;; amdgpu-corpus repo=ROCm/rocSOLVER kind=compiled arch=gfx1030 opt=O3
	.amdgcn_target "amdgcn-amd-amdhsa--gfx1030"
	.amdhsa_code_object_version 6
	.section	.text._ZN9rocsolver6v33100L18getri_kernel_smallILi1E19rocblas_complex_numIdEPS3_EEvT1_iilPiilS6_bb,"axG",@progbits,_ZN9rocsolver6v33100L18getri_kernel_smallILi1E19rocblas_complex_numIdEPS3_EEvT1_iilPiilS6_bb,comdat
	.globl	_ZN9rocsolver6v33100L18getri_kernel_smallILi1E19rocblas_complex_numIdEPS3_EEvT1_iilPiilS6_bb ; -- Begin function _ZN9rocsolver6v33100L18getri_kernel_smallILi1E19rocblas_complex_numIdEPS3_EEvT1_iilPiilS6_bb
	.p2align	8
	.type	_ZN9rocsolver6v33100L18getri_kernel_smallILi1E19rocblas_complex_numIdEPS3_EEvT1_iilPiilS6_bb,@function
_ZN9rocsolver6v33100L18getri_kernel_smallILi1E19rocblas_complex_numIdEPS3_EEvT1_iilPiilS6_bb: ; @_ZN9rocsolver6v33100L18getri_kernel_smallILi1E19rocblas_complex_numIdEPS3_EEvT1_iilPiilS6_bb
; %bb.0:
	s_mov_b32 s1, 0
	s_mov_b32 s0, exec_lo
	v_cmpx_eq_u32_e32 0, v0
	s_cbranch_execz .LBB0_13
; %bb.1:
	s_clause 0x4
	s_load_dword s2, s[4:5], 0x8
	s_load_dword s0, s[4:5], 0x38
	s_load_dwordx2 s[8:9], s[4:5], 0x10
	s_load_dwordx2 s[10:11], s[4:5], 0x0
	s_load_dwordx2 s[4:5], s[4:5], 0x30
	s_waitcnt lgkmcnt(0)
	s_ashr_i32 s3, s2, 31
	s_bitcmp1_b32 s0, 0
	s_mul_hi_u32 s12, s8, s6
	s_cselect_b32 s0, -1, 0
	s_ashr_i32 s7, s6, 31
	s_mul_i32 s9, s9, s6
	s_mul_i32 s13, s8, s7
	;; [unrolled: 1-line block ×3, first 2 shown]
	s_add_i32 s12, s12, s13
	s_add_i32 s9, s12, s9
	s_lshl_b64 s[8:9], s[8:9], 4
	s_add_u32 s8, s10, s8
	s_addc_u32 s9, s11, s9
	s_lshl_b64 s[2:3], s[2:3], 4
	s_add_u32 s2, s8, s2
	s_addc_u32 s3, s9, s3
	s_and_b32 vcc_lo, exec_lo, s0
	s_load_dwordx4 s[8:11], s[2:3], 0x0
	s_mov_b32 s0, -1
	s_cbranch_vccnz .LBB0_3
; %bb.2:
	s_lshl_b64 s[0:1], s[6:7], 2
	s_add_u32 s0, s4, s0
	s_addc_u32 s1, s5, s1
	s_load_dword s0, s[0:1], 0x0
	s_waitcnt lgkmcnt(0)
	s_cmp_eq_u32 s0, 0
	s_mov_b32 s0, 0
	s_cselect_b32 s1, -1, 0
.LBB0_3:
	s_andn2_b32 vcc_lo, exec_lo, s0
	s_cbranch_vccnz .LBB0_11
; %bb.4:
	s_waitcnt lgkmcnt(0)
	v_cmp_eq_f64_e64 s0, s[8:9], 0
	v_cmp_eq_f64_e64 s12, s[10:11], 0
	v_mov_b32_e32 v0, 0
	ds_write_b32 v0, v0
	s_waitcnt lgkmcnt(0)
	s_barrier
	buffer_gl0_inv
	s_and_b32 s0, s0, s12
	s_andn2_b32 vcc_lo, exec_lo, s0
	s_cbranch_vccnz .LBB0_9
; %bb.5:
	ds_read_b32 v1, v0
	s_mov_b32 s12, 0
	s_waitcnt lgkmcnt(0)
	v_cmp_ne_u32_e32 vcc_lo, 0, v1
	v_cmp_gt_i32_e64 s0, 2, v1
	s_and_b32 s0, vcc_lo, s0
	s_and_b32 vcc_lo, exec_lo, s0
	s_cbranch_vccnz .LBB0_9
; %bb.6:
	v_mov_b32_e32 v2, 1
	v_mov_b32_e32 v3, 0
.LBB0_7:                                ; =>This Inner Loop Header: Depth=1
	ds_cmpst_rtn_b32 v1, v3, v1, v2
	s_waitcnt lgkmcnt(0)
	v_cmp_ne_u32_e32 vcc_lo, 0, v1
	v_cmp_gt_i32_e64 s0, 2, v1
	s_and_b32 s0, vcc_lo, s0
	s_and_b32 s0, exec_lo, s0
	s_or_b32 s12, s0, s12
	s_andn2_b32 exec_lo, exec_lo, s12
	s_cbranch_execnz .LBB0_7
; %bb.8:
	s_or_b32 exec_lo, exec_lo, s12
.LBB0_9:
	s_barrier
	buffer_gl0_inv
	ds_read_b32 v1, v0
	s_lshl_b64 s[6:7], s[6:7], 2
	s_add_u32 s4, s4, s6
	s_addc_u32 s5, s5, s7
	s_waitcnt lgkmcnt(0)
	v_cmp_ne_u32_e32 vcc_lo, 0, v1
	global_store_dword v0, v1, s[4:5]
	s_cbranch_vccz .LBB0_14
; %bb.10:
                                        ; implicit-def: $vgpr0_vgpr1
	s_and_b32 vcc_lo, exec_lo, s1
	s_cbranch_vccnz .LBB0_12
	s_branch .LBB0_13
.LBB0_11:
	s_waitcnt lgkmcnt(0)
	v_mov_b32_e32 v2, s10
	v_mov_b32_e32 v0, s8
	;; [unrolled: 1-line block ×4, first 2 shown]
	s_and_b32 vcc_lo, exec_lo, s1
	s_cbranch_vccz .LBB0_13
.LBB0_12:
	v_mov_b32_e32 v4, 0
	global_store_dwordx4 v4, v[0:3], s[2:3]
.LBB0_13:
	s_endpgm
.LBB0_14:
	v_cmp_ngt_f64_e64 s0, |s[8:9]|, |s[10:11]|
	s_and_b32 vcc_lo, exec_lo, s0
	s_cbranch_vccz .LBB0_16
; %bb.15:
	v_div_scale_f64 v[0:1], null, s[10:11], s[10:11], s[8:9]
	v_div_scale_f64 v[6:7], vcc_lo, s[8:9], s[10:11], s[8:9]
	v_rcp_f64_e32 v[2:3], v[0:1]
	v_fma_f64 v[4:5], -v[0:1], v[2:3], 1.0
	v_fma_f64 v[2:3], v[2:3], v[4:5], v[2:3]
	v_fma_f64 v[4:5], -v[0:1], v[2:3], 1.0
	v_fma_f64 v[2:3], v[2:3], v[4:5], v[2:3]
	v_mul_f64 v[4:5], v[6:7], v[2:3]
	v_fma_f64 v[0:1], -v[0:1], v[4:5], v[6:7]
	v_div_fmas_f64 v[0:1], v[0:1], v[2:3], v[4:5]
	v_div_fixup_f64 v[0:1], v[0:1], s[10:11], s[8:9]
	v_fma_f64 v[2:3], s[8:9], v[0:1], s[10:11]
	v_div_scale_f64 v[4:5], null, v[2:3], v[2:3], 1.0
	v_rcp_f64_e32 v[6:7], v[4:5]
	v_fma_f64 v[8:9], -v[4:5], v[6:7], 1.0
	v_fma_f64 v[6:7], v[6:7], v[8:9], v[6:7]
	v_fma_f64 v[8:9], -v[4:5], v[6:7], 1.0
	v_fma_f64 v[6:7], v[6:7], v[8:9], v[6:7]
	v_div_scale_f64 v[8:9], vcc_lo, 1.0, v[2:3], 1.0
	v_mul_f64 v[10:11], v[8:9], v[6:7]
	v_fma_f64 v[4:5], -v[4:5], v[10:11], v[8:9]
	v_div_fmas_f64 v[4:5], v[4:5], v[6:7], v[10:11]
	v_div_fixup_f64 v[2:3], v[4:5], v[2:3], 1.0
	v_mul_f64 v[0:1], v[0:1], v[2:3]
	v_xor_b32_e32 v3, 0x80000000, v3
	s_cbranch_execz .LBB0_17
	s_branch .LBB0_18
.LBB0_16:
                                        ; implicit-def: $vgpr0_vgpr1
.LBB0_17:
	v_div_scale_f64 v[0:1], null, s[8:9], s[8:9], s[10:11]
	v_div_scale_f64 v[6:7], vcc_lo, s[10:11], s[8:9], s[10:11]
	v_rcp_f64_e32 v[2:3], v[0:1]
	v_fma_f64 v[4:5], -v[0:1], v[2:3], 1.0
	v_fma_f64 v[2:3], v[2:3], v[4:5], v[2:3]
	v_fma_f64 v[4:5], -v[0:1], v[2:3], 1.0
	v_fma_f64 v[2:3], v[2:3], v[4:5], v[2:3]
	v_mul_f64 v[4:5], v[6:7], v[2:3]
	v_fma_f64 v[0:1], -v[0:1], v[4:5], v[6:7]
	v_div_fmas_f64 v[0:1], v[0:1], v[2:3], v[4:5]
	v_div_fixup_f64 v[2:3], v[0:1], s[8:9], s[10:11]
	v_fma_f64 v[0:1], s[10:11], v[2:3], s[8:9]
	v_div_scale_f64 v[4:5], null, v[0:1], v[0:1], 1.0
	v_rcp_f64_e32 v[6:7], v[4:5]
	v_fma_f64 v[8:9], -v[4:5], v[6:7], 1.0
	v_fma_f64 v[6:7], v[6:7], v[8:9], v[6:7]
	v_fma_f64 v[8:9], -v[4:5], v[6:7], 1.0
	v_fma_f64 v[6:7], v[6:7], v[8:9], v[6:7]
	v_div_scale_f64 v[8:9], vcc_lo, 1.0, v[0:1], 1.0
	v_mul_f64 v[10:11], v[8:9], v[6:7]
	v_fma_f64 v[4:5], -v[4:5], v[10:11], v[8:9]
	v_div_fmas_f64 v[4:5], v[4:5], v[6:7], v[10:11]
	v_div_fixup_f64 v[0:1], v[4:5], v[0:1], 1.0
	v_mul_f64 v[2:3], v[2:3], -v[0:1]
.LBB0_18:
	s_cbranch_execnz .LBB0_12
	s_branch .LBB0_13
	.section	.rodata,"a",@progbits
	.p2align	6, 0x0
	.amdhsa_kernel _ZN9rocsolver6v33100L18getri_kernel_smallILi1E19rocblas_complex_numIdEPS3_EEvT1_iilPiilS6_bb
		.amdhsa_group_segment_fixed_size 4
		.amdhsa_private_segment_fixed_size 0
		.amdhsa_kernarg_size 60
		.amdhsa_user_sgpr_count 6
		.amdhsa_user_sgpr_private_segment_buffer 1
		.amdhsa_user_sgpr_dispatch_ptr 0
		.amdhsa_user_sgpr_queue_ptr 0
		.amdhsa_user_sgpr_kernarg_segment_ptr 1
		.amdhsa_user_sgpr_dispatch_id 0
		.amdhsa_user_sgpr_flat_scratch_init 0
		.amdhsa_user_sgpr_private_segment_size 0
		.amdhsa_wavefront_size32 1
		.amdhsa_uses_dynamic_stack 0
		.amdhsa_system_sgpr_private_segment_wavefront_offset 0
		.amdhsa_system_sgpr_workgroup_id_x 1
		.amdhsa_system_sgpr_workgroup_id_y 0
		.amdhsa_system_sgpr_workgroup_id_z 0
		.amdhsa_system_sgpr_workgroup_info 0
		.amdhsa_system_vgpr_workitem_id 0
		.amdhsa_next_free_vgpr 12
		.amdhsa_next_free_sgpr 14
		.amdhsa_reserve_vcc 1
		.amdhsa_reserve_flat_scratch 0
		.amdhsa_float_round_mode_32 0
		.amdhsa_float_round_mode_16_64 0
		.amdhsa_float_denorm_mode_32 3
		.amdhsa_float_denorm_mode_16_64 3
		.amdhsa_dx10_clamp 1
		.amdhsa_ieee_mode 1
		.amdhsa_fp16_overflow 0
		.amdhsa_workgroup_processor_mode 1
		.amdhsa_memory_ordered 1
		.amdhsa_forward_progress 1
		.amdhsa_shared_vgpr_count 0
		.amdhsa_exception_fp_ieee_invalid_op 0
		.amdhsa_exception_fp_denorm_src 0
		.amdhsa_exception_fp_ieee_div_zero 0
		.amdhsa_exception_fp_ieee_overflow 0
		.amdhsa_exception_fp_ieee_underflow 0
		.amdhsa_exception_fp_ieee_inexact 0
		.amdhsa_exception_int_div_zero 0
	.end_amdhsa_kernel
	.section	.text._ZN9rocsolver6v33100L18getri_kernel_smallILi1E19rocblas_complex_numIdEPS3_EEvT1_iilPiilS6_bb,"axG",@progbits,_ZN9rocsolver6v33100L18getri_kernel_smallILi1E19rocblas_complex_numIdEPS3_EEvT1_iilPiilS6_bb,comdat
.Lfunc_end0:
	.size	_ZN9rocsolver6v33100L18getri_kernel_smallILi1E19rocblas_complex_numIdEPS3_EEvT1_iilPiilS6_bb, .Lfunc_end0-_ZN9rocsolver6v33100L18getri_kernel_smallILi1E19rocblas_complex_numIdEPS3_EEvT1_iilPiilS6_bb
                                        ; -- End function
	.set _ZN9rocsolver6v33100L18getri_kernel_smallILi1E19rocblas_complex_numIdEPS3_EEvT1_iilPiilS6_bb.num_vgpr, 12
	.set _ZN9rocsolver6v33100L18getri_kernel_smallILi1E19rocblas_complex_numIdEPS3_EEvT1_iilPiilS6_bb.num_agpr, 0
	.set _ZN9rocsolver6v33100L18getri_kernel_smallILi1E19rocblas_complex_numIdEPS3_EEvT1_iilPiilS6_bb.numbered_sgpr, 14
	.set _ZN9rocsolver6v33100L18getri_kernel_smallILi1E19rocblas_complex_numIdEPS3_EEvT1_iilPiilS6_bb.num_named_barrier, 0
	.set _ZN9rocsolver6v33100L18getri_kernel_smallILi1E19rocblas_complex_numIdEPS3_EEvT1_iilPiilS6_bb.private_seg_size, 0
	.set _ZN9rocsolver6v33100L18getri_kernel_smallILi1E19rocblas_complex_numIdEPS3_EEvT1_iilPiilS6_bb.uses_vcc, 1
	.set _ZN9rocsolver6v33100L18getri_kernel_smallILi1E19rocblas_complex_numIdEPS3_EEvT1_iilPiilS6_bb.uses_flat_scratch, 0
	.set _ZN9rocsolver6v33100L18getri_kernel_smallILi1E19rocblas_complex_numIdEPS3_EEvT1_iilPiilS6_bb.has_dyn_sized_stack, 0
	.set _ZN9rocsolver6v33100L18getri_kernel_smallILi1E19rocblas_complex_numIdEPS3_EEvT1_iilPiilS6_bb.has_recursion, 0
	.set _ZN9rocsolver6v33100L18getri_kernel_smallILi1E19rocblas_complex_numIdEPS3_EEvT1_iilPiilS6_bb.has_indirect_call, 0
	.section	.AMDGPU.csdata,"",@progbits
; Kernel info:
; codeLenInByte = 864
; TotalNumSgprs: 16
; NumVgprs: 12
; ScratchSize: 0
; MemoryBound: 0
; FloatMode: 240
; IeeeMode: 1
; LDSByteSize: 4 bytes/workgroup (compile time only)
; SGPRBlocks: 0
; VGPRBlocks: 1
; NumSGPRsForWavesPerEU: 16
; NumVGPRsForWavesPerEU: 12
; Occupancy: 16
; WaveLimiterHint : 0
; COMPUTE_PGM_RSRC2:SCRATCH_EN: 0
; COMPUTE_PGM_RSRC2:USER_SGPR: 6
; COMPUTE_PGM_RSRC2:TRAP_HANDLER: 0
; COMPUTE_PGM_RSRC2:TGID_X_EN: 1
; COMPUTE_PGM_RSRC2:TGID_Y_EN: 0
; COMPUTE_PGM_RSRC2:TGID_Z_EN: 0
; COMPUTE_PGM_RSRC2:TIDIG_COMP_CNT: 0
	.section	.text._ZN9rocsolver6v33100L18getri_kernel_smallILi2E19rocblas_complex_numIdEPS3_EEvT1_iilPiilS6_bb,"axG",@progbits,_ZN9rocsolver6v33100L18getri_kernel_smallILi2E19rocblas_complex_numIdEPS3_EEvT1_iilPiilS6_bb,comdat
	.globl	_ZN9rocsolver6v33100L18getri_kernel_smallILi2E19rocblas_complex_numIdEPS3_EEvT1_iilPiilS6_bb ; -- Begin function _ZN9rocsolver6v33100L18getri_kernel_smallILi2E19rocblas_complex_numIdEPS3_EEvT1_iilPiilS6_bb
	.p2align	8
	.type	_ZN9rocsolver6v33100L18getri_kernel_smallILi2E19rocblas_complex_numIdEPS3_EEvT1_iilPiilS6_bb,@function
_ZN9rocsolver6v33100L18getri_kernel_smallILi2E19rocblas_complex_numIdEPS3_EEvT1_iilPiilS6_bb: ; @_ZN9rocsolver6v33100L18getri_kernel_smallILi2E19rocblas_complex_numIdEPS3_EEvT1_iilPiilS6_bb
; %bb.0:
	s_add_u32 s0, s0, s9
	s_addc_u32 s1, s1, 0
	s_mov_b32 s9, exec_lo
	v_cmpx_gt_u32_e32 2, v0
	s_cbranch_execz .LBB1_22
; %bb.1:
	s_clause 0x2
	s_load_dword s9, s[6:7], 0x38
	s_load_dwordx4 s[16:19], s[6:7], 0x10
	s_load_dwordx4 s[12:15], s[6:7], 0x28
	s_waitcnt lgkmcnt(0)
	s_bitcmp1_b32 s9, 8
	s_cselect_b32 s20, -1, 0
	s_bfe_u32 s10, s9, 0x10008
	s_ashr_i32 s9, s8, 31
	s_cmp_eq_u32 s10, 0
                                        ; implicit-def: $sgpr10_sgpr11
	s_cbranch_scc1 .LBB1_3
; %bb.2:
	s_load_dword s10, s[6:7], 0x20
	s_mul_i32 s11, s12, s9
	s_mul_hi_u32 s21, s12, s8
	s_mul_i32 s13, s13, s8
	s_add_i32 s11, s21, s11
	s_mul_i32 s12, s12, s8
	s_add_i32 s13, s11, s13
	s_lshl_b64 s[12:13], s[12:13], 2
	s_waitcnt lgkmcnt(0)
	s_ashr_i32 s11, s10, 31
	s_add_u32 s12, s18, s12
	s_addc_u32 s13, s19, s13
	s_lshl_b64 s[10:11], s[10:11], 2
	s_add_u32 s10, s12, s10
	s_addc_u32 s11, s13, s11
.LBB1_3:
	s_clause 0x1
	s_load_dwordx4 s[24:27], s[6:7], 0x0
	s_load_dword s18, s[6:7], 0x38
	s_mul_i32 s6, s16, s9
	s_mul_hi_u32 s7, s16, s8
	s_mul_i32 s12, s17, s8
	s_add_i32 s7, s7, s6
	s_mul_i32 s6, s16, s8
	s_add_i32 s7, s7, s12
	v_lshlrev_b32_e32 v17, 4, v0
	s_lshl_b64 s[6:7], s[6:7], 4
	s_waitcnt lgkmcnt(0)
	s_ashr_i32 s13, s26, 31
	s_mov_b32 s12, s26
	s_add_u32 s16, s24, s6
	s_addc_u32 s17, s25, s7
	s_lshl_b64 s[6:7], s[12:13], 4
	s_mov_b32 s12, s27
	s_add_u32 s6, s16, s6
	s_addc_u32 s7, s17, s7
	v_add_co_u32 v9, s16, s6, v17
	s_ashr_i32 s13, s27, 31
	v_add_co_ci_u32_e64 v10, null, s7, 0, s16
	s_lshl_b64 s[12:13], s[12:13], 4
	s_bitcmp0_b32 s18, 0
	v_add_co_u32 v7, vcc_lo, v9, s12
	v_add_co_ci_u32_e64 v8, null, s13, v10, vcc_lo
	s_clause 0x1
	global_load_dwordx4 v[3:6], v17, s[6:7]
	global_load_dwordx4 v[11:14], v[7:8], off
	s_mov_b32 s7, -1
	s_mov_b32 s12, 16
	s_waitcnt vmcnt(1)
	buffer_store_dword v6, off, s[0:3], 0 offset:12
	buffer_store_dword v5, off, s[0:3], 0 offset:8
	;; [unrolled: 1-line block ×3, first 2 shown]
	buffer_store_dword v3, off, s[0:3], 0
	s_waitcnt vmcnt(0)
	buffer_store_dword v14, off, s[0:3], 0 offset:28
	buffer_store_dword v13, off, s[0:3], 0 offset:24
	buffer_store_dword v12, off, s[0:3], 0 offset:20
	buffer_store_dword v11, off, s[0:3], 0 offset:16
	s_cbranch_scc1 .LBB1_20
; %bb.4:
	v_cmp_eq_u32_e64 s6, 0, v0
	s_and_saveexec_b32 s7, s6
; %bb.5:
	v_mov_b32_e32 v3, 0
	ds_write_b32 v3, v3 offset:64
; %bb.6:
	s_or_b32 exec_lo, exec_lo, s7
	v_lshl_add_u32 v18, v0, 4, 0
	s_waitcnt lgkmcnt(0)
	s_waitcnt_vscnt null, 0x0
	s_barrier
	buffer_gl0_inv
	s_clause 0x3
	buffer_load_dword v3, v18, s[0:3], 0 offen
	buffer_load_dword v4, v18, s[0:3], 0 offen offset:4
	buffer_load_dword v5, v18, s[0:3], 0 offen offset:8
	;; [unrolled: 1-line block ×3, first 2 shown]
	s_waitcnt vmcnt(2)
	v_cmp_eq_f64_e32 vcc_lo, 0, v[3:4]
	s_waitcnt vmcnt(0)
	v_cmp_eq_f64_e64 s7, 0, v[5:6]
	s_and_b32 s7, vcc_lo, s7
	s_and_saveexec_b32 s13, s7
	s_cbranch_execz .LBB1_10
; %bb.7:
	v_mov_b32_e32 v3, 0
	s_mov_b32 s16, 0
	ds_read_b32 v4, v3 offset:64
	s_waitcnt lgkmcnt(0)
	v_readfirstlane_b32 s7, v4
	v_add_nc_u32_e32 v4, 1, v0
	s_cmp_eq_u32 s7, 0
	v_cmp_gt_i32_e32 vcc_lo, s7, v4
	s_cselect_b32 s17, -1, 0
	s_or_b32 s17, s17, vcc_lo
	s_and_b32 exec_lo, exec_lo, s17
	s_cbranch_execz .LBB1_10
; %bb.8:
	v_mov_b32_e32 v5, s7
.LBB1_9:                                ; =>This Inner Loop Header: Depth=1
	ds_cmpst_rtn_b32 v5, v3, v5, v4 offset:64
	s_waitcnt lgkmcnt(0)
	v_cmp_ne_u32_e32 vcc_lo, 0, v5
	v_cmp_le_i32_e64 s7, v5, v4
	s_and_b32 s7, vcc_lo, s7
	s_and_b32 s7, exec_lo, s7
	s_or_b32 s16, s7, s16
	s_andn2_b32 exec_lo, exec_lo, s16
	s_cbranch_execnz .LBB1_9
.LBB1_10:
	s_or_b32 exec_lo, exec_lo, s13
	v_mov_b32_e32 v3, 0
	s_barrier
	buffer_gl0_inv
	ds_read_b32 v4, v3 offset:64
	s_and_saveexec_b32 s7, s6
	s_cbranch_execz .LBB1_12
; %bb.11:
	s_lshl_b64 s[16:17], s[8:9], 2
	s_add_u32 s16, s14, s16
	s_addc_u32 s17, s15, s17
	s_waitcnt lgkmcnt(0)
	global_store_dword v3, v4, s[16:17]
.LBB1_12:
	s_or_b32 exec_lo, exec_lo, s7
	s_waitcnt lgkmcnt(0)
	v_cmp_ne_u32_e32 vcc_lo, 0, v4
	s_mov_b32 s7, 0
	s_cbranch_vccnz .LBB1_20
; %bb.13:
	s_clause 0x3
	buffer_load_dword v13, v18, s[0:3], 0 offen
	buffer_load_dword v14, v18, s[0:3], 0 offen offset:4
	buffer_load_dword v15, v18, s[0:3], 0 offen offset:8
	;; [unrolled: 1-line block ×3, first 2 shown]
                                        ; implicit-def: $vgpr11_vgpr12
                                        ; implicit-def: $vgpr5_vgpr6
	s_waitcnt vmcnt(0)
	v_cmp_ngt_f64_e64 s7, |v[13:14]|, |v[15:16]|
	s_and_saveexec_b32 s13, s7
	s_xor_b32 s7, exec_lo, s13
	s_cbranch_execz .LBB1_15
; %bb.14:
	v_div_scale_f64 v[3:4], null, v[15:16], v[15:16], v[13:14]
	v_div_scale_f64 v[19:20], vcc_lo, v[13:14], v[15:16], v[13:14]
	v_rcp_f64_e32 v[5:6], v[3:4]
	v_fma_f64 v[11:12], -v[3:4], v[5:6], 1.0
	v_fma_f64 v[5:6], v[5:6], v[11:12], v[5:6]
	v_fma_f64 v[11:12], -v[3:4], v[5:6], 1.0
	v_fma_f64 v[5:6], v[5:6], v[11:12], v[5:6]
	v_mul_f64 v[11:12], v[19:20], v[5:6]
	v_fma_f64 v[3:4], -v[3:4], v[11:12], v[19:20]
	v_div_fmas_f64 v[3:4], v[3:4], v[5:6], v[11:12]
	v_div_fixup_f64 v[3:4], v[3:4], v[15:16], v[13:14]
	v_fma_f64 v[5:6], v[13:14], v[3:4], v[15:16]
	v_div_scale_f64 v[11:12], null, v[5:6], v[5:6], 1.0
	v_div_scale_f64 v[19:20], vcc_lo, 1.0, v[5:6], 1.0
	v_rcp_f64_e32 v[13:14], v[11:12]
	v_fma_f64 v[15:16], -v[11:12], v[13:14], 1.0
	v_fma_f64 v[13:14], v[13:14], v[15:16], v[13:14]
	v_fma_f64 v[15:16], -v[11:12], v[13:14], 1.0
	v_fma_f64 v[13:14], v[13:14], v[15:16], v[13:14]
	v_mul_f64 v[15:16], v[19:20], v[13:14]
	v_fma_f64 v[11:12], -v[11:12], v[15:16], v[19:20]
	v_div_fmas_f64 v[11:12], v[11:12], v[13:14], v[15:16]
                                        ; implicit-def: $vgpr13_vgpr14
                                        ; implicit-def: $vgpr15_vgpr16
	v_div_fixup_f64 v[5:6], v[11:12], v[5:6], 1.0
	v_mul_f64 v[11:12], v[3:4], v[5:6]
	v_xor_b32_e32 v6, 0x80000000, v6
	v_xor_b32_e32 v4, 0x80000000, v12
	v_mov_b32_e32 v3, v11
.LBB1_15:
	s_andn2_saveexec_b32 s7, s7
	s_cbranch_execz .LBB1_17
; %bb.16:
	v_div_scale_f64 v[3:4], null, v[13:14], v[13:14], v[15:16]
	v_div_scale_f64 v[19:20], vcc_lo, v[15:16], v[13:14], v[15:16]
	v_rcp_f64_e32 v[5:6], v[3:4]
	v_fma_f64 v[11:12], -v[3:4], v[5:6], 1.0
	v_fma_f64 v[5:6], v[5:6], v[11:12], v[5:6]
	v_fma_f64 v[11:12], -v[3:4], v[5:6], 1.0
	v_fma_f64 v[5:6], v[5:6], v[11:12], v[5:6]
	v_mul_f64 v[11:12], v[19:20], v[5:6]
	v_fma_f64 v[3:4], -v[3:4], v[11:12], v[19:20]
	v_div_fmas_f64 v[3:4], v[3:4], v[5:6], v[11:12]
	v_div_fixup_f64 v[3:4], v[3:4], v[13:14], v[15:16]
	v_fma_f64 v[5:6], v[15:16], v[3:4], v[13:14]
	v_div_scale_f64 v[11:12], null, v[5:6], v[5:6], 1.0
	v_rcp_f64_e32 v[13:14], v[11:12]
	v_fma_f64 v[15:16], -v[11:12], v[13:14], 1.0
	v_fma_f64 v[13:14], v[13:14], v[15:16], v[13:14]
	v_fma_f64 v[15:16], -v[11:12], v[13:14], 1.0
	v_fma_f64 v[13:14], v[13:14], v[15:16], v[13:14]
	v_div_scale_f64 v[15:16], vcc_lo, 1.0, v[5:6], 1.0
	v_mul_f64 v[19:20], v[15:16], v[13:14]
	v_fma_f64 v[11:12], -v[11:12], v[19:20], v[15:16]
	v_div_fmas_f64 v[11:12], v[11:12], v[13:14], v[19:20]
	v_div_fixup_f64 v[11:12], v[11:12], v[5:6], 1.0
	v_mul_f64 v[5:6], v[3:4], -v[11:12]
	v_xor_b32_e32 v4, 0x80000000, v12
	v_mov_b32_e32 v3, v11
.LBB1_17:
	s_or_b32 exec_lo, exec_lo, s7
	v_mov_b32_e32 v15, s12
	buffer_store_dword v12, v18, s[0:3], 0 offen offset:4
	buffer_store_dword v11, v18, s[0:3], 0 offen
	buffer_store_dword v6, v18, s[0:3], 0 offen offset:12
	buffer_store_dword v5, v18, s[0:3], 0 offen offset:8
	v_xor_b32_e32 v6, 0x80000000, v6
	s_clause 0x3
	buffer_load_dword v14, v15, s[0:3], 0 offen offset:12
	buffer_load_dword v13, v15, s[0:3], 0 offen offset:8
	;; [unrolled: 1-line block ×3, first 2 shown]
	buffer_load_dword v11, v15, s[0:3], 0 offen
	ds_write_b128 v17, v[3:6]
	s_waitcnt vmcnt(0)
	ds_write_b128 v17, v[11:14] offset:32
	s_waitcnt lgkmcnt(0)
	s_waitcnt_vscnt null, 0x0
	s_barrier
	buffer_gl0_inv
	s_and_saveexec_b32 s7, s6
	s_cbranch_execz .LBB1_19
; %bb.18:
	s_clause 0x3
	buffer_load_dword v11, off, s[0:3], 0 offset:8
	buffer_load_dword v12, off, s[0:3], 0 offset:12
	buffer_load_dword v13, off, s[0:3], 0
	buffer_load_dword v14, off, s[0:3], 0 offset:4
	v_mov_b32_e32 v17, 0
	ds_read_b128 v[3:6], v17 offset:32
	s_waitcnt vmcnt(2) lgkmcnt(0)
	v_mul_f64 v[15:16], v[3:4], v[11:12]
	v_mul_f64 v[11:12], v[5:6], v[11:12]
	s_waitcnt vmcnt(0)
	v_fma_f64 v[5:6], v[5:6], v[13:14], v[15:16]
	v_fma_f64 v[11:12], v[3:4], v[13:14], -v[11:12]
	v_add_f64 v[13:14], v[5:6], 0
	ds_read_b128 v[3:6], v17 offset:16
	v_add_f64 v[11:12], v[11:12], 0
	s_waitcnt lgkmcnt(0)
	v_mul_f64 v[15:16], v[13:14], v[5:6]
	v_mul_f64 v[5:6], v[11:12], v[5:6]
	v_fma_f64 v[11:12], v[11:12], v[3:4], -v[15:16]
	v_fma_f64 v[3:4], v[13:14], v[3:4], v[5:6]
	buffer_store_dword v12, off, s[0:3], 0 offset:20
	buffer_store_dword v11, off, s[0:3], 0 offset:16
	;; [unrolled: 1-line block ×4, first 2 shown]
.LBB1_19:
	s_or_b32 exec_lo, exec_lo, s7
	s_mov_b32 s7, -1
	s_waitcnt_vscnt null, 0x0
	s_barrier
	buffer_gl0_inv
.LBB1_20:
	s_and_b32 vcc_lo, exec_lo, s7
	s_cbranch_vccz .LBB1_22
; %bb.21:
	s_lshl_b64 s[6:7], s[8:9], 2
	v_mov_b32_e32 v3, 0
	s_add_u32 s6, s14, s6
	s_addc_u32 s7, s15, s7
	global_load_dword v3, v3, s[6:7]
	s_waitcnt vmcnt(0)
	v_cmp_ne_u32_e32 vcc_lo, 0, v3
	s_cbranch_vccz .LBB1_23
.LBB1_22:
	s_endpgm
.LBB1_23:
	s_mov_b32 s6, exec_lo
	v_cmpx_eq_u32_e32 1, v0
	s_cbranch_execz .LBB1_25
; %bb.24:
	s_clause 0x3
	buffer_load_dword v3, off, s[0:3], 0
	buffer_load_dword v4, off, s[0:3], 0 offset:4
	buffer_load_dword v5, off, s[0:3], 0 offset:8
	;; [unrolled: 1-line block ×3, first 2 shown]
	v_mov_b32_e32 v11, 0
	buffer_store_dword v11, off, s[0:3], 0
	buffer_store_dword v11, off, s[0:3], 0 offset:4
	buffer_store_dword v11, off, s[0:3], 0 offset:8
	;; [unrolled: 1-line block ×3, first 2 shown]
	s_waitcnt vmcnt(0)
	ds_write_b128 v11, v[3:6] offset:48
.LBB1_25:
	s_or_b32 exec_lo, exec_lo, s6
	s_waitcnt lgkmcnt(0)
	s_waitcnt_vscnt null, 0x0
	s_barrier
	buffer_gl0_inv
	s_clause 0x7
	buffer_load_dword v4, off, s[0:3], 0 offset:24
	buffer_load_dword v5, off, s[0:3], 0 offset:28
	;; [unrolled: 1-line block ×4, first 2 shown]
	buffer_load_dword v17, off, s[0:3], 0
	buffer_load_dword v18, off, s[0:3], 0 offset:4
	buffer_load_dword v19, off, s[0:3], 0 offset:8
	;; [unrolled: 1-line block ×3, first 2 shown]
	v_mov_b32_e32 v3, 0
	s_and_b32 vcc_lo, exec_lo, s20
	ds_read_b128 v[11:14], v3 offset:48
	s_waitcnt vmcnt(6) lgkmcnt(0)
	v_mul_f64 v[21:22], v[13:14], v[4:5]
	v_mul_f64 v[4:5], v[11:12], v[4:5]
	s_waitcnt vmcnt(4)
	v_fma_f64 v[11:12], v[11:12], v[15:16], -v[21:22]
	v_fma_f64 v[4:5], v[13:14], v[15:16], v[4:5]
	v_add_f64 v[11:12], v[11:12], 0
	v_add_f64 v[4:5], v[4:5], 0
	s_waitcnt vmcnt(2)
	v_add_f64 v[11:12], v[17:18], -v[11:12]
	s_waitcnt vmcnt(0)
	v_add_f64 v[4:5], v[19:20], -v[4:5]
	buffer_store_dword v11, off, s[0:3], 0
	buffer_store_dword v12, off, s[0:3], 0 offset:4
	buffer_store_dword v4, off, s[0:3], 0 offset:8
	;; [unrolled: 1-line block ×3, first 2 shown]
	s_cbranch_vccz .LBB1_28
; %bb.26:
	global_load_dword v3, v3, s[10:11]
	s_waitcnt vmcnt(0)
	v_add_nc_u32_e32 v3, -1, v3
	v_cmp_ne_u32_e32 vcc_lo, 0, v3
	s_cbranch_vccz .LBB1_28
; %bb.27:
	v_lshlrev_b32_e32 v3, 4, v3
	s_load_dwordx2 s[4:5], s[4:5], 0x4
	v_mov_b32_e32 v11, v3
	s_clause 0x7
	buffer_load_dword v3, off, s[0:3], 0
	buffer_load_dword v4, off, s[0:3], 0 offset:4
	buffer_load_dword v5, off, s[0:3], 0 offset:8
	;; [unrolled: 1-line block ×3, first 2 shown]
	buffer_load_dword v12, v11, s[0:3], 0 offen
	buffer_load_dword v13, v11, s[0:3], 0 offen offset:4
	buffer_load_dword v14, v11, s[0:3], 0 offen offset:8
	;; [unrolled: 1-line block ×3, first 2 shown]
	s_waitcnt lgkmcnt(0)
	v_mul_u32_u24_e32 v1, s5, v1
	s_lshr_b32 s4, s4, 16
	s_mul_i32 s4, s4, s5
	v_mad_u32_u24 v0, s4, v0, v1
	v_add_lshl_u32 v0, v0, v2, 4
	s_waitcnt vmcnt(4)
	ds_write2_b64 v0, v[3:4], v[5:6] offset0:9 offset1:10
	s_waitcnt vmcnt(3)
	buffer_store_dword v12, off, s[0:3], 0
	s_waitcnt vmcnt(2)
	buffer_store_dword v13, off, s[0:3], 0 offset:4
	s_waitcnt vmcnt(1)
	buffer_store_dword v14, off, s[0:3], 0 offset:8
	;; [unrolled: 2-line block ×3, first 2 shown]
	buffer_store_dword v6, v11, s[0:3], 0 offen offset:12
	buffer_store_dword v5, v11, s[0:3], 0 offen offset:8
	;; [unrolled: 1-line block ×3, first 2 shown]
	buffer_store_dword v3, v11, s[0:3], 0 offen
.LBB1_28:
	v_mov_b32_e32 v4, s12
	s_clause 0x7
	buffer_load_dword v0, off, s[0:3], 0
	buffer_load_dword v1, off, s[0:3], 0 offset:4
	buffer_load_dword v2, off, s[0:3], 0 offset:8
	;; [unrolled: 1-line block ×3, first 2 shown]
	buffer_load_dword v11, v4, s[0:3], 0 offen
	buffer_load_dword v12, v4, s[0:3], 0 offen offset:4
	buffer_load_dword v13, v4, s[0:3], 0 offen offset:8
	;; [unrolled: 1-line block ×3, first 2 shown]
	s_waitcnt vmcnt(4)
	global_store_dwordx4 v[9:10], v[0:3], off
	s_waitcnt vmcnt(0)
	global_store_dwordx4 v[7:8], v[11:14], off
	s_endpgm
	.section	.rodata,"a",@progbits
	.p2align	6, 0x0
	.amdhsa_kernel _ZN9rocsolver6v33100L18getri_kernel_smallILi2E19rocblas_complex_numIdEPS3_EEvT1_iilPiilS6_bb
		.amdhsa_group_segment_fixed_size 1096
		.amdhsa_private_segment_fixed_size 48
		.amdhsa_kernarg_size 60
		.amdhsa_user_sgpr_count 8
		.amdhsa_user_sgpr_private_segment_buffer 1
		.amdhsa_user_sgpr_dispatch_ptr 1
		.amdhsa_user_sgpr_queue_ptr 0
		.amdhsa_user_sgpr_kernarg_segment_ptr 1
		.amdhsa_user_sgpr_dispatch_id 0
		.amdhsa_user_sgpr_flat_scratch_init 0
		.amdhsa_user_sgpr_private_segment_size 0
		.amdhsa_wavefront_size32 1
		.amdhsa_uses_dynamic_stack 0
		.amdhsa_system_sgpr_private_segment_wavefront_offset 1
		.amdhsa_system_sgpr_workgroup_id_x 1
		.amdhsa_system_sgpr_workgroup_id_y 0
		.amdhsa_system_sgpr_workgroup_id_z 0
		.amdhsa_system_sgpr_workgroup_info 0
		.amdhsa_system_vgpr_workitem_id 2
		.amdhsa_next_free_vgpr 23
		.amdhsa_next_free_sgpr 28
		.amdhsa_reserve_vcc 1
		.amdhsa_reserve_flat_scratch 0
		.amdhsa_float_round_mode_32 0
		.amdhsa_float_round_mode_16_64 0
		.amdhsa_float_denorm_mode_32 3
		.amdhsa_float_denorm_mode_16_64 3
		.amdhsa_dx10_clamp 1
		.amdhsa_ieee_mode 1
		.amdhsa_fp16_overflow 0
		.amdhsa_workgroup_processor_mode 1
		.amdhsa_memory_ordered 1
		.amdhsa_forward_progress 1
		.amdhsa_shared_vgpr_count 0
		.amdhsa_exception_fp_ieee_invalid_op 0
		.amdhsa_exception_fp_denorm_src 0
		.amdhsa_exception_fp_ieee_div_zero 0
		.amdhsa_exception_fp_ieee_overflow 0
		.amdhsa_exception_fp_ieee_underflow 0
		.amdhsa_exception_fp_ieee_inexact 0
		.amdhsa_exception_int_div_zero 0
	.end_amdhsa_kernel
	.section	.text._ZN9rocsolver6v33100L18getri_kernel_smallILi2E19rocblas_complex_numIdEPS3_EEvT1_iilPiilS6_bb,"axG",@progbits,_ZN9rocsolver6v33100L18getri_kernel_smallILi2E19rocblas_complex_numIdEPS3_EEvT1_iilPiilS6_bb,comdat
.Lfunc_end1:
	.size	_ZN9rocsolver6v33100L18getri_kernel_smallILi2E19rocblas_complex_numIdEPS3_EEvT1_iilPiilS6_bb, .Lfunc_end1-_ZN9rocsolver6v33100L18getri_kernel_smallILi2E19rocblas_complex_numIdEPS3_EEvT1_iilPiilS6_bb
                                        ; -- End function
	.set _ZN9rocsolver6v33100L18getri_kernel_smallILi2E19rocblas_complex_numIdEPS3_EEvT1_iilPiilS6_bb.num_vgpr, 23
	.set _ZN9rocsolver6v33100L18getri_kernel_smallILi2E19rocblas_complex_numIdEPS3_EEvT1_iilPiilS6_bb.num_agpr, 0
	.set _ZN9rocsolver6v33100L18getri_kernel_smallILi2E19rocblas_complex_numIdEPS3_EEvT1_iilPiilS6_bb.numbered_sgpr, 28
	.set _ZN9rocsolver6v33100L18getri_kernel_smallILi2E19rocblas_complex_numIdEPS3_EEvT1_iilPiilS6_bb.num_named_barrier, 0
	.set _ZN9rocsolver6v33100L18getri_kernel_smallILi2E19rocblas_complex_numIdEPS3_EEvT1_iilPiilS6_bb.private_seg_size, 48
	.set _ZN9rocsolver6v33100L18getri_kernel_smallILi2E19rocblas_complex_numIdEPS3_EEvT1_iilPiilS6_bb.uses_vcc, 1
	.set _ZN9rocsolver6v33100L18getri_kernel_smallILi2E19rocblas_complex_numIdEPS3_EEvT1_iilPiilS6_bb.uses_flat_scratch, 0
	.set _ZN9rocsolver6v33100L18getri_kernel_smallILi2E19rocblas_complex_numIdEPS3_EEvT1_iilPiilS6_bb.has_dyn_sized_stack, 0
	.set _ZN9rocsolver6v33100L18getri_kernel_smallILi2E19rocblas_complex_numIdEPS3_EEvT1_iilPiilS6_bb.has_recursion, 0
	.set _ZN9rocsolver6v33100L18getri_kernel_smallILi2E19rocblas_complex_numIdEPS3_EEvT1_iilPiilS6_bb.has_indirect_call, 0
	.section	.AMDGPU.csdata,"",@progbits
; Kernel info:
; codeLenInByte = 2188
; TotalNumSgprs: 30
; NumVgprs: 23
; ScratchSize: 48
; MemoryBound: 0
; FloatMode: 240
; IeeeMode: 1
; LDSByteSize: 1096 bytes/workgroup (compile time only)
; SGPRBlocks: 0
; VGPRBlocks: 2
; NumSGPRsForWavesPerEU: 30
; NumVGPRsForWavesPerEU: 23
; Occupancy: 16
; WaveLimiterHint : 0
; COMPUTE_PGM_RSRC2:SCRATCH_EN: 1
; COMPUTE_PGM_RSRC2:USER_SGPR: 8
; COMPUTE_PGM_RSRC2:TRAP_HANDLER: 0
; COMPUTE_PGM_RSRC2:TGID_X_EN: 1
; COMPUTE_PGM_RSRC2:TGID_Y_EN: 0
; COMPUTE_PGM_RSRC2:TGID_Z_EN: 0
; COMPUTE_PGM_RSRC2:TIDIG_COMP_CNT: 2
	.section	.text._ZN9rocsolver6v33100L18getri_kernel_smallILi3E19rocblas_complex_numIdEPS3_EEvT1_iilPiilS6_bb,"axG",@progbits,_ZN9rocsolver6v33100L18getri_kernel_smallILi3E19rocblas_complex_numIdEPS3_EEvT1_iilPiilS6_bb,comdat
	.globl	_ZN9rocsolver6v33100L18getri_kernel_smallILi3E19rocblas_complex_numIdEPS3_EEvT1_iilPiilS6_bb ; -- Begin function _ZN9rocsolver6v33100L18getri_kernel_smallILi3E19rocblas_complex_numIdEPS3_EEvT1_iilPiilS6_bb
	.p2align	8
	.type	_ZN9rocsolver6v33100L18getri_kernel_smallILi3E19rocblas_complex_numIdEPS3_EEvT1_iilPiilS6_bb,@function
_ZN9rocsolver6v33100L18getri_kernel_smallILi3E19rocblas_complex_numIdEPS3_EEvT1_iilPiilS6_bb: ; @_ZN9rocsolver6v33100L18getri_kernel_smallILi3E19rocblas_complex_numIdEPS3_EEvT1_iilPiilS6_bb
; %bb.0:
	s_add_u32 s0, s0, s7
	s_addc_u32 s1, s1, 0
	s_mov_b32 s7, exec_lo
	v_cmpx_gt_u32_e32 3, v0
	s_cbranch_execz .LBB2_26
; %bb.1:
	s_clause 0x2
	s_load_dword s7, s[4:5], 0x38
	s_load_dwordx4 s[16:19], s[4:5], 0x10
	s_load_dwordx4 s[8:11], s[4:5], 0x28
                                        ; implicit-def: $sgpr20_sgpr21
	s_waitcnt lgkmcnt(0)
	s_bitcmp1_b32 s7, 8
	s_cselect_b32 s22, -1, 0
	s_bfe_u32 s12, s7, 0x10008
	s_ashr_i32 s7, s6, 31
	s_cmp_eq_u32 s12, 0
	s_cbranch_scc1 .LBB2_3
; %bb.2:
	s_load_dword s12, s[4:5], 0x20
	s_mul_i32 s13, s8, s7
	s_mul_hi_u32 s14, s8, s6
	s_mul_i32 s9, s9, s6
	s_add_i32 s13, s14, s13
	s_mul_i32 s8, s8, s6
	s_add_i32 s9, s13, s9
	s_lshl_b64 s[8:9], s[8:9], 2
	s_waitcnt lgkmcnt(0)
	s_ashr_i32 s13, s12, 31
	s_add_u32 s14, s18, s8
	s_addc_u32 s15, s19, s9
	s_lshl_b64 s[8:9], s[12:13], 2
	s_add_u32 s20, s14, s8
	s_addc_u32 s21, s15, s9
.LBB2_3:
	s_clause 0x1
	s_load_dwordx4 s[12:15], s[4:5], 0x0
	s_load_dword s18, s[4:5], 0x38
	s_mul_i32 s4, s16, s7
	s_mul_hi_u32 s5, s16, s6
	s_mul_i32 s8, s17, s6
	s_add_i32 s5, s5, s4
	s_mul_i32 s4, s16, s6
	s_add_i32 s5, s5, s8
	v_lshlrev_b32_e32 v18, 4, v0
	s_lshl_b64 s[4:5], s[4:5], 4
	s_waitcnt lgkmcnt(0)
	v_add3_u32 v7, s15, s15, v0
	s_ashr_i32 s9, s14, 31
	s_mov_b32 s8, s14
	s_add_u32 s12, s12, s4
	s_addc_u32 s13, s13, s5
	s_lshl_b64 s[4:5], s[8:9], 4
	v_ashrrev_i32_e32 v8, 31, v7
	s_add_u32 s4, s12, s4
	s_addc_u32 s5, s13, s5
	v_add_co_u32 v5, s12, s4, v18
	s_mov_b32 s8, s15
	s_ashr_i32 s9, s15, 31
	v_lshlrev_b64 v[7:8], 4, v[7:8]
	v_add_co_ci_u32_e64 v6, null, s5, 0, s12
	s_lshl_b64 s[8:9], s[8:9], 4
	global_load_dwordx4 v[1:4], v18, s[4:5]
	v_add_co_u32 v9, vcc_lo, v5, s8
	v_add_co_ci_u32_e64 v10, null, s9, v6, vcc_lo
	v_add_co_u32 v7, vcc_lo, s4, v7
	v_add_co_ci_u32_e64 v8, null, s5, v8, vcc_lo
	s_clause 0x1
	global_load_dwordx4 v[11:14], v[9:10], off
	global_load_dwordx4 v[19:22], v[7:8], off
	s_mov_b32 s5, -1
	s_mov_b32 s9, 32
	s_mov_b32 s8, 48
	s_bitcmp0_b32 s18, 0
	s_waitcnt vmcnt(2)
	buffer_store_dword v4, off, s[0:3], 0 offset:28
	buffer_store_dword v3, off, s[0:3], 0 offset:24
	buffer_store_dword v2, off, s[0:3], 0 offset:20
	buffer_store_dword v1, off, s[0:3], 0 offset:16
	s_waitcnt vmcnt(1)
	buffer_store_dword v14, off, s[0:3], 0 offset:44
	buffer_store_dword v13, off, s[0:3], 0 offset:40
	buffer_store_dword v12, off, s[0:3], 0 offset:36
	buffer_store_dword v11, off, s[0:3], 0 offset:32
	;; [unrolled: 5-line block ×3, first 2 shown]
	s_cbranch_scc1 .LBB2_24
; %bb.4:
	v_cmp_eq_u32_e64 s4, 0, v0
	s_and_saveexec_b32 s5, s4
; %bb.5:
	v_mov_b32_e32 v1, 0
	ds_write_b32 v1, v1 offset:96
; %bb.6:
	s_or_b32 exec_lo, exec_lo, s5
	v_lshl_add_u32 v17, v0, 4, 16
	s_waitcnt lgkmcnt(0)
	s_waitcnt_vscnt null, 0x0
	s_barrier
	buffer_gl0_inv
	s_clause 0x3
	buffer_load_dword v1, v17, s[0:3], 0 offen
	buffer_load_dword v2, v17, s[0:3], 0 offen offset:4
	buffer_load_dword v3, v17, s[0:3], 0 offen offset:8
	;; [unrolled: 1-line block ×3, first 2 shown]
	s_waitcnt vmcnt(2)
	v_cmp_eq_f64_e32 vcc_lo, 0, v[1:2]
	s_waitcnt vmcnt(0)
	v_cmp_eq_f64_e64 s5, 0, v[3:4]
	s_and_b32 s5, vcc_lo, s5
	s_and_saveexec_b32 s12, s5
	s_cbranch_execz .LBB2_10
; %bb.7:
	v_mov_b32_e32 v1, 0
	s_mov_b32 s13, 0
	ds_read_b32 v2, v1 offset:96
	s_waitcnt lgkmcnt(0)
	v_readfirstlane_b32 s5, v2
	v_add_nc_u32_e32 v2, 1, v0
	s_cmp_eq_u32 s5, 0
	v_cmp_gt_i32_e32 vcc_lo, s5, v2
	s_cselect_b32 s14, -1, 0
	s_or_b32 s14, s14, vcc_lo
	s_and_b32 exec_lo, exec_lo, s14
	s_cbranch_execz .LBB2_10
; %bb.8:
	v_mov_b32_e32 v3, s5
.LBB2_9:                                ; =>This Inner Loop Header: Depth=1
	ds_cmpst_rtn_b32 v3, v1, v3, v2 offset:96
	s_waitcnt lgkmcnt(0)
	v_cmp_ne_u32_e32 vcc_lo, 0, v3
	v_cmp_le_i32_e64 s5, v3, v2
	s_and_b32 s5, vcc_lo, s5
	s_and_b32 s5, exec_lo, s5
	s_or_b32 s13, s5, s13
	s_andn2_b32 exec_lo, exec_lo, s13
	s_cbranch_execnz .LBB2_9
.LBB2_10:
	s_or_b32 exec_lo, exec_lo, s12
	v_mov_b32_e32 v1, 0
	s_barrier
	buffer_gl0_inv
	ds_read_b32 v2, v1 offset:96
	s_and_saveexec_b32 s5, s4
	s_cbranch_execz .LBB2_12
; %bb.11:
	s_lshl_b64 s[12:13], s[6:7], 2
	s_add_u32 s12, s10, s12
	s_addc_u32 s13, s11, s13
	s_waitcnt lgkmcnt(0)
	global_store_dword v1, v2, s[12:13]
.LBB2_12:
	s_or_b32 exec_lo, exec_lo, s5
	s_waitcnt lgkmcnt(0)
	v_cmp_ne_u32_e32 vcc_lo, 0, v2
	s_mov_b32 s5, 0
	s_cbranch_vccnz .LBB2_24
; %bb.13:
	s_clause 0x3
	buffer_load_dword v13, v17, s[0:3], 0 offen
	buffer_load_dword v14, v17, s[0:3], 0 offen offset:4
	buffer_load_dword v15, v17, s[0:3], 0 offen offset:8
	;; [unrolled: 1-line block ×3, first 2 shown]
                                        ; implicit-def: $vgpr11_vgpr12
                                        ; implicit-def: $vgpr3_vgpr4
	s_waitcnt vmcnt(0)
	v_cmp_ngt_f64_e64 s5, |v[13:14]|, |v[15:16]|
	s_and_saveexec_b32 s12, s5
	s_xor_b32 s5, exec_lo, s12
	s_cbranch_execz .LBB2_15
; %bb.14:
	v_div_scale_f64 v[1:2], null, v[15:16], v[15:16], v[13:14]
	v_div_scale_f64 v[19:20], vcc_lo, v[13:14], v[15:16], v[13:14]
	v_rcp_f64_e32 v[3:4], v[1:2]
	v_fma_f64 v[11:12], -v[1:2], v[3:4], 1.0
	v_fma_f64 v[3:4], v[3:4], v[11:12], v[3:4]
	v_fma_f64 v[11:12], -v[1:2], v[3:4], 1.0
	v_fma_f64 v[3:4], v[3:4], v[11:12], v[3:4]
	v_mul_f64 v[11:12], v[19:20], v[3:4]
	v_fma_f64 v[1:2], -v[1:2], v[11:12], v[19:20]
	v_div_fmas_f64 v[1:2], v[1:2], v[3:4], v[11:12]
	v_div_fixup_f64 v[1:2], v[1:2], v[15:16], v[13:14]
	v_fma_f64 v[3:4], v[13:14], v[1:2], v[15:16]
	v_div_scale_f64 v[11:12], null, v[3:4], v[3:4], 1.0
	v_div_scale_f64 v[19:20], vcc_lo, 1.0, v[3:4], 1.0
	v_rcp_f64_e32 v[13:14], v[11:12]
	v_fma_f64 v[15:16], -v[11:12], v[13:14], 1.0
	v_fma_f64 v[13:14], v[13:14], v[15:16], v[13:14]
	v_fma_f64 v[15:16], -v[11:12], v[13:14], 1.0
	v_fma_f64 v[13:14], v[13:14], v[15:16], v[13:14]
	v_mul_f64 v[15:16], v[19:20], v[13:14]
	v_fma_f64 v[11:12], -v[11:12], v[15:16], v[19:20]
	v_div_fmas_f64 v[11:12], v[11:12], v[13:14], v[15:16]
                                        ; implicit-def: $vgpr13_vgpr14
                                        ; implicit-def: $vgpr15_vgpr16
	v_div_fixup_f64 v[3:4], v[11:12], v[3:4], 1.0
	v_mul_f64 v[11:12], v[1:2], v[3:4]
	v_xor_b32_e32 v4, 0x80000000, v4
	v_xor_b32_e32 v2, 0x80000000, v12
	v_mov_b32_e32 v1, v11
.LBB2_15:
	s_andn2_saveexec_b32 s5, s5
	s_cbranch_execz .LBB2_17
; %bb.16:
	v_div_scale_f64 v[1:2], null, v[13:14], v[13:14], v[15:16]
	v_div_scale_f64 v[19:20], vcc_lo, v[15:16], v[13:14], v[15:16]
	v_rcp_f64_e32 v[3:4], v[1:2]
	v_fma_f64 v[11:12], -v[1:2], v[3:4], 1.0
	v_fma_f64 v[3:4], v[3:4], v[11:12], v[3:4]
	v_fma_f64 v[11:12], -v[1:2], v[3:4], 1.0
	v_fma_f64 v[3:4], v[3:4], v[11:12], v[3:4]
	v_mul_f64 v[11:12], v[19:20], v[3:4]
	v_fma_f64 v[1:2], -v[1:2], v[11:12], v[19:20]
	v_div_fmas_f64 v[1:2], v[1:2], v[3:4], v[11:12]
	v_div_fixup_f64 v[1:2], v[1:2], v[13:14], v[15:16]
	v_fma_f64 v[3:4], v[15:16], v[1:2], v[13:14]
	v_div_scale_f64 v[11:12], null, v[3:4], v[3:4], 1.0
	v_rcp_f64_e32 v[13:14], v[11:12]
	v_fma_f64 v[15:16], -v[11:12], v[13:14], 1.0
	v_fma_f64 v[13:14], v[13:14], v[15:16], v[13:14]
	v_fma_f64 v[15:16], -v[11:12], v[13:14], 1.0
	v_fma_f64 v[13:14], v[13:14], v[15:16], v[13:14]
	v_div_scale_f64 v[15:16], vcc_lo, 1.0, v[3:4], 1.0
	v_mul_f64 v[19:20], v[15:16], v[13:14]
	v_fma_f64 v[11:12], -v[11:12], v[19:20], v[15:16]
	v_div_fmas_f64 v[11:12], v[11:12], v[13:14], v[19:20]
	v_div_fixup_f64 v[11:12], v[11:12], v[3:4], 1.0
	v_mul_f64 v[3:4], v[1:2], -v[11:12]
	v_xor_b32_e32 v2, 0x80000000, v12
	v_mov_b32_e32 v1, v11
.LBB2_17:
	s_or_b32 exec_lo, exec_lo, s5
	v_mov_b32_e32 v16, s9
	buffer_store_dword v12, v17, s[0:3], 0 offen offset:4
	buffer_store_dword v11, v17, s[0:3], 0 offen
	buffer_store_dword v4, v17, s[0:3], 0 offen offset:12
	buffer_store_dword v3, v17, s[0:3], 0 offen offset:8
	v_xor_b32_e32 v4, 0x80000000, v4
	v_add_nc_u32_e32 v11, 48, v18
	s_clause 0x3
	buffer_load_dword v15, v16, s[0:3], 0 offen offset:12
	buffer_load_dword v14, v16, s[0:3], 0 offen offset:8
	;; [unrolled: 1-line block ×3, first 2 shown]
	buffer_load_dword v12, v16, s[0:3], 0 offen
	ds_write_b128 v18, v[1:4]
	s_waitcnt vmcnt(0)
	ds_write_b128 v18, v[12:15] offset:48
	s_waitcnt lgkmcnt(0)
	s_waitcnt_vscnt null, 0x0
	s_barrier
	buffer_gl0_inv
	s_and_saveexec_b32 s5, s4
	s_cbranch_execz .LBB2_19
; %bb.18:
	s_clause 0x3
	buffer_load_dword v18, v17, s[0:3], 0 offen offset:8
	buffer_load_dword v19, v17, s[0:3], 0 offen offset:12
	buffer_load_dword v20, v17, s[0:3], 0 offen
	buffer_load_dword v21, v17, s[0:3], 0 offen offset:4
	ds_read_b128 v[1:4], v11
	v_mov_b32_e32 v12, 0
	ds_read_b128 v[12:15], v12 offset:16
	s_waitcnt vmcnt(2) lgkmcnt(1)
	v_mul_f64 v[22:23], v[1:2], v[18:19]
	v_mul_f64 v[18:19], v[3:4], v[18:19]
	s_waitcnt vmcnt(0)
	v_fma_f64 v[3:4], v[3:4], v[20:21], v[22:23]
	v_fma_f64 v[1:2], v[1:2], v[20:21], -v[18:19]
	v_add_f64 v[3:4], v[3:4], 0
	v_add_f64 v[1:2], v[1:2], 0
	s_waitcnt lgkmcnt(0)
	v_mul_f64 v[18:19], v[3:4], v[14:15]
	v_mul_f64 v[14:15], v[1:2], v[14:15]
	v_fma_f64 v[1:2], v[1:2], v[12:13], -v[18:19]
	v_fma_f64 v[3:4], v[3:4], v[12:13], v[14:15]
	buffer_store_dword v1, off, s[0:3], 0 offset:32
	buffer_store_dword v2, off, s[0:3], 0 offset:36
	;; [unrolled: 1-line block ×4, first 2 shown]
.LBB2_19:
	s_or_b32 exec_lo, exec_lo, s5
	v_mov_b32_e32 v4, s8
	s_waitcnt_vscnt null, 0x0
	s_barrier
	buffer_gl0_inv
	s_mov_b32 s5, exec_lo
	s_clause 0x3
	buffer_load_dword v1, v4, s[0:3], 0 offen
	buffer_load_dword v2, v4, s[0:3], 0 offen offset:4
	buffer_load_dword v3, v4, s[0:3], 0 offen offset:8
	;; [unrolled: 1-line block ×3, first 2 shown]
	s_waitcnt vmcnt(0)
	ds_write_b128 v11, v[1:4]
	s_waitcnt lgkmcnt(0)
	s_barrier
	buffer_gl0_inv
	v_cmpx_ne_u32_e32 2, v0
	s_cbranch_execz .LBB2_23
; %bb.20:
	s_clause 0x3
	buffer_load_dword v12, v17, s[0:3], 0 offen offset:8
	buffer_load_dword v13, v17, s[0:3], 0 offen offset:12
	buffer_load_dword v14, v17, s[0:3], 0 offen
	buffer_load_dword v15, v17, s[0:3], 0 offen offset:4
	ds_read_b128 v[1:4], v11
	s_waitcnt vmcnt(2) lgkmcnt(0)
	v_mul_f64 v[16:17], v[3:4], v[12:13]
	v_mul_f64 v[11:12], v[1:2], v[12:13]
	s_waitcnt vmcnt(0)
	v_fma_f64 v[1:2], v[1:2], v[14:15], -v[16:17]
	v_fma_f64 v[3:4], v[3:4], v[14:15], v[11:12]
	v_add_f64 v[1:2], v[1:2], 0
	v_add_f64 v[3:4], v[3:4], 0
	s_and_saveexec_b32 s12, s4
	s_cbranch_execz .LBB2_22
; %bb.21:
	s_clause 0x3
	buffer_load_dword v15, off, s[0:3], 0 offset:40
	buffer_load_dword v16, off, s[0:3], 0 offset:44
	;; [unrolled: 1-line block ×4, first 2 shown]
	v_mov_b32_e32 v11, 0
	ds_read_b128 v[11:14], v11 offset:64
	s_waitcnt vmcnt(2) lgkmcnt(0)
	v_mul_f64 v[19:20], v[11:12], v[15:16]
	v_mul_f64 v[15:16], v[13:14], v[15:16]
	s_waitcnt vmcnt(0)
	v_fma_f64 v[13:14], v[13:14], v[17:18], v[19:20]
	v_fma_f64 v[11:12], v[11:12], v[17:18], -v[15:16]
	v_add_f64 v[3:4], v[3:4], v[13:14]
	v_add_f64 v[1:2], v[1:2], v[11:12]
.LBB2_22:
	s_or_b32 exec_lo, exec_lo, s12
	v_mov_b32_e32 v11, 0
	ds_read_b128 v[11:14], v11 offset:32
	s_waitcnt lgkmcnt(0)
	v_mul_f64 v[15:16], v[3:4], v[13:14]
	v_mul_f64 v[13:14], v[1:2], v[13:14]
	v_fma_f64 v[1:2], v[1:2], v[11:12], -v[15:16]
	v_fma_f64 v[3:4], v[3:4], v[11:12], v[13:14]
	buffer_store_dword v2, off, s[0:3], 0 offset:52
	buffer_store_dword v1, off, s[0:3], 0 offset:48
	;; [unrolled: 1-line block ×4, first 2 shown]
.LBB2_23:
	s_or_b32 exec_lo, exec_lo, s5
	s_mov_b32 s5, -1
	s_waitcnt_vscnt null, 0x0
	s_barrier
	buffer_gl0_inv
.LBB2_24:
	s_and_b32 vcc_lo, exec_lo, s5
	s_cbranch_vccz .LBB2_26
; %bb.25:
	s_lshl_b64 s[4:5], s[6:7], 2
	v_mov_b32_e32 v1, 0
	s_add_u32 s4, s10, s4
	s_addc_u32 s5, s11, s5
	global_load_dword v1, v1, s[4:5]
	s_waitcnt vmcnt(0)
	v_cmp_ne_u32_e32 vcc_lo, 0, v1
	s_cbranch_vccz .LBB2_27
.LBB2_26:
	s_endpgm
.LBB2_27:
	v_lshl_add_u32 v1, v0, 4, 48
	s_mov_b32 s4, exec_lo
	v_cmpx_eq_u32_e32 2, v0
	s_cbranch_execz .LBB2_29
; %bb.28:
	v_mov_b32_e32 v2, s9
	s_clause 0x3
	buffer_load_dword v11, v2, s[0:3], 0 offen
	buffer_load_dword v12, v2, s[0:3], 0 offen offset:4
	buffer_load_dword v13, v2, s[0:3], 0 offen offset:8
	;; [unrolled: 1-line block ×3, first 2 shown]
	v_mov_b32_e32 v2, 0
	buffer_store_dword v2, off, s[0:3], 0 offset:32
	buffer_store_dword v2, off, s[0:3], 0 offset:36
	buffer_store_dword v2, off, s[0:3], 0 offset:40
	buffer_store_dword v2, off, s[0:3], 0 offset:44
	s_waitcnt vmcnt(0)
	ds_write_b128 v1, v[11:14]
.LBB2_29:
	s_or_b32 exec_lo, exec_lo, s4
	s_waitcnt lgkmcnt(0)
	s_waitcnt_vscnt null, 0x0
	s_barrier
	buffer_gl0_inv
	s_clause 0x7
	buffer_load_dword v3, off, s[0:3], 0 offset:56
	buffer_load_dword v4, off, s[0:3], 0 offset:60
	;; [unrolled: 1-line block ×8, first 2 shown]
	v_mov_b32_e32 v2, 0
	s_mov_b32 s4, exec_lo
	ds_read_b128 v[11:14], v2 offset:80
	s_waitcnt vmcnt(6) lgkmcnt(0)
	v_mul_f64 v[21:22], v[13:14], v[3:4]
	v_mul_f64 v[3:4], v[11:12], v[3:4]
	s_waitcnt vmcnt(4)
	v_fma_f64 v[11:12], v[11:12], v[15:16], -v[21:22]
	v_fma_f64 v[3:4], v[13:14], v[15:16], v[3:4]
	v_add_f64 v[11:12], v[11:12], 0
	v_add_f64 v[3:4], v[3:4], 0
	s_waitcnt vmcnt(2)
	v_add_f64 v[11:12], v[17:18], -v[11:12]
	s_waitcnt vmcnt(0)
	v_add_f64 v[3:4], v[19:20], -v[3:4]
	buffer_store_dword v11, off, s[0:3], 0 offset:32
	buffer_store_dword v12, off, s[0:3], 0 offset:36
	;; [unrolled: 1-line block ×4, first 2 shown]
	v_cmpx_ne_u32_e32 0, v0
	s_cbranch_execz .LBB2_31
; %bb.30:
	s_clause 0x3
	buffer_load_dword v11, off, s[0:3], 0 offset:16
	buffer_load_dword v12, off, s[0:3], 0 offset:20
	;; [unrolled: 1-line block ×4, first 2 shown]
	buffer_store_dword v2, off, s[0:3], 0 offset:16
	buffer_store_dword v2, off, s[0:3], 0 offset:20
	;; [unrolled: 1-line block ×4, first 2 shown]
	s_waitcnt vmcnt(0)
	ds_write_b128 v1, v[11:14]
.LBB2_31:
	s_or_b32 exec_lo, exec_lo, s4
	s_waitcnt lgkmcnt(0)
	s_waitcnt_vscnt null, 0x0
	s_barrier
	buffer_gl0_inv
	s_clause 0xb
	buffer_load_dword v15, off, s[0:3], 0 offset:40
	buffer_load_dword v16, off, s[0:3], 0 offset:44
	;; [unrolled: 1-line block ×12, first 2 shown]
	ds_read_b128 v[11:14], v2 offset:64
	ds_read_b128 v[0:3], v2 offset:80
	s_and_b32 vcc_lo, exec_lo, s22
	s_waitcnt vmcnt(10) lgkmcnt(1)
	v_mul_f64 v[27:28], v[13:14], v[15:16]
	v_mul_f64 v[15:16], v[11:12], v[15:16]
	s_waitcnt vmcnt(8) lgkmcnt(0)
	v_mul_f64 v[29:30], v[2:3], v[17:18]
	v_mul_f64 v[17:18], v[0:1], v[17:18]
	s_waitcnt vmcnt(6)
	v_fma_f64 v[11:12], v[11:12], v[19:20], -v[27:28]
	v_fma_f64 v[13:14], v[13:14], v[19:20], v[15:16]
	s_waitcnt vmcnt(4)
	v_fma_f64 v[0:1], v[0:1], v[21:22], -v[29:30]
	v_fma_f64 v[2:3], v[2:3], v[21:22], v[17:18]
	v_add_f64 v[11:12], v[11:12], 0
	v_add_f64 v[13:14], v[13:14], 0
	;; [unrolled: 1-line block ×4, first 2 shown]
	s_waitcnt vmcnt(2)
	v_add_f64 v[0:1], v[23:24], -v[0:1]
	s_waitcnt vmcnt(0)
	v_add_f64 v[2:3], v[25:26], -v[2:3]
	buffer_store_dword v0, off, s[0:3], 0 offset:16
	buffer_store_dword v1, off, s[0:3], 0 offset:20
	;; [unrolled: 1-line block ×4, first 2 shown]
	s_cbranch_vccz .LBB2_36
; %bb.32:
	v_mov_b32_e32 v0, 0
	global_load_dword v1, v0, s[20:21] offset:4
	s_waitcnt vmcnt(0)
	v_add_nc_u32_e32 v1, -1, v1
	v_cmp_ne_u32_e32 vcc_lo, 1, v1
	s_cbranch_vccz .LBB2_34
; %bb.33:
	v_lshlrev_b32_e32 v1, 4, v1
	v_mov_b32_e32 v2, s9
	v_add_nc_u32_e32 v1, 16, v1
	s_clause 0x7
	buffer_load_dword v3, v1, s[0:3], 0 offen
	buffer_load_dword v4, v1, s[0:3], 0 offen offset:4
	buffer_load_dword v11, v1, s[0:3], 0 offen offset:8
	;; [unrolled: 1-line block ×6, first 2 shown]
	buffer_load_dword v16, v2, s[0:3], 0 offen
	s_waitcnt vmcnt(7)
	buffer_store_dword v3, v2, s[0:3], 0 offen
	s_waitcnt vmcnt(6)
	buffer_store_dword v4, v2, s[0:3], 0 offen offset:4
	s_waitcnt vmcnt(5)
	buffer_store_dword v11, v2, s[0:3], 0 offen offset:8
	;; [unrolled: 2-line block ×6, first 2 shown]
	s_waitcnt vmcnt(0)
	buffer_store_dword v16, v1, s[0:3], 0 offen
.LBB2_34:
	global_load_dword v0, v0, s[20:21]
	s_waitcnt vmcnt(0)
	v_add_nc_u32_e32 v0, -1, v0
	v_cmp_eq_u32_e32 vcc_lo, 0, v0
	s_cbranch_vccnz .LBB2_36
; %bb.35:
	v_lshlrev_b32_e32 v0, 4, v0
	v_add_nc_u32_e32 v0, 16, v0
	s_clause 0x7
	buffer_load_dword v1, v0, s[0:3], 0 offen
	buffer_load_dword v2, v0, s[0:3], 0 offen offset:4
	buffer_load_dword v3, v0, s[0:3], 0 offen offset:8
	;; [unrolled: 1-line block ×3, first 2 shown]
	buffer_load_dword v11, off, s[0:3], 0 offset:28
	buffer_load_dword v12, off, s[0:3], 0 offset:24
	;; [unrolled: 1-line block ×4, first 2 shown]
	s_waitcnt vmcnt(7)
	buffer_store_dword v1, off, s[0:3], 0 offset:16
	s_waitcnt vmcnt(6)
	buffer_store_dword v2, off, s[0:3], 0 offset:20
	;; [unrolled: 2-line block ×4, first 2 shown]
	s_waitcnt vmcnt(3)
	buffer_store_dword v11, v0, s[0:3], 0 offen offset:12
	s_waitcnt vmcnt(2)
	buffer_store_dword v12, v0, s[0:3], 0 offen offset:8
	;; [unrolled: 2-line block ×3, first 2 shown]
	s_waitcnt vmcnt(0)
	buffer_store_dword v14, v0, s[0:3], 0 offen
.LBB2_36:
	v_mov_b32_e32 v4, s9
	v_mov_b32_e32 v18, s8
	s_clause 0xb
	buffer_load_dword v0, off, s[0:3], 0 offset:16
	buffer_load_dword v1, off, s[0:3], 0 offset:20
	;; [unrolled: 1-line block ×4, first 2 shown]
	buffer_load_dword v11, v4, s[0:3], 0 offen
	buffer_load_dword v12, v4, s[0:3], 0 offen offset:4
	buffer_load_dword v13, v4, s[0:3], 0 offen offset:8
	;; [unrolled: 1-line block ×3, first 2 shown]
	buffer_load_dword v15, v18, s[0:3], 0 offen
	buffer_load_dword v16, v18, s[0:3], 0 offen offset:4
	buffer_load_dword v17, v18, s[0:3], 0 offen offset:8
	;; [unrolled: 1-line block ×3, first 2 shown]
	s_waitcnt vmcnt(8)
	global_store_dwordx4 v[5:6], v[0:3], off
	s_waitcnt vmcnt(4)
	global_store_dwordx4 v[9:10], v[11:14], off
	;; [unrolled: 2-line block ×3, first 2 shown]
	s_endpgm
	.section	.rodata,"a",@progbits
	.p2align	6, 0x0
	.amdhsa_kernel _ZN9rocsolver6v33100L18getri_kernel_smallILi3E19rocblas_complex_numIdEPS3_EEvT1_iilPiilS6_bb
		.amdhsa_group_segment_fixed_size 104
		.amdhsa_private_segment_fixed_size 80
		.amdhsa_kernarg_size 60
		.amdhsa_user_sgpr_count 6
		.amdhsa_user_sgpr_private_segment_buffer 1
		.amdhsa_user_sgpr_dispatch_ptr 0
		.amdhsa_user_sgpr_queue_ptr 0
		.amdhsa_user_sgpr_kernarg_segment_ptr 1
		.amdhsa_user_sgpr_dispatch_id 0
		.amdhsa_user_sgpr_flat_scratch_init 0
		.amdhsa_user_sgpr_private_segment_size 0
		.amdhsa_wavefront_size32 1
		.amdhsa_uses_dynamic_stack 0
		.amdhsa_system_sgpr_private_segment_wavefront_offset 1
		.amdhsa_system_sgpr_workgroup_id_x 1
		.amdhsa_system_sgpr_workgroup_id_y 0
		.amdhsa_system_sgpr_workgroup_id_z 0
		.amdhsa_system_sgpr_workgroup_info 0
		.amdhsa_system_vgpr_workitem_id 0
		.amdhsa_next_free_vgpr 31
		.amdhsa_next_free_sgpr 23
		.amdhsa_reserve_vcc 1
		.amdhsa_reserve_flat_scratch 0
		.amdhsa_float_round_mode_32 0
		.amdhsa_float_round_mode_16_64 0
		.amdhsa_float_denorm_mode_32 3
		.amdhsa_float_denorm_mode_16_64 3
		.amdhsa_dx10_clamp 1
		.amdhsa_ieee_mode 1
		.amdhsa_fp16_overflow 0
		.amdhsa_workgroup_processor_mode 1
		.amdhsa_memory_ordered 1
		.amdhsa_forward_progress 1
		.amdhsa_shared_vgpr_count 0
		.amdhsa_exception_fp_ieee_invalid_op 0
		.amdhsa_exception_fp_denorm_src 0
		.amdhsa_exception_fp_ieee_div_zero 0
		.amdhsa_exception_fp_ieee_overflow 0
		.amdhsa_exception_fp_ieee_underflow 0
		.amdhsa_exception_fp_ieee_inexact 0
		.amdhsa_exception_int_div_zero 0
	.end_amdhsa_kernel
	.section	.text._ZN9rocsolver6v33100L18getri_kernel_smallILi3E19rocblas_complex_numIdEPS3_EEvT1_iilPiilS6_bb,"axG",@progbits,_ZN9rocsolver6v33100L18getri_kernel_smallILi3E19rocblas_complex_numIdEPS3_EEvT1_iilPiilS6_bb,comdat
.Lfunc_end2:
	.size	_ZN9rocsolver6v33100L18getri_kernel_smallILi3E19rocblas_complex_numIdEPS3_EEvT1_iilPiilS6_bb, .Lfunc_end2-_ZN9rocsolver6v33100L18getri_kernel_smallILi3E19rocblas_complex_numIdEPS3_EEvT1_iilPiilS6_bb
                                        ; -- End function
	.set _ZN9rocsolver6v33100L18getri_kernel_smallILi3E19rocblas_complex_numIdEPS3_EEvT1_iilPiilS6_bb.num_vgpr, 31
	.set _ZN9rocsolver6v33100L18getri_kernel_smallILi3E19rocblas_complex_numIdEPS3_EEvT1_iilPiilS6_bb.num_agpr, 0
	.set _ZN9rocsolver6v33100L18getri_kernel_smallILi3E19rocblas_complex_numIdEPS3_EEvT1_iilPiilS6_bb.numbered_sgpr, 23
	.set _ZN9rocsolver6v33100L18getri_kernel_smallILi3E19rocblas_complex_numIdEPS3_EEvT1_iilPiilS6_bb.num_named_barrier, 0
	.set _ZN9rocsolver6v33100L18getri_kernel_smallILi3E19rocblas_complex_numIdEPS3_EEvT1_iilPiilS6_bb.private_seg_size, 80
	.set _ZN9rocsolver6v33100L18getri_kernel_smallILi3E19rocblas_complex_numIdEPS3_EEvT1_iilPiilS6_bb.uses_vcc, 1
	.set _ZN9rocsolver6v33100L18getri_kernel_smallILi3E19rocblas_complex_numIdEPS3_EEvT1_iilPiilS6_bb.uses_flat_scratch, 0
	.set _ZN9rocsolver6v33100L18getri_kernel_smallILi3E19rocblas_complex_numIdEPS3_EEvT1_iilPiilS6_bb.has_dyn_sized_stack, 0
	.set _ZN9rocsolver6v33100L18getri_kernel_smallILi3E19rocblas_complex_numIdEPS3_EEvT1_iilPiilS6_bb.has_recursion, 0
	.set _ZN9rocsolver6v33100L18getri_kernel_smallILi3E19rocblas_complex_numIdEPS3_EEvT1_iilPiilS6_bb.has_indirect_call, 0
	.section	.AMDGPU.csdata,"",@progbits
; Kernel info:
; codeLenInByte = 3300
; TotalNumSgprs: 25
; NumVgprs: 31
; ScratchSize: 80
; MemoryBound: 0
; FloatMode: 240
; IeeeMode: 1
; LDSByteSize: 104 bytes/workgroup (compile time only)
; SGPRBlocks: 0
; VGPRBlocks: 3
; NumSGPRsForWavesPerEU: 25
; NumVGPRsForWavesPerEU: 31
; Occupancy: 16
; WaveLimiterHint : 0
; COMPUTE_PGM_RSRC2:SCRATCH_EN: 1
; COMPUTE_PGM_RSRC2:USER_SGPR: 6
; COMPUTE_PGM_RSRC2:TRAP_HANDLER: 0
; COMPUTE_PGM_RSRC2:TGID_X_EN: 1
; COMPUTE_PGM_RSRC2:TGID_Y_EN: 0
; COMPUTE_PGM_RSRC2:TGID_Z_EN: 0
; COMPUTE_PGM_RSRC2:TIDIG_COMP_CNT: 0
	.section	.text._ZN9rocsolver6v33100L18getri_kernel_smallILi4E19rocblas_complex_numIdEPS3_EEvT1_iilPiilS6_bb,"axG",@progbits,_ZN9rocsolver6v33100L18getri_kernel_smallILi4E19rocblas_complex_numIdEPS3_EEvT1_iilPiilS6_bb,comdat
	.globl	_ZN9rocsolver6v33100L18getri_kernel_smallILi4E19rocblas_complex_numIdEPS3_EEvT1_iilPiilS6_bb ; -- Begin function _ZN9rocsolver6v33100L18getri_kernel_smallILi4E19rocblas_complex_numIdEPS3_EEvT1_iilPiilS6_bb
	.p2align	8
	.type	_ZN9rocsolver6v33100L18getri_kernel_smallILi4E19rocblas_complex_numIdEPS3_EEvT1_iilPiilS6_bb,@function
_ZN9rocsolver6v33100L18getri_kernel_smallILi4E19rocblas_complex_numIdEPS3_EEvT1_iilPiilS6_bb: ; @_ZN9rocsolver6v33100L18getri_kernel_smallILi4E19rocblas_complex_numIdEPS3_EEvT1_iilPiilS6_bb
; %bb.0:
	s_add_u32 s0, s0, s9
	s_addc_u32 s1, s1, 0
	s_mov_b32 s9, exec_lo
	v_cmpx_gt_u32_e32 4, v0
	s_cbranch_execz .LBB3_30
; %bb.1:
	s_clause 0x2
	s_load_dword s9, s[6:7], 0x38
	s_load_dwordx4 s[20:23], s[6:7], 0x10
	s_load_dwordx4 s[12:15], s[6:7], 0x28
	s_waitcnt lgkmcnt(0)
	s_bitcmp1_b32 s9, 8
	s_cselect_b32 s24, -1, 0
	s_bfe_u32 s10, s9, 0x10008
	s_ashr_i32 s9, s8, 31
	s_cmp_eq_u32 s10, 0
                                        ; implicit-def: $sgpr10_sgpr11
	s_cbranch_scc1 .LBB3_3
; %bb.2:
	s_load_dword s10, s[6:7], 0x20
	s_mul_i32 s11, s12, s9
	s_mul_hi_u32 s16, s12, s8
	s_mul_i32 s13, s13, s8
	s_add_i32 s11, s16, s11
	s_mul_i32 s12, s12, s8
	s_add_i32 s13, s11, s13
	s_lshl_b64 s[12:13], s[12:13], 2
	s_waitcnt lgkmcnt(0)
	s_ashr_i32 s11, s10, 31
	s_add_u32 s12, s22, s12
	s_addc_u32 s13, s23, s13
	s_lshl_b64 s[10:11], s[10:11], 2
	s_add_u32 s10, s12, s10
	s_addc_u32 s11, s13, s11
.LBB3_3:
	s_clause 0x1
	s_load_dwordx4 s[16:19], s[6:7], 0x0
	s_load_dword s22, s[6:7], 0x38
	s_mul_i32 s6, s20, s9
	s_mul_hi_u32 s7, s20, s8
	s_mul_i32 s12, s21, s8
	s_add_i32 s7, s7, s6
	s_mul_i32 s6, s20, s8
	s_add_i32 s7, s7, s12
	v_lshlrev_b32_e32 v21, 4, v0
	s_lshl_b64 s[6:7], s[6:7], 4
	s_waitcnt lgkmcnt(0)
	v_add3_u32 v9, s19, s19, v0
	s_ashr_i32 s13, s18, 31
	s_mov_b32 s12, s18
	s_add_u32 s16, s16, s6
	s_addc_u32 s17, s17, s7
	v_add_nc_u32_e32 v11, s19, v9
	s_lshl_b64 s[6:7], s[12:13], 4
	v_ashrrev_i32_e32 v10, 31, v9
	s_add_u32 s6, s16, s6
	s_addc_u32 s7, s17, s7
	v_ashrrev_i32_e32 v12, 31, v11
	v_add_co_u32 v7, s16, s6, v21
	s_mov_b32 s12, s19
	s_ashr_i32 s13, s19, 31
	v_lshlrev_b64 v[13:14], 4, v[9:10]
	v_add_co_ci_u32_e64 v8, null, s7, 0, s16
	s_lshl_b64 s[12:13], s[12:13], 4
	v_lshlrev_b64 v[11:12], 4, v[11:12]
	v_add_co_u32 v9, vcc_lo, v7, s12
	v_add_co_ci_u32_e64 v10, null, s13, v8, vcc_lo
	v_add_co_u32 v13, vcc_lo, s6, v13
	v_add_co_ci_u32_e64 v14, null, s7, v14, vcc_lo
	;; [unrolled: 2-line block ×3, first 2 shown]
	s_clause 0x3
	global_load_dwordx4 v[3:6], v21, s[6:7]
	global_load_dwordx4 v[15:18], v[9:10], off
	global_load_dwordx4 v[22:25], v[13:14], off
	global_load_dwordx4 v[26:29], v[11:12], off
	s_mov_b32 s7, -1
	s_mov_b32 s16, 16
	s_mov_b32 s13, 32
	;; [unrolled: 1-line block ×3, first 2 shown]
	s_bitcmp0_b32 s22, 0
	s_waitcnt vmcnt(3)
	buffer_store_dword v6, off, s[0:3], 0 offset:12
	buffer_store_dword v5, off, s[0:3], 0 offset:8
	;; [unrolled: 1-line block ×3, first 2 shown]
	buffer_store_dword v3, off, s[0:3], 0
	s_waitcnt vmcnt(2)
	buffer_store_dword v18, off, s[0:3], 0 offset:28
	buffer_store_dword v17, off, s[0:3], 0 offset:24
	buffer_store_dword v16, off, s[0:3], 0 offset:20
	buffer_store_dword v15, off, s[0:3], 0 offset:16
	s_waitcnt vmcnt(1)
	buffer_store_dword v25, off, s[0:3], 0 offset:44
	buffer_store_dword v24, off, s[0:3], 0 offset:40
	buffer_store_dword v23, off, s[0:3], 0 offset:36
	buffer_store_dword v22, off, s[0:3], 0 offset:32
	;; [unrolled: 5-line block ×3, first 2 shown]
	s_cbranch_scc1 .LBB3_28
; %bb.4:
	v_cmp_eq_u32_e64 s6, 0, v0
	s_and_saveexec_b32 s7, s6
; %bb.5:
	v_mov_b32_e32 v3, 0
	ds_write_b32 v3, v3 offset:128
; %bb.6:
	s_or_b32 exec_lo, exec_lo, s7
	v_lshl_add_u32 v22, v0, 4, 0
	s_waitcnt lgkmcnt(0)
	s_waitcnt_vscnt null, 0x0
	s_barrier
	buffer_gl0_inv
	s_clause 0x3
	buffer_load_dword v3, v22, s[0:3], 0 offen
	buffer_load_dword v4, v22, s[0:3], 0 offen offset:4
	buffer_load_dword v5, v22, s[0:3], 0 offen offset:8
	;; [unrolled: 1-line block ×3, first 2 shown]
	s_waitcnt vmcnt(2)
	v_cmp_eq_f64_e32 vcc_lo, 0, v[3:4]
	s_waitcnt vmcnt(0)
	v_cmp_eq_f64_e64 s7, 0, v[5:6]
	s_and_b32 s7, vcc_lo, s7
	s_and_saveexec_b32 s17, s7
	s_cbranch_execz .LBB3_10
; %bb.7:
	v_mov_b32_e32 v3, 0
	s_mov_b32 s18, 0
	ds_read_b32 v4, v3 offset:128
	s_waitcnt lgkmcnt(0)
	v_readfirstlane_b32 s7, v4
	v_add_nc_u32_e32 v4, 1, v0
	s_cmp_eq_u32 s7, 0
	v_cmp_gt_i32_e32 vcc_lo, s7, v4
	s_cselect_b32 s19, -1, 0
	s_or_b32 s19, s19, vcc_lo
	s_and_b32 exec_lo, exec_lo, s19
	s_cbranch_execz .LBB3_10
; %bb.8:
	v_mov_b32_e32 v5, s7
.LBB3_9:                                ; =>This Inner Loop Header: Depth=1
	ds_cmpst_rtn_b32 v5, v3, v5, v4 offset:128
	s_waitcnt lgkmcnt(0)
	v_cmp_ne_u32_e32 vcc_lo, 0, v5
	v_cmp_le_i32_e64 s7, v5, v4
	s_and_b32 s7, vcc_lo, s7
	s_and_b32 s7, exec_lo, s7
	s_or_b32 s18, s7, s18
	s_andn2_b32 exec_lo, exec_lo, s18
	s_cbranch_execnz .LBB3_9
.LBB3_10:
	s_or_b32 exec_lo, exec_lo, s17
	v_mov_b32_e32 v3, 0
	s_barrier
	buffer_gl0_inv
	ds_read_b32 v4, v3 offset:128
	s_and_saveexec_b32 s7, s6
	s_cbranch_execz .LBB3_12
; %bb.11:
	s_lshl_b64 s[18:19], s[8:9], 2
	s_add_u32 s18, s14, s18
	s_addc_u32 s19, s15, s19
	s_waitcnt lgkmcnt(0)
	global_store_dword v3, v4, s[18:19]
.LBB3_12:
	s_or_b32 exec_lo, exec_lo, s7
	s_waitcnt lgkmcnt(0)
	v_cmp_ne_u32_e32 vcc_lo, 0, v4
	s_mov_b32 s7, 0
	s_cbranch_vccnz .LBB3_28
; %bb.13:
	s_clause 0x3
	buffer_load_dword v17, v22, s[0:3], 0 offen
	buffer_load_dword v18, v22, s[0:3], 0 offen offset:4
	buffer_load_dword v19, v22, s[0:3], 0 offen offset:8
	;; [unrolled: 1-line block ×3, first 2 shown]
                                        ; implicit-def: $vgpr15_vgpr16
                                        ; implicit-def: $vgpr5_vgpr6
	s_waitcnt vmcnt(0)
	v_cmp_ngt_f64_e64 s7, |v[17:18]|, |v[19:20]|
	s_and_saveexec_b32 s17, s7
	s_xor_b32 s7, exec_lo, s17
	s_cbranch_execz .LBB3_15
; %bb.14:
	v_div_scale_f64 v[3:4], null, v[19:20], v[19:20], v[17:18]
	v_div_scale_f64 v[23:24], vcc_lo, v[17:18], v[19:20], v[17:18]
	v_rcp_f64_e32 v[5:6], v[3:4]
	v_fma_f64 v[15:16], -v[3:4], v[5:6], 1.0
	v_fma_f64 v[5:6], v[5:6], v[15:16], v[5:6]
	v_fma_f64 v[15:16], -v[3:4], v[5:6], 1.0
	v_fma_f64 v[5:6], v[5:6], v[15:16], v[5:6]
	v_mul_f64 v[15:16], v[23:24], v[5:6]
	v_fma_f64 v[3:4], -v[3:4], v[15:16], v[23:24]
	v_div_fmas_f64 v[3:4], v[3:4], v[5:6], v[15:16]
	v_div_fixup_f64 v[3:4], v[3:4], v[19:20], v[17:18]
	v_fma_f64 v[5:6], v[17:18], v[3:4], v[19:20]
	v_div_scale_f64 v[15:16], null, v[5:6], v[5:6], 1.0
	v_div_scale_f64 v[23:24], vcc_lo, 1.0, v[5:6], 1.0
	v_rcp_f64_e32 v[17:18], v[15:16]
	v_fma_f64 v[19:20], -v[15:16], v[17:18], 1.0
	v_fma_f64 v[17:18], v[17:18], v[19:20], v[17:18]
	v_fma_f64 v[19:20], -v[15:16], v[17:18], 1.0
	v_fma_f64 v[17:18], v[17:18], v[19:20], v[17:18]
	v_mul_f64 v[19:20], v[23:24], v[17:18]
	v_fma_f64 v[15:16], -v[15:16], v[19:20], v[23:24]
	v_div_fmas_f64 v[15:16], v[15:16], v[17:18], v[19:20]
                                        ; implicit-def: $vgpr17_vgpr18
                                        ; implicit-def: $vgpr19_vgpr20
	v_div_fixup_f64 v[5:6], v[15:16], v[5:6], 1.0
	v_mul_f64 v[15:16], v[3:4], v[5:6]
	v_xor_b32_e32 v6, 0x80000000, v6
	v_xor_b32_e32 v4, 0x80000000, v16
	v_mov_b32_e32 v3, v15
.LBB3_15:
	s_andn2_saveexec_b32 s7, s7
	s_cbranch_execz .LBB3_17
; %bb.16:
	v_div_scale_f64 v[3:4], null, v[17:18], v[17:18], v[19:20]
	v_div_scale_f64 v[23:24], vcc_lo, v[19:20], v[17:18], v[19:20]
	v_rcp_f64_e32 v[5:6], v[3:4]
	v_fma_f64 v[15:16], -v[3:4], v[5:6], 1.0
	v_fma_f64 v[5:6], v[5:6], v[15:16], v[5:6]
	v_fma_f64 v[15:16], -v[3:4], v[5:6], 1.0
	v_fma_f64 v[5:6], v[5:6], v[15:16], v[5:6]
	v_mul_f64 v[15:16], v[23:24], v[5:6]
	v_fma_f64 v[3:4], -v[3:4], v[15:16], v[23:24]
	v_div_fmas_f64 v[3:4], v[3:4], v[5:6], v[15:16]
	v_div_fixup_f64 v[3:4], v[3:4], v[17:18], v[19:20]
	v_fma_f64 v[5:6], v[19:20], v[3:4], v[17:18]
	v_div_scale_f64 v[15:16], null, v[5:6], v[5:6], 1.0
	v_rcp_f64_e32 v[17:18], v[15:16]
	v_fma_f64 v[19:20], -v[15:16], v[17:18], 1.0
	v_fma_f64 v[17:18], v[17:18], v[19:20], v[17:18]
	v_fma_f64 v[19:20], -v[15:16], v[17:18], 1.0
	v_fma_f64 v[17:18], v[17:18], v[19:20], v[17:18]
	v_div_scale_f64 v[19:20], vcc_lo, 1.0, v[5:6], 1.0
	v_mul_f64 v[23:24], v[19:20], v[17:18]
	v_fma_f64 v[15:16], -v[15:16], v[23:24], v[19:20]
	v_div_fmas_f64 v[15:16], v[15:16], v[17:18], v[23:24]
	v_div_fixup_f64 v[15:16], v[15:16], v[5:6], 1.0
	v_mul_f64 v[5:6], v[3:4], -v[15:16]
	v_xor_b32_e32 v4, 0x80000000, v16
	v_mov_b32_e32 v3, v15
.LBB3_17:
	s_or_b32 exec_lo, exec_lo, s7
	v_mov_b32_e32 v20, s16
	buffer_store_dword v16, v22, s[0:3], 0 offen offset:4
	buffer_store_dword v15, v22, s[0:3], 0 offen
	buffer_store_dword v6, v22, s[0:3], 0 offen offset:12
	buffer_store_dword v5, v22, s[0:3], 0 offen offset:8
	v_xor_b32_e32 v6, 0x80000000, v6
	v_add_nc_u32_e32 v15, 64, v21
	s_clause 0x3
	buffer_load_dword v19, v20, s[0:3], 0 offen offset:12
	buffer_load_dword v18, v20, s[0:3], 0 offen offset:8
	;; [unrolled: 1-line block ×3, first 2 shown]
	buffer_load_dword v16, v20, s[0:3], 0 offen
	ds_write_b128 v21, v[3:6]
	s_waitcnt vmcnt(0)
	ds_write_b128 v21, v[16:19] offset:64
	s_waitcnt lgkmcnt(0)
	s_waitcnt_vscnt null, 0x0
	s_barrier
	buffer_gl0_inv
	s_and_saveexec_b32 s7, s6
	s_cbranch_execz .LBB3_19
; %bb.18:
	s_clause 0x3
	buffer_load_dword v23, v22, s[0:3], 0 offen offset:8
	buffer_load_dword v24, v22, s[0:3], 0 offen offset:12
	buffer_load_dword v25, v22, s[0:3], 0 offen
	buffer_load_dword v26, v22, s[0:3], 0 offen offset:4
	ds_read_b128 v[3:6], v15
	v_mov_b32_e32 v16, 0
	ds_read_b128 v[16:19], v16 offset:16
	s_waitcnt vmcnt(2) lgkmcnt(1)
	v_mul_f64 v[27:28], v[3:4], v[23:24]
	v_mul_f64 v[23:24], v[5:6], v[23:24]
	s_waitcnt vmcnt(0)
	v_fma_f64 v[5:6], v[5:6], v[25:26], v[27:28]
	v_fma_f64 v[3:4], v[3:4], v[25:26], -v[23:24]
	v_add_f64 v[5:6], v[5:6], 0
	v_add_f64 v[3:4], v[3:4], 0
	s_waitcnt lgkmcnt(0)
	v_mul_f64 v[23:24], v[5:6], v[18:19]
	v_mul_f64 v[18:19], v[3:4], v[18:19]
	v_fma_f64 v[3:4], v[3:4], v[16:17], -v[23:24]
	v_fma_f64 v[5:6], v[5:6], v[16:17], v[18:19]
	buffer_store_dword v3, off, s[0:3], 0 offset:16
	buffer_store_dword v4, off, s[0:3], 0 offset:20
	;; [unrolled: 1-line block ×4, first 2 shown]
.LBB3_19:
	s_or_b32 exec_lo, exec_lo, s7
	v_mov_b32_e32 v6, s13
	s_waitcnt_vscnt null, 0x0
	s_barrier
	buffer_gl0_inv
	s_mov_b32 s7, exec_lo
	s_clause 0x3
	buffer_load_dword v3, v6, s[0:3], 0 offen
	buffer_load_dword v4, v6, s[0:3], 0 offen offset:4
	buffer_load_dword v5, v6, s[0:3], 0 offen offset:8
	;; [unrolled: 1-line block ×3, first 2 shown]
	s_waitcnt vmcnt(0)
	ds_write_b128 v15, v[3:6]
	s_waitcnt lgkmcnt(0)
	s_barrier
	buffer_gl0_inv
	v_cmpx_gt_u32_e32 2, v0
	s_cbranch_execz .LBB3_23
; %bb.20:
	s_clause 0x3
	buffer_load_dword v16, v22, s[0:3], 0 offen offset:8
	buffer_load_dword v17, v22, s[0:3], 0 offen offset:12
	buffer_load_dword v18, v22, s[0:3], 0 offen
	buffer_load_dword v19, v22, s[0:3], 0 offen offset:4
	ds_read_b128 v[3:6], v15
	s_waitcnt vmcnt(2) lgkmcnt(0)
	v_mul_f64 v[22:23], v[5:6], v[16:17]
	v_mul_f64 v[16:17], v[3:4], v[16:17]
	s_waitcnt vmcnt(0)
	v_fma_f64 v[3:4], v[3:4], v[18:19], -v[22:23]
	v_fma_f64 v[5:6], v[5:6], v[18:19], v[16:17]
	v_add_f64 v[3:4], v[3:4], 0
	v_add_f64 v[5:6], v[5:6], 0
	s_and_saveexec_b32 s17, s6
	s_cbranch_execz .LBB3_22
; %bb.21:
	s_clause 0x3
	buffer_load_dword v22, off, s[0:3], 0 offset:24
	buffer_load_dword v23, off, s[0:3], 0 offset:28
	buffer_load_dword v24, off, s[0:3], 0 offset:16
	buffer_load_dword v25, off, s[0:3], 0 offset:20
	v_mov_b32_e32 v16, 0
	ds_read_b128 v[16:19], v16 offset:80
	s_waitcnt vmcnt(2) lgkmcnt(0)
	v_mul_f64 v[26:27], v[16:17], v[22:23]
	v_mul_f64 v[22:23], v[18:19], v[22:23]
	s_waitcnt vmcnt(0)
	v_fma_f64 v[18:19], v[18:19], v[24:25], v[26:27]
	v_fma_f64 v[16:17], v[16:17], v[24:25], -v[22:23]
	v_add_f64 v[5:6], v[5:6], v[18:19]
	v_add_f64 v[3:4], v[3:4], v[16:17]
.LBB3_22:
	s_or_b32 exec_lo, exec_lo, s17
	v_mov_b32_e32 v16, 0
	ds_read_b128 v[16:19], v16 offset:32
	s_waitcnt lgkmcnt(0)
	v_mul_f64 v[22:23], v[5:6], v[18:19]
	v_mul_f64 v[18:19], v[3:4], v[18:19]
	v_fma_f64 v[3:4], v[3:4], v[16:17], -v[22:23]
	v_fma_f64 v[5:6], v[5:6], v[16:17], v[18:19]
	buffer_store_dword v4, off, s[0:3], 0 offset:36
	buffer_store_dword v3, off, s[0:3], 0 offset:32
	;; [unrolled: 1-line block ×4, first 2 shown]
.LBB3_23:
	s_or_b32 exec_lo, exec_lo, s7
	v_mov_b32_e32 v6, s12
	s_waitcnt_vscnt null, 0x0
	s_barrier
	buffer_gl0_inv
	s_mov_b32 s6, exec_lo
	s_clause 0x3
	buffer_load_dword v3, v6, s[0:3], 0 offen
	buffer_load_dword v4, v6, s[0:3], 0 offen offset:4
	buffer_load_dword v5, v6, s[0:3], 0 offen offset:8
	;; [unrolled: 1-line block ×3, first 2 shown]
	s_waitcnt vmcnt(0)
	ds_write_b128 v15, v[3:6]
	s_waitcnt lgkmcnt(0)
	s_barrier
	buffer_gl0_inv
	v_cmpx_ne_u32_e32 3, v0
	s_cbranch_execz .LBB3_27
; %bb.24:
	v_mov_b32_e32 v3, 0
	v_mov_b32_e32 v5, 0
	v_add_nc_u32_e32 v16, -1, v0
	v_mov_b32_e32 v4, 0
	v_mov_b32_e32 v6, 0
	;; [unrolled: 1-line block ×3, first 2 shown]
	s_mov_b32 s7, 0
	.p2align	6
.LBB3_25:                               ; =>This Inner Loop Header: Depth=1
	s_clause 0x3
	buffer_load_dword v22, v17, s[0:3], 0 offen offset:8
	buffer_load_dword v23, v17, s[0:3], 0 offen offset:12
	buffer_load_dword v24, v17, s[0:3], 0 offen
	buffer_load_dword v25, v17, s[0:3], 0 offen offset:4
	ds_read_b128 v[18:21], v15
	v_add_nc_u32_e32 v16, 1, v16
	v_add_nc_u32_e32 v15, 16, v15
	;; [unrolled: 1-line block ×3, first 2 shown]
	v_cmp_lt_u32_e32 vcc_lo, 1, v16
	s_or_b32 s7, vcc_lo, s7
	s_waitcnt vmcnt(2) lgkmcnt(0)
	v_mul_f64 v[26:27], v[20:21], v[22:23]
	v_mul_f64 v[22:23], v[18:19], v[22:23]
	s_waitcnt vmcnt(0)
	v_fma_f64 v[18:19], v[18:19], v[24:25], -v[26:27]
	v_fma_f64 v[20:21], v[20:21], v[24:25], v[22:23]
	v_add_f64 v[5:6], v[5:6], v[18:19]
	v_add_f64 v[3:4], v[3:4], v[20:21]
	s_andn2_b32 exec_lo, exec_lo, s7
	s_cbranch_execnz .LBB3_25
; %bb.26:
	s_or_b32 exec_lo, exec_lo, s7
	v_mov_b32_e32 v15, 0
	ds_read_b128 v[15:18], v15 offset:48
	s_waitcnt lgkmcnt(0)
	v_mul_f64 v[19:20], v[3:4], v[17:18]
	v_mul_f64 v[17:18], v[5:6], v[17:18]
	v_fma_f64 v[5:6], v[5:6], v[15:16], -v[19:20]
	v_fma_f64 v[3:4], v[3:4], v[15:16], v[17:18]
	buffer_store_dword v6, off, s[0:3], 0 offset:52
	buffer_store_dword v5, off, s[0:3], 0 offset:48
	;; [unrolled: 1-line block ×4, first 2 shown]
.LBB3_27:
	s_or_b32 exec_lo, exec_lo, s6
	s_mov_b32 s7, -1
	s_waitcnt_vscnt null, 0x0
	s_barrier
	buffer_gl0_inv
.LBB3_28:
	s_and_b32 vcc_lo, exec_lo, s7
	s_cbranch_vccz .LBB3_30
; %bb.29:
	s_lshl_b64 s[6:7], s[8:9], 2
	v_mov_b32_e32 v3, 0
	s_add_u32 s6, s14, s6
	s_addc_u32 s7, s15, s7
	global_load_dword v3, v3, s[6:7]
	s_waitcnt vmcnt(0)
	v_cmp_ne_u32_e32 vcc_lo, 0, v3
	s_cbranch_vccz .LBB3_31
.LBB3_30:
	s_endpgm
.LBB3_31:
	v_lshl_add_u32 v3, v0, 4, 64
	s_mov_b32 s6, exec_lo
	v_cmpx_eq_u32_e32 3, v0
	s_cbranch_execz .LBB3_33
; %bb.32:
	v_mov_b32_e32 v4, s13
	s_clause 0x3
	buffer_load_dword v15, v4, s[0:3], 0 offen
	buffer_load_dword v16, v4, s[0:3], 0 offen offset:4
	buffer_load_dword v17, v4, s[0:3], 0 offen offset:8
	;; [unrolled: 1-line block ×3, first 2 shown]
	v_mov_b32_e32 v4, 0
	buffer_store_dword v4, off, s[0:3], 0 offset:32
	buffer_store_dword v4, off, s[0:3], 0 offset:36
	;; [unrolled: 1-line block ×4, first 2 shown]
	s_waitcnt vmcnt(0)
	ds_write_b128 v3, v[15:18]
.LBB3_33:
	s_or_b32 exec_lo, exec_lo, s6
	s_waitcnt lgkmcnt(0)
	s_waitcnt_vscnt null, 0x0
	s_barrier
	buffer_gl0_inv
	s_clause 0x7
	buffer_load_dword v5, off, s[0:3], 0 offset:56
	buffer_load_dword v6, off, s[0:3], 0 offset:60
	;; [unrolled: 1-line block ×8, first 2 shown]
	v_mov_b32_e32 v4, 0
	s_mov_b32 s6, exec_lo
	ds_read_b128 v[15:18], v4 offset:112
	s_waitcnt vmcnt(6) lgkmcnt(0)
	v_mul_f64 v[25:26], v[17:18], v[5:6]
	v_mul_f64 v[5:6], v[15:16], v[5:6]
	s_waitcnt vmcnt(4)
	v_fma_f64 v[15:16], v[15:16], v[19:20], -v[25:26]
	v_fma_f64 v[5:6], v[17:18], v[19:20], v[5:6]
	v_add_f64 v[15:16], v[15:16], 0
	v_add_f64 v[5:6], v[5:6], 0
	s_waitcnt vmcnt(2)
	v_add_f64 v[15:16], v[21:22], -v[15:16]
	s_waitcnt vmcnt(0)
	v_add_f64 v[5:6], v[23:24], -v[5:6]
	buffer_store_dword v15, off, s[0:3], 0 offset:32
	buffer_store_dword v16, off, s[0:3], 0 offset:36
	;; [unrolled: 1-line block ×4, first 2 shown]
	v_cmpx_lt_u32_e32 1, v0
	s_cbranch_execz .LBB3_35
; %bb.34:
	v_mov_b32_e32 v5, s16
	s_clause 0x3
	buffer_load_dword v15, v5, s[0:3], 0 offen
	buffer_load_dword v16, v5, s[0:3], 0 offen offset:4
	buffer_load_dword v17, v5, s[0:3], 0 offen offset:8
	;; [unrolled: 1-line block ×3, first 2 shown]
	buffer_store_dword v4, off, s[0:3], 0 offset:16
	buffer_store_dword v4, off, s[0:3], 0 offset:20
	;; [unrolled: 1-line block ×4, first 2 shown]
	s_waitcnt vmcnt(0)
	ds_write_b128 v3, v[15:18]
.LBB3_35:
	s_or_b32 exec_lo, exec_lo, s6
	s_waitcnt lgkmcnt(0)
	s_waitcnt_vscnt null, 0x0
	s_barrier
	buffer_gl0_inv
	s_clause 0xb
	buffer_load_dword v5, off, s[0:3], 0 offset:40
	buffer_load_dword v6, off, s[0:3], 0 offset:44
	;; [unrolled: 1-line block ×12, first 2 shown]
	ds_read_b128 v[15:18], v4 offset:96
	ds_read_b128 v[19:22], v4 offset:112
	s_mov_b32 s6, exec_lo
	s_waitcnt vmcnt(10) lgkmcnt(1)
	v_mul_f64 v[33:34], v[17:18], v[5:6]
	v_mul_f64 v[4:5], v[15:16], v[5:6]
	s_waitcnt vmcnt(8) lgkmcnt(0)
	v_mul_f64 v[35:36], v[21:22], v[23:24]
	v_mul_f64 v[23:24], v[19:20], v[23:24]
	s_waitcnt vmcnt(6)
	v_fma_f64 v[15:16], v[15:16], v[25:26], -v[33:34]
	v_fma_f64 v[4:5], v[17:18], v[25:26], v[4:5]
	s_waitcnt vmcnt(4)
	v_fma_f64 v[17:18], v[19:20], v[27:28], -v[35:36]
	v_fma_f64 v[19:20], v[21:22], v[27:28], v[23:24]
	v_add_f64 v[15:16], v[15:16], 0
	v_add_f64 v[4:5], v[4:5], 0
	;; [unrolled: 1-line block ×4, first 2 shown]
	s_waitcnt vmcnt(2)
	v_add_f64 v[15:16], v[29:30], -v[15:16]
	s_waitcnt vmcnt(0)
	v_add_f64 v[4:5], v[31:32], -v[4:5]
	buffer_store_dword v15, off, s[0:3], 0 offset:16
	buffer_store_dword v16, off, s[0:3], 0 offset:20
	;; [unrolled: 1-line block ×4, first 2 shown]
	v_cmpx_ne_u32_e32 0, v0
	s_cbranch_execz .LBB3_37
; %bb.36:
	s_clause 0x3
	buffer_load_dword v15, off, s[0:3], 0
	buffer_load_dword v16, off, s[0:3], 0 offset:4
	buffer_load_dword v17, off, s[0:3], 0 offset:8
	;; [unrolled: 1-line block ×3, first 2 shown]
	v_mov_b32_e32 v4, 0
	buffer_store_dword v4, off, s[0:3], 0
	buffer_store_dword v4, off, s[0:3], 0 offset:4
	buffer_store_dword v4, off, s[0:3], 0 offset:8
	;; [unrolled: 1-line block ×3, first 2 shown]
	s_waitcnt vmcnt(0)
	ds_write_b128 v3, v[15:18]
.LBB3_37:
	s_or_b32 exec_lo, exec_lo, s6
	s_waitcnt lgkmcnt(0)
	s_waitcnt_vscnt null, 0x0
	s_barrier
	buffer_gl0_inv
	s_clause 0xf
	buffer_load_dword v4, off, s[0:3], 0 offset:24
	buffer_load_dword v5, off, s[0:3], 0 offset:28
	;; [unrolled: 1-line block ×12, first 2 shown]
	buffer_load_dword v37, off, s[0:3], 0
	buffer_load_dword v38, off, s[0:3], 0 offset:4
	buffer_load_dword v39, off, s[0:3], 0 offset:8
	;; [unrolled: 1-line block ×3, first 2 shown]
	v_mov_b32_e32 v3, 0
	ds_read_b128 v[15:18], v3 offset:80
	ds_read_b128 v[19:22], v3 offset:96
	;; [unrolled: 1-line block ×3, first 2 shown]
	s_and_b32 vcc_lo, exec_lo, s24
	s_waitcnt vmcnt(14) lgkmcnt(2)
	v_mul_f64 v[41:42], v[17:18], v[4:5]
	v_mul_f64 v[4:5], v[15:16], v[4:5]
	s_waitcnt vmcnt(12) lgkmcnt(1)
	v_mul_f64 v[43:44], v[21:22], v[27:28]
	v_mul_f64 v[27:28], v[19:20], v[27:28]
	s_waitcnt vmcnt(10)
	v_fma_f64 v[15:16], v[15:16], v[29:30], -v[41:42]
	v_fma_f64 v[4:5], v[17:18], v[29:30], v[4:5]
	s_waitcnt vmcnt(8) lgkmcnt(0)
	v_mul_f64 v[29:30], v[25:26], v[31:32]
	s_waitcnt vmcnt(6)
	v_fma_f64 v[19:20], v[19:20], v[33:34], -v[43:44]
	v_mul_f64 v[17:18], v[23:24], v[31:32]
	v_fma_f64 v[21:22], v[21:22], v[33:34], v[27:28]
	v_add_f64 v[15:16], v[15:16], 0
	v_add_f64 v[4:5], v[4:5], 0
	s_waitcnt vmcnt(4)
	v_fma_f64 v[23:24], v[23:24], v[35:36], -v[29:30]
	v_fma_f64 v[17:18], v[25:26], v[35:36], v[17:18]
	v_add_f64 v[15:16], v[15:16], v[19:20]
	v_add_f64 v[4:5], v[4:5], v[21:22]
	;; [unrolled: 1-line block ×4, first 2 shown]
	s_waitcnt vmcnt(2)
	v_add_f64 v[15:16], v[37:38], -v[15:16]
	s_waitcnt vmcnt(0)
	v_add_f64 v[4:5], v[39:40], -v[4:5]
	buffer_store_dword v15, off, s[0:3], 0
	buffer_store_dword v16, off, s[0:3], 0 offset:4
	buffer_store_dword v4, off, s[0:3], 0 offset:8
	;; [unrolled: 1-line block ×3, first 2 shown]
	s_cbranch_vccz .LBB3_44
; %bb.38:
	global_load_dword v3, v3, s[10:11] offset:8
	s_load_dwordx2 s[4:5], s[4:5], 0x4
	s_waitcnt lgkmcnt(0)
	s_lshr_b32 s4, s4, 16
	v_mul_u32_u24_e32 v4, s5, v1
	s_mul_i32 s4, s4, s5
	v_mul_u32_u24_e32 v0, s4, v0
	v_add3_u32 v0, v0, v4, v2
	v_lshl_add_u32 v0, v0, 4, 0x88
	s_waitcnt vmcnt(0)
	v_add_nc_u32_e32 v1, -1, v3
	v_cmp_ne_u32_e32 vcc_lo, 2, v1
	s_cbranch_vccz .LBB3_40
; %bb.39:
	v_lshlrev_b32_e32 v1, 4, v1
	v_mov_b32_e32 v5, s13
	v_mov_b32_e32 v6, v1
	s_clause 0x7
	buffer_load_dword v1, v5, s[0:3], 0 offen
	buffer_load_dword v2, v5, s[0:3], 0 offen offset:4
	buffer_load_dword v3, v5, s[0:3], 0 offen offset:8
	;; [unrolled: 1-line block ×3, first 2 shown]
	buffer_load_dword v15, v6, s[0:3], 0 offen
	buffer_load_dword v16, v6, s[0:3], 0 offen offset:4
	buffer_load_dword v17, v6, s[0:3], 0 offen offset:8
	;; [unrolled: 1-line block ×3, first 2 shown]
	s_waitcnt vmcnt(4)
	ds_write2_b64 v0, v[1:2], v[3:4] offset1:1
	s_waitcnt vmcnt(3)
	buffer_store_dword v15, v5, s[0:3], 0 offen
	s_waitcnt vmcnt(2)
	buffer_store_dword v16, v5, s[0:3], 0 offen offset:4
	s_waitcnt vmcnt(1)
	buffer_store_dword v17, v5, s[0:3], 0 offen offset:8
	;; [unrolled: 2-line block ×3, first 2 shown]
	buffer_store_dword v4, v6, s[0:3], 0 offen offset:12
	buffer_store_dword v3, v6, s[0:3], 0 offen offset:8
	;; [unrolled: 1-line block ×3, first 2 shown]
	buffer_store_dword v1, v6, s[0:3], 0 offen
.LBB3_40:
	v_mov_b32_e32 v1, 0
	global_load_dword v2, v1, s[10:11] offset:4
	s_waitcnt vmcnt(0)
	v_add_nc_u32_e32 v2, -1, v2
	v_cmp_eq_u32_e32 vcc_lo, 1, v2
	s_cbranch_vccnz .LBB3_42
; %bb.41:
	v_lshlrev_b32_e32 v2, 4, v2
	v_mov_b32_e32 v6, s16
	v_mov_b32_e32 v15, v2
	s_clause 0x7
	buffer_load_dword v2, v6, s[0:3], 0 offen
	buffer_load_dword v3, v6, s[0:3], 0 offen offset:4
	buffer_load_dword v4, v6, s[0:3], 0 offen offset:8
	;; [unrolled: 1-line block ×3, first 2 shown]
	buffer_load_dword v16, v15, s[0:3], 0 offen
	buffer_load_dword v17, v15, s[0:3], 0 offen offset:4
	buffer_load_dword v18, v15, s[0:3], 0 offen offset:8
	;; [unrolled: 1-line block ×3, first 2 shown]
	s_waitcnt vmcnt(4)
	ds_write2_b64 v0, v[2:3], v[4:5] offset1:1
	s_waitcnt vmcnt(3)
	buffer_store_dword v16, v6, s[0:3], 0 offen
	s_waitcnt vmcnt(2)
	buffer_store_dword v17, v6, s[0:3], 0 offen offset:4
	s_waitcnt vmcnt(1)
	buffer_store_dword v18, v6, s[0:3], 0 offen offset:8
	;; [unrolled: 2-line block ×3, first 2 shown]
	buffer_store_dword v5, v15, s[0:3], 0 offen offset:12
	buffer_store_dword v4, v15, s[0:3], 0 offen offset:8
	;; [unrolled: 1-line block ×3, first 2 shown]
	buffer_store_dword v2, v15, s[0:3], 0 offen
.LBB3_42:
	global_load_dword v1, v1, s[10:11]
	s_waitcnt vmcnt(0)
	v_add_nc_u32_e32 v1, -1, v1
	v_cmp_eq_u32_e32 vcc_lo, 0, v1
	s_cbranch_vccnz .LBB3_44
; %bb.43:
	v_lshlrev_b32_e32 v1, 4, v1
	v_mov_b32_e32 v5, v1
	s_clause 0x7
	buffer_load_dword v1, off, s[0:3], 0
	buffer_load_dword v2, off, s[0:3], 0 offset:4
	buffer_load_dword v3, off, s[0:3], 0 offset:8
	buffer_load_dword v4, off, s[0:3], 0 offset:12
	buffer_load_dword v6, v5, s[0:3], 0 offen
	buffer_load_dword v15, v5, s[0:3], 0 offen offset:4
	buffer_load_dword v16, v5, s[0:3], 0 offen offset:8
	;; [unrolled: 1-line block ×3, first 2 shown]
	s_waitcnt vmcnt(4)
	ds_write2_b64 v0, v[1:2], v[3:4] offset1:1
	s_waitcnt vmcnt(3)
	buffer_store_dword v6, off, s[0:3], 0
	s_waitcnt vmcnt(2)
	buffer_store_dword v15, off, s[0:3], 0 offset:4
	s_waitcnt vmcnt(1)
	buffer_store_dword v16, off, s[0:3], 0 offset:8
	;; [unrolled: 2-line block ×3, first 2 shown]
	buffer_store_dword v4, v5, s[0:3], 0 offen offset:12
	buffer_store_dword v3, v5, s[0:3], 0 offen offset:8
	;; [unrolled: 1-line block ×3, first 2 shown]
	buffer_store_dword v1, v5, s[0:3], 0 offen
.LBB3_44:
	v_mov_b32_e32 v5, s13
	v_mov_b32_e32 v4, s16
	s_clause 0x7
	buffer_load_dword v0, off, s[0:3], 0
	buffer_load_dword v1, off, s[0:3], 0 offset:4
	buffer_load_dword v2, off, s[0:3], 0 offset:8
	;; [unrolled: 1-line block ×3, first 2 shown]
	buffer_load_dword v15, v4, s[0:3], 0 offen
	buffer_load_dword v16, v4, s[0:3], 0 offen offset:4
	buffer_load_dword v17, v4, s[0:3], 0 offen offset:8
	;; [unrolled: 1-line block ×3, first 2 shown]
	v_mov_b32_e32 v4, s12
	s_clause 0x7
	buffer_load_dword v19, v5, s[0:3], 0 offen
	buffer_load_dword v20, v5, s[0:3], 0 offen offset:4
	buffer_load_dword v21, v5, s[0:3], 0 offen offset:8
	;; [unrolled: 1-line block ×3, first 2 shown]
	buffer_load_dword v23, v4, s[0:3], 0 offen
	buffer_load_dword v24, v4, s[0:3], 0 offen offset:4
	buffer_load_dword v25, v4, s[0:3], 0 offen offset:8
	;; [unrolled: 1-line block ×3, first 2 shown]
	s_waitcnt vmcnt(12)
	global_store_dwordx4 v[7:8], v[0:3], off
	s_waitcnt vmcnt(8)
	global_store_dwordx4 v[9:10], v[15:18], off
	;; [unrolled: 2-line block ×4, first 2 shown]
	s_endpgm
	.section	.rodata,"a",@progbits
	.p2align	6, 0x0
	.amdhsa_kernel _ZN9rocsolver6v33100L18getri_kernel_smallILi4E19rocblas_complex_numIdEPS3_EEvT1_iilPiilS6_bb
		.amdhsa_group_segment_fixed_size 1160
		.amdhsa_private_segment_fixed_size 80
		.amdhsa_kernarg_size 60
		.amdhsa_user_sgpr_count 8
		.amdhsa_user_sgpr_private_segment_buffer 1
		.amdhsa_user_sgpr_dispatch_ptr 1
		.amdhsa_user_sgpr_queue_ptr 0
		.amdhsa_user_sgpr_kernarg_segment_ptr 1
		.amdhsa_user_sgpr_dispatch_id 0
		.amdhsa_user_sgpr_flat_scratch_init 0
		.amdhsa_user_sgpr_private_segment_size 0
		.amdhsa_wavefront_size32 1
		.amdhsa_uses_dynamic_stack 0
		.amdhsa_system_sgpr_private_segment_wavefront_offset 1
		.amdhsa_system_sgpr_workgroup_id_x 1
		.amdhsa_system_sgpr_workgroup_id_y 0
		.amdhsa_system_sgpr_workgroup_id_z 0
		.amdhsa_system_sgpr_workgroup_info 0
		.amdhsa_system_vgpr_workitem_id 2
		.amdhsa_next_free_vgpr 45
		.amdhsa_next_free_sgpr 25
		.amdhsa_reserve_vcc 1
		.amdhsa_reserve_flat_scratch 0
		.amdhsa_float_round_mode_32 0
		.amdhsa_float_round_mode_16_64 0
		.amdhsa_float_denorm_mode_32 3
		.amdhsa_float_denorm_mode_16_64 3
		.amdhsa_dx10_clamp 1
		.amdhsa_ieee_mode 1
		.amdhsa_fp16_overflow 0
		.amdhsa_workgroup_processor_mode 1
		.amdhsa_memory_ordered 1
		.amdhsa_forward_progress 1
		.amdhsa_shared_vgpr_count 0
		.amdhsa_exception_fp_ieee_invalid_op 0
		.amdhsa_exception_fp_denorm_src 0
		.amdhsa_exception_fp_ieee_div_zero 0
		.amdhsa_exception_fp_ieee_overflow 0
		.amdhsa_exception_fp_ieee_underflow 0
		.amdhsa_exception_fp_ieee_inexact 0
		.amdhsa_exception_int_div_zero 0
	.end_amdhsa_kernel
	.section	.text._ZN9rocsolver6v33100L18getri_kernel_smallILi4E19rocblas_complex_numIdEPS3_EEvT1_iilPiilS6_bb,"axG",@progbits,_ZN9rocsolver6v33100L18getri_kernel_smallILi4E19rocblas_complex_numIdEPS3_EEvT1_iilPiilS6_bb,comdat
.Lfunc_end3:
	.size	_ZN9rocsolver6v33100L18getri_kernel_smallILi4E19rocblas_complex_numIdEPS3_EEvT1_iilPiilS6_bb, .Lfunc_end3-_ZN9rocsolver6v33100L18getri_kernel_smallILi4E19rocblas_complex_numIdEPS3_EEvT1_iilPiilS6_bb
                                        ; -- End function
	.set _ZN9rocsolver6v33100L18getri_kernel_smallILi4E19rocblas_complex_numIdEPS3_EEvT1_iilPiilS6_bb.num_vgpr, 45
	.set _ZN9rocsolver6v33100L18getri_kernel_smallILi4E19rocblas_complex_numIdEPS3_EEvT1_iilPiilS6_bb.num_agpr, 0
	.set _ZN9rocsolver6v33100L18getri_kernel_smallILi4E19rocblas_complex_numIdEPS3_EEvT1_iilPiilS6_bb.numbered_sgpr, 25
	.set _ZN9rocsolver6v33100L18getri_kernel_smallILi4E19rocblas_complex_numIdEPS3_EEvT1_iilPiilS6_bb.num_named_barrier, 0
	.set _ZN9rocsolver6v33100L18getri_kernel_smallILi4E19rocblas_complex_numIdEPS3_EEvT1_iilPiilS6_bb.private_seg_size, 80
	.set _ZN9rocsolver6v33100L18getri_kernel_smallILi4E19rocblas_complex_numIdEPS3_EEvT1_iilPiilS6_bb.uses_vcc, 1
	.set _ZN9rocsolver6v33100L18getri_kernel_smallILi4E19rocblas_complex_numIdEPS3_EEvT1_iilPiilS6_bb.uses_flat_scratch, 0
	.set _ZN9rocsolver6v33100L18getri_kernel_smallILi4E19rocblas_complex_numIdEPS3_EEvT1_iilPiilS6_bb.has_dyn_sized_stack, 0
	.set _ZN9rocsolver6v33100L18getri_kernel_smallILi4E19rocblas_complex_numIdEPS3_EEvT1_iilPiilS6_bb.has_recursion, 0
	.set _ZN9rocsolver6v33100L18getri_kernel_smallILi4E19rocblas_complex_numIdEPS3_EEvT1_iilPiilS6_bb.has_indirect_call, 0
	.section	.AMDGPU.csdata,"",@progbits
; Kernel info:
; codeLenInByte = 4536
; TotalNumSgprs: 27
; NumVgprs: 45
; ScratchSize: 80
; MemoryBound: 0
; FloatMode: 240
; IeeeMode: 1
; LDSByteSize: 1160 bytes/workgroup (compile time only)
; SGPRBlocks: 0
; VGPRBlocks: 5
; NumSGPRsForWavesPerEU: 27
; NumVGPRsForWavesPerEU: 45
; Occupancy: 16
; WaveLimiterHint : 0
; COMPUTE_PGM_RSRC2:SCRATCH_EN: 1
; COMPUTE_PGM_RSRC2:USER_SGPR: 8
; COMPUTE_PGM_RSRC2:TRAP_HANDLER: 0
; COMPUTE_PGM_RSRC2:TGID_X_EN: 1
; COMPUTE_PGM_RSRC2:TGID_Y_EN: 0
; COMPUTE_PGM_RSRC2:TGID_Z_EN: 0
; COMPUTE_PGM_RSRC2:TIDIG_COMP_CNT: 2
	.section	.text._ZN9rocsolver6v33100L18getri_kernel_smallILi5E19rocblas_complex_numIdEPS3_EEvT1_iilPiilS6_bb,"axG",@progbits,_ZN9rocsolver6v33100L18getri_kernel_smallILi5E19rocblas_complex_numIdEPS3_EEvT1_iilPiilS6_bb,comdat
	.globl	_ZN9rocsolver6v33100L18getri_kernel_smallILi5E19rocblas_complex_numIdEPS3_EEvT1_iilPiilS6_bb ; -- Begin function _ZN9rocsolver6v33100L18getri_kernel_smallILi5E19rocblas_complex_numIdEPS3_EEvT1_iilPiilS6_bb
	.p2align	8
	.type	_ZN9rocsolver6v33100L18getri_kernel_smallILi5E19rocblas_complex_numIdEPS3_EEvT1_iilPiilS6_bb,@function
_ZN9rocsolver6v33100L18getri_kernel_smallILi5E19rocblas_complex_numIdEPS3_EEvT1_iilPiilS6_bb: ; @_ZN9rocsolver6v33100L18getri_kernel_smallILi5E19rocblas_complex_numIdEPS3_EEvT1_iilPiilS6_bb
; %bb.0:
	s_add_u32 s0, s0, s9
	s_addc_u32 s1, s1, 0
	s_mov_b32 s9, exec_lo
	v_cmpx_gt_u32_e32 5, v0
	s_cbranch_execz .LBB4_34
; %bb.1:
	s_clause 0x2
	s_load_dword s9, s[6:7], 0x38
	s_load_dwordx4 s[20:23], s[6:7], 0x10
	s_load_dwordx4 s[12:15], s[6:7], 0x28
	s_waitcnt lgkmcnt(0)
	s_bitcmp1_b32 s9, 8
	s_cselect_b32 s24, -1, 0
	s_bfe_u32 s10, s9, 0x10008
	s_ashr_i32 s9, s8, 31
	s_cmp_eq_u32 s10, 0
                                        ; implicit-def: $sgpr10_sgpr11
	s_cbranch_scc1 .LBB4_3
; %bb.2:
	s_load_dword s10, s[6:7], 0x20
	s_mul_i32 s11, s12, s9
	s_mul_hi_u32 s16, s12, s8
	s_mul_i32 s13, s13, s8
	s_add_i32 s11, s16, s11
	s_mul_i32 s12, s12, s8
	s_add_i32 s13, s11, s13
	s_lshl_b64 s[12:13], s[12:13], 2
	s_waitcnt lgkmcnt(0)
	s_ashr_i32 s11, s10, 31
	s_add_u32 s12, s22, s12
	s_addc_u32 s13, s23, s13
	s_lshl_b64 s[10:11], s[10:11], 2
	s_add_u32 s10, s12, s10
	s_addc_u32 s11, s13, s11
.LBB4_3:
	s_clause 0x1
	s_load_dwordx4 s[16:19], s[6:7], 0x0
	s_load_dword s22, s[6:7], 0x38
	s_mul_i32 s6, s20, s9
	s_mul_hi_u32 s7, s20, s8
	s_mul_i32 s12, s21, s8
	s_add_i32 s7, s7, s6
	s_mul_i32 s6, s20, s8
	s_add_i32 s7, s7, s12
	v_lshlrev_b32_e32 v23, 4, v0
	s_lshl_b64 s[6:7], s[6:7], 4
	s_waitcnt lgkmcnt(0)
	v_add3_u32 v3, s19, s19, v0
	s_ashr_i32 s13, s18, 31
	s_mov_b32 s12, s18
	s_add_u32 s16, s16, s6
	s_addc_u32 s17, s17, s7
	v_add_nc_u32_e32 v5, s19, v3
	s_lshl_b64 s[6:7], s[12:13], 4
	v_ashrrev_i32_e32 v4, 31, v3
	s_add_u32 s6, s16, s6
	s_addc_u32 s7, s17, s7
	v_add_nc_u32_e32 v13, s19, v5
	v_ashrrev_i32_e32 v6, 31, v5
	v_add_co_u32 v7, s16, s6, v23
	s_mov_b32 s12, s19
	v_ashrrev_i32_e32 v14, 31, v13
	s_ashr_i32 s13, s19, 31
	v_lshlrev_b64 v[3:4], 4, v[3:4]
	v_add_co_ci_u32_e64 v8, null, s7, 0, s16
	s_lshl_b64 s[12:13], s[12:13], 4
	v_lshlrev_b64 v[15:16], 4, v[5:6]
	v_add_co_u32 v9, vcc_lo, v7, s12
	v_lshlrev_b64 v[13:14], 4, v[13:14]
	v_add_co_ci_u32_e64 v10, null, s13, v8, vcc_lo
	v_add_co_u32 v11, vcc_lo, s6, v3
	v_add_co_ci_u32_e64 v12, null, s7, v4, vcc_lo
	v_add_co_u32 v15, vcc_lo, s6, v15
	;; [unrolled: 2-line block ×3, first 2 shown]
	v_add_co_ci_u32_e64 v14, null, s7, v14, vcc_lo
	s_clause 0x4
	global_load_dwordx4 v[3:6], v23, s[6:7]
	global_load_dwordx4 v[17:20], v[9:10], off
	global_load_dwordx4 v[24:27], v[11:12], off
	;; [unrolled: 1-line block ×4, first 2 shown]
	s_mov_b32 s7, -1
	s_mov_b32 s17, 16
	s_mov_b32 s16, 32
	;; [unrolled: 1-line block ×4, first 2 shown]
	s_bitcmp0_b32 s22, 0
	s_waitcnt vmcnt(4)
	buffer_store_dword v6, off, s[0:3], 0 offset:12
	buffer_store_dword v5, off, s[0:3], 0 offset:8
	;; [unrolled: 1-line block ×3, first 2 shown]
	buffer_store_dword v3, off, s[0:3], 0
	s_waitcnt vmcnt(3)
	buffer_store_dword v20, off, s[0:3], 0 offset:28
	buffer_store_dword v19, off, s[0:3], 0 offset:24
	buffer_store_dword v18, off, s[0:3], 0 offset:20
	buffer_store_dword v17, off, s[0:3], 0 offset:16
	s_waitcnt vmcnt(2)
	buffer_store_dword v27, off, s[0:3], 0 offset:44
	buffer_store_dword v26, off, s[0:3], 0 offset:40
	buffer_store_dword v25, off, s[0:3], 0 offset:36
	buffer_store_dword v24, off, s[0:3], 0 offset:32
	;; [unrolled: 5-line block ×4, first 2 shown]
	s_cbranch_scc1 .LBB4_32
; %bb.4:
	v_cmp_eq_u32_e64 s6, 0, v0
	s_and_saveexec_b32 s7, s6
; %bb.5:
	v_mov_b32_e32 v3, 0
	ds_write_b32 v3, v3 offset:160
; %bb.6:
	s_or_b32 exec_lo, exec_lo, s7
	v_lshl_add_u32 v24, v0, 4, 0
	s_waitcnt lgkmcnt(0)
	s_waitcnt_vscnt null, 0x0
	s_barrier
	buffer_gl0_inv
	s_clause 0x3
	buffer_load_dword v3, v24, s[0:3], 0 offen
	buffer_load_dword v4, v24, s[0:3], 0 offen offset:4
	buffer_load_dword v5, v24, s[0:3], 0 offen offset:8
	;; [unrolled: 1-line block ×3, first 2 shown]
	s_waitcnt vmcnt(2)
	v_cmp_eq_f64_e32 vcc_lo, 0, v[3:4]
	s_waitcnt vmcnt(0)
	v_cmp_eq_f64_e64 s7, 0, v[5:6]
	s_and_b32 s7, vcc_lo, s7
	s_and_saveexec_b32 s18, s7
	s_cbranch_execz .LBB4_10
; %bb.7:
	v_mov_b32_e32 v3, 0
	s_mov_b32 s19, 0
	ds_read_b32 v4, v3 offset:160
	s_waitcnt lgkmcnt(0)
	v_readfirstlane_b32 s7, v4
	v_add_nc_u32_e32 v4, 1, v0
	s_cmp_eq_u32 s7, 0
	v_cmp_gt_i32_e32 vcc_lo, s7, v4
	s_cselect_b32 s20, -1, 0
	s_or_b32 s20, s20, vcc_lo
	s_and_b32 exec_lo, exec_lo, s20
	s_cbranch_execz .LBB4_10
; %bb.8:
	v_mov_b32_e32 v5, s7
.LBB4_9:                                ; =>This Inner Loop Header: Depth=1
	ds_cmpst_rtn_b32 v5, v3, v5, v4 offset:160
	s_waitcnt lgkmcnt(0)
	v_cmp_ne_u32_e32 vcc_lo, 0, v5
	v_cmp_le_i32_e64 s7, v5, v4
	s_and_b32 s7, vcc_lo, s7
	s_and_b32 s7, exec_lo, s7
	s_or_b32 s19, s7, s19
	s_andn2_b32 exec_lo, exec_lo, s19
	s_cbranch_execnz .LBB4_9
.LBB4_10:
	s_or_b32 exec_lo, exec_lo, s18
	v_mov_b32_e32 v3, 0
	s_barrier
	buffer_gl0_inv
	ds_read_b32 v4, v3 offset:160
	s_and_saveexec_b32 s7, s6
	s_cbranch_execz .LBB4_12
; %bb.11:
	s_lshl_b64 s[18:19], s[8:9], 2
	s_add_u32 s18, s14, s18
	s_addc_u32 s19, s15, s19
	s_waitcnt lgkmcnt(0)
	global_store_dword v3, v4, s[18:19]
.LBB4_12:
	s_or_b32 exec_lo, exec_lo, s7
	s_waitcnt lgkmcnt(0)
	v_cmp_ne_u32_e32 vcc_lo, 0, v4
	s_mov_b32 s7, 0
	s_cbranch_vccnz .LBB4_32
; %bb.13:
	s_clause 0x3
	buffer_load_dword v19, v24, s[0:3], 0 offen
	buffer_load_dword v20, v24, s[0:3], 0 offen offset:4
	buffer_load_dword v21, v24, s[0:3], 0 offen offset:8
	;; [unrolled: 1-line block ×3, first 2 shown]
                                        ; implicit-def: $vgpr17_vgpr18
                                        ; implicit-def: $vgpr5_vgpr6
	s_waitcnt vmcnt(0)
	v_cmp_ngt_f64_e64 s7, |v[19:20]|, |v[21:22]|
	s_and_saveexec_b32 s18, s7
	s_xor_b32 s7, exec_lo, s18
	s_cbranch_execz .LBB4_15
; %bb.14:
	v_div_scale_f64 v[3:4], null, v[21:22], v[21:22], v[19:20]
	v_div_scale_f64 v[25:26], vcc_lo, v[19:20], v[21:22], v[19:20]
	v_rcp_f64_e32 v[5:6], v[3:4]
	v_fma_f64 v[17:18], -v[3:4], v[5:6], 1.0
	v_fma_f64 v[5:6], v[5:6], v[17:18], v[5:6]
	v_fma_f64 v[17:18], -v[3:4], v[5:6], 1.0
	v_fma_f64 v[5:6], v[5:6], v[17:18], v[5:6]
	v_mul_f64 v[17:18], v[25:26], v[5:6]
	v_fma_f64 v[3:4], -v[3:4], v[17:18], v[25:26]
	v_div_fmas_f64 v[3:4], v[3:4], v[5:6], v[17:18]
	v_div_fixup_f64 v[3:4], v[3:4], v[21:22], v[19:20]
	v_fma_f64 v[5:6], v[19:20], v[3:4], v[21:22]
	v_div_scale_f64 v[17:18], null, v[5:6], v[5:6], 1.0
	v_div_scale_f64 v[25:26], vcc_lo, 1.0, v[5:6], 1.0
	v_rcp_f64_e32 v[19:20], v[17:18]
	v_fma_f64 v[21:22], -v[17:18], v[19:20], 1.0
	v_fma_f64 v[19:20], v[19:20], v[21:22], v[19:20]
	v_fma_f64 v[21:22], -v[17:18], v[19:20], 1.0
	v_fma_f64 v[19:20], v[19:20], v[21:22], v[19:20]
	v_mul_f64 v[21:22], v[25:26], v[19:20]
	v_fma_f64 v[17:18], -v[17:18], v[21:22], v[25:26]
	v_div_fmas_f64 v[17:18], v[17:18], v[19:20], v[21:22]
                                        ; implicit-def: $vgpr19_vgpr20
                                        ; implicit-def: $vgpr21_vgpr22
	v_div_fixup_f64 v[5:6], v[17:18], v[5:6], 1.0
	v_mul_f64 v[17:18], v[3:4], v[5:6]
	v_xor_b32_e32 v6, 0x80000000, v6
	v_xor_b32_e32 v4, 0x80000000, v18
	v_mov_b32_e32 v3, v17
.LBB4_15:
	s_andn2_saveexec_b32 s7, s7
	s_cbranch_execz .LBB4_17
; %bb.16:
	v_div_scale_f64 v[3:4], null, v[19:20], v[19:20], v[21:22]
	v_div_scale_f64 v[25:26], vcc_lo, v[21:22], v[19:20], v[21:22]
	v_rcp_f64_e32 v[5:6], v[3:4]
	v_fma_f64 v[17:18], -v[3:4], v[5:6], 1.0
	v_fma_f64 v[5:6], v[5:6], v[17:18], v[5:6]
	v_fma_f64 v[17:18], -v[3:4], v[5:6], 1.0
	v_fma_f64 v[5:6], v[5:6], v[17:18], v[5:6]
	v_mul_f64 v[17:18], v[25:26], v[5:6]
	v_fma_f64 v[3:4], -v[3:4], v[17:18], v[25:26]
	v_div_fmas_f64 v[3:4], v[3:4], v[5:6], v[17:18]
	v_div_fixup_f64 v[3:4], v[3:4], v[19:20], v[21:22]
	v_fma_f64 v[5:6], v[21:22], v[3:4], v[19:20]
	v_div_scale_f64 v[17:18], null, v[5:6], v[5:6], 1.0
	v_rcp_f64_e32 v[19:20], v[17:18]
	v_fma_f64 v[21:22], -v[17:18], v[19:20], 1.0
	v_fma_f64 v[19:20], v[19:20], v[21:22], v[19:20]
	v_fma_f64 v[21:22], -v[17:18], v[19:20], 1.0
	v_fma_f64 v[19:20], v[19:20], v[21:22], v[19:20]
	v_div_scale_f64 v[21:22], vcc_lo, 1.0, v[5:6], 1.0
	v_mul_f64 v[25:26], v[21:22], v[19:20]
	v_fma_f64 v[17:18], -v[17:18], v[25:26], v[21:22]
	v_div_fmas_f64 v[17:18], v[17:18], v[19:20], v[25:26]
	v_div_fixup_f64 v[17:18], v[17:18], v[5:6], 1.0
	v_mul_f64 v[5:6], v[3:4], -v[17:18]
	v_xor_b32_e32 v4, 0x80000000, v18
	v_mov_b32_e32 v3, v17
.LBB4_17:
	s_or_b32 exec_lo, exec_lo, s7
	v_mov_b32_e32 v22, s17
	buffer_store_dword v18, v24, s[0:3], 0 offen offset:4
	buffer_store_dword v17, v24, s[0:3], 0 offen
	buffer_store_dword v6, v24, s[0:3], 0 offen offset:12
	buffer_store_dword v5, v24, s[0:3], 0 offen offset:8
	v_xor_b32_e32 v6, 0x80000000, v6
	v_add_nc_u32_e32 v17, 0x50, v23
	s_clause 0x3
	buffer_load_dword v21, v22, s[0:3], 0 offen offset:12
	buffer_load_dword v20, v22, s[0:3], 0 offen offset:8
	;; [unrolled: 1-line block ×3, first 2 shown]
	buffer_load_dword v18, v22, s[0:3], 0 offen
	ds_write_b128 v23, v[3:6]
	s_waitcnt vmcnt(0)
	ds_write_b128 v23, v[18:21] offset:80
	s_waitcnt lgkmcnt(0)
	s_waitcnt_vscnt null, 0x0
	s_barrier
	buffer_gl0_inv
	s_and_saveexec_b32 s7, s6
	s_cbranch_execz .LBB4_19
; %bb.18:
	s_clause 0x3
	buffer_load_dword v25, v24, s[0:3], 0 offen offset:8
	buffer_load_dword v26, v24, s[0:3], 0 offen offset:12
	buffer_load_dword v27, v24, s[0:3], 0 offen
	buffer_load_dword v28, v24, s[0:3], 0 offen offset:4
	ds_read_b128 v[3:6], v17
	v_mov_b32_e32 v18, 0
	ds_read_b128 v[18:21], v18 offset:16
	s_waitcnt vmcnt(2) lgkmcnt(1)
	v_mul_f64 v[29:30], v[3:4], v[25:26]
	v_mul_f64 v[25:26], v[5:6], v[25:26]
	s_waitcnt vmcnt(0)
	v_fma_f64 v[5:6], v[5:6], v[27:28], v[29:30]
	v_fma_f64 v[3:4], v[3:4], v[27:28], -v[25:26]
	v_add_f64 v[5:6], v[5:6], 0
	v_add_f64 v[3:4], v[3:4], 0
	s_waitcnt lgkmcnt(0)
	v_mul_f64 v[25:26], v[5:6], v[20:21]
	v_mul_f64 v[20:21], v[3:4], v[20:21]
	v_fma_f64 v[3:4], v[3:4], v[18:19], -v[25:26]
	v_fma_f64 v[5:6], v[5:6], v[18:19], v[20:21]
	buffer_store_dword v3, off, s[0:3], 0 offset:16
	buffer_store_dword v4, off, s[0:3], 0 offset:20
	;; [unrolled: 1-line block ×4, first 2 shown]
.LBB4_19:
	s_or_b32 exec_lo, exec_lo, s7
	v_mov_b32_e32 v6, s16
	s_waitcnt_vscnt null, 0x0
	s_barrier
	buffer_gl0_inv
	s_mov_b32 s7, exec_lo
	s_clause 0x3
	buffer_load_dword v3, v6, s[0:3], 0 offen
	buffer_load_dword v4, v6, s[0:3], 0 offen offset:4
	buffer_load_dword v5, v6, s[0:3], 0 offen offset:8
	;; [unrolled: 1-line block ×3, first 2 shown]
	s_waitcnt vmcnt(0)
	ds_write_b128 v17, v[3:6]
	s_waitcnt lgkmcnt(0)
	s_barrier
	buffer_gl0_inv
	v_cmpx_gt_u32_e32 2, v0
	s_cbranch_execz .LBB4_23
; %bb.20:
	s_clause 0x3
	buffer_load_dword v18, v24, s[0:3], 0 offen offset:8
	buffer_load_dword v19, v24, s[0:3], 0 offen offset:12
	buffer_load_dword v20, v24, s[0:3], 0 offen
	buffer_load_dword v21, v24, s[0:3], 0 offen offset:4
	ds_read_b128 v[3:6], v17
	s_waitcnt vmcnt(2) lgkmcnt(0)
	v_mul_f64 v[24:25], v[5:6], v[18:19]
	v_mul_f64 v[18:19], v[3:4], v[18:19]
	s_waitcnt vmcnt(0)
	v_fma_f64 v[3:4], v[3:4], v[20:21], -v[24:25]
	v_fma_f64 v[5:6], v[5:6], v[20:21], v[18:19]
	v_add_f64 v[3:4], v[3:4], 0
	v_add_f64 v[5:6], v[5:6], 0
	s_and_saveexec_b32 s18, s6
	s_cbranch_execz .LBB4_22
; %bb.21:
	s_clause 0x3
	buffer_load_dword v24, off, s[0:3], 0 offset:24
	buffer_load_dword v25, off, s[0:3], 0 offset:28
	;; [unrolled: 1-line block ×4, first 2 shown]
	v_mov_b32_e32 v18, 0
	ds_read_b128 v[18:21], v18 offset:96
	s_waitcnt vmcnt(2) lgkmcnt(0)
	v_mul_f64 v[28:29], v[18:19], v[24:25]
	v_mul_f64 v[24:25], v[20:21], v[24:25]
	s_waitcnt vmcnt(0)
	v_fma_f64 v[20:21], v[20:21], v[26:27], v[28:29]
	v_fma_f64 v[18:19], v[18:19], v[26:27], -v[24:25]
	v_add_f64 v[5:6], v[5:6], v[20:21]
	v_add_f64 v[3:4], v[3:4], v[18:19]
.LBB4_22:
	s_or_b32 exec_lo, exec_lo, s18
	v_mov_b32_e32 v18, 0
	ds_read_b128 v[18:21], v18 offset:32
	s_waitcnt lgkmcnt(0)
	v_mul_f64 v[24:25], v[5:6], v[20:21]
	v_mul_f64 v[20:21], v[3:4], v[20:21]
	v_fma_f64 v[3:4], v[3:4], v[18:19], -v[24:25]
	v_fma_f64 v[5:6], v[5:6], v[18:19], v[20:21]
	buffer_store_dword v4, off, s[0:3], 0 offset:36
	buffer_store_dword v3, off, s[0:3], 0 offset:32
	;; [unrolled: 1-line block ×4, first 2 shown]
.LBB4_23:
	s_or_b32 exec_lo, exec_lo, s7
	v_mov_b32_e32 v6, s13
	s_waitcnt_vscnt null, 0x0
	s_barrier
	buffer_gl0_inv
	v_add_nc_u32_e32 v18, -1, v0
	s_clause 0x3
	buffer_load_dword v3, v6, s[0:3], 0 offen
	buffer_load_dword v4, v6, s[0:3], 0 offen offset:4
	buffer_load_dword v5, v6, s[0:3], 0 offen offset:8
	;; [unrolled: 1-line block ×3, first 2 shown]
	s_mov_b32 s6, exec_lo
	s_waitcnt vmcnt(0)
	ds_write_b128 v17, v[3:6]
	s_waitcnt lgkmcnt(0)
	s_barrier
	buffer_gl0_inv
	v_cmpx_gt_u32_e32 3, v0
	s_cbranch_execz .LBB4_27
; %bb.24:
	v_mov_b32_e32 v3, 0
	v_mov_b32_e32 v5, 0
	v_add_nc_u32_e32 v19, -1, v0
	v_add_nc_u32_e32 v20, 0x50, v23
	v_mov_b32_e32 v4, 0
	v_mov_b32_e32 v6, 0
	;; [unrolled: 1-line block ×3, first 2 shown]
	s_mov_b32 s7, 0
	.p2align	6
.LBB4_25:                               ; =>This Inner Loop Header: Depth=1
	s_clause 0x3
	buffer_load_dword v28, v21, s[0:3], 0 offen offset:8
	buffer_load_dword v29, v21, s[0:3], 0 offen offset:12
	buffer_load_dword v30, v21, s[0:3], 0 offen
	buffer_load_dword v31, v21, s[0:3], 0 offen offset:4
	ds_read_b128 v[24:27], v20
	v_add_nc_u32_e32 v19, 1, v19
	v_add_nc_u32_e32 v20, 16, v20
	;; [unrolled: 1-line block ×3, first 2 shown]
	v_cmp_lt_u32_e32 vcc_lo, 1, v19
	s_or_b32 s7, vcc_lo, s7
	s_waitcnt vmcnt(2) lgkmcnt(0)
	v_mul_f64 v[32:33], v[26:27], v[28:29]
	v_mul_f64 v[28:29], v[24:25], v[28:29]
	s_waitcnt vmcnt(0)
	v_fma_f64 v[24:25], v[24:25], v[30:31], -v[32:33]
	v_fma_f64 v[26:27], v[26:27], v[30:31], v[28:29]
	v_add_f64 v[5:6], v[5:6], v[24:25]
	v_add_f64 v[3:4], v[3:4], v[26:27]
	s_andn2_b32 exec_lo, exec_lo, s7
	s_cbranch_execnz .LBB4_25
; %bb.26:
	s_or_b32 exec_lo, exec_lo, s7
	v_mov_b32_e32 v19, 0
	ds_read_b128 v[19:22], v19 offset:48
	s_waitcnt lgkmcnt(0)
	v_mul_f64 v[24:25], v[3:4], v[21:22]
	v_mul_f64 v[21:22], v[5:6], v[21:22]
	v_fma_f64 v[5:6], v[5:6], v[19:20], -v[24:25]
	v_fma_f64 v[3:4], v[3:4], v[19:20], v[21:22]
	buffer_store_dword v6, off, s[0:3], 0 offset:52
	buffer_store_dword v5, off, s[0:3], 0 offset:48
	;; [unrolled: 1-line block ×4, first 2 shown]
.LBB4_27:
	s_or_b32 exec_lo, exec_lo, s6
	v_mov_b32_e32 v6, s12
	s_waitcnt_vscnt null, 0x0
	s_barrier
	buffer_gl0_inv
	s_mov_b32 s6, exec_lo
	s_clause 0x3
	buffer_load_dword v3, v6, s[0:3], 0 offen
	buffer_load_dword v4, v6, s[0:3], 0 offen offset:4
	buffer_load_dword v5, v6, s[0:3], 0 offen offset:8
	;; [unrolled: 1-line block ×3, first 2 shown]
	s_waitcnt vmcnt(0)
	ds_write_b128 v17, v[3:6]
	s_waitcnt lgkmcnt(0)
	s_barrier
	buffer_gl0_inv
	v_cmpx_ne_u32_e32 4, v0
	s_cbranch_execz .LBB4_31
; %bb.28:
	v_mov_b32_e32 v3, 0
	v_mov_b32_e32 v5, 0
	;; [unrolled: 1-line block ×5, first 2 shown]
	s_mov_b32 s7, 0
	.p2align	6
.LBB4_29:                               ; =>This Inner Loop Header: Depth=1
	s_clause 0x3
	buffer_load_dword v24, v19, s[0:3], 0 offen offset:8
	buffer_load_dword v25, v19, s[0:3], 0 offen offset:12
	buffer_load_dword v26, v19, s[0:3], 0 offen
	buffer_load_dword v27, v19, s[0:3], 0 offen offset:4
	ds_read_b128 v[20:23], v17
	v_add_nc_u32_e32 v18, 1, v18
	v_add_nc_u32_e32 v17, 16, v17
	;; [unrolled: 1-line block ×3, first 2 shown]
	v_cmp_lt_u32_e32 vcc_lo, 2, v18
	s_or_b32 s7, vcc_lo, s7
	s_waitcnt vmcnt(2) lgkmcnt(0)
	v_mul_f64 v[28:29], v[22:23], v[24:25]
	v_mul_f64 v[24:25], v[20:21], v[24:25]
	s_waitcnt vmcnt(0)
	v_fma_f64 v[20:21], v[20:21], v[26:27], -v[28:29]
	v_fma_f64 v[22:23], v[22:23], v[26:27], v[24:25]
	v_add_f64 v[5:6], v[5:6], v[20:21]
	v_add_f64 v[3:4], v[3:4], v[22:23]
	s_andn2_b32 exec_lo, exec_lo, s7
	s_cbranch_execnz .LBB4_29
; %bb.30:
	s_or_b32 exec_lo, exec_lo, s7
	v_mov_b32_e32 v17, 0
	ds_read_b128 v[17:20], v17 offset:64
	s_waitcnt lgkmcnt(0)
	v_mul_f64 v[21:22], v[3:4], v[19:20]
	v_mul_f64 v[19:20], v[5:6], v[19:20]
	v_fma_f64 v[5:6], v[5:6], v[17:18], -v[21:22]
	v_fma_f64 v[3:4], v[3:4], v[17:18], v[19:20]
	buffer_store_dword v6, off, s[0:3], 0 offset:68
	buffer_store_dword v5, off, s[0:3], 0 offset:64
	;; [unrolled: 1-line block ×4, first 2 shown]
.LBB4_31:
	s_or_b32 exec_lo, exec_lo, s6
	s_mov_b32 s7, -1
	s_waitcnt_vscnt null, 0x0
	s_barrier
	buffer_gl0_inv
.LBB4_32:
	s_and_b32 vcc_lo, exec_lo, s7
	s_cbranch_vccz .LBB4_34
; %bb.33:
	s_lshl_b64 s[6:7], s[8:9], 2
	v_mov_b32_e32 v3, 0
	s_add_u32 s6, s14, s6
	s_addc_u32 s7, s15, s7
	global_load_dword v3, v3, s[6:7]
	s_waitcnt vmcnt(0)
	v_cmp_ne_u32_e32 vcc_lo, 0, v3
	s_cbranch_vccz .LBB4_35
.LBB4_34:
	s_endpgm
.LBB4_35:
	v_lshl_add_u32 v3, v0, 4, 0x50
	s_mov_b32 s6, exec_lo
	v_cmpx_eq_u32_e32 4, v0
	s_cbranch_execz .LBB4_37
; %bb.36:
	v_mov_b32_e32 v4, s13
	s_clause 0x3
	buffer_load_dword v17, v4, s[0:3], 0 offen
	buffer_load_dword v18, v4, s[0:3], 0 offen offset:4
	buffer_load_dword v19, v4, s[0:3], 0 offen offset:8
	;; [unrolled: 1-line block ×3, first 2 shown]
	v_mov_b32_e32 v4, 0
	buffer_store_dword v4, off, s[0:3], 0 offset:48
	buffer_store_dword v4, off, s[0:3], 0 offset:52
	;; [unrolled: 1-line block ×4, first 2 shown]
	s_waitcnt vmcnt(0)
	ds_write_b128 v3, v[17:20]
.LBB4_37:
	s_or_b32 exec_lo, exec_lo, s6
	s_waitcnt lgkmcnt(0)
	s_waitcnt_vscnt null, 0x0
	s_barrier
	buffer_gl0_inv
	s_clause 0x7
	buffer_load_dword v5, off, s[0:3], 0 offset:72
	buffer_load_dword v6, off, s[0:3], 0 offset:76
	;; [unrolled: 1-line block ×8, first 2 shown]
	v_mov_b32_e32 v4, 0
	s_mov_b32 s6, exec_lo
	ds_read_b128 v[17:20], v4 offset:144
	s_waitcnt vmcnt(6) lgkmcnt(0)
	v_mul_f64 v[27:28], v[19:20], v[5:6]
	v_mul_f64 v[5:6], v[17:18], v[5:6]
	s_waitcnt vmcnt(4)
	v_fma_f64 v[17:18], v[17:18], v[21:22], -v[27:28]
	v_fma_f64 v[5:6], v[19:20], v[21:22], v[5:6]
	v_add_f64 v[17:18], v[17:18], 0
	v_add_f64 v[5:6], v[5:6], 0
	s_waitcnt vmcnt(2)
	v_add_f64 v[17:18], v[23:24], -v[17:18]
	s_waitcnt vmcnt(0)
	v_add_f64 v[5:6], v[25:26], -v[5:6]
	buffer_store_dword v17, off, s[0:3], 0 offset:48
	buffer_store_dword v18, off, s[0:3], 0 offset:52
	;; [unrolled: 1-line block ×4, first 2 shown]
	v_cmpx_lt_u32_e32 2, v0
	s_cbranch_execz .LBB4_39
; %bb.38:
	v_mov_b32_e32 v5, s16
	s_clause 0x3
	buffer_load_dword v17, v5, s[0:3], 0 offen
	buffer_load_dword v18, v5, s[0:3], 0 offen offset:4
	buffer_load_dword v19, v5, s[0:3], 0 offen offset:8
	;; [unrolled: 1-line block ×3, first 2 shown]
	buffer_store_dword v4, off, s[0:3], 0 offset:32
	buffer_store_dword v4, off, s[0:3], 0 offset:36
	;; [unrolled: 1-line block ×4, first 2 shown]
	s_waitcnt vmcnt(0)
	ds_write_b128 v3, v[17:20]
.LBB4_39:
	s_or_b32 exec_lo, exec_lo, s6
	s_waitcnt lgkmcnt(0)
	s_waitcnt_vscnt null, 0x0
	s_barrier
	buffer_gl0_inv
	s_clause 0xb
	buffer_load_dword v5, off, s[0:3], 0 offset:56
	buffer_load_dword v6, off, s[0:3], 0 offset:60
	;; [unrolled: 1-line block ×12, first 2 shown]
	ds_read_b128 v[17:20], v4 offset:128
	ds_read_b128 v[21:24], v4 offset:144
	s_mov_b32 s6, exec_lo
	s_waitcnt vmcnt(10) lgkmcnt(1)
	v_mul_f64 v[35:36], v[19:20], v[5:6]
	v_mul_f64 v[4:5], v[17:18], v[5:6]
	s_waitcnt vmcnt(8) lgkmcnt(0)
	v_mul_f64 v[37:38], v[23:24], v[25:26]
	v_mul_f64 v[25:26], v[21:22], v[25:26]
	s_waitcnt vmcnt(6)
	v_fma_f64 v[17:18], v[17:18], v[27:28], -v[35:36]
	v_fma_f64 v[4:5], v[19:20], v[27:28], v[4:5]
	s_waitcnt vmcnt(4)
	v_fma_f64 v[19:20], v[21:22], v[29:30], -v[37:38]
	v_fma_f64 v[21:22], v[23:24], v[29:30], v[25:26]
	v_add_f64 v[17:18], v[17:18], 0
	v_add_f64 v[4:5], v[4:5], 0
	;; [unrolled: 1-line block ×4, first 2 shown]
	s_waitcnt vmcnt(2)
	v_add_f64 v[17:18], v[31:32], -v[17:18]
	s_waitcnt vmcnt(0)
	v_add_f64 v[4:5], v[33:34], -v[4:5]
	buffer_store_dword v17, off, s[0:3], 0 offset:32
	buffer_store_dword v18, off, s[0:3], 0 offset:36
	;; [unrolled: 1-line block ×4, first 2 shown]
	v_cmpx_lt_u32_e32 1, v0
	s_cbranch_execz .LBB4_41
; %bb.40:
	v_mov_b32_e32 v4, s17
	s_clause 0x3
	buffer_load_dword v17, v4, s[0:3], 0 offen
	buffer_load_dword v18, v4, s[0:3], 0 offen offset:4
	buffer_load_dword v19, v4, s[0:3], 0 offen offset:8
	;; [unrolled: 1-line block ×3, first 2 shown]
	v_mov_b32_e32 v4, 0
	buffer_store_dword v4, off, s[0:3], 0 offset:16
	buffer_store_dword v4, off, s[0:3], 0 offset:20
	;; [unrolled: 1-line block ×4, first 2 shown]
	s_waitcnt vmcnt(0)
	ds_write_b128 v3, v[17:20]
.LBB4_41:
	s_or_b32 exec_lo, exec_lo, s6
	s_waitcnt lgkmcnt(0)
	s_waitcnt_vscnt null, 0x0
	s_barrier
	buffer_gl0_inv
	s_clause 0xf
	buffer_load_dword v5, off, s[0:3], 0 offset:40
	buffer_load_dword v6, off, s[0:3], 0 offset:44
	;; [unrolled: 1-line block ×16, first 2 shown]
	v_mov_b32_e32 v4, 0
	ds_read_b128 v[17:20], v4 offset:112
	ds_read_b128 v[21:24], v4 offset:128
	;; [unrolled: 1-line block ×3, first 2 shown]
	s_mov_b32 s6, exec_lo
	s_waitcnt vmcnt(14) lgkmcnt(2)
	v_mul_f64 v[43:44], v[19:20], v[5:6]
	v_mul_f64 v[5:6], v[17:18], v[5:6]
	s_waitcnt vmcnt(12) lgkmcnt(1)
	v_mul_f64 v[45:46], v[23:24], v[29:30]
	v_mul_f64 v[29:30], v[21:22], v[29:30]
	s_waitcnt vmcnt(10)
	v_fma_f64 v[17:18], v[17:18], v[31:32], -v[43:44]
	v_fma_f64 v[5:6], v[19:20], v[31:32], v[5:6]
	s_waitcnt vmcnt(8) lgkmcnt(0)
	v_mul_f64 v[31:32], v[27:28], v[33:34]
	s_waitcnt vmcnt(6)
	v_fma_f64 v[21:22], v[21:22], v[35:36], -v[45:46]
	v_mul_f64 v[19:20], v[25:26], v[33:34]
	v_fma_f64 v[23:24], v[23:24], v[35:36], v[29:30]
	v_add_f64 v[17:18], v[17:18], 0
	v_add_f64 v[5:6], v[5:6], 0
	s_waitcnt vmcnt(4)
	v_fma_f64 v[25:26], v[25:26], v[37:38], -v[31:32]
	v_fma_f64 v[19:20], v[27:28], v[37:38], v[19:20]
	v_add_f64 v[17:18], v[17:18], v[21:22]
	v_add_f64 v[5:6], v[5:6], v[23:24]
	;; [unrolled: 1-line block ×4, first 2 shown]
	s_waitcnt vmcnt(2)
	v_add_f64 v[17:18], v[39:40], -v[17:18]
	s_waitcnt vmcnt(0)
	v_add_f64 v[5:6], v[41:42], -v[5:6]
	buffer_store_dword v17, off, s[0:3], 0 offset:16
	buffer_store_dword v18, off, s[0:3], 0 offset:20
	;; [unrolled: 1-line block ×4, first 2 shown]
	v_cmpx_ne_u32_e32 0, v0
	s_cbranch_execz .LBB4_43
; %bb.42:
	s_clause 0x3
	buffer_load_dword v17, off, s[0:3], 0
	buffer_load_dword v18, off, s[0:3], 0 offset:4
	buffer_load_dword v19, off, s[0:3], 0 offset:8
	;; [unrolled: 1-line block ×3, first 2 shown]
	buffer_store_dword v4, off, s[0:3], 0
	buffer_store_dword v4, off, s[0:3], 0 offset:4
	buffer_store_dword v4, off, s[0:3], 0 offset:8
	;; [unrolled: 1-line block ×3, first 2 shown]
	s_waitcnt vmcnt(0)
	ds_write_b128 v3, v[17:20]
.LBB4_43:
	s_or_b32 exec_lo, exec_lo, s6
	s_waitcnt lgkmcnt(0)
	s_waitcnt_vscnt null, 0x0
	s_barrier
	buffer_gl0_inv
	s_clause 0x13
	buffer_load_dword v5, off, s[0:3], 0 offset:24
	buffer_load_dword v6, off, s[0:3], 0 offset:28
	;; [unrolled: 1-line block ×16, first 2 shown]
	buffer_load_dword v43, off, s[0:3], 0
	buffer_load_dword v44, off, s[0:3], 0 offset:4
	buffer_load_dword v45, off, s[0:3], 0 offset:8
	;; [unrolled: 1-line block ×3, first 2 shown]
	ds_read_b128 v[17:20], v4 offset:96
	ds_read_b128 v[21:24], v4 offset:112
	;; [unrolled: 1-line block ×3, first 2 shown]
	s_and_b32 vcc_lo, exec_lo, s24
	s_waitcnt vmcnt(18) lgkmcnt(2)
	v_mul_f64 v[47:48], v[19:20], v[5:6]
	v_mul_f64 v[5:6], v[17:18], v[5:6]
	s_waitcnt vmcnt(16) lgkmcnt(1)
	v_mul_f64 v[49:50], v[23:24], v[29:30]
	v_mul_f64 v[29:30], v[21:22], v[29:30]
	s_waitcnt vmcnt(14)
	v_fma_f64 v[17:18], v[17:18], v[31:32], -v[47:48]
	v_fma_f64 v[19:20], v[19:20], v[31:32], v[5:6]
	s_waitcnt vmcnt(12) lgkmcnt(0)
	v_mul_f64 v[31:32], v[25:26], v[33:34]
	v_mul_f64 v[33:34], v[27:28], v[33:34]
	s_waitcnt vmcnt(10)
	v_fma_f64 v[21:22], v[21:22], v[35:36], -v[49:50]
	ds_read_b128 v[3:6], v4 offset:144
	v_fma_f64 v[23:24], v[23:24], v[35:36], v[29:30]
	v_add_f64 v[17:18], v[17:18], 0
	v_add_f64 v[19:20], v[19:20], 0
	s_waitcnt vmcnt(8) lgkmcnt(0)
	v_mul_f64 v[35:36], v[5:6], v[37:38]
	s_waitcnt vmcnt(6)
	v_fma_f64 v[25:26], v[25:26], v[39:40], -v[33:34]
	v_mul_f64 v[29:30], v[3:4], v[37:38]
	v_add_f64 v[17:18], v[17:18], v[21:22]
	v_fma_f64 v[21:22], v[27:28], v[39:40], v[31:32]
	v_add_f64 v[19:20], v[19:20], v[23:24]
	s_waitcnt vmcnt(4)
	v_fma_f64 v[3:4], v[3:4], v[41:42], -v[35:36]
	v_fma_f64 v[5:6], v[5:6], v[41:42], v[29:30]
	v_add_f64 v[17:18], v[17:18], v[25:26]
	v_add_f64 v[19:20], v[19:20], v[21:22]
	;; [unrolled: 1-line block ×4, first 2 shown]
	s_waitcnt vmcnt(2)
	v_add_f64 v[3:4], v[43:44], -v[3:4]
	s_waitcnt vmcnt(0)
	v_add_f64 v[5:6], v[45:46], -v[5:6]
	buffer_store_dword v3, off, s[0:3], 0
	buffer_store_dword v4, off, s[0:3], 0 offset:4
	buffer_store_dword v5, off, s[0:3], 0 offset:8
	;; [unrolled: 1-line block ×3, first 2 shown]
	s_cbranch_vccz .LBB4_52
; %bb.44:
	v_mov_b32_e32 v3, 0
	s_load_dwordx2 s[4:5], s[4:5], 0x4
	global_load_dword v4, v3, s[10:11] offset:12
	s_waitcnt lgkmcnt(0)
	s_lshr_b32 s4, s4, 16
	v_mul_u32_u24_e32 v5, s5, v1
	s_mul_i32 s4, s4, s5
	v_mul_u32_u24_e32 v0, s4, v0
	v_add3_u32 v0, v0, v5, v2
	v_lshl_add_u32 v0, v0, 4, 0xa8
	s_waitcnt vmcnt(0)
	v_add_nc_u32_e32 v1, -1, v4
	v_cmp_ne_u32_e32 vcc_lo, 3, v1
	s_cbranch_vccz .LBB4_46
; %bb.45:
	v_lshlrev_b32_e32 v1, 4, v1
	v_mov_b32_e32 v6, s13
	v_mov_b32_e32 v17, v1
	s_clause 0x7
	buffer_load_dword v1, v6, s[0:3], 0 offen
	buffer_load_dword v2, v6, s[0:3], 0 offen offset:4
	buffer_load_dword v4, v6, s[0:3], 0 offen offset:8
	;; [unrolled: 1-line block ×3, first 2 shown]
	buffer_load_dword v18, v17, s[0:3], 0 offen
	buffer_load_dword v19, v17, s[0:3], 0 offen offset:4
	buffer_load_dword v20, v17, s[0:3], 0 offen offset:8
	;; [unrolled: 1-line block ×3, first 2 shown]
	s_waitcnt vmcnt(4)
	ds_write2_b64 v0, v[1:2], v[4:5] offset1:1
	s_waitcnt vmcnt(3)
	buffer_store_dword v18, v6, s[0:3], 0 offen
	s_waitcnt vmcnt(2)
	buffer_store_dword v19, v6, s[0:3], 0 offen offset:4
	s_waitcnt vmcnt(1)
	buffer_store_dword v20, v6, s[0:3], 0 offen offset:8
	s_waitcnt vmcnt(0)
	buffer_store_dword v21, v6, s[0:3], 0 offen offset:12
	buffer_store_dword v5, v17, s[0:3], 0 offen offset:12
	buffer_store_dword v4, v17, s[0:3], 0 offen offset:8
	;; [unrolled: 1-line block ×3, first 2 shown]
	buffer_store_dword v1, v17, s[0:3], 0 offen
.LBB4_46:
	global_load_dword v1, v3, s[10:11] offset:8
	s_waitcnt vmcnt(0)
	v_add_nc_u32_e32 v1, -1, v1
	v_cmp_eq_u32_e32 vcc_lo, 2, v1
	s_cbranch_vccnz .LBB4_48
; %bb.47:
	v_lshlrev_b32_e32 v1, 4, v1
	v_mov_b32_e32 v5, s16
	v_mov_b32_e32 v6, v1
	s_clause 0x7
	buffer_load_dword v1, v5, s[0:3], 0 offen
	buffer_load_dword v2, v5, s[0:3], 0 offen offset:4
	buffer_load_dword v3, v5, s[0:3], 0 offen offset:8
	;; [unrolled: 1-line block ×3, first 2 shown]
	buffer_load_dword v17, v6, s[0:3], 0 offen
	buffer_load_dword v18, v6, s[0:3], 0 offen offset:4
	buffer_load_dword v19, v6, s[0:3], 0 offen offset:8
	;; [unrolled: 1-line block ×3, first 2 shown]
	s_waitcnt vmcnt(4)
	ds_write2_b64 v0, v[1:2], v[3:4] offset1:1
	s_waitcnt vmcnt(3)
	buffer_store_dword v17, v5, s[0:3], 0 offen
	s_waitcnt vmcnt(2)
	buffer_store_dword v18, v5, s[0:3], 0 offen offset:4
	s_waitcnt vmcnt(1)
	buffer_store_dword v19, v5, s[0:3], 0 offen offset:8
	;; [unrolled: 2-line block ×3, first 2 shown]
	buffer_store_dword v4, v6, s[0:3], 0 offen offset:12
	buffer_store_dword v3, v6, s[0:3], 0 offen offset:8
	;; [unrolled: 1-line block ×3, first 2 shown]
	buffer_store_dword v1, v6, s[0:3], 0 offen
.LBB4_48:
	v_mov_b32_e32 v1, 0
	global_load_dword v2, v1, s[10:11] offset:4
	s_waitcnt vmcnt(0)
	v_add_nc_u32_e32 v2, -1, v2
	v_cmp_eq_u32_e32 vcc_lo, 1, v2
	s_cbranch_vccnz .LBB4_50
; %bb.49:
	v_lshlrev_b32_e32 v2, 4, v2
	v_mov_b32_e32 v6, s17
	v_mov_b32_e32 v17, v2
	s_clause 0x7
	buffer_load_dword v2, v6, s[0:3], 0 offen
	buffer_load_dword v3, v6, s[0:3], 0 offen offset:4
	buffer_load_dword v4, v6, s[0:3], 0 offen offset:8
	;; [unrolled: 1-line block ×3, first 2 shown]
	buffer_load_dword v18, v17, s[0:3], 0 offen
	buffer_load_dword v19, v17, s[0:3], 0 offen offset:4
	buffer_load_dword v20, v17, s[0:3], 0 offen offset:8
	;; [unrolled: 1-line block ×3, first 2 shown]
	s_waitcnt vmcnt(4)
	ds_write2_b64 v0, v[2:3], v[4:5] offset1:1
	s_waitcnt vmcnt(3)
	buffer_store_dword v18, v6, s[0:3], 0 offen
	s_waitcnt vmcnt(2)
	buffer_store_dword v19, v6, s[0:3], 0 offen offset:4
	s_waitcnt vmcnt(1)
	buffer_store_dword v20, v6, s[0:3], 0 offen offset:8
	;; [unrolled: 2-line block ×3, first 2 shown]
	buffer_store_dword v5, v17, s[0:3], 0 offen offset:12
	buffer_store_dword v4, v17, s[0:3], 0 offen offset:8
	;; [unrolled: 1-line block ×3, first 2 shown]
	buffer_store_dword v2, v17, s[0:3], 0 offen
.LBB4_50:
	global_load_dword v1, v1, s[10:11]
	s_waitcnt vmcnt(0)
	v_add_nc_u32_e32 v1, -1, v1
	v_cmp_eq_u32_e32 vcc_lo, 0, v1
	s_cbranch_vccnz .LBB4_52
; %bb.51:
	v_lshlrev_b32_e32 v1, 4, v1
	v_mov_b32_e32 v5, v1
	s_clause 0x7
	buffer_load_dword v1, off, s[0:3], 0
	buffer_load_dword v2, off, s[0:3], 0 offset:4
	buffer_load_dword v3, off, s[0:3], 0 offset:8
	;; [unrolled: 1-line block ×3, first 2 shown]
	buffer_load_dword v6, v5, s[0:3], 0 offen
	buffer_load_dword v17, v5, s[0:3], 0 offen offset:4
	buffer_load_dword v18, v5, s[0:3], 0 offen offset:8
	;; [unrolled: 1-line block ×3, first 2 shown]
	s_waitcnt vmcnt(4)
	ds_write2_b64 v0, v[1:2], v[3:4] offset1:1
	s_waitcnt vmcnt(3)
	buffer_store_dword v6, off, s[0:3], 0
	s_waitcnt vmcnt(2)
	buffer_store_dword v17, off, s[0:3], 0 offset:4
	s_waitcnt vmcnt(1)
	buffer_store_dword v18, off, s[0:3], 0 offset:8
	;; [unrolled: 2-line block ×3, first 2 shown]
	buffer_store_dword v4, v5, s[0:3], 0 offen offset:12
	buffer_store_dword v3, v5, s[0:3], 0 offen offset:8
	;; [unrolled: 1-line block ×3, first 2 shown]
	buffer_store_dword v1, v5, s[0:3], 0 offen
.LBB4_52:
	v_mov_b32_e32 v5, s16
	v_mov_b32_e32 v4, s17
	s_clause 0x7
	buffer_load_dword v0, off, s[0:3], 0
	buffer_load_dword v1, off, s[0:3], 0 offset:4
	buffer_load_dword v2, off, s[0:3], 0 offset:8
	;; [unrolled: 1-line block ×3, first 2 shown]
	buffer_load_dword v17, v4, s[0:3], 0 offen
	buffer_load_dword v18, v4, s[0:3], 0 offen offset:4
	buffer_load_dword v19, v4, s[0:3], 0 offen offset:8
	;; [unrolled: 1-line block ×3, first 2 shown]
	v_mov_b32_e32 v4, s13
	v_mov_b32_e32 v6, s12
	s_clause 0xb
	buffer_load_dword v21, v5, s[0:3], 0 offen
	buffer_load_dword v22, v5, s[0:3], 0 offen offset:4
	buffer_load_dword v23, v5, s[0:3], 0 offen offset:8
	buffer_load_dword v24, v5, s[0:3], 0 offen offset:12
	buffer_load_dword v25, v4, s[0:3], 0 offen
	buffer_load_dword v26, v4, s[0:3], 0 offen offset:4
	buffer_load_dword v27, v4, s[0:3], 0 offen offset:8
	buffer_load_dword v28, v4, s[0:3], 0 offen offset:12
	;; [unrolled: 4-line block ×3, first 2 shown]
	s_waitcnt vmcnt(16)
	global_store_dwordx4 v[7:8], v[0:3], off
	s_waitcnt vmcnt(12)
	global_store_dwordx4 v[9:10], v[17:20], off
	;; [unrolled: 2-line block ×5, first 2 shown]
	s_endpgm
	.section	.rodata,"a",@progbits
	.p2align	6, 0x0
	.amdhsa_kernel _ZN9rocsolver6v33100L18getri_kernel_smallILi5E19rocblas_complex_numIdEPS3_EEvT1_iilPiilS6_bb
		.amdhsa_group_segment_fixed_size 1192
		.amdhsa_private_segment_fixed_size 96
		.amdhsa_kernarg_size 60
		.amdhsa_user_sgpr_count 8
		.amdhsa_user_sgpr_private_segment_buffer 1
		.amdhsa_user_sgpr_dispatch_ptr 1
		.amdhsa_user_sgpr_queue_ptr 0
		.amdhsa_user_sgpr_kernarg_segment_ptr 1
		.amdhsa_user_sgpr_dispatch_id 0
		.amdhsa_user_sgpr_flat_scratch_init 0
		.amdhsa_user_sgpr_private_segment_size 0
		.amdhsa_wavefront_size32 1
		.amdhsa_uses_dynamic_stack 0
		.amdhsa_system_sgpr_private_segment_wavefront_offset 1
		.amdhsa_system_sgpr_workgroup_id_x 1
		.amdhsa_system_sgpr_workgroup_id_y 0
		.amdhsa_system_sgpr_workgroup_id_z 0
		.amdhsa_system_sgpr_workgroup_info 0
		.amdhsa_system_vgpr_workitem_id 2
		.amdhsa_next_free_vgpr 51
		.amdhsa_next_free_sgpr 25
		.amdhsa_reserve_vcc 1
		.amdhsa_reserve_flat_scratch 0
		.amdhsa_float_round_mode_32 0
		.amdhsa_float_round_mode_16_64 0
		.amdhsa_float_denorm_mode_32 3
		.amdhsa_float_denorm_mode_16_64 3
		.amdhsa_dx10_clamp 1
		.amdhsa_ieee_mode 1
		.amdhsa_fp16_overflow 0
		.amdhsa_workgroup_processor_mode 1
		.amdhsa_memory_ordered 1
		.amdhsa_forward_progress 1
		.amdhsa_shared_vgpr_count 0
		.amdhsa_exception_fp_ieee_invalid_op 0
		.amdhsa_exception_fp_denorm_src 0
		.amdhsa_exception_fp_ieee_div_zero 0
		.amdhsa_exception_fp_ieee_overflow 0
		.amdhsa_exception_fp_ieee_underflow 0
		.amdhsa_exception_fp_ieee_inexact 0
		.amdhsa_exception_int_div_zero 0
	.end_amdhsa_kernel
	.section	.text._ZN9rocsolver6v33100L18getri_kernel_smallILi5E19rocblas_complex_numIdEPS3_EEvT1_iilPiilS6_bb,"axG",@progbits,_ZN9rocsolver6v33100L18getri_kernel_smallILi5E19rocblas_complex_numIdEPS3_EEvT1_iilPiilS6_bb,comdat
.Lfunc_end4:
	.size	_ZN9rocsolver6v33100L18getri_kernel_smallILi5E19rocblas_complex_numIdEPS3_EEvT1_iilPiilS6_bb, .Lfunc_end4-_ZN9rocsolver6v33100L18getri_kernel_smallILi5E19rocblas_complex_numIdEPS3_EEvT1_iilPiilS6_bb
                                        ; -- End function
	.set _ZN9rocsolver6v33100L18getri_kernel_smallILi5E19rocblas_complex_numIdEPS3_EEvT1_iilPiilS6_bb.num_vgpr, 51
	.set _ZN9rocsolver6v33100L18getri_kernel_smallILi5E19rocblas_complex_numIdEPS3_EEvT1_iilPiilS6_bb.num_agpr, 0
	.set _ZN9rocsolver6v33100L18getri_kernel_smallILi5E19rocblas_complex_numIdEPS3_EEvT1_iilPiilS6_bb.numbered_sgpr, 25
	.set _ZN9rocsolver6v33100L18getri_kernel_smallILi5E19rocblas_complex_numIdEPS3_EEvT1_iilPiilS6_bb.num_named_barrier, 0
	.set _ZN9rocsolver6v33100L18getri_kernel_smallILi5E19rocblas_complex_numIdEPS3_EEvT1_iilPiilS6_bb.private_seg_size, 96
	.set _ZN9rocsolver6v33100L18getri_kernel_smallILi5E19rocblas_complex_numIdEPS3_EEvT1_iilPiilS6_bb.uses_vcc, 1
	.set _ZN9rocsolver6v33100L18getri_kernel_smallILi5E19rocblas_complex_numIdEPS3_EEvT1_iilPiilS6_bb.uses_flat_scratch, 0
	.set _ZN9rocsolver6v33100L18getri_kernel_smallILi5E19rocblas_complex_numIdEPS3_EEvT1_iilPiilS6_bb.has_dyn_sized_stack, 0
	.set _ZN9rocsolver6v33100L18getri_kernel_smallILi5E19rocblas_complex_numIdEPS3_EEvT1_iilPiilS6_bb.has_recursion, 0
	.set _ZN9rocsolver6v33100L18getri_kernel_smallILi5E19rocblas_complex_numIdEPS3_EEvT1_iilPiilS6_bb.has_indirect_call, 0
	.section	.AMDGPU.csdata,"",@progbits
; Kernel info:
; codeLenInByte = 5896
; TotalNumSgprs: 27
; NumVgprs: 51
; ScratchSize: 96
; MemoryBound: 0
; FloatMode: 240
; IeeeMode: 1
; LDSByteSize: 1192 bytes/workgroup (compile time only)
; SGPRBlocks: 0
; VGPRBlocks: 6
; NumSGPRsForWavesPerEU: 27
; NumVGPRsForWavesPerEU: 51
; Occupancy: 16
; WaveLimiterHint : 1
; COMPUTE_PGM_RSRC2:SCRATCH_EN: 1
; COMPUTE_PGM_RSRC2:USER_SGPR: 8
; COMPUTE_PGM_RSRC2:TRAP_HANDLER: 0
; COMPUTE_PGM_RSRC2:TGID_X_EN: 1
; COMPUTE_PGM_RSRC2:TGID_Y_EN: 0
; COMPUTE_PGM_RSRC2:TGID_Z_EN: 0
; COMPUTE_PGM_RSRC2:TIDIG_COMP_CNT: 2
	.section	.text._ZN9rocsolver6v33100L18getri_kernel_smallILi6E19rocblas_complex_numIdEPS3_EEvT1_iilPiilS6_bb,"axG",@progbits,_ZN9rocsolver6v33100L18getri_kernel_smallILi6E19rocblas_complex_numIdEPS3_EEvT1_iilPiilS6_bb,comdat
	.globl	_ZN9rocsolver6v33100L18getri_kernel_smallILi6E19rocblas_complex_numIdEPS3_EEvT1_iilPiilS6_bb ; -- Begin function _ZN9rocsolver6v33100L18getri_kernel_smallILi6E19rocblas_complex_numIdEPS3_EEvT1_iilPiilS6_bb
	.p2align	8
	.type	_ZN9rocsolver6v33100L18getri_kernel_smallILi6E19rocblas_complex_numIdEPS3_EEvT1_iilPiilS6_bb,@function
_ZN9rocsolver6v33100L18getri_kernel_smallILi6E19rocblas_complex_numIdEPS3_EEvT1_iilPiilS6_bb: ; @_ZN9rocsolver6v33100L18getri_kernel_smallILi6E19rocblas_complex_numIdEPS3_EEvT1_iilPiilS6_bb
; %bb.0:
	s_add_u32 s0, s0, s9
	s_addc_u32 s1, s1, 0
	s_mov_b32 s9, exec_lo
	v_cmpx_gt_u32_e32 6, v0
	s_cbranch_execz .LBB5_38
; %bb.1:
	s_clause 0x2
	s_load_dword s9, s[6:7], 0x38
	s_load_dwordx4 s[20:23], s[6:7], 0x10
	s_load_dwordx4 s[12:15], s[6:7], 0x28
	s_waitcnt lgkmcnt(0)
	s_bitcmp1_b32 s9, 8
	s_cselect_b32 s24, -1, 0
	s_bfe_u32 s10, s9, 0x10008
	s_ashr_i32 s9, s8, 31
	s_cmp_eq_u32 s10, 0
                                        ; implicit-def: $sgpr10_sgpr11
	s_cbranch_scc1 .LBB5_3
; %bb.2:
	s_load_dword s10, s[6:7], 0x20
	s_mul_i32 s11, s12, s9
	s_mul_hi_u32 s16, s12, s8
	s_mul_i32 s13, s13, s8
	s_add_i32 s11, s16, s11
	s_mul_i32 s12, s12, s8
	s_add_i32 s13, s11, s13
	s_lshl_b64 s[12:13], s[12:13], 2
	s_waitcnt lgkmcnt(0)
	s_ashr_i32 s11, s10, 31
	s_add_u32 s12, s22, s12
	s_addc_u32 s13, s23, s13
	s_lshl_b64 s[10:11], s[10:11], 2
	s_add_u32 s10, s12, s10
	s_addc_u32 s11, s13, s11
.LBB5_3:
	s_clause 0x1
	s_load_dwordx4 s[16:19], s[6:7], 0x0
	s_load_dword s22, s[6:7], 0x38
	s_mul_i32 s6, s20, s9
	s_mul_hi_u32 s7, s20, s8
	s_mul_i32 s12, s21, s8
	s_add_i32 s7, s7, s6
	s_mul_i32 s6, s20, s8
	s_add_i32 s7, s7, s12
	v_lshlrev_b32_e32 v25, 4, v0
	s_lshl_b64 s[6:7], s[6:7], 4
	s_waitcnt lgkmcnt(0)
	v_add3_u32 v9, s19, s19, v0
	s_ashr_i32 s13, s18, 31
	s_mov_b32 s12, s18
	s_add_u32 s16, s16, s6
	s_addc_u32 s17, s17, s7
	v_add_nc_u32_e32 v11, s19, v9
	s_lshl_b64 s[6:7], s[12:13], 4
	v_ashrrev_i32_e32 v10, 31, v9
	s_add_u32 s6, s16, s6
	s_addc_u32 s7, s17, s7
	v_add_nc_u32_e32 v15, s19, v11
	v_ashrrev_i32_e32 v12, 31, v11
	v_add_co_u32 v7, s16, s6, v25
	s_mov_b32 s12, s19
	v_add_nc_u32_e32 v23, s19, v15
	v_ashrrev_i32_e32 v16, 31, v15
	s_ashr_i32 s13, s19, 31
	v_lshlrev_b64 v[13:14], 4, v[9:10]
	v_add_co_ci_u32_e64 v8, null, s7, 0, s16
	v_ashrrev_i32_e32 v24, 31, v23
	s_lshl_b64 s[12:13], s[12:13], 4
	v_lshlrev_b64 v[17:18], 4, v[11:12]
	v_add_co_u32 v9, vcc_lo, v7, s12
	v_lshlrev_b64 v[15:16], 4, v[15:16]
	v_add_co_ci_u32_e64 v10, null, s13, v8, vcc_lo
	v_add_co_u32 v11, vcc_lo, s6, v13
	v_lshlrev_b64 v[23:24], 4, v[23:24]
	v_add_co_ci_u32_e64 v12, null, s7, v14, vcc_lo
	v_add_co_u32 v13, vcc_lo, s6, v17
	v_add_co_ci_u32_e64 v14, null, s7, v18, vcc_lo
	v_add_co_u32 v17, vcc_lo, s6, v15
	;; [unrolled: 2-line block ×3, first 2 shown]
	v_add_co_ci_u32_e64 v16, null, s7, v24, vcc_lo
	s_clause 0x5
	global_load_dwordx4 v[3:6], v25, s[6:7]
	global_load_dwordx4 v[19:22], v[9:10], off
	global_load_dwordx4 v[26:29], v[11:12], off
	;; [unrolled: 1-line block ×5, first 2 shown]
	s_movk_i32 s12, 0x50
	s_mov_b32 s7, -1
	s_mov_b32 s18, 16
	s_mov_b32 s17, 32
	;; [unrolled: 1-line block ×4, first 2 shown]
	s_bitcmp0_b32 s22, 0
	s_waitcnt vmcnt(5)
	buffer_store_dword v6, off, s[0:3], 0 offset:12
	buffer_store_dword v5, off, s[0:3], 0 offset:8
	;; [unrolled: 1-line block ×3, first 2 shown]
	buffer_store_dword v3, off, s[0:3], 0
	s_waitcnt vmcnt(4)
	buffer_store_dword v22, off, s[0:3], 0 offset:28
	buffer_store_dword v21, off, s[0:3], 0 offset:24
	buffer_store_dword v20, off, s[0:3], 0 offset:20
	buffer_store_dword v19, off, s[0:3], 0 offset:16
	s_waitcnt vmcnt(3)
	buffer_store_dword v29, off, s[0:3], 0 offset:44
	buffer_store_dword v28, off, s[0:3], 0 offset:40
	buffer_store_dword v27, off, s[0:3], 0 offset:36
	buffer_store_dword v26, off, s[0:3], 0 offset:32
	;; [unrolled: 5-line block ×5, first 2 shown]
	s_cbranch_scc1 .LBB5_36
; %bb.4:
	v_cmp_eq_u32_e64 s6, 0, v0
	s_and_saveexec_b32 s7, s6
; %bb.5:
	v_mov_b32_e32 v3, 0
	ds_write_b32 v3, v3 offset:192
; %bb.6:
	s_or_b32 exec_lo, exec_lo, s7
	v_lshl_add_u32 v26, v0, 4, 0
	s_waitcnt lgkmcnt(0)
	s_waitcnt_vscnt null, 0x0
	s_barrier
	buffer_gl0_inv
	s_clause 0x3
	buffer_load_dword v3, v26, s[0:3], 0 offen
	buffer_load_dword v4, v26, s[0:3], 0 offen offset:4
	buffer_load_dword v5, v26, s[0:3], 0 offen offset:8
	;; [unrolled: 1-line block ×3, first 2 shown]
	s_waitcnt vmcnt(2)
	v_cmp_eq_f64_e32 vcc_lo, 0, v[3:4]
	s_waitcnt vmcnt(0)
	v_cmp_eq_f64_e64 s7, 0, v[5:6]
	s_and_b32 s7, vcc_lo, s7
	s_and_saveexec_b32 s19, s7
	s_cbranch_execz .LBB5_10
; %bb.7:
	v_mov_b32_e32 v3, 0
	s_mov_b32 s20, 0
	ds_read_b32 v4, v3 offset:192
	s_waitcnt lgkmcnt(0)
	v_readfirstlane_b32 s7, v4
	v_add_nc_u32_e32 v4, 1, v0
	s_cmp_eq_u32 s7, 0
	v_cmp_gt_i32_e32 vcc_lo, s7, v4
	s_cselect_b32 s21, -1, 0
	s_or_b32 s21, s21, vcc_lo
	s_and_b32 exec_lo, exec_lo, s21
	s_cbranch_execz .LBB5_10
; %bb.8:
	v_mov_b32_e32 v5, s7
.LBB5_9:                                ; =>This Inner Loop Header: Depth=1
	ds_cmpst_rtn_b32 v5, v3, v5, v4 offset:192
	s_waitcnt lgkmcnt(0)
	v_cmp_ne_u32_e32 vcc_lo, 0, v5
	v_cmp_le_i32_e64 s7, v5, v4
	s_and_b32 s7, vcc_lo, s7
	s_and_b32 s7, exec_lo, s7
	s_or_b32 s20, s7, s20
	s_andn2_b32 exec_lo, exec_lo, s20
	s_cbranch_execnz .LBB5_9
.LBB5_10:
	s_or_b32 exec_lo, exec_lo, s19
	v_mov_b32_e32 v3, 0
	s_barrier
	buffer_gl0_inv
	ds_read_b32 v4, v3 offset:192
	s_and_saveexec_b32 s7, s6
	s_cbranch_execz .LBB5_12
; %bb.11:
	s_lshl_b64 s[20:21], s[8:9], 2
	s_add_u32 s20, s14, s20
	s_addc_u32 s21, s15, s21
	s_waitcnt lgkmcnt(0)
	global_store_dword v3, v4, s[20:21]
.LBB5_12:
	s_or_b32 exec_lo, exec_lo, s7
	s_waitcnt lgkmcnt(0)
	v_cmp_ne_u32_e32 vcc_lo, 0, v4
	s_mov_b32 s7, 0
	s_cbranch_vccnz .LBB5_36
; %bb.13:
	s_clause 0x3
	buffer_load_dword v21, v26, s[0:3], 0 offen
	buffer_load_dword v22, v26, s[0:3], 0 offen offset:4
	buffer_load_dword v23, v26, s[0:3], 0 offen offset:8
	;; [unrolled: 1-line block ×3, first 2 shown]
                                        ; implicit-def: $vgpr19_vgpr20
                                        ; implicit-def: $vgpr5_vgpr6
	s_waitcnt vmcnt(0)
	v_cmp_ngt_f64_e64 s7, |v[21:22]|, |v[23:24]|
	s_and_saveexec_b32 s19, s7
	s_xor_b32 s7, exec_lo, s19
	s_cbranch_execz .LBB5_15
; %bb.14:
	v_div_scale_f64 v[3:4], null, v[23:24], v[23:24], v[21:22]
	v_div_scale_f64 v[27:28], vcc_lo, v[21:22], v[23:24], v[21:22]
	v_rcp_f64_e32 v[5:6], v[3:4]
	v_fma_f64 v[19:20], -v[3:4], v[5:6], 1.0
	v_fma_f64 v[5:6], v[5:6], v[19:20], v[5:6]
	v_fma_f64 v[19:20], -v[3:4], v[5:6], 1.0
	v_fma_f64 v[5:6], v[5:6], v[19:20], v[5:6]
	v_mul_f64 v[19:20], v[27:28], v[5:6]
	v_fma_f64 v[3:4], -v[3:4], v[19:20], v[27:28]
	v_div_fmas_f64 v[3:4], v[3:4], v[5:6], v[19:20]
	v_div_fixup_f64 v[3:4], v[3:4], v[23:24], v[21:22]
	v_fma_f64 v[5:6], v[21:22], v[3:4], v[23:24]
	v_div_scale_f64 v[19:20], null, v[5:6], v[5:6], 1.0
	v_div_scale_f64 v[27:28], vcc_lo, 1.0, v[5:6], 1.0
	v_rcp_f64_e32 v[21:22], v[19:20]
	v_fma_f64 v[23:24], -v[19:20], v[21:22], 1.0
	v_fma_f64 v[21:22], v[21:22], v[23:24], v[21:22]
	v_fma_f64 v[23:24], -v[19:20], v[21:22], 1.0
	v_fma_f64 v[21:22], v[21:22], v[23:24], v[21:22]
	v_mul_f64 v[23:24], v[27:28], v[21:22]
	v_fma_f64 v[19:20], -v[19:20], v[23:24], v[27:28]
	v_div_fmas_f64 v[19:20], v[19:20], v[21:22], v[23:24]
                                        ; implicit-def: $vgpr21_vgpr22
                                        ; implicit-def: $vgpr23_vgpr24
	v_div_fixup_f64 v[5:6], v[19:20], v[5:6], 1.0
	v_mul_f64 v[19:20], v[3:4], v[5:6]
	v_xor_b32_e32 v6, 0x80000000, v6
	v_xor_b32_e32 v4, 0x80000000, v20
	v_mov_b32_e32 v3, v19
.LBB5_15:
	s_andn2_saveexec_b32 s7, s7
	s_cbranch_execz .LBB5_17
; %bb.16:
	v_div_scale_f64 v[3:4], null, v[21:22], v[21:22], v[23:24]
	v_div_scale_f64 v[27:28], vcc_lo, v[23:24], v[21:22], v[23:24]
	v_rcp_f64_e32 v[5:6], v[3:4]
	v_fma_f64 v[19:20], -v[3:4], v[5:6], 1.0
	v_fma_f64 v[5:6], v[5:6], v[19:20], v[5:6]
	v_fma_f64 v[19:20], -v[3:4], v[5:6], 1.0
	v_fma_f64 v[5:6], v[5:6], v[19:20], v[5:6]
	v_mul_f64 v[19:20], v[27:28], v[5:6]
	v_fma_f64 v[3:4], -v[3:4], v[19:20], v[27:28]
	v_div_fmas_f64 v[3:4], v[3:4], v[5:6], v[19:20]
	v_div_fixup_f64 v[3:4], v[3:4], v[21:22], v[23:24]
	v_fma_f64 v[5:6], v[23:24], v[3:4], v[21:22]
	v_div_scale_f64 v[19:20], null, v[5:6], v[5:6], 1.0
	v_rcp_f64_e32 v[21:22], v[19:20]
	v_fma_f64 v[23:24], -v[19:20], v[21:22], 1.0
	v_fma_f64 v[21:22], v[21:22], v[23:24], v[21:22]
	v_fma_f64 v[23:24], -v[19:20], v[21:22], 1.0
	v_fma_f64 v[21:22], v[21:22], v[23:24], v[21:22]
	v_div_scale_f64 v[23:24], vcc_lo, 1.0, v[5:6], 1.0
	v_mul_f64 v[27:28], v[23:24], v[21:22]
	v_fma_f64 v[19:20], -v[19:20], v[27:28], v[23:24]
	v_div_fmas_f64 v[19:20], v[19:20], v[21:22], v[27:28]
	v_div_fixup_f64 v[19:20], v[19:20], v[5:6], 1.0
	v_mul_f64 v[5:6], v[3:4], -v[19:20]
	v_xor_b32_e32 v4, 0x80000000, v20
	v_mov_b32_e32 v3, v19
.LBB5_17:
	s_or_b32 exec_lo, exec_lo, s7
	v_mov_b32_e32 v24, s18
	buffer_store_dword v20, v26, s[0:3], 0 offen offset:4
	buffer_store_dword v19, v26, s[0:3], 0 offen
	buffer_store_dword v6, v26, s[0:3], 0 offen offset:12
	buffer_store_dword v5, v26, s[0:3], 0 offen offset:8
	v_xor_b32_e32 v6, 0x80000000, v6
	v_add_nc_u32_e32 v19, 0x60, v25
	s_clause 0x3
	buffer_load_dword v23, v24, s[0:3], 0 offen offset:12
	buffer_load_dword v22, v24, s[0:3], 0 offen offset:8
	;; [unrolled: 1-line block ×3, first 2 shown]
	buffer_load_dword v20, v24, s[0:3], 0 offen
	ds_write_b128 v25, v[3:6]
	s_waitcnt vmcnt(0)
	ds_write_b128 v25, v[20:23] offset:96
	s_waitcnt lgkmcnt(0)
	s_waitcnt_vscnt null, 0x0
	s_barrier
	buffer_gl0_inv
	s_and_saveexec_b32 s7, s6
	s_cbranch_execz .LBB5_19
; %bb.18:
	s_clause 0x3
	buffer_load_dword v27, v26, s[0:3], 0 offen offset:8
	buffer_load_dword v28, v26, s[0:3], 0 offen offset:12
	buffer_load_dword v29, v26, s[0:3], 0 offen
	buffer_load_dword v30, v26, s[0:3], 0 offen offset:4
	ds_read_b128 v[3:6], v19
	v_mov_b32_e32 v20, 0
	ds_read_b128 v[20:23], v20 offset:16
	s_waitcnt vmcnt(2) lgkmcnt(1)
	v_mul_f64 v[31:32], v[3:4], v[27:28]
	v_mul_f64 v[27:28], v[5:6], v[27:28]
	s_waitcnt vmcnt(0)
	v_fma_f64 v[5:6], v[5:6], v[29:30], v[31:32]
	v_fma_f64 v[3:4], v[3:4], v[29:30], -v[27:28]
	v_add_f64 v[5:6], v[5:6], 0
	v_add_f64 v[3:4], v[3:4], 0
	s_waitcnt lgkmcnt(0)
	v_mul_f64 v[27:28], v[5:6], v[22:23]
	v_mul_f64 v[22:23], v[3:4], v[22:23]
	v_fma_f64 v[3:4], v[3:4], v[20:21], -v[27:28]
	v_fma_f64 v[5:6], v[5:6], v[20:21], v[22:23]
	buffer_store_dword v3, off, s[0:3], 0 offset:16
	buffer_store_dword v4, off, s[0:3], 0 offset:20
	;; [unrolled: 1-line block ×4, first 2 shown]
.LBB5_19:
	s_or_b32 exec_lo, exec_lo, s7
	v_mov_b32_e32 v6, s17
	s_waitcnt_vscnt null, 0x0
	s_barrier
	buffer_gl0_inv
	s_mov_b32 s7, exec_lo
	s_clause 0x3
	buffer_load_dword v3, v6, s[0:3], 0 offen
	buffer_load_dword v4, v6, s[0:3], 0 offen offset:4
	buffer_load_dword v5, v6, s[0:3], 0 offen offset:8
	;; [unrolled: 1-line block ×3, first 2 shown]
	s_waitcnt vmcnt(0)
	ds_write_b128 v19, v[3:6]
	s_waitcnt lgkmcnt(0)
	s_barrier
	buffer_gl0_inv
	v_cmpx_gt_u32_e32 2, v0
	s_cbranch_execz .LBB5_23
; %bb.20:
	s_clause 0x3
	buffer_load_dword v20, v26, s[0:3], 0 offen offset:8
	buffer_load_dword v21, v26, s[0:3], 0 offen offset:12
	buffer_load_dword v22, v26, s[0:3], 0 offen
	buffer_load_dword v23, v26, s[0:3], 0 offen offset:4
	ds_read_b128 v[3:6], v19
	s_waitcnt vmcnt(2) lgkmcnt(0)
	v_mul_f64 v[26:27], v[5:6], v[20:21]
	v_mul_f64 v[20:21], v[3:4], v[20:21]
	s_waitcnt vmcnt(0)
	v_fma_f64 v[3:4], v[3:4], v[22:23], -v[26:27]
	v_fma_f64 v[5:6], v[5:6], v[22:23], v[20:21]
	v_add_f64 v[3:4], v[3:4], 0
	v_add_f64 v[5:6], v[5:6], 0
	s_and_saveexec_b32 s19, s6
	s_cbranch_execz .LBB5_22
; %bb.21:
	s_clause 0x3
	buffer_load_dword v26, off, s[0:3], 0 offset:24
	buffer_load_dword v27, off, s[0:3], 0 offset:28
	;; [unrolled: 1-line block ×4, first 2 shown]
	v_mov_b32_e32 v20, 0
	ds_read_b128 v[20:23], v20 offset:112
	s_waitcnt vmcnt(2) lgkmcnt(0)
	v_mul_f64 v[30:31], v[20:21], v[26:27]
	v_mul_f64 v[26:27], v[22:23], v[26:27]
	s_waitcnt vmcnt(0)
	v_fma_f64 v[22:23], v[22:23], v[28:29], v[30:31]
	v_fma_f64 v[20:21], v[20:21], v[28:29], -v[26:27]
	v_add_f64 v[5:6], v[5:6], v[22:23]
	v_add_f64 v[3:4], v[3:4], v[20:21]
.LBB5_22:
	s_or_b32 exec_lo, exec_lo, s19
	v_mov_b32_e32 v20, 0
	ds_read_b128 v[20:23], v20 offset:32
	s_waitcnt lgkmcnt(0)
	v_mul_f64 v[26:27], v[5:6], v[22:23]
	v_mul_f64 v[22:23], v[3:4], v[22:23]
	v_fma_f64 v[3:4], v[3:4], v[20:21], -v[26:27]
	v_fma_f64 v[5:6], v[5:6], v[20:21], v[22:23]
	buffer_store_dword v4, off, s[0:3], 0 offset:36
	buffer_store_dword v3, off, s[0:3], 0 offset:32
	;; [unrolled: 1-line block ×4, first 2 shown]
.LBB5_23:
	s_or_b32 exec_lo, exec_lo, s7
	v_mov_b32_e32 v6, s16
	s_waitcnt_vscnt null, 0x0
	s_barrier
	buffer_gl0_inv
	v_add_nc_u32_e32 v20, -1, v0
	s_clause 0x3
	buffer_load_dword v3, v6, s[0:3], 0 offen
	buffer_load_dword v4, v6, s[0:3], 0 offen offset:4
	buffer_load_dword v5, v6, s[0:3], 0 offen offset:8
	;; [unrolled: 1-line block ×3, first 2 shown]
	s_mov_b32 s6, exec_lo
	s_waitcnt vmcnt(0)
	ds_write_b128 v19, v[3:6]
	s_waitcnt lgkmcnt(0)
	s_barrier
	buffer_gl0_inv
	v_cmpx_gt_u32_e32 3, v0
	s_cbranch_execz .LBB5_27
; %bb.24:
	v_mov_b32_e32 v3, 0
	v_mov_b32_e32 v5, 0
	v_add_nc_u32_e32 v21, -1, v0
	v_add_nc_u32_e32 v22, 0x60, v25
	v_mov_b32_e32 v4, 0
	v_mov_b32_e32 v6, 0
	;; [unrolled: 1-line block ×3, first 2 shown]
	s_mov_b32 s7, 0
	.p2align	6
.LBB5_25:                               ; =>This Inner Loop Header: Depth=1
	s_clause 0x3
	buffer_load_dword v30, v23, s[0:3], 0 offen offset:8
	buffer_load_dword v31, v23, s[0:3], 0 offen offset:12
	buffer_load_dword v32, v23, s[0:3], 0 offen
	buffer_load_dword v33, v23, s[0:3], 0 offen offset:4
	ds_read_b128 v[26:29], v22
	v_add_nc_u32_e32 v21, 1, v21
	v_add_nc_u32_e32 v22, 16, v22
	;; [unrolled: 1-line block ×3, first 2 shown]
	v_cmp_lt_u32_e32 vcc_lo, 1, v21
	s_or_b32 s7, vcc_lo, s7
	s_waitcnt vmcnt(2) lgkmcnt(0)
	v_mul_f64 v[34:35], v[28:29], v[30:31]
	v_mul_f64 v[30:31], v[26:27], v[30:31]
	s_waitcnt vmcnt(0)
	v_fma_f64 v[26:27], v[26:27], v[32:33], -v[34:35]
	v_fma_f64 v[28:29], v[28:29], v[32:33], v[30:31]
	v_add_f64 v[5:6], v[5:6], v[26:27]
	v_add_f64 v[3:4], v[3:4], v[28:29]
	s_andn2_b32 exec_lo, exec_lo, s7
	s_cbranch_execnz .LBB5_25
; %bb.26:
	s_or_b32 exec_lo, exec_lo, s7
	v_mov_b32_e32 v21, 0
	ds_read_b128 v[21:24], v21 offset:48
	s_waitcnt lgkmcnt(0)
	v_mul_f64 v[26:27], v[3:4], v[23:24]
	v_mul_f64 v[23:24], v[5:6], v[23:24]
	v_fma_f64 v[5:6], v[5:6], v[21:22], -v[26:27]
	v_fma_f64 v[3:4], v[3:4], v[21:22], v[23:24]
	buffer_store_dword v6, off, s[0:3], 0 offset:52
	buffer_store_dword v5, off, s[0:3], 0 offset:48
	;; [unrolled: 1-line block ×4, first 2 shown]
.LBB5_27:
	s_or_b32 exec_lo, exec_lo, s6
	v_mov_b32_e32 v6, s13
	s_waitcnt_vscnt null, 0x0
	s_barrier
	buffer_gl0_inv
	s_mov_b32 s6, exec_lo
	s_clause 0x3
	buffer_load_dword v3, v6, s[0:3], 0 offen
	buffer_load_dword v4, v6, s[0:3], 0 offen offset:4
	buffer_load_dword v5, v6, s[0:3], 0 offen offset:8
	;; [unrolled: 1-line block ×3, first 2 shown]
	s_waitcnt vmcnt(0)
	ds_write_b128 v19, v[3:6]
	s_waitcnt lgkmcnt(0)
	s_barrier
	buffer_gl0_inv
	v_cmpx_gt_u32_e32 4, v0
	s_cbranch_execz .LBB5_31
; %bb.28:
	v_mov_b32_e32 v3, 0
	v_mov_b32_e32 v5, 0
	v_add_nc_u32_e32 v21, -1, v0
	v_add_nc_u32_e32 v22, 0x60, v25
	v_mov_b32_e32 v4, 0
	v_mov_b32_e32 v6, 0
	;; [unrolled: 1-line block ×3, first 2 shown]
	s_mov_b32 s7, 0
	.p2align	6
.LBB5_29:                               ; =>This Inner Loop Header: Depth=1
	s_clause 0x3
	buffer_load_dword v30, v23, s[0:3], 0 offen offset:8
	buffer_load_dword v31, v23, s[0:3], 0 offen offset:12
	buffer_load_dword v32, v23, s[0:3], 0 offen
	buffer_load_dword v33, v23, s[0:3], 0 offen offset:4
	ds_read_b128 v[26:29], v22
	v_add_nc_u32_e32 v21, 1, v21
	v_add_nc_u32_e32 v22, 16, v22
	;; [unrolled: 1-line block ×3, first 2 shown]
	v_cmp_lt_u32_e32 vcc_lo, 2, v21
	s_or_b32 s7, vcc_lo, s7
	s_waitcnt vmcnt(2) lgkmcnt(0)
	v_mul_f64 v[34:35], v[28:29], v[30:31]
	v_mul_f64 v[30:31], v[26:27], v[30:31]
	s_waitcnt vmcnt(0)
	v_fma_f64 v[26:27], v[26:27], v[32:33], -v[34:35]
	v_fma_f64 v[28:29], v[28:29], v[32:33], v[30:31]
	v_add_f64 v[5:6], v[5:6], v[26:27]
	v_add_f64 v[3:4], v[3:4], v[28:29]
	s_andn2_b32 exec_lo, exec_lo, s7
	s_cbranch_execnz .LBB5_29
; %bb.30:
	s_or_b32 exec_lo, exec_lo, s7
	v_mov_b32_e32 v21, 0
	ds_read_b128 v[21:24], v21 offset:64
	s_waitcnt lgkmcnt(0)
	v_mul_f64 v[26:27], v[3:4], v[23:24]
	v_mul_f64 v[23:24], v[5:6], v[23:24]
	v_fma_f64 v[5:6], v[5:6], v[21:22], -v[26:27]
	v_fma_f64 v[3:4], v[3:4], v[21:22], v[23:24]
	buffer_store_dword v6, off, s[0:3], 0 offset:68
	buffer_store_dword v5, off, s[0:3], 0 offset:64
	;; [unrolled: 1-line block ×4, first 2 shown]
.LBB5_31:
	s_or_b32 exec_lo, exec_lo, s6
	v_mov_b32_e32 v6, s12
	s_waitcnt_vscnt null, 0x0
	s_barrier
	buffer_gl0_inv
	s_mov_b32 s6, exec_lo
	s_clause 0x3
	buffer_load_dword v3, v6, s[0:3], 0 offen
	buffer_load_dword v4, v6, s[0:3], 0 offen offset:4
	buffer_load_dword v5, v6, s[0:3], 0 offen offset:8
	;; [unrolled: 1-line block ×3, first 2 shown]
	s_waitcnt vmcnt(0)
	ds_write_b128 v19, v[3:6]
	s_waitcnt lgkmcnt(0)
	s_barrier
	buffer_gl0_inv
	v_cmpx_ne_u32_e32 5, v0
	s_cbranch_execz .LBB5_35
; %bb.32:
	v_mov_b32_e32 v3, 0
	v_mov_b32_e32 v5, 0
	;; [unrolled: 1-line block ×5, first 2 shown]
	s_mov_b32 s7, 0
	.p2align	6
.LBB5_33:                               ; =>This Inner Loop Header: Depth=1
	s_clause 0x3
	buffer_load_dword v26, v21, s[0:3], 0 offen offset:8
	buffer_load_dword v27, v21, s[0:3], 0 offen offset:12
	buffer_load_dword v28, v21, s[0:3], 0 offen
	buffer_load_dword v29, v21, s[0:3], 0 offen offset:4
	ds_read_b128 v[22:25], v19
	v_add_nc_u32_e32 v20, 1, v20
	v_add_nc_u32_e32 v19, 16, v19
	v_add_nc_u32_e32 v21, 16, v21
	v_cmp_lt_u32_e32 vcc_lo, 3, v20
	s_or_b32 s7, vcc_lo, s7
	s_waitcnt vmcnt(2) lgkmcnt(0)
	v_mul_f64 v[30:31], v[24:25], v[26:27]
	v_mul_f64 v[26:27], v[22:23], v[26:27]
	s_waitcnt vmcnt(0)
	v_fma_f64 v[22:23], v[22:23], v[28:29], -v[30:31]
	v_fma_f64 v[24:25], v[24:25], v[28:29], v[26:27]
	v_add_f64 v[5:6], v[5:6], v[22:23]
	v_add_f64 v[3:4], v[3:4], v[24:25]
	s_andn2_b32 exec_lo, exec_lo, s7
	s_cbranch_execnz .LBB5_33
; %bb.34:
	s_or_b32 exec_lo, exec_lo, s7
	v_mov_b32_e32 v19, 0
	ds_read_b128 v[19:22], v19 offset:80
	s_waitcnt lgkmcnt(0)
	v_mul_f64 v[23:24], v[3:4], v[21:22]
	v_mul_f64 v[21:22], v[5:6], v[21:22]
	v_fma_f64 v[5:6], v[5:6], v[19:20], -v[23:24]
	v_fma_f64 v[3:4], v[3:4], v[19:20], v[21:22]
	buffer_store_dword v6, off, s[0:3], 0 offset:84
	buffer_store_dword v5, off, s[0:3], 0 offset:80
	;; [unrolled: 1-line block ×4, first 2 shown]
.LBB5_35:
	s_or_b32 exec_lo, exec_lo, s6
	s_mov_b32 s7, -1
	s_waitcnt_vscnt null, 0x0
	s_barrier
	buffer_gl0_inv
.LBB5_36:
	s_and_b32 vcc_lo, exec_lo, s7
	s_cbranch_vccz .LBB5_38
; %bb.37:
	s_lshl_b64 s[6:7], s[8:9], 2
	v_mov_b32_e32 v3, 0
	s_add_u32 s6, s14, s6
	s_addc_u32 s7, s15, s7
	global_load_dword v3, v3, s[6:7]
	s_waitcnt vmcnt(0)
	v_cmp_ne_u32_e32 vcc_lo, 0, v3
	s_cbranch_vccz .LBB5_39
.LBB5_38:
	s_endpgm
.LBB5_39:
	v_lshl_add_u32 v3, v0, 4, 0x60
	s_mov_b32 s6, exec_lo
	v_cmpx_eq_u32_e32 5, v0
	s_cbranch_execz .LBB5_41
; %bb.40:
	v_mov_b32_e32 v4, s13
	s_clause 0x3
	buffer_load_dword v19, v4, s[0:3], 0 offen
	buffer_load_dword v20, v4, s[0:3], 0 offen offset:4
	buffer_load_dword v21, v4, s[0:3], 0 offen offset:8
	;; [unrolled: 1-line block ×3, first 2 shown]
	v_mov_b32_e32 v4, 0
	buffer_store_dword v4, off, s[0:3], 0 offset:64
	buffer_store_dword v4, off, s[0:3], 0 offset:68
	;; [unrolled: 1-line block ×4, first 2 shown]
	s_waitcnt vmcnt(0)
	ds_write_b128 v3, v[19:22]
.LBB5_41:
	s_or_b32 exec_lo, exec_lo, s6
	s_waitcnt lgkmcnt(0)
	s_waitcnt_vscnt null, 0x0
	s_barrier
	buffer_gl0_inv
	s_clause 0x7
	buffer_load_dword v5, off, s[0:3], 0 offset:88
	buffer_load_dword v6, off, s[0:3], 0 offset:92
	;; [unrolled: 1-line block ×8, first 2 shown]
	v_mov_b32_e32 v4, 0
	s_mov_b32 s6, exec_lo
	ds_read_b128 v[19:22], v4 offset:176
	s_waitcnt vmcnt(6) lgkmcnt(0)
	v_mul_f64 v[29:30], v[21:22], v[5:6]
	v_mul_f64 v[5:6], v[19:20], v[5:6]
	s_waitcnt vmcnt(4)
	v_fma_f64 v[19:20], v[19:20], v[23:24], -v[29:30]
	v_fma_f64 v[5:6], v[21:22], v[23:24], v[5:6]
	v_add_f64 v[19:20], v[19:20], 0
	v_add_f64 v[5:6], v[5:6], 0
	s_waitcnt vmcnt(2)
	v_add_f64 v[19:20], v[25:26], -v[19:20]
	s_waitcnt vmcnt(0)
	v_add_f64 v[5:6], v[27:28], -v[5:6]
	buffer_store_dword v19, off, s[0:3], 0 offset:64
	buffer_store_dword v20, off, s[0:3], 0 offset:68
	;; [unrolled: 1-line block ×4, first 2 shown]
	v_cmpx_lt_u32_e32 3, v0
	s_cbranch_execz .LBB5_43
; %bb.42:
	v_mov_b32_e32 v5, s16
	s_clause 0x3
	buffer_load_dword v19, v5, s[0:3], 0 offen
	buffer_load_dword v20, v5, s[0:3], 0 offen offset:4
	buffer_load_dword v21, v5, s[0:3], 0 offen offset:8
	;; [unrolled: 1-line block ×3, first 2 shown]
	buffer_store_dword v4, off, s[0:3], 0 offset:48
	buffer_store_dword v4, off, s[0:3], 0 offset:52
	;; [unrolled: 1-line block ×4, first 2 shown]
	s_waitcnt vmcnt(0)
	ds_write_b128 v3, v[19:22]
.LBB5_43:
	s_or_b32 exec_lo, exec_lo, s6
	s_waitcnt lgkmcnt(0)
	s_waitcnt_vscnt null, 0x0
	s_barrier
	buffer_gl0_inv
	s_clause 0xb
	buffer_load_dword v5, off, s[0:3], 0 offset:72
	buffer_load_dword v6, off, s[0:3], 0 offset:76
	buffer_load_dword v27, off, s[0:3], 0 offset:88
	buffer_load_dword v28, off, s[0:3], 0 offset:92
	buffer_load_dword v29, off, s[0:3], 0 offset:64
	buffer_load_dword v30, off, s[0:3], 0 offset:68
	buffer_load_dword v31, off, s[0:3], 0 offset:80
	buffer_load_dword v32, off, s[0:3], 0 offset:84
	buffer_load_dword v33, off, s[0:3], 0 offset:48
	buffer_load_dword v34, off, s[0:3], 0 offset:52
	buffer_load_dword v35, off, s[0:3], 0 offset:56
	buffer_load_dword v36, off, s[0:3], 0 offset:60
	ds_read_b128 v[19:22], v4 offset:160
	ds_read_b128 v[23:26], v4 offset:176
	s_mov_b32 s6, exec_lo
	s_waitcnt vmcnt(10) lgkmcnt(1)
	v_mul_f64 v[37:38], v[21:22], v[5:6]
	v_mul_f64 v[4:5], v[19:20], v[5:6]
	s_waitcnt vmcnt(8) lgkmcnt(0)
	v_mul_f64 v[39:40], v[25:26], v[27:28]
	v_mul_f64 v[27:28], v[23:24], v[27:28]
	s_waitcnt vmcnt(6)
	v_fma_f64 v[19:20], v[19:20], v[29:30], -v[37:38]
	v_fma_f64 v[4:5], v[21:22], v[29:30], v[4:5]
	s_waitcnt vmcnt(4)
	v_fma_f64 v[21:22], v[23:24], v[31:32], -v[39:40]
	v_fma_f64 v[23:24], v[25:26], v[31:32], v[27:28]
	v_add_f64 v[19:20], v[19:20], 0
	v_add_f64 v[4:5], v[4:5], 0
	;; [unrolled: 1-line block ×4, first 2 shown]
	s_waitcnt vmcnt(2)
	v_add_f64 v[19:20], v[33:34], -v[19:20]
	s_waitcnt vmcnt(0)
	v_add_f64 v[4:5], v[35:36], -v[4:5]
	buffer_store_dword v19, off, s[0:3], 0 offset:48
	buffer_store_dword v20, off, s[0:3], 0 offset:52
	;; [unrolled: 1-line block ×4, first 2 shown]
	v_cmpx_lt_u32_e32 2, v0
	s_cbranch_execz .LBB5_45
; %bb.44:
	v_mov_b32_e32 v4, s17
	s_clause 0x3
	buffer_load_dword v19, v4, s[0:3], 0 offen
	buffer_load_dword v20, v4, s[0:3], 0 offen offset:4
	buffer_load_dword v21, v4, s[0:3], 0 offen offset:8
	;; [unrolled: 1-line block ×3, first 2 shown]
	v_mov_b32_e32 v4, 0
	buffer_store_dword v4, off, s[0:3], 0 offset:32
	buffer_store_dword v4, off, s[0:3], 0 offset:36
	;; [unrolled: 1-line block ×4, first 2 shown]
	s_waitcnt vmcnt(0)
	ds_write_b128 v3, v[19:22]
.LBB5_45:
	s_or_b32 exec_lo, exec_lo, s6
	s_waitcnt lgkmcnt(0)
	s_waitcnt_vscnt null, 0x0
	s_barrier
	buffer_gl0_inv
	s_clause 0xf
	buffer_load_dword v5, off, s[0:3], 0 offset:56
	buffer_load_dword v6, off, s[0:3], 0 offset:60
	;; [unrolled: 1-line block ×16, first 2 shown]
	v_mov_b32_e32 v4, 0
	ds_read_b128 v[19:22], v4 offset:144
	ds_read_b128 v[23:26], v4 offset:160
	;; [unrolled: 1-line block ×3, first 2 shown]
	s_mov_b32 s6, exec_lo
	s_waitcnt vmcnt(14) lgkmcnt(2)
	v_mul_f64 v[45:46], v[21:22], v[5:6]
	v_mul_f64 v[5:6], v[19:20], v[5:6]
	s_waitcnt vmcnt(12) lgkmcnt(1)
	v_mul_f64 v[47:48], v[25:26], v[31:32]
	v_mul_f64 v[31:32], v[23:24], v[31:32]
	s_waitcnt vmcnt(10)
	v_fma_f64 v[19:20], v[19:20], v[33:34], -v[45:46]
	v_fma_f64 v[5:6], v[21:22], v[33:34], v[5:6]
	s_waitcnt vmcnt(8) lgkmcnt(0)
	v_mul_f64 v[33:34], v[29:30], v[35:36]
	s_waitcnt vmcnt(6)
	v_fma_f64 v[23:24], v[23:24], v[37:38], -v[47:48]
	v_mul_f64 v[21:22], v[27:28], v[35:36]
	v_fma_f64 v[25:26], v[25:26], v[37:38], v[31:32]
	v_add_f64 v[19:20], v[19:20], 0
	v_add_f64 v[5:6], v[5:6], 0
	s_waitcnt vmcnt(4)
	v_fma_f64 v[27:28], v[27:28], v[39:40], -v[33:34]
	v_fma_f64 v[21:22], v[29:30], v[39:40], v[21:22]
	v_add_f64 v[19:20], v[19:20], v[23:24]
	v_add_f64 v[5:6], v[5:6], v[25:26]
	;; [unrolled: 1-line block ×4, first 2 shown]
	s_waitcnt vmcnt(2)
	v_add_f64 v[19:20], v[41:42], -v[19:20]
	s_waitcnt vmcnt(0)
	v_add_f64 v[5:6], v[43:44], -v[5:6]
	buffer_store_dword v19, off, s[0:3], 0 offset:32
	buffer_store_dword v20, off, s[0:3], 0 offset:36
	;; [unrolled: 1-line block ×4, first 2 shown]
	v_cmpx_lt_u32_e32 1, v0
	s_cbranch_execz .LBB5_47
; %bb.46:
	v_mov_b32_e32 v5, s18
	s_clause 0x3
	buffer_load_dword v19, v5, s[0:3], 0 offen
	buffer_load_dword v20, v5, s[0:3], 0 offen offset:4
	buffer_load_dword v21, v5, s[0:3], 0 offen offset:8
	;; [unrolled: 1-line block ×3, first 2 shown]
	buffer_store_dword v4, off, s[0:3], 0 offset:16
	buffer_store_dword v4, off, s[0:3], 0 offset:20
	;; [unrolled: 1-line block ×4, first 2 shown]
	s_waitcnt vmcnt(0)
	ds_write_b128 v3, v[19:22]
.LBB5_47:
	s_or_b32 exec_lo, exec_lo, s6
	s_waitcnt lgkmcnt(0)
	s_waitcnt_vscnt null, 0x0
	s_barrier
	buffer_gl0_inv
	s_clause 0x13
	buffer_load_dword v5, off, s[0:3], 0 offset:40
	buffer_load_dword v6, off, s[0:3], 0 offset:44
	;; [unrolled: 1-line block ×20, first 2 shown]
	ds_read_b128 v[19:22], v4 offset:128
	ds_read_b128 v[23:26], v4 offset:144
	;; [unrolled: 1-line block ×3, first 2 shown]
	s_mov_b32 s6, exec_lo
	s_waitcnt vmcnt(18) lgkmcnt(2)
	v_mul_f64 v[49:50], v[21:22], v[5:6]
	v_mul_f64 v[5:6], v[19:20], v[5:6]
	s_waitcnt vmcnt(16) lgkmcnt(1)
	v_mul_f64 v[51:52], v[25:26], v[31:32]
	v_mul_f64 v[31:32], v[23:24], v[31:32]
	s_waitcnt vmcnt(14)
	v_fma_f64 v[49:50], v[19:20], v[33:34], -v[49:50]
	v_fma_f64 v[5:6], v[21:22], v[33:34], v[5:6]
	ds_read_b128 v[19:22], v4 offset:176
	s_waitcnt vmcnt(12) lgkmcnt(1)
	v_mul_f64 v[33:34], v[27:28], v[35:36]
	v_mul_f64 v[35:36], v[29:30], v[35:36]
	s_waitcnt vmcnt(10)
	v_fma_f64 v[23:24], v[23:24], v[37:38], -v[51:52]
	v_fma_f64 v[25:26], v[25:26], v[37:38], v[31:32]
	s_waitcnt vmcnt(8) lgkmcnt(0)
	v_mul_f64 v[37:38], v[21:22], v[39:40]
	v_add_f64 v[49:50], v[49:50], 0
	v_add_f64 v[4:5], v[5:6], 0
	v_mul_f64 v[31:32], v[19:20], v[39:40]
	s_waitcnt vmcnt(6)
	v_fma_f64 v[27:28], v[27:28], v[41:42], -v[35:36]
	v_fma_f64 v[29:30], v[29:30], v[41:42], v[33:34]
	s_waitcnt vmcnt(4)
	v_fma_f64 v[19:20], v[19:20], v[43:44], -v[37:38]
	v_add_f64 v[23:24], v[49:50], v[23:24]
	v_add_f64 v[4:5], v[4:5], v[25:26]
	v_fma_f64 v[21:22], v[21:22], v[43:44], v[31:32]
	v_add_f64 v[23:24], v[23:24], v[27:28]
	v_add_f64 v[4:5], v[4:5], v[29:30]
	;; [unrolled: 1-line block ×4, first 2 shown]
	s_waitcnt vmcnt(2)
	v_add_f64 v[19:20], v[45:46], -v[19:20]
	s_waitcnt vmcnt(0)
	v_add_f64 v[4:5], v[47:48], -v[4:5]
	buffer_store_dword v19, off, s[0:3], 0 offset:16
	buffer_store_dword v20, off, s[0:3], 0 offset:20
	;; [unrolled: 1-line block ×4, first 2 shown]
	v_cmpx_ne_u32_e32 0, v0
	s_cbranch_execz .LBB5_49
; %bb.48:
	s_clause 0x3
	buffer_load_dword v19, off, s[0:3], 0
	buffer_load_dword v20, off, s[0:3], 0 offset:4
	buffer_load_dword v21, off, s[0:3], 0 offset:8
	;; [unrolled: 1-line block ×3, first 2 shown]
	v_mov_b32_e32 v4, 0
	buffer_store_dword v4, off, s[0:3], 0
	buffer_store_dword v4, off, s[0:3], 0 offset:4
	buffer_store_dword v4, off, s[0:3], 0 offset:8
	;; [unrolled: 1-line block ×3, first 2 shown]
	s_waitcnt vmcnt(0)
	ds_write_b128 v3, v[19:22]
.LBB5_49:
	s_or_b32 exec_lo, exec_lo, s6
	s_waitcnt lgkmcnt(0)
	s_waitcnt_vscnt null, 0x0
	s_barrier
	buffer_gl0_inv
	s_clause 0x17
	buffer_load_dword v4, off, s[0:3], 0 offset:24
	buffer_load_dword v5, off, s[0:3], 0 offset:28
	;; [unrolled: 1-line block ×20, first 2 shown]
	buffer_load_dword v49, off, s[0:3], 0
	buffer_load_dword v50, off, s[0:3], 0 offset:4
	buffer_load_dword v51, off, s[0:3], 0 offset:8
	;; [unrolled: 1-line block ×3, first 2 shown]
	v_mov_b32_e32 v3, 0
	ds_read_b128 v[19:22], v3 offset:112
	ds_read_b128 v[23:26], v3 offset:128
	;; [unrolled: 1-line block ×3, first 2 shown]
	s_and_b32 vcc_lo, exec_lo, s24
	s_waitcnt vmcnt(22) lgkmcnt(2)
	v_mul_f64 v[53:54], v[21:22], v[4:5]
	v_mul_f64 v[4:5], v[19:20], v[4:5]
	s_waitcnt vmcnt(20) lgkmcnt(1)
	v_mul_f64 v[55:56], v[25:26], v[31:32]
	v_mul_f64 v[31:32], v[23:24], v[31:32]
	s_waitcnt vmcnt(18)
	v_fma_f64 v[53:54], v[19:20], v[33:34], -v[53:54]
	v_fma_f64 v[4:5], v[21:22], v[33:34], v[4:5]
	ds_read_b128 v[19:22], v3 offset:160
	s_waitcnt vmcnt(16) lgkmcnt(1)
	v_mul_f64 v[33:34], v[27:28], v[35:36]
	v_mul_f64 v[35:36], v[29:30], v[35:36]
	s_waitcnt vmcnt(14)
	v_fma_f64 v[55:56], v[23:24], v[37:38], -v[55:56]
	v_fma_f64 v[31:32], v[25:26], v[37:38], v[31:32]
	ds_read_b128 v[23:26], v3 offset:176
	s_waitcnt vmcnt(10) lgkmcnt(1)
	v_mul_f64 v[37:38], v[19:20], v[39:40]
	v_add_f64 v[53:54], v[53:54], 0
	v_add_f64 v[4:5], v[4:5], 0
	v_mul_f64 v[39:40], v[21:22], v[39:40]
	s_waitcnt vmcnt(8)
	v_fma_f64 v[27:28], v[27:28], v[45:46], -v[35:36]
	v_fma_f64 v[29:30], v[29:30], v[45:46], v[33:34]
	s_waitcnt vmcnt(7) lgkmcnt(0)
	v_mul_f64 v[33:34], v[25:26], v[41:42]
	s_waitcnt vmcnt(5)
	v_fma_f64 v[21:22], v[21:22], v[47:48], v[37:38]
	v_add_f64 v[35:36], v[53:54], v[55:56]
	v_add_f64 v[4:5], v[4:5], v[31:32]
	v_fma_f64 v[19:20], v[19:20], v[47:48], -v[39:40]
	v_mul_f64 v[31:32], v[23:24], v[41:42]
	s_waitcnt vmcnt(4)
	v_fma_f64 v[23:24], v[23:24], v[43:44], -v[33:34]
	v_add_f64 v[27:28], v[35:36], v[27:28]
	v_add_f64 v[4:5], v[4:5], v[29:30]
	v_fma_f64 v[25:26], v[25:26], v[43:44], v[31:32]
	v_add_f64 v[19:20], v[27:28], v[19:20]
	v_add_f64 v[4:5], v[4:5], v[21:22]
	;; [unrolled: 1-line block ×4, first 2 shown]
	s_waitcnt vmcnt(2)
	v_add_f64 v[19:20], v[49:50], -v[19:20]
	s_waitcnt vmcnt(0)
	v_add_f64 v[4:5], v[51:52], -v[4:5]
	buffer_store_dword v20, off, s[0:3], 0 offset:4
	buffer_store_dword v19, off, s[0:3], 0
	buffer_store_dword v5, off, s[0:3], 0 offset:12
	buffer_store_dword v4, off, s[0:3], 0 offset:8
	s_cbranch_vccz .LBB5_60
; %bb.50:
	global_load_dword v3, v3, s[10:11] offset:16
	s_load_dwordx2 s[4:5], s[4:5], 0x4
	s_waitcnt lgkmcnt(0)
	s_lshr_b32 s4, s4, 16
	v_mul_u32_u24_e32 v4, s5, v1
	s_mul_i32 s4, s4, s5
	v_mul_u32_u24_e32 v0, s4, v0
	v_add3_u32 v0, v0, v4, v2
	v_lshl_add_u32 v0, v0, 4, 0xc8
	s_waitcnt vmcnt(0)
	v_add_nc_u32_e32 v1, -1, v3
	v_cmp_ne_u32_e32 vcc_lo, 4, v1
	s_cbranch_vccz .LBB5_52
; %bb.51:
	v_lshlrev_b32_e32 v1, 4, v1
	v_mov_b32_e32 v5, s13
	v_mov_b32_e32 v6, v1
	s_clause 0x7
	buffer_load_dword v1, v5, s[0:3], 0 offen
	buffer_load_dword v2, v5, s[0:3], 0 offen offset:4
	buffer_load_dword v3, v5, s[0:3], 0 offen offset:8
	;; [unrolled: 1-line block ×3, first 2 shown]
	buffer_load_dword v19, v6, s[0:3], 0 offen
	buffer_load_dword v20, v6, s[0:3], 0 offen offset:4
	buffer_load_dword v21, v6, s[0:3], 0 offen offset:8
	;; [unrolled: 1-line block ×3, first 2 shown]
	s_waitcnt vmcnt(4)
	ds_write2_b64 v0, v[1:2], v[3:4] offset1:1
	s_waitcnt vmcnt(3)
	buffer_store_dword v19, v5, s[0:3], 0 offen
	s_waitcnt vmcnt(2)
	buffer_store_dword v20, v5, s[0:3], 0 offen offset:4
	s_waitcnt vmcnt(1)
	buffer_store_dword v21, v5, s[0:3], 0 offen offset:8
	;; [unrolled: 2-line block ×3, first 2 shown]
	buffer_store_dword v4, v6, s[0:3], 0 offen offset:12
	buffer_store_dword v3, v6, s[0:3], 0 offen offset:8
	;; [unrolled: 1-line block ×3, first 2 shown]
	buffer_store_dword v1, v6, s[0:3], 0 offen
.LBB5_52:
	v_mov_b32_e32 v1, 0
	global_load_dword v2, v1, s[10:11] offset:12
	s_waitcnt vmcnt(0)
	v_add_nc_u32_e32 v2, -1, v2
	v_cmp_eq_u32_e32 vcc_lo, 3, v2
	s_cbranch_vccnz .LBB5_54
; %bb.53:
	v_lshlrev_b32_e32 v2, 4, v2
	v_mov_b32_e32 v6, s16
	v_mov_b32_e32 v19, v2
	s_clause 0x7
	buffer_load_dword v2, v6, s[0:3], 0 offen
	buffer_load_dword v3, v6, s[0:3], 0 offen offset:4
	buffer_load_dword v4, v6, s[0:3], 0 offen offset:8
	;; [unrolled: 1-line block ×3, first 2 shown]
	buffer_load_dword v20, v19, s[0:3], 0 offen
	buffer_load_dword v21, v19, s[0:3], 0 offen offset:4
	buffer_load_dword v22, v19, s[0:3], 0 offen offset:8
	;; [unrolled: 1-line block ×3, first 2 shown]
	s_waitcnt vmcnt(4)
	ds_write2_b64 v0, v[2:3], v[4:5] offset1:1
	s_waitcnt vmcnt(3)
	buffer_store_dword v20, v6, s[0:3], 0 offen
	s_waitcnt vmcnt(2)
	buffer_store_dword v21, v6, s[0:3], 0 offen offset:4
	s_waitcnt vmcnt(1)
	buffer_store_dword v22, v6, s[0:3], 0 offen offset:8
	;; [unrolled: 2-line block ×3, first 2 shown]
	buffer_store_dword v5, v19, s[0:3], 0 offen offset:12
	buffer_store_dword v4, v19, s[0:3], 0 offen offset:8
	;; [unrolled: 1-line block ×3, first 2 shown]
	buffer_store_dword v2, v19, s[0:3], 0 offen
.LBB5_54:
	global_load_dword v1, v1, s[10:11] offset:8
	s_waitcnt vmcnt(0)
	v_add_nc_u32_e32 v1, -1, v1
	v_cmp_eq_u32_e32 vcc_lo, 2, v1
	s_cbranch_vccnz .LBB5_56
; %bb.55:
	v_lshlrev_b32_e32 v1, 4, v1
	v_mov_b32_e32 v5, s17
	v_mov_b32_e32 v6, v1
	s_clause 0x7
	buffer_load_dword v1, v5, s[0:3], 0 offen
	buffer_load_dword v2, v5, s[0:3], 0 offen offset:4
	buffer_load_dword v3, v5, s[0:3], 0 offen offset:8
	;; [unrolled: 1-line block ×3, first 2 shown]
	buffer_load_dword v19, v6, s[0:3], 0 offen
	buffer_load_dword v20, v6, s[0:3], 0 offen offset:4
	buffer_load_dword v21, v6, s[0:3], 0 offen offset:8
	;; [unrolled: 1-line block ×3, first 2 shown]
	s_waitcnt vmcnt(4)
	ds_write2_b64 v0, v[1:2], v[3:4] offset1:1
	s_waitcnt vmcnt(3)
	buffer_store_dword v19, v5, s[0:3], 0 offen
	s_waitcnt vmcnt(2)
	buffer_store_dword v20, v5, s[0:3], 0 offen offset:4
	s_waitcnt vmcnt(1)
	buffer_store_dword v21, v5, s[0:3], 0 offen offset:8
	;; [unrolled: 2-line block ×3, first 2 shown]
	buffer_store_dword v4, v6, s[0:3], 0 offen offset:12
	buffer_store_dword v3, v6, s[0:3], 0 offen offset:8
	;; [unrolled: 1-line block ×3, first 2 shown]
	buffer_store_dword v1, v6, s[0:3], 0 offen
.LBB5_56:
	v_mov_b32_e32 v1, 0
	global_load_dword v2, v1, s[10:11] offset:4
	s_waitcnt vmcnt(0)
	v_add_nc_u32_e32 v2, -1, v2
	v_cmp_eq_u32_e32 vcc_lo, 1, v2
	s_cbranch_vccnz .LBB5_58
; %bb.57:
	v_lshlrev_b32_e32 v2, 4, v2
	v_mov_b32_e32 v6, s18
	v_mov_b32_e32 v19, v2
	s_clause 0x7
	buffer_load_dword v2, v6, s[0:3], 0 offen
	buffer_load_dword v3, v6, s[0:3], 0 offen offset:4
	buffer_load_dword v4, v6, s[0:3], 0 offen offset:8
	;; [unrolled: 1-line block ×3, first 2 shown]
	buffer_load_dword v20, v19, s[0:3], 0 offen
	buffer_load_dword v21, v19, s[0:3], 0 offen offset:4
	buffer_load_dword v22, v19, s[0:3], 0 offen offset:8
	;; [unrolled: 1-line block ×3, first 2 shown]
	s_waitcnt vmcnt(4)
	ds_write2_b64 v0, v[2:3], v[4:5] offset1:1
	s_waitcnt vmcnt(3)
	buffer_store_dword v20, v6, s[0:3], 0 offen
	s_waitcnt vmcnt(2)
	buffer_store_dword v21, v6, s[0:3], 0 offen offset:4
	s_waitcnt vmcnt(1)
	buffer_store_dword v22, v6, s[0:3], 0 offen offset:8
	s_waitcnt vmcnt(0)
	buffer_store_dword v23, v6, s[0:3], 0 offen offset:12
	buffer_store_dword v5, v19, s[0:3], 0 offen offset:12
	buffer_store_dword v4, v19, s[0:3], 0 offen offset:8
	;; [unrolled: 1-line block ×3, first 2 shown]
	buffer_store_dword v2, v19, s[0:3], 0 offen
.LBB5_58:
	global_load_dword v1, v1, s[10:11]
	s_waitcnt vmcnt(0)
	v_add_nc_u32_e32 v1, -1, v1
	v_cmp_eq_u32_e32 vcc_lo, 0, v1
	s_cbranch_vccnz .LBB5_60
; %bb.59:
	v_lshlrev_b32_e32 v1, 4, v1
	v_mov_b32_e32 v5, v1
	s_clause 0x7
	buffer_load_dword v1, off, s[0:3], 0
	buffer_load_dword v2, off, s[0:3], 0 offset:4
	buffer_load_dword v3, off, s[0:3], 0 offset:8
	;; [unrolled: 1-line block ×3, first 2 shown]
	buffer_load_dword v6, v5, s[0:3], 0 offen
	buffer_load_dword v19, v5, s[0:3], 0 offen offset:4
	buffer_load_dword v20, v5, s[0:3], 0 offen offset:8
	buffer_load_dword v21, v5, s[0:3], 0 offen offset:12
	s_waitcnt vmcnt(4)
	ds_write2_b64 v0, v[1:2], v[3:4] offset1:1
	s_waitcnt vmcnt(3)
	buffer_store_dword v6, off, s[0:3], 0
	s_waitcnt vmcnt(2)
	buffer_store_dword v19, off, s[0:3], 0 offset:4
	s_waitcnt vmcnt(1)
	buffer_store_dword v20, off, s[0:3], 0 offset:8
	;; [unrolled: 2-line block ×3, first 2 shown]
	buffer_store_dword v4, v5, s[0:3], 0 offen offset:12
	buffer_store_dword v3, v5, s[0:3], 0 offen offset:8
	;; [unrolled: 1-line block ×3, first 2 shown]
	buffer_store_dword v1, v5, s[0:3], 0 offen
.LBB5_60:
	v_mov_b32_e32 v5, s17
	v_mov_b32_e32 v6, s13
	;; [unrolled: 1-line block ×3, first 2 shown]
	s_clause 0x7
	buffer_load_dword v0, off, s[0:3], 0
	buffer_load_dword v1, off, s[0:3], 0 offset:4
	buffer_load_dword v2, off, s[0:3], 0 offset:8
	;; [unrolled: 1-line block ×3, first 2 shown]
	buffer_load_dword v19, v4, s[0:3], 0 offen
	buffer_load_dword v20, v4, s[0:3], 0 offen offset:4
	buffer_load_dword v21, v4, s[0:3], 0 offen offset:8
	;; [unrolled: 1-line block ×3, first 2 shown]
	v_mov_b32_e32 v4, s16
	s_clause 0x7
	buffer_load_dword v23, v5, s[0:3], 0 offen
	buffer_load_dword v24, v5, s[0:3], 0 offen offset:4
	buffer_load_dword v25, v5, s[0:3], 0 offen offset:8
	;; [unrolled: 1-line block ×3, first 2 shown]
	buffer_load_dword v27, v4, s[0:3], 0 offen
	buffer_load_dword v28, v4, s[0:3], 0 offen offset:4
	buffer_load_dword v29, v4, s[0:3], 0 offen offset:8
	;; [unrolled: 1-line block ×3, first 2 shown]
	v_mov_b32_e32 v4, s12
	s_clause 0x7
	buffer_load_dword v31, v6, s[0:3], 0 offen
	buffer_load_dword v32, v6, s[0:3], 0 offen offset:4
	buffer_load_dword v33, v6, s[0:3], 0 offen offset:8
	;; [unrolled: 1-line block ×3, first 2 shown]
	buffer_load_dword v35, v4, s[0:3], 0 offen
	buffer_load_dword v36, v4, s[0:3], 0 offen offset:4
	buffer_load_dword v37, v4, s[0:3], 0 offen offset:8
	buffer_load_dword v38, v4, s[0:3], 0 offen offset:12
	s_waitcnt vmcnt(20)
	global_store_dwordx4 v[7:8], v[0:3], off
	s_waitcnt vmcnt(16)
	global_store_dwordx4 v[9:10], v[19:22], off
	;; [unrolled: 2-line block ×6, first 2 shown]
	s_endpgm
	.section	.rodata,"a",@progbits
	.p2align	6, 0x0
	.amdhsa_kernel _ZN9rocsolver6v33100L18getri_kernel_smallILi6E19rocblas_complex_numIdEPS3_EEvT1_iilPiilS6_bb
		.amdhsa_group_segment_fixed_size 1224
		.amdhsa_private_segment_fixed_size 112
		.amdhsa_kernarg_size 60
		.amdhsa_user_sgpr_count 8
		.amdhsa_user_sgpr_private_segment_buffer 1
		.amdhsa_user_sgpr_dispatch_ptr 1
		.amdhsa_user_sgpr_queue_ptr 0
		.amdhsa_user_sgpr_kernarg_segment_ptr 1
		.amdhsa_user_sgpr_dispatch_id 0
		.amdhsa_user_sgpr_flat_scratch_init 0
		.amdhsa_user_sgpr_private_segment_size 0
		.amdhsa_wavefront_size32 1
		.amdhsa_uses_dynamic_stack 0
		.amdhsa_system_sgpr_private_segment_wavefront_offset 1
		.amdhsa_system_sgpr_workgroup_id_x 1
		.amdhsa_system_sgpr_workgroup_id_y 0
		.amdhsa_system_sgpr_workgroup_id_z 0
		.amdhsa_system_sgpr_workgroup_info 0
		.amdhsa_system_vgpr_workitem_id 2
		.amdhsa_next_free_vgpr 57
		.amdhsa_next_free_sgpr 25
		.amdhsa_reserve_vcc 1
		.amdhsa_reserve_flat_scratch 0
		.amdhsa_float_round_mode_32 0
		.amdhsa_float_round_mode_16_64 0
		.amdhsa_float_denorm_mode_32 3
		.amdhsa_float_denorm_mode_16_64 3
		.amdhsa_dx10_clamp 1
		.amdhsa_ieee_mode 1
		.amdhsa_fp16_overflow 0
		.amdhsa_workgroup_processor_mode 1
		.amdhsa_memory_ordered 1
		.amdhsa_forward_progress 1
		.amdhsa_shared_vgpr_count 0
		.amdhsa_exception_fp_ieee_invalid_op 0
		.amdhsa_exception_fp_denorm_src 0
		.amdhsa_exception_fp_ieee_div_zero 0
		.amdhsa_exception_fp_ieee_overflow 0
		.amdhsa_exception_fp_ieee_underflow 0
		.amdhsa_exception_fp_ieee_inexact 0
		.amdhsa_exception_int_div_zero 0
	.end_amdhsa_kernel
	.section	.text._ZN9rocsolver6v33100L18getri_kernel_smallILi6E19rocblas_complex_numIdEPS3_EEvT1_iilPiilS6_bb,"axG",@progbits,_ZN9rocsolver6v33100L18getri_kernel_smallILi6E19rocblas_complex_numIdEPS3_EEvT1_iilPiilS6_bb,comdat
.Lfunc_end5:
	.size	_ZN9rocsolver6v33100L18getri_kernel_smallILi6E19rocblas_complex_numIdEPS3_EEvT1_iilPiilS6_bb, .Lfunc_end5-_ZN9rocsolver6v33100L18getri_kernel_smallILi6E19rocblas_complex_numIdEPS3_EEvT1_iilPiilS6_bb
                                        ; -- End function
	.set _ZN9rocsolver6v33100L18getri_kernel_smallILi6E19rocblas_complex_numIdEPS3_EEvT1_iilPiilS6_bb.num_vgpr, 57
	.set _ZN9rocsolver6v33100L18getri_kernel_smallILi6E19rocblas_complex_numIdEPS3_EEvT1_iilPiilS6_bb.num_agpr, 0
	.set _ZN9rocsolver6v33100L18getri_kernel_smallILi6E19rocblas_complex_numIdEPS3_EEvT1_iilPiilS6_bb.numbered_sgpr, 25
	.set _ZN9rocsolver6v33100L18getri_kernel_smallILi6E19rocblas_complex_numIdEPS3_EEvT1_iilPiilS6_bb.num_named_barrier, 0
	.set _ZN9rocsolver6v33100L18getri_kernel_smallILi6E19rocblas_complex_numIdEPS3_EEvT1_iilPiilS6_bb.private_seg_size, 112
	.set _ZN9rocsolver6v33100L18getri_kernel_smallILi6E19rocblas_complex_numIdEPS3_EEvT1_iilPiilS6_bb.uses_vcc, 1
	.set _ZN9rocsolver6v33100L18getri_kernel_smallILi6E19rocblas_complex_numIdEPS3_EEvT1_iilPiilS6_bb.uses_flat_scratch, 0
	.set _ZN9rocsolver6v33100L18getri_kernel_smallILi6E19rocblas_complex_numIdEPS3_EEvT1_iilPiilS6_bb.has_dyn_sized_stack, 0
	.set _ZN9rocsolver6v33100L18getri_kernel_smallILi6E19rocblas_complex_numIdEPS3_EEvT1_iilPiilS6_bb.has_recursion, 0
	.set _ZN9rocsolver6v33100L18getri_kernel_smallILi6E19rocblas_complex_numIdEPS3_EEvT1_iilPiilS6_bb.has_indirect_call, 0
	.section	.AMDGPU.csdata,"",@progbits
; Kernel info:
; codeLenInByte = 7292
; TotalNumSgprs: 27
; NumVgprs: 57
; ScratchSize: 112
; MemoryBound: 0
; FloatMode: 240
; IeeeMode: 1
; LDSByteSize: 1224 bytes/workgroup (compile time only)
; SGPRBlocks: 0
; VGPRBlocks: 7
; NumSGPRsForWavesPerEU: 27
; NumVGPRsForWavesPerEU: 57
; Occupancy: 16
; WaveLimiterHint : 1
; COMPUTE_PGM_RSRC2:SCRATCH_EN: 1
; COMPUTE_PGM_RSRC2:USER_SGPR: 8
; COMPUTE_PGM_RSRC2:TRAP_HANDLER: 0
; COMPUTE_PGM_RSRC2:TGID_X_EN: 1
; COMPUTE_PGM_RSRC2:TGID_Y_EN: 0
; COMPUTE_PGM_RSRC2:TGID_Z_EN: 0
; COMPUTE_PGM_RSRC2:TIDIG_COMP_CNT: 2
	.section	.text._ZN9rocsolver6v33100L18getri_kernel_smallILi7E19rocblas_complex_numIdEPS3_EEvT1_iilPiilS6_bb,"axG",@progbits,_ZN9rocsolver6v33100L18getri_kernel_smallILi7E19rocblas_complex_numIdEPS3_EEvT1_iilPiilS6_bb,comdat
	.globl	_ZN9rocsolver6v33100L18getri_kernel_smallILi7E19rocblas_complex_numIdEPS3_EEvT1_iilPiilS6_bb ; -- Begin function _ZN9rocsolver6v33100L18getri_kernel_smallILi7E19rocblas_complex_numIdEPS3_EEvT1_iilPiilS6_bb
	.p2align	8
	.type	_ZN9rocsolver6v33100L18getri_kernel_smallILi7E19rocblas_complex_numIdEPS3_EEvT1_iilPiilS6_bb,@function
_ZN9rocsolver6v33100L18getri_kernel_smallILi7E19rocblas_complex_numIdEPS3_EEvT1_iilPiilS6_bb: ; @_ZN9rocsolver6v33100L18getri_kernel_smallILi7E19rocblas_complex_numIdEPS3_EEvT1_iilPiilS6_bb
; %bb.0:
	s_add_u32 s0, s0, s9
	s_addc_u32 s1, s1, 0
	s_mov_b32 s9, exec_lo
	v_cmpx_gt_u32_e32 7, v0
	s_cbranch_execz .LBB6_42
; %bb.1:
	s_clause 0x2
	s_load_dword s9, s[6:7], 0x38
	s_load_dwordx4 s[20:23], s[6:7], 0x10
	s_load_dwordx4 s[12:15], s[6:7], 0x28
	s_waitcnt lgkmcnt(0)
	s_bitcmp1_b32 s9, 8
	s_cselect_b32 s24, -1, 0
	s_bfe_u32 s10, s9, 0x10008
	s_ashr_i32 s9, s8, 31
	s_cmp_eq_u32 s10, 0
                                        ; implicit-def: $sgpr10_sgpr11
	s_cbranch_scc1 .LBB6_3
; %bb.2:
	s_load_dword s10, s[6:7], 0x20
	s_mul_i32 s11, s12, s9
	s_mul_hi_u32 s16, s12, s8
	s_mul_i32 s13, s13, s8
	s_add_i32 s11, s16, s11
	s_mul_i32 s12, s12, s8
	s_add_i32 s13, s11, s13
	s_lshl_b64 s[12:13], s[12:13], 2
	s_waitcnt lgkmcnt(0)
	s_ashr_i32 s11, s10, 31
	s_add_u32 s12, s22, s12
	s_addc_u32 s13, s23, s13
	s_lshl_b64 s[10:11], s[10:11], 2
	s_add_u32 s10, s12, s10
	s_addc_u32 s11, s13, s11
.LBB6_3:
	s_clause 0x1
	s_load_dwordx4 s[16:19], s[6:7], 0x0
	s_load_dword s22, s[6:7], 0x38
	s_mul_i32 s6, s20, s9
	s_mul_hi_u32 s7, s20, s8
	s_mul_i32 s12, s21, s8
	s_add_i32 s7, s7, s6
	s_mul_i32 s6, s20, s8
	s_add_i32 s7, s7, s12
	v_lshlrev_b32_e32 v27, 4, v0
	s_lshl_b64 s[6:7], s[6:7], 4
	s_waitcnt lgkmcnt(0)
	v_add3_u32 v3, s19, s19, v0
	s_ashr_i32 s13, s18, 31
	s_mov_b32 s12, s18
	s_add_u32 s16, s16, s6
	s_addc_u32 s17, s17, s7
	v_add_nc_u32_e32 v11, s19, v3
	s_lshl_b64 s[6:7], s[12:13], 4
	v_ashrrev_i32_e32 v4, 31, v3
	s_add_u32 s6, s16, s6
	s_addc_u32 s7, s17, s7
	v_ashrrev_i32_e32 v12, 31, v11
	v_add_nc_u32_e32 v13, s19, v11
	v_add_co_u32 v7, s16, s6, v27
	s_mov_b32 s12, s19
	s_ashr_i32 s13, s19, 31
	v_lshlrev_b64 v[15:16], 4, v[3:4]
	v_add_co_ci_u32_e64 v8, null, s7, 0, s16
	s_lshl_b64 s[12:13], s[12:13], 4
	v_lshlrev_b64 v[17:18], 4, v[11:12]
	v_ashrrev_i32_e32 v14, 31, v13
	v_add_nc_u32_e32 v19, s19, v13
	v_add_co_u32 v9, vcc_lo, v7, s12
	v_add_co_ci_u32_e64 v10, null, s13, v8, vcc_lo
	v_add_co_u32 v11, vcc_lo, s6, v15
	v_add_co_ci_u32_e64 v12, null, s7, v16, vcc_lo
	v_lshlrev_b64 v[15:16], 4, v[13:14]
	v_add_co_u32 v13, vcc_lo, s6, v17
	v_add_nc_u32_e32 v17, s19, v19
	v_ashrrev_i32_e32 v20, 31, v19
	v_add_co_ci_u32_e64 v14, null, s7, v18, vcc_lo
	v_add_co_u32 v15, vcc_lo, s6, v15
	v_ashrrev_i32_e32 v18, 31, v17
	v_lshlrev_b64 v[19:20], 4, v[19:20]
	v_add_co_ci_u32_e64 v16, null, s7, v16, vcc_lo
	s_clause 0x1
	global_load_dwordx4 v[3:6], v27, s[6:7]
	global_load_dwordx4 v[21:24], v[9:10], off
	v_lshlrev_b64 v[17:18], 4, v[17:18]
	v_add_co_u32 v19, vcc_lo, s6, v19
	v_add_co_ci_u32_e64 v20, null, s7, v20, vcc_lo
	s_clause 0x2
	global_load_dwordx4 v[28:31], v[11:12], off
	global_load_dwordx4 v[32:35], v[13:14], off
	;; [unrolled: 1-line block ×3, first 2 shown]
	v_add_co_u32 v17, vcc_lo, s6, v17
	v_add_co_ci_u32_e64 v18, null, s7, v18, vcc_lo
	s_clause 0x1
	global_load_dwordx4 v[40:43], v[19:20], off
	global_load_dwordx4 v[44:47], v[17:18], off
	s_movk_i32 s13, 0x50
	s_movk_i32 s12, 0x60
	s_mov_b32 s7, -1
	s_mov_b32 s19, 16
	s_mov_b32 s18, 32
	;; [unrolled: 1-line block ×4, first 2 shown]
	s_bitcmp0_b32 s22, 0
	s_waitcnt vmcnt(6)
	buffer_store_dword v6, off, s[0:3], 0 offset:12
	buffer_store_dword v5, off, s[0:3], 0 offset:8
	buffer_store_dword v4, off, s[0:3], 0 offset:4
	buffer_store_dword v3, off, s[0:3], 0
	s_waitcnt vmcnt(5)
	buffer_store_dword v24, off, s[0:3], 0 offset:28
	buffer_store_dword v23, off, s[0:3], 0 offset:24
	buffer_store_dword v22, off, s[0:3], 0 offset:20
	buffer_store_dword v21, off, s[0:3], 0 offset:16
	s_waitcnt vmcnt(4)
	buffer_store_dword v31, off, s[0:3], 0 offset:44
	buffer_store_dword v30, off, s[0:3], 0 offset:40
	buffer_store_dword v29, off, s[0:3], 0 offset:36
	buffer_store_dword v28, off, s[0:3], 0 offset:32
	;; [unrolled: 5-line block ×6, first 2 shown]
	s_cbranch_scc1 .LBB6_40
; %bb.4:
	v_cmp_eq_u32_e64 s6, 0, v0
	s_and_saveexec_b32 s7, s6
; %bb.5:
	v_mov_b32_e32 v3, 0
	ds_write_b32 v3, v3 offset:224
; %bb.6:
	s_or_b32 exec_lo, exec_lo, s7
	v_lshl_add_u32 v28, v0, 4, 0
	s_waitcnt lgkmcnt(0)
	s_waitcnt_vscnt null, 0x0
	s_barrier
	buffer_gl0_inv
	s_clause 0x3
	buffer_load_dword v3, v28, s[0:3], 0 offen
	buffer_load_dword v4, v28, s[0:3], 0 offen offset:4
	buffer_load_dword v5, v28, s[0:3], 0 offen offset:8
	;; [unrolled: 1-line block ×3, first 2 shown]
	s_waitcnt vmcnt(2)
	v_cmp_eq_f64_e32 vcc_lo, 0, v[3:4]
	s_waitcnt vmcnt(0)
	v_cmp_eq_f64_e64 s7, 0, v[5:6]
	s_and_b32 s7, vcc_lo, s7
	s_and_saveexec_b32 s20, s7
	s_cbranch_execz .LBB6_10
; %bb.7:
	v_mov_b32_e32 v3, 0
	s_mov_b32 s21, 0
	ds_read_b32 v4, v3 offset:224
	s_waitcnt lgkmcnt(0)
	v_readfirstlane_b32 s7, v4
	v_add_nc_u32_e32 v4, 1, v0
	s_cmp_eq_u32 s7, 0
	v_cmp_gt_i32_e32 vcc_lo, s7, v4
	s_cselect_b32 s22, -1, 0
	s_or_b32 s22, s22, vcc_lo
	s_and_b32 exec_lo, exec_lo, s22
	s_cbranch_execz .LBB6_10
; %bb.8:
	v_mov_b32_e32 v5, s7
.LBB6_9:                                ; =>This Inner Loop Header: Depth=1
	ds_cmpst_rtn_b32 v5, v3, v5, v4 offset:224
	s_waitcnt lgkmcnt(0)
	v_cmp_ne_u32_e32 vcc_lo, 0, v5
	v_cmp_le_i32_e64 s7, v5, v4
	s_and_b32 s7, vcc_lo, s7
	s_and_b32 s7, exec_lo, s7
	s_or_b32 s21, s7, s21
	s_andn2_b32 exec_lo, exec_lo, s21
	s_cbranch_execnz .LBB6_9
.LBB6_10:
	s_or_b32 exec_lo, exec_lo, s20
	v_mov_b32_e32 v3, 0
	s_barrier
	buffer_gl0_inv
	ds_read_b32 v4, v3 offset:224
	s_and_saveexec_b32 s7, s6
	s_cbranch_execz .LBB6_12
; %bb.11:
	s_lshl_b64 s[20:21], s[8:9], 2
	s_add_u32 s20, s14, s20
	s_addc_u32 s21, s15, s21
	s_waitcnt lgkmcnt(0)
	global_store_dword v3, v4, s[20:21]
.LBB6_12:
	s_or_b32 exec_lo, exec_lo, s7
	s_waitcnt lgkmcnt(0)
	v_cmp_ne_u32_e32 vcc_lo, 0, v4
	s_mov_b32 s7, 0
	s_cbranch_vccnz .LBB6_40
; %bb.13:
	s_clause 0x3
	buffer_load_dword v23, v28, s[0:3], 0 offen
	buffer_load_dword v24, v28, s[0:3], 0 offen offset:4
	buffer_load_dword v25, v28, s[0:3], 0 offen offset:8
	;; [unrolled: 1-line block ×3, first 2 shown]
                                        ; implicit-def: $vgpr21_vgpr22
                                        ; implicit-def: $vgpr5_vgpr6
	s_waitcnt vmcnt(0)
	v_cmp_ngt_f64_e64 s7, |v[23:24]|, |v[25:26]|
	s_and_saveexec_b32 s20, s7
	s_xor_b32 s7, exec_lo, s20
	s_cbranch_execz .LBB6_15
; %bb.14:
	v_div_scale_f64 v[3:4], null, v[25:26], v[25:26], v[23:24]
	v_div_scale_f64 v[29:30], vcc_lo, v[23:24], v[25:26], v[23:24]
	v_rcp_f64_e32 v[5:6], v[3:4]
	v_fma_f64 v[21:22], -v[3:4], v[5:6], 1.0
	v_fma_f64 v[5:6], v[5:6], v[21:22], v[5:6]
	v_fma_f64 v[21:22], -v[3:4], v[5:6], 1.0
	v_fma_f64 v[5:6], v[5:6], v[21:22], v[5:6]
	v_mul_f64 v[21:22], v[29:30], v[5:6]
	v_fma_f64 v[3:4], -v[3:4], v[21:22], v[29:30]
	v_div_fmas_f64 v[3:4], v[3:4], v[5:6], v[21:22]
	v_div_fixup_f64 v[3:4], v[3:4], v[25:26], v[23:24]
	v_fma_f64 v[5:6], v[23:24], v[3:4], v[25:26]
	v_div_scale_f64 v[21:22], null, v[5:6], v[5:6], 1.0
	v_div_scale_f64 v[29:30], vcc_lo, 1.0, v[5:6], 1.0
	v_rcp_f64_e32 v[23:24], v[21:22]
	v_fma_f64 v[25:26], -v[21:22], v[23:24], 1.0
	v_fma_f64 v[23:24], v[23:24], v[25:26], v[23:24]
	v_fma_f64 v[25:26], -v[21:22], v[23:24], 1.0
	v_fma_f64 v[23:24], v[23:24], v[25:26], v[23:24]
	v_mul_f64 v[25:26], v[29:30], v[23:24]
	v_fma_f64 v[21:22], -v[21:22], v[25:26], v[29:30]
	v_div_fmas_f64 v[21:22], v[21:22], v[23:24], v[25:26]
                                        ; implicit-def: $vgpr23_vgpr24
                                        ; implicit-def: $vgpr25_vgpr26
	v_div_fixup_f64 v[5:6], v[21:22], v[5:6], 1.0
	v_mul_f64 v[21:22], v[3:4], v[5:6]
	v_xor_b32_e32 v6, 0x80000000, v6
	v_xor_b32_e32 v4, 0x80000000, v22
	v_mov_b32_e32 v3, v21
.LBB6_15:
	s_andn2_saveexec_b32 s7, s7
	s_cbranch_execz .LBB6_17
; %bb.16:
	v_div_scale_f64 v[3:4], null, v[23:24], v[23:24], v[25:26]
	v_div_scale_f64 v[29:30], vcc_lo, v[25:26], v[23:24], v[25:26]
	v_rcp_f64_e32 v[5:6], v[3:4]
	v_fma_f64 v[21:22], -v[3:4], v[5:6], 1.0
	v_fma_f64 v[5:6], v[5:6], v[21:22], v[5:6]
	v_fma_f64 v[21:22], -v[3:4], v[5:6], 1.0
	v_fma_f64 v[5:6], v[5:6], v[21:22], v[5:6]
	v_mul_f64 v[21:22], v[29:30], v[5:6]
	v_fma_f64 v[3:4], -v[3:4], v[21:22], v[29:30]
	v_div_fmas_f64 v[3:4], v[3:4], v[5:6], v[21:22]
	v_div_fixup_f64 v[3:4], v[3:4], v[23:24], v[25:26]
	v_fma_f64 v[5:6], v[25:26], v[3:4], v[23:24]
	v_div_scale_f64 v[21:22], null, v[5:6], v[5:6], 1.0
	v_rcp_f64_e32 v[23:24], v[21:22]
	v_fma_f64 v[25:26], -v[21:22], v[23:24], 1.0
	v_fma_f64 v[23:24], v[23:24], v[25:26], v[23:24]
	v_fma_f64 v[25:26], -v[21:22], v[23:24], 1.0
	v_fma_f64 v[23:24], v[23:24], v[25:26], v[23:24]
	v_div_scale_f64 v[25:26], vcc_lo, 1.0, v[5:6], 1.0
	v_mul_f64 v[29:30], v[25:26], v[23:24]
	v_fma_f64 v[21:22], -v[21:22], v[29:30], v[25:26]
	v_div_fmas_f64 v[21:22], v[21:22], v[23:24], v[29:30]
	v_div_fixup_f64 v[21:22], v[21:22], v[5:6], 1.0
	v_mul_f64 v[5:6], v[3:4], -v[21:22]
	v_xor_b32_e32 v4, 0x80000000, v22
	v_mov_b32_e32 v3, v21
.LBB6_17:
	s_or_b32 exec_lo, exec_lo, s7
	v_mov_b32_e32 v26, s19
	buffer_store_dword v22, v28, s[0:3], 0 offen offset:4
	buffer_store_dword v21, v28, s[0:3], 0 offen
	buffer_store_dword v6, v28, s[0:3], 0 offen offset:12
	buffer_store_dword v5, v28, s[0:3], 0 offen offset:8
	v_xor_b32_e32 v6, 0x80000000, v6
	v_add_nc_u32_e32 v21, 0x70, v27
	s_clause 0x3
	buffer_load_dword v25, v26, s[0:3], 0 offen offset:12
	buffer_load_dword v24, v26, s[0:3], 0 offen offset:8
	;; [unrolled: 1-line block ×3, first 2 shown]
	buffer_load_dword v22, v26, s[0:3], 0 offen
	ds_write_b128 v27, v[3:6]
	s_waitcnt vmcnt(0)
	ds_write_b128 v27, v[22:25] offset:112
	s_waitcnt lgkmcnt(0)
	s_waitcnt_vscnt null, 0x0
	s_barrier
	buffer_gl0_inv
	s_and_saveexec_b32 s7, s6
	s_cbranch_execz .LBB6_19
; %bb.18:
	s_clause 0x3
	buffer_load_dword v29, v28, s[0:3], 0 offen offset:8
	buffer_load_dword v30, v28, s[0:3], 0 offen offset:12
	buffer_load_dword v31, v28, s[0:3], 0 offen
	buffer_load_dword v32, v28, s[0:3], 0 offen offset:4
	ds_read_b128 v[3:6], v21
	v_mov_b32_e32 v22, 0
	ds_read_b128 v[22:25], v22 offset:16
	s_waitcnt vmcnt(2) lgkmcnt(1)
	v_mul_f64 v[33:34], v[3:4], v[29:30]
	v_mul_f64 v[29:30], v[5:6], v[29:30]
	s_waitcnt vmcnt(0)
	v_fma_f64 v[5:6], v[5:6], v[31:32], v[33:34]
	v_fma_f64 v[3:4], v[3:4], v[31:32], -v[29:30]
	v_add_f64 v[5:6], v[5:6], 0
	v_add_f64 v[3:4], v[3:4], 0
	s_waitcnt lgkmcnt(0)
	v_mul_f64 v[29:30], v[5:6], v[24:25]
	v_mul_f64 v[24:25], v[3:4], v[24:25]
	v_fma_f64 v[3:4], v[3:4], v[22:23], -v[29:30]
	v_fma_f64 v[5:6], v[5:6], v[22:23], v[24:25]
	buffer_store_dword v3, off, s[0:3], 0 offset:16
	buffer_store_dword v4, off, s[0:3], 0 offset:20
	;; [unrolled: 1-line block ×4, first 2 shown]
.LBB6_19:
	s_or_b32 exec_lo, exec_lo, s7
	v_mov_b32_e32 v6, s18
	s_waitcnt_vscnt null, 0x0
	s_barrier
	buffer_gl0_inv
	s_mov_b32 s7, exec_lo
	s_clause 0x3
	buffer_load_dword v3, v6, s[0:3], 0 offen
	buffer_load_dword v4, v6, s[0:3], 0 offen offset:4
	buffer_load_dword v5, v6, s[0:3], 0 offen offset:8
	;; [unrolled: 1-line block ×3, first 2 shown]
	s_waitcnt vmcnt(0)
	ds_write_b128 v21, v[3:6]
	s_waitcnt lgkmcnt(0)
	s_barrier
	buffer_gl0_inv
	v_cmpx_gt_u32_e32 2, v0
	s_cbranch_execz .LBB6_23
; %bb.20:
	s_clause 0x3
	buffer_load_dword v22, v28, s[0:3], 0 offen offset:8
	buffer_load_dword v23, v28, s[0:3], 0 offen offset:12
	buffer_load_dword v24, v28, s[0:3], 0 offen
	buffer_load_dword v25, v28, s[0:3], 0 offen offset:4
	ds_read_b128 v[3:6], v21
	s_waitcnt vmcnt(2) lgkmcnt(0)
	v_mul_f64 v[28:29], v[5:6], v[22:23]
	v_mul_f64 v[22:23], v[3:4], v[22:23]
	s_waitcnt vmcnt(0)
	v_fma_f64 v[3:4], v[3:4], v[24:25], -v[28:29]
	v_fma_f64 v[5:6], v[5:6], v[24:25], v[22:23]
	v_add_f64 v[3:4], v[3:4], 0
	v_add_f64 v[5:6], v[5:6], 0
	s_and_saveexec_b32 s20, s6
	s_cbranch_execz .LBB6_22
; %bb.21:
	s_clause 0x3
	buffer_load_dword v28, off, s[0:3], 0 offset:24
	buffer_load_dword v29, off, s[0:3], 0 offset:28
	;; [unrolled: 1-line block ×4, first 2 shown]
	v_mov_b32_e32 v22, 0
	ds_read_b128 v[22:25], v22 offset:128
	s_waitcnt vmcnt(2) lgkmcnt(0)
	v_mul_f64 v[32:33], v[22:23], v[28:29]
	v_mul_f64 v[28:29], v[24:25], v[28:29]
	s_waitcnt vmcnt(0)
	v_fma_f64 v[24:25], v[24:25], v[30:31], v[32:33]
	v_fma_f64 v[22:23], v[22:23], v[30:31], -v[28:29]
	v_add_f64 v[5:6], v[5:6], v[24:25]
	v_add_f64 v[3:4], v[3:4], v[22:23]
.LBB6_22:
	s_or_b32 exec_lo, exec_lo, s20
	v_mov_b32_e32 v22, 0
	ds_read_b128 v[22:25], v22 offset:32
	s_waitcnt lgkmcnt(0)
	v_mul_f64 v[28:29], v[5:6], v[24:25]
	v_mul_f64 v[24:25], v[3:4], v[24:25]
	v_fma_f64 v[3:4], v[3:4], v[22:23], -v[28:29]
	v_fma_f64 v[5:6], v[5:6], v[22:23], v[24:25]
	buffer_store_dword v4, off, s[0:3], 0 offset:36
	buffer_store_dword v3, off, s[0:3], 0 offset:32
	;; [unrolled: 1-line block ×4, first 2 shown]
.LBB6_23:
	s_or_b32 exec_lo, exec_lo, s7
	v_mov_b32_e32 v6, s17
	s_waitcnt_vscnt null, 0x0
	s_barrier
	buffer_gl0_inv
	v_add_nc_u32_e32 v22, -1, v0
	s_clause 0x3
	buffer_load_dword v3, v6, s[0:3], 0 offen
	buffer_load_dword v4, v6, s[0:3], 0 offen offset:4
	buffer_load_dword v5, v6, s[0:3], 0 offen offset:8
	;; [unrolled: 1-line block ×3, first 2 shown]
	s_mov_b32 s6, exec_lo
	s_waitcnt vmcnt(0)
	ds_write_b128 v21, v[3:6]
	s_waitcnt lgkmcnt(0)
	s_barrier
	buffer_gl0_inv
	v_cmpx_gt_u32_e32 3, v0
	s_cbranch_execz .LBB6_27
; %bb.24:
	v_mov_b32_e32 v3, 0
	v_mov_b32_e32 v5, 0
	v_add_nc_u32_e32 v23, -1, v0
	v_add_nc_u32_e32 v24, 0x70, v27
	v_mov_b32_e32 v4, 0
	v_mov_b32_e32 v6, 0
	;; [unrolled: 1-line block ×3, first 2 shown]
	s_mov_b32 s7, 0
	.p2align	6
.LBB6_25:                               ; =>This Inner Loop Header: Depth=1
	s_clause 0x3
	buffer_load_dword v32, v25, s[0:3], 0 offen offset:8
	buffer_load_dword v33, v25, s[0:3], 0 offen offset:12
	buffer_load_dword v34, v25, s[0:3], 0 offen
	buffer_load_dword v35, v25, s[0:3], 0 offen offset:4
	ds_read_b128 v[28:31], v24
	v_add_nc_u32_e32 v23, 1, v23
	v_add_nc_u32_e32 v24, 16, v24
	;; [unrolled: 1-line block ×3, first 2 shown]
	v_cmp_lt_u32_e32 vcc_lo, 1, v23
	s_or_b32 s7, vcc_lo, s7
	s_waitcnt vmcnt(2) lgkmcnt(0)
	v_mul_f64 v[36:37], v[30:31], v[32:33]
	v_mul_f64 v[32:33], v[28:29], v[32:33]
	s_waitcnt vmcnt(0)
	v_fma_f64 v[28:29], v[28:29], v[34:35], -v[36:37]
	v_fma_f64 v[30:31], v[30:31], v[34:35], v[32:33]
	v_add_f64 v[5:6], v[5:6], v[28:29]
	v_add_f64 v[3:4], v[3:4], v[30:31]
	s_andn2_b32 exec_lo, exec_lo, s7
	s_cbranch_execnz .LBB6_25
; %bb.26:
	s_or_b32 exec_lo, exec_lo, s7
	v_mov_b32_e32 v23, 0
	ds_read_b128 v[23:26], v23 offset:48
	s_waitcnt lgkmcnt(0)
	v_mul_f64 v[28:29], v[3:4], v[25:26]
	v_mul_f64 v[25:26], v[5:6], v[25:26]
	v_fma_f64 v[5:6], v[5:6], v[23:24], -v[28:29]
	v_fma_f64 v[3:4], v[3:4], v[23:24], v[25:26]
	buffer_store_dword v6, off, s[0:3], 0 offset:52
	buffer_store_dword v5, off, s[0:3], 0 offset:48
	buffer_store_dword v4, off, s[0:3], 0 offset:60
	buffer_store_dword v3, off, s[0:3], 0 offset:56
.LBB6_27:
	s_or_b32 exec_lo, exec_lo, s6
	v_mov_b32_e32 v6, s16
	s_waitcnt_vscnt null, 0x0
	s_barrier
	buffer_gl0_inv
	s_mov_b32 s6, exec_lo
	s_clause 0x3
	buffer_load_dword v3, v6, s[0:3], 0 offen
	buffer_load_dword v4, v6, s[0:3], 0 offen offset:4
	buffer_load_dword v5, v6, s[0:3], 0 offen offset:8
	;; [unrolled: 1-line block ×3, first 2 shown]
	s_waitcnt vmcnt(0)
	ds_write_b128 v21, v[3:6]
	s_waitcnt lgkmcnt(0)
	s_barrier
	buffer_gl0_inv
	v_cmpx_gt_u32_e32 4, v0
	s_cbranch_execz .LBB6_31
; %bb.28:
	v_mov_b32_e32 v3, 0
	v_mov_b32_e32 v5, 0
	v_add_nc_u32_e32 v23, -1, v0
	v_add_nc_u32_e32 v24, 0x70, v27
	v_mov_b32_e32 v4, 0
	v_mov_b32_e32 v6, 0
	;; [unrolled: 1-line block ×3, first 2 shown]
	s_mov_b32 s7, 0
	.p2align	6
.LBB6_29:                               ; =>This Inner Loop Header: Depth=1
	s_clause 0x3
	buffer_load_dword v32, v25, s[0:3], 0 offen offset:8
	buffer_load_dword v33, v25, s[0:3], 0 offen offset:12
	buffer_load_dword v34, v25, s[0:3], 0 offen
	buffer_load_dword v35, v25, s[0:3], 0 offen offset:4
	ds_read_b128 v[28:31], v24
	v_add_nc_u32_e32 v23, 1, v23
	v_add_nc_u32_e32 v24, 16, v24
	;; [unrolled: 1-line block ×3, first 2 shown]
	v_cmp_lt_u32_e32 vcc_lo, 2, v23
	s_or_b32 s7, vcc_lo, s7
	s_waitcnt vmcnt(2) lgkmcnt(0)
	v_mul_f64 v[36:37], v[30:31], v[32:33]
	v_mul_f64 v[32:33], v[28:29], v[32:33]
	s_waitcnt vmcnt(0)
	v_fma_f64 v[28:29], v[28:29], v[34:35], -v[36:37]
	v_fma_f64 v[30:31], v[30:31], v[34:35], v[32:33]
	v_add_f64 v[5:6], v[5:6], v[28:29]
	v_add_f64 v[3:4], v[3:4], v[30:31]
	s_andn2_b32 exec_lo, exec_lo, s7
	s_cbranch_execnz .LBB6_29
; %bb.30:
	s_or_b32 exec_lo, exec_lo, s7
	v_mov_b32_e32 v23, 0
	ds_read_b128 v[23:26], v23 offset:64
	s_waitcnt lgkmcnt(0)
	v_mul_f64 v[28:29], v[3:4], v[25:26]
	v_mul_f64 v[25:26], v[5:6], v[25:26]
	v_fma_f64 v[5:6], v[5:6], v[23:24], -v[28:29]
	v_fma_f64 v[3:4], v[3:4], v[23:24], v[25:26]
	buffer_store_dword v6, off, s[0:3], 0 offset:68
	buffer_store_dword v5, off, s[0:3], 0 offset:64
	;; [unrolled: 1-line block ×4, first 2 shown]
.LBB6_31:
	s_or_b32 exec_lo, exec_lo, s6
	v_mov_b32_e32 v6, s13
	s_waitcnt_vscnt null, 0x0
	s_barrier
	buffer_gl0_inv
	s_mov_b32 s6, exec_lo
	s_clause 0x3
	buffer_load_dword v3, v6, s[0:3], 0 offen
	buffer_load_dword v4, v6, s[0:3], 0 offen offset:4
	buffer_load_dword v5, v6, s[0:3], 0 offen offset:8
	;; [unrolled: 1-line block ×3, first 2 shown]
	s_waitcnt vmcnt(0)
	ds_write_b128 v21, v[3:6]
	s_waitcnt lgkmcnt(0)
	s_barrier
	buffer_gl0_inv
	v_cmpx_gt_u32_e32 5, v0
	s_cbranch_execz .LBB6_35
; %bb.32:
	v_mov_b32_e32 v3, 0
	v_mov_b32_e32 v5, 0
	v_add_nc_u32_e32 v23, -1, v0
	v_add_nc_u32_e32 v24, 0x70, v27
	v_mov_b32_e32 v4, 0
	v_mov_b32_e32 v6, 0
	;; [unrolled: 1-line block ×3, first 2 shown]
	s_mov_b32 s7, 0
	.p2align	6
.LBB6_33:                               ; =>This Inner Loop Header: Depth=1
	s_clause 0x3
	buffer_load_dword v32, v25, s[0:3], 0 offen offset:8
	buffer_load_dword v33, v25, s[0:3], 0 offen offset:12
	buffer_load_dword v34, v25, s[0:3], 0 offen
	buffer_load_dword v35, v25, s[0:3], 0 offen offset:4
	ds_read_b128 v[28:31], v24
	v_add_nc_u32_e32 v23, 1, v23
	v_add_nc_u32_e32 v24, 16, v24
	;; [unrolled: 1-line block ×3, first 2 shown]
	v_cmp_lt_u32_e32 vcc_lo, 3, v23
	s_or_b32 s7, vcc_lo, s7
	s_waitcnt vmcnt(2) lgkmcnt(0)
	v_mul_f64 v[36:37], v[30:31], v[32:33]
	v_mul_f64 v[32:33], v[28:29], v[32:33]
	s_waitcnt vmcnt(0)
	v_fma_f64 v[28:29], v[28:29], v[34:35], -v[36:37]
	v_fma_f64 v[30:31], v[30:31], v[34:35], v[32:33]
	v_add_f64 v[5:6], v[5:6], v[28:29]
	v_add_f64 v[3:4], v[3:4], v[30:31]
	s_andn2_b32 exec_lo, exec_lo, s7
	s_cbranch_execnz .LBB6_33
; %bb.34:
	s_or_b32 exec_lo, exec_lo, s7
	v_mov_b32_e32 v23, 0
	ds_read_b128 v[23:26], v23 offset:80
	s_waitcnt lgkmcnt(0)
	v_mul_f64 v[28:29], v[3:4], v[25:26]
	v_mul_f64 v[25:26], v[5:6], v[25:26]
	v_fma_f64 v[5:6], v[5:6], v[23:24], -v[28:29]
	v_fma_f64 v[3:4], v[3:4], v[23:24], v[25:26]
	buffer_store_dword v6, off, s[0:3], 0 offset:84
	buffer_store_dword v5, off, s[0:3], 0 offset:80
	;; [unrolled: 1-line block ×4, first 2 shown]
.LBB6_35:
	s_or_b32 exec_lo, exec_lo, s6
	v_mov_b32_e32 v6, s12
	s_waitcnt_vscnt null, 0x0
	s_barrier
	buffer_gl0_inv
	s_mov_b32 s6, exec_lo
	s_clause 0x3
	buffer_load_dword v3, v6, s[0:3], 0 offen
	buffer_load_dword v4, v6, s[0:3], 0 offen offset:4
	buffer_load_dword v5, v6, s[0:3], 0 offen offset:8
	;; [unrolled: 1-line block ×3, first 2 shown]
	s_waitcnt vmcnt(0)
	ds_write_b128 v21, v[3:6]
	s_waitcnt lgkmcnt(0)
	s_barrier
	buffer_gl0_inv
	v_cmpx_ne_u32_e32 6, v0
	s_cbranch_execz .LBB6_39
; %bb.36:
	v_mov_b32_e32 v3, 0
	v_mov_b32_e32 v5, 0
	;; [unrolled: 1-line block ×5, first 2 shown]
	s_mov_b32 s7, 0
	.p2align	6
.LBB6_37:                               ; =>This Inner Loop Header: Depth=1
	s_clause 0x3
	buffer_load_dword v28, v23, s[0:3], 0 offen offset:8
	buffer_load_dword v29, v23, s[0:3], 0 offen offset:12
	buffer_load_dword v30, v23, s[0:3], 0 offen
	buffer_load_dword v31, v23, s[0:3], 0 offen offset:4
	ds_read_b128 v[24:27], v21
	v_add_nc_u32_e32 v22, 1, v22
	v_add_nc_u32_e32 v21, 16, v21
	;; [unrolled: 1-line block ×3, first 2 shown]
	v_cmp_lt_u32_e32 vcc_lo, 4, v22
	s_or_b32 s7, vcc_lo, s7
	s_waitcnt vmcnt(2) lgkmcnt(0)
	v_mul_f64 v[32:33], v[26:27], v[28:29]
	v_mul_f64 v[28:29], v[24:25], v[28:29]
	s_waitcnt vmcnt(0)
	v_fma_f64 v[24:25], v[24:25], v[30:31], -v[32:33]
	v_fma_f64 v[26:27], v[26:27], v[30:31], v[28:29]
	v_add_f64 v[5:6], v[5:6], v[24:25]
	v_add_f64 v[3:4], v[3:4], v[26:27]
	s_andn2_b32 exec_lo, exec_lo, s7
	s_cbranch_execnz .LBB6_37
; %bb.38:
	s_or_b32 exec_lo, exec_lo, s7
	v_mov_b32_e32 v21, 0
	ds_read_b128 v[21:24], v21 offset:96
	s_waitcnt lgkmcnt(0)
	v_mul_f64 v[25:26], v[3:4], v[23:24]
	v_mul_f64 v[23:24], v[5:6], v[23:24]
	v_fma_f64 v[5:6], v[5:6], v[21:22], -v[25:26]
	v_fma_f64 v[3:4], v[3:4], v[21:22], v[23:24]
	buffer_store_dword v6, off, s[0:3], 0 offset:100
	buffer_store_dword v5, off, s[0:3], 0 offset:96
	buffer_store_dword v4, off, s[0:3], 0 offset:108
	buffer_store_dword v3, off, s[0:3], 0 offset:104
.LBB6_39:
	s_or_b32 exec_lo, exec_lo, s6
	s_mov_b32 s7, -1
	s_waitcnt_vscnt null, 0x0
	s_barrier
	buffer_gl0_inv
.LBB6_40:
	s_and_b32 vcc_lo, exec_lo, s7
	s_cbranch_vccz .LBB6_42
; %bb.41:
	s_lshl_b64 s[6:7], s[8:9], 2
	v_mov_b32_e32 v3, 0
	s_add_u32 s6, s14, s6
	s_addc_u32 s7, s15, s7
	global_load_dword v3, v3, s[6:7]
	s_waitcnt vmcnt(0)
	v_cmp_ne_u32_e32 vcc_lo, 0, v3
	s_cbranch_vccz .LBB6_43
.LBB6_42:
	s_endpgm
.LBB6_43:
	v_lshl_add_u32 v3, v0, 4, 0x70
	s_mov_b32 s6, exec_lo
	v_cmpx_eq_u32_e32 6, v0
	s_cbranch_execz .LBB6_45
; %bb.44:
	v_mov_b32_e32 v4, s13
	s_clause 0x3
	buffer_load_dword v21, v4, s[0:3], 0 offen
	buffer_load_dword v22, v4, s[0:3], 0 offen offset:4
	buffer_load_dword v23, v4, s[0:3], 0 offen offset:8
	;; [unrolled: 1-line block ×3, first 2 shown]
	v_mov_b32_e32 v4, 0
	buffer_store_dword v4, off, s[0:3], 0 offset:80
	buffer_store_dword v4, off, s[0:3], 0 offset:84
	;; [unrolled: 1-line block ×4, first 2 shown]
	s_waitcnt vmcnt(0)
	ds_write_b128 v3, v[21:24]
.LBB6_45:
	s_or_b32 exec_lo, exec_lo, s6
	s_waitcnt lgkmcnt(0)
	s_waitcnt_vscnt null, 0x0
	s_barrier
	buffer_gl0_inv
	s_clause 0x7
	buffer_load_dword v5, off, s[0:3], 0 offset:104
	buffer_load_dword v6, off, s[0:3], 0 offset:108
	;; [unrolled: 1-line block ×8, first 2 shown]
	v_mov_b32_e32 v4, 0
	s_mov_b32 s6, exec_lo
	ds_read_b128 v[21:24], v4 offset:208
	s_waitcnt vmcnt(6) lgkmcnt(0)
	v_mul_f64 v[31:32], v[23:24], v[5:6]
	v_mul_f64 v[5:6], v[21:22], v[5:6]
	s_waitcnt vmcnt(4)
	v_fma_f64 v[21:22], v[21:22], v[25:26], -v[31:32]
	v_fma_f64 v[5:6], v[23:24], v[25:26], v[5:6]
	v_add_f64 v[21:22], v[21:22], 0
	v_add_f64 v[5:6], v[5:6], 0
	s_waitcnt vmcnt(2)
	v_add_f64 v[21:22], v[27:28], -v[21:22]
	s_waitcnt vmcnt(0)
	v_add_f64 v[5:6], v[29:30], -v[5:6]
	buffer_store_dword v21, off, s[0:3], 0 offset:80
	buffer_store_dword v22, off, s[0:3], 0 offset:84
	;; [unrolled: 1-line block ×4, first 2 shown]
	v_cmpx_lt_u32_e32 4, v0
	s_cbranch_execz .LBB6_47
; %bb.46:
	v_mov_b32_e32 v5, s16
	s_clause 0x3
	buffer_load_dword v21, v5, s[0:3], 0 offen
	buffer_load_dword v22, v5, s[0:3], 0 offen offset:4
	buffer_load_dword v23, v5, s[0:3], 0 offen offset:8
	;; [unrolled: 1-line block ×3, first 2 shown]
	buffer_store_dword v4, off, s[0:3], 0 offset:64
	buffer_store_dword v4, off, s[0:3], 0 offset:68
	;; [unrolled: 1-line block ×4, first 2 shown]
	s_waitcnt vmcnt(0)
	ds_write_b128 v3, v[21:24]
.LBB6_47:
	s_or_b32 exec_lo, exec_lo, s6
	s_waitcnt lgkmcnt(0)
	s_waitcnt_vscnt null, 0x0
	s_barrier
	buffer_gl0_inv
	s_clause 0xb
	buffer_load_dword v5, off, s[0:3], 0 offset:88
	buffer_load_dword v6, off, s[0:3], 0 offset:92
	;; [unrolled: 1-line block ×12, first 2 shown]
	ds_read_b128 v[21:24], v4 offset:192
	ds_read_b128 v[25:28], v4 offset:208
	s_mov_b32 s6, exec_lo
	s_waitcnt vmcnt(10) lgkmcnt(1)
	v_mul_f64 v[39:40], v[23:24], v[5:6]
	v_mul_f64 v[4:5], v[21:22], v[5:6]
	s_waitcnt vmcnt(8) lgkmcnt(0)
	v_mul_f64 v[41:42], v[27:28], v[29:30]
	v_mul_f64 v[29:30], v[25:26], v[29:30]
	s_waitcnt vmcnt(6)
	v_fma_f64 v[21:22], v[21:22], v[31:32], -v[39:40]
	v_fma_f64 v[4:5], v[23:24], v[31:32], v[4:5]
	s_waitcnt vmcnt(4)
	v_fma_f64 v[23:24], v[25:26], v[33:34], -v[41:42]
	v_fma_f64 v[25:26], v[27:28], v[33:34], v[29:30]
	v_add_f64 v[21:22], v[21:22], 0
	v_add_f64 v[4:5], v[4:5], 0
	;; [unrolled: 1-line block ×4, first 2 shown]
	s_waitcnt vmcnt(2)
	v_add_f64 v[21:22], v[35:36], -v[21:22]
	s_waitcnt vmcnt(0)
	v_add_f64 v[4:5], v[37:38], -v[4:5]
	buffer_store_dword v21, off, s[0:3], 0 offset:64
	buffer_store_dword v22, off, s[0:3], 0 offset:68
	buffer_store_dword v4, off, s[0:3], 0 offset:72
	buffer_store_dword v5, off, s[0:3], 0 offset:76
	v_cmpx_lt_u32_e32 3, v0
	s_cbranch_execz .LBB6_49
; %bb.48:
	v_mov_b32_e32 v4, s17
	s_clause 0x3
	buffer_load_dword v21, v4, s[0:3], 0 offen
	buffer_load_dword v22, v4, s[0:3], 0 offen offset:4
	buffer_load_dword v23, v4, s[0:3], 0 offen offset:8
	;; [unrolled: 1-line block ×3, first 2 shown]
	v_mov_b32_e32 v4, 0
	buffer_store_dword v4, off, s[0:3], 0 offset:48
	buffer_store_dword v4, off, s[0:3], 0 offset:52
	;; [unrolled: 1-line block ×4, first 2 shown]
	s_waitcnt vmcnt(0)
	ds_write_b128 v3, v[21:24]
.LBB6_49:
	s_or_b32 exec_lo, exec_lo, s6
	s_waitcnt lgkmcnt(0)
	s_waitcnt_vscnt null, 0x0
	s_barrier
	buffer_gl0_inv
	s_clause 0xf
	buffer_load_dword v5, off, s[0:3], 0 offset:72
	buffer_load_dword v6, off, s[0:3], 0 offset:76
	;; [unrolled: 1-line block ×16, first 2 shown]
	v_mov_b32_e32 v4, 0
	ds_read_b128 v[21:24], v4 offset:176
	ds_read_b128 v[25:28], v4 offset:192
	;; [unrolled: 1-line block ×3, first 2 shown]
	s_mov_b32 s6, exec_lo
	s_waitcnt vmcnt(14) lgkmcnt(2)
	v_mul_f64 v[47:48], v[23:24], v[5:6]
	v_mul_f64 v[5:6], v[21:22], v[5:6]
	s_waitcnt vmcnt(12) lgkmcnt(1)
	v_mul_f64 v[49:50], v[27:28], v[33:34]
	v_mul_f64 v[33:34], v[25:26], v[33:34]
	s_waitcnt vmcnt(10)
	v_fma_f64 v[21:22], v[21:22], v[35:36], -v[47:48]
	v_fma_f64 v[5:6], v[23:24], v[35:36], v[5:6]
	s_waitcnt vmcnt(8) lgkmcnt(0)
	v_mul_f64 v[35:36], v[31:32], v[37:38]
	s_waitcnt vmcnt(6)
	v_fma_f64 v[25:26], v[25:26], v[39:40], -v[49:50]
	v_mul_f64 v[23:24], v[29:30], v[37:38]
	v_fma_f64 v[27:28], v[27:28], v[39:40], v[33:34]
	v_add_f64 v[21:22], v[21:22], 0
	v_add_f64 v[5:6], v[5:6], 0
	s_waitcnt vmcnt(4)
	v_fma_f64 v[29:30], v[29:30], v[41:42], -v[35:36]
	v_fma_f64 v[23:24], v[31:32], v[41:42], v[23:24]
	v_add_f64 v[21:22], v[21:22], v[25:26]
	v_add_f64 v[5:6], v[5:6], v[27:28]
	;; [unrolled: 1-line block ×4, first 2 shown]
	s_waitcnt vmcnt(2)
	v_add_f64 v[21:22], v[43:44], -v[21:22]
	s_waitcnt vmcnt(0)
	v_add_f64 v[5:6], v[45:46], -v[5:6]
	buffer_store_dword v21, off, s[0:3], 0 offset:48
	buffer_store_dword v22, off, s[0:3], 0 offset:52
	;; [unrolled: 1-line block ×4, first 2 shown]
	v_cmpx_lt_u32_e32 2, v0
	s_cbranch_execz .LBB6_51
; %bb.50:
	v_mov_b32_e32 v5, s18
	s_clause 0x3
	buffer_load_dword v21, v5, s[0:3], 0 offen
	buffer_load_dword v22, v5, s[0:3], 0 offen offset:4
	buffer_load_dword v23, v5, s[0:3], 0 offen offset:8
	;; [unrolled: 1-line block ×3, first 2 shown]
	buffer_store_dword v4, off, s[0:3], 0 offset:32
	buffer_store_dword v4, off, s[0:3], 0 offset:36
	;; [unrolled: 1-line block ×4, first 2 shown]
	s_waitcnt vmcnt(0)
	ds_write_b128 v3, v[21:24]
.LBB6_51:
	s_or_b32 exec_lo, exec_lo, s6
	s_waitcnt lgkmcnt(0)
	s_waitcnt_vscnt null, 0x0
	s_barrier
	buffer_gl0_inv
	s_clause 0x13
	buffer_load_dword v5, off, s[0:3], 0 offset:56
	buffer_load_dword v6, off, s[0:3], 0 offset:60
	;; [unrolled: 1-line block ×20, first 2 shown]
	ds_read_b128 v[21:24], v4 offset:160
	ds_read_b128 v[25:28], v4 offset:176
	;; [unrolled: 1-line block ×3, first 2 shown]
	s_mov_b32 s6, exec_lo
	s_waitcnt vmcnt(18) lgkmcnt(2)
	v_mul_f64 v[51:52], v[23:24], v[5:6]
	v_mul_f64 v[5:6], v[21:22], v[5:6]
	s_waitcnt vmcnt(16) lgkmcnt(1)
	v_mul_f64 v[53:54], v[27:28], v[33:34]
	v_mul_f64 v[33:34], v[25:26], v[33:34]
	s_waitcnt vmcnt(14)
	v_fma_f64 v[51:52], v[21:22], v[35:36], -v[51:52]
	v_fma_f64 v[5:6], v[23:24], v[35:36], v[5:6]
	ds_read_b128 v[21:24], v4 offset:208
	s_waitcnt vmcnt(12) lgkmcnt(1)
	v_mul_f64 v[35:36], v[29:30], v[37:38]
	v_mul_f64 v[37:38], v[31:32], v[37:38]
	s_waitcnt vmcnt(10)
	v_fma_f64 v[25:26], v[25:26], v[39:40], -v[53:54]
	v_fma_f64 v[27:28], v[27:28], v[39:40], v[33:34]
	s_waitcnt vmcnt(8) lgkmcnt(0)
	v_mul_f64 v[39:40], v[23:24], v[41:42]
	v_add_f64 v[51:52], v[51:52], 0
	v_add_f64 v[4:5], v[5:6], 0
	v_mul_f64 v[33:34], v[21:22], v[41:42]
	s_waitcnt vmcnt(6)
	v_fma_f64 v[29:30], v[29:30], v[43:44], -v[37:38]
	v_fma_f64 v[31:32], v[31:32], v[43:44], v[35:36]
	s_waitcnt vmcnt(4)
	v_fma_f64 v[21:22], v[21:22], v[45:46], -v[39:40]
	v_add_f64 v[25:26], v[51:52], v[25:26]
	v_add_f64 v[4:5], v[4:5], v[27:28]
	v_fma_f64 v[23:24], v[23:24], v[45:46], v[33:34]
	v_add_f64 v[25:26], v[25:26], v[29:30]
	v_add_f64 v[4:5], v[4:5], v[31:32]
	v_add_f64 v[21:22], v[25:26], v[21:22]
	v_add_f64 v[4:5], v[4:5], v[23:24]
	s_waitcnt vmcnt(2)
	v_add_f64 v[21:22], v[47:48], -v[21:22]
	s_waitcnt vmcnt(0)
	v_add_f64 v[4:5], v[49:50], -v[4:5]
	buffer_store_dword v21, off, s[0:3], 0 offset:32
	buffer_store_dword v22, off, s[0:3], 0 offset:36
	;; [unrolled: 1-line block ×4, first 2 shown]
	v_cmpx_lt_u32_e32 1, v0
	s_cbranch_execz .LBB6_53
; %bb.52:
	v_mov_b32_e32 v4, s19
	s_clause 0x3
	buffer_load_dword v21, v4, s[0:3], 0 offen
	buffer_load_dword v22, v4, s[0:3], 0 offen offset:4
	buffer_load_dword v23, v4, s[0:3], 0 offen offset:8
	;; [unrolled: 1-line block ×3, first 2 shown]
	v_mov_b32_e32 v4, 0
	buffer_store_dword v4, off, s[0:3], 0 offset:16
	buffer_store_dword v4, off, s[0:3], 0 offset:20
	;; [unrolled: 1-line block ×4, first 2 shown]
	s_waitcnt vmcnt(0)
	ds_write_b128 v3, v[21:24]
.LBB6_53:
	s_or_b32 exec_lo, exec_lo, s6
	s_waitcnt lgkmcnt(0)
	s_waitcnt_vscnt null, 0x0
	s_barrier
	buffer_gl0_inv
	s_clause 0x17
	buffer_load_dword v5, off, s[0:3], 0 offset:40
	buffer_load_dword v6, off, s[0:3], 0 offset:44
	;; [unrolled: 1-line block ×24, first 2 shown]
	v_mov_b32_e32 v4, 0
	ds_read_b128 v[21:24], v4 offset:144
	ds_read_b128 v[25:28], v4 offset:160
	ds_read_b128 v[29:32], v4 offset:176
	s_mov_b32 s6, exec_lo
	s_waitcnt vmcnt(22) lgkmcnt(2)
	v_mul_f64 v[55:56], v[23:24], v[5:6]
	v_mul_f64 v[5:6], v[21:22], v[5:6]
	s_waitcnt vmcnt(20) lgkmcnt(1)
	v_mul_f64 v[57:58], v[27:28], v[33:34]
	v_mul_f64 v[33:34], v[25:26], v[33:34]
	s_waitcnt vmcnt(18)
	v_fma_f64 v[55:56], v[21:22], v[35:36], -v[55:56]
	v_fma_f64 v[5:6], v[23:24], v[35:36], v[5:6]
	ds_read_b128 v[21:24], v4 offset:192
	s_waitcnt vmcnt(16) lgkmcnt(1)
	v_mul_f64 v[35:36], v[29:30], v[37:38]
	v_mul_f64 v[37:38], v[31:32], v[37:38]
	s_waitcnt vmcnt(14)
	v_fma_f64 v[57:58], v[25:26], v[39:40], -v[57:58]
	v_fma_f64 v[33:34], v[27:28], v[39:40], v[33:34]
	ds_read_b128 v[25:28], v4 offset:208
	s_waitcnt vmcnt(10) lgkmcnt(1)
	v_mul_f64 v[39:40], v[21:22], v[41:42]
	v_add_f64 v[55:56], v[55:56], 0
	v_add_f64 v[5:6], v[5:6], 0
	v_mul_f64 v[41:42], v[23:24], v[41:42]
	s_waitcnt vmcnt(8)
	v_fma_f64 v[29:30], v[29:30], v[47:48], -v[37:38]
	v_fma_f64 v[31:32], v[31:32], v[47:48], v[35:36]
	s_waitcnt vmcnt(7) lgkmcnt(0)
	v_mul_f64 v[35:36], v[27:28], v[43:44]
	s_waitcnt vmcnt(5)
	v_fma_f64 v[23:24], v[23:24], v[49:50], v[39:40]
	v_add_f64 v[37:38], v[55:56], v[57:58]
	v_add_f64 v[5:6], v[5:6], v[33:34]
	v_fma_f64 v[21:22], v[21:22], v[49:50], -v[41:42]
	v_mul_f64 v[33:34], v[25:26], v[43:44]
	s_waitcnt vmcnt(4)
	v_fma_f64 v[25:26], v[25:26], v[45:46], -v[35:36]
	v_add_f64 v[29:30], v[37:38], v[29:30]
	v_add_f64 v[5:6], v[5:6], v[31:32]
	v_fma_f64 v[27:28], v[27:28], v[45:46], v[33:34]
	v_add_f64 v[21:22], v[29:30], v[21:22]
	v_add_f64 v[5:6], v[5:6], v[23:24]
	;; [unrolled: 1-line block ×4, first 2 shown]
	s_waitcnt vmcnt(2)
	v_add_f64 v[21:22], v[51:52], -v[21:22]
	s_waitcnt vmcnt(0)
	v_add_f64 v[5:6], v[53:54], -v[5:6]
	buffer_store_dword v22, off, s[0:3], 0 offset:20
	buffer_store_dword v21, off, s[0:3], 0 offset:16
	;; [unrolled: 1-line block ×4, first 2 shown]
	v_cmpx_ne_u32_e32 0, v0
	s_cbranch_execz .LBB6_55
; %bb.54:
	s_clause 0x3
	buffer_load_dword v21, off, s[0:3], 0
	buffer_load_dword v22, off, s[0:3], 0 offset:4
	buffer_load_dword v23, off, s[0:3], 0 offset:8
	;; [unrolled: 1-line block ×3, first 2 shown]
	buffer_store_dword v4, off, s[0:3], 0
	buffer_store_dword v4, off, s[0:3], 0 offset:4
	buffer_store_dword v4, off, s[0:3], 0 offset:8
	buffer_store_dword v4, off, s[0:3], 0 offset:12
	s_waitcnt vmcnt(0)
	ds_write_b128 v3, v[21:24]
.LBB6_55:
	s_or_b32 exec_lo, exec_lo, s6
	s_waitcnt lgkmcnt(0)
	s_waitcnt_vscnt null, 0x0
	s_barrier
	buffer_gl0_inv
	s_clause 0x1b
	buffer_load_dword v5, off, s[0:3], 0 offset:24
	buffer_load_dword v6, off, s[0:3], 0 offset:28
	;; [unrolled: 1-line block ×24, first 2 shown]
	buffer_load_dword v55, off, s[0:3], 0
	buffer_load_dword v56, off, s[0:3], 0 offset:4
	buffer_load_dword v57, off, s[0:3], 0 offset:8
	;; [unrolled: 1-line block ×3, first 2 shown]
	ds_read_b128 v[21:24], v4 offset:128
	ds_read_b128 v[25:28], v4 offset:144
	;; [unrolled: 1-line block ×3, first 2 shown]
	s_and_b32 vcc_lo, exec_lo, s24
	s_waitcnt vmcnt(26) lgkmcnt(2)
	v_mul_f64 v[59:60], v[23:24], v[5:6]
	v_mul_f64 v[5:6], v[21:22], v[5:6]
	s_waitcnt vmcnt(24) lgkmcnt(1)
	v_mul_f64 v[61:62], v[27:28], v[33:34]
	v_mul_f64 v[33:34], v[25:26], v[33:34]
	s_waitcnt vmcnt(22)
	v_fma_f64 v[59:60], v[21:22], v[35:36], -v[59:60]
	v_fma_f64 v[5:6], v[23:24], v[35:36], v[5:6]
	ds_read_b128 v[21:24], v4 offset:176
	s_waitcnt vmcnt(20) lgkmcnt(1)
	v_mul_f64 v[35:36], v[29:30], v[37:38]
	v_mul_f64 v[37:38], v[31:32], v[37:38]
	s_waitcnt vmcnt(18)
	v_fma_f64 v[61:62], v[25:26], v[39:40], -v[61:62]
	v_fma_f64 v[33:34], v[27:28], v[39:40], v[33:34]
	ds_read_b128 v[25:28], v4 offset:192
	s_waitcnt vmcnt(14) lgkmcnt(1)
	v_mul_f64 v[39:40], v[21:22], v[41:42]
	v_add_f64 v[59:60], v[59:60], 0
	v_add_f64 v[5:6], v[5:6], 0
	v_mul_f64 v[41:42], v[23:24], v[41:42]
	s_waitcnt vmcnt(12)
	v_fma_f64 v[29:30], v[29:30], v[47:48], -v[37:38]
	v_fma_f64 v[31:32], v[31:32], v[47:48], v[35:36]
	s_waitcnt vmcnt(11) lgkmcnt(0)
	v_mul_f64 v[35:36], v[25:26], v[43:44]
	v_mul_f64 v[43:44], v[27:28], v[43:44]
	s_waitcnt vmcnt(9)
	v_fma_f64 v[23:24], v[23:24], v[49:50], v[39:40]
	v_add_f64 v[37:38], v[59:60], v[61:62]
	v_add_f64 v[33:34], v[5:6], v[33:34]
	v_fma_f64 v[21:22], v[21:22], v[49:50], -v[41:42]
	ds_read_b128 v[3:6], v4 offset:208
	s_waitcnt vmcnt(6)
	v_fma_f64 v[27:28], v[27:28], v[45:46], v[35:36]
	v_fma_f64 v[25:26], v[25:26], v[45:46], -v[43:44]
	v_add_f64 v[29:30], v[37:38], v[29:30]
	v_add_f64 v[31:32], v[33:34], v[31:32]
	s_waitcnt lgkmcnt(0)
	v_mul_f64 v[37:38], v[5:6], v[51:52]
	v_mul_f64 v[33:34], v[3:4], v[51:52]
	v_add_f64 v[21:22], v[29:30], v[21:22]
	v_add_f64 v[23:24], v[31:32], v[23:24]
	s_waitcnt vmcnt(4)
	v_fma_f64 v[3:4], v[3:4], v[53:54], -v[37:38]
	v_fma_f64 v[5:6], v[5:6], v[53:54], v[33:34]
	v_add_f64 v[21:22], v[21:22], v[25:26]
	v_add_f64 v[23:24], v[23:24], v[27:28]
	;; [unrolled: 1-line block ×4, first 2 shown]
	s_waitcnt vmcnt(2)
	v_add_f64 v[3:4], v[55:56], -v[3:4]
	s_waitcnt vmcnt(0)
	v_add_f64 v[5:6], v[57:58], -v[5:6]
	buffer_store_dword v4, off, s[0:3], 0 offset:4
	buffer_store_dword v3, off, s[0:3], 0
	buffer_store_dword v6, off, s[0:3], 0 offset:12
	buffer_store_dword v5, off, s[0:3], 0 offset:8
	s_cbranch_vccz .LBB6_68
; %bb.56:
	v_mov_b32_e32 v3, 0
	s_load_dwordx2 s[4:5], s[4:5], 0x4
	global_load_dword v4, v3, s[10:11] offset:20
	s_waitcnt lgkmcnt(0)
	s_lshr_b32 s4, s4, 16
	v_mul_u32_u24_e32 v5, s5, v1
	s_mul_i32 s4, s4, s5
	v_mul_u32_u24_e32 v0, s4, v0
	v_add3_u32 v0, v0, v5, v2
	v_lshl_add_u32 v0, v0, 4, 0xe8
	s_waitcnt vmcnt(0)
	v_add_nc_u32_e32 v1, -1, v4
	v_cmp_ne_u32_e32 vcc_lo, 5, v1
	s_cbranch_vccz .LBB6_58
; %bb.57:
	v_lshlrev_b32_e32 v1, 4, v1
	v_mov_b32_e32 v6, s13
	v_mov_b32_e32 v21, v1
	s_clause 0x7
	buffer_load_dword v1, v6, s[0:3], 0 offen
	buffer_load_dword v2, v6, s[0:3], 0 offen offset:4
	buffer_load_dword v4, v6, s[0:3], 0 offen offset:8
	;; [unrolled: 1-line block ×3, first 2 shown]
	buffer_load_dword v22, v21, s[0:3], 0 offen
	buffer_load_dword v23, v21, s[0:3], 0 offen offset:4
	buffer_load_dword v24, v21, s[0:3], 0 offen offset:8
	;; [unrolled: 1-line block ×3, first 2 shown]
	s_waitcnt vmcnt(4)
	ds_write2_b64 v0, v[1:2], v[4:5] offset1:1
	s_waitcnt vmcnt(3)
	buffer_store_dword v22, v6, s[0:3], 0 offen
	s_waitcnt vmcnt(2)
	buffer_store_dword v23, v6, s[0:3], 0 offen offset:4
	s_waitcnt vmcnt(1)
	buffer_store_dword v24, v6, s[0:3], 0 offen offset:8
	;; [unrolled: 2-line block ×3, first 2 shown]
	buffer_store_dword v5, v21, s[0:3], 0 offen offset:12
	buffer_store_dword v4, v21, s[0:3], 0 offen offset:8
	;; [unrolled: 1-line block ×3, first 2 shown]
	buffer_store_dword v1, v21, s[0:3], 0 offen
.LBB6_58:
	global_load_dword v1, v3, s[10:11] offset:16
	s_waitcnt vmcnt(0)
	v_add_nc_u32_e32 v1, -1, v1
	v_cmp_eq_u32_e32 vcc_lo, 4, v1
	s_cbranch_vccnz .LBB6_60
; %bb.59:
	v_lshlrev_b32_e32 v1, 4, v1
	v_mov_b32_e32 v5, s16
	v_mov_b32_e32 v6, v1
	s_clause 0x7
	buffer_load_dword v1, v5, s[0:3], 0 offen
	buffer_load_dword v2, v5, s[0:3], 0 offen offset:4
	buffer_load_dword v3, v5, s[0:3], 0 offen offset:8
	;; [unrolled: 1-line block ×3, first 2 shown]
	buffer_load_dword v21, v6, s[0:3], 0 offen
	buffer_load_dword v22, v6, s[0:3], 0 offen offset:4
	buffer_load_dword v23, v6, s[0:3], 0 offen offset:8
	;; [unrolled: 1-line block ×3, first 2 shown]
	s_waitcnt vmcnt(4)
	ds_write2_b64 v0, v[1:2], v[3:4] offset1:1
	s_waitcnt vmcnt(3)
	buffer_store_dword v21, v5, s[0:3], 0 offen
	s_waitcnt vmcnt(2)
	buffer_store_dword v22, v5, s[0:3], 0 offen offset:4
	s_waitcnt vmcnt(1)
	buffer_store_dword v23, v5, s[0:3], 0 offen offset:8
	;; [unrolled: 2-line block ×3, first 2 shown]
	buffer_store_dword v4, v6, s[0:3], 0 offen offset:12
	buffer_store_dword v3, v6, s[0:3], 0 offen offset:8
	;; [unrolled: 1-line block ×3, first 2 shown]
	buffer_store_dword v1, v6, s[0:3], 0 offen
.LBB6_60:
	v_mov_b32_e32 v1, 0
	global_load_dword v2, v1, s[10:11] offset:12
	s_waitcnt vmcnt(0)
	v_add_nc_u32_e32 v2, -1, v2
	v_cmp_eq_u32_e32 vcc_lo, 3, v2
	s_cbranch_vccnz .LBB6_62
; %bb.61:
	v_lshlrev_b32_e32 v2, 4, v2
	v_mov_b32_e32 v6, s17
	v_mov_b32_e32 v21, v2
	s_clause 0x7
	buffer_load_dword v2, v6, s[0:3], 0 offen
	buffer_load_dword v3, v6, s[0:3], 0 offen offset:4
	buffer_load_dword v4, v6, s[0:3], 0 offen offset:8
	;; [unrolled: 1-line block ×3, first 2 shown]
	buffer_load_dword v22, v21, s[0:3], 0 offen
	buffer_load_dword v23, v21, s[0:3], 0 offen offset:4
	buffer_load_dword v24, v21, s[0:3], 0 offen offset:8
	;; [unrolled: 1-line block ×3, first 2 shown]
	s_waitcnt vmcnt(4)
	ds_write2_b64 v0, v[2:3], v[4:5] offset1:1
	s_waitcnt vmcnt(3)
	buffer_store_dword v22, v6, s[0:3], 0 offen
	s_waitcnt vmcnt(2)
	buffer_store_dword v23, v6, s[0:3], 0 offen offset:4
	s_waitcnt vmcnt(1)
	buffer_store_dword v24, v6, s[0:3], 0 offen offset:8
	;; [unrolled: 2-line block ×3, first 2 shown]
	buffer_store_dword v5, v21, s[0:3], 0 offen offset:12
	buffer_store_dword v4, v21, s[0:3], 0 offen offset:8
	;; [unrolled: 1-line block ×3, first 2 shown]
	buffer_store_dword v2, v21, s[0:3], 0 offen
.LBB6_62:
	global_load_dword v1, v1, s[10:11] offset:8
	s_waitcnt vmcnt(0)
	v_add_nc_u32_e32 v1, -1, v1
	v_cmp_eq_u32_e32 vcc_lo, 2, v1
	s_cbranch_vccnz .LBB6_64
; %bb.63:
	v_lshlrev_b32_e32 v1, 4, v1
	v_mov_b32_e32 v5, s18
	v_mov_b32_e32 v6, v1
	s_clause 0x7
	buffer_load_dword v1, v5, s[0:3], 0 offen
	buffer_load_dword v2, v5, s[0:3], 0 offen offset:4
	buffer_load_dword v3, v5, s[0:3], 0 offen offset:8
	buffer_load_dword v4, v5, s[0:3], 0 offen offset:12
	buffer_load_dword v21, v6, s[0:3], 0 offen
	buffer_load_dword v22, v6, s[0:3], 0 offen offset:4
	buffer_load_dword v23, v6, s[0:3], 0 offen offset:8
	;; [unrolled: 1-line block ×3, first 2 shown]
	s_waitcnt vmcnt(4)
	ds_write2_b64 v0, v[1:2], v[3:4] offset1:1
	s_waitcnt vmcnt(3)
	buffer_store_dword v21, v5, s[0:3], 0 offen
	s_waitcnt vmcnt(2)
	buffer_store_dword v22, v5, s[0:3], 0 offen offset:4
	s_waitcnt vmcnt(1)
	buffer_store_dword v23, v5, s[0:3], 0 offen offset:8
	;; [unrolled: 2-line block ×3, first 2 shown]
	buffer_store_dword v4, v6, s[0:3], 0 offen offset:12
	buffer_store_dword v3, v6, s[0:3], 0 offen offset:8
	;; [unrolled: 1-line block ×3, first 2 shown]
	buffer_store_dword v1, v6, s[0:3], 0 offen
.LBB6_64:
	v_mov_b32_e32 v1, 0
	global_load_dword v2, v1, s[10:11] offset:4
	s_waitcnt vmcnt(0)
	v_add_nc_u32_e32 v2, -1, v2
	v_cmp_eq_u32_e32 vcc_lo, 1, v2
	s_cbranch_vccnz .LBB6_66
; %bb.65:
	v_lshlrev_b32_e32 v2, 4, v2
	v_mov_b32_e32 v6, s19
	v_mov_b32_e32 v21, v2
	s_clause 0x7
	buffer_load_dword v2, v6, s[0:3], 0 offen
	buffer_load_dword v3, v6, s[0:3], 0 offen offset:4
	buffer_load_dword v4, v6, s[0:3], 0 offen offset:8
	;; [unrolled: 1-line block ×3, first 2 shown]
	buffer_load_dword v22, v21, s[0:3], 0 offen
	buffer_load_dword v23, v21, s[0:3], 0 offen offset:4
	buffer_load_dword v24, v21, s[0:3], 0 offen offset:8
	;; [unrolled: 1-line block ×3, first 2 shown]
	s_waitcnt vmcnt(4)
	ds_write2_b64 v0, v[2:3], v[4:5] offset1:1
	s_waitcnt vmcnt(3)
	buffer_store_dword v22, v6, s[0:3], 0 offen
	s_waitcnt vmcnt(2)
	buffer_store_dword v23, v6, s[0:3], 0 offen offset:4
	s_waitcnt vmcnt(1)
	buffer_store_dword v24, v6, s[0:3], 0 offen offset:8
	;; [unrolled: 2-line block ×3, first 2 shown]
	buffer_store_dword v5, v21, s[0:3], 0 offen offset:12
	buffer_store_dword v4, v21, s[0:3], 0 offen offset:8
	;; [unrolled: 1-line block ×3, first 2 shown]
	buffer_store_dword v2, v21, s[0:3], 0 offen
.LBB6_66:
	global_load_dword v1, v1, s[10:11]
	s_waitcnt vmcnt(0)
	v_add_nc_u32_e32 v1, -1, v1
	v_cmp_eq_u32_e32 vcc_lo, 0, v1
	s_cbranch_vccnz .LBB6_68
; %bb.67:
	v_lshlrev_b32_e32 v1, 4, v1
	v_mov_b32_e32 v5, v1
	s_clause 0x7
	buffer_load_dword v1, off, s[0:3], 0
	buffer_load_dword v2, off, s[0:3], 0 offset:4
	buffer_load_dword v3, off, s[0:3], 0 offset:8
	;; [unrolled: 1-line block ×3, first 2 shown]
	buffer_load_dword v6, v5, s[0:3], 0 offen
	buffer_load_dword v21, v5, s[0:3], 0 offen offset:4
	buffer_load_dword v22, v5, s[0:3], 0 offen offset:8
	;; [unrolled: 1-line block ×3, first 2 shown]
	s_waitcnt vmcnt(4)
	ds_write2_b64 v0, v[1:2], v[3:4] offset1:1
	s_waitcnt vmcnt(3)
	buffer_store_dword v6, off, s[0:3], 0
	s_waitcnt vmcnt(2)
	buffer_store_dword v21, off, s[0:3], 0 offset:4
	s_waitcnt vmcnt(1)
	buffer_store_dword v22, off, s[0:3], 0 offset:8
	;; [unrolled: 2-line block ×3, first 2 shown]
	buffer_store_dword v4, v5, s[0:3], 0 offen offset:12
	buffer_store_dword v3, v5, s[0:3], 0 offen offset:8
	;; [unrolled: 1-line block ×3, first 2 shown]
	buffer_store_dword v1, v5, s[0:3], 0 offen
.LBB6_68:
	v_mov_b32_e32 v5, s18
	v_mov_b32_e32 v6, s16
	;; [unrolled: 1-line block ×3, first 2 shown]
	s_clause 0x7
	buffer_load_dword v0, off, s[0:3], 0
	buffer_load_dword v1, off, s[0:3], 0 offset:4
	buffer_load_dword v2, off, s[0:3], 0 offset:8
	;; [unrolled: 1-line block ×3, first 2 shown]
	buffer_load_dword v21, v4, s[0:3], 0 offen
	buffer_load_dword v22, v4, s[0:3], 0 offen offset:4
	buffer_load_dword v23, v4, s[0:3], 0 offen offset:8
	;; [unrolled: 1-line block ×3, first 2 shown]
	v_mov_b32_e32 v4, s17
	s_clause 0x7
	buffer_load_dword v25, v5, s[0:3], 0 offen
	buffer_load_dword v26, v5, s[0:3], 0 offen offset:4
	buffer_load_dword v27, v5, s[0:3], 0 offen offset:8
	;; [unrolled: 1-line block ×3, first 2 shown]
	buffer_load_dword v29, v4, s[0:3], 0 offen
	buffer_load_dword v30, v4, s[0:3], 0 offen offset:4
	buffer_load_dword v31, v4, s[0:3], 0 offen offset:8
	;; [unrolled: 1-line block ×3, first 2 shown]
	v_mov_b32_e32 v4, s13
	v_mov_b32_e32 v5, s12
	s_clause 0xb
	buffer_load_dword v33, v6, s[0:3], 0 offen
	buffer_load_dword v34, v6, s[0:3], 0 offen offset:4
	buffer_load_dword v35, v6, s[0:3], 0 offen offset:8
	buffer_load_dword v36, v6, s[0:3], 0 offen offset:12
	buffer_load_dword v37, v4, s[0:3], 0 offen
	buffer_load_dword v38, v4, s[0:3], 0 offen offset:4
	buffer_load_dword v39, v4, s[0:3], 0 offen offset:8
	buffer_load_dword v40, v4, s[0:3], 0 offen offset:12
	;; [unrolled: 4-line block ×3, first 2 shown]
	s_waitcnt vmcnt(24)
	global_store_dwordx4 v[7:8], v[0:3], off
	s_waitcnt vmcnt(20)
	global_store_dwordx4 v[9:10], v[21:24], off
	;; [unrolled: 2-line block ×7, first 2 shown]
	s_endpgm
	.section	.rodata,"a",@progbits
	.p2align	6, 0x0
	.amdhsa_kernel _ZN9rocsolver6v33100L18getri_kernel_smallILi7E19rocblas_complex_numIdEPS3_EEvT1_iilPiilS6_bb
		.amdhsa_group_segment_fixed_size 1256
		.amdhsa_private_segment_fixed_size 128
		.amdhsa_kernarg_size 60
		.amdhsa_user_sgpr_count 8
		.amdhsa_user_sgpr_private_segment_buffer 1
		.amdhsa_user_sgpr_dispatch_ptr 1
		.amdhsa_user_sgpr_queue_ptr 0
		.amdhsa_user_sgpr_kernarg_segment_ptr 1
		.amdhsa_user_sgpr_dispatch_id 0
		.amdhsa_user_sgpr_flat_scratch_init 0
		.amdhsa_user_sgpr_private_segment_size 0
		.amdhsa_wavefront_size32 1
		.amdhsa_uses_dynamic_stack 0
		.amdhsa_system_sgpr_private_segment_wavefront_offset 1
		.amdhsa_system_sgpr_workgroup_id_x 1
		.amdhsa_system_sgpr_workgroup_id_y 0
		.amdhsa_system_sgpr_workgroup_id_z 0
		.amdhsa_system_sgpr_workgroup_info 0
		.amdhsa_system_vgpr_workitem_id 2
		.amdhsa_next_free_vgpr 63
		.amdhsa_next_free_sgpr 25
		.amdhsa_reserve_vcc 1
		.amdhsa_reserve_flat_scratch 0
		.amdhsa_float_round_mode_32 0
		.amdhsa_float_round_mode_16_64 0
		.amdhsa_float_denorm_mode_32 3
		.amdhsa_float_denorm_mode_16_64 3
		.amdhsa_dx10_clamp 1
		.amdhsa_ieee_mode 1
		.amdhsa_fp16_overflow 0
		.amdhsa_workgroup_processor_mode 1
		.amdhsa_memory_ordered 1
		.amdhsa_forward_progress 1
		.amdhsa_shared_vgpr_count 0
		.amdhsa_exception_fp_ieee_invalid_op 0
		.amdhsa_exception_fp_denorm_src 0
		.amdhsa_exception_fp_ieee_div_zero 0
		.amdhsa_exception_fp_ieee_overflow 0
		.amdhsa_exception_fp_ieee_underflow 0
		.amdhsa_exception_fp_ieee_inexact 0
		.amdhsa_exception_int_div_zero 0
	.end_amdhsa_kernel
	.section	.text._ZN9rocsolver6v33100L18getri_kernel_smallILi7E19rocblas_complex_numIdEPS3_EEvT1_iilPiilS6_bb,"axG",@progbits,_ZN9rocsolver6v33100L18getri_kernel_smallILi7E19rocblas_complex_numIdEPS3_EEvT1_iilPiilS6_bb,comdat
.Lfunc_end6:
	.size	_ZN9rocsolver6v33100L18getri_kernel_smallILi7E19rocblas_complex_numIdEPS3_EEvT1_iilPiilS6_bb, .Lfunc_end6-_ZN9rocsolver6v33100L18getri_kernel_smallILi7E19rocblas_complex_numIdEPS3_EEvT1_iilPiilS6_bb
                                        ; -- End function
	.set _ZN9rocsolver6v33100L18getri_kernel_smallILi7E19rocblas_complex_numIdEPS3_EEvT1_iilPiilS6_bb.num_vgpr, 63
	.set _ZN9rocsolver6v33100L18getri_kernel_smallILi7E19rocblas_complex_numIdEPS3_EEvT1_iilPiilS6_bb.num_agpr, 0
	.set _ZN9rocsolver6v33100L18getri_kernel_smallILi7E19rocblas_complex_numIdEPS3_EEvT1_iilPiilS6_bb.numbered_sgpr, 25
	.set _ZN9rocsolver6v33100L18getri_kernel_smallILi7E19rocblas_complex_numIdEPS3_EEvT1_iilPiilS6_bb.num_named_barrier, 0
	.set _ZN9rocsolver6v33100L18getri_kernel_smallILi7E19rocblas_complex_numIdEPS3_EEvT1_iilPiilS6_bb.private_seg_size, 128
	.set _ZN9rocsolver6v33100L18getri_kernel_smallILi7E19rocblas_complex_numIdEPS3_EEvT1_iilPiilS6_bb.uses_vcc, 1
	.set _ZN9rocsolver6v33100L18getri_kernel_smallILi7E19rocblas_complex_numIdEPS3_EEvT1_iilPiilS6_bb.uses_flat_scratch, 0
	.set _ZN9rocsolver6v33100L18getri_kernel_smallILi7E19rocblas_complex_numIdEPS3_EEvT1_iilPiilS6_bb.has_dyn_sized_stack, 0
	.set _ZN9rocsolver6v33100L18getri_kernel_smallILi7E19rocblas_complex_numIdEPS3_EEvT1_iilPiilS6_bb.has_recursion, 0
	.set _ZN9rocsolver6v33100L18getri_kernel_smallILi7E19rocblas_complex_numIdEPS3_EEvT1_iilPiilS6_bb.has_indirect_call, 0
	.section	.AMDGPU.csdata,"",@progbits
; Kernel info:
; codeLenInByte = 8776
; TotalNumSgprs: 27
; NumVgprs: 63
; ScratchSize: 128
; MemoryBound: 0
; FloatMode: 240
; IeeeMode: 1
; LDSByteSize: 1256 bytes/workgroup (compile time only)
; SGPRBlocks: 0
; VGPRBlocks: 7
; NumSGPRsForWavesPerEU: 27
; NumVGPRsForWavesPerEU: 63
; Occupancy: 16
; WaveLimiterHint : 1
; COMPUTE_PGM_RSRC2:SCRATCH_EN: 1
; COMPUTE_PGM_RSRC2:USER_SGPR: 8
; COMPUTE_PGM_RSRC2:TRAP_HANDLER: 0
; COMPUTE_PGM_RSRC2:TGID_X_EN: 1
; COMPUTE_PGM_RSRC2:TGID_Y_EN: 0
; COMPUTE_PGM_RSRC2:TGID_Z_EN: 0
; COMPUTE_PGM_RSRC2:TIDIG_COMP_CNT: 2
	.section	.text._ZN9rocsolver6v33100L18getri_kernel_smallILi8E19rocblas_complex_numIdEPS3_EEvT1_iilPiilS6_bb,"axG",@progbits,_ZN9rocsolver6v33100L18getri_kernel_smallILi8E19rocblas_complex_numIdEPS3_EEvT1_iilPiilS6_bb,comdat
	.globl	_ZN9rocsolver6v33100L18getri_kernel_smallILi8E19rocblas_complex_numIdEPS3_EEvT1_iilPiilS6_bb ; -- Begin function _ZN9rocsolver6v33100L18getri_kernel_smallILi8E19rocblas_complex_numIdEPS3_EEvT1_iilPiilS6_bb
	.p2align	8
	.type	_ZN9rocsolver6v33100L18getri_kernel_smallILi8E19rocblas_complex_numIdEPS3_EEvT1_iilPiilS6_bb,@function
_ZN9rocsolver6v33100L18getri_kernel_smallILi8E19rocblas_complex_numIdEPS3_EEvT1_iilPiilS6_bb: ; @_ZN9rocsolver6v33100L18getri_kernel_smallILi8E19rocblas_complex_numIdEPS3_EEvT1_iilPiilS6_bb
; %bb.0:
	s_add_u32 s0, s0, s9
	s_addc_u32 s1, s1, 0
	s_mov_b32 s9, exec_lo
	v_cmpx_gt_u32_e32 8, v0
	s_cbranch_execz .LBB7_46
; %bb.1:
	s_clause 0x2
	s_load_dword s9, s[6:7], 0x38
	s_load_dwordx4 s[20:23], s[6:7], 0x10
	s_load_dwordx4 s[12:15], s[6:7], 0x28
	s_waitcnt lgkmcnt(0)
	s_bitcmp1_b32 s9, 8
	s_cselect_b32 s24, -1, 0
	s_bfe_u32 s10, s9, 0x10008
	s_ashr_i32 s9, s8, 31
	s_cmp_eq_u32 s10, 0
                                        ; implicit-def: $sgpr10_sgpr11
	s_cbranch_scc1 .LBB7_3
; %bb.2:
	s_load_dword s10, s[6:7], 0x20
	s_mul_i32 s11, s12, s9
	s_mul_hi_u32 s16, s12, s8
	s_mul_i32 s13, s13, s8
	s_add_i32 s11, s16, s11
	s_mul_i32 s12, s12, s8
	s_add_i32 s13, s11, s13
	s_lshl_b64 s[12:13], s[12:13], 2
	s_waitcnt lgkmcnt(0)
	s_ashr_i32 s11, s10, 31
	s_add_u32 s12, s22, s12
	s_addc_u32 s13, s23, s13
	s_lshl_b64 s[10:11], s[10:11], 2
	s_add_u32 s10, s12, s10
	s_addc_u32 s11, s13, s11
.LBB7_3:
	s_clause 0x1
	s_load_dwordx4 s[16:19], s[6:7], 0x0
	s_load_dword s22, s[6:7], 0x38
	s_mul_i32 s6, s20, s9
	s_mul_hi_u32 s7, s20, s8
	s_mul_i32 s12, s21, s8
	s_add_i32 s7, s7, s6
	s_mul_i32 s6, s20, s8
	s_add_i32 s7, s7, s12
	v_lshlrev_b32_e32 v29, 4, v0
	s_lshl_b64 s[6:7], s[6:7], 4
	s_movk_i32 s21, 0x70
	s_mov_b32 s20, 16
	s_waitcnt lgkmcnt(0)
	v_add3_u32 v9, s19, s19, v0
	s_ashr_i32 s13, s18, 31
	s_mov_b32 s12, s18
	s_add_u32 s16, s16, s6
	s_addc_u32 s17, s17, s7
	v_add_nc_u32_e32 v13, s19, v9
	s_lshl_b64 s[6:7], s[12:13], 4
	v_ashrrev_i32_e32 v10, 31, v9
	s_add_u32 s6, s16, s6
	s_addc_u32 s7, s17, s7
	v_add_nc_u32_e32 v15, s19, v13
	v_ashrrev_i32_e32 v14, 31, v13
	v_add_co_u32 v7, s16, s6, v29
	s_mov_b32 s12, s19
	v_add_nc_u32_e32 v17, s19, v15
	v_ashrrev_i32_e32 v16, 31, v15
	s_ashr_i32 s13, s19, 31
	v_lshlrev_b64 v[11:12], 4, v[9:10]
	v_add_co_ci_u32_e64 v8, null, s7, 0, s16
	v_ashrrev_i32_e32 v18, 31, v17
	v_add_nc_u32_e32 v20, s19, v17
	s_lshl_b64 s[12:13], s[12:13], 4
	v_lshlrev_b64 v[13:14], 4, v[13:14]
	v_add_co_u32 v9, vcc_lo, v7, s12
	v_lshlrev_b64 v[15:16], 4, v[15:16]
	v_add_co_ci_u32_e64 v10, null, s13, v8, vcc_lo
	v_add_co_u32 v11, vcc_lo, s6, v11
	v_lshlrev_b64 v[18:19], 4, v[17:18]
	v_add_nc_u32_e32 v27, s19, v20
	v_add_co_ci_u32_e64 v12, null, s7, v12, vcc_lo
	v_add_co_u32 v13, vcc_lo, s6, v13
	v_ashrrev_i32_e32 v21, 31, v20
	v_add_co_ci_u32_e64 v14, null, s7, v14, vcc_lo
	v_add_co_u32 v15, vcc_lo, s6, v15
	v_ashrrev_i32_e32 v28, 31, v27
	v_add_co_ci_u32_e64 v16, null, s7, v16, vcc_lo
	v_add_co_u32 v17, vcc_lo, s6, v18
	v_add_co_ci_u32_e64 v18, null, s7, v19, vcc_lo
	v_lshlrev_b64 v[19:20], 4, v[20:21]
	v_lshlrev_b64 v[27:28], 4, v[27:28]
	s_clause 0x5
	global_load_dwordx4 v[3:6], v29, s[6:7]
	global_load_dwordx4 v[23:26], v[9:10], off
	global_load_dwordx4 v[30:33], v[11:12], off
	;; [unrolled: 1-line block ×5, first 2 shown]
	s_movk_i32 s16, 0x50
	v_add_co_u32 v21, vcc_lo, s6, v19
	v_add_co_ci_u32_e64 v22, null, s7, v20, vcc_lo
	v_add_co_u32 v19, vcc_lo, s6, v27
	v_add_co_ci_u32_e64 v20, null, s7, v28, vcc_lo
	s_clause 0x1
	global_load_dwordx4 v[46:49], v[21:22], off
	global_load_dwordx4 v[50:53], v[19:20], off
	s_movk_i32 s13, 0x60
	s_mov_b32 s7, -1
	s_mov_b32 s19, 32
	s_mov_b32 s18, 48
	;; [unrolled: 1-line block ×4, first 2 shown]
	s_bitcmp0_b32 s22, 0
	s_waitcnt vmcnt(7)
	buffer_store_dword v6, off, s[0:3], 0 offset:12
	buffer_store_dword v5, off, s[0:3], 0 offset:8
	;; [unrolled: 1-line block ×3, first 2 shown]
	buffer_store_dword v3, off, s[0:3], 0
	s_waitcnt vmcnt(6)
	buffer_store_dword v26, off, s[0:3], 0 offset:28
	buffer_store_dword v25, off, s[0:3], 0 offset:24
	buffer_store_dword v24, off, s[0:3], 0 offset:20
	buffer_store_dword v23, off, s[0:3], 0 offset:16
	s_waitcnt vmcnt(5)
	buffer_store_dword v33, off, s[0:3], 0 offset:44
	buffer_store_dword v32, off, s[0:3], 0 offset:40
	buffer_store_dword v31, off, s[0:3], 0 offset:36
	buffer_store_dword v30, off, s[0:3], 0 offset:32
	;; [unrolled: 5-line block ×7, first 2 shown]
	s_cbranch_scc1 .LBB7_44
; %bb.4:
	v_cmp_eq_u32_e64 s6, 0, v0
	s_and_saveexec_b32 s7, s6
; %bb.5:
	v_mov_b32_e32 v3, 0
	ds_write_b32 v3, v3 offset:256
; %bb.6:
	s_or_b32 exec_lo, exec_lo, s7
	v_lshl_add_u32 v30, v0, 4, 0
	s_waitcnt lgkmcnt(0)
	s_waitcnt_vscnt null, 0x0
	s_barrier
	buffer_gl0_inv
	s_clause 0x3
	buffer_load_dword v3, v30, s[0:3], 0 offen
	buffer_load_dword v4, v30, s[0:3], 0 offen offset:4
	buffer_load_dword v5, v30, s[0:3], 0 offen offset:8
	;; [unrolled: 1-line block ×3, first 2 shown]
	s_waitcnt vmcnt(2)
	v_cmp_eq_f64_e32 vcc_lo, 0, v[3:4]
	s_waitcnt vmcnt(0)
	v_cmp_eq_f64_e64 s7, 0, v[5:6]
	s_and_b32 s7, vcc_lo, s7
	s_and_saveexec_b32 s21, s7
	s_cbranch_execz .LBB7_10
; %bb.7:
	v_mov_b32_e32 v3, 0
	s_mov_b32 s22, 0
	ds_read_b32 v4, v3 offset:256
	s_waitcnt lgkmcnt(0)
	v_readfirstlane_b32 s7, v4
	v_add_nc_u32_e32 v4, 1, v0
	s_cmp_eq_u32 s7, 0
	v_cmp_gt_i32_e32 vcc_lo, s7, v4
	s_cselect_b32 s23, -1, 0
	s_or_b32 s23, s23, vcc_lo
	s_and_b32 exec_lo, exec_lo, s23
	s_cbranch_execz .LBB7_10
; %bb.8:
	v_mov_b32_e32 v5, s7
.LBB7_9:                                ; =>This Inner Loop Header: Depth=1
	ds_cmpst_rtn_b32 v5, v3, v5, v4 offset:256
	s_waitcnt lgkmcnt(0)
	v_cmp_ne_u32_e32 vcc_lo, 0, v5
	v_cmp_le_i32_e64 s7, v5, v4
	s_and_b32 s7, vcc_lo, s7
	s_and_b32 s7, exec_lo, s7
	s_or_b32 s22, s7, s22
	s_andn2_b32 exec_lo, exec_lo, s22
	s_cbranch_execnz .LBB7_9
.LBB7_10:
	s_or_b32 exec_lo, exec_lo, s21
	v_mov_b32_e32 v3, 0
	s_barrier
	buffer_gl0_inv
	ds_read_b32 v4, v3 offset:256
	s_and_saveexec_b32 s7, s6
	s_cbranch_execz .LBB7_12
; %bb.11:
	s_lshl_b64 s[22:23], s[8:9], 2
	s_add_u32 s22, s14, s22
	s_addc_u32 s23, s15, s23
	s_waitcnt lgkmcnt(0)
	global_store_dword v3, v4, s[22:23]
.LBB7_12:
	s_or_b32 exec_lo, exec_lo, s7
	s_waitcnt lgkmcnt(0)
	v_cmp_ne_u32_e32 vcc_lo, 0, v4
	s_mov_b32 s7, 0
	s_cbranch_vccnz .LBB7_44
; %bb.13:
	s_clause 0x3
	buffer_load_dword v25, v30, s[0:3], 0 offen
	buffer_load_dword v26, v30, s[0:3], 0 offen offset:4
	buffer_load_dword v27, v30, s[0:3], 0 offen offset:8
	;; [unrolled: 1-line block ×3, first 2 shown]
                                        ; implicit-def: $vgpr23_vgpr24
                                        ; implicit-def: $vgpr5_vgpr6
	s_waitcnt vmcnt(0)
	v_cmp_ngt_f64_e64 s7, |v[25:26]|, |v[27:28]|
	s_and_saveexec_b32 s21, s7
	s_xor_b32 s7, exec_lo, s21
	s_cbranch_execz .LBB7_15
; %bb.14:
	v_div_scale_f64 v[3:4], null, v[27:28], v[27:28], v[25:26]
	v_div_scale_f64 v[31:32], vcc_lo, v[25:26], v[27:28], v[25:26]
	v_rcp_f64_e32 v[5:6], v[3:4]
	v_fma_f64 v[23:24], -v[3:4], v[5:6], 1.0
	v_fma_f64 v[5:6], v[5:6], v[23:24], v[5:6]
	v_fma_f64 v[23:24], -v[3:4], v[5:6], 1.0
	v_fma_f64 v[5:6], v[5:6], v[23:24], v[5:6]
	v_mul_f64 v[23:24], v[31:32], v[5:6]
	v_fma_f64 v[3:4], -v[3:4], v[23:24], v[31:32]
	v_div_fmas_f64 v[3:4], v[3:4], v[5:6], v[23:24]
	v_div_fixup_f64 v[3:4], v[3:4], v[27:28], v[25:26]
	v_fma_f64 v[5:6], v[25:26], v[3:4], v[27:28]
	v_div_scale_f64 v[23:24], null, v[5:6], v[5:6], 1.0
	v_div_scale_f64 v[31:32], vcc_lo, 1.0, v[5:6], 1.0
	v_rcp_f64_e32 v[25:26], v[23:24]
	v_fma_f64 v[27:28], -v[23:24], v[25:26], 1.0
	v_fma_f64 v[25:26], v[25:26], v[27:28], v[25:26]
	v_fma_f64 v[27:28], -v[23:24], v[25:26], 1.0
	v_fma_f64 v[25:26], v[25:26], v[27:28], v[25:26]
	v_mul_f64 v[27:28], v[31:32], v[25:26]
	v_fma_f64 v[23:24], -v[23:24], v[27:28], v[31:32]
	v_div_fmas_f64 v[23:24], v[23:24], v[25:26], v[27:28]
                                        ; implicit-def: $vgpr25_vgpr26
                                        ; implicit-def: $vgpr27_vgpr28
	v_div_fixup_f64 v[5:6], v[23:24], v[5:6], 1.0
	v_mul_f64 v[23:24], v[3:4], v[5:6]
	v_xor_b32_e32 v6, 0x80000000, v6
	v_xor_b32_e32 v4, 0x80000000, v24
	v_mov_b32_e32 v3, v23
.LBB7_15:
	s_andn2_saveexec_b32 s7, s7
	s_cbranch_execz .LBB7_17
; %bb.16:
	v_div_scale_f64 v[3:4], null, v[25:26], v[25:26], v[27:28]
	v_div_scale_f64 v[31:32], vcc_lo, v[27:28], v[25:26], v[27:28]
	v_rcp_f64_e32 v[5:6], v[3:4]
	v_fma_f64 v[23:24], -v[3:4], v[5:6], 1.0
	v_fma_f64 v[5:6], v[5:6], v[23:24], v[5:6]
	v_fma_f64 v[23:24], -v[3:4], v[5:6], 1.0
	v_fma_f64 v[5:6], v[5:6], v[23:24], v[5:6]
	v_mul_f64 v[23:24], v[31:32], v[5:6]
	v_fma_f64 v[3:4], -v[3:4], v[23:24], v[31:32]
	v_div_fmas_f64 v[3:4], v[3:4], v[5:6], v[23:24]
	v_div_fixup_f64 v[3:4], v[3:4], v[25:26], v[27:28]
	v_fma_f64 v[5:6], v[27:28], v[3:4], v[25:26]
	v_div_scale_f64 v[23:24], null, v[5:6], v[5:6], 1.0
	v_rcp_f64_e32 v[25:26], v[23:24]
	v_fma_f64 v[27:28], -v[23:24], v[25:26], 1.0
	v_fma_f64 v[25:26], v[25:26], v[27:28], v[25:26]
	v_fma_f64 v[27:28], -v[23:24], v[25:26], 1.0
	v_fma_f64 v[25:26], v[25:26], v[27:28], v[25:26]
	v_div_scale_f64 v[27:28], vcc_lo, 1.0, v[5:6], 1.0
	v_mul_f64 v[31:32], v[27:28], v[25:26]
	v_fma_f64 v[23:24], -v[23:24], v[31:32], v[27:28]
	v_div_fmas_f64 v[23:24], v[23:24], v[25:26], v[31:32]
	v_div_fixup_f64 v[23:24], v[23:24], v[5:6], 1.0
	v_mul_f64 v[5:6], v[3:4], -v[23:24]
	v_xor_b32_e32 v4, 0x80000000, v24
	v_mov_b32_e32 v3, v23
.LBB7_17:
	s_or_b32 exec_lo, exec_lo, s7
	v_mov_b32_e32 v28, s20
	buffer_store_dword v24, v30, s[0:3], 0 offen offset:4
	buffer_store_dword v23, v30, s[0:3], 0 offen
	buffer_store_dword v6, v30, s[0:3], 0 offen offset:12
	buffer_store_dword v5, v30, s[0:3], 0 offen offset:8
	v_xor_b32_e32 v6, 0x80000000, v6
	v_add_nc_u32_e32 v23, 0x80, v29
	s_clause 0x3
	buffer_load_dword v27, v28, s[0:3], 0 offen offset:12
	buffer_load_dword v26, v28, s[0:3], 0 offen offset:8
	;; [unrolled: 1-line block ×3, first 2 shown]
	buffer_load_dword v24, v28, s[0:3], 0 offen
	ds_write_b128 v29, v[3:6]
	s_waitcnt vmcnt(0)
	ds_write_b128 v29, v[24:27] offset:128
	s_waitcnt lgkmcnt(0)
	s_waitcnt_vscnt null, 0x0
	s_barrier
	buffer_gl0_inv
	s_and_saveexec_b32 s7, s6
	s_cbranch_execz .LBB7_19
; %bb.18:
	s_clause 0x3
	buffer_load_dword v31, v30, s[0:3], 0 offen offset:8
	buffer_load_dword v32, v30, s[0:3], 0 offen offset:12
	buffer_load_dword v33, v30, s[0:3], 0 offen
	buffer_load_dword v34, v30, s[0:3], 0 offen offset:4
	ds_read_b128 v[3:6], v23
	v_mov_b32_e32 v24, 0
	ds_read_b128 v[24:27], v24 offset:16
	s_waitcnt vmcnt(2) lgkmcnt(1)
	v_mul_f64 v[35:36], v[3:4], v[31:32]
	v_mul_f64 v[31:32], v[5:6], v[31:32]
	s_waitcnt vmcnt(0)
	v_fma_f64 v[5:6], v[5:6], v[33:34], v[35:36]
	v_fma_f64 v[3:4], v[3:4], v[33:34], -v[31:32]
	v_add_f64 v[5:6], v[5:6], 0
	v_add_f64 v[3:4], v[3:4], 0
	s_waitcnt lgkmcnt(0)
	v_mul_f64 v[31:32], v[5:6], v[26:27]
	v_mul_f64 v[26:27], v[3:4], v[26:27]
	v_fma_f64 v[3:4], v[3:4], v[24:25], -v[31:32]
	v_fma_f64 v[5:6], v[5:6], v[24:25], v[26:27]
	buffer_store_dword v3, off, s[0:3], 0 offset:16
	buffer_store_dword v4, off, s[0:3], 0 offset:20
	;; [unrolled: 1-line block ×4, first 2 shown]
.LBB7_19:
	s_or_b32 exec_lo, exec_lo, s7
	v_mov_b32_e32 v6, s19
	s_waitcnt_vscnt null, 0x0
	s_barrier
	buffer_gl0_inv
	s_mov_b32 s7, exec_lo
	s_clause 0x3
	buffer_load_dword v3, v6, s[0:3], 0 offen
	buffer_load_dword v4, v6, s[0:3], 0 offen offset:4
	buffer_load_dword v5, v6, s[0:3], 0 offen offset:8
	;; [unrolled: 1-line block ×3, first 2 shown]
	s_waitcnt vmcnt(0)
	ds_write_b128 v23, v[3:6]
	s_waitcnt lgkmcnt(0)
	s_barrier
	buffer_gl0_inv
	v_cmpx_gt_u32_e32 2, v0
	s_cbranch_execz .LBB7_23
; %bb.20:
	s_clause 0x3
	buffer_load_dword v24, v30, s[0:3], 0 offen offset:8
	buffer_load_dword v25, v30, s[0:3], 0 offen offset:12
	buffer_load_dword v26, v30, s[0:3], 0 offen
	buffer_load_dword v27, v30, s[0:3], 0 offen offset:4
	ds_read_b128 v[3:6], v23
	s_waitcnt vmcnt(2) lgkmcnt(0)
	v_mul_f64 v[30:31], v[5:6], v[24:25]
	v_mul_f64 v[24:25], v[3:4], v[24:25]
	s_waitcnt vmcnt(0)
	v_fma_f64 v[3:4], v[3:4], v[26:27], -v[30:31]
	v_fma_f64 v[5:6], v[5:6], v[26:27], v[24:25]
	v_add_f64 v[3:4], v[3:4], 0
	v_add_f64 v[5:6], v[5:6], 0
	s_and_saveexec_b32 s21, s6
	s_cbranch_execz .LBB7_22
; %bb.21:
	s_clause 0x3
	buffer_load_dword v30, off, s[0:3], 0 offset:24
	buffer_load_dword v31, off, s[0:3], 0 offset:28
	;; [unrolled: 1-line block ×4, first 2 shown]
	v_mov_b32_e32 v24, 0
	ds_read_b128 v[24:27], v24 offset:144
	s_waitcnt vmcnt(2) lgkmcnt(0)
	v_mul_f64 v[34:35], v[24:25], v[30:31]
	v_mul_f64 v[30:31], v[26:27], v[30:31]
	s_waitcnt vmcnt(0)
	v_fma_f64 v[26:27], v[26:27], v[32:33], v[34:35]
	v_fma_f64 v[24:25], v[24:25], v[32:33], -v[30:31]
	v_add_f64 v[5:6], v[5:6], v[26:27]
	v_add_f64 v[3:4], v[3:4], v[24:25]
.LBB7_22:
	s_or_b32 exec_lo, exec_lo, s21
	v_mov_b32_e32 v24, 0
	ds_read_b128 v[24:27], v24 offset:32
	s_waitcnt lgkmcnt(0)
	v_mul_f64 v[30:31], v[5:6], v[26:27]
	v_mul_f64 v[26:27], v[3:4], v[26:27]
	v_fma_f64 v[3:4], v[3:4], v[24:25], -v[30:31]
	v_fma_f64 v[5:6], v[5:6], v[24:25], v[26:27]
	buffer_store_dword v4, off, s[0:3], 0 offset:36
	buffer_store_dword v3, off, s[0:3], 0 offset:32
	;; [unrolled: 1-line block ×4, first 2 shown]
.LBB7_23:
	s_or_b32 exec_lo, exec_lo, s7
	v_mov_b32_e32 v6, s18
	s_waitcnt_vscnt null, 0x0
	s_barrier
	buffer_gl0_inv
	v_add_nc_u32_e32 v24, -1, v0
	s_clause 0x3
	buffer_load_dword v3, v6, s[0:3], 0 offen
	buffer_load_dword v4, v6, s[0:3], 0 offen offset:4
	buffer_load_dword v5, v6, s[0:3], 0 offen offset:8
	;; [unrolled: 1-line block ×3, first 2 shown]
	s_mov_b32 s6, exec_lo
	s_waitcnt vmcnt(0)
	ds_write_b128 v23, v[3:6]
	s_waitcnt lgkmcnt(0)
	s_barrier
	buffer_gl0_inv
	v_cmpx_gt_u32_e32 3, v0
	s_cbranch_execz .LBB7_27
; %bb.24:
	v_mov_b32_e32 v3, 0
	v_mov_b32_e32 v5, 0
	v_add_nc_u32_e32 v25, -1, v0
	v_add_nc_u32_e32 v26, 0x80, v29
	v_mov_b32_e32 v4, 0
	v_mov_b32_e32 v6, 0
	;; [unrolled: 1-line block ×3, first 2 shown]
	s_mov_b32 s7, 0
	.p2align	6
.LBB7_25:                               ; =>This Inner Loop Header: Depth=1
	s_clause 0x3
	buffer_load_dword v34, v27, s[0:3], 0 offen offset:8
	buffer_load_dword v35, v27, s[0:3], 0 offen offset:12
	buffer_load_dword v36, v27, s[0:3], 0 offen
	buffer_load_dword v37, v27, s[0:3], 0 offen offset:4
	ds_read_b128 v[30:33], v26
	v_add_nc_u32_e32 v25, 1, v25
	v_add_nc_u32_e32 v26, 16, v26
	;; [unrolled: 1-line block ×3, first 2 shown]
	v_cmp_lt_u32_e32 vcc_lo, 1, v25
	s_or_b32 s7, vcc_lo, s7
	s_waitcnt vmcnt(2) lgkmcnt(0)
	v_mul_f64 v[38:39], v[32:33], v[34:35]
	v_mul_f64 v[34:35], v[30:31], v[34:35]
	s_waitcnt vmcnt(0)
	v_fma_f64 v[30:31], v[30:31], v[36:37], -v[38:39]
	v_fma_f64 v[32:33], v[32:33], v[36:37], v[34:35]
	v_add_f64 v[5:6], v[5:6], v[30:31]
	v_add_f64 v[3:4], v[3:4], v[32:33]
	s_andn2_b32 exec_lo, exec_lo, s7
	s_cbranch_execnz .LBB7_25
; %bb.26:
	s_or_b32 exec_lo, exec_lo, s7
	v_mov_b32_e32 v25, 0
	ds_read_b128 v[25:28], v25 offset:48
	s_waitcnt lgkmcnt(0)
	v_mul_f64 v[30:31], v[3:4], v[27:28]
	v_mul_f64 v[27:28], v[5:6], v[27:28]
	v_fma_f64 v[5:6], v[5:6], v[25:26], -v[30:31]
	v_fma_f64 v[3:4], v[3:4], v[25:26], v[27:28]
	buffer_store_dword v6, off, s[0:3], 0 offset:52
	buffer_store_dword v5, off, s[0:3], 0 offset:48
	buffer_store_dword v4, off, s[0:3], 0 offset:60
	buffer_store_dword v3, off, s[0:3], 0 offset:56
.LBB7_27:
	s_or_b32 exec_lo, exec_lo, s6
	v_mov_b32_e32 v6, s17
	s_waitcnt_vscnt null, 0x0
	s_barrier
	buffer_gl0_inv
	s_mov_b32 s6, exec_lo
	s_clause 0x3
	buffer_load_dword v3, v6, s[0:3], 0 offen
	buffer_load_dword v4, v6, s[0:3], 0 offen offset:4
	buffer_load_dword v5, v6, s[0:3], 0 offen offset:8
	;; [unrolled: 1-line block ×3, first 2 shown]
	s_waitcnt vmcnt(0)
	ds_write_b128 v23, v[3:6]
	s_waitcnt lgkmcnt(0)
	s_barrier
	buffer_gl0_inv
	v_cmpx_gt_u32_e32 4, v0
	s_cbranch_execz .LBB7_31
; %bb.28:
	v_mov_b32_e32 v3, 0
	v_mov_b32_e32 v5, 0
	v_add_nc_u32_e32 v25, -1, v0
	v_add_nc_u32_e32 v26, 0x80, v29
	v_mov_b32_e32 v4, 0
	v_mov_b32_e32 v6, 0
	;; [unrolled: 1-line block ×3, first 2 shown]
	s_mov_b32 s7, 0
	.p2align	6
.LBB7_29:                               ; =>This Inner Loop Header: Depth=1
	s_clause 0x3
	buffer_load_dword v34, v27, s[0:3], 0 offen offset:8
	buffer_load_dword v35, v27, s[0:3], 0 offen offset:12
	buffer_load_dword v36, v27, s[0:3], 0 offen
	buffer_load_dword v37, v27, s[0:3], 0 offen offset:4
	ds_read_b128 v[30:33], v26
	v_add_nc_u32_e32 v25, 1, v25
	v_add_nc_u32_e32 v26, 16, v26
	;; [unrolled: 1-line block ×3, first 2 shown]
	v_cmp_lt_u32_e32 vcc_lo, 2, v25
	s_or_b32 s7, vcc_lo, s7
	s_waitcnt vmcnt(2) lgkmcnt(0)
	v_mul_f64 v[38:39], v[32:33], v[34:35]
	v_mul_f64 v[34:35], v[30:31], v[34:35]
	s_waitcnt vmcnt(0)
	v_fma_f64 v[30:31], v[30:31], v[36:37], -v[38:39]
	v_fma_f64 v[32:33], v[32:33], v[36:37], v[34:35]
	v_add_f64 v[5:6], v[5:6], v[30:31]
	v_add_f64 v[3:4], v[3:4], v[32:33]
	s_andn2_b32 exec_lo, exec_lo, s7
	s_cbranch_execnz .LBB7_29
; %bb.30:
	s_or_b32 exec_lo, exec_lo, s7
	v_mov_b32_e32 v25, 0
	ds_read_b128 v[25:28], v25 offset:64
	s_waitcnt lgkmcnt(0)
	v_mul_f64 v[30:31], v[3:4], v[27:28]
	v_mul_f64 v[27:28], v[5:6], v[27:28]
	v_fma_f64 v[5:6], v[5:6], v[25:26], -v[30:31]
	v_fma_f64 v[3:4], v[3:4], v[25:26], v[27:28]
	buffer_store_dword v6, off, s[0:3], 0 offset:68
	buffer_store_dword v5, off, s[0:3], 0 offset:64
	;; [unrolled: 1-line block ×4, first 2 shown]
.LBB7_31:
	s_or_b32 exec_lo, exec_lo, s6
	v_mov_b32_e32 v6, s16
	s_waitcnt_vscnt null, 0x0
	s_barrier
	buffer_gl0_inv
	s_mov_b32 s6, exec_lo
	s_clause 0x3
	buffer_load_dword v3, v6, s[0:3], 0 offen
	buffer_load_dword v4, v6, s[0:3], 0 offen offset:4
	buffer_load_dword v5, v6, s[0:3], 0 offen offset:8
	buffer_load_dword v6, v6, s[0:3], 0 offen offset:12
	s_waitcnt vmcnt(0)
	ds_write_b128 v23, v[3:6]
	s_waitcnt lgkmcnt(0)
	s_barrier
	buffer_gl0_inv
	v_cmpx_gt_u32_e32 5, v0
	s_cbranch_execz .LBB7_35
; %bb.32:
	v_mov_b32_e32 v3, 0
	v_mov_b32_e32 v5, 0
	v_add_nc_u32_e32 v25, -1, v0
	v_add_nc_u32_e32 v26, 0x80, v29
	v_mov_b32_e32 v4, 0
	v_mov_b32_e32 v6, 0
	;; [unrolled: 1-line block ×3, first 2 shown]
	s_mov_b32 s7, 0
	.p2align	6
.LBB7_33:                               ; =>This Inner Loop Header: Depth=1
	s_clause 0x3
	buffer_load_dword v34, v27, s[0:3], 0 offen offset:8
	buffer_load_dword v35, v27, s[0:3], 0 offen offset:12
	buffer_load_dword v36, v27, s[0:3], 0 offen
	buffer_load_dword v37, v27, s[0:3], 0 offen offset:4
	ds_read_b128 v[30:33], v26
	v_add_nc_u32_e32 v25, 1, v25
	v_add_nc_u32_e32 v26, 16, v26
	;; [unrolled: 1-line block ×3, first 2 shown]
	v_cmp_lt_u32_e32 vcc_lo, 3, v25
	s_or_b32 s7, vcc_lo, s7
	s_waitcnt vmcnt(2) lgkmcnt(0)
	v_mul_f64 v[38:39], v[32:33], v[34:35]
	v_mul_f64 v[34:35], v[30:31], v[34:35]
	s_waitcnt vmcnt(0)
	v_fma_f64 v[30:31], v[30:31], v[36:37], -v[38:39]
	v_fma_f64 v[32:33], v[32:33], v[36:37], v[34:35]
	v_add_f64 v[5:6], v[5:6], v[30:31]
	v_add_f64 v[3:4], v[3:4], v[32:33]
	s_andn2_b32 exec_lo, exec_lo, s7
	s_cbranch_execnz .LBB7_33
; %bb.34:
	s_or_b32 exec_lo, exec_lo, s7
	v_mov_b32_e32 v25, 0
	ds_read_b128 v[25:28], v25 offset:80
	s_waitcnt lgkmcnt(0)
	v_mul_f64 v[30:31], v[3:4], v[27:28]
	v_mul_f64 v[27:28], v[5:6], v[27:28]
	v_fma_f64 v[5:6], v[5:6], v[25:26], -v[30:31]
	v_fma_f64 v[3:4], v[3:4], v[25:26], v[27:28]
	buffer_store_dword v6, off, s[0:3], 0 offset:84
	buffer_store_dword v5, off, s[0:3], 0 offset:80
	;; [unrolled: 1-line block ×4, first 2 shown]
.LBB7_35:
	s_or_b32 exec_lo, exec_lo, s6
	v_mov_b32_e32 v6, s13
	s_waitcnt_vscnt null, 0x0
	s_barrier
	buffer_gl0_inv
	s_mov_b32 s6, exec_lo
	s_clause 0x3
	buffer_load_dword v3, v6, s[0:3], 0 offen
	buffer_load_dword v4, v6, s[0:3], 0 offen offset:4
	buffer_load_dword v5, v6, s[0:3], 0 offen offset:8
	;; [unrolled: 1-line block ×3, first 2 shown]
	s_waitcnt vmcnt(0)
	ds_write_b128 v23, v[3:6]
	s_waitcnt lgkmcnt(0)
	s_barrier
	buffer_gl0_inv
	v_cmpx_gt_u32_e32 6, v0
	s_cbranch_execz .LBB7_39
; %bb.36:
	v_mov_b32_e32 v3, 0
	v_mov_b32_e32 v5, 0
	v_add_nc_u32_e32 v25, -1, v0
	v_add_nc_u32_e32 v26, 0x80, v29
	v_mov_b32_e32 v4, 0
	v_mov_b32_e32 v6, 0
	;; [unrolled: 1-line block ×3, first 2 shown]
	s_mov_b32 s7, 0
	.p2align	6
.LBB7_37:                               ; =>This Inner Loop Header: Depth=1
	s_clause 0x3
	buffer_load_dword v34, v27, s[0:3], 0 offen offset:8
	buffer_load_dword v35, v27, s[0:3], 0 offen offset:12
	buffer_load_dword v36, v27, s[0:3], 0 offen
	buffer_load_dword v37, v27, s[0:3], 0 offen offset:4
	ds_read_b128 v[30:33], v26
	v_add_nc_u32_e32 v25, 1, v25
	v_add_nc_u32_e32 v26, 16, v26
	;; [unrolled: 1-line block ×3, first 2 shown]
	v_cmp_lt_u32_e32 vcc_lo, 4, v25
	s_or_b32 s7, vcc_lo, s7
	s_waitcnt vmcnt(2) lgkmcnt(0)
	v_mul_f64 v[38:39], v[32:33], v[34:35]
	v_mul_f64 v[34:35], v[30:31], v[34:35]
	s_waitcnt vmcnt(0)
	v_fma_f64 v[30:31], v[30:31], v[36:37], -v[38:39]
	v_fma_f64 v[32:33], v[32:33], v[36:37], v[34:35]
	v_add_f64 v[5:6], v[5:6], v[30:31]
	v_add_f64 v[3:4], v[3:4], v[32:33]
	s_andn2_b32 exec_lo, exec_lo, s7
	s_cbranch_execnz .LBB7_37
; %bb.38:
	s_or_b32 exec_lo, exec_lo, s7
	v_mov_b32_e32 v25, 0
	ds_read_b128 v[25:28], v25 offset:96
	s_waitcnt lgkmcnt(0)
	v_mul_f64 v[30:31], v[3:4], v[27:28]
	v_mul_f64 v[27:28], v[5:6], v[27:28]
	v_fma_f64 v[5:6], v[5:6], v[25:26], -v[30:31]
	v_fma_f64 v[3:4], v[3:4], v[25:26], v[27:28]
	buffer_store_dword v6, off, s[0:3], 0 offset:100
	buffer_store_dword v5, off, s[0:3], 0 offset:96
	;; [unrolled: 1-line block ×4, first 2 shown]
.LBB7_39:
	s_or_b32 exec_lo, exec_lo, s6
	v_mov_b32_e32 v6, s12
	s_waitcnt_vscnt null, 0x0
	s_barrier
	buffer_gl0_inv
	s_mov_b32 s6, exec_lo
	s_clause 0x3
	buffer_load_dword v3, v6, s[0:3], 0 offen
	buffer_load_dword v4, v6, s[0:3], 0 offen offset:4
	buffer_load_dword v5, v6, s[0:3], 0 offen offset:8
	;; [unrolled: 1-line block ×3, first 2 shown]
	s_waitcnt vmcnt(0)
	ds_write_b128 v23, v[3:6]
	s_waitcnt lgkmcnt(0)
	s_barrier
	buffer_gl0_inv
	v_cmpx_ne_u32_e32 7, v0
	s_cbranch_execz .LBB7_43
; %bb.40:
	v_mov_b32_e32 v3, 0
	v_mov_b32_e32 v5, 0
	;; [unrolled: 1-line block ×5, first 2 shown]
	s_mov_b32 s7, 0
	.p2align	6
.LBB7_41:                               ; =>This Inner Loop Header: Depth=1
	s_clause 0x3
	buffer_load_dword v30, v25, s[0:3], 0 offen offset:8
	buffer_load_dword v31, v25, s[0:3], 0 offen offset:12
	buffer_load_dword v32, v25, s[0:3], 0 offen
	buffer_load_dword v33, v25, s[0:3], 0 offen offset:4
	ds_read_b128 v[26:29], v23
	v_add_nc_u32_e32 v24, 1, v24
	v_add_nc_u32_e32 v23, 16, v23
	;; [unrolled: 1-line block ×3, first 2 shown]
	v_cmp_lt_u32_e32 vcc_lo, 5, v24
	s_or_b32 s7, vcc_lo, s7
	s_waitcnt vmcnt(2) lgkmcnt(0)
	v_mul_f64 v[34:35], v[28:29], v[30:31]
	v_mul_f64 v[30:31], v[26:27], v[30:31]
	s_waitcnt vmcnt(0)
	v_fma_f64 v[26:27], v[26:27], v[32:33], -v[34:35]
	v_fma_f64 v[28:29], v[28:29], v[32:33], v[30:31]
	v_add_f64 v[5:6], v[5:6], v[26:27]
	v_add_f64 v[3:4], v[3:4], v[28:29]
	s_andn2_b32 exec_lo, exec_lo, s7
	s_cbranch_execnz .LBB7_41
; %bb.42:
	s_or_b32 exec_lo, exec_lo, s7
	v_mov_b32_e32 v23, 0
	ds_read_b128 v[23:26], v23 offset:112
	s_waitcnt lgkmcnt(0)
	v_mul_f64 v[27:28], v[3:4], v[25:26]
	v_mul_f64 v[25:26], v[5:6], v[25:26]
	v_fma_f64 v[5:6], v[5:6], v[23:24], -v[27:28]
	v_fma_f64 v[3:4], v[3:4], v[23:24], v[25:26]
	buffer_store_dword v6, off, s[0:3], 0 offset:116
	buffer_store_dword v5, off, s[0:3], 0 offset:112
	;; [unrolled: 1-line block ×4, first 2 shown]
.LBB7_43:
	s_or_b32 exec_lo, exec_lo, s6
	s_mov_b32 s7, -1
	s_waitcnt_vscnt null, 0x0
	s_barrier
	buffer_gl0_inv
.LBB7_44:
	s_and_b32 vcc_lo, exec_lo, s7
	s_cbranch_vccz .LBB7_46
; %bb.45:
	s_lshl_b64 s[6:7], s[8:9], 2
	v_mov_b32_e32 v3, 0
	s_add_u32 s6, s14, s6
	s_addc_u32 s7, s15, s7
	global_load_dword v3, v3, s[6:7]
	s_waitcnt vmcnt(0)
	v_cmp_ne_u32_e32 vcc_lo, 0, v3
	s_cbranch_vccz .LBB7_47
.LBB7_46:
	s_endpgm
.LBB7_47:
	v_lshl_add_u32 v3, v0, 4, 0x80
	s_mov_b32 s6, exec_lo
	v_cmpx_eq_u32_e32 7, v0
	s_cbranch_execz .LBB7_49
; %bb.48:
	v_mov_b32_e32 v4, s13
	s_clause 0x3
	buffer_load_dword v23, v4, s[0:3], 0 offen
	buffer_load_dword v24, v4, s[0:3], 0 offen offset:4
	buffer_load_dword v25, v4, s[0:3], 0 offen offset:8
	;; [unrolled: 1-line block ×3, first 2 shown]
	v_mov_b32_e32 v4, 0
	buffer_store_dword v4, off, s[0:3], 0 offset:96
	buffer_store_dword v4, off, s[0:3], 0 offset:100
	;; [unrolled: 1-line block ×4, first 2 shown]
	s_waitcnt vmcnt(0)
	ds_write_b128 v3, v[23:26]
.LBB7_49:
	s_or_b32 exec_lo, exec_lo, s6
	s_waitcnt lgkmcnt(0)
	s_waitcnt_vscnt null, 0x0
	s_barrier
	buffer_gl0_inv
	s_clause 0x7
	buffer_load_dword v5, off, s[0:3], 0 offset:120
	buffer_load_dword v6, off, s[0:3], 0 offset:124
	;; [unrolled: 1-line block ×8, first 2 shown]
	v_mov_b32_e32 v4, 0
	s_mov_b32 s6, exec_lo
	ds_read_b128 v[23:26], v4 offset:240
	s_waitcnt vmcnt(6) lgkmcnt(0)
	v_mul_f64 v[33:34], v[25:26], v[5:6]
	v_mul_f64 v[5:6], v[23:24], v[5:6]
	s_waitcnt vmcnt(4)
	v_fma_f64 v[23:24], v[23:24], v[27:28], -v[33:34]
	v_fma_f64 v[5:6], v[25:26], v[27:28], v[5:6]
	v_add_f64 v[23:24], v[23:24], 0
	v_add_f64 v[5:6], v[5:6], 0
	s_waitcnt vmcnt(2)
	v_add_f64 v[23:24], v[29:30], -v[23:24]
	s_waitcnt vmcnt(0)
	v_add_f64 v[5:6], v[31:32], -v[5:6]
	buffer_store_dword v23, off, s[0:3], 0 offset:96
	buffer_store_dword v24, off, s[0:3], 0 offset:100
	buffer_store_dword v5, off, s[0:3], 0 offset:104
	buffer_store_dword v6, off, s[0:3], 0 offset:108
	v_cmpx_lt_u32_e32 5, v0
	s_cbranch_execz .LBB7_51
; %bb.50:
	v_mov_b32_e32 v5, s16
	s_clause 0x3
	buffer_load_dword v23, v5, s[0:3], 0 offen
	buffer_load_dword v24, v5, s[0:3], 0 offen offset:4
	buffer_load_dword v25, v5, s[0:3], 0 offen offset:8
	;; [unrolled: 1-line block ×3, first 2 shown]
	buffer_store_dword v4, off, s[0:3], 0 offset:80
	buffer_store_dword v4, off, s[0:3], 0 offset:84
	;; [unrolled: 1-line block ×4, first 2 shown]
	s_waitcnt vmcnt(0)
	ds_write_b128 v3, v[23:26]
.LBB7_51:
	s_or_b32 exec_lo, exec_lo, s6
	s_waitcnt lgkmcnt(0)
	s_waitcnt_vscnt null, 0x0
	s_barrier
	buffer_gl0_inv
	s_clause 0xb
	buffer_load_dword v5, off, s[0:3], 0 offset:104
	buffer_load_dword v6, off, s[0:3], 0 offset:108
	;; [unrolled: 1-line block ×12, first 2 shown]
	ds_read_b128 v[23:26], v4 offset:224
	ds_read_b128 v[27:30], v4 offset:240
	s_mov_b32 s6, exec_lo
	s_waitcnt vmcnt(10) lgkmcnt(1)
	v_mul_f64 v[41:42], v[25:26], v[5:6]
	v_mul_f64 v[4:5], v[23:24], v[5:6]
	s_waitcnt vmcnt(8) lgkmcnt(0)
	v_mul_f64 v[43:44], v[29:30], v[31:32]
	v_mul_f64 v[31:32], v[27:28], v[31:32]
	s_waitcnt vmcnt(6)
	v_fma_f64 v[23:24], v[23:24], v[33:34], -v[41:42]
	v_fma_f64 v[4:5], v[25:26], v[33:34], v[4:5]
	s_waitcnt vmcnt(4)
	v_fma_f64 v[25:26], v[27:28], v[35:36], -v[43:44]
	v_fma_f64 v[27:28], v[29:30], v[35:36], v[31:32]
	v_add_f64 v[23:24], v[23:24], 0
	v_add_f64 v[4:5], v[4:5], 0
	;; [unrolled: 1-line block ×4, first 2 shown]
	s_waitcnt vmcnt(2)
	v_add_f64 v[23:24], v[37:38], -v[23:24]
	s_waitcnt vmcnt(0)
	v_add_f64 v[4:5], v[39:40], -v[4:5]
	buffer_store_dword v23, off, s[0:3], 0 offset:80
	buffer_store_dword v24, off, s[0:3], 0 offset:84
	;; [unrolled: 1-line block ×4, first 2 shown]
	v_cmpx_lt_u32_e32 4, v0
	s_cbranch_execz .LBB7_53
; %bb.52:
	v_mov_b32_e32 v4, s17
	s_clause 0x3
	buffer_load_dword v23, v4, s[0:3], 0 offen
	buffer_load_dword v24, v4, s[0:3], 0 offen offset:4
	buffer_load_dword v25, v4, s[0:3], 0 offen offset:8
	buffer_load_dword v26, v4, s[0:3], 0 offen offset:12
	v_mov_b32_e32 v4, 0
	buffer_store_dword v4, off, s[0:3], 0 offset:64
	buffer_store_dword v4, off, s[0:3], 0 offset:68
	;; [unrolled: 1-line block ×4, first 2 shown]
	s_waitcnt vmcnt(0)
	ds_write_b128 v3, v[23:26]
.LBB7_53:
	s_or_b32 exec_lo, exec_lo, s6
	s_waitcnt lgkmcnt(0)
	s_waitcnt_vscnt null, 0x0
	s_barrier
	buffer_gl0_inv
	s_clause 0xf
	buffer_load_dword v5, off, s[0:3], 0 offset:88
	buffer_load_dword v6, off, s[0:3], 0 offset:92
	;; [unrolled: 1-line block ×16, first 2 shown]
	v_mov_b32_e32 v4, 0
	ds_read_b128 v[23:26], v4 offset:208
	ds_read_b128 v[27:30], v4 offset:224
	;; [unrolled: 1-line block ×3, first 2 shown]
	s_mov_b32 s6, exec_lo
	s_waitcnt vmcnt(14) lgkmcnt(2)
	v_mul_f64 v[49:50], v[25:26], v[5:6]
	v_mul_f64 v[5:6], v[23:24], v[5:6]
	s_waitcnt vmcnt(12) lgkmcnt(1)
	v_mul_f64 v[51:52], v[29:30], v[35:36]
	v_mul_f64 v[35:36], v[27:28], v[35:36]
	s_waitcnt vmcnt(10)
	v_fma_f64 v[23:24], v[23:24], v[37:38], -v[49:50]
	v_fma_f64 v[5:6], v[25:26], v[37:38], v[5:6]
	s_waitcnt vmcnt(8) lgkmcnt(0)
	v_mul_f64 v[37:38], v[33:34], v[39:40]
	s_waitcnt vmcnt(6)
	v_fma_f64 v[27:28], v[27:28], v[41:42], -v[51:52]
	v_mul_f64 v[25:26], v[31:32], v[39:40]
	v_fma_f64 v[29:30], v[29:30], v[41:42], v[35:36]
	v_add_f64 v[23:24], v[23:24], 0
	v_add_f64 v[5:6], v[5:6], 0
	s_waitcnt vmcnt(4)
	v_fma_f64 v[31:32], v[31:32], v[43:44], -v[37:38]
	v_fma_f64 v[25:26], v[33:34], v[43:44], v[25:26]
	v_add_f64 v[23:24], v[23:24], v[27:28]
	v_add_f64 v[5:6], v[5:6], v[29:30]
	;; [unrolled: 1-line block ×4, first 2 shown]
	s_waitcnt vmcnt(2)
	v_add_f64 v[23:24], v[45:46], -v[23:24]
	s_waitcnt vmcnt(0)
	v_add_f64 v[5:6], v[47:48], -v[5:6]
	buffer_store_dword v23, off, s[0:3], 0 offset:64
	buffer_store_dword v24, off, s[0:3], 0 offset:68
	;; [unrolled: 1-line block ×4, first 2 shown]
	v_cmpx_lt_u32_e32 3, v0
	s_cbranch_execz .LBB7_55
; %bb.54:
	v_mov_b32_e32 v5, s18
	s_clause 0x3
	buffer_load_dword v23, v5, s[0:3], 0 offen
	buffer_load_dword v24, v5, s[0:3], 0 offen offset:4
	buffer_load_dword v25, v5, s[0:3], 0 offen offset:8
	;; [unrolled: 1-line block ×3, first 2 shown]
	buffer_store_dword v4, off, s[0:3], 0 offset:48
	buffer_store_dword v4, off, s[0:3], 0 offset:52
	;; [unrolled: 1-line block ×4, first 2 shown]
	s_waitcnt vmcnt(0)
	ds_write_b128 v3, v[23:26]
.LBB7_55:
	s_or_b32 exec_lo, exec_lo, s6
	s_waitcnt lgkmcnt(0)
	s_waitcnt_vscnt null, 0x0
	s_barrier
	buffer_gl0_inv
	s_clause 0x13
	buffer_load_dword v5, off, s[0:3], 0 offset:72
	buffer_load_dword v6, off, s[0:3], 0 offset:76
	;; [unrolled: 1-line block ×20, first 2 shown]
	ds_read_b128 v[23:26], v4 offset:192
	ds_read_b128 v[27:30], v4 offset:208
	;; [unrolled: 1-line block ×3, first 2 shown]
	s_mov_b32 s6, exec_lo
	s_waitcnt vmcnt(18) lgkmcnt(2)
	v_mul_f64 v[53:54], v[25:26], v[5:6]
	v_mul_f64 v[5:6], v[23:24], v[5:6]
	s_waitcnt vmcnt(16) lgkmcnt(1)
	v_mul_f64 v[55:56], v[29:30], v[35:36]
	v_mul_f64 v[35:36], v[27:28], v[35:36]
	s_waitcnt vmcnt(14)
	v_fma_f64 v[53:54], v[23:24], v[37:38], -v[53:54]
	v_fma_f64 v[5:6], v[25:26], v[37:38], v[5:6]
	ds_read_b128 v[23:26], v4 offset:240
	s_waitcnt vmcnt(12) lgkmcnt(1)
	v_mul_f64 v[37:38], v[31:32], v[39:40]
	v_mul_f64 v[39:40], v[33:34], v[39:40]
	s_waitcnt vmcnt(10)
	v_fma_f64 v[27:28], v[27:28], v[41:42], -v[55:56]
	v_fma_f64 v[29:30], v[29:30], v[41:42], v[35:36]
	s_waitcnt vmcnt(8) lgkmcnt(0)
	v_mul_f64 v[41:42], v[25:26], v[43:44]
	v_add_f64 v[53:54], v[53:54], 0
	v_add_f64 v[4:5], v[5:6], 0
	v_mul_f64 v[35:36], v[23:24], v[43:44]
	s_waitcnt vmcnt(6)
	v_fma_f64 v[31:32], v[31:32], v[45:46], -v[39:40]
	v_fma_f64 v[33:34], v[33:34], v[45:46], v[37:38]
	s_waitcnt vmcnt(4)
	v_fma_f64 v[23:24], v[23:24], v[47:48], -v[41:42]
	v_add_f64 v[27:28], v[53:54], v[27:28]
	v_add_f64 v[4:5], v[4:5], v[29:30]
	v_fma_f64 v[25:26], v[25:26], v[47:48], v[35:36]
	v_add_f64 v[27:28], v[27:28], v[31:32]
	v_add_f64 v[4:5], v[4:5], v[33:34]
	;; [unrolled: 1-line block ×4, first 2 shown]
	s_waitcnt vmcnt(2)
	v_add_f64 v[23:24], v[49:50], -v[23:24]
	s_waitcnt vmcnt(0)
	v_add_f64 v[4:5], v[51:52], -v[4:5]
	buffer_store_dword v23, off, s[0:3], 0 offset:48
	buffer_store_dword v24, off, s[0:3], 0 offset:52
	;; [unrolled: 1-line block ×4, first 2 shown]
	v_cmpx_lt_u32_e32 2, v0
	s_cbranch_execz .LBB7_57
; %bb.56:
	v_mov_b32_e32 v4, s19
	s_clause 0x3
	buffer_load_dword v23, v4, s[0:3], 0 offen
	buffer_load_dword v24, v4, s[0:3], 0 offen offset:4
	buffer_load_dword v25, v4, s[0:3], 0 offen offset:8
	;; [unrolled: 1-line block ×3, first 2 shown]
	v_mov_b32_e32 v4, 0
	buffer_store_dword v4, off, s[0:3], 0 offset:32
	buffer_store_dword v4, off, s[0:3], 0 offset:36
	;; [unrolled: 1-line block ×4, first 2 shown]
	s_waitcnt vmcnt(0)
	ds_write_b128 v3, v[23:26]
.LBB7_57:
	s_or_b32 exec_lo, exec_lo, s6
	s_waitcnt lgkmcnt(0)
	s_waitcnt_vscnt null, 0x0
	s_barrier
	buffer_gl0_inv
	s_clause 0x17
	buffer_load_dword v5, off, s[0:3], 0 offset:56
	buffer_load_dword v6, off, s[0:3], 0 offset:60
	;; [unrolled: 1-line block ×24, first 2 shown]
	v_mov_b32_e32 v4, 0
	ds_read_b128 v[23:26], v4 offset:176
	ds_read_b128 v[27:30], v4 offset:192
	;; [unrolled: 1-line block ×3, first 2 shown]
	s_mov_b32 s6, exec_lo
	s_waitcnt vmcnt(22) lgkmcnt(2)
	v_mul_f64 v[57:58], v[25:26], v[5:6]
	v_mul_f64 v[5:6], v[23:24], v[5:6]
	s_waitcnt vmcnt(20) lgkmcnt(1)
	v_mul_f64 v[59:60], v[29:30], v[35:36]
	v_mul_f64 v[35:36], v[27:28], v[35:36]
	s_waitcnt vmcnt(18)
	v_fma_f64 v[57:58], v[23:24], v[37:38], -v[57:58]
	v_fma_f64 v[5:6], v[25:26], v[37:38], v[5:6]
	ds_read_b128 v[23:26], v4 offset:224
	s_waitcnt vmcnt(16) lgkmcnt(1)
	v_mul_f64 v[37:38], v[31:32], v[39:40]
	v_mul_f64 v[39:40], v[33:34], v[39:40]
	s_waitcnt vmcnt(14)
	v_fma_f64 v[59:60], v[27:28], v[41:42], -v[59:60]
	v_fma_f64 v[35:36], v[29:30], v[41:42], v[35:36]
	ds_read_b128 v[27:30], v4 offset:240
	s_waitcnt vmcnt(10) lgkmcnt(1)
	v_mul_f64 v[41:42], v[23:24], v[43:44]
	v_add_f64 v[57:58], v[57:58], 0
	v_add_f64 v[5:6], v[5:6], 0
	v_mul_f64 v[43:44], v[25:26], v[43:44]
	s_waitcnt vmcnt(8)
	v_fma_f64 v[31:32], v[31:32], v[49:50], -v[39:40]
	v_fma_f64 v[33:34], v[33:34], v[49:50], v[37:38]
	s_waitcnt vmcnt(7) lgkmcnt(0)
	v_mul_f64 v[37:38], v[29:30], v[45:46]
	s_waitcnt vmcnt(5)
	v_fma_f64 v[25:26], v[25:26], v[51:52], v[41:42]
	v_add_f64 v[39:40], v[57:58], v[59:60]
	v_add_f64 v[5:6], v[5:6], v[35:36]
	v_fma_f64 v[23:24], v[23:24], v[51:52], -v[43:44]
	v_mul_f64 v[35:36], v[27:28], v[45:46]
	s_waitcnt vmcnt(4)
	v_fma_f64 v[27:28], v[27:28], v[47:48], -v[37:38]
	v_add_f64 v[31:32], v[39:40], v[31:32]
	v_add_f64 v[5:6], v[5:6], v[33:34]
	v_fma_f64 v[29:30], v[29:30], v[47:48], v[35:36]
	v_add_f64 v[23:24], v[31:32], v[23:24]
	v_add_f64 v[5:6], v[5:6], v[25:26]
	;; [unrolled: 1-line block ×4, first 2 shown]
	s_waitcnt vmcnt(2)
	v_add_f64 v[23:24], v[53:54], -v[23:24]
	s_waitcnt vmcnt(0)
	v_add_f64 v[5:6], v[55:56], -v[5:6]
	buffer_store_dword v24, off, s[0:3], 0 offset:36
	buffer_store_dword v23, off, s[0:3], 0 offset:32
	;; [unrolled: 1-line block ×4, first 2 shown]
	v_cmpx_lt_u32_e32 1, v0
	s_cbranch_execz .LBB7_59
; %bb.58:
	v_mov_b32_e32 v5, s20
	s_clause 0x3
	buffer_load_dword v23, v5, s[0:3], 0 offen
	buffer_load_dword v24, v5, s[0:3], 0 offen offset:4
	buffer_load_dword v25, v5, s[0:3], 0 offen offset:8
	;; [unrolled: 1-line block ×3, first 2 shown]
	buffer_store_dword v4, off, s[0:3], 0 offset:16
	buffer_store_dword v4, off, s[0:3], 0 offset:20
	;; [unrolled: 1-line block ×4, first 2 shown]
	s_waitcnt vmcnt(0)
	ds_write_b128 v3, v[23:26]
.LBB7_59:
	s_or_b32 exec_lo, exec_lo, s6
	s_waitcnt lgkmcnt(0)
	s_waitcnt_vscnt null, 0x0
	s_barrier
	buffer_gl0_inv
	s_clause 0x1b
	buffer_load_dword v5, off, s[0:3], 0 offset:40
	buffer_load_dword v6, off, s[0:3], 0 offset:44
	;; [unrolled: 1-line block ×28, first 2 shown]
	ds_read_b128 v[23:26], v4 offset:160
	ds_read_b128 v[27:30], v4 offset:176
	;; [unrolled: 1-line block ×3, first 2 shown]
	s_mov_b32 s6, exec_lo
	s_waitcnt vmcnt(26) lgkmcnt(2)
	v_mul_f64 v[61:62], v[25:26], v[5:6]
	v_mul_f64 v[5:6], v[23:24], v[5:6]
	s_waitcnt vmcnt(24) lgkmcnt(1)
	v_mul_f64 v[63:64], v[29:30], v[35:36]
	v_mul_f64 v[35:36], v[27:28], v[35:36]
	s_waitcnt vmcnt(22)
	v_fma_f64 v[61:62], v[23:24], v[37:38], -v[61:62]
	v_fma_f64 v[5:6], v[25:26], v[37:38], v[5:6]
	ds_read_b128 v[23:26], v4 offset:208
	s_waitcnt vmcnt(20) lgkmcnt(1)
	v_mul_f64 v[37:38], v[31:32], v[39:40]
	v_mul_f64 v[39:40], v[33:34], v[39:40]
	s_waitcnt vmcnt(18)
	v_fma_f64 v[63:64], v[27:28], v[41:42], -v[63:64]
	v_fma_f64 v[35:36], v[29:30], v[41:42], v[35:36]
	ds_read_b128 v[27:30], v4 offset:224
	s_waitcnt vmcnt(14) lgkmcnt(1)
	v_mul_f64 v[41:42], v[23:24], v[43:44]
	v_add_f64 v[61:62], v[61:62], 0
	v_add_f64 v[5:6], v[5:6], 0
	v_mul_f64 v[43:44], v[25:26], v[43:44]
	s_waitcnt vmcnt(12)
	v_fma_f64 v[39:40], v[31:32], v[49:50], -v[39:40]
	v_fma_f64 v[37:38], v[33:34], v[49:50], v[37:38]
	ds_read_b128 v[31:34], v4 offset:240
	s_waitcnt vmcnt(9)
	v_fma_f64 v[25:26], v[25:26], v[51:52], v[41:42]
	v_add_f64 v[61:62], v[61:62], v[63:64]
	v_add_f64 v[5:6], v[5:6], v[35:36]
	s_waitcnt lgkmcnt(1)
	v_mul_f64 v[35:36], v[27:28], v[45:46]
	v_mul_f64 v[45:46], v[29:30], v[45:46]
	v_fma_f64 v[23:24], v[23:24], v[51:52], -v[43:44]
	s_waitcnt vmcnt(7) lgkmcnt(0)
	v_mul_f64 v[41:42], v[33:34], v[53:54]
	v_add_f64 v[39:40], v[61:62], v[39:40]
	v_add_f64 v[4:5], v[5:6], v[37:38]
	v_mul_f64 v[37:38], v[31:32], v[53:54]
	s_waitcnt vmcnt(6)
	v_fma_f64 v[27:28], v[27:28], v[47:48], -v[45:46]
	v_fma_f64 v[29:30], v[29:30], v[47:48], v[35:36]
	v_add_f64 v[23:24], v[39:40], v[23:24]
	v_add_f64 v[4:5], v[4:5], v[25:26]
	s_waitcnt vmcnt(4)
	v_fma_f64 v[25:26], v[31:32], v[55:56], -v[41:42]
	v_add_f64 v[23:24], v[23:24], v[27:28]
	v_fma_f64 v[27:28], v[33:34], v[55:56], v[37:38]
	v_add_f64 v[4:5], v[4:5], v[29:30]
	v_add_f64 v[23:24], v[23:24], v[25:26]
	v_add_f64 v[4:5], v[4:5], v[27:28]
	s_waitcnt vmcnt(2)
	v_add_f64 v[23:24], v[57:58], -v[23:24]
	s_waitcnt vmcnt(0)
	v_add_f64 v[4:5], v[59:60], -v[4:5]
	buffer_store_dword v24, off, s[0:3], 0 offset:20
	buffer_store_dword v23, off, s[0:3], 0 offset:16
	;; [unrolled: 1-line block ×4, first 2 shown]
	v_cmpx_ne_u32_e32 0, v0
	s_cbranch_execz .LBB7_61
; %bb.60:
	s_clause 0x3
	buffer_load_dword v23, off, s[0:3], 0
	buffer_load_dword v24, off, s[0:3], 0 offset:4
	buffer_load_dword v25, off, s[0:3], 0 offset:8
	;; [unrolled: 1-line block ×3, first 2 shown]
	v_mov_b32_e32 v4, 0
	buffer_store_dword v4, off, s[0:3], 0
	buffer_store_dword v4, off, s[0:3], 0 offset:4
	buffer_store_dword v4, off, s[0:3], 0 offset:8
	;; [unrolled: 1-line block ×3, first 2 shown]
	s_waitcnt vmcnt(0)
	ds_write_b128 v3, v[23:26]
.LBB7_61:
	s_or_b32 exec_lo, exec_lo, s6
	s_waitcnt lgkmcnt(0)
	s_waitcnt_vscnt null, 0x0
	s_barrier
	buffer_gl0_inv
	s_clause 0x1f
	buffer_load_dword v4, off, s[0:3], 0 offset:24
	buffer_load_dword v5, off, s[0:3], 0 offset:28
	;; [unrolled: 1-line block ×28, first 2 shown]
	buffer_load_dword v61, off, s[0:3], 0
	buffer_load_dword v62, off, s[0:3], 0 offset:4
	buffer_load_dword v63, off, s[0:3], 0 offset:8
	;; [unrolled: 1-line block ×3, first 2 shown]
	v_mov_b32_e32 v3, 0
	ds_read_b128 v[23:26], v3 offset:144
	ds_read_b128 v[27:30], v3 offset:160
	;; [unrolled: 1-line block ×3, first 2 shown]
	s_and_b32 vcc_lo, exec_lo, s24
	s_waitcnt vmcnt(30) lgkmcnt(2)
	v_mul_f64 v[65:66], v[25:26], v[4:5]
	v_mul_f64 v[4:5], v[23:24], v[4:5]
	s_waitcnt vmcnt(28) lgkmcnt(1)
	v_mul_f64 v[67:68], v[29:30], v[35:36]
	v_mul_f64 v[35:36], v[27:28], v[35:36]
	s_waitcnt vmcnt(26)
	v_fma_f64 v[65:66], v[23:24], v[37:38], -v[65:66]
	v_fma_f64 v[4:5], v[25:26], v[37:38], v[4:5]
	ds_read_b128 v[23:26], v3 offset:192
	s_waitcnt vmcnt(24) lgkmcnt(1)
	v_mul_f64 v[37:38], v[31:32], v[39:40]
	v_mul_f64 v[39:40], v[33:34], v[39:40]
	s_waitcnt vmcnt(22)
	v_fma_f64 v[67:68], v[27:28], v[41:42], -v[67:68]
	v_fma_f64 v[35:36], v[29:30], v[41:42], v[35:36]
	ds_read_b128 v[27:30], v3 offset:208
	s_waitcnt vmcnt(18) lgkmcnt(1)
	v_mul_f64 v[41:42], v[23:24], v[43:44]
	v_add_f64 v[65:66], v[65:66], 0
	v_add_f64 v[4:5], v[4:5], 0
	v_mul_f64 v[43:44], v[25:26], v[43:44]
	s_waitcnt vmcnt(16)
	v_fma_f64 v[39:40], v[31:32], v[49:50], -v[39:40]
	v_fma_f64 v[37:38], v[33:34], v[49:50], v[37:38]
	ds_read_b128 v[31:34], v3 offset:224
	s_waitcnt vmcnt(13)
	v_fma_f64 v[41:42], v[25:26], v[51:52], v[41:42]
	v_add_f64 v[65:66], v[65:66], v[67:68]
	v_add_f64 v[4:5], v[4:5], v[35:36]
	s_waitcnt lgkmcnt(1)
	v_mul_f64 v[35:36], v[27:28], v[45:46]
	v_mul_f64 v[45:46], v[29:30], v[45:46]
	v_fma_f64 v[43:44], v[23:24], v[51:52], -v[43:44]
	s_waitcnt vmcnt(9) lgkmcnt(0)
	v_mul_f64 v[49:50], v[33:34], v[53:54]
	ds_read_b128 v[23:26], v3 offset:240
	v_add_f64 v[39:40], v[65:66], v[39:40]
	v_add_f64 v[4:5], v[4:5], v[37:38]
	v_mul_f64 v[37:38], v[31:32], v[53:54]
	s_waitcnt vmcnt(8)
	v_fma_f64 v[27:28], v[27:28], v[47:48], -v[45:46]
	v_fma_f64 v[29:30], v[29:30], v[47:48], v[35:36]
	s_waitcnt vmcnt(5)
	v_fma_f64 v[31:32], v[31:32], v[59:60], -v[49:50]
	s_waitcnt lgkmcnt(0)
	v_mul_f64 v[35:36], v[23:24], v[55:56]
	v_add_f64 v[39:40], v[39:40], v[43:44]
	v_add_f64 v[4:5], v[4:5], v[41:42]
	v_mul_f64 v[41:42], v[25:26], v[55:56]
	v_fma_f64 v[33:34], v[33:34], v[59:60], v[37:38]
	s_waitcnt vmcnt(4)
	v_fma_f64 v[25:26], v[25:26], v[57:58], v[35:36]
	v_add_f64 v[27:28], v[39:40], v[27:28]
	v_add_f64 v[4:5], v[4:5], v[29:30]
	v_fma_f64 v[23:24], v[23:24], v[57:58], -v[41:42]
	v_add_f64 v[27:28], v[27:28], v[31:32]
	v_add_f64 v[4:5], v[4:5], v[33:34]
	v_add_f64 v[23:24], v[27:28], v[23:24]
	v_add_f64 v[4:5], v[4:5], v[25:26]
	s_waitcnt vmcnt(2)
	v_add_f64 v[23:24], v[61:62], -v[23:24]
	s_waitcnt vmcnt(0)
	v_add_f64 v[4:5], v[63:64], -v[4:5]
	buffer_store_dword v24, off, s[0:3], 0 offset:4
	buffer_store_dword v23, off, s[0:3], 0
	buffer_store_dword v5, off, s[0:3], 0 offset:12
	buffer_store_dword v4, off, s[0:3], 0 offset:8
	s_cbranch_vccz .LBB7_76
; %bb.62:
	global_load_dword v3, v3, s[10:11] offset:24
	s_load_dwordx2 s[4:5], s[4:5], 0x4
	s_waitcnt lgkmcnt(0)
	s_lshr_b32 s4, s4, 16
	v_mul_u32_u24_e32 v4, s5, v1
	s_mul_i32 s4, s4, s5
	v_mul_u32_u24_e32 v0, s4, v0
	v_add3_u32 v0, v0, v4, v2
	v_lshl_add_u32 v0, v0, 4, 0x108
	s_waitcnt vmcnt(0)
	v_add_nc_u32_e32 v1, -1, v3
	v_cmp_ne_u32_e32 vcc_lo, 6, v1
	s_cbranch_vccz .LBB7_64
; %bb.63:
	v_lshlrev_b32_e32 v1, 4, v1
	v_mov_b32_e32 v5, s13
	v_mov_b32_e32 v6, v1
	s_clause 0x7
	buffer_load_dword v1, v5, s[0:3], 0 offen
	buffer_load_dword v2, v5, s[0:3], 0 offen offset:4
	buffer_load_dword v3, v5, s[0:3], 0 offen offset:8
	;; [unrolled: 1-line block ×3, first 2 shown]
	buffer_load_dword v23, v6, s[0:3], 0 offen
	buffer_load_dword v24, v6, s[0:3], 0 offen offset:4
	buffer_load_dword v25, v6, s[0:3], 0 offen offset:8
	;; [unrolled: 1-line block ×3, first 2 shown]
	s_waitcnt vmcnt(4)
	ds_write2_b64 v0, v[1:2], v[3:4] offset1:1
	s_waitcnt vmcnt(3)
	buffer_store_dword v23, v5, s[0:3], 0 offen
	s_waitcnt vmcnt(2)
	buffer_store_dword v24, v5, s[0:3], 0 offen offset:4
	s_waitcnt vmcnt(1)
	buffer_store_dword v25, v5, s[0:3], 0 offen offset:8
	;; [unrolled: 2-line block ×3, first 2 shown]
	buffer_store_dword v4, v6, s[0:3], 0 offen offset:12
	buffer_store_dword v3, v6, s[0:3], 0 offen offset:8
	;; [unrolled: 1-line block ×3, first 2 shown]
	buffer_store_dword v1, v6, s[0:3], 0 offen
.LBB7_64:
	v_mov_b32_e32 v1, 0
	global_load_dword v2, v1, s[10:11] offset:20
	s_waitcnt vmcnt(0)
	v_add_nc_u32_e32 v2, -1, v2
	v_cmp_eq_u32_e32 vcc_lo, 5, v2
	s_cbranch_vccnz .LBB7_66
; %bb.65:
	v_lshlrev_b32_e32 v2, 4, v2
	v_mov_b32_e32 v6, s16
	v_mov_b32_e32 v23, v2
	s_clause 0x7
	buffer_load_dword v2, v6, s[0:3], 0 offen
	buffer_load_dword v3, v6, s[0:3], 0 offen offset:4
	buffer_load_dword v4, v6, s[0:3], 0 offen offset:8
	;; [unrolled: 1-line block ×3, first 2 shown]
	buffer_load_dword v24, v23, s[0:3], 0 offen
	buffer_load_dword v25, v23, s[0:3], 0 offen offset:4
	buffer_load_dword v26, v23, s[0:3], 0 offen offset:8
	;; [unrolled: 1-line block ×3, first 2 shown]
	s_waitcnt vmcnt(4)
	ds_write2_b64 v0, v[2:3], v[4:5] offset1:1
	s_waitcnt vmcnt(3)
	buffer_store_dword v24, v6, s[0:3], 0 offen
	s_waitcnt vmcnt(2)
	buffer_store_dword v25, v6, s[0:3], 0 offen offset:4
	s_waitcnt vmcnt(1)
	buffer_store_dword v26, v6, s[0:3], 0 offen offset:8
	;; [unrolled: 2-line block ×3, first 2 shown]
	buffer_store_dword v5, v23, s[0:3], 0 offen offset:12
	buffer_store_dword v4, v23, s[0:3], 0 offen offset:8
	;; [unrolled: 1-line block ×3, first 2 shown]
	buffer_store_dword v2, v23, s[0:3], 0 offen
.LBB7_66:
	global_load_dword v1, v1, s[10:11] offset:16
	s_waitcnt vmcnt(0)
	v_add_nc_u32_e32 v1, -1, v1
	v_cmp_eq_u32_e32 vcc_lo, 4, v1
	s_cbranch_vccnz .LBB7_68
; %bb.67:
	v_lshlrev_b32_e32 v1, 4, v1
	v_mov_b32_e32 v5, s17
	v_mov_b32_e32 v6, v1
	s_clause 0x7
	buffer_load_dword v1, v5, s[0:3], 0 offen
	buffer_load_dword v2, v5, s[0:3], 0 offen offset:4
	buffer_load_dword v3, v5, s[0:3], 0 offen offset:8
	;; [unrolled: 1-line block ×3, first 2 shown]
	buffer_load_dword v23, v6, s[0:3], 0 offen
	buffer_load_dword v24, v6, s[0:3], 0 offen offset:4
	buffer_load_dword v25, v6, s[0:3], 0 offen offset:8
	;; [unrolled: 1-line block ×3, first 2 shown]
	s_waitcnt vmcnt(4)
	ds_write2_b64 v0, v[1:2], v[3:4] offset1:1
	s_waitcnt vmcnt(3)
	buffer_store_dword v23, v5, s[0:3], 0 offen
	s_waitcnt vmcnt(2)
	buffer_store_dword v24, v5, s[0:3], 0 offen offset:4
	s_waitcnt vmcnt(1)
	buffer_store_dword v25, v5, s[0:3], 0 offen offset:8
	;; [unrolled: 2-line block ×3, first 2 shown]
	buffer_store_dword v4, v6, s[0:3], 0 offen offset:12
	buffer_store_dword v3, v6, s[0:3], 0 offen offset:8
	;; [unrolled: 1-line block ×3, first 2 shown]
	buffer_store_dword v1, v6, s[0:3], 0 offen
.LBB7_68:
	v_mov_b32_e32 v1, 0
	global_load_dword v2, v1, s[10:11] offset:12
	s_waitcnt vmcnt(0)
	v_add_nc_u32_e32 v2, -1, v2
	v_cmp_eq_u32_e32 vcc_lo, 3, v2
	s_cbranch_vccnz .LBB7_70
; %bb.69:
	v_lshlrev_b32_e32 v2, 4, v2
	v_mov_b32_e32 v6, s18
	v_mov_b32_e32 v23, v2
	s_clause 0x7
	buffer_load_dword v2, v6, s[0:3], 0 offen
	buffer_load_dword v3, v6, s[0:3], 0 offen offset:4
	buffer_load_dword v4, v6, s[0:3], 0 offen offset:8
	;; [unrolled: 1-line block ×3, first 2 shown]
	buffer_load_dword v24, v23, s[0:3], 0 offen
	buffer_load_dword v25, v23, s[0:3], 0 offen offset:4
	buffer_load_dword v26, v23, s[0:3], 0 offen offset:8
	;; [unrolled: 1-line block ×3, first 2 shown]
	s_waitcnt vmcnt(4)
	ds_write2_b64 v0, v[2:3], v[4:5] offset1:1
	s_waitcnt vmcnt(3)
	buffer_store_dword v24, v6, s[0:3], 0 offen
	s_waitcnt vmcnt(2)
	buffer_store_dword v25, v6, s[0:3], 0 offen offset:4
	s_waitcnt vmcnt(1)
	buffer_store_dword v26, v6, s[0:3], 0 offen offset:8
	;; [unrolled: 2-line block ×3, first 2 shown]
	buffer_store_dword v5, v23, s[0:3], 0 offen offset:12
	buffer_store_dword v4, v23, s[0:3], 0 offen offset:8
	;; [unrolled: 1-line block ×3, first 2 shown]
	buffer_store_dword v2, v23, s[0:3], 0 offen
.LBB7_70:
	global_load_dword v1, v1, s[10:11] offset:8
	s_waitcnt vmcnt(0)
	v_add_nc_u32_e32 v1, -1, v1
	v_cmp_eq_u32_e32 vcc_lo, 2, v1
	s_cbranch_vccnz .LBB7_72
; %bb.71:
	v_lshlrev_b32_e32 v1, 4, v1
	v_mov_b32_e32 v5, s19
	v_mov_b32_e32 v6, v1
	s_clause 0x7
	buffer_load_dword v1, v5, s[0:3], 0 offen
	buffer_load_dword v2, v5, s[0:3], 0 offen offset:4
	buffer_load_dword v3, v5, s[0:3], 0 offen offset:8
	;; [unrolled: 1-line block ×3, first 2 shown]
	buffer_load_dword v23, v6, s[0:3], 0 offen
	buffer_load_dword v24, v6, s[0:3], 0 offen offset:4
	buffer_load_dword v25, v6, s[0:3], 0 offen offset:8
	;; [unrolled: 1-line block ×3, first 2 shown]
	s_waitcnt vmcnt(4)
	ds_write2_b64 v0, v[1:2], v[3:4] offset1:1
	s_waitcnt vmcnt(3)
	buffer_store_dword v23, v5, s[0:3], 0 offen
	s_waitcnt vmcnt(2)
	buffer_store_dword v24, v5, s[0:3], 0 offen offset:4
	s_waitcnt vmcnt(1)
	buffer_store_dword v25, v5, s[0:3], 0 offen offset:8
	;; [unrolled: 2-line block ×3, first 2 shown]
	buffer_store_dword v4, v6, s[0:3], 0 offen offset:12
	buffer_store_dword v3, v6, s[0:3], 0 offen offset:8
	;; [unrolled: 1-line block ×3, first 2 shown]
	buffer_store_dword v1, v6, s[0:3], 0 offen
.LBB7_72:
	v_mov_b32_e32 v1, 0
	global_load_dword v2, v1, s[10:11] offset:4
	s_waitcnt vmcnt(0)
	v_add_nc_u32_e32 v2, -1, v2
	v_cmp_eq_u32_e32 vcc_lo, 1, v2
	s_cbranch_vccnz .LBB7_74
; %bb.73:
	v_lshlrev_b32_e32 v2, 4, v2
	v_mov_b32_e32 v6, s20
	v_mov_b32_e32 v23, v2
	s_clause 0x7
	buffer_load_dword v2, v6, s[0:3], 0 offen
	buffer_load_dword v3, v6, s[0:3], 0 offen offset:4
	buffer_load_dword v4, v6, s[0:3], 0 offen offset:8
	;; [unrolled: 1-line block ×3, first 2 shown]
	buffer_load_dword v24, v23, s[0:3], 0 offen
	buffer_load_dword v25, v23, s[0:3], 0 offen offset:4
	buffer_load_dword v26, v23, s[0:3], 0 offen offset:8
	;; [unrolled: 1-line block ×3, first 2 shown]
	s_waitcnt vmcnt(4)
	ds_write2_b64 v0, v[2:3], v[4:5] offset1:1
	s_waitcnt vmcnt(3)
	buffer_store_dword v24, v6, s[0:3], 0 offen
	s_waitcnt vmcnt(2)
	buffer_store_dword v25, v6, s[0:3], 0 offen offset:4
	s_waitcnt vmcnt(1)
	buffer_store_dword v26, v6, s[0:3], 0 offen offset:8
	;; [unrolled: 2-line block ×3, first 2 shown]
	buffer_store_dword v5, v23, s[0:3], 0 offen offset:12
	buffer_store_dword v4, v23, s[0:3], 0 offen offset:8
	;; [unrolled: 1-line block ×3, first 2 shown]
	buffer_store_dword v2, v23, s[0:3], 0 offen
.LBB7_74:
	global_load_dword v1, v1, s[10:11]
	s_waitcnt vmcnt(0)
	v_add_nc_u32_e32 v1, -1, v1
	v_cmp_eq_u32_e32 vcc_lo, 0, v1
	s_cbranch_vccnz .LBB7_76
; %bb.75:
	v_lshlrev_b32_e32 v1, 4, v1
	v_mov_b32_e32 v5, v1
	s_clause 0x7
	buffer_load_dword v1, off, s[0:3], 0
	buffer_load_dword v2, off, s[0:3], 0 offset:4
	buffer_load_dword v3, off, s[0:3], 0 offset:8
	;; [unrolled: 1-line block ×3, first 2 shown]
	buffer_load_dword v6, v5, s[0:3], 0 offen
	buffer_load_dword v23, v5, s[0:3], 0 offen offset:4
	buffer_load_dword v24, v5, s[0:3], 0 offen offset:8
	;; [unrolled: 1-line block ×3, first 2 shown]
	s_waitcnt vmcnt(4)
	ds_write2_b64 v0, v[1:2], v[3:4] offset1:1
	s_waitcnt vmcnt(3)
	buffer_store_dword v6, off, s[0:3], 0
	s_waitcnt vmcnt(2)
	buffer_store_dword v23, off, s[0:3], 0 offset:4
	s_waitcnt vmcnt(1)
	buffer_store_dword v24, off, s[0:3], 0 offset:8
	;; [unrolled: 2-line block ×3, first 2 shown]
	buffer_store_dword v4, v5, s[0:3], 0 offen offset:12
	buffer_store_dword v3, v5, s[0:3], 0 offen offset:8
	;; [unrolled: 1-line block ×3, first 2 shown]
	buffer_store_dword v1, v5, s[0:3], 0 offen
.LBB7_76:
	v_mov_b32_e32 v5, s19
	v_mov_b32_e32 v4, s20
	s_clause 0x7
	buffer_load_dword v0, off, s[0:3], 0
	buffer_load_dword v1, off, s[0:3], 0 offset:4
	buffer_load_dword v2, off, s[0:3], 0 offset:8
	;; [unrolled: 1-line block ×3, first 2 shown]
	buffer_load_dword v23, v4, s[0:3], 0 offen
	buffer_load_dword v24, v4, s[0:3], 0 offen offset:4
	buffer_load_dword v25, v4, s[0:3], 0 offen offset:8
	;; [unrolled: 1-line block ×3, first 2 shown]
	v_mov_b32_e32 v4, s18
	v_mov_b32_e32 v6, s17
	s_clause 0x7
	buffer_load_dword v27, v5, s[0:3], 0 offen
	buffer_load_dword v28, v5, s[0:3], 0 offen offset:4
	buffer_load_dword v29, v5, s[0:3], 0 offen offset:8
	;; [unrolled: 1-line block ×3, first 2 shown]
	buffer_load_dword v31, v4, s[0:3], 0 offen
	buffer_load_dword v32, v4, s[0:3], 0 offen offset:4
	buffer_load_dword v33, v4, s[0:3], 0 offen offset:8
	;; [unrolled: 1-line block ×3, first 2 shown]
	v_mov_b32_e32 v5, s13
	v_mov_b32_e32 v4, s16
	s_clause 0x7
	buffer_load_dword v35, v6, s[0:3], 0 offen
	buffer_load_dword v36, v6, s[0:3], 0 offen offset:4
	buffer_load_dword v37, v6, s[0:3], 0 offen offset:8
	;; [unrolled: 1-line block ×3, first 2 shown]
	buffer_load_dword v39, v4, s[0:3], 0 offen
	buffer_load_dword v40, v4, s[0:3], 0 offen offset:4
	buffer_load_dword v41, v4, s[0:3], 0 offen offset:8
	buffer_load_dword v42, v4, s[0:3], 0 offen offset:12
	v_mov_b32_e32 v4, s12
	s_clause 0x7
	buffer_load_dword v43, v5, s[0:3], 0 offen
	buffer_load_dword v44, v5, s[0:3], 0 offen offset:4
	buffer_load_dword v45, v5, s[0:3], 0 offen offset:8
	;; [unrolled: 1-line block ×3, first 2 shown]
	buffer_load_dword v47, v4, s[0:3], 0 offen
	buffer_load_dword v48, v4, s[0:3], 0 offen offset:4
	buffer_load_dword v49, v4, s[0:3], 0 offen offset:8
	;; [unrolled: 1-line block ×3, first 2 shown]
	s_waitcnt vmcnt(28)
	global_store_dwordx4 v[7:8], v[0:3], off
	s_waitcnt vmcnt(24)
	global_store_dwordx4 v[9:10], v[23:26], off
	;; [unrolled: 2-line block ×8, first 2 shown]
	s_endpgm
	.section	.rodata,"a",@progbits
	.p2align	6, 0x0
	.amdhsa_kernel _ZN9rocsolver6v33100L18getri_kernel_smallILi8E19rocblas_complex_numIdEPS3_EEvT1_iilPiilS6_bb
		.amdhsa_group_segment_fixed_size 1288
		.amdhsa_private_segment_fixed_size 144
		.amdhsa_kernarg_size 60
		.amdhsa_user_sgpr_count 8
		.amdhsa_user_sgpr_private_segment_buffer 1
		.amdhsa_user_sgpr_dispatch_ptr 1
		.amdhsa_user_sgpr_queue_ptr 0
		.amdhsa_user_sgpr_kernarg_segment_ptr 1
		.amdhsa_user_sgpr_dispatch_id 0
		.amdhsa_user_sgpr_flat_scratch_init 0
		.amdhsa_user_sgpr_private_segment_size 0
		.amdhsa_wavefront_size32 1
		.amdhsa_uses_dynamic_stack 0
		.amdhsa_system_sgpr_private_segment_wavefront_offset 1
		.amdhsa_system_sgpr_workgroup_id_x 1
		.amdhsa_system_sgpr_workgroup_id_y 0
		.amdhsa_system_sgpr_workgroup_id_z 0
		.amdhsa_system_sgpr_workgroup_info 0
		.amdhsa_system_vgpr_workitem_id 2
		.amdhsa_next_free_vgpr 69
		.amdhsa_next_free_sgpr 25
		.amdhsa_reserve_vcc 1
		.amdhsa_reserve_flat_scratch 0
		.amdhsa_float_round_mode_32 0
		.amdhsa_float_round_mode_16_64 0
		.amdhsa_float_denorm_mode_32 3
		.amdhsa_float_denorm_mode_16_64 3
		.amdhsa_dx10_clamp 1
		.amdhsa_ieee_mode 1
		.amdhsa_fp16_overflow 0
		.amdhsa_workgroup_processor_mode 1
		.amdhsa_memory_ordered 1
		.amdhsa_forward_progress 1
		.amdhsa_shared_vgpr_count 0
		.amdhsa_exception_fp_ieee_invalid_op 0
		.amdhsa_exception_fp_denorm_src 0
		.amdhsa_exception_fp_ieee_div_zero 0
		.amdhsa_exception_fp_ieee_overflow 0
		.amdhsa_exception_fp_ieee_underflow 0
		.amdhsa_exception_fp_ieee_inexact 0
		.amdhsa_exception_int_div_zero 0
	.end_amdhsa_kernel
	.section	.text._ZN9rocsolver6v33100L18getri_kernel_smallILi8E19rocblas_complex_numIdEPS3_EEvT1_iilPiilS6_bb,"axG",@progbits,_ZN9rocsolver6v33100L18getri_kernel_smallILi8E19rocblas_complex_numIdEPS3_EEvT1_iilPiilS6_bb,comdat
.Lfunc_end7:
	.size	_ZN9rocsolver6v33100L18getri_kernel_smallILi8E19rocblas_complex_numIdEPS3_EEvT1_iilPiilS6_bb, .Lfunc_end7-_ZN9rocsolver6v33100L18getri_kernel_smallILi8E19rocblas_complex_numIdEPS3_EEvT1_iilPiilS6_bb
                                        ; -- End function
	.set _ZN9rocsolver6v33100L18getri_kernel_smallILi8E19rocblas_complex_numIdEPS3_EEvT1_iilPiilS6_bb.num_vgpr, 69
	.set _ZN9rocsolver6v33100L18getri_kernel_smallILi8E19rocblas_complex_numIdEPS3_EEvT1_iilPiilS6_bb.num_agpr, 0
	.set _ZN9rocsolver6v33100L18getri_kernel_smallILi8E19rocblas_complex_numIdEPS3_EEvT1_iilPiilS6_bb.numbered_sgpr, 25
	.set _ZN9rocsolver6v33100L18getri_kernel_smallILi8E19rocblas_complex_numIdEPS3_EEvT1_iilPiilS6_bb.num_named_barrier, 0
	.set _ZN9rocsolver6v33100L18getri_kernel_smallILi8E19rocblas_complex_numIdEPS3_EEvT1_iilPiilS6_bb.private_seg_size, 144
	.set _ZN9rocsolver6v33100L18getri_kernel_smallILi8E19rocblas_complex_numIdEPS3_EEvT1_iilPiilS6_bb.uses_vcc, 1
	.set _ZN9rocsolver6v33100L18getri_kernel_smallILi8E19rocblas_complex_numIdEPS3_EEvT1_iilPiilS6_bb.uses_flat_scratch, 0
	.set _ZN9rocsolver6v33100L18getri_kernel_smallILi8E19rocblas_complex_numIdEPS3_EEvT1_iilPiilS6_bb.has_dyn_sized_stack, 0
	.set _ZN9rocsolver6v33100L18getri_kernel_smallILi8E19rocblas_complex_numIdEPS3_EEvT1_iilPiilS6_bb.has_recursion, 0
	.set _ZN9rocsolver6v33100L18getri_kernel_smallILi8E19rocblas_complex_numIdEPS3_EEvT1_iilPiilS6_bb.has_indirect_call, 0
	.section	.AMDGPU.csdata,"",@progbits
; Kernel info:
; codeLenInByte = 10428
; TotalNumSgprs: 27
; NumVgprs: 69
; ScratchSize: 144
; MemoryBound: 0
; FloatMode: 240
; IeeeMode: 1
; LDSByteSize: 1288 bytes/workgroup (compile time only)
; SGPRBlocks: 0
; VGPRBlocks: 8
; NumSGPRsForWavesPerEU: 27
; NumVGPRsForWavesPerEU: 69
; Occupancy: 12
; WaveLimiterHint : 1
; COMPUTE_PGM_RSRC2:SCRATCH_EN: 1
; COMPUTE_PGM_RSRC2:USER_SGPR: 8
; COMPUTE_PGM_RSRC2:TRAP_HANDLER: 0
; COMPUTE_PGM_RSRC2:TGID_X_EN: 1
; COMPUTE_PGM_RSRC2:TGID_Y_EN: 0
; COMPUTE_PGM_RSRC2:TGID_Z_EN: 0
; COMPUTE_PGM_RSRC2:TIDIG_COMP_CNT: 2
	.section	.text._ZN9rocsolver6v33100L18getri_kernel_smallILi9E19rocblas_complex_numIdEPS3_EEvT1_iilPiilS6_bb,"axG",@progbits,_ZN9rocsolver6v33100L18getri_kernel_smallILi9E19rocblas_complex_numIdEPS3_EEvT1_iilPiilS6_bb,comdat
	.globl	_ZN9rocsolver6v33100L18getri_kernel_smallILi9E19rocblas_complex_numIdEPS3_EEvT1_iilPiilS6_bb ; -- Begin function _ZN9rocsolver6v33100L18getri_kernel_smallILi9E19rocblas_complex_numIdEPS3_EEvT1_iilPiilS6_bb
	.p2align	8
	.type	_ZN9rocsolver6v33100L18getri_kernel_smallILi9E19rocblas_complex_numIdEPS3_EEvT1_iilPiilS6_bb,@function
_ZN9rocsolver6v33100L18getri_kernel_smallILi9E19rocblas_complex_numIdEPS3_EEvT1_iilPiilS6_bb: ; @_ZN9rocsolver6v33100L18getri_kernel_smallILi9E19rocblas_complex_numIdEPS3_EEvT1_iilPiilS6_bb
; %bb.0:
	s_add_u32 s0, s0, s9
	s_addc_u32 s1, s1, 0
	s_mov_b32 s9, exec_lo
	v_cmpx_gt_u32_e32 9, v0
	s_cbranch_execz .LBB8_50
; %bb.1:
	s_clause 0x2
	s_load_dword s9, s[6:7], 0x38
	s_load_dwordx4 s[20:23], s[6:7], 0x10
	s_load_dwordx4 s[12:15], s[6:7], 0x28
	s_waitcnt lgkmcnt(0)
	s_bitcmp1_b32 s9, 8
	s_cselect_b32 s24, -1, 0
	s_bfe_u32 s10, s9, 0x10008
	s_ashr_i32 s9, s8, 31
	s_cmp_eq_u32 s10, 0
                                        ; implicit-def: $sgpr10_sgpr11
	s_cbranch_scc1 .LBB8_3
; %bb.2:
	s_load_dword s10, s[6:7], 0x20
	s_mul_i32 s11, s12, s9
	s_mul_hi_u32 s16, s12, s8
	s_mul_i32 s13, s13, s8
	s_add_i32 s11, s16, s11
	s_mul_i32 s12, s12, s8
	s_add_i32 s13, s11, s13
	s_lshl_b64 s[12:13], s[12:13], 2
	s_waitcnt lgkmcnt(0)
	s_ashr_i32 s11, s10, 31
	s_add_u32 s12, s22, s12
	s_addc_u32 s13, s23, s13
	s_lshl_b64 s[10:11], s[10:11], 2
	s_add_u32 s10, s12, s10
	s_addc_u32 s11, s13, s11
.LBB8_3:
	s_clause 0x1
	s_load_dwordx4 s[16:19], s[6:7], 0x0
	s_load_dword s22, s[6:7], 0x38
	s_mul_i32 s6, s20, s9
	s_mul_hi_u32 s7, s20, s8
	s_mul_i32 s12, s21, s8
	s_add_i32 s7, s7, s6
	s_mul_i32 s6, s20, s8
	s_add_i32 s7, s7, s12
	v_lshlrev_b32_e32 v31, 4, v0
	s_lshl_b64 s[6:7], s[6:7], 4
	s_movk_i32 s23, 0x80
	s_mov_b32 s21, 16
	s_mov_b32 s20, 32
	s_waitcnt lgkmcnt(0)
	v_add3_u32 v9, s19, s19, v0
	s_ashr_i32 s13, s18, 31
	s_mov_b32 s12, s18
	s_add_u32 s16, s16, s6
	s_addc_u32 s17, s17, s7
	v_add_nc_u32_e32 v11, s19, v9
	s_lshl_b64 s[6:7], s[12:13], 4
	v_ashrrev_i32_e32 v10, 31, v9
	s_add_u32 s6, s16, s6
	s_addc_u32 s7, s17, s7
	v_ashrrev_i32_e32 v12, 31, v11
	v_add_nc_u32_e32 v15, s19, v11
	v_add_co_u32 v7, s16, s6, v31
	s_mov_b32 s12, s19
	s_ashr_i32 s13, s19, 31
	v_lshlrev_b64 v[13:14], 4, v[9:10]
	v_add_co_ci_u32_e64 v8, null, s7, 0, s16
	s_lshl_b64 s[12:13], s[12:13], 4
	v_lshlrev_b64 v[17:18], 4, v[11:12]
	v_add_nc_u32_e32 v19, s19, v15
	v_add_co_u32 v9, vcc_lo, v7, s12
	v_add_co_ci_u32_e64 v10, null, s13, v8, vcc_lo
	v_add_co_u32 v11, vcc_lo, s6, v13
	v_add_co_ci_u32_e64 v12, null, s7, v14, vcc_lo
	v_add_co_u32 v13, vcc_lo, s6, v17
	v_add_nc_u32_e32 v17, s19, v19
	v_ashrrev_i32_e32 v16, 31, v15
	v_ashrrev_i32_e32 v20, 31, v19
	v_add_co_ci_u32_e64 v14, null, s7, v18, vcc_lo
	v_ashrrev_i32_e32 v18, 31, v17
	v_add_nc_u32_e32 v23, s19, v17
	v_lshlrev_b64 v[15:16], 4, v[15:16]
	v_lshlrev_b64 v[19:20], 4, v[19:20]
	global_load_dwordx4 v[3:6], v31, s[6:7]
	v_lshlrev_b64 v[21:22], 4, v[17:18]
	v_add_nc_u32_e32 v29, s19, v23
	v_ashrrev_i32_e32 v24, 31, v23
	v_add_co_u32 v15, vcc_lo, s6, v15
	v_add_co_ci_u32_e64 v16, null, s7, v16, vcc_lo
	v_add_co_u32 v17, vcc_lo, s6, v19
	v_ashrrev_i32_e32 v30, 31, v29
	v_add_co_ci_u32_e64 v18, null, s7, v20, vcc_lo
	v_add_co_u32 v19, vcc_lo, s6, v21
	v_add_co_ci_u32_e64 v20, null, s7, v22, vcc_lo
	v_lshlrev_b64 v[21:22], 4, v[23:24]
	v_lshlrev_b64 v[29:30], 4, v[29:30]
	s_clause 0x5
	global_load_dwordx4 v[25:28], v[9:10], off
	global_load_dwordx4 v[32:35], v[11:12], off
	;; [unrolled: 1-line block ×6, first 2 shown]
	s_movk_i32 s17, 0x50
	s_movk_i32 s16, 0x60
	v_add_co_u32 v23, vcc_lo, s6, v21
	v_add_co_ci_u32_e64 v24, null, s7, v22, vcc_lo
	v_add_co_u32 v21, vcc_lo, s6, v29
	v_add_co_ci_u32_e64 v22, null, s7, v30, vcc_lo
	s_clause 0x1
	global_load_dwordx4 v[52:55], v[23:24], off
	global_load_dwordx4 v[56:59], v[21:22], off
	s_movk_i32 s13, 0x70
	s_mov_b32 s7, -1
	s_mov_b32 s19, 48
	s_mov_b32 s18, 64
	;; [unrolled: 1-line block ×3, first 2 shown]
	s_bitcmp0_b32 s22, 0
	s_waitcnt vmcnt(8)
	buffer_store_dword v6, off, s[0:3], 0 offset:12
	buffer_store_dword v5, off, s[0:3], 0 offset:8
	buffer_store_dword v4, off, s[0:3], 0 offset:4
	buffer_store_dword v3, off, s[0:3], 0
	s_waitcnt vmcnt(7)
	buffer_store_dword v28, off, s[0:3], 0 offset:28
	buffer_store_dword v27, off, s[0:3], 0 offset:24
	buffer_store_dword v26, off, s[0:3], 0 offset:20
	buffer_store_dword v25, off, s[0:3], 0 offset:16
	s_waitcnt vmcnt(6)
	buffer_store_dword v35, off, s[0:3], 0 offset:44
	buffer_store_dword v34, off, s[0:3], 0 offset:40
	buffer_store_dword v33, off, s[0:3], 0 offset:36
	buffer_store_dword v32, off, s[0:3], 0 offset:32
	;; [unrolled: 5-line block ×8, first 2 shown]
	s_cbranch_scc1 .LBB8_48
; %bb.4:
	v_cmp_eq_u32_e64 s6, 0, v0
	s_and_saveexec_b32 s7, s6
; %bb.5:
	v_mov_b32_e32 v3, 0
	ds_write_b32 v3, v3 offset:288
; %bb.6:
	s_or_b32 exec_lo, exec_lo, s7
	v_lshl_add_u32 v32, v0, 4, 0
	s_waitcnt lgkmcnt(0)
	s_waitcnt_vscnt null, 0x0
	s_barrier
	buffer_gl0_inv
	s_clause 0x3
	buffer_load_dword v3, v32, s[0:3], 0 offen
	buffer_load_dword v4, v32, s[0:3], 0 offen offset:4
	buffer_load_dword v5, v32, s[0:3], 0 offen offset:8
	buffer_load_dword v6, v32, s[0:3], 0 offen offset:12
	s_waitcnt vmcnt(2)
	v_cmp_eq_f64_e32 vcc_lo, 0, v[3:4]
	s_waitcnt vmcnt(0)
	v_cmp_eq_f64_e64 s7, 0, v[5:6]
	s_and_b32 s7, vcc_lo, s7
	s_and_saveexec_b32 s22, s7
	s_cbranch_execz .LBB8_10
; %bb.7:
	v_mov_b32_e32 v3, 0
	s_mov_b32 s23, 0
	ds_read_b32 v4, v3 offset:288
	s_waitcnt lgkmcnt(0)
	v_readfirstlane_b32 s7, v4
	v_add_nc_u32_e32 v4, 1, v0
	s_cmp_eq_u32 s7, 0
	v_cmp_gt_i32_e32 vcc_lo, s7, v4
	s_cselect_b32 s25, -1, 0
	s_or_b32 s25, s25, vcc_lo
	s_and_b32 exec_lo, exec_lo, s25
	s_cbranch_execz .LBB8_10
; %bb.8:
	v_mov_b32_e32 v5, s7
.LBB8_9:                                ; =>This Inner Loop Header: Depth=1
	ds_cmpst_rtn_b32 v5, v3, v5, v4 offset:288
	s_waitcnt lgkmcnt(0)
	v_cmp_ne_u32_e32 vcc_lo, 0, v5
	v_cmp_le_i32_e64 s7, v5, v4
	s_and_b32 s7, vcc_lo, s7
	s_and_b32 s7, exec_lo, s7
	s_or_b32 s23, s7, s23
	s_andn2_b32 exec_lo, exec_lo, s23
	s_cbranch_execnz .LBB8_9
.LBB8_10:
	s_or_b32 exec_lo, exec_lo, s22
	v_mov_b32_e32 v3, 0
	s_barrier
	buffer_gl0_inv
	ds_read_b32 v4, v3 offset:288
	s_and_saveexec_b32 s7, s6
	s_cbranch_execz .LBB8_12
; %bb.11:
	s_lshl_b64 s[22:23], s[8:9], 2
	s_add_u32 s22, s14, s22
	s_addc_u32 s23, s15, s23
	s_waitcnt lgkmcnt(0)
	global_store_dword v3, v4, s[22:23]
.LBB8_12:
	s_or_b32 exec_lo, exec_lo, s7
	s_waitcnt lgkmcnt(0)
	v_cmp_ne_u32_e32 vcc_lo, 0, v4
	s_mov_b32 s7, 0
	s_cbranch_vccnz .LBB8_48
; %bb.13:
	s_clause 0x3
	buffer_load_dword v27, v32, s[0:3], 0 offen
	buffer_load_dword v28, v32, s[0:3], 0 offen offset:4
	buffer_load_dword v29, v32, s[0:3], 0 offen offset:8
	;; [unrolled: 1-line block ×3, first 2 shown]
                                        ; implicit-def: $vgpr25_vgpr26
                                        ; implicit-def: $vgpr5_vgpr6
	s_waitcnt vmcnt(0)
	v_cmp_ngt_f64_e64 s7, |v[27:28]|, |v[29:30]|
	s_and_saveexec_b32 s22, s7
	s_xor_b32 s7, exec_lo, s22
	s_cbranch_execz .LBB8_15
; %bb.14:
	v_div_scale_f64 v[3:4], null, v[29:30], v[29:30], v[27:28]
	v_div_scale_f64 v[33:34], vcc_lo, v[27:28], v[29:30], v[27:28]
	v_rcp_f64_e32 v[5:6], v[3:4]
	v_fma_f64 v[25:26], -v[3:4], v[5:6], 1.0
	v_fma_f64 v[5:6], v[5:6], v[25:26], v[5:6]
	v_fma_f64 v[25:26], -v[3:4], v[5:6], 1.0
	v_fma_f64 v[5:6], v[5:6], v[25:26], v[5:6]
	v_mul_f64 v[25:26], v[33:34], v[5:6]
	v_fma_f64 v[3:4], -v[3:4], v[25:26], v[33:34]
	v_div_fmas_f64 v[3:4], v[3:4], v[5:6], v[25:26]
	v_div_fixup_f64 v[3:4], v[3:4], v[29:30], v[27:28]
	v_fma_f64 v[5:6], v[27:28], v[3:4], v[29:30]
	v_div_scale_f64 v[25:26], null, v[5:6], v[5:6], 1.0
	v_div_scale_f64 v[33:34], vcc_lo, 1.0, v[5:6], 1.0
	v_rcp_f64_e32 v[27:28], v[25:26]
	v_fma_f64 v[29:30], -v[25:26], v[27:28], 1.0
	v_fma_f64 v[27:28], v[27:28], v[29:30], v[27:28]
	v_fma_f64 v[29:30], -v[25:26], v[27:28], 1.0
	v_fma_f64 v[27:28], v[27:28], v[29:30], v[27:28]
	v_mul_f64 v[29:30], v[33:34], v[27:28]
	v_fma_f64 v[25:26], -v[25:26], v[29:30], v[33:34]
	v_div_fmas_f64 v[25:26], v[25:26], v[27:28], v[29:30]
                                        ; implicit-def: $vgpr27_vgpr28
                                        ; implicit-def: $vgpr29_vgpr30
	v_div_fixup_f64 v[5:6], v[25:26], v[5:6], 1.0
	v_mul_f64 v[25:26], v[3:4], v[5:6]
	v_xor_b32_e32 v6, 0x80000000, v6
	v_xor_b32_e32 v4, 0x80000000, v26
	v_mov_b32_e32 v3, v25
.LBB8_15:
	s_andn2_saveexec_b32 s7, s7
	s_cbranch_execz .LBB8_17
; %bb.16:
	v_div_scale_f64 v[3:4], null, v[27:28], v[27:28], v[29:30]
	v_div_scale_f64 v[33:34], vcc_lo, v[29:30], v[27:28], v[29:30]
	v_rcp_f64_e32 v[5:6], v[3:4]
	v_fma_f64 v[25:26], -v[3:4], v[5:6], 1.0
	v_fma_f64 v[5:6], v[5:6], v[25:26], v[5:6]
	v_fma_f64 v[25:26], -v[3:4], v[5:6], 1.0
	v_fma_f64 v[5:6], v[5:6], v[25:26], v[5:6]
	v_mul_f64 v[25:26], v[33:34], v[5:6]
	v_fma_f64 v[3:4], -v[3:4], v[25:26], v[33:34]
	v_div_fmas_f64 v[3:4], v[3:4], v[5:6], v[25:26]
	v_div_fixup_f64 v[3:4], v[3:4], v[27:28], v[29:30]
	v_fma_f64 v[5:6], v[29:30], v[3:4], v[27:28]
	v_div_scale_f64 v[25:26], null, v[5:6], v[5:6], 1.0
	v_rcp_f64_e32 v[27:28], v[25:26]
	v_fma_f64 v[29:30], -v[25:26], v[27:28], 1.0
	v_fma_f64 v[27:28], v[27:28], v[29:30], v[27:28]
	v_fma_f64 v[29:30], -v[25:26], v[27:28], 1.0
	v_fma_f64 v[27:28], v[27:28], v[29:30], v[27:28]
	v_div_scale_f64 v[29:30], vcc_lo, 1.0, v[5:6], 1.0
	v_mul_f64 v[33:34], v[29:30], v[27:28]
	v_fma_f64 v[25:26], -v[25:26], v[33:34], v[29:30]
	v_div_fmas_f64 v[25:26], v[25:26], v[27:28], v[33:34]
	v_div_fixup_f64 v[25:26], v[25:26], v[5:6], 1.0
	v_mul_f64 v[5:6], v[3:4], -v[25:26]
	v_xor_b32_e32 v4, 0x80000000, v26
	v_mov_b32_e32 v3, v25
.LBB8_17:
	s_or_b32 exec_lo, exec_lo, s7
	v_mov_b32_e32 v30, s21
	buffer_store_dword v26, v32, s[0:3], 0 offen offset:4
	buffer_store_dword v25, v32, s[0:3], 0 offen
	buffer_store_dword v6, v32, s[0:3], 0 offen offset:12
	buffer_store_dword v5, v32, s[0:3], 0 offen offset:8
	v_xor_b32_e32 v6, 0x80000000, v6
	v_add_nc_u32_e32 v25, 0x90, v31
	s_clause 0x3
	buffer_load_dword v29, v30, s[0:3], 0 offen offset:12
	buffer_load_dword v28, v30, s[0:3], 0 offen offset:8
	;; [unrolled: 1-line block ×3, first 2 shown]
	buffer_load_dword v26, v30, s[0:3], 0 offen
	ds_write_b128 v31, v[3:6]
	s_waitcnt vmcnt(0)
	ds_write_b128 v31, v[26:29] offset:144
	s_waitcnt lgkmcnt(0)
	s_waitcnt_vscnt null, 0x0
	s_barrier
	buffer_gl0_inv
	s_and_saveexec_b32 s7, s6
	s_cbranch_execz .LBB8_19
; %bb.18:
	s_clause 0x3
	buffer_load_dword v33, v32, s[0:3], 0 offen offset:8
	buffer_load_dword v34, v32, s[0:3], 0 offen offset:12
	buffer_load_dword v35, v32, s[0:3], 0 offen
	buffer_load_dword v36, v32, s[0:3], 0 offen offset:4
	ds_read_b128 v[3:6], v25
	v_mov_b32_e32 v26, 0
	ds_read_b128 v[26:29], v26 offset:16
	s_waitcnt vmcnt(2) lgkmcnt(1)
	v_mul_f64 v[37:38], v[3:4], v[33:34]
	v_mul_f64 v[33:34], v[5:6], v[33:34]
	s_waitcnt vmcnt(0)
	v_fma_f64 v[5:6], v[5:6], v[35:36], v[37:38]
	v_fma_f64 v[3:4], v[3:4], v[35:36], -v[33:34]
	v_add_f64 v[5:6], v[5:6], 0
	v_add_f64 v[3:4], v[3:4], 0
	s_waitcnt lgkmcnt(0)
	v_mul_f64 v[33:34], v[5:6], v[28:29]
	v_mul_f64 v[28:29], v[3:4], v[28:29]
	v_fma_f64 v[3:4], v[3:4], v[26:27], -v[33:34]
	v_fma_f64 v[5:6], v[5:6], v[26:27], v[28:29]
	buffer_store_dword v3, off, s[0:3], 0 offset:16
	buffer_store_dword v4, off, s[0:3], 0 offset:20
	;; [unrolled: 1-line block ×4, first 2 shown]
.LBB8_19:
	s_or_b32 exec_lo, exec_lo, s7
	v_mov_b32_e32 v6, s20
	s_waitcnt_vscnt null, 0x0
	s_barrier
	buffer_gl0_inv
	s_mov_b32 s7, exec_lo
	s_clause 0x3
	buffer_load_dword v3, v6, s[0:3], 0 offen
	buffer_load_dword v4, v6, s[0:3], 0 offen offset:4
	buffer_load_dword v5, v6, s[0:3], 0 offen offset:8
	;; [unrolled: 1-line block ×3, first 2 shown]
	s_waitcnt vmcnt(0)
	ds_write_b128 v25, v[3:6]
	s_waitcnt lgkmcnt(0)
	s_barrier
	buffer_gl0_inv
	v_cmpx_gt_u32_e32 2, v0
	s_cbranch_execz .LBB8_23
; %bb.20:
	s_clause 0x3
	buffer_load_dword v26, v32, s[0:3], 0 offen offset:8
	buffer_load_dword v27, v32, s[0:3], 0 offen offset:12
	buffer_load_dword v28, v32, s[0:3], 0 offen
	buffer_load_dword v29, v32, s[0:3], 0 offen offset:4
	ds_read_b128 v[3:6], v25
	s_waitcnt vmcnt(2) lgkmcnt(0)
	v_mul_f64 v[32:33], v[5:6], v[26:27]
	v_mul_f64 v[26:27], v[3:4], v[26:27]
	s_waitcnt vmcnt(0)
	v_fma_f64 v[3:4], v[3:4], v[28:29], -v[32:33]
	v_fma_f64 v[5:6], v[5:6], v[28:29], v[26:27]
	v_add_f64 v[3:4], v[3:4], 0
	v_add_f64 v[5:6], v[5:6], 0
	s_and_saveexec_b32 s22, s6
	s_cbranch_execz .LBB8_22
; %bb.21:
	s_clause 0x3
	buffer_load_dword v32, off, s[0:3], 0 offset:24
	buffer_load_dword v33, off, s[0:3], 0 offset:28
	;; [unrolled: 1-line block ×4, first 2 shown]
	v_mov_b32_e32 v26, 0
	ds_read_b128 v[26:29], v26 offset:160
	s_waitcnt vmcnt(2) lgkmcnt(0)
	v_mul_f64 v[36:37], v[26:27], v[32:33]
	v_mul_f64 v[32:33], v[28:29], v[32:33]
	s_waitcnt vmcnt(0)
	v_fma_f64 v[28:29], v[28:29], v[34:35], v[36:37]
	v_fma_f64 v[26:27], v[26:27], v[34:35], -v[32:33]
	v_add_f64 v[5:6], v[5:6], v[28:29]
	v_add_f64 v[3:4], v[3:4], v[26:27]
.LBB8_22:
	s_or_b32 exec_lo, exec_lo, s22
	v_mov_b32_e32 v26, 0
	ds_read_b128 v[26:29], v26 offset:32
	s_waitcnt lgkmcnt(0)
	v_mul_f64 v[32:33], v[5:6], v[28:29]
	v_mul_f64 v[28:29], v[3:4], v[28:29]
	v_fma_f64 v[3:4], v[3:4], v[26:27], -v[32:33]
	v_fma_f64 v[5:6], v[5:6], v[26:27], v[28:29]
	buffer_store_dword v4, off, s[0:3], 0 offset:36
	buffer_store_dword v3, off, s[0:3], 0 offset:32
	;; [unrolled: 1-line block ×4, first 2 shown]
.LBB8_23:
	s_or_b32 exec_lo, exec_lo, s7
	v_mov_b32_e32 v6, s19
	s_waitcnt_vscnt null, 0x0
	s_barrier
	buffer_gl0_inv
	v_add_nc_u32_e32 v26, -1, v0
	s_clause 0x3
	buffer_load_dword v3, v6, s[0:3], 0 offen
	buffer_load_dword v4, v6, s[0:3], 0 offen offset:4
	buffer_load_dword v5, v6, s[0:3], 0 offen offset:8
	;; [unrolled: 1-line block ×3, first 2 shown]
	s_mov_b32 s6, exec_lo
	s_waitcnt vmcnt(0)
	ds_write_b128 v25, v[3:6]
	s_waitcnt lgkmcnt(0)
	s_barrier
	buffer_gl0_inv
	v_cmpx_gt_u32_e32 3, v0
	s_cbranch_execz .LBB8_27
; %bb.24:
	v_mov_b32_e32 v3, 0
	v_mov_b32_e32 v5, 0
	v_add_nc_u32_e32 v27, -1, v0
	v_add_nc_u32_e32 v28, 0x90, v31
	v_mov_b32_e32 v4, 0
	v_mov_b32_e32 v6, 0
	;; [unrolled: 1-line block ×3, first 2 shown]
	s_mov_b32 s7, 0
	.p2align	6
.LBB8_25:                               ; =>This Inner Loop Header: Depth=1
	s_clause 0x3
	buffer_load_dword v36, v29, s[0:3], 0 offen offset:8
	buffer_load_dword v37, v29, s[0:3], 0 offen offset:12
	buffer_load_dword v38, v29, s[0:3], 0 offen
	buffer_load_dword v39, v29, s[0:3], 0 offen offset:4
	ds_read_b128 v[32:35], v28
	v_add_nc_u32_e32 v27, 1, v27
	v_add_nc_u32_e32 v28, 16, v28
	v_add_nc_u32_e32 v29, 16, v29
	v_cmp_lt_u32_e32 vcc_lo, 1, v27
	s_or_b32 s7, vcc_lo, s7
	s_waitcnt vmcnt(2) lgkmcnt(0)
	v_mul_f64 v[40:41], v[34:35], v[36:37]
	v_mul_f64 v[36:37], v[32:33], v[36:37]
	s_waitcnt vmcnt(0)
	v_fma_f64 v[32:33], v[32:33], v[38:39], -v[40:41]
	v_fma_f64 v[34:35], v[34:35], v[38:39], v[36:37]
	v_add_f64 v[5:6], v[5:6], v[32:33]
	v_add_f64 v[3:4], v[3:4], v[34:35]
	s_andn2_b32 exec_lo, exec_lo, s7
	s_cbranch_execnz .LBB8_25
; %bb.26:
	s_or_b32 exec_lo, exec_lo, s7
	v_mov_b32_e32 v27, 0
	ds_read_b128 v[27:30], v27 offset:48
	s_waitcnt lgkmcnt(0)
	v_mul_f64 v[32:33], v[3:4], v[29:30]
	v_mul_f64 v[29:30], v[5:6], v[29:30]
	v_fma_f64 v[5:6], v[5:6], v[27:28], -v[32:33]
	v_fma_f64 v[3:4], v[3:4], v[27:28], v[29:30]
	buffer_store_dword v6, off, s[0:3], 0 offset:52
	buffer_store_dword v5, off, s[0:3], 0 offset:48
	;; [unrolled: 1-line block ×4, first 2 shown]
.LBB8_27:
	s_or_b32 exec_lo, exec_lo, s6
	v_mov_b32_e32 v6, s18
	s_waitcnt_vscnt null, 0x0
	s_barrier
	buffer_gl0_inv
	s_mov_b32 s6, exec_lo
	s_clause 0x3
	buffer_load_dword v3, v6, s[0:3], 0 offen
	buffer_load_dword v4, v6, s[0:3], 0 offen offset:4
	buffer_load_dword v5, v6, s[0:3], 0 offen offset:8
	buffer_load_dword v6, v6, s[0:3], 0 offen offset:12
	s_waitcnt vmcnt(0)
	ds_write_b128 v25, v[3:6]
	s_waitcnt lgkmcnt(0)
	s_barrier
	buffer_gl0_inv
	v_cmpx_gt_u32_e32 4, v0
	s_cbranch_execz .LBB8_31
; %bb.28:
	v_mov_b32_e32 v3, 0
	v_mov_b32_e32 v5, 0
	v_add_nc_u32_e32 v27, -1, v0
	v_add_nc_u32_e32 v28, 0x90, v31
	v_mov_b32_e32 v4, 0
	v_mov_b32_e32 v6, 0
	;; [unrolled: 1-line block ×3, first 2 shown]
	s_mov_b32 s7, 0
	.p2align	6
.LBB8_29:                               ; =>This Inner Loop Header: Depth=1
	s_clause 0x3
	buffer_load_dword v36, v29, s[0:3], 0 offen offset:8
	buffer_load_dword v37, v29, s[0:3], 0 offen offset:12
	buffer_load_dword v38, v29, s[0:3], 0 offen
	buffer_load_dword v39, v29, s[0:3], 0 offen offset:4
	ds_read_b128 v[32:35], v28
	v_add_nc_u32_e32 v27, 1, v27
	v_add_nc_u32_e32 v28, 16, v28
	;; [unrolled: 1-line block ×3, first 2 shown]
	v_cmp_lt_u32_e32 vcc_lo, 2, v27
	s_or_b32 s7, vcc_lo, s7
	s_waitcnt vmcnt(2) lgkmcnt(0)
	v_mul_f64 v[40:41], v[34:35], v[36:37]
	v_mul_f64 v[36:37], v[32:33], v[36:37]
	s_waitcnt vmcnt(0)
	v_fma_f64 v[32:33], v[32:33], v[38:39], -v[40:41]
	v_fma_f64 v[34:35], v[34:35], v[38:39], v[36:37]
	v_add_f64 v[5:6], v[5:6], v[32:33]
	v_add_f64 v[3:4], v[3:4], v[34:35]
	s_andn2_b32 exec_lo, exec_lo, s7
	s_cbranch_execnz .LBB8_29
; %bb.30:
	s_or_b32 exec_lo, exec_lo, s7
	v_mov_b32_e32 v27, 0
	ds_read_b128 v[27:30], v27 offset:64
	s_waitcnt lgkmcnt(0)
	v_mul_f64 v[32:33], v[3:4], v[29:30]
	v_mul_f64 v[29:30], v[5:6], v[29:30]
	v_fma_f64 v[5:6], v[5:6], v[27:28], -v[32:33]
	v_fma_f64 v[3:4], v[3:4], v[27:28], v[29:30]
	buffer_store_dword v6, off, s[0:3], 0 offset:68
	buffer_store_dword v5, off, s[0:3], 0 offset:64
	;; [unrolled: 1-line block ×4, first 2 shown]
.LBB8_31:
	s_or_b32 exec_lo, exec_lo, s6
	v_mov_b32_e32 v6, s17
	s_waitcnt_vscnt null, 0x0
	s_barrier
	buffer_gl0_inv
	s_mov_b32 s6, exec_lo
	s_clause 0x3
	buffer_load_dword v3, v6, s[0:3], 0 offen
	buffer_load_dword v4, v6, s[0:3], 0 offen offset:4
	buffer_load_dword v5, v6, s[0:3], 0 offen offset:8
	;; [unrolled: 1-line block ×3, first 2 shown]
	s_waitcnt vmcnt(0)
	ds_write_b128 v25, v[3:6]
	s_waitcnt lgkmcnt(0)
	s_barrier
	buffer_gl0_inv
	v_cmpx_gt_u32_e32 5, v0
	s_cbranch_execz .LBB8_35
; %bb.32:
	v_mov_b32_e32 v3, 0
	v_mov_b32_e32 v5, 0
	v_add_nc_u32_e32 v27, -1, v0
	v_add_nc_u32_e32 v28, 0x90, v31
	v_mov_b32_e32 v4, 0
	v_mov_b32_e32 v6, 0
	;; [unrolled: 1-line block ×3, first 2 shown]
	s_mov_b32 s7, 0
	.p2align	6
.LBB8_33:                               ; =>This Inner Loop Header: Depth=1
	s_clause 0x3
	buffer_load_dword v36, v29, s[0:3], 0 offen offset:8
	buffer_load_dword v37, v29, s[0:3], 0 offen offset:12
	buffer_load_dword v38, v29, s[0:3], 0 offen
	buffer_load_dword v39, v29, s[0:3], 0 offen offset:4
	ds_read_b128 v[32:35], v28
	v_add_nc_u32_e32 v27, 1, v27
	v_add_nc_u32_e32 v28, 16, v28
	;; [unrolled: 1-line block ×3, first 2 shown]
	v_cmp_lt_u32_e32 vcc_lo, 3, v27
	s_or_b32 s7, vcc_lo, s7
	s_waitcnt vmcnt(2) lgkmcnt(0)
	v_mul_f64 v[40:41], v[34:35], v[36:37]
	v_mul_f64 v[36:37], v[32:33], v[36:37]
	s_waitcnt vmcnt(0)
	v_fma_f64 v[32:33], v[32:33], v[38:39], -v[40:41]
	v_fma_f64 v[34:35], v[34:35], v[38:39], v[36:37]
	v_add_f64 v[5:6], v[5:6], v[32:33]
	v_add_f64 v[3:4], v[3:4], v[34:35]
	s_andn2_b32 exec_lo, exec_lo, s7
	s_cbranch_execnz .LBB8_33
; %bb.34:
	s_or_b32 exec_lo, exec_lo, s7
	v_mov_b32_e32 v27, 0
	ds_read_b128 v[27:30], v27 offset:80
	s_waitcnt lgkmcnt(0)
	v_mul_f64 v[32:33], v[3:4], v[29:30]
	v_mul_f64 v[29:30], v[5:6], v[29:30]
	v_fma_f64 v[5:6], v[5:6], v[27:28], -v[32:33]
	v_fma_f64 v[3:4], v[3:4], v[27:28], v[29:30]
	buffer_store_dword v6, off, s[0:3], 0 offset:84
	buffer_store_dword v5, off, s[0:3], 0 offset:80
	;; [unrolled: 1-line block ×4, first 2 shown]
.LBB8_35:
	s_or_b32 exec_lo, exec_lo, s6
	v_mov_b32_e32 v6, s16
	s_waitcnt_vscnt null, 0x0
	s_barrier
	buffer_gl0_inv
	s_mov_b32 s6, exec_lo
	s_clause 0x3
	buffer_load_dword v3, v6, s[0:3], 0 offen
	buffer_load_dword v4, v6, s[0:3], 0 offen offset:4
	buffer_load_dword v5, v6, s[0:3], 0 offen offset:8
	;; [unrolled: 1-line block ×3, first 2 shown]
	s_waitcnt vmcnt(0)
	ds_write_b128 v25, v[3:6]
	s_waitcnt lgkmcnt(0)
	s_barrier
	buffer_gl0_inv
	v_cmpx_gt_u32_e32 6, v0
	s_cbranch_execz .LBB8_39
; %bb.36:
	v_mov_b32_e32 v3, 0
	v_mov_b32_e32 v5, 0
	v_add_nc_u32_e32 v27, -1, v0
	v_add_nc_u32_e32 v28, 0x90, v31
	v_mov_b32_e32 v4, 0
	v_mov_b32_e32 v6, 0
	;; [unrolled: 1-line block ×3, first 2 shown]
	s_mov_b32 s7, 0
	.p2align	6
.LBB8_37:                               ; =>This Inner Loop Header: Depth=1
	s_clause 0x3
	buffer_load_dword v36, v29, s[0:3], 0 offen offset:8
	buffer_load_dword v37, v29, s[0:3], 0 offen offset:12
	buffer_load_dword v38, v29, s[0:3], 0 offen
	buffer_load_dword v39, v29, s[0:3], 0 offen offset:4
	ds_read_b128 v[32:35], v28
	v_add_nc_u32_e32 v27, 1, v27
	v_add_nc_u32_e32 v28, 16, v28
	v_add_nc_u32_e32 v29, 16, v29
	v_cmp_lt_u32_e32 vcc_lo, 4, v27
	s_or_b32 s7, vcc_lo, s7
	s_waitcnt vmcnt(2) lgkmcnt(0)
	v_mul_f64 v[40:41], v[34:35], v[36:37]
	v_mul_f64 v[36:37], v[32:33], v[36:37]
	s_waitcnt vmcnt(0)
	v_fma_f64 v[32:33], v[32:33], v[38:39], -v[40:41]
	v_fma_f64 v[34:35], v[34:35], v[38:39], v[36:37]
	v_add_f64 v[5:6], v[5:6], v[32:33]
	v_add_f64 v[3:4], v[3:4], v[34:35]
	s_andn2_b32 exec_lo, exec_lo, s7
	s_cbranch_execnz .LBB8_37
; %bb.38:
	s_or_b32 exec_lo, exec_lo, s7
	v_mov_b32_e32 v27, 0
	ds_read_b128 v[27:30], v27 offset:96
	s_waitcnt lgkmcnt(0)
	v_mul_f64 v[32:33], v[3:4], v[29:30]
	v_mul_f64 v[29:30], v[5:6], v[29:30]
	v_fma_f64 v[5:6], v[5:6], v[27:28], -v[32:33]
	v_fma_f64 v[3:4], v[3:4], v[27:28], v[29:30]
	buffer_store_dword v6, off, s[0:3], 0 offset:100
	buffer_store_dword v5, off, s[0:3], 0 offset:96
	;; [unrolled: 1-line block ×4, first 2 shown]
.LBB8_39:
	s_or_b32 exec_lo, exec_lo, s6
	v_mov_b32_e32 v6, s13
	s_waitcnt_vscnt null, 0x0
	s_barrier
	buffer_gl0_inv
	s_mov_b32 s6, exec_lo
	s_clause 0x3
	buffer_load_dword v3, v6, s[0:3], 0 offen
	buffer_load_dword v4, v6, s[0:3], 0 offen offset:4
	buffer_load_dword v5, v6, s[0:3], 0 offen offset:8
	buffer_load_dword v6, v6, s[0:3], 0 offen offset:12
	s_waitcnt vmcnt(0)
	ds_write_b128 v25, v[3:6]
	s_waitcnt lgkmcnt(0)
	s_barrier
	buffer_gl0_inv
	v_cmpx_gt_u32_e32 7, v0
	s_cbranch_execz .LBB8_43
; %bb.40:
	v_mov_b32_e32 v3, 0
	v_mov_b32_e32 v5, 0
	v_add_nc_u32_e32 v27, -1, v0
	v_add_nc_u32_e32 v28, 0x90, v31
	v_mov_b32_e32 v4, 0
	v_mov_b32_e32 v6, 0
	;; [unrolled: 1-line block ×3, first 2 shown]
	s_mov_b32 s7, 0
	.p2align	6
.LBB8_41:                               ; =>This Inner Loop Header: Depth=1
	s_clause 0x3
	buffer_load_dword v36, v29, s[0:3], 0 offen offset:8
	buffer_load_dword v37, v29, s[0:3], 0 offen offset:12
	buffer_load_dword v38, v29, s[0:3], 0 offen
	buffer_load_dword v39, v29, s[0:3], 0 offen offset:4
	ds_read_b128 v[32:35], v28
	v_add_nc_u32_e32 v27, 1, v27
	v_add_nc_u32_e32 v28, 16, v28
	;; [unrolled: 1-line block ×3, first 2 shown]
	v_cmp_lt_u32_e32 vcc_lo, 5, v27
	s_or_b32 s7, vcc_lo, s7
	s_waitcnt vmcnt(2) lgkmcnt(0)
	v_mul_f64 v[40:41], v[34:35], v[36:37]
	v_mul_f64 v[36:37], v[32:33], v[36:37]
	s_waitcnt vmcnt(0)
	v_fma_f64 v[32:33], v[32:33], v[38:39], -v[40:41]
	v_fma_f64 v[34:35], v[34:35], v[38:39], v[36:37]
	v_add_f64 v[5:6], v[5:6], v[32:33]
	v_add_f64 v[3:4], v[3:4], v[34:35]
	s_andn2_b32 exec_lo, exec_lo, s7
	s_cbranch_execnz .LBB8_41
; %bb.42:
	s_or_b32 exec_lo, exec_lo, s7
	v_mov_b32_e32 v27, 0
	ds_read_b128 v[27:30], v27 offset:112
	s_waitcnt lgkmcnt(0)
	v_mul_f64 v[32:33], v[3:4], v[29:30]
	v_mul_f64 v[29:30], v[5:6], v[29:30]
	v_fma_f64 v[5:6], v[5:6], v[27:28], -v[32:33]
	v_fma_f64 v[3:4], v[3:4], v[27:28], v[29:30]
	buffer_store_dword v6, off, s[0:3], 0 offset:116
	buffer_store_dword v5, off, s[0:3], 0 offset:112
	;; [unrolled: 1-line block ×4, first 2 shown]
.LBB8_43:
	s_or_b32 exec_lo, exec_lo, s6
	v_mov_b32_e32 v6, s12
	s_waitcnt_vscnt null, 0x0
	s_barrier
	buffer_gl0_inv
	s_mov_b32 s6, exec_lo
	s_clause 0x3
	buffer_load_dword v3, v6, s[0:3], 0 offen
	buffer_load_dword v4, v6, s[0:3], 0 offen offset:4
	buffer_load_dword v5, v6, s[0:3], 0 offen offset:8
	buffer_load_dword v6, v6, s[0:3], 0 offen offset:12
	s_waitcnt vmcnt(0)
	ds_write_b128 v25, v[3:6]
	s_waitcnt lgkmcnt(0)
	s_barrier
	buffer_gl0_inv
	v_cmpx_ne_u32_e32 8, v0
	s_cbranch_execz .LBB8_47
; %bb.44:
	v_mov_b32_e32 v3, 0
	v_mov_b32_e32 v5, 0
	;; [unrolled: 1-line block ×5, first 2 shown]
	s_mov_b32 s7, 0
	.p2align	6
.LBB8_45:                               ; =>This Inner Loop Header: Depth=1
	s_clause 0x3
	buffer_load_dword v32, v27, s[0:3], 0 offen offset:8
	buffer_load_dword v33, v27, s[0:3], 0 offen offset:12
	buffer_load_dword v34, v27, s[0:3], 0 offen
	buffer_load_dword v35, v27, s[0:3], 0 offen offset:4
	ds_read_b128 v[28:31], v25
	v_add_nc_u32_e32 v26, 1, v26
	v_add_nc_u32_e32 v25, 16, v25
	;; [unrolled: 1-line block ×3, first 2 shown]
	v_cmp_lt_u32_e32 vcc_lo, 6, v26
	s_or_b32 s7, vcc_lo, s7
	s_waitcnt vmcnt(2) lgkmcnt(0)
	v_mul_f64 v[36:37], v[30:31], v[32:33]
	v_mul_f64 v[32:33], v[28:29], v[32:33]
	s_waitcnt vmcnt(0)
	v_fma_f64 v[28:29], v[28:29], v[34:35], -v[36:37]
	v_fma_f64 v[30:31], v[30:31], v[34:35], v[32:33]
	v_add_f64 v[5:6], v[5:6], v[28:29]
	v_add_f64 v[3:4], v[3:4], v[30:31]
	s_andn2_b32 exec_lo, exec_lo, s7
	s_cbranch_execnz .LBB8_45
; %bb.46:
	s_or_b32 exec_lo, exec_lo, s7
	v_mov_b32_e32 v25, 0
	ds_read_b128 v[25:28], v25 offset:128
	s_waitcnt lgkmcnt(0)
	v_mul_f64 v[29:30], v[3:4], v[27:28]
	v_mul_f64 v[27:28], v[5:6], v[27:28]
	v_fma_f64 v[5:6], v[5:6], v[25:26], -v[29:30]
	v_fma_f64 v[3:4], v[3:4], v[25:26], v[27:28]
	buffer_store_dword v6, off, s[0:3], 0 offset:132
	buffer_store_dword v5, off, s[0:3], 0 offset:128
	;; [unrolled: 1-line block ×4, first 2 shown]
.LBB8_47:
	s_or_b32 exec_lo, exec_lo, s6
	s_mov_b32 s7, -1
	s_waitcnt_vscnt null, 0x0
	s_barrier
	buffer_gl0_inv
.LBB8_48:
	s_and_b32 vcc_lo, exec_lo, s7
	s_cbranch_vccz .LBB8_50
; %bb.49:
	s_lshl_b64 s[6:7], s[8:9], 2
	v_mov_b32_e32 v3, 0
	s_add_u32 s6, s14, s6
	s_addc_u32 s7, s15, s7
	global_load_dword v3, v3, s[6:7]
	s_waitcnt vmcnt(0)
	v_cmp_ne_u32_e32 vcc_lo, 0, v3
	s_cbranch_vccz .LBB8_51
.LBB8_50:
	s_endpgm
.LBB8_51:
	v_lshl_add_u32 v3, v0, 4, 0x90
	s_mov_b32 s6, exec_lo
	v_cmpx_eq_u32_e32 8, v0
	s_cbranch_execz .LBB8_53
; %bb.52:
	v_mov_b32_e32 v4, s13
	s_clause 0x3
	buffer_load_dword v25, v4, s[0:3], 0 offen
	buffer_load_dword v26, v4, s[0:3], 0 offen offset:4
	buffer_load_dword v27, v4, s[0:3], 0 offen offset:8
	;; [unrolled: 1-line block ×3, first 2 shown]
	v_mov_b32_e32 v4, 0
	buffer_store_dword v4, off, s[0:3], 0 offset:112
	buffer_store_dword v4, off, s[0:3], 0 offset:116
	;; [unrolled: 1-line block ×4, first 2 shown]
	s_waitcnt vmcnt(0)
	ds_write_b128 v3, v[25:28]
.LBB8_53:
	s_or_b32 exec_lo, exec_lo, s6
	s_waitcnt lgkmcnt(0)
	s_waitcnt_vscnt null, 0x0
	s_barrier
	buffer_gl0_inv
	s_clause 0x7
	buffer_load_dword v5, off, s[0:3], 0 offset:136
	buffer_load_dword v6, off, s[0:3], 0 offset:140
	;; [unrolled: 1-line block ×8, first 2 shown]
	v_mov_b32_e32 v4, 0
	s_mov_b32 s6, exec_lo
	ds_read_b128 v[25:28], v4 offset:272
	s_waitcnt vmcnt(6) lgkmcnt(0)
	v_mul_f64 v[35:36], v[27:28], v[5:6]
	v_mul_f64 v[5:6], v[25:26], v[5:6]
	s_waitcnt vmcnt(4)
	v_fma_f64 v[25:26], v[25:26], v[29:30], -v[35:36]
	v_fma_f64 v[5:6], v[27:28], v[29:30], v[5:6]
	v_add_f64 v[25:26], v[25:26], 0
	v_add_f64 v[5:6], v[5:6], 0
	s_waitcnt vmcnt(2)
	v_add_f64 v[25:26], v[31:32], -v[25:26]
	s_waitcnt vmcnt(0)
	v_add_f64 v[5:6], v[33:34], -v[5:6]
	buffer_store_dword v25, off, s[0:3], 0 offset:112
	buffer_store_dword v26, off, s[0:3], 0 offset:116
	;; [unrolled: 1-line block ×4, first 2 shown]
	v_cmpx_lt_u32_e32 6, v0
	s_cbranch_execz .LBB8_55
; %bb.54:
	v_mov_b32_e32 v5, s16
	s_clause 0x3
	buffer_load_dword v25, v5, s[0:3], 0 offen
	buffer_load_dword v26, v5, s[0:3], 0 offen offset:4
	buffer_load_dword v27, v5, s[0:3], 0 offen offset:8
	;; [unrolled: 1-line block ×3, first 2 shown]
	buffer_store_dword v4, off, s[0:3], 0 offset:96
	buffer_store_dword v4, off, s[0:3], 0 offset:100
	;; [unrolled: 1-line block ×4, first 2 shown]
	s_waitcnt vmcnt(0)
	ds_write_b128 v3, v[25:28]
.LBB8_55:
	s_or_b32 exec_lo, exec_lo, s6
	s_waitcnt lgkmcnt(0)
	s_waitcnt_vscnt null, 0x0
	s_barrier
	buffer_gl0_inv
	s_clause 0xb
	buffer_load_dword v5, off, s[0:3], 0 offset:120
	buffer_load_dword v6, off, s[0:3], 0 offset:124
	;; [unrolled: 1-line block ×12, first 2 shown]
	ds_read_b128 v[25:28], v4 offset:256
	ds_read_b128 v[29:32], v4 offset:272
	s_mov_b32 s6, exec_lo
	s_waitcnt vmcnt(10) lgkmcnt(1)
	v_mul_f64 v[43:44], v[27:28], v[5:6]
	v_mul_f64 v[4:5], v[25:26], v[5:6]
	s_waitcnt vmcnt(8) lgkmcnt(0)
	v_mul_f64 v[45:46], v[31:32], v[33:34]
	v_mul_f64 v[33:34], v[29:30], v[33:34]
	s_waitcnt vmcnt(6)
	v_fma_f64 v[25:26], v[25:26], v[35:36], -v[43:44]
	v_fma_f64 v[4:5], v[27:28], v[35:36], v[4:5]
	s_waitcnt vmcnt(4)
	v_fma_f64 v[27:28], v[29:30], v[37:38], -v[45:46]
	v_fma_f64 v[29:30], v[31:32], v[37:38], v[33:34]
	v_add_f64 v[25:26], v[25:26], 0
	v_add_f64 v[4:5], v[4:5], 0
	;; [unrolled: 1-line block ×4, first 2 shown]
	s_waitcnt vmcnt(2)
	v_add_f64 v[25:26], v[39:40], -v[25:26]
	s_waitcnt vmcnt(0)
	v_add_f64 v[4:5], v[41:42], -v[4:5]
	buffer_store_dword v25, off, s[0:3], 0 offset:96
	buffer_store_dword v26, off, s[0:3], 0 offset:100
	;; [unrolled: 1-line block ×4, first 2 shown]
	v_cmpx_lt_u32_e32 5, v0
	s_cbranch_execz .LBB8_57
; %bb.56:
	v_mov_b32_e32 v4, s17
	s_clause 0x3
	buffer_load_dword v25, v4, s[0:3], 0 offen
	buffer_load_dword v26, v4, s[0:3], 0 offen offset:4
	buffer_load_dword v27, v4, s[0:3], 0 offen offset:8
	;; [unrolled: 1-line block ×3, first 2 shown]
	v_mov_b32_e32 v4, 0
	buffer_store_dword v4, off, s[0:3], 0 offset:80
	buffer_store_dword v4, off, s[0:3], 0 offset:84
	;; [unrolled: 1-line block ×4, first 2 shown]
	s_waitcnt vmcnt(0)
	ds_write_b128 v3, v[25:28]
.LBB8_57:
	s_or_b32 exec_lo, exec_lo, s6
	s_waitcnt lgkmcnt(0)
	s_waitcnt_vscnt null, 0x0
	s_barrier
	buffer_gl0_inv
	s_clause 0xf
	buffer_load_dword v5, off, s[0:3], 0 offset:104
	buffer_load_dword v6, off, s[0:3], 0 offset:108
	;; [unrolled: 1-line block ×16, first 2 shown]
	v_mov_b32_e32 v4, 0
	ds_read_b128 v[25:28], v4 offset:240
	ds_read_b128 v[29:32], v4 offset:256
	;; [unrolled: 1-line block ×3, first 2 shown]
	s_mov_b32 s6, exec_lo
	s_waitcnt vmcnt(14) lgkmcnt(2)
	v_mul_f64 v[51:52], v[27:28], v[5:6]
	v_mul_f64 v[5:6], v[25:26], v[5:6]
	s_waitcnt vmcnt(12) lgkmcnt(1)
	v_mul_f64 v[53:54], v[31:32], v[37:38]
	v_mul_f64 v[37:38], v[29:30], v[37:38]
	s_waitcnt vmcnt(10)
	v_fma_f64 v[25:26], v[25:26], v[39:40], -v[51:52]
	v_fma_f64 v[5:6], v[27:28], v[39:40], v[5:6]
	s_waitcnt vmcnt(8) lgkmcnt(0)
	v_mul_f64 v[39:40], v[35:36], v[41:42]
	s_waitcnt vmcnt(6)
	v_fma_f64 v[29:30], v[29:30], v[43:44], -v[53:54]
	v_mul_f64 v[27:28], v[33:34], v[41:42]
	v_fma_f64 v[31:32], v[31:32], v[43:44], v[37:38]
	v_add_f64 v[25:26], v[25:26], 0
	v_add_f64 v[5:6], v[5:6], 0
	s_waitcnt vmcnt(4)
	v_fma_f64 v[33:34], v[33:34], v[45:46], -v[39:40]
	v_fma_f64 v[27:28], v[35:36], v[45:46], v[27:28]
	v_add_f64 v[25:26], v[25:26], v[29:30]
	v_add_f64 v[5:6], v[5:6], v[31:32]
	;; [unrolled: 1-line block ×4, first 2 shown]
	s_waitcnt vmcnt(2)
	v_add_f64 v[25:26], v[47:48], -v[25:26]
	s_waitcnt vmcnt(0)
	v_add_f64 v[5:6], v[49:50], -v[5:6]
	buffer_store_dword v25, off, s[0:3], 0 offset:80
	buffer_store_dword v26, off, s[0:3], 0 offset:84
	;; [unrolled: 1-line block ×4, first 2 shown]
	v_cmpx_lt_u32_e32 4, v0
	s_cbranch_execz .LBB8_59
; %bb.58:
	v_mov_b32_e32 v5, s18
	s_clause 0x3
	buffer_load_dword v25, v5, s[0:3], 0 offen
	buffer_load_dword v26, v5, s[0:3], 0 offen offset:4
	buffer_load_dword v27, v5, s[0:3], 0 offen offset:8
	;; [unrolled: 1-line block ×3, first 2 shown]
	buffer_store_dword v4, off, s[0:3], 0 offset:64
	buffer_store_dword v4, off, s[0:3], 0 offset:68
	;; [unrolled: 1-line block ×4, first 2 shown]
	s_waitcnt vmcnt(0)
	ds_write_b128 v3, v[25:28]
.LBB8_59:
	s_or_b32 exec_lo, exec_lo, s6
	s_waitcnt lgkmcnt(0)
	s_waitcnt_vscnt null, 0x0
	s_barrier
	buffer_gl0_inv
	s_clause 0x13
	buffer_load_dword v5, off, s[0:3], 0 offset:88
	buffer_load_dword v6, off, s[0:3], 0 offset:92
	;; [unrolled: 1-line block ×20, first 2 shown]
	ds_read_b128 v[25:28], v4 offset:224
	ds_read_b128 v[29:32], v4 offset:240
	;; [unrolled: 1-line block ×3, first 2 shown]
	s_mov_b32 s6, exec_lo
	s_waitcnt vmcnt(18) lgkmcnt(2)
	v_mul_f64 v[55:56], v[27:28], v[5:6]
	v_mul_f64 v[5:6], v[25:26], v[5:6]
	s_waitcnt vmcnt(16) lgkmcnt(1)
	v_mul_f64 v[57:58], v[31:32], v[37:38]
	v_mul_f64 v[37:38], v[29:30], v[37:38]
	s_waitcnt vmcnt(14)
	v_fma_f64 v[55:56], v[25:26], v[39:40], -v[55:56]
	v_fma_f64 v[5:6], v[27:28], v[39:40], v[5:6]
	ds_read_b128 v[25:28], v4 offset:272
	s_waitcnt vmcnt(12) lgkmcnt(1)
	v_mul_f64 v[39:40], v[33:34], v[41:42]
	v_mul_f64 v[41:42], v[35:36], v[41:42]
	s_waitcnt vmcnt(10)
	v_fma_f64 v[29:30], v[29:30], v[43:44], -v[57:58]
	v_fma_f64 v[31:32], v[31:32], v[43:44], v[37:38]
	s_waitcnt vmcnt(8) lgkmcnt(0)
	v_mul_f64 v[43:44], v[27:28], v[45:46]
	v_add_f64 v[55:56], v[55:56], 0
	v_add_f64 v[4:5], v[5:6], 0
	v_mul_f64 v[37:38], v[25:26], v[45:46]
	s_waitcnt vmcnt(6)
	v_fma_f64 v[33:34], v[33:34], v[47:48], -v[41:42]
	v_fma_f64 v[35:36], v[35:36], v[47:48], v[39:40]
	s_waitcnt vmcnt(4)
	v_fma_f64 v[25:26], v[25:26], v[49:50], -v[43:44]
	v_add_f64 v[29:30], v[55:56], v[29:30]
	v_add_f64 v[4:5], v[4:5], v[31:32]
	v_fma_f64 v[27:28], v[27:28], v[49:50], v[37:38]
	v_add_f64 v[29:30], v[29:30], v[33:34]
	v_add_f64 v[4:5], v[4:5], v[35:36]
	;; [unrolled: 1-line block ×4, first 2 shown]
	s_waitcnt vmcnt(2)
	v_add_f64 v[25:26], v[51:52], -v[25:26]
	s_waitcnt vmcnt(0)
	v_add_f64 v[4:5], v[53:54], -v[4:5]
	buffer_store_dword v25, off, s[0:3], 0 offset:64
	buffer_store_dword v26, off, s[0:3], 0 offset:68
	;; [unrolled: 1-line block ×4, first 2 shown]
	v_cmpx_lt_u32_e32 3, v0
	s_cbranch_execz .LBB8_61
; %bb.60:
	v_mov_b32_e32 v4, s19
	s_clause 0x3
	buffer_load_dword v25, v4, s[0:3], 0 offen
	buffer_load_dword v26, v4, s[0:3], 0 offen offset:4
	buffer_load_dword v27, v4, s[0:3], 0 offen offset:8
	;; [unrolled: 1-line block ×3, first 2 shown]
	v_mov_b32_e32 v4, 0
	buffer_store_dword v4, off, s[0:3], 0 offset:48
	buffer_store_dword v4, off, s[0:3], 0 offset:52
	;; [unrolled: 1-line block ×4, first 2 shown]
	s_waitcnt vmcnt(0)
	ds_write_b128 v3, v[25:28]
.LBB8_61:
	s_or_b32 exec_lo, exec_lo, s6
	s_waitcnt lgkmcnt(0)
	s_waitcnt_vscnt null, 0x0
	s_barrier
	buffer_gl0_inv
	s_clause 0x17
	buffer_load_dword v5, off, s[0:3], 0 offset:72
	buffer_load_dword v6, off, s[0:3], 0 offset:76
	;; [unrolled: 1-line block ×24, first 2 shown]
	v_mov_b32_e32 v4, 0
	ds_read_b128 v[25:28], v4 offset:208
	ds_read_b128 v[29:32], v4 offset:224
	;; [unrolled: 1-line block ×3, first 2 shown]
	s_mov_b32 s6, exec_lo
	s_waitcnt vmcnt(22) lgkmcnt(2)
	v_mul_f64 v[59:60], v[27:28], v[5:6]
	v_mul_f64 v[5:6], v[25:26], v[5:6]
	s_waitcnt vmcnt(20) lgkmcnt(1)
	v_mul_f64 v[61:62], v[31:32], v[37:38]
	v_mul_f64 v[37:38], v[29:30], v[37:38]
	s_waitcnt vmcnt(18)
	v_fma_f64 v[59:60], v[25:26], v[39:40], -v[59:60]
	v_fma_f64 v[5:6], v[27:28], v[39:40], v[5:6]
	ds_read_b128 v[25:28], v4 offset:256
	s_waitcnt vmcnt(16) lgkmcnt(1)
	v_mul_f64 v[39:40], v[33:34], v[41:42]
	v_mul_f64 v[41:42], v[35:36], v[41:42]
	s_waitcnt vmcnt(14)
	v_fma_f64 v[61:62], v[29:30], v[43:44], -v[61:62]
	v_fma_f64 v[37:38], v[31:32], v[43:44], v[37:38]
	ds_read_b128 v[29:32], v4 offset:272
	s_waitcnt vmcnt(10) lgkmcnt(1)
	v_mul_f64 v[43:44], v[25:26], v[45:46]
	v_add_f64 v[59:60], v[59:60], 0
	v_add_f64 v[5:6], v[5:6], 0
	v_mul_f64 v[45:46], v[27:28], v[45:46]
	s_waitcnt vmcnt(8)
	v_fma_f64 v[33:34], v[33:34], v[51:52], -v[41:42]
	v_fma_f64 v[35:36], v[35:36], v[51:52], v[39:40]
	s_waitcnt vmcnt(7) lgkmcnt(0)
	v_mul_f64 v[39:40], v[31:32], v[47:48]
	s_waitcnt vmcnt(5)
	v_fma_f64 v[27:28], v[27:28], v[53:54], v[43:44]
	v_add_f64 v[41:42], v[59:60], v[61:62]
	v_add_f64 v[5:6], v[5:6], v[37:38]
	v_fma_f64 v[25:26], v[25:26], v[53:54], -v[45:46]
	v_mul_f64 v[37:38], v[29:30], v[47:48]
	s_waitcnt vmcnt(4)
	v_fma_f64 v[29:30], v[29:30], v[49:50], -v[39:40]
	v_add_f64 v[33:34], v[41:42], v[33:34]
	v_add_f64 v[5:6], v[5:6], v[35:36]
	v_fma_f64 v[31:32], v[31:32], v[49:50], v[37:38]
	v_add_f64 v[25:26], v[33:34], v[25:26]
	v_add_f64 v[5:6], v[5:6], v[27:28]
	;; [unrolled: 1-line block ×4, first 2 shown]
	s_waitcnt vmcnt(2)
	v_add_f64 v[25:26], v[55:56], -v[25:26]
	s_waitcnt vmcnt(0)
	v_add_f64 v[5:6], v[57:58], -v[5:6]
	buffer_store_dword v26, off, s[0:3], 0 offset:52
	buffer_store_dword v25, off, s[0:3], 0 offset:48
	;; [unrolled: 1-line block ×4, first 2 shown]
	v_cmpx_lt_u32_e32 2, v0
	s_cbranch_execz .LBB8_63
; %bb.62:
	v_mov_b32_e32 v5, s20
	s_clause 0x3
	buffer_load_dword v25, v5, s[0:3], 0 offen
	buffer_load_dword v26, v5, s[0:3], 0 offen offset:4
	buffer_load_dword v27, v5, s[0:3], 0 offen offset:8
	;; [unrolled: 1-line block ×3, first 2 shown]
	buffer_store_dword v4, off, s[0:3], 0 offset:32
	buffer_store_dword v4, off, s[0:3], 0 offset:36
	buffer_store_dword v4, off, s[0:3], 0 offset:40
	buffer_store_dword v4, off, s[0:3], 0 offset:44
	s_waitcnt vmcnt(0)
	ds_write_b128 v3, v[25:28]
.LBB8_63:
	s_or_b32 exec_lo, exec_lo, s6
	s_waitcnt lgkmcnt(0)
	s_waitcnt_vscnt null, 0x0
	s_barrier
	buffer_gl0_inv
	s_clause 0x1b
	buffer_load_dword v5, off, s[0:3], 0 offset:56
	buffer_load_dword v6, off, s[0:3], 0 offset:60
	;; [unrolled: 1-line block ×28, first 2 shown]
	ds_read_b128 v[25:28], v4 offset:192
	ds_read_b128 v[29:32], v4 offset:208
	;; [unrolled: 1-line block ×3, first 2 shown]
	s_mov_b32 s6, exec_lo
	s_waitcnt vmcnt(26) lgkmcnt(2)
	v_mul_f64 v[63:64], v[27:28], v[5:6]
	v_mul_f64 v[5:6], v[25:26], v[5:6]
	s_waitcnt vmcnt(24) lgkmcnt(1)
	v_mul_f64 v[65:66], v[31:32], v[37:38]
	v_mul_f64 v[37:38], v[29:30], v[37:38]
	s_waitcnt vmcnt(22)
	v_fma_f64 v[63:64], v[25:26], v[39:40], -v[63:64]
	v_fma_f64 v[5:6], v[27:28], v[39:40], v[5:6]
	ds_read_b128 v[25:28], v4 offset:240
	s_waitcnt vmcnt(20) lgkmcnt(1)
	v_mul_f64 v[39:40], v[33:34], v[41:42]
	v_mul_f64 v[41:42], v[35:36], v[41:42]
	s_waitcnt vmcnt(18)
	v_fma_f64 v[65:66], v[29:30], v[43:44], -v[65:66]
	v_fma_f64 v[37:38], v[31:32], v[43:44], v[37:38]
	ds_read_b128 v[29:32], v4 offset:256
	s_waitcnt vmcnt(14) lgkmcnt(1)
	v_mul_f64 v[43:44], v[25:26], v[45:46]
	v_add_f64 v[63:64], v[63:64], 0
	v_add_f64 v[5:6], v[5:6], 0
	v_mul_f64 v[45:46], v[27:28], v[45:46]
	s_waitcnt vmcnt(12)
	v_fma_f64 v[41:42], v[33:34], v[51:52], -v[41:42]
	v_fma_f64 v[39:40], v[35:36], v[51:52], v[39:40]
	ds_read_b128 v[33:36], v4 offset:272
	s_waitcnt vmcnt(9)
	v_fma_f64 v[27:28], v[27:28], v[53:54], v[43:44]
	v_add_f64 v[63:64], v[63:64], v[65:66]
	v_add_f64 v[5:6], v[5:6], v[37:38]
	s_waitcnt lgkmcnt(1)
	v_mul_f64 v[37:38], v[29:30], v[47:48]
	v_mul_f64 v[47:48], v[31:32], v[47:48]
	v_fma_f64 v[25:26], v[25:26], v[53:54], -v[45:46]
	s_waitcnt vmcnt(7) lgkmcnt(0)
	v_mul_f64 v[43:44], v[35:36], v[55:56]
	v_add_f64 v[41:42], v[63:64], v[41:42]
	v_add_f64 v[4:5], v[5:6], v[39:40]
	v_mul_f64 v[39:40], v[33:34], v[55:56]
	s_waitcnt vmcnt(6)
	v_fma_f64 v[29:30], v[29:30], v[49:50], -v[47:48]
	v_fma_f64 v[31:32], v[31:32], v[49:50], v[37:38]
	v_add_f64 v[25:26], v[41:42], v[25:26]
	v_add_f64 v[4:5], v[4:5], v[27:28]
	s_waitcnt vmcnt(4)
	v_fma_f64 v[27:28], v[33:34], v[57:58], -v[43:44]
	v_add_f64 v[25:26], v[25:26], v[29:30]
	v_fma_f64 v[29:30], v[35:36], v[57:58], v[39:40]
	v_add_f64 v[4:5], v[4:5], v[31:32]
	v_add_f64 v[25:26], v[25:26], v[27:28]
	;; [unrolled: 1-line block ×3, first 2 shown]
	s_waitcnt vmcnt(2)
	v_add_f64 v[25:26], v[59:60], -v[25:26]
	s_waitcnt vmcnt(0)
	v_add_f64 v[4:5], v[61:62], -v[4:5]
	buffer_store_dword v26, off, s[0:3], 0 offset:36
	buffer_store_dword v25, off, s[0:3], 0 offset:32
	;; [unrolled: 1-line block ×4, first 2 shown]
	v_cmpx_lt_u32_e32 1, v0
	s_cbranch_execz .LBB8_65
; %bb.64:
	v_mov_b32_e32 v4, s21
	s_clause 0x3
	buffer_load_dword v25, v4, s[0:3], 0 offen
	buffer_load_dword v26, v4, s[0:3], 0 offen offset:4
	buffer_load_dword v27, v4, s[0:3], 0 offen offset:8
	;; [unrolled: 1-line block ×3, first 2 shown]
	v_mov_b32_e32 v4, 0
	buffer_store_dword v4, off, s[0:3], 0 offset:16
	buffer_store_dword v4, off, s[0:3], 0 offset:20
	;; [unrolled: 1-line block ×4, first 2 shown]
	s_waitcnt vmcnt(0)
	ds_write_b128 v3, v[25:28]
.LBB8_65:
	s_or_b32 exec_lo, exec_lo, s6
	s_waitcnt lgkmcnt(0)
	s_waitcnt_vscnt null, 0x0
	s_barrier
	buffer_gl0_inv
	s_clause 0x1f
	buffer_load_dword v5, off, s[0:3], 0 offset:40
	buffer_load_dword v6, off, s[0:3], 0 offset:44
	;; [unrolled: 1-line block ×32, first 2 shown]
	v_mov_b32_e32 v4, 0
	ds_read_b128 v[25:28], v4 offset:176
	ds_read_b128 v[29:32], v4 offset:192
	;; [unrolled: 1-line block ×3, first 2 shown]
	s_mov_b32 s6, exec_lo
	s_waitcnt vmcnt(30) lgkmcnt(2)
	v_mul_f64 v[67:68], v[27:28], v[5:6]
	v_mul_f64 v[5:6], v[25:26], v[5:6]
	s_waitcnt vmcnt(28) lgkmcnt(1)
	v_mul_f64 v[69:70], v[31:32], v[37:38]
	v_mul_f64 v[37:38], v[29:30], v[37:38]
	s_waitcnt vmcnt(26)
	v_fma_f64 v[67:68], v[25:26], v[39:40], -v[67:68]
	v_fma_f64 v[5:6], v[27:28], v[39:40], v[5:6]
	ds_read_b128 v[25:28], v4 offset:224
	s_waitcnt vmcnt(24) lgkmcnt(1)
	v_mul_f64 v[39:40], v[33:34], v[41:42]
	v_mul_f64 v[41:42], v[35:36], v[41:42]
	s_waitcnt vmcnt(22)
	v_fma_f64 v[69:70], v[29:30], v[43:44], -v[69:70]
	v_fma_f64 v[37:38], v[31:32], v[43:44], v[37:38]
	ds_read_b128 v[29:32], v4 offset:240
	s_waitcnt vmcnt(18) lgkmcnt(1)
	v_mul_f64 v[43:44], v[25:26], v[45:46]
	v_add_f64 v[67:68], v[67:68], 0
	v_add_f64 v[5:6], v[5:6], 0
	v_mul_f64 v[45:46], v[27:28], v[45:46]
	s_waitcnt vmcnt(16)
	v_fma_f64 v[41:42], v[33:34], v[51:52], -v[41:42]
	v_fma_f64 v[39:40], v[35:36], v[51:52], v[39:40]
	ds_read_b128 v[33:36], v4 offset:256
	s_waitcnt vmcnt(13)
	v_fma_f64 v[43:44], v[27:28], v[53:54], v[43:44]
	v_add_f64 v[67:68], v[67:68], v[69:70]
	v_add_f64 v[5:6], v[5:6], v[37:38]
	s_waitcnt lgkmcnt(1)
	v_mul_f64 v[37:38], v[29:30], v[47:48]
	v_mul_f64 v[47:48], v[31:32], v[47:48]
	v_fma_f64 v[45:46], v[25:26], v[53:54], -v[45:46]
	s_waitcnt vmcnt(9) lgkmcnt(0)
	v_mul_f64 v[51:52], v[35:36], v[55:56]
	ds_read_b128 v[25:28], v4 offset:272
	v_add_f64 v[41:42], v[67:68], v[41:42]
	v_add_f64 v[5:6], v[5:6], v[39:40]
	v_mul_f64 v[39:40], v[33:34], v[55:56]
	s_waitcnt vmcnt(8)
	v_fma_f64 v[29:30], v[29:30], v[49:50], -v[47:48]
	v_fma_f64 v[31:32], v[31:32], v[49:50], v[37:38]
	s_waitcnt vmcnt(5)
	v_fma_f64 v[33:34], v[33:34], v[61:62], -v[51:52]
	s_waitcnt lgkmcnt(0)
	v_mul_f64 v[37:38], v[25:26], v[57:58]
	v_add_f64 v[41:42], v[41:42], v[45:46]
	v_add_f64 v[5:6], v[5:6], v[43:44]
	v_mul_f64 v[43:44], v[27:28], v[57:58]
	v_fma_f64 v[35:36], v[35:36], v[61:62], v[39:40]
	s_waitcnt vmcnt(4)
	v_fma_f64 v[27:28], v[27:28], v[59:60], v[37:38]
	v_add_f64 v[29:30], v[41:42], v[29:30]
	v_add_f64 v[5:6], v[5:6], v[31:32]
	v_fma_f64 v[25:26], v[25:26], v[59:60], -v[43:44]
	v_add_f64 v[29:30], v[29:30], v[33:34]
	v_add_f64 v[5:6], v[5:6], v[35:36]
	v_add_f64 v[25:26], v[29:30], v[25:26]
	v_add_f64 v[5:6], v[5:6], v[27:28]
	s_waitcnt vmcnt(2)
	v_add_f64 v[25:26], v[63:64], -v[25:26]
	s_waitcnt vmcnt(0)
	v_add_f64 v[5:6], v[65:66], -v[5:6]
	buffer_store_dword v26, off, s[0:3], 0 offset:20
	buffer_store_dword v25, off, s[0:3], 0 offset:16
	;; [unrolled: 1-line block ×4, first 2 shown]
	v_cmpx_ne_u32_e32 0, v0
	s_cbranch_execz .LBB8_67
; %bb.66:
	s_clause 0x3
	buffer_load_dword v25, off, s[0:3], 0
	buffer_load_dword v26, off, s[0:3], 0 offset:4
	buffer_load_dword v27, off, s[0:3], 0 offset:8
	buffer_load_dword v28, off, s[0:3], 0 offset:12
	buffer_store_dword v4, off, s[0:3], 0
	buffer_store_dword v4, off, s[0:3], 0 offset:4
	buffer_store_dword v4, off, s[0:3], 0 offset:8
	;; [unrolled: 1-line block ×3, first 2 shown]
	s_waitcnt vmcnt(0)
	ds_write_b128 v3, v[25:28]
.LBB8_67:
	s_or_b32 exec_lo, exec_lo, s6
	s_waitcnt lgkmcnt(0)
	s_waitcnt_vscnt null, 0x0
	s_barrier
	buffer_gl0_inv
	s_clause 0x23
	buffer_load_dword v5, off, s[0:3], 0 offset:24
	buffer_load_dword v6, off, s[0:3], 0 offset:28
	;; [unrolled: 1-line block ×32, first 2 shown]
	buffer_load_dword v67, off, s[0:3], 0
	buffer_load_dword v68, off, s[0:3], 0 offset:4
	buffer_load_dword v69, off, s[0:3], 0 offset:8
	;; [unrolled: 1-line block ×3, first 2 shown]
	ds_read_b128 v[25:28], v4 offset:160
	ds_read_b128 v[29:32], v4 offset:176
	;; [unrolled: 1-line block ×3, first 2 shown]
	s_and_b32 vcc_lo, exec_lo, s24
	s_waitcnt vmcnt(34) lgkmcnt(2)
	v_mul_f64 v[71:72], v[27:28], v[5:6]
	v_mul_f64 v[5:6], v[25:26], v[5:6]
	s_waitcnt vmcnt(32) lgkmcnt(1)
	v_mul_f64 v[73:74], v[31:32], v[37:38]
	v_mul_f64 v[37:38], v[29:30], v[37:38]
	s_waitcnt vmcnt(30)
	v_fma_f64 v[71:72], v[25:26], v[39:40], -v[71:72]
	v_fma_f64 v[5:6], v[27:28], v[39:40], v[5:6]
	ds_read_b128 v[25:28], v4 offset:208
	s_waitcnt vmcnt(28) lgkmcnt(1)
	v_mul_f64 v[39:40], v[33:34], v[41:42]
	v_mul_f64 v[41:42], v[35:36], v[41:42]
	s_waitcnt vmcnt(26)
	v_fma_f64 v[73:74], v[29:30], v[43:44], -v[73:74]
	v_fma_f64 v[37:38], v[31:32], v[43:44], v[37:38]
	ds_read_b128 v[29:32], v4 offset:224
	s_waitcnt vmcnt(22) lgkmcnt(1)
	v_mul_f64 v[43:44], v[25:26], v[45:46]
	v_add_f64 v[71:72], v[71:72], 0
	v_add_f64 v[5:6], v[5:6], 0
	v_mul_f64 v[45:46], v[27:28], v[45:46]
	s_waitcnt vmcnt(20)
	v_fma_f64 v[41:42], v[33:34], v[51:52], -v[41:42]
	v_fma_f64 v[39:40], v[35:36], v[51:52], v[39:40]
	ds_read_b128 v[33:36], v4 offset:240
	s_waitcnt vmcnt(17)
	v_fma_f64 v[43:44], v[27:28], v[53:54], v[43:44]
	v_add_f64 v[71:72], v[71:72], v[73:74]
	v_add_f64 v[5:6], v[5:6], v[37:38]
	s_waitcnt lgkmcnt(1)
	v_mul_f64 v[37:38], v[29:30], v[47:48]
	v_mul_f64 v[47:48], v[31:32], v[47:48]
	v_fma_f64 v[45:46], v[25:26], v[53:54], -v[45:46]
	s_waitcnt vmcnt(13) lgkmcnt(0)
	v_mul_f64 v[51:52], v[35:36], v[55:56]
	ds_read_b128 v[25:28], v4 offset:256
	v_add_f64 v[41:42], v[71:72], v[41:42]
	v_add_f64 v[5:6], v[5:6], v[39:40]
	v_mul_f64 v[39:40], v[33:34], v[55:56]
	s_waitcnt vmcnt(12)
	v_fma_f64 v[29:30], v[29:30], v[49:50], -v[47:48]
	v_fma_f64 v[31:32], v[31:32], v[49:50], v[37:38]
	s_waitcnt vmcnt(9)
	v_fma_f64 v[33:34], v[33:34], v[61:62], -v[51:52]
	v_add_f64 v[41:42], v[41:42], v[45:46]
	v_add_f64 v[37:38], v[5:6], v[43:44]
	s_waitcnt lgkmcnt(0)
	v_mul_f64 v[45:46], v[27:28], v[57:58]
	ds_read_b128 v[3:6], v4 offset:272
	v_mul_f64 v[43:44], v[25:26], v[57:58]
	v_fma_f64 v[35:36], v[35:36], v[61:62], v[39:40]
	v_add_f64 v[29:30], v[41:42], v[29:30]
	v_add_f64 v[31:32], v[37:38], v[31:32]
	s_waitcnt vmcnt(7) lgkmcnt(0)
	v_mul_f64 v[39:40], v[5:6], v[63:64]
	s_waitcnt vmcnt(6)
	v_fma_f64 v[25:26], v[25:26], v[59:60], -v[45:46]
	v_mul_f64 v[37:38], v[3:4], v[63:64]
	v_fma_f64 v[27:28], v[27:28], v[59:60], v[43:44]
	v_add_f64 v[29:30], v[29:30], v[33:34]
	v_add_f64 v[31:32], v[31:32], v[35:36]
	s_waitcnt vmcnt(4)
	v_fma_f64 v[3:4], v[3:4], v[65:66], -v[39:40]
	v_fma_f64 v[5:6], v[5:6], v[65:66], v[37:38]
	v_add_f64 v[25:26], v[29:30], v[25:26]
	v_add_f64 v[27:28], v[31:32], v[27:28]
	;; [unrolled: 1-line block ×4, first 2 shown]
	s_waitcnt vmcnt(2)
	v_add_f64 v[3:4], v[67:68], -v[3:4]
	s_waitcnt vmcnt(0)
	v_add_f64 v[5:6], v[69:70], -v[5:6]
	buffer_store_dword v4, off, s[0:3], 0 offset:4
	buffer_store_dword v3, off, s[0:3], 0
	buffer_store_dword v6, off, s[0:3], 0 offset:12
	buffer_store_dword v5, off, s[0:3], 0 offset:8
	s_cbranch_vccz .LBB8_84
; %bb.68:
	v_mov_b32_e32 v3, 0
	s_load_dwordx2 s[4:5], s[4:5], 0x4
	global_load_dword v4, v3, s[10:11] offset:28
	s_waitcnt lgkmcnt(0)
	s_lshr_b32 s4, s4, 16
	v_mul_u32_u24_e32 v5, s5, v1
	s_mul_i32 s4, s4, s5
	v_mul_u32_u24_e32 v0, s4, v0
	v_add3_u32 v0, v0, v5, v2
	v_lshl_add_u32 v0, v0, 4, 0x128
	s_waitcnt vmcnt(0)
	v_add_nc_u32_e32 v1, -1, v4
	v_cmp_ne_u32_e32 vcc_lo, 7, v1
	s_cbranch_vccz .LBB8_70
; %bb.69:
	v_lshlrev_b32_e32 v1, 4, v1
	v_mov_b32_e32 v6, s13
	v_mov_b32_e32 v25, v1
	s_clause 0x7
	buffer_load_dword v1, v6, s[0:3], 0 offen
	buffer_load_dword v2, v6, s[0:3], 0 offen offset:4
	buffer_load_dword v4, v6, s[0:3], 0 offen offset:8
	;; [unrolled: 1-line block ×3, first 2 shown]
	buffer_load_dword v26, v25, s[0:3], 0 offen
	buffer_load_dword v27, v25, s[0:3], 0 offen offset:4
	buffer_load_dword v28, v25, s[0:3], 0 offen offset:8
	;; [unrolled: 1-line block ×3, first 2 shown]
	s_waitcnt vmcnt(4)
	ds_write2_b64 v0, v[1:2], v[4:5] offset1:1
	s_waitcnt vmcnt(3)
	buffer_store_dword v26, v6, s[0:3], 0 offen
	s_waitcnt vmcnt(2)
	buffer_store_dword v27, v6, s[0:3], 0 offen offset:4
	s_waitcnt vmcnt(1)
	buffer_store_dword v28, v6, s[0:3], 0 offen offset:8
	;; [unrolled: 2-line block ×3, first 2 shown]
	buffer_store_dword v5, v25, s[0:3], 0 offen offset:12
	buffer_store_dword v4, v25, s[0:3], 0 offen offset:8
	;; [unrolled: 1-line block ×3, first 2 shown]
	buffer_store_dword v1, v25, s[0:3], 0 offen
.LBB8_70:
	global_load_dword v1, v3, s[10:11] offset:24
	s_waitcnt vmcnt(0)
	v_add_nc_u32_e32 v1, -1, v1
	v_cmp_eq_u32_e32 vcc_lo, 6, v1
	s_cbranch_vccnz .LBB8_72
; %bb.71:
	v_lshlrev_b32_e32 v1, 4, v1
	v_mov_b32_e32 v5, s16
	v_mov_b32_e32 v6, v1
	s_clause 0x7
	buffer_load_dword v1, v5, s[0:3], 0 offen
	buffer_load_dword v2, v5, s[0:3], 0 offen offset:4
	buffer_load_dword v3, v5, s[0:3], 0 offen offset:8
	;; [unrolled: 1-line block ×3, first 2 shown]
	buffer_load_dword v25, v6, s[0:3], 0 offen
	buffer_load_dword v26, v6, s[0:3], 0 offen offset:4
	buffer_load_dword v27, v6, s[0:3], 0 offen offset:8
	;; [unrolled: 1-line block ×3, first 2 shown]
	s_waitcnt vmcnt(4)
	ds_write2_b64 v0, v[1:2], v[3:4] offset1:1
	s_waitcnt vmcnt(3)
	buffer_store_dword v25, v5, s[0:3], 0 offen
	s_waitcnt vmcnt(2)
	buffer_store_dword v26, v5, s[0:3], 0 offen offset:4
	s_waitcnt vmcnt(1)
	buffer_store_dword v27, v5, s[0:3], 0 offen offset:8
	;; [unrolled: 2-line block ×3, first 2 shown]
	buffer_store_dword v4, v6, s[0:3], 0 offen offset:12
	buffer_store_dword v3, v6, s[0:3], 0 offen offset:8
	;; [unrolled: 1-line block ×3, first 2 shown]
	buffer_store_dword v1, v6, s[0:3], 0 offen
.LBB8_72:
	v_mov_b32_e32 v1, 0
	global_load_dword v2, v1, s[10:11] offset:20
	s_waitcnt vmcnt(0)
	v_add_nc_u32_e32 v2, -1, v2
	v_cmp_eq_u32_e32 vcc_lo, 5, v2
	s_cbranch_vccnz .LBB8_74
; %bb.73:
	v_lshlrev_b32_e32 v2, 4, v2
	v_mov_b32_e32 v6, s17
	v_mov_b32_e32 v25, v2
	s_clause 0x7
	buffer_load_dword v2, v6, s[0:3], 0 offen
	buffer_load_dword v3, v6, s[0:3], 0 offen offset:4
	buffer_load_dword v4, v6, s[0:3], 0 offen offset:8
	;; [unrolled: 1-line block ×3, first 2 shown]
	buffer_load_dword v26, v25, s[0:3], 0 offen
	buffer_load_dword v27, v25, s[0:3], 0 offen offset:4
	buffer_load_dword v28, v25, s[0:3], 0 offen offset:8
	;; [unrolled: 1-line block ×3, first 2 shown]
	s_waitcnt vmcnt(4)
	ds_write2_b64 v0, v[2:3], v[4:5] offset1:1
	s_waitcnt vmcnt(3)
	buffer_store_dword v26, v6, s[0:3], 0 offen
	s_waitcnt vmcnt(2)
	buffer_store_dword v27, v6, s[0:3], 0 offen offset:4
	s_waitcnt vmcnt(1)
	buffer_store_dword v28, v6, s[0:3], 0 offen offset:8
	s_waitcnt vmcnt(0)
	buffer_store_dword v29, v6, s[0:3], 0 offen offset:12
	buffer_store_dword v5, v25, s[0:3], 0 offen offset:12
	buffer_store_dword v4, v25, s[0:3], 0 offen offset:8
	;; [unrolled: 1-line block ×3, first 2 shown]
	buffer_store_dword v2, v25, s[0:3], 0 offen
.LBB8_74:
	global_load_dword v1, v1, s[10:11] offset:16
	s_waitcnt vmcnt(0)
	v_add_nc_u32_e32 v1, -1, v1
	v_cmp_eq_u32_e32 vcc_lo, 4, v1
	s_cbranch_vccnz .LBB8_76
; %bb.75:
	v_lshlrev_b32_e32 v1, 4, v1
	v_mov_b32_e32 v5, s18
	v_mov_b32_e32 v6, v1
	s_clause 0x7
	buffer_load_dword v1, v5, s[0:3], 0 offen
	buffer_load_dword v2, v5, s[0:3], 0 offen offset:4
	buffer_load_dword v3, v5, s[0:3], 0 offen offset:8
	;; [unrolled: 1-line block ×3, first 2 shown]
	buffer_load_dword v25, v6, s[0:3], 0 offen
	buffer_load_dword v26, v6, s[0:3], 0 offen offset:4
	buffer_load_dword v27, v6, s[0:3], 0 offen offset:8
	;; [unrolled: 1-line block ×3, first 2 shown]
	s_waitcnt vmcnt(4)
	ds_write2_b64 v0, v[1:2], v[3:4] offset1:1
	s_waitcnt vmcnt(3)
	buffer_store_dword v25, v5, s[0:3], 0 offen
	s_waitcnt vmcnt(2)
	buffer_store_dword v26, v5, s[0:3], 0 offen offset:4
	s_waitcnt vmcnt(1)
	buffer_store_dword v27, v5, s[0:3], 0 offen offset:8
	;; [unrolled: 2-line block ×3, first 2 shown]
	buffer_store_dword v4, v6, s[0:3], 0 offen offset:12
	buffer_store_dword v3, v6, s[0:3], 0 offen offset:8
	;; [unrolled: 1-line block ×3, first 2 shown]
	buffer_store_dword v1, v6, s[0:3], 0 offen
.LBB8_76:
	v_mov_b32_e32 v1, 0
	global_load_dword v2, v1, s[10:11] offset:12
	s_waitcnt vmcnt(0)
	v_add_nc_u32_e32 v2, -1, v2
	v_cmp_eq_u32_e32 vcc_lo, 3, v2
	s_cbranch_vccnz .LBB8_78
; %bb.77:
	v_lshlrev_b32_e32 v2, 4, v2
	v_mov_b32_e32 v6, s19
	v_mov_b32_e32 v25, v2
	s_clause 0x7
	buffer_load_dword v2, v6, s[0:3], 0 offen
	buffer_load_dword v3, v6, s[0:3], 0 offen offset:4
	buffer_load_dword v4, v6, s[0:3], 0 offen offset:8
	;; [unrolled: 1-line block ×3, first 2 shown]
	buffer_load_dword v26, v25, s[0:3], 0 offen
	buffer_load_dword v27, v25, s[0:3], 0 offen offset:4
	buffer_load_dword v28, v25, s[0:3], 0 offen offset:8
	;; [unrolled: 1-line block ×3, first 2 shown]
	s_waitcnt vmcnt(4)
	ds_write2_b64 v0, v[2:3], v[4:5] offset1:1
	s_waitcnt vmcnt(3)
	buffer_store_dword v26, v6, s[0:3], 0 offen
	s_waitcnt vmcnt(2)
	buffer_store_dword v27, v6, s[0:3], 0 offen offset:4
	s_waitcnt vmcnt(1)
	buffer_store_dword v28, v6, s[0:3], 0 offen offset:8
	;; [unrolled: 2-line block ×3, first 2 shown]
	buffer_store_dword v5, v25, s[0:3], 0 offen offset:12
	buffer_store_dword v4, v25, s[0:3], 0 offen offset:8
	;; [unrolled: 1-line block ×3, first 2 shown]
	buffer_store_dword v2, v25, s[0:3], 0 offen
.LBB8_78:
	global_load_dword v1, v1, s[10:11] offset:8
	s_waitcnt vmcnt(0)
	v_add_nc_u32_e32 v1, -1, v1
	v_cmp_eq_u32_e32 vcc_lo, 2, v1
	s_cbranch_vccnz .LBB8_80
; %bb.79:
	v_lshlrev_b32_e32 v1, 4, v1
	v_mov_b32_e32 v5, s20
	v_mov_b32_e32 v6, v1
	s_clause 0x7
	buffer_load_dword v1, v5, s[0:3], 0 offen
	buffer_load_dword v2, v5, s[0:3], 0 offen offset:4
	buffer_load_dword v3, v5, s[0:3], 0 offen offset:8
	buffer_load_dword v4, v5, s[0:3], 0 offen offset:12
	buffer_load_dword v25, v6, s[0:3], 0 offen
	buffer_load_dword v26, v6, s[0:3], 0 offen offset:4
	buffer_load_dword v27, v6, s[0:3], 0 offen offset:8
	;; [unrolled: 1-line block ×3, first 2 shown]
	s_waitcnt vmcnt(4)
	ds_write2_b64 v0, v[1:2], v[3:4] offset1:1
	s_waitcnt vmcnt(3)
	buffer_store_dword v25, v5, s[0:3], 0 offen
	s_waitcnt vmcnt(2)
	buffer_store_dword v26, v5, s[0:3], 0 offen offset:4
	s_waitcnt vmcnt(1)
	buffer_store_dword v27, v5, s[0:3], 0 offen offset:8
	;; [unrolled: 2-line block ×3, first 2 shown]
	buffer_store_dword v4, v6, s[0:3], 0 offen offset:12
	buffer_store_dword v3, v6, s[0:3], 0 offen offset:8
	;; [unrolled: 1-line block ×3, first 2 shown]
	buffer_store_dword v1, v6, s[0:3], 0 offen
.LBB8_80:
	v_mov_b32_e32 v1, 0
	global_load_dword v2, v1, s[10:11] offset:4
	s_waitcnt vmcnt(0)
	v_add_nc_u32_e32 v2, -1, v2
	v_cmp_eq_u32_e32 vcc_lo, 1, v2
	s_cbranch_vccnz .LBB8_82
; %bb.81:
	v_lshlrev_b32_e32 v2, 4, v2
	v_mov_b32_e32 v6, s21
	v_mov_b32_e32 v25, v2
	s_clause 0x7
	buffer_load_dword v2, v6, s[0:3], 0 offen
	buffer_load_dword v3, v6, s[0:3], 0 offen offset:4
	buffer_load_dword v4, v6, s[0:3], 0 offen offset:8
	;; [unrolled: 1-line block ×3, first 2 shown]
	buffer_load_dword v26, v25, s[0:3], 0 offen
	buffer_load_dword v27, v25, s[0:3], 0 offen offset:4
	buffer_load_dword v28, v25, s[0:3], 0 offen offset:8
	;; [unrolled: 1-line block ×3, first 2 shown]
	s_waitcnt vmcnt(4)
	ds_write2_b64 v0, v[2:3], v[4:5] offset1:1
	s_waitcnt vmcnt(3)
	buffer_store_dword v26, v6, s[0:3], 0 offen
	s_waitcnt vmcnt(2)
	buffer_store_dword v27, v6, s[0:3], 0 offen offset:4
	s_waitcnt vmcnt(1)
	buffer_store_dword v28, v6, s[0:3], 0 offen offset:8
	;; [unrolled: 2-line block ×3, first 2 shown]
	buffer_store_dword v5, v25, s[0:3], 0 offen offset:12
	buffer_store_dword v4, v25, s[0:3], 0 offen offset:8
	;; [unrolled: 1-line block ×3, first 2 shown]
	buffer_store_dword v2, v25, s[0:3], 0 offen
.LBB8_82:
	global_load_dword v1, v1, s[10:11]
	s_waitcnt vmcnt(0)
	v_add_nc_u32_e32 v1, -1, v1
	v_cmp_eq_u32_e32 vcc_lo, 0, v1
	s_cbranch_vccnz .LBB8_84
; %bb.83:
	v_lshlrev_b32_e32 v1, 4, v1
	v_mov_b32_e32 v5, v1
	s_clause 0x7
	buffer_load_dword v1, off, s[0:3], 0
	buffer_load_dword v2, off, s[0:3], 0 offset:4
	buffer_load_dword v3, off, s[0:3], 0 offset:8
	;; [unrolled: 1-line block ×3, first 2 shown]
	buffer_load_dword v6, v5, s[0:3], 0 offen
	buffer_load_dword v25, v5, s[0:3], 0 offen offset:4
	buffer_load_dword v26, v5, s[0:3], 0 offen offset:8
	;; [unrolled: 1-line block ×3, first 2 shown]
	s_waitcnt vmcnt(4)
	ds_write2_b64 v0, v[1:2], v[3:4] offset1:1
	s_waitcnt vmcnt(3)
	buffer_store_dword v6, off, s[0:3], 0
	s_waitcnt vmcnt(2)
	buffer_store_dword v25, off, s[0:3], 0 offset:4
	s_waitcnt vmcnt(1)
	buffer_store_dword v26, off, s[0:3], 0 offset:8
	;; [unrolled: 2-line block ×3, first 2 shown]
	buffer_store_dword v4, v5, s[0:3], 0 offen offset:12
	buffer_store_dword v3, v5, s[0:3], 0 offen offset:8
	;; [unrolled: 1-line block ×3, first 2 shown]
	buffer_store_dword v1, v5, s[0:3], 0 offen
.LBB8_84:
	v_mov_b32_e32 v5, s20
	v_mov_b32_e32 v4, s21
	s_clause 0x7
	buffer_load_dword v0, off, s[0:3], 0
	buffer_load_dword v1, off, s[0:3], 0 offset:4
	buffer_load_dword v2, off, s[0:3], 0 offset:8
	;; [unrolled: 1-line block ×3, first 2 shown]
	buffer_load_dword v25, v4, s[0:3], 0 offen
	buffer_load_dword v26, v4, s[0:3], 0 offen offset:4
	buffer_load_dword v27, v4, s[0:3], 0 offen offset:8
	buffer_load_dword v28, v4, s[0:3], 0 offen offset:12
	v_mov_b32_e32 v4, s19
	v_mov_b32_e32 v6, s18
	s_clause 0x7
	buffer_load_dword v29, v5, s[0:3], 0 offen
	buffer_load_dword v30, v5, s[0:3], 0 offen offset:4
	buffer_load_dword v31, v5, s[0:3], 0 offen offset:8
	buffer_load_dword v32, v5, s[0:3], 0 offen offset:12
	buffer_load_dword v33, v4, s[0:3], 0 offen
	buffer_load_dword v34, v4, s[0:3], 0 offen offset:4
	buffer_load_dword v35, v4, s[0:3], 0 offen offset:8
	buffer_load_dword v36, v4, s[0:3], 0 offen offset:12
	v_mov_b32_e32 v5, s16
	v_mov_b32_e32 v4, s17
	s_clause 0x7
	buffer_load_dword v37, v6, s[0:3], 0 offen
	buffer_load_dword v38, v6, s[0:3], 0 offen offset:4
	buffer_load_dword v39, v6, s[0:3], 0 offen offset:8
	buffer_load_dword v40, v6, s[0:3], 0 offen offset:12
	;; [unrolled: 11-line block ×3, first 2 shown]
	buffer_load_dword v49, v4, s[0:3], 0 offen
	buffer_load_dword v50, v4, s[0:3], 0 offen offset:4
	buffer_load_dword v51, v4, s[0:3], 0 offen offset:8
	;; [unrolled: 1-line block ×3, first 2 shown]
	buffer_load_dword v53, v6, s[0:3], 0 offen
	buffer_load_dword v54, v6, s[0:3], 0 offen offset:4
	buffer_load_dword v55, v6, s[0:3], 0 offen offset:8
	;; [unrolled: 1-line block ×3, first 2 shown]
	s_waitcnt vmcnt(32)
	global_store_dwordx4 v[7:8], v[0:3], off
	s_waitcnt vmcnt(28)
	global_store_dwordx4 v[9:10], v[25:28], off
	;; [unrolled: 2-line block ×9, first 2 shown]
	s_endpgm
	.section	.rodata,"a",@progbits
	.p2align	6, 0x0
	.amdhsa_kernel _ZN9rocsolver6v33100L18getri_kernel_smallILi9E19rocblas_complex_numIdEPS3_EEvT1_iilPiilS6_bb
		.amdhsa_group_segment_fixed_size 1320
		.amdhsa_private_segment_fixed_size 160
		.amdhsa_kernarg_size 60
		.amdhsa_user_sgpr_count 8
		.amdhsa_user_sgpr_private_segment_buffer 1
		.amdhsa_user_sgpr_dispatch_ptr 1
		.amdhsa_user_sgpr_queue_ptr 0
		.amdhsa_user_sgpr_kernarg_segment_ptr 1
		.amdhsa_user_sgpr_dispatch_id 0
		.amdhsa_user_sgpr_flat_scratch_init 0
		.amdhsa_user_sgpr_private_segment_size 0
		.amdhsa_wavefront_size32 1
		.amdhsa_uses_dynamic_stack 0
		.amdhsa_system_sgpr_private_segment_wavefront_offset 1
		.amdhsa_system_sgpr_workgroup_id_x 1
		.amdhsa_system_sgpr_workgroup_id_y 0
		.amdhsa_system_sgpr_workgroup_id_z 0
		.amdhsa_system_sgpr_workgroup_info 0
		.amdhsa_system_vgpr_workitem_id 2
		.amdhsa_next_free_vgpr 75
		.amdhsa_next_free_sgpr 26
		.amdhsa_reserve_vcc 1
		.amdhsa_reserve_flat_scratch 0
		.amdhsa_float_round_mode_32 0
		.amdhsa_float_round_mode_16_64 0
		.amdhsa_float_denorm_mode_32 3
		.amdhsa_float_denorm_mode_16_64 3
		.amdhsa_dx10_clamp 1
		.amdhsa_ieee_mode 1
		.amdhsa_fp16_overflow 0
		.amdhsa_workgroup_processor_mode 1
		.amdhsa_memory_ordered 1
		.amdhsa_forward_progress 1
		.amdhsa_shared_vgpr_count 0
		.amdhsa_exception_fp_ieee_invalid_op 0
		.amdhsa_exception_fp_denorm_src 0
		.amdhsa_exception_fp_ieee_div_zero 0
		.amdhsa_exception_fp_ieee_overflow 0
		.amdhsa_exception_fp_ieee_underflow 0
		.amdhsa_exception_fp_ieee_inexact 0
		.amdhsa_exception_int_div_zero 0
	.end_amdhsa_kernel
	.section	.text._ZN9rocsolver6v33100L18getri_kernel_smallILi9E19rocblas_complex_numIdEPS3_EEvT1_iilPiilS6_bb,"axG",@progbits,_ZN9rocsolver6v33100L18getri_kernel_smallILi9E19rocblas_complex_numIdEPS3_EEvT1_iilPiilS6_bb,comdat
.Lfunc_end8:
	.size	_ZN9rocsolver6v33100L18getri_kernel_smallILi9E19rocblas_complex_numIdEPS3_EEvT1_iilPiilS6_bb, .Lfunc_end8-_ZN9rocsolver6v33100L18getri_kernel_smallILi9E19rocblas_complex_numIdEPS3_EEvT1_iilPiilS6_bb
                                        ; -- End function
	.set _ZN9rocsolver6v33100L18getri_kernel_smallILi9E19rocblas_complex_numIdEPS3_EEvT1_iilPiilS6_bb.num_vgpr, 75
	.set _ZN9rocsolver6v33100L18getri_kernel_smallILi9E19rocblas_complex_numIdEPS3_EEvT1_iilPiilS6_bb.num_agpr, 0
	.set _ZN9rocsolver6v33100L18getri_kernel_smallILi9E19rocblas_complex_numIdEPS3_EEvT1_iilPiilS6_bb.numbered_sgpr, 26
	.set _ZN9rocsolver6v33100L18getri_kernel_smallILi9E19rocblas_complex_numIdEPS3_EEvT1_iilPiilS6_bb.num_named_barrier, 0
	.set _ZN9rocsolver6v33100L18getri_kernel_smallILi9E19rocblas_complex_numIdEPS3_EEvT1_iilPiilS6_bb.private_seg_size, 160
	.set _ZN9rocsolver6v33100L18getri_kernel_smallILi9E19rocblas_complex_numIdEPS3_EEvT1_iilPiilS6_bb.uses_vcc, 1
	.set _ZN9rocsolver6v33100L18getri_kernel_smallILi9E19rocblas_complex_numIdEPS3_EEvT1_iilPiilS6_bb.uses_flat_scratch, 0
	.set _ZN9rocsolver6v33100L18getri_kernel_smallILi9E19rocblas_complex_numIdEPS3_EEvT1_iilPiilS6_bb.has_dyn_sized_stack, 0
	.set _ZN9rocsolver6v33100L18getri_kernel_smallILi9E19rocblas_complex_numIdEPS3_EEvT1_iilPiilS6_bb.has_recursion, 0
	.set _ZN9rocsolver6v33100L18getri_kernel_smallILi9E19rocblas_complex_numIdEPS3_EEvT1_iilPiilS6_bb.has_indirect_call, 0
	.section	.AMDGPU.csdata,"",@progbits
; Kernel info:
; codeLenInByte = 12104
; TotalNumSgprs: 28
; NumVgprs: 75
; ScratchSize: 160
; MemoryBound: 0
; FloatMode: 240
; IeeeMode: 1
; LDSByteSize: 1320 bytes/workgroup (compile time only)
; SGPRBlocks: 0
; VGPRBlocks: 9
; NumSGPRsForWavesPerEU: 28
; NumVGPRsForWavesPerEU: 75
; Occupancy: 12
; WaveLimiterHint : 1
; COMPUTE_PGM_RSRC2:SCRATCH_EN: 1
; COMPUTE_PGM_RSRC2:USER_SGPR: 8
; COMPUTE_PGM_RSRC2:TRAP_HANDLER: 0
; COMPUTE_PGM_RSRC2:TGID_X_EN: 1
; COMPUTE_PGM_RSRC2:TGID_Y_EN: 0
; COMPUTE_PGM_RSRC2:TGID_Z_EN: 0
; COMPUTE_PGM_RSRC2:TIDIG_COMP_CNT: 2
	.section	.text._ZN9rocsolver6v33100L18getri_kernel_smallILi10E19rocblas_complex_numIdEPS3_EEvT1_iilPiilS6_bb,"axG",@progbits,_ZN9rocsolver6v33100L18getri_kernel_smallILi10E19rocblas_complex_numIdEPS3_EEvT1_iilPiilS6_bb,comdat
	.globl	_ZN9rocsolver6v33100L18getri_kernel_smallILi10E19rocblas_complex_numIdEPS3_EEvT1_iilPiilS6_bb ; -- Begin function _ZN9rocsolver6v33100L18getri_kernel_smallILi10E19rocblas_complex_numIdEPS3_EEvT1_iilPiilS6_bb
	.p2align	8
	.type	_ZN9rocsolver6v33100L18getri_kernel_smallILi10E19rocblas_complex_numIdEPS3_EEvT1_iilPiilS6_bb,@function
_ZN9rocsolver6v33100L18getri_kernel_smallILi10E19rocblas_complex_numIdEPS3_EEvT1_iilPiilS6_bb: ; @_ZN9rocsolver6v33100L18getri_kernel_smallILi10E19rocblas_complex_numIdEPS3_EEvT1_iilPiilS6_bb
; %bb.0:
	s_add_u32 s0, s0, s9
	s_addc_u32 s1, s1, 0
	s_mov_b32 s9, exec_lo
	v_cmpx_gt_u32_e32 10, v0
	s_cbranch_execz .LBB9_54
; %bb.1:
	s_clause 0x2
	s_load_dword s9, s[6:7], 0x38
	s_load_dwordx4 s[20:23], s[6:7], 0x10
	s_load_dwordx4 s[12:15], s[6:7], 0x28
	s_waitcnt lgkmcnt(0)
	s_bitcmp1_b32 s9, 8
	s_cselect_b32 s24, -1, 0
	s_bfe_u32 s10, s9, 0x10008
	s_ashr_i32 s9, s8, 31
	s_cmp_eq_u32 s10, 0
                                        ; implicit-def: $sgpr10_sgpr11
	s_cbranch_scc1 .LBB9_3
; %bb.2:
	s_load_dword s10, s[6:7], 0x20
	s_mul_i32 s11, s12, s9
	s_mul_hi_u32 s16, s12, s8
	s_mul_i32 s13, s13, s8
	s_add_i32 s11, s16, s11
	s_mul_i32 s12, s12, s8
	s_add_i32 s13, s11, s13
	s_lshl_b64 s[12:13], s[12:13], 2
	s_waitcnt lgkmcnt(0)
	s_ashr_i32 s11, s10, 31
	s_add_u32 s12, s22, s12
	s_addc_u32 s13, s23, s13
	s_lshl_b64 s[10:11], s[10:11], 2
	s_add_u32 s10, s12, s10
	s_addc_u32 s11, s13, s11
.LBB9_3:
	s_clause 0x1
	s_load_dwordx4 s[16:19], s[6:7], 0x0
	s_load_dword s23, s[6:7], 0x38
	s_mul_i32 s6, s20, s9
	s_mul_hi_u32 s7, s20, s8
	s_mul_i32 s12, s21, s8
	s_add_i32 s7, s7, s6
	s_mul_i32 s6, s20, s8
	s_add_i32 s7, s7, s12
	v_lshlrev_b32_e32 v33, 4, v0
	s_lshl_b64 s[6:7], s[6:7], 4
	s_movk_i32 s25, 0x80
	s_movk_i32 s26, 0x90
	s_mov_b32 s22, 16
	s_mov_b32 s21, 32
	;; [unrolled: 1-line block ×3, first 2 shown]
	s_waitcnt lgkmcnt(0)
	v_add3_u32 v9, s19, s19, v0
	s_ashr_i32 s13, s18, 31
	s_mov_b32 s12, s18
	s_add_u32 s16, s16, s6
	s_addc_u32 s17, s17, s7
	v_add_nc_u32_e32 v11, s19, v9
	s_lshl_b64 s[6:7], s[12:13], 4
	v_ashrrev_i32_e32 v10, 31, v9
	s_add_u32 s6, s16, s6
	s_addc_u32 s7, s17, s7
	v_add_nc_u32_e32 v15, s19, v11
	v_ashrrev_i32_e32 v12, 31, v11
	v_add_co_u32 v7, s16, s6, v33
	s_mov_b32 s12, s19
	s_ashr_i32 s13, s19, 31
	v_lshlrev_b64 v[13:14], 4, v[9:10]
	v_add_nc_u32_e32 v19, s19, v15
	v_add_co_ci_u32_e64 v8, null, s7, 0, s16
	s_lshl_b64 s[12:13], s[12:13], 4
	v_lshlrev_b64 v[17:18], 4, v[11:12]
	v_add_co_u32 v9, vcc_lo, v7, s12
	v_ashrrev_i32_e32 v20, 31, v19
	v_add_nc_u32_e32 v21, s19, v19
	v_add_co_ci_u32_e64 v10, null, s13, v8, vcc_lo
	v_add_co_u32 v11, vcc_lo, s6, v13
	v_add_co_ci_u32_e64 v12, null, s7, v14, vcc_lo
	v_add_co_u32 v13, vcc_lo, s6, v17
	v_add_co_ci_u32_e64 v14, null, s7, v18, vcc_lo
	v_lshlrev_b64 v[17:18], 4, v[19:20]
	v_add_nc_u32_e32 v19, s19, v21
	v_ashrrev_i32_e32 v16, 31, v15
	v_ashrrev_i32_e32 v22, 31, v21
	s_clause 0x2
	global_load_dwordx4 v[3:6], v33, s[6:7]
	global_load_dwordx4 v[27:30], v[9:10], off
	global_load_dwordx4 v[34:37], v[11:12], off
	v_add_nc_u32_e32 v23, s19, v19
	v_lshlrev_b64 v[15:16], 4, v[15:16]
	v_ashrrev_i32_e32 v20, 31, v19
	v_lshlrev_b64 v[21:22], 4, v[21:22]
	s_movk_i32 s18, 0x50
	v_add_nc_u32_e32 v31, s19, v23
	v_ashrrev_i32_e32 v24, 31, v23
	v_add_co_u32 v15, vcc_lo, s6, v15
	v_lshlrev_b64 v[25:26], 4, v[19:20]
	v_ashrrev_i32_e32 v32, 31, v31
	v_add_co_ci_u32_e64 v16, null, s7, v16, vcc_lo
	v_add_co_u32 v17, vcc_lo, s6, v17
	v_lshlrev_b64 v[23:24], 4, v[23:24]
	v_add_co_ci_u32_e64 v18, null, s7, v18, vcc_lo
	v_add_co_u32 v19, vcc_lo, s6, v21
	v_lshlrev_b64 v[31:32], 4, v[31:32]
	v_add_co_ci_u32_e64 v20, null, s7, v22, vcc_lo
	v_add_co_u32 v21, vcc_lo, s6, v25
	v_add_co_ci_u32_e64 v22, null, s7, v26, vcc_lo
	v_add_co_u32 v25, vcc_lo, s6, v23
	;; [unrolled: 2-line block ×3, first 2 shown]
	v_add_co_ci_u32_e64 v24, null, s7, v32, vcc_lo
	s_clause 0x6
	global_load_dwordx4 v[38:41], v[13:14], off
	global_load_dwordx4 v[42:45], v[15:16], off
	;; [unrolled: 1-line block ×7, first 2 shown]
	s_movk_i32 s17, 0x60
	s_movk_i32 s16, 0x70
	s_mov_b32 s7, -1
	s_mov_b32 s19, 64
	s_mov_b32 s13, s25
	;; [unrolled: 1-line block ×3, first 2 shown]
	s_bitcmp0_b32 s23, 0
	s_waitcnt vmcnt(9)
	buffer_store_dword v6, off, s[0:3], 0 offset:12
	buffer_store_dword v5, off, s[0:3], 0 offset:8
	;; [unrolled: 1-line block ×3, first 2 shown]
	buffer_store_dword v3, off, s[0:3], 0
	s_waitcnt vmcnt(8)
	buffer_store_dword v30, off, s[0:3], 0 offset:28
	buffer_store_dword v29, off, s[0:3], 0 offset:24
	buffer_store_dword v28, off, s[0:3], 0 offset:20
	buffer_store_dword v27, off, s[0:3], 0 offset:16
	s_waitcnt vmcnt(7)
	buffer_store_dword v37, off, s[0:3], 0 offset:44
	buffer_store_dword v36, off, s[0:3], 0 offset:40
	buffer_store_dword v35, off, s[0:3], 0 offset:36
	buffer_store_dword v34, off, s[0:3], 0 offset:32
	;; [unrolled: 5-line block ×9, first 2 shown]
	s_cbranch_scc1 .LBB9_52
; %bb.4:
	v_cmp_eq_u32_e64 s6, 0, v0
	s_and_saveexec_b32 s7, s6
; %bb.5:
	v_mov_b32_e32 v3, 0
	ds_write_b32 v3, v3 offset:320
; %bb.6:
	s_or_b32 exec_lo, exec_lo, s7
	v_lshl_add_u32 v34, v0, 4, 0
	s_waitcnt lgkmcnt(0)
	s_waitcnt_vscnt null, 0x0
	s_barrier
	buffer_gl0_inv
	s_clause 0x3
	buffer_load_dword v3, v34, s[0:3], 0 offen
	buffer_load_dword v4, v34, s[0:3], 0 offen offset:4
	buffer_load_dword v5, v34, s[0:3], 0 offen offset:8
	;; [unrolled: 1-line block ×3, first 2 shown]
	s_waitcnt vmcnt(2)
	v_cmp_eq_f64_e32 vcc_lo, 0, v[3:4]
	s_waitcnt vmcnt(0)
	v_cmp_eq_f64_e64 s7, 0, v[5:6]
	s_and_b32 s7, vcc_lo, s7
	s_and_saveexec_b32 s23, s7
	s_cbranch_execz .LBB9_10
; %bb.7:
	v_mov_b32_e32 v3, 0
	s_mov_b32 s25, 0
	ds_read_b32 v4, v3 offset:320
	s_waitcnt lgkmcnt(0)
	v_readfirstlane_b32 s7, v4
	v_add_nc_u32_e32 v4, 1, v0
	s_cmp_eq_u32 s7, 0
	v_cmp_gt_i32_e32 vcc_lo, s7, v4
	s_cselect_b32 s26, -1, 0
	s_or_b32 s26, s26, vcc_lo
	s_and_b32 exec_lo, exec_lo, s26
	s_cbranch_execz .LBB9_10
; %bb.8:
	v_mov_b32_e32 v5, s7
.LBB9_9:                                ; =>This Inner Loop Header: Depth=1
	ds_cmpst_rtn_b32 v5, v3, v5, v4 offset:320
	s_waitcnt lgkmcnt(0)
	v_cmp_ne_u32_e32 vcc_lo, 0, v5
	v_cmp_le_i32_e64 s7, v5, v4
	s_and_b32 s7, vcc_lo, s7
	s_and_b32 s7, exec_lo, s7
	s_or_b32 s25, s7, s25
	s_andn2_b32 exec_lo, exec_lo, s25
	s_cbranch_execnz .LBB9_9
.LBB9_10:
	s_or_b32 exec_lo, exec_lo, s23
	v_mov_b32_e32 v3, 0
	s_barrier
	buffer_gl0_inv
	ds_read_b32 v4, v3 offset:320
	s_and_saveexec_b32 s7, s6
	s_cbranch_execz .LBB9_12
; %bb.11:
	s_lshl_b64 s[26:27], s[8:9], 2
	s_add_u32 s26, s14, s26
	s_addc_u32 s27, s15, s27
	s_waitcnt lgkmcnt(0)
	global_store_dword v3, v4, s[26:27]
.LBB9_12:
	s_or_b32 exec_lo, exec_lo, s7
	s_waitcnt lgkmcnt(0)
	v_cmp_ne_u32_e32 vcc_lo, 0, v4
	s_mov_b32 s7, 0
	s_cbranch_vccnz .LBB9_52
; %bb.13:
	s_clause 0x3
	buffer_load_dword v29, v34, s[0:3], 0 offen
	buffer_load_dword v30, v34, s[0:3], 0 offen offset:4
	buffer_load_dword v31, v34, s[0:3], 0 offen offset:8
	;; [unrolled: 1-line block ×3, first 2 shown]
                                        ; implicit-def: $vgpr27_vgpr28
                                        ; implicit-def: $vgpr5_vgpr6
	s_waitcnt vmcnt(0)
	v_cmp_ngt_f64_e64 s7, |v[29:30]|, |v[31:32]|
	s_and_saveexec_b32 s23, s7
	s_xor_b32 s7, exec_lo, s23
	s_cbranch_execz .LBB9_15
; %bb.14:
	v_div_scale_f64 v[3:4], null, v[31:32], v[31:32], v[29:30]
	v_div_scale_f64 v[35:36], vcc_lo, v[29:30], v[31:32], v[29:30]
	v_rcp_f64_e32 v[5:6], v[3:4]
	v_fma_f64 v[27:28], -v[3:4], v[5:6], 1.0
	v_fma_f64 v[5:6], v[5:6], v[27:28], v[5:6]
	v_fma_f64 v[27:28], -v[3:4], v[5:6], 1.0
	v_fma_f64 v[5:6], v[5:6], v[27:28], v[5:6]
	v_mul_f64 v[27:28], v[35:36], v[5:6]
	v_fma_f64 v[3:4], -v[3:4], v[27:28], v[35:36]
	v_div_fmas_f64 v[3:4], v[3:4], v[5:6], v[27:28]
	v_div_fixup_f64 v[3:4], v[3:4], v[31:32], v[29:30]
	v_fma_f64 v[5:6], v[29:30], v[3:4], v[31:32]
	v_div_scale_f64 v[27:28], null, v[5:6], v[5:6], 1.0
	v_div_scale_f64 v[35:36], vcc_lo, 1.0, v[5:6], 1.0
	v_rcp_f64_e32 v[29:30], v[27:28]
	v_fma_f64 v[31:32], -v[27:28], v[29:30], 1.0
	v_fma_f64 v[29:30], v[29:30], v[31:32], v[29:30]
	v_fma_f64 v[31:32], -v[27:28], v[29:30], 1.0
	v_fma_f64 v[29:30], v[29:30], v[31:32], v[29:30]
	v_mul_f64 v[31:32], v[35:36], v[29:30]
	v_fma_f64 v[27:28], -v[27:28], v[31:32], v[35:36]
	v_div_fmas_f64 v[27:28], v[27:28], v[29:30], v[31:32]
                                        ; implicit-def: $vgpr29_vgpr30
                                        ; implicit-def: $vgpr31_vgpr32
	v_div_fixup_f64 v[5:6], v[27:28], v[5:6], 1.0
	v_mul_f64 v[27:28], v[3:4], v[5:6]
	v_xor_b32_e32 v6, 0x80000000, v6
	v_xor_b32_e32 v4, 0x80000000, v28
	v_mov_b32_e32 v3, v27
.LBB9_15:
	s_andn2_saveexec_b32 s7, s7
	s_cbranch_execz .LBB9_17
; %bb.16:
	v_div_scale_f64 v[3:4], null, v[29:30], v[29:30], v[31:32]
	v_div_scale_f64 v[35:36], vcc_lo, v[31:32], v[29:30], v[31:32]
	v_rcp_f64_e32 v[5:6], v[3:4]
	v_fma_f64 v[27:28], -v[3:4], v[5:6], 1.0
	v_fma_f64 v[5:6], v[5:6], v[27:28], v[5:6]
	v_fma_f64 v[27:28], -v[3:4], v[5:6], 1.0
	v_fma_f64 v[5:6], v[5:6], v[27:28], v[5:6]
	v_mul_f64 v[27:28], v[35:36], v[5:6]
	v_fma_f64 v[3:4], -v[3:4], v[27:28], v[35:36]
	v_div_fmas_f64 v[3:4], v[3:4], v[5:6], v[27:28]
	v_div_fixup_f64 v[3:4], v[3:4], v[29:30], v[31:32]
	v_fma_f64 v[5:6], v[31:32], v[3:4], v[29:30]
	v_div_scale_f64 v[27:28], null, v[5:6], v[5:6], 1.0
	v_rcp_f64_e32 v[29:30], v[27:28]
	v_fma_f64 v[31:32], -v[27:28], v[29:30], 1.0
	v_fma_f64 v[29:30], v[29:30], v[31:32], v[29:30]
	v_fma_f64 v[31:32], -v[27:28], v[29:30], 1.0
	v_fma_f64 v[29:30], v[29:30], v[31:32], v[29:30]
	v_div_scale_f64 v[31:32], vcc_lo, 1.0, v[5:6], 1.0
	v_mul_f64 v[35:36], v[31:32], v[29:30]
	v_fma_f64 v[27:28], -v[27:28], v[35:36], v[31:32]
	v_div_fmas_f64 v[27:28], v[27:28], v[29:30], v[35:36]
	v_div_fixup_f64 v[27:28], v[27:28], v[5:6], 1.0
	v_mul_f64 v[5:6], v[3:4], -v[27:28]
	v_xor_b32_e32 v4, 0x80000000, v28
	v_mov_b32_e32 v3, v27
.LBB9_17:
	s_or_b32 exec_lo, exec_lo, s7
	v_mov_b32_e32 v32, s22
	buffer_store_dword v28, v34, s[0:3], 0 offen offset:4
	buffer_store_dword v27, v34, s[0:3], 0 offen
	buffer_store_dword v6, v34, s[0:3], 0 offen offset:12
	buffer_store_dword v5, v34, s[0:3], 0 offen offset:8
	v_xor_b32_e32 v6, 0x80000000, v6
	v_add_nc_u32_e32 v27, 0xa0, v33
	s_clause 0x3
	buffer_load_dword v31, v32, s[0:3], 0 offen offset:12
	buffer_load_dword v30, v32, s[0:3], 0 offen offset:8
	;; [unrolled: 1-line block ×3, first 2 shown]
	buffer_load_dword v28, v32, s[0:3], 0 offen
	ds_write_b128 v33, v[3:6]
	s_waitcnt vmcnt(0)
	ds_write_b128 v33, v[28:31] offset:160
	s_waitcnt lgkmcnt(0)
	s_waitcnt_vscnt null, 0x0
	s_barrier
	buffer_gl0_inv
	s_and_saveexec_b32 s7, s6
	s_cbranch_execz .LBB9_19
; %bb.18:
	s_clause 0x3
	buffer_load_dword v35, v34, s[0:3], 0 offen offset:8
	buffer_load_dword v36, v34, s[0:3], 0 offen offset:12
	buffer_load_dword v37, v34, s[0:3], 0 offen
	buffer_load_dword v38, v34, s[0:3], 0 offen offset:4
	ds_read_b128 v[3:6], v27
	v_mov_b32_e32 v28, 0
	ds_read_b128 v[28:31], v28 offset:16
	s_waitcnt vmcnt(2) lgkmcnt(1)
	v_mul_f64 v[39:40], v[3:4], v[35:36]
	v_mul_f64 v[35:36], v[5:6], v[35:36]
	s_waitcnt vmcnt(0)
	v_fma_f64 v[5:6], v[5:6], v[37:38], v[39:40]
	v_fma_f64 v[3:4], v[3:4], v[37:38], -v[35:36]
	v_add_f64 v[5:6], v[5:6], 0
	v_add_f64 v[3:4], v[3:4], 0
	s_waitcnt lgkmcnt(0)
	v_mul_f64 v[35:36], v[5:6], v[30:31]
	v_mul_f64 v[30:31], v[3:4], v[30:31]
	v_fma_f64 v[3:4], v[3:4], v[28:29], -v[35:36]
	v_fma_f64 v[5:6], v[5:6], v[28:29], v[30:31]
	buffer_store_dword v3, off, s[0:3], 0 offset:16
	buffer_store_dword v4, off, s[0:3], 0 offset:20
	buffer_store_dword v5, off, s[0:3], 0 offset:24
	buffer_store_dword v6, off, s[0:3], 0 offset:28
.LBB9_19:
	s_or_b32 exec_lo, exec_lo, s7
	v_mov_b32_e32 v6, s21
	s_waitcnt_vscnt null, 0x0
	s_barrier
	buffer_gl0_inv
	s_mov_b32 s7, exec_lo
	s_clause 0x3
	buffer_load_dword v3, v6, s[0:3], 0 offen
	buffer_load_dword v4, v6, s[0:3], 0 offen offset:4
	buffer_load_dword v5, v6, s[0:3], 0 offen offset:8
	;; [unrolled: 1-line block ×3, first 2 shown]
	s_waitcnt vmcnt(0)
	ds_write_b128 v27, v[3:6]
	s_waitcnt lgkmcnt(0)
	s_barrier
	buffer_gl0_inv
	v_cmpx_gt_u32_e32 2, v0
	s_cbranch_execz .LBB9_23
; %bb.20:
	s_clause 0x3
	buffer_load_dword v28, v34, s[0:3], 0 offen offset:8
	buffer_load_dword v29, v34, s[0:3], 0 offen offset:12
	buffer_load_dword v30, v34, s[0:3], 0 offen
	buffer_load_dword v31, v34, s[0:3], 0 offen offset:4
	ds_read_b128 v[3:6], v27
	s_waitcnt vmcnt(2) lgkmcnt(0)
	v_mul_f64 v[34:35], v[5:6], v[28:29]
	v_mul_f64 v[28:29], v[3:4], v[28:29]
	s_waitcnt vmcnt(0)
	v_fma_f64 v[3:4], v[3:4], v[30:31], -v[34:35]
	v_fma_f64 v[5:6], v[5:6], v[30:31], v[28:29]
	v_add_f64 v[3:4], v[3:4], 0
	v_add_f64 v[5:6], v[5:6], 0
	s_and_saveexec_b32 s23, s6
	s_cbranch_execz .LBB9_22
; %bb.21:
	s_clause 0x3
	buffer_load_dword v34, off, s[0:3], 0 offset:24
	buffer_load_dword v35, off, s[0:3], 0 offset:28
	;; [unrolled: 1-line block ×4, first 2 shown]
	v_mov_b32_e32 v28, 0
	ds_read_b128 v[28:31], v28 offset:176
	s_waitcnt vmcnt(2) lgkmcnt(0)
	v_mul_f64 v[38:39], v[28:29], v[34:35]
	v_mul_f64 v[34:35], v[30:31], v[34:35]
	s_waitcnt vmcnt(0)
	v_fma_f64 v[30:31], v[30:31], v[36:37], v[38:39]
	v_fma_f64 v[28:29], v[28:29], v[36:37], -v[34:35]
	v_add_f64 v[5:6], v[5:6], v[30:31]
	v_add_f64 v[3:4], v[3:4], v[28:29]
.LBB9_22:
	s_or_b32 exec_lo, exec_lo, s23
	v_mov_b32_e32 v28, 0
	ds_read_b128 v[28:31], v28 offset:32
	s_waitcnt lgkmcnt(0)
	v_mul_f64 v[34:35], v[5:6], v[30:31]
	v_mul_f64 v[30:31], v[3:4], v[30:31]
	v_fma_f64 v[3:4], v[3:4], v[28:29], -v[34:35]
	v_fma_f64 v[5:6], v[5:6], v[28:29], v[30:31]
	buffer_store_dword v4, off, s[0:3], 0 offset:36
	buffer_store_dword v3, off, s[0:3], 0 offset:32
	;; [unrolled: 1-line block ×4, first 2 shown]
.LBB9_23:
	s_or_b32 exec_lo, exec_lo, s7
	v_mov_b32_e32 v6, s20
	s_waitcnt_vscnt null, 0x0
	s_barrier
	buffer_gl0_inv
	v_add_nc_u32_e32 v28, -1, v0
	s_clause 0x3
	buffer_load_dword v3, v6, s[0:3], 0 offen
	buffer_load_dword v4, v6, s[0:3], 0 offen offset:4
	buffer_load_dword v5, v6, s[0:3], 0 offen offset:8
	;; [unrolled: 1-line block ×3, first 2 shown]
	s_mov_b32 s6, exec_lo
	s_waitcnt vmcnt(0)
	ds_write_b128 v27, v[3:6]
	s_waitcnt lgkmcnt(0)
	s_barrier
	buffer_gl0_inv
	v_cmpx_gt_u32_e32 3, v0
	s_cbranch_execz .LBB9_27
; %bb.24:
	v_mov_b32_e32 v3, 0
	v_mov_b32_e32 v5, 0
	v_add_nc_u32_e32 v29, -1, v0
	v_add_nc_u32_e32 v30, 0xa0, v33
	v_mov_b32_e32 v4, 0
	v_mov_b32_e32 v6, 0
	v_mov_b32_e32 v31, v33
	s_mov_b32 s7, 0
	.p2align	6
.LBB9_25:                               ; =>This Inner Loop Header: Depth=1
	s_clause 0x3
	buffer_load_dword v38, v31, s[0:3], 0 offen offset:8
	buffer_load_dword v39, v31, s[0:3], 0 offen offset:12
	buffer_load_dword v40, v31, s[0:3], 0 offen
	buffer_load_dword v41, v31, s[0:3], 0 offen offset:4
	ds_read_b128 v[34:37], v30
	v_add_nc_u32_e32 v29, 1, v29
	v_add_nc_u32_e32 v30, 16, v30
	;; [unrolled: 1-line block ×3, first 2 shown]
	v_cmp_lt_u32_e32 vcc_lo, 1, v29
	s_or_b32 s7, vcc_lo, s7
	s_waitcnt vmcnt(2) lgkmcnt(0)
	v_mul_f64 v[42:43], v[36:37], v[38:39]
	v_mul_f64 v[38:39], v[34:35], v[38:39]
	s_waitcnt vmcnt(0)
	v_fma_f64 v[34:35], v[34:35], v[40:41], -v[42:43]
	v_fma_f64 v[36:37], v[36:37], v[40:41], v[38:39]
	v_add_f64 v[5:6], v[5:6], v[34:35]
	v_add_f64 v[3:4], v[3:4], v[36:37]
	s_andn2_b32 exec_lo, exec_lo, s7
	s_cbranch_execnz .LBB9_25
; %bb.26:
	s_or_b32 exec_lo, exec_lo, s7
	v_mov_b32_e32 v29, 0
	ds_read_b128 v[29:32], v29 offset:48
	s_waitcnt lgkmcnt(0)
	v_mul_f64 v[34:35], v[3:4], v[31:32]
	v_mul_f64 v[31:32], v[5:6], v[31:32]
	v_fma_f64 v[5:6], v[5:6], v[29:30], -v[34:35]
	v_fma_f64 v[3:4], v[3:4], v[29:30], v[31:32]
	buffer_store_dword v6, off, s[0:3], 0 offset:52
	buffer_store_dword v5, off, s[0:3], 0 offset:48
	;; [unrolled: 1-line block ×4, first 2 shown]
.LBB9_27:
	s_or_b32 exec_lo, exec_lo, s6
	v_mov_b32_e32 v6, s19
	s_waitcnt_vscnt null, 0x0
	s_barrier
	buffer_gl0_inv
	s_mov_b32 s6, exec_lo
	s_clause 0x3
	buffer_load_dword v3, v6, s[0:3], 0 offen
	buffer_load_dword v4, v6, s[0:3], 0 offen offset:4
	buffer_load_dword v5, v6, s[0:3], 0 offen offset:8
	buffer_load_dword v6, v6, s[0:3], 0 offen offset:12
	s_waitcnt vmcnt(0)
	ds_write_b128 v27, v[3:6]
	s_waitcnt lgkmcnt(0)
	s_barrier
	buffer_gl0_inv
	v_cmpx_gt_u32_e32 4, v0
	s_cbranch_execz .LBB9_31
; %bb.28:
	v_mov_b32_e32 v3, 0
	v_mov_b32_e32 v5, 0
	v_add_nc_u32_e32 v29, -1, v0
	v_add_nc_u32_e32 v30, 0xa0, v33
	v_mov_b32_e32 v4, 0
	v_mov_b32_e32 v6, 0
	;; [unrolled: 1-line block ×3, first 2 shown]
	s_mov_b32 s7, 0
	.p2align	6
.LBB9_29:                               ; =>This Inner Loop Header: Depth=1
	s_clause 0x3
	buffer_load_dword v38, v31, s[0:3], 0 offen offset:8
	buffer_load_dword v39, v31, s[0:3], 0 offen offset:12
	buffer_load_dword v40, v31, s[0:3], 0 offen
	buffer_load_dword v41, v31, s[0:3], 0 offen offset:4
	ds_read_b128 v[34:37], v30
	v_add_nc_u32_e32 v29, 1, v29
	v_add_nc_u32_e32 v30, 16, v30
	;; [unrolled: 1-line block ×3, first 2 shown]
	v_cmp_lt_u32_e32 vcc_lo, 2, v29
	s_or_b32 s7, vcc_lo, s7
	s_waitcnt vmcnt(2) lgkmcnt(0)
	v_mul_f64 v[42:43], v[36:37], v[38:39]
	v_mul_f64 v[38:39], v[34:35], v[38:39]
	s_waitcnt vmcnt(0)
	v_fma_f64 v[34:35], v[34:35], v[40:41], -v[42:43]
	v_fma_f64 v[36:37], v[36:37], v[40:41], v[38:39]
	v_add_f64 v[5:6], v[5:6], v[34:35]
	v_add_f64 v[3:4], v[3:4], v[36:37]
	s_andn2_b32 exec_lo, exec_lo, s7
	s_cbranch_execnz .LBB9_29
; %bb.30:
	s_or_b32 exec_lo, exec_lo, s7
	v_mov_b32_e32 v29, 0
	ds_read_b128 v[29:32], v29 offset:64
	s_waitcnt lgkmcnt(0)
	v_mul_f64 v[34:35], v[3:4], v[31:32]
	v_mul_f64 v[31:32], v[5:6], v[31:32]
	v_fma_f64 v[5:6], v[5:6], v[29:30], -v[34:35]
	v_fma_f64 v[3:4], v[3:4], v[29:30], v[31:32]
	buffer_store_dword v6, off, s[0:3], 0 offset:68
	buffer_store_dword v5, off, s[0:3], 0 offset:64
	;; [unrolled: 1-line block ×4, first 2 shown]
.LBB9_31:
	s_or_b32 exec_lo, exec_lo, s6
	v_mov_b32_e32 v6, s18
	s_waitcnt_vscnt null, 0x0
	s_barrier
	buffer_gl0_inv
	s_mov_b32 s6, exec_lo
	s_clause 0x3
	buffer_load_dword v3, v6, s[0:3], 0 offen
	buffer_load_dword v4, v6, s[0:3], 0 offen offset:4
	buffer_load_dword v5, v6, s[0:3], 0 offen offset:8
	;; [unrolled: 1-line block ×3, first 2 shown]
	s_waitcnt vmcnt(0)
	ds_write_b128 v27, v[3:6]
	s_waitcnt lgkmcnt(0)
	s_barrier
	buffer_gl0_inv
	v_cmpx_gt_u32_e32 5, v0
	s_cbranch_execz .LBB9_35
; %bb.32:
	v_mov_b32_e32 v3, 0
	v_mov_b32_e32 v5, 0
	v_add_nc_u32_e32 v29, -1, v0
	v_add_nc_u32_e32 v30, 0xa0, v33
	v_mov_b32_e32 v4, 0
	v_mov_b32_e32 v6, 0
	;; [unrolled: 1-line block ×3, first 2 shown]
	s_mov_b32 s7, 0
	.p2align	6
.LBB9_33:                               ; =>This Inner Loop Header: Depth=1
	s_clause 0x3
	buffer_load_dword v38, v31, s[0:3], 0 offen offset:8
	buffer_load_dword v39, v31, s[0:3], 0 offen offset:12
	buffer_load_dword v40, v31, s[0:3], 0 offen
	buffer_load_dword v41, v31, s[0:3], 0 offen offset:4
	ds_read_b128 v[34:37], v30
	v_add_nc_u32_e32 v29, 1, v29
	v_add_nc_u32_e32 v30, 16, v30
	;; [unrolled: 1-line block ×3, first 2 shown]
	v_cmp_lt_u32_e32 vcc_lo, 3, v29
	s_or_b32 s7, vcc_lo, s7
	s_waitcnt vmcnt(2) lgkmcnt(0)
	v_mul_f64 v[42:43], v[36:37], v[38:39]
	v_mul_f64 v[38:39], v[34:35], v[38:39]
	s_waitcnt vmcnt(0)
	v_fma_f64 v[34:35], v[34:35], v[40:41], -v[42:43]
	v_fma_f64 v[36:37], v[36:37], v[40:41], v[38:39]
	v_add_f64 v[5:6], v[5:6], v[34:35]
	v_add_f64 v[3:4], v[3:4], v[36:37]
	s_andn2_b32 exec_lo, exec_lo, s7
	s_cbranch_execnz .LBB9_33
; %bb.34:
	s_or_b32 exec_lo, exec_lo, s7
	v_mov_b32_e32 v29, 0
	ds_read_b128 v[29:32], v29 offset:80
	s_waitcnt lgkmcnt(0)
	v_mul_f64 v[34:35], v[3:4], v[31:32]
	v_mul_f64 v[31:32], v[5:6], v[31:32]
	v_fma_f64 v[5:6], v[5:6], v[29:30], -v[34:35]
	v_fma_f64 v[3:4], v[3:4], v[29:30], v[31:32]
	buffer_store_dword v6, off, s[0:3], 0 offset:84
	buffer_store_dword v5, off, s[0:3], 0 offset:80
	;; [unrolled: 1-line block ×4, first 2 shown]
.LBB9_35:
	s_or_b32 exec_lo, exec_lo, s6
	v_mov_b32_e32 v6, s17
	s_waitcnt_vscnt null, 0x0
	s_barrier
	buffer_gl0_inv
	s_mov_b32 s6, exec_lo
	s_clause 0x3
	buffer_load_dword v3, v6, s[0:3], 0 offen
	buffer_load_dword v4, v6, s[0:3], 0 offen offset:4
	buffer_load_dword v5, v6, s[0:3], 0 offen offset:8
	;; [unrolled: 1-line block ×3, first 2 shown]
	s_waitcnt vmcnt(0)
	ds_write_b128 v27, v[3:6]
	s_waitcnt lgkmcnt(0)
	s_barrier
	buffer_gl0_inv
	v_cmpx_gt_u32_e32 6, v0
	s_cbranch_execz .LBB9_39
; %bb.36:
	v_mov_b32_e32 v3, 0
	v_mov_b32_e32 v5, 0
	v_add_nc_u32_e32 v29, -1, v0
	v_add_nc_u32_e32 v30, 0xa0, v33
	v_mov_b32_e32 v4, 0
	v_mov_b32_e32 v6, 0
	;; [unrolled: 1-line block ×3, first 2 shown]
	s_mov_b32 s7, 0
	.p2align	6
.LBB9_37:                               ; =>This Inner Loop Header: Depth=1
	s_clause 0x3
	buffer_load_dword v38, v31, s[0:3], 0 offen offset:8
	buffer_load_dword v39, v31, s[0:3], 0 offen offset:12
	buffer_load_dword v40, v31, s[0:3], 0 offen
	buffer_load_dword v41, v31, s[0:3], 0 offen offset:4
	ds_read_b128 v[34:37], v30
	v_add_nc_u32_e32 v29, 1, v29
	v_add_nc_u32_e32 v30, 16, v30
	;; [unrolled: 1-line block ×3, first 2 shown]
	v_cmp_lt_u32_e32 vcc_lo, 4, v29
	s_or_b32 s7, vcc_lo, s7
	s_waitcnt vmcnt(2) lgkmcnt(0)
	v_mul_f64 v[42:43], v[36:37], v[38:39]
	v_mul_f64 v[38:39], v[34:35], v[38:39]
	s_waitcnt vmcnt(0)
	v_fma_f64 v[34:35], v[34:35], v[40:41], -v[42:43]
	v_fma_f64 v[36:37], v[36:37], v[40:41], v[38:39]
	v_add_f64 v[5:6], v[5:6], v[34:35]
	v_add_f64 v[3:4], v[3:4], v[36:37]
	s_andn2_b32 exec_lo, exec_lo, s7
	s_cbranch_execnz .LBB9_37
; %bb.38:
	s_or_b32 exec_lo, exec_lo, s7
	v_mov_b32_e32 v29, 0
	ds_read_b128 v[29:32], v29 offset:96
	s_waitcnt lgkmcnt(0)
	v_mul_f64 v[34:35], v[3:4], v[31:32]
	v_mul_f64 v[31:32], v[5:6], v[31:32]
	v_fma_f64 v[5:6], v[5:6], v[29:30], -v[34:35]
	v_fma_f64 v[3:4], v[3:4], v[29:30], v[31:32]
	buffer_store_dword v6, off, s[0:3], 0 offset:100
	buffer_store_dword v5, off, s[0:3], 0 offset:96
	;; [unrolled: 1-line block ×4, first 2 shown]
.LBB9_39:
	s_or_b32 exec_lo, exec_lo, s6
	v_mov_b32_e32 v6, s16
	s_waitcnt_vscnt null, 0x0
	s_barrier
	buffer_gl0_inv
	s_mov_b32 s6, exec_lo
	s_clause 0x3
	buffer_load_dword v3, v6, s[0:3], 0 offen
	buffer_load_dword v4, v6, s[0:3], 0 offen offset:4
	buffer_load_dword v5, v6, s[0:3], 0 offen offset:8
	;; [unrolled: 1-line block ×3, first 2 shown]
	s_waitcnt vmcnt(0)
	ds_write_b128 v27, v[3:6]
	s_waitcnt lgkmcnt(0)
	s_barrier
	buffer_gl0_inv
	v_cmpx_gt_u32_e32 7, v0
	s_cbranch_execz .LBB9_43
; %bb.40:
	v_mov_b32_e32 v3, 0
	v_mov_b32_e32 v5, 0
	v_add_nc_u32_e32 v29, -1, v0
	v_add_nc_u32_e32 v30, 0xa0, v33
	v_mov_b32_e32 v4, 0
	v_mov_b32_e32 v6, 0
	;; [unrolled: 1-line block ×3, first 2 shown]
	s_mov_b32 s7, 0
	.p2align	6
.LBB9_41:                               ; =>This Inner Loop Header: Depth=1
	s_clause 0x3
	buffer_load_dword v38, v31, s[0:3], 0 offen offset:8
	buffer_load_dword v39, v31, s[0:3], 0 offen offset:12
	buffer_load_dword v40, v31, s[0:3], 0 offen
	buffer_load_dword v41, v31, s[0:3], 0 offen offset:4
	ds_read_b128 v[34:37], v30
	v_add_nc_u32_e32 v29, 1, v29
	v_add_nc_u32_e32 v30, 16, v30
	;; [unrolled: 1-line block ×3, first 2 shown]
	v_cmp_lt_u32_e32 vcc_lo, 5, v29
	s_or_b32 s7, vcc_lo, s7
	s_waitcnt vmcnt(2) lgkmcnt(0)
	v_mul_f64 v[42:43], v[36:37], v[38:39]
	v_mul_f64 v[38:39], v[34:35], v[38:39]
	s_waitcnt vmcnt(0)
	v_fma_f64 v[34:35], v[34:35], v[40:41], -v[42:43]
	v_fma_f64 v[36:37], v[36:37], v[40:41], v[38:39]
	v_add_f64 v[5:6], v[5:6], v[34:35]
	v_add_f64 v[3:4], v[3:4], v[36:37]
	s_andn2_b32 exec_lo, exec_lo, s7
	s_cbranch_execnz .LBB9_41
; %bb.42:
	s_or_b32 exec_lo, exec_lo, s7
	v_mov_b32_e32 v29, 0
	ds_read_b128 v[29:32], v29 offset:112
	s_waitcnt lgkmcnt(0)
	v_mul_f64 v[34:35], v[3:4], v[31:32]
	v_mul_f64 v[31:32], v[5:6], v[31:32]
	v_fma_f64 v[5:6], v[5:6], v[29:30], -v[34:35]
	v_fma_f64 v[3:4], v[3:4], v[29:30], v[31:32]
	buffer_store_dword v6, off, s[0:3], 0 offset:116
	buffer_store_dword v5, off, s[0:3], 0 offset:112
	;; [unrolled: 1-line block ×4, first 2 shown]
.LBB9_43:
	s_or_b32 exec_lo, exec_lo, s6
	v_mov_b32_e32 v6, s13
	s_waitcnt_vscnt null, 0x0
	s_barrier
	buffer_gl0_inv
	s_mov_b32 s6, exec_lo
	s_clause 0x3
	buffer_load_dword v3, v6, s[0:3], 0 offen
	buffer_load_dword v4, v6, s[0:3], 0 offen offset:4
	buffer_load_dword v5, v6, s[0:3], 0 offen offset:8
	;; [unrolled: 1-line block ×3, first 2 shown]
	s_waitcnt vmcnt(0)
	ds_write_b128 v27, v[3:6]
	s_waitcnt lgkmcnt(0)
	s_barrier
	buffer_gl0_inv
	v_cmpx_gt_u32_e32 8, v0
	s_cbranch_execz .LBB9_47
; %bb.44:
	v_mov_b32_e32 v3, 0
	v_mov_b32_e32 v5, 0
	v_add_nc_u32_e32 v29, -1, v0
	v_add_nc_u32_e32 v30, 0xa0, v33
	v_mov_b32_e32 v4, 0
	v_mov_b32_e32 v6, 0
	;; [unrolled: 1-line block ×3, first 2 shown]
	s_mov_b32 s7, 0
	.p2align	6
.LBB9_45:                               ; =>This Inner Loop Header: Depth=1
	s_clause 0x3
	buffer_load_dword v38, v31, s[0:3], 0 offen offset:8
	buffer_load_dword v39, v31, s[0:3], 0 offen offset:12
	buffer_load_dword v40, v31, s[0:3], 0 offen
	buffer_load_dword v41, v31, s[0:3], 0 offen offset:4
	ds_read_b128 v[34:37], v30
	v_add_nc_u32_e32 v29, 1, v29
	v_add_nc_u32_e32 v30, 16, v30
	;; [unrolled: 1-line block ×3, first 2 shown]
	v_cmp_lt_u32_e32 vcc_lo, 6, v29
	s_or_b32 s7, vcc_lo, s7
	s_waitcnt vmcnt(2) lgkmcnt(0)
	v_mul_f64 v[42:43], v[36:37], v[38:39]
	v_mul_f64 v[38:39], v[34:35], v[38:39]
	s_waitcnt vmcnt(0)
	v_fma_f64 v[34:35], v[34:35], v[40:41], -v[42:43]
	v_fma_f64 v[36:37], v[36:37], v[40:41], v[38:39]
	v_add_f64 v[5:6], v[5:6], v[34:35]
	v_add_f64 v[3:4], v[3:4], v[36:37]
	s_andn2_b32 exec_lo, exec_lo, s7
	s_cbranch_execnz .LBB9_45
; %bb.46:
	s_or_b32 exec_lo, exec_lo, s7
	v_mov_b32_e32 v29, 0
	ds_read_b128 v[29:32], v29 offset:128
	s_waitcnt lgkmcnt(0)
	v_mul_f64 v[34:35], v[3:4], v[31:32]
	v_mul_f64 v[31:32], v[5:6], v[31:32]
	v_fma_f64 v[5:6], v[5:6], v[29:30], -v[34:35]
	v_fma_f64 v[3:4], v[3:4], v[29:30], v[31:32]
	buffer_store_dword v6, off, s[0:3], 0 offset:132
	buffer_store_dword v5, off, s[0:3], 0 offset:128
	;; [unrolled: 1-line block ×4, first 2 shown]
.LBB9_47:
	s_or_b32 exec_lo, exec_lo, s6
	v_mov_b32_e32 v6, s12
	s_waitcnt_vscnt null, 0x0
	s_barrier
	buffer_gl0_inv
	s_mov_b32 s6, exec_lo
	s_clause 0x3
	buffer_load_dword v3, v6, s[0:3], 0 offen
	buffer_load_dword v4, v6, s[0:3], 0 offen offset:4
	buffer_load_dword v5, v6, s[0:3], 0 offen offset:8
	;; [unrolled: 1-line block ×3, first 2 shown]
	s_waitcnt vmcnt(0)
	ds_write_b128 v27, v[3:6]
	s_waitcnt lgkmcnt(0)
	s_barrier
	buffer_gl0_inv
	v_cmpx_ne_u32_e32 9, v0
	s_cbranch_execz .LBB9_51
; %bb.48:
	v_mov_b32_e32 v3, 0
	v_mov_b32_e32 v5, 0
	;; [unrolled: 1-line block ×5, first 2 shown]
	s_mov_b32 s7, 0
	.p2align	6
.LBB9_49:                               ; =>This Inner Loop Header: Depth=1
	s_clause 0x3
	buffer_load_dword v34, v29, s[0:3], 0 offen offset:8
	buffer_load_dword v35, v29, s[0:3], 0 offen offset:12
	buffer_load_dword v36, v29, s[0:3], 0 offen
	buffer_load_dword v37, v29, s[0:3], 0 offen offset:4
	ds_read_b128 v[30:33], v27
	v_add_nc_u32_e32 v28, 1, v28
	v_add_nc_u32_e32 v27, 16, v27
	;; [unrolled: 1-line block ×3, first 2 shown]
	v_cmp_lt_u32_e32 vcc_lo, 7, v28
	s_or_b32 s7, vcc_lo, s7
	s_waitcnt vmcnt(2) lgkmcnt(0)
	v_mul_f64 v[38:39], v[32:33], v[34:35]
	v_mul_f64 v[34:35], v[30:31], v[34:35]
	s_waitcnt vmcnt(0)
	v_fma_f64 v[30:31], v[30:31], v[36:37], -v[38:39]
	v_fma_f64 v[32:33], v[32:33], v[36:37], v[34:35]
	v_add_f64 v[5:6], v[5:6], v[30:31]
	v_add_f64 v[3:4], v[3:4], v[32:33]
	s_andn2_b32 exec_lo, exec_lo, s7
	s_cbranch_execnz .LBB9_49
; %bb.50:
	s_or_b32 exec_lo, exec_lo, s7
	v_mov_b32_e32 v27, 0
	ds_read_b128 v[27:30], v27 offset:144
	s_waitcnt lgkmcnt(0)
	v_mul_f64 v[31:32], v[3:4], v[29:30]
	v_mul_f64 v[29:30], v[5:6], v[29:30]
	v_fma_f64 v[5:6], v[5:6], v[27:28], -v[31:32]
	v_fma_f64 v[3:4], v[3:4], v[27:28], v[29:30]
	buffer_store_dword v6, off, s[0:3], 0 offset:148
	buffer_store_dword v5, off, s[0:3], 0 offset:144
	;; [unrolled: 1-line block ×4, first 2 shown]
.LBB9_51:
	s_or_b32 exec_lo, exec_lo, s6
	s_mov_b32 s7, -1
	s_waitcnt_vscnt null, 0x0
	s_barrier
	buffer_gl0_inv
.LBB9_52:
	s_and_b32 vcc_lo, exec_lo, s7
	s_cbranch_vccz .LBB9_54
; %bb.53:
	s_lshl_b64 s[6:7], s[8:9], 2
	v_mov_b32_e32 v3, 0
	s_add_u32 s6, s14, s6
	s_addc_u32 s7, s15, s7
	global_load_dword v3, v3, s[6:7]
	s_waitcnt vmcnt(0)
	v_cmp_ne_u32_e32 vcc_lo, 0, v3
	s_cbranch_vccz .LBB9_55
.LBB9_54:
	s_endpgm
.LBB9_55:
	v_lshl_add_u32 v3, v0, 4, 0xa0
	s_mov_b32 s6, exec_lo
	v_cmpx_eq_u32_e32 9, v0
	s_cbranch_execz .LBB9_57
; %bb.56:
	v_mov_b32_e32 v4, s13
	s_clause 0x3
	buffer_load_dword v27, v4, s[0:3], 0 offen
	buffer_load_dword v28, v4, s[0:3], 0 offen offset:4
	buffer_load_dword v29, v4, s[0:3], 0 offen offset:8
	;; [unrolled: 1-line block ×3, first 2 shown]
	v_mov_b32_e32 v4, 0
	buffer_store_dword v4, off, s[0:3], 0 offset:128
	buffer_store_dword v4, off, s[0:3], 0 offset:132
	;; [unrolled: 1-line block ×4, first 2 shown]
	s_waitcnt vmcnt(0)
	ds_write_b128 v3, v[27:30]
.LBB9_57:
	s_or_b32 exec_lo, exec_lo, s6
	s_waitcnt lgkmcnt(0)
	s_waitcnt_vscnt null, 0x0
	s_barrier
	buffer_gl0_inv
	s_clause 0x7
	buffer_load_dword v5, off, s[0:3], 0 offset:152
	buffer_load_dword v6, off, s[0:3], 0 offset:156
	;; [unrolled: 1-line block ×8, first 2 shown]
	v_mov_b32_e32 v4, 0
	s_mov_b32 s6, exec_lo
	ds_read_b128 v[27:30], v4 offset:304
	s_waitcnt vmcnt(6) lgkmcnt(0)
	v_mul_f64 v[37:38], v[29:30], v[5:6]
	v_mul_f64 v[5:6], v[27:28], v[5:6]
	s_waitcnt vmcnt(4)
	v_fma_f64 v[27:28], v[27:28], v[31:32], -v[37:38]
	v_fma_f64 v[5:6], v[29:30], v[31:32], v[5:6]
	v_add_f64 v[27:28], v[27:28], 0
	v_add_f64 v[5:6], v[5:6], 0
	s_waitcnt vmcnt(2)
	v_add_f64 v[27:28], v[33:34], -v[27:28]
	s_waitcnt vmcnt(0)
	v_add_f64 v[5:6], v[35:36], -v[5:6]
	buffer_store_dword v27, off, s[0:3], 0 offset:128
	buffer_store_dword v28, off, s[0:3], 0 offset:132
	;; [unrolled: 1-line block ×4, first 2 shown]
	v_cmpx_lt_u32_e32 7, v0
	s_cbranch_execz .LBB9_59
; %bb.58:
	v_mov_b32_e32 v5, s16
	s_clause 0x3
	buffer_load_dword v27, v5, s[0:3], 0 offen
	buffer_load_dword v28, v5, s[0:3], 0 offen offset:4
	buffer_load_dword v29, v5, s[0:3], 0 offen offset:8
	;; [unrolled: 1-line block ×3, first 2 shown]
	buffer_store_dword v4, off, s[0:3], 0 offset:112
	buffer_store_dword v4, off, s[0:3], 0 offset:116
	;; [unrolled: 1-line block ×4, first 2 shown]
	s_waitcnt vmcnt(0)
	ds_write_b128 v3, v[27:30]
.LBB9_59:
	s_or_b32 exec_lo, exec_lo, s6
	s_waitcnt lgkmcnt(0)
	s_waitcnt_vscnt null, 0x0
	s_barrier
	buffer_gl0_inv
	s_clause 0xb
	buffer_load_dword v5, off, s[0:3], 0 offset:136
	buffer_load_dword v6, off, s[0:3], 0 offset:140
	;; [unrolled: 1-line block ×12, first 2 shown]
	ds_read_b128 v[27:30], v4 offset:288
	ds_read_b128 v[31:34], v4 offset:304
	s_mov_b32 s6, exec_lo
	s_waitcnt vmcnt(10) lgkmcnt(1)
	v_mul_f64 v[45:46], v[29:30], v[5:6]
	v_mul_f64 v[4:5], v[27:28], v[5:6]
	s_waitcnt vmcnt(8) lgkmcnt(0)
	v_mul_f64 v[47:48], v[33:34], v[35:36]
	v_mul_f64 v[35:36], v[31:32], v[35:36]
	s_waitcnt vmcnt(6)
	v_fma_f64 v[27:28], v[27:28], v[37:38], -v[45:46]
	v_fma_f64 v[4:5], v[29:30], v[37:38], v[4:5]
	s_waitcnt vmcnt(4)
	v_fma_f64 v[29:30], v[31:32], v[39:40], -v[47:48]
	v_fma_f64 v[31:32], v[33:34], v[39:40], v[35:36]
	v_add_f64 v[27:28], v[27:28], 0
	v_add_f64 v[4:5], v[4:5], 0
	;; [unrolled: 1-line block ×4, first 2 shown]
	s_waitcnt vmcnt(2)
	v_add_f64 v[27:28], v[41:42], -v[27:28]
	s_waitcnt vmcnt(0)
	v_add_f64 v[4:5], v[43:44], -v[4:5]
	buffer_store_dword v27, off, s[0:3], 0 offset:112
	buffer_store_dword v28, off, s[0:3], 0 offset:116
	;; [unrolled: 1-line block ×4, first 2 shown]
	v_cmpx_lt_u32_e32 6, v0
	s_cbranch_execz .LBB9_61
; %bb.60:
	v_mov_b32_e32 v4, s17
	s_clause 0x3
	buffer_load_dword v27, v4, s[0:3], 0 offen
	buffer_load_dword v28, v4, s[0:3], 0 offen offset:4
	buffer_load_dword v29, v4, s[0:3], 0 offen offset:8
	;; [unrolled: 1-line block ×3, first 2 shown]
	v_mov_b32_e32 v4, 0
	buffer_store_dword v4, off, s[0:3], 0 offset:96
	buffer_store_dword v4, off, s[0:3], 0 offset:100
	;; [unrolled: 1-line block ×4, first 2 shown]
	s_waitcnt vmcnt(0)
	ds_write_b128 v3, v[27:30]
.LBB9_61:
	s_or_b32 exec_lo, exec_lo, s6
	s_waitcnt lgkmcnt(0)
	s_waitcnt_vscnt null, 0x0
	s_barrier
	buffer_gl0_inv
	s_clause 0xf
	buffer_load_dword v5, off, s[0:3], 0 offset:120
	buffer_load_dword v6, off, s[0:3], 0 offset:124
	;; [unrolled: 1-line block ×16, first 2 shown]
	v_mov_b32_e32 v4, 0
	ds_read_b128 v[27:30], v4 offset:272
	ds_read_b128 v[31:34], v4 offset:288
	;; [unrolled: 1-line block ×3, first 2 shown]
	s_mov_b32 s6, exec_lo
	s_waitcnt vmcnt(14) lgkmcnt(2)
	v_mul_f64 v[53:54], v[29:30], v[5:6]
	v_mul_f64 v[5:6], v[27:28], v[5:6]
	s_waitcnt vmcnt(12) lgkmcnt(1)
	v_mul_f64 v[55:56], v[33:34], v[39:40]
	v_mul_f64 v[39:40], v[31:32], v[39:40]
	s_waitcnt vmcnt(10)
	v_fma_f64 v[27:28], v[27:28], v[41:42], -v[53:54]
	v_fma_f64 v[5:6], v[29:30], v[41:42], v[5:6]
	s_waitcnt vmcnt(8) lgkmcnt(0)
	v_mul_f64 v[41:42], v[37:38], v[43:44]
	s_waitcnt vmcnt(6)
	v_fma_f64 v[31:32], v[31:32], v[45:46], -v[55:56]
	v_mul_f64 v[29:30], v[35:36], v[43:44]
	v_fma_f64 v[33:34], v[33:34], v[45:46], v[39:40]
	v_add_f64 v[27:28], v[27:28], 0
	v_add_f64 v[5:6], v[5:6], 0
	s_waitcnt vmcnt(4)
	v_fma_f64 v[35:36], v[35:36], v[47:48], -v[41:42]
	v_fma_f64 v[29:30], v[37:38], v[47:48], v[29:30]
	v_add_f64 v[27:28], v[27:28], v[31:32]
	v_add_f64 v[5:6], v[5:6], v[33:34]
	;; [unrolled: 1-line block ×4, first 2 shown]
	s_waitcnt vmcnt(2)
	v_add_f64 v[27:28], v[49:50], -v[27:28]
	s_waitcnt vmcnt(0)
	v_add_f64 v[5:6], v[51:52], -v[5:6]
	buffer_store_dword v27, off, s[0:3], 0 offset:96
	buffer_store_dword v28, off, s[0:3], 0 offset:100
	;; [unrolled: 1-line block ×4, first 2 shown]
	v_cmpx_lt_u32_e32 5, v0
	s_cbranch_execz .LBB9_63
; %bb.62:
	v_mov_b32_e32 v5, s18
	s_clause 0x3
	buffer_load_dword v27, v5, s[0:3], 0 offen
	buffer_load_dword v28, v5, s[0:3], 0 offen offset:4
	buffer_load_dword v29, v5, s[0:3], 0 offen offset:8
	buffer_load_dword v30, v5, s[0:3], 0 offen offset:12
	buffer_store_dword v4, off, s[0:3], 0 offset:80
	buffer_store_dword v4, off, s[0:3], 0 offset:84
	;; [unrolled: 1-line block ×4, first 2 shown]
	s_waitcnt vmcnt(0)
	ds_write_b128 v3, v[27:30]
.LBB9_63:
	s_or_b32 exec_lo, exec_lo, s6
	s_waitcnt lgkmcnt(0)
	s_waitcnt_vscnt null, 0x0
	s_barrier
	buffer_gl0_inv
	s_clause 0x13
	buffer_load_dword v5, off, s[0:3], 0 offset:104
	buffer_load_dword v6, off, s[0:3], 0 offset:108
	;; [unrolled: 1-line block ×20, first 2 shown]
	ds_read_b128 v[27:30], v4 offset:256
	ds_read_b128 v[31:34], v4 offset:272
	;; [unrolled: 1-line block ×3, first 2 shown]
	s_mov_b32 s6, exec_lo
	s_waitcnt vmcnt(18) lgkmcnt(2)
	v_mul_f64 v[57:58], v[29:30], v[5:6]
	v_mul_f64 v[5:6], v[27:28], v[5:6]
	s_waitcnt vmcnt(16) lgkmcnt(1)
	v_mul_f64 v[59:60], v[33:34], v[39:40]
	v_mul_f64 v[39:40], v[31:32], v[39:40]
	s_waitcnt vmcnt(14)
	v_fma_f64 v[57:58], v[27:28], v[41:42], -v[57:58]
	v_fma_f64 v[5:6], v[29:30], v[41:42], v[5:6]
	ds_read_b128 v[27:30], v4 offset:304
	s_waitcnt vmcnt(12) lgkmcnt(1)
	v_mul_f64 v[41:42], v[35:36], v[43:44]
	v_mul_f64 v[43:44], v[37:38], v[43:44]
	s_waitcnt vmcnt(10)
	v_fma_f64 v[31:32], v[31:32], v[45:46], -v[59:60]
	v_fma_f64 v[33:34], v[33:34], v[45:46], v[39:40]
	s_waitcnt vmcnt(8) lgkmcnt(0)
	v_mul_f64 v[45:46], v[29:30], v[47:48]
	v_add_f64 v[57:58], v[57:58], 0
	v_add_f64 v[4:5], v[5:6], 0
	v_mul_f64 v[39:40], v[27:28], v[47:48]
	s_waitcnt vmcnt(6)
	v_fma_f64 v[35:36], v[35:36], v[49:50], -v[43:44]
	v_fma_f64 v[37:38], v[37:38], v[49:50], v[41:42]
	s_waitcnt vmcnt(4)
	v_fma_f64 v[27:28], v[27:28], v[51:52], -v[45:46]
	v_add_f64 v[31:32], v[57:58], v[31:32]
	v_add_f64 v[4:5], v[4:5], v[33:34]
	v_fma_f64 v[29:30], v[29:30], v[51:52], v[39:40]
	v_add_f64 v[31:32], v[31:32], v[35:36]
	v_add_f64 v[4:5], v[4:5], v[37:38]
	;; [unrolled: 1-line block ×4, first 2 shown]
	s_waitcnt vmcnt(2)
	v_add_f64 v[27:28], v[53:54], -v[27:28]
	s_waitcnt vmcnt(0)
	v_add_f64 v[4:5], v[55:56], -v[4:5]
	buffer_store_dword v27, off, s[0:3], 0 offset:80
	buffer_store_dword v28, off, s[0:3], 0 offset:84
	buffer_store_dword v4, off, s[0:3], 0 offset:88
	buffer_store_dword v5, off, s[0:3], 0 offset:92
	v_cmpx_lt_u32_e32 4, v0
	s_cbranch_execz .LBB9_65
; %bb.64:
	v_mov_b32_e32 v4, s19
	s_clause 0x3
	buffer_load_dword v27, v4, s[0:3], 0 offen
	buffer_load_dword v28, v4, s[0:3], 0 offen offset:4
	buffer_load_dword v29, v4, s[0:3], 0 offen offset:8
	;; [unrolled: 1-line block ×3, first 2 shown]
	v_mov_b32_e32 v4, 0
	buffer_store_dword v4, off, s[0:3], 0 offset:64
	buffer_store_dword v4, off, s[0:3], 0 offset:68
	;; [unrolled: 1-line block ×4, first 2 shown]
	s_waitcnt vmcnt(0)
	ds_write_b128 v3, v[27:30]
.LBB9_65:
	s_or_b32 exec_lo, exec_lo, s6
	s_waitcnt lgkmcnt(0)
	s_waitcnt_vscnt null, 0x0
	s_barrier
	buffer_gl0_inv
	s_clause 0x17
	buffer_load_dword v5, off, s[0:3], 0 offset:88
	buffer_load_dword v6, off, s[0:3], 0 offset:92
	;; [unrolled: 1-line block ×24, first 2 shown]
	v_mov_b32_e32 v4, 0
	ds_read_b128 v[27:30], v4 offset:240
	ds_read_b128 v[31:34], v4 offset:256
	;; [unrolled: 1-line block ×3, first 2 shown]
	s_mov_b32 s6, exec_lo
	s_waitcnt vmcnt(22) lgkmcnt(2)
	v_mul_f64 v[61:62], v[29:30], v[5:6]
	v_mul_f64 v[5:6], v[27:28], v[5:6]
	s_waitcnt vmcnt(20) lgkmcnt(1)
	v_mul_f64 v[63:64], v[33:34], v[39:40]
	v_mul_f64 v[39:40], v[31:32], v[39:40]
	s_waitcnt vmcnt(18)
	v_fma_f64 v[61:62], v[27:28], v[41:42], -v[61:62]
	v_fma_f64 v[5:6], v[29:30], v[41:42], v[5:6]
	ds_read_b128 v[27:30], v4 offset:288
	s_waitcnt vmcnt(16) lgkmcnt(1)
	v_mul_f64 v[41:42], v[35:36], v[43:44]
	v_mul_f64 v[43:44], v[37:38], v[43:44]
	s_waitcnt vmcnt(14)
	v_fma_f64 v[63:64], v[31:32], v[45:46], -v[63:64]
	v_fma_f64 v[39:40], v[33:34], v[45:46], v[39:40]
	ds_read_b128 v[31:34], v4 offset:304
	s_waitcnt vmcnt(10) lgkmcnt(1)
	v_mul_f64 v[45:46], v[27:28], v[47:48]
	v_add_f64 v[61:62], v[61:62], 0
	v_add_f64 v[5:6], v[5:6], 0
	v_mul_f64 v[47:48], v[29:30], v[47:48]
	s_waitcnt vmcnt(8)
	v_fma_f64 v[35:36], v[35:36], v[53:54], -v[43:44]
	v_fma_f64 v[37:38], v[37:38], v[53:54], v[41:42]
	s_waitcnt vmcnt(7) lgkmcnt(0)
	v_mul_f64 v[41:42], v[33:34], v[49:50]
	s_waitcnt vmcnt(5)
	v_fma_f64 v[29:30], v[29:30], v[55:56], v[45:46]
	v_add_f64 v[43:44], v[61:62], v[63:64]
	v_add_f64 v[5:6], v[5:6], v[39:40]
	v_fma_f64 v[27:28], v[27:28], v[55:56], -v[47:48]
	v_mul_f64 v[39:40], v[31:32], v[49:50]
	s_waitcnt vmcnt(4)
	v_fma_f64 v[31:32], v[31:32], v[51:52], -v[41:42]
	v_add_f64 v[35:36], v[43:44], v[35:36]
	v_add_f64 v[5:6], v[5:6], v[37:38]
	v_fma_f64 v[33:34], v[33:34], v[51:52], v[39:40]
	v_add_f64 v[27:28], v[35:36], v[27:28]
	v_add_f64 v[5:6], v[5:6], v[29:30]
	;; [unrolled: 1-line block ×4, first 2 shown]
	s_waitcnt vmcnt(2)
	v_add_f64 v[27:28], v[57:58], -v[27:28]
	s_waitcnt vmcnt(0)
	v_add_f64 v[5:6], v[59:60], -v[5:6]
	buffer_store_dword v28, off, s[0:3], 0 offset:68
	buffer_store_dword v27, off, s[0:3], 0 offset:64
	;; [unrolled: 1-line block ×4, first 2 shown]
	v_cmpx_lt_u32_e32 3, v0
	s_cbranch_execz .LBB9_67
; %bb.66:
	v_mov_b32_e32 v5, s20
	s_clause 0x3
	buffer_load_dword v27, v5, s[0:3], 0 offen
	buffer_load_dword v28, v5, s[0:3], 0 offen offset:4
	buffer_load_dword v29, v5, s[0:3], 0 offen offset:8
	;; [unrolled: 1-line block ×3, first 2 shown]
	buffer_store_dword v4, off, s[0:3], 0 offset:48
	buffer_store_dword v4, off, s[0:3], 0 offset:52
	buffer_store_dword v4, off, s[0:3], 0 offset:56
	buffer_store_dword v4, off, s[0:3], 0 offset:60
	s_waitcnt vmcnt(0)
	ds_write_b128 v3, v[27:30]
.LBB9_67:
	s_or_b32 exec_lo, exec_lo, s6
	s_waitcnt lgkmcnt(0)
	s_waitcnt_vscnt null, 0x0
	s_barrier
	buffer_gl0_inv
	s_clause 0x1b
	buffer_load_dword v5, off, s[0:3], 0 offset:72
	buffer_load_dword v6, off, s[0:3], 0 offset:76
	;; [unrolled: 1-line block ×28, first 2 shown]
	ds_read_b128 v[27:30], v4 offset:224
	ds_read_b128 v[31:34], v4 offset:240
	;; [unrolled: 1-line block ×3, first 2 shown]
	s_mov_b32 s6, exec_lo
	s_waitcnt vmcnt(26) lgkmcnt(2)
	v_mul_f64 v[65:66], v[29:30], v[5:6]
	v_mul_f64 v[5:6], v[27:28], v[5:6]
	s_waitcnt vmcnt(24) lgkmcnt(1)
	v_mul_f64 v[67:68], v[33:34], v[39:40]
	v_mul_f64 v[39:40], v[31:32], v[39:40]
	s_waitcnt vmcnt(22)
	v_fma_f64 v[65:66], v[27:28], v[41:42], -v[65:66]
	v_fma_f64 v[5:6], v[29:30], v[41:42], v[5:6]
	ds_read_b128 v[27:30], v4 offset:272
	s_waitcnt vmcnt(20) lgkmcnt(1)
	v_mul_f64 v[41:42], v[35:36], v[43:44]
	v_mul_f64 v[43:44], v[37:38], v[43:44]
	s_waitcnt vmcnt(18)
	v_fma_f64 v[67:68], v[31:32], v[45:46], -v[67:68]
	v_fma_f64 v[39:40], v[33:34], v[45:46], v[39:40]
	ds_read_b128 v[31:34], v4 offset:288
	s_waitcnt vmcnt(14) lgkmcnt(1)
	v_mul_f64 v[45:46], v[27:28], v[47:48]
	v_add_f64 v[65:66], v[65:66], 0
	v_add_f64 v[5:6], v[5:6], 0
	v_mul_f64 v[47:48], v[29:30], v[47:48]
	s_waitcnt vmcnt(12)
	v_fma_f64 v[43:44], v[35:36], v[53:54], -v[43:44]
	v_fma_f64 v[41:42], v[37:38], v[53:54], v[41:42]
	ds_read_b128 v[35:38], v4 offset:304
	s_waitcnt vmcnt(9)
	v_fma_f64 v[29:30], v[29:30], v[55:56], v[45:46]
	v_add_f64 v[65:66], v[65:66], v[67:68]
	v_add_f64 v[5:6], v[5:6], v[39:40]
	s_waitcnt lgkmcnt(1)
	v_mul_f64 v[39:40], v[31:32], v[49:50]
	v_mul_f64 v[49:50], v[33:34], v[49:50]
	v_fma_f64 v[27:28], v[27:28], v[55:56], -v[47:48]
	s_waitcnt vmcnt(7) lgkmcnt(0)
	v_mul_f64 v[45:46], v[37:38], v[57:58]
	v_add_f64 v[43:44], v[65:66], v[43:44]
	v_add_f64 v[4:5], v[5:6], v[41:42]
	v_mul_f64 v[41:42], v[35:36], v[57:58]
	s_waitcnt vmcnt(6)
	v_fma_f64 v[31:32], v[31:32], v[51:52], -v[49:50]
	v_fma_f64 v[33:34], v[33:34], v[51:52], v[39:40]
	v_add_f64 v[27:28], v[43:44], v[27:28]
	v_add_f64 v[4:5], v[4:5], v[29:30]
	s_waitcnt vmcnt(4)
	v_fma_f64 v[29:30], v[35:36], v[59:60], -v[45:46]
	v_add_f64 v[27:28], v[27:28], v[31:32]
	v_fma_f64 v[31:32], v[37:38], v[59:60], v[41:42]
	v_add_f64 v[4:5], v[4:5], v[33:34]
	v_add_f64 v[27:28], v[27:28], v[29:30]
	;; [unrolled: 1-line block ×3, first 2 shown]
	s_waitcnt vmcnt(2)
	v_add_f64 v[27:28], v[61:62], -v[27:28]
	s_waitcnt vmcnt(0)
	v_add_f64 v[4:5], v[63:64], -v[4:5]
	buffer_store_dword v28, off, s[0:3], 0 offset:52
	buffer_store_dword v27, off, s[0:3], 0 offset:48
	;; [unrolled: 1-line block ×4, first 2 shown]
	v_cmpx_lt_u32_e32 2, v0
	s_cbranch_execz .LBB9_69
; %bb.68:
	v_mov_b32_e32 v4, s21
	s_clause 0x3
	buffer_load_dword v27, v4, s[0:3], 0 offen
	buffer_load_dword v28, v4, s[0:3], 0 offen offset:4
	buffer_load_dword v29, v4, s[0:3], 0 offen offset:8
	;; [unrolled: 1-line block ×3, first 2 shown]
	v_mov_b32_e32 v4, 0
	buffer_store_dword v4, off, s[0:3], 0 offset:32
	buffer_store_dword v4, off, s[0:3], 0 offset:36
	;; [unrolled: 1-line block ×4, first 2 shown]
	s_waitcnt vmcnt(0)
	ds_write_b128 v3, v[27:30]
.LBB9_69:
	s_or_b32 exec_lo, exec_lo, s6
	s_waitcnt lgkmcnt(0)
	s_waitcnt_vscnt null, 0x0
	s_barrier
	buffer_gl0_inv
	s_clause 0x1f
	buffer_load_dword v5, off, s[0:3], 0 offset:56
	buffer_load_dword v6, off, s[0:3], 0 offset:60
	;; [unrolled: 1-line block ×32, first 2 shown]
	v_mov_b32_e32 v4, 0
	ds_read_b128 v[27:30], v4 offset:208
	ds_read_b128 v[31:34], v4 offset:224
	;; [unrolled: 1-line block ×3, first 2 shown]
	s_mov_b32 s6, exec_lo
	s_waitcnt vmcnt(30) lgkmcnt(2)
	v_mul_f64 v[69:70], v[29:30], v[5:6]
	v_mul_f64 v[5:6], v[27:28], v[5:6]
	s_waitcnt vmcnt(28) lgkmcnt(1)
	v_mul_f64 v[71:72], v[33:34], v[39:40]
	v_mul_f64 v[39:40], v[31:32], v[39:40]
	s_waitcnt vmcnt(26)
	v_fma_f64 v[69:70], v[27:28], v[41:42], -v[69:70]
	v_fma_f64 v[5:6], v[29:30], v[41:42], v[5:6]
	ds_read_b128 v[27:30], v4 offset:256
	s_waitcnt vmcnt(24) lgkmcnt(1)
	v_mul_f64 v[41:42], v[35:36], v[43:44]
	v_mul_f64 v[43:44], v[37:38], v[43:44]
	s_waitcnt vmcnt(22)
	v_fma_f64 v[71:72], v[31:32], v[45:46], -v[71:72]
	v_fma_f64 v[39:40], v[33:34], v[45:46], v[39:40]
	ds_read_b128 v[31:34], v4 offset:272
	s_waitcnt vmcnt(18) lgkmcnt(1)
	v_mul_f64 v[45:46], v[27:28], v[47:48]
	v_add_f64 v[69:70], v[69:70], 0
	v_add_f64 v[5:6], v[5:6], 0
	v_mul_f64 v[47:48], v[29:30], v[47:48]
	s_waitcnt vmcnt(16)
	v_fma_f64 v[43:44], v[35:36], v[53:54], -v[43:44]
	v_fma_f64 v[41:42], v[37:38], v[53:54], v[41:42]
	ds_read_b128 v[35:38], v4 offset:288
	s_waitcnt vmcnt(13)
	v_fma_f64 v[45:46], v[29:30], v[55:56], v[45:46]
	v_add_f64 v[69:70], v[69:70], v[71:72]
	v_add_f64 v[5:6], v[5:6], v[39:40]
	s_waitcnt lgkmcnt(1)
	v_mul_f64 v[39:40], v[31:32], v[49:50]
	v_mul_f64 v[49:50], v[33:34], v[49:50]
	v_fma_f64 v[47:48], v[27:28], v[55:56], -v[47:48]
	s_waitcnt vmcnt(9) lgkmcnt(0)
	v_mul_f64 v[53:54], v[37:38], v[57:58]
	ds_read_b128 v[27:30], v4 offset:304
	v_add_f64 v[43:44], v[69:70], v[43:44]
	v_add_f64 v[5:6], v[5:6], v[41:42]
	v_mul_f64 v[41:42], v[35:36], v[57:58]
	s_waitcnt vmcnt(8)
	v_fma_f64 v[31:32], v[31:32], v[51:52], -v[49:50]
	v_fma_f64 v[33:34], v[33:34], v[51:52], v[39:40]
	s_waitcnt vmcnt(5)
	v_fma_f64 v[35:36], v[35:36], v[63:64], -v[53:54]
	s_waitcnt lgkmcnt(0)
	v_mul_f64 v[39:40], v[27:28], v[59:60]
	v_add_f64 v[43:44], v[43:44], v[47:48]
	v_add_f64 v[5:6], v[5:6], v[45:46]
	v_mul_f64 v[45:46], v[29:30], v[59:60]
	v_fma_f64 v[37:38], v[37:38], v[63:64], v[41:42]
	s_waitcnt vmcnt(4)
	v_fma_f64 v[29:30], v[29:30], v[61:62], v[39:40]
	v_add_f64 v[31:32], v[43:44], v[31:32]
	v_add_f64 v[5:6], v[5:6], v[33:34]
	v_fma_f64 v[27:28], v[27:28], v[61:62], -v[45:46]
	v_add_f64 v[31:32], v[31:32], v[35:36]
	v_add_f64 v[5:6], v[5:6], v[37:38]
	;; [unrolled: 1-line block ×4, first 2 shown]
	s_waitcnt vmcnt(2)
	v_add_f64 v[27:28], v[65:66], -v[27:28]
	s_waitcnt vmcnt(0)
	v_add_f64 v[5:6], v[67:68], -v[5:6]
	buffer_store_dword v28, off, s[0:3], 0 offset:36
	buffer_store_dword v27, off, s[0:3], 0 offset:32
	buffer_store_dword v6, off, s[0:3], 0 offset:44
	buffer_store_dword v5, off, s[0:3], 0 offset:40
	v_cmpx_lt_u32_e32 1, v0
	s_cbranch_execz .LBB9_71
; %bb.70:
	v_mov_b32_e32 v5, s22
	s_clause 0x3
	buffer_load_dword v27, v5, s[0:3], 0 offen
	buffer_load_dword v28, v5, s[0:3], 0 offen offset:4
	buffer_load_dword v29, v5, s[0:3], 0 offen offset:8
	;; [unrolled: 1-line block ×3, first 2 shown]
	buffer_store_dword v4, off, s[0:3], 0 offset:16
	buffer_store_dword v4, off, s[0:3], 0 offset:20
	;; [unrolled: 1-line block ×4, first 2 shown]
	s_waitcnt vmcnt(0)
	ds_write_b128 v3, v[27:30]
.LBB9_71:
	s_or_b32 exec_lo, exec_lo, s6
	s_waitcnt lgkmcnt(0)
	s_waitcnt_vscnt null, 0x0
	s_barrier
	buffer_gl0_inv
	s_clause 0x23
	buffer_load_dword v5, off, s[0:3], 0 offset:40
	buffer_load_dword v6, off, s[0:3], 0 offset:44
	;; [unrolled: 1-line block ×36, first 2 shown]
	ds_read_b128 v[27:30], v4 offset:192
	ds_read_b128 v[31:34], v4 offset:208
	;; [unrolled: 1-line block ×3, first 2 shown]
	s_mov_b32 s6, exec_lo
	s_waitcnt vmcnt(34) lgkmcnt(2)
	v_mul_f64 v[73:74], v[29:30], v[5:6]
	v_mul_f64 v[5:6], v[27:28], v[5:6]
	s_waitcnt vmcnt(32) lgkmcnt(1)
	v_mul_f64 v[75:76], v[33:34], v[39:40]
	v_mul_f64 v[39:40], v[31:32], v[39:40]
	s_waitcnt vmcnt(30)
	v_fma_f64 v[73:74], v[27:28], v[41:42], -v[73:74]
	v_fma_f64 v[5:6], v[29:30], v[41:42], v[5:6]
	ds_read_b128 v[27:30], v4 offset:240
	s_waitcnt vmcnt(28) lgkmcnt(1)
	v_mul_f64 v[41:42], v[35:36], v[43:44]
	v_mul_f64 v[43:44], v[37:38], v[43:44]
	s_waitcnt vmcnt(26)
	v_fma_f64 v[75:76], v[31:32], v[45:46], -v[75:76]
	v_fma_f64 v[39:40], v[33:34], v[45:46], v[39:40]
	ds_read_b128 v[31:34], v4 offset:256
	s_waitcnt vmcnt(22) lgkmcnt(1)
	v_mul_f64 v[45:46], v[27:28], v[47:48]
	v_add_f64 v[73:74], v[73:74], 0
	v_add_f64 v[5:6], v[5:6], 0
	v_mul_f64 v[47:48], v[29:30], v[47:48]
	s_waitcnt vmcnt(20)
	v_fma_f64 v[43:44], v[35:36], v[53:54], -v[43:44]
	v_fma_f64 v[41:42], v[37:38], v[53:54], v[41:42]
	ds_read_b128 v[35:38], v4 offset:272
	s_waitcnt vmcnt(17)
	v_fma_f64 v[45:46], v[29:30], v[55:56], v[45:46]
	v_add_f64 v[73:74], v[73:74], v[75:76]
	v_add_f64 v[5:6], v[5:6], v[39:40]
	s_waitcnt lgkmcnt(1)
	v_mul_f64 v[39:40], v[31:32], v[49:50]
	v_mul_f64 v[49:50], v[33:34], v[49:50]
	v_fma_f64 v[47:48], v[27:28], v[55:56], -v[47:48]
	s_waitcnt vmcnt(13) lgkmcnt(0)
	v_mul_f64 v[53:54], v[37:38], v[57:58]
	ds_read_b128 v[27:30], v4 offset:288
	v_add_f64 v[43:44], v[73:74], v[43:44]
	v_add_f64 v[5:6], v[5:6], v[41:42]
	v_mul_f64 v[41:42], v[35:36], v[57:58]
	s_waitcnt vmcnt(12)
	v_fma_f64 v[49:50], v[31:32], v[51:52], -v[49:50]
	v_fma_f64 v[39:40], v[33:34], v[51:52], v[39:40]
	ds_read_b128 v[31:34], v4 offset:304
	s_waitcnt vmcnt(9)
	v_fma_f64 v[35:36], v[35:36], v[63:64], -v[53:54]
	v_add_f64 v[43:44], v[43:44], v[47:48]
	v_add_f64 v[5:6], v[5:6], v[45:46]
	s_waitcnt lgkmcnt(1)
	v_mul_f64 v[47:48], v[29:30], v[59:60]
	v_mul_f64 v[45:46], v[27:28], v[59:60]
	v_fma_f64 v[37:38], v[37:38], v[63:64], v[41:42]
	s_waitcnt vmcnt(7) lgkmcnt(0)
	v_mul_f64 v[41:42], v[33:34], v[65:66]
	v_add_f64 v[43:44], v[43:44], v[49:50]
	v_add_f64 v[4:5], v[5:6], v[39:40]
	s_waitcnt vmcnt(6)
	v_fma_f64 v[27:28], v[27:28], v[61:62], -v[47:48]
	v_mul_f64 v[39:40], v[31:32], v[65:66]
	v_fma_f64 v[29:30], v[29:30], v[61:62], v[45:46]
	s_waitcnt vmcnt(4)
	v_fma_f64 v[31:32], v[31:32], v[67:68], -v[41:42]
	v_add_f64 v[35:36], v[43:44], v[35:36]
	v_add_f64 v[4:5], v[4:5], v[37:38]
	v_fma_f64 v[33:34], v[33:34], v[67:68], v[39:40]
	v_add_f64 v[27:28], v[35:36], v[27:28]
	v_add_f64 v[4:5], v[4:5], v[29:30]
	;; [unrolled: 1-line block ×4, first 2 shown]
	s_waitcnt vmcnt(2)
	v_add_f64 v[27:28], v[69:70], -v[27:28]
	s_waitcnt vmcnt(0)
	v_add_f64 v[4:5], v[71:72], -v[4:5]
	buffer_store_dword v28, off, s[0:3], 0 offset:20
	buffer_store_dword v27, off, s[0:3], 0 offset:16
	;; [unrolled: 1-line block ×4, first 2 shown]
	v_cmpx_ne_u32_e32 0, v0
	s_cbranch_execz .LBB9_73
; %bb.72:
	s_clause 0x3
	buffer_load_dword v27, off, s[0:3], 0
	buffer_load_dword v28, off, s[0:3], 0 offset:4
	buffer_load_dword v29, off, s[0:3], 0 offset:8
	;; [unrolled: 1-line block ×3, first 2 shown]
	v_mov_b32_e32 v4, 0
	buffer_store_dword v4, off, s[0:3], 0
	buffer_store_dword v4, off, s[0:3], 0 offset:4
	buffer_store_dword v4, off, s[0:3], 0 offset:8
	;; [unrolled: 1-line block ×3, first 2 shown]
	s_waitcnt vmcnt(0)
	ds_write_b128 v3, v[27:30]
.LBB9_73:
	s_or_b32 exec_lo, exec_lo, s6
	s_waitcnt lgkmcnt(0)
	s_waitcnt_vscnt null, 0x0
	s_barrier
	buffer_gl0_inv
	s_clause 0x27
	buffer_load_dword v4, off, s[0:3], 0 offset:24
	buffer_load_dword v5, off, s[0:3], 0 offset:28
	;; [unrolled: 1-line block ×36, first 2 shown]
	buffer_load_dword v73, off, s[0:3], 0
	buffer_load_dword v74, off, s[0:3], 0 offset:4
	buffer_load_dword v75, off, s[0:3], 0 offset:8
	;; [unrolled: 1-line block ×3, first 2 shown]
	v_mov_b32_e32 v3, 0
	s_and_b32 vcc_lo, exec_lo, s24
	ds_read_b128 v[27:30], v3 offset:176
	ds_read_b128 v[31:34], v3 offset:192
	;; [unrolled: 1-line block ×3, first 2 shown]
	s_waitcnt vmcnt(38) lgkmcnt(2)
	v_mul_f64 v[77:78], v[29:30], v[4:5]
	v_mul_f64 v[4:5], v[27:28], v[4:5]
	s_waitcnt vmcnt(36) lgkmcnt(1)
	v_mul_f64 v[79:80], v[33:34], v[39:40]
	v_mul_f64 v[39:40], v[31:32], v[39:40]
	s_waitcnt vmcnt(34)
	v_fma_f64 v[77:78], v[27:28], v[41:42], -v[77:78]
	v_fma_f64 v[4:5], v[29:30], v[41:42], v[4:5]
	ds_read_b128 v[27:30], v3 offset:224
	s_waitcnt vmcnt(32) lgkmcnt(1)
	v_mul_f64 v[41:42], v[35:36], v[43:44]
	v_mul_f64 v[43:44], v[37:38], v[43:44]
	s_waitcnt vmcnt(30)
	v_fma_f64 v[79:80], v[31:32], v[45:46], -v[79:80]
	v_fma_f64 v[39:40], v[33:34], v[45:46], v[39:40]
	ds_read_b128 v[31:34], v3 offset:240
	s_waitcnt vmcnt(28) lgkmcnt(1)
	v_mul_f64 v[45:46], v[27:28], v[47:48]
	v_add_f64 v[77:78], v[77:78], 0
	v_add_f64 v[4:5], v[4:5], 0
	v_mul_f64 v[47:48], v[29:30], v[47:48]
	s_waitcnt vmcnt(26)
	v_fma_f64 v[43:44], v[35:36], v[49:50], -v[43:44]
	v_fma_f64 v[41:42], v[37:38], v[49:50], v[41:42]
	ds_read_b128 v[35:38], v3 offset:256
	s_waitcnt vmcnt(24) lgkmcnt(1)
	v_mul_f64 v[49:50], v[33:34], v[51:52]
	s_waitcnt vmcnt(22)
	v_fma_f64 v[45:46], v[29:30], v[53:54], v[45:46]
	v_add_f64 v[77:78], v[77:78], v[79:80]
	v_add_f64 v[4:5], v[4:5], v[39:40]
	v_fma_f64 v[47:48], v[27:28], v[53:54], -v[47:48]
	v_mul_f64 v[39:40], v[31:32], v[51:52]
	s_waitcnt vmcnt(20) lgkmcnt(0)
	v_mul_f64 v[51:52], v[37:38], v[55:56]
	ds_read_b128 v[27:30], v3 offset:272
	s_waitcnt vmcnt(18)
	v_fma_f64 v[49:50], v[31:32], v[57:58], -v[49:50]
	v_add_f64 v[43:44], v[77:78], v[43:44]
	v_add_f64 v[4:5], v[4:5], v[41:42]
	v_mul_f64 v[41:42], v[35:36], v[55:56]
	v_fma_f64 v[39:40], v[33:34], v[57:58], v[39:40]
	ds_read_b128 v[31:34], v3 offset:288
	s_waitcnt vmcnt(14)
	v_fma_f64 v[51:52], v[35:36], v[61:62], -v[51:52]
	v_add_f64 v[43:44], v[43:44], v[47:48]
	v_add_f64 v[4:5], v[4:5], v[45:46]
	s_waitcnt lgkmcnt(1)
	v_mul_f64 v[47:48], v[29:30], v[59:60]
	v_mul_f64 v[45:46], v[27:28], v[59:60]
	v_fma_f64 v[41:42], v[37:38], v[61:62], v[41:42]
	ds_read_b128 v[35:38], v3 offset:304
	v_add_f64 v[43:44], v[43:44], v[49:50]
	v_add_f64 v[4:5], v[4:5], v[39:40]
	s_waitcnt vmcnt(12) lgkmcnt(1)
	v_mul_f64 v[49:50], v[33:34], v[63:64]
	s_waitcnt vmcnt(10)
	v_fma_f64 v[27:28], v[27:28], v[65:66], -v[47:48]
	v_mul_f64 v[39:40], v[31:32], v[63:64]
	v_fma_f64 v[29:30], v[29:30], v[65:66], v[45:46]
	s_waitcnt vmcnt(8) lgkmcnt(0)
	v_mul_f64 v[45:46], v[37:38], v[67:68]
	v_add_f64 v[43:44], v[43:44], v[51:52]
	v_add_f64 v[4:5], v[4:5], v[41:42]
	s_waitcnt vmcnt(6)
	v_fma_f64 v[31:32], v[31:32], v[69:70], -v[49:50]
	v_mul_f64 v[41:42], v[35:36], v[67:68]
	v_fma_f64 v[33:34], v[33:34], v[69:70], v[39:40]
	v_add_f64 v[27:28], v[43:44], v[27:28]
	v_add_f64 v[4:5], v[4:5], v[29:30]
	s_waitcnt vmcnt(4)
	v_fma_f64 v[29:30], v[35:36], v[71:72], -v[45:46]
	v_add_f64 v[27:28], v[27:28], v[31:32]
	v_fma_f64 v[31:32], v[37:38], v[71:72], v[41:42]
	v_add_f64 v[4:5], v[4:5], v[33:34]
	v_add_f64 v[27:28], v[27:28], v[29:30]
	;; [unrolled: 1-line block ×3, first 2 shown]
	s_waitcnt vmcnt(2)
	v_add_f64 v[27:28], v[73:74], -v[27:28]
	s_waitcnt vmcnt(0)
	v_add_f64 v[4:5], v[75:76], -v[4:5]
	buffer_store_dword v28, off, s[0:3], 0 offset:4
	buffer_store_dword v27, off, s[0:3], 0
	buffer_store_dword v5, off, s[0:3], 0 offset:12
	buffer_store_dword v4, off, s[0:3], 0 offset:8
	s_cbranch_vccz .LBB9_92
; %bb.74:
	global_load_dword v3, v3, s[10:11] offset:32
	s_load_dwordx2 s[4:5], s[4:5], 0x4
	s_waitcnt lgkmcnt(0)
	s_lshr_b32 s4, s4, 16
	v_mul_u32_u24_e32 v4, s5, v1
	s_mul_i32 s4, s4, s5
	v_mul_u32_u24_e32 v0, s4, v0
	v_add3_u32 v0, v0, v4, v2
	v_lshl_add_u32 v0, v0, 4, 0x148
	s_waitcnt vmcnt(0)
	v_add_nc_u32_e32 v1, -1, v3
	v_cmp_ne_u32_e32 vcc_lo, 8, v1
	s_cbranch_vccz .LBB9_76
; %bb.75:
	v_lshlrev_b32_e32 v1, 4, v1
	v_mov_b32_e32 v5, s13
	v_mov_b32_e32 v6, v1
	s_clause 0x7
	buffer_load_dword v1, v5, s[0:3], 0 offen
	buffer_load_dword v2, v5, s[0:3], 0 offen offset:4
	buffer_load_dword v3, v5, s[0:3], 0 offen offset:8
	;; [unrolled: 1-line block ×3, first 2 shown]
	buffer_load_dword v27, v6, s[0:3], 0 offen
	buffer_load_dword v28, v6, s[0:3], 0 offen offset:4
	buffer_load_dword v29, v6, s[0:3], 0 offen offset:8
	;; [unrolled: 1-line block ×3, first 2 shown]
	s_waitcnt vmcnt(4)
	ds_write2_b64 v0, v[1:2], v[3:4] offset1:1
	s_waitcnt vmcnt(3)
	buffer_store_dword v27, v5, s[0:3], 0 offen
	s_waitcnt vmcnt(2)
	buffer_store_dword v28, v5, s[0:3], 0 offen offset:4
	s_waitcnt vmcnt(1)
	buffer_store_dword v29, v5, s[0:3], 0 offen offset:8
	;; [unrolled: 2-line block ×3, first 2 shown]
	buffer_store_dword v4, v6, s[0:3], 0 offen offset:12
	buffer_store_dword v3, v6, s[0:3], 0 offen offset:8
	;; [unrolled: 1-line block ×3, first 2 shown]
	buffer_store_dword v1, v6, s[0:3], 0 offen
.LBB9_76:
	v_mov_b32_e32 v1, 0
	global_load_dword v2, v1, s[10:11] offset:28
	s_waitcnt vmcnt(0)
	v_add_nc_u32_e32 v2, -1, v2
	v_cmp_eq_u32_e32 vcc_lo, 7, v2
	s_cbranch_vccnz .LBB9_78
; %bb.77:
	v_lshlrev_b32_e32 v2, 4, v2
	v_mov_b32_e32 v6, s16
	v_mov_b32_e32 v27, v2
	s_clause 0x7
	buffer_load_dword v2, v6, s[0:3], 0 offen
	buffer_load_dword v3, v6, s[0:3], 0 offen offset:4
	buffer_load_dword v4, v6, s[0:3], 0 offen offset:8
	;; [unrolled: 1-line block ×3, first 2 shown]
	buffer_load_dword v28, v27, s[0:3], 0 offen
	buffer_load_dword v29, v27, s[0:3], 0 offen offset:4
	buffer_load_dword v30, v27, s[0:3], 0 offen offset:8
	;; [unrolled: 1-line block ×3, first 2 shown]
	s_waitcnt vmcnt(4)
	ds_write2_b64 v0, v[2:3], v[4:5] offset1:1
	s_waitcnt vmcnt(3)
	buffer_store_dword v28, v6, s[0:3], 0 offen
	s_waitcnt vmcnt(2)
	buffer_store_dword v29, v6, s[0:3], 0 offen offset:4
	s_waitcnt vmcnt(1)
	buffer_store_dword v30, v6, s[0:3], 0 offen offset:8
	;; [unrolled: 2-line block ×3, first 2 shown]
	buffer_store_dword v5, v27, s[0:3], 0 offen offset:12
	buffer_store_dword v4, v27, s[0:3], 0 offen offset:8
	;; [unrolled: 1-line block ×3, first 2 shown]
	buffer_store_dword v2, v27, s[0:3], 0 offen
.LBB9_78:
	global_load_dword v1, v1, s[10:11] offset:24
	s_waitcnt vmcnt(0)
	v_add_nc_u32_e32 v1, -1, v1
	v_cmp_eq_u32_e32 vcc_lo, 6, v1
	s_cbranch_vccnz .LBB9_80
; %bb.79:
	v_lshlrev_b32_e32 v1, 4, v1
	v_mov_b32_e32 v5, s17
	v_mov_b32_e32 v6, v1
	s_clause 0x7
	buffer_load_dword v1, v5, s[0:3], 0 offen
	buffer_load_dword v2, v5, s[0:3], 0 offen offset:4
	buffer_load_dword v3, v5, s[0:3], 0 offen offset:8
	;; [unrolled: 1-line block ×3, first 2 shown]
	buffer_load_dword v27, v6, s[0:3], 0 offen
	buffer_load_dword v28, v6, s[0:3], 0 offen offset:4
	buffer_load_dword v29, v6, s[0:3], 0 offen offset:8
	;; [unrolled: 1-line block ×3, first 2 shown]
	s_waitcnt vmcnt(4)
	ds_write2_b64 v0, v[1:2], v[3:4] offset1:1
	s_waitcnt vmcnt(3)
	buffer_store_dword v27, v5, s[0:3], 0 offen
	s_waitcnt vmcnt(2)
	buffer_store_dword v28, v5, s[0:3], 0 offen offset:4
	s_waitcnt vmcnt(1)
	buffer_store_dword v29, v5, s[0:3], 0 offen offset:8
	s_waitcnt vmcnt(0)
	buffer_store_dword v30, v5, s[0:3], 0 offen offset:12
	buffer_store_dword v4, v6, s[0:3], 0 offen offset:12
	buffer_store_dword v3, v6, s[0:3], 0 offen offset:8
	;; [unrolled: 1-line block ×3, first 2 shown]
	buffer_store_dword v1, v6, s[0:3], 0 offen
.LBB9_80:
	v_mov_b32_e32 v1, 0
	global_load_dword v2, v1, s[10:11] offset:20
	s_waitcnt vmcnt(0)
	v_add_nc_u32_e32 v2, -1, v2
	v_cmp_eq_u32_e32 vcc_lo, 5, v2
	s_cbranch_vccnz .LBB9_82
; %bb.81:
	v_lshlrev_b32_e32 v2, 4, v2
	v_mov_b32_e32 v6, s18
	v_mov_b32_e32 v27, v2
	s_clause 0x7
	buffer_load_dword v2, v6, s[0:3], 0 offen
	buffer_load_dword v3, v6, s[0:3], 0 offen offset:4
	buffer_load_dword v4, v6, s[0:3], 0 offen offset:8
	;; [unrolled: 1-line block ×3, first 2 shown]
	buffer_load_dword v28, v27, s[0:3], 0 offen
	buffer_load_dword v29, v27, s[0:3], 0 offen offset:4
	buffer_load_dword v30, v27, s[0:3], 0 offen offset:8
	;; [unrolled: 1-line block ×3, first 2 shown]
	s_waitcnt vmcnt(4)
	ds_write2_b64 v0, v[2:3], v[4:5] offset1:1
	s_waitcnt vmcnt(3)
	buffer_store_dword v28, v6, s[0:3], 0 offen
	s_waitcnt vmcnt(2)
	buffer_store_dword v29, v6, s[0:3], 0 offen offset:4
	s_waitcnt vmcnt(1)
	buffer_store_dword v30, v6, s[0:3], 0 offen offset:8
	;; [unrolled: 2-line block ×3, first 2 shown]
	buffer_store_dword v5, v27, s[0:3], 0 offen offset:12
	buffer_store_dword v4, v27, s[0:3], 0 offen offset:8
	;; [unrolled: 1-line block ×3, first 2 shown]
	buffer_store_dword v2, v27, s[0:3], 0 offen
.LBB9_82:
	global_load_dword v1, v1, s[10:11] offset:16
	s_waitcnt vmcnt(0)
	v_add_nc_u32_e32 v1, -1, v1
	v_cmp_eq_u32_e32 vcc_lo, 4, v1
	s_cbranch_vccnz .LBB9_84
; %bb.83:
	v_lshlrev_b32_e32 v1, 4, v1
	v_mov_b32_e32 v5, s19
	v_mov_b32_e32 v6, v1
	s_clause 0x7
	buffer_load_dword v1, v5, s[0:3], 0 offen
	buffer_load_dword v2, v5, s[0:3], 0 offen offset:4
	buffer_load_dword v3, v5, s[0:3], 0 offen offset:8
	;; [unrolled: 1-line block ×3, first 2 shown]
	buffer_load_dword v27, v6, s[0:3], 0 offen
	buffer_load_dword v28, v6, s[0:3], 0 offen offset:4
	buffer_load_dword v29, v6, s[0:3], 0 offen offset:8
	;; [unrolled: 1-line block ×3, first 2 shown]
	s_waitcnt vmcnt(4)
	ds_write2_b64 v0, v[1:2], v[3:4] offset1:1
	s_waitcnt vmcnt(3)
	buffer_store_dword v27, v5, s[0:3], 0 offen
	s_waitcnt vmcnt(2)
	buffer_store_dword v28, v5, s[0:3], 0 offen offset:4
	s_waitcnt vmcnt(1)
	buffer_store_dword v29, v5, s[0:3], 0 offen offset:8
	;; [unrolled: 2-line block ×3, first 2 shown]
	buffer_store_dword v4, v6, s[0:3], 0 offen offset:12
	buffer_store_dword v3, v6, s[0:3], 0 offen offset:8
	buffer_store_dword v2, v6, s[0:3], 0 offen offset:4
	buffer_store_dword v1, v6, s[0:3], 0 offen
.LBB9_84:
	v_mov_b32_e32 v1, 0
	global_load_dword v2, v1, s[10:11] offset:12
	s_waitcnt vmcnt(0)
	v_add_nc_u32_e32 v2, -1, v2
	v_cmp_eq_u32_e32 vcc_lo, 3, v2
	s_cbranch_vccnz .LBB9_86
; %bb.85:
	v_lshlrev_b32_e32 v2, 4, v2
	v_mov_b32_e32 v6, s20
	v_mov_b32_e32 v27, v2
	s_clause 0x7
	buffer_load_dword v2, v6, s[0:3], 0 offen
	buffer_load_dword v3, v6, s[0:3], 0 offen offset:4
	buffer_load_dword v4, v6, s[0:3], 0 offen offset:8
	;; [unrolled: 1-line block ×3, first 2 shown]
	buffer_load_dword v28, v27, s[0:3], 0 offen
	buffer_load_dword v29, v27, s[0:3], 0 offen offset:4
	buffer_load_dword v30, v27, s[0:3], 0 offen offset:8
	;; [unrolled: 1-line block ×3, first 2 shown]
	s_waitcnt vmcnt(4)
	ds_write2_b64 v0, v[2:3], v[4:5] offset1:1
	s_waitcnt vmcnt(3)
	buffer_store_dword v28, v6, s[0:3], 0 offen
	s_waitcnt vmcnt(2)
	buffer_store_dword v29, v6, s[0:3], 0 offen offset:4
	s_waitcnt vmcnt(1)
	buffer_store_dword v30, v6, s[0:3], 0 offen offset:8
	;; [unrolled: 2-line block ×3, first 2 shown]
	buffer_store_dword v5, v27, s[0:3], 0 offen offset:12
	buffer_store_dword v4, v27, s[0:3], 0 offen offset:8
	;; [unrolled: 1-line block ×3, first 2 shown]
	buffer_store_dword v2, v27, s[0:3], 0 offen
.LBB9_86:
	global_load_dword v1, v1, s[10:11] offset:8
	s_waitcnt vmcnt(0)
	v_add_nc_u32_e32 v1, -1, v1
	v_cmp_eq_u32_e32 vcc_lo, 2, v1
	s_cbranch_vccnz .LBB9_88
; %bb.87:
	v_lshlrev_b32_e32 v1, 4, v1
	v_mov_b32_e32 v5, s21
	v_mov_b32_e32 v6, v1
	s_clause 0x7
	buffer_load_dword v1, v5, s[0:3], 0 offen
	buffer_load_dword v2, v5, s[0:3], 0 offen offset:4
	buffer_load_dword v3, v5, s[0:3], 0 offen offset:8
	;; [unrolled: 1-line block ×3, first 2 shown]
	buffer_load_dword v27, v6, s[0:3], 0 offen
	buffer_load_dword v28, v6, s[0:3], 0 offen offset:4
	buffer_load_dword v29, v6, s[0:3], 0 offen offset:8
	;; [unrolled: 1-line block ×3, first 2 shown]
	s_waitcnt vmcnt(4)
	ds_write2_b64 v0, v[1:2], v[3:4] offset1:1
	s_waitcnt vmcnt(3)
	buffer_store_dword v27, v5, s[0:3], 0 offen
	s_waitcnt vmcnt(2)
	buffer_store_dword v28, v5, s[0:3], 0 offen offset:4
	s_waitcnt vmcnt(1)
	buffer_store_dword v29, v5, s[0:3], 0 offen offset:8
	;; [unrolled: 2-line block ×3, first 2 shown]
	buffer_store_dword v4, v6, s[0:3], 0 offen offset:12
	buffer_store_dword v3, v6, s[0:3], 0 offen offset:8
	;; [unrolled: 1-line block ×3, first 2 shown]
	buffer_store_dword v1, v6, s[0:3], 0 offen
.LBB9_88:
	v_mov_b32_e32 v1, 0
	global_load_dword v2, v1, s[10:11] offset:4
	s_waitcnt vmcnt(0)
	v_add_nc_u32_e32 v2, -1, v2
	v_cmp_eq_u32_e32 vcc_lo, 1, v2
	s_cbranch_vccnz .LBB9_90
; %bb.89:
	v_lshlrev_b32_e32 v2, 4, v2
	v_mov_b32_e32 v6, s22
	v_mov_b32_e32 v27, v2
	s_clause 0x7
	buffer_load_dword v2, v6, s[0:3], 0 offen
	buffer_load_dword v3, v6, s[0:3], 0 offen offset:4
	buffer_load_dword v4, v6, s[0:3], 0 offen offset:8
	;; [unrolled: 1-line block ×3, first 2 shown]
	buffer_load_dword v28, v27, s[0:3], 0 offen
	buffer_load_dword v29, v27, s[0:3], 0 offen offset:4
	buffer_load_dword v30, v27, s[0:3], 0 offen offset:8
	;; [unrolled: 1-line block ×3, first 2 shown]
	s_waitcnt vmcnt(4)
	ds_write2_b64 v0, v[2:3], v[4:5] offset1:1
	s_waitcnt vmcnt(3)
	buffer_store_dword v28, v6, s[0:3], 0 offen
	s_waitcnt vmcnt(2)
	buffer_store_dword v29, v6, s[0:3], 0 offen offset:4
	s_waitcnt vmcnt(1)
	buffer_store_dword v30, v6, s[0:3], 0 offen offset:8
	;; [unrolled: 2-line block ×3, first 2 shown]
	buffer_store_dword v5, v27, s[0:3], 0 offen offset:12
	buffer_store_dword v4, v27, s[0:3], 0 offen offset:8
	;; [unrolled: 1-line block ×3, first 2 shown]
	buffer_store_dword v2, v27, s[0:3], 0 offen
.LBB9_90:
	global_load_dword v1, v1, s[10:11]
	s_waitcnt vmcnt(0)
	v_add_nc_u32_e32 v1, -1, v1
	v_cmp_eq_u32_e32 vcc_lo, 0, v1
	s_cbranch_vccnz .LBB9_92
; %bb.91:
	v_lshlrev_b32_e32 v1, 4, v1
	v_mov_b32_e32 v5, v1
	s_clause 0x7
	buffer_load_dword v1, off, s[0:3], 0
	buffer_load_dword v2, off, s[0:3], 0 offset:4
	buffer_load_dword v3, off, s[0:3], 0 offset:8
	;; [unrolled: 1-line block ×3, first 2 shown]
	buffer_load_dword v6, v5, s[0:3], 0 offen
	buffer_load_dword v27, v5, s[0:3], 0 offen offset:4
	buffer_load_dword v28, v5, s[0:3], 0 offen offset:8
	;; [unrolled: 1-line block ×3, first 2 shown]
	s_waitcnt vmcnt(4)
	ds_write2_b64 v0, v[1:2], v[3:4] offset1:1
	s_waitcnt vmcnt(3)
	buffer_store_dword v6, off, s[0:3], 0
	s_waitcnt vmcnt(2)
	buffer_store_dword v27, off, s[0:3], 0 offset:4
	s_waitcnt vmcnt(1)
	buffer_store_dword v28, off, s[0:3], 0 offset:8
	;; [unrolled: 2-line block ×3, first 2 shown]
	buffer_store_dword v4, v5, s[0:3], 0 offen offset:12
	buffer_store_dword v3, v5, s[0:3], 0 offen offset:8
	buffer_store_dword v2, v5, s[0:3], 0 offen offset:4
	buffer_store_dword v1, v5, s[0:3], 0 offen
.LBB9_92:
	v_mov_b32_e32 v5, s21
	v_mov_b32_e32 v6, s19
	;; [unrolled: 1-line block ×3, first 2 shown]
	s_clause 0x7
	buffer_load_dword v0, off, s[0:3], 0
	buffer_load_dword v1, off, s[0:3], 0 offset:4
	buffer_load_dword v2, off, s[0:3], 0 offset:8
	;; [unrolled: 1-line block ×3, first 2 shown]
	buffer_load_dword v27, v4, s[0:3], 0 offen
	buffer_load_dword v28, v4, s[0:3], 0 offen offset:4
	buffer_load_dword v29, v4, s[0:3], 0 offen offset:8
	;; [unrolled: 1-line block ×3, first 2 shown]
	v_mov_b32_e32 v4, s20
	s_clause 0x7
	buffer_load_dword v31, v5, s[0:3], 0 offen
	buffer_load_dword v32, v5, s[0:3], 0 offen offset:4
	buffer_load_dword v33, v5, s[0:3], 0 offen offset:8
	buffer_load_dword v34, v5, s[0:3], 0 offen offset:12
	buffer_load_dword v35, v4, s[0:3], 0 offen
	buffer_load_dword v36, v4, s[0:3], 0 offen offset:4
	buffer_load_dword v37, v4, s[0:3], 0 offen offset:8
	buffer_load_dword v38, v4, s[0:3], 0 offen offset:12
	v_mov_b32_e32 v4, s18
	v_mov_b32_e32 v5, s17
	s_clause 0x7
	buffer_load_dword v39, v6, s[0:3], 0 offen
	buffer_load_dword v40, v6, s[0:3], 0 offen offset:4
	buffer_load_dword v41, v6, s[0:3], 0 offen offset:8
	buffer_load_dword v42, v6, s[0:3], 0 offen offset:12
	buffer_load_dword v43, v4, s[0:3], 0 offen
	buffer_load_dword v44, v4, s[0:3], 0 offen offset:4
	buffer_load_dword v45, v4, s[0:3], 0 offen offset:8
	buffer_load_dword v46, v4, s[0:3], 0 offen offset:12
	v_mov_b32_e32 v6, s13
	;; [unrolled: 11-line block ×3, first 2 shown]
	s_clause 0x7
	buffer_load_dword v55, v6, s[0:3], 0 offen
	buffer_load_dword v56, v6, s[0:3], 0 offen offset:4
	buffer_load_dword v57, v6, s[0:3], 0 offen offset:8
	;; [unrolled: 1-line block ×3, first 2 shown]
	buffer_load_dword v59, v4, s[0:3], 0 offen
	buffer_load_dword v60, v4, s[0:3], 0 offen offset:4
	buffer_load_dword v61, v4, s[0:3], 0 offen offset:8
	;; [unrolled: 1-line block ×3, first 2 shown]
	s_waitcnt vmcnt(36)
	global_store_dwordx4 v[7:8], v[0:3], off
	s_waitcnt vmcnt(32)
	global_store_dwordx4 v[9:10], v[27:30], off
	;; [unrolled: 2-line block ×10, first 2 shown]
	s_endpgm
	.section	.rodata,"a",@progbits
	.p2align	6, 0x0
	.amdhsa_kernel _ZN9rocsolver6v33100L18getri_kernel_smallILi10E19rocblas_complex_numIdEPS3_EEvT1_iilPiilS6_bb
		.amdhsa_group_segment_fixed_size 1352
		.amdhsa_private_segment_fixed_size 176
		.amdhsa_kernarg_size 60
		.amdhsa_user_sgpr_count 8
		.amdhsa_user_sgpr_private_segment_buffer 1
		.amdhsa_user_sgpr_dispatch_ptr 1
		.amdhsa_user_sgpr_queue_ptr 0
		.amdhsa_user_sgpr_kernarg_segment_ptr 1
		.amdhsa_user_sgpr_dispatch_id 0
		.amdhsa_user_sgpr_flat_scratch_init 0
		.amdhsa_user_sgpr_private_segment_size 0
		.amdhsa_wavefront_size32 1
		.amdhsa_uses_dynamic_stack 0
		.amdhsa_system_sgpr_private_segment_wavefront_offset 1
		.amdhsa_system_sgpr_workgroup_id_x 1
		.amdhsa_system_sgpr_workgroup_id_y 0
		.amdhsa_system_sgpr_workgroup_id_z 0
		.amdhsa_system_sgpr_workgroup_info 0
		.amdhsa_system_vgpr_workitem_id 2
		.amdhsa_next_free_vgpr 81
		.amdhsa_next_free_sgpr 28
		.amdhsa_reserve_vcc 1
		.amdhsa_reserve_flat_scratch 0
		.amdhsa_float_round_mode_32 0
		.amdhsa_float_round_mode_16_64 0
		.amdhsa_float_denorm_mode_32 3
		.amdhsa_float_denorm_mode_16_64 3
		.amdhsa_dx10_clamp 1
		.amdhsa_ieee_mode 1
		.amdhsa_fp16_overflow 0
		.amdhsa_workgroup_processor_mode 1
		.amdhsa_memory_ordered 1
		.amdhsa_forward_progress 1
		.amdhsa_shared_vgpr_count 0
		.amdhsa_exception_fp_ieee_invalid_op 0
		.amdhsa_exception_fp_denorm_src 0
		.amdhsa_exception_fp_ieee_div_zero 0
		.amdhsa_exception_fp_ieee_overflow 0
		.amdhsa_exception_fp_ieee_underflow 0
		.amdhsa_exception_fp_ieee_inexact 0
		.amdhsa_exception_int_div_zero 0
	.end_amdhsa_kernel
	.section	.text._ZN9rocsolver6v33100L18getri_kernel_smallILi10E19rocblas_complex_numIdEPS3_EEvT1_iilPiilS6_bb,"axG",@progbits,_ZN9rocsolver6v33100L18getri_kernel_smallILi10E19rocblas_complex_numIdEPS3_EEvT1_iilPiilS6_bb,comdat
.Lfunc_end9:
	.size	_ZN9rocsolver6v33100L18getri_kernel_smallILi10E19rocblas_complex_numIdEPS3_EEvT1_iilPiilS6_bb, .Lfunc_end9-_ZN9rocsolver6v33100L18getri_kernel_smallILi10E19rocblas_complex_numIdEPS3_EEvT1_iilPiilS6_bb
                                        ; -- End function
	.set _ZN9rocsolver6v33100L18getri_kernel_smallILi10E19rocblas_complex_numIdEPS3_EEvT1_iilPiilS6_bb.num_vgpr, 81
	.set _ZN9rocsolver6v33100L18getri_kernel_smallILi10E19rocblas_complex_numIdEPS3_EEvT1_iilPiilS6_bb.num_agpr, 0
	.set _ZN9rocsolver6v33100L18getri_kernel_smallILi10E19rocblas_complex_numIdEPS3_EEvT1_iilPiilS6_bb.numbered_sgpr, 28
	.set _ZN9rocsolver6v33100L18getri_kernel_smallILi10E19rocblas_complex_numIdEPS3_EEvT1_iilPiilS6_bb.num_named_barrier, 0
	.set _ZN9rocsolver6v33100L18getri_kernel_smallILi10E19rocblas_complex_numIdEPS3_EEvT1_iilPiilS6_bb.private_seg_size, 176
	.set _ZN9rocsolver6v33100L18getri_kernel_smallILi10E19rocblas_complex_numIdEPS3_EEvT1_iilPiilS6_bb.uses_vcc, 1
	.set _ZN9rocsolver6v33100L18getri_kernel_smallILi10E19rocblas_complex_numIdEPS3_EEvT1_iilPiilS6_bb.uses_flat_scratch, 0
	.set _ZN9rocsolver6v33100L18getri_kernel_smallILi10E19rocblas_complex_numIdEPS3_EEvT1_iilPiilS6_bb.has_dyn_sized_stack, 0
	.set _ZN9rocsolver6v33100L18getri_kernel_smallILi10E19rocblas_complex_numIdEPS3_EEvT1_iilPiilS6_bb.has_recursion, 0
	.set _ZN9rocsolver6v33100L18getri_kernel_smallILi10E19rocblas_complex_numIdEPS3_EEvT1_iilPiilS6_bb.has_indirect_call, 0
	.section	.AMDGPU.csdata,"",@progbits
; Kernel info:
; codeLenInByte = 13884
; TotalNumSgprs: 30
; NumVgprs: 81
; ScratchSize: 176
; MemoryBound: 0
; FloatMode: 240
; IeeeMode: 1
; LDSByteSize: 1352 bytes/workgroup (compile time only)
; SGPRBlocks: 0
; VGPRBlocks: 10
; NumSGPRsForWavesPerEU: 30
; NumVGPRsForWavesPerEU: 81
; Occupancy: 10
; WaveLimiterHint : 1
; COMPUTE_PGM_RSRC2:SCRATCH_EN: 1
; COMPUTE_PGM_RSRC2:USER_SGPR: 8
; COMPUTE_PGM_RSRC2:TRAP_HANDLER: 0
; COMPUTE_PGM_RSRC2:TGID_X_EN: 1
; COMPUTE_PGM_RSRC2:TGID_Y_EN: 0
; COMPUTE_PGM_RSRC2:TGID_Z_EN: 0
; COMPUTE_PGM_RSRC2:TIDIG_COMP_CNT: 2
	.section	.text._ZN9rocsolver6v33100L18getri_kernel_smallILi11E19rocblas_complex_numIdEPS3_EEvT1_iilPiilS6_bb,"axG",@progbits,_ZN9rocsolver6v33100L18getri_kernel_smallILi11E19rocblas_complex_numIdEPS3_EEvT1_iilPiilS6_bb,comdat
	.globl	_ZN9rocsolver6v33100L18getri_kernel_smallILi11E19rocblas_complex_numIdEPS3_EEvT1_iilPiilS6_bb ; -- Begin function _ZN9rocsolver6v33100L18getri_kernel_smallILi11E19rocblas_complex_numIdEPS3_EEvT1_iilPiilS6_bb
	.p2align	8
	.type	_ZN9rocsolver6v33100L18getri_kernel_smallILi11E19rocblas_complex_numIdEPS3_EEvT1_iilPiilS6_bb,@function
_ZN9rocsolver6v33100L18getri_kernel_smallILi11E19rocblas_complex_numIdEPS3_EEvT1_iilPiilS6_bb: ; @_ZN9rocsolver6v33100L18getri_kernel_smallILi11E19rocblas_complex_numIdEPS3_EEvT1_iilPiilS6_bb
; %bb.0:
	s_add_u32 s0, s0, s9
	s_addc_u32 s1, s1, 0
	s_mov_b32 s9, exec_lo
	v_cmpx_gt_u32_e32 11, v0
	s_cbranch_execz .LBB10_58
; %bb.1:
	s_clause 0x2
	s_load_dword s9, s[6:7], 0x38
	s_load_dwordx4 s[20:23], s[6:7], 0x10
	s_load_dwordx4 s[12:15], s[6:7], 0x28
	s_waitcnt lgkmcnt(0)
	s_bitcmp1_b32 s9, 8
	s_cselect_b32 s24, -1, 0
	s_bfe_u32 s10, s9, 0x10008
	s_ashr_i32 s9, s8, 31
	s_cmp_eq_u32 s10, 0
                                        ; implicit-def: $sgpr10_sgpr11
	s_cbranch_scc1 .LBB10_3
; %bb.2:
	s_load_dword s10, s[6:7], 0x20
	s_mul_i32 s11, s12, s9
	s_mul_hi_u32 s16, s12, s8
	s_mul_i32 s13, s13, s8
	s_add_i32 s11, s16, s11
	s_mul_i32 s12, s12, s8
	s_add_i32 s13, s11, s13
	s_lshl_b64 s[12:13], s[12:13], 2
	s_waitcnt lgkmcnt(0)
	s_ashr_i32 s11, s10, 31
	s_add_u32 s12, s22, s12
	s_addc_u32 s13, s23, s13
	s_lshl_b64 s[10:11], s[10:11], 2
	s_add_u32 s10, s12, s10
	s_addc_u32 s11, s13, s11
.LBB10_3:
	s_clause 0x1
	s_load_dwordx4 s[16:19], s[6:7], 0x0
	s_load_dword s25, s[6:7], 0x38
	s_mul_i32 s6, s20, s9
	s_mul_hi_u32 s7, s20, s8
	s_mul_i32 s12, s21, s8
	s_add_i32 s7, s7, s6
	s_mul_i32 s6, s20, s8
	s_add_i32 s7, s7, s12
	v_lshlrev_b32_e32 v35, 4, v0
	s_lshl_b64 s[6:7], s[6:7], 4
	s_movk_i32 s26, 0x90
	s_movk_i32 s27, 0xa0
	s_mov_b32 s23, 16
	s_mov_b32 s22, 32
	s_mov_b32 s21, 48
	s_mov_b32 s20, 64
	s_waitcnt lgkmcnt(0)
	v_add3_u32 v9, s19, s19, v0
	s_ashr_i32 s13, s18, 31
	s_mov_b32 s12, s18
	s_add_u32 s16, s16, s6
	s_addc_u32 s17, s17, s7
	v_add_nc_u32_e32 v13, s19, v9
	s_lshl_b64 s[6:7], s[12:13], 4
	v_ashrrev_i32_e32 v10, 31, v9
	s_add_u32 s6, s16, s6
	s_addc_u32 s7, s17, s7
	v_add_nc_u32_e32 v15, s19, v13
	v_ashrrev_i32_e32 v14, 31, v13
	v_add_co_u32 v7, s16, s6, v35
	s_mov_b32 s12, s19
	v_add_nc_u32_e32 v17, s19, v15
	v_ashrrev_i32_e32 v16, 31, v15
	s_ashr_i32 s13, s19, 31
	v_lshlrev_b64 v[11:12], 4, v[9:10]
	v_add_co_ci_u32_e64 v8, null, s7, 0, s16
	v_add_nc_u32_e32 v19, s19, v17
	v_ashrrev_i32_e32 v18, 31, v17
	s_lshl_b64 s[12:13], s[12:13], 4
	v_lshlrev_b64 v[13:14], 4, v[13:14]
	v_add_co_u32 v9, vcc_lo, v7, s12
	v_add_nc_u32_e32 v21, s19, v19
	v_ashrrev_i32_e32 v20, 31, v19
	v_lshlrev_b64 v[15:16], 4, v[15:16]
	v_add_co_ci_u32_e64 v10, null, s13, v8, vcc_lo
	v_add_nc_u32_e32 v23, s19, v21
	v_ashrrev_i32_e32 v22, 31, v21
	v_add_co_u32 v11, vcc_lo, s6, v11
	v_lshlrev_b64 v[17:18], 4, v[17:18]
	v_add_nc_u32_e32 v25, s19, v23
	v_ashrrev_i32_e32 v24, 31, v23
	v_add_co_ci_u32_e64 v12, null, s7, v12, vcc_lo
	v_add_co_u32 v13, vcc_lo, s6, v13
	v_add_nc_u32_e32 v27, s19, v25
	v_lshlrev_b64 v[19:20], 4, v[19:20]
	v_ashrrev_i32_e32 v26, 31, v25
	v_add_co_ci_u32_e64 v14, null, s7, v14, vcc_lo
	v_add_co_u32 v15, vcc_lo, s6, v15
	v_lshlrev_b64 v[21:22], 4, v[21:22]
	v_ashrrev_i32_e32 v28, 31, v27
	v_add_co_ci_u32_e64 v16, null, s7, v16, vcc_lo
	v_add_co_u32 v17, vcc_lo, s6, v17
	v_lshlrev_b64 v[23:24], 4, v[23:24]
	v_add_co_ci_u32_e64 v18, null, s7, v18, vcc_lo
	v_add_co_u32 v19, vcc_lo, s6, v19
	v_lshlrev_b64 v[25:26], 4, v[25:26]
	;; [unrolled: 3-line block ×3, first 2 shown]
	v_add_co_ci_u32_e64 v22, null, s7, v22, vcc_lo
	v_add_co_u32 v23, vcc_lo, s6, v23
	v_add_co_ci_u32_e64 v24, null, s7, v24, vcc_lo
	v_add_co_u32 v25, vcc_lo, s6, v25
	;; [unrolled: 2-line block ×3, first 2 shown]
	v_add_co_ci_u32_e64 v28, null, s7, v28, vcc_lo
	s_clause 0xa
	global_load_dwordx4 v[3:6], v35, s[6:7]
	global_load_dwordx4 v[29:32], v[9:10], off
	global_load_dwordx4 v[36:39], v[11:12], off
	;; [unrolled: 1-line block ×10, first 2 shown]
	s_movk_i32 s19, 0x50
	s_movk_i32 s18, 0x60
	s_movk_i32 s17, 0x70
	s_movk_i32 s16, 0x80
	s_mov_b32 s7, -1
	s_mov_b32 s13, s26
	s_mov_b32 s12, s27
	s_bitcmp0_b32 s25, 0
	s_waitcnt vmcnt(10)
	buffer_store_dword v6, off, s[0:3], 0 offset:12
	buffer_store_dword v5, off, s[0:3], 0 offset:8
	;; [unrolled: 1-line block ×3, first 2 shown]
	buffer_store_dword v3, off, s[0:3], 0
	s_waitcnt vmcnt(9)
	buffer_store_dword v32, off, s[0:3], 0 offset:28
	buffer_store_dword v31, off, s[0:3], 0 offset:24
	buffer_store_dword v30, off, s[0:3], 0 offset:20
	buffer_store_dword v29, off, s[0:3], 0 offset:16
	s_waitcnt vmcnt(8)
	buffer_store_dword v39, off, s[0:3], 0 offset:44
	buffer_store_dword v38, off, s[0:3], 0 offset:40
	buffer_store_dword v37, off, s[0:3], 0 offset:36
	buffer_store_dword v36, off, s[0:3], 0 offset:32
	;; [unrolled: 5-line block ×10, first 2 shown]
	s_cbranch_scc1 .LBB10_56
; %bb.4:
	v_cmp_eq_u32_e64 s6, 0, v0
	s_and_saveexec_b32 s7, s6
; %bb.5:
	v_mov_b32_e32 v3, 0
	ds_write_b32 v3, v3 offset:352
; %bb.6:
	s_or_b32 exec_lo, exec_lo, s7
	v_lshl_add_u32 v36, v0, 4, 0
	s_waitcnt lgkmcnt(0)
	s_waitcnt_vscnt null, 0x0
	s_barrier
	buffer_gl0_inv
	s_clause 0x3
	buffer_load_dword v3, v36, s[0:3], 0 offen
	buffer_load_dword v4, v36, s[0:3], 0 offen offset:4
	buffer_load_dword v5, v36, s[0:3], 0 offen offset:8
	buffer_load_dword v6, v36, s[0:3], 0 offen offset:12
	s_waitcnt vmcnt(2)
	v_cmp_eq_f64_e32 vcc_lo, 0, v[3:4]
	s_waitcnt vmcnt(0)
	v_cmp_eq_f64_e64 s7, 0, v[5:6]
	s_and_b32 s7, vcc_lo, s7
	s_and_saveexec_b32 s25, s7
	s_cbranch_execz .LBB10_10
; %bb.7:
	v_mov_b32_e32 v3, 0
	s_mov_b32 s26, 0
	ds_read_b32 v4, v3 offset:352
	s_waitcnt lgkmcnt(0)
	v_readfirstlane_b32 s7, v4
	v_add_nc_u32_e32 v4, 1, v0
	s_cmp_eq_u32 s7, 0
	v_cmp_gt_i32_e32 vcc_lo, s7, v4
	s_cselect_b32 s27, -1, 0
	s_or_b32 s27, s27, vcc_lo
	s_and_b32 exec_lo, exec_lo, s27
	s_cbranch_execz .LBB10_10
; %bb.8:
	v_mov_b32_e32 v5, s7
.LBB10_9:                               ; =>This Inner Loop Header: Depth=1
	ds_cmpst_rtn_b32 v5, v3, v5, v4 offset:352
	s_waitcnt lgkmcnt(0)
	v_cmp_ne_u32_e32 vcc_lo, 0, v5
	v_cmp_le_i32_e64 s7, v5, v4
	s_and_b32 s7, vcc_lo, s7
	s_and_b32 s7, exec_lo, s7
	s_or_b32 s26, s7, s26
	s_andn2_b32 exec_lo, exec_lo, s26
	s_cbranch_execnz .LBB10_9
.LBB10_10:
	s_or_b32 exec_lo, exec_lo, s25
	v_mov_b32_e32 v3, 0
	s_barrier
	buffer_gl0_inv
	ds_read_b32 v4, v3 offset:352
	s_and_saveexec_b32 s7, s6
	s_cbranch_execz .LBB10_12
; %bb.11:
	s_lshl_b64 s[26:27], s[8:9], 2
	s_add_u32 s26, s14, s26
	s_addc_u32 s27, s15, s27
	s_waitcnt lgkmcnt(0)
	global_store_dword v3, v4, s[26:27]
.LBB10_12:
	s_or_b32 exec_lo, exec_lo, s7
	s_waitcnt lgkmcnt(0)
	v_cmp_ne_u32_e32 vcc_lo, 0, v4
	s_mov_b32 s7, 0
	s_cbranch_vccnz .LBB10_56
; %bb.13:
	s_clause 0x3
	buffer_load_dword v31, v36, s[0:3], 0 offen
	buffer_load_dword v32, v36, s[0:3], 0 offen offset:4
	buffer_load_dword v33, v36, s[0:3], 0 offen offset:8
	;; [unrolled: 1-line block ×3, first 2 shown]
                                        ; implicit-def: $vgpr29_vgpr30
                                        ; implicit-def: $vgpr5_vgpr6
	s_waitcnt vmcnt(0)
	v_cmp_ngt_f64_e64 s7, |v[31:32]|, |v[33:34]|
	s_and_saveexec_b32 s25, s7
	s_xor_b32 s7, exec_lo, s25
	s_cbranch_execz .LBB10_15
; %bb.14:
	v_div_scale_f64 v[3:4], null, v[33:34], v[33:34], v[31:32]
	v_div_scale_f64 v[37:38], vcc_lo, v[31:32], v[33:34], v[31:32]
	v_rcp_f64_e32 v[5:6], v[3:4]
	v_fma_f64 v[29:30], -v[3:4], v[5:6], 1.0
	v_fma_f64 v[5:6], v[5:6], v[29:30], v[5:6]
	v_fma_f64 v[29:30], -v[3:4], v[5:6], 1.0
	v_fma_f64 v[5:6], v[5:6], v[29:30], v[5:6]
	v_mul_f64 v[29:30], v[37:38], v[5:6]
	v_fma_f64 v[3:4], -v[3:4], v[29:30], v[37:38]
	v_div_fmas_f64 v[3:4], v[3:4], v[5:6], v[29:30]
	v_div_fixup_f64 v[3:4], v[3:4], v[33:34], v[31:32]
	v_fma_f64 v[5:6], v[31:32], v[3:4], v[33:34]
	v_div_scale_f64 v[29:30], null, v[5:6], v[5:6], 1.0
	v_div_scale_f64 v[37:38], vcc_lo, 1.0, v[5:6], 1.0
	v_rcp_f64_e32 v[31:32], v[29:30]
	v_fma_f64 v[33:34], -v[29:30], v[31:32], 1.0
	v_fma_f64 v[31:32], v[31:32], v[33:34], v[31:32]
	v_fma_f64 v[33:34], -v[29:30], v[31:32], 1.0
	v_fma_f64 v[31:32], v[31:32], v[33:34], v[31:32]
	v_mul_f64 v[33:34], v[37:38], v[31:32]
	v_fma_f64 v[29:30], -v[29:30], v[33:34], v[37:38]
	v_div_fmas_f64 v[29:30], v[29:30], v[31:32], v[33:34]
                                        ; implicit-def: $vgpr31_vgpr32
                                        ; implicit-def: $vgpr33_vgpr34
	v_div_fixup_f64 v[5:6], v[29:30], v[5:6], 1.0
	v_mul_f64 v[29:30], v[3:4], v[5:6]
	v_xor_b32_e32 v6, 0x80000000, v6
	v_xor_b32_e32 v4, 0x80000000, v30
	v_mov_b32_e32 v3, v29
.LBB10_15:
	s_andn2_saveexec_b32 s7, s7
	s_cbranch_execz .LBB10_17
; %bb.16:
	v_div_scale_f64 v[3:4], null, v[31:32], v[31:32], v[33:34]
	v_div_scale_f64 v[37:38], vcc_lo, v[33:34], v[31:32], v[33:34]
	v_rcp_f64_e32 v[5:6], v[3:4]
	v_fma_f64 v[29:30], -v[3:4], v[5:6], 1.0
	v_fma_f64 v[5:6], v[5:6], v[29:30], v[5:6]
	v_fma_f64 v[29:30], -v[3:4], v[5:6], 1.0
	v_fma_f64 v[5:6], v[5:6], v[29:30], v[5:6]
	v_mul_f64 v[29:30], v[37:38], v[5:6]
	v_fma_f64 v[3:4], -v[3:4], v[29:30], v[37:38]
	v_div_fmas_f64 v[3:4], v[3:4], v[5:6], v[29:30]
	v_div_fixup_f64 v[3:4], v[3:4], v[31:32], v[33:34]
	v_fma_f64 v[5:6], v[33:34], v[3:4], v[31:32]
	v_div_scale_f64 v[29:30], null, v[5:6], v[5:6], 1.0
	v_rcp_f64_e32 v[31:32], v[29:30]
	v_fma_f64 v[33:34], -v[29:30], v[31:32], 1.0
	v_fma_f64 v[31:32], v[31:32], v[33:34], v[31:32]
	v_fma_f64 v[33:34], -v[29:30], v[31:32], 1.0
	v_fma_f64 v[31:32], v[31:32], v[33:34], v[31:32]
	v_div_scale_f64 v[33:34], vcc_lo, 1.0, v[5:6], 1.0
	v_mul_f64 v[37:38], v[33:34], v[31:32]
	v_fma_f64 v[29:30], -v[29:30], v[37:38], v[33:34]
	v_div_fmas_f64 v[29:30], v[29:30], v[31:32], v[37:38]
	v_div_fixup_f64 v[29:30], v[29:30], v[5:6], 1.0
	v_mul_f64 v[5:6], v[3:4], -v[29:30]
	v_xor_b32_e32 v4, 0x80000000, v30
	v_mov_b32_e32 v3, v29
.LBB10_17:
	s_or_b32 exec_lo, exec_lo, s7
	v_mov_b32_e32 v34, s23
	buffer_store_dword v30, v36, s[0:3], 0 offen offset:4
	buffer_store_dword v29, v36, s[0:3], 0 offen
	buffer_store_dword v6, v36, s[0:3], 0 offen offset:12
	buffer_store_dword v5, v36, s[0:3], 0 offen offset:8
	v_xor_b32_e32 v6, 0x80000000, v6
	v_add_nc_u32_e32 v29, 0xb0, v35
	s_clause 0x3
	buffer_load_dword v33, v34, s[0:3], 0 offen offset:12
	buffer_load_dword v32, v34, s[0:3], 0 offen offset:8
	;; [unrolled: 1-line block ×3, first 2 shown]
	buffer_load_dword v30, v34, s[0:3], 0 offen
	ds_write_b128 v35, v[3:6]
	s_waitcnt vmcnt(0)
	ds_write_b128 v35, v[30:33] offset:176
	s_waitcnt lgkmcnt(0)
	s_waitcnt_vscnt null, 0x0
	s_barrier
	buffer_gl0_inv
	s_and_saveexec_b32 s7, s6
	s_cbranch_execz .LBB10_19
; %bb.18:
	s_clause 0x3
	buffer_load_dword v37, v36, s[0:3], 0 offen offset:8
	buffer_load_dword v38, v36, s[0:3], 0 offen offset:12
	buffer_load_dword v39, v36, s[0:3], 0 offen
	buffer_load_dword v40, v36, s[0:3], 0 offen offset:4
	ds_read_b128 v[3:6], v29
	v_mov_b32_e32 v30, 0
	ds_read_b128 v[30:33], v30 offset:16
	s_waitcnt vmcnt(2) lgkmcnt(1)
	v_mul_f64 v[41:42], v[3:4], v[37:38]
	v_mul_f64 v[37:38], v[5:6], v[37:38]
	s_waitcnt vmcnt(0)
	v_fma_f64 v[5:6], v[5:6], v[39:40], v[41:42]
	v_fma_f64 v[3:4], v[3:4], v[39:40], -v[37:38]
	v_add_f64 v[5:6], v[5:6], 0
	v_add_f64 v[3:4], v[3:4], 0
	s_waitcnt lgkmcnt(0)
	v_mul_f64 v[37:38], v[5:6], v[32:33]
	v_mul_f64 v[32:33], v[3:4], v[32:33]
	v_fma_f64 v[3:4], v[3:4], v[30:31], -v[37:38]
	v_fma_f64 v[5:6], v[5:6], v[30:31], v[32:33]
	buffer_store_dword v3, off, s[0:3], 0 offset:16
	buffer_store_dword v4, off, s[0:3], 0 offset:20
	buffer_store_dword v5, off, s[0:3], 0 offset:24
	buffer_store_dword v6, off, s[0:3], 0 offset:28
.LBB10_19:
	s_or_b32 exec_lo, exec_lo, s7
	v_mov_b32_e32 v6, s22
	s_waitcnt_vscnt null, 0x0
	s_barrier
	buffer_gl0_inv
	s_mov_b32 s7, exec_lo
	s_clause 0x3
	buffer_load_dword v3, v6, s[0:3], 0 offen
	buffer_load_dword v4, v6, s[0:3], 0 offen offset:4
	buffer_load_dword v5, v6, s[0:3], 0 offen offset:8
	buffer_load_dword v6, v6, s[0:3], 0 offen offset:12
	s_waitcnt vmcnt(0)
	ds_write_b128 v29, v[3:6]
	s_waitcnt lgkmcnt(0)
	s_barrier
	buffer_gl0_inv
	v_cmpx_gt_u32_e32 2, v0
	s_cbranch_execz .LBB10_23
; %bb.20:
	s_clause 0x3
	buffer_load_dword v30, v36, s[0:3], 0 offen offset:8
	buffer_load_dword v31, v36, s[0:3], 0 offen offset:12
	buffer_load_dword v32, v36, s[0:3], 0 offen
	buffer_load_dword v33, v36, s[0:3], 0 offen offset:4
	ds_read_b128 v[3:6], v29
	s_waitcnt vmcnt(2) lgkmcnt(0)
	v_mul_f64 v[36:37], v[5:6], v[30:31]
	v_mul_f64 v[30:31], v[3:4], v[30:31]
	s_waitcnt vmcnt(0)
	v_fma_f64 v[3:4], v[3:4], v[32:33], -v[36:37]
	v_fma_f64 v[5:6], v[5:6], v[32:33], v[30:31]
	v_add_f64 v[3:4], v[3:4], 0
	v_add_f64 v[5:6], v[5:6], 0
	s_and_saveexec_b32 s25, s6
	s_cbranch_execz .LBB10_22
; %bb.21:
	s_clause 0x3
	buffer_load_dword v36, off, s[0:3], 0 offset:24
	buffer_load_dword v37, off, s[0:3], 0 offset:28
	;; [unrolled: 1-line block ×4, first 2 shown]
	v_mov_b32_e32 v30, 0
	ds_read_b128 v[30:33], v30 offset:192
	s_waitcnt vmcnt(2) lgkmcnt(0)
	v_mul_f64 v[40:41], v[30:31], v[36:37]
	v_mul_f64 v[36:37], v[32:33], v[36:37]
	s_waitcnt vmcnt(0)
	v_fma_f64 v[32:33], v[32:33], v[38:39], v[40:41]
	v_fma_f64 v[30:31], v[30:31], v[38:39], -v[36:37]
	v_add_f64 v[5:6], v[5:6], v[32:33]
	v_add_f64 v[3:4], v[3:4], v[30:31]
.LBB10_22:
	s_or_b32 exec_lo, exec_lo, s25
	v_mov_b32_e32 v30, 0
	ds_read_b128 v[30:33], v30 offset:32
	s_waitcnt lgkmcnt(0)
	v_mul_f64 v[36:37], v[5:6], v[32:33]
	v_mul_f64 v[32:33], v[3:4], v[32:33]
	v_fma_f64 v[3:4], v[3:4], v[30:31], -v[36:37]
	v_fma_f64 v[5:6], v[5:6], v[30:31], v[32:33]
	buffer_store_dword v4, off, s[0:3], 0 offset:36
	buffer_store_dword v3, off, s[0:3], 0 offset:32
	;; [unrolled: 1-line block ×4, first 2 shown]
.LBB10_23:
	s_or_b32 exec_lo, exec_lo, s7
	v_mov_b32_e32 v6, s21
	s_waitcnt_vscnt null, 0x0
	s_barrier
	buffer_gl0_inv
	v_add_nc_u32_e32 v30, -1, v0
	s_clause 0x3
	buffer_load_dword v3, v6, s[0:3], 0 offen
	buffer_load_dword v4, v6, s[0:3], 0 offen offset:4
	buffer_load_dword v5, v6, s[0:3], 0 offen offset:8
	;; [unrolled: 1-line block ×3, first 2 shown]
	s_mov_b32 s6, exec_lo
	s_waitcnt vmcnt(0)
	ds_write_b128 v29, v[3:6]
	s_waitcnt lgkmcnt(0)
	s_barrier
	buffer_gl0_inv
	v_cmpx_gt_u32_e32 3, v0
	s_cbranch_execz .LBB10_27
; %bb.24:
	v_mov_b32_e32 v3, 0
	v_mov_b32_e32 v5, 0
	v_add_nc_u32_e32 v31, -1, v0
	v_add_nc_u32_e32 v32, 0xb0, v35
	v_mov_b32_e32 v4, 0
	v_mov_b32_e32 v6, 0
	;; [unrolled: 1-line block ×3, first 2 shown]
	s_mov_b32 s7, 0
	.p2align	6
.LBB10_25:                              ; =>This Inner Loop Header: Depth=1
	s_clause 0x3
	buffer_load_dword v40, v33, s[0:3], 0 offen offset:8
	buffer_load_dword v41, v33, s[0:3], 0 offen offset:12
	buffer_load_dword v42, v33, s[0:3], 0 offen
	buffer_load_dword v43, v33, s[0:3], 0 offen offset:4
	ds_read_b128 v[36:39], v32
	v_add_nc_u32_e32 v31, 1, v31
	v_add_nc_u32_e32 v32, 16, v32
	;; [unrolled: 1-line block ×3, first 2 shown]
	v_cmp_lt_u32_e32 vcc_lo, 1, v31
	s_or_b32 s7, vcc_lo, s7
	s_waitcnt vmcnt(2) lgkmcnt(0)
	v_mul_f64 v[44:45], v[38:39], v[40:41]
	v_mul_f64 v[40:41], v[36:37], v[40:41]
	s_waitcnt vmcnt(0)
	v_fma_f64 v[36:37], v[36:37], v[42:43], -v[44:45]
	v_fma_f64 v[38:39], v[38:39], v[42:43], v[40:41]
	v_add_f64 v[5:6], v[5:6], v[36:37]
	v_add_f64 v[3:4], v[3:4], v[38:39]
	s_andn2_b32 exec_lo, exec_lo, s7
	s_cbranch_execnz .LBB10_25
; %bb.26:
	s_or_b32 exec_lo, exec_lo, s7
	v_mov_b32_e32 v31, 0
	ds_read_b128 v[31:34], v31 offset:48
	s_waitcnt lgkmcnt(0)
	v_mul_f64 v[36:37], v[3:4], v[33:34]
	v_mul_f64 v[33:34], v[5:6], v[33:34]
	v_fma_f64 v[5:6], v[5:6], v[31:32], -v[36:37]
	v_fma_f64 v[3:4], v[3:4], v[31:32], v[33:34]
	buffer_store_dword v6, off, s[0:3], 0 offset:52
	buffer_store_dword v5, off, s[0:3], 0 offset:48
	;; [unrolled: 1-line block ×4, first 2 shown]
.LBB10_27:
	s_or_b32 exec_lo, exec_lo, s6
	v_mov_b32_e32 v6, s20
	s_waitcnt_vscnt null, 0x0
	s_barrier
	buffer_gl0_inv
	s_mov_b32 s6, exec_lo
	s_clause 0x3
	buffer_load_dword v3, v6, s[0:3], 0 offen
	buffer_load_dword v4, v6, s[0:3], 0 offen offset:4
	buffer_load_dword v5, v6, s[0:3], 0 offen offset:8
	buffer_load_dword v6, v6, s[0:3], 0 offen offset:12
	s_waitcnt vmcnt(0)
	ds_write_b128 v29, v[3:6]
	s_waitcnt lgkmcnt(0)
	s_barrier
	buffer_gl0_inv
	v_cmpx_gt_u32_e32 4, v0
	s_cbranch_execz .LBB10_31
; %bb.28:
	v_mov_b32_e32 v3, 0
	v_mov_b32_e32 v5, 0
	v_add_nc_u32_e32 v31, -1, v0
	v_add_nc_u32_e32 v32, 0xb0, v35
	v_mov_b32_e32 v4, 0
	v_mov_b32_e32 v6, 0
	;; [unrolled: 1-line block ×3, first 2 shown]
	s_mov_b32 s7, 0
	.p2align	6
.LBB10_29:                              ; =>This Inner Loop Header: Depth=1
	s_clause 0x3
	buffer_load_dword v40, v33, s[0:3], 0 offen offset:8
	buffer_load_dword v41, v33, s[0:3], 0 offen offset:12
	buffer_load_dword v42, v33, s[0:3], 0 offen
	buffer_load_dword v43, v33, s[0:3], 0 offen offset:4
	ds_read_b128 v[36:39], v32
	v_add_nc_u32_e32 v31, 1, v31
	v_add_nc_u32_e32 v32, 16, v32
	;; [unrolled: 1-line block ×3, first 2 shown]
	v_cmp_lt_u32_e32 vcc_lo, 2, v31
	s_or_b32 s7, vcc_lo, s7
	s_waitcnt vmcnt(2) lgkmcnt(0)
	v_mul_f64 v[44:45], v[38:39], v[40:41]
	v_mul_f64 v[40:41], v[36:37], v[40:41]
	s_waitcnt vmcnt(0)
	v_fma_f64 v[36:37], v[36:37], v[42:43], -v[44:45]
	v_fma_f64 v[38:39], v[38:39], v[42:43], v[40:41]
	v_add_f64 v[5:6], v[5:6], v[36:37]
	v_add_f64 v[3:4], v[3:4], v[38:39]
	s_andn2_b32 exec_lo, exec_lo, s7
	s_cbranch_execnz .LBB10_29
; %bb.30:
	s_or_b32 exec_lo, exec_lo, s7
	v_mov_b32_e32 v31, 0
	ds_read_b128 v[31:34], v31 offset:64
	s_waitcnt lgkmcnt(0)
	v_mul_f64 v[36:37], v[3:4], v[33:34]
	v_mul_f64 v[33:34], v[5:6], v[33:34]
	v_fma_f64 v[5:6], v[5:6], v[31:32], -v[36:37]
	v_fma_f64 v[3:4], v[3:4], v[31:32], v[33:34]
	buffer_store_dword v6, off, s[0:3], 0 offset:68
	buffer_store_dword v5, off, s[0:3], 0 offset:64
	buffer_store_dword v4, off, s[0:3], 0 offset:76
	buffer_store_dword v3, off, s[0:3], 0 offset:72
.LBB10_31:
	s_or_b32 exec_lo, exec_lo, s6
	v_mov_b32_e32 v6, s19
	s_waitcnt_vscnt null, 0x0
	s_barrier
	buffer_gl0_inv
	s_mov_b32 s6, exec_lo
	s_clause 0x3
	buffer_load_dword v3, v6, s[0:3], 0 offen
	buffer_load_dword v4, v6, s[0:3], 0 offen offset:4
	buffer_load_dword v5, v6, s[0:3], 0 offen offset:8
	;; [unrolled: 1-line block ×3, first 2 shown]
	s_waitcnt vmcnt(0)
	ds_write_b128 v29, v[3:6]
	s_waitcnt lgkmcnt(0)
	s_barrier
	buffer_gl0_inv
	v_cmpx_gt_u32_e32 5, v0
	s_cbranch_execz .LBB10_35
; %bb.32:
	v_mov_b32_e32 v3, 0
	v_mov_b32_e32 v5, 0
	v_add_nc_u32_e32 v31, -1, v0
	v_add_nc_u32_e32 v32, 0xb0, v35
	v_mov_b32_e32 v4, 0
	v_mov_b32_e32 v6, 0
	;; [unrolled: 1-line block ×3, first 2 shown]
	s_mov_b32 s7, 0
	.p2align	6
.LBB10_33:                              ; =>This Inner Loop Header: Depth=1
	s_clause 0x3
	buffer_load_dword v40, v33, s[0:3], 0 offen offset:8
	buffer_load_dword v41, v33, s[0:3], 0 offen offset:12
	buffer_load_dword v42, v33, s[0:3], 0 offen
	buffer_load_dword v43, v33, s[0:3], 0 offen offset:4
	ds_read_b128 v[36:39], v32
	v_add_nc_u32_e32 v31, 1, v31
	v_add_nc_u32_e32 v32, 16, v32
	;; [unrolled: 1-line block ×3, first 2 shown]
	v_cmp_lt_u32_e32 vcc_lo, 3, v31
	s_or_b32 s7, vcc_lo, s7
	s_waitcnt vmcnt(2) lgkmcnt(0)
	v_mul_f64 v[44:45], v[38:39], v[40:41]
	v_mul_f64 v[40:41], v[36:37], v[40:41]
	s_waitcnt vmcnt(0)
	v_fma_f64 v[36:37], v[36:37], v[42:43], -v[44:45]
	v_fma_f64 v[38:39], v[38:39], v[42:43], v[40:41]
	v_add_f64 v[5:6], v[5:6], v[36:37]
	v_add_f64 v[3:4], v[3:4], v[38:39]
	s_andn2_b32 exec_lo, exec_lo, s7
	s_cbranch_execnz .LBB10_33
; %bb.34:
	s_or_b32 exec_lo, exec_lo, s7
	v_mov_b32_e32 v31, 0
	ds_read_b128 v[31:34], v31 offset:80
	s_waitcnt lgkmcnt(0)
	v_mul_f64 v[36:37], v[3:4], v[33:34]
	v_mul_f64 v[33:34], v[5:6], v[33:34]
	v_fma_f64 v[5:6], v[5:6], v[31:32], -v[36:37]
	v_fma_f64 v[3:4], v[3:4], v[31:32], v[33:34]
	buffer_store_dword v6, off, s[0:3], 0 offset:84
	buffer_store_dword v5, off, s[0:3], 0 offset:80
	;; [unrolled: 1-line block ×4, first 2 shown]
.LBB10_35:
	s_or_b32 exec_lo, exec_lo, s6
	v_mov_b32_e32 v6, s18
	s_waitcnt_vscnt null, 0x0
	s_barrier
	buffer_gl0_inv
	s_mov_b32 s6, exec_lo
	s_clause 0x3
	buffer_load_dword v3, v6, s[0:3], 0 offen
	buffer_load_dword v4, v6, s[0:3], 0 offen offset:4
	buffer_load_dword v5, v6, s[0:3], 0 offen offset:8
	;; [unrolled: 1-line block ×3, first 2 shown]
	s_waitcnt vmcnt(0)
	ds_write_b128 v29, v[3:6]
	s_waitcnt lgkmcnt(0)
	s_barrier
	buffer_gl0_inv
	v_cmpx_gt_u32_e32 6, v0
	s_cbranch_execz .LBB10_39
; %bb.36:
	v_mov_b32_e32 v3, 0
	v_mov_b32_e32 v5, 0
	v_add_nc_u32_e32 v31, -1, v0
	v_add_nc_u32_e32 v32, 0xb0, v35
	v_mov_b32_e32 v4, 0
	v_mov_b32_e32 v6, 0
	;; [unrolled: 1-line block ×3, first 2 shown]
	s_mov_b32 s7, 0
	.p2align	6
.LBB10_37:                              ; =>This Inner Loop Header: Depth=1
	s_clause 0x3
	buffer_load_dword v40, v33, s[0:3], 0 offen offset:8
	buffer_load_dword v41, v33, s[0:3], 0 offen offset:12
	buffer_load_dword v42, v33, s[0:3], 0 offen
	buffer_load_dword v43, v33, s[0:3], 0 offen offset:4
	ds_read_b128 v[36:39], v32
	v_add_nc_u32_e32 v31, 1, v31
	v_add_nc_u32_e32 v32, 16, v32
	v_add_nc_u32_e32 v33, 16, v33
	v_cmp_lt_u32_e32 vcc_lo, 4, v31
	s_or_b32 s7, vcc_lo, s7
	s_waitcnt vmcnt(2) lgkmcnt(0)
	v_mul_f64 v[44:45], v[38:39], v[40:41]
	v_mul_f64 v[40:41], v[36:37], v[40:41]
	s_waitcnt vmcnt(0)
	v_fma_f64 v[36:37], v[36:37], v[42:43], -v[44:45]
	v_fma_f64 v[38:39], v[38:39], v[42:43], v[40:41]
	v_add_f64 v[5:6], v[5:6], v[36:37]
	v_add_f64 v[3:4], v[3:4], v[38:39]
	s_andn2_b32 exec_lo, exec_lo, s7
	s_cbranch_execnz .LBB10_37
; %bb.38:
	s_or_b32 exec_lo, exec_lo, s7
	v_mov_b32_e32 v31, 0
	ds_read_b128 v[31:34], v31 offset:96
	s_waitcnt lgkmcnt(0)
	v_mul_f64 v[36:37], v[3:4], v[33:34]
	v_mul_f64 v[33:34], v[5:6], v[33:34]
	v_fma_f64 v[5:6], v[5:6], v[31:32], -v[36:37]
	v_fma_f64 v[3:4], v[3:4], v[31:32], v[33:34]
	buffer_store_dword v6, off, s[0:3], 0 offset:100
	buffer_store_dword v5, off, s[0:3], 0 offset:96
	;; [unrolled: 1-line block ×4, first 2 shown]
.LBB10_39:
	s_or_b32 exec_lo, exec_lo, s6
	v_mov_b32_e32 v6, s17
	s_waitcnt_vscnt null, 0x0
	s_barrier
	buffer_gl0_inv
	s_mov_b32 s6, exec_lo
	s_clause 0x3
	buffer_load_dword v3, v6, s[0:3], 0 offen
	buffer_load_dword v4, v6, s[0:3], 0 offen offset:4
	buffer_load_dword v5, v6, s[0:3], 0 offen offset:8
	;; [unrolled: 1-line block ×3, first 2 shown]
	s_waitcnt vmcnt(0)
	ds_write_b128 v29, v[3:6]
	s_waitcnt lgkmcnt(0)
	s_barrier
	buffer_gl0_inv
	v_cmpx_gt_u32_e32 7, v0
	s_cbranch_execz .LBB10_43
; %bb.40:
	v_mov_b32_e32 v3, 0
	v_mov_b32_e32 v5, 0
	v_add_nc_u32_e32 v31, -1, v0
	v_add_nc_u32_e32 v32, 0xb0, v35
	v_mov_b32_e32 v4, 0
	v_mov_b32_e32 v6, 0
	;; [unrolled: 1-line block ×3, first 2 shown]
	s_mov_b32 s7, 0
	.p2align	6
.LBB10_41:                              ; =>This Inner Loop Header: Depth=1
	s_clause 0x3
	buffer_load_dword v40, v33, s[0:3], 0 offen offset:8
	buffer_load_dword v41, v33, s[0:3], 0 offen offset:12
	buffer_load_dword v42, v33, s[0:3], 0 offen
	buffer_load_dword v43, v33, s[0:3], 0 offen offset:4
	ds_read_b128 v[36:39], v32
	v_add_nc_u32_e32 v31, 1, v31
	v_add_nc_u32_e32 v32, 16, v32
	;; [unrolled: 1-line block ×3, first 2 shown]
	v_cmp_lt_u32_e32 vcc_lo, 5, v31
	s_or_b32 s7, vcc_lo, s7
	s_waitcnt vmcnt(2) lgkmcnt(0)
	v_mul_f64 v[44:45], v[38:39], v[40:41]
	v_mul_f64 v[40:41], v[36:37], v[40:41]
	s_waitcnt vmcnt(0)
	v_fma_f64 v[36:37], v[36:37], v[42:43], -v[44:45]
	v_fma_f64 v[38:39], v[38:39], v[42:43], v[40:41]
	v_add_f64 v[5:6], v[5:6], v[36:37]
	v_add_f64 v[3:4], v[3:4], v[38:39]
	s_andn2_b32 exec_lo, exec_lo, s7
	s_cbranch_execnz .LBB10_41
; %bb.42:
	s_or_b32 exec_lo, exec_lo, s7
	v_mov_b32_e32 v31, 0
	ds_read_b128 v[31:34], v31 offset:112
	s_waitcnt lgkmcnt(0)
	v_mul_f64 v[36:37], v[3:4], v[33:34]
	v_mul_f64 v[33:34], v[5:6], v[33:34]
	v_fma_f64 v[5:6], v[5:6], v[31:32], -v[36:37]
	v_fma_f64 v[3:4], v[3:4], v[31:32], v[33:34]
	buffer_store_dword v6, off, s[0:3], 0 offset:116
	buffer_store_dword v5, off, s[0:3], 0 offset:112
	;; [unrolled: 1-line block ×4, first 2 shown]
.LBB10_43:
	s_or_b32 exec_lo, exec_lo, s6
	v_mov_b32_e32 v6, s16
	s_waitcnt_vscnt null, 0x0
	s_barrier
	buffer_gl0_inv
	s_mov_b32 s6, exec_lo
	s_clause 0x3
	buffer_load_dword v3, v6, s[0:3], 0 offen
	buffer_load_dword v4, v6, s[0:3], 0 offen offset:4
	buffer_load_dword v5, v6, s[0:3], 0 offen offset:8
	;; [unrolled: 1-line block ×3, first 2 shown]
	s_waitcnt vmcnt(0)
	ds_write_b128 v29, v[3:6]
	s_waitcnt lgkmcnt(0)
	s_barrier
	buffer_gl0_inv
	v_cmpx_gt_u32_e32 8, v0
	s_cbranch_execz .LBB10_47
; %bb.44:
	v_mov_b32_e32 v3, 0
	v_mov_b32_e32 v5, 0
	v_add_nc_u32_e32 v31, -1, v0
	v_add_nc_u32_e32 v32, 0xb0, v35
	v_mov_b32_e32 v4, 0
	v_mov_b32_e32 v6, 0
	;; [unrolled: 1-line block ×3, first 2 shown]
	s_mov_b32 s7, 0
	.p2align	6
.LBB10_45:                              ; =>This Inner Loop Header: Depth=1
	s_clause 0x3
	buffer_load_dword v40, v33, s[0:3], 0 offen offset:8
	buffer_load_dword v41, v33, s[0:3], 0 offen offset:12
	buffer_load_dword v42, v33, s[0:3], 0 offen
	buffer_load_dword v43, v33, s[0:3], 0 offen offset:4
	ds_read_b128 v[36:39], v32
	v_add_nc_u32_e32 v31, 1, v31
	v_add_nc_u32_e32 v32, 16, v32
	;; [unrolled: 1-line block ×3, first 2 shown]
	v_cmp_lt_u32_e32 vcc_lo, 6, v31
	s_or_b32 s7, vcc_lo, s7
	s_waitcnt vmcnt(2) lgkmcnt(0)
	v_mul_f64 v[44:45], v[38:39], v[40:41]
	v_mul_f64 v[40:41], v[36:37], v[40:41]
	s_waitcnt vmcnt(0)
	v_fma_f64 v[36:37], v[36:37], v[42:43], -v[44:45]
	v_fma_f64 v[38:39], v[38:39], v[42:43], v[40:41]
	v_add_f64 v[5:6], v[5:6], v[36:37]
	v_add_f64 v[3:4], v[3:4], v[38:39]
	s_andn2_b32 exec_lo, exec_lo, s7
	s_cbranch_execnz .LBB10_45
; %bb.46:
	s_or_b32 exec_lo, exec_lo, s7
	v_mov_b32_e32 v31, 0
	ds_read_b128 v[31:34], v31 offset:128
	s_waitcnt lgkmcnt(0)
	v_mul_f64 v[36:37], v[3:4], v[33:34]
	v_mul_f64 v[33:34], v[5:6], v[33:34]
	v_fma_f64 v[5:6], v[5:6], v[31:32], -v[36:37]
	v_fma_f64 v[3:4], v[3:4], v[31:32], v[33:34]
	buffer_store_dword v6, off, s[0:3], 0 offset:132
	buffer_store_dword v5, off, s[0:3], 0 offset:128
	;; [unrolled: 1-line block ×4, first 2 shown]
.LBB10_47:
	s_or_b32 exec_lo, exec_lo, s6
	v_mov_b32_e32 v6, s13
	s_waitcnt_vscnt null, 0x0
	s_barrier
	buffer_gl0_inv
	s_mov_b32 s6, exec_lo
	s_clause 0x3
	buffer_load_dword v3, v6, s[0:3], 0 offen
	buffer_load_dword v4, v6, s[0:3], 0 offen offset:4
	buffer_load_dword v5, v6, s[0:3], 0 offen offset:8
	;; [unrolled: 1-line block ×3, first 2 shown]
	s_waitcnt vmcnt(0)
	ds_write_b128 v29, v[3:6]
	s_waitcnt lgkmcnt(0)
	s_barrier
	buffer_gl0_inv
	v_cmpx_gt_u32_e32 9, v0
	s_cbranch_execz .LBB10_51
; %bb.48:
	v_mov_b32_e32 v3, 0
	v_mov_b32_e32 v5, 0
	v_add_nc_u32_e32 v31, -1, v0
	v_add_nc_u32_e32 v32, 0xb0, v35
	v_mov_b32_e32 v4, 0
	v_mov_b32_e32 v6, 0
	;; [unrolled: 1-line block ×3, first 2 shown]
	s_mov_b32 s7, 0
	.p2align	6
.LBB10_49:                              ; =>This Inner Loop Header: Depth=1
	s_clause 0x3
	buffer_load_dword v40, v33, s[0:3], 0 offen offset:8
	buffer_load_dword v41, v33, s[0:3], 0 offen offset:12
	buffer_load_dword v42, v33, s[0:3], 0 offen
	buffer_load_dword v43, v33, s[0:3], 0 offen offset:4
	ds_read_b128 v[36:39], v32
	v_add_nc_u32_e32 v31, 1, v31
	v_add_nc_u32_e32 v32, 16, v32
	v_add_nc_u32_e32 v33, 16, v33
	v_cmp_lt_u32_e32 vcc_lo, 7, v31
	s_or_b32 s7, vcc_lo, s7
	s_waitcnt vmcnt(2) lgkmcnt(0)
	v_mul_f64 v[44:45], v[38:39], v[40:41]
	v_mul_f64 v[40:41], v[36:37], v[40:41]
	s_waitcnt vmcnt(0)
	v_fma_f64 v[36:37], v[36:37], v[42:43], -v[44:45]
	v_fma_f64 v[38:39], v[38:39], v[42:43], v[40:41]
	v_add_f64 v[5:6], v[5:6], v[36:37]
	v_add_f64 v[3:4], v[3:4], v[38:39]
	s_andn2_b32 exec_lo, exec_lo, s7
	s_cbranch_execnz .LBB10_49
; %bb.50:
	s_or_b32 exec_lo, exec_lo, s7
	v_mov_b32_e32 v31, 0
	ds_read_b128 v[31:34], v31 offset:144
	s_waitcnt lgkmcnt(0)
	v_mul_f64 v[36:37], v[3:4], v[33:34]
	v_mul_f64 v[33:34], v[5:6], v[33:34]
	v_fma_f64 v[5:6], v[5:6], v[31:32], -v[36:37]
	v_fma_f64 v[3:4], v[3:4], v[31:32], v[33:34]
	buffer_store_dword v6, off, s[0:3], 0 offset:148
	buffer_store_dword v5, off, s[0:3], 0 offset:144
	;; [unrolled: 1-line block ×4, first 2 shown]
.LBB10_51:
	s_or_b32 exec_lo, exec_lo, s6
	v_mov_b32_e32 v6, s12
	s_waitcnt_vscnt null, 0x0
	s_barrier
	buffer_gl0_inv
	s_mov_b32 s6, exec_lo
	s_clause 0x3
	buffer_load_dword v3, v6, s[0:3], 0 offen
	buffer_load_dword v4, v6, s[0:3], 0 offen offset:4
	buffer_load_dword v5, v6, s[0:3], 0 offen offset:8
	;; [unrolled: 1-line block ×3, first 2 shown]
	s_waitcnt vmcnt(0)
	ds_write_b128 v29, v[3:6]
	s_waitcnt lgkmcnt(0)
	s_barrier
	buffer_gl0_inv
	v_cmpx_ne_u32_e32 10, v0
	s_cbranch_execz .LBB10_55
; %bb.52:
	v_mov_b32_e32 v3, 0
	v_mov_b32_e32 v5, 0
	;; [unrolled: 1-line block ×5, first 2 shown]
	s_mov_b32 s7, 0
	.p2align	6
.LBB10_53:                              ; =>This Inner Loop Header: Depth=1
	s_clause 0x3
	buffer_load_dword v36, v31, s[0:3], 0 offen offset:8
	buffer_load_dword v37, v31, s[0:3], 0 offen offset:12
	buffer_load_dword v38, v31, s[0:3], 0 offen
	buffer_load_dword v39, v31, s[0:3], 0 offen offset:4
	ds_read_b128 v[32:35], v29
	v_add_nc_u32_e32 v30, 1, v30
	v_add_nc_u32_e32 v29, 16, v29
	;; [unrolled: 1-line block ×3, first 2 shown]
	v_cmp_lt_u32_e32 vcc_lo, 8, v30
	s_or_b32 s7, vcc_lo, s7
	s_waitcnt vmcnt(2) lgkmcnt(0)
	v_mul_f64 v[40:41], v[34:35], v[36:37]
	v_mul_f64 v[36:37], v[32:33], v[36:37]
	s_waitcnt vmcnt(0)
	v_fma_f64 v[32:33], v[32:33], v[38:39], -v[40:41]
	v_fma_f64 v[34:35], v[34:35], v[38:39], v[36:37]
	v_add_f64 v[5:6], v[5:6], v[32:33]
	v_add_f64 v[3:4], v[3:4], v[34:35]
	s_andn2_b32 exec_lo, exec_lo, s7
	s_cbranch_execnz .LBB10_53
; %bb.54:
	s_or_b32 exec_lo, exec_lo, s7
	v_mov_b32_e32 v29, 0
	ds_read_b128 v[29:32], v29 offset:160
	s_waitcnt lgkmcnt(0)
	v_mul_f64 v[33:34], v[3:4], v[31:32]
	v_mul_f64 v[31:32], v[5:6], v[31:32]
	v_fma_f64 v[5:6], v[5:6], v[29:30], -v[33:34]
	v_fma_f64 v[3:4], v[3:4], v[29:30], v[31:32]
	buffer_store_dword v6, off, s[0:3], 0 offset:164
	buffer_store_dword v5, off, s[0:3], 0 offset:160
	;; [unrolled: 1-line block ×4, first 2 shown]
.LBB10_55:
	s_or_b32 exec_lo, exec_lo, s6
	s_mov_b32 s7, -1
	s_waitcnt_vscnt null, 0x0
	s_barrier
	buffer_gl0_inv
.LBB10_56:
	s_and_b32 vcc_lo, exec_lo, s7
	s_cbranch_vccz .LBB10_58
; %bb.57:
	s_lshl_b64 s[6:7], s[8:9], 2
	v_mov_b32_e32 v3, 0
	s_add_u32 s6, s14, s6
	s_addc_u32 s7, s15, s7
	global_load_dword v3, v3, s[6:7]
	s_waitcnt vmcnt(0)
	v_cmp_ne_u32_e32 vcc_lo, 0, v3
	s_cbranch_vccz .LBB10_59
.LBB10_58:
	s_endpgm
.LBB10_59:
	v_lshl_add_u32 v3, v0, 4, 0xb0
	s_mov_b32 s6, exec_lo
	v_cmpx_eq_u32_e32 10, v0
	s_cbranch_execz .LBB10_61
; %bb.60:
	v_mov_b32_e32 v4, s13
	s_clause 0x3
	buffer_load_dword v29, v4, s[0:3], 0 offen
	buffer_load_dword v30, v4, s[0:3], 0 offen offset:4
	buffer_load_dword v31, v4, s[0:3], 0 offen offset:8
	buffer_load_dword v32, v4, s[0:3], 0 offen offset:12
	v_mov_b32_e32 v4, 0
	buffer_store_dword v4, off, s[0:3], 0 offset:144
	buffer_store_dword v4, off, s[0:3], 0 offset:148
	;; [unrolled: 1-line block ×4, first 2 shown]
	s_waitcnt vmcnt(0)
	ds_write_b128 v3, v[29:32]
.LBB10_61:
	s_or_b32 exec_lo, exec_lo, s6
	s_waitcnt lgkmcnt(0)
	s_waitcnt_vscnt null, 0x0
	s_barrier
	buffer_gl0_inv
	s_clause 0x7
	buffer_load_dword v5, off, s[0:3], 0 offset:168
	buffer_load_dword v6, off, s[0:3], 0 offset:172
	;; [unrolled: 1-line block ×8, first 2 shown]
	v_mov_b32_e32 v4, 0
	s_mov_b32 s6, exec_lo
	ds_read_b128 v[29:32], v4 offset:336
	s_waitcnt vmcnt(6) lgkmcnt(0)
	v_mul_f64 v[39:40], v[31:32], v[5:6]
	v_mul_f64 v[5:6], v[29:30], v[5:6]
	s_waitcnt vmcnt(4)
	v_fma_f64 v[29:30], v[29:30], v[33:34], -v[39:40]
	v_fma_f64 v[5:6], v[31:32], v[33:34], v[5:6]
	v_add_f64 v[29:30], v[29:30], 0
	v_add_f64 v[5:6], v[5:6], 0
	s_waitcnt vmcnt(2)
	v_add_f64 v[29:30], v[35:36], -v[29:30]
	s_waitcnt vmcnt(0)
	v_add_f64 v[5:6], v[37:38], -v[5:6]
	buffer_store_dword v29, off, s[0:3], 0 offset:144
	buffer_store_dword v30, off, s[0:3], 0 offset:148
	;; [unrolled: 1-line block ×4, first 2 shown]
	v_cmpx_lt_u32_e32 8, v0
	s_cbranch_execz .LBB10_63
; %bb.62:
	v_mov_b32_e32 v5, s16
	s_clause 0x3
	buffer_load_dword v29, v5, s[0:3], 0 offen
	buffer_load_dword v30, v5, s[0:3], 0 offen offset:4
	buffer_load_dword v31, v5, s[0:3], 0 offen offset:8
	;; [unrolled: 1-line block ×3, first 2 shown]
	buffer_store_dword v4, off, s[0:3], 0 offset:128
	buffer_store_dword v4, off, s[0:3], 0 offset:132
	;; [unrolled: 1-line block ×4, first 2 shown]
	s_waitcnt vmcnt(0)
	ds_write_b128 v3, v[29:32]
.LBB10_63:
	s_or_b32 exec_lo, exec_lo, s6
	s_waitcnt lgkmcnt(0)
	s_waitcnt_vscnt null, 0x0
	s_barrier
	buffer_gl0_inv
	s_clause 0xb
	buffer_load_dword v5, off, s[0:3], 0 offset:152
	buffer_load_dword v6, off, s[0:3], 0 offset:156
	;; [unrolled: 1-line block ×12, first 2 shown]
	ds_read_b128 v[29:32], v4 offset:320
	ds_read_b128 v[33:36], v4 offset:336
	s_mov_b32 s6, exec_lo
	s_waitcnt vmcnt(10) lgkmcnt(1)
	v_mul_f64 v[47:48], v[31:32], v[5:6]
	v_mul_f64 v[4:5], v[29:30], v[5:6]
	s_waitcnt vmcnt(8) lgkmcnt(0)
	v_mul_f64 v[49:50], v[35:36], v[37:38]
	v_mul_f64 v[37:38], v[33:34], v[37:38]
	s_waitcnt vmcnt(6)
	v_fma_f64 v[29:30], v[29:30], v[39:40], -v[47:48]
	v_fma_f64 v[4:5], v[31:32], v[39:40], v[4:5]
	s_waitcnt vmcnt(4)
	v_fma_f64 v[31:32], v[33:34], v[41:42], -v[49:50]
	v_fma_f64 v[33:34], v[35:36], v[41:42], v[37:38]
	v_add_f64 v[29:30], v[29:30], 0
	v_add_f64 v[4:5], v[4:5], 0
	;; [unrolled: 1-line block ×4, first 2 shown]
	s_waitcnt vmcnt(2)
	v_add_f64 v[29:30], v[43:44], -v[29:30]
	s_waitcnt vmcnt(0)
	v_add_f64 v[4:5], v[45:46], -v[4:5]
	buffer_store_dword v29, off, s[0:3], 0 offset:128
	buffer_store_dword v30, off, s[0:3], 0 offset:132
	;; [unrolled: 1-line block ×4, first 2 shown]
	v_cmpx_lt_u32_e32 7, v0
	s_cbranch_execz .LBB10_65
; %bb.64:
	v_mov_b32_e32 v4, s17
	s_clause 0x3
	buffer_load_dword v29, v4, s[0:3], 0 offen
	buffer_load_dword v30, v4, s[0:3], 0 offen offset:4
	buffer_load_dword v31, v4, s[0:3], 0 offen offset:8
	;; [unrolled: 1-line block ×3, first 2 shown]
	v_mov_b32_e32 v4, 0
	buffer_store_dword v4, off, s[0:3], 0 offset:112
	buffer_store_dword v4, off, s[0:3], 0 offset:116
	;; [unrolled: 1-line block ×4, first 2 shown]
	s_waitcnt vmcnt(0)
	ds_write_b128 v3, v[29:32]
.LBB10_65:
	s_or_b32 exec_lo, exec_lo, s6
	s_waitcnt lgkmcnt(0)
	s_waitcnt_vscnt null, 0x0
	s_barrier
	buffer_gl0_inv
	s_clause 0xf
	buffer_load_dword v5, off, s[0:3], 0 offset:136
	buffer_load_dword v6, off, s[0:3], 0 offset:140
	;; [unrolled: 1-line block ×16, first 2 shown]
	v_mov_b32_e32 v4, 0
	ds_read_b128 v[29:32], v4 offset:304
	ds_read_b128 v[33:36], v4 offset:320
	;; [unrolled: 1-line block ×3, first 2 shown]
	s_mov_b32 s6, exec_lo
	s_waitcnt vmcnt(14) lgkmcnt(2)
	v_mul_f64 v[55:56], v[31:32], v[5:6]
	v_mul_f64 v[5:6], v[29:30], v[5:6]
	s_waitcnt vmcnt(12) lgkmcnt(1)
	v_mul_f64 v[57:58], v[35:36], v[41:42]
	v_mul_f64 v[41:42], v[33:34], v[41:42]
	s_waitcnt vmcnt(10)
	v_fma_f64 v[29:30], v[29:30], v[43:44], -v[55:56]
	v_fma_f64 v[5:6], v[31:32], v[43:44], v[5:6]
	s_waitcnt vmcnt(8) lgkmcnt(0)
	v_mul_f64 v[43:44], v[39:40], v[45:46]
	s_waitcnt vmcnt(6)
	v_fma_f64 v[33:34], v[33:34], v[47:48], -v[57:58]
	v_mul_f64 v[31:32], v[37:38], v[45:46]
	v_fma_f64 v[35:36], v[35:36], v[47:48], v[41:42]
	v_add_f64 v[29:30], v[29:30], 0
	v_add_f64 v[5:6], v[5:6], 0
	s_waitcnt vmcnt(4)
	v_fma_f64 v[37:38], v[37:38], v[49:50], -v[43:44]
	v_fma_f64 v[31:32], v[39:40], v[49:50], v[31:32]
	v_add_f64 v[29:30], v[29:30], v[33:34]
	v_add_f64 v[5:6], v[5:6], v[35:36]
	;; [unrolled: 1-line block ×4, first 2 shown]
	s_waitcnt vmcnt(2)
	v_add_f64 v[29:30], v[51:52], -v[29:30]
	s_waitcnt vmcnt(0)
	v_add_f64 v[5:6], v[53:54], -v[5:6]
	buffer_store_dword v29, off, s[0:3], 0 offset:112
	buffer_store_dword v30, off, s[0:3], 0 offset:116
	;; [unrolled: 1-line block ×4, first 2 shown]
	v_cmpx_lt_u32_e32 6, v0
	s_cbranch_execz .LBB10_67
; %bb.66:
	v_mov_b32_e32 v5, s18
	s_clause 0x3
	buffer_load_dword v29, v5, s[0:3], 0 offen
	buffer_load_dword v30, v5, s[0:3], 0 offen offset:4
	buffer_load_dword v31, v5, s[0:3], 0 offen offset:8
	;; [unrolled: 1-line block ×3, first 2 shown]
	buffer_store_dword v4, off, s[0:3], 0 offset:96
	buffer_store_dword v4, off, s[0:3], 0 offset:100
	;; [unrolled: 1-line block ×4, first 2 shown]
	s_waitcnt vmcnt(0)
	ds_write_b128 v3, v[29:32]
.LBB10_67:
	s_or_b32 exec_lo, exec_lo, s6
	s_waitcnt lgkmcnt(0)
	s_waitcnt_vscnt null, 0x0
	s_barrier
	buffer_gl0_inv
	s_clause 0x13
	buffer_load_dword v5, off, s[0:3], 0 offset:120
	buffer_load_dword v6, off, s[0:3], 0 offset:124
	;; [unrolled: 1-line block ×20, first 2 shown]
	ds_read_b128 v[29:32], v4 offset:288
	ds_read_b128 v[33:36], v4 offset:304
	;; [unrolled: 1-line block ×3, first 2 shown]
	s_mov_b32 s6, exec_lo
	s_waitcnt vmcnt(18) lgkmcnt(2)
	v_mul_f64 v[59:60], v[31:32], v[5:6]
	v_mul_f64 v[5:6], v[29:30], v[5:6]
	s_waitcnt vmcnt(16) lgkmcnt(1)
	v_mul_f64 v[61:62], v[35:36], v[41:42]
	v_mul_f64 v[41:42], v[33:34], v[41:42]
	s_waitcnt vmcnt(14)
	v_fma_f64 v[59:60], v[29:30], v[43:44], -v[59:60]
	v_fma_f64 v[5:6], v[31:32], v[43:44], v[5:6]
	ds_read_b128 v[29:32], v4 offset:336
	s_waitcnt vmcnt(12) lgkmcnt(1)
	v_mul_f64 v[43:44], v[37:38], v[45:46]
	v_mul_f64 v[45:46], v[39:40], v[45:46]
	s_waitcnt vmcnt(10)
	v_fma_f64 v[33:34], v[33:34], v[47:48], -v[61:62]
	v_fma_f64 v[35:36], v[35:36], v[47:48], v[41:42]
	s_waitcnt vmcnt(8) lgkmcnt(0)
	v_mul_f64 v[47:48], v[31:32], v[49:50]
	v_add_f64 v[59:60], v[59:60], 0
	v_add_f64 v[4:5], v[5:6], 0
	v_mul_f64 v[41:42], v[29:30], v[49:50]
	s_waitcnt vmcnt(6)
	v_fma_f64 v[37:38], v[37:38], v[51:52], -v[45:46]
	v_fma_f64 v[39:40], v[39:40], v[51:52], v[43:44]
	s_waitcnt vmcnt(4)
	v_fma_f64 v[29:30], v[29:30], v[53:54], -v[47:48]
	v_add_f64 v[33:34], v[59:60], v[33:34]
	v_add_f64 v[4:5], v[4:5], v[35:36]
	v_fma_f64 v[31:32], v[31:32], v[53:54], v[41:42]
	v_add_f64 v[33:34], v[33:34], v[37:38]
	v_add_f64 v[4:5], v[4:5], v[39:40]
	;; [unrolled: 1-line block ×4, first 2 shown]
	s_waitcnt vmcnt(2)
	v_add_f64 v[29:30], v[55:56], -v[29:30]
	s_waitcnt vmcnt(0)
	v_add_f64 v[4:5], v[57:58], -v[4:5]
	buffer_store_dword v29, off, s[0:3], 0 offset:96
	buffer_store_dword v30, off, s[0:3], 0 offset:100
	;; [unrolled: 1-line block ×4, first 2 shown]
	v_cmpx_lt_u32_e32 5, v0
	s_cbranch_execz .LBB10_69
; %bb.68:
	v_mov_b32_e32 v4, s19
	s_clause 0x3
	buffer_load_dword v29, v4, s[0:3], 0 offen
	buffer_load_dword v30, v4, s[0:3], 0 offen offset:4
	buffer_load_dword v31, v4, s[0:3], 0 offen offset:8
	;; [unrolled: 1-line block ×3, first 2 shown]
	v_mov_b32_e32 v4, 0
	buffer_store_dword v4, off, s[0:3], 0 offset:80
	buffer_store_dword v4, off, s[0:3], 0 offset:84
	;; [unrolled: 1-line block ×4, first 2 shown]
	s_waitcnt vmcnt(0)
	ds_write_b128 v3, v[29:32]
.LBB10_69:
	s_or_b32 exec_lo, exec_lo, s6
	s_waitcnt lgkmcnt(0)
	s_waitcnt_vscnt null, 0x0
	s_barrier
	buffer_gl0_inv
	s_clause 0x17
	buffer_load_dword v5, off, s[0:3], 0 offset:104
	buffer_load_dword v6, off, s[0:3], 0 offset:108
	;; [unrolled: 1-line block ×24, first 2 shown]
	v_mov_b32_e32 v4, 0
	ds_read_b128 v[29:32], v4 offset:272
	ds_read_b128 v[33:36], v4 offset:288
	;; [unrolled: 1-line block ×3, first 2 shown]
	s_mov_b32 s6, exec_lo
	s_waitcnt vmcnt(22) lgkmcnt(2)
	v_mul_f64 v[63:64], v[31:32], v[5:6]
	v_mul_f64 v[5:6], v[29:30], v[5:6]
	s_waitcnt vmcnt(20) lgkmcnt(1)
	v_mul_f64 v[65:66], v[35:36], v[41:42]
	v_mul_f64 v[41:42], v[33:34], v[41:42]
	s_waitcnt vmcnt(18)
	v_fma_f64 v[63:64], v[29:30], v[43:44], -v[63:64]
	v_fma_f64 v[5:6], v[31:32], v[43:44], v[5:6]
	ds_read_b128 v[29:32], v4 offset:320
	s_waitcnt vmcnt(16) lgkmcnt(1)
	v_mul_f64 v[43:44], v[37:38], v[45:46]
	v_mul_f64 v[45:46], v[39:40], v[45:46]
	s_waitcnt vmcnt(14)
	v_fma_f64 v[65:66], v[33:34], v[47:48], -v[65:66]
	v_fma_f64 v[41:42], v[35:36], v[47:48], v[41:42]
	ds_read_b128 v[33:36], v4 offset:336
	s_waitcnt vmcnt(10) lgkmcnt(1)
	v_mul_f64 v[47:48], v[29:30], v[49:50]
	v_add_f64 v[63:64], v[63:64], 0
	v_add_f64 v[5:6], v[5:6], 0
	v_mul_f64 v[49:50], v[31:32], v[49:50]
	s_waitcnt vmcnt(8)
	v_fma_f64 v[37:38], v[37:38], v[55:56], -v[45:46]
	v_fma_f64 v[39:40], v[39:40], v[55:56], v[43:44]
	s_waitcnt vmcnt(7) lgkmcnt(0)
	v_mul_f64 v[43:44], v[35:36], v[51:52]
	s_waitcnt vmcnt(5)
	v_fma_f64 v[31:32], v[31:32], v[57:58], v[47:48]
	v_add_f64 v[45:46], v[63:64], v[65:66]
	v_add_f64 v[5:6], v[5:6], v[41:42]
	v_fma_f64 v[29:30], v[29:30], v[57:58], -v[49:50]
	v_mul_f64 v[41:42], v[33:34], v[51:52]
	s_waitcnt vmcnt(4)
	v_fma_f64 v[33:34], v[33:34], v[53:54], -v[43:44]
	v_add_f64 v[37:38], v[45:46], v[37:38]
	v_add_f64 v[5:6], v[5:6], v[39:40]
	v_fma_f64 v[35:36], v[35:36], v[53:54], v[41:42]
	v_add_f64 v[29:30], v[37:38], v[29:30]
	v_add_f64 v[5:6], v[5:6], v[31:32]
	;; [unrolled: 1-line block ×4, first 2 shown]
	s_waitcnt vmcnt(2)
	v_add_f64 v[29:30], v[59:60], -v[29:30]
	s_waitcnt vmcnt(0)
	v_add_f64 v[5:6], v[61:62], -v[5:6]
	buffer_store_dword v30, off, s[0:3], 0 offset:84
	buffer_store_dword v29, off, s[0:3], 0 offset:80
	;; [unrolled: 1-line block ×4, first 2 shown]
	v_cmpx_lt_u32_e32 4, v0
	s_cbranch_execz .LBB10_71
; %bb.70:
	v_mov_b32_e32 v5, s20
	s_clause 0x3
	buffer_load_dword v29, v5, s[0:3], 0 offen
	buffer_load_dword v30, v5, s[0:3], 0 offen offset:4
	buffer_load_dword v31, v5, s[0:3], 0 offen offset:8
	;; [unrolled: 1-line block ×3, first 2 shown]
	buffer_store_dword v4, off, s[0:3], 0 offset:64
	buffer_store_dword v4, off, s[0:3], 0 offset:68
	;; [unrolled: 1-line block ×4, first 2 shown]
	s_waitcnt vmcnt(0)
	ds_write_b128 v3, v[29:32]
.LBB10_71:
	s_or_b32 exec_lo, exec_lo, s6
	s_waitcnt lgkmcnt(0)
	s_waitcnt_vscnt null, 0x0
	s_barrier
	buffer_gl0_inv
	s_clause 0x1b
	buffer_load_dword v5, off, s[0:3], 0 offset:88
	buffer_load_dword v6, off, s[0:3], 0 offset:92
	;; [unrolled: 1-line block ×28, first 2 shown]
	ds_read_b128 v[29:32], v4 offset:256
	ds_read_b128 v[33:36], v4 offset:272
	;; [unrolled: 1-line block ×3, first 2 shown]
	s_mov_b32 s6, exec_lo
	s_waitcnt vmcnt(26) lgkmcnt(2)
	v_mul_f64 v[67:68], v[31:32], v[5:6]
	v_mul_f64 v[5:6], v[29:30], v[5:6]
	s_waitcnt vmcnt(24) lgkmcnt(1)
	v_mul_f64 v[69:70], v[35:36], v[41:42]
	v_mul_f64 v[41:42], v[33:34], v[41:42]
	s_waitcnt vmcnt(22)
	v_fma_f64 v[67:68], v[29:30], v[43:44], -v[67:68]
	v_fma_f64 v[5:6], v[31:32], v[43:44], v[5:6]
	ds_read_b128 v[29:32], v4 offset:304
	s_waitcnt vmcnt(20) lgkmcnt(1)
	v_mul_f64 v[43:44], v[37:38], v[45:46]
	v_mul_f64 v[45:46], v[39:40], v[45:46]
	s_waitcnt vmcnt(18)
	v_fma_f64 v[69:70], v[33:34], v[47:48], -v[69:70]
	v_fma_f64 v[41:42], v[35:36], v[47:48], v[41:42]
	ds_read_b128 v[33:36], v4 offset:320
	s_waitcnt vmcnt(14) lgkmcnt(1)
	v_mul_f64 v[47:48], v[29:30], v[49:50]
	v_add_f64 v[67:68], v[67:68], 0
	v_add_f64 v[5:6], v[5:6], 0
	v_mul_f64 v[49:50], v[31:32], v[49:50]
	s_waitcnt vmcnt(12)
	v_fma_f64 v[45:46], v[37:38], v[55:56], -v[45:46]
	v_fma_f64 v[43:44], v[39:40], v[55:56], v[43:44]
	ds_read_b128 v[37:40], v4 offset:336
	s_waitcnt vmcnt(9)
	v_fma_f64 v[31:32], v[31:32], v[57:58], v[47:48]
	v_add_f64 v[67:68], v[67:68], v[69:70]
	v_add_f64 v[5:6], v[5:6], v[41:42]
	s_waitcnt lgkmcnt(1)
	v_mul_f64 v[41:42], v[33:34], v[51:52]
	v_mul_f64 v[51:52], v[35:36], v[51:52]
	v_fma_f64 v[29:30], v[29:30], v[57:58], -v[49:50]
	s_waitcnt vmcnt(7) lgkmcnt(0)
	v_mul_f64 v[47:48], v[39:40], v[59:60]
	v_add_f64 v[45:46], v[67:68], v[45:46]
	v_add_f64 v[4:5], v[5:6], v[43:44]
	v_mul_f64 v[43:44], v[37:38], v[59:60]
	s_waitcnt vmcnt(6)
	v_fma_f64 v[33:34], v[33:34], v[53:54], -v[51:52]
	v_fma_f64 v[35:36], v[35:36], v[53:54], v[41:42]
	v_add_f64 v[29:30], v[45:46], v[29:30]
	v_add_f64 v[4:5], v[4:5], v[31:32]
	s_waitcnt vmcnt(4)
	v_fma_f64 v[31:32], v[37:38], v[61:62], -v[47:48]
	v_add_f64 v[29:30], v[29:30], v[33:34]
	v_fma_f64 v[33:34], v[39:40], v[61:62], v[43:44]
	v_add_f64 v[4:5], v[4:5], v[35:36]
	v_add_f64 v[29:30], v[29:30], v[31:32]
	;; [unrolled: 1-line block ×3, first 2 shown]
	s_waitcnt vmcnt(2)
	v_add_f64 v[29:30], v[63:64], -v[29:30]
	s_waitcnt vmcnt(0)
	v_add_f64 v[4:5], v[65:66], -v[4:5]
	buffer_store_dword v30, off, s[0:3], 0 offset:68
	buffer_store_dword v29, off, s[0:3], 0 offset:64
	;; [unrolled: 1-line block ×4, first 2 shown]
	v_cmpx_lt_u32_e32 3, v0
	s_cbranch_execz .LBB10_73
; %bb.72:
	v_mov_b32_e32 v4, s21
	s_clause 0x3
	buffer_load_dword v29, v4, s[0:3], 0 offen
	buffer_load_dword v30, v4, s[0:3], 0 offen offset:4
	buffer_load_dword v31, v4, s[0:3], 0 offen offset:8
	;; [unrolled: 1-line block ×3, first 2 shown]
	v_mov_b32_e32 v4, 0
	buffer_store_dword v4, off, s[0:3], 0 offset:48
	buffer_store_dword v4, off, s[0:3], 0 offset:52
	;; [unrolled: 1-line block ×4, first 2 shown]
	s_waitcnt vmcnt(0)
	ds_write_b128 v3, v[29:32]
.LBB10_73:
	s_or_b32 exec_lo, exec_lo, s6
	s_waitcnt lgkmcnt(0)
	s_waitcnt_vscnt null, 0x0
	s_barrier
	buffer_gl0_inv
	s_clause 0x1f
	buffer_load_dword v5, off, s[0:3], 0 offset:72
	buffer_load_dword v6, off, s[0:3], 0 offset:76
	;; [unrolled: 1-line block ×32, first 2 shown]
	v_mov_b32_e32 v4, 0
	ds_read_b128 v[29:32], v4 offset:240
	ds_read_b128 v[33:36], v4 offset:256
	ds_read_b128 v[37:40], v4 offset:272
	s_mov_b32 s6, exec_lo
	s_waitcnt vmcnt(30) lgkmcnt(2)
	v_mul_f64 v[71:72], v[31:32], v[5:6]
	v_mul_f64 v[5:6], v[29:30], v[5:6]
	s_waitcnt vmcnt(28) lgkmcnt(1)
	v_mul_f64 v[73:74], v[35:36], v[41:42]
	v_mul_f64 v[41:42], v[33:34], v[41:42]
	s_waitcnt vmcnt(26)
	v_fma_f64 v[71:72], v[29:30], v[43:44], -v[71:72]
	v_fma_f64 v[5:6], v[31:32], v[43:44], v[5:6]
	ds_read_b128 v[29:32], v4 offset:288
	s_waitcnt vmcnt(24) lgkmcnt(1)
	v_mul_f64 v[43:44], v[37:38], v[45:46]
	v_mul_f64 v[45:46], v[39:40], v[45:46]
	s_waitcnt vmcnt(22)
	v_fma_f64 v[73:74], v[33:34], v[47:48], -v[73:74]
	v_fma_f64 v[41:42], v[35:36], v[47:48], v[41:42]
	ds_read_b128 v[33:36], v4 offset:304
	s_waitcnt vmcnt(18) lgkmcnt(1)
	v_mul_f64 v[47:48], v[29:30], v[49:50]
	v_add_f64 v[71:72], v[71:72], 0
	v_add_f64 v[5:6], v[5:6], 0
	v_mul_f64 v[49:50], v[31:32], v[49:50]
	s_waitcnt vmcnt(16)
	v_fma_f64 v[45:46], v[37:38], v[55:56], -v[45:46]
	v_fma_f64 v[43:44], v[39:40], v[55:56], v[43:44]
	ds_read_b128 v[37:40], v4 offset:320
	s_waitcnt vmcnt(13)
	v_fma_f64 v[47:48], v[31:32], v[57:58], v[47:48]
	v_add_f64 v[71:72], v[71:72], v[73:74]
	v_add_f64 v[5:6], v[5:6], v[41:42]
	s_waitcnt lgkmcnt(1)
	v_mul_f64 v[41:42], v[33:34], v[51:52]
	v_mul_f64 v[51:52], v[35:36], v[51:52]
	v_fma_f64 v[49:50], v[29:30], v[57:58], -v[49:50]
	s_waitcnt vmcnt(9) lgkmcnt(0)
	v_mul_f64 v[55:56], v[39:40], v[59:60]
	ds_read_b128 v[29:32], v4 offset:336
	v_add_f64 v[45:46], v[71:72], v[45:46]
	v_add_f64 v[5:6], v[5:6], v[43:44]
	v_mul_f64 v[43:44], v[37:38], v[59:60]
	s_waitcnt vmcnt(8)
	v_fma_f64 v[33:34], v[33:34], v[53:54], -v[51:52]
	v_fma_f64 v[35:36], v[35:36], v[53:54], v[41:42]
	s_waitcnt vmcnt(5)
	v_fma_f64 v[37:38], v[37:38], v[65:66], -v[55:56]
	s_waitcnt lgkmcnt(0)
	v_mul_f64 v[41:42], v[29:30], v[61:62]
	v_add_f64 v[45:46], v[45:46], v[49:50]
	v_add_f64 v[5:6], v[5:6], v[47:48]
	v_mul_f64 v[47:48], v[31:32], v[61:62]
	v_fma_f64 v[39:40], v[39:40], v[65:66], v[43:44]
	s_waitcnt vmcnt(4)
	v_fma_f64 v[31:32], v[31:32], v[63:64], v[41:42]
	v_add_f64 v[33:34], v[45:46], v[33:34]
	v_add_f64 v[5:6], v[5:6], v[35:36]
	v_fma_f64 v[29:30], v[29:30], v[63:64], -v[47:48]
	v_add_f64 v[33:34], v[33:34], v[37:38]
	v_add_f64 v[5:6], v[5:6], v[39:40]
	;; [unrolled: 1-line block ×4, first 2 shown]
	s_waitcnt vmcnt(2)
	v_add_f64 v[29:30], v[67:68], -v[29:30]
	s_waitcnt vmcnt(0)
	v_add_f64 v[5:6], v[69:70], -v[5:6]
	buffer_store_dword v30, off, s[0:3], 0 offset:52
	buffer_store_dword v29, off, s[0:3], 0 offset:48
	;; [unrolled: 1-line block ×4, first 2 shown]
	v_cmpx_lt_u32_e32 2, v0
	s_cbranch_execz .LBB10_75
; %bb.74:
	v_mov_b32_e32 v5, s22
	s_clause 0x3
	buffer_load_dword v29, v5, s[0:3], 0 offen
	buffer_load_dword v30, v5, s[0:3], 0 offen offset:4
	buffer_load_dword v31, v5, s[0:3], 0 offen offset:8
	;; [unrolled: 1-line block ×3, first 2 shown]
	buffer_store_dword v4, off, s[0:3], 0 offset:32
	buffer_store_dword v4, off, s[0:3], 0 offset:36
	;; [unrolled: 1-line block ×4, first 2 shown]
	s_waitcnt vmcnt(0)
	ds_write_b128 v3, v[29:32]
.LBB10_75:
	s_or_b32 exec_lo, exec_lo, s6
	s_waitcnt lgkmcnt(0)
	s_waitcnt_vscnt null, 0x0
	s_barrier
	buffer_gl0_inv
	s_clause 0x23
	buffer_load_dword v5, off, s[0:3], 0 offset:56
	buffer_load_dword v6, off, s[0:3], 0 offset:60
	;; [unrolled: 1-line block ×36, first 2 shown]
	ds_read_b128 v[29:32], v4 offset:224
	ds_read_b128 v[33:36], v4 offset:240
	;; [unrolled: 1-line block ×3, first 2 shown]
	s_mov_b32 s6, exec_lo
	s_waitcnt vmcnt(34) lgkmcnt(2)
	v_mul_f64 v[75:76], v[31:32], v[5:6]
	v_mul_f64 v[5:6], v[29:30], v[5:6]
	s_waitcnt vmcnt(32) lgkmcnt(1)
	v_mul_f64 v[77:78], v[35:36], v[41:42]
	v_mul_f64 v[41:42], v[33:34], v[41:42]
	s_waitcnt vmcnt(30)
	v_fma_f64 v[75:76], v[29:30], v[43:44], -v[75:76]
	v_fma_f64 v[5:6], v[31:32], v[43:44], v[5:6]
	ds_read_b128 v[29:32], v4 offset:272
	s_waitcnt vmcnt(28) lgkmcnt(1)
	v_mul_f64 v[43:44], v[37:38], v[45:46]
	v_mul_f64 v[45:46], v[39:40], v[45:46]
	s_waitcnt vmcnt(26)
	v_fma_f64 v[77:78], v[33:34], v[47:48], -v[77:78]
	v_fma_f64 v[41:42], v[35:36], v[47:48], v[41:42]
	ds_read_b128 v[33:36], v4 offset:288
	s_waitcnt vmcnt(24) lgkmcnt(1)
	v_mul_f64 v[47:48], v[29:30], v[49:50]
	v_add_f64 v[75:76], v[75:76], 0
	v_add_f64 v[5:6], v[5:6], 0
	v_mul_f64 v[49:50], v[31:32], v[49:50]
	s_waitcnt vmcnt(22)
	v_fma_f64 v[45:46], v[37:38], v[51:52], -v[45:46]
	v_fma_f64 v[43:44], v[39:40], v[51:52], v[43:44]
	ds_read_b128 v[37:40], v4 offset:304
	s_waitcnt vmcnt(20) lgkmcnt(1)
	v_mul_f64 v[51:52], v[35:36], v[53:54]
	s_waitcnt vmcnt(18)
	v_fma_f64 v[47:48], v[31:32], v[55:56], v[47:48]
	v_add_f64 v[75:76], v[75:76], v[77:78]
	v_add_f64 v[5:6], v[5:6], v[41:42]
	v_fma_f64 v[49:50], v[29:30], v[55:56], -v[49:50]
	v_mul_f64 v[41:42], v[33:34], v[53:54]
	s_waitcnt vmcnt(16) lgkmcnt(0)
	v_mul_f64 v[53:54], v[39:40], v[57:58]
	ds_read_b128 v[29:32], v4 offset:320
	s_waitcnt vmcnt(14)
	v_fma_f64 v[51:52], v[33:34], v[59:60], -v[51:52]
	v_add_f64 v[45:46], v[75:76], v[45:46]
	v_add_f64 v[5:6], v[5:6], v[43:44]
	v_mul_f64 v[43:44], v[37:38], v[57:58]
	v_fma_f64 v[41:42], v[35:36], v[59:60], v[41:42]
	ds_read_b128 v[33:36], v4 offset:336
	s_waitcnt vmcnt(10)
	v_fma_f64 v[37:38], v[37:38], v[63:64], -v[53:54]
	v_add_f64 v[45:46], v[45:46], v[49:50]
	v_add_f64 v[5:6], v[5:6], v[47:48]
	s_waitcnt lgkmcnt(1)
	v_mul_f64 v[49:50], v[31:32], v[61:62]
	v_mul_f64 v[47:48], v[29:30], v[61:62]
	v_fma_f64 v[39:40], v[39:40], v[63:64], v[43:44]
	s_waitcnt vmcnt(8) lgkmcnt(0)
	v_mul_f64 v[43:44], v[35:36], v[65:66]
	v_add_f64 v[45:46], v[45:46], v[51:52]
	v_add_f64 v[4:5], v[5:6], v[41:42]
	s_waitcnt vmcnt(6)
	v_fma_f64 v[29:30], v[29:30], v[67:68], -v[49:50]
	v_mul_f64 v[41:42], v[33:34], v[65:66]
	v_fma_f64 v[31:32], v[31:32], v[67:68], v[47:48]
	s_waitcnt vmcnt(4)
	v_fma_f64 v[33:34], v[33:34], v[69:70], -v[43:44]
	v_add_f64 v[37:38], v[45:46], v[37:38]
	v_add_f64 v[4:5], v[4:5], v[39:40]
	v_fma_f64 v[35:36], v[35:36], v[69:70], v[41:42]
	v_add_f64 v[29:30], v[37:38], v[29:30]
	v_add_f64 v[4:5], v[4:5], v[31:32]
	;; [unrolled: 1-line block ×4, first 2 shown]
	s_waitcnt vmcnt(2)
	v_add_f64 v[29:30], v[71:72], -v[29:30]
	s_waitcnt vmcnt(0)
	v_add_f64 v[4:5], v[73:74], -v[4:5]
	buffer_store_dword v30, off, s[0:3], 0 offset:36
	buffer_store_dword v29, off, s[0:3], 0 offset:32
	;; [unrolled: 1-line block ×4, first 2 shown]
	v_cmpx_lt_u32_e32 1, v0
	s_cbranch_execz .LBB10_77
; %bb.76:
	v_mov_b32_e32 v4, s23
	s_clause 0x3
	buffer_load_dword v29, v4, s[0:3], 0 offen
	buffer_load_dword v30, v4, s[0:3], 0 offen offset:4
	buffer_load_dword v31, v4, s[0:3], 0 offen offset:8
	;; [unrolled: 1-line block ×3, first 2 shown]
	v_mov_b32_e32 v4, 0
	buffer_store_dword v4, off, s[0:3], 0 offset:16
	buffer_store_dword v4, off, s[0:3], 0 offset:20
	;; [unrolled: 1-line block ×4, first 2 shown]
	s_waitcnt vmcnt(0)
	ds_write_b128 v3, v[29:32]
.LBB10_77:
	s_or_b32 exec_lo, exec_lo, s6
	s_waitcnt lgkmcnt(0)
	s_waitcnt_vscnt null, 0x0
	s_barrier
	buffer_gl0_inv
	s_clause 0x27
	buffer_load_dword v5, off, s[0:3], 0 offset:40
	buffer_load_dword v6, off, s[0:3], 0 offset:44
	;; [unrolled: 1-line block ×40, first 2 shown]
	v_mov_b32_e32 v4, 0
	ds_read_b128 v[29:32], v4 offset:208
	ds_read_b128 v[33:36], v4 offset:224
	;; [unrolled: 1-line block ×3, first 2 shown]
	s_mov_b32 s6, exec_lo
	s_waitcnt vmcnt(38) lgkmcnt(2)
	v_mul_f64 v[79:80], v[31:32], v[5:6]
	v_mul_f64 v[5:6], v[29:30], v[5:6]
	s_waitcnt vmcnt(36) lgkmcnt(1)
	v_mul_f64 v[81:82], v[35:36], v[41:42]
	v_mul_f64 v[41:42], v[33:34], v[41:42]
	s_waitcnt vmcnt(34)
	v_fma_f64 v[79:80], v[29:30], v[43:44], -v[79:80]
	v_fma_f64 v[5:6], v[31:32], v[43:44], v[5:6]
	ds_read_b128 v[29:32], v4 offset:256
	s_waitcnt vmcnt(32) lgkmcnt(1)
	v_mul_f64 v[43:44], v[37:38], v[45:46]
	v_mul_f64 v[45:46], v[39:40], v[45:46]
	s_waitcnt vmcnt(30)
	v_fma_f64 v[81:82], v[33:34], v[47:48], -v[81:82]
	v_fma_f64 v[41:42], v[35:36], v[47:48], v[41:42]
	ds_read_b128 v[33:36], v4 offset:272
	s_waitcnt vmcnt(26) lgkmcnt(1)
	v_mul_f64 v[47:48], v[29:30], v[49:50]
	v_add_f64 v[79:80], v[79:80], 0
	v_add_f64 v[5:6], v[5:6], 0
	v_mul_f64 v[49:50], v[31:32], v[49:50]
	s_waitcnt vmcnt(24)
	v_fma_f64 v[45:46], v[37:38], v[55:56], -v[45:46]
	v_fma_f64 v[43:44], v[39:40], v[55:56], v[43:44]
	ds_read_b128 v[37:40], v4 offset:288
	s_waitcnt vmcnt(21)
	v_fma_f64 v[47:48], v[31:32], v[57:58], v[47:48]
	v_add_f64 v[79:80], v[79:80], v[81:82]
	v_add_f64 v[5:6], v[5:6], v[41:42]
	s_waitcnt lgkmcnt(1)
	v_mul_f64 v[41:42], v[33:34], v[51:52]
	v_mul_f64 v[51:52], v[35:36], v[51:52]
	v_fma_f64 v[49:50], v[29:30], v[57:58], -v[49:50]
	s_waitcnt vmcnt(17) lgkmcnt(0)
	v_mul_f64 v[55:56], v[39:40], v[59:60]
	ds_read_b128 v[29:32], v4 offset:304
	v_add_f64 v[45:46], v[79:80], v[45:46]
	v_add_f64 v[5:6], v[5:6], v[43:44]
	v_mul_f64 v[43:44], v[37:38], v[59:60]
	s_waitcnt vmcnt(16)
	v_fma_f64 v[51:52], v[33:34], v[53:54], -v[51:52]
	v_fma_f64 v[41:42], v[35:36], v[53:54], v[41:42]
	ds_read_b128 v[33:36], v4 offset:320
	s_waitcnt vmcnt(13)
	v_fma_f64 v[53:54], v[37:38], v[65:66], -v[55:56]
	v_add_f64 v[45:46], v[45:46], v[49:50]
	v_add_f64 v[5:6], v[5:6], v[47:48]
	s_waitcnt lgkmcnt(1)
	v_mul_f64 v[49:50], v[31:32], v[61:62]
	v_mul_f64 v[47:48], v[29:30], v[61:62]
	v_fma_f64 v[43:44], v[39:40], v[65:66], v[43:44]
	ds_read_b128 v[37:40], v4 offset:336
	v_add_f64 v[45:46], v[45:46], v[51:52]
	v_add_f64 v[5:6], v[5:6], v[41:42]
	s_waitcnt vmcnt(9) lgkmcnt(1)
	v_mul_f64 v[51:52], v[35:36], v[67:68]
	s_waitcnt vmcnt(8)
	v_fma_f64 v[29:30], v[29:30], v[63:64], -v[49:50]
	v_mul_f64 v[41:42], v[33:34], v[67:68]
	v_fma_f64 v[31:32], v[31:32], v[63:64], v[47:48]
	s_waitcnt vmcnt(7) lgkmcnt(0)
	v_mul_f64 v[47:48], v[39:40], v[69:70]
	v_add_f64 v[45:46], v[45:46], v[53:54]
	v_add_f64 v[5:6], v[5:6], v[43:44]
	s_waitcnt vmcnt(5)
	v_fma_f64 v[33:34], v[33:34], v[73:74], -v[51:52]
	v_mul_f64 v[43:44], v[37:38], v[69:70]
	v_fma_f64 v[35:36], v[35:36], v[73:74], v[41:42]
	v_add_f64 v[29:30], v[45:46], v[29:30]
	v_add_f64 v[5:6], v[5:6], v[31:32]
	s_waitcnt vmcnt(4)
	v_fma_f64 v[31:32], v[37:38], v[71:72], -v[47:48]
	v_add_f64 v[29:30], v[29:30], v[33:34]
	v_fma_f64 v[33:34], v[39:40], v[71:72], v[43:44]
	v_add_f64 v[5:6], v[5:6], v[35:36]
	v_add_f64 v[29:30], v[29:30], v[31:32]
	;; [unrolled: 1-line block ×3, first 2 shown]
	s_waitcnt vmcnt(2)
	v_add_f64 v[29:30], v[75:76], -v[29:30]
	s_waitcnt vmcnt(0)
	v_add_f64 v[5:6], v[77:78], -v[5:6]
	buffer_store_dword v30, off, s[0:3], 0 offset:20
	buffer_store_dword v29, off, s[0:3], 0 offset:16
	;; [unrolled: 1-line block ×4, first 2 shown]
	v_cmpx_ne_u32_e32 0, v0
	s_cbranch_execz .LBB10_79
; %bb.78:
	s_clause 0x3
	buffer_load_dword v29, off, s[0:3], 0
	buffer_load_dword v30, off, s[0:3], 0 offset:4
	buffer_load_dword v31, off, s[0:3], 0 offset:8
	;; [unrolled: 1-line block ×3, first 2 shown]
	buffer_store_dword v4, off, s[0:3], 0
	buffer_store_dword v4, off, s[0:3], 0 offset:4
	buffer_store_dword v4, off, s[0:3], 0 offset:8
	;; [unrolled: 1-line block ×3, first 2 shown]
	s_waitcnt vmcnt(0)
	ds_write_b128 v3, v[29:32]
.LBB10_79:
	s_or_b32 exec_lo, exec_lo, s6
	s_waitcnt lgkmcnt(0)
	s_waitcnt_vscnt null, 0x0
	s_barrier
	buffer_gl0_inv
	s_clause 0x2b
	buffer_load_dword v5, off, s[0:3], 0 offset:24
	buffer_load_dword v6, off, s[0:3], 0 offset:28
	;; [unrolled: 1-line block ×40, first 2 shown]
	buffer_load_dword v79, off, s[0:3], 0
	buffer_load_dword v80, off, s[0:3], 0 offset:4
	buffer_load_dword v81, off, s[0:3], 0 offset:8
	;; [unrolled: 1-line block ×3, first 2 shown]
	ds_read_b128 v[29:32], v4 offset:192
	ds_read_b128 v[33:36], v4 offset:208
	ds_read_b128 v[37:40], v4 offset:224
	s_and_b32 vcc_lo, exec_lo, s24
	s_waitcnt vmcnt(42) lgkmcnt(2)
	v_mul_f64 v[83:84], v[31:32], v[5:6]
	v_mul_f64 v[5:6], v[29:30], v[5:6]
	s_waitcnt vmcnt(40) lgkmcnt(1)
	v_mul_f64 v[85:86], v[35:36], v[41:42]
	v_mul_f64 v[41:42], v[33:34], v[41:42]
	s_waitcnt vmcnt(38)
	v_fma_f64 v[83:84], v[29:30], v[43:44], -v[83:84]
	v_fma_f64 v[5:6], v[31:32], v[43:44], v[5:6]
	ds_read_b128 v[29:32], v4 offset:240
	s_waitcnt vmcnt(36) lgkmcnt(1)
	v_mul_f64 v[43:44], v[37:38], v[45:46]
	v_mul_f64 v[45:46], v[39:40], v[45:46]
	s_waitcnt vmcnt(34)
	v_fma_f64 v[85:86], v[33:34], v[47:48], -v[85:86]
	v_fma_f64 v[41:42], v[35:36], v[47:48], v[41:42]
	ds_read_b128 v[33:36], v4 offset:256
	s_waitcnt vmcnt(30) lgkmcnt(1)
	v_mul_f64 v[47:48], v[29:30], v[49:50]
	v_add_f64 v[83:84], v[83:84], 0
	v_add_f64 v[5:6], v[5:6], 0
	v_mul_f64 v[49:50], v[31:32], v[49:50]
	s_waitcnt vmcnt(28)
	v_fma_f64 v[45:46], v[37:38], v[55:56], -v[45:46]
	v_fma_f64 v[43:44], v[39:40], v[55:56], v[43:44]
	ds_read_b128 v[37:40], v4 offset:272
	s_waitcnt vmcnt(25)
	v_fma_f64 v[47:48], v[31:32], v[57:58], v[47:48]
	v_add_f64 v[83:84], v[83:84], v[85:86]
	v_add_f64 v[5:6], v[5:6], v[41:42]
	s_waitcnt lgkmcnt(1)
	v_mul_f64 v[41:42], v[33:34], v[51:52]
	v_mul_f64 v[51:52], v[35:36], v[51:52]
	v_fma_f64 v[49:50], v[29:30], v[57:58], -v[49:50]
	s_waitcnt vmcnt(21) lgkmcnt(0)
	v_mul_f64 v[55:56], v[39:40], v[59:60]
	ds_read_b128 v[29:32], v4 offset:288
	v_add_f64 v[45:46], v[83:84], v[45:46]
	v_add_f64 v[5:6], v[5:6], v[43:44]
	v_mul_f64 v[43:44], v[37:38], v[59:60]
	s_waitcnt vmcnt(20)
	v_fma_f64 v[51:52], v[33:34], v[53:54], -v[51:52]
	v_fma_f64 v[41:42], v[35:36], v[53:54], v[41:42]
	ds_read_b128 v[33:36], v4 offset:304
	s_waitcnt vmcnt(17)
	v_fma_f64 v[53:54], v[37:38], v[65:66], -v[55:56]
	v_add_f64 v[45:46], v[45:46], v[49:50]
	v_add_f64 v[5:6], v[5:6], v[47:48]
	s_waitcnt lgkmcnt(1)
	v_mul_f64 v[49:50], v[31:32], v[61:62]
	v_mul_f64 v[47:48], v[29:30], v[61:62]
	v_fma_f64 v[43:44], v[39:40], v[65:66], v[43:44]
	ds_read_b128 v[37:40], v4 offset:320
	v_add_f64 v[45:46], v[45:46], v[51:52]
	v_add_f64 v[5:6], v[5:6], v[41:42]
	s_waitcnt vmcnt(13) lgkmcnt(1)
	v_mul_f64 v[51:52], v[35:36], v[67:68]
	s_waitcnt vmcnt(12)
	v_fma_f64 v[29:30], v[29:30], v[63:64], -v[49:50]
	v_mul_f64 v[41:42], v[33:34], v[67:68]
	v_fma_f64 v[31:32], v[31:32], v[63:64], v[47:48]
	s_waitcnt vmcnt(11) lgkmcnt(0)
	v_mul_f64 v[49:50], v[39:40], v[69:70]
	v_mul_f64 v[47:48], v[37:38], v[69:70]
	v_add_f64 v[45:46], v[45:46], v[53:54]
	v_add_f64 v[43:44], v[5:6], v[43:44]
	s_waitcnt vmcnt(9)
	v_fma_f64 v[33:34], v[33:34], v[73:74], -v[51:52]
	ds_read_b128 v[3:6], v4 offset:336
	v_fma_f64 v[35:36], v[35:36], v[73:74], v[41:42]
	s_waitcnt vmcnt(6)
	v_fma_f64 v[37:38], v[37:38], v[71:72], -v[49:50]
	v_add_f64 v[29:30], v[45:46], v[29:30]
	v_add_f64 v[31:32], v[43:44], v[31:32]
	s_waitcnt lgkmcnt(0)
	v_mul_f64 v[43:44], v[5:6], v[75:76]
	v_mul_f64 v[41:42], v[3:4], v[75:76]
	v_add_f64 v[29:30], v[29:30], v[33:34]
	v_fma_f64 v[33:34], v[39:40], v[71:72], v[47:48]
	v_add_f64 v[31:32], v[31:32], v[35:36]
	s_waitcnt vmcnt(4)
	v_fma_f64 v[3:4], v[3:4], v[77:78], -v[43:44]
	v_fma_f64 v[5:6], v[5:6], v[77:78], v[41:42]
	v_add_f64 v[29:30], v[29:30], v[37:38]
	v_add_f64 v[31:32], v[31:32], v[33:34]
	v_add_f64 v[3:4], v[29:30], v[3:4]
	v_add_f64 v[5:6], v[31:32], v[5:6]
	s_waitcnt vmcnt(2)
	v_add_f64 v[3:4], v[79:80], -v[3:4]
	s_waitcnt vmcnt(0)
	v_add_f64 v[5:6], v[81:82], -v[5:6]
	buffer_store_dword v4, off, s[0:3], 0 offset:4
	buffer_store_dword v3, off, s[0:3], 0
	buffer_store_dword v6, off, s[0:3], 0 offset:12
	buffer_store_dword v5, off, s[0:3], 0 offset:8
	s_cbranch_vccz .LBB10_100
; %bb.80:
	v_mov_b32_e32 v3, 0
	s_load_dwordx2 s[4:5], s[4:5], 0x4
	global_load_dword v4, v3, s[10:11] offset:36
	s_waitcnt lgkmcnt(0)
	s_lshr_b32 s4, s4, 16
	v_mul_u32_u24_e32 v5, s5, v1
	s_mul_i32 s4, s4, s5
	v_mul_u32_u24_e32 v0, s4, v0
	v_add3_u32 v0, v0, v5, v2
	v_lshl_add_u32 v0, v0, 4, 0x168
	s_waitcnt vmcnt(0)
	v_add_nc_u32_e32 v1, -1, v4
	v_cmp_ne_u32_e32 vcc_lo, 9, v1
	s_cbranch_vccz .LBB10_82
; %bb.81:
	v_lshlrev_b32_e32 v1, 4, v1
	v_mov_b32_e32 v6, s13
	v_mov_b32_e32 v29, v1
	s_clause 0x7
	buffer_load_dword v1, v6, s[0:3], 0 offen
	buffer_load_dword v2, v6, s[0:3], 0 offen offset:4
	buffer_load_dword v4, v6, s[0:3], 0 offen offset:8
	;; [unrolled: 1-line block ×3, first 2 shown]
	buffer_load_dword v30, v29, s[0:3], 0 offen
	buffer_load_dword v31, v29, s[0:3], 0 offen offset:4
	buffer_load_dword v32, v29, s[0:3], 0 offen offset:8
	;; [unrolled: 1-line block ×3, first 2 shown]
	s_waitcnt vmcnt(4)
	ds_write2_b64 v0, v[1:2], v[4:5] offset1:1
	s_waitcnt vmcnt(3)
	buffer_store_dword v30, v6, s[0:3], 0 offen
	s_waitcnt vmcnt(2)
	buffer_store_dword v31, v6, s[0:3], 0 offen offset:4
	s_waitcnt vmcnt(1)
	buffer_store_dword v32, v6, s[0:3], 0 offen offset:8
	;; [unrolled: 2-line block ×3, first 2 shown]
	buffer_store_dword v5, v29, s[0:3], 0 offen offset:12
	buffer_store_dword v4, v29, s[0:3], 0 offen offset:8
	;; [unrolled: 1-line block ×3, first 2 shown]
	buffer_store_dword v1, v29, s[0:3], 0 offen
.LBB10_82:
	global_load_dword v1, v3, s[10:11] offset:32
	s_waitcnt vmcnt(0)
	v_add_nc_u32_e32 v1, -1, v1
	v_cmp_eq_u32_e32 vcc_lo, 8, v1
	s_cbranch_vccnz .LBB10_84
; %bb.83:
	v_lshlrev_b32_e32 v1, 4, v1
	v_mov_b32_e32 v5, s16
	v_mov_b32_e32 v6, v1
	s_clause 0x7
	buffer_load_dword v1, v5, s[0:3], 0 offen
	buffer_load_dword v2, v5, s[0:3], 0 offen offset:4
	buffer_load_dword v3, v5, s[0:3], 0 offen offset:8
	;; [unrolled: 1-line block ×3, first 2 shown]
	buffer_load_dword v29, v6, s[0:3], 0 offen
	buffer_load_dword v30, v6, s[0:3], 0 offen offset:4
	buffer_load_dword v31, v6, s[0:3], 0 offen offset:8
	;; [unrolled: 1-line block ×3, first 2 shown]
	s_waitcnt vmcnt(4)
	ds_write2_b64 v0, v[1:2], v[3:4] offset1:1
	s_waitcnt vmcnt(3)
	buffer_store_dword v29, v5, s[0:3], 0 offen
	s_waitcnt vmcnt(2)
	buffer_store_dword v30, v5, s[0:3], 0 offen offset:4
	s_waitcnt vmcnt(1)
	buffer_store_dword v31, v5, s[0:3], 0 offen offset:8
	;; [unrolled: 2-line block ×3, first 2 shown]
	buffer_store_dword v4, v6, s[0:3], 0 offen offset:12
	buffer_store_dword v3, v6, s[0:3], 0 offen offset:8
	;; [unrolled: 1-line block ×3, first 2 shown]
	buffer_store_dword v1, v6, s[0:3], 0 offen
.LBB10_84:
	v_mov_b32_e32 v1, 0
	global_load_dword v2, v1, s[10:11] offset:28
	s_waitcnt vmcnt(0)
	v_add_nc_u32_e32 v2, -1, v2
	v_cmp_eq_u32_e32 vcc_lo, 7, v2
	s_cbranch_vccnz .LBB10_86
; %bb.85:
	v_lshlrev_b32_e32 v2, 4, v2
	v_mov_b32_e32 v6, s17
	v_mov_b32_e32 v29, v2
	s_clause 0x7
	buffer_load_dword v2, v6, s[0:3], 0 offen
	buffer_load_dword v3, v6, s[0:3], 0 offen offset:4
	buffer_load_dword v4, v6, s[0:3], 0 offen offset:8
	;; [unrolled: 1-line block ×3, first 2 shown]
	buffer_load_dword v30, v29, s[0:3], 0 offen
	buffer_load_dword v31, v29, s[0:3], 0 offen offset:4
	buffer_load_dword v32, v29, s[0:3], 0 offen offset:8
	;; [unrolled: 1-line block ×3, first 2 shown]
	s_waitcnt vmcnt(4)
	ds_write2_b64 v0, v[2:3], v[4:5] offset1:1
	s_waitcnt vmcnt(3)
	buffer_store_dword v30, v6, s[0:3], 0 offen
	s_waitcnt vmcnt(2)
	buffer_store_dword v31, v6, s[0:3], 0 offen offset:4
	s_waitcnt vmcnt(1)
	buffer_store_dword v32, v6, s[0:3], 0 offen offset:8
	;; [unrolled: 2-line block ×3, first 2 shown]
	buffer_store_dword v5, v29, s[0:3], 0 offen offset:12
	buffer_store_dword v4, v29, s[0:3], 0 offen offset:8
	;; [unrolled: 1-line block ×3, first 2 shown]
	buffer_store_dword v2, v29, s[0:3], 0 offen
.LBB10_86:
	global_load_dword v1, v1, s[10:11] offset:24
	s_waitcnt vmcnt(0)
	v_add_nc_u32_e32 v1, -1, v1
	v_cmp_eq_u32_e32 vcc_lo, 6, v1
	s_cbranch_vccnz .LBB10_88
; %bb.87:
	v_lshlrev_b32_e32 v1, 4, v1
	v_mov_b32_e32 v5, s18
	v_mov_b32_e32 v6, v1
	s_clause 0x7
	buffer_load_dword v1, v5, s[0:3], 0 offen
	buffer_load_dword v2, v5, s[0:3], 0 offen offset:4
	buffer_load_dword v3, v5, s[0:3], 0 offen offset:8
	;; [unrolled: 1-line block ×3, first 2 shown]
	buffer_load_dword v29, v6, s[0:3], 0 offen
	buffer_load_dword v30, v6, s[0:3], 0 offen offset:4
	buffer_load_dword v31, v6, s[0:3], 0 offen offset:8
	;; [unrolled: 1-line block ×3, first 2 shown]
	s_waitcnt vmcnt(4)
	ds_write2_b64 v0, v[1:2], v[3:4] offset1:1
	s_waitcnt vmcnt(3)
	buffer_store_dword v29, v5, s[0:3], 0 offen
	s_waitcnt vmcnt(2)
	buffer_store_dword v30, v5, s[0:3], 0 offen offset:4
	s_waitcnt vmcnt(1)
	buffer_store_dword v31, v5, s[0:3], 0 offen offset:8
	;; [unrolled: 2-line block ×3, first 2 shown]
	buffer_store_dword v4, v6, s[0:3], 0 offen offset:12
	buffer_store_dword v3, v6, s[0:3], 0 offen offset:8
	;; [unrolled: 1-line block ×3, first 2 shown]
	buffer_store_dword v1, v6, s[0:3], 0 offen
.LBB10_88:
	v_mov_b32_e32 v1, 0
	global_load_dword v2, v1, s[10:11] offset:20
	s_waitcnt vmcnt(0)
	v_add_nc_u32_e32 v2, -1, v2
	v_cmp_eq_u32_e32 vcc_lo, 5, v2
	s_cbranch_vccnz .LBB10_90
; %bb.89:
	v_lshlrev_b32_e32 v2, 4, v2
	v_mov_b32_e32 v6, s19
	v_mov_b32_e32 v29, v2
	s_clause 0x7
	buffer_load_dword v2, v6, s[0:3], 0 offen
	buffer_load_dword v3, v6, s[0:3], 0 offen offset:4
	buffer_load_dword v4, v6, s[0:3], 0 offen offset:8
	;; [unrolled: 1-line block ×3, first 2 shown]
	buffer_load_dword v30, v29, s[0:3], 0 offen
	buffer_load_dword v31, v29, s[0:3], 0 offen offset:4
	buffer_load_dword v32, v29, s[0:3], 0 offen offset:8
	buffer_load_dword v33, v29, s[0:3], 0 offen offset:12
	s_waitcnt vmcnt(4)
	ds_write2_b64 v0, v[2:3], v[4:5] offset1:1
	s_waitcnt vmcnt(3)
	buffer_store_dword v30, v6, s[0:3], 0 offen
	s_waitcnt vmcnt(2)
	buffer_store_dword v31, v6, s[0:3], 0 offen offset:4
	s_waitcnt vmcnt(1)
	buffer_store_dword v32, v6, s[0:3], 0 offen offset:8
	;; [unrolled: 2-line block ×3, first 2 shown]
	buffer_store_dword v5, v29, s[0:3], 0 offen offset:12
	buffer_store_dword v4, v29, s[0:3], 0 offen offset:8
	;; [unrolled: 1-line block ×3, first 2 shown]
	buffer_store_dword v2, v29, s[0:3], 0 offen
.LBB10_90:
	global_load_dword v1, v1, s[10:11] offset:16
	s_waitcnt vmcnt(0)
	v_add_nc_u32_e32 v1, -1, v1
	v_cmp_eq_u32_e32 vcc_lo, 4, v1
	s_cbranch_vccnz .LBB10_92
; %bb.91:
	v_lshlrev_b32_e32 v1, 4, v1
	v_mov_b32_e32 v5, s20
	v_mov_b32_e32 v6, v1
	s_clause 0x7
	buffer_load_dword v1, v5, s[0:3], 0 offen
	buffer_load_dword v2, v5, s[0:3], 0 offen offset:4
	buffer_load_dword v3, v5, s[0:3], 0 offen offset:8
	buffer_load_dword v4, v5, s[0:3], 0 offen offset:12
	buffer_load_dword v29, v6, s[0:3], 0 offen
	buffer_load_dword v30, v6, s[0:3], 0 offen offset:4
	buffer_load_dword v31, v6, s[0:3], 0 offen offset:8
	;; [unrolled: 1-line block ×3, first 2 shown]
	s_waitcnt vmcnt(4)
	ds_write2_b64 v0, v[1:2], v[3:4] offset1:1
	s_waitcnt vmcnt(3)
	buffer_store_dword v29, v5, s[0:3], 0 offen
	s_waitcnt vmcnt(2)
	buffer_store_dword v30, v5, s[0:3], 0 offen offset:4
	s_waitcnt vmcnt(1)
	buffer_store_dword v31, v5, s[0:3], 0 offen offset:8
	;; [unrolled: 2-line block ×3, first 2 shown]
	buffer_store_dword v4, v6, s[0:3], 0 offen offset:12
	buffer_store_dword v3, v6, s[0:3], 0 offen offset:8
	;; [unrolled: 1-line block ×3, first 2 shown]
	buffer_store_dword v1, v6, s[0:3], 0 offen
.LBB10_92:
	v_mov_b32_e32 v1, 0
	global_load_dword v2, v1, s[10:11] offset:12
	s_waitcnt vmcnt(0)
	v_add_nc_u32_e32 v2, -1, v2
	v_cmp_eq_u32_e32 vcc_lo, 3, v2
	s_cbranch_vccnz .LBB10_94
; %bb.93:
	v_lshlrev_b32_e32 v2, 4, v2
	v_mov_b32_e32 v6, s21
	v_mov_b32_e32 v29, v2
	s_clause 0x7
	buffer_load_dword v2, v6, s[0:3], 0 offen
	buffer_load_dword v3, v6, s[0:3], 0 offen offset:4
	buffer_load_dword v4, v6, s[0:3], 0 offen offset:8
	;; [unrolled: 1-line block ×3, first 2 shown]
	buffer_load_dword v30, v29, s[0:3], 0 offen
	buffer_load_dword v31, v29, s[0:3], 0 offen offset:4
	buffer_load_dword v32, v29, s[0:3], 0 offen offset:8
	;; [unrolled: 1-line block ×3, first 2 shown]
	s_waitcnt vmcnt(4)
	ds_write2_b64 v0, v[2:3], v[4:5] offset1:1
	s_waitcnt vmcnt(3)
	buffer_store_dword v30, v6, s[0:3], 0 offen
	s_waitcnt vmcnt(2)
	buffer_store_dword v31, v6, s[0:3], 0 offen offset:4
	s_waitcnt vmcnt(1)
	buffer_store_dword v32, v6, s[0:3], 0 offen offset:8
	;; [unrolled: 2-line block ×3, first 2 shown]
	buffer_store_dword v5, v29, s[0:3], 0 offen offset:12
	buffer_store_dword v4, v29, s[0:3], 0 offen offset:8
	;; [unrolled: 1-line block ×3, first 2 shown]
	buffer_store_dword v2, v29, s[0:3], 0 offen
.LBB10_94:
	global_load_dword v1, v1, s[10:11] offset:8
	s_waitcnt vmcnt(0)
	v_add_nc_u32_e32 v1, -1, v1
	v_cmp_eq_u32_e32 vcc_lo, 2, v1
	s_cbranch_vccnz .LBB10_96
; %bb.95:
	v_lshlrev_b32_e32 v1, 4, v1
	v_mov_b32_e32 v5, s22
	v_mov_b32_e32 v6, v1
	s_clause 0x7
	buffer_load_dword v1, v5, s[0:3], 0 offen
	buffer_load_dword v2, v5, s[0:3], 0 offen offset:4
	buffer_load_dword v3, v5, s[0:3], 0 offen offset:8
	buffer_load_dword v4, v5, s[0:3], 0 offen offset:12
	buffer_load_dword v29, v6, s[0:3], 0 offen
	buffer_load_dword v30, v6, s[0:3], 0 offen offset:4
	buffer_load_dword v31, v6, s[0:3], 0 offen offset:8
	;; [unrolled: 1-line block ×3, first 2 shown]
	s_waitcnt vmcnt(4)
	ds_write2_b64 v0, v[1:2], v[3:4] offset1:1
	s_waitcnt vmcnt(3)
	buffer_store_dword v29, v5, s[0:3], 0 offen
	s_waitcnt vmcnt(2)
	buffer_store_dword v30, v5, s[0:3], 0 offen offset:4
	s_waitcnt vmcnt(1)
	buffer_store_dword v31, v5, s[0:3], 0 offen offset:8
	;; [unrolled: 2-line block ×3, first 2 shown]
	buffer_store_dword v4, v6, s[0:3], 0 offen offset:12
	buffer_store_dword v3, v6, s[0:3], 0 offen offset:8
	;; [unrolled: 1-line block ×3, first 2 shown]
	buffer_store_dword v1, v6, s[0:3], 0 offen
.LBB10_96:
	v_mov_b32_e32 v1, 0
	global_load_dword v2, v1, s[10:11] offset:4
	s_waitcnt vmcnt(0)
	v_add_nc_u32_e32 v2, -1, v2
	v_cmp_eq_u32_e32 vcc_lo, 1, v2
	s_cbranch_vccnz .LBB10_98
; %bb.97:
	v_lshlrev_b32_e32 v2, 4, v2
	v_mov_b32_e32 v6, s23
	v_mov_b32_e32 v29, v2
	s_clause 0x7
	buffer_load_dword v2, v6, s[0:3], 0 offen
	buffer_load_dword v3, v6, s[0:3], 0 offen offset:4
	buffer_load_dword v4, v6, s[0:3], 0 offen offset:8
	;; [unrolled: 1-line block ×3, first 2 shown]
	buffer_load_dword v30, v29, s[0:3], 0 offen
	buffer_load_dword v31, v29, s[0:3], 0 offen offset:4
	buffer_load_dword v32, v29, s[0:3], 0 offen offset:8
	;; [unrolled: 1-line block ×3, first 2 shown]
	s_waitcnt vmcnt(4)
	ds_write2_b64 v0, v[2:3], v[4:5] offset1:1
	s_waitcnt vmcnt(3)
	buffer_store_dword v30, v6, s[0:3], 0 offen
	s_waitcnt vmcnt(2)
	buffer_store_dword v31, v6, s[0:3], 0 offen offset:4
	s_waitcnt vmcnt(1)
	buffer_store_dword v32, v6, s[0:3], 0 offen offset:8
	s_waitcnt vmcnt(0)
	buffer_store_dword v33, v6, s[0:3], 0 offen offset:12
	buffer_store_dword v5, v29, s[0:3], 0 offen offset:12
	buffer_store_dword v4, v29, s[0:3], 0 offen offset:8
	;; [unrolled: 1-line block ×3, first 2 shown]
	buffer_store_dword v2, v29, s[0:3], 0 offen
.LBB10_98:
	global_load_dword v1, v1, s[10:11]
	s_waitcnt vmcnt(0)
	v_add_nc_u32_e32 v1, -1, v1
	v_cmp_eq_u32_e32 vcc_lo, 0, v1
	s_cbranch_vccnz .LBB10_100
; %bb.99:
	v_lshlrev_b32_e32 v1, 4, v1
	v_mov_b32_e32 v5, v1
	s_clause 0x7
	buffer_load_dword v1, off, s[0:3], 0
	buffer_load_dword v2, off, s[0:3], 0 offset:4
	buffer_load_dword v3, off, s[0:3], 0 offset:8
	;; [unrolled: 1-line block ×3, first 2 shown]
	buffer_load_dword v6, v5, s[0:3], 0 offen
	buffer_load_dword v29, v5, s[0:3], 0 offen offset:4
	buffer_load_dword v30, v5, s[0:3], 0 offen offset:8
	;; [unrolled: 1-line block ×3, first 2 shown]
	s_waitcnt vmcnt(4)
	ds_write2_b64 v0, v[1:2], v[3:4] offset1:1
	s_waitcnt vmcnt(3)
	buffer_store_dword v6, off, s[0:3], 0
	s_waitcnt vmcnt(2)
	buffer_store_dword v29, off, s[0:3], 0 offset:4
	s_waitcnt vmcnt(1)
	buffer_store_dword v30, off, s[0:3], 0 offset:8
	;; [unrolled: 2-line block ×3, first 2 shown]
	buffer_store_dword v4, v5, s[0:3], 0 offen offset:12
	buffer_store_dword v3, v5, s[0:3], 0 offen offset:8
	;; [unrolled: 1-line block ×3, first 2 shown]
	buffer_store_dword v1, v5, s[0:3], 0 offen
.LBB10_100:
	v_mov_b32_e32 v5, s22
	v_mov_b32_e32 v6, s20
	;; [unrolled: 1-line block ×3, first 2 shown]
	s_clause 0x7
	buffer_load_dword v0, off, s[0:3], 0
	buffer_load_dword v1, off, s[0:3], 0 offset:4
	buffer_load_dword v2, off, s[0:3], 0 offset:8
	;; [unrolled: 1-line block ×3, first 2 shown]
	buffer_load_dword v29, v4, s[0:3], 0 offen
	buffer_load_dword v30, v4, s[0:3], 0 offen offset:4
	buffer_load_dword v31, v4, s[0:3], 0 offen offset:8
	buffer_load_dword v32, v4, s[0:3], 0 offen offset:12
	v_mov_b32_e32 v4, s21
	s_clause 0x7
	buffer_load_dword v33, v5, s[0:3], 0 offen
	buffer_load_dword v34, v5, s[0:3], 0 offen offset:4
	buffer_load_dword v35, v5, s[0:3], 0 offen offset:8
	buffer_load_dword v36, v5, s[0:3], 0 offen offset:12
	buffer_load_dword v37, v4, s[0:3], 0 offen
	buffer_load_dword v38, v4, s[0:3], 0 offen offset:4
	buffer_load_dword v39, v4, s[0:3], 0 offen offset:8
	buffer_load_dword v40, v4, s[0:3], 0 offen offset:12
	v_mov_b32_e32 v4, s19
	v_mov_b32_e32 v5, s18
	s_clause 0x7
	buffer_load_dword v41, v6, s[0:3], 0 offen
	buffer_load_dword v42, v6, s[0:3], 0 offen offset:4
	buffer_load_dword v43, v6, s[0:3], 0 offen offset:8
	buffer_load_dword v44, v6, s[0:3], 0 offen offset:12
	buffer_load_dword v45, v4, s[0:3], 0 offen
	buffer_load_dword v46, v4, s[0:3], 0 offen offset:4
	buffer_load_dword v47, v4, s[0:3], 0 offen offset:8
	buffer_load_dword v48, v4, s[0:3], 0 offen offset:12
	v_mov_b32_e32 v6, s16
	;; [unrolled: 11-line block ×3, first 2 shown]
	v_mov_b32_e32 v5, s12
	s_clause 0xb
	buffer_load_dword v57, v6, s[0:3], 0 offen
	buffer_load_dword v58, v6, s[0:3], 0 offen offset:4
	buffer_load_dword v59, v6, s[0:3], 0 offen offset:8
	buffer_load_dword v60, v6, s[0:3], 0 offen offset:12
	buffer_load_dword v61, v4, s[0:3], 0 offen
	buffer_load_dword v62, v4, s[0:3], 0 offen offset:4
	buffer_load_dword v63, v4, s[0:3], 0 offen offset:8
	buffer_load_dword v64, v4, s[0:3], 0 offen offset:12
	;; [unrolled: 4-line block ×3, first 2 shown]
	s_waitcnt vmcnt(40)
	global_store_dwordx4 v[7:8], v[0:3], off
	s_waitcnt vmcnt(36)
	global_store_dwordx4 v[9:10], v[29:32], off
	;; [unrolled: 2-line block ×11, first 2 shown]
	s_endpgm
	.section	.rodata,"a",@progbits
	.p2align	6, 0x0
	.amdhsa_kernel _ZN9rocsolver6v33100L18getri_kernel_smallILi11E19rocblas_complex_numIdEPS3_EEvT1_iilPiilS6_bb
		.amdhsa_group_segment_fixed_size 1384
		.amdhsa_private_segment_fixed_size 192
		.amdhsa_kernarg_size 60
		.amdhsa_user_sgpr_count 8
		.amdhsa_user_sgpr_private_segment_buffer 1
		.amdhsa_user_sgpr_dispatch_ptr 1
		.amdhsa_user_sgpr_queue_ptr 0
		.amdhsa_user_sgpr_kernarg_segment_ptr 1
		.amdhsa_user_sgpr_dispatch_id 0
		.amdhsa_user_sgpr_flat_scratch_init 0
		.amdhsa_user_sgpr_private_segment_size 0
		.amdhsa_wavefront_size32 1
		.amdhsa_uses_dynamic_stack 0
		.amdhsa_system_sgpr_private_segment_wavefront_offset 1
		.amdhsa_system_sgpr_workgroup_id_x 1
		.amdhsa_system_sgpr_workgroup_id_y 0
		.amdhsa_system_sgpr_workgroup_id_z 0
		.amdhsa_system_sgpr_workgroup_info 0
		.amdhsa_system_vgpr_workitem_id 2
		.amdhsa_next_free_vgpr 87
		.amdhsa_next_free_sgpr 28
		.amdhsa_reserve_vcc 1
		.amdhsa_reserve_flat_scratch 0
		.amdhsa_float_round_mode_32 0
		.amdhsa_float_round_mode_16_64 0
		.amdhsa_float_denorm_mode_32 3
		.amdhsa_float_denorm_mode_16_64 3
		.amdhsa_dx10_clamp 1
		.amdhsa_ieee_mode 1
		.amdhsa_fp16_overflow 0
		.amdhsa_workgroup_processor_mode 1
		.amdhsa_memory_ordered 1
		.amdhsa_forward_progress 1
		.amdhsa_shared_vgpr_count 0
		.amdhsa_exception_fp_ieee_invalid_op 0
		.amdhsa_exception_fp_denorm_src 0
		.amdhsa_exception_fp_ieee_div_zero 0
		.amdhsa_exception_fp_ieee_overflow 0
		.amdhsa_exception_fp_ieee_underflow 0
		.amdhsa_exception_fp_ieee_inexact 0
		.amdhsa_exception_int_div_zero 0
	.end_amdhsa_kernel
	.section	.text._ZN9rocsolver6v33100L18getri_kernel_smallILi11E19rocblas_complex_numIdEPS3_EEvT1_iilPiilS6_bb,"axG",@progbits,_ZN9rocsolver6v33100L18getri_kernel_smallILi11E19rocblas_complex_numIdEPS3_EEvT1_iilPiilS6_bb,comdat
.Lfunc_end10:
	.size	_ZN9rocsolver6v33100L18getri_kernel_smallILi11E19rocblas_complex_numIdEPS3_EEvT1_iilPiilS6_bb, .Lfunc_end10-_ZN9rocsolver6v33100L18getri_kernel_smallILi11E19rocblas_complex_numIdEPS3_EEvT1_iilPiilS6_bb
                                        ; -- End function
	.set _ZN9rocsolver6v33100L18getri_kernel_smallILi11E19rocblas_complex_numIdEPS3_EEvT1_iilPiilS6_bb.num_vgpr, 87
	.set _ZN9rocsolver6v33100L18getri_kernel_smallILi11E19rocblas_complex_numIdEPS3_EEvT1_iilPiilS6_bb.num_agpr, 0
	.set _ZN9rocsolver6v33100L18getri_kernel_smallILi11E19rocblas_complex_numIdEPS3_EEvT1_iilPiilS6_bb.numbered_sgpr, 28
	.set _ZN9rocsolver6v33100L18getri_kernel_smallILi11E19rocblas_complex_numIdEPS3_EEvT1_iilPiilS6_bb.num_named_barrier, 0
	.set _ZN9rocsolver6v33100L18getri_kernel_smallILi11E19rocblas_complex_numIdEPS3_EEvT1_iilPiilS6_bb.private_seg_size, 192
	.set _ZN9rocsolver6v33100L18getri_kernel_smallILi11E19rocblas_complex_numIdEPS3_EEvT1_iilPiilS6_bb.uses_vcc, 1
	.set _ZN9rocsolver6v33100L18getri_kernel_smallILi11E19rocblas_complex_numIdEPS3_EEvT1_iilPiilS6_bb.uses_flat_scratch, 0
	.set _ZN9rocsolver6v33100L18getri_kernel_smallILi11E19rocblas_complex_numIdEPS3_EEvT1_iilPiilS6_bb.has_dyn_sized_stack, 0
	.set _ZN9rocsolver6v33100L18getri_kernel_smallILi11E19rocblas_complex_numIdEPS3_EEvT1_iilPiilS6_bb.has_recursion, 0
	.set _ZN9rocsolver6v33100L18getri_kernel_smallILi11E19rocblas_complex_numIdEPS3_EEvT1_iilPiilS6_bb.has_indirect_call, 0
	.section	.AMDGPU.csdata,"",@progbits
; Kernel info:
; codeLenInByte = 15752
; TotalNumSgprs: 30
; NumVgprs: 87
; ScratchSize: 192
; MemoryBound: 0
; FloatMode: 240
; IeeeMode: 1
; LDSByteSize: 1384 bytes/workgroup (compile time only)
; SGPRBlocks: 0
; VGPRBlocks: 10
; NumSGPRsForWavesPerEU: 30
; NumVGPRsForWavesPerEU: 87
; Occupancy: 10
; WaveLimiterHint : 1
; COMPUTE_PGM_RSRC2:SCRATCH_EN: 1
; COMPUTE_PGM_RSRC2:USER_SGPR: 8
; COMPUTE_PGM_RSRC2:TRAP_HANDLER: 0
; COMPUTE_PGM_RSRC2:TGID_X_EN: 1
; COMPUTE_PGM_RSRC2:TGID_Y_EN: 0
; COMPUTE_PGM_RSRC2:TGID_Z_EN: 0
; COMPUTE_PGM_RSRC2:TIDIG_COMP_CNT: 2
	.section	.text._ZN9rocsolver6v33100L18getri_kernel_smallILi12E19rocblas_complex_numIdEPS3_EEvT1_iilPiilS6_bb,"axG",@progbits,_ZN9rocsolver6v33100L18getri_kernel_smallILi12E19rocblas_complex_numIdEPS3_EEvT1_iilPiilS6_bb,comdat
	.globl	_ZN9rocsolver6v33100L18getri_kernel_smallILi12E19rocblas_complex_numIdEPS3_EEvT1_iilPiilS6_bb ; -- Begin function _ZN9rocsolver6v33100L18getri_kernel_smallILi12E19rocblas_complex_numIdEPS3_EEvT1_iilPiilS6_bb
	.p2align	8
	.type	_ZN9rocsolver6v33100L18getri_kernel_smallILi12E19rocblas_complex_numIdEPS3_EEvT1_iilPiilS6_bb,@function
_ZN9rocsolver6v33100L18getri_kernel_smallILi12E19rocblas_complex_numIdEPS3_EEvT1_iilPiilS6_bb: ; @_ZN9rocsolver6v33100L18getri_kernel_smallILi12E19rocblas_complex_numIdEPS3_EEvT1_iilPiilS6_bb
; %bb.0:
	s_add_u32 s0, s0, s9
	s_addc_u32 s1, s1, 0
	s_mov_b32 s9, exec_lo
	v_cmpx_gt_u32_e32 12, v0
	s_cbranch_execz .LBB11_62
; %bb.1:
	s_clause 0x2
	s_load_dword s9, s[6:7], 0x38
	s_load_dwordx4 s[20:23], s[6:7], 0x10
	s_load_dwordx4 s[12:15], s[6:7], 0x28
	s_waitcnt lgkmcnt(0)
	s_bitcmp1_b32 s9, 8
	s_cselect_b32 s25, -1, 0
	s_bfe_u32 s10, s9, 0x10008
	s_ashr_i32 s9, s8, 31
	s_cmp_eq_u32 s10, 0
                                        ; implicit-def: $sgpr10_sgpr11
	s_cbranch_scc1 .LBB11_3
; %bb.2:
	s_load_dword s10, s[6:7], 0x20
	s_mul_i32 s11, s12, s9
	s_mul_hi_u32 s16, s12, s8
	s_mul_i32 s13, s13, s8
	s_add_i32 s11, s16, s11
	s_mul_i32 s12, s12, s8
	s_add_i32 s13, s11, s13
	s_lshl_b64 s[12:13], s[12:13], 2
	s_waitcnt lgkmcnt(0)
	s_ashr_i32 s11, s10, 31
	s_add_u32 s12, s22, s12
	s_addc_u32 s13, s23, s13
	s_lshl_b64 s[10:11], s[10:11], 2
	s_add_u32 s10, s12, s10
	s_addc_u32 s11, s13, s11
.LBB11_3:
	s_clause 0x1
	s_load_dwordx4 s[16:19], s[6:7], 0x0
	s_load_dword s26, s[6:7], 0x38
	s_mul_i32 s6, s20, s9
	s_mul_hi_u32 s7, s20, s8
	s_mul_i32 s12, s21, s8
	s_add_i32 s7, s7, s6
	s_mul_i32 s6, s20, s8
	s_add_i32 s7, s7, s12
	v_lshlrev_b32_e32 v37, 4, v0
	s_lshl_b64 s[6:7], s[6:7], 4
	s_movk_i32 s27, 0x90
	s_movk_i32 s28, 0xa0
	;; [unrolled: 1-line block ×4, first 2 shown]
	s_mov_b32 s24, 16
	s_mov_b32 s23, 32
	;; [unrolled: 1-line block ×4, first 2 shown]
	s_waitcnt lgkmcnt(0)
	v_add3_u32 v9, s19, s19, v0
	s_ashr_i32 s13, s18, 31
	s_mov_b32 s12, s18
	s_add_u32 s16, s16, s6
	s_addc_u32 s17, s17, s7
	v_add_nc_u32_e32 v13, s19, v9
	s_lshl_b64 s[6:7], s[12:13], 4
	v_ashrrev_i32_e32 v10, 31, v9
	s_add_u32 s6, s16, s6
	s_addc_u32 s7, s17, s7
	v_add_nc_u32_e32 v15, s19, v13
	v_ashrrev_i32_e32 v14, 31, v13
	v_add_co_u32 v7, s16, s6, v37
	s_mov_b32 s12, s19
	v_add_nc_u32_e32 v17, s19, v15
	v_ashrrev_i32_e32 v16, 31, v15
	s_ashr_i32 s13, s19, 31
	v_lshlrev_b64 v[11:12], 4, v[9:10]
	v_add_co_ci_u32_e64 v8, null, s7, 0, s16
	v_add_nc_u32_e32 v19, s19, v17
	v_ashrrev_i32_e32 v18, 31, v17
	s_lshl_b64 s[12:13], s[12:13], 4
	v_lshlrev_b64 v[13:14], 4, v[13:14]
	v_add_co_u32 v9, vcc_lo, v7, s12
	v_add_nc_u32_e32 v21, s19, v19
	v_ashrrev_i32_e32 v20, 31, v19
	v_lshlrev_b64 v[15:16], 4, v[15:16]
	v_add_co_ci_u32_e64 v10, null, s13, v8, vcc_lo
	v_add_nc_u32_e32 v23, s19, v21
	v_ashrrev_i32_e32 v22, 31, v21
	v_add_co_u32 v11, vcc_lo, s6, v11
	v_lshlrev_b64 v[17:18], 4, v[17:18]
	v_add_nc_u32_e32 v25, s19, v23
	v_ashrrev_i32_e32 v24, 31, v23
	v_add_co_ci_u32_e64 v12, null, s7, v12, vcc_lo
	v_add_co_u32 v13, vcc_lo, s6, v13
	v_add_nc_u32_e32 v27, s19, v25
	v_lshlrev_b64 v[19:20], 4, v[19:20]
	v_ashrrev_i32_e32 v26, 31, v25
	v_add_co_ci_u32_e64 v14, null, s7, v14, vcc_lo
	v_add_nc_u32_e32 v29, s19, v27
	v_add_co_u32 v15, vcc_lo, s6, v15
	v_lshlrev_b64 v[21:22], 4, v[21:22]
	v_ashrrev_i32_e32 v28, 31, v27
	v_add_co_ci_u32_e64 v16, null, s7, v16, vcc_lo
	v_add_co_u32 v17, vcc_lo, s6, v17
	v_lshlrev_b64 v[23:24], 4, v[23:24]
	v_ashrrev_i32_e32 v30, 31, v29
	v_add_co_ci_u32_e64 v18, null, s7, v18, vcc_lo
	v_add_co_u32 v19, vcc_lo, s6, v19
	v_lshlrev_b64 v[25:26], 4, v[25:26]
	v_add_co_ci_u32_e64 v20, null, s7, v20, vcc_lo
	v_add_co_u32 v21, vcc_lo, s6, v21
	v_lshlrev_b64 v[27:28], 4, v[27:28]
	;; [unrolled: 3-line block ×3, first 2 shown]
	v_add_co_ci_u32_e64 v24, null, s7, v24, vcc_lo
	v_add_co_u32 v25, vcc_lo, s6, v25
	v_add_co_ci_u32_e64 v26, null, s7, v26, vcc_lo
	v_add_co_u32 v27, vcc_lo, s6, v27
	;; [unrolled: 2-line block ×3, first 2 shown]
	v_add_co_ci_u32_e64 v30, null, s7, v30, vcc_lo
	s_clause 0xb
	global_load_dwordx4 v[3:6], v37, s[6:7]
	global_load_dwordx4 v[31:34], v[9:10], off
	global_load_dwordx4 v[38:41], v[11:12], off
	;; [unrolled: 1-line block ×11, first 2 shown]
	s_movk_i32 s19, 0x60
	s_movk_i32 s18, 0x70
	;; [unrolled: 1-line block ×3, first 2 shown]
	s_mov_b32 s7, -1
	s_mov_b32 s16, s27
	s_mov_b32 s13, s28
	;; [unrolled: 1-line block ×3, first 2 shown]
	s_bitcmp0_b32 s26, 0
	s_waitcnt vmcnt(11)
	buffer_store_dword v6, off, s[0:3], 0 offset:12
	buffer_store_dword v5, off, s[0:3], 0 offset:8
	;; [unrolled: 1-line block ×3, first 2 shown]
	buffer_store_dword v3, off, s[0:3], 0
	s_waitcnt vmcnt(10)
	buffer_store_dword v34, off, s[0:3], 0 offset:28
	buffer_store_dword v33, off, s[0:3], 0 offset:24
	buffer_store_dword v32, off, s[0:3], 0 offset:20
	buffer_store_dword v31, off, s[0:3], 0 offset:16
	s_waitcnt vmcnt(9)
	buffer_store_dword v41, off, s[0:3], 0 offset:44
	buffer_store_dword v40, off, s[0:3], 0 offset:40
	buffer_store_dword v39, off, s[0:3], 0 offset:36
	buffer_store_dword v38, off, s[0:3], 0 offset:32
	s_waitcnt vmcnt(8)
	buffer_store_dword v45, off, s[0:3], 0 offset:60
	buffer_store_dword v44, off, s[0:3], 0 offset:56
	buffer_store_dword v43, off, s[0:3], 0 offset:52
	buffer_store_dword v42, off, s[0:3], 0 offset:48
	s_waitcnt vmcnt(7)
	buffer_store_dword v49, off, s[0:3], 0 offset:76
	buffer_store_dword v48, off, s[0:3], 0 offset:72
	buffer_store_dword v47, off, s[0:3], 0 offset:68
	buffer_store_dword v46, off, s[0:3], 0 offset:64
	s_waitcnt vmcnt(6)
	buffer_store_dword v53, off, s[0:3], 0 offset:92
	buffer_store_dword v52, off, s[0:3], 0 offset:88
	buffer_store_dword v51, off, s[0:3], 0 offset:84
	buffer_store_dword v50, off, s[0:3], 0 offset:80
	s_waitcnt vmcnt(5)
	buffer_store_dword v57, off, s[0:3], 0 offset:108
	buffer_store_dword v56, off, s[0:3], 0 offset:104
	buffer_store_dword v55, off, s[0:3], 0 offset:100
	buffer_store_dword v54, off, s[0:3], 0 offset:96
	s_waitcnt vmcnt(4)
	buffer_store_dword v61, off, s[0:3], 0 offset:124
	buffer_store_dword v60, off, s[0:3], 0 offset:120
	buffer_store_dword v59, off, s[0:3], 0 offset:116
	buffer_store_dword v58, off, s[0:3], 0 offset:112
	s_waitcnt vmcnt(3)
	buffer_store_dword v65, off, s[0:3], 0 offset:140
	buffer_store_dword v64, off, s[0:3], 0 offset:136
	buffer_store_dword v63, off, s[0:3], 0 offset:132
	buffer_store_dword v62, off, s[0:3], 0 offset:128
	s_waitcnt vmcnt(2)
	buffer_store_dword v66, off, s[0:3], 0 offset:144
	buffer_store_dword v67, off, s[0:3], 0 offset:148
	buffer_store_dword v68, off, s[0:3], 0 offset:152
	buffer_store_dword v69, off, s[0:3], 0 offset:156
	s_waitcnt vmcnt(1)
	buffer_store_dword v70, off, s[0:3], 0 offset:160
	buffer_store_dword v71, off, s[0:3], 0 offset:164
	buffer_store_dword v72, off, s[0:3], 0 offset:168
	buffer_store_dword v73, off, s[0:3], 0 offset:172
	s_waitcnt vmcnt(0)
	buffer_store_dword v74, off, s[0:3], 0 offset:176
	buffer_store_dword v75, off, s[0:3], 0 offset:180
	buffer_store_dword v76, off, s[0:3], 0 offset:184
	buffer_store_dword v77, off, s[0:3], 0 offset:188
	s_cbranch_scc1 .LBB11_60
; %bb.4:
	v_cmp_eq_u32_e64 s6, 0, v0
	s_and_saveexec_b32 s7, s6
; %bb.5:
	v_mov_b32_e32 v3, 0
	ds_write_b32 v3, v3 offset:384
; %bb.6:
	s_or_b32 exec_lo, exec_lo, s7
	v_lshl_add_u32 v38, v0, 4, 0
	s_waitcnt lgkmcnt(0)
	s_waitcnt_vscnt null, 0x0
	s_barrier
	buffer_gl0_inv
	s_clause 0x3
	buffer_load_dword v3, v38, s[0:3], 0 offen
	buffer_load_dword v4, v38, s[0:3], 0 offen offset:4
	buffer_load_dword v5, v38, s[0:3], 0 offen offset:8
	;; [unrolled: 1-line block ×3, first 2 shown]
	s_waitcnt vmcnt(2)
	v_cmp_eq_f64_e32 vcc_lo, 0, v[3:4]
	s_waitcnt vmcnt(0)
	v_cmp_eq_f64_e64 s7, 0, v[5:6]
	s_and_b32 s7, vcc_lo, s7
	s_and_saveexec_b32 s26, s7
	s_cbranch_execz .LBB11_10
; %bb.7:
	v_mov_b32_e32 v3, 0
	s_mov_b32 s27, 0
	ds_read_b32 v4, v3 offset:384
	s_waitcnt lgkmcnt(0)
	v_readfirstlane_b32 s7, v4
	v_add_nc_u32_e32 v4, 1, v0
	s_cmp_eq_u32 s7, 0
	v_cmp_gt_i32_e32 vcc_lo, s7, v4
	s_cselect_b32 s28, -1, 0
	s_or_b32 s28, s28, vcc_lo
	s_and_b32 exec_lo, exec_lo, s28
	s_cbranch_execz .LBB11_10
; %bb.8:
	v_mov_b32_e32 v5, s7
.LBB11_9:                               ; =>This Inner Loop Header: Depth=1
	ds_cmpst_rtn_b32 v5, v3, v5, v4 offset:384
	s_waitcnt lgkmcnt(0)
	v_cmp_ne_u32_e32 vcc_lo, 0, v5
	v_cmp_le_i32_e64 s7, v5, v4
	s_and_b32 s7, vcc_lo, s7
	s_and_b32 s7, exec_lo, s7
	s_or_b32 s27, s7, s27
	s_andn2_b32 exec_lo, exec_lo, s27
	s_cbranch_execnz .LBB11_9
.LBB11_10:
	s_or_b32 exec_lo, exec_lo, s26
	v_mov_b32_e32 v3, 0
	s_barrier
	buffer_gl0_inv
	ds_read_b32 v4, v3 offset:384
	s_and_saveexec_b32 s7, s6
	s_cbranch_execz .LBB11_12
; %bb.11:
	s_lshl_b64 s[26:27], s[8:9], 2
	s_add_u32 s26, s14, s26
	s_addc_u32 s27, s15, s27
	s_waitcnt lgkmcnt(0)
	global_store_dword v3, v4, s[26:27]
.LBB11_12:
	s_or_b32 exec_lo, exec_lo, s7
	s_waitcnt lgkmcnt(0)
	v_cmp_ne_u32_e32 vcc_lo, 0, v4
	s_mov_b32 s7, 0
	s_cbranch_vccnz .LBB11_60
; %bb.13:
	s_clause 0x3
	buffer_load_dword v33, v38, s[0:3], 0 offen
	buffer_load_dword v34, v38, s[0:3], 0 offen offset:4
	buffer_load_dword v35, v38, s[0:3], 0 offen offset:8
	;; [unrolled: 1-line block ×3, first 2 shown]
                                        ; implicit-def: $vgpr31_vgpr32
                                        ; implicit-def: $vgpr5_vgpr6
	s_waitcnt vmcnt(0)
	v_cmp_ngt_f64_e64 s7, |v[33:34]|, |v[35:36]|
	s_and_saveexec_b32 s26, s7
	s_xor_b32 s7, exec_lo, s26
	s_cbranch_execz .LBB11_15
; %bb.14:
	v_div_scale_f64 v[3:4], null, v[35:36], v[35:36], v[33:34]
	v_div_scale_f64 v[39:40], vcc_lo, v[33:34], v[35:36], v[33:34]
	v_rcp_f64_e32 v[5:6], v[3:4]
	v_fma_f64 v[31:32], -v[3:4], v[5:6], 1.0
	v_fma_f64 v[5:6], v[5:6], v[31:32], v[5:6]
	v_fma_f64 v[31:32], -v[3:4], v[5:6], 1.0
	v_fma_f64 v[5:6], v[5:6], v[31:32], v[5:6]
	v_mul_f64 v[31:32], v[39:40], v[5:6]
	v_fma_f64 v[3:4], -v[3:4], v[31:32], v[39:40]
	v_div_fmas_f64 v[3:4], v[3:4], v[5:6], v[31:32]
	v_div_fixup_f64 v[3:4], v[3:4], v[35:36], v[33:34]
	v_fma_f64 v[5:6], v[33:34], v[3:4], v[35:36]
	v_div_scale_f64 v[31:32], null, v[5:6], v[5:6], 1.0
	v_div_scale_f64 v[39:40], vcc_lo, 1.0, v[5:6], 1.0
	v_rcp_f64_e32 v[33:34], v[31:32]
	v_fma_f64 v[35:36], -v[31:32], v[33:34], 1.0
	v_fma_f64 v[33:34], v[33:34], v[35:36], v[33:34]
	v_fma_f64 v[35:36], -v[31:32], v[33:34], 1.0
	v_fma_f64 v[33:34], v[33:34], v[35:36], v[33:34]
	v_mul_f64 v[35:36], v[39:40], v[33:34]
	v_fma_f64 v[31:32], -v[31:32], v[35:36], v[39:40]
	v_div_fmas_f64 v[31:32], v[31:32], v[33:34], v[35:36]
                                        ; implicit-def: $vgpr33_vgpr34
                                        ; implicit-def: $vgpr35_vgpr36
	v_div_fixup_f64 v[5:6], v[31:32], v[5:6], 1.0
	v_mul_f64 v[31:32], v[3:4], v[5:6]
	v_xor_b32_e32 v6, 0x80000000, v6
	v_xor_b32_e32 v4, 0x80000000, v32
	v_mov_b32_e32 v3, v31
.LBB11_15:
	s_andn2_saveexec_b32 s7, s7
	s_cbranch_execz .LBB11_17
; %bb.16:
	v_div_scale_f64 v[3:4], null, v[33:34], v[33:34], v[35:36]
	v_div_scale_f64 v[39:40], vcc_lo, v[35:36], v[33:34], v[35:36]
	v_rcp_f64_e32 v[5:6], v[3:4]
	v_fma_f64 v[31:32], -v[3:4], v[5:6], 1.0
	v_fma_f64 v[5:6], v[5:6], v[31:32], v[5:6]
	v_fma_f64 v[31:32], -v[3:4], v[5:6], 1.0
	v_fma_f64 v[5:6], v[5:6], v[31:32], v[5:6]
	v_mul_f64 v[31:32], v[39:40], v[5:6]
	v_fma_f64 v[3:4], -v[3:4], v[31:32], v[39:40]
	v_div_fmas_f64 v[3:4], v[3:4], v[5:6], v[31:32]
	v_div_fixup_f64 v[3:4], v[3:4], v[33:34], v[35:36]
	v_fma_f64 v[5:6], v[35:36], v[3:4], v[33:34]
	v_div_scale_f64 v[31:32], null, v[5:6], v[5:6], 1.0
	v_rcp_f64_e32 v[33:34], v[31:32]
	v_fma_f64 v[35:36], -v[31:32], v[33:34], 1.0
	v_fma_f64 v[33:34], v[33:34], v[35:36], v[33:34]
	v_fma_f64 v[35:36], -v[31:32], v[33:34], 1.0
	v_fma_f64 v[33:34], v[33:34], v[35:36], v[33:34]
	v_div_scale_f64 v[35:36], vcc_lo, 1.0, v[5:6], 1.0
	v_mul_f64 v[39:40], v[35:36], v[33:34]
	v_fma_f64 v[31:32], -v[31:32], v[39:40], v[35:36]
	v_div_fmas_f64 v[31:32], v[31:32], v[33:34], v[39:40]
	v_div_fixup_f64 v[31:32], v[31:32], v[5:6], 1.0
	v_mul_f64 v[5:6], v[3:4], -v[31:32]
	v_xor_b32_e32 v4, 0x80000000, v32
	v_mov_b32_e32 v3, v31
.LBB11_17:
	s_or_b32 exec_lo, exec_lo, s7
	v_mov_b32_e32 v36, s24
	buffer_store_dword v32, v38, s[0:3], 0 offen offset:4
	buffer_store_dword v31, v38, s[0:3], 0 offen
	buffer_store_dword v6, v38, s[0:3], 0 offen offset:12
	buffer_store_dword v5, v38, s[0:3], 0 offen offset:8
	v_xor_b32_e32 v6, 0x80000000, v6
	v_add_nc_u32_e32 v31, 0xc0, v37
	s_clause 0x3
	buffer_load_dword v35, v36, s[0:3], 0 offen offset:12
	buffer_load_dword v34, v36, s[0:3], 0 offen offset:8
	;; [unrolled: 1-line block ×3, first 2 shown]
	buffer_load_dword v32, v36, s[0:3], 0 offen
	ds_write_b128 v37, v[3:6]
	s_waitcnt vmcnt(0)
	ds_write_b128 v37, v[32:35] offset:192
	s_waitcnt lgkmcnt(0)
	s_waitcnt_vscnt null, 0x0
	s_barrier
	buffer_gl0_inv
	s_and_saveexec_b32 s7, s6
	s_cbranch_execz .LBB11_19
; %bb.18:
	s_clause 0x3
	buffer_load_dword v39, v38, s[0:3], 0 offen offset:8
	buffer_load_dword v40, v38, s[0:3], 0 offen offset:12
	buffer_load_dword v41, v38, s[0:3], 0 offen
	buffer_load_dword v42, v38, s[0:3], 0 offen offset:4
	ds_read_b128 v[3:6], v31
	v_mov_b32_e32 v32, 0
	ds_read_b128 v[32:35], v32 offset:16
	s_waitcnt vmcnt(2) lgkmcnt(1)
	v_mul_f64 v[43:44], v[3:4], v[39:40]
	v_mul_f64 v[39:40], v[5:6], v[39:40]
	s_waitcnt vmcnt(0)
	v_fma_f64 v[5:6], v[5:6], v[41:42], v[43:44]
	v_fma_f64 v[3:4], v[3:4], v[41:42], -v[39:40]
	v_add_f64 v[5:6], v[5:6], 0
	v_add_f64 v[3:4], v[3:4], 0
	s_waitcnt lgkmcnt(0)
	v_mul_f64 v[39:40], v[5:6], v[34:35]
	v_mul_f64 v[34:35], v[3:4], v[34:35]
	v_fma_f64 v[3:4], v[3:4], v[32:33], -v[39:40]
	v_fma_f64 v[5:6], v[5:6], v[32:33], v[34:35]
	buffer_store_dword v3, off, s[0:3], 0 offset:16
	buffer_store_dword v4, off, s[0:3], 0 offset:20
	;; [unrolled: 1-line block ×4, first 2 shown]
.LBB11_19:
	s_or_b32 exec_lo, exec_lo, s7
	v_mov_b32_e32 v6, s23
	s_waitcnt_vscnt null, 0x0
	s_barrier
	buffer_gl0_inv
	s_mov_b32 s7, exec_lo
	s_clause 0x3
	buffer_load_dword v3, v6, s[0:3], 0 offen
	buffer_load_dword v4, v6, s[0:3], 0 offen offset:4
	buffer_load_dword v5, v6, s[0:3], 0 offen offset:8
	buffer_load_dword v6, v6, s[0:3], 0 offen offset:12
	s_waitcnt vmcnt(0)
	ds_write_b128 v31, v[3:6]
	s_waitcnt lgkmcnt(0)
	s_barrier
	buffer_gl0_inv
	v_cmpx_gt_u32_e32 2, v0
	s_cbranch_execz .LBB11_23
; %bb.20:
	s_clause 0x3
	buffer_load_dword v32, v38, s[0:3], 0 offen offset:8
	buffer_load_dword v33, v38, s[0:3], 0 offen offset:12
	buffer_load_dword v34, v38, s[0:3], 0 offen
	buffer_load_dword v35, v38, s[0:3], 0 offen offset:4
	ds_read_b128 v[3:6], v31
	s_waitcnt vmcnt(2) lgkmcnt(0)
	v_mul_f64 v[38:39], v[5:6], v[32:33]
	v_mul_f64 v[32:33], v[3:4], v[32:33]
	s_waitcnt vmcnt(0)
	v_fma_f64 v[3:4], v[3:4], v[34:35], -v[38:39]
	v_fma_f64 v[5:6], v[5:6], v[34:35], v[32:33]
	v_add_f64 v[3:4], v[3:4], 0
	v_add_f64 v[5:6], v[5:6], 0
	s_and_saveexec_b32 s26, s6
	s_cbranch_execz .LBB11_22
; %bb.21:
	s_clause 0x3
	buffer_load_dword v38, off, s[0:3], 0 offset:24
	buffer_load_dword v39, off, s[0:3], 0 offset:28
	;; [unrolled: 1-line block ×4, first 2 shown]
	v_mov_b32_e32 v32, 0
	ds_read_b128 v[32:35], v32 offset:208
	s_waitcnt vmcnt(2) lgkmcnt(0)
	v_mul_f64 v[42:43], v[32:33], v[38:39]
	v_mul_f64 v[38:39], v[34:35], v[38:39]
	s_waitcnt vmcnt(0)
	v_fma_f64 v[34:35], v[34:35], v[40:41], v[42:43]
	v_fma_f64 v[32:33], v[32:33], v[40:41], -v[38:39]
	v_add_f64 v[5:6], v[5:6], v[34:35]
	v_add_f64 v[3:4], v[3:4], v[32:33]
.LBB11_22:
	s_or_b32 exec_lo, exec_lo, s26
	v_mov_b32_e32 v32, 0
	ds_read_b128 v[32:35], v32 offset:32
	s_waitcnt lgkmcnt(0)
	v_mul_f64 v[38:39], v[5:6], v[34:35]
	v_mul_f64 v[34:35], v[3:4], v[34:35]
	v_fma_f64 v[3:4], v[3:4], v[32:33], -v[38:39]
	v_fma_f64 v[5:6], v[5:6], v[32:33], v[34:35]
	buffer_store_dword v4, off, s[0:3], 0 offset:36
	buffer_store_dword v3, off, s[0:3], 0 offset:32
	;; [unrolled: 1-line block ×4, first 2 shown]
.LBB11_23:
	s_or_b32 exec_lo, exec_lo, s7
	v_mov_b32_e32 v6, s22
	s_waitcnt_vscnt null, 0x0
	s_barrier
	buffer_gl0_inv
	v_add_nc_u32_e32 v32, -1, v0
	s_clause 0x3
	buffer_load_dword v3, v6, s[0:3], 0 offen
	buffer_load_dword v4, v6, s[0:3], 0 offen offset:4
	buffer_load_dword v5, v6, s[0:3], 0 offen offset:8
	;; [unrolled: 1-line block ×3, first 2 shown]
	s_mov_b32 s6, exec_lo
	s_waitcnt vmcnt(0)
	ds_write_b128 v31, v[3:6]
	s_waitcnt lgkmcnt(0)
	s_barrier
	buffer_gl0_inv
	v_cmpx_gt_u32_e32 3, v0
	s_cbranch_execz .LBB11_27
; %bb.24:
	v_mov_b32_e32 v3, 0
	v_mov_b32_e32 v5, 0
	v_add_nc_u32_e32 v33, -1, v0
	v_add_nc_u32_e32 v34, 0xc0, v37
	v_mov_b32_e32 v4, 0
	v_mov_b32_e32 v6, 0
	;; [unrolled: 1-line block ×3, first 2 shown]
	s_mov_b32 s7, 0
	.p2align	6
.LBB11_25:                              ; =>This Inner Loop Header: Depth=1
	s_clause 0x3
	buffer_load_dword v42, v35, s[0:3], 0 offen offset:8
	buffer_load_dword v43, v35, s[0:3], 0 offen offset:12
	buffer_load_dword v44, v35, s[0:3], 0 offen
	buffer_load_dword v45, v35, s[0:3], 0 offen offset:4
	ds_read_b128 v[38:41], v34
	v_add_nc_u32_e32 v33, 1, v33
	v_add_nc_u32_e32 v34, 16, v34
	;; [unrolled: 1-line block ×3, first 2 shown]
	v_cmp_lt_u32_e32 vcc_lo, 1, v33
	s_or_b32 s7, vcc_lo, s7
	s_waitcnt vmcnt(2) lgkmcnt(0)
	v_mul_f64 v[46:47], v[40:41], v[42:43]
	v_mul_f64 v[42:43], v[38:39], v[42:43]
	s_waitcnt vmcnt(0)
	v_fma_f64 v[38:39], v[38:39], v[44:45], -v[46:47]
	v_fma_f64 v[40:41], v[40:41], v[44:45], v[42:43]
	v_add_f64 v[5:6], v[5:6], v[38:39]
	v_add_f64 v[3:4], v[3:4], v[40:41]
	s_andn2_b32 exec_lo, exec_lo, s7
	s_cbranch_execnz .LBB11_25
; %bb.26:
	s_or_b32 exec_lo, exec_lo, s7
	v_mov_b32_e32 v33, 0
	ds_read_b128 v[33:36], v33 offset:48
	s_waitcnt lgkmcnt(0)
	v_mul_f64 v[38:39], v[3:4], v[35:36]
	v_mul_f64 v[35:36], v[5:6], v[35:36]
	v_fma_f64 v[5:6], v[5:6], v[33:34], -v[38:39]
	v_fma_f64 v[3:4], v[3:4], v[33:34], v[35:36]
	buffer_store_dword v6, off, s[0:3], 0 offset:52
	buffer_store_dword v5, off, s[0:3], 0 offset:48
	;; [unrolled: 1-line block ×4, first 2 shown]
.LBB11_27:
	s_or_b32 exec_lo, exec_lo, s6
	v_mov_b32_e32 v6, s21
	s_waitcnt_vscnt null, 0x0
	s_barrier
	buffer_gl0_inv
	s_mov_b32 s6, exec_lo
	s_clause 0x3
	buffer_load_dword v3, v6, s[0:3], 0 offen
	buffer_load_dword v4, v6, s[0:3], 0 offen offset:4
	buffer_load_dword v5, v6, s[0:3], 0 offen offset:8
	buffer_load_dword v6, v6, s[0:3], 0 offen offset:12
	s_waitcnt vmcnt(0)
	ds_write_b128 v31, v[3:6]
	s_waitcnt lgkmcnt(0)
	s_barrier
	buffer_gl0_inv
	v_cmpx_gt_u32_e32 4, v0
	s_cbranch_execz .LBB11_31
; %bb.28:
	v_mov_b32_e32 v3, 0
	v_mov_b32_e32 v5, 0
	v_add_nc_u32_e32 v33, -1, v0
	v_add_nc_u32_e32 v34, 0xc0, v37
	v_mov_b32_e32 v4, 0
	v_mov_b32_e32 v6, 0
	;; [unrolled: 1-line block ×3, first 2 shown]
	s_mov_b32 s7, 0
	.p2align	6
.LBB11_29:                              ; =>This Inner Loop Header: Depth=1
	s_clause 0x3
	buffer_load_dword v42, v35, s[0:3], 0 offen offset:8
	buffer_load_dword v43, v35, s[0:3], 0 offen offset:12
	buffer_load_dword v44, v35, s[0:3], 0 offen
	buffer_load_dword v45, v35, s[0:3], 0 offen offset:4
	ds_read_b128 v[38:41], v34
	v_add_nc_u32_e32 v33, 1, v33
	v_add_nc_u32_e32 v34, 16, v34
	;; [unrolled: 1-line block ×3, first 2 shown]
	v_cmp_lt_u32_e32 vcc_lo, 2, v33
	s_or_b32 s7, vcc_lo, s7
	s_waitcnt vmcnt(2) lgkmcnt(0)
	v_mul_f64 v[46:47], v[40:41], v[42:43]
	v_mul_f64 v[42:43], v[38:39], v[42:43]
	s_waitcnt vmcnt(0)
	v_fma_f64 v[38:39], v[38:39], v[44:45], -v[46:47]
	v_fma_f64 v[40:41], v[40:41], v[44:45], v[42:43]
	v_add_f64 v[5:6], v[5:6], v[38:39]
	v_add_f64 v[3:4], v[3:4], v[40:41]
	s_andn2_b32 exec_lo, exec_lo, s7
	s_cbranch_execnz .LBB11_29
; %bb.30:
	s_or_b32 exec_lo, exec_lo, s7
	v_mov_b32_e32 v33, 0
	ds_read_b128 v[33:36], v33 offset:64
	s_waitcnt lgkmcnt(0)
	v_mul_f64 v[38:39], v[3:4], v[35:36]
	v_mul_f64 v[35:36], v[5:6], v[35:36]
	v_fma_f64 v[5:6], v[5:6], v[33:34], -v[38:39]
	v_fma_f64 v[3:4], v[3:4], v[33:34], v[35:36]
	buffer_store_dword v6, off, s[0:3], 0 offset:68
	buffer_store_dword v5, off, s[0:3], 0 offset:64
	buffer_store_dword v4, off, s[0:3], 0 offset:76
	buffer_store_dword v3, off, s[0:3], 0 offset:72
.LBB11_31:
	s_or_b32 exec_lo, exec_lo, s6
	v_mov_b32_e32 v6, s20
	s_waitcnt_vscnt null, 0x0
	s_barrier
	buffer_gl0_inv
	s_mov_b32 s6, exec_lo
	s_clause 0x3
	buffer_load_dword v3, v6, s[0:3], 0 offen
	buffer_load_dword v4, v6, s[0:3], 0 offen offset:4
	buffer_load_dword v5, v6, s[0:3], 0 offen offset:8
	buffer_load_dword v6, v6, s[0:3], 0 offen offset:12
	s_waitcnt vmcnt(0)
	ds_write_b128 v31, v[3:6]
	s_waitcnt lgkmcnt(0)
	s_barrier
	buffer_gl0_inv
	v_cmpx_gt_u32_e32 5, v0
	s_cbranch_execz .LBB11_35
; %bb.32:
	v_mov_b32_e32 v3, 0
	v_mov_b32_e32 v5, 0
	v_add_nc_u32_e32 v33, -1, v0
	v_add_nc_u32_e32 v34, 0xc0, v37
	v_mov_b32_e32 v4, 0
	v_mov_b32_e32 v6, 0
	;; [unrolled: 1-line block ×3, first 2 shown]
	s_mov_b32 s7, 0
	.p2align	6
.LBB11_33:                              ; =>This Inner Loop Header: Depth=1
	s_clause 0x3
	buffer_load_dword v42, v35, s[0:3], 0 offen offset:8
	buffer_load_dword v43, v35, s[0:3], 0 offen offset:12
	buffer_load_dword v44, v35, s[0:3], 0 offen
	buffer_load_dword v45, v35, s[0:3], 0 offen offset:4
	ds_read_b128 v[38:41], v34
	v_add_nc_u32_e32 v33, 1, v33
	v_add_nc_u32_e32 v34, 16, v34
	;; [unrolled: 1-line block ×3, first 2 shown]
	v_cmp_lt_u32_e32 vcc_lo, 3, v33
	s_or_b32 s7, vcc_lo, s7
	s_waitcnt vmcnt(2) lgkmcnt(0)
	v_mul_f64 v[46:47], v[40:41], v[42:43]
	v_mul_f64 v[42:43], v[38:39], v[42:43]
	s_waitcnt vmcnt(0)
	v_fma_f64 v[38:39], v[38:39], v[44:45], -v[46:47]
	v_fma_f64 v[40:41], v[40:41], v[44:45], v[42:43]
	v_add_f64 v[5:6], v[5:6], v[38:39]
	v_add_f64 v[3:4], v[3:4], v[40:41]
	s_andn2_b32 exec_lo, exec_lo, s7
	s_cbranch_execnz .LBB11_33
; %bb.34:
	s_or_b32 exec_lo, exec_lo, s7
	v_mov_b32_e32 v33, 0
	ds_read_b128 v[33:36], v33 offset:80
	s_waitcnt lgkmcnt(0)
	v_mul_f64 v[38:39], v[3:4], v[35:36]
	v_mul_f64 v[35:36], v[5:6], v[35:36]
	v_fma_f64 v[5:6], v[5:6], v[33:34], -v[38:39]
	v_fma_f64 v[3:4], v[3:4], v[33:34], v[35:36]
	buffer_store_dword v6, off, s[0:3], 0 offset:84
	buffer_store_dword v5, off, s[0:3], 0 offset:80
	;; [unrolled: 1-line block ×4, first 2 shown]
.LBB11_35:
	s_or_b32 exec_lo, exec_lo, s6
	v_mov_b32_e32 v6, s19
	s_waitcnt_vscnt null, 0x0
	s_barrier
	buffer_gl0_inv
	s_mov_b32 s6, exec_lo
	s_clause 0x3
	buffer_load_dword v3, v6, s[0:3], 0 offen
	buffer_load_dword v4, v6, s[0:3], 0 offen offset:4
	buffer_load_dword v5, v6, s[0:3], 0 offen offset:8
	;; [unrolled: 1-line block ×3, first 2 shown]
	s_waitcnt vmcnt(0)
	ds_write_b128 v31, v[3:6]
	s_waitcnt lgkmcnt(0)
	s_barrier
	buffer_gl0_inv
	v_cmpx_gt_u32_e32 6, v0
	s_cbranch_execz .LBB11_39
; %bb.36:
	v_mov_b32_e32 v3, 0
	v_mov_b32_e32 v5, 0
	v_add_nc_u32_e32 v33, -1, v0
	v_add_nc_u32_e32 v34, 0xc0, v37
	v_mov_b32_e32 v4, 0
	v_mov_b32_e32 v6, 0
	v_mov_b32_e32 v35, v37
	s_mov_b32 s7, 0
	.p2align	6
.LBB11_37:                              ; =>This Inner Loop Header: Depth=1
	s_clause 0x3
	buffer_load_dword v42, v35, s[0:3], 0 offen offset:8
	buffer_load_dword v43, v35, s[0:3], 0 offen offset:12
	buffer_load_dword v44, v35, s[0:3], 0 offen
	buffer_load_dword v45, v35, s[0:3], 0 offen offset:4
	ds_read_b128 v[38:41], v34
	v_add_nc_u32_e32 v33, 1, v33
	v_add_nc_u32_e32 v34, 16, v34
	;; [unrolled: 1-line block ×3, first 2 shown]
	v_cmp_lt_u32_e32 vcc_lo, 4, v33
	s_or_b32 s7, vcc_lo, s7
	s_waitcnt vmcnt(2) lgkmcnt(0)
	v_mul_f64 v[46:47], v[40:41], v[42:43]
	v_mul_f64 v[42:43], v[38:39], v[42:43]
	s_waitcnt vmcnt(0)
	v_fma_f64 v[38:39], v[38:39], v[44:45], -v[46:47]
	v_fma_f64 v[40:41], v[40:41], v[44:45], v[42:43]
	v_add_f64 v[5:6], v[5:6], v[38:39]
	v_add_f64 v[3:4], v[3:4], v[40:41]
	s_andn2_b32 exec_lo, exec_lo, s7
	s_cbranch_execnz .LBB11_37
; %bb.38:
	s_or_b32 exec_lo, exec_lo, s7
	v_mov_b32_e32 v33, 0
	ds_read_b128 v[33:36], v33 offset:96
	s_waitcnt lgkmcnt(0)
	v_mul_f64 v[38:39], v[3:4], v[35:36]
	v_mul_f64 v[35:36], v[5:6], v[35:36]
	v_fma_f64 v[5:6], v[5:6], v[33:34], -v[38:39]
	v_fma_f64 v[3:4], v[3:4], v[33:34], v[35:36]
	buffer_store_dword v6, off, s[0:3], 0 offset:100
	buffer_store_dword v5, off, s[0:3], 0 offset:96
	;; [unrolled: 1-line block ×4, first 2 shown]
.LBB11_39:
	s_or_b32 exec_lo, exec_lo, s6
	v_mov_b32_e32 v6, s18
	s_waitcnt_vscnt null, 0x0
	s_barrier
	buffer_gl0_inv
	s_mov_b32 s6, exec_lo
	s_clause 0x3
	buffer_load_dword v3, v6, s[0:3], 0 offen
	buffer_load_dword v4, v6, s[0:3], 0 offen offset:4
	buffer_load_dword v5, v6, s[0:3], 0 offen offset:8
	;; [unrolled: 1-line block ×3, first 2 shown]
	s_waitcnt vmcnt(0)
	ds_write_b128 v31, v[3:6]
	s_waitcnt lgkmcnt(0)
	s_barrier
	buffer_gl0_inv
	v_cmpx_gt_u32_e32 7, v0
	s_cbranch_execz .LBB11_43
; %bb.40:
	v_mov_b32_e32 v3, 0
	v_mov_b32_e32 v5, 0
	v_add_nc_u32_e32 v33, -1, v0
	v_add_nc_u32_e32 v34, 0xc0, v37
	v_mov_b32_e32 v4, 0
	v_mov_b32_e32 v6, 0
	;; [unrolled: 1-line block ×3, first 2 shown]
	s_mov_b32 s7, 0
	.p2align	6
.LBB11_41:                              ; =>This Inner Loop Header: Depth=1
	s_clause 0x3
	buffer_load_dword v42, v35, s[0:3], 0 offen offset:8
	buffer_load_dword v43, v35, s[0:3], 0 offen offset:12
	buffer_load_dword v44, v35, s[0:3], 0 offen
	buffer_load_dword v45, v35, s[0:3], 0 offen offset:4
	ds_read_b128 v[38:41], v34
	v_add_nc_u32_e32 v33, 1, v33
	v_add_nc_u32_e32 v34, 16, v34
	;; [unrolled: 1-line block ×3, first 2 shown]
	v_cmp_lt_u32_e32 vcc_lo, 5, v33
	s_or_b32 s7, vcc_lo, s7
	s_waitcnt vmcnt(2) lgkmcnt(0)
	v_mul_f64 v[46:47], v[40:41], v[42:43]
	v_mul_f64 v[42:43], v[38:39], v[42:43]
	s_waitcnt vmcnt(0)
	v_fma_f64 v[38:39], v[38:39], v[44:45], -v[46:47]
	v_fma_f64 v[40:41], v[40:41], v[44:45], v[42:43]
	v_add_f64 v[5:6], v[5:6], v[38:39]
	v_add_f64 v[3:4], v[3:4], v[40:41]
	s_andn2_b32 exec_lo, exec_lo, s7
	s_cbranch_execnz .LBB11_41
; %bb.42:
	s_or_b32 exec_lo, exec_lo, s7
	v_mov_b32_e32 v33, 0
	ds_read_b128 v[33:36], v33 offset:112
	s_waitcnt lgkmcnt(0)
	v_mul_f64 v[38:39], v[3:4], v[35:36]
	v_mul_f64 v[35:36], v[5:6], v[35:36]
	v_fma_f64 v[5:6], v[5:6], v[33:34], -v[38:39]
	v_fma_f64 v[3:4], v[3:4], v[33:34], v[35:36]
	buffer_store_dword v6, off, s[0:3], 0 offset:116
	buffer_store_dword v5, off, s[0:3], 0 offset:112
	;; [unrolled: 1-line block ×4, first 2 shown]
.LBB11_43:
	s_or_b32 exec_lo, exec_lo, s6
	v_mov_b32_e32 v6, s17
	s_waitcnt_vscnt null, 0x0
	s_barrier
	buffer_gl0_inv
	s_mov_b32 s6, exec_lo
	s_clause 0x3
	buffer_load_dword v3, v6, s[0:3], 0 offen
	buffer_load_dword v4, v6, s[0:3], 0 offen offset:4
	buffer_load_dword v5, v6, s[0:3], 0 offen offset:8
	;; [unrolled: 1-line block ×3, first 2 shown]
	s_waitcnt vmcnt(0)
	ds_write_b128 v31, v[3:6]
	s_waitcnt lgkmcnt(0)
	s_barrier
	buffer_gl0_inv
	v_cmpx_gt_u32_e32 8, v0
	s_cbranch_execz .LBB11_47
; %bb.44:
	v_mov_b32_e32 v3, 0
	v_mov_b32_e32 v5, 0
	v_add_nc_u32_e32 v33, -1, v0
	v_add_nc_u32_e32 v34, 0xc0, v37
	v_mov_b32_e32 v4, 0
	v_mov_b32_e32 v6, 0
	;; [unrolled: 1-line block ×3, first 2 shown]
	s_mov_b32 s7, 0
	.p2align	6
.LBB11_45:                              ; =>This Inner Loop Header: Depth=1
	s_clause 0x3
	buffer_load_dword v42, v35, s[0:3], 0 offen offset:8
	buffer_load_dword v43, v35, s[0:3], 0 offen offset:12
	buffer_load_dword v44, v35, s[0:3], 0 offen
	buffer_load_dword v45, v35, s[0:3], 0 offen offset:4
	ds_read_b128 v[38:41], v34
	v_add_nc_u32_e32 v33, 1, v33
	v_add_nc_u32_e32 v34, 16, v34
	;; [unrolled: 1-line block ×3, first 2 shown]
	v_cmp_lt_u32_e32 vcc_lo, 6, v33
	s_or_b32 s7, vcc_lo, s7
	s_waitcnt vmcnt(2) lgkmcnt(0)
	v_mul_f64 v[46:47], v[40:41], v[42:43]
	v_mul_f64 v[42:43], v[38:39], v[42:43]
	s_waitcnt vmcnt(0)
	v_fma_f64 v[38:39], v[38:39], v[44:45], -v[46:47]
	v_fma_f64 v[40:41], v[40:41], v[44:45], v[42:43]
	v_add_f64 v[5:6], v[5:6], v[38:39]
	v_add_f64 v[3:4], v[3:4], v[40:41]
	s_andn2_b32 exec_lo, exec_lo, s7
	s_cbranch_execnz .LBB11_45
; %bb.46:
	s_or_b32 exec_lo, exec_lo, s7
	v_mov_b32_e32 v33, 0
	ds_read_b128 v[33:36], v33 offset:128
	s_waitcnt lgkmcnt(0)
	v_mul_f64 v[38:39], v[3:4], v[35:36]
	v_mul_f64 v[35:36], v[5:6], v[35:36]
	v_fma_f64 v[5:6], v[5:6], v[33:34], -v[38:39]
	v_fma_f64 v[3:4], v[3:4], v[33:34], v[35:36]
	buffer_store_dword v6, off, s[0:3], 0 offset:132
	buffer_store_dword v5, off, s[0:3], 0 offset:128
	;; [unrolled: 1-line block ×4, first 2 shown]
.LBB11_47:
	s_or_b32 exec_lo, exec_lo, s6
	v_mov_b32_e32 v6, s16
	s_waitcnt_vscnt null, 0x0
	s_barrier
	buffer_gl0_inv
	s_mov_b32 s6, exec_lo
	s_clause 0x3
	buffer_load_dword v3, v6, s[0:3], 0 offen
	buffer_load_dword v4, v6, s[0:3], 0 offen offset:4
	buffer_load_dword v5, v6, s[0:3], 0 offen offset:8
	;; [unrolled: 1-line block ×3, first 2 shown]
	s_waitcnt vmcnt(0)
	ds_write_b128 v31, v[3:6]
	s_waitcnt lgkmcnt(0)
	s_barrier
	buffer_gl0_inv
	v_cmpx_gt_u32_e32 9, v0
	s_cbranch_execz .LBB11_51
; %bb.48:
	v_mov_b32_e32 v3, 0
	v_mov_b32_e32 v5, 0
	v_add_nc_u32_e32 v33, -1, v0
	v_add_nc_u32_e32 v34, 0xc0, v37
	v_mov_b32_e32 v4, 0
	v_mov_b32_e32 v6, 0
	;; [unrolled: 1-line block ×3, first 2 shown]
	s_mov_b32 s7, 0
	.p2align	6
.LBB11_49:                              ; =>This Inner Loop Header: Depth=1
	s_clause 0x3
	buffer_load_dword v42, v35, s[0:3], 0 offen offset:8
	buffer_load_dword v43, v35, s[0:3], 0 offen offset:12
	buffer_load_dword v44, v35, s[0:3], 0 offen
	buffer_load_dword v45, v35, s[0:3], 0 offen offset:4
	ds_read_b128 v[38:41], v34
	v_add_nc_u32_e32 v33, 1, v33
	v_add_nc_u32_e32 v34, 16, v34
	v_add_nc_u32_e32 v35, 16, v35
	v_cmp_lt_u32_e32 vcc_lo, 7, v33
	s_or_b32 s7, vcc_lo, s7
	s_waitcnt vmcnt(2) lgkmcnt(0)
	v_mul_f64 v[46:47], v[40:41], v[42:43]
	v_mul_f64 v[42:43], v[38:39], v[42:43]
	s_waitcnt vmcnt(0)
	v_fma_f64 v[38:39], v[38:39], v[44:45], -v[46:47]
	v_fma_f64 v[40:41], v[40:41], v[44:45], v[42:43]
	v_add_f64 v[5:6], v[5:6], v[38:39]
	v_add_f64 v[3:4], v[3:4], v[40:41]
	s_andn2_b32 exec_lo, exec_lo, s7
	s_cbranch_execnz .LBB11_49
; %bb.50:
	s_or_b32 exec_lo, exec_lo, s7
	v_mov_b32_e32 v33, 0
	ds_read_b128 v[33:36], v33 offset:144
	s_waitcnt lgkmcnt(0)
	v_mul_f64 v[38:39], v[3:4], v[35:36]
	v_mul_f64 v[35:36], v[5:6], v[35:36]
	v_fma_f64 v[5:6], v[5:6], v[33:34], -v[38:39]
	v_fma_f64 v[3:4], v[3:4], v[33:34], v[35:36]
	buffer_store_dword v6, off, s[0:3], 0 offset:148
	buffer_store_dword v5, off, s[0:3], 0 offset:144
	;; [unrolled: 1-line block ×4, first 2 shown]
.LBB11_51:
	s_or_b32 exec_lo, exec_lo, s6
	v_mov_b32_e32 v6, s13
	s_waitcnt_vscnt null, 0x0
	s_barrier
	buffer_gl0_inv
	s_mov_b32 s6, exec_lo
	s_clause 0x3
	buffer_load_dword v3, v6, s[0:3], 0 offen
	buffer_load_dword v4, v6, s[0:3], 0 offen offset:4
	buffer_load_dword v5, v6, s[0:3], 0 offen offset:8
	;; [unrolled: 1-line block ×3, first 2 shown]
	s_waitcnt vmcnt(0)
	ds_write_b128 v31, v[3:6]
	s_waitcnt lgkmcnt(0)
	s_barrier
	buffer_gl0_inv
	v_cmpx_gt_u32_e32 10, v0
	s_cbranch_execz .LBB11_55
; %bb.52:
	v_mov_b32_e32 v3, 0
	v_mov_b32_e32 v5, 0
	v_add_nc_u32_e32 v33, -1, v0
	v_add_nc_u32_e32 v34, 0xc0, v37
	v_mov_b32_e32 v4, 0
	v_mov_b32_e32 v6, 0
	;; [unrolled: 1-line block ×3, first 2 shown]
	s_mov_b32 s7, 0
	.p2align	6
.LBB11_53:                              ; =>This Inner Loop Header: Depth=1
	s_clause 0x3
	buffer_load_dword v42, v35, s[0:3], 0 offen offset:8
	buffer_load_dword v43, v35, s[0:3], 0 offen offset:12
	buffer_load_dword v44, v35, s[0:3], 0 offen
	buffer_load_dword v45, v35, s[0:3], 0 offen offset:4
	ds_read_b128 v[38:41], v34
	v_add_nc_u32_e32 v33, 1, v33
	v_add_nc_u32_e32 v34, 16, v34
	;; [unrolled: 1-line block ×3, first 2 shown]
	v_cmp_lt_u32_e32 vcc_lo, 8, v33
	s_or_b32 s7, vcc_lo, s7
	s_waitcnt vmcnt(2) lgkmcnt(0)
	v_mul_f64 v[46:47], v[40:41], v[42:43]
	v_mul_f64 v[42:43], v[38:39], v[42:43]
	s_waitcnt vmcnt(0)
	v_fma_f64 v[38:39], v[38:39], v[44:45], -v[46:47]
	v_fma_f64 v[40:41], v[40:41], v[44:45], v[42:43]
	v_add_f64 v[5:6], v[5:6], v[38:39]
	v_add_f64 v[3:4], v[3:4], v[40:41]
	s_andn2_b32 exec_lo, exec_lo, s7
	s_cbranch_execnz .LBB11_53
; %bb.54:
	s_or_b32 exec_lo, exec_lo, s7
	v_mov_b32_e32 v33, 0
	ds_read_b128 v[33:36], v33 offset:160
	s_waitcnt lgkmcnt(0)
	v_mul_f64 v[38:39], v[3:4], v[35:36]
	v_mul_f64 v[35:36], v[5:6], v[35:36]
	v_fma_f64 v[5:6], v[5:6], v[33:34], -v[38:39]
	v_fma_f64 v[3:4], v[3:4], v[33:34], v[35:36]
	buffer_store_dword v6, off, s[0:3], 0 offset:164
	buffer_store_dword v5, off, s[0:3], 0 offset:160
	;; [unrolled: 1-line block ×4, first 2 shown]
.LBB11_55:
	s_or_b32 exec_lo, exec_lo, s6
	v_mov_b32_e32 v6, s12
	s_waitcnt_vscnt null, 0x0
	s_barrier
	buffer_gl0_inv
	s_mov_b32 s6, exec_lo
	s_clause 0x3
	buffer_load_dword v3, v6, s[0:3], 0 offen
	buffer_load_dword v4, v6, s[0:3], 0 offen offset:4
	buffer_load_dword v5, v6, s[0:3], 0 offen offset:8
	;; [unrolled: 1-line block ×3, first 2 shown]
	s_waitcnt vmcnt(0)
	ds_write_b128 v31, v[3:6]
	s_waitcnt lgkmcnt(0)
	s_barrier
	buffer_gl0_inv
	v_cmpx_ne_u32_e32 11, v0
	s_cbranch_execz .LBB11_59
; %bb.56:
	v_mov_b32_e32 v3, 0
	v_mov_b32_e32 v5, 0
	;; [unrolled: 1-line block ×5, first 2 shown]
	s_mov_b32 s7, 0
	.p2align	6
.LBB11_57:                              ; =>This Inner Loop Header: Depth=1
	s_clause 0x3
	buffer_load_dword v38, v33, s[0:3], 0 offen offset:8
	buffer_load_dword v39, v33, s[0:3], 0 offen offset:12
	buffer_load_dword v40, v33, s[0:3], 0 offen
	buffer_load_dword v41, v33, s[0:3], 0 offen offset:4
	ds_read_b128 v[34:37], v31
	v_add_nc_u32_e32 v32, 1, v32
	v_add_nc_u32_e32 v31, 16, v31
	;; [unrolled: 1-line block ×3, first 2 shown]
	v_cmp_lt_u32_e32 vcc_lo, 9, v32
	s_or_b32 s7, vcc_lo, s7
	s_waitcnt vmcnt(2) lgkmcnt(0)
	v_mul_f64 v[42:43], v[36:37], v[38:39]
	v_mul_f64 v[38:39], v[34:35], v[38:39]
	s_waitcnt vmcnt(0)
	v_fma_f64 v[34:35], v[34:35], v[40:41], -v[42:43]
	v_fma_f64 v[36:37], v[36:37], v[40:41], v[38:39]
	v_add_f64 v[5:6], v[5:6], v[34:35]
	v_add_f64 v[3:4], v[3:4], v[36:37]
	s_andn2_b32 exec_lo, exec_lo, s7
	s_cbranch_execnz .LBB11_57
; %bb.58:
	s_or_b32 exec_lo, exec_lo, s7
	v_mov_b32_e32 v31, 0
	ds_read_b128 v[31:34], v31 offset:176
	s_waitcnt lgkmcnt(0)
	v_mul_f64 v[35:36], v[3:4], v[33:34]
	v_mul_f64 v[33:34], v[5:6], v[33:34]
	v_fma_f64 v[5:6], v[5:6], v[31:32], -v[35:36]
	v_fma_f64 v[3:4], v[3:4], v[31:32], v[33:34]
	buffer_store_dword v6, off, s[0:3], 0 offset:180
	buffer_store_dword v5, off, s[0:3], 0 offset:176
	;; [unrolled: 1-line block ×4, first 2 shown]
.LBB11_59:
	s_or_b32 exec_lo, exec_lo, s6
	s_mov_b32 s7, -1
	s_waitcnt_vscnt null, 0x0
	s_barrier
	buffer_gl0_inv
.LBB11_60:
	s_and_b32 vcc_lo, exec_lo, s7
	s_cbranch_vccz .LBB11_62
; %bb.61:
	s_lshl_b64 s[6:7], s[8:9], 2
	v_mov_b32_e32 v3, 0
	s_add_u32 s6, s14, s6
	s_addc_u32 s7, s15, s7
	global_load_dword v3, v3, s[6:7]
	s_waitcnt vmcnt(0)
	v_cmp_ne_u32_e32 vcc_lo, 0, v3
	s_cbranch_vccz .LBB11_63
.LBB11_62:
	s_endpgm
.LBB11_63:
	v_lshl_add_u32 v3, v0, 4, 0xc0
	s_mov_b32 s6, exec_lo
	v_cmpx_eq_u32_e32 11, v0
	s_cbranch_execz .LBB11_65
; %bb.64:
	v_mov_b32_e32 v4, s13
	s_clause 0x3
	buffer_load_dword v31, v4, s[0:3], 0 offen
	buffer_load_dword v32, v4, s[0:3], 0 offen offset:4
	buffer_load_dword v33, v4, s[0:3], 0 offen offset:8
	;; [unrolled: 1-line block ×3, first 2 shown]
	v_mov_b32_e32 v4, 0
	buffer_store_dword v4, off, s[0:3], 0 offset:160
	buffer_store_dword v4, off, s[0:3], 0 offset:164
	;; [unrolled: 1-line block ×4, first 2 shown]
	s_waitcnt vmcnt(0)
	ds_write_b128 v3, v[31:34]
.LBB11_65:
	s_or_b32 exec_lo, exec_lo, s6
	s_waitcnt lgkmcnt(0)
	s_waitcnt_vscnt null, 0x0
	s_barrier
	buffer_gl0_inv
	s_clause 0x7
	buffer_load_dword v5, off, s[0:3], 0 offset:184
	buffer_load_dword v6, off, s[0:3], 0 offset:188
	;; [unrolled: 1-line block ×8, first 2 shown]
	v_mov_b32_e32 v4, 0
	s_mov_b32 s6, exec_lo
	ds_read_b128 v[31:34], v4 offset:368
	s_waitcnt vmcnt(6) lgkmcnt(0)
	v_mul_f64 v[41:42], v[33:34], v[5:6]
	v_mul_f64 v[5:6], v[31:32], v[5:6]
	s_waitcnt vmcnt(4)
	v_fma_f64 v[31:32], v[31:32], v[35:36], -v[41:42]
	v_fma_f64 v[5:6], v[33:34], v[35:36], v[5:6]
	v_add_f64 v[31:32], v[31:32], 0
	v_add_f64 v[5:6], v[5:6], 0
	s_waitcnt vmcnt(2)
	v_add_f64 v[31:32], v[37:38], -v[31:32]
	s_waitcnt vmcnt(0)
	v_add_f64 v[5:6], v[39:40], -v[5:6]
	buffer_store_dword v31, off, s[0:3], 0 offset:160
	buffer_store_dword v32, off, s[0:3], 0 offset:164
	;; [unrolled: 1-line block ×4, first 2 shown]
	v_cmpx_lt_u32_e32 9, v0
	s_cbranch_execz .LBB11_67
; %bb.66:
	v_mov_b32_e32 v5, s16
	s_clause 0x3
	buffer_load_dword v31, v5, s[0:3], 0 offen
	buffer_load_dword v32, v5, s[0:3], 0 offen offset:4
	buffer_load_dword v33, v5, s[0:3], 0 offen offset:8
	;; [unrolled: 1-line block ×3, first 2 shown]
	buffer_store_dword v4, off, s[0:3], 0 offset:144
	buffer_store_dword v4, off, s[0:3], 0 offset:148
	;; [unrolled: 1-line block ×4, first 2 shown]
	s_waitcnt vmcnt(0)
	ds_write_b128 v3, v[31:34]
.LBB11_67:
	s_or_b32 exec_lo, exec_lo, s6
	s_waitcnt lgkmcnt(0)
	s_waitcnt_vscnt null, 0x0
	s_barrier
	buffer_gl0_inv
	s_clause 0xb
	buffer_load_dword v5, off, s[0:3], 0 offset:168
	buffer_load_dword v6, off, s[0:3], 0 offset:172
	;; [unrolled: 1-line block ×12, first 2 shown]
	ds_read_b128 v[31:34], v4 offset:352
	ds_read_b128 v[35:38], v4 offset:368
	s_mov_b32 s6, exec_lo
	s_waitcnt vmcnt(10) lgkmcnt(1)
	v_mul_f64 v[49:50], v[33:34], v[5:6]
	v_mul_f64 v[4:5], v[31:32], v[5:6]
	s_waitcnt vmcnt(8) lgkmcnt(0)
	v_mul_f64 v[51:52], v[37:38], v[39:40]
	v_mul_f64 v[39:40], v[35:36], v[39:40]
	s_waitcnt vmcnt(6)
	v_fma_f64 v[31:32], v[31:32], v[41:42], -v[49:50]
	v_fma_f64 v[4:5], v[33:34], v[41:42], v[4:5]
	s_waitcnt vmcnt(4)
	v_fma_f64 v[33:34], v[35:36], v[43:44], -v[51:52]
	v_fma_f64 v[35:36], v[37:38], v[43:44], v[39:40]
	v_add_f64 v[31:32], v[31:32], 0
	v_add_f64 v[4:5], v[4:5], 0
	v_add_f64 v[31:32], v[31:32], v[33:34]
	v_add_f64 v[4:5], v[4:5], v[35:36]
	s_waitcnt vmcnt(2)
	v_add_f64 v[31:32], v[45:46], -v[31:32]
	s_waitcnt vmcnt(0)
	v_add_f64 v[4:5], v[47:48], -v[4:5]
	buffer_store_dword v31, off, s[0:3], 0 offset:144
	buffer_store_dword v32, off, s[0:3], 0 offset:148
	buffer_store_dword v4, off, s[0:3], 0 offset:152
	buffer_store_dword v5, off, s[0:3], 0 offset:156
	v_cmpx_lt_u32_e32 8, v0
	s_cbranch_execz .LBB11_69
; %bb.68:
	v_mov_b32_e32 v4, s17
	s_clause 0x3
	buffer_load_dword v31, v4, s[0:3], 0 offen
	buffer_load_dword v32, v4, s[0:3], 0 offen offset:4
	buffer_load_dword v33, v4, s[0:3], 0 offen offset:8
	;; [unrolled: 1-line block ×3, first 2 shown]
	v_mov_b32_e32 v4, 0
	buffer_store_dword v4, off, s[0:3], 0 offset:128
	buffer_store_dword v4, off, s[0:3], 0 offset:132
	;; [unrolled: 1-line block ×4, first 2 shown]
	s_waitcnt vmcnt(0)
	ds_write_b128 v3, v[31:34]
.LBB11_69:
	s_or_b32 exec_lo, exec_lo, s6
	s_waitcnt lgkmcnt(0)
	s_waitcnt_vscnt null, 0x0
	s_barrier
	buffer_gl0_inv
	s_clause 0xf
	buffer_load_dword v5, off, s[0:3], 0 offset:152
	buffer_load_dword v6, off, s[0:3], 0 offset:156
	;; [unrolled: 1-line block ×16, first 2 shown]
	v_mov_b32_e32 v4, 0
	ds_read_b128 v[31:34], v4 offset:336
	ds_read_b128 v[35:38], v4 offset:352
	;; [unrolled: 1-line block ×3, first 2 shown]
	s_mov_b32 s6, exec_lo
	s_waitcnt vmcnt(14) lgkmcnt(2)
	v_mul_f64 v[57:58], v[33:34], v[5:6]
	v_mul_f64 v[5:6], v[31:32], v[5:6]
	s_waitcnt vmcnt(12) lgkmcnt(1)
	v_mul_f64 v[59:60], v[37:38], v[43:44]
	v_mul_f64 v[43:44], v[35:36], v[43:44]
	s_waitcnt vmcnt(10)
	v_fma_f64 v[31:32], v[31:32], v[45:46], -v[57:58]
	v_fma_f64 v[5:6], v[33:34], v[45:46], v[5:6]
	s_waitcnt vmcnt(8) lgkmcnt(0)
	v_mul_f64 v[45:46], v[41:42], v[47:48]
	s_waitcnt vmcnt(6)
	v_fma_f64 v[35:36], v[35:36], v[49:50], -v[59:60]
	v_mul_f64 v[33:34], v[39:40], v[47:48]
	v_fma_f64 v[37:38], v[37:38], v[49:50], v[43:44]
	v_add_f64 v[31:32], v[31:32], 0
	v_add_f64 v[5:6], v[5:6], 0
	s_waitcnt vmcnt(4)
	v_fma_f64 v[39:40], v[39:40], v[51:52], -v[45:46]
	v_fma_f64 v[33:34], v[41:42], v[51:52], v[33:34]
	v_add_f64 v[31:32], v[31:32], v[35:36]
	v_add_f64 v[5:6], v[5:6], v[37:38]
	;; [unrolled: 1-line block ×4, first 2 shown]
	s_waitcnt vmcnt(2)
	v_add_f64 v[31:32], v[53:54], -v[31:32]
	s_waitcnt vmcnt(0)
	v_add_f64 v[5:6], v[55:56], -v[5:6]
	buffer_store_dword v31, off, s[0:3], 0 offset:128
	buffer_store_dword v32, off, s[0:3], 0 offset:132
	;; [unrolled: 1-line block ×4, first 2 shown]
	v_cmpx_lt_u32_e32 7, v0
	s_cbranch_execz .LBB11_71
; %bb.70:
	v_mov_b32_e32 v5, s18
	s_clause 0x3
	buffer_load_dword v31, v5, s[0:3], 0 offen
	buffer_load_dword v32, v5, s[0:3], 0 offen offset:4
	buffer_load_dword v33, v5, s[0:3], 0 offen offset:8
	;; [unrolled: 1-line block ×3, first 2 shown]
	buffer_store_dword v4, off, s[0:3], 0 offset:112
	buffer_store_dword v4, off, s[0:3], 0 offset:116
	;; [unrolled: 1-line block ×4, first 2 shown]
	s_waitcnt vmcnt(0)
	ds_write_b128 v3, v[31:34]
.LBB11_71:
	s_or_b32 exec_lo, exec_lo, s6
	s_waitcnt lgkmcnt(0)
	s_waitcnt_vscnt null, 0x0
	s_barrier
	buffer_gl0_inv
	s_clause 0x13
	buffer_load_dword v5, off, s[0:3], 0 offset:136
	buffer_load_dword v6, off, s[0:3], 0 offset:140
	;; [unrolled: 1-line block ×20, first 2 shown]
	ds_read_b128 v[31:34], v4 offset:320
	ds_read_b128 v[35:38], v4 offset:336
	;; [unrolled: 1-line block ×3, first 2 shown]
	s_mov_b32 s6, exec_lo
	s_waitcnt vmcnt(18) lgkmcnt(2)
	v_mul_f64 v[61:62], v[33:34], v[5:6]
	v_mul_f64 v[5:6], v[31:32], v[5:6]
	s_waitcnt vmcnt(16) lgkmcnt(1)
	v_mul_f64 v[63:64], v[37:38], v[43:44]
	v_mul_f64 v[43:44], v[35:36], v[43:44]
	s_waitcnt vmcnt(14)
	v_fma_f64 v[61:62], v[31:32], v[45:46], -v[61:62]
	v_fma_f64 v[5:6], v[33:34], v[45:46], v[5:6]
	ds_read_b128 v[31:34], v4 offset:368
	s_waitcnt vmcnt(12) lgkmcnt(1)
	v_mul_f64 v[45:46], v[39:40], v[47:48]
	v_mul_f64 v[47:48], v[41:42], v[47:48]
	s_waitcnt vmcnt(10)
	v_fma_f64 v[35:36], v[35:36], v[49:50], -v[63:64]
	v_fma_f64 v[37:38], v[37:38], v[49:50], v[43:44]
	s_waitcnt vmcnt(8) lgkmcnt(0)
	v_mul_f64 v[49:50], v[33:34], v[51:52]
	v_add_f64 v[61:62], v[61:62], 0
	v_add_f64 v[4:5], v[5:6], 0
	v_mul_f64 v[43:44], v[31:32], v[51:52]
	s_waitcnt vmcnt(6)
	v_fma_f64 v[39:40], v[39:40], v[53:54], -v[47:48]
	v_fma_f64 v[41:42], v[41:42], v[53:54], v[45:46]
	s_waitcnt vmcnt(4)
	v_fma_f64 v[31:32], v[31:32], v[55:56], -v[49:50]
	v_add_f64 v[35:36], v[61:62], v[35:36]
	v_add_f64 v[4:5], v[4:5], v[37:38]
	v_fma_f64 v[33:34], v[33:34], v[55:56], v[43:44]
	v_add_f64 v[35:36], v[35:36], v[39:40]
	v_add_f64 v[4:5], v[4:5], v[41:42]
	v_add_f64 v[31:32], v[35:36], v[31:32]
	v_add_f64 v[4:5], v[4:5], v[33:34]
	s_waitcnt vmcnt(2)
	v_add_f64 v[31:32], v[57:58], -v[31:32]
	s_waitcnt vmcnt(0)
	v_add_f64 v[4:5], v[59:60], -v[4:5]
	buffer_store_dword v31, off, s[0:3], 0 offset:112
	buffer_store_dword v32, off, s[0:3], 0 offset:116
	buffer_store_dword v4, off, s[0:3], 0 offset:120
	buffer_store_dword v5, off, s[0:3], 0 offset:124
	v_cmpx_lt_u32_e32 6, v0
	s_cbranch_execz .LBB11_73
; %bb.72:
	v_mov_b32_e32 v4, s19
	s_clause 0x3
	buffer_load_dword v31, v4, s[0:3], 0 offen
	buffer_load_dword v32, v4, s[0:3], 0 offen offset:4
	buffer_load_dword v33, v4, s[0:3], 0 offen offset:8
	;; [unrolled: 1-line block ×3, first 2 shown]
	v_mov_b32_e32 v4, 0
	buffer_store_dword v4, off, s[0:3], 0 offset:96
	buffer_store_dword v4, off, s[0:3], 0 offset:100
	;; [unrolled: 1-line block ×4, first 2 shown]
	s_waitcnt vmcnt(0)
	ds_write_b128 v3, v[31:34]
.LBB11_73:
	s_or_b32 exec_lo, exec_lo, s6
	s_waitcnt lgkmcnt(0)
	s_waitcnt_vscnt null, 0x0
	s_barrier
	buffer_gl0_inv
	s_clause 0x17
	buffer_load_dword v5, off, s[0:3], 0 offset:120
	buffer_load_dword v6, off, s[0:3], 0 offset:124
	;; [unrolled: 1-line block ×24, first 2 shown]
	v_mov_b32_e32 v4, 0
	ds_read_b128 v[31:34], v4 offset:304
	ds_read_b128 v[35:38], v4 offset:320
	;; [unrolled: 1-line block ×3, first 2 shown]
	s_mov_b32 s6, exec_lo
	s_waitcnt vmcnt(22) lgkmcnt(2)
	v_mul_f64 v[65:66], v[33:34], v[5:6]
	v_mul_f64 v[5:6], v[31:32], v[5:6]
	s_waitcnt vmcnt(20) lgkmcnt(1)
	v_mul_f64 v[67:68], v[37:38], v[43:44]
	v_mul_f64 v[43:44], v[35:36], v[43:44]
	s_waitcnt vmcnt(18)
	v_fma_f64 v[65:66], v[31:32], v[45:46], -v[65:66]
	v_fma_f64 v[5:6], v[33:34], v[45:46], v[5:6]
	ds_read_b128 v[31:34], v4 offset:352
	s_waitcnt vmcnt(16) lgkmcnt(1)
	v_mul_f64 v[45:46], v[39:40], v[47:48]
	v_mul_f64 v[47:48], v[41:42], v[47:48]
	s_waitcnt vmcnt(14)
	v_fma_f64 v[67:68], v[35:36], v[49:50], -v[67:68]
	v_fma_f64 v[43:44], v[37:38], v[49:50], v[43:44]
	ds_read_b128 v[35:38], v4 offset:368
	s_waitcnt vmcnt(10) lgkmcnt(1)
	v_mul_f64 v[49:50], v[31:32], v[51:52]
	v_add_f64 v[65:66], v[65:66], 0
	v_add_f64 v[5:6], v[5:6], 0
	v_mul_f64 v[51:52], v[33:34], v[51:52]
	s_waitcnt vmcnt(8)
	v_fma_f64 v[39:40], v[39:40], v[57:58], -v[47:48]
	v_fma_f64 v[41:42], v[41:42], v[57:58], v[45:46]
	s_waitcnt vmcnt(7) lgkmcnt(0)
	v_mul_f64 v[45:46], v[37:38], v[53:54]
	s_waitcnt vmcnt(5)
	v_fma_f64 v[33:34], v[33:34], v[59:60], v[49:50]
	v_add_f64 v[47:48], v[65:66], v[67:68]
	v_add_f64 v[5:6], v[5:6], v[43:44]
	v_fma_f64 v[31:32], v[31:32], v[59:60], -v[51:52]
	v_mul_f64 v[43:44], v[35:36], v[53:54]
	s_waitcnt vmcnt(4)
	v_fma_f64 v[35:36], v[35:36], v[55:56], -v[45:46]
	v_add_f64 v[39:40], v[47:48], v[39:40]
	v_add_f64 v[5:6], v[5:6], v[41:42]
	v_fma_f64 v[37:38], v[37:38], v[55:56], v[43:44]
	v_add_f64 v[31:32], v[39:40], v[31:32]
	v_add_f64 v[5:6], v[5:6], v[33:34]
	;; [unrolled: 1-line block ×4, first 2 shown]
	s_waitcnt vmcnt(2)
	v_add_f64 v[31:32], v[61:62], -v[31:32]
	s_waitcnt vmcnt(0)
	v_add_f64 v[5:6], v[63:64], -v[5:6]
	buffer_store_dword v32, off, s[0:3], 0 offset:100
	buffer_store_dword v31, off, s[0:3], 0 offset:96
	;; [unrolled: 1-line block ×4, first 2 shown]
	v_cmpx_lt_u32_e32 5, v0
	s_cbranch_execz .LBB11_75
; %bb.74:
	v_mov_b32_e32 v5, s20
	s_clause 0x3
	buffer_load_dword v31, v5, s[0:3], 0 offen
	buffer_load_dword v32, v5, s[0:3], 0 offen offset:4
	buffer_load_dword v33, v5, s[0:3], 0 offen offset:8
	;; [unrolled: 1-line block ×3, first 2 shown]
	buffer_store_dword v4, off, s[0:3], 0 offset:80
	buffer_store_dword v4, off, s[0:3], 0 offset:84
	;; [unrolled: 1-line block ×4, first 2 shown]
	s_waitcnt vmcnt(0)
	ds_write_b128 v3, v[31:34]
.LBB11_75:
	s_or_b32 exec_lo, exec_lo, s6
	s_waitcnt lgkmcnt(0)
	s_waitcnt_vscnt null, 0x0
	s_barrier
	buffer_gl0_inv
	s_clause 0x1b
	buffer_load_dword v5, off, s[0:3], 0 offset:104
	buffer_load_dword v6, off, s[0:3], 0 offset:108
	;; [unrolled: 1-line block ×28, first 2 shown]
	ds_read_b128 v[31:34], v4 offset:288
	ds_read_b128 v[35:38], v4 offset:304
	;; [unrolled: 1-line block ×3, first 2 shown]
	s_mov_b32 s6, exec_lo
	s_waitcnt vmcnt(26) lgkmcnt(2)
	v_mul_f64 v[69:70], v[33:34], v[5:6]
	v_mul_f64 v[5:6], v[31:32], v[5:6]
	s_waitcnt vmcnt(24) lgkmcnt(1)
	v_mul_f64 v[71:72], v[37:38], v[43:44]
	v_mul_f64 v[43:44], v[35:36], v[43:44]
	s_waitcnt vmcnt(22)
	v_fma_f64 v[69:70], v[31:32], v[45:46], -v[69:70]
	v_fma_f64 v[5:6], v[33:34], v[45:46], v[5:6]
	ds_read_b128 v[31:34], v4 offset:336
	s_waitcnt vmcnt(20) lgkmcnt(1)
	v_mul_f64 v[45:46], v[39:40], v[47:48]
	v_mul_f64 v[47:48], v[41:42], v[47:48]
	s_waitcnt vmcnt(18)
	v_fma_f64 v[71:72], v[35:36], v[49:50], -v[71:72]
	v_fma_f64 v[43:44], v[37:38], v[49:50], v[43:44]
	ds_read_b128 v[35:38], v4 offset:352
	s_waitcnt vmcnt(14) lgkmcnt(1)
	v_mul_f64 v[49:50], v[31:32], v[51:52]
	v_add_f64 v[69:70], v[69:70], 0
	v_add_f64 v[5:6], v[5:6], 0
	v_mul_f64 v[51:52], v[33:34], v[51:52]
	s_waitcnt vmcnt(12)
	v_fma_f64 v[47:48], v[39:40], v[57:58], -v[47:48]
	v_fma_f64 v[45:46], v[41:42], v[57:58], v[45:46]
	ds_read_b128 v[39:42], v4 offset:368
	s_waitcnt vmcnt(9)
	v_fma_f64 v[33:34], v[33:34], v[59:60], v[49:50]
	v_add_f64 v[69:70], v[69:70], v[71:72]
	v_add_f64 v[5:6], v[5:6], v[43:44]
	s_waitcnt lgkmcnt(1)
	v_mul_f64 v[43:44], v[35:36], v[53:54]
	v_mul_f64 v[53:54], v[37:38], v[53:54]
	v_fma_f64 v[31:32], v[31:32], v[59:60], -v[51:52]
	s_waitcnt vmcnt(7) lgkmcnt(0)
	v_mul_f64 v[49:50], v[41:42], v[61:62]
	v_add_f64 v[47:48], v[69:70], v[47:48]
	v_add_f64 v[4:5], v[5:6], v[45:46]
	v_mul_f64 v[45:46], v[39:40], v[61:62]
	s_waitcnt vmcnt(6)
	v_fma_f64 v[35:36], v[35:36], v[55:56], -v[53:54]
	v_fma_f64 v[37:38], v[37:38], v[55:56], v[43:44]
	v_add_f64 v[31:32], v[47:48], v[31:32]
	v_add_f64 v[4:5], v[4:5], v[33:34]
	s_waitcnt vmcnt(4)
	v_fma_f64 v[33:34], v[39:40], v[63:64], -v[49:50]
	v_add_f64 v[31:32], v[31:32], v[35:36]
	v_fma_f64 v[35:36], v[41:42], v[63:64], v[45:46]
	v_add_f64 v[4:5], v[4:5], v[37:38]
	v_add_f64 v[31:32], v[31:32], v[33:34]
	;; [unrolled: 1-line block ×3, first 2 shown]
	s_waitcnt vmcnt(2)
	v_add_f64 v[31:32], v[65:66], -v[31:32]
	s_waitcnt vmcnt(0)
	v_add_f64 v[4:5], v[67:68], -v[4:5]
	buffer_store_dword v32, off, s[0:3], 0 offset:84
	buffer_store_dword v31, off, s[0:3], 0 offset:80
	;; [unrolled: 1-line block ×4, first 2 shown]
	v_cmpx_lt_u32_e32 4, v0
	s_cbranch_execz .LBB11_77
; %bb.76:
	v_mov_b32_e32 v4, s21
	s_clause 0x3
	buffer_load_dword v31, v4, s[0:3], 0 offen
	buffer_load_dword v32, v4, s[0:3], 0 offen offset:4
	buffer_load_dword v33, v4, s[0:3], 0 offen offset:8
	;; [unrolled: 1-line block ×3, first 2 shown]
	v_mov_b32_e32 v4, 0
	buffer_store_dword v4, off, s[0:3], 0 offset:64
	buffer_store_dword v4, off, s[0:3], 0 offset:68
	;; [unrolled: 1-line block ×4, first 2 shown]
	s_waitcnt vmcnt(0)
	ds_write_b128 v3, v[31:34]
.LBB11_77:
	s_or_b32 exec_lo, exec_lo, s6
	s_waitcnt lgkmcnt(0)
	s_waitcnt_vscnt null, 0x0
	s_barrier
	buffer_gl0_inv
	s_clause 0x1f
	buffer_load_dword v5, off, s[0:3], 0 offset:88
	buffer_load_dword v6, off, s[0:3], 0 offset:92
	;; [unrolled: 1-line block ×32, first 2 shown]
	v_mov_b32_e32 v4, 0
	ds_read_b128 v[31:34], v4 offset:272
	ds_read_b128 v[35:38], v4 offset:288
	;; [unrolled: 1-line block ×3, first 2 shown]
	s_mov_b32 s6, exec_lo
	s_waitcnt vmcnt(30) lgkmcnt(2)
	v_mul_f64 v[73:74], v[33:34], v[5:6]
	v_mul_f64 v[5:6], v[31:32], v[5:6]
	s_waitcnt vmcnt(28) lgkmcnt(1)
	v_mul_f64 v[75:76], v[37:38], v[43:44]
	v_mul_f64 v[43:44], v[35:36], v[43:44]
	s_waitcnt vmcnt(26)
	v_fma_f64 v[73:74], v[31:32], v[45:46], -v[73:74]
	v_fma_f64 v[5:6], v[33:34], v[45:46], v[5:6]
	ds_read_b128 v[31:34], v4 offset:320
	s_waitcnt vmcnt(24) lgkmcnt(1)
	v_mul_f64 v[45:46], v[39:40], v[47:48]
	v_mul_f64 v[47:48], v[41:42], v[47:48]
	s_waitcnt vmcnt(22)
	v_fma_f64 v[75:76], v[35:36], v[49:50], -v[75:76]
	v_fma_f64 v[43:44], v[37:38], v[49:50], v[43:44]
	ds_read_b128 v[35:38], v4 offset:336
	s_waitcnt vmcnt(18) lgkmcnt(1)
	v_mul_f64 v[49:50], v[31:32], v[51:52]
	v_add_f64 v[73:74], v[73:74], 0
	v_add_f64 v[5:6], v[5:6], 0
	v_mul_f64 v[51:52], v[33:34], v[51:52]
	s_waitcnt vmcnt(16)
	v_fma_f64 v[47:48], v[39:40], v[57:58], -v[47:48]
	v_fma_f64 v[45:46], v[41:42], v[57:58], v[45:46]
	ds_read_b128 v[39:42], v4 offset:352
	s_waitcnt vmcnt(13)
	v_fma_f64 v[49:50], v[33:34], v[59:60], v[49:50]
	v_add_f64 v[73:74], v[73:74], v[75:76]
	v_add_f64 v[5:6], v[5:6], v[43:44]
	s_waitcnt lgkmcnt(1)
	v_mul_f64 v[43:44], v[35:36], v[53:54]
	v_mul_f64 v[53:54], v[37:38], v[53:54]
	v_fma_f64 v[51:52], v[31:32], v[59:60], -v[51:52]
	s_waitcnt vmcnt(9) lgkmcnt(0)
	v_mul_f64 v[57:58], v[41:42], v[61:62]
	ds_read_b128 v[31:34], v4 offset:368
	v_add_f64 v[47:48], v[73:74], v[47:48]
	v_add_f64 v[5:6], v[5:6], v[45:46]
	v_mul_f64 v[45:46], v[39:40], v[61:62]
	s_waitcnt vmcnt(8)
	v_fma_f64 v[35:36], v[35:36], v[55:56], -v[53:54]
	v_fma_f64 v[37:38], v[37:38], v[55:56], v[43:44]
	s_waitcnt vmcnt(5)
	v_fma_f64 v[39:40], v[39:40], v[67:68], -v[57:58]
	s_waitcnt lgkmcnt(0)
	v_mul_f64 v[43:44], v[31:32], v[63:64]
	v_add_f64 v[47:48], v[47:48], v[51:52]
	v_add_f64 v[5:6], v[5:6], v[49:50]
	v_mul_f64 v[49:50], v[33:34], v[63:64]
	v_fma_f64 v[41:42], v[41:42], v[67:68], v[45:46]
	s_waitcnt vmcnt(4)
	v_fma_f64 v[33:34], v[33:34], v[65:66], v[43:44]
	v_add_f64 v[35:36], v[47:48], v[35:36]
	v_add_f64 v[5:6], v[5:6], v[37:38]
	v_fma_f64 v[31:32], v[31:32], v[65:66], -v[49:50]
	v_add_f64 v[35:36], v[35:36], v[39:40]
	v_add_f64 v[5:6], v[5:6], v[41:42]
	;; [unrolled: 1-line block ×4, first 2 shown]
	s_waitcnt vmcnt(2)
	v_add_f64 v[31:32], v[69:70], -v[31:32]
	s_waitcnt vmcnt(0)
	v_add_f64 v[5:6], v[71:72], -v[5:6]
	buffer_store_dword v32, off, s[0:3], 0 offset:68
	buffer_store_dword v31, off, s[0:3], 0 offset:64
	;; [unrolled: 1-line block ×4, first 2 shown]
	v_cmpx_lt_u32_e32 3, v0
	s_cbranch_execz .LBB11_79
; %bb.78:
	v_mov_b32_e32 v5, s22
	s_clause 0x3
	buffer_load_dword v31, v5, s[0:3], 0 offen
	buffer_load_dword v32, v5, s[0:3], 0 offen offset:4
	buffer_load_dword v33, v5, s[0:3], 0 offen offset:8
	;; [unrolled: 1-line block ×3, first 2 shown]
	buffer_store_dword v4, off, s[0:3], 0 offset:48
	buffer_store_dword v4, off, s[0:3], 0 offset:52
	;; [unrolled: 1-line block ×4, first 2 shown]
	s_waitcnt vmcnt(0)
	ds_write_b128 v3, v[31:34]
.LBB11_79:
	s_or_b32 exec_lo, exec_lo, s6
	s_waitcnt lgkmcnt(0)
	s_waitcnt_vscnt null, 0x0
	s_barrier
	buffer_gl0_inv
	s_clause 0x23
	buffer_load_dword v5, off, s[0:3], 0 offset:72
	buffer_load_dword v6, off, s[0:3], 0 offset:76
	buffer_load_dword v43, off, s[0:3], 0 offset:88
	buffer_load_dword v44, off, s[0:3], 0 offset:92
	buffer_load_dword v45, off, s[0:3], 0 offset:64
	buffer_load_dword v46, off, s[0:3], 0 offset:68
	buffer_load_dword v47, off, s[0:3], 0 offset:104
	buffer_load_dword v48, off, s[0:3], 0 offset:108
	buffer_load_dword v49, off, s[0:3], 0 offset:80
	buffer_load_dword v50, off, s[0:3], 0 offset:84
	buffer_load_dword v52, off, s[0:3], 0 offset:124
	buffer_load_dword v51, off, s[0:3], 0 offset:120
	buffer_load_dword v53, off, s[0:3], 0 offset:96
	buffer_load_dword v54, off, s[0:3], 0 offset:100
	buffer_load_dword v55, off, s[0:3], 0 offset:136
	buffer_load_dword v56, off, s[0:3], 0 offset:140
	buffer_load_dword v58, off, s[0:3], 0 offset:116
	buffer_load_dword v57, off, s[0:3], 0 offset:112
	buffer_load_dword v60, off, s[0:3], 0 offset:156
	buffer_load_dword v59, off, s[0:3], 0 offset:152
	buffer_load_dword v61, off, s[0:3], 0 offset:128
	buffer_load_dword v62, off, s[0:3], 0 offset:132
	buffer_load_dword v63, off, s[0:3], 0 offset:168
	buffer_load_dword v64, off, s[0:3], 0 offset:172
	buffer_load_dword v66, off, s[0:3], 0 offset:148
	buffer_load_dword v65, off, s[0:3], 0 offset:144
	buffer_load_dword v68, off, s[0:3], 0 offset:188
	buffer_load_dword v67, off, s[0:3], 0 offset:184
	buffer_load_dword v69, off, s[0:3], 0 offset:160
	buffer_load_dword v70, off, s[0:3], 0 offset:164
	buffer_load_dword v72, off, s[0:3], 0 offset:180
	buffer_load_dword v71, off, s[0:3], 0 offset:176
	buffer_load_dword v73, off, s[0:3], 0 offset:48
	buffer_load_dword v74, off, s[0:3], 0 offset:52
	buffer_load_dword v75, off, s[0:3], 0 offset:56
	buffer_load_dword v76, off, s[0:3], 0 offset:60
	ds_read_b128 v[31:34], v4 offset:256
	ds_read_b128 v[35:38], v4 offset:272
	;; [unrolled: 1-line block ×3, first 2 shown]
	s_mov_b32 s6, exec_lo
	s_waitcnt vmcnt(34) lgkmcnt(2)
	v_mul_f64 v[77:78], v[33:34], v[5:6]
	v_mul_f64 v[5:6], v[31:32], v[5:6]
	s_waitcnt vmcnt(32) lgkmcnt(1)
	v_mul_f64 v[79:80], v[37:38], v[43:44]
	v_mul_f64 v[43:44], v[35:36], v[43:44]
	s_waitcnt vmcnt(30)
	v_fma_f64 v[77:78], v[31:32], v[45:46], -v[77:78]
	v_fma_f64 v[5:6], v[33:34], v[45:46], v[5:6]
	ds_read_b128 v[31:34], v4 offset:304
	s_waitcnt vmcnt(28) lgkmcnt(1)
	v_mul_f64 v[45:46], v[39:40], v[47:48]
	v_mul_f64 v[47:48], v[41:42], v[47:48]
	s_waitcnt vmcnt(26)
	v_fma_f64 v[79:80], v[35:36], v[49:50], -v[79:80]
	v_fma_f64 v[43:44], v[37:38], v[49:50], v[43:44]
	ds_read_b128 v[35:38], v4 offset:320
	s_waitcnt vmcnt(24) lgkmcnt(1)
	v_mul_f64 v[49:50], v[31:32], v[51:52]
	v_add_f64 v[77:78], v[77:78], 0
	v_add_f64 v[5:6], v[5:6], 0
	v_mul_f64 v[51:52], v[33:34], v[51:52]
	s_waitcnt vmcnt(22)
	v_fma_f64 v[47:48], v[39:40], v[53:54], -v[47:48]
	v_fma_f64 v[45:46], v[41:42], v[53:54], v[45:46]
	ds_read_b128 v[39:42], v4 offset:336
	s_waitcnt vmcnt(20) lgkmcnt(1)
	v_mul_f64 v[53:54], v[37:38], v[55:56]
	s_waitcnt vmcnt(18)
	v_fma_f64 v[49:50], v[33:34], v[57:58], v[49:50]
	v_add_f64 v[77:78], v[77:78], v[79:80]
	v_add_f64 v[5:6], v[5:6], v[43:44]
	v_fma_f64 v[51:52], v[31:32], v[57:58], -v[51:52]
	v_mul_f64 v[43:44], v[35:36], v[55:56]
	s_waitcnt vmcnt(16) lgkmcnt(0)
	v_mul_f64 v[55:56], v[41:42], v[59:60]
	ds_read_b128 v[31:34], v4 offset:352
	s_waitcnt vmcnt(14)
	v_fma_f64 v[53:54], v[35:36], v[61:62], -v[53:54]
	v_add_f64 v[47:48], v[77:78], v[47:48]
	v_add_f64 v[5:6], v[5:6], v[45:46]
	v_mul_f64 v[45:46], v[39:40], v[59:60]
	v_fma_f64 v[43:44], v[37:38], v[61:62], v[43:44]
	ds_read_b128 v[35:38], v4 offset:368
	s_waitcnt vmcnt(10)
	v_fma_f64 v[39:40], v[39:40], v[65:66], -v[55:56]
	v_add_f64 v[47:48], v[47:48], v[51:52]
	v_add_f64 v[5:6], v[5:6], v[49:50]
	s_waitcnt lgkmcnt(1)
	v_mul_f64 v[51:52], v[33:34], v[63:64]
	v_mul_f64 v[49:50], v[31:32], v[63:64]
	v_fma_f64 v[41:42], v[41:42], v[65:66], v[45:46]
	s_waitcnt vmcnt(8) lgkmcnt(0)
	v_mul_f64 v[45:46], v[37:38], v[67:68]
	v_add_f64 v[47:48], v[47:48], v[53:54]
	v_add_f64 v[4:5], v[5:6], v[43:44]
	s_waitcnt vmcnt(6)
	v_fma_f64 v[31:32], v[31:32], v[69:70], -v[51:52]
	v_mul_f64 v[43:44], v[35:36], v[67:68]
	v_fma_f64 v[33:34], v[33:34], v[69:70], v[49:50]
	s_waitcnt vmcnt(4)
	v_fma_f64 v[35:36], v[35:36], v[71:72], -v[45:46]
	v_add_f64 v[39:40], v[47:48], v[39:40]
	v_add_f64 v[4:5], v[4:5], v[41:42]
	v_fma_f64 v[37:38], v[37:38], v[71:72], v[43:44]
	v_add_f64 v[31:32], v[39:40], v[31:32]
	v_add_f64 v[4:5], v[4:5], v[33:34]
	;; [unrolled: 1-line block ×4, first 2 shown]
	s_waitcnt vmcnt(2)
	v_add_f64 v[31:32], v[73:74], -v[31:32]
	s_waitcnt vmcnt(0)
	v_add_f64 v[4:5], v[75:76], -v[4:5]
	buffer_store_dword v32, off, s[0:3], 0 offset:52
	buffer_store_dword v31, off, s[0:3], 0 offset:48
	;; [unrolled: 1-line block ×4, first 2 shown]
	v_cmpx_lt_u32_e32 2, v0
	s_cbranch_execz .LBB11_81
; %bb.80:
	v_mov_b32_e32 v4, s23
	s_clause 0x3
	buffer_load_dword v31, v4, s[0:3], 0 offen
	buffer_load_dword v32, v4, s[0:3], 0 offen offset:4
	buffer_load_dword v33, v4, s[0:3], 0 offen offset:8
	;; [unrolled: 1-line block ×3, first 2 shown]
	v_mov_b32_e32 v4, 0
	buffer_store_dword v4, off, s[0:3], 0 offset:32
	buffer_store_dword v4, off, s[0:3], 0 offset:36
	buffer_store_dword v4, off, s[0:3], 0 offset:40
	buffer_store_dword v4, off, s[0:3], 0 offset:44
	s_waitcnt vmcnt(0)
	ds_write_b128 v3, v[31:34]
.LBB11_81:
	s_or_b32 exec_lo, exec_lo, s6
	s_waitcnt lgkmcnt(0)
	s_waitcnt_vscnt null, 0x0
	s_barrier
	buffer_gl0_inv
	s_clause 0x27
	buffer_load_dword v5, off, s[0:3], 0 offset:56
	buffer_load_dword v6, off, s[0:3], 0 offset:60
	;; [unrolled: 1-line block ×40, first 2 shown]
	v_mov_b32_e32 v4, 0
	ds_read_b128 v[31:34], v4 offset:240
	ds_read_b128 v[35:38], v4 offset:256
	;; [unrolled: 1-line block ×3, first 2 shown]
	s_mov_b32 s6, exec_lo
	s_waitcnt vmcnt(38) lgkmcnt(2)
	v_mul_f64 v[81:82], v[33:34], v[5:6]
	v_mul_f64 v[5:6], v[31:32], v[5:6]
	s_waitcnt vmcnt(36) lgkmcnt(1)
	v_mul_f64 v[83:84], v[37:38], v[43:44]
	v_mul_f64 v[43:44], v[35:36], v[43:44]
	s_waitcnt vmcnt(34)
	v_fma_f64 v[81:82], v[31:32], v[45:46], -v[81:82]
	v_fma_f64 v[5:6], v[33:34], v[45:46], v[5:6]
	ds_read_b128 v[31:34], v4 offset:288
	s_waitcnt vmcnt(32) lgkmcnt(1)
	v_mul_f64 v[45:46], v[39:40], v[47:48]
	v_mul_f64 v[47:48], v[41:42], v[47:48]
	s_waitcnt vmcnt(30)
	v_fma_f64 v[83:84], v[35:36], v[49:50], -v[83:84]
	v_fma_f64 v[43:44], v[37:38], v[49:50], v[43:44]
	ds_read_b128 v[35:38], v4 offset:304
	s_waitcnt vmcnt(26) lgkmcnt(1)
	v_mul_f64 v[49:50], v[31:32], v[51:52]
	v_add_f64 v[81:82], v[81:82], 0
	v_add_f64 v[5:6], v[5:6], 0
	v_mul_f64 v[51:52], v[33:34], v[51:52]
	s_waitcnt vmcnt(24)
	v_fma_f64 v[47:48], v[39:40], v[57:58], -v[47:48]
	v_fma_f64 v[45:46], v[41:42], v[57:58], v[45:46]
	ds_read_b128 v[39:42], v4 offset:320
	s_waitcnt vmcnt(21)
	v_fma_f64 v[49:50], v[33:34], v[59:60], v[49:50]
	v_add_f64 v[81:82], v[81:82], v[83:84]
	v_add_f64 v[5:6], v[5:6], v[43:44]
	s_waitcnt lgkmcnt(1)
	v_mul_f64 v[43:44], v[35:36], v[53:54]
	v_mul_f64 v[53:54], v[37:38], v[53:54]
	v_fma_f64 v[51:52], v[31:32], v[59:60], -v[51:52]
	s_waitcnt vmcnt(17) lgkmcnt(0)
	v_mul_f64 v[57:58], v[41:42], v[61:62]
	ds_read_b128 v[31:34], v4 offset:336
	v_add_f64 v[47:48], v[81:82], v[47:48]
	v_add_f64 v[5:6], v[5:6], v[45:46]
	v_mul_f64 v[45:46], v[39:40], v[61:62]
	s_waitcnt vmcnt(16)
	v_fma_f64 v[53:54], v[35:36], v[55:56], -v[53:54]
	v_fma_f64 v[43:44], v[37:38], v[55:56], v[43:44]
	ds_read_b128 v[35:38], v4 offset:352
	s_waitcnt vmcnt(13)
	v_fma_f64 v[55:56], v[39:40], v[67:68], -v[57:58]
	v_add_f64 v[47:48], v[47:48], v[51:52]
	v_add_f64 v[5:6], v[5:6], v[49:50]
	s_waitcnt lgkmcnt(1)
	v_mul_f64 v[51:52], v[33:34], v[63:64]
	v_mul_f64 v[49:50], v[31:32], v[63:64]
	v_fma_f64 v[45:46], v[41:42], v[67:68], v[45:46]
	ds_read_b128 v[39:42], v4 offset:368
	v_add_f64 v[47:48], v[47:48], v[53:54]
	v_add_f64 v[5:6], v[5:6], v[43:44]
	s_waitcnt vmcnt(9) lgkmcnt(1)
	v_mul_f64 v[53:54], v[37:38], v[69:70]
	s_waitcnt vmcnt(8)
	v_fma_f64 v[31:32], v[31:32], v[65:66], -v[51:52]
	v_mul_f64 v[43:44], v[35:36], v[69:70]
	v_fma_f64 v[33:34], v[33:34], v[65:66], v[49:50]
	s_waitcnt vmcnt(7) lgkmcnt(0)
	v_mul_f64 v[49:50], v[41:42], v[71:72]
	v_add_f64 v[47:48], v[47:48], v[55:56]
	v_add_f64 v[5:6], v[5:6], v[45:46]
	s_waitcnt vmcnt(5)
	v_fma_f64 v[35:36], v[35:36], v[75:76], -v[53:54]
	v_mul_f64 v[45:46], v[39:40], v[71:72]
	v_fma_f64 v[37:38], v[37:38], v[75:76], v[43:44]
	v_add_f64 v[31:32], v[47:48], v[31:32]
	v_add_f64 v[5:6], v[5:6], v[33:34]
	s_waitcnt vmcnt(4)
	v_fma_f64 v[33:34], v[39:40], v[73:74], -v[49:50]
	v_add_f64 v[31:32], v[31:32], v[35:36]
	v_fma_f64 v[35:36], v[41:42], v[73:74], v[45:46]
	v_add_f64 v[5:6], v[5:6], v[37:38]
	v_add_f64 v[31:32], v[31:32], v[33:34]
	;; [unrolled: 1-line block ×3, first 2 shown]
	s_waitcnt vmcnt(2)
	v_add_f64 v[31:32], v[77:78], -v[31:32]
	s_waitcnt vmcnt(0)
	v_add_f64 v[5:6], v[79:80], -v[5:6]
	buffer_store_dword v32, off, s[0:3], 0 offset:36
	buffer_store_dword v31, off, s[0:3], 0 offset:32
	;; [unrolled: 1-line block ×4, first 2 shown]
	v_cmpx_lt_u32_e32 1, v0
	s_cbranch_execz .LBB11_83
; %bb.82:
	v_mov_b32_e32 v5, s24
	s_clause 0x3
	buffer_load_dword v31, v5, s[0:3], 0 offen
	buffer_load_dword v32, v5, s[0:3], 0 offen offset:4
	buffer_load_dword v33, v5, s[0:3], 0 offen offset:8
	;; [unrolled: 1-line block ×3, first 2 shown]
	buffer_store_dword v4, off, s[0:3], 0 offset:16
	buffer_store_dword v4, off, s[0:3], 0 offset:20
	;; [unrolled: 1-line block ×4, first 2 shown]
	s_waitcnt vmcnt(0)
	ds_write_b128 v3, v[31:34]
.LBB11_83:
	s_or_b32 exec_lo, exec_lo, s6
	s_waitcnt lgkmcnt(0)
	s_waitcnt_vscnt null, 0x0
	s_barrier
	buffer_gl0_inv
	s_clause 0x2b
	buffer_load_dword v5, off, s[0:3], 0 offset:40
	buffer_load_dword v6, off, s[0:3], 0 offset:44
	;; [unrolled: 1-line block ×44, first 2 shown]
	ds_read_b128 v[31:34], v4 offset:224
	ds_read_b128 v[35:38], v4 offset:240
	;; [unrolled: 1-line block ×3, first 2 shown]
	s_mov_b32 s6, exec_lo
	s_waitcnt vmcnt(42) lgkmcnt(2)
	v_mul_f64 v[85:86], v[33:34], v[5:6]
	v_mul_f64 v[5:6], v[31:32], v[5:6]
	s_waitcnt vmcnt(40) lgkmcnt(1)
	v_mul_f64 v[87:88], v[37:38], v[43:44]
	v_mul_f64 v[43:44], v[35:36], v[43:44]
	s_waitcnt vmcnt(38)
	v_fma_f64 v[85:86], v[31:32], v[45:46], -v[85:86]
	v_fma_f64 v[5:6], v[33:34], v[45:46], v[5:6]
	ds_read_b128 v[31:34], v4 offset:272
	s_waitcnt vmcnt(36) lgkmcnt(1)
	v_mul_f64 v[45:46], v[39:40], v[47:48]
	v_mul_f64 v[47:48], v[41:42], v[47:48]
	s_waitcnt vmcnt(34)
	v_fma_f64 v[87:88], v[35:36], v[49:50], -v[87:88]
	v_fma_f64 v[43:44], v[37:38], v[49:50], v[43:44]
	ds_read_b128 v[35:38], v4 offset:288
	s_waitcnt vmcnt(30) lgkmcnt(1)
	v_mul_f64 v[49:50], v[31:32], v[51:52]
	v_add_f64 v[85:86], v[85:86], 0
	v_add_f64 v[5:6], v[5:6], 0
	v_mul_f64 v[51:52], v[33:34], v[51:52]
	s_waitcnt vmcnt(28)
	v_fma_f64 v[47:48], v[39:40], v[57:58], -v[47:48]
	v_fma_f64 v[45:46], v[41:42], v[57:58], v[45:46]
	ds_read_b128 v[39:42], v4 offset:304
	s_waitcnt vmcnt(25)
	v_fma_f64 v[49:50], v[33:34], v[59:60], v[49:50]
	v_add_f64 v[85:86], v[85:86], v[87:88]
	v_add_f64 v[5:6], v[5:6], v[43:44]
	s_waitcnt lgkmcnt(1)
	v_mul_f64 v[43:44], v[35:36], v[53:54]
	v_mul_f64 v[53:54], v[37:38], v[53:54]
	v_fma_f64 v[51:52], v[31:32], v[59:60], -v[51:52]
	s_waitcnt vmcnt(21) lgkmcnt(0)
	v_mul_f64 v[57:58], v[41:42], v[61:62]
	ds_read_b128 v[31:34], v4 offset:320
	v_add_f64 v[47:48], v[85:86], v[47:48]
	v_add_f64 v[5:6], v[5:6], v[45:46]
	v_mul_f64 v[45:46], v[39:40], v[61:62]
	s_waitcnt vmcnt(20)
	v_fma_f64 v[53:54], v[35:36], v[55:56], -v[53:54]
	v_fma_f64 v[43:44], v[37:38], v[55:56], v[43:44]
	ds_read_b128 v[35:38], v4 offset:336
	s_waitcnt vmcnt(17)
	v_fma_f64 v[55:56], v[39:40], v[67:68], -v[57:58]
	v_add_f64 v[47:48], v[47:48], v[51:52]
	v_add_f64 v[5:6], v[5:6], v[49:50]
	s_waitcnt lgkmcnt(1)
	v_mul_f64 v[51:52], v[33:34], v[63:64]
	v_mul_f64 v[49:50], v[31:32], v[63:64]
	v_fma_f64 v[45:46], v[41:42], v[67:68], v[45:46]
	ds_read_b128 v[39:42], v4 offset:352
	v_add_f64 v[47:48], v[47:48], v[53:54]
	v_add_f64 v[5:6], v[5:6], v[43:44]
	s_waitcnt vmcnt(13) lgkmcnt(1)
	v_mul_f64 v[53:54], v[37:38], v[69:70]
	s_waitcnt vmcnt(12)
	v_fma_f64 v[51:52], v[31:32], v[65:66], -v[51:52]
	v_mul_f64 v[43:44], v[35:36], v[69:70]
	v_fma_f64 v[49:50], v[33:34], v[65:66], v[49:50]
	ds_read_b128 v[31:34], v4 offset:368
	v_add_f64 v[47:48], v[47:48], v[55:56]
	v_add_f64 v[5:6], v[5:6], v[45:46]
	s_waitcnt vmcnt(11) lgkmcnt(1)
	v_mul_f64 v[55:56], v[41:42], v[71:72]
	s_waitcnt vmcnt(9)
	v_fma_f64 v[35:36], v[35:36], v[75:76], -v[53:54]
	v_mul_f64 v[45:46], v[39:40], v[71:72]
	v_fma_f64 v[37:38], v[37:38], v[75:76], v[43:44]
	s_waitcnt vmcnt(7) lgkmcnt(0)
	v_mul_f64 v[43:44], v[31:32], v[77:78]
	v_add_f64 v[47:48], v[47:48], v[51:52]
	v_add_f64 v[4:5], v[5:6], v[49:50]
	v_mul_f64 v[49:50], v[33:34], v[77:78]
	s_waitcnt vmcnt(6)
	v_fma_f64 v[39:40], v[39:40], v[73:74], -v[55:56]
	v_fma_f64 v[41:42], v[41:42], v[73:74], v[45:46]
	s_waitcnt vmcnt(4)
	v_fma_f64 v[33:34], v[33:34], v[79:80], v[43:44]
	v_add_f64 v[35:36], v[47:48], v[35:36]
	v_add_f64 v[4:5], v[4:5], v[37:38]
	v_fma_f64 v[31:32], v[31:32], v[79:80], -v[49:50]
	v_add_f64 v[35:36], v[35:36], v[39:40]
	v_add_f64 v[4:5], v[4:5], v[41:42]
	v_add_f64 v[31:32], v[35:36], v[31:32]
	v_add_f64 v[4:5], v[4:5], v[33:34]
	s_waitcnt vmcnt(2)
	v_add_f64 v[31:32], v[81:82], -v[31:32]
	s_waitcnt vmcnt(0)
	v_add_f64 v[4:5], v[83:84], -v[4:5]
	buffer_store_dword v32, off, s[0:3], 0 offset:20
	buffer_store_dword v31, off, s[0:3], 0 offset:16
	;; [unrolled: 1-line block ×4, first 2 shown]
	v_cmpx_ne_u32_e32 0, v0
	s_cbranch_execz .LBB11_85
; %bb.84:
	s_clause 0x3
	buffer_load_dword v31, off, s[0:3], 0
	buffer_load_dword v32, off, s[0:3], 0 offset:4
	buffer_load_dword v33, off, s[0:3], 0 offset:8
	;; [unrolled: 1-line block ×3, first 2 shown]
	v_mov_b32_e32 v4, 0
	buffer_store_dword v4, off, s[0:3], 0
	buffer_store_dword v4, off, s[0:3], 0 offset:4
	buffer_store_dword v4, off, s[0:3], 0 offset:8
	;; [unrolled: 1-line block ×3, first 2 shown]
	s_waitcnt vmcnt(0)
	ds_write_b128 v3, v[31:34]
.LBB11_85:
	s_or_b32 exec_lo, exec_lo, s6
	s_waitcnt lgkmcnt(0)
	s_waitcnt_vscnt null, 0x0
	s_barrier
	buffer_gl0_inv
	s_clause 0x2f
	buffer_load_dword v4, off, s[0:3], 0 offset:24
	buffer_load_dword v5, off, s[0:3], 0 offset:28
	;; [unrolled: 1-line block ×44, first 2 shown]
	buffer_load_dword v85, off, s[0:3], 0
	buffer_load_dword v86, off, s[0:3], 0 offset:4
	buffer_load_dword v87, off, s[0:3], 0 offset:8
	;; [unrolled: 1-line block ×3, first 2 shown]
	v_mov_b32_e32 v3, 0
	ds_read_b128 v[31:34], v3 offset:208
	ds_read_b128 v[35:38], v3 offset:224
	;; [unrolled: 1-line block ×3, first 2 shown]
	s_and_b32 vcc_lo, exec_lo, s25
	s_waitcnt vmcnt(46) lgkmcnt(2)
	v_mul_f64 v[89:90], v[33:34], v[4:5]
	v_mul_f64 v[4:5], v[31:32], v[4:5]
	s_waitcnt vmcnt(44) lgkmcnt(1)
	v_mul_f64 v[91:92], v[37:38], v[43:44]
	v_mul_f64 v[43:44], v[35:36], v[43:44]
	s_waitcnt vmcnt(42)
	v_fma_f64 v[89:90], v[31:32], v[45:46], -v[89:90]
	v_fma_f64 v[4:5], v[33:34], v[45:46], v[4:5]
	ds_read_b128 v[31:34], v3 offset:256
	s_waitcnt vmcnt(40) lgkmcnt(1)
	v_mul_f64 v[45:46], v[39:40], v[47:48]
	v_mul_f64 v[47:48], v[41:42], v[47:48]
	s_waitcnt vmcnt(38)
	v_fma_f64 v[91:92], v[35:36], v[49:50], -v[91:92]
	v_fma_f64 v[43:44], v[37:38], v[49:50], v[43:44]
	ds_read_b128 v[35:38], v3 offset:272
	s_waitcnt vmcnt(34) lgkmcnt(1)
	v_mul_f64 v[49:50], v[31:32], v[51:52]
	v_add_f64 v[89:90], v[89:90], 0
	v_add_f64 v[4:5], v[4:5], 0
	v_mul_f64 v[51:52], v[33:34], v[51:52]
	s_waitcnt vmcnt(32)
	v_fma_f64 v[47:48], v[39:40], v[57:58], -v[47:48]
	v_fma_f64 v[45:46], v[41:42], v[57:58], v[45:46]
	ds_read_b128 v[39:42], v3 offset:288
	s_waitcnt vmcnt(29)
	v_fma_f64 v[49:50], v[33:34], v[59:60], v[49:50]
	v_add_f64 v[89:90], v[89:90], v[91:92]
	v_add_f64 v[4:5], v[4:5], v[43:44]
	s_waitcnt lgkmcnt(1)
	v_mul_f64 v[43:44], v[35:36], v[53:54]
	v_mul_f64 v[53:54], v[37:38], v[53:54]
	v_fma_f64 v[51:52], v[31:32], v[59:60], -v[51:52]
	s_waitcnt vmcnt(25) lgkmcnt(0)
	v_mul_f64 v[57:58], v[41:42], v[61:62]
	ds_read_b128 v[31:34], v3 offset:304
	v_add_f64 v[47:48], v[89:90], v[47:48]
	v_add_f64 v[4:5], v[4:5], v[45:46]
	v_mul_f64 v[45:46], v[39:40], v[61:62]
	s_waitcnt vmcnt(24)
	v_fma_f64 v[53:54], v[35:36], v[55:56], -v[53:54]
	v_fma_f64 v[43:44], v[37:38], v[55:56], v[43:44]
	ds_read_b128 v[35:38], v3 offset:320
	s_waitcnt vmcnt(21)
	v_fma_f64 v[55:56], v[39:40], v[67:68], -v[57:58]
	v_add_f64 v[47:48], v[47:48], v[51:52]
	v_add_f64 v[4:5], v[4:5], v[49:50]
	s_waitcnt lgkmcnt(1)
	v_mul_f64 v[51:52], v[33:34], v[63:64]
	v_mul_f64 v[49:50], v[31:32], v[63:64]
	v_fma_f64 v[45:46], v[41:42], v[67:68], v[45:46]
	ds_read_b128 v[39:42], v3 offset:336
	v_add_f64 v[47:48], v[47:48], v[53:54]
	v_add_f64 v[4:5], v[4:5], v[43:44]
	s_waitcnt vmcnt(17) lgkmcnt(1)
	v_mul_f64 v[53:54], v[37:38], v[69:70]
	s_waitcnt vmcnt(16)
	v_fma_f64 v[51:52], v[31:32], v[65:66], -v[51:52]
	v_mul_f64 v[43:44], v[35:36], v[69:70]
	v_fma_f64 v[49:50], v[33:34], v[65:66], v[49:50]
	ds_read_b128 v[31:34], v3 offset:352
	v_add_f64 v[47:48], v[47:48], v[55:56]
	v_add_f64 v[4:5], v[4:5], v[45:46]
	s_waitcnt vmcnt(15) lgkmcnt(1)
	v_mul_f64 v[55:56], v[41:42], v[71:72]
	s_waitcnt vmcnt(13)
	v_fma_f64 v[53:54], v[35:36], v[75:76], -v[53:54]
	;; [unrolled: 9-line block ×3, first 2 shown]
	v_mul_f64 v[49:50], v[31:32], v[77:78]
	v_fma_f64 v[41:42], v[41:42], v[73:74], v[45:46]
	s_waitcnt vmcnt(7) lgkmcnt(0)
	v_mul_f64 v[45:46], v[37:38], v[79:80]
	v_add_f64 v[47:48], v[47:48], v[53:54]
	v_add_f64 v[4:5], v[4:5], v[43:44]
	s_waitcnt vmcnt(5)
	v_fma_f64 v[31:32], v[31:32], v[83:84], -v[51:52]
	v_mul_f64 v[43:44], v[35:36], v[79:80]
	v_fma_f64 v[33:34], v[33:34], v[83:84], v[49:50]
	s_waitcnt vmcnt(4)
	v_fma_f64 v[35:36], v[35:36], v[81:82], -v[45:46]
	v_add_f64 v[39:40], v[47:48], v[39:40]
	v_add_f64 v[4:5], v[4:5], v[41:42]
	v_fma_f64 v[37:38], v[37:38], v[81:82], v[43:44]
	v_add_f64 v[31:32], v[39:40], v[31:32]
	v_add_f64 v[4:5], v[4:5], v[33:34]
	;; [unrolled: 1-line block ×4, first 2 shown]
	s_waitcnt vmcnt(2)
	v_add_f64 v[31:32], v[85:86], -v[31:32]
	s_waitcnt vmcnt(0)
	v_add_f64 v[4:5], v[87:88], -v[4:5]
	buffer_store_dword v32, off, s[0:3], 0 offset:4
	buffer_store_dword v31, off, s[0:3], 0
	buffer_store_dword v5, off, s[0:3], 0 offset:12
	buffer_store_dword v4, off, s[0:3], 0 offset:8
	s_cbranch_vccz .LBB11_108
; %bb.86:
	global_load_dword v3, v3, s[10:11] offset:40
	s_load_dwordx2 s[4:5], s[4:5], 0x4
	s_waitcnt lgkmcnt(0)
	s_lshr_b32 s4, s4, 16
	v_mul_u32_u24_e32 v4, s5, v1
	s_mul_i32 s4, s4, s5
	v_mul_u32_u24_e32 v0, s4, v0
	v_add3_u32 v0, v0, v4, v2
	v_lshl_add_u32 v0, v0, 4, 0x188
	s_waitcnt vmcnt(0)
	v_add_nc_u32_e32 v1, -1, v3
	v_cmp_ne_u32_e32 vcc_lo, 10, v1
	s_cbranch_vccz .LBB11_88
; %bb.87:
	v_lshlrev_b32_e32 v1, 4, v1
	v_mov_b32_e32 v5, s13
	v_mov_b32_e32 v6, v1
	s_clause 0x7
	buffer_load_dword v1, v5, s[0:3], 0 offen
	buffer_load_dword v2, v5, s[0:3], 0 offen offset:4
	buffer_load_dword v3, v5, s[0:3], 0 offen offset:8
	;; [unrolled: 1-line block ×3, first 2 shown]
	buffer_load_dword v31, v6, s[0:3], 0 offen
	buffer_load_dword v32, v6, s[0:3], 0 offen offset:4
	buffer_load_dword v33, v6, s[0:3], 0 offen offset:8
	;; [unrolled: 1-line block ×3, first 2 shown]
	s_waitcnt vmcnt(4)
	ds_write2_b64 v0, v[1:2], v[3:4] offset1:1
	s_waitcnt vmcnt(3)
	buffer_store_dword v31, v5, s[0:3], 0 offen
	s_waitcnt vmcnt(2)
	buffer_store_dword v32, v5, s[0:3], 0 offen offset:4
	s_waitcnt vmcnt(1)
	buffer_store_dword v33, v5, s[0:3], 0 offen offset:8
	;; [unrolled: 2-line block ×3, first 2 shown]
	buffer_store_dword v4, v6, s[0:3], 0 offen offset:12
	buffer_store_dword v3, v6, s[0:3], 0 offen offset:8
	buffer_store_dword v2, v6, s[0:3], 0 offen offset:4
	buffer_store_dword v1, v6, s[0:3], 0 offen
.LBB11_88:
	v_mov_b32_e32 v1, 0
	global_load_dword v2, v1, s[10:11] offset:36
	s_waitcnt vmcnt(0)
	v_add_nc_u32_e32 v2, -1, v2
	v_cmp_eq_u32_e32 vcc_lo, 9, v2
	s_cbranch_vccnz .LBB11_90
; %bb.89:
	v_lshlrev_b32_e32 v2, 4, v2
	v_mov_b32_e32 v6, s16
	v_mov_b32_e32 v31, v2
	s_clause 0x7
	buffer_load_dword v2, v6, s[0:3], 0 offen
	buffer_load_dword v3, v6, s[0:3], 0 offen offset:4
	buffer_load_dword v4, v6, s[0:3], 0 offen offset:8
	buffer_load_dword v5, v6, s[0:3], 0 offen offset:12
	buffer_load_dword v32, v31, s[0:3], 0 offen
	buffer_load_dword v33, v31, s[0:3], 0 offen offset:4
	buffer_load_dword v34, v31, s[0:3], 0 offen offset:8
	;; [unrolled: 1-line block ×3, first 2 shown]
	s_waitcnt vmcnt(4)
	ds_write2_b64 v0, v[2:3], v[4:5] offset1:1
	s_waitcnt vmcnt(3)
	buffer_store_dword v32, v6, s[0:3], 0 offen
	s_waitcnt vmcnt(2)
	buffer_store_dword v33, v6, s[0:3], 0 offen offset:4
	s_waitcnt vmcnt(1)
	buffer_store_dword v34, v6, s[0:3], 0 offen offset:8
	;; [unrolled: 2-line block ×3, first 2 shown]
	buffer_store_dword v5, v31, s[0:3], 0 offen offset:12
	buffer_store_dword v4, v31, s[0:3], 0 offen offset:8
	buffer_store_dword v3, v31, s[0:3], 0 offen offset:4
	buffer_store_dword v2, v31, s[0:3], 0 offen
.LBB11_90:
	global_load_dword v1, v1, s[10:11] offset:32
	s_waitcnt vmcnt(0)
	v_add_nc_u32_e32 v1, -1, v1
	v_cmp_eq_u32_e32 vcc_lo, 8, v1
	s_cbranch_vccnz .LBB11_92
; %bb.91:
	v_lshlrev_b32_e32 v1, 4, v1
	v_mov_b32_e32 v5, s17
	v_mov_b32_e32 v6, v1
	s_clause 0x7
	buffer_load_dword v1, v5, s[0:3], 0 offen
	buffer_load_dword v2, v5, s[0:3], 0 offen offset:4
	buffer_load_dword v3, v5, s[0:3], 0 offen offset:8
	;; [unrolled: 1-line block ×3, first 2 shown]
	buffer_load_dword v31, v6, s[0:3], 0 offen
	buffer_load_dword v32, v6, s[0:3], 0 offen offset:4
	buffer_load_dword v33, v6, s[0:3], 0 offen offset:8
	;; [unrolled: 1-line block ×3, first 2 shown]
	s_waitcnt vmcnt(4)
	ds_write2_b64 v0, v[1:2], v[3:4] offset1:1
	s_waitcnt vmcnt(3)
	buffer_store_dword v31, v5, s[0:3], 0 offen
	s_waitcnt vmcnt(2)
	buffer_store_dword v32, v5, s[0:3], 0 offen offset:4
	s_waitcnt vmcnt(1)
	buffer_store_dword v33, v5, s[0:3], 0 offen offset:8
	;; [unrolled: 2-line block ×3, first 2 shown]
	buffer_store_dword v4, v6, s[0:3], 0 offen offset:12
	buffer_store_dword v3, v6, s[0:3], 0 offen offset:8
	;; [unrolled: 1-line block ×3, first 2 shown]
	buffer_store_dword v1, v6, s[0:3], 0 offen
.LBB11_92:
	v_mov_b32_e32 v1, 0
	global_load_dword v2, v1, s[10:11] offset:28
	s_waitcnt vmcnt(0)
	v_add_nc_u32_e32 v2, -1, v2
	v_cmp_eq_u32_e32 vcc_lo, 7, v2
	s_cbranch_vccnz .LBB11_94
; %bb.93:
	v_lshlrev_b32_e32 v2, 4, v2
	v_mov_b32_e32 v6, s18
	v_mov_b32_e32 v31, v2
	s_clause 0x7
	buffer_load_dword v2, v6, s[0:3], 0 offen
	buffer_load_dword v3, v6, s[0:3], 0 offen offset:4
	buffer_load_dword v4, v6, s[0:3], 0 offen offset:8
	;; [unrolled: 1-line block ×3, first 2 shown]
	buffer_load_dword v32, v31, s[0:3], 0 offen
	buffer_load_dword v33, v31, s[0:3], 0 offen offset:4
	buffer_load_dword v34, v31, s[0:3], 0 offen offset:8
	;; [unrolled: 1-line block ×3, first 2 shown]
	s_waitcnt vmcnt(4)
	ds_write2_b64 v0, v[2:3], v[4:5] offset1:1
	s_waitcnt vmcnt(3)
	buffer_store_dword v32, v6, s[0:3], 0 offen
	s_waitcnt vmcnt(2)
	buffer_store_dword v33, v6, s[0:3], 0 offen offset:4
	s_waitcnt vmcnt(1)
	buffer_store_dword v34, v6, s[0:3], 0 offen offset:8
	;; [unrolled: 2-line block ×3, first 2 shown]
	buffer_store_dword v5, v31, s[0:3], 0 offen offset:12
	buffer_store_dword v4, v31, s[0:3], 0 offen offset:8
	;; [unrolled: 1-line block ×3, first 2 shown]
	buffer_store_dword v2, v31, s[0:3], 0 offen
.LBB11_94:
	global_load_dword v1, v1, s[10:11] offset:24
	s_waitcnt vmcnt(0)
	v_add_nc_u32_e32 v1, -1, v1
	v_cmp_eq_u32_e32 vcc_lo, 6, v1
	s_cbranch_vccnz .LBB11_96
; %bb.95:
	v_lshlrev_b32_e32 v1, 4, v1
	v_mov_b32_e32 v5, s19
	v_mov_b32_e32 v6, v1
	s_clause 0x7
	buffer_load_dword v1, v5, s[0:3], 0 offen
	buffer_load_dword v2, v5, s[0:3], 0 offen offset:4
	buffer_load_dword v3, v5, s[0:3], 0 offen offset:8
	;; [unrolled: 1-line block ×3, first 2 shown]
	buffer_load_dword v31, v6, s[0:3], 0 offen
	buffer_load_dword v32, v6, s[0:3], 0 offen offset:4
	buffer_load_dword v33, v6, s[0:3], 0 offen offset:8
	;; [unrolled: 1-line block ×3, first 2 shown]
	s_waitcnt vmcnt(4)
	ds_write2_b64 v0, v[1:2], v[3:4] offset1:1
	s_waitcnt vmcnt(3)
	buffer_store_dword v31, v5, s[0:3], 0 offen
	s_waitcnt vmcnt(2)
	buffer_store_dword v32, v5, s[0:3], 0 offen offset:4
	s_waitcnt vmcnt(1)
	buffer_store_dword v33, v5, s[0:3], 0 offen offset:8
	;; [unrolled: 2-line block ×3, first 2 shown]
	buffer_store_dword v4, v6, s[0:3], 0 offen offset:12
	buffer_store_dword v3, v6, s[0:3], 0 offen offset:8
	;; [unrolled: 1-line block ×3, first 2 shown]
	buffer_store_dword v1, v6, s[0:3], 0 offen
.LBB11_96:
	v_mov_b32_e32 v1, 0
	global_load_dword v2, v1, s[10:11] offset:20
	s_waitcnt vmcnt(0)
	v_add_nc_u32_e32 v2, -1, v2
	v_cmp_eq_u32_e32 vcc_lo, 5, v2
	s_cbranch_vccnz .LBB11_98
; %bb.97:
	v_lshlrev_b32_e32 v2, 4, v2
	v_mov_b32_e32 v6, s20
	v_mov_b32_e32 v31, v2
	s_clause 0x7
	buffer_load_dword v2, v6, s[0:3], 0 offen
	buffer_load_dword v3, v6, s[0:3], 0 offen offset:4
	buffer_load_dword v4, v6, s[0:3], 0 offen offset:8
	buffer_load_dword v5, v6, s[0:3], 0 offen offset:12
	buffer_load_dword v32, v31, s[0:3], 0 offen
	buffer_load_dword v33, v31, s[0:3], 0 offen offset:4
	buffer_load_dword v34, v31, s[0:3], 0 offen offset:8
	;; [unrolled: 1-line block ×3, first 2 shown]
	s_waitcnt vmcnt(4)
	ds_write2_b64 v0, v[2:3], v[4:5] offset1:1
	s_waitcnt vmcnt(3)
	buffer_store_dword v32, v6, s[0:3], 0 offen
	s_waitcnt vmcnt(2)
	buffer_store_dword v33, v6, s[0:3], 0 offen offset:4
	s_waitcnt vmcnt(1)
	buffer_store_dword v34, v6, s[0:3], 0 offen offset:8
	;; [unrolled: 2-line block ×3, first 2 shown]
	buffer_store_dword v5, v31, s[0:3], 0 offen offset:12
	buffer_store_dword v4, v31, s[0:3], 0 offen offset:8
	;; [unrolled: 1-line block ×3, first 2 shown]
	buffer_store_dword v2, v31, s[0:3], 0 offen
.LBB11_98:
	global_load_dword v1, v1, s[10:11] offset:16
	s_waitcnt vmcnt(0)
	v_add_nc_u32_e32 v1, -1, v1
	v_cmp_eq_u32_e32 vcc_lo, 4, v1
	s_cbranch_vccnz .LBB11_100
; %bb.99:
	v_lshlrev_b32_e32 v1, 4, v1
	v_mov_b32_e32 v5, s21
	v_mov_b32_e32 v6, v1
	s_clause 0x7
	buffer_load_dword v1, v5, s[0:3], 0 offen
	buffer_load_dword v2, v5, s[0:3], 0 offen offset:4
	buffer_load_dword v3, v5, s[0:3], 0 offen offset:8
	;; [unrolled: 1-line block ×3, first 2 shown]
	buffer_load_dword v31, v6, s[0:3], 0 offen
	buffer_load_dword v32, v6, s[0:3], 0 offen offset:4
	buffer_load_dword v33, v6, s[0:3], 0 offen offset:8
	;; [unrolled: 1-line block ×3, first 2 shown]
	s_waitcnt vmcnt(4)
	ds_write2_b64 v0, v[1:2], v[3:4] offset1:1
	s_waitcnt vmcnt(3)
	buffer_store_dword v31, v5, s[0:3], 0 offen
	s_waitcnt vmcnt(2)
	buffer_store_dword v32, v5, s[0:3], 0 offen offset:4
	s_waitcnt vmcnt(1)
	buffer_store_dword v33, v5, s[0:3], 0 offen offset:8
	;; [unrolled: 2-line block ×3, first 2 shown]
	buffer_store_dword v4, v6, s[0:3], 0 offen offset:12
	buffer_store_dword v3, v6, s[0:3], 0 offen offset:8
	;; [unrolled: 1-line block ×3, first 2 shown]
	buffer_store_dword v1, v6, s[0:3], 0 offen
.LBB11_100:
	v_mov_b32_e32 v1, 0
	global_load_dword v2, v1, s[10:11] offset:12
	s_waitcnt vmcnt(0)
	v_add_nc_u32_e32 v2, -1, v2
	v_cmp_eq_u32_e32 vcc_lo, 3, v2
	s_cbranch_vccnz .LBB11_102
; %bb.101:
	v_lshlrev_b32_e32 v2, 4, v2
	v_mov_b32_e32 v6, s22
	v_mov_b32_e32 v31, v2
	s_clause 0x7
	buffer_load_dword v2, v6, s[0:3], 0 offen
	buffer_load_dword v3, v6, s[0:3], 0 offen offset:4
	buffer_load_dword v4, v6, s[0:3], 0 offen offset:8
	;; [unrolled: 1-line block ×3, first 2 shown]
	buffer_load_dword v32, v31, s[0:3], 0 offen
	buffer_load_dword v33, v31, s[0:3], 0 offen offset:4
	buffer_load_dword v34, v31, s[0:3], 0 offen offset:8
	;; [unrolled: 1-line block ×3, first 2 shown]
	s_waitcnt vmcnt(4)
	ds_write2_b64 v0, v[2:3], v[4:5] offset1:1
	s_waitcnt vmcnt(3)
	buffer_store_dword v32, v6, s[0:3], 0 offen
	s_waitcnt vmcnt(2)
	buffer_store_dword v33, v6, s[0:3], 0 offen offset:4
	s_waitcnt vmcnt(1)
	buffer_store_dword v34, v6, s[0:3], 0 offen offset:8
	;; [unrolled: 2-line block ×3, first 2 shown]
	buffer_store_dword v5, v31, s[0:3], 0 offen offset:12
	buffer_store_dword v4, v31, s[0:3], 0 offen offset:8
	;; [unrolled: 1-line block ×3, first 2 shown]
	buffer_store_dword v2, v31, s[0:3], 0 offen
.LBB11_102:
	global_load_dword v1, v1, s[10:11] offset:8
	s_waitcnt vmcnt(0)
	v_add_nc_u32_e32 v1, -1, v1
	v_cmp_eq_u32_e32 vcc_lo, 2, v1
	s_cbranch_vccnz .LBB11_104
; %bb.103:
	v_lshlrev_b32_e32 v1, 4, v1
	v_mov_b32_e32 v5, s23
	v_mov_b32_e32 v6, v1
	s_clause 0x7
	buffer_load_dword v1, v5, s[0:3], 0 offen
	buffer_load_dword v2, v5, s[0:3], 0 offen offset:4
	buffer_load_dword v3, v5, s[0:3], 0 offen offset:8
	;; [unrolled: 1-line block ×3, first 2 shown]
	buffer_load_dword v31, v6, s[0:3], 0 offen
	buffer_load_dword v32, v6, s[0:3], 0 offen offset:4
	buffer_load_dword v33, v6, s[0:3], 0 offen offset:8
	;; [unrolled: 1-line block ×3, first 2 shown]
	s_waitcnt vmcnt(4)
	ds_write2_b64 v0, v[1:2], v[3:4] offset1:1
	s_waitcnt vmcnt(3)
	buffer_store_dword v31, v5, s[0:3], 0 offen
	s_waitcnt vmcnt(2)
	buffer_store_dword v32, v5, s[0:3], 0 offen offset:4
	s_waitcnt vmcnt(1)
	buffer_store_dword v33, v5, s[0:3], 0 offen offset:8
	;; [unrolled: 2-line block ×3, first 2 shown]
	buffer_store_dword v4, v6, s[0:3], 0 offen offset:12
	buffer_store_dword v3, v6, s[0:3], 0 offen offset:8
	;; [unrolled: 1-line block ×3, first 2 shown]
	buffer_store_dword v1, v6, s[0:3], 0 offen
.LBB11_104:
	v_mov_b32_e32 v1, 0
	global_load_dword v2, v1, s[10:11] offset:4
	s_waitcnt vmcnt(0)
	v_add_nc_u32_e32 v2, -1, v2
	v_cmp_eq_u32_e32 vcc_lo, 1, v2
	s_cbranch_vccnz .LBB11_106
; %bb.105:
	v_lshlrev_b32_e32 v2, 4, v2
	v_mov_b32_e32 v6, s24
	v_mov_b32_e32 v31, v2
	s_clause 0x7
	buffer_load_dword v2, v6, s[0:3], 0 offen
	buffer_load_dword v3, v6, s[0:3], 0 offen offset:4
	buffer_load_dword v4, v6, s[0:3], 0 offen offset:8
	;; [unrolled: 1-line block ×3, first 2 shown]
	buffer_load_dword v32, v31, s[0:3], 0 offen
	buffer_load_dword v33, v31, s[0:3], 0 offen offset:4
	buffer_load_dword v34, v31, s[0:3], 0 offen offset:8
	;; [unrolled: 1-line block ×3, first 2 shown]
	s_waitcnt vmcnt(4)
	ds_write2_b64 v0, v[2:3], v[4:5] offset1:1
	s_waitcnt vmcnt(3)
	buffer_store_dword v32, v6, s[0:3], 0 offen
	s_waitcnt vmcnt(2)
	buffer_store_dword v33, v6, s[0:3], 0 offen offset:4
	s_waitcnt vmcnt(1)
	buffer_store_dword v34, v6, s[0:3], 0 offen offset:8
	;; [unrolled: 2-line block ×3, first 2 shown]
	buffer_store_dword v5, v31, s[0:3], 0 offen offset:12
	buffer_store_dword v4, v31, s[0:3], 0 offen offset:8
	;; [unrolled: 1-line block ×3, first 2 shown]
	buffer_store_dword v2, v31, s[0:3], 0 offen
.LBB11_106:
	global_load_dword v1, v1, s[10:11]
	s_waitcnt vmcnt(0)
	v_add_nc_u32_e32 v1, -1, v1
	v_cmp_eq_u32_e32 vcc_lo, 0, v1
	s_cbranch_vccnz .LBB11_108
; %bb.107:
	v_lshlrev_b32_e32 v1, 4, v1
	v_mov_b32_e32 v5, v1
	s_clause 0x7
	buffer_load_dword v1, off, s[0:3], 0
	buffer_load_dword v2, off, s[0:3], 0 offset:4
	buffer_load_dword v3, off, s[0:3], 0 offset:8
	;; [unrolled: 1-line block ×3, first 2 shown]
	buffer_load_dword v6, v5, s[0:3], 0 offen
	buffer_load_dword v31, v5, s[0:3], 0 offen offset:4
	buffer_load_dword v32, v5, s[0:3], 0 offen offset:8
	;; [unrolled: 1-line block ×3, first 2 shown]
	s_waitcnt vmcnt(4)
	ds_write2_b64 v0, v[1:2], v[3:4] offset1:1
	s_waitcnt vmcnt(3)
	buffer_store_dword v6, off, s[0:3], 0
	s_waitcnt vmcnt(2)
	buffer_store_dword v31, off, s[0:3], 0 offset:4
	s_waitcnt vmcnt(1)
	buffer_store_dword v32, off, s[0:3], 0 offset:8
	;; [unrolled: 2-line block ×3, first 2 shown]
	buffer_store_dword v4, v5, s[0:3], 0 offen offset:12
	buffer_store_dword v3, v5, s[0:3], 0 offen offset:8
	;; [unrolled: 1-line block ×3, first 2 shown]
	buffer_store_dword v1, v5, s[0:3], 0 offen
.LBB11_108:
	v_mov_b32_e32 v5, s23
	v_mov_b32_e32 v4, s24
	s_clause 0x7
	buffer_load_dword v0, off, s[0:3], 0
	buffer_load_dword v1, off, s[0:3], 0 offset:4
	buffer_load_dword v2, off, s[0:3], 0 offset:8
	;; [unrolled: 1-line block ×3, first 2 shown]
	buffer_load_dword v31, v4, s[0:3], 0 offen
	buffer_load_dword v32, v4, s[0:3], 0 offen offset:4
	buffer_load_dword v33, v4, s[0:3], 0 offen offset:8
	buffer_load_dword v34, v4, s[0:3], 0 offen offset:12
	v_mov_b32_e32 v4, s22
	v_mov_b32_e32 v6, s21
	s_clause 0x7
	buffer_load_dword v35, v5, s[0:3], 0 offen
	buffer_load_dword v36, v5, s[0:3], 0 offen offset:4
	buffer_load_dword v37, v5, s[0:3], 0 offen offset:8
	buffer_load_dword v38, v5, s[0:3], 0 offen offset:12
	buffer_load_dword v39, v4, s[0:3], 0 offen
	buffer_load_dword v40, v4, s[0:3], 0 offen offset:4
	buffer_load_dword v41, v4, s[0:3], 0 offen offset:8
	buffer_load_dword v42, v4, s[0:3], 0 offen offset:12
	v_mov_b32_e32 v5, s19
	v_mov_b32_e32 v4, s20
	s_clause 0x7
	buffer_load_dword v43, v6, s[0:3], 0 offen
	buffer_load_dword v44, v6, s[0:3], 0 offen offset:4
	buffer_load_dword v45, v6, s[0:3], 0 offen offset:8
	buffer_load_dword v46, v6, s[0:3], 0 offen offset:12
	;; [unrolled: 11-line block ×4, first 2 shown]
	buffer_load_dword v63, v4, s[0:3], 0 offen
	buffer_load_dword v64, v4, s[0:3], 0 offen offset:4
	buffer_load_dword v65, v4, s[0:3], 0 offen offset:8
	;; [unrolled: 1-line block ×3, first 2 shown]
	v_mov_b32_e32 v4, s12
	s_clause 0x7
	buffer_load_dword v67, v5, s[0:3], 0 offen
	buffer_load_dword v68, v5, s[0:3], 0 offen offset:4
	buffer_load_dword v69, v5, s[0:3], 0 offen offset:8
	;; [unrolled: 1-line block ×3, first 2 shown]
	buffer_load_dword v71, v4, s[0:3], 0 offen
	buffer_load_dword v72, v4, s[0:3], 0 offen offset:4
	buffer_load_dword v73, v4, s[0:3], 0 offen offset:8
	;; [unrolled: 1-line block ×3, first 2 shown]
	s_waitcnt vmcnt(44)
	global_store_dwordx4 v[7:8], v[0:3], off
	s_waitcnt vmcnt(40)
	global_store_dwordx4 v[9:10], v[31:34], off
	;; [unrolled: 2-line block ×12, first 2 shown]
	s_endpgm
	.section	.rodata,"a",@progbits
	.p2align	6, 0x0
	.amdhsa_kernel _ZN9rocsolver6v33100L18getri_kernel_smallILi12E19rocblas_complex_numIdEPS3_EEvT1_iilPiilS6_bb
		.amdhsa_group_segment_fixed_size 1416
		.amdhsa_private_segment_fixed_size 208
		.amdhsa_kernarg_size 60
		.amdhsa_user_sgpr_count 8
		.amdhsa_user_sgpr_private_segment_buffer 1
		.amdhsa_user_sgpr_dispatch_ptr 1
		.amdhsa_user_sgpr_queue_ptr 0
		.amdhsa_user_sgpr_kernarg_segment_ptr 1
		.amdhsa_user_sgpr_dispatch_id 0
		.amdhsa_user_sgpr_flat_scratch_init 0
		.amdhsa_user_sgpr_private_segment_size 0
		.amdhsa_wavefront_size32 1
		.amdhsa_uses_dynamic_stack 0
		.amdhsa_system_sgpr_private_segment_wavefront_offset 1
		.amdhsa_system_sgpr_workgroup_id_x 1
		.amdhsa_system_sgpr_workgroup_id_y 0
		.amdhsa_system_sgpr_workgroup_id_z 0
		.amdhsa_system_sgpr_workgroup_info 0
		.amdhsa_system_vgpr_workitem_id 2
		.amdhsa_next_free_vgpr 93
		.amdhsa_next_free_sgpr 30
		.amdhsa_reserve_vcc 1
		.amdhsa_reserve_flat_scratch 0
		.amdhsa_float_round_mode_32 0
		.amdhsa_float_round_mode_16_64 0
		.amdhsa_float_denorm_mode_32 3
		.amdhsa_float_denorm_mode_16_64 3
		.amdhsa_dx10_clamp 1
		.amdhsa_ieee_mode 1
		.amdhsa_fp16_overflow 0
		.amdhsa_workgroup_processor_mode 1
		.amdhsa_memory_ordered 1
		.amdhsa_forward_progress 1
		.amdhsa_shared_vgpr_count 0
		.amdhsa_exception_fp_ieee_invalid_op 0
		.amdhsa_exception_fp_denorm_src 0
		.amdhsa_exception_fp_ieee_div_zero 0
		.amdhsa_exception_fp_ieee_overflow 0
		.amdhsa_exception_fp_ieee_underflow 0
		.amdhsa_exception_fp_ieee_inexact 0
		.amdhsa_exception_int_div_zero 0
	.end_amdhsa_kernel
	.section	.text._ZN9rocsolver6v33100L18getri_kernel_smallILi12E19rocblas_complex_numIdEPS3_EEvT1_iilPiilS6_bb,"axG",@progbits,_ZN9rocsolver6v33100L18getri_kernel_smallILi12E19rocblas_complex_numIdEPS3_EEvT1_iilPiilS6_bb,comdat
.Lfunc_end11:
	.size	_ZN9rocsolver6v33100L18getri_kernel_smallILi12E19rocblas_complex_numIdEPS3_EEvT1_iilPiilS6_bb, .Lfunc_end11-_ZN9rocsolver6v33100L18getri_kernel_smallILi12E19rocblas_complex_numIdEPS3_EEvT1_iilPiilS6_bb
                                        ; -- End function
	.set _ZN9rocsolver6v33100L18getri_kernel_smallILi12E19rocblas_complex_numIdEPS3_EEvT1_iilPiilS6_bb.num_vgpr, 93
	.set _ZN9rocsolver6v33100L18getri_kernel_smallILi12E19rocblas_complex_numIdEPS3_EEvT1_iilPiilS6_bb.num_agpr, 0
	.set _ZN9rocsolver6v33100L18getri_kernel_smallILi12E19rocblas_complex_numIdEPS3_EEvT1_iilPiilS6_bb.numbered_sgpr, 30
	.set _ZN9rocsolver6v33100L18getri_kernel_smallILi12E19rocblas_complex_numIdEPS3_EEvT1_iilPiilS6_bb.num_named_barrier, 0
	.set _ZN9rocsolver6v33100L18getri_kernel_smallILi12E19rocblas_complex_numIdEPS3_EEvT1_iilPiilS6_bb.private_seg_size, 208
	.set _ZN9rocsolver6v33100L18getri_kernel_smallILi12E19rocblas_complex_numIdEPS3_EEvT1_iilPiilS6_bb.uses_vcc, 1
	.set _ZN9rocsolver6v33100L18getri_kernel_smallILi12E19rocblas_complex_numIdEPS3_EEvT1_iilPiilS6_bb.uses_flat_scratch, 0
	.set _ZN9rocsolver6v33100L18getri_kernel_smallILi12E19rocblas_complex_numIdEPS3_EEvT1_iilPiilS6_bb.has_dyn_sized_stack, 0
	.set _ZN9rocsolver6v33100L18getri_kernel_smallILi12E19rocblas_complex_numIdEPS3_EEvT1_iilPiilS6_bb.has_recursion, 0
	.set _ZN9rocsolver6v33100L18getri_kernel_smallILi12E19rocblas_complex_numIdEPS3_EEvT1_iilPiilS6_bb.has_indirect_call, 0
	.section	.AMDGPU.csdata,"",@progbits
; Kernel info:
; codeLenInByte = 17788
; TotalNumSgprs: 32
; NumVgprs: 93
; ScratchSize: 208
; MemoryBound: 0
; FloatMode: 240
; IeeeMode: 1
; LDSByteSize: 1416 bytes/workgroup (compile time only)
; SGPRBlocks: 0
; VGPRBlocks: 11
; NumSGPRsForWavesPerEU: 32
; NumVGPRsForWavesPerEU: 93
; Occupancy: 10
; WaveLimiterHint : 1
; COMPUTE_PGM_RSRC2:SCRATCH_EN: 1
; COMPUTE_PGM_RSRC2:USER_SGPR: 8
; COMPUTE_PGM_RSRC2:TRAP_HANDLER: 0
; COMPUTE_PGM_RSRC2:TGID_X_EN: 1
; COMPUTE_PGM_RSRC2:TGID_Y_EN: 0
; COMPUTE_PGM_RSRC2:TGID_Z_EN: 0
; COMPUTE_PGM_RSRC2:TIDIG_COMP_CNT: 2
	.section	.text._ZN9rocsolver6v33100L18getri_kernel_smallILi13E19rocblas_complex_numIdEPS3_EEvT1_iilPiilS6_bb,"axG",@progbits,_ZN9rocsolver6v33100L18getri_kernel_smallILi13E19rocblas_complex_numIdEPS3_EEvT1_iilPiilS6_bb,comdat
	.globl	_ZN9rocsolver6v33100L18getri_kernel_smallILi13E19rocblas_complex_numIdEPS3_EEvT1_iilPiilS6_bb ; -- Begin function _ZN9rocsolver6v33100L18getri_kernel_smallILi13E19rocblas_complex_numIdEPS3_EEvT1_iilPiilS6_bb
	.p2align	8
	.type	_ZN9rocsolver6v33100L18getri_kernel_smallILi13E19rocblas_complex_numIdEPS3_EEvT1_iilPiilS6_bb,@function
_ZN9rocsolver6v33100L18getri_kernel_smallILi13E19rocblas_complex_numIdEPS3_EEvT1_iilPiilS6_bb: ; @_ZN9rocsolver6v33100L18getri_kernel_smallILi13E19rocblas_complex_numIdEPS3_EEvT1_iilPiilS6_bb
; %bb.0:
	s_add_u32 s0, s0, s9
	s_addc_u32 s1, s1, 0
	s_mov_b32 s9, exec_lo
	v_cmpx_gt_u32_e32 13, v0
	s_cbranch_execz .LBB12_66
; %bb.1:
	s_clause 0x2
	s_load_dword s9, s[6:7], 0x38
	s_load_dwordx4 s[20:23], s[6:7], 0x10
	s_load_dwordx4 s[12:15], s[6:7], 0x28
	s_waitcnt lgkmcnt(0)
	s_bitcmp1_b32 s9, 8
	s_cselect_b32 s26, -1, 0
	s_bfe_u32 s10, s9, 0x10008
	s_ashr_i32 s9, s8, 31
	s_cmp_eq_u32 s10, 0
                                        ; implicit-def: $sgpr10_sgpr11
	s_cbranch_scc1 .LBB12_3
; %bb.2:
	s_load_dword s10, s[6:7], 0x20
	s_mul_i32 s11, s12, s9
	s_mul_hi_u32 s16, s12, s8
	s_mul_i32 s13, s13, s8
	s_add_i32 s11, s16, s11
	s_mul_i32 s12, s12, s8
	s_add_i32 s13, s11, s13
	s_lshl_b64 s[12:13], s[12:13], 2
	s_waitcnt lgkmcnt(0)
	s_ashr_i32 s11, s10, 31
	s_add_u32 s12, s22, s12
	s_addc_u32 s13, s23, s13
	s_lshl_b64 s[10:11], s[10:11], 2
	s_add_u32 s10, s12, s10
	s_addc_u32 s11, s13, s11
.LBB12_3:
	s_clause 0x1
	s_load_dwordx4 s[16:19], s[6:7], 0x0
	s_load_dword s27, s[6:7], 0x38
	s_mul_i32 s6, s20, s9
	s_mul_hi_u32 s7, s20, s8
	s_mul_i32 s12, s21, s8
	s_add_i32 s7, s7, s6
	s_mul_i32 s6, s20, s8
	s_add_i32 s7, s7, s12
	v_lshlrev_b32_e32 v39, 4, v0
	s_lshl_b64 s[6:7], s[6:7], 4
	s_movk_i32 s28, 0xa0
	s_movk_i32 s29, 0xb0
	;; [unrolled: 1-line block ×5, first 2 shown]
	s_mov_b32 s25, 16
	s_mov_b32 s24, 32
	;; [unrolled: 1-line block ×4, first 2 shown]
	s_waitcnt lgkmcnt(0)
	v_add3_u32 v3, s19, s19, v0
	s_ashr_i32 s13, s18, 31
	s_mov_b32 s12, s18
	s_add_u32 s16, s16, s6
	s_addc_u32 s17, s17, s7
	v_add_nc_u32_e32 v13, s19, v3
	s_lshl_b64 s[6:7], s[12:13], 4
	v_ashrrev_i32_e32 v4, 31, v3
	s_add_u32 s6, s16, s6
	s_addc_u32 s7, s17, s7
	v_add_nc_u32_e32 v15, s19, v13
	v_ashrrev_i32_e32 v14, 31, v13
	v_add_co_u32 v7, s16, s6, v39
	s_mov_b32 s12, s19
	v_add_nc_u32_e32 v18, s19, v15
	v_ashrrev_i32_e32 v16, 31, v15
	s_ashr_i32 s13, s19, 31
	v_lshlrev_b64 v[3:4], 4, v[3:4]
	v_add_co_ci_u32_e64 v8, null, s7, 0, s16
	s_lshl_b64 s[12:13], s[12:13], 4
	v_lshlrev_b64 v[13:14], 4, v[13:14]
	v_add_nc_u32_e32 v20, s19, v18
	v_add_co_u32 v9, vcc_lo, v7, s12
	v_lshlrev_b64 v[16:17], 4, v[15:16]
	v_add_co_ci_u32_e64 v10, null, s13, v8, vcc_lo
	v_add_co_u32 v11, vcc_lo, s6, v3
	v_ashrrev_i32_e32 v19, 31, v18
	v_ashrrev_i32_e32 v21, 31, v20
	v_add_nc_u32_e32 v22, s19, v20
	v_add_co_ci_u32_e64 v12, null, s7, v4, vcc_lo
	v_add_co_u32 v13, vcc_lo, s6, v13
	v_add_co_ci_u32_e64 v14, null, s7, v14, vcc_lo
	v_add_co_u32 v15, vcc_lo, s6, v16
	v_add_co_ci_u32_e64 v16, null, s7, v17, vcc_lo
	v_lshlrev_b64 v[17:18], 4, v[18:19]
	v_lshlrev_b64 v[19:20], 4, v[20:21]
	v_add_nc_u32_e32 v21, s19, v22
	v_ashrrev_i32_e32 v23, 31, v22
	s_clause 0x2
	global_load_dwordx4 v[3:6], v39, s[6:7]
	global_load_dwordx4 v[33:36], v[9:10], off
	global_load_dwordx4 v[40:43], v[11:12], off
	v_add_co_u32 v17, vcc_lo, s6, v17
	v_add_nc_u32_e32 v25, s19, v21
	v_lshlrev_b64 v[23:24], 4, v[22:23]
	v_ashrrev_i32_e32 v22, 31, v21
	v_add_co_ci_u32_e64 v18, null, s7, v18, vcc_lo
	v_add_nc_u32_e32 v29, s19, v25
	v_add_co_u32 v19, vcc_lo, s6, v19
	v_lshlrev_b64 v[27:28], 4, v[21:22]
	v_add_co_ci_u32_e64 v20, null, s7, v20, vcc_lo
	v_ashrrev_i32_e32 v30, 31, v29
	v_add_nc_u32_e32 v31, s19, v29
	v_add_co_u32 v21, vcc_lo, s6, v23
	v_add_co_ci_u32_e64 v22, null, s7, v24, vcc_lo
	v_add_co_u32 v23, vcc_lo, s6, v27
	v_ashrrev_i32_e32 v26, 31, v25
	v_add_co_ci_u32_e64 v24, null, s7, v28, vcc_lo
	v_lshlrev_b64 v[27:28], 4, v[29:30]
	v_add_nc_u32_e32 v29, s19, v31
	v_ashrrev_i32_e32 v32, 31, v31
	v_lshlrev_b64 v[25:26], 4, v[25:26]
	s_clause 0x3
	global_load_dwordx4 v[44:47], v[13:14], off
	global_load_dwordx4 v[48:51], v[15:16], off
	;; [unrolled: 1-line block ×4, first 2 shown]
	v_ashrrev_i32_e32 v30, 31, v29
	v_lshlrev_b64 v[31:32], 4, v[31:32]
	s_clause 0x1
	global_load_dwordx4 v[60:63], v[21:22], off
	global_load_dwordx4 v[64:67], v[23:24], off
	v_add_co_u32 v25, vcc_lo, s6, v25
	v_lshlrev_b64 v[37:38], 4, v[29:30]
	v_add_co_ci_u32_e64 v26, null, s7, v26, vcc_lo
	v_add_co_u32 v27, vcc_lo, s6, v27
	v_add_co_ci_u32_e64 v28, null, s7, v28, vcc_lo
	v_add_co_u32 v29, vcc_lo, s6, v31
	;; [unrolled: 2-line block ×3, first 2 shown]
	v_add_co_ci_u32_e64 v32, null, s7, v38, vcc_lo
	s_clause 0x3
	global_load_dwordx4 v[68:71], v[25:26], off
	global_load_dwordx4 v[72:75], v[27:28], off
	;; [unrolled: 1-line block ×4, first 2 shown]
	s_movk_i32 s19, 0x70
	s_movk_i32 s18, 0x80
	;; [unrolled: 1-line block ×3, first 2 shown]
	s_mov_b32 s7, -1
	s_mov_b32 s16, s28
	s_mov_b32 s13, s29
	;; [unrolled: 1-line block ×3, first 2 shown]
	s_bitcmp0_b32 s27, 0
	s_waitcnt vmcnt(12)
	buffer_store_dword v6, off, s[0:3], 0 offset:12
	buffer_store_dword v5, off, s[0:3], 0 offset:8
	;; [unrolled: 1-line block ×3, first 2 shown]
	buffer_store_dword v3, off, s[0:3], 0
	s_waitcnt vmcnt(11)
	buffer_store_dword v36, off, s[0:3], 0 offset:28
	buffer_store_dword v35, off, s[0:3], 0 offset:24
	buffer_store_dword v34, off, s[0:3], 0 offset:20
	buffer_store_dword v33, off, s[0:3], 0 offset:16
	s_waitcnt vmcnt(10)
	buffer_store_dword v43, off, s[0:3], 0 offset:44
	buffer_store_dword v42, off, s[0:3], 0 offset:40
	buffer_store_dword v41, off, s[0:3], 0 offset:36
	buffer_store_dword v40, off, s[0:3], 0 offset:32
	;; [unrolled: 5-line block ×12, first 2 shown]
	s_cbranch_scc1 .LBB12_64
; %bb.4:
	v_cmp_eq_u32_e64 s6, 0, v0
	s_and_saveexec_b32 s7, s6
; %bb.5:
	v_mov_b32_e32 v3, 0
	ds_write_b32 v3, v3 offset:416
; %bb.6:
	s_or_b32 exec_lo, exec_lo, s7
	v_lshl_add_u32 v40, v0, 4, 0
	s_waitcnt lgkmcnt(0)
	s_waitcnt_vscnt null, 0x0
	s_barrier
	buffer_gl0_inv
	s_clause 0x3
	buffer_load_dword v3, v40, s[0:3], 0 offen
	buffer_load_dword v4, v40, s[0:3], 0 offen offset:4
	buffer_load_dword v5, v40, s[0:3], 0 offen offset:8
	;; [unrolled: 1-line block ×3, first 2 shown]
	s_waitcnt vmcnt(2)
	v_cmp_eq_f64_e32 vcc_lo, 0, v[3:4]
	s_waitcnt vmcnt(0)
	v_cmp_eq_f64_e64 s7, 0, v[5:6]
	s_and_b32 s7, vcc_lo, s7
	s_and_saveexec_b32 s27, s7
	s_cbranch_execz .LBB12_10
; %bb.7:
	v_mov_b32_e32 v3, 0
	s_mov_b32 s28, 0
	ds_read_b32 v4, v3 offset:416
	s_waitcnt lgkmcnt(0)
	v_readfirstlane_b32 s7, v4
	v_add_nc_u32_e32 v4, 1, v0
	s_cmp_eq_u32 s7, 0
	v_cmp_gt_i32_e32 vcc_lo, s7, v4
	s_cselect_b32 s29, -1, 0
	s_or_b32 s29, s29, vcc_lo
	s_and_b32 exec_lo, exec_lo, s29
	s_cbranch_execz .LBB12_10
; %bb.8:
	v_mov_b32_e32 v5, s7
.LBB12_9:                               ; =>This Inner Loop Header: Depth=1
	ds_cmpst_rtn_b32 v5, v3, v5, v4 offset:416
	s_waitcnt lgkmcnt(0)
	v_cmp_ne_u32_e32 vcc_lo, 0, v5
	v_cmp_le_i32_e64 s7, v5, v4
	s_and_b32 s7, vcc_lo, s7
	s_and_b32 s7, exec_lo, s7
	s_or_b32 s28, s7, s28
	s_andn2_b32 exec_lo, exec_lo, s28
	s_cbranch_execnz .LBB12_9
.LBB12_10:
	s_or_b32 exec_lo, exec_lo, s27
	v_mov_b32_e32 v3, 0
	s_barrier
	buffer_gl0_inv
	ds_read_b32 v4, v3 offset:416
	s_and_saveexec_b32 s7, s6
	s_cbranch_execz .LBB12_12
; %bb.11:
	s_lshl_b64 s[28:29], s[8:9], 2
	s_add_u32 s28, s14, s28
	s_addc_u32 s29, s15, s29
	s_waitcnt lgkmcnt(0)
	global_store_dword v3, v4, s[28:29]
.LBB12_12:
	s_or_b32 exec_lo, exec_lo, s7
	s_waitcnt lgkmcnt(0)
	v_cmp_ne_u32_e32 vcc_lo, 0, v4
	s_mov_b32 s7, 0
	s_cbranch_vccnz .LBB12_64
; %bb.13:
	s_clause 0x3
	buffer_load_dword v35, v40, s[0:3], 0 offen
	buffer_load_dword v36, v40, s[0:3], 0 offen offset:4
	buffer_load_dword v37, v40, s[0:3], 0 offen offset:8
	;; [unrolled: 1-line block ×3, first 2 shown]
                                        ; implicit-def: $vgpr33_vgpr34
                                        ; implicit-def: $vgpr5_vgpr6
	s_waitcnt vmcnt(0)
	v_cmp_ngt_f64_e64 s7, |v[35:36]|, |v[37:38]|
	s_and_saveexec_b32 s27, s7
	s_xor_b32 s7, exec_lo, s27
	s_cbranch_execz .LBB12_15
; %bb.14:
	v_div_scale_f64 v[3:4], null, v[37:38], v[37:38], v[35:36]
	v_div_scale_f64 v[41:42], vcc_lo, v[35:36], v[37:38], v[35:36]
	v_rcp_f64_e32 v[5:6], v[3:4]
	v_fma_f64 v[33:34], -v[3:4], v[5:6], 1.0
	v_fma_f64 v[5:6], v[5:6], v[33:34], v[5:6]
	v_fma_f64 v[33:34], -v[3:4], v[5:6], 1.0
	v_fma_f64 v[5:6], v[5:6], v[33:34], v[5:6]
	v_mul_f64 v[33:34], v[41:42], v[5:6]
	v_fma_f64 v[3:4], -v[3:4], v[33:34], v[41:42]
	v_div_fmas_f64 v[3:4], v[3:4], v[5:6], v[33:34]
	v_div_fixup_f64 v[3:4], v[3:4], v[37:38], v[35:36]
	v_fma_f64 v[5:6], v[35:36], v[3:4], v[37:38]
	v_div_scale_f64 v[33:34], null, v[5:6], v[5:6], 1.0
	v_div_scale_f64 v[41:42], vcc_lo, 1.0, v[5:6], 1.0
	v_rcp_f64_e32 v[35:36], v[33:34]
	v_fma_f64 v[37:38], -v[33:34], v[35:36], 1.0
	v_fma_f64 v[35:36], v[35:36], v[37:38], v[35:36]
	v_fma_f64 v[37:38], -v[33:34], v[35:36], 1.0
	v_fma_f64 v[35:36], v[35:36], v[37:38], v[35:36]
	v_mul_f64 v[37:38], v[41:42], v[35:36]
	v_fma_f64 v[33:34], -v[33:34], v[37:38], v[41:42]
	v_div_fmas_f64 v[33:34], v[33:34], v[35:36], v[37:38]
                                        ; implicit-def: $vgpr35_vgpr36
                                        ; implicit-def: $vgpr37_vgpr38
	v_div_fixup_f64 v[5:6], v[33:34], v[5:6], 1.0
	v_mul_f64 v[33:34], v[3:4], v[5:6]
	v_xor_b32_e32 v6, 0x80000000, v6
	v_xor_b32_e32 v4, 0x80000000, v34
	v_mov_b32_e32 v3, v33
.LBB12_15:
	s_andn2_saveexec_b32 s7, s7
	s_cbranch_execz .LBB12_17
; %bb.16:
	v_div_scale_f64 v[3:4], null, v[35:36], v[35:36], v[37:38]
	v_div_scale_f64 v[41:42], vcc_lo, v[37:38], v[35:36], v[37:38]
	v_rcp_f64_e32 v[5:6], v[3:4]
	v_fma_f64 v[33:34], -v[3:4], v[5:6], 1.0
	v_fma_f64 v[5:6], v[5:6], v[33:34], v[5:6]
	v_fma_f64 v[33:34], -v[3:4], v[5:6], 1.0
	v_fma_f64 v[5:6], v[5:6], v[33:34], v[5:6]
	v_mul_f64 v[33:34], v[41:42], v[5:6]
	v_fma_f64 v[3:4], -v[3:4], v[33:34], v[41:42]
	v_div_fmas_f64 v[3:4], v[3:4], v[5:6], v[33:34]
	v_div_fixup_f64 v[3:4], v[3:4], v[35:36], v[37:38]
	v_fma_f64 v[5:6], v[37:38], v[3:4], v[35:36]
	v_div_scale_f64 v[33:34], null, v[5:6], v[5:6], 1.0
	v_rcp_f64_e32 v[35:36], v[33:34]
	v_fma_f64 v[37:38], -v[33:34], v[35:36], 1.0
	v_fma_f64 v[35:36], v[35:36], v[37:38], v[35:36]
	v_fma_f64 v[37:38], -v[33:34], v[35:36], 1.0
	v_fma_f64 v[35:36], v[35:36], v[37:38], v[35:36]
	v_div_scale_f64 v[37:38], vcc_lo, 1.0, v[5:6], 1.0
	v_mul_f64 v[41:42], v[37:38], v[35:36]
	v_fma_f64 v[33:34], -v[33:34], v[41:42], v[37:38]
	v_div_fmas_f64 v[33:34], v[33:34], v[35:36], v[41:42]
	v_div_fixup_f64 v[33:34], v[33:34], v[5:6], 1.0
	v_mul_f64 v[5:6], v[3:4], -v[33:34]
	v_xor_b32_e32 v4, 0x80000000, v34
	v_mov_b32_e32 v3, v33
.LBB12_17:
	s_or_b32 exec_lo, exec_lo, s7
	v_mov_b32_e32 v38, s25
	buffer_store_dword v34, v40, s[0:3], 0 offen offset:4
	buffer_store_dword v33, v40, s[0:3], 0 offen
	buffer_store_dword v6, v40, s[0:3], 0 offen offset:12
	buffer_store_dword v5, v40, s[0:3], 0 offen offset:8
	v_xor_b32_e32 v6, 0x80000000, v6
	v_add_nc_u32_e32 v33, 0xd0, v39
	s_clause 0x3
	buffer_load_dword v37, v38, s[0:3], 0 offen offset:12
	buffer_load_dword v36, v38, s[0:3], 0 offen offset:8
	;; [unrolled: 1-line block ×3, first 2 shown]
	buffer_load_dword v34, v38, s[0:3], 0 offen
	ds_write_b128 v39, v[3:6]
	s_waitcnt vmcnt(0)
	ds_write_b128 v39, v[34:37] offset:208
	s_waitcnt lgkmcnt(0)
	s_waitcnt_vscnt null, 0x0
	s_barrier
	buffer_gl0_inv
	s_and_saveexec_b32 s7, s6
	s_cbranch_execz .LBB12_19
; %bb.18:
	s_clause 0x3
	buffer_load_dword v41, v40, s[0:3], 0 offen offset:8
	buffer_load_dword v42, v40, s[0:3], 0 offen offset:12
	buffer_load_dword v43, v40, s[0:3], 0 offen
	buffer_load_dword v44, v40, s[0:3], 0 offen offset:4
	ds_read_b128 v[3:6], v33
	v_mov_b32_e32 v34, 0
	ds_read_b128 v[34:37], v34 offset:16
	s_waitcnt vmcnt(2) lgkmcnt(1)
	v_mul_f64 v[45:46], v[3:4], v[41:42]
	v_mul_f64 v[41:42], v[5:6], v[41:42]
	s_waitcnt vmcnt(0)
	v_fma_f64 v[5:6], v[5:6], v[43:44], v[45:46]
	v_fma_f64 v[3:4], v[3:4], v[43:44], -v[41:42]
	v_add_f64 v[5:6], v[5:6], 0
	v_add_f64 v[3:4], v[3:4], 0
	s_waitcnt lgkmcnt(0)
	v_mul_f64 v[41:42], v[5:6], v[36:37]
	v_mul_f64 v[36:37], v[3:4], v[36:37]
	v_fma_f64 v[3:4], v[3:4], v[34:35], -v[41:42]
	v_fma_f64 v[5:6], v[5:6], v[34:35], v[36:37]
	buffer_store_dword v3, off, s[0:3], 0 offset:16
	buffer_store_dword v4, off, s[0:3], 0 offset:20
	;; [unrolled: 1-line block ×4, first 2 shown]
.LBB12_19:
	s_or_b32 exec_lo, exec_lo, s7
	v_mov_b32_e32 v6, s24
	s_waitcnt_vscnt null, 0x0
	s_barrier
	buffer_gl0_inv
	s_mov_b32 s7, exec_lo
	s_clause 0x3
	buffer_load_dword v3, v6, s[0:3], 0 offen
	buffer_load_dword v4, v6, s[0:3], 0 offen offset:4
	buffer_load_dword v5, v6, s[0:3], 0 offen offset:8
	;; [unrolled: 1-line block ×3, first 2 shown]
	s_waitcnt vmcnt(0)
	ds_write_b128 v33, v[3:6]
	s_waitcnt lgkmcnt(0)
	s_barrier
	buffer_gl0_inv
	v_cmpx_gt_u32_e32 2, v0
	s_cbranch_execz .LBB12_23
; %bb.20:
	s_clause 0x3
	buffer_load_dword v34, v40, s[0:3], 0 offen offset:8
	buffer_load_dword v35, v40, s[0:3], 0 offen offset:12
	buffer_load_dword v36, v40, s[0:3], 0 offen
	buffer_load_dword v37, v40, s[0:3], 0 offen offset:4
	ds_read_b128 v[3:6], v33
	s_waitcnt vmcnt(2) lgkmcnt(0)
	v_mul_f64 v[40:41], v[5:6], v[34:35]
	v_mul_f64 v[34:35], v[3:4], v[34:35]
	s_waitcnt vmcnt(0)
	v_fma_f64 v[3:4], v[3:4], v[36:37], -v[40:41]
	v_fma_f64 v[5:6], v[5:6], v[36:37], v[34:35]
	v_add_f64 v[3:4], v[3:4], 0
	v_add_f64 v[5:6], v[5:6], 0
	s_and_saveexec_b32 s27, s6
	s_cbranch_execz .LBB12_22
; %bb.21:
	s_clause 0x3
	buffer_load_dword v40, off, s[0:3], 0 offset:24
	buffer_load_dword v41, off, s[0:3], 0 offset:28
	;; [unrolled: 1-line block ×4, first 2 shown]
	v_mov_b32_e32 v34, 0
	ds_read_b128 v[34:37], v34 offset:224
	s_waitcnt vmcnt(2) lgkmcnt(0)
	v_mul_f64 v[44:45], v[34:35], v[40:41]
	v_mul_f64 v[40:41], v[36:37], v[40:41]
	s_waitcnt vmcnt(0)
	v_fma_f64 v[36:37], v[36:37], v[42:43], v[44:45]
	v_fma_f64 v[34:35], v[34:35], v[42:43], -v[40:41]
	v_add_f64 v[5:6], v[5:6], v[36:37]
	v_add_f64 v[3:4], v[3:4], v[34:35]
.LBB12_22:
	s_or_b32 exec_lo, exec_lo, s27
	v_mov_b32_e32 v34, 0
	ds_read_b128 v[34:37], v34 offset:32
	s_waitcnt lgkmcnt(0)
	v_mul_f64 v[40:41], v[5:6], v[36:37]
	v_mul_f64 v[36:37], v[3:4], v[36:37]
	v_fma_f64 v[3:4], v[3:4], v[34:35], -v[40:41]
	v_fma_f64 v[5:6], v[5:6], v[34:35], v[36:37]
	buffer_store_dword v4, off, s[0:3], 0 offset:36
	buffer_store_dword v3, off, s[0:3], 0 offset:32
	;; [unrolled: 1-line block ×4, first 2 shown]
.LBB12_23:
	s_or_b32 exec_lo, exec_lo, s7
	v_mov_b32_e32 v6, s23
	s_waitcnt_vscnt null, 0x0
	s_barrier
	buffer_gl0_inv
	v_add_nc_u32_e32 v34, -1, v0
	s_clause 0x3
	buffer_load_dword v3, v6, s[0:3], 0 offen
	buffer_load_dword v4, v6, s[0:3], 0 offen offset:4
	buffer_load_dword v5, v6, s[0:3], 0 offen offset:8
	;; [unrolled: 1-line block ×3, first 2 shown]
	s_mov_b32 s6, exec_lo
	s_waitcnt vmcnt(0)
	ds_write_b128 v33, v[3:6]
	s_waitcnt lgkmcnt(0)
	s_barrier
	buffer_gl0_inv
	v_cmpx_gt_u32_e32 3, v0
	s_cbranch_execz .LBB12_27
; %bb.24:
	v_mov_b32_e32 v3, 0
	v_mov_b32_e32 v5, 0
	v_add_nc_u32_e32 v35, -1, v0
	v_add_nc_u32_e32 v36, 0xd0, v39
	v_mov_b32_e32 v4, 0
	v_mov_b32_e32 v6, 0
	v_mov_b32_e32 v37, v39
	s_mov_b32 s7, 0
	.p2align	6
.LBB12_25:                              ; =>This Inner Loop Header: Depth=1
	s_clause 0x3
	buffer_load_dword v44, v37, s[0:3], 0 offen offset:8
	buffer_load_dword v45, v37, s[0:3], 0 offen offset:12
	buffer_load_dword v46, v37, s[0:3], 0 offen
	buffer_load_dword v47, v37, s[0:3], 0 offen offset:4
	ds_read_b128 v[40:43], v36
	v_add_nc_u32_e32 v35, 1, v35
	v_add_nc_u32_e32 v36, 16, v36
	;; [unrolled: 1-line block ×3, first 2 shown]
	v_cmp_lt_u32_e32 vcc_lo, 1, v35
	s_or_b32 s7, vcc_lo, s7
	s_waitcnt vmcnt(2) lgkmcnt(0)
	v_mul_f64 v[48:49], v[42:43], v[44:45]
	v_mul_f64 v[44:45], v[40:41], v[44:45]
	s_waitcnt vmcnt(0)
	v_fma_f64 v[40:41], v[40:41], v[46:47], -v[48:49]
	v_fma_f64 v[42:43], v[42:43], v[46:47], v[44:45]
	v_add_f64 v[5:6], v[5:6], v[40:41]
	v_add_f64 v[3:4], v[3:4], v[42:43]
	s_andn2_b32 exec_lo, exec_lo, s7
	s_cbranch_execnz .LBB12_25
; %bb.26:
	s_or_b32 exec_lo, exec_lo, s7
	v_mov_b32_e32 v35, 0
	ds_read_b128 v[35:38], v35 offset:48
	s_waitcnt lgkmcnt(0)
	v_mul_f64 v[40:41], v[3:4], v[37:38]
	v_mul_f64 v[37:38], v[5:6], v[37:38]
	v_fma_f64 v[5:6], v[5:6], v[35:36], -v[40:41]
	v_fma_f64 v[3:4], v[3:4], v[35:36], v[37:38]
	buffer_store_dword v6, off, s[0:3], 0 offset:52
	buffer_store_dword v5, off, s[0:3], 0 offset:48
	;; [unrolled: 1-line block ×4, first 2 shown]
.LBB12_27:
	s_or_b32 exec_lo, exec_lo, s6
	v_mov_b32_e32 v6, s22
	s_waitcnt_vscnt null, 0x0
	s_barrier
	buffer_gl0_inv
	s_mov_b32 s6, exec_lo
	s_clause 0x3
	buffer_load_dword v3, v6, s[0:3], 0 offen
	buffer_load_dword v4, v6, s[0:3], 0 offen offset:4
	buffer_load_dword v5, v6, s[0:3], 0 offen offset:8
	buffer_load_dword v6, v6, s[0:3], 0 offen offset:12
	s_waitcnt vmcnt(0)
	ds_write_b128 v33, v[3:6]
	s_waitcnt lgkmcnt(0)
	s_barrier
	buffer_gl0_inv
	v_cmpx_gt_u32_e32 4, v0
	s_cbranch_execz .LBB12_31
; %bb.28:
	v_mov_b32_e32 v3, 0
	v_mov_b32_e32 v5, 0
	v_add_nc_u32_e32 v35, -1, v0
	v_add_nc_u32_e32 v36, 0xd0, v39
	v_mov_b32_e32 v4, 0
	v_mov_b32_e32 v6, 0
	;; [unrolled: 1-line block ×3, first 2 shown]
	s_mov_b32 s7, 0
	.p2align	6
.LBB12_29:                              ; =>This Inner Loop Header: Depth=1
	s_clause 0x3
	buffer_load_dword v44, v37, s[0:3], 0 offen offset:8
	buffer_load_dword v45, v37, s[0:3], 0 offen offset:12
	buffer_load_dword v46, v37, s[0:3], 0 offen
	buffer_load_dword v47, v37, s[0:3], 0 offen offset:4
	ds_read_b128 v[40:43], v36
	v_add_nc_u32_e32 v35, 1, v35
	v_add_nc_u32_e32 v36, 16, v36
	;; [unrolled: 1-line block ×3, first 2 shown]
	v_cmp_lt_u32_e32 vcc_lo, 2, v35
	s_or_b32 s7, vcc_lo, s7
	s_waitcnt vmcnt(2) lgkmcnt(0)
	v_mul_f64 v[48:49], v[42:43], v[44:45]
	v_mul_f64 v[44:45], v[40:41], v[44:45]
	s_waitcnt vmcnt(0)
	v_fma_f64 v[40:41], v[40:41], v[46:47], -v[48:49]
	v_fma_f64 v[42:43], v[42:43], v[46:47], v[44:45]
	v_add_f64 v[5:6], v[5:6], v[40:41]
	v_add_f64 v[3:4], v[3:4], v[42:43]
	s_andn2_b32 exec_lo, exec_lo, s7
	s_cbranch_execnz .LBB12_29
; %bb.30:
	s_or_b32 exec_lo, exec_lo, s7
	v_mov_b32_e32 v35, 0
	ds_read_b128 v[35:38], v35 offset:64
	s_waitcnt lgkmcnt(0)
	v_mul_f64 v[40:41], v[3:4], v[37:38]
	v_mul_f64 v[37:38], v[5:6], v[37:38]
	v_fma_f64 v[5:6], v[5:6], v[35:36], -v[40:41]
	v_fma_f64 v[3:4], v[3:4], v[35:36], v[37:38]
	buffer_store_dword v6, off, s[0:3], 0 offset:68
	buffer_store_dword v5, off, s[0:3], 0 offset:64
	;; [unrolled: 1-line block ×4, first 2 shown]
.LBB12_31:
	s_or_b32 exec_lo, exec_lo, s6
	v_mov_b32_e32 v6, s21
	s_waitcnt_vscnt null, 0x0
	s_barrier
	buffer_gl0_inv
	s_mov_b32 s6, exec_lo
	s_clause 0x3
	buffer_load_dword v3, v6, s[0:3], 0 offen
	buffer_load_dword v4, v6, s[0:3], 0 offen offset:4
	buffer_load_dword v5, v6, s[0:3], 0 offen offset:8
	;; [unrolled: 1-line block ×3, first 2 shown]
	s_waitcnt vmcnt(0)
	ds_write_b128 v33, v[3:6]
	s_waitcnt lgkmcnt(0)
	s_barrier
	buffer_gl0_inv
	v_cmpx_gt_u32_e32 5, v0
	s_cbranch_execz .LBB12_35
; %bb.32:
	v_mov_b32_e32 v3, 0
	v_mov_b32_e32 v5, 0
	v_add_nc_u32_e32 v35, -1, v0
	v_add_nc_u32_e32 v36, 0xd0, v39
	v_mov_b32_e32 v4, 0
	v_mov_b32_e32 v6, 0
	;; [unrolled: 1-line block ×3, first 2 shown]
	s_mov_b32 s7, 0
	.p2align	6
.LBB12_33:                              ; =>This Inner Loop Header: Depth=1
	s_clause 0x3
	buffer_load_dword v44, v37, s[0:3], 0 offen offset:8
	buffer_load_dword v45, v37, s[0:3], 0 offen offset:12
	buffer_load_dword v46, v37, s[0:3], 0 offen
	buffer_load_dword v47, v37, s[0:3], 0 offen offset:4
	ds_read_b128 v[40:43], v36
	v_add_nc_u32_e32 v35, 1, v35
	v_add_nc_u32_e32 v36, 16, v36
	;; [unrolled: 1-line block ×3, first 2 shown]
	v_cmp_lt_u32_e32 vcc_lo, 3, v35
	s_or_b32 s7, vcc_lo, s7
	s_waitcnt vmcnt(2) lgkmcnt(0)
	v_mul_f64 v[48:49], v[42:43], v[44:45]
	v_mul_f64 v[44:45], v[40:41], v[44:45]
	s_waitcnt vmcnt(0)
	v_fma_f64 v[40:41], v[40:41], v[46:47], -v[48:49]
	v_fma_f64 v[42:43], v[42:43], v[46:47], v[44:45]
	v_add_f64 v[5:6], v[5:6], v[40:41]
	v_add_f64 v[3:4], v[3:4], v[42:43]
	s_andn2_b32 exec_lo, exec_lo, s7
	s_cbranch_execnz .LBB12_33
; %bb.34:
	s_or_b32 exec_lo, exec_lo, s7
	v_mov_b32_e32 v35, 0
	ds_read_b128 v[35:38], v35 offset:80
	s_waitcnt lgkmcnt(0)
	v_mul_f64 v[40:41], v[3:4], v[37:38]
	v_mul_f64 v[37:38], v[5:6], v[37:38]
	v_fma_f64 v[5:6], v[5:6], v[35:36], -v[40:41]
	v_fma_f64 v[3:4], v[3:4], v[35:36], v[37:38]
	buffer_store_dword v6, off, s[0:3], 0 offset:84
	buffer_store_dword v5, off, s[0:3], 0 offset:80
	;; [unrolled: 1-line block ×4, first 2 shown]
.LBB12_35:
	s_or_b32 exec_lo, exec_lo, s6
	v_mov_b32_e32 v6, s20
	s_waitcnt_vscnt null, 0x0
	s_barrier
	buffer_gl0_inv
	s_mov_b32 s6, exec_lo
	s_clause 0x3
	buffer_load_dword v3, v6, s[0:3], 0 offen
	buffer_load_dword v4, v6, s[0:3], 0 offen offset:4
	buffer_load_dword v5, v6, s[0:3], 0 offen offset:8
	;; [unrolled: 1-line block ×3, first 2 shown]
	s_waitcnt vmcnt(0)
	ds_write_b128 v33, v[3:6]
	s_waitcnt lgkmcnt(0)
	s_barrier
	buffer_gl0_inv
	v_cmpx_gt_u32_e32 6, v0
	s_cbranch_execz .LBB12_39
; %bb.36:
	v_mov_b32_e32 v3, 0
	v_mov_b32_e32 v5, 0
	v_add_nc_u32_e32 v35, -1, v0
	v_add_nc_u32_e32 v36, 0xd0, v39
	v_mov_b32_e32 v4, 0
	v_mov_b32_e32 v6, 0
	;; [unrolled: 1-line block ×3, first 2 shown]
	s_mov_b32 s7, 0
	.p2align	6
.LBB12_37:                              ; =>This Inner Loop Header: Depth=1
	s_clause 0x3
	buffer_load_dword v44, v37, s[0:3], 0 offen offset:8
	buffer_load_dword v45, v37, s[0:3], 0 offen offset:12
	buffer_load_dword v46, v37, s[0:3], 0 offen
	buffer_load_dword v47, v37, s[0:3], 0 offen offset:4
	ds_read_b128 v[40:43], v36
	v_add_nc_u32_e32 v35, 1, v35
	v_add_nc_u32_e32 v36, 16, v36
	;; [unrolled: 1-line block ×3, first 2 shown]
	v_cmp_lt_u32_e32 vcc_lo, 4, v35
	s_or_b32 s7, vcc_lo, s7
	s_waitcnt vmcnt(2) lgkmcnt(0)
	v_mul_f64 v[48:49], v[42:43], v[44:45]
	v_mul_f64 v[44:45], v[40:41], v[44:45]
	s_waitcnt vmcnt(0)
	v_fma_f64 v[40:41], v[40:41], v[46:47], -v[48:49]
	v_fma_f64 v[42:43], v[42:43], v[46:47], v[44:45]
	v_add_f64 v[5:6], v[5:6], v[40:41]
	v_add_f64 v[3:4], v[3:4], v[42:43]
	s_andn2_b32 exec_lo, exec_lo, s7
	s_cbranch_execnz .LBB12_37
; %bb.38:
	s_or_b32 exec_lo, exec_lo, s7
	v_mov_b32_e32 v35, 0
	ds_read_b128 v[35:38], v35 offset:96
	s_waitcnt lgkmcnt(0)
	v_mul_f64 v[40:41], v[3:4], v[37:38]
	v_mul_f64 v[37:38], v[5:6], v[37:38]
	v_fma_f64 v[5:6], v[5:6], v[35:36], -v[40:41]
	v_fma_f64 v[3:4], v[3:4], v[35:36], v[37:38]
	buffer_store_dword v6, off, s[0:3], 0 offset:100
	buffer_store_dword v5, off, s[0:3], 0 offset:96
	;; [unrolled: 1-line block ×4, first 2 shown]
.LBB12_39:
	s_or_b32 exec_lo, exec_lo, s6
	v_mov_b32_e32 v6, s19
	s_waitcnt_vscnt null, 0x0
	s_barrier
	buffer_gl0_inv
	s_mov_b32 s6, exec_lo
	s_clause 0x3
	buffer_load_dword v3, v6, s[0:3], 0 offen
	buffer_load_dword v4, v6, s[0:3], 0 offen offset:4
	buffer_load_dword v5, v6, s[0:3], 0 offen offset:8
	;; [unrolled: 1-line block ×3, first 2 shown]
	s_waitcnt vmcnt(0)
	ds_write_b128 v33, v[3:6]
	s_waitcnt lgkmcnt(0)
	s_barrier
	buffer_gl0_inv
	v_cmpx_gt_u32_e32 7, v0
	s_cbranch_execz .LBB12_43
; %bb.40:
	v_mov_b32_e32 v3, 0
	v_mov_b32_e32 v5, 0
	v_add_nc_u32_e32 v35, -1, v0
	v_add_nc_u32_e32 v36, 0xd0, v39
	v_mov_b32_e32 v4, 0
	v_mov_b32_e32 v6, 0
	;; [unrolled: 1-line block ×3, first 2 shown]
	s_mov_b32 s7, 0
	.p2align	6
.LBB12_41:                              ; =>This Inner Loop Header: Depth=1
	s_clause 0x3
	buffer_load_dword v44, v37, s[0:3], 0 offen offset:8
	buffer_load_dword v45, v37, s[0:3], 0 offen offset:12
	buffer_load_dword v46, v37, s[0:3], 0 offen
	buffer_load_dword v47, v37, s[0:3], 0 offen offset:4
	ds_read_b128 v[40:43], v36
	v_add_nc_u32_e32 v35, 1, v35
	v_add_nc_u32_e32 v36, 16, v36
	;; [unrolled: 1-line block ×3, first 2 shown]
	v_cmp_lt_u32_e32 vcc_lo, 5, v35
	s_or_b32 s7, vcc_lo, s7
	s_waitcnt vmcnt(2) lgkmcnt(0)
	v_mul_f64 v[48:49], v[42:43], v[44:45]
	v_mul_f64 v[44:45], v[40:41], v[44:45]
	s_waitcnt vmcnt(0)
	v_fma_f64 v[40:41], v[40:41], v[46:47], -v[48:49]
	v_fma_f64 v[42:43], v[42:43], v[46:47], v[44:45]
	v_add_f64 v[5:6], v[5:6], v[40:41]
	v_add_f64 v[3:4], v[3:4], v[42:43]
	s_andn2_b32 exec_lo, exec_lo, s7
	s_cbranch_execnz .LBB12_41
; %bb.42:
	s_or_b32 exec_lo, exec_lo, s7
	v_mov_b32_e32 v35, 0
	ds_read_b128 v[35:38], v35 offset:112
	s_waitcnt lgkmcnt(0)
	v_mul_f64 v[40:41], v[3:4], v[37:38]
	v_mul_f64 v[37:38], v[5:6], v[37:38]
	v_fma_f64 v[5:6], v[5:6], v[35:36], -v[40:41]
	v_fma_f64 v[3:4], v[3:4], v[35:36], v[37:38]
	buffer_store_dword v6, off, s[0:3], 0 offset:116
	buffer_store_dword v5, off, s[0:3], 0 offset:112
	buffer_store_dword v4, off, s[0:3], 0 offset:124
	buffer_store_dword v3, off, s[0:3], 0 offset:120
.LBB12_43:
	s_or_b32 exec_lo, exec_lo, s6
	v_mov_b32_e32 v6, s18
	s_waitcnt_vscnt null, 0x0
	s_barrier
	buffer_gl0_inv
	s_mov_b32 s6, exec_lo
	s_clause 0x3
	buffer_load_dword v3, v6, s[0:3], 0 offen
	buffer_load_dword v4, v6, s[0:3], 0 offen offset:4
	buffer_load_dword v5, v6, s[0:3], 0 offen offset:8
	;; [unrolled: 1-line block ×3, first 2 shown]
	s_waitcnt vmcnt(0)
	ds_write_b128 v33, v[3:6]
	s_waitcnt lgkmcnt(0)
	s_barrier
	buffer_gl0_inv
	v_cmpx_gt_u32_e32 8, v0
	s_cbranch_execz .LBB12_47
; %bb.44:
	v_mov_b32_e32 v3, 0
	v_mov_b32_e32 v5, 0
	v_add_nc_u32_e32 v35, -1, v0
	v_add_nc_u32_e32 v36, 0xd0, v39
	v_mov_b32_e32 v4, 0
	v_mov_b32_e32 v6, 0
	;; [unrolled: 1-line block ×3, first 2 shown]
	s_mov_b32 s7, 0
	.p2align	6
.LBB12_45:                              ; =>This Inner Loop Header: Depth=1
	s_clause 0x3
	buffer_load_dword v44, v37, s[0:3], 0 offen offset:8
	buffer_load_dword v45, v37, s[0:3], 0 offen offset:12
	buffer_load_dword v46, v37, s[0:3], 0 offen
	buffer_load_dword v47, v37, s[0:3], 0 offen offset:4
	ds_read_b128 v[40:43], v36
	v_add_nc_u32_e32 v35, 1, v35
	v_add_nc_u32_e32 v36, 16, v36
	v_add_nc_u32_e32 v37, 16, v37
	v_cmp_lt_u32_e32 vcc_lo, 6, v35
	s_or_b32 s7, vcc_lo, s7
	s_waitcnt vmcnt(2) lgkmcnt(0)
	v_mul_f64 v[48:49], v[42:43], v[44:45]
	v_mul_f64 v[44:45], v[40:41], v[44:45]
	s_waitcnt vmcnt(0)
	v_fma_f64 v[40:41], v[40:41], v[46:47], -v[48:49]
	v_fma_f64 v[42:43], v[42:43], v[46:47], v[44:45]
	v_add_f64 v[5:6], v[5:6], v[40:41]
	v_add_f64 v[3:4], v[3:4], v[42:43]
	s_andn2_b32 exec_lo, exec_lo, s7
	s_cbranch_execnz .LBB12_45
; %bb.46:
	s_or_b32 exec_lo, exec_lo, s7
	v_mov_b32_e32 v35, 0
	ds_read_b128 v[35:38], v35 offset:128
	s_waitcnt lgkmcnt(0)
	v_mul_f64 v[40:41], v[3:4], v[37:38]
	v_mul_f64 v[37:38], v[5:6], v[37:38]
	v_fma_f64 v[5:6], v[5:6], v[35:36], -v[40:41]
	v_fma_f64 v[3:4], v[3:4], v[35:36], v[37:38]
	buffer_store_dword v6, off, s[0:3], 0 offset:132
	buffer_store_dword v5, off, s[0:3], 0 offset:128
	;; [unrolled: 1-line block ×4, first 2 shown]
.LBB12_47:
	s_or_b32 exec_lo, exec_lo, s6
	v_mov_b32_e32 v6, s17
	s_waitcnt_vscnt null, 0x0
	s_barrier
	buffer_gl0_inv
	s_mov_b32 s6, exec_lo
	s_clause 0x3
	buffer_load_dword v3, v6, s[0:3], 0 offen
	buffer_load_dword v4, v6, s[0:3], 0 offen offset:4
	buffer_load_dword v5, v6, s[0:3], 0 offen offset:8
	;; [unrolled: 1-line block ×3, first 2 shown]
	s_waitcnt vmcnt(0)
	ds_write_b128 v33, v[3:6]
	s_waitcnt lgkmcnt(0)
	s_barrier
	buffer_gl0_inv
	v_cmpx_gt_u32_e32 9, v0
	s_cbranch_execz .LBB12_51
; %bb.48:
	v_mov_b32_e32 v3, 0
	v_mov_b32_e32 v5, 0
	v_add_nc_u32_e32 v35, -1, v0
	v_add_nc_u32_e32 v36, 0xd0, v39
	v_mov_b32_e32 v4, 0
	v_mov_b32_e32 v6, 0
	;; [unrolled: 1-line block ×3, first 2 shown]
	s_mov_b32 s7, 0
	.p2align	6
.LBB12_49:                              ; =>This Inner Loop Header: Depth=1
	s_clause 0x3
	buffer_load_dword v44, v37, s[0:3], 0 offen offset:8
	buffer_load_dword v45, v37, s[0:3], 0 offen offset:12
	buffer_load_dword v46, v37, s[0:3], 0 offen
	buffer_load_dword v47, v37, s[0:3], 0 offen offset:4
	ds_read_b128 v[40:43], v36
	v_add_nc_u32_e32 v35, 1, v35
	v_add_nc_u32_e32 v36, 16, v36
	;; [unrolled: 1-line block ×3, first 2 shown]
	v_cmp_lt_u32_e32 vcc_lo, 7, v35
	s_or_b32 s7, vcc_lo, s7
	s_waitcnt vmcnt(2) lgkmcnt(0)
	v_mul_f64 v[48:49], v[42:43], v[44:45]
	v_mul_f64 v[44:45], v[40:41], v[44:45]
	s_waitcnt vmcnt(0)
	v_fma_f64 v[40:41], v[40:41], v[46:47], -v[48:49]
	v_fma_f64 v[42:43], v[42:43], v[46:47], v[44:45]
	v_add_f64 v[5:6], v[5:6], v[40:41]
	v_add_f64 v[3:4], v[3:4], v[42:43]
	s_andn2_b32 exec_lo, exec_lo, s7
	s_cbranch_execnz .LBB12_49
; %bb.50:
	s_or_b32 exec_lo, exec_lo, s7
	v_mov_b32_e32 v35, 0
	ds_read_b128 v[35:38], v35 offset:144
	s_waitcnt lgkmcnt(0)
	v_mul_f64 v[40:41], v[3:4], v[37:38]
	v_mul_f64 v[37:38], v[5:6], v[37:38]
	v_fma_f64 v[5:6], v[5:6], v[35:36], -v[40:41]
	v_fma_f64 v[3:4], v[3:4], v[35:36], v[37:38]
	buffer_store_dword v6, off, s[0:3], 0 offset:148
	buffer_store_dword v5, off, s[0:3], 0 offset:144
	;; [unrolled: 1-line block ×4, first 2 shown]
.LBB12_51:
	s_or_b32 exec_lo, exec_lo, s6
	v_mov_b32_e32 v6, s16
	s_waitcnt_vscnt null, 0x0
	s_barrier
	buffer_gl0_inv
	s_mov_b32 s6, exec_lo
	s_clause 0x3
	buffer_load_dword v3, v6, s[0:3], 0 offen
	buffer_load_dword v4, v6, s[0:3], 0 offen offset:4
	buffer_load_dword v5, v6, s[0:3], 0 offen offset:8
	;; [unrolled: 1-line block ×3, first 2 shown]
	s_waitcnt vmcnt(0)
	ds_write_b128 v33, v[3:6]
	s_waitcnt lgkmcnt(0)
	s_barrier
	buffer_gl0_inv
	v_cmpx_gt_u32_e32 10, v0
	s_cbranch_execz .LBB12_55
; %bb.52:
	v_mov_b32_e32 v3, 0
	v_mov_b32_e32 v5, 0
	v_add_nc_u32_e32 v35, -1, v0
	v_add_nc_u32_e32 v36, 0xd0, v39
	v_mov_b32_e32 v4, 0
	v_mov_b32_e32 v6, 0
	;; [unrolled: 1-line block ×3, first 2 shown]
	s_mov_b32 s7, 0
	.p2align	6
.LBB12_53:                              ; =>This Inner Loop Header: Depth=1
	s_clause 0x3
	buffer_load_dword v44, v37, s[0:3], 0 offen offset:8
	buffer_load_dword v45, v37, s[0:3], 0 offen offset:12
	buffer_load_dword v46, v37, s[0:3], 0 offen
	buffer_load_dword v47, v37, s[0:3], 0 offen offset:4
	ds_read_b128 v[40:43], v36
	v_add_nc_u32_e32 v35, 1, v35
	v_add_nc_u32_e32 v36, 16, v36
	;; [unrolled: 1-line block ×3, first 2 shown]
	v_cmp_lt_u32_e32 vcc_lo, 8, v35
	s_or_b32 s7, vcc_lo, s7
	s_waitcnt vmcnt(2) lgkmcnt(0)
	v_mul_f64 v[48:49], v[42:43], v[44:45]
	v_mul_f64 v[44:45], v[40:41], v[44:45]
	s_waitcnt vmcnt(0)
	v_fma_f64 v[40:41], v[40:41], v[46:47], -v[48:49]
	v_fma_f64 v[42:43], v[42:43], v[46:47], v[44:45]
	v_add_f64 v[5:6], v[5:6], v[40:41]
	v_add_f64 v[3:4], v[3:4], v[42:43]
	s_andn2_b32 exec_lo, exec_lo, s7
	s_cbranch_execnz .LBB12_53
; %bb.54:
	s_or_b32 exec_lo, exec_lo, s7
	v_mov_b32_e32 v35, 0
	ds_read_b128 v[35:38], v35 offset:160
	s_waitcnt lgkmcnt(0)
	v_mul_f64 v[40:41], v[3:4], v[37:38]
	v_mul_f64 v[37:38], v[5:6], v[37:38]
	v_fma_f64 v[5:6], v[5:6], v[35:36], -v[40:41]
	v_fma_f64 v[3:4], v[3:4], v[35:36], v[37:38]
	buffer_store_dword v6, off, s[0:3], 0 offset:164
	buffer_store_dword v5, off, s[0:3], 0 offset:160
	;; [unrolled: 1-line block ×4, first 2 shown]
.LBB12_55:
	s_or_b32 exec_lo, exec_lo, s6
	v_mov_b32_e32 v6, s13
	s_waitcnt_vscnt null, 0x0
	s_barrier
	buffer_gl0_inv
	s_mov_b32 s6, exec_lo
	s_clause 0x3
	buffer_load_dword v3, v6, s[0:3], 0 offen
	buffer_load_dword v4, v6, s[0:3], 0 offen offset:4
	buffer_load_dword v5, v6, s[0:3], 0 offen offset:8
	;; [unrolled: 1-line block ×3, first 2 shown]
	s_waitcnt vmcnt(0)
	ds_write_b128 v33, v[3:6]
	s_waitcnt lgkmcnt(0)
	s_barrier
	buffer_gl0_inv
	v_cmpx_gt_u32_e32 11, v0
	s_cbranch_execz .LBB12_59
; %bb.56:
	v_mov_b32_e32 v3, 0
	v_mov_b32_e32 v5, 0
	v_add_nc_u32_e32 v35, -1, v0
	v_add_nc_u32_e32 v36, 0xd0, v39
	v_mov_b32_e32 v4, 0
	v_mov_b32_e32 v6, 0
	;; [unrolled: 1-line block ×3, first 2 shown]
	s_mov_b32 s7, 0
	.p2align	6
.LBB12_57:                              ; =>This Inner Loop Header: Depth=1
	s_clause 0x3
	buffer_load_dword v44, v37, s[0:3], 0 offen offset:8
	buffer_load_dword v45, v37, s[0:3], 0 offen offset:12
	buffer_load_dword v46, v37, s[0:3], 0 offen
	buffer_load_dword v47, v37, s[0:3], 0 offen offset:4
	ds_read_b128 v[40:43], v36
	v_add_nc_u32_e32 v35, 1, v35
	v_add_nc_u32_e32 v36, 16, v36
	;; [unrolled: 1-line block ×3, first 2 shown]
	v_cmp_lt_u32_e32 vcc_lo, 9, v35
	s_or_b32 s7, vcc_lo, s7
	s_waitcnt vmcnt(2) lgkmcnt(0)
	v_mul_f64 v[48:49], v[42:43], v[44:45]
	v_mul_f64 v[44:45], v[40:41], v[44:45]
	s_waitcnt vmcnt(0)
	v_fma_f64 v[40:41], v[40:41], v[46:47], -v[48:49]
	v_fma_f64 v[42:43], v[42:43], v[46:47], v[44:45]
	v_add_f64 v[5:6], v[5:6], v[40:41]
	v_add_f64 v[3:4], v[3:4], v[42:43]
	s_andn2_b32 exec_lo, exec_lo, s7
	s_cbranch_execnz .LBB12_57
; %bb.58:
	s_or_b32 exec_lo, exec_lo, s7
	v_mov_b32_e32 v35, 0
	ds_read_b128 v[35:38], v35 offset:176
	s_waitcnt lgkmcnt(0)
	v_mul_f64 v[40:41], v[3:4], v[37:38]
	v_mul_f64 v[37:38], v[5:6], v[37:38]
	v_fma_f64 v[5:6], v[5:6], v[35:36], -v[40:41]
	v_fma_f64 v[3:4], v[3:4], v[35:36], v[37:38]
	buffer_store_dword v6, off, s[0:3], 0 offset:180
	buffer_store_dword v5, off, s[0:3], 0 offset:176
	;; [unrolled: 1-line block ×4, first 2 shown]
.LBB12_59:
	s_or_b32 exec_lo, exec_lo, s6
	v_mov_b32_e32 v6, s12
	s_waitcnt_vscnt null, 0x0
	s_barrier
	buffer_gl0_inv
	s_mov_b32 s6, exec_lo
	s_clause 0x3
	buffer_load_dword v3, v6, s[0:3], 0 offen
	buffer_load_dword v4, v6, s[0:3], 0 offen offset:4
	buffer_load_dword v5, v6, s[0:3], 0 offen offset:8
	;; [unrolled: 1-line block ×3, first 2 shown]
	s_waitcnt vmcnt(0)
	ds_write_b128 v33, v[3:6]
	s_waitcnt lgkmcnt(0)
	s_barrier
	buffer_gl0_inv
	v_cmpx_ne_u32_e32 12, v0
	s_cbranch_execz .LBB12_63
; %bb.60:
	v_mov_b32_e32 v3, 0
	v_mov_b32_e32 v5, 0
	;; [unrolled: 1-line block ×5, first 2 shown]
	s_mov_b32 s7, 0
	.p2align	6
.LBB12_61:                              ; =>This Inner Loop Header: Depth=1
	s_clause 0x3
	buffer_load_dword v40, v35, s[0:3], 0 offen offset:8
	buffer_load_dword v41, v35, s[0:3], 0 offen offset:12
	buffer_load_dword v42, v35, s[0:3], 0 offen
	buffer_load_dword v43, v35, s[0:3], 0 offen offset:4
	ds_read_b128 v[36:39], v33
	v_add_nc_u32_e32 v34, 1, v34
	v_add_nc_u32_e32 v33, 16, v33
	;; [unrolled: 1-line block ×3, first 2 shown]
	v_cmp_lt_u32_e32 vcc_lo, 10, v34
	s_or_b32 s7, vcc_lo, s7
	s_waitcnt vmcnt(2) lgkmcnt(0)
	v_mul_f64 v[44:45], v[38:39], v[40:41]
	v_mul_f64 v[40:41], v[36:37], v[40:41]
	s_waitcnt vmcnt(0)
	v_fma_f64 v[36:37], v[36:37], v[42:43], -v[44:45]
	v_fma_f64 v[38:39], v[38:39], v[42:43], v[40:41]
	v_add_f64 v[5:6], v[5:6], v[36:37]
	v_add_f64 v[3:4], v[3:4], v[38:39]
	s_andn2_b32 exec_lo, exec_lo, s7
	s_cbranch_execnz .LBB12_61
; %bb.62:
	s_or_b32 exec_lo, exec_lo, s7
	v_mov_b32_e32 v33, 0
	ds_read_b128 v[33:36], v33 offset:192
	s_waitcnt lgkmcnt(0)
	v_mul_f64 v[37:38], v[3:4], v[35:36]
	v_mul_f64 v[35:36], v[5:6], v[35:36]
	v_fma_f64 v[5:6], v[5:6], v[33:34], -v[37:38]
	v_fma_f64 v[3:4], v[3:4], v[33:34], v[35:36]
	buffer_store_dword v6, off, s[0:3], 0 offset:196
	buffer_store_dword v5, off, s[0:3], 0 offset:192
	;; [unrolled: 1-line block ×4, first 2 shown]
.LBB12_63:
	s_or_b32 exec_lo, exec_lo, s6
	s_mov_b32 s7, -1
	s_waitcnt_vscnt null, 0x0
	s_barrier
	buffer_gl0_inv
.LBB12_64:
	s_and_b32 vcc_lo, exec_lo, s7
	s_cbranch_vccz .LBB12_66
; %bb.65:
	s_lshl_b64 s[6:7], s[8:9], 2
	v_mov_b32_e32 v3, 0
	s_add_u32 s6, s14, s6
	s_addc_u32 s7, s15, s7
	global_load_dword v3, v3, s[6:7]
	s_waitcnt vmcnt(0)
	v_cmp_ne_u32_e32 vcc_lo, 0, v3
	s_cbranch_vccz .LBB12_67
.LBB12_66:
	s_endpgm
.LBB12_67:
	v_lshl_add_u32 v3, v0, 4, 0xd0
	s_mov_b32 s6, exec_lo
	v_cmpx_eq_u32_e32 12, v0
	s_cbranch_execz .LBB12_69
; %bb.68:
	v_mov_b32_e32 v4, s13
	s_clause 0x3
	buffer_load_dword v33, v4, s[0:3], 0 offen
	buffer_load_dword v34, v4, s[0:3], 0 offen offset:4
	buffer_load_dword v35, v4, s[0:3], 0 offen offset:8
	;; [unrolled: 1-line block ×3, first 2 shown]
	v_mov_b32_e32 v4, 0
	buffer_store_dword v4, off, s[0:3], 0 offset:176
	buffer_store_dword v4, off, s[0:3], 0 offset:180
	;; [unrolled: 1-line block ×4, first 2 shown]
	s_waitcnt vmcnt(0)
	ds_write_b128 v3, v[33:36]
.LBB12_69:
	s_or_b32 exec_lo, exec_lo, s6
	s_waitcnt lgkmcnt(0)
	s_waitcnt_vscnt null, 0x0
	s_barrier
	buffer_gl0_inv
	s_clause 0x7
	buffer_load_dword v5, off, s[0:3], 0 offset:200
	buffer_load_dword v6, off, s[0:3], 0 offset:204
	buffer_load_dword v37, off, s[0:3], 0 offset:192
	buffer_load_dword v38, off, s[0:3], 0 offset:196
	buffer_load_dword v39, off, s[0:3], 0 offset:176
	buffer_load_dword v40, off, s[0:3], 0 offset:180
	buffer_load_dword v41, off, s[0:3], 0 offset:184
	buffer_load_dword v42, off, s[0:3], 0 offset:188
	v_mov_b32_e32 v4, 0
	s_mov_b32 s6, exec_lo
	ds_read_b128 v[33:36], v4 offset:400
	s_waitcnt vmcnt(6) lgkmcnt(0)
	v_mul_f64 v[43:44], v[35:36], v[5:6]
	v_mul_f64 v[5:6], v[33:34], v[5:6]
	s_waitcnt vmcnt(4)
	v_fma_f64 v[33:34], v[33:34], v[37:38], -v[43:44]
	v_fma_f64 v[5:6], v[35:36], v[37:38], v[5:6]
	v_add_f64 v[33:34], v[33:34], 0
	v_add_f64 v[5:6], v[5:6], 0
	s_waitcnt vmcnt(2)
	v_add_f64 v[33:34], v[39:40], -v[33:34]
	s_waitcnt vmcnt(0)
	v_add_f64 v[5:6], v[41:42], -v[5:6]
	buffer_store_dword v33, off, s[0:3], 0 offset:176
	buffer_store_dword v34, off, s[0:3], 0 offset:180
	;; [unrolled: 1-line block ×4, first 2 shown]
	v_cmpx_lt_u32_e32 10, v0
	s_cbranch_execz .LBB12_71
; %bb.70:
	v_mov_b32_e32 v5, s16
	s_clause 0x3
	buffer_load_dword v33, v5, s[0:3], 0 offen
	buffer_load_dword v34, v5, s[0:3], 0 offen offset:4
	buffer_load_dword v35, v5, s[0:3], 0 offen offset:8
	;; [unrolled: 1-line block ×3, first 2 shown]
	buffer_store_dword v4, off, s[0:3], 0 offset:160
	buffer_store_dword v4, off, s[0:3], 0 offset:164
	;; [unrolled: 1-line block ×4, first 2 shown]
	s_waitcnt vmcnt(0)
	ds_write_b128 v3, v[33:36]
.LBB12_71:
	s_or_b32 exec_lo, exec_lo, s6
	s_waitcnt lgkmcnt(0)
	s_waitcnt_vscnt null, 0x0
	s_barrier
	buffer_gl0_inv
	s_clause 0xb
	buffer_load_dword v5, off, s[0:3], 0 offset:184
	buffer_load_dword v6, off, s[0:3], 0 offset:188
	;; [unrolled: 1-line block ×12, first 2 shown]
	ds_read_b128 v[33:36], v4 offset:384
	ds_read_b128 v[37:40], v4 offset:400
	s_mov_b32 s6, exec_lo
	s_waitcnt vmcnt(10) lgkmcnt(1)
	v_mul_f64 v[51:52], v[35:36], v[5:6]
	v_mul_f64 v[4:5], v[33:34], v[5:6]
	s_waitcnt vmcnt(8) lgkmcnt(0)
	v_mul_f64 v[53:54], v[39:40], v[41:42]
	v_mul_f64 v[41:42], v[37:38], v[41:42]
	s_waitcnt vmcnt(6)
	v_fma_f64 v[33:34], v[33:34], v[43:44], -v[51:52]
	v_fma_f64 v[4:5], v[35:36], v[43:44], v[4:5]
	s_waitcnt vmcnt(4)
	v_fma_f64 v[35:36], v[37:38], v[45:46], -v[53:54]
	v_fma_f64 v[37:38], v[39:40], v[45:46], v[41:42]
	v_add_f64 v[33:34], v[33:34], 0
	v_add_f64 v[4:5], v[4:5], 0
	;; [unrolled: 1-line block ×4, first 2 shown]
	s_waitcnt vmcnt(2)
	v_add_f64 v[33:34], v[47:48], -v[33:34]
	s_waitcnt vmcnt(0)
	v_add_f64 v[4:5], v[49:50], -v[4:5]
	buffer_store_dword v33, off, s[0:3], 0 offset:160
	buffer_store_dword v34, off, s[0:3], 0 offset:164
	;; [unrolled: 1-line block ×4, first 2 shown]
	v_cmpx_lt_u32_e32 9, v0
	s_cbranch_execz .LBB12_73
; %bb.72:
	v_mov_b32_e32 v4, s17
	s_clause 0x3
	buffer_load_dword v33, v4, s[0:3], 0 offen
	buffer_load_dword v34, v4, s[0:3], 0 offen offset:4
	buffer_load_dword v35, v4, s[0:3], 0 offen offset:8
	;; [unrolled: 1-line block ×3, first 2 shown]
	v_mov_b32_e32 v4, 0
	buffer_store_dword v4, off, s[0:3], 0 offset:144
	buffer_store_dword v4, off, s[0:3], 0 offset:148
	;; [unrolled: 1-line block ×4, first 2 shown]
	s_waitcnt vmcnt(0)
	ds_write_b128 v3, v[33:36]
.LBB12_73:
	s_or_b32 exec_lo, exec_lo, s6
	s_waitcnt lgkmcnt(0)
	s_waitcnt_vscnt null, 0x0
	s_barrier
	buffer_gl0_inv
	s_clause 0xf
	buffer_load_dword v5, off, s[0:3], 0 offset:168
	buffer_load_dword v6, off, s[0:3], 0 offset:172
	;; [unrolled: 1-line block ×16, first 2 shown]
	v_mov_b32_e32 v4, 0
	ds_read_b128 v[33:36], v4 offset:368
	ds_read_b128 v[37:40], v4 offset:384
	;; [unrolled: 1-line block ×3, first 2 shown]
	s_mov_b32 s6, exec_lo
	s_waitcnt vmcnt(14) lgkmcnt(2)
	v_mul_f64 v[59:60], v[35:36], v[5:6]
	v_mul_f64 v[5:6], v[33:34], v[5:6]
	s_waitcnt vmcnt(12) lgkmcnt(1)
	v_mul_f64 v[61:62], v[39:40], v[45:46]
	v_mul_f64 v[45:46], v[37:38], v[45:46]
	s_waitcnt vmcnt(10)
	v_fma_f64 v[33:34], v[33:34], v[47:48], -v[59:60]
	v_fma_f64 v[5:6], v[35:36], v[47:48], v[5:6]
	s_waitcnt vmcnt(8) lgkmcnt(0)
	v_mul_f64 v[47:48], v[43:44], v[49:50]
	s_waitcnt vmcnt(6)
	v_fma_f64 v[37:38], v[37:38], v[51:52], -v[61:62]
	v_mul_f64 v[35:36], v[41:42], v[49:50]
	v_fma_f64 v[39:40], v[39:40], v[51:52], v[45:46]
	v_add_f64 v[33:34], v[33:34], 0
	v_add_f64 v[5:6], v[5:6], 0
	s_waitcnt vmcnt(4)
	v_fma_f64 v[41:42], v[41:42], v[53:54], -v[47:48]
	v_fma_f64 v[35:36], v[43:44], v[53:54], v[35:36]
	v_add_f64 v[33:34], v[33:34], v[37:38]
	v_add_f64 v[5:6], v[5:6], v[39:40]
	;; [unrolled: 1-line block ×4, first 2 shown]
	s_waitcnt vmcnt(2)
	v_add_f64 v[33:34], v[55:56], -v[33:34]
	s_waitcnt vmcnt(0)
	v_add_f64 v[5:6], v[57:58], -v[5:6]
	buffer_store_dword v33, off, s[0:3], 0 offset:144
	buffer_store_dword v34, off, s[0:3], 0 offset:148
	;; [unrolled: 1-line block ×4, first 2 shown]
	v_cmpx_lt_u32_e32 8, v0
	s_cbranch_execz .LBB12_75
; %bb.74:
	v_mov_b32_e32 v5, s18
	s_clause 0x3
	buffer_load_dword v33, v5, s[0:3], 0 offen
	buffer_load_dword v34, v5, s[0:3], 0 offen offset:4
	buffer_load_dword v35, v5, s[0:3], 0 offen offset:8
	;; [unrolled: 1-line block ×3, first 2 shown]
	buffer_store_dword v4, off, s[0:3], 0 offset:128
	buffer_store_dword v4, off, s[0:3], 0 offset:132
	;; [unrolled: 1-line block ×4, first 2 shown]
	s_waitcnt vmcnt(0)
	ds_write_b128 v3, v[33:36]
.LBB12_75:
	s_or_b32 exec_lo, exec_lo, s6
	s_waitcnt lgkmcnt(0)
	s_waitcnt_vscnt null, 0x0
	s_barrier
	buffer_gl0_inv
	s_clause 0x13
	buffer_load_dword v5, off, s[0:3], 0 offset:152
	buffer_load_dword v6, off, s[0:3], 0 offset:156
	;; [unrolled: 1-line block ×20, first 2 shown]
	ds_read_b128 v[33:36], v4 offset:352
	ds_read_b128 v[37:40], v4 offset:368
	;; [unrolled: 1-line block ×3, first 2 shown]
	s_mov_b32 s6, exec_lo
	s_waitcnt vmcnt(18) lgkmcnt(2)
	v_mul_f64 v[63:64], v[35:36], v[5:6]
	v_mul_f64 v[5:6], v[33:34], v[5:6]
	s_waitcnt vmcnt(16) lgkmcnt(1)
	v_mul_f64 v[65:66], v[39:40], v[45:46]
	v_mul_f64 v[45:46], v[37:38], v[45:46]
	s_waitcnt vmcnt(14)
	v_fma_f64 v[63:64], v[33:34], v[47:48], -v[63:64]
	v_fma_f64 v[5:6], v[35:36], v[47:48], v[5:6]
	ds_read_b128 v[33:36], v4 offset:400
	s_waitcnt vmcnt(12) lgkmcnt(1)
	v_mul_f64 v[47:48], v[41:42], v[49:50]
	v_mul_f64 v[49:50], v[43:44], v[49:50]
	s_waitcnt vmcnt(10)
	v_fma_f64 v[37:38], v[37:38], v[51:52], -v[65:66]
	v_fma_f64 v[39:40], v[39:40], v[51:52], v[45:46]
	s_waitcnt vmcnt(8) lgkmcnt(0)
	v_mul_f64 v[51:52], v[35:36], v[53:54]
	v_add_f64 v[63:64], v[63:64], 0
	v_add_f64 v[4:5], v[5:6], 0
	v_mul_f64 v[45:46], v[33:34], v[53:54]
	s_waitcnt vmcnt(6)
	v_fma_f64 v[41:42], v[41:42], v[55:56], -v[49:50]
	v_fma_f64 v[43:44], v[43:44], v[55:56], v[47:48]
	s_waitcnt vmcnt(4)
	v_fma_f64 v[33:34], v[33:34], v[57:58], -v[51:52]
	v_add_f64 v[37:38], v[63:64], v[37:38]
	v_add_f64 v[4:5], v[4:5], v[39:40]
	v_fma_f64 v[35:36], v[35:36], v[57:58], v[45:46]
	v_add_f64 v[37:38], v[37:38], v[41:42]
	v_add_f64 v[4:5], v[4:5], v[43:44]
	;; [unrolled: 1-line block ×4, first 2 shown]
	s_waitcnt vmcnt(2)
	v_add_f64 v[33:34], v[59:60], -v[33:34]
	s_waitcnt vmcnt(0)
	v_add_f64 v[4:5], v[61:62], -v[4:5]
	buffer_store_dword v33, off, s[0:3], 0 offset:128
	buffer_store_dword v34, off, s[0:3], 0 offset:132
	buffer_store_dword v4, off, s[0:3], 0 offset:136
	buffer_store_dword v5, off, s[0:3], 0 offset:140
	v_cmpx_lt_u32_e32 7, v0
	s_cbranch_execz .LBB12_77
; %bb.76:
	v_mov_b32_e32 v4, s19
	s_clause 0x3
	buffer_load_dword v33, v4, s[0:3], 0 offen
	buffer_load_dword v34, v4, s[0:3], 0 offen offset:4
	buffer_load_dword v35, v4, s[0:3], 0 offen offset:8
	;; [unrolled: 1-line block ×3, first 2 shown]
	v_mov_b32_e32 v4, 0
	buffer_store_dword v4, off, s[0:3], 0 offset:112
	buffer_store_dword v4, off, s[0:3], 0 offset:116
	;; [unrolled: 1-line block ×4, first 2 shown]
	s_waitcnt vmcnt(0)
	ds_write_b128 v3, v[33:36]
.LBB12_77:
	s_or_b32 exec_lo, exec_lo, s6
	s_waitcnt lgkmcnt(0)
	s_waitcnt_vscnt null, 0x0
	s_barrier
	buffer_gl0_inv
	s_clause 0x17
	buffer_load_dword v5, off, s[0:3], 0 offset:136
	buffer_load_dword v6, off, s[0:3], 0 offset:140
	;; [unrolled: 1-line block ×24, first 2 shown]
	v_mov_b32_e32 v4, 0
	ds_read_b128 v[33:36], v4 offset:336
	ds_read_b128 v[37:40], v4 offset:352
	;; [unrolled: 1-line block ×3, first 2 shown]
	s_mov_b32 s6, exec_lo
	s_waitcnt vmcnt(22) lgkmcnt(2)
	v_mul_f64 v[67:68], v[35:36], v[5:6]
	v_mul_f64 v[5:6], v[33:34], v[5:6]
	s_waitcnt vmcnt(20) lgkmcnt(1)
	v_mul_f64 v[69:70], v[39:40], v[45:46]
	v_mul_f64 v[45:46], v[37:38], v[45:46]
	s_waitcnt vmcnt(18)
	v_fma_f64 v[67:68], v[33:34], v[47:48], -v[67:68]
	v_fma_f64 v[5:6], v[35:36], v[47:48], v[5:6]
	ds_read_b128 v[33:36], v4 offset:384
	s_waitcnt vmcnt(16) lgkmcnt(1)
	v_mul_f64 v[47:48], v[41:42], v[49:50]
	v_mul_f64 v[49:50], v[43:44], v[49:50]
	s_waitcnt vmcnt(14)
	v_fma_f64 v[69:70], v[37:38], v[51:52], -v[69:70]
	v_fma_f64 v[45:46], v[39:40], v[51:52], v[45:46]
	ds_read_b128 v[37:40], v4 offset:400
	s_waitcnt vmcnt(10) lgkmcnt(1)
	v_mul_f64 v[51:52], v[33:34], v[53:54]
	v_add_f64 v[67:68], v[67:68], 0
	v_add_f64 v[5:6], v[5:6], 0
	v_mul_f64 v[53:54], v[35:36], v[53:54]
	s_waitcnt vmcnt(8)
	v_fma_f64 v[41:42], v[41:42], v[59:60], -v[49:50]
	v_fma_f64 v[43:44], v[43:44], v[59:60], v[47:48]
	s_waitcnt vmcnt(7) lgkmcnt(0)
	v_mul_f64 v[47:48], v[39:40], v[55:56]
	s_waitcnt vmcnt(5)
	v_fma_f64 v[35:36], v[35:36], v[61:62], v[51:52]
	v_add_f64 v[49:50], v[67:68], v[69:70]
	v_add_f64 v[5:6], v[5:6], v[45:46]
	v_fma_f64 v[33:34], v[33:34], v[61:62], -v[53:54]
	v_mul_f64 v[45:46], v[37:38], v[55:56]
	s_waitcnt vmcnt(4)
	v_fma_f64 v[37:38], v[37:38], v[57:58], -v[47:48]
	v_add_f64 v[41:42], v[49:50], v[41:42]
	v_add_f64 v[5:6], v[5:6], v[43:44]
	v_fma_f64 v[39:40], v[39:40], v[57:58], v[45:46]
	v_add_f64 v[33:34], v[41:42], v[33:34]
	v_add_f64 v[5:6], v[5:6], v[35:36]
	;; [unrolled: 1-line block ×4, first 2 shown]
	s_waitcnt vmcnt(2)
	v_add_f64 v[33:34], v[63:64], -v[33:34]
	s_waitcnt vmcnt(0)
	v_add_f64 v[5:6], v[65:66], -v[5:6]
	buffer_store_dword v34, off, s[0:3], 0 offset:116
	buffer_store_dword v33, off, s[0:3], 0 offset:112
	;; [unrolled: 1-line block ×4, first 2 shown]
	v_cmpx_lt_u32_e32 6, v0
	s_cbranch_execz .LBB12_79
; %bb.78:
	v_mov_b32_e32 v5, s20
	s_clause 0x3
	buffer_load_dword v33, v5, s[0:3], 0 offen
	buffer_load_dword v34, v5, s[0:3], 0 offen offset:4
	buffer_load_dword v35, v5, s[0:3], 0 offen offset:8
	buffer_load_dword v36, v5, s[0:3], 0 offen offset:12
	buffer_store_dword v4, off, s[0:3], 0 offset:96
	buffer_store_dword v4, off, s[0:3], 0 offset:100
	;; [unrolled: 1-line block ×4, first 2 shown]
	s_waitcnt vmcnt(0)
	ds_write_b128 v3, v[33:36]
.LBB12_79:
	s_or_b32 exec_lo, exec_lo, s6
	s_waitcnt lgkmcnt(0)
	s_waitcnt_vscnt null, 0x0
	s_barrier
	buffer_gl0_inv
	s_clause 0x1b
	buffer_load_dword v5, off, s[0:3], 0 offset:120
	buffer_load_dword v6, off, s[0:3], 0 offset:124
	;; [unrolled: 1-line block ×28, first 2 shown]
	ds_read_b128 v[33:36], v4 offset:320
	ds_read_b128 v[37:40], v4 offset:336
	;; [unrolled: 1-line block ×3, first 2 shown]
	s_mov_b32 s6, exec_lo
	s_waitcnt vmcnt(26) lgkmcnt(2)
	v_mul_f64 v[71:72], v[35:36], v[5:6]
	v_mul_f64 v[5:6], v[33:34], v[5:6]
	s_waitcnt vmcnt(24) lgkmcnt(1)
	v_mul_f64 v[73:74], v[39:40], v[45:46]
	v_mul_f64 v[45:46], v[37:38], v[45:46]
	s_waitcnt vmcnt(22)
	v_fma_f64 v[71:72], v[33:34], v[47:48], -v[71:72]
	v_fma_f64 v[5:6], v[35:36], v[47:48], v[5:6]
	ds_read_b128 v[33:36], v4 offset:368
	s_waitcnt vmcnt(20) lgkmcnt(1)
	v_mul_f64 v[47:48], v[41:42], v[49:50]
	v_mul_f64 v[49:50], v[43:44], v[49:50]
	s_waitcnt vmcnt(18)
	v_fma_f64 v[73:74], v[37:38], v[51:52], -v[73:74]
	v_fma_f64 v[45:46], v[39:40], v[51:52], v[45:46]
	ds_read_b128 v[37:40], v4 offset:384
	s_waitcnt vmcnt(14) lgkmcnt(1)
	v_mul_f64 v[51:52], v[33:34], v[53:54]
	v_add_f64 v[71:72], v[71:72], 0
	v_add_f64 v[5:6], v[5:6], 0
	v_mul_f64 v[53:54], v[35:36], v[53:54]
	s_waitcnt vmcnt(12)
	v_fma_f64 v[49:50], v[41:42], v[59:60], -v[49:50]
	v_fma_f64 v[47:48], v[43:44], v[59:60], v[47:48]
	ds_read_b128 v[41:44], v4 offset:400
	s_waitcnt vmcnt(9)
	v_fma_f64 v[35:36], v[35:36], v[61:62], v[51:52]
	v_add_f64 v[71:72], v[71:72], v[73:74]
	v_add_f64 v[5:6], v[5:6], v[45:46]
	s_waitcnt lgkmcnt(1)
	v_mul_f64 v[45:46], v[37:38], v[55:56]
	v_mul_f64 v[55:56], v[39:40], v[55:56]
	v_fma_f64 v[33:34], v[33:34], v[61:62], -v[53:54]
	s_waitcnt vmcnt(7) lgkmcnt(0)
	v_mul_f64 v[51:52], v[43:44], v[63:64]
	v_add_f64 v[49:50], v[71:72], v[49:50]
	v_add_f64 v[4:5], v[5:6], v[47:48]
	v_mul_f64 v[47:48], v[41:42], v[63:64]
	s_waitcnt vmcnt(6)
	v_fma_f64 v[37:38], v[37:38], v[57:58], -v[55:56]
	v_fma_f64 v[39:40], v[39:40], v[57:58], v[45:46]
	v_add_f64 v[33:34], v[49:50], v[33:34]
	v_add_f64 v[4:5], v[4:5], v[35:36]
	s_waitcnt vmcnt(4)
	v_fma_f64 v[35:36], v[41:42], v[65:66], -v[51:52]
	v_add_f64 v[33:34], v[33:34], v[37:38]
	v_fma_f64 v[37:38], v[43:44], v[65:66], v[47:48]
	v_add_f64 v[4:5], v[4:5], v[39:40]
	v_add_f64 v[33:34], v[33:34], v[35:36]
	v_add_f64 v[4:5], v[4:5], v[37:38]
	s_waitcnt vmcnt(2)
	v_add_f64 v[33:34], v[67:68], -v[33:34]
	s_waitcnt vmcnt(0)
	v_add_f64 v[4:5], v[69:70], -v[4:5]
	buffer_store_dword v34, off, s[0:3], 0 offset:100
	buffer_store_dword v33, off, s[0:3], 0 offset:96
	;; [unrolled: 1-line block ×4, first 2 shown]
	v_cmpx_lt_u32_e32 5, v0
	s_cbranch_execz .LBB12_81
; %bb.80:
	v_mov_b32_e32 v4, s21
	s_clause 0x3
	buffer_load_dword v33, v4, s[0:3], 0 offen
	buffer_load_dword v34, v4, s[0:3], 0 offen offset:4
	buffer_load_dword v35, v4, s[0:3], 0 offen offset:8
	;; [unrolled: 1-line block ×3, first 2 shown]
	v_mov_b32_e32 v4, 0
	buffer_store_dword v4, off, s[0:3], 0 offset:80
	buffer_store_dword v4, off, s[0:3], 0 offset:84
	;; [unrolled: 1-line block ×4, first 2 shown]
	s_waitcnt vmcnt(0)
	ds_write_b128 v3, v[33:36]
.LBB12_81:
	s_or_b32 exec_lo, exec_lo, s6
	s_waitcnt lgkmcnt(0)
	s_waitcnt_vscnt null, 0x0
	s_barrier
	buffer_gl0_inv
	s_clause 0x1f
	buffer_load_dword v5, off, s[0:3], 0 offset:104
	buffer_load_dword v6, off, s[0:3], 0 offset:108
	buffer_load_dword v45, off, s[0:3], 0 offset:120
	buffer_load_dword v46, off, s[0:3], 0 offset:124
	buffer_load_dword v47, off, s[0:3], 0 offset:96
	buffer_load_dword v48, off, s[0:3], 0 offset:100
	buffer_load_dword v49, off, s[0:3], 0 offset:136
	buffer_load_dword v50, off, s[0:3], 0 offset:140
	buffer_load_dword v51, off, s[0:3], 0 offset:112
	buffer_load_dword v52, off, s[0:3], 0 offset:116
	buffer_load_dword v54, off, s[0:3], 0 offset:156
	buffer_load_dword v55, off, s[0:3], 0 offset:168
	buffer_load_dword v57, off, s[0:3], 0 offset:160
	buffer_load_dword v53, off, s[0:3], 0 offset:152
	buffer_load_dword v59, off, s[0:3], 0 offset:128
	buffer_load_dword v60, off, s[0:3], 0 offset:132
	buffer_load_dword v56, off, s[0:3], 0 offset:172
	buffer_load_dword v62, off, s[0:3], 0 offset:148
	buffer_load_dword v61, off, s[0:3], 0 offset:144
	buffer_load_dword v64, off, s[0:3], 0 offset:188
	buffer_load_dword v65, off, s[0:3], 0 offset:200
	buffer_load_dword v67, off, s[0:3], 0 offset:192
	buffer_load_dword v63, off, s[0:3], 0 offset:184
	buffer_load_dword v58, off, s[0:3], 0 offset:164
	buffer_load_dword v66, off, s[0:3], 0 offset:204
	buffer_load_dword v70, off, s[0:3], 0 offset:180
	buffer_load_dword v69, off, s[0:3], 0 offset:176
	buffer_load_dword v68, off, s[0:3], 0 offset:196
	buffer_load_dword v71, off, s[0:3], 0 offset:80
	buffer_load_dword v72, off, s[0:3], 0 offset:84
	buffer_load_dword v73, off, s[0:3], 0 offset:88
	buffer_load_dword v74, off, s[0:3], 0 offset:92
	v_mov_b32_e32 v4, 0
	ds_read_b128 v[33:36], v4 offset:304
	ds_read_b128 v[37:40], v4 offset:320
	;; [unrolled: 1-line block ×3, first 2 shown]
	s_mov_b32 s6, exec_lo
	s_waitcnt vmcnt(30) lgkmcnt(2)
	v_mul_f64 v[75:76], v[35:36], v[5:6]
	v_mul_f64 v[5:6], v[33:34], v[5:6]
	s_waitcnt vmcnt(28) lgkmcnt(1)
	v_mul_f64 v[77:78], v[39:40], v[45:46]
	v_mul_f64 v[45:46], v[37:38], v[45:46]
	s_waitcnt vmcnt(26)
	v_fma_f64 v[75:76], v[33:34], v[47:48], -v[75:76]
	v_fma_f64 v[5:6], v[35:36], v[47:48], v[5:6]
	ds_read_b128 v[33:36], v4 offset:352
	s_waitcnt vmcnt(24) lgkmcnt(1)
	v_mul_f64 v[47:48], v[41:42], v[49:50]
	v_mul_f64 v[49:50], v[43:44], v[49:50]
	s_waitcnt vmcnt(22)
	v_fma_f64 v[77:78], v[37:38], v[51:52], -v[77:78]
	v_fma_f64 v[45:46], v[39:40], v[51:52], v[45:46]
	ds_read_b128 v[37:40], v4 offset:368
	s_waitcnt vmcnt(18) lgkmcnt(1)
	v_mul_f64 v[51:52], v[33:34], v[53:54]
	v_add_f64 v[75:76], v[75:76], 0
	v_add_f64 v[5:6], v[5:6], 0
	v_mul_f64 v[53:54], v[35:36], v[53:54]
	s_waitcnt vmcnt(16)
	v_fma_f64 v[49:50], v[41:42], v[59:60], -v[49:50]
	v_fma_f64 v[47:48], v[43:44], v[59:60], v[47:48]
	ds_read_b128 v[41:44], v4 offset:384
	s_waitcnt vmcnt(13)
	v_fma_f64 v[51:52], v[35:36], v[61:62], v[51:52]
	v_add_f64 v[75:76], v[75:76], v[77:78]
	v_add_f64 v[5:6], v[5:6], v[45:46]
	s_waitcnt lgkmcnt(1)
	v_mul_f64 v[45:46], v[37:38], v[55:56]
	v_mul_f64 v[55:56], v[39:40], v[55:56]
	v_fma_f64 v[53:54], v[33:34], v[61:62], -v[53:54]
	s_waitcnt vmcnt(9) lgkmcnt(0)
	v_mul_f64 v[59:60], v[43:44], v[63:64]
	ds_read_b128 v[33:36], v4 offset:400
	v_add_f64 v[49:50], v[75:76], v[49:50]
	v_add_f64 v[5:6], v[5:6], v[47:48]
	v_mul_f64 v[47:48], v[41:42], v[63:64]
	s_waitcnt vmcnt(8)
	v_fma_f64 v[37:38], v[37:38], v[57:58], -v[55:56]
	v_fma_f64 v[39:40], v[39:40], v[57:58], v[45:46]
	s_waitcnt vmcnt(5)
	v_fma_f64 v[41:42], v[41:42], v[69:70], -v[59:60]
	s_waitcnt lgkmcnt(0)
	v_mul_f64 v[45:46], v[33:34], v[65:66]
	v_add_f64 v[49:50], v[49:50], v[53:54]
	v_add_f64 v[5:6], v[5:6], v[51:52]
	v_mul_f64 v[51:52], v[35:36], v[65:66]
	v_fma_f64 v[43:44], v[43:44], v[69:70], v[47:48]
	s_waitcnt vmcnt(4)
	v_fma_f64 v[35:36], v[35:36], v[67:68], v[45:46]
	v_add_f64 v[37:38], v[49:50], v[37:38]
	v_add_f64 v[5:6], v[5:6], v[39:40]
	v_fma_f64 v[33:34], v[33:34], v[67:68], -v[51:52]
	v_add_f64 v[37:38], v[37:38], v[41:42]
	v_add_f64 v[5:6], v[5:6], v[43:44]
	;; [unrolled: 1-line block ×4, first 2 shown]
	s_waitcnt vmcnt(2)
	v_add_f64 v[33:34], v[71:72], -v[33:34]
	s_waitcnt vmcnt(0)
	v_add_f64 v[5:6], v[73:74], -v[5:6]
	buffer_store_dword v34, off, s[0:3], 0 offset:84
	buffer_store_dword v33, off, s[0:3], 0 offset:80
	;; [unrolled: 1-line block ×4, first 2 shown]
	v_cmpx_lt_u32_e32 4, v0
	s_cbranch_execz .LBB12_83
; %bb.82:
	v_mov_b32_e32 v5, s22
	s_clause 0x3
	buffer_load_dword v33, v5, s[0:3], 0 offen
	buffer_load_dword v34, v5, s[0:3], 0 offen offset:4
	buffer_load_dword v35, v5, s[0:3], 0 offen offset:8
	;; [unrolled: 1-line block ×3, first 2 shown]
	buffer_store_dword v4, off, s[0:3], 0 offset:64
	buffer_store_dword v4, off, s[0:3], 0 offset:68
	;; [unrolled: 1-line block ×4, first 2 shown]
	s_waitcnt vmcnt(0)
	ds_write_b128 v3, v[33:36]
.LBB12_83:
	s_or_b32 exec_lo, exec_lo, s6
	s_waitcnt lgkmcnt(0)
	s_waitcnt_vscnt null, 0x0
	s_barrier
	buffer_gl0_inv
	s_clause 0x23
	buffer_load_dword v5, off, s[0:3], 0 offset:88
	buffer_load_dword v6, off, s[0:3], 0 offset:92
	;; [unrolled: 1-line block ×36, first 2 shown]
	ds_read_b128 v[33:36], v4 offset:288
	ds_read_b128 v[37:40], v4 offset:304
	;; [unrolled: 1-line block ×3, first 2 shown]
	s_mov_b32 s6, exec_lo
	s_waitcnt vmcnt(34) lgkmcnt(2)
	v_mul_f64 v[79:80], v[35:36], v[5:6]
	v_mul_f64 v[5:6], v[33:34], v[5:6]
	s_waitcnt vmcnt(32) lgkmcnt(1)
	v_mul_f64 v[81:82], v[39:40], v[45:46]
	v_mul_f64 v[45:46], v[37:38], v[45:46]
	s_waitcnt vmcnt(30)
	v_fma_f64 v[79:80], v[33:34], v[47:48], -v[79:80]
	v_fma_f64 v[5:6], v[35:36], v[47:48], v[5:6]
	ds_read_b128 v[33:36], v4 offset:336
	s_waitcnt vmcnt(28) lgkmcnt(1)
	v_mul_f64 v[47:48], v[41:42], v[49:50]
	v_mul_f64 v[49:50], v[43:44], v[49:50]
	s_waitcnt vmcnt(26)
	v_fma_f64 v[81:82], v[37:38], v[51:52], -v[81:82]
	v_fma_f64 v[45:46], v[39:40], v[51:52], v[45:46]
	ds_read_b128 v[37:40], v4 offset:352
	s_waitcnt vmcnt(22) lgkmcnt(1)
	v_mul_f64 v[51:52], v[33:34], v[53:54]
	v_add_f64 v[79:80], v[79:80], 0
	v_add_f64 v[5:6], v[5:6], 0
	v_mul_f64 v[53:54], v[35:36], v[53:54]
	s_waitcnt vmcnt(20)
	v_fma_f64 v[49:50], v[41:42], v[59:60], -v[49:50]
	v_fma_f64 v[47:48], v[43:44], v[59:60], v[47:48]
	ds_read_b128 v[41:44], v4 offset:368
	s_waitcnt vmcnt(17)
	v_fma_f64 v[51:52], v[35:36], v[61:62], v[51:52]
	v_add_f64 v[79:80], v[79:80], v[81:82]
	v_add_f64 v[5:6], v[5:6], v[45:46]
	s_waitcnt lgkmcnt(1)
	v_mul_f64 v[45:46], v[37:38], v[55:56]
	v_mul_f64 v[55:56], v[39:40], v[55:56]
	v_fma_f64 v[53:54], v[33:34], v[61:62], -v[53:54]
	s_waitcnt vmcnt(13) lgkmcnt(0)
	v_mul_f64 v[59:60], v[43:44], v[63:64]
	ds_read_b128 v[33:36], v4 offset:384
	v_add_f64 v[49:50], v[79:80], v[49:50]
	v_add_f64 v[5:6], v[5:6], v[47:48]
	v_mul_f64 v[47:48], v[41:42], v[63:64]
	s_waitcnt vmcnt(12)
	v_fma_f64 v[55:56], v[37:38], v[57:58], -v[55:56]
	v_fma_f64 v[45:46], v[39:40], v[57:58], v[45:46]
	ds_read_b128 v[37:40], v4 offset:400
	s_waitcnt vmcnt(9)
	v_fma_f64 v[41:42], v[41:42], v[69:70], -v[59:60]
	v_add_f64 v[49:50], v[49:50], v[53:54]
	v_add_f64 v[5:6], v[5:6], v[51:52]
	s_waitcnt lgkmcnt(1)
	v_mul_f64 v[53:54], v[35:36], v[65:66]
	v_mul_f64 v[51:52], v[33:34], v[65:66]
	v_fma_f64 v[43:44], v[43:44], v[69:70], v[47:48]
	s_waitcnt vmcnt(7) lgkmcnt(0)
	v_mul_f64 v[47:48], v[39:40], v[71:72]
	v_add_f64 v[49:50], v[49:50], v[55:56]
	v_add_f64 v[4:5], v[5:6], v[45:46]
	s_waitcnt vmcnt(6)
	v_fma_f64 v[33:34], v[33:34], v[67:68], -v[53:54]
	v_mul_f64 v[45:46], v[37:38], v[71:72]
	v_fma_f64 v[35:36], v[35:36], v[67:68], v[51:52]
	s_waitcnt vmcnt(4)
	v_fma_f64 v[37:38], v[37:38], v[73:74], -v[47:48]
	v_add_f64 v[41:42], v[49:50], v[41:42]
	v_add_f64 v[4:5], v[4:5], v[43:44]
	v_fma_f64 v[39:40], v[39:40], v[73:74], v[45:46]
	v_add_f64 v[33:34], v[41:42], v[33:34]
	v_add_f64 v[4:5], v[4:5], v[35:36]
	;; [unrolled: 1-line block ×4, first 2 shown]
	s_waitcnt vmcnt(2)
	v_add_f64 v[33:34], v[75:76], -v[33:34]
	s_waitcnt vmcnt(0)
	v_add_f64 v[4:5], v[77:78], -v[4:5]
	buffer_store_dword v34, off, s[0:3], 0 offset:68
	buffer_store_dword v33, off, s[0:3], 0 offset:64
	;; [unrolled: 1-line block ×4, first 2 shown]
	v_cmpx_lt_u32_e32 3, v0
	s_cbranch_execz .LBB12_85
; %bb.84:
	v_mov_b32_e32 v4, s23
	s_clause 0x3
	buffer_load_dword v33, v4, s[0:3], 0 offen
	buffer_load_dword v34, v4, s[0:3], 0 offen offset:4
	buffer_load_dword v35, v4, s[0:3], 0 offen offset:8
	;; [unrolled: 1-line block ×3, first 2 shown]
	v_mov_b32_e32 v4, 0
	buffer_store_dword v4, off, s[0:3], 0 offset:48
	buffer_store_dword v4, off, s[0:3], 0 offset:52
	;; [unrolled: 1-line block ×4, first 2 shown]
	s_waitcnt vmcnt(0)
	ds_write_b128 v3, v[33:36]
.LBB12_85:
	s_or_b32 exec_lo, exec_lo, s6
	s_waitcnt lgkmcnt(0)
	s_waitcnt_vscnt null, 0x0
	s_barrier
	buffer_gl0_inv
	s_clause 0x27
	buffer_load_dword v5, off, s[0:3], 0 offset:72
	buffer_load_dword v6, off, s[0:3], 0 offset:76
	;; [unrolled: 1-line block ×40, first 2 shown]
	v_mov_b32_e32 v4, 0
	ds_read_b128 v[33:36], v4 offset:272
	ds_read_b128 v[37:40], v4 offset:288
	;; [unrolled: 1-line block ×3, first 2 shown]
	s_mov_b32 s6, exec_lo
	s_waitcnt vmcnt(38) lgkmcnt(2)
	v_mul_f64 v[83:84], v[35:36], v[5:6]
	v_mul_f64 v[5:6], v[33:34], v[5:6]
	s_waitcnt vmcnt(36) lgkmcnt(1)
	v_mul_f64 v[85:86], v[39:40], v[45:46]
	v_mul_f64 v[45:46], v[37:38], v[45:46]
	s_waitcnt vmcnt(34)
	v_fma_f64 v[83:84], v[33:34], v[47:48], -v[83:84]
	v_fma_f64 v[5:6], v[35:36], v[47:48], v[5:6]
	ds_read_b128 v[33:36], v4 offset:320
	s_waitcnt vmcnt(32) lgkmcnt(1)
	v_mul_f64 v[47:48], v[41:42], v[49:50]
	v_mul_f64 v[49:50], v[43:44], v[49:50]
	s_waitcnt vmcnt(30)
	v_fma_f64 v[85:86], v[37:38], v[51:52], -v[85:86]
	v_fma_f64 v[45:46], v[39:40], v[51:52], v[45:46]
	ds_read_b128 v[37:40], v4 offset:336
	s_waitcnt vmcnt(26) lgkmcnt(1)
	v_mul_f64 v[51:52], v[33:34], v[53:54]
	v_add_f64 v[83:84], v[83:84], 0
	v_add_f64 v[5:6], v[5:6], 0
	v_mul_f64 v[53:54], v[35:36], v[53:54]
	s_waitcnt vmcnt(24)
	v_fma_f64 v[49:50], v[41:42], v[59:60], -v[49:50]
	v_fma_f64 v[47:48], v[43:44], v[59:60], v[47:48]
	ds_read_b128 v[41:44], v4 offset:352
	s_waitcnt vmcnt(21)
	v_fma_f64 v[51:52], v[35:36], v[61:62], v[51:52]
	v_add_f64 v[83:84], v[83:84], v[85:86]
	v_add_f64 v[5:6], v[5:6], v[45:46]
	s_waitcnt lgkmcnt(1)
	v_mul_f64 v[45:46], v[37:38], v[55:56]
	v_mul_f64 v[55:56], v[39:40], v[55:56]
	v_fma_f64 v[53:54], v[33:34], v[61:62], -v[53:54]
	s_waitcnt vmcnt(17) lgkmcnt(0)
	v_mul_f64 v[59:60], v[43:44], v[63:64]
	ds_read_b128 v[33:36], v4 offset:368
	v_add_f64 v[49:50], v[83:84], v[49:50]
	v_add_f64 v[5:6], v[5:6], v[47:48]
	v_mul_f64 v[47:48], v[41:42], v[63:64]
	s_waitcnt vmcnt(16)
	v_fma_f64 v[55:56], v[37:38], v[57:58], -v[55:56]
	v_fma_f64 v[45:46], v[39:40], v[57:58], v[45:46]
	ds_read_b128 v[37:40], v4 offset:384
	s_waitcnt vmcnt(13)
	v_fma_f64 v[57:58], v[41:42], v[69:70], -v[59:60]
	v_add_f64 v[49:50], v[49:50], v[53:54]
	v_add_f64 v[5:6], v[5:6], v[51:52]
	s_waitcnt lgkmcnt(1)
	v_mul_f64 v[53:54], v[35:36], v[65:66]
	v_mul_f64 v[51:52], v[33:34], v[65:66]
	v_fma_f64 v[47:48], v[43:44], v[69:70], v[47:48]
	ds_read_b128 v[41:44], v4 offset:400
	v_add_f64 v[49:50], v[49:50], v[55:56]
	v_add_f64 v[5:6], v[5:6], v[45:46]
	s_waitcnt vmcnt(9) lgkmcnt(1)
	v_mul_f64 v[55:56], v[39:40], v[71:72]
	s_waitcnt vmcnt(8)
	v_fma_f64 v[33:34], v[33:34], v[67:68], -v[53:54]
	v_mul_f64 v[45:46], v[37:38], v[71:72]
	v_fma_f64 v[35:36], v[35:36], v[67:68], v[51:52]
	s_waitcnt vmcnt(7) lgkmcnt(0)
	v_mul_f64 v[51:52], v[43:44], v[73:74]
	v_add_f64 v[49:50], v[49:50], v[57:58]
	v_add_f64 v[5:6], v[5:6], v[47:48]
	s_waitcnt vmcnt(5)
	v_fma_f64 v[37:38], v[37:38], v[77:78], -v[55:56]
	v_mul_f64 v[47:48], v[41:42], v[73:74]
	v_fma_f64 v[39:40], v[39:40], v[77:78], v[45:46]
	v_add_f64 v[33:34], v[49:50], v[33:34]
	v_add_f64 v[5:6], v[5:6], v[35:36]
	s_waitcnt vmcnt(4)
	v_fma_f64 v[35:36], v[41:42], v[75:76], -v[51:52]
	v_add_f64 v[33:34], v[33:34], v[37:38]
	v_fma_f64 v[37:38], v[43:44], v[75:76], v[47:48]
	v_add_f64 v[5:6], v[5:6], v[39:40]
	v_add_f64 v[33:34], v[33:34], v[35:36]
	;; [unrolled: 1-line block ×3, first 2 shown]
	s_waitcnt vmcnt(2)
	v_add_f64 v[33:34], v[79:80], -v[33:34]
	s_waitcnt vmcnt(0)
	v_add_f64 v[5:6], v[81:82], -v[5:6]
	buffer_store_dword v34, off, s[0:3], 0 offset:52
	buffer_store_dword v33, off, s[0:3], 0 offset:48
	;; [unrolled: 1-line block ×4, first 2 shown]
	v_cmpx_lt_u32_e32 2, v0
	s_cbranch_execz .LBB12_87
; %bb.86:
	v_mov_b32_e32 v5, s24
	s_clause 0x3
	buffer_load_dword v33, v5, s[0:3], 0 offen
	buffer_load_dword v34, v5, s[0:3], 0 offen offset:4
	buffer_load_dword v35, v5, s[0:3], 0 offen offset:8
	;; [unrolled: 1-line block ×3, first 2 shown]
	buffer_store_dword v4, off, s[0:3], 0 offset:32
	buffer_store_dword v4, off, s[0:3], 0 offset:36
	;; [unrolled: 1-line block ×4, first 2 shown]
	s_waitcnt vmcnt(0)
	ds_write_b128 v3, v[33:36]
.LBB12_87:
	s_or_b32 exec_lo, exec_lo, s6
	s_waitcnt lgkmcnt(0)
	s_waitcnt_vscnt null, 0x0
	s_barrier
	buffer_gl0_inv
	s_clause 0x2b
	buffer_load_dword v5, off, s[0:3], 0 offset:56
	buffer_load_dword v6, off, s[0:3], 0 offset:60
	;; [unrolled: 1-line block ×44, first 2 shown]
	ds_read_b128 v[33:36], v4 offset:256
	ds_read_b128 v[37:40], v4 offset:272
	;; [unrolled: 1-line block ×3, first 2 shown]
	s_mov_b32 s6, exec_lo
	s_waitcnt vmcnt(42) lgkmcnt(2)
	v_mul_f64 v[87:88], v[35:36], v[5:6]
	v_mul_f64 v[5:6], v[33:34], v[5:6]
	s_waitcnt vmcnt(40) lgkmcnt(1)
	v_mul_f64 v[89:90], v[39:40], v[45:46]
	v_mul_f64 v[45:46], v[37:38], v[45:46]
	s_waitcnt vmcnt(38)
	v_fma_f64 v[87:88], v[33:34], v[47:48], -v[87:88]
	v_fma_f64 v[5:6], v[35:36], v[47:48], v[5:6]
	ds_read_b128 v[33:36], v4 offset:304
	s_waitcnt vmcnt(36) lgkmcnt(1)
	v_mul_f64 v[47:48], v[41:42], v[49:50]
	v_mul_f64 v[49:50], v[43:44], v[49:50]
	s_waitcnt vmcnt(34)
	v_fma_f64 v[89:90], v[37:38], v[51:52], -v[89:90]
	v_fma_f64 v[45:46], v[39:40], v[51:52], v[45:46]
	ds_read_b128 v[37:40], v4 offset:320
	s_waitcnt vmcnt(30) lgkmcnt(1)
	v_mul_f64 v[51:52], v[33:34], v[53:54]
	v_add_f64 v[87:88], v[87:88], 0
	v_add_f64 v[5:6], v[5:6], 0
	v_mul_f64 v[53:54], v[35:36], v[53:54]
	s_waitcnt vmcnt(28)
	v_fma_f64 v[49:50], v[41:42], v[59:60], -v[49:50]
	v_fma_f64 v[47:48], v[43:44], v[59:60], v[47:48]
	ds_read_b128 v[41:44], v4 offset:336
	s_waitcnt vmcnt(25)
	v_fma_f64 v[51:52], v[35:36], v[61:62], v[51:52]
	v_add_f64 v[87:88], v[87:88], v[89:90]
	v_add_f64 v[5:6], v[5:6], v[45:46]
	s_waitcnt lgkmcnt(1)
	v_mul_f64 v[45:46], v[37:38], v[55:56]
	v_mul_f64 v[55:56], v[39:40], v[55:56]
	v_fma_f64 v[53:54], v[33:34], v[61:62], -v[53:54]
	s_waitcnt vmcnt(21) lgkmcnt(0)
	v_mul_f64 v[59:60], v[43:44], v[63:64]
	ds_read_b128 v[33:36], v4 offset:352
	v_add_f64 v[49:50], v[87:88], v[49:50]
	v_add_f64 v[5:6], v[5:6], v[47:48]
	v_mul_f64 v[47:48], v[41:42], v[63:64]
	s_waitcnt vmcnt(20)
	v_fma_f64 v[55:56], v[37:38], v[57:58], -v[55:56]
	v_fma_f64 v[45:46], v[39:40], v[57:58], v[45:46]
	ds_read_b128 v[37:40], v4 offset:368
	s_waitcnt vmcnt(17)
	v_fma_f64 v[57:58], v[41:42], v[69:70], -v[59:60]
	v_add_f64 v[49:50], v[49:50], v[53:54]
	v_add_f64 v[5:6], v[5:6], v[51:52]
	s_waitcnt lgkmcnt(1)
	v_mul_f64 v[53:54], v[35:36], v[65:66]
	v_mul_f64 v[51:52], v[33:34], v[65:66]
	v_fma_f64 v[47:48], v[43:44], v[69:70], v[47:48]
	ds_read_b128 v[41:44], v4 offset:384
	v_add_f64 v[49:50], v[49:50], v[55:56]
	v_add_f64 v[5:6], v[5:6], v[45:46]
	s_waitcnt vmcnt(13) lgkmcnt(1)
	v_mul_f64 v[55:56], v[39:40], v[71:72]
	s_waitcnt vmcnt(12)
	v_fma_f64 v[53:54], v[33:34], v[67:68], -v[53:54]
	v_mul_f64 v[45:46], v[37:38], v[71:72]
	v_fma_f64 v[51:52], v[35:36], v[67:68], v[51:52]
	ds_read_b128 v[33:36], v4 offset:400
	v_add_f64 v[49:50], v[49:50], v[57:58]
	v_add_f64 v[5:6], v[5:6], v[47:48]
	s_waitcnt vmcnt(11) lgkmcnt(1)
	v_mul_f64 v[57:58], v[43:44], v[73:74]
	s_waitcnt vmcnt(9)
	v_fma_f64 v[37:38], v[37:38], v[77:78], -v[55:56]
	v_mul_f64 v[47:48], v[41:42], v[73:74]
	v_fma_f64 v[39:40], v[39:40], v[77:78], v[45:46]
	s_waitcnt vmcnt(7) lgkmcnt(0)
	v_mul_f64 v[45:46], v[33:34], v[79:80]
	v_add_f64 v[49:50], v[49:50], v[53:54]
	v_add_f64 v[4:5], v[5:6], v[51:52]
	v_mul_f64 v[51:52], v[35:36], v[79:80]
	s_waitcnt vmcnt(6)
	v_fma_f64 v[41:42], v[41:42], v[75:76], -v[57:58]
	v_fma_f64 v[43:44], v[43:44], v[75:76], v[47:48]
	s_waitcnt vmcnt(4)
	v_fma_f64 v[35:36], v[35:36], v[81:82], v[45:46]
	v_add_f64 v[37:38], v[49:50], v[37:38]
	v_add_f64 v[4:5], v[4:5], v[39:40]
	v_fma_f64 v[33:34], v[33:34], v[81:82], -v[51:52]
	v_add_f64 v[37:38], v[37:38], v[41:42]
	v_add_f64 v[4:5], v[4:5], v[43:44]
	;; [unrolled: 1-line block ×4, first 2 shown]
	s_waitcnt vmcnt(2)
	v_add_f64 v[33:34], v[83:84], -v[33:34]
	s_waitcnt vmcnt(0)
	v_add_f64 v[4:5], v[85:86], -v[4:5]
	buffer_store_dword v34, off, s[0:3], 0 offset:36
	buffer_store_dword v33, off, s[0:3], 0 offset:32
	;; [unrolled: 1-line block ×4, first 2 shown]
	v_cmpx_lt_u32_e32 1, v0
	s_cbranch_execz .LBB12_89
; %bb.88:
	v_mov_b32_e32 v4, s25
	s_clause 0x3
	buffer_load_dword v33, v4, s[0:3], 0 offen
	buffer_load_dword v34, v4, s[0:3], 0 offen offset:4
	buffer_load_dword v35, v4, s[0:3], 0 offen offset:8
	;; [unrolled: 1-line block ×3, first 2 shown]
	v_mov_b32_e32 v4, 0
	buffer_store_dword v4, off, s[0:3], 0 offset:16
	buffer_store_dword v4, off, s[0:3], 0 offset:20
	;; [unrolled: 1-line block ×4, first 2 shown]
	s_waitcnt vmcnt(0)
	ds_write_b128 v3, v[33:36]
.LBB12_89:
	s_or_b32 exec_lo, exec_lo, s6
	s_waitcnt lgkmcnt(0)
	s_waitcnt_vscnt null, 0x0
	s_barrier
	buffer_gl0_inv
	s_clause 0x2f
	buffer_load_dword v5, off, s[0:3], 0 offset:40
	buffer_load_dword v6, off, s[0:3], 0 offset:44
	;; [unrolled: 1-line block ×48, first 2 shown]
	v_mov_b32_e32 v4, 0
	s_mov_b32 s6, exec_lo
	ds_read_b128 v[33:36], v4 offset:240
	ds_read_b128 v[37:40], v4 offset:256
	;; [unrolled: 1-line block ×3, first 2 shown]
	s_waitcnt vmcnt(46) lgkmcnt(2)
	v_mul_f64 v[91:92], v[35:36], v[5:6]
	v_mul_f64 v[5:6], v[33:34], v[5:6]
	s_waitcnt vmcnt(44) lgkmcnt(1)
	v_mul_f64 v[93:94], v[39:40], v[45:46]
	v_mul_f64 v[45:46], v[37:38], v[45:46]
	s_waitcnt vmcnt(42)
	v_fma_f64 v[91:92], v[33:34], v[47:48], -v[91:92]
	v_fma_f64 v[5:6], v[35:36], v[47:48], v[5:6]
	ds_read_b128 v[33:36], v4 offset:288
	s_waitcnt vmcnt(40) lgkmcnt(1)
	v_mul_f64 v[47:48], v[41:42], v[49:50]
	v_mul_f64 v[49:50], v[43:44], v[49:50]
	s_waitcnt vmcnt(38)
	v_fma_f64 v[93:94], v[37:38], v[51:52], -v[93:94]
	v_fma_f64 v[45:46], v[39:40], v[51:52], v[45:46]
	ds_read_b128 v[37:40], v4 offset:304
	s_waitcnt vmcnt(36) lgkmcnt(1)
	v_mul_f64 v[51:52], v[33:34], v[53:54]
	v_add_f64 v[91:92], v[91:92], 0
	v_add_f64 v[5:6], v[5:6], 0
	v_mul_f64 v[53:54], v[35:36], v[53:54]
	s_waitcnt vmcnt(34)
	v_fma_f64 v[49:50], v[41:42], v[55:56], -v[49:50]
	v_fma_f64 v[47:48], v[43:44], v[55:56], v[47:48]
	ds_read_b128 v[41:44], v4 offset:320
	s_waitcnt vmcnt(32) lgkmcnt(1)
	v_mul_f64 v[55:56], v[39:40], v[57:58]
	s_waitcnt vmcnt(30)
	v_fma_f64 v[51:52], v[35:36], v[59:60], v[51:52]
	v_add_f64 v[91:92], v[91:92], v[93:94]
	v_add_f64 v[5:6], v[5:6], v[45:46]
	v_fma_f64 v[53:54], v[33:34], v[59:60], -v[53:54]
	v_mul_f64 v[45:46], v[37:38], v[57:58]
	s_waitcnt vmcnt(28) lgkmcnt(0)
	v_mul_f64 v[57:58], v[43:44], v[61:62]
	ds_read_b128 v[33:36], v4 offset:336
	s_waitcnt vmcnt(26)
	v_fma_f64 v[55:56], v[37:38], v[63:64], -v[55:56]
	v_add_f64 v[49:50], v[91:92], v[49:50]
	v_add_f64 v[5:6], v[5:6], v[47:48]
	v_mul_f64 v[47:48], v[41:42], v[61:62]
	v_fma_f64 v[45:46], v[39:40], v[63:64], v[45:46]
	ds_read_b128 v[37:40], v4 offset:352
	s_waitcnt vmcnt(22)
	v_fma_f64 v[57:58], v[41:42], v[67:68], -v[57:58]
	v_add_f64 v[49:50], v[49:50], v[53:54]
	v_add_f64 v[5:6], v[5:6], v[51:52]
	s_waitcnt lgkmcnt(1)
	v_mul_f64 v[53:54], v[35:36], v[65:66]
	v_mul_f64 v[51:52], v[33:34], v[65:66]
	v_fma_f64 v[47:48], v[43:44], v[67:68], v[47:48]
	ds_read_b128 v[41:44], v4 offset:368
	v_add_f64 v[49:50], v[49:50], v[55:56]
	v_add_f64 v[5:6], v[5:6], v[45:46]
	s_waitcnt vmcnt(20) lgkmcnt(1)
	v_mul_f64 v[55:56], v[39:40], v[69:70]
	s_waitcnt vmcnt(18)
	v_fma_f64 v[53:54], v[33:34], v[71:72], -v[53:54]
	v_mul_f64 v[45:46], v[37:38], v[69:70]
	v_fma_f64 v[51:52], v[35:36], v[71:72], v[51:52]
	ds_read_b128 v[33:36], v4 offset:384
	v_add_f64 v[49:50], v[49:50], v[57:58]
	v_add_f64 v[5:6], v[5:6], v[47:48]
	s_waitcnt vmcnt(16) lgkmcnt(1)
	v_mul_f64 v[57:58], v[43:44], v[73:74]
	s_waitcnt vmcnt(14)
	v_fma_f64 v[55:56], v[37:38], v[75:76], -v[55:56]
	v_mul_f64 v[47:48], v[41:42], v[73:74]
	v_fma_f64 v[45:46], v[39:40], v[75:76], v[45:46]
	ds_read_b128 v[37:40], v4 offset:400
	v_add_f64 v[49:50], v[49:50], v[53:54]
	v_add_f64 v[5:6], v[5:6], v[51:52]
	s_waitcnt vmcnt(12) lgkmcnt(1)
	v_mul_f64 v[53:54], v[35:36], v[77:78]
	s_waitcnt vmcnt(10)
	v_fma_f64 v[41:42], v[41:42], v[79:80], -v[57:58]
	v_mul_f64 v[51:52], v[33:34], v[77:78]
	v_fma_f64 v[43:44], v[43:44], v[79:80], v[47:48]
	s_waitcnt vmcnt(8) lgkmcnt(0)
	v_mul_f64 v[47:48], v[39:40], v[81:82]
	v_add_f64 v[49:50], v[49:50], v[55:56]
	v_add_f64 v[5:6], v[5:6], v[45:46]
	s_waitcnt vmcnt(6)
	v_fma_f64 v[33:34], v[33:34], v[83:84], -v[53:54]
	v_mul_f64 v[45:46], v[37:38], v[81:82]
	v_fma_f64 v[35:36], v[35:36], v[83:84], v[51:52]
	s_waitcnt vmcnt(4)
	v_fma_f64 v[37:38], v[37:38], v[85:86], -v[47:48]
	v_add_f64 v[41:42], v[49:50], v[41:42]
	v_add_f64 v[5:6], v[5:6], v[43:44]
	v_fma_f64 v[39:40], v[39:40], v[85:86], v[45:46]
	v_add_f64 v[33:34], v[41:42], v[33:34]
	v_add_f64 v[5:6], v[5:6], v[35:36]
	;; [unrolled: 1-line block ×4, first 2 shown]
	s_waitcnt vmcnt(2)
	v_add_f64 v[33:34], v[87:88], -v[33:34]
	s_waitcnt vmcnt(0)
	v_add_f64 v[5:6], v[89:90], -v[5:6]
	buffer_store_dword v34, off, s[0:3], 0 offset:20
	buffer_store_dword v33, off, s[0:3], 0 offset:16
	;; [unrolled: 1-line block ×4, first 2 shown]
	v_cmpx_ne_u32_e32 0, v0
	s_cbranch_execz .LBB12_91
; %bb.90:
	s_clause 0x3
	buffer_load_dword v33, off, s[0:3], 0
	buffer_load_dword v34, off, s[0:3], 0 offset:4
	buffer_load_dword v35, off, s[0:3], 0 offset:8
	buffer_load_dword v36, off, s[0:3], 0 offset:12
	buffer_store_dword v4, off, s[0:3], 0
	buffer_store_dword v4, off, s[0:3], 0 offset:4
	buffer_store_dword v4, off, s[0:3], 0 offset:8
	;; [unrolled: 1-line block ×3, first 2 shown]
	s_waitcnt vmcnt(0)
	ds_write_b128 v3, v[33:36]
.LBB12_91:
	s_or_b32 exec_lo, exec_lo, s6
	s_waitcnt lgkmcnt(0)
	s_waitcnt_vscnt null, 0x0
	s_barrier
	buffer_gl0_inv
	s_clause 0x2f
	buffer_load_dword v5, off, s[0:3], 0 offset:24
	buffer_load_dword v6, off, s[0:3], 0 offset:28
	;; [unrolled: 1-line block ×48, first 2 shown]
	ds_read_b128 v[33:36], v4 offset:224
	s_clause 0x3
	buffer_load_dword v91, off, s[0:3], 0
	buffer_load_dword v92, off, s[0:3], 0 offset:4
	buffer_load_dword v93, off, s[0:3], 0 offset:8
	;; [unrolled: 1-line block ×3, first 2 shown]
	ds_read_b128 v[37:40], v4 offset:240
	ds_read_b128 v[41:44], v4 offset:256
	s_and_b32 vcc_lo, exec_lo, s26
	s_waitcnt vmcnt(50) lgkmcnt(2)
	v_mul_f64 v[95:96], v[35:36], v[5:6]
	v_mul_f64 v[5:6], v[33:34], v[5:6]
	s_waitcnt vmcnt(48) lgkmcnt(1)
	v_mul_f64 v[97:98], v[39:40], v[45:46]
	v_mul_f64 v[45:46], v[37:38], v[45:46]
	s_waitcnt vmcnt(46)
	v_fma_f64 v[95:96], v[33:34], v[47:48], -v[95:96]
	v_fma_f64 v[5:6], v[35:36], v[47:48], v[5:6]
	s_waitcnt vmcnt(44) lgkmcnt(0)
	v_mul_f64 v[47:48], v[41:42], v[49:50]
	v_mul_f64 v[49:50], v[43:44], v[49:50]
	s_waitcnt vmcnt(42)
	v_fma_f64 v[97:98], v[37:38], v[51:52], -v[97:98]
	ds_read_b128 v[33:36], v4 offset:272
	v_fma_f64 v[45:46], v[39:40], v[51:52], v[45:46]
	ds_read_b128 v[37:40], v4 offset:288
	v_add_f64 v[95:96], v[95:96], 0
	v_add_f64 v[5:6], v[5:6], 0
	s_waitcnt vmcnt(36)
	v_fma_f64 v[47:48], v[43:44], v[59:60], v[47:48]
	s_waitcnt lgkmcnt(1)
	v_mul_f64 v[51:52], v[33:34], v[53:54]
	v_mul_f64 v[53:54], v[35:36], v[53:54]
	v_fma_f64 v[49:50], v[41:42], v[59:60], -v[49:50]
	ds_read_b128 v[41:44], v4 offset:304
	v_add_f64 v[95:96], v[95:96], v[97:98]
	v_add_f64 v[5:6], v[5:6], v[45:46]
	s_waitcnt vmcnt(35) lgkmcnt(1)
	v_mul_f64 v[45:46], v[37:38], v[55:56]
	v_mul_f64 v[55:56], v[39:40], v[55:56]
	s_waitcnt vmcnt(33)
	v_fma_f64 v[53:54], v[33:34], v[61:62], -v[53:54]
	v_fma_f64 v[51:52], v[35:36], v[61:62], v[51:52]
	ds_read_b128 v[33:36], v4 offset:320
	s_waitcnt vmcnt(29) lgkmcnt(1)
	v_mul_f64 v[59:60], v[43:44], v[63:64]
	v_add_f64 v[49:50], v[95:96], v[49:50]
	v_add_f64 v[5:6], v[5:6], v[47:48]
	v_mul_f64 v[47:48], v[41:42], v[63:64]
	s_waitcnt vmcnt(28)
	v_fma_f64 v[55:56], v[37:38], v[57:58], -v[55:56]
	v_fma_f64 v[45:46], v[39:40], v[57:58], v[45:46]
	ds_read_b128 v[37:40], v4 offset:336
	s_waitcnt vmcnt(25)
	v_fma_f64 v[57:58], v[41:42], v[69:70], -v[59:60]
	v_add_f64 v[49:50], v[49:50], v[53:54]
	v_add_f64 v[5:6], v[5:6], v[51:52]
	s_waitcnt lgkmcnt(1)
	v_mul_f64 v[53:54], v[35:36], v[65:66]
	v_mul_f64 v[51:52], v[33:34], v[65:66]
	v_fma_f64 v[47:48], v[43:44], v[69:70], v[47:48]
	ds_read_b128 v[41:44], v4 offset:352
	v_add_f64 v[49:50], v[49:50], v[55:56]
	v_add_f64 v[5:6], v[5:6], v[45:46]
	s_waitcnt vmcnt(21) lgkmcnt(1)
	v_mul_f64 v[55:56], v[39:40], v[71:72]
	s_waitcnt vmcnt(20)
	v_fma_f64 v[53:54], v[33:34], v[67:68], -v[53:54]
	v_mul_f64 v[45:46], v[37:38], v[71:72]
	v_fma_f64 v[51:52], v[35:36], v[67:68], v[51:52]
	ds_read_b128 v[33:36], v4 offset:368
	v_add_f64 v[49:50], v[49:50], v[57:58]
	v_add_f64 v[5:6], v[5:6], v[47:48]
	s_waitcnt vmcnt(19) lgkmcnt(1)
	v_mul_f64 v[57:58], v[43:44], v[73:74]
	s_waitcnt vmcnt(17)
	v_fma_f64 v[55:56], v[37:38], v[77:78], -v[55:56]
	;; [unrolled: 9-line block ×3, first 2 shown]
	v_mul_f64 v[51:52], v[33:34], v[79:80]
	v_fma_f64 v[43:44], v[43:44], v[75:76], v[47:48]
	s_waitcnt vmcnt(11) lgkmcnt(0)
	v_mul_f64 v[47:48], v[37:38], v[81:82]
	v_add_f64 v[49:50], v[49:50], v[55:56]
	v_add_f64 v[45:46], v[5:6], v[45:46]
	v_mul_f64 v[55:56], v[39:40], v[81:82]
	s_waitcnt vmcnt(9)
	v_fma_f64 v[33:34], v[33:34], v[85:86], -v[53:54]
	ds_read_b128 v[3:6], v4 offset:400
	v_fma_f64 v[35:36], v[35:36], v[85:86], v[51:52]
	s_waitcnt vmcnt(6)
	v_fma_f64 v[39:40], v[39:40], v[83:84], v[47:48]
	v_add_f64 v[41:42], v[49:50], v[41:42]
	v_add_f64 v[43:44], v[45:46], v[43:44]
	s_waitcnt lgkmcnt(0)
	v_mul_f64 v[49:50], v[5:6], v[87:88]
	v_fma_f64 v[37:38], v[37:38], v[83:84], -v[55:56]
	v_mul_f64 v[45:46], v[3:4], v[87:88]
	v_add_f64 v[33:34], v[41:42], v[33:34]
	v_add_f64 v[35:36], v[43:44], v[35:36]
	s_waitcnt vmcnt(4)
	v_fma_f64 v[3:4], v[3:4], v[89:90], -v[49:50]
	v_fma_f64 v[5:6], v[5:6], v[89:90], v[45:46]
	v_add_f64 v[33:34], v[33:34], v[37:38]
	v_add_f64 v[35:36], v[35:36], v[39:40]
	;; [unrolled: 1-line block ×4, first 2 shown]
	s_waitcnt vmcnt(2)
	v_add_f64 v[3:4], v[91:92], -v[3:4]
	s_waitcnt vmcnt(0)
	v_add_f64 v[5:6], v[93:94], -v[5:6]
	buffer_store_dword v4, off, s[0:3], 0 offset:4
	buffer_store_dword v3, off, s[0:3], 0
	buffer_store_dword v6, off, s[0:3], 0 offset:12
	buffer_store_dword v5, off, s[0:3], 0 offset:8
	s_cbranch_vccz .LBB12_116
; %bb.92:
	v_mov_b32_e32 v3, 0
	s_load_dwordx2 s[4:5], s[4:5], 0x4
	global_load_dword v4, v3, s[10:11] offset:44
	s_waitcnt lgkmcnt(0)
	s_lshr_b32 s4, s4, 16
	v_mul_u32_u24_e32 v5, s5, v1
	s_mul_i32 s4, s4, s5
	v_mul_u32_u24_e32 v0, s4, v0
	v_add3_u32 v0, v0, v5, v2
	v_lshl_add_u32 v0, v0, 4, 0x1a8
	s_waitcnt vmcnt(0)
	v_add_nc_u32_e32 v1, -1, v4
	v_cmp_ne_u32_e32 vcc_lo, 11, v1
	s_cbranch_vccz .LBB12_94
; %bb.93:
	v_lshlrev_b32_e32 v1, 4, v1
	v_mov_b32_e32 v6, s13
	v_mov_b32_e32 v33, v1
	s_clause 0x7
	buffer_load_dword v1, v6, s[0:3], 0 offen
	buffer_load_dword v2, v6, s[0:3], 0 offen offset:4
	buffer_load_dword v4, v6, s[0:3], 0 offen offset:8
	;; [unrolled: 1-line block ×3, first 2 shown]
	buffer_load_dword v34, v33, s[0:3], 0 offen
	buffer_load_dword v35, v33, s[0:3], 0 offen offset:4
	buffer_load_dword v36, v33, s[0:3], 0 offen offset:8
	buffer_load_dword v37, v33, s[0:3], 0 offen offset:12
	s_waitcnt vmcnt(4)
	ds_write2_b64 v0, v[1:2], v[4:5] offset1:1
	s_waitcnt vmcnt(3)
	buffer_store_dword v34, v6, s[0:3], 0 offen
	s_waitcnt vmcnt(2)
	buffer_store_dword v35, v6, s[0:3], 0 offen offset:4
	s_waitcnt vmcnt(1)
	buffer_store_dword v36, v6, s[0:3], 0 offen offset:8
	;; [unrolled: 2-line block ×3, first 2 shown]
	buffer_store_dword v5, v33, s[0:3], 0 offen offset:12
	buffer_store_dword v4, v33, s[0:3], 0 offen offset:8
	;; [unrolled: 1-line block ×3, first 2 shown]
	buffer_store_dword v1, v33, s[0:3], 0 offen
.LBB12_94:
	global_load_dword v1, v3, s[10:11] offset:40
	s_waitcnt vmcnt(0)
	v_add_nc_u32_e32 v1, -1, v1
	v_cmp_eq_u32_e32 vcc_lo, 10, v1
	s_cbranch_vccnz .LBB12_96
; %bb.95:
	v_lshlrev_b32_e32 v1, 4, v1
	v_mov_b32_e32 v5, s16
	v_mov_b32_e32 v6, v1
	s_clause 0x7
	buffer_load_dword v1, v5, s[0:3], 0 offen
	buffer_load_dword v2, v5, s[0:3], 0 offen offset:4
	buffer_load_dword v3, v5, s[0:3], 0 offen offset:8
	;; [unrolled: 1-line block ×3, first 2 shown]
	buffer_load_dword v33, v6, s[0:3], 0 offen
	buffer_load_dword v34, v6, s[0:3], 0 offen offset:4
	buffer_load_dword v35, v6, s[0:3], 0 offen offset:8
	;; [unrolled: 1-line block ×3, first 2 shown]
	s_waitcnt vmcnt(4)
	ds_write2_b64 v0, v[1:2], v[3:4] offset1:1
	s_waitcnt vmcnt(3)
	buffer_store_dword v33, v5, s[0:3], 0 offen
	s_waitcnt vmcnt(2)
	buffer_store_dword v34, v5, s[0:3], 0 offen offset:4
	s_waitcnt vmcnt(1)
	buffer_store_dword v35, v5, s[0:3], 0 offen offset:8
	;; [unrolled: 2-line block ×3, first 2 shown]
	buffer_store_dword v4, v6, s[0:3], 0 offen offset:12
	buffer_store_dword v3, v6, s[0:3], 0 offen offset:8
	;; [unrolled: 1-line block ×3, first 2 shown]
	buffer_store_dword v1, v6, s[0:3], 0 offen
.LBB12_96:
	v_mov_b32_e32 v1, 0
	global_load_dword v2, v1, s[10:11] offset:36
	s_waitcnt vmcnt(0)
	v_add_nc_u32_e32 v2, -1, v2
	v_cmp_eq_u32_e32 vcc_lo, 9, v2
	s_cbranch_vccnz .LBB12_98
; %bb.97:
	v_lshlrev_b32_e32 v2, 4, v2
	v_mov_b32_e32 v6, s17
	v_mov_b32_e32 v33, v2
	s_clause 0x7
	buffer_load_dword v2, v6, s[0:3], 0 offen
	buffer_load_dword v3, v6, s[0:3], 0 offen offset:4
	buffer_load_dword v4, v6, s[0:3], 0 offen offset:8
	buffer_load_dword v5, v6, s[0:3], 0 offen offset:12
	buffer_load_dword v34, v33, s[0:3], 0 offen
	buffer_load_dword v35, v33, s[0:3], 0 offen offset:4
	buffer_load_dword v36, v33, s[0:3], 0 offen offset:8
	;; [unrolled: 1-line block ×3, first 2 shown]
	s_waitcnt vmcnt(4)
	ds_write2_b64 v0, v[2:3], v[4:5] offset1:1
	s_waitcnt vmcnt(3)
	buffer_store_dword v34, v6, s[0:3], 0 offen
	s_waitcnt vmcnt(2)
	buffer_store_dword v35, v6, s[0:3], 0 offen offset:4
	s_waitcnt vmcnt(1)
	buffer_store_dword v36, v6, s[0:3], 0 offen offset:8
	;; [unrolled: 2-line block ×3, first 2 shown]
	buffer_store_dword v5, v33, s[0:3], 0 offen offset:12
	buffer_store_dword v4, v33, s[0:3], 0 offen offset:8
	;; [unrolled: 1-line block ×3, first 2 shown]
	buffer_store_dword v2, v33, s[0:3], 0 offen
.LBB12_98:
	global_load_dword v1, v1, s[10:11] offset:32
	s_waitcnt vmcnt(0)
	v_add_nc_u32_e32 v1, -1, v1
	v_cmp_eq_u32_e32 vcc_lo, 8, v1
	s_cbranch_vccnz .LBB12_100
; %bb.99:
	v_lshlrev_b32_e32 v1, 4, v1
	v_mov_b32_e32 v5, s18
	v_mov_b32_e32 v6, v1
	s_clause 0x7
	buffer_load_dword v1, v5, s[0:3], 0 offen
	buffer_load_dword v2, v5, s[0:3], 0 offen offset:4
	buffer_load_dword v3, v5, s[0:3], 0 offen offset:8
	buffer_load_dword v4, v5, s[0:3], 0 offen offset:12
	buffer_load_dword v33, v6, s[0:3], 0 offen
	buffer_load_dword v34, v6, s[0:3], 0 offen offset:4
	buffer_load_dword v35, v6, s[0:3], 0 offen offset:8
	;; [unrolled: 1-line block ×3, first 2 shown]
	s_waitcnt vmcnt(4)
	ds_write2_b64 v0, v[1:2], v[3:4] offset1:1
	s_waitcnt vmcnt(3)
	buffer_store_dword v33, v5, s[0:3], 0 offen
	s_waitcnt vmcnt(2)
	buffer_store_dword v34, v5, s[0:3], 0 offen offset:4
	s_waitcnt vmcnt(1)
	buffer_store_dword v35, v5, s[0:3], 0 offen offset:8
	;; [unrolled: 2-line block ×3, first 2 shown]
	buffer_store_dword v4, v6, s[0:3], 0 offen offset:12
	buffer_store_dword v3, v6, s[0:3], 0 offen offset:8
	buffer_store_dword v2, v6, s[0:3], 0 offen offset:4
	buffer_store_dword v1, v6, s[0:3], 0 offen
.LBB12_100:
	v_mov_b32_e32 v1, 0
	global_load_dword v2, v1, s[10:11] offset:28
	s_waitcnt vmcnt(0)
	v_add_nc_u32_e32 v2, -1, v2
	v_cmp_eq_u32_e32 vcc_lo, 7, v2
	s_cbranch_vccnz .LBB12_102
; %bb.101:
	v_lshlrev_b32_e32 v2, 4, v2
	v_mov_b32_e32 v6, s19
	v_mov_b32_e32 v33, v2
	s_clause 0x7
	buffer_load_dword v2, v6, s[0:3], 0 offen
	buffer_load_dword v3, v6, s[0:3], 0 offen offset:4
	buffer_load_dword v4, v6, s[0:3], 0 offen offset:8
	;; [unrolled: 1-line block ×3, first 2 shown]
	buffer_load_dword v34, v33, s[0:3], 0 offen
	buffer_load_dword v35, v33, s[0:3], 0 offen offset:4
	buffer_load_dword v36, v33, s[0:3], 0 offen offset:8
	;; [unrolled: 1-line block ×3, first 2 shown]
	s_waitcnt vmcnt(4)
	ds_write2_b64 v0, v[2:3], v[4:5] offset1:1
	s_waitcnt vmcnt(3)
	buffer_store_dword v34, v6, s[0:3], 0 offen
	s_waitcnt vmcnt(2)
	buffer_store_dword v35, v6, s[0:3], 0 offen offset:4
	s_waitcnt vmcnt(1)
	buffer_store_dword v36, v6, s[0:3], 0 offen offset:8
	;; [unrolled: 2-line block ×3, first 2 shown]
	buffer_store_dword v5, v33, s[0:3], 0 offen offset:12
	buffer_store_dword v4, v33, s[0:3], 0 offen offset:8
	;; [unrolled: 1-line block ×3, first 2 shown]
	buffer_store_dword v2, v33, s[0:3], 0 offen
.LBB12_102:
	global_load_dword v1, v1, s[10:11] offset:24
	s_waitcnt vmcnt(0)
	v_add_nc_u32_e32 v1, -1, v1
	v_cmp_eq_u32_e32 vcc_lo, 6, v1
	s_cbranch_vccnz .LBB12_104
; %bb.103:
	v_lshlrev_b32_e32 v1, 4, v1
	v_mov_b32_e32 v5, s20
	v_mov_b32_e32 v6, v1
	s_clause 0x7
	buffer_load_dword v1, v5, s[0:3], 0 offen
	buffer_load_dword v2, v5, s[0:3], 0 offen offset:4
	buffer_load_dword v3, v5, s[0:3], 0 offen offset:8
	;; [unrolled: 1-line block ×3, first 2 shown]
	buffer_load_dword v33, v6, s[0:3], 0 offen
	buffer_load_dword v34, v6, s[0:3], 0 offen offset:4
	buffer_load_dword v35, v6, s[0:3], 0 offen offset:8
	;; [unrolled: 1-line block ×3, first 2 shown]
	s_waitcnt vmcnt(4)
	ds_write2_b64 v0, v[1:2], v[3:4] offset1:1
	s_waitcnt vmcnt(3)
	buffer_store_dword v33, v5, s[0:3], 0 offen
	s_waitcnt vmcnt(2)
	buffer_store_dword v34, v5, s[0:3], 0 offen offset:4
	s_waitcnt vmcnt(1)
	buffer_store_dword v35, v5, s[0:3], 0 offen offset:8
	s_waitcnt vmcnt(0)
	buffer_store_dword v36, v5, s[0:3], 0 offen offset:12
	buffer_store_dword v4, v6, s[0:3], 0 offen offset:12
	buffer_store_dword v3, v6, s[0:3], 0 offen offset:8
	;; [unrolled: 1-line block ×3, first 2 shown]
	buffer_store_dword v1, v6, s[0:3], 0 offen
.LBB12_104:
	v_mov_b32_e32 v1, 0
	global_load_dword v2, v1, s[10:11] offset:20
	s_waitcnt vmcnt(0)
	v_add_nc_u32_e32 v2, -1, v2
	v_cmp_eq_u32_e32 vcc_lo, 5, v2
	s_cbranch_vccnz .LBB12_106
; %bb.105:
	v_lshlrev_b32_e32 v2, 4, v2
	v_mov_b32_e32 v6, s21
	v_mov_b32_e32 v33, v2
	s_clause 0x7
	buffer_load_dword v2, v6, s[0:3], 0 offen
	buffer_load_dword v3, v6, s[0:3], 0 offen offset:4
	buffer_load_dword v4, v6, s[0:3], 0 offen offset:8
	buffer_load_dword v5, v6, s[0:3], 0 offen offset:12
	buffer_load_dword v34, v33, s[0:3], 0 offen
	buffer_load_dword v35, v33, s[0:3], 0 offen offset:4
	buffer_load_dword v36, v33, s[0:3], 0 offen offset:8
	;; [unrolled: 1-line block ×3, first 2 shown]
	s_waitcnt vmcnt(4)
	ds_write2_b64 v0, v[2:3], v[4:5] offset1:1
	s_waitcnt vmcnt(3)
	buffer_store_dword v34, v6, s[0:3], 0 offen
	s_waitcnt vmcnt(2)
	buffer_store_dword v35, v6, s[0:3], 0 offen offset:4
	s_waitcnt vmcnt(1)
	buffer_store_dword v36, v6, s[0:3], 0 offen offset:8
	;; [unrolled: 2-line block ×3, first 2 shown]
	buffer_store_dword v5, v33, s[0:3], 0 offen offset:12
	buffer_store_dword v4, v33, s[0:3], 0 offen offset:8
	;; [unrolled: 1-line block ×3, first 2 shown]
	buffer_store_dword v2, v33, s[0:3], 0 offen
.LBB12_106:
	global_load_dword v1, v1, s[10:11] offset:16
	s_waitcnt vmcnt(0)
	v_add_nc_u32_e32 v1, -1, v1
	v_cmp_eq_u32_e32 vcc_lo, 4, v1
	s_cbranch_vccnz .LBB12_108
; %bb.107:
	v_lshlrev_b32_e32 v1, 4, v1
	v_mov_b32_e32 v5, s22
	v_mov_b32_e32 v6, v1
	s_clause 0x7
	buffer_load_dword v1, v5, s[0:3], 0 offen
	buffer_load_dword v2, v5, s[0:3], 0 offen offset:4
	buffer_load_dword v3, v5, s[0:3], 0 offen offset:8
	;; [unrolled: 1-line block ×3, first 2 shown]
	buffer_load_dword v33, v6, s[0:3], 0 offen
	buffer_load_dword v34, v6, s[0:3], 0 offen offset:4
	buffer_load_dword v35, v6, s[0:3], 0 offen offset:8
	;; [unrolled: 1-line block ×3, first 2 shown]
	s_waitcnt vmcnt(4)
	ds_write2_b64 v0, v[1:2], v[3:4] offset1:1
	s_waitcnt vmcnt(3)
	buffer_store_dword v33, v5, s[0:3], 0 offen
	s_waitcnt vmcnt(2)
	buffer_store_dword v34, v5, s[0:3], 0 offen offset:4
	s_waitcnt vmcnt(1)
	buffer_store_dword v35, v5, s[0:3], 0 offen offset:8
	;; [unrolled: 2-line block ×3, first 2 shown]
	buffer_store_dword v4, v6, s[0:3], 0 offen offset:12
	buffer_store_dword v3, v6, s[0:3], 0 offen offset:8
	;; [unrolled: 1-line block ×3, first 2 shown]
	buffer_store_dword v1, v6, s[0:3], 0 offen
.LBB12_108:
	v_mov_b32_e32 v1, 0
	global_load_dword v2, v1, s[10:11] offset:12
	s_waitcnt vmcnt(0)
	v_add_nc_u32_e32 v2, -1, v2
	v_cmp_eq_u32_e32 vcc_lo, 3, v2
	s_cbranch_vccnz .LBB12_110
; %bb.109:
	v_lshlrev_b32_e32 v2, 4, v2
	v_mov_b32_e32 v6, s23
	v_mov_b32_e32 v33, v2
	s_clause 0x7
	buffer_load_dword v2, v6, s[0:3], 0 offen
	buffer_load_dword v3, v6, s[0:3], 0 offen offset:4
	buffer_load_dword v4, v6, s[0:3], 0 offen offset:8
	;; [unrolled: 1-line block ×3, first 2 shown]
	buffer_load_dword v34, v33, s[0:3], 0 offen
	buffer_load_dword v35, v33, s[0:3], 0 offen offset:4
	buffer_load_dword v36, v33, s[0:3], 0 offen offset:8
	;; [unrolled: 1-line block ×3, first 2 shown]
	s_waitcnt vmcnt(4)
	ds_write2_b64 v0, v[2:3], v[4:5] offset1:1
	s_waitcnt vmcnt(3)
	buffer_store_dword v34, v6, s[0:3], 0 offen
	s_waitcnt vmcnt(2)
	buffer_store_dword v35, v6, s[0:3], 0 offen offset:4
	s_waitcnt vmcnt(1)
	buffer_store_dword v36, v6, s[0:3], 0 offen offset:8
	;; [unrolled: 2-line block ×3, first 2 shown]
	buffer_store_dword v5, v33, s[0:3], 0 offen offset:12
	buffer_store_dword v4, v33, s[0:3], 0 offen offset:8
	;; [unrolled: 1-line block ×3, first 2 shown]
	buffer_store_dword v2, v33, s[0:3], 0 offen
.LBB12_110:
	global_load_dword v1, v1, s[10:11] offset:8
	s_waitcnt vmcnt(0)
	v_add_nc_u32_e32 v1, -1, v1
	v_cmp_eq_u32_e32 vcc_lo, 2, v1
	s_cbranch_vccnz .LBB12_112
; %bb.111:
	v_lshlrev_b32_e32 v1, 4, v1
	v_mov_b32_e32 v5, s24
	v_mov_b32_e32 v6, v1
	s_clause 0x7
	buffer_load_dword v1, v5, s[0:3], 0 offen
	buffer_load_dword v2, v5, s[0:3], 0 offen offset:4
	buffer_load_dword v3, v5, s[0:3], 0 offen offset:8
	;; [unrolled: 1-line block ×3, first 2 shown]
	buffer_load_dword v33, v6, s[0:3], 0 offen
	buffer_load_dword v34, v6, s[0:3], 0 offen offset:4
	buffer_load_dword v35, v6, s[0:3], 0 offen offset:8
	buffer_load_dword v36, v6, s[0:3], 0 offen offset:12
	s_waitcnt vmcnt(4)
	ds_write2_b64 v0, v[1:2], v[3:4] offset1:1
	s_waitcnt vmcnt(3)
	buffer_store_dword v33, v5, s[0:3], 0 offen
	s_waitcnt vmcnt(2)
	buffer_store_dword v34, v5, s[0:3], 0 offen offset:4
	s_waitcnt vmcnt(1)
	buffer_store_dword v35, v5, s[0:3], 0 offen offset:8
	;; [unrolled: 2-line block ×3, first 2 shown]
	buffer_store_dword v4, v6, s[0:3], 0 offen offset:12
	buffer_store_dword v3, v6, s[0:3], 0 offen offset:8
	;; [unrolled: 1-line block ×3, first 2 shown]
	buffer_store_dword v1, v6, s[0:3], 0 offen
.LBB12_112:
	v_mov_b32_e32 v1, 0
	global_load_dword v2, v1, s[10:11] offset:4
	s_waitcnt vmcnt(0)
	v_add_nc_u32_e32 v2, -1, v2
	v_cmp_eq_u32_e32 vcc_lo, 1, v2
	s_cbranch_vccnz .LBB12_114
; %bb.113:
	v_lshlrev_b32_e32 v2, 4, v2
	v_mov_b32_e32 v6, s25
	v_mov_b32_e32 v33, v2
	s_clause 0x7
	buffer_load_dword v2, v6, s[0:3], 0 offen
	buffer_load_dword v3, v6, s[0:3], 0 offen offset:4
	buffer_load_dword v4, v6, s[0:3], 0 offen offset:8
	;; [unrolled: 1-line block ×3, first 2 shown]
	buffer_load_dword v34, v33, s[0:3], 0 offen
	buffer_load_dword v35, v33, s[0:3], 0 offen offset:4
	buffer_load_dword v36, v33, s[0:3], 0 offen offset:8
	;; [unrolled: 1-line block ×3, first 2 shown]
	s_waitcnt vmcnt(4)
	ds_write2_b64 v0, v[2:3], v[4:5] offset1:1
	s_waitcnt vmcnt(3)
	buffer_store_dword v34, v6, s[0:3], 0 offen
	s_waitcnt vmcnt(2)
	buffer_store_dword v35, v6, s[0:3], 0 offen offset:4
	s_waitcnt vmcnt(1)
	buffer_store_dword v36, v6, s[0:3], 0 offen offset:8
	;; [unrolled: 2-line block ×3, first 2 shown]
	buffer_store_dword v5, v33, s[0:3], 0 offen offset:12
	buffer_store_dword v4, v33, s[0:3], 0 offen offset:8
	;; [unrolled: 1-line block ×3, first 2 shown]
	buffer_store_dword v2, v33, s[0:3], 0 offen
.LBB12_114:
	global_load_dword v1, v1, s[10:11]
	s_waitcnt vmcnt(0)
	v_add_nc_u32_e32 v1, -1, v1
	v_cmp_eq_u32_e32 vcc_lo, 0, v1
	s_cbranch_vccnz .LBB12_116
; %bb.115:
	v_lshlrev_b32_e32 v1, 4, v1
	v_mov_b32_e32 v5, v1
	s_clause 0x7
	buffer_load_dword v1, off, s[0:3], 0
	buffer_load_dword v2, off, s[0:3], 0 offset:4
	buffer_load_dword v3, off, s[0:3], 0 offset:8
	;; [unrolled: 1-line block ×3, first 2 shown]
	buffer_load_dword v6, v5, s[0:3], 0 offen
	buffer_load_dword v33, v5, s[0:3], 0 offen offset:4
	buffer_load_dword v34, v5, s[0:3], 0 offen offset:8
	;; [unrolled: 1-line block ×3, first 2 shown]
	s_waitcnt vmcnt(4)
	ds_write2_b64 v0, v[1:2], v[3:4] offset1:1
	s_waitcnt vmcnt(3)
	buffer_store_dword v6, off, s[0:3], 0
	s_waitcnt vmcnt(2)
	buffer_store_dword v33, off, s[0:3], 0 offset:4
	s_waitcnt vmcnt(1)
	buffer_store_dword v34, off, s[0:3], 0 offset:8
	;; [unrolled: 2-line block ×3, first 2 shown]
	buffer_store_dword v4, v5, s[0:3], 0 offen offset:12
	buffer_store_dword v3, v5, s[0:3], 0 offen offset:8
	;; [unrolled: 1-line block ×3, first 2 shown]
	buffer_store_dword v1, v5, s[0:3], 0 offen
.LBB12_116:
	v_mov_b32_e32 v5, s24
	v_mov_b32_e32 v4, s25
	s_clause 0x7
	buffer_load_dword v0, off, s[0:3], 0
	buffer_load_dword v1, off, s[0:3], 0 offset:4
	buffer_load_dword v2, off, s[0:3], 0 offset:8
	;; [unrolled: 1-line block ×3, first 2 shown]
	buffer_load_dword v33, v4, s[0:3], 0 offen
	buffer_load_dword v34, v4, s[0:3], 0 offen offset:4
	buffer_load_dword v35, v4, s[0:3], 0 offen offset:8
	buffer_load_dword v36, v4, s[0:3], 0 offen offset:12
	v_mov_b32_e32 v4, s23
	v_mov_b32_e32 v6, s22
	s_clause 0x7
	buffer_load_dword v37, v5, s[0:3], 0 offen
	buffer_load_dword v38, v5, s[0:3], 0 offen offset:4
	buffer_load_dword v39, v5, s[0:3], 0 offen offset:8
	buffer_load_dword v40, v5, s[0:3], 0 offen offset:12
	buffer_load_dword v41, v4, s[0:3], 0 offen
	buffer_load_dword v42, v4, s[0:3], 0 offen offset:4
	buffer_load_dword v43, v4, s[0:3], 0 offen offset:8
	buffer_load_dword v44, v4, s[0:3], 0 offen offset:12
	v_mov_b32_e32 v5, s20
	v_mov_b32_e32 v4, s21
	s_clause 0x7
	buffer_load_dword v45, v6, s[0:3], 0 offen
	buffer_load_dword v46, v6, s[0:3], 0 offen offset:4
	buffer_load_dword v47, v6, s[0:3], 0 offen offset:8
	buffer_load_dword v48, v6, s[0:3], 0 offen offset:12
	;; [unrolled: 11-line block ×5, first 2 shown]
	buffer_load_dword v73, v4, s[0:3], 0 offen
	buffer_load_dword v74, v4, s[0:3], 0 offen offset:4
	buffer_load_dword v75, v4, s[0:3], 0 offen offset:8
	;; [unrolled: 1-line block ×3, first 2 shown]
	buffer_load_dword v77, v6, s[0:3], 0 offen
	buffer_load_dword v78, v6, s[0:3], 0 offen offset:4
	buffer_load_dword v79, v6, s[0:3], 0 offen offset:8
	;; [unrolled: 1-line block ×3, first 2 shown]
	s_waitcnt vmcnt(48)
	global_store_dwordx4 v[7:8], v[0:3], off
	s_waitcnt vmcnt(44)
	global_store_dwordx4 v[9:10], v[33:36], off
	;; [unrolled: 2-line block ×13, first 2 shown]
	s_endpgm
	.section	.rodata,"a",@progbits
	.p2align	6, 0x0
	.amdhsa_kernel _ZN9rocsolver6v33100L18getri_kernel_smallILi13E19rocblas_complex_numIdEPS3_EEvT1_iilPiilS6_bb
		.amdhsa_group_segment_fixed_size 1448
		.amdhsa_private_segment_fixed_size 224
		.amdhsa_kernarg_size 60
		.amdhsa_user_sgpr_count 8
		.amdhsa_user_sgpr_private_segment_buffer 1
		.amdhsa_user_sgpr_dispatch_ptr 1
		.amdhsa_user_sgpr_queue_ptr 0
		.amdhsa_user_sgpr_kernarg_segment_ptr 1
		.amdhsa_user_sgpr_dispatch_id 0
		.amdhsa_user_sgpr_flat_scratch_init 0
		.amdhsa_user_sgpr_private_segment_size 0
		.amdhsa_wavefront_size32 1
		.amdhsa_uses_dynamic_stack 0
		.amdhsa_system_sgpr_private_segment_wavefront_offset 1
		.amdhsa_system_sgpr_workgroup_id_x 1
		.amdhsa_system_sgpr_workgroup_id_y 0
		.amdhsa_system_sgpr_workgroup_id_z 0
		.amdhsa_system_sgpr_workgroup_info 0
		.amdhsa_system_vgpr_workitem_id 2
		.amdhsa_next_free_vgpr 99
		.amdhsa_next_free_sgpr 31
		.amdhsa_reserve_vcc 1
		.amdhsa_reserve_flat_scratch 0
		.amdhsa_float_round_mode_32 0
		.amdhsa_float_round_mode_16_64 0
		.amdhsa_float_denorm_mode_32 3
		.amdhsa_float_denorm_mode_16_64 3
		.amdhsa_dx10_clamp 1
		.amdhsa_ieee_mode 1
		.amdhsa_fp16_overflow 0
		.amdhsa_workgroup_processor_mode 1
		.amdhsa_memory_ordered 1
		.amdhsa_forward_progress 1
		.amdhsa_shared_vgpr_count 0
		.amdhsa_exception_fp_ieee_invalid_op 0
		.amdhsa_exception_fp_denorm_src 0
		.amdhsa_exception_fp_ieee_div_zero 0
		.amdhsa_exception_fp_ieee_overflow 0
		.amdhsa_exception_fp_ieee_underflow 0
		.amdhsa_exception_fp_ieee_inexact 0
		.amdhsa_exception_int_div_zero 0
	.end_amdhsa_kernel
	.section	.text._ZN9rocsolver6v33100L18getri_kernel_smallILi13E19rocblas_complex_numIdEPS3_EEvT1_iilPiilS6_bb,"axG",@progbits,_ZN9rocsolver6v33100L18getri_kernel_smallILi13E19rocblas_complex_numIdEPS3_EEvT1_iilPiilS6_bb,comdat
.Lfunc_end12:
	.size	_ZN9rocsolver6v33100L18getri_kernel_smallILi13E19rocblas_complex_numIdEPS3_EEvT1_iilPiilS6_bb, .Lfunc_end12-_ZN9rocsolver6v33100L18getri_kernel_smallILi13E19rocblas_complex_numIdEPS3_EEvT1_iilPiilS6_bb
                                        ; -- End function
	.set _ZN9rocsolver6v33100L18getri_kernel_smallILi13E19rocblas_complex_numIdEPS3_EEvT1_iilPiilS6_bb.num_vgpr, 99
	.set _ZN9rocsolver6v33100L18getri_kernel_smallILi13E19rocblas_complex_numIdEPS3_EEvT1_iilPiilS6_bb.num_agpr, 0
	.set _ZN9rocsolver6v33100L18getri_kernel_smallILi13E19rocblas_complex_numIdEPS3_EEvT1_iilPiilS6_bb.numbered_sgpr, 31
	.set _ZN9rocsolver6v33100L18getri_kernel_smallILi13E19rocblas_complex_numIdEPS3_EEvT1_iilPiilS6_bb.num_named_barrier, 0
	.set _ZN9rocsolver6v33100L18getri_kernel_smallILi13E19rocblas_complex_numIdEPS3_EEvT1_iilPiilS6_bb.private_seg_size, 224
	.set _ZN9rocsolver6v33100L18getri_kernel_smallILi13E19rocblas_complex_numIdEPS3_EEvT1_iilPiilS6_bb.uses_vcc, 1
	.set _ZN9rocsolver6v33100L18getri_kernel_smallILi13E19rocblas_complex_numIdEPS3_EEvT1_iilPiilS6_bb.uses_flat_scratch, 0
	.set _ZN9rocsolver6v33100L18getri_kernel_smallILi13E19rocblas_complex_numIdEPS3_EEvT1_iilPiilS6_bb.has_dyn_sized_stack, 0
	.set _ZN9rocsolver6v33100L18getri_kernel_smallILi13E19rocblas_complex_numIdEPS3_EEvT1_iilPiilS6_bb.has_recursion, 0
	.set _ZN9rocsolver6v33100L18getri_kernel_smallILi13E19rocblas_complex_numIdEPS3_EEvT1_iilPiilS6_bb.has_indirect_call, 0
	.section	.AMDGPU.csdata,"",@progbits
; Kernel info:
; codeLenInByte = 19852
; TotalNumSgprs: 33
; NumVgprs: 99
; ScratchSize: 224
; MemoryBound: 0
; FloatMode: 240
; IeeeMode: 1
; LDSByteSize: 1448 bytes/workgroup (compile time only)
; SGPRBlocks: 0
; VGPRBlocks: 12
; NumSGPRsForWavesPerEU: 33
; NumVGPRsForWavesPerEU: 99
; Occupancy: 9
; WaveLimiterHint : 1
; COMPUTE_PGM_RSRC2:SCRATCH_EN: 1
; COMPUTE_PGM_RSRC2:USER_SGPR: 8
; COMPUTE_PGM_RSRC2:TRAP_HANDLER: 0
; COMPUTE_PGM_RSRC2:TGID_X_EN: 1
; COMPUTE_PGM_RSRC2:TGID_Y_EN: 0
; COMPUTE_PGM_RSRC2:TGID_Z_EN: 0
; COMPUTE_PGM_RSRC2:TIDIG_COMP_CNT: 2
	.section	.text._ZN9rocsolver6v33100L18getri_kernel_smallILi14E19rocblas_complex_numIdEPS3_EEvT1_iilPiilS6_bb,"axG",@progbits,_ZN9rocsolver6v33100L18getri_kernel_smallILi14E19rocblas_complex_numIdEPS3_EEvT1_iilPiilS6_bb,comdat
	.globl	_ZN9rocsolver6v33100L18getri_kernel_smallILi14E19rocblas_complex_numIdEPS3_EEvT1_iilPiilS6_bb ; -- Begin function _ZN9rocsolver6v33100L18getri_kernel_smallILi14E19rocblas_complex_numIdEPS3_EEvT1_iilPiilS6_bb
	.p2align	8
	.type	_ZN9rocsolver6v33100L18getri_kernel_smallILi14E19rocblas_complex_numIdEPS3_EEvT1_iilPiilS6_bb,@function
_ZN9rocsolver6v33100L18getri_kernel_smallILi14E19rocblas_complex_numIdEPS3_EEvT1_iilPiilS6_bb: ; @_ZN9rocsolver6v33100L18getri_kernel_smallILi14E19rocblas_complex_numIdEPS3_EEvT1_iilPiilS6_bb
; %bb.0:
	s_add_u32 s0, s0, s9
	s_addc_u32 s1, s1, 0
	s_mov_b32 s9, exec_lo
	v_cmpx_gt_u32_e32 14, v0
	s_cbranch_execz .LBB13_70
; %bb.1:
	s_clause 0x2
	s_load_dword s9, s[6:7], 0x38
	s_load_dwordx4 s[20:23], s[6:7], 0x10
	s_load_dwordx4 s[12:15], s[6:7], 0x28
	s_waitcnt lgkmcnt(0)
	s_bitcmp1_b32 s9, 8
	s_cselect_b32 s27, -1, 0
	s_bfe_u32 s10, s9, 0x10008
	s_ashr_i32 s9, s8, 31
	s_cmp_eq_u32 s10, 0
                                        ; implicit-def: $sgpr10_sgpr11
	s_cbranch_scc1 .LBB13_3
; %bb.2:
	s_load_dword s10, s[6:7], 0x20
	s_mul_i32 s11, s12, s9
	s_mul_hi_u32 s16, s12, s8
	s_mul_i32 s13, s13, s8
	s_add_i32 s11, s16, s11
	s_mul_i32 s12, s12, s8
	s_add_i32 s13, s11, s13
	s_lshl_b64 s[12:13], s[12:13], 2
	s_waitcnt lgkmcnt(0)
	s_ashr_i32 s11, s10, 31
	s_add_u32 s12, s22, s12
	s_addc_u32 s13, s23, s13
	s_lshl_b64 s[10:11], s[10:11], 2
	s_add_u32 s10, s12, s10
	s_addc_u32 s11, s13, s11
.LBB13_3:
	s_clause 0x1
	s_load_dwordx4 s[16:19], s[6:7], 0x0
	s_load_dword s28, s[6:7], 0x38
	s_mul_i32 s6, s20, s9
	s_mul_hi_u32 s7, s20, s8
	s_mul_i32 s12, s21, s8
	s_add_i32 s7, s7, s6
	s_mul_i32 s6, s20, s8
	s_add_i32 s7, s7, s12
	v_lshlrev_b32_e32 v41, 4, v0
	s_lshl_b64 s[6:7], s[6:7], 4
	s_movk_i32 s29, 0xa0
	s_movk_i32 s30, 0xb0
	;; [unrolled: 1-line block ×7, first 2 shown]
	s_mov_b32 s26, 16
	s_mov_b32 s25, 32
	;; [unrolled: 1-line block ×3, first 2 shown]
	s_waitcnt lgkmcnt(0)
	v_add3_u32 v9, s19, s19, v0
	s_ashr_i32 s13, s18, 31
	s_mov_b32 s12, s18
	s_add_u32 s16, s16, s6
	s_addc_u32 s17, s17, s7
	v_add_nc_u32_e32 v11, s19, v9
	s_lshl_b64 s[6:7], s[12:13], 4
	v_ashrrev_i32_e32 v10, 31, v9
	s_add_u32 s6, s16, s6
	s_addc_u32 s7, s17, s7
	v_add_nc_u32_e32 v15, s19, v11
	v_ashrrev_i32_e32 v12, 31, v11
	v_add_co_u32 v7, s16, s6, v41
	s_mov_b32 s12, s19
	v_add_nc_u32_e32 v19, s19, v15
	s_ashr_i32 s13, s19, 31
	v_lshlrev_b64 v[13:14], 4, v[9:10]
	v_add_co_ci_u32_e64 v8, null, s7, 0, s16
	v_add_nc_u32_e32 v21, s19, v19
	s_lshl_b64 s[12:13], s[12:13], 4
	v_lshlrev_b64 v[17:18], 4, v[11:12]
	v_add_co_u32 v9, vcc_lo, v7, s12
	v_ashrrev_i32_e32 v20, 31, v19
	v_ashrrev_i32_e32 v22, 31, v21
	v_add_nc_u32_e32 v23, s19, v21
	v_add_co_ci_u32_e64 v10, null, s13, v8, vcc_lo
	v_add_co_u32 v11, vcc_lo, s6, v13
	v_add_co_ci_u32_e64 v12, null, s7, v14, vcc_lo
	v_add_co_u32 v13, vcc_lo, s6, v17
	v_ashrrev_i32_e32 v16, 31, v15
	v_add_co_ci_u32_e64 v14, null, s7, v18, vcc_lo
	v_lshlrev_b64 v[17:18], 4, v[19:20]
	v_lshlrev_b64 v[19:20], 4, v[21:22]
	v_add_nc_u32_e32 v21, s19, v23
	v_lshlrev_b64 v[15:16], 4, v[15:16]
	v_ashrrev_i32_e32 v24, 31, v23
	s_clause 0x2
	global_load_dwordx4 v[3:6], v41, s[6:7]
	global_load_dwordx4 v[35:38], v[9:10], off
	global_load_dwordx4 v[42:45], v[11:12], off
	v_add_nc_u32_e32 v25, s19, v21
	v_ashrrev_i32_e32 v22, 31, v21
	v_add_co_u32 v15, vcc_lo, s6, v15
	v_lshlrev_b64 v[23:24], 4, v[23:24]
	v_add_nc_u32_e32 v29, s19, v25
	v_add_co_ci_u32_e64 v16, null, s7, v16, vcc_lo
	v_add_co_u32 v17, vcc_lo, s6, v17
	v_lshlrev_b64 v[27:28], 4, v[21:22]
	v_add_co_ci_u32_e64 v18, null, s7, v18, vcc_lo
	v_add_co_u32 v19, vcc_lo, s6, v19
	v_ashrrev_i32_e32 v30, 31, v29
	v_add_nc_u32_e32 v31, s19, v29
	v_add_co_ci_u32_e64 v20, null, s7, v20, vcc_lo
	v_add_co_u32 v21, vcc_lo, s6, v23
	v_add_co_ci_u32_e64 v22, null, s7, v24, vcc_lo
	v_add_co_u32 v23, vcc_lo, s6, v27
	v_add_co_ci_u32_e64 v24, null, s7, v28, vcc_lo
	v_lshlrev_b64 v[27:28], 4, v[29:30]
	v_add_nc_u32_e32 v29, s19, v31
	v_ashrrev_i32_e32 v26, 31, v25
	v_ashrrev_i32_e32 v32, 31, v31
	s_clause 0x3
	global_load_dwordx4 v[46:49], v[13:14], off
	global_load_dwordx4 v[50:53], v[15:16], off
	;; [unrolled: 1-line block ×4, first 2 shown]
	v_add_nc_u32_e32 v33, s19, v29
	v_lshlrev_b64 v[25:26], 4, v[25:26]
	v_ashrrev_i32_e32 v30, 31, v29
	v_lshlrev_b64 v[31:32], 4, v[31:32]
	s_clause 0x1
	global_load_dwordx4 v[62:65], v[21:22], off
	global_load_dwordx4 v[66:69], v[23:24], off
	v_ashrrev_i32_e32 v34, 31, v33
	s_movk_i32 s19, 0x80
	v_add_co_u32 v25, vcc_lo, s6, v25
	v_lshlrev_b64 v[39:40], 4, v[29:30]
	v_add_co_ci_u32_e64 v26, null, s7, v26, vcc_lo
	v_add_co_u32 v27, vcc_lo, s6, v27
	v_lshlrev_b64 v[33:34], 4, v[33:34]
	v_add_co_ci_u32_e64 v28, null, s7, v28, vcc_lo
	v_add_co_u32 v29, vcc_lo, s6, v31
	v_add_co_ci_u32_e64 v30, null, s7, v32, vcc_lo
	v_add_co_u32 v31, vcc_lo, s6, v39
	;; [unrolled: 2-line block ×3, first 2 shown]
	v_add_co_ci_u32_e64 v34, null, s7, v34, vcc_lo
	s_clause 0x4
	global_load_dwordx4 v[70:73], v[25:26], off
	global_load_dwordx4 v[74:77], v[27:28], off
	;; [unrolled: 1-line block ×5, first 2 shown]
	s_movk_i32 s18, 0x90
	s_mov_b32 s7, -1
	s_mov_b32 s23, 64
	s_mov_b32 s17, s29
	;; [unrolled: 1-line block ×5, first 2 shown]
	s_bitcmp0_b32 s28, 0
	s_waitcnt vmcnt(13)
	buffer_store_dword v6, off, s[0:3], 0 offset:12
	buffer_store_dword v5, off, s[0:3], 0 offset:8
	;; [unrolled: 1-line block ×3, first 2 shown]
	buffer_store_dword v3, off, s[0:3], 0
	s_waitcnt vmcnt(12)
	buffer_store_dword v38, off, s[0:3], 0 offset:28
	buffer_store_dword v37, off, s[0:3], 0 offset:24
	buffer_store_dword v36, off, s[0:3], 0 offset:20
	buffer_store_dword v35, off, s[0:3], 0 offset:16
	s_waitcnt vmcnt(11)
	buffer_store_dword v45, off, s[0:3], 0 offset:44
	buffer_store_dword v44, off, s[0:3], 0 offset:40
	buffer_store_dword v43, off, s[0:3], 0 offset:36
	buffer_store_dword v42, off, s[0:3], 0 offset:32
	;; [unrolled: 5-line block ×13, first 2 shown]
	s_cbranch_scc1 .LBB13_68
; %bb.4:
	v_cmp_eq_u32_e64 s6, 0, v0
	s_and_saveexec_b32 s7, s6
; %bb.5:
	v_mov_b32_e32 v3, 0
	ds_write_b32 v3, v3 offset:448
; %bb.6:
	s_or_b32 exec_lo, exec_lo, s7
	v_lshl_add_u32 v42, v0, 4, 0
	s_waitcnt lgkmcnt(0)
	s_waitcnt_vscnt null, 0x0
	s_barrier
	buffer_gl0_inv
	s_clause 0x3
	buffer_load_dword v3, v42, s[0:3], 0 offen
	buffer_load_dword v4, v42, s[0:3], 0 offen offset:4
	buffer_load_dword v5, v42, s[0:3], 0 offen offset:8
	;; [unrolled: 1-line block ×3, first 2 shown]
	s_waitcnt vmcnt(2)
	v_cmp_eq_f64_e32 vcc_lo, 0, v[3:4]
	s_waitcnt vmcnt(0)
	v_cmp_eq_f64_e64 s7, 0, v[5:6]
	s_and_b32 s7, vcc_lo, s7
	s_and_saveexec_b32 s28, s7
	s_cbranch_execz .LBB13_10
; %bb.7:
	v_mov_b32_e32 v3, 0
	s_mov_b32 s29, 0
	ds_read_b32 v4, v3 offset:448
	s_waitcnt lgkmcnt(0)
	v_readfirstlane_b32 s7, v4
	v_add_nc_u32_e32 v4, 1, v0
	s_cmp_eq_u32 s7, 0
	v_cmp_gt_i32_e32 vcc_lo, s7, v4
	s_cselect_b32 s30, -1, 0
	s_or_b32 s30, s30, vcc_lo
	s_and_b32 exec_lo, exec_lo, s30
	s_cbranch_execz .LBB13_10
; %bb.8:
	v_mov_b32_e32 v5, s7
.LBB13_9:                               ; =>This Inner Loop Header: Depth=1
	ds_cmpst_rtn_b32 v5, v3, v5, v4 offset:448
	s_waitcnt lgkmcnt(0)
	v_cmp_ne_u32_e32 vcc_lo, 0, v5
	v_cmp_le_i32_e64 s7, v5, v4
	s_and_b32 s7, vcc_lo, s7
	s_and_b32 s7, exec_lo, s7
	s_or_b32 s29, s7, s29
	s_andn2_b32 exec_lo, exec_lo, s29
	s_cbranch_execnz .LBB13_9
.LBB13_10:
	s_or_b32 exec_lo, exec_lo, s28
	v_mov_b32_e32 v3, 0
	s_barrier
	buffer_gl0_inv
	ds_read_b32 v4, v3 offset:448
	s_and_saveexec_b32 s7, s6
	s_cbranch_execz .LBB13_12
; %bb.11:
	s_lshl_b64 s[28:29], s[8:9], 2
	s_add_u32 s28, s14, s28
	s_addc_u32 s29, s15, s29
	s_waitcnt lgkmcnt(0)
	global_store_dword v3, v4, s[28:29]
.LBB13_12:
	s_or_b32 exec_lo, exec_lo, s7
	s_waitcnt lgkmcnt(0)
	v_cmp_ne_u32_e32 vcc_lo, 0, v4
	s_mov_b32 s7, 0
	s_cbranch_vccnz .LBB13_68
; %bb.13:
	s_clause 0x3
	buffer_load_dword v37, v42, s[0:3], 0 offen
	buffer_load_dword v38, v42, s[0:3], 0 offen offset:4
	buffer_load_dword v39, v42, s[0:3], 0 offen offset:8
	;; [unrolled: 1-line block ×3, first 2 shown]
                                        ; implicit-def: $vgpr35_vgpr36
                                        ; implicit-def: $vgpr5_vgpr6
	s_waitcnt vmcnt(0)
	v_cmp_ngt_f64_e64 s7, |v[37:38]|, |v[39:40]|
	s_and_saveexec_b32 s28, s7
	s_xor_b32 s7, exec_lo, s28
	s_cbranch_execz .LBB13_15
; %bb.14:
	v_div_scale_f64 v[3:4], null, v[39:40], v[39:40], v[37:38]
	v_div_scale_f64 v[43:44], vcc_lo, v[37:38], v[39:40], v[37:38]
	v_rcp_f64_e32 v[5:6], v[3:4]
	v_fma_f64 v[35:36], -v[3:4], v[5:6], 1.0
	v_fma_f64 v[5:6], v[5:6], v[35:36], v[5:6]
	v_fma_f64 v[35:36], -v[3:4], v[5:6], 1.0
	v_fma_f64 v[5:6], v[5:6], v[35:36], v[5:6]
	v_mul_f64 v[35:36], v[43:44], v[5:6]
	v_fma_f64 v[3:4], -v[3:4], v[35:36], v[43:44]
	v_div_fmas_f64 v[3:4], v[3:4], v[5:6], v[35:36]
	v_div_fixup_f64 v[3:4], v[3:4], v[39:40], v[37:38]
	v_fma_f64 v[5:6], v[37:38], v[3:4], v[39:40]
	v_div_scale_f64 v[35:36], null, v[5:6], v[5:6], 1.0
	v_div_scale_f64 v[43:44], vcc_lo, 1.0, v[5:6], 1.0
	v_rcp_f64_e32 v[37:38], v[35:36]
	v_fma_f64 v[39:40], -v[35:36], v[37:38], 1.0
	v_fma_f64 v[37:38], v[37:38], v[39:40], v[37:38]
	v_fma_f64 v[39:40], -v[35:36], v[37:38], 1.0
	v_fma_f64 v[37:38], v[37:38], v[39:40], v[37:38]
	v_mul_f64 v[39:40], v[43:44], v[37:38]
	v_fma_f64 v[35:36], -v[35:36], v[39:40], v[43:44]
	v_div_fmas_f64 v[35:36], v[35:36], v[37:38], v[39:40]
                                        ; implicit-def: $vgpr37_vgpr38
                                        ; implicit-def: $vgpr39_vgpr40
	v_div_fixup_f64 v[5:6], v[35:36], v[5:6], 1.0
	v_mul_f64 v[35:36], v[3:4], v[5:6]
	v_xor_b32_e32 v6, 0x80000000, v6
	v_xor_b32_e32 v4, 0x80000000, v36
	v_mov_b32_e32 v3, v35
.LBB13_15:
	s_andn2_saveexec_b32 s7, s7
	s_cbranch_execz .LBB13_17
; %bb.16:
	v_div_scale_f64 v[3:4], null, v[37:38], v[37:38], v[39:40]
	v_div_scale_f64 v[43:44], vcc_lo, v[39:40], v[37:38], v[39:40]
	v_rcp_f64_e32 v[5:6], v[3:4]
	v_fma_f64 v[35:36], -v[3:4], v[5:6], 1.0
	v_fma_f64 v[5:6], v[5:6], v[35:36], v[5:6]
	v_fma_f64 v[35:36], -v[3:4], v[5:6], 1.0
	v_fma_f64 v[5:6], v[5:6], v[35:36], v[5:6]
	v_mul_f64 v[35:36], v[43:44], v[5:6]
	v_fma_f64 v[3:4], -v[3:4], v[35:36], v[43:44]
	v_div_fmas_f64 v[3:4], v[3:4], v[5:6], v[35:36]
	v_div_fixup_f64 v[3:4], v[3:4], v[37:38], v[39:40]
	v_fma_f64 v[5:6], v[39:40], v[3:4], v[37:38]
	v_div_scale_f64 v[35:36], null, v[5:6], v[5:6], 1.0
	v_rcp_f64_e32 v[37:38], v[35:36]
	v_fma_f64 v[39:40], -v[35:36], v[37:38], 1.0
	v_fma_f64 v[37:38], v[37:38], v[39:40], v[37:38]
	v_fma_f64 v[39:40], -v[35:36], v[37:38], 1.0
	v_fma_f64 v[37:38], v[37:38], v[39:40], v[37:38]
	v_div_scale_f64 v[39:40], vcc_lo, 1.0, v[5:6], 1.0
	v_mul_f64 v[43:44], v[39:40], v[37:38]
	v_fma_f64 v[35:36], -v[35:36], v[43:44], v[39:40]
	v_div_fmas_f64 v[35:36], v[35:36], v[37:38], v[43:44]
	v_div_fixup_f64 v[35:36], v[35:36], v[5:6], 1.0
	v_mul_f64 v[5:6], v[3:4], -v[35:36]
	v_xor_b32_e32 v4, 0x80000000, v36
	v_mov_b32_e32 v3, v35
.LBB13_17:
	s_or_b32 exec_lo, exec_lo, s7
	v_mov_b32_e32 v40, s26
	buffer_store_dword v36, v42, s[0:3], 0 offen offset:4
	buffer_store_dword v35, v42, s[0:3], 0 offen
	buffer_store_dword v6, v42, s[0:3], 0 offen offset:12
	buffer_store_dword v5, v42, s[0:3], 0 offen offset:8
	v_xor_b32_e32 v6, 0x80000000, v6
	v_add_nc_u32_e32 v35, 0xe0, v41
	s_clause 0x3
	buffer_load_dword v39, v40, s[0:3], 0 offen offset:12
	buffer_load_dword v38, v40, s[0:3], 0 offen offset:8
	;; [unrolled: 1-line block ×3, first 2 shown]
	buffer_load_dword v36, v40, s[0:3], 0 offen
	ds_write_b128 v41, v[3:6]
	s_waitcnt vmcnt(0)
	ds_write_b128 v41, v[36:39] offset:224
	s_waitcnt lgkmcnt(0)
	s_waitcnt_vscnt null, 0x0
	s_barrier
	buffer_gl0_inv
	s_and_saveexec_b32 s7, s6
	s_cbranch_execz .LBB13_19
; %bb.18:
	s_clause 0x3
	buffer_load_dword v43, v42, s[0:3], 0 offen offset:8
	buffer_load_dword v44, v42, s[0:3], 0 offen offset:12
	buffer_load_dword v45, v42, s[0:3], 0 offen
	buffer_load_dword v46, v42, s[0:3], 0 offen offset:4
	ds_read_b128 v[3:6], v35
	v_mov_b32_e32 v36, 0
	ds_read_b128 v[36:39], v36 offset:16
	s_waitcnt vmcnt(2) lgkmcnt(1)
	v_mul_f64 v[47:48], v[3:4], v[43:44]
	v_mul_f64 v[43:44], v[5:6], v[43:44]
	s_waitcnt vmcnt(0)
	v_fma_f64 v[5:6], v[5:6], v[45:46], v[47:48]
	v_fma_f64 v[3:4], v[3:4], v[45:46], -v[43:44]
	v_add_f64 v[5:6], v[5:6], 0
	v_add_f64 v[3:4], v[3:4], 0
	s_waitcnt lgkmcnt(0)
	v_mul_f64 v[43:44], v[5:6], v[38:39]
	v_mul_f64 v[38:39], v[3:4], v[38:39]
	v_fma_f64 v[3:4], v[3:4], v[36:37], -v[43:44]
	v_fma_f64 v[5:6], v[5:6], v[36:37], v[38:39]
	buffer_store_dword v3, off, s[0:3], 0 offset:16
	buffer_store_dword v4, off, s[0:3], 0 offset:20
	;; [unrolled: 1-line block ×4, first 2 shown]
.LBB13_19:
	s_or_b32 exec_lo, exec_lo, s7
	v_mov_b32_e32 v6, s25
	s_waitcnt_vscnt null, 0x0
	s_barrier
	buffer_gl0_inv
	s_mov_b32 s7, exec_lo
	s_clause 0x3
	buffer_load_dword v3, v6, s[0:3], 0 offen
	buffer_load_dword v4, v6, s[0:3], 0 offen offset:4
	buffer_load_dword v5, v6, s[0:3], 0 offen offset:8
	;; [unrolled: 1-line block ×3, first 2 shown]
	s_waitcnt vmcnt(0)
	ds_write_b128 v35, v[3:6]
	s_waitcnt lgkmcnt(0)
	s_barrier
	buffer_gl0_inv
	v_cmpx_gt_u32_e32 2, v0
	s_cbranch_execz .LBB13_23
; %bb.20:
	s_clause 0x3
	buffer_load_dword v36, v42, s[0:3], 0 offen offset:8
	buffer_load_dword v37, v42, s[0:3], 0 offen offset:12
	buffer_load_dword v38, v42, s[0:3], 0 offen
	buffer_load_dword v39, v42, s[0:3], 0 offen offset:4
	ds_read_b128 v[3:6], v35
	s_waitcnt vmcnt(2) lgkmcnt(0)
	v_mul_f64 v[42:43], v[5:6], v[36:37]
	v_mul_f64 v[36:37], v[3:4], v[36:37]
	s_waitcnt vmcnt(0)
	v_fma_f64 v[3:4], v[3:4], v[38:39], -v[42:43]
	v_fma_f64 v[5:6], v[5:6], v[38:39], v[36:37]
	v_add_f64 v[3:4], v[3:4], 0
	v_add_f64 v[5:6], v[5:6], 0
	s_and_saveexec_b32 s28, s6
	s_cbranch_execz .LBB13_22
; %bb.21:
	s_clause 0x3
	buffer_load_dword v42, off, s[0:3], 0 offset:24
	buffer_load_dword v43, off, s[0:3], 0 offset:28
	;; [unrolled: 1-line block ×4, first 2 shown]
	v_mov_b32_e32 v36, 0
	ds_read_b128 v[36:39], v36 offset:240
	s_waitcnt vmcnt(2) lgkmcnt(0)
	v_mul_f64 v[46:47], v[36:37], v[42:43]
	v_mul_f64 v[42:43], v[38:39], v[42:43]
	s_waitcnt vmcnt(0)
	v_fma_f64 v[38:39], v[38:39], v[44:45], v[46:47]
	v_fma_f64 v[36:37], v[36:37], v[44:45], -v[42:43]
	v_add_f64 v[5:6], v[5:6], v[38:39]
	v_add_f64 v[3:4], v[3:4], v[36:37]
.LBB13_22:
	s_or_b32 exec_lo, exec_lo, s28
	v_mov_b32_e32 v36, 0
	ds_read_b128 v[36:39], v36 offset:32
	s_waitcnt lgkmcnt(0)
	v_mul_f64 v[42:43], v[5:6], v[38:39]
	v_mul_f64 v[38:39], v[3:4], v[38:39]
	v_fma_f64 v[3:4], v[3:4], v[36:37], -v[42:43]
	v_fma_f64 v[5:6], v[5:6], v[36:37], v[38:39]
	buffer_store_dword v4, off, s[0:3], 0 offset:36
	buffer_store_dword v3, off, s[0:3], 0 offset:32
	;; [unrolled: 1-line block ×4, first 2 shown]
.LBB13_23:
	s_or_b32 exec_lo, exec_lo, s7
	v_mov_b32_e32 v6, s24
	s_waitcnt_vscnt null, 0x0
	s_barrier
	buffer_gl0_inv
	v_add_nc_u32_e32 v36, -1, v0
	s_clause 0x3
	buffer_load_dword v3, v6, s[0:3], 0 offen
	buffer_load_dword v4, v6, s[0:3], 0 offen offset:4
	buffer_load_dword v5, v6, s[0:3], 0 offen offset:8
	;; [unrolled: 1-line block ×3, first 2 shown]
	s_mov_b32 s6, exec_lo
	s_waitcnt vmcnt(0)
	ds_write_b128 v35, v[3:6]
	s_waitcnt lgkmcnt(0)
	s_barrier
	buffer_gl0_inv
	v_cmpx_gt_u32_e32 3, v0
	s_cbranch_execz .LBB13_27
; %bb.24:
	v_mov_b32_e32 v3, 0
	v_mov_b32_e32 v5, 0
	v_add_nc_u32_e32 v37, -1, v0
	v_add_nc_u32_e32 v38, 0xe0, v41
	v_mov_b32_e32 v4, 0
	v_mov_b32_e32 v6, 0
	;; [unrolled: 1-line block ×3, first 2 shown]
	s_mov_b32 s7, 0
	.p2align	6
.LBB13_25:                              ; =>This Inner Loop Header: Depth=1
	s_clause 0x3
	buffer_load_dword v46, v39, s[0:3], 0 offen offset:8
	buffer_load_dword v47, v39, s[0:3], 0 offen offset:12
	buffer_load_dword v48, v39, s[0:3], 0 offen
	buffer_load_dword v49, v39, s[0:3], 0 offen offset:4
	ds_read_b128 v[42:45], v38
	v_add_nc_u32_e32 v37, 1, v37
	v_add_nc_u32_e32 v38, 16, v38
	;; [unrolled: 1-line block ×3, first 2 shown]
	v_cmp_lt_u32_e32 vcc_lo, 1, v37
	s_or_b32 s7, vcc_lo, s7
	s_waitcnt vmcnt(2) lgkmcnt(0)
	v_mul_f64 v[50:51], v[44:45], v[46:47]
	v_mul_f64 v[46:47], v[42:43], v[46:47]
	s_waitcnt vmcnt(0)
	v_fma_f64 v[42:43], v[42:43], v[48:49], -v[50:51]
	v_fma_f64 v[44:45], v[44:45], v[48:49], v[46:47]
	v_add_f64 v[5:6], v[5:6], v[42:43]
	v_add_f64 v[3:4], v[3:4], v[44:45]
	s_andn2_b32 exec_lo, exec_lo, s7
	s_cbranch_execnz .LBB13_25
; %bb.26:
	s_or_b32 exec_lo, exec_lo, s7
	v_mov_b32_e32 v37, 0
	ds_read_b128 v[37:40], v37 offset:48
	s_waitcnt lgkmcnt(0)
	v_mul_f64 v[42:43], v[3:4], v[39:40]
	v_mul_f64 v[39:40], v[5:6], v[39:40]
	v_fma_f64 v[5:6], v[5:6], v[37:38], -v[42:43]
	v_fma_f64 v[3:4], v[3:4], v[37:38], v[39:40]
	buffer_store_dword v6, off, s[0:3], 0 offset:52
	buffer_store_dword v5, off, s[0:3], 0 offset:48
	;; [unrolled: 1-line block ×4, first 2 shown]
.LBB13_27:
	s_or_b32 exec_lo, exec_lo, s6
	v_mov_b32_e32 v6, s23
	s_waitcnt_vscnt null, 0x0
	s_barrier
	buffer_gl0_inv
	s_mov_b32 s6, exec_lo
	s_clause 0x3
	buffer_load_dword v3, v6, s[0:3], 0 offen
	buffer_load_dword v4, v6, s[0:3], 0 offen offset:4
	buffer_load_dword v5, v6, s[0:3], 0 offen offset:8
	buffer_load_dword v6, v6, s[0:3], 0 offen offset:12
	s_waitcnt vmcnt(0)
	ds_write_b128 v35, v[3:6]
	s_waitcnt lgkmcnt(0)
	s_barrier
	buffer_gl0_inv
	v_cmpx_gt_u32_e32 4, v0
	s_cbranch_execz .LBB13_31
; %bb.28:
	v_mov_b32_e32 v3, 0
	v_mov_b32_e32 v5, 0
	v_add_nc_u32_e32 v37, -1, v0
	v_add_nc_u32_e32 v38, 0xe0, v41
	v_mov_b32_e32 v4, 0
	v_mov_b32_e32 v6, 0
	;; [unrolled: 1-line block ×3, first 2 shown]
	s_mov_b32 s7, 0
	.p2align	6
.LBB13_29:                              ; =>This Inner Loop Header: Depth=1
	s_clause 0x3
	buffer_load_dword v46, v39, s[0:3], 0 offen offset:8
	buffer_load_dword v47, v39, s[0:3], 0 offen offset:12
	buffer_load_dword v48, v39, s[0:3], 0 offen
	buffer_load_dword v49, v39, s[0:3], 0 offen offset:4
	ds_read_b128 v[42:45], v38
	v_add_nc_u32_e32 v37, 1, v37
	v_add_nc_u32_e32 v38, 16, v38
	;; [unrolled: 1-line block ×3, first 2 shown]
	v_cmp_lt_u32_e32 vcc_lo, 2, v37
	s_or_b32 s7, vcc_lo, s7
	s_waitcnt vmcnt(2) lgkmcnt(0)
	v_mul_f64 v[50:51], v[44:45], v[46:47]
	v_mul_f64 v[46:47], v[42:43], v[46:47]
	s_waitcnt vmcnt(0)
	v_fma_f64 v[42:43], v[42:43], v[48:49], -v[50:51]
	v_fma_f64 v[44:45], v[44:45], v[48:49], v[46:47]
	v_add_f64 v[5:6], v[5:6], v[42:43]
	v_add_f64 v[3:4], v[3:4], v[44:45]
	s_andn2_b32 exec_lo, exec_lo, s7
	s_cbranch_execnz .LBB13_29
; %bb.30:
	s_or_b32 exec_lo, exec_lo, s7
	v_mov_b32_e32 v37, 0
	ds_read_b128 v[37:40], v37 offset:64
	s_waitcnt lgkmcnt(0)
	v_mul_f64 v[42:43], v[3:4], v[39:40]
	v_mul_f64 v[39:40], v[5:6], v[39:40]
	v_fma_f64 v[5:6], v[5:6], v[37:38], -v[42:43]
	v_fma_f64 v[3:4], v[3:4], v[37:38], v[39:40]
	buffer_store_dword v6, off, s[0:3], 0 offset:68
	buffer_store_dword v5, off, s[0:3], 0 offset:64
	;; [unrolled: 1-line block ×4, first 2 shown]
.LBB13_31:
	s_or_b32 exec_lo, exec_lo, s6
	v_mov_b32_e32 v6, s22
	s_waitcnt_vscnt null, 0x0
	s_barrier
	buffer_gl0_inv
	s_mov_b32 s6, exec_lo
	s_clause 0x3
	buffer_load_dword v3, v6, s[0:3], 0 offen
	buffer_load_dword v4, v6, s[0:3], 0 offen offset:4
	buffer_load_dword v5, v6, s[0:3], 0 offen offset:8
	;; [unrolled: 1-line block ×3, first 2 shown]
	s_waitcnt vmcnt(0)
	ds_write_b128 v35, v[3:6]
	s_waitcnt lgkmcnt(0)
	s_barrier
	buffer_gl0_inv
	v_cmpx_gt_u32_e32 5, v0
	s_cbranch_execz .LBB13_35
; %bb.32:
	v_mov_b32_e32 v3, 0
	v_mov_b32_e32 v5, 0
	v_add_nc_u32_e32 v37, -1, v0
	v_add_nc_u32_e32 v38, 0xe0, v41
	v_mov_b32_e32 v4, 0
	v_mov_b32_e32 v6, 0
	;; [unrolled: 1-line block ×3, first 2 shown]
	s_mov_b32 s7, 0
	.p2align	6
.LBB13_33:                              ; =>This Inner Loop Header: Depth=1
	s_clause 0x3
	buffer_load_dword v46, v39, s[0:3], 0 offen offset:8
	buffer_load_dword v47, v39, s[0:3], 0 offen offset:12
	buffer_load_dword v48, v39, s[0:3], 0 offen
	buffer_load_dword v49, v39, s[0:3], 0 offen offset:4
	ds_read_b128 v[42:45], v38
	v_add_nc_u32_e32 v37, 1, v37
	v_add_nc_u32_e32 v38, 16, v38
	;; [unrolled: 1-line block ×3, first 2 shown]
	v_cmp_lt_u32_e32 vcc_lo, 3, v37
	s_or_b32 s7, vcc_lo, s7
	s_waitcnt vmcnt(2) lgkmcnt(0)
	v_mul_f64 v[50:51], v[44:45], v[46:47]
	v_mul_f64 v[46:47], v[42:43], v[46:47]
	s_waitcnt vmcnt(0)
	v_fma_f64 v[42:43], v[42:43], v[48:49], -v[50:51]
	v_fma_f64 v[44:45], v[44:45], v[48:49], v[46:47]
	v_add_f64 v[5:6], v[5:6], v[42:43]
	v_add_f64 v[3:4], v[3:4], v[44:45]
	s_andn2_b32 exec_lo, exec_lo, s7
	s_cbranch_execnz .LBB13_33
; %bb.34:
	s_or_b32 exec_lo, exec_lo, s7
	v_mov_b32_e32 v37, 0
	ds_read_b128 v[37:40], v37 offset:80
	s_waitcnt lgkmcnt(0)
	v_mul_f64 v[42:43], v[3:4], v[39:40]
	v_mul_f64 v[39:40], v[5:6], v[39:40]
	v_fma_f64 v[5:6], v[5:6], v[37:38], -v[42:43]
	v_fma_f64 v[3:4], v[3:4], v[37:38], v[39:40]
	buffer_store_dword v6, off, s[0:3], 0 offset:84
	buffer_store_dword v5, off, s[0:3], 0 offset:80
	buffer_store_dword v4, off, s[0:3], 0 offset:92
	buffer_store_dword v3, off, s[0:3], 0 offset:88
.LBB13_35:
	s_or_b32 exec_lo, exec_lo, s6
	v_mov_b32_e32 v6, s21
	s_waitcnt_vscnt null, 0x0
	s_barrier
	buffer_gl0_inv
	s_mov_b32 s6, exec_lo
	s_clause 0x3
	buffer_load_dword v3, v6, s[0:3], 0 offen
	buffer_load_dword v4, v6, s[0:3], 0 offen offset:4
	buffer_load_dword v5, v6, s[0:3], 0 offen offset:8
	;; [unrolled: 1-line block ×3, first 2 shown]
	s_waitcnt vmcnt(0)
	ds_write_b128 v35, v[3:6]
	s_waitcnt lgkmcnt(0)
	s_barrier
	buffer_gl0_inv
	v_cmpx_gt_u32_e32 6, v0
	s_cbranch_execz .LBB13_39
; %bb.36:
	v_mov_b32_e32 v3, 0
	v_mov_b32_e32 v5, 0
	v_add_nc_u32_e32 v37, -1, v0
	v_add_nc_u32_e32 v38, 0xe0, v41
	v_mov_b32_e32 v4, 0
	v_mov_b32_e32 v6, 0
	;; [unrolled: 1-line block ×3, first 2 shown]
	s_mov_b32 s7, 0
	.p2align	6
.LBB13_37:                              ; =>This Inner Loop Header: Depth=1
	s_clause 0x3
	buffer_load_dword v46, v39, s[0:3], 0 offen offset:8
	buffer_load_dword v47, v39, s[0:3], 0 offen offset:12
	buffer_load_dword v48, v39, s[0:3], 0 offen
	buffer_load_dword v49, v39, s[0:3], 0 offen offset:4
	ds_read_b128 v[42:45], v38
	v_add_nc_u32_e32 v37, 1, v37
	v_add_nc_u32_e32 v38, 16, v38
	;; [unrolled: 1-line block ×3, first 2 shown]
	v_cmp_lt_u32_e32 vcc_lo, 4, v37
	s_or_b32 s7, vcc_lo, s7
	s_waitcnt vmcnt(2) lgkmcnt(0)
	v_mul_f64 v[50:51], v[44:45], v[46:47]
	v_mul_f64 v[46:47], v[42:43], v[46:47]
	s_waitcnt vmcnt(0)
	v_fma_f64 v[42:43], v[42:43], v[48:49], -v[50:51]
	v_fma_f64 v[44:45], v[44:45], v[48:49], v[46:47]
	v_add_f64 v[5:6], v[5:6], v[42:43]
	v_add_f64 v[3:4], v[3:4], v[44:45]
	s_andn2_b32 exec_lo, exec_lo, s7
	s_cbranch_execnz .LBB13_37
; %bb.38:
	s_or_b32 exec_lo, exec_lo, s7
	v_mov_b32_e32 v37, 0
	ds_read_b128 v[37:40], v37 offset:96
	s_waitcnt lgkmcnt(0)
	v_mul_f64 v[42:43], v[3:4], v[39:40]
	v_mul_f64 v[39:40], v[5:6], v[39:40]
	v_fma_f64 v[5:6], v[5:6], v[37:38], -v[42:43]
	v_fma_f64 v[3:4], v[3:4], v[37:38], v[39:40]
	buffer_store_dword v6, off, s[0:3], 0 offset:100
	buffer_store_dword v5, off, s[0:3], 0 offset:96
	;; [unrolled: 1-line block ×4, first 2 shown]
.LBB13_39:
	s_or_b32 exec_lo, exec_lo, s6
	v_mov_b32_e32 v6, s20
	s_waitcnt_vscnt null, 0x0
	s_barrier
	buffer_gl0_inv
	s_mov_b32 s6, exec_lo
	s_clause 0x3
	buffer_load_dword v3, v6, s[0:3], 0 offen
	buffer_load_dword v4, v6, s[0:3], 0 offen offset:4
	buffer_load_dword v5, v6, s[0:3], 0 offen offset:8
	;; [unrolled: 1-line block ×3, first 2 shown]
	s_waitcnt vmcnt(0)
	ds_write_b128 v35, v[3:6]
	s_waitcnt lgkmcnt(0)
	s_barrier
	buffer_gl0_inv
	v_cmpx_gt_u32_e32 7, v0
	s_cbranch_execz .LBB13_43
; %bb.40:
	v_mov_b32_e32 v3, 0
	v_mov_b32_e32 v5, 0
	v_add_nc_u32_e32 v37, -1, v0
	v_add_nc_u32_e32 v38, 0xe0, v41
	v_mov_b32_e32 v4, 0
	v_mov_b32_e32 v6, 0
	;; [unrolled: 1-line block ×3, first 2 shown]
	s_mov_b32 s7, 0
	.p2align	6
.LBB13_41:                              ; =>This Inner Loop Header: Depth=1
	s_clause 0x3
	buffer_load_dword v46, v39, s[0:3], 0 offen offset:8
	buffer_load_dword v47, v39, s[0:3], 0 offen offset:12
	buffer_load_dword v48, v39, s[0:3], 0 offen
	buffer_load_dword v49, v39, s[0:3], 0 offen offset:4
	ds_read_b128 v[42:45], v38
	v_add_nc_u32_e32 v37, 1, v37
	v_add_nc_u32_e32 v38, 16, v38
	;; [unrolled: 1-line block ×3, first 2 shown]
	v_cmp_lt_u32_e32 vcc_lo, 5, v37
	s_or_b32 s7, vcc_lo, s7
	s_waitcnt vmcnt(2) lgkmcnt(0)
	v_mul_f64 v[50:51], v[44:45], v[46:47]
	v_mul_f64 v[46:47], v[42:43], v[46:47]
	s_waitcnt vmcnt(0)
	v_fma_f64 v[42:43], v[42:43], v[48:49], -v[50:51]
	v_fma_f64 v[44:45], v[44:45], v[48:49], v[46:47]
	v_add_f64 v[5:6], v[5:6], v[42:43]
	v_add_f64 v[3:4], v[3:4], v[44:45]
	s_andn2_b32 exec_lo, exec_lo, s7
	s_cbranch_execnz .LBB13_41
; %bb.42:
	s_or_b32 exec_lo, exec_lo, s7
	v_mov_b32_e32 v37, 0
	ds_read_b128 v[37:40], v37 offset:112
	s_waitcnt lgkmcnt(0)
	v_mul_f64 v[42:43], v[3:4], v[39:40]
	v_mul_f64 v[39:40], v[5:6], v[39:40]
	v_fma_f64 v[5:6], v[5:6], v[37:38], -v[42:43]
	v_fma_f64 v[3:4], v[3:4], v[37:38], v[39:40]
	buffer_store_dword v6, off, s[0:3], 0 offset:116
	buffer_store_dword v5, off, s[0:3], 0 offset:112
	buffer_store_dword v4, off, s[0:3], 0 offset:124
	buffer_store_dword v3, off, s[0:3], 0 offset:120
.LBB13_43:
	s_or_b32 exec_lo, exec_lo, s6
	v_mov_b32_e32 v6, s19
	s_waitcnt_vscnt null, 0x0
	s_barrier
	buffer_gl0_inv
	s_mov_b32 s6, exec_lo
	s_clause 0x3
	buffer_load_dword v3, v6, s[0:3], 0 offen
	buffer_load_dword v4, v6, s[0:3], 0 offen offset:4
	buffer_load_dword v5, v6, s[0:3], 0 offen offset:8
	;; [unrolled: 1-line block ×3, first 2 shown]
	s_waitcnt vmcnt(0)
	ds_write_b128 v35, v[3:6]
	s_waitcnt lgkmcnt(0)
	s_barrier
	buffer_gl0_inv
	v_cmpx_gt_u32_e32 8, v0
	s_cbranch_execz .LBB13_47
; %bb.44:
	v_mov_b32_e32 v3, 0
	v_mov_b32_e32 v5, 0
	v_add_nc_u32_e32 v37, -1, v0
	v_add_nc_u32_e32 v38, 0xe0, v41
	v_mov_b32_e32 v4, 0
	v_mov_b32_e32 v6, 0
	;; [unrolled: 1-line block ×3, first 2 shown]
	s_mov_b32 s7, 0
	.p2align	6
.LBB13_45:                              ; =>This Inner Loop Header: Depth=1
	s_clause 0x3
	buffer_load_dword v46, v39, s[0:3], 0 offen offset:8
	buffer_load_dword v47, v39, s[0:3], 0 offen offset:12
	buffer_load_dword v48, v39, s[0:3], 0 offen
	buffer_load_dword v49, v39, s[0:3], 0 offen offset:4
	ds_read_b128 v[42:45], v38
	v_add_nc_u32_e32 v37, 1, v37
	v_add_nc_u32_e32 v38, 16, v38
	;; [unrolled: 1-line block ×3, first 2 shown]
	v_cmp_lt_u32_e32 vcc_lo, 6, v37
	s_or_b32 s7, vcc_lo, s7
	s_waitcnt vmcnt(2) lgkmcnt(0)
	v_mul_f64 v[50:51], v[44:45], v[46:47]
	v_mul_f64 v[46:47], v[42:43], v[46:47]
	s_waitcnt vmcnt(0)
	v_fma_f64 v[42:43], v[42:43], v[48:49], -v[50:51]
	v_fma_f64 v[44:45], v[44:45], v[48:49], v[46:47]
	v_add_f64 v[5:6], v[5:6], v[42:43]
	v_add_f64 v[3:4], v[3:4], v[44:45]
	s_andn2_b32 exec_lo, exec_lo, s7
	s_cbranch_execnz .LBB13_45
; %bb.46:
	s_or_b32 exec_lo, exec_lo, s7
	v_mov_b32_e32 v37, 0
	ds_read_b128 v[37:40], v37 offset:128
	s_waitcnt lgkmcnt(0)
	v_mul_f64 v[42:43], v[3:4], v[39:40]
	v_mul_f64 v[39:40], v[5:6], v[39:40]
	v_fma_f64 v[5:6], v[5:6], v[37:38], -v[42:43]
	v_fma_f64 v[3:4], v[3:4], v[37:38], v[39:40]
	buffer_store_dword v6, off, s[0:3], 0 offset:132
	buffer_store_dword v5, off, s[0:3], 0 offset:128
	;; [unrolled: 1-line block ×4, first 2 shown]
.LBB13_47:
	s_or_b32 exec_lo, exec_lo, s6
	v_mov_b32_e32 v6, s18
	s_waitcnt_vscnt null, 0x0
	s_barrier
	buffer_gl0_inv
	s_mov_b32 s6, exec_lo
	s_clause 0x3
	buffer_load_dword v3, v6, s[0:3], 0 offen
	buffer_load_dword v4, v6, s[0:3], 0 offen offset:4
	buffer_load_dword v5, v6, s[0:3], 0 offen offset:8
	buffer_load_dword v6, v6, s[0:3], 0 offen offset:12
	s_waitcnt vmcnt(0)
	ds_write_b128 v35, v[3:6]
	s_waitcnt lgkmcnt(0)
	s_barrier
	buffer_gl0_inv
	v_cmpx_gt_u32_e32 9, v0
	s_cbranch_execz .LBB13_51
; %bb.48:
	v_mov_b32_e32 v3, 0
	v_mov_b32_e32 v5, 0
	v_add_nc_u32_e32 v37, -1, v0
	v_add_nc_u32_e32 v38, 0xe0, v41
	v_mov_b32_e32 v4, 0
	v_mov_b32_e32 v6, 0
	;; [unrolled: 1-line block ×3, first 2 shown]
	s_mov_b32 s7, 0
	.p2align	6
.LBB13_49:                              ; =>This Inner Loop Header: Depth=1
	s_clause 0x3
	buffer_load_dword v46, v39, s[0:3], 0 offen offset:8
	buffer_load_dword v47, v39, s[0:3], 0 offen offset:12
	buffer_load_dword v48, v39, s[0:3], 0 offen
	buffer_load_dword v49, v39, s[0:3], 0 offen offset:4
	ds_read_b128 v[42:45], v38
	v_add_nc_u32_e32 v37, 1, v37
	v_add_nc_u32_e32 v38, 16, v38
	;; [unrolled: 1-line block ×3, first 2 shown]
	v_cmp_lt_u32_e32 vcc_lo, 7, v37
	s_or_b32 s7, vcc_lo, s7
	s_waitcnt vmcnt(2) lgkmcnt(0)
	v_mul_f64 v[50:51], v[44:45], v[46:47]
	v_mul_f64 v[46:47], v[42:43], v[46:47]
	s_waitcnt vmcnt(0)
	v_fma_f64 v[42:43], v[42:43], v[48:49], -v[50:51]
	v_fma_f64 v[44:45], v[44:45], v[48:49], v[46:47]
	v_add_f64 v[5:6], v[5:6], v[42:43]
	v_add_f64 v[3:4], v[3:4], v[44:45]
	s_andn2_b32 exec_lo, exec_lo, s7
	s_cbranch_execnz .LBB13_49
; %bb.50:
	s_or_b32 exec_lo, exec_lo, s7
	v_mov_b32_e32 v37, 0
	ds_read_b128 v[37:40], v37 offset:144
	s_waitcnt lgkmcnt(0)
	v_mul_f64 v[42:43], v[3:4], v[39:40]
	v_mul_f64 v[39:40], v[5:6], v[39:40]
	v_fma_f64 v[5:6], v[5:6], v[37:38], -v[42:43]
	v_fma_f64 v[3:4], v[3:4], v[37:38], v[39:40]
	buffer_store_dword v6, off, s[0:3], 0 offset:148
	buffer_store_dword v5, off, s[0:3], 0 offset:144
	;; [unrolled: 1-line block ×4, first 2 shown]
.LBB13_51:
	s_or_b32 exec_lo, exec_lo, s6
	v_mov_b32_e32 v6, s17
	s_waitcnt_vscnt null, 0x0
	s_barrier
	buffer_gl0_inv
	s_mov_b32 s6, exec_lo
	s_clause 0x3
	buffer_load_dword v3, v6, s[0:3], 0 offen
	buffer_load_dword v4, v6, s[0:3], 0 offen offset:4
	buffer_load_dword v5, v6, s[0:3], 0 offen offset:8
	;; [unrolled: 1-line block ×3, first 2 shown]
	s_waitcnt vmcnt(0)
	ds_write_b128 v35, v[3:6]
	s_waitcnt lgkmcnt(0)
	s_barrier
	buffer_gl0_inv
	v_cmpx_gt_u32_e32 10, v0
	s_cbranch_execz .LBB13_55
; %bb.52:
	v_mov_b32_e32 v3, 0
	v_mov_b32_e32 v5, 0
	v_add_nc_u32_e32 v37, -1, v0
	v_add_nc_u32_e32 v38, 0xe0, v41
	v_mov_b32_e32 v4, 0
	v_mov_b32_e32 v6, 0
	;; [unrolled: 1-line block ×3, first 2 shown]
	s_mov_b32 s7, 0
	.p2align	6
.LBB13_53:                              ; =>This Inner Loop Header: Depth=1
	s_clause 0x3
	buffer_load_dword v46, v39, s[0:3], 0 offen offset:8
	buffer_load_dword v47, v39, s[0:3], 0 offen offset:12
	buffer_load_dword v48, v39, s[0:3], 0 offen
	buffer_load_dword v49, v39, s[0:3], 0 offen offset:4
	ds_read_b128 v[42:45], v38
	v_add_nc_u32_e32 v37, 1, v37
	v_add_nc_u32_e32 v38, 16, v38
	;; [unrolled: 1-line block ×3, first 2 shown]
	v_cmp_lt_u32_e32 vcc_lo, 8, v37
	s_or_b32 s7, vcc_lo, s7
	s_waitcnt vmcnt(2) lgkmcnt(0)
	v_mul_f64 v[50:51], v[44:45], v[46:47]
	v_mul_f64 v[46:47], v[42:43], v[46:47]
	s_waitcnt vmcnt(0)
	v_fma_f64 v[42:43], v[42:43], v[48:49], -v[50:51]
	v_fma_f64 v[44:45], v[44:45], v[48:49], v[46:47]
	v_add_f64 v[5:6], v[5:6], v[42:43]
	v_add_f64 v[3:4], v[3:4], v[44:45]
	s_andn2_b32 exec_lo, exec_lo, s7
	s_cbranch_execnz .LBB13_53
; %bb.54:
	s_or_b32 exec_lo, exec_lo, s7
	v_mov_b32_e32 v37, 0
	ds_read_b128 v[37:40], v37 offset:160
	s_waitcnt lgkmcnt(0)
	v_mul_f64 v[42:43], v[3:4], v[39:40]
	v_mul_f64 v[39:40], v[5:6], v[39:40]
	v_fma_f64 v[5:6], v[5:6], v[37:38], -v[42:43]
	v_fma_f64 v[3:4], v[3:4], v[37:38], v[39:40]
	buffer_store_dword v6, off, s[0:3], 0 offset:164
	buffer_store_dword v5, off, s[0:3], 0 offset:160
	;; [unrolled: 1-line block ×4, first 2 shown]
.LBB13_55:
	s_or_b32 exec_lo, exec_lo, s6
	v_mov_b32_e32 v6, s16
	s_waitcnt_vscnt null, 0x0
	s_barrier
	buffer_gl0_inv
	s_mov_b32 s6, exec_lo
	s_clause 0x3
	buffer_load_dword v3, v6, s[0:3], 0 offen
	buffer_load_dword v4, v6, s[0:3], 0 offen offset:4
	buffer_load_dword v5, v6, s[0:3], 0 offen offset:8
	;; [unrolled: 1-line block ×3, first 2 shown]
	s_waitcnt vmcnt(0)
	ds_write_b128 v35, v[3:6]
	s_waitcnt lgkmcnt(0)
	s_barrier
	buffer_gl0_inv
	v_cmpx_gt_u32_e32 11, v0
	s_cbranch_execz .LBB13_59
; %bb.56:
	v_mov_b32_e32 v3, 0
	v_mov_b32_e32 v5, 0
	v_add_nc_u32_e32 v37, -1, v0
	v_add_nc_u32_e32 v38, 0xe0, v41
	v_mov_b32_e32 v4, 0
	v_mov_b32_e32 v6, 0
	;; [unrolled: 1-line block ×3, first 2 shown]
	s_mov_b32 s7, 0
	.p2align	6
.LBB13_57:                              ; =>This Inner Loop Header: Depth=1
	s_clause 0x3
	buffer_load_dword v46, v39, s[0:3], 0 offen offset:8
	buffer_load_dword v47, v39, s[0:3], 0 offen offset:12
	buffer_load_dword v48, v39, s[0:3], 0 offen
	buffer_load_dword v49, v39, s[0:3], 0 offen offset:4
	ds_read_b128 v[42:45], v38
	v_add_nc_u32_e32 v37, 1, v37
	v_add_nc_u32_e32 v38, 16, v38
	;; [unrolled: 1-line block ×3, first 2 shown]
	v_cmp_lt_u32_e32 vcc_lo, 9, v37
	s_or_b32 s7, vcc_lo, s7
	s_waitcnt vmcnt(2) lgkmcnt(0)
	v_mul_f64 v[50:51], v[44:45], v[46:47]
	v_mul_f64 v[46:47], v[42:43], v[46:47]
	s_waitcnt vmcnt(0)
	v_fma_f64 v[42:43], v[42:43], v[48:49], -v[50:51]
	v_fma_f64 v[44:45], v[44:45], v[48:49], v[46:47]
	v_add_f64 v[5:6], v[5:6], v[42:43]
	v_add_f64 v[3:4], v[3:4], v[44:45]
	s_andn2_b32 exec_lo, exec_lo, s7
	s_cbranch_execnz .LBB13_57
; %bb.58:
	s_or_b32 exec_lo, exec_lo, s7
	v_mov_b32_e32 v37, 0
	ds_read_b128 v[37:40], v37 offset:176
	s_waitcnt lgkmcnt(0)
	v_mul_f64 v[42:43], v[3:4], v[39:40]
	v_mul_f64 v[39:40], v[5:6], v[39:40]
	v_fma_f64 v[5:6], v[5:6], v[37:38], -v[42:43]
	v_fma_f64 v[3:4], v[3:4], v[37:38], v[39:40]
	buffer_store_dword v6, off, s[0:3], 0 offset:180
	buffer_store_dword v5, off, s[0:3], 0 offset:176
	;; [unrolled: 1-line block ×4, first 2 shown]
.LBB13_59:
	s_or_b32 exec_lo, exec_lo, s6
	v_mov_b32_e32 v6, s13
	s_waitcnt_vscnt null, 0x0
	s_barrier
	buffer_gl0_inv
	s_mov_b32 s6, exec_lo
	s_clause 0x3
	buffer_load_dword v3, v6, s[0:3], 0 offen
	buffer_load_dword v4, v6, s[0:3], 0 offen offset:4
	buffer_load_dword v5, v6, s[0:3], 0 offen offset:8
	;; [unrolled: 1-line block ×3, first 2 shown]
	s_waitcnt vmcnt(0)
	ds_write_b128 v35, v[3:6]
	s_waitcnt lgkmcnt(0)
	s_barrier
	buffer_gl0_inv
	v_cmpx_gt_u32_e32 12, v0
	s_cbranch_execz .LBB13_63
; %bb.60:
	v_mov_b32_e32 v3, 0
	v_mov_b32_e32 v5, 0
	v_add_nc_u32_e32 v37, -1, v0
	v_add_nc_u32_e32 v38, 0xe0, v41
	v_mov_b32_e32 v4, 0
	v_mov_b32_e32 v6, 0
	;; [unrolled: 1-line block ×3, first 2 shown]
	s_mov_b32 s7, 0
	.p2align	6
.LBB13_61:                              ; =>This Inner Loop Header: Depth=1
	s_clause 0x3
	buffer_load_dword v46, v39, s[0:3], 0 offen offset:8
	buffer_load_dword v47, v39, s[0:3], 0 offen offset:12
	buffer_load_dword v48, v39, s[0:3], 0 offen
	buffer_load_dword v49, v39, s[0:3], 0 offen offset:4
	ds_read_b128 v[42:45], v38
	v_add_nc_u32_e32 v37, 1, v37
	v_add_nc_u32_e32 v38, 16, v38
	;; [unrolled: 1-line block ×3, first 2 shown]
	v_cmp_lt_u32_e32 vcc_lo, 10, v37
	s_or_b32 s7, vcc_lo, s7
	s_waitcnt vmcnt(2) lgkmcnt(0)
	v_mul_f64 v[50:51], v[44:45], v[46:47]
	v_mul_f64 v[46:47], v[42:43], v[46:47]
	s_waitcnt vmcnt(0)
	v_fma_f64 v[42:43], v[42:43], v[48:49], -v[50:51]
	v_fma_f64 v[44:45], v[44:45], v[48:49], v[46:47]
	v_add_f64 v[5:6], v[5:6], v[42:43]
	v_add_f64 v[3:4], v[3:4], v[44:45]
	s_andn2_b32 exec_lo, exec_lo, s7
	s_cbranch_execnz .LBB13_61
; %bb.62:
	s_or_b32 exec_lo, exec_lo, s7
	v_mov_b32_e32 v37, 0
	ds_read_b128 v[37:40], v37 offset:192
	s_waitcnt lgkmcnt(0)
	v_mul_f64 v[42:43], v[3:4], v[39:40]
	v_mul_f64 v[39:40], v[5:6], v[39:40]
	v_fma_f64 v[5:6], v[5:6], v[37:38], -v[42:43]
	v_fma_f64 v[3:4], v[3:4], v[37:38], v[39:40]
	buffer_store_dword v6, off, s[0:3], 0 offset:196
	buffer_store_dword v5, off, s[0:3], 0 offset:192
	;; [unrolled: 1-line block ×4, first 2 shown]
.LBB13_63:
	s_or_b32 exec_lo, exec_lo, s6
	v_mov_b32_e32 v6, s12
	s_waitcnt_vscnt null, 0x0
	s_barrier
	buffer_gl0_inv
	s_mov_b32 s6, exec_lo
	s_clause 0x3
	buffer_load_dword v3, v6, s[0:3], 0 offen
	buffer_load_dword v4, v6, s[0:3], 0 offen offset:4
	buffer_load_dword v5, v6, s[0:3], 0 offen offset:8
	;; [unrolled: 1-line block ×3, first 2 shown]
	s_waitcnt vmcnt(0)
	ds_write_b128 v35, v[3:6]
	s_waitcnt lgkmcnt(0)
	s_barrier
	buffer_gl0_inv
	v_cmpx_ne_u32_e32 13, v0
	s_cbranch_execz .LBB13_67
; %bb.64:
	v_mov_b32_e32 v3, 0
	v_mov_b32_e32 v5, 0
	;; [unrolled: 1-line block ×5, first 2 shown]
	s_mov_b32 s7, 0
	.p2align	6
.LBB13_65:                              ; =>This Inner Loop Header: Depth=1
	s_clause 0x3
	buffer_load_dword v42, v37, s[0:3], 0 offen offset:8
	buffer_load_dword v43, v37, s[0:3], 0 offen offset:12
	buffer_load_dword v44, v37, s[0:3], 0 offen
	buffer_load_dword v45, v37, s[0:3], 0 offen offset:4
	ds_read_b128 v[38:41], v35
	v_add_nc_u32_e32 v36, 1, v36
	v_add_nc_u32_e32 v35, 16, v35
	;; [unrolled: 1-line block ×3, first 2 shown]
	v_cmp_lt_u32_e32 vcc_lo, 11, v36
	s_or_b32 s7, vcc_lo, s7
	s_waitcnt vmcnt(2) lgkmcnt(0)
	v_mul_f64 v[46:47], v[40:41], v[42:43]
	v_mul_f64 v[42:43], v[38:39], v[42:43]
	s_waitcnt vmcnt(0)
	v_fma_f64 v[38:39], v[38:39], v[44:45], -v[46:47]
	v_fma_f64 v[40:41], v[40:41], v[44:45], v[42:43]
	v_add_f64 v[5:6], v[5:6], v[38:39]
	v_add_f64 v[3:4], v[3:4], v[40:41]
	s_andn2_b32 exec_lo, exec_lo, s7
	s_cbranch_execnz .LBB13_65
; %bb.66:
	s_or_b32 exec_lo, exec_lo, s7
	v_mov_b32_e32 v35, 0
	ds_read_b128 v[35:38], v35 offset:208
	s_waitcnt lgkmcnt(0)
	v_mul_f64 v[39:40], v[3:4], v[37:38]
	v_mul_f64 v[37:38], v[5:6], v[37:38]
	v_fma_f64 v[5:6], v[5:6], v[35:36], -v[39:40]
	v_fma_f64 v[3:4], v[3:4], v[35:36], v[37:38]
	buffer_store_dword v6, off, s[0:3], 0 offset:212
	buffer_store_dword v5, off, s[0:3], 0 offset:208
	;; [unrolled: 1-line block ×4, first 2 shown]
.LBB13_67:
	s_or_b32 exec_lo, exec_lo, s6
	s_mov_b32 s7, -1
	s_waitcnt_vscnt null, 0x0
	s_barrier
	buffer_gl0_inv
.LBB13_68:
	s_and_b32 vcc_lo, exec_lo, s7
	s_cbranch_vccz .LBB13_70
; %bb.69:
	s_lshl_b64 s[6:7], s[8:9], 2
	v_mov_b32_e32 v3, 0
	s_add_u32 s6, s14, s6
	s_addc_u32 s7, s15, s7
	global_load_dword v3, v3, s[6:7]
	s_waitcnt vmcnt(0)
	v_cmp_ne_u32_e32 vcc_lo, 0, v3
	s_cbranch_vccz .LBB13_71
.LBB13_70:
	s_endpgm
.LBB13_71:
	v_lshl_add_u32 v3, v0, 4, 0xe0
	s_mov_b32 s6, exec_lo
	v_cmpx_eq_u32_e32 13, v0
	s_cbranch_execz .LBB13_73
; %bb.72:
	v_mov_b32_e32 v4, s13
	s_clause 0x3
	buffer_load_dword v35, v4, s[0:3], 0 offen
	buffer_load_dword v36, v4, s[0:3], 0 offen offset:4
	buffer_load_dword v37, v4, s[0:3], 0 offen offset:8
	;; [unrolled: 1-line block ×3, first 2 shown]
	v_mov_b32_e32 v4, 0
	buffer_store_dword v4, off, s[0:3], 0 offset:192
	buffer_store_dword v4, off, s[0:3], 0 offset:196
	;; [unrolled: 1-line block ×4, first 2 shown]
	s_waitcnt vmcnt(0)
	ds_write_b128 v3, v[35:38]
.LBB13_73:
	s_or_b32 exec_lo, exec_lo, s6
	s_waitcnt lgkmcnt(0)
	s_waitcnt_vscnt null, 0x0
	s_barrier
	buffer_gl0_inv
	s_clause 0x7
	buffer_load_dword v5, off, s[0:3], 0 offset:216
	buffer_load_dword v6, off, s[0:3], 0 offset:220
	;; [unrolled: 1-line block ×8, first 2 shown]
	v_mov_b32_e32 v4, 0
	s_mov_b32 s6, exec_lo
	ds_read_b128 v[35:38], v4 offset:432
	s_waitcnt vmcnt(6) lgkmcnt(0)
	v_mul_f64 v[45:46], v[37:38], v[5:6]
	v_mul_f64 v[5:6], v[35:36], v[5:6]
	s_waitcnt vmcnt(4)
	v_fma_f64 v[35:36], v[35:36], v[39:40], -v[45:46]
	v_fma_f64 v[5:6], v[37:38], v[39:40], v[5:6]
	v_add_f64 v[35:36], v[35:36], 0
	v_add_f64 v[5:6], v[5:6], 0
	s_waitcnt vmcnt(2)
	v_add_f64 v[35:36], v[41:42], -v[35:36]
	s_waitcnt vmcnt(0)
	v_add_f64 v[5:6], v[43:44], -v[5:6]
	buffer_store_dword v35, off, s[0:3], 0 offset:192
	buffer_store_dword v36, off, s[0:3], 0 offset:196
	;; [unrolled: 1-line block ×4, first 2 shown]
	v_cmpx_lt_u32_e32 11, v0
	s_cbranch_execz .LBB13_75
; %bb.74:
	v_mov_b32_e32 v5, s16
	s_clause 0x3
	buffer_load_dword v35, v5, s[0:3], 0 offen
	buffer_load_dword v36, v5, s[0:3], 0 offen offset:4
	buffer_load_dword v37, v5, s[0:3], 0 offen offset:8
	;; [unrolled: 1-line block ×3, first 2 shown]
	buffer_store_dword v4, off, s[0:3], 0 offset:176
	buffer_store_dword v4, off, s[0:3], 0 offset:180
	;; [unrolled: 1-line block ×4, first 2 shown]
	s_waitcnt vmcnt(0)
	ds_write_b128 v3, v[35:38]
.LBB13_75:
	s_or_b32 exec_lo, exec_lo, s6
	s_waitcnt lgkmcnt(0)
	s_waitcnt_vscnt null, 0x0
	s_barrier
	buffer_gl0_inv
	s_clause 0xb
	buffer_load_dword v5, off, s[0:3], 0 offset:200
	buffer_load_dword v6, off, s[0:3], 0 offset:204
	;; [unrolled: 1-line block ×12, first 2 shown]
	ds_read_b128 v[35:38], v4 offset:416
	ds_read_b128 v[39:42], v4 offset:432
	s_mov_b32 s6, exec_lo
	s_waitcnt vmcnt(10) lgkmcnt(1)
	v_mul_f64 v[53:54], v[37:38], v[5:6]
	v_mul_f64 v[4:5], v[35:36], v[5:6]
	s_waitcnt vmcnt(8) lgkmcnt(0)
	v_mul_f64 v[55:56], v[41:42], v[43:44]
	v_mul_f64 v[43:44], v[39:40], v[43:44]
	s_waitcnt vmcnt(6)
	v_fma_f64 v[35:36], v[35:36], v[45:46], -v[53:54]
	v_fma_f64 v[4:5], v[37:38], v[45:46], v[4:5]
	s_waitcnt vmcnt(4)
	v_fma_f64 v[37:38], v[39:40], v[47:48], -v[55:56]
	v_fma_f64 v[39:40], v[41:42], v[47:48], v[43:44]
	v_add_f64 v[35:36], v[35:36], 0
	v_add_f64 v[4:5], v[4:5], 0
	;; [unrolled: 1-line block ×4, first 2 shown]
	s_waitcnt vmcnt(2)
	v_add_f64 v[35:36], v[49:50], -v[35:36]
	s_waitcnt vmcnt(0)
	v_add_f64 v[4:5], v[51:52], -v[4:5]
	buffer_store_dword v35, off, s[0:3], 0 offset:176
	buffer_store_dword v36, off, s[0:3], 0 offset:180
	;; [unrolled: 1-line block ×4, first 2 shown]
	v_cmpx_lt_u32_e32 10, v0
	s_cbranch_execz .LBB13_77
; %bb.76:
	v_mov_b32_e32 v4, s17
	s_clause 0x3
	buffer_load_dword v35, v4, s[0:3], 0 offen
	buffer_load_dword v36, v4, s[0:3], 0 offen offset:4
	buffer_load_dword v37, v4, s[0:3], 0 offen offset:8
	buffer_load_dword v38, v4, s[0:3], 0 offen offset:12
	v_mov_b32_e32 v4, 0
	buffer_store_dword v4, off, s[0:3], 0 offset:160
	buffer_store_dword v4, off, s[0:3], 0 offset:164
	;; [unrolled: 1-line block ×4, first 2 shown]
	s_waitcnt vmcnt(0)
	ds_write_b128 v3, v[35:38]
.LBB13_77:
	s_or_b32 exec_lo, exec_lo, s6
	s_waitcnt lgkmcnt(0)
	s_waitcnt_vscnt null, 0x0
	s_barrier
	buffer_gl0_inv
	s_clause 0xf
	buffer_load_dword v5, off, s[0:3], 0 offset:184
	buffer_load_dword v6, off, s[0:3], 0 offset:188
	;; [unrolled: 1-line block ×16, first 2 shown]
	v_mov_b32_e32 v4, 0
	ds_read_b128 v[35:38], v4 offset:400
	ds_read_b128 v[39:42], v4 offset:416
	;; [unrolled: 1-line block ×3, first 2 shown]
	s_mov_b32 s6, exec_lo
	s_waitcnt vmcnt(14) lgkmcnt(2)
	v_mul_f64 v[61:62], v[37:38], v[5:6]
	v_mul_f64 v[5:6], v[35:36], v[5:6]
	s_waitcnt vmcnt(12) lgkmcnt(1)
	v_mul_f64 v[63:64], v[41:42], v[47:48]
	v_mul_f64 v[47:48], v[39:40], v[47:48]
	s_waitcnt vmcnt(10)
	v_fma_f64 v[35:36], v[35:36], v[49:50], -v[61:62]
	v_fma_f64 v[5:6], v[37:38], v[49:50], v[5:6]
	s_waitcnt vmcnt(8) lgkmcnt(0)
	v_mul_f64 v[49:50], v[45:46], v[51:52]
	s_waitcnt vmcnt(6)
	v_fma_f64 v[39:40], v[39:40], v[53:54], -v[63:64]
	v_mul_f64 v[37:38], v[43:44], v[51:52]
	v_fma_f64 v[41:42], v[41:42], v[53:54], v[47:48]
	v_add_f64 v[35:36], v[35:36], 0
	v_add_f64 v[5:6], v[5:6], 0
	s_waitcnt vmcnt(4)
	v_fma_f64 v[43:44], v[43:44], v[55:56], -v[49:50]
	v_fma_f64 v[37:38], v[45:46], v[55:56], v[37:38]
	v_add_f64 v[35:36], v[35:36], v[39:40]
	v_add_f64 v[5:6], v[5:6], v[41:42]
	v_add_f64 v[35:36], v[35:36], v[43:44]
	v_add_f64 v[5:6], v[5:6], v[37:38]
	s_waitcnt vmcnt(2)
	v_add_f64 v[35:36], v[57:58], -v[35:36]
	s_waitcnt vmcnt(0)
	v_add_f64 v[5:6], v[59:60], -v[5:6]
	buffer_store_dword v35, off, s[0:3], 0 offset:160
	buffer_store_dword v36, off, s[0:3], 0 offset:164
	;; [unrolled: 1-line block ×4, first 2 shown]
	v_cmpx_lt_u32_e32 9, v0
	s_cbranch_execz .LBB13_79
; %bb.78:
	v_mov_b32_e32 v5, s18
	s_clause 0x3
	buffer_load_dword v35, v5, s[0:3], 0 offen
	buffer_load_dword v36, v5, s[0:3], 0 offen offset:4
	buffer_load_dword v37, v5, s[0:3], 0 offen offset:8
	;; [unrolled: 1-line block ×3, first 2 shown]
	buffer_store_dword v4, off, s[0:3], 0 offset:144
	buffer_store_dword v4, off, s[0:3], 0 offset:148
	;; [unrolled: 1-line block ×4, first 2 shown]
	s_waitcnt vmcnt(0)
	ds_write_b128 v3, v[35:38]
.LBB13_79:
	s_or_b32 exec_lo, exec_lo, s6
	s_waitcnt lgkmcnt(0)
	s_waitcnt_vscnt null, 0x0
	s_barrier
	buffer_gl0_inv
	s_clause 0x13
	buffer_load_dword v5, off, s[0:3], 0 offset:168
	buffer_load_dword v6, off, s[0:3], 0 offset:172
	;; [unrolled: 1-line block ×20, first 2 shown]
	ds_read_b128 v[35:38], v4 offset:384
	ds_read_b128 v[39:42], v4 offset:400
	;; [unrolled: 1-line block ×3, first 2 shown]
	s_mov_b32 s6, exec_lo
	s_waitcnt vmcnt(18) lgkmcnt(2)
	v_mul_f64 v[65:66], v[37:38], v[5:6]
	v_mul_f64 v[5:6], v[35:36], v[5:6]
	s_waitcnt vmcnt(16) lgkmcnt(1)
	v_mul_f64 v[67:68], v[41:42], v[47:48]
	v_mul_f64 v[47:48], v[39:40], v[47:48]
	s_waitcnt vmcnt(14)
	v_fma_f64 v[65:66], v[35:36], v[49:50], -v[65:66]
	v_fma_f64 v[5:6], v[37:38], v[49:50], v[5:6]
	ds_read_b128 v[35:38], v4 offset:432
	s_waitcnt vmcnt(12) lgkmcnt(1)
	v_mul_f64 v[49:50], v[43:44], v[51:52]
	v_mul_f64 v[51:52], v[45:46], v[51:52]
	s_waitcnt vmcnt(10)
	v_fma_f64 v[39:40], v[39:40], v[53:54], -v[67:68]
	v_fma_f64 v[41:42], v[41:42], v[53:54], v[47:48]
	s_waitcnt vmcnt(8) lgkmcnt(0)
	v_mul_f64 v[53:54], v[37:38], v[55:56]
	v_add_f64 v[65:66], v[65:66], 0
	v_add_f64 v[4:5], v[5:6], 0
	v_mul_f64 v[47:48], v[35:36], v[55:56]
	s_waitcnt vmcnt(6)
	v_fma_f64 v[43:44], v[43:44], v[57:58], -v[51:52]
	v_fma_f64 v[45:46], v[45:46], v[57:58], v[49:50]
	s_waitcnt vmcnt(4)
	v_fma_f64 v[35:36], v[35:36], v[59:60], -v[53:54]
	v_add_f64 v[39:40], v[65:66], v[39:40]
	v_add_f64 v[4:5], v[4:5], v[41:42]
	v_fma_f64 v[37:38], v[37:38], v[59:60], v[47:48]
	v_add_f64 v[39:40], v[39:40], v[43:44]
	v_add_f64 v[4:5], v[4:5], v[45:46]
	;; [unrolled: 1-line block ×4, first 2 shown]
	s_waitcnt vmcnt(2)
	v_add_f64 v[35:36], v[61:62], -v[35:36]
	s_waitcnt vmcnt(0)
	v_add_f64 v[4:5], v[63:64], -v[4:5]
	buffer_store_dword v35, off, s[0:3], 0 offset:144
	buffer_store_dword v36, off, s[0:3], 0 offset:148
	buffer_store_dword v4, off, s[0:3], 0 offset:152
	buffer_store_dword v5, off, s[0:3], 0 offset:156
	v_cmpx_lt_u32_e32 8, v0
	s_cbranch_execz .LBB13_81
; %bb.80:
	v_mov_b32_e32 v4, s19
	s_clause 0x3
	buffer_load_dword v35, v4, s[0:3], 0 offen
	buffer_load_dword v36, v4, s[0:3], 0 offen offset:4
	buffer_load_dword v37, v4, s[0:3], 0 offen offset:8
	;; [unrolled: 1-line block ×3, first 2 shown]
	v_mov_b32_e32 v4, 0
	buffer_store_dword v4, off, s[0:3], 0 offset:128
	buffer_store_dword v4, off, s[0:3], 0 offset:132
	;; [unrolled: 1-line block ×4, first 2 shown]
	s_waitcnt vmcnt(0)
	ds_write_b128 v3, v[35:38]
.LBB13_81:
	s_or_b32 exec_lo, exec_lo, s6
	s_waitcnt lgkmcnt(0)
	s_waitcnt_vscnt null, 0x0
	s_barrier
	buffer_gl0_inv
	s_clause 0x17
	buffer_load_dword v5, off, s[0:3], 0 offset:152
	buffer_load_dword v6, off, s[0:3], 0 offset:156
	;; [unrolled: 1-line block ×24, first 2 shown]
	v_mov_b32_e32 v4, 0
	ds_read_b128 v[35:38], v4 offset:368
	ds_read_b128 v[39:42], v4 offset:384
	;; [unrolled: 1-line block ×3, first 2 shown]
	s_mov_b32 s6, exec_lo
	s_waitcnt vmcnt(22) lgkmcnt(2)
	v_mul_f64 v[69:70], v[37:38], v[5:6]
	v_mul_f64 v[5:6], v[35:36], v[5:6]
	s_waitcnt vmcnt(20) lgkmcnt(1)
	v_mul_f64 v[71:72], v[41:42], v[47:48]
	v_mul_f64 v[47:48], v[39:40], v[47:48]
	s_waitcnt vmcnt(18)
	v_fma_f64 v[69:70], v[35:36], v[49:50], -v[69:70]
	v_fma_f64 v[5:6], v[37:38], v[49:50], v[5:6]
	ds_read_b128 v[35:38], v4 offset:416
	s_waitcnt vmcnt(16) lgkmcnt(1)
	v_mul_f64 v[49:50], v[43:44], v[51:52]
	v_mul_f64 v[51:52], v[45:46], v[51:52]
	s_waitcnt vmcnt(14)
	v_fma_f64 v[71:72], v[39:40], v[53:54], -v[71:72]
	v_fma_f64 v[47:48], v[41:42], v[53:54], v[47:48]
	ds_read_b128 v[39:42], v4 offset:432
	s_waitcnt vmcnt(10) lgkmcnt(1)
	v_mul_f64 v[53:54], v[35:36], v[55:56]
	v_add_f64 v[69:70], v[69:70], 0
	v_add_f64 v[5:6], v[5:6], 0
	v_mul_f64 v[55:56], v[37:38], v[55:56]
	s_waitcnt vmcnt(8)
	v_fma_f64 v[43:44], v[43:44], v[61:62], -v[51:52]
	v_fma_f64 v[45:46], v[45:46], v[61:62], v[49:50]
	s_waitcnt vmcnt(7) lgkmcnt(0)
	v_mul_f64 v[49:50], v[41:42], v[57:58]
	s_waitcnt vmcnt(5)
	v_fma_f64 v[37:38], v[37:38], v[63:64], v[53:54]
	v_add_f64 v[51:52], v[69:70], v[71:72]
	v_add_f64 v[5:6], v[5:6], v[47:48]
	v_fma_f64 v[35:36], v[35:36], v[63:64], -v[55:56]
	v_mul_f64 v[47:48], v[39:40], v[57:58]
	s_waitcnt vmcnt(4)
	v_fma_f64 v[39:40], v[39:40], v[59:60], -v[49:50]
	v_add_f64 v[43:44], v[51:52], v[43:44]
	v_add_f64 v[5:6], v[5:6], v[45:46]
	v_fma_f64 v[41:42], v[41:42], v[59:60], v[47:48]
	v_add_f64 v[35:36], v[43:44], v[35:36]
	v_add_f64 v[5:6], v[5:6], v[37:38]
	;; [unrolled: 1-line block ×4, first 2 shown]
	s_waitcnt vmcnt(2)
	v_add_f64 v[35:36], v[65:66], -v[35:36]
	s_waitcnt vmcnt(0)
	v_add_f64 v[5:6], v[67:68], -v[5:6]
	buffer_store_dword v36, off, s[0:3], 0 offset:132
	buffer_store_dword v35, off, s[0:3], 0 offset:128
	;; [unrolled: 1-line block ×4, first 2 shown]
	v_cmpx_lt_u32_e32 7, v0
	s_cbranch_execz .LBB13_83
; %bb.82:
	v_mov_b32_e32 v5, s20
	s_clause 0x3
	buffer_load_dword v35, v5, s[0:3], 0 offen
	buffer_load_dword v36, v5, s[0:3], 0 offen offset:4
	buffer_load_dword v37, v5, s[0:3], 0 offen offset:8
	buffer_load_dword v38, v5, s[0:3], 0 offen offset:12
	buffer_store_dword v4, off, s[0:3], 0 offset:112
	buffer_store_dword v4, off, s[0:3], 0 offset:116
	;; [unrolled: 1-line block ×4, first 2 shown]
	s_waitcnt vmcnt(0)
	ds_write_b128 v3, v[35:38]
.LBB13_83:
	s_or_b32 exec_lo, exec_lo, s6
	s_waitcnt lgkmcnt(0)
	s_waitcnt_vscnt null, 0x0
	s_barrier
	buffer_gl0_inv
	s_clause 0x1b
	buffer_load_dword v5, off, s[0:3], 0 offset:136
	buffer_load_dword v6, off, s[0:3], 0 offset:140
	;; [unrolled: 1-line block ×28, first 2 shown]
	ds_read_b128 v[35:38], v4 offset:352
	ds_read_b128 v[39:42], v4 offset:368
	;; [unrolled: 1-line block ×3, first 2 shown]
	s_mov_b32 s6, exec_lo
	s_waitcnt vmcnt(26) lgkmcnt(2)
	v_mul_f64 v[73:74], v[37:38], v[5:6]
	v_mul_f64 v[5:6], v[35:36], v[5:6]
	s_waitcnt vmcnt(24) lgkmcnt(1)
	v_mul_f64 v[75:76], v[41:42], v[47:48]
	v_mul_f64 v[47:48], v[39:40], v[47:48]
	s_waitcnt vmcnt(22)
	v_fma_f64 v[73:74], v[35:36], v[49:50], -v[73:74]
	v_fma_f64 v[5:6], v[37:38], v[49:50], v[5:6]
	ds_read_b128 v[35:38], v4 offset:400
	s_waitcnt vmcnt(20) lgkmcnt(1)
	v_mul_f64 v[49:50], v[43:44], v[51:52]
	v_mul_f64 v[51:52], v[45:46], v[51:52]
	s_waitcnt vmcnt(18)
	v_fma_f64 v[75:76], v[39:40], v[53:54], -v[75:76]
	v_fma_f64 v[47:48], v[41:42], v[53:54], v[47:48]
	ds_read_b128 v[39:42], v4 offset:416
	s_waitcnt vmcnt(14) lgkmcnt(1)
	v_mul_f64 v[53:54], v[35:36], v[55:56]
	v_add_f64 v[73:74], v[73:74], 0
	v_add_f64 v[5:6], v[5:6], 0
	v_mul_f64 v[55:56], v[37:38], v[55:56]
	s_waitcnt vmcnt(12)
	v_fma_f64 v[51:52], v[43:44], v[61:62], -v[51:52]
	v_fma_f64 v[49:50], v[45:46], v[61:62], v[49:50]
	ds_read_b128 v[43:46], v4 offset:432
	s_waitcnt vmcnt(9)
	v_fma_f64 v[37:38], v[37:38], v[63:64], v[53:54]
	v_add_f64 v[73:74], v[73:74], v[75:76]
	v_add_f64 v[5:6], v[5:6], v[47:48]
	s_waitcnt lgkmcnt(1)
	v_mul_f64 v[47:48], v[39:40], v[57:58]
	v_mul_f64 v[57:58], v[41:42], v[57:58]
	v_fma_f64 v[35:36], v[35:36], v[63:64], -v[55:56]
	s_waitcnt vmcnt(7) lgkmcnt(0)
	v_mul_f64 v[53:54], v[45:46], v[65:66]
	v_add_f64 v[51:52], v[73:74], v[51:52]
	v_add_f64 v[4:5], v[5:6], v[49:50]
	v_mul_f64 v[49:50], v[43:44], v[65:66]
	s_waitcnt vmcnt(6)
	v_fma_f64 v[39:40], v[39:40], v[59:60], -v[57:58]
	v_fma_f64 v[41:42], v[41:42], v[59:60], v[47:48]
	v_add_f64 v[35:36], v[51:52], v[35:36]
	v_add_f64 v[4:5], v[4:5], v[37:38]
	s_waitcnt vmcnt(4)
	v_fma_f64 v[37:38], v[43:44], v[67:68], -v[53:54]
	v_add_f64 v[35:36], v[35:36], v[39:40]
	v_fma_f64 v[39:40], v[45:46], v[67:68], v[49:50]
	v_add_f64 v[4:5], v[4:5], v[41:42]
	v_add_f64 v[35:36], v[35:36], v[37:38]
	;; [unrolled: 1-line block ×3, first 2 shown]
	s_waitcnt vmcnt(2)
	v_add_f64 v[35:36], v[69:70], -v[35:36]
	s_waitcnt vmcnt(0)
	v_add_f64 v[4:5], v[71:72], -v[4:5]
	buffer_store_dword v36, off, s[0:3], 0 offset:116
	buffer_store_dword v35, off, s[0:3], 0 offset:112
	;; [unrolled: 1-line block ×4, first 2 shown]
	v_cmpx_lt_u32_e32 6, v0
	s_cbranch_execz .LBB13_85
; %bb.84:
	v_mov_b32_e32 v4, s21
	s_clause 0x3
	buffer_load_dword v35, v4, s[0:3], 0 offen
	buffer_load_dword v36, v4, s[0:3], 0 offen offset:4
	buffer_load_dword v37, v4, s[0:3], 0 offen offset:8
	buffer_load_dword v38, v4, s[0:3], 0 offen offset:12
	v_mov_b32_e32 v4, 0
	buffer_store_dword v4, off, s[0:3], 0 offset:96
	buffer_store_dword v4, off, s[0:3], 0 offset:100
	;; [unrolled: 1-line block ×4, first 2 shown]
	s_waitcnt vmcnt(0)
	ds_write_b128 v3, v[35:38]
.LBB13_85:
	s_or_b32 exec_lo, exec_lo, s6
	s_waitcnt lgkmcnt(0)
	s_waitcnt_vscnt null, 0x0
	s_barrier
	buffer_gl0_inv
	s_clause 0x1f
	buffer_load_dword v5, off, s[0:3], 0 offset:120
	buffer_load_dword v6, off, s[0:3], 0 offset:124
	;; [unrolled: 1-line block ×32, first 2 shown]
	v_mov_b32_e32 v4, 0
	ds_read_b128 v[35:38], v4 offset:336
	ds_read_b128 v[39:42], v4 offset:352
	;; [unrolled: 1-line block ×3, first 2 shown]
	s_mov_b32 s6, exec_lo
	s_waitcnt vmcnt(30) lgkmcnt(2)
	v_mul_f64 v[77:78], v[37:38], v[5:6]
	v_mul_f64 v[5:6], v[35:36], v[5:6]
	s_waitcnt vmcnt(28) lgkmcnt(1)
	v_mul_f64 v[79:80], v[41:42], v[47:48]
	v_mul_f64 v[47:48], v[39:40], v[47:48]
	s_waitcnt vmcnt(26)
	v_fma_f64 v[77:78], v[35:36], v[49:50], -v[77:78]
	v_fma_f64 v[5:6], v[37:38], v[49:50], v[5:6]
	ds_read_b128 v[35:38], v4 offset:384
	s_waitcnt vmcnt(24) lgkmcnt(1)
	v_mul_f64 v[49:50], v[43:44], v[51:52]
	v_mul_f64 v[51:52], v[45:46], v[51:52]
	s_waitcnt vmcnt(22)
	v_fma_f64 v[79:80], v[39:40], v[53:54], -v[79:80]
	v_fma_f64 v[47:48], v[41:42], v[53:54], v[47:48]
	ds_read_b128 v[39:42], v4 offset:400
	s_waitcnt vmcnt(18) lgkmcnt(1)
	v_mul_f64 v[53:54], v[35:36], v[55:56]
	v_add_f64 v[77:78], v[77:78], 0
	v_add_f64 v[5:6], v[5:6], 0
	v_mul_f64 v[55:56], v[37:38], v[55:56]
	s_waitcnt vmcnt(16)
	v_fma_f64 v[51:52], v[43:44], v[61:62], -v[51:52]
	v_fma_f64 v[49:50], v[45:46], v[61:62], v[49:50]
	ds_read_b128 v[43:46], v4 offset:416
	s_waitcnt vmcnt(13)
	v_fma_f64 v[53:54], v[37:38], v[63:64], v[53:54]
	v_add_f64 v[77:78], v[77:78], v[79:80]
	v_add_f64 v[5:6], v[5:6], v[47:48]
	s_waitcnt lgkmcnt(1)
	v_mul_f64 v[47:48], v[39:40], v[57:58]
	v_mul_f64 v[57:58], v[41:42], v[57:58]
	v_fma_f64 v[55:56], v[35:36], v[63:64], -v[55:56]
	s_waitcnt vmcnt(9) lgkmcnt(0)
	v_mul_f64 v[61:62], v[45:46], v[65:66]
	ds_read_b128 v[35:38], v4 offset:432
	v_add_f64 v[51:52], v[77:78], v[51:52]
	v_add_f64 v[5:6], v[5:6], v[49:50]
	v_mul_f64 v[49:50], v[43:44], v[65:66]
	s_waitcnt vmcnt(8)
	v_fma_f64 v[39:40], v[39:40], v[59:60], -v[57:58]
	v_fma_f64 v[41:42], v[41:42], v[59:60], v[47:48]
	s_waitcnt vmcnt(5)
	v_fma_f64 v[43:44], v[43:44], v[71:72], -v[61:62]
	s_waitcnt lgkmcnt(0)
	v_mul_f64 v[47:48], v[35:36], v[67:68]
	v_add_f64 v[51:52], v[51:52], v[55:56]
	v_add_f64 v[5:6], v[5:6], v[53:54]
	v_mul_f64 v[53:54], v[37:38], v[67:68]
	v_fma_f64 v[45:46], v[45:46], v[71:72], v[49:50]
	s_waitcnt vmcnt(4)
	v_fma_f64 v[37:38], v[37:38], v[69:70], v[47:48]
	v_add_f64 v[39:40], v[51:52], v[39:40]
	v_add_f64 v[5:6], v[5:6], v[41:42]
	v_fma_f64 v[35:36], v[35:36], v[69:70], -v[53:54]
	v_add_f64 v[39:40], v[39:40], v[43:44]
	v_add_f64 v[5:6], v[5:6], v[45:46]
	;; [unrolled: 1-line block ×4, first 2 shown]
	s_waitcnt vmcnt(2)
	v_add_f64 v[35:36], v[73:74], -v[35:36]
	s_waitcnt vmcnt(0)
	v_add_f64 v[5:6], v[75:76], -v[5:6]
	buffer_store_dword v36, off, s[0:3], 0 offset:100
	buffer_store_dword v35, off, s[0:3], 0 offset:96
	;; [unrolled: 1-line block ×4, first 2 shown]
	v_cmpx_lt_u32_e32 5, v0
	s_cbranch_execz .LBB13_87
; %bb.86:
	v_mov_b32_e32 v5, s22
	s_clause 0x3
	buffer_load_dword v35, v5, s[0:3], 0 offen
	buffer_load_dword v36, v5, s[0:3], 0 offen offset:4
	buffer_load_dword v37, v5, s[0:3], 0 offen offset:8
	;; [unrolled: 1-line block ×3, first 2 shown]
	buffer_store_dword v4, off, s[0:3], 0 offset:80
	buffer_store_dword v4, off, s[0:3], 0 offset:84
	;; [unrolled: 1-line block ×4, first 2 shown]
	s_waitcnt vmcnt(0)
	ds_write_b128 v3, v[35:38]
.LBB13_87:
	s_or_b32 exec_lo, exec_lo, s6
	s_waitcnt lgkmcnt(0)
	s_waitcnt_vscnt null, 0x0
	s_barrier
	buffer_gl0_inv
	s_clause 0x23
	buffer_load_dword v5, off, s[0:3], 0 offset:104
	buffer_load_dword v6, off, s[0:3], 0 offset:108
	;; [unrolled: 1-line block ×36, first 2 shown]
	ds_read_b128 v[35:38], v4 offset:320
	ds_read_b128 v[39:42], v4 offset:336
	;; [unrolled: 1-line block ×3, first 2 shown]
	s_mov_b32 s6, exec_lo
	s_waitcnt vmcnt(34) lgkmcnt(2)
	v_mul_f64 v[81:82], v[37:38], v[5:6]
	v_mul_f64 v[5:6], v[35:36], v[5:6]
	s_waitcnt vmcnt(32) lgkmcnt(1)
	v_mul_f64 v[83:84], v[41:42], v[47:48]
	v_mul_f64 v[47:48], v[39:40], v[47:48]
	s_waitcnt vmcnt(30)
	v_fma_f64 v[81:82], v[35:36], v[49:50], -v[81:82]
	v_fma_f64 v[5:6], v[37:38], v[49:50], v[5:6]
	ds_read_b128 v[35:38], v4 offset:368
	s_waitcnt vmcnt(28) lgkmcnt(1)
	v_mul_f64 v[49:50], v[43:44], v[51:52]
	v_mul_f64 v[51:52], v[45:46], v[51:52]
	s_waitcnt vmcnt(26)
	v_fma_f64 v[83:84], v[39:40], v[53:54], -v[83:84]
	v_fma_f64 v[47:48], v[41:42], v[53:54], v[47:48]
	ds_read_b128 v[39:42], v4 offset:384
	s_waitcnt vmcnt(22) lgkmcnt(1)
	v_mul_f64 v[53:54], v[35:36], v[55:56]
	v_add_f64 v[81:82], v[81:82], 0
	v_add_f64 v[5:6], v[5:6], 0
	v_mul_f64 v[55:56], v[37:38], v[55:56]
	s_waitcnt vmcnt(20)
	v_fma_f64 v[51:52], v[43:44], v[61:62], -v[51:52]
	v_fma_f64 v[49:50], v[45:46], v[61:62], v[49:50]
	ds_read_b128 v[43:46], v4 offset:400
	s_waitcnt vmcnt(17)
	v_fma_f64 v[53:54], v[37:38], v[63:64], v[53:54]
	v_add_f64 v[81:82], v[81:82], v[83:84]
	v_add_f64 v[5:6], v[5:6], v[47:48]
	s_waitcnt lgkmcnt(1)
	v_mul_f64 v[47:48], v[39:40], v[57:58]
	v_mul_f64 v[57:58], v[41:42], v[57:58]
	v_fma_f64 v[55:56], v[35:36], v[63:64], -v[55:56]
	s_waitcnt vmcnt(13) lgkmcnt(0)
	v_mul_f64 v[61:62], v[45:46], v[65:66]
	ds_read_b128 v[35:38], v4 offset:416
	v_add_f64 v[51:52], v[81:82], v[51:52]
	v_add_f64 v[5:6], v[5:6], v[49:50]
	v_mul_f64 v[49:50], v[43:44], v[65:66]
	s_waitcnt vmcnt(12)
	v_fma_f64 v[57:58], v[39:40], v[59:60], -v[57:58]
	v_fma_f64 v[47:48], v[41:42], v[59:60], v[47:48]
	ds_read_b128 v[39:42], v4 offset:432
	s_waitcnt vmcnt(9)
	v_fma_f64 v[43:44], v[43:44], v[71:72], -v[61:62]
	v_add_f64 v[51:52], v[51:52], v[55:56]
	v_add_f64 v[5:6], v[5:6], v[53:54]
	s_waitcnt lgkmcnt(1)
	v_mul_f64 v[55:56], v[37:38], v[67:68]
	v_mul_f64 v[53:54], v[35:36], v[67:68]
	v_fma_f64 v[45:46], v[45:46], v[71:72], v[49:50]
	s_waitcnt vmcnt(7) lgkmcnt(0)
	v_mul_f64 v[49:50], v[41:42], v[73:74]
	v_add_f64 v[51:52], v[51:52], v[57:58]
	v_add_f64 v[4:5], v[5:6], v[47:48]
	s_waitcnt vmcnt(6)
	v_fma_f64 v[35:36], v[35:36], v[69:70], -v[55:56]
	v_mul_f64 v[47:48], v[39:40], v[73:74]
	v_fma_f64 v[37:38], v[37:38], v[69:70], v[53:54]
	s_waitcnt vmcnt(4)
	v_fma_f64 v[39:40], v[39:40], v[75:76], -v[49:50]
	v_add_f64 v[43:44], v[51:52], v[43:44]
	v_add_f64 v[4:5], v[4:5], v[45:46]
	v_fma_f64 v[41:42], v[41:42], v[75:76], v[47:48]
	v_add_f64 v[35:36], v[43:44], v[35:36]
	v_add_f64 v[4:5], v[4:5], v[37:38]
	;; [unrolled: 1-line block ×4, first 2 shown]
	s_waitcnt vmcnt(2)
	v_add_f64 v[35:36], v[77:78], -v[35:36]
	s_waitcnt vmcnt(0)
	v_add_f64 v[4:5], v[79:80], -v[4:5]
	buffer_store_dword v36, off, s[0:3], 0 offset:84
	buffer_store_dword v35, off, s[0:3], 0 offset:80
	;; [unrolled: 1-line block ×4, first 2 shown]
	v_cmpx_lt_u32_e32 4, v0
	s_cbranch_execz .LBB13_89
; %bb.88:
	v_mov_b32_e32 v4, s23
	s_clause 0x3
	buffer_load_dword v35, v4, s[0:3], 0 offen
	buffer_load_dword v36, v4, s[0:3], 0 offen offset:4
	buffer_load_dword v37, v4, s[0:3], 0 offen offset:8
	;; [unrolled: 1-line block ×3, first 2 shown]
	v_mov_b32_e32 v4, 0
	buffer_store_dword v4, off, s[0:3], 0 offset:64
	buffer_store_dword v4, off, s[0:3], 0 offset:68
	;; [unrolled: 1-line block ×4, first 2 shown]
	s_waitcnt vmcnt(0)
	ds_write_b128 v3, v[35:38]
.LBB13_89:
	s_or_b32 exec_lo, exec_lo, s6
	s_waitcnt lgkmcnt(0)
	s_waitcnt_vscnt null, 0x0
	s_barrier
	buffer_gl0_inv
	s_clause 0x27
	buffer_load_dword v5, off, s[0:3], 0 offset:88
	buffer_load_dword v6, off, s[0:3], 0 offset:92
	buffer_load_dword v47, off, s[0:3], 0 offset:104
	buffer_load_dword v48, off, s[0:3], 0 offset:108
	buffer_load_dword v49, off, s[0:3], 0 offset:80
	buffer_load_dword v50, off, s[0:3], 0 offset:84
	buffer_load_dword v51, off, s[0:3], 0 offset:120
	buffer_load_dword v52, off, s[0:3], 0 offset:124
	buffer_load_dword v53, off, s[0:3], 0 offset:96
	buffer_load_dword v54, off, s[0:3], 0 offset:100
	buffer_load_dword v56, off, s[0:3], 0 offset:140
	buffer_load_dword v57, off, s[0:3], 0 offset:152
	buffer_load_dword v59, off, s[0:3], 0 offset:144
	buffer_load_dword v55, off, s[0:3], 0 offset:136
	buffer_load_dword v61, off, s[0:3], 0 offset:112
	buffer_load_dword v62, off, s[0:3], 0 offset:116
	buffer_load_dword v58, off, s[0:3], 0 offset:156
	buffer_load_dword v64, off, s[0:3], 0 offset:132
	buffer_load_dword v63, off, s[0:3], 0 offset:128
	buffer_load_dword v66, off, s[0:3], 0 offset:172
	buffer_load_dword v67, off, s[0:3], 0 offset:184
	buffer_load_dword v69, off, s[0:3], 0 offset:176
	buffer_load_dword v65, off, s[0:3], 0 offset:168
	buffer_load_dword v60, off, s[0:3], 0 offset:148
	buffer_load_dword v68, off, s[0:3], 0 offset:188
	buffer_load_dword v72, off, s[0:3], 0 offset:164
	buffer_load_dword v71, off, s[0:3], 0 offset:160
	buffer_load_dword v74, off, s[0:3], 0 offset:204
	buffer_load_dword v75, off, s[0:3], 0 offset:216
	buffer_load_dword v77, off, s[0:3], 0 offset:208
	buffer_load_dword v73, off, s[0:3], 0 offset:200
	buffer_load_dword v70, off, s[0:3], 0 offset:180
	buffer_load_dword v76, off, s[0:3], 0 offset:220
	buffer_load_dword v80, off, s[0:3], 0 offset:196
	buffer_load_dword v79, off, s[0:3], 0 offset:192
	buffer_load_dword v78, off, s[0:3], 0 offset:212
	buffer_load_dword v81, off, s[0:3], 0 offset:64
	buffer_load_dword v82, off, s[0:3], 0 offset:68
	buffer_load_dword v83, off, s[0:3], 0 offset:72
	buffer_load_dword v84, off, s[0:3], 0 offset:76
	v_mov_b32_e32 v4, 0
	ds_read_b128 v[35:38], v4 offset:304
	ds_read_b128 v[39:42], v4 offset:320
	;; [unrolled: 1-line block ×3, first 2 shown]
	s_mov_b32 s6, exec_lo
	s_waitcnt vmcnt(38) lgkmcnt(2)
	v_mul_f64 v[85:86], v[37:38], v[5:6]
	v_mul_f64 v[5:6], v[35:36], v[5:6]
	s_waitcnt vmcnt(36) lgkmcnt(1)
	v_mul_f64 v[87:88], v[41:42], v[47:48]
	v_mul_f64 v[47:48], v[39:40], v[47:48]
	s_waitcnt vmcnt(34)
	v_fma_f64 v[85:86], v[35:36], v[49:50], -v[85:86]
	v_fma_f64 v[5:6], v[37:38], v[49:50], v[5:6]
	ds_read_b128 v[35:38], v4 offset:352
	s_waitcnt vmcnt(32) lgkmcnt(1)
	v_mul_f64 v[49:50], v[43:44], v[51:52]
	v_mul_f64 v[51:52], v[45:46], v[51:52]
	s_waitcnt vmcnt(30)
	v_fma_f64 v[87:88], v[39:40], v[53:54], -v[87:88]
	v_fma_f64 v[47:48], v[41:42], v[53:54], v[47:48]
	ds_read_b128 v[39:42], v4 offset:368
	s_waitcnt vmcnt(26) lgkmcnt(1)
	v_mul_f64 v[53:54], v[35:36], v[55:56]
	v_add_f64 v[85:86], v[85:86], 0
	v_add_f64 v[5:6], v[5:6], 0
	v_mul_f64 v[55:56], v[37:38], v[55:56]
	s_waitcnt vmcnt(24)
	v_fma_f64 v[51:52], v[43:44], v[61:62], -v[51:52]
	v_fma_f64 v[49:50], v[45:46], v[61:62], v[49:50]
	ds_read_b128 v[43:46], v4 offset:384
	s_waitcnt vmcnt(21)
	v_fma_f64 v[53:54], v[37:38], v[63:64], v[53:54]
	v_add_f64 v[85:86], v[85:86], v[87:88]
	v_add_f64 v[5:6], v[5:6], v[47:48]
	s_waitcnt lgkmcnt(1)
	v_mul_f64 v[47:48], v[39:40], v[57:58]
	v_mul_f64 v[57:58], v[41:42], v[57:58]
	v_fma_f64 v[55:56], v[35:36], v[63:64], -v[55:56]
	s_waitcnt vmcnt(17) lgkmcnt(0)
	v_mul_f64 v[61:62], v[45:46], v[65:66]
	ds_read_b128 v[35:38], v4 offset:400
	v_add_f64 v[51:52], v[85:86], v[51:52]
	v_add_f64 v[5:6], v[5:6], v[49:50]
	v_mul_f64 v[49:50], v[43:44], v[65:66]
	s_waitcnt vmcnt(16)
	v_fma_f64 v[57:58], v[39:40], v[59:60], -v[57:58]
	v_fma_f64 v[47:48], v[41:42], v[59:60], v[47:48]
	ds_read_b128 v[39:42], v4 offset:416
	s_waitcnt vmcnt(13)
	v_fma_f64 v[59:60], v[43:44], v[71:72], -v[61:62]
	v_add_f64 v[51:52], v[51:52], v[55:56]
	v_add_f64 v[5:6], v[5:6], v[53:54]
	s_waitcnt lgkmcnt(1)
	v_mul_f64 v[55:56], v[37:38], v[67:68]
	v_mul_f64 v[53:54], v[35:36], v[67:68]
	v_fma_f64 v[49:50], v[45:46], v[71:72], v[49:50]
	ds_read_b128 v[43:46], v4 offset:432
	v_add_f64 v[51:52], v[51:52], v[57:58]
	v_add_f64 v[5:6], v[5:6], v[47:48]
	s_waitcnt vmcnt(9) lgkmcnt(1)
	v_mul_f64 v[57:58], v[41:42], v[73:74]
	s_waitcnt vmcnt(8)
	v_fma_f64 v[35:36], v[35:36], v[69:70], -v[55:56]
	v_mul_f64 v[47:48], v[39:40], v[73:74]
	v_fma_f64 v[37:38], v[37:38], v[69:70], v[53:54]
	s_waitcnt vmcnt(7) lgkmcnt(0)
	v_mul_f64 v[53:54], v[45:46], v[75:76]
	v_add_f64 v[51:52], v[51:52], v[59:60]
	v_add_f64 v[5:6], v[5:6], v[49:50]
	s_waitcnt vmcnt(5)
	v_fma_f64 v[39:40], v[39:40], v[79:80], -v[57:58]
	v_mul_f64 v[49:50], v[43:44], v[75:76]
	v_fma_f64 v[41:42], v[41:42], v[79:80], v[47:48]
	v_add_f64 v[35:36], v[51:52], v[35:36]
	v_add_f64 v[5:6], v[5:6], v[37:38]
	s_waitcnt vmcnt(4)
	v_fma_f64 v[37:38], v[43:44], v[77:78], -v[53:54]
	v_add_f64 v[35:36], v[35:36], v[39:40]
	v_fma_f64 v[39:40], v[45:46], v[77:78], v[49:50]
	v_add_f64 v[5:6], v[5:6], v[41:42]
	v_add_f64 v[35:36], v[35:36], v[37:38]
	;; [unrolled: 1-line block ×3, first 2 shown]
	s_waitcnt vmcnt(2)
	v_add_f64 v[35:36], v[81:82], -v[35:36]
	s_waitcnt vmcnt(0)
	v_add_f64 v[5:6], v[83:84], -v[5:6]
	buffer_store_dword v36, off, s[0:3], 0 offset:68
	buffer_store_dword v35, off, s[0:3], 0 offset:64
	;; [unrolled: 1-line block ×4, first 2 shown]
	v_cmpx_lt_u32_e32 3, v0
	s_cbranch_execz .LBB13_91
; %bb.90:
	v_mov_b32_e32 v5, s24
	s_clause 0x3
	buffer_load_dword v35, v5, s[0:3], 0 offen
	buffer_load_dword v36, v5, s[0:3], 0 offen offset:4
	buffer_load_dword v37, v5, s[0:3], 0 offen offset:8
	;; [unrolled: 1-line block ×3, first 2 shown]
	buffer_store_dword v4, off, s[0:3], 0 offset:48
	buffer_store_dword v4, off, s[0:3], 0 offset:52
	;; [unrolled: 1-line block ×4, first 2 shown]
	s_waitcnt vmcnt(0)
	ds_write_b128 v3, v[35:38]
.LBB13_91:
	s_or_b32 exec_lo, exec_lo, s6
	s_waitcnt lgkmcnt(0)
	s_waitcnt_vscnt null, 0x0
	s_barrier
	buffer_gl0_inv
	s_clause 0x2b
	buffer_load_dword v5, off, s[0:3], 0 offset:72
	buffer_load_dword v6, off, s[0:3], 0 offset:76
	;; [unrolled: 1-line block ×44, first 2 shown]
	ds_read_b128 v[35:38], v4 offset:288
	ds_read_b128 v[39:42], v4 offset:304
	ds_read_b128 v[43:46], v4 offset:320
	s_mov_b32 s6, exec_lo
	s_waitcnt vmcnt(42) lgkmcnt(2)
	v_mul_f64 v[89:90], v[37:38], v[5:6]
	v_mul_f64 v[5:6], v[35:36], v[5:6]
	s_waitcnt vmcnt(40) lgkmcnt(1)
	v_mul_f64 v[91:92], v[41:42], v[47:48]
	v_mul_f64 v[47:48], v[39:40], v[47:48]
	s_waitcnt vmcnt(38)
	v_fma_f64 v[89:90], v[35:36], v[49:50], -v[89:90]
	v_fma_f64 v[5:6], v[37:38], v[49:50], v[5:6]
	ds_read_b128 v[35:38], v4 offset:336
	s_waitcnt vmcnt(36) lgkmcnt(1)
	v_mul_f64 v[49:50], v[43:44], v[51:52]
	v_mul_f64 v[51:52], v[45:46], v[51:52]
	s_waitcnt vmcnt(34)
	v_fma_f64 v[91:92], v[39:40], v[53:54], -v[91:92]
	v_fma_f64 v[47:48], v[41:42], v[53:54], v[47:48]
	ds_read_b128 v[39:42], v4 offset:352
	s_waitcnt vmcnt(30) lgkmcnt(1)
	v_mul_f64 v[53:54], v[35:36], v[55:56]
	v_add_f64 v[89:90], v[89:90], 0
	v_add_f64 v[5:6], v[5:6], 0
	v_mul_f64 v[55:56], v[37:38], v[55:56]
	s_waitcnt vmcnt(28)
	v_fma_f64 v[51:52], v[43:44], v[61:62], -v[51:52]
	v_fma_f64 v[49:50], v[45:46], v[61:62], v[49:50]
	ds_read_b128 v[43:46], v4 offset:368
	s_waitcnt vmcnt(25)
	v_fma_f64 v[53:54], v[37:38], v[63:64], v[53:54]
	v_add_f64 v[89:90], v[89:90], v[91:92]
	v_add_f64 v[5:6], v[5:6], v[47:48]
	s_waitcnt lgkmcnt(1)
	v_mul_f64 v[47:48], v[39:40], v[57:58]
	v_mul_f64 v[57:58], v[41:42], v[57:58]
	v_fma_f64 v[55:56], v[35:36], v[63:64], -v[55:56]
	s_waitcnt vmcnt(21) lgkmcnt(0)
	v_mul_f64 v[61:62], v[45:46], v[65:66]
	ds_read_b128 v[35:38], v4 offset:384
	v_add_f64 v[51:52], v[89:90], v[51:52]
	v_add_f64 v[5:6], v[5:6], v[49:50]
	v_mul_f64 v[49:50], v[43:44], v[65:66]
	s_waitcnt vmcnt(20)
	v_fma_f64 v[57:58], v[39:40], v[59:60], -v[57:58]
	v_fma_f64 v[47:48], v[41:42], v[59:60], v[47:48]
	ds_read_b128 v[39:42], v4 offset:400
	s_waitcnt vmcnt(17)
	v_fma_f64 v[59:60], v[43:44], v[71:72], -v[61:62]
	v_add_f64 v[51:52], v[51:52], v[55:56]
	v_add_f64 v[5:6], v[5:6], v[53:54]
	s_waitcnt lgkmcnt(1)
	v_mul_f64 v[55:56], v[37:38], v[67:68]
	v_mul_f64 v[53:54], v[35:36], v[67:68]
	v_fma_f64 v[49:50], v[45:46], v[71:72], v[49:50]
	ds_read_b128 v[43:46], v4 offset:416
	v_add_f64 v[51:52], v[51:52], v[57:58]
	v_add_f64 v[5:6], v[5:6], v[47:48]
	s_waitcnt vmcnt(13) lgkmcnt(1)
	v_mul_f64 v[57:58], v[41:42], v[73:74]
	s_waitcnt vmcnt(12)
	v_fma_f64 v[55:56], v[35:36], v[69:70], -v[55:56]
	v_mul_f64 v[47:48], v[39:40], v[73:74]
	v_fma_f64 v[53:54], v[37:38], v[69:70], v[53:54]
	ds_read_b128 v[35:38], v4 offset:432
	v_add_f64 v[51:52], v[51:52], v[59:60]
	v_add_f64 v[5:6], v[5:6], v[49:50]
	s_waitcnt vmcnt(11) lgkmcnt(1)
	v_mul_f64 v[59:60], v[45:46], v[75:76]
	s_waitcnt vmcnt(9)
	v_fma_f64 v[39:40], v[39:40], v[79:80], -v[57:58]
	v_mul_f64 v[49:50], v[43:44], v[75:76]
	v_fma_f64 v[41:42], v[41:42], v[79:80], v[47:48]
	s_waitcnt vmcnt(7) lgkmcnt(0)
	v_mul_f64 v[47:48], v[35:36], v[81:82]
	v_add_f64 v[51:52], v[51:52], v[55:56]
	v_add_f64 v[4:5], v[5:6], v[53:54]
	v_mul_f64 v[53:54], v[37:38], v[81:82]
	s_waitcnt vmcnt(6)
	v_fma_f64 v[43:44], v[43:44], v[77:78], -v[59:60]
	v_fma_f64 v[45:46], v[45:46], v[77:78], v[49:50]
	s_waitcnt vmcnt(4)
	v_fma_f64 v[37:38], v[37:38], v[83:84], v[47:48]
	v_add_f64 v[39:40], v[51:52], v[39:40]
	v_add_f64 v[4:5], v[4:5], v[41:42]
	v_fma_f64 v[35:36], v[35:36], v[83:84], -v[53:54]
	v_add_f64 v[39:40], v[39:40], v[43:44]
	v_add_f64 v[4:5], v[4:5], v[45:46]
	;; [unrolled: 1-line block ×4, first 2 shown]
	s_waitcnt vmcnt(2)
	v_add_f64 v[35:36], v[85:86], -v[35:36]
	s_waitcnt vmcnt(0)
	v_add_f64 v[4:5], v[87:88], -v[4:5]
	buffer_store_dword v36, off, s[0:3], 0 offset:52
	buffer_store_dword v35, off, s[0:3], 0 offset:48
	;; [unrolled: 1-line block ×4, first 2 shown]
	v_cmpx_lt_u32_e32 2, v0
	s_cbranch_execz .LBB13_93
; %bb.92:
	v_mov_b32_e32 v4, s25
	s_clause 0x3
	buffer_load_dword v35, v4, s[0:3], 0 offen
	buffer_load_dword v36, v4, s[0:3], 0 offen offset:4
	buffer_load_dword v37, v4, s[0:3], 0 offen offset:8
	;; [unrolled: 1-line block ×3, first 2 shown]
	v_mov_b32_e32 v4, 0
	buffer_store_dword v4, off, s[0:3], 0 offset:32
	buffer_store_dword v4, off, s[0:3], 0 offset:36
	;; [unrolled: 1-line block ×4, first 2 shown]
	s_waitcnt vmcnt(0)
	ds_write_b128 v3, v[35:38]
.LBB13_93:
	s_or_b32 exec_lo, exec_lo, s6
	s_waitcnt lgkmcnt(0)
	s_waitcnt_vscnt null, 0x0
	s_barrier
	buffer_gl0_inv
	s_clause 0x2f
	buffer_load_dword v5, off, s[0:3], 0 offset:56
	buffer_load_dword v6, off, s[0:3], 0 offset:60
	;; [unrolled: 1-line block ×48, first 2 shown]
	v_mov_b32_e32 v4, 0
	s_mov_b32 s6, exec_lo
	ds_read_b128 v[35:38], v4 offset:272
	ds_read_b128 v[39:42], v4 offset:288
	;; [unrolled: 1-line block ×3, first 2 shown]
	s_waitcnt vmcnt(46) lgkmcnt(2)
	v_mul_f64 v[93:94], v[37:38], v[5:6]
	v_mul_f64 v[5:6], v[35:36], v[5:6]
	s_waitcnt vmcnt(44) lgkmcnt(1)
	v_mul_f64 v[95:96], v[41:42], v[47:48]
	v_mul_f64 v[47:48], v[39:40], v[47:48]
	s_waitcnt vmcnt(42)
	v_fma_f64 v[93:94], v[35:36], v[49:50], -v[93:94]
	v_fma_f64 v[5:6], v[37:38], v[49:50], v[5:6]
	ds_read_b128 v[35:38], v4 offset:320
	s_waitcnt vmcnt(40) lgkmcnt(1)
	v_mul_f64 v[49:50], v[43:44], v[51:52]
	v_mul_f64 v[51:52], v[45:46], v[51:52]
	s_waitcnt vmcnt(38)
	v_fma_f64 v[95:96], v[39:40], v[53:54], -v[95:96]
	v_fma_f64 v[47:48], v[41:42], v[53:54], v[47:48]
	ds_read_b128 v[39:42], v4 offset:336
	s_waitcnt vmcnt(36) lgkmcnt(1)
	v_mul_f64 v[53:54], v[35:36], v[55:56]
	v_add_f64 v[93:94], v[93:94], 0
	v_add_f64 v[5:6], v[5:6], 0
	v_mul_f64 v[55:56], v[37:38], v[55:56]
	s_waitcnt vmcnt(34)
	v_fma_f64 v[51:52], v[43:44], v[57:58], -v[51:52]
	v_fma_f64 v[49:50], v[45:46], v[57:58], v[49:50]
	ds_read_b128 v[43:46], v4 offset:352
	s_waitcnt vmcnt(32) lgkmcnt(1)
	v_mul_f64 v[57:58], v[41:42], v[59:60]
	s_waitcnt vmcnt(30)
	v_fma_f64 v[53:54], v[37:38], v[61:62], v[53:54]
	v_add_f64 v[93:94], v[93:94], v[95:96]
	v_add_f64 v[5:6], v[5:6], v[47:48]
	v_fma_f64 v[55:56], v[35:36], v[61:62], -v[55:56]
	v_mul_f64 v[47:48], v[39:40], v[59:60]
	s_waitcnt vmcnt(28) lgkmcnt(0)
	v_mul_f64 v[59:60], v[45:46], v[63:64]
	ds_read_b128 v[35:38], v4 offset:368
	s_waitcnt vmcnt(26)
	v_fma_f64 v[57:58], v[39:40], v[65:66], -v[57:58]
	v_add_f64 v[51:52], v[93:94], v[51:52]
	v_add_f64 v[5:6], v[5:6], v[49:50]
	v_mul_f64 v[49:50], v[43:44], v[63:64]
	v_fma_f64 v[47:48], v[41:42], v[65:66], v[47:48]
	ds_read_b128 v[39:42], v4 offset:384
	s_waitcnt vmcnt(22)
	v_fma_f64 v[59:60], v[43:44], v[69:70], -v[59:60]
	v_add_f64 v[51:52], v[51:52], v[55:56]
	v_add_f64 v[5:6], v[5:6], v[53:54]
	s_waitcnt lgkmcnt(1)
	v_mul_f64 v[55:56], v[37:38], v[67:68]
	v_mul_f64 v[53:54], v[35:36], v[67:68]
	v_fma_f64 v[49:50], v[45:46], v[69:70], v[49:50]
	ds_read_b128 v[43:46], v4 offset:400
	v_add_f64 v[51:52], v[51:52], v[57:58]
	v_add_f64 v[5:6], v[5:6], v[47:48]
	s_waitcnt vmcnt(20) lgkmcnt(1)
	v_mul_f64 v[57:58], v[41:42], v[71:72]
	s_waitcnt vmcnt(18)
	v_fma_f64 v[55:56], v[35:36], v[73:74], -v[55:56]
	v_mul_f64 v[47:48], v[39:40], v[71:72]
	v_fma_f64 v[53:54], v[37:38], v[73:74], v[53:54]
	ds_read_b128 v[35:38], v4 offset:416
	v_add_f64 v[51:52], v[51:52], v[59:60]
	v_add_f64 v[5:6], v[5:6], v[49:50]
	s_waitcnt vmcnt(16) lgkmcnt(1)
	v_mul_f64 v[59:60], v[45:46], v[75:76]
	s_waitcnt vmcnt(14)
	v_fma_f64 v[57:58], v[39:40], v[77:78], -v[57:58]
	;; [unrolled: 9-line block ×3, first 2 shown]
	v_mul_f64 v[53:54], v[35:36], v[79:80]
	v_fma_f64 v[45:46], v[45:46], v[81:82], v[49:50]
	s_waitcnt vmcnt(8) lgkmcnt(0)
	v_mul_f64 v[49:50], v[41:42], v[83:84]
	v_add_f64 v[51:52], v[51:52], v[57:58]
	v_add_f64 v[5:6], v[5:6], v[47:48]
	s_waitcnt vmcnt(6)
	v_fma_f64 v[35:36], v[35:36], v[85:86], -v[55:56]
	v_mul_f64 v[47:48], v[39:40], v[83:84]
	v_fma_f64 v[37:38], v[37:38], v[85:86], v[53:54]
	s_waitcnt vmcnt(4)
	v_fma_f64 v[39:40], v[39:40], v[87:88], -v[49:50]
	v_add_f64 v[43:44], v[51:52], v[43:44]
	v_add_f64 v[5:6], v[5:6], v[45:46]
	v_fma_f64 v[41:42], v[41:42], v[87:88], v[47:48]
	v_add_f64 v[35:36], v[43:44], v[35:36]
	v_add_f64 v[5:6], v[5:6], v[37:38]
	;; [unrolled: 1-line block ×4, first 2 shown]
	s_waitcnt vmcnt(2)
	v_add_f64 v[35:36], v[89:90], -v[35:36]
	s_waitcnt vmcnt(0)
	v_add_f64 v[5:6], v[91:92], -v[5:6]
	buffer_store_dword v36, off, s[0:3], 0 offset:36
	buffer_store_dword v35, off, s[0:3], 0 offset:32
	;; [unrolled: 1-line block ×4, first 2 shown]
	v_cmpx_lt_u32_e32 1, v0
	s_cbranch_execz .LBB13_95
; %bb.94:
	v_mov_b32_e32 v5, s26
	s_clause 0x3
	buffer_load_dword v35, v5, s[0:3], 0 offen
	buffer_load_dword v36, v5, s[0:3], 0 offen offset:4
	buffer_load_dword v37, v5, s[0:3], 0 offen offset:8
	;; [unrolled: 1-line block ×3, first 2 shown]
	buffer_store_dword v4, off, s[0:3], 0 offset:16
	buffer_store_dword v4, off, s[0:3], 0 offset:20
	buffer_store_dword v4, off, s[0:3], 0 offset:24
	buffer_store_dword v4, off, s[0:3], 0 offset:28
	s_waitcnt vmcnt(0)
	ds_write_b128 v3, v[35:38]
.LBB13_95:
	s_or_b32 exec_lo, exec_lo, s6
	s_waitcnt lgkmcnt(0)
	s_waitcnt_vscnt null, 0x0
	s_barrier
	buffer_gl0_inv
	s_clause 0x2f
	buffer_load_dword v5, off, s[0:3], 0 offset:40
	buffer_load_dword v6, off, s[0:3], 0 offset:44
	buffer_load_dword v47, off, s[0:3], 0 offset:56
	buffer_load_dword v48, off, s[0:3], 0 offset:60
	buffer_load_dword v49, off, s[0:3], 0 offset:32
	buffer_load_dword v50, off, s[0:3], 0 offset:36
	buffer_load_dword v51, off, s[0:3], 0 offset:72
	buffer_load_dword v52, off, s[0:3], 0 offset:76
	buffer_load_dword v53, off, s[0:3], 0 offset:48
	buffer_load_dword v54, off, s[0:3], 0 offset:52
	buffer_load_dword v56, off, s[0:3], 0 offset:92
	buffer_load_dword v57, off, s[0:3], 0 offset:104
	buffer_load_dword v59, off, s[0:3], 0 offset:96
	buffer_load_dword v55, off, s[0:3], 0 offset:88
	buffer_load_dword v61, off, s[0:3], 0 offset:64
	buffer_load_dword v62, off, s[0:3], 0 offset:68
	buffer_load_dword v58, off, s[0:3], 0 offset:108
	buffer_load_dword v64, off, s[0:3], 0 offset:84
	buffer_load_dword v63, off, s[0:3], 0 offset:80
	buffer_load_dword v66, off, s[0:3], 0 offset:124
	buffer_load_dword v67, off, s[0:3], 0 offset:136
	buffer_load_dword v69, off, s[0:3], 0 offset:128
	buffer_load_dword v65, off, s[0:3], 0 offset:120
	buffer_load_dword v60, off, s[0:3], 0 offset:100
	buffer_load_dword v68, off, s[0:3], 0 offset:140
	buffer_load_dword v72, off, s[0:3], 0 offset:116
	buffer_load_dword v71, off, s[0:3], 0 offset:112
	buffer_load_dword v74, off, s[0:3], 0 offset:156
	buffer_load_dword v75, off, s[0:3], 0 offset:168
	buffer_load_dword v77, off, s[0:3], 0 offset:160
	buffer_load_dword v73, off, s[0:3], 0 offset:152
	buffer_load_dword v70, off, s[0:3], 0 offset:132
	buffer_load_dword v76, off, s[0:3], 0 offset:172
	buffer_load_dword v80, off, s[0:3], 0 offset:148
	buffer_load_dword v79, off, s[0:3], 0 offset:144
	buffer_load_dword v82, off, s[0:3], 0 offset:188
	buffer_load_dword v83, off, s[0:3], 0 offset:200
	buffer_load_dword v85, off, s[0:3], 0 offset:192
	buffer_load_dword v81, off, s[0:3], 0 offset:184
	buffer_load_dword v78, off, s[0:3], 0 offset:164
	buffer_load_dword v84, off, s[0:3], 0 offset:204
	buffer_load_dword v88, off, s[0:3], 0 offset:180
	buffer_load_dword v87, off, s[0:3], 0 offset:176
	buffer_load_dword v90, off, s[0:3], 0 offset:220
	buffer_load_dword v89, off, s[0:3], 0 offset:216
	buffer_load_dword v86, off, s[0:3], 0 offset:196
	buffer_load_dword v92, off, s[0:3], 0 offset:212
	buffer_load_dword v91, off, s[0:3], 0 offset:208
	ds_read_b128 v[35:38], v4 offset:256
	s_clause 0x3
	buffer_load_dword v93, off, s[0:3], 0 offset:16
	buffer_load_dword v94, off, s[0:3], 0 offset:20
	;; [unrolled: 1-line block ×4, first 2 shown]
	ds_read_b128 v[39:42], v4 offset:272
	ds_read_b128 v[43:46], v4 offset:288
	s_mov_b32 s6, exec_lo
	s_waitcnt vmcnt(50) lgkmcnt(2)
	v_mul_f64 v[97:98], v[37:38], v[5:6]
	v_mul_f64 v[5:6], v[35:36], v[5:6]
	s_waitcnt vmcnt(48) lgkmcnt(1)
	v_mul_f64 v[99:100], v[41:42], v[47:48]
	v_mul_f64 v[47:48], v[39:40], v[47:48]
	s_waitcnt vmcnt(46)
	v_fma_f64 v[97:98], v[35:36], v[49:50], -v[97:98]
	v_fma_f64 v[5:6], v[37:38], v[49:50], v[5:6]
	s_waitcnt vmcnt(44) lgkmcnt(0)
	v_mul_f64 v[49:50], v[43:44], v[51:52]
	v_mul_f64 v[51:52], v[45:46], v[51:52]
	s_waitcnt vmcnt(42)
	v_fma_f64 v[99:100], v[39:40], v[53:54], -v[99:100]
	ds_read_b128 v[35:38], v4 offset:304
	v_fma_f64 v[47:48], v[41:42], v[53:54], v[47:48]
	ds_read_b128 v[39:42], v4 offset:320
	v_add_f64 v[97:98], v[97:98], 0
	v_add_f64 v[5:6], v[5:6], 0
	s_waitcnt vmcnt(36)
	v_fma_f64 v[49:50], v[45:46], v[61:62], v[49:50]
	s_waitcnt lgkmcnt(1)
	v_mul_f64 v[53:54], v[35:36], v[55:56]
	v_mul_f64 v[55:56], v[37:38], v[55:56]
	v_fma_f64 v[51:52], v[43:44], v[61:62], -v[51:52]
	ds_read_b128 v[43:46], v4 offset:336
	v_add_f64 v[97:98], v[97:98], v[99:100]
	v_add_f64 v[5:6], v[5:6], v[47:48]
	s_waitcnt vmcnt(35) lgkmcnt(1)
	v_mul_f64 v[47:48], v[39:40], v[57:58]
	v_mul_f64 v[57:58], v[41:42], v[57:58]
	s_waitcnt vmcnt(33)
	v_fma_f64 v[55:56], v[35:36], v[63:64], -v[55:56]
	v_fma_f64 v[53:54], v[37:38], v[63:64], v[53:54]
	ds_read_b128 v[35:38], v4 offset:352
	s_waitcnt vmcnt(29) lgkmcnt(1)
	v_mul_f64 v[61:62], v[45:46], v[65:66]
	v_add_f64 v[51:52], v[97:98], v[51:52]
	v_add_f64 v[5:6], v[5:6], v[49:50]
	v_mul_f64 v[49:50], v[43:44], v[65:66]
	s_waitcnt vmcnt(28)
	v_fma_f64 v[57:58], v[39:40], v[59:60], -v[57:58]
	v_fma_f64 v[47:48], v[41:42], v[59:60], v[47:48]
	ds_read_b128 v[39:42], v4 offset:368
	s_waitcnt vmcnt(25)
	v_fma_f64 v[59:60], v[43:44], v[71:72], -v[61:62]
	v_add_f64 v[51:52], v[51:52], v[55:56]
	v_add_f64 v[5:6], v[5:6], v[53:54]
	s_waitcnt lgkmcnt(1)
	v_mul_f64 v[55:56], v[37:38], v[67:68]
	v_mul_f64 v[53:54], v[35:36], v[67:68]
	v_fma_f64 v[49:50], v[45:46], v[71:72], v[49:50]
	ds_read_b128 v[43:46], v4 offset:384
	v_add_f64 v[51:52], v[51:52], v[57:58]
	v_add_f64 v[5:6], v[5:6], v[47:48]
	s_waitcnt vmcnt(21) lgkmcnt(1)
	v_mul_f64 v[57:58], v[41:42], v[73:74]
	s_waitcnt vmcnt(20)
	v_fma_f64 v[55:56], v[35:36], v[69:70], -v[55:56]
	v_mul_f64 v[47:48], v[39:40], v[73:74]
	v_fma_f64 v[53:54], v[37:38], v[69:70], v[53:54]
	ds_read_b128 v[35:38], v4 offset:400
	v_add_f64 v[51:52], v[51:52], v[59:60]
	v_add_f64 v[5:6], v[5:6], v[49:50]
	s_waitcnt vmcnt(19) lgkmcnt(1)
	v_mul_f64 v[59:60], v[45:46], v[75:76]
	s_waitcnt vmcnt(17)
	v_fma_f64 v[57:58], v[39:40], v[79:80], -v[57:58]
	;; [unrolled: 9-line block ×4, first 2 shown]
	v_mul_f64 v[47:48], v[39:40], v[83:84]
	v_fma_f64 v[37:38], v[37:38], v[87:88], v[53:54]
	s_waitcnt vmcnt(7) lgkmcnt(0)
	v_mul_f64 v[53:54], v[45:46], v[89:90]
	v_add_f64 v[51:52], v[51:52], v[59:60]
	v_add_f64 v[4:5], v[5:6], v[49:50]
	s_waitcnt vmcnt(6)
	v_fma_f64 v[39:40], v[39:40], v[85:86], -v[57:58]
	v_mul_f64 v[49:50], v[43:44], v[89:90]
	v_fma_f64 v[41:42], v[41:42], v[85:86], v[47:48]
	v_add_f64 v[35:36], v[51:52], v[35:36]
	v_add_f64 v[4:5], v[4:5], v[37:38]
	s_waitcnt vmcnt(4)
	v_fma_f64 v[37:38], v[43:44], v[91:92], -v[53:54]
	v_add_f64 v[35:36], v[35:36], v[39:40]
	v_fma_f64 v[39:40], v[45:46], v[91:92], v[49:50]
	v_add_f64 v[4:5], v[4:5], v[41:42]
	v_add_f64 v[35:36], v[35:36], v[37:38]
	;; [unrolled: 1-line block ×3, first 2 shown]
	s_waitcnt vmcnt(2)
	v_add_f64 v[35:36], v[93:94], -v[35:36]
	s_waitcnt vmcnt(0)
	v_add_f64 v[4:5], v[95:96], -v[4:5]
	buffer_store_dword v36, off, s[0:3], 0 offset:20
	buffer_store_dword v35, off, s[0:3], 0 offset:16
	;; [unrolled: 1-line block ×4, first 2 shown]
	v_cmpx_ne_u32_e32 0, v0
	s_cbranch_execz .LBB13_97
; %bb.96:
	s_clause 0x3
	buffer_load_dword v35, off, s[0:3], 0
	buffer_load_dword v36, off, s[0:3], 0 offset:4
	buffer_load_dword v37, off, s[0:3], 0 offset:8
	;; [unrolled: 1-line block ×3, first 2 shown]
	v_mov_b32_e32 v4, 0
	buffer_store_dword v4, off, s[0:3], 0
	buffer_store_dword v4, off, s[0:3], 0 offset:4
	buffer_store_dword v4, off, s[0:3], 0 offset:8
	;; [unrolled: 1-line block ×3, first 2 shown]
	s_waitcnt vmcnt(0)
	ds_write_b128 v3, v[35:38]
.LBB13_97:
	s_or_b32 exec_lo, exec_lo, s6
	s_waitcnt lgkmcnt(0)
	s_waitcnt_vscnt null, 0x0
	s_barrier
	buffer_gl0_inv
	s_clause 0x33
	buffer_load_dword v4, off, s[0:3], 0 offset:24
	buffer_load_dword v5, off, s[0:3], 0 offset:28
	;; [unrolled: 1-line block ×52, first 2 shown]
	v_mov_b32_e32 v3, 0
	ds_read_b128 v[35:38], v3 offset:240
	ds_read_b128 v[39:42], v3 offset:256
	s_clause 0x3
	buffer_load_dword v99, off, s[0:3], 0
	buffer_load_dword v100, off, s[0:3], 0 offset:4
	buffer_load_dword v101, off, s[0:3], 0 offset:8
	;; [unrolled: 1-line block ×3, first 2 shown]
	ds_read_b128 v[43:46], v3 offset:272
	s_and_b32 vcc_lo, exec_lo, s27
	s_waitcnt vmcnt(54) lgkmcnt(2)
	v_mul_f64 v[97:98], v[37:38], v[4:5]
	v_mul_f64 v[4:5], v[35:36], v[4:5]
	s_waitcnt vmcnt(52) lgkmcnt(1)
	v_mul_f64 v[103:104], v[41:42], v[47:48]
	v_mul_f64 v[47:48], v[39:40], v[47:48]
	s_waitcnt vmcnt(50)
	v_fma_f64 v[97:98], v[35:36], v[49:50], -v[97:98]
	v_fma_f64 v[4:5], v[37:38], v[49:50], v[4:5]
	ds_read_b128 v[35:38], v3 offset:288
	s_waitcnt vmcnt(48) lgkmcnt(1)
	v_mul_f64 v[49:50], v[43:44], v[51:52]
	v_mul_f64 v[51:52], v[45:46], v[51:52]
	s_waitcnt vmcnt(46)
	v_fma_f64 v[103:104], v[39:40], v[53:54], -v[103:104]
	v_fma_f64 v[47:48], v[41:42], v[53:54], v[47:48]
	ds_read_b128 v[39:42], v3 offset:304
	s_waitcnt vmcnt(42) lgkmcnt(1)
	v_mul_f64 v[53:54], v[35:36], v[55:56]
	v_add_f64 v[97:98], v[97:98], 0
	v_add_f64 v[4:5], v[4:5], 0
	v_mul_f64 v[55:56], v[37:38], v[55:56]
	s_waitcnt vmcnt(40)
	v_fma_f64 v[51:52], v[43:44], v[61:62], -v[51:52]
	v_fma_f64 v[49:50], v[45:46], v[61:62], v[49:50]
	ds_read_b128 v[43:46], v3 offset:320
	s_waitcnt vmcnt(37)
	v_fma_f64 v[53:54], v[37:38], v[63:64], v[53:54]
	v_add_f64 v[97:98], v[97:98], v[103:104]
	v_add_f64 v[4:5], v[4:5], v[47:48]
	s_waitcnt lgkmcnt(1)
	v_mul_f64 v[47:48], v[39:40], v[57:58]
	v_mul_f64 v[57:58], v[41:42], v[57:58]
	v_fma_f64 v[55:56], v[35:36], v[63:64], -v[55:56]
	s_waitcnt vmcnt(33) lgkmcnt(0)
	v_mul_f64 v[61:62], v[45:46], v[65:66]
	ds_read_b128 v[35:38], v3 offset:336
	v_add_f64 v[51:52], v[97:98], v[51:52]
	v_add_f64 v[4:5], v[4:5], v[49:50]
	v_mul_f64 v[49:50], v[43:44], v[65:66]
	s_waitcnt vmcnt(32)
	v_fma_f64 v[57:58], v[39:40], v[59:60], -v[57:58]
	v_fma_f64 v[47:48], v[41:42], v[59:60], v[47:48]
	ds_read_b128 v[39:42], v3 offset:352
	s_waitcnt vmcnt(29)
	v_fma_f64 v[59:60], v[43:44], v[71:72], -v[61:62]
	v_add_f64 v[51:52], v[51:52], v[55:56]
	v_add_f64 v[4:5], v[4:5], v[53:54]
	s_waitcnt lgkmcnt(1)
	v_mul_f64 v[55:56], v[37:38], v[67:68]
	v_mul_f64 v[53:54], v[35:36], v[67:68]
	v_fma_f64 v[49:50], v[45:46], v[71:72], v[49:50]
	ds_read_b128 v[43:46], v3 offset:368
	v_add_f64 v[51:52], v[51:52], v[57:58]
	v_add_f64 v[4:5], v[4:5], v[47:48]
	s_waitcnt vmcnt(25) lgkmcnt(1)
	v_mul_f64 v[57:58], v[41:42], v[73:74]
	s_waitcnt vmcnt(24)
	v_fma_f64 v[55:56], v[35:36], v[69:70], -v[55:56]
	v_mul_f64 v[47:48], v[39:40], v[73:74]
	v_fma_f64 v[53:54], v[37:38], v[69:70], v[53:54]
	ds_read_b128 v[35:38], v3 offset:384
	v_add_f64 v[51:52], v[51:52], v[59:60]
	v_add_f64 v[4:5], v[4:5], v[49:50]
	s_waitcnt vmcnt(23) lgkmcnt(1)
	v_mul_f64 v[59:60], v[45:46], v[75:76]
	s_waitcnt vmcnt(21)
	v_fma_f64 v[57:58], v[39:40], v[79:80], -v[57:58]
	;; [unrolled: 9-line block ×5, first 2 shown]
	v_mul_f64 v[49:50], v[43:44], v[89:90]
	v_fma_f64 v[41:42], v[41:42], v[85:86], v[47:48]
	s_waitcnt vmcnt(7) lgkmcnt(0)
	v_mul_f64 v[47:48], v[35:36], v[91:92]
	v_add_f64 v[51:52], v[51:52], v[55:56]
	v_add_f64 v[4:5], v[4:5], v[53:54]
	v_mul_f64 v[53:54], v[37:38], v[91:92]
	s_waitcnt vmcnt(5)
	v_fma_f64 v[43:44], v[43:44], v[95:96], -v[59:60]
	v_fma_f64 v[45:46], v[45:46], v[95:96], v[49:50]
	s_waitcnt vmcnt(4)
	v_fma_f64 v[37:38], v[37:38], v[93:94], v[47:48]
	v_add_f64 v[39:40], v[51:52], v[39:40]
	v_add_f64 v[4:5], v[4:5], v[41:42]
	v_fma_f64 v[35:36], v[35:36], v[93:94], -v[53:54]
	v_add_f64 v[39:40], v[39:40], v[43:44]
	v_add_f64 v[4:5], v[4:5], v[45:46]
	;; [unrolled: 1-line block ×4, first 2 shown]
	s_waitcnt vmcnt(2)
	v_add_f64 v[35:36], v[99:100], -v[35:36]
	s_waitcnt vmcnt(0)
	v_add_f64 v[4:5], v[101:102], -v[4:5]
	buffer_store_dword v36, off, s[0:3], 0 offset:4
	buffer_store_dword v35, off, s[0:3], 0
	buffer_store_dword v5, off, s[0:3], 0 offset:12
	buffer_store_dword v4, off, s[0:3], 0 offset:8
	s_cbranch_vccz .LBB13_124
; %bb.98:
	global_load_dword v3, v3, s[10:11] offset:48
	s_load_dwordx2 s[4:5], s[4:5], 0x4
	s_waitcnt lgkmcnt(0)
	s_lshr_b32 s4, s4, 16
	v_mul_u32_u24_e32 v4, s5, v1
	s_mul_i32 s4, s4, s5
	v_mul_u32_u24_e32 v0, s4, v0
	v_add3_u32 v0, v0, v4, v2
	v_lshl_add_u32 v0, v0, 4, 0x1c8
	s_waitcnt vmcnt(0)
	v_add_nc_u32_e32 v1, -1, v3
	v_cmp_ne_u32_e32 vcc_lo, 12, v1
	s_cbranch_vccz .LBB13_100
; %bb.99:
	v_lshlrev_b32_e32 v1, 4, v1
	v_mov_b32_e32 v5, s13
	v_mov_b32_e32 v6, v1
	s_clause 0x7
	buffer_load_dword v1, v5, s[0:3], 0 offen
	buffer_load_dword v2, v5, s[0:3], 0 offen offset:4
	buffer_load_dword v3, v5, s[0:3], 0 offen offset:8
	;; [unrolled: 1-line block ×3, first 2 shown]
	buffer_load_dword v35, v6, s[0:3], 0 offen
	buffer_load_dword v36, v6, s[0:3], 0 offen offset:4
	buffer_load_dword v37, v6, s[0:3], 0 offen offset:8
	;; [unrolled: 1-line block ×3, first 2 shown]
	s_waitcnt vmcnt(4)
	ds_write2_b64 v0, v[1:2], v[3:4] offset1:1
	s_waitcnt vmcnt(3)
	buffer_store_dword v35, v5, s[0:3], 0 offen
	s_waitcnt vmcnt(2)
	buffer_store_dword v36, v5, s[0:3], 0 offen offset:4
	s_waitcnt vmcnt(1)
	buffer_store_dword v37, v5, s[0:3], 0 offen offset:8
	;; [unrolled: 2-line block ×3, first 2 shown]
	buffer_store_dword v4, v6, s[0:3], 0 offen offset:12
	buffer_store_dword v3, v6, s[0:3], 0 offen offset:8
	;; [unrolled: 1-line block ×3, first 2 shown]
	buffer_store_dword v1, v6, s[0:3], 0 offen
.LBB13_100:
	v_mov_b32_e32 v1, 0
	global_load_dword v2, v1, s[10:11] offset:44
	s_waitcnt vmcnt(0)
	v_add_nc_u32_e32 v2, -1, v2
	v_cmp_eq_u32_e32 vcc_lo, 11, v2
	s_cbranch_vccnz .LBB13_102
; %bb.101:
	v_lshlrev_b32_e32 v2, 4, v2
	v_mov_b32_e32 v6, s16
	v_mov_b32_e32 v35, v2
	s_clause 0x7
	buffer_load_dword v2, v6, s[0:3], 0 offen
	buffer_load_dword v3, v6, s[0:3], 0 offen offset:4
	buffer_load_dword v4, v6, s[0:3], 0 offen offset:8
	;; [unrolled: 1-line block ×3, first 2 shown]
	buffer_load_dword v36, v35, s[0:3], 0 offen
	buffer_load_dword v37, v35, s[0:3], 0 offen offset:4
	buffer_load_dword v38, v35, s[0:3], 0 offen offset:8
	;; [unrolled: 1-line block ×3, first 2 shown]
	s_waitcnt vmcnt(4)
	ds_write2_b64 v0, v[2:3], v[4:5] offset1:1
	s_waitcnt vmcnt(3)
	buffer_store_dword v36, v6, s[0:3], 0 offen
	s_waitcnt vmcnt(2)
	buffer_store_dword v37, v6, s[0:3], 0 offen offset:4
	s_waitcnt vmcnt(1)
	buffer_store_dword v38, v6, s[0:3], 0 offen offset:8
	;; [unrolled: 2-line block ×3, first 2 shown]
	buffer_store_dword v5, v35, s[0:3], 0 offen offset:12
	buffer_store_dword v4, v35, s[0:3], 0 offen offset:8
	;; [unrolled: 1-line block ×3, first 2 shown]
	buffer_store_dword v2, v35, s[0:3], 0 offen
.LBB13_102:
	global_load_dword v1, v1, s[10:11] offset:40
	s_waitcnt vmcnt(0)
	v_add_nc_u32_e32 v1, -1, v1
	v_cmp_eq_u32_e32 vcc_lo, 10, v1
	s_cbranch_vccnz .LBB13_104
; %bb.103:
	v_lshlrev_b32_e32 v1, 4, v1
	v_mov_b32_e32 v5, s17
	v_mov_b32_e32 v6, v1
	s_clause 0x7
	buffer_load_dword v1, v5, s[0:3], 0 offen
	buffer_load_dword v2, v5, s[0:3], 0 offen offset:4
	buffer_load_dword v3, v5, s[0:3], 0 offen offset:8
	;; [unrolled: 1-line block ×3, first 2 shown]
	buffer_load_dword v35, v6, s[0:3], 0 offen
	buffer_load_dword v36, v6, s[0:3], 0 offen offset:4
	buffer_load_dword v37, v6, s[0:3], 0 offen offset:8
	;; [unrolled: 1-line block ×3, first 2 shown]
	s_waitcnt vmcnt(4)
	ds_write2_b64 v0, v[1:2], v[3:4] offset1:1
	s_waitcnt vmcnt(3)
	buffer_store_dword v35, v5, s[0:3], 0 offen
	s_waitcnt vmcnt(2)
	buffer_store_dword v36, v5, s[0:3], 0 offen offset:4
	s_waitcnt vmcnt(1)
	buffer_store_dword v37, v5, s[0:3], 0 offen offset:8
	;; [unrolled: 2-line block ×3, first 2 shown]
	buffer_store_dword v4, v6, s[0:3], 0 offen offset:12
	buffer_store_dword v3, v6, s[0:3], 0 offen offset:8
	;; [unrolled: 1-line block ×3, first 2 shown]
	buffer_store_dword v1, v6, s[0:3], 0 offen
.LBB13_104:
	v_mov_b32_e32 v1, 0
	global_load_dword v2, v1, s[10:11] offset:36
	s_waitcnt vmcnt(0)
	v_add_nc_u32_e32 v2, -1, v2
	v_cmp_eq_u32_e32 vcc_lo, 9, v2
	s_cbranch_vccnz .LBB13_106
; %bb.105:
	v_lshlrev_b32_e32 v2, 4, v2
	v_mov_b32_e32 v6, s18
	v_mov_b32_e32 v35, v2
	s_clause 0x7
	buffer_load_dword v2, v6, s[0:3], 0 offen
	buffer_load_dword v3, v6, s[0:3], 0 offen offset:4
	buffer_load_dword v4, v6, s[0:3], 0 offen offset:8
	;; [unrolled: 1-line block ×3, first 2 shown]
	buffer_load_dword v36, v35, s[0:3], 0 offen
	buffer_load_dword v37, v35, s[0:3], 0 offen offset:4
	buffer_load_dword v38, v35, s[0:3], 0 offen offset:8
	;; [unrolled: 1-line block ×3, first 2 shown]
	s_waitcnt vmcnt(4)
	ds_write2_b64 v0, v[2:3], v[4:5] offset1:1
	s_waitcnt vmcnt(3)
	buffer_store_dword v36, v6, s[0:3], 0 offen
	s_waitcnt vmcnt(2)
	buffer_store_dword v37, v6, s[0:3], 0 offen offset:4
	s_waitcnt vmcnt(1)
	buffer_store_dword v38, v6, s[0:3], 0 offen offset:8
	;; [unrolled: 2-line block ×3, first 2 shown]
	buffer_store_dword v5, v35, s[0:3], 0 offen offset:12
	buffer_store_dword v4, v35, s[0:3], 0 offen offset:8
	;; [unrolled: 1-line block ×3, first 2 shown]
	buffer_store_dword v2, v35, s[0:3], 0 offen
.LBB13_106:
	global_load_dword v1, v1, s[10:11] offset:32
	s_waitcnt vmcnt(0)
	v_add_nc_u32_e32 v1, -1, v1
	v_cmp_eq_u32_e32 vcc_lo, 8, v1
	s_cbranch_vccnz .LBB13_108
; %bb.107:
	v_lshlrev_b32_e32 v1, 4, v1
	v_mov_b32_e32 v5, s19
	v_mov_b32_e32 v6, v1
	s_clause 0x7
	buffer_load_dword v1, v5, s[0:3], 0 offen
	buffer_load_dword v2, v5, s[0:3], 0 offen offset:4
	buffer_load_dword v3, v5, s[0:3], 0 offen offset:8
	;; [unrolled: 1-line block ×3, first 2 shown]
	buffer_load_dword v35, v6, s[0:3], 0 offen
	buffer_load_dword v36, v6, s[0:3], 0 offen offset:4
	buffer_load_dword v37, v6, s[0:3], 0 offen offset:8
	;; [unrolled: 1-line block ×3, first 2 shown]
	s_waitcnt vmcnt(4)
	ds_write2_b64 v0, v[1:2], v[3:4] offset1:1
	s_waitcnt vmcnt(3)
	buffer_store_dword v35, v5, s[0:3], 0 offen
	s_waitcnt vmcnt(2)
	buffer_store_dword v36, v5, s[0:3], 0 offen offset:4
	s_waitcnt vmcnt(1)
	buffer_store_dword v37, v5, s[0:3], 0 offen offset:8
	;; [unrolled: 2-line block ×3, first 2 shown]
	buffer_store_dword v4, v6, s[0:3], 0 offen offset:12
	buffer_store_dword v3, v6, s[0:3], 0 offen offset:8
	;; [unrolled: 1-line block ×3, first 2 shown]
	buffer_store_dword v1, v6, s[0:3], 0 offen
.LBB13_108:
	v_mov_b32_e32 v1, 0
	global_load_dword v2, v1, s[10:11] offset:28
	s_waitcnt vmcnt(0)
	v_add_nc_u32_e32 v2, -1, v2
	v_cmp_eq_u32_e32 vcc_lo, 7, v2
	s_cbranch_vccnz .LBB13_110
; %bb.109:
	v_lshlrev_b32_e32 v2, 4, v2
	v_mov_b32_e32 v6, s20
	v_mov_b32_e32 v35, v2
	s_clause 0x7
	buffer_load_dword v2, v6, s[0:3], 0 offen
	buffer_load_dword v3, v6, s[0:3], 0 offen offset:4
	buffer_load_dword v4, v6, s[0:3], 0 offen offset:8
	;; [unrolled: 1-line block ×3, first 2 shown]
	buffer_load_dword v36, v35, s[0:3], 0 offen
	buffer_load_dword v37, v35, s[0:3], 0 offen offset:4
	buffer_load_dword v38, v35, s[0:3], 0 offen offset:8
	;; [unrolled: 1-line block ×3, first 2 shown]
	s_waitcnt vmcnt(4)
	ds_write2_b64 v0, v[2:3], v[4:5] offset1:1
	s_waitcnt vmcnt(3)
	buffer_store_dword v36, v6, s[0:3], 0 offen
	s_waitcnt vmcnt(2)
	buffer_store_dword v37, v6, s[0:3], 0 offen offset:4
	s_waitcnt vmcnt(1)
	buffer_store_dword v38, v6, s[0:3], 0 offen offset:8
	;; [unrolled: 2-line block ×3, first 2 shown]
	buffer_store_dword v5, v35, s[0:3], 0 offen offset:12
	buffer_store_dword v4, v35, s[0:3], 0 offen offset:8
	;; [unrolled: 1-line block ×3, first 2 shown]
	buffer_store_dword v2, v35, s[0:3], 0 offen
.LBB13_110:
	global_load_dword v1, v1, s[10:11] offset:24
	s_waitcnt vmcnt(0)
	v_add_nc_u32_e32 v1, -1, v1
	v_cmp_eq_u32_e32 vcc_lo, 6, v1
	s_cbranch_vccnz .LBB13_112
; %bb.111:
	v_lshlrev_b32_e32 v1, 4, v1
	v_mov_b32_e32 v5, s21
	v_mov_b32_e32 v6, v1
	s_clause 0x7
	buffer_load_dword v1, v5, s[0:3], 0 offen
	buffer_load_dword v2, v5, s[0:3], 0 offen offset:4
	buffer_load_dword v3, v5, s[0:3], 0 offen offset:8
	;; [unrolled: 1-line block ×3, first 2 shown]
	buffer_load_dword v35, v6, s[0:3], 0 offen
	buffer_load_dword v36, v6, s[0:3], 0 offen offset:4
	buffer_load_dword v37, v6, s[0:3], 0 offen offset:8
	;; [unrolled: 1-line block ×3, first 2 shown]
	s_waitcnt vmcnt(4)
	ds_write2_b64 v0, v[1:2], v[3:4] offset1:1
	s_waitcnt vmcnt(3)
	buffer_store_dword v35, v5, s[0:3], 0 offen
	s_waitcnt vmcnt(2)
	buffer_store_dword v36, v5, s[0:3], 0 offen offset:4
	s_waitcnt vmcnt(1)
	buffer_store_dword v37, v5, s[0:3], 0 offen offset:8
	;; [unrolled: 2-line block ×3, first 2 shown]
	buffer_store_dword v4, v6, s[0:3], 0 offen offset:12
	buffer_store_dword v3, v6, s[0:3], 0 offen offset:8
	;; [unrolled: 1-line block ×3, first 2 shown]
	buffer_store_dword v1, v6, s[0:3], 0 offen
.LBB13_112:
	v_mov_b32_e32 v1, 0
	global_load_dword v2, v1, s[10:11] offset:20
	s_waitcnt vmcnt(0)
	v_add_nc_u32_e32 v2, -1, v2
	v_cmp_eq_u32_e32 vcc_lo, 5, v2
	s_cbranch_vccnz .LBB13_114
; %bb.113:
	v_lshlrev_b32_e32 v2, 4, v2
	v_mov_b32_e32 v6, s22
	v_mov_b32_e32 v35, v2
	s_clause 0x7
	buffer_load_dword v2, v6, s[0:3], 0 offen
	buffer_load_dword v3, v6, s[0:3], 0 offen offset:4
	buffer_load_dword v4, v6, s[0:3], 0 offen offset:8
	;; [unrolled: 1-line block ×3, first 2 shown]
	buffer_load_dword v36, v35, s[0:3], 0 offen
	buffer_load_dword v37, v35, s[0:3], 0 offen offset:4
	buffer_load_dword v38, v35, s[0:3], 0 offen offset:8
	buffer_load_dword v39, v35, s[0:3], 0 offen offset:12
	s_waitcnt vmcnt(4)
	ds_write2_b64 v0, v[2:3], v[4:5] offset1:1
	s_waitcnt vmcnt(3)
	buffer_store_dword v36, v6, s[0:3], 0 offen
	s_waitcnt vmcnt(2)
	buffer_store_dword v37, v6, s[0:3], 0 offen offset:4
	s_waitcnt vmcnt(1)
	buffer_store_dword v38, v6, s[0:3], 0 offen offset:8
	;; [unrolled: 2-line block ×3, first 2 shown]
	buffer_store_dword v5, v35, s[0:3], 0 offen offset:12
	buffer_store_dword v4, v35, s[0:3], 0 offen offset:8
	;; [unrolled: 1-line block ×3, first 2 shown]
	buffer_store_dword v2, v35, s[0:3], 0 offen
.LBB13_114:
	global_load_dword v1, v1, s[10:11] offset:16
	s_waitcnt vmcnt(0)
	v_add_nc_u32_e32 v1, -1, v1
	v_cmp_eq_u32_e32 vcc_lo, 4, v1
	s_cbranch_vccnz .LBB13_116
; %bb.115:
	v_lshlrev_b32_e32 v1, 4, v1
	v_mov_b32_e32 v5, s23
	v_mov_b32_e32 v6, v1
	s_clause 0x7
	buffer_load_dword v1, v5, s[0:3], 0 offen
	buffer_load_dword v2, v5, s[0:3], 0 offen offset:4
	buffer_load_dword v3, v5, s[0:3], 0 offen offset:8
	;; [unrolled: 1-line block ×3, first 2 shown]
	buffer_load_dword v35, v6, s[0:3], 0 offen
	buffer_load_dword v36, v6, s[0:3], 0 offen offset:4
	buffer_load_dword v37, v6, s[0:3], 0 offen offset:8
	;; [unrolled: 1-line block ×3, first 2 shown]
	s_waitcnt vmcnt(4)
	ds_write2_b64 v0, v[1:2], v[3:4] offset1:1
	s_waitcnt vmcnt(3)
	buffer_store_dword v35, v5, s[0:3], 0 offen
	s_waitcnt vmcnt(2)
	buffer_store_dword v36, v5, s[0:3], 0 offen offset:4
	s_waitcnt vmcnt(1)
	buffer_store_dword v37, v5, s[0:3], 0 offen offset:8
	;; [unrolled: 2-line block ×3, first 2 shown]
	buffer_store_dword v4, v6, s[0:3], 0 offen offset:12
	buffer_store_dword v3, v6, s[0:3], 0 offen offset:8
	;; [unrolled: 1-line block ×3, first 2 shown]
	buffer_store_dword v1, v6, s[0:3], 0 offen
.LBB13_116:
	v_mov_b32_e32 v1, 0
	global_load_dword v2, v1, s[10:11] offset:12
	s_waitcnt vmcnt(0)
	v_add_nc_u32_e32 v2, -1, v2
	v_cmp_eq_u32_e32 vcc_lo, 3, v2
	s_cbranch_vccnz .LBB13_118
; %bb.117:
	v_lshlrev_b32_e32 v2, 4, v2
	v_mov_b32_e32 v6, s24
	v_mov_b32_e32 v35, v2
	s_clause 0x7
	buffer_load_dword v2, v6, s[0:3], 0 offen
	buffer_load_dword v3, v6, s[0:3], 0 offen offset:4
	buffer_load_dword v4, v6, s[0:3], 0 offen offset:8
	buffer_load_dword v5, v6, s[0:3], 0 offen offset:12
	buffer_load_dword v36, v35, s[0:3], 0 offen
	buffer_load_dword v37, v35, s[0:3], 0 offen offset:4
	buffer_load_dword v38, v35, s[0:3], 0 offen offset:8
	;; [unrolled: 1-line block ×3, first 2 shown]
	s_waitcnt vmcnt(4)
	ds_write2_b64 v0, v[2:3], v[4:5] offset1:1
	s_waitcnt vmcnt(3)
	buffer_store_dword v36, v6, s[0:3], 0 offen
	s_waitcnt vmcnt(2)
	buffer_store_dword v37, v6, s[0:3], 0 offen offset:4
	s_waitcnt vmcnt(1)
	buffer_store_dword v38, v6, s[0:3], 0 offen offset:8
	s_waitcnt vmcnt(0)
	buffer_store_dword v39, v6, s[0:3], 0 offen offset:12
	buffer_store_dword v5, v35, s[0:3], 0 offen offset:12
	buffer_store_dword v4, v35, s[0:3], 0 offen offset:8
	;; [unrolled: 1-line block ×3, first 2 shown]
	buffer_store_dword v2, v35, s[0:3], 0 offen
.LBB13_118:
	global_load_dword v1, v1, s[10:11] offset:8
	s_waitcnt vmcnt(0)
	v_add_nc_u32_e32 v1, -1, v1
	v_cmp_eq_u32_e32 vcc_lo, 2, v1
	s_cbranch_vccnz .LBB13_120
; %bb.119:
	v_lshlrev_b32_e32 v1, 4, v1
	v_mov_b32_e32 v5, s25
	v_mov_b32_e32 v6, v1
	s_clause 0x7
	buffer_load_dword v1, v5, s[0:3], 0 offen
	buffer_load_dword v2, v5, s[0:3], 0 offen offset:4
	buffer_load_dword v3, v5, s[0:3], 0 offen offset:8
	;; [unrolled: 1-line block ×3, first 2 shown]
	buffer_load_dword v35, v6, s[0:3], 0 offen
	buffer_load_dword v36, v6, s[0:3], 0 offen offset:4
	buffer_load_dword v37, v6, s[0:3], 0 offen offset:8
	;; [unrolled: 1-line block ×3, first 2 shown]
	s_waitcnt vmcnt(4)
	ds_write2_b64 v0, v[1:2], v[3:4] offset1:1
	s_waitcnt vmcnt(3)
	buffer_store_dword v35, v5, s[0:3], 0 offen
	s_waitcnt vmcnt(2)
	buffer_store_dword v36, v5, s[0:3], 0 offen offset:4
	s_waitcnt vmcnt(1)
	buffer_store_dword v37, v5, s[0:3], 0 offen offset:8
	;; [unrolled: 2-line block ×3, first 2 shown]
	buffer_store_dword v4, v6, s[0:3], 0 offen offset:12
	buffer_store_dword v3, v6, s[0:3], 0 offen offset:8
	buffer_store_dword v2, v6, s[0:3], 0 offen offset:4
	buffer_store_dword v1, v6, s[0:3], 0 offen
.LBB13_120:
	v_mov_b32_e32 v1, 0
	global_load_dword v2, v1, s[10:11] offset:4
	s_waitcnt vmcnt(0)
	v_add_nc_u32_e32 v2, -1, v2
	v_cmp_eq_u32_e32 vcc_lo, 1, v2
	s_cbranch_vccnz .LBB13_122
; %bb.121:
	v_lshlrev_b32_e32 v2, 4, v2
	v_mov_b32_e32 v6, s26
	v_mov_b32_e32 v35, v2
	s_clause 0x7
	buffer_load_dword v2, v6, s[0:3], 0 offen
	buffer_load_dword v3, v6, s[0:3], 0 offen offset:4
	buffer_load_dword v4, v6, s[0:3], 0 offen offset:8
	;; [unrolled: 1-line block ×3, first 2 shown]
	buffer_load_dword v36, v35, s[0:3], 0 offen
	buffer_load_dword v37, v35, s[0:3], 0 offen offset:4
	buffer_load_dword v38, v35, s[0:3], 0 offen offset:8
	;; [unrolled: 1-line block ×3, first 2 shown]
	s_waitcnt vmcnt(4)
	ds_write2_b64 v0, v[2:3], v[4:5] offset1:1
	s_waitcnt vmcnt(3)
	buffer_store_dword v36, v6, s[0:3], 0 offen
	s_waitcnt vmcnt(2)
	buffer_store_dword v37, v6, s[0:3], 0 offen offset:4
	s_waitcnt vmcnt(1)
	buffer_store_dword v38, v6, s[0:3], 0 offen offset:8
	;; [unrolled: 2-line block ×3, first 2 shown]
	buffer_store_dword v5, v35, s[0:3], 0 offen offset:12
	buffer_store_dword v4, v35, s[0:3], 0 offen offset:8
	;; [unrolled: 1-line block ×3, first 2 shown]
	buffer_store_dword v2, v35, s[0:3], 0 offen
.LBB13_122:
	global_load_dword v1, v1, s[10:11]
	s_waitcnt vmcnt(0)
	v_add_nc_u32_e32 v1, -1, v1
	v_cmp_eq_u32_e32 vcc_lo, 0, v1
	s_cbranch_vccnz .LBB13_124
; %bb.123:
	v_lshlrev_b32_e32 v1, 4, v1
	v_mov_b32_e32 v5, v1
	s_clause 0x7
	buffer_load_dword v1, off, s[0:3], 0
	buffer_load_dword v2, off, s[0:3], 0 offset:4
	buffer_load_dword v3, off, s[0:3], 0 offset:8
	buffer_load_dword v4, off, s[0:3], 0 offset:12
	buffer_load_dword v6, v5, s[0:3], 0 offen
	buffer_load_dword v35, v5, s[0:3], 0 offen offset:4
	buffer_load_dword v36, v5, s[0:3], 0 offen offset:8
	;; [unrolled: 1-line block ×3, first 2 shown]
	s_waitcnt vmcnt(4)
	ds_write2_b64 v0, v[1:2], v[3:4] offset1:1
	s_waitcnt vmcnt(3)
	buffer_store_dword v6, off, s[0:3], 0
	s_waitcnt vmcnt(2)
	buffer_store_dword v35, off, s[0:3], 0 offset:4
	s_waitcnt vmcnt(1)
	buffer_store_dword v36, off, s[0:3], 0 offset:8
	;; [unrolled: 2-line block ×3, first 2 shown]
	buffer_store_dword v4, v5, s[0:3], 0 offen offset:12
	buffer_store_dword v3, v5, s[0:3], 0 offen offset:8
	;; [unrolled: 1-line block ×3, first 2 shown]
	buffer_store_dword v1, v5, s[0:3], 0 offen
.LBB13_124:
	v_mov_b32_e32 v5, s25
	v_mov_b32_e32 v6, s23
	;; [unrolled: 1-line block ×3, first 2 shown]
	s_clause 0x7
	buffer_load_dword v0, off, s[0:3], 0
	buffer_load_dword v1, off, s[0:3], 0 offset:4
	buffer_load_dword v2, off, s[0:3], 0 offset:8
	;; [unrolled: 1-line block ×3, first 2 shown]
	buffer_load_dword v35, v4, s[0:3], 0 offen
	buffer_load_dword v36, v4, s[0:3], 0 offen offset:4
	buffer_load_dword v37, v4, s[0:3], 0 offen offset:8
	;; [unrolled: 1-line block ×3, first 2 shown]
	v_mov_b32_e32 v4, s24
	s_clause 0x7
	buffer_load_dword v39, v5, s[0:3], 0 offen
	buffer_load_dword v40, v5, s[0:3], 0 offen offset:4
	buffer_load_dword v41, v5, s[0:3], 0 offen offset:8
	buffer_load_dword v42, v5, s[0:3], 0 offen offset:12
	buffer_load_dword v43, v4, s[0:3], 0 offen
	buffer_load_dword v44, v4, s[0:3], 0 offen offset:4
	buffer_load_dword v45, v4, s[0:3], 0 offen offset:8
	buffer_load_dword v46, v4, s[0:3], 0 offen offset:12
	v_mov_b32_e32 v4, s22
	v_mov_b32_e32 v5, s21
	s_clause 0x7
	buffer_load_dword v47, v6, s[0:3], 0 offen
	buffer_load_dword v48, v6, s[0:3], 0 offen offset:4
	buffer_load_dword v49, v6, s[0:3], 0 offen offset:8
	buffer_load_dword v50, v6, s[0:3], 0 offen offset:12
	buffer_load_dword v51, v4, s[0:3], 0 offen
	buffer_load_dword v52, v4, s[0:3], 0 offen offset:4
	buffer_load_dword v53, v4, s[0:3], 0 offen offset:8
	buffer_load_dword v54, v4, s[0:3], 0 offen offset:12
	v_mov_b32_e32 v6, s19
	;; [unrolled: 11-line block ×5, first 2 shown]
	s_clause 0x7
	buffer_load_dword v79, v6, s[0:3], 0 offen
	buffer_load_dword v80, v6, s[0:3], 0 offen offset:4
	buffer_load_dword v81, v6, s[0:3], 0 offen offset:8
	;; [unrolled: 1-line block ×3, first 2 shown]
	buffer_load_dword v83, v4, s[0:3], 0 offen
	buffer_load_dword v84, v4, s[0:3], 0 offen offset:4
	buffer_load_dword v85, v4, s[0:3], 0 offen offset:8
	;; [unrolled: 1-line block ×3, first 2 shown]
	s_waitcnt vmcnt(52)
	global_store_dwordx4 v[7:8], v[0:3], off
	s_waitcnt vmcnt(48)
	global_store_dwordx4 v[9:10], v[35:38], off
	;; [unrolled: 2-line block ×14, first 2 shown]
	s_endpgm
	.section	.rodata,"a",@progbits
	.p2align	6, 0x0
	.amdhsa_kernel _ZN9rocsolver6v33100L18getri_kernel_smallILi14E19rocblas_complex_numIdEPS3_EEvT1_iilPiilS6_bb
		.amdhsa_group_segment_fixed_size 1480
		.amdhsa_private_segment_fixed_size 240
		.amdhsa_kernarg_size 60
		.amdhsa_user_sgpr_count 8
		.amdhsa_user_sgpr_private_segment_buffer 1
		.amdhsa_user_sgpr_dispatch_ptr 1
		.amdhsa_user_sgpr_queue_ptr 0
		.amdhsa_user_sgpr_kernarg_segment_ptr 1
		.amdhsa_user_sgpr_dispatch_id 0
		.amdhsa_user_sgpr_flat_scratch_init 0
		.amdhsa_user_sgpr_private_segment_size 0
		.amdhsa_wavefront_size32 1
		.amdhsa_uses_dynamic_stack 0
		.amdhsa_system_sgpr_private_segment_wavefront_offset 1
		.amdhsa_system_sgpr_workgroup_id_x 1
		.amdhsa_system_sgpr_workgroup_id_y 0
		.amdhsa_system_sgpr_workgroup_id_z 0
		.amdhsa_system_sgpr_workgroup_info 0
		.amdhsa_system_vgpr_workitem_id 2
		.amdhsa_next_free_vgpr 105
		.amdhsa_next_free_sgpr 34
		.amdhsa_reserve_vcc 1
		.amdhsa_reserve_flat_scratch 0
		.amdhsa_float_round_mode_32 0
		.amdhsa_float_round_mode_16_64 0
		.amdhsa_float_denorm_mode_32 3
		.amdhsa_float_denorm_mode_16_64 3
		.amdhsa_dx10_clamp 1
		.amdhsa_ieee_mode 1
		.amdhsa_fp16_overflow 0
		.amdhsa_workgroup_processor_mode 1
		.amdhsa_memory_ordered 1
		.amdhsa_forward_progress 1
		.amdhsa_shared_vgpr_count 0
		.amdhsa_exception_fp_ieee_invalid_op 0
		.amdhsa_exception_fp_denorm_src 0
		.amdhsa_exception_fp_ieee_div_zero 0
		.amdhsa_exception_fp_ieee_overflow 0
		.amdhsa_exception_fp_ieee_underflow 0
		.amdhsa_exception_fp_ieee_inexact 0
		.amdhsa_exception_int_div_zero 0
	.end_amdhsa_kernel
	.section	.text._ZN9rocsolver6v33100L18getri_kernel_smallILi14E19rocblas_complex_numIdEPS3_EEvT1_iilPiilS6_bb,"axG",@progbits,_ZN9rocsolver6v33100L18getri_kernel_smallILi14E19rocblas_complex_numIdEPS3_EEvT1_iilPiilS6_bb,comdat
.Lfunc_end13:
	.size	_ZN9rocsolver6v33100L18getri_kernel_smallILi14E19rocblas_complex_numIdEPS3_EEvT1_iilPiilS6_bb, .Lfunc_end13-_ZN9rocsolver6v33100L18getri_kernel_smallILi14E19rocblas_complex_numIdEPS3_EEvT1_iilPiilS6_bb
                                        ; -- End function
	.set _ZN9rocsolver6v33100L18getri_kernel_smallILi14E19rocblas_complex_numIdEPS3_EEvT1_iilPiilS6_bb.num_vgpr, 105
	.set _ZN9rocsolver6v33100L18getri_kernel_smallILi14E19rocblas_complex_numIdEPS3_EEvT1_iilPiilS6_bb.num_agpr, 0
	.set _ZN9rocsolver6v33100L18getri_kernel_smallILi14E19rocblas_complex_numIdEPS3_EEvT1_iilPiilS6_bb.numbered_sgpr, 34
	.set _ZN9rocsolver6v33100L18getri_kernel_smallILi14E19rocblas_complex_numIdEPS3_EEvT1_iilPiilS6_bb.num_named_barrier, 0
	.set _ZN9rocsolver6v33100L18getri_kernel_smallILi14E19rocblas_complex_numIdEPS3_EEvT1_iilPiilS6_bb.private_seg_size, 240
	.set _ZN9rocsolver6v33100L18getri_kernel_smallILi14E19rocblas_complex_numIdEPS3_EEvT1_iilPiilS6_bb.uses_vcc, 1
	.set _ZN9rocsolver6v33100L18getri_kernel_smallILi14E19rocblas_complex_numIdEPS3_EEvT1_iilPiilS6_bb.uses_flat_scratch, 0
	.set _ZN9rocsolver6v33100L18getri_kernel_smallILi14E19rocblas_complex_numIdEPS3_EEvT1_iilPiilS6_bb.has_dyn_sized_stack, 0
	.set _ZN9rocsolver6v33100L18getri_kernel_smallILi14E19rocblas_complex_numIdEPS3_EEvT1_iilPiilS6_bb.has_recursion, 0
	.set _ZN9rocsolver6v33100L18getri_kernel_smallILi14E19rocblas_complex_numIdEPS3_EEvT1_iilPiilS6_bb.has_indirect_call, 0
	.section	.AMDGPU.csdata,"",@progbits
; Kernel info:
; codeLenInByte = 22020
; TotalNumSgprs: 36
; NumVgprs: 105
; ScratchSize: 240
; MemoryBound: 0
; FloatMode: 240
; IeeeMode: 1
; LDSByteSize: 1480 bytes/workgroup (compile time only)
; SGPRBlocks: 0
; VGPRBlocks: 13
; NumSGPRsForWavesPerEU: 36
; NumVGPRsForWavesPerEU: 105
; Occupancy: 9
; WaveLimiterHint : 1
; COMPUTE_PGM_RSRC2:SCRATCH_EN: 1
; COMPUTE_PGM_RSRC2:USER_SGPR: 8
; COMPUTE_PGM_RSRC2:TRAP_HANDLER: 0
; COMPUTE_PGM_RSRC2:TGID_X_EN: 1
; COMPUTE_PGM_RSRC2:TGID_Y_EN: 0
; COMPUTE_PGM_RSRC2:TGID_Z_EN: 0
; COMPUTE_PGM_RSRC2:TIDIG_COMP_CNT: 2
	.section	.text._ZN9rocsolver6v33100L18getri_kernel_smallILi15E19rocblas_complex_numIdEPS3_EEvT1_iilPiilS6_bb,"axG",@progbits,_ZN9rocsolver6v33100L18getri_kernel_smallILi15E19rocblas_complex_numIdEPS3_EEvT1_iilPiilS6_bb,comdat
	.globl	_ZN9rocsolver6v33100L18getri_kernel_smallILi15E19rocblas_complex_numIdEPS3_EEvT1_iilPiilS6_bb ; -- Begin function _ZN9rocsolver6v33100L18getri_kernel_smallILi15E19rocblas_complex_numIdEPS3_EEvT1_iilPiilS6_bb
	.p2align	8
	.type	_ZN9rocsolver6v33100L18getri_kernel_smallILi15E19rocblas_complex_numIdEPS3_EEvT1_iilPiilS6_bb,@function
_ZN9rocsolver6v33100L18getri_kernel_smallILi15E19rocblas_complex_numIdEPS3_EEvT1_iilPiilS6_bb: ; @_ZN9rocsolver6v33100L18getri_kernel_smallILi15E19rocblas_complex_numIdEPS3_EEvT1_iilPiilS6_bb
; %bb.0:
	s_add_u32 s0, s0, s9
	s_addc_u32 s1, s1, 0
	s_mov_b32 s9, exec_lo
	v_cmpx_gt_u32_e32 15, v0
	s_cbranch_execz .LBB14_74
; %bb.1:
	s_clause 0x2
	s_load_dword s9, s[6:7], 0x38
	s_load_dwordx4 s[20:23], s[6:7], 0x10
	s_load_dwordx4 s[12:15], s[6:7], 0x28
	s_waitcnt lgkmcnt(0)
	s_bitcmp1_b32 s9, 8
	s_cselect_b32 s28, -1, 0
	s_bfe_u32 s10, s9, 0x10008
	s_ashr_i32 s9, s8, 31
	s_cmp_eq_u32 s10, 0
                                        ; implicit-def: $sgpr10_sgpr11
	s_cbranch_scc1 .LBB14_3
; %bb.2:
	s_load_dword s10, s[6:7], 0x20
	s_mul_i32 s11, s12, s9
	s_mul_hi_u32 s16, s12, s8
	s_mul_i32 s13, s13, s8
	s_add_i32 s11, s16, s11
	s_mul_i32 s12, s12, s8
	s_add_i32 s13, s11, s13
	s_lshl_b64 s[12:13], s[12:13], 2
	s_waitcnt lgkmcnt(0)
	s_ashr_i32 s11, s10, 31
	s_add_u32 s12, s22, s12
	s_addc_u32 s13, s23, s13
	s_lshl_b64 s[10:11], s[10:11], 2
	s_add_u32 s10, s12, s10
	s_addc_u32 s11, s13, s11
.LBB14_3:
	s_clause 0x1
	s_load_dwordx4 s[16:19], s[6:7], 0x0
	s_load_dword s29, s[6:7], 0x38
	s_mul_i32 s6, s20, s9
	s_mul_hi_u32 s7, s20, s8
	s_mul_i32 s12, s21, s8
	s_add_i32 s7, s7, s6
	s_mul_i32 s6, s20, s8
	s_add_i32 s7, s7, s12
	v_lshlrev_b32_e32 v43, 4, v0
	s_lshl_b64 s[6:7], s[6:7], 4
	s_movk_i32 s30, 0xb0
	s_movk_i32 s31, 0xc0
	;; [unrolled: 1-line block ×8, first 2 shown]
	s_mov_b32 s27, 16
	s_mov_b32 s26, 32
	s_waitcnt lgkmcnt(0)
	v_add3_u32 v9, s19, s19, v0
	s_ashr_i32 s13, s18, 31
	s_mov_b32 s12, s18
	s_add_u32 s16, s16, s6
	s_addc_u32 s17, s17, s7
	v_add_nc_u32_e32 v11, s19, v9
	s_lshl_b64 s[6:7], s[12:13], 4
	v_ashrrev_i32_e32 v10, 31, v9
	s_add_u32 s6, s16, s6
	s_addc_u32 s7, s17, s7
	v_add_nc_u32_e32 v15, s19, v11
	v_ashrrev_i32_e32 v12, 31, v11
	v_add_co_u32 v7, s16, s6, v43
	s_mov_b32 s12, s19
	s_ashr_i32 s13, s19, 31
	v_lshlrev_b64 v[13:14], 4, v[9:10]
	v_add_nc_u32_e32 v19, s19, v15
	v_add_co_ci_u32_e64 v8, null, s7, 0, s16
	s_lshl_b64 s[12:13], s[12:13], 4
	v_lshlrev_b64 v[17:18], 4, v[11:12]
	v_add_co_u32 v9, vcc_lo, v7, s12
	v_ashrrev_i32_e32 v20, 31, v19
	v_add_nc_u32_e32 v21, s19, v19
	v_add_co_ci_u32_e64 v10, null, s13, v8, vcc_lo
	v_add_co_u32 v11, vcc_lo, s6, v13
	v_add_co_ci_u32_e64 v12, null, s7, v14, vcc_lo
	v_add_co_u32 v13, vcc_lo, s6, v17
	v_add_co_ci_u32_e64 v14, null, s7, v18, vcc_lo
	v_lshlrev_b64 v[17:18], 4, v[19:20]
	v_add_nc_u32_e32 v19, s19, v21
	v_ashrrev_i32_e32 v16, 31, v15
	v_ashrrev_i32_e32 v22, 31, v21
	s_clause 0x2
	global_load_dwordx4 v[3:6], v43, s[6:7]
	global_load_dwordx4 v[37:40], v[9:10], off
	global_load_dwordx4 v[44:47], v[11:12], off
	v_add_nc_u32_e32 v23, s19, v19
	v_lshlrev_b64 v[15:16], 4, v[15:16]
	v_ashrrev_i32_e32 v20, 31, v19
	v_lshlrev_b64 v[21:22], 4, v[21:22]
	s_movk_i32 s18, 0xa0
	v_add_nc_u32_e32 v27, s19, v23
	v_ashrrev_i32_e32 v24, 31, v23
	v_add_co_u32 v15, vcc_lo, s6, v15
	v_lshlrev_b64 v[25:26], 4, v[19:20]
	v_add_co_ci_u32_e64 v16, null, s7, v16, vcc_lo
	v_add_co_u32 v17, vcc_lo, s6, v17
	v_ashrrev_i32_e32 v28, 31, v27
	v_add_nc_u32_e32 v29, s19, v27
	v_add_co_ci_u32_e64 v18, null, s7, v18, vcc_lo
	v_add_co_u32 v19, vcc_lo, s6, v21
	v_add_co_ci_u32_e64 v20, null, s7, v22, vcc_lo
	v_add_co_u32 v21, vcc_lo, s6, v25
	v_add_co_ci_u32_e64 v22, null, s7, v26, vcc_lo
	v_lshlrev_b64 v[25:26], 4, v[27:28]
	v_add_nc_u32_e32 v27, s19, v29
	v_ashrrev_i32_e32 v30, 31, v29
	v_lshlrev_b64 v[23:24], 4, v[23:24]
	s_clause 0x3
	global_load_dwordx4 v[48:51], v[13:14], off
	global_load_dwordx4 v[52:55], v[15:16], off
	;; [unrolled: 1-line block ×4, first 2 shown]
	v_add_nc_u32_e32 v31, s19, v27
	v_ashrrev_i32_e32 v28, 31, v27
	v_lshlrev_b64 v[29:30], 4, v[29:30]
	v_add_co_u32 v23, vcc_lo, s6, v23
	v_add_nc_u32_e32 v35, s19, v31
	v_lshlrev_b64 v[33:34], 4, v[27:28]
	v_ashrrev_i32_e32 v32, 31, v31
	v_add_co_ci_u32_e64 v24, null, s7, v24, vcc_lo
	v_add_nc_u32_e32 v41, s19, v35
	v_add_co_u32 v25, vcc_lo, s6, v25
	v_ashrrev_i32_e32 v36, 31, v35
	v_add_co_ci_u32_e64 v26, null, s7, v26, vcc_lo
	v_add_co_u32 v27, vcc_lo, s6, v29
	v_ashrrev_i32_e32 v42, 31, v41
	v_add_co_ci_u32_e64 v28, null, s7, v30, vcc_lo
	v_lshlrev_b64 v[31:32], 4, v[31:32]
	v_add_co_u32 v29, vcc_lo, s6, v33
	v_add_co_ci_u32_e64 v30, null, s7, v34, vcc_lo
	v_lshlrev_b64 v[33:34], 4, v[35:36]
	v_lshlrev_b64 v[35:36], 4, v[41:42]
	v_add_co_u32 v31, vcc_lo, s6, v31
	v_add_co_ci_u32_e64 v32, null, s7, v32, vcc_lo
	v_add_co_u32 v33, vcc_lo, s6, v33
	v_add_co_ci_u32_e64 v34, null, s7, v34, vcc_lo
	;; [unrolled: 2-line block ×3, first 2 shown]
	s_clause 0x7
	global_load_dwordx4 v[64:67], v[21:22], off
	global_load_dwordx4 v[68:71], v[23:24], off
	global_load_dwordx4 v[72:75], v[25:26], off
	global_load_dwordx4 v[76:79], v[27:28], off
	global_load_dwordx4 v[80:83], v[29:30], off
	global_load_dwordx4 v[84:87], v[31:32], off
	global_load_dwordx4 v[88:91], v[33:34], off
	global_load_dwordx4 v[92:95], v[35:36], off
	s_movk_i32 s19, 0x90
	s_mov_b32 s7, -1
	s_mov_b32 s25, 48
	s_mov_b32 s24, 64
	;; [unrolled: 1-line block ×6, first 2 shown]
	s_bitcmp0_b32 s29, 0
	s_waitcnt vmcnt(14)
	buffer_store_dword v6, off, s[0:3], 0 offset:12
	buffer_store_dword v5, off, s[0:3], 0 offset:8
	;; [unrolled: 1-line block ×3, first 2 shown]
	buffer_store_dword v3, off, s[0:3], 0
	s_waitcnt vmcnt(13)
	buffer_store_dword v40, off, s[0:3], 0 offset:28
	buffer_store_dword v39, off, s[0:3], 0 offset:24
	buffer_store_dword v38, off, s[0:3], 0 offset:20
	buffer_store_dword v37, off, s[0:3], 0 offset:16
	s_waitcnt vmcnt(12)
	buffer_store_dword v47, off, s[0:3], 0 offset:44
	buffer_store_dword v46, off, s[0:3], 0 offset:40
	buffer_store_dword v45, off, s[0:3], 0 offset:36
	buffer_store_dword v44, off, s[0:3], 0 offset:32
	;; [unrolled: 5-line block ×14, first 2 shown]
	s_cbranch_scc1 .LBB14_72
; %bb.4:
	v_cmp_eq_u32_e64 s6, 0, v0
	s_and_saveexec_b32 s7, s6
; %bb.5:
	v_mov_b32_e32 v3, 0
	ds_write_b32 v3, v3 offset:480
; %bb.6:
	s_or_b32 exec_lo, exec_lo, s7
	v_lshl_add_u32 v44, v0, 4, 0
	s_waitcnt lgkmcnt(0)
	s_waitcnt_vscnt null, 0x0
	s_barrier
	buffer_gl0_inv
	s_clause 0x3
	buffer_load_dword v3, v44, s[0:3], 0 offen
	buffer_load_dword v4, v44, s[0:3], 0 offen offset:4
	buffer_load_dword v5, v44, s[0:3], 0 offen offset:8
	;; [unrolled: 1-line block ×3, first 2 shown]
	s_waitcnt vmcnt(2)
	v_cmp_eq_f64_e32 vcc_lo, 0, v[3:4]
	s_waitcnt vmcnt(0)
	v_cmp_eq_f64_e64 s7, 0, v[5:6]
	s_and_b32 s7, vcc_lo, s7
	s_and_saveexec_b32 s29, s7
	s_cbranch_execz .LBB14_10
; %bb.7:
	v_mov_b32_e32 v3, 0
	s_mov_b32 s30, 0
	ds_read_b32 v4, v3 offset:480
	s_waitcnt lgkmcnt(0)
	v_readfirstlane_b32 s7, v4
	v_add_nc_u32_e32 v4, 1, v0
	s_cmp_eq_u32 s7, 0
	v_cmp_gt_i32_e32 vcc_lo, s7, v4
	s_cselect_b32 s31, -1, 0
	s_or_b32 s31, s31, vcc_lo
	s_and_b32 exec_lo, exec_lo, s31
	s_cbranch_execz .LBB14_10
; %bb.8:
	v_mov_b32_e32 v5, s7
.LBB14_9:                               ; =>This Inner Loop Header: Depth=1
	ds_cmpst_rtn_b32 v5, v3, v5, v4 offset:480
	s_waitcnt lgkmcnt(0)
	v_cmp_ne_u32_e32 vcc_lo, 0, v5
	v_cmp_le_i32_e64 s7, v5, v4
	s_and_b32 s7, vcc_lo, s7
	s_and_b32 s7, exec_lo, s7
	s_or_b32 s30, s7, s30
	s_andn2_b32 exec_lo, exec_lo, s30
	s_cbranch_execnz .LBB14_9
.LBB14_10:
	s_or_b32 exec_lo, exec_lo, s29
	v_mov_b32_e32 v3, 0
	s_barrier
	buffer_gl0_inv
	ds_read_b32 v4, v3 offset:480
	s_and_saveexec_b32 s7, s6
	s_cbranch_execz .LBB14_12
; %bb.11:
	s_lshl_b64 s[30:31], s[8:9], 2
	s_add_u32 s30, s14, s30
	s_addc_u32 s31, s15, s31
	s_waitcnt lgkmcnt(0)
	global_store_dword v3, v4, s[30:31]
.LBB14_12:
	s_or_b32 exec_lo, exec_lo, s7
	s_waitcnt lgkmcnt(0)
	v_cmp_ne_u32_e32 vcc_lo, 0, v4
	s_mov_b32 s7, 0
	s_cbranch_vccnz .LBB14_72
; %bb.13:
	s_clause 0x3
	buffer_load_dword v39, v44, s[0:3], 0 offen
	buffer_load_dword v40, v44, s[0:3], 0 offen offset:4
	buffer_load_dword v41, v44, s[0:3], 0 offen offset:8
	;; [unrolled: 1-line block ×3, first 2 shown]
                                        ; implicit-def: $vgpr37_vgpr38
                                        ; implicit-def: $vgpr5_vgpr6
	s_waitcnt vmcnt(0)
	v_cmp_ngt_f64_e64 s7, |v[39:40]|, |v[41:42]|
	s_and_saveexec_b32 s29, s7
	s_xor_b32 s7, exec_lo, s29
	s_cbranch_execz .LBB14_15
; %bb.14:
	v_div_scale_f64 v[3:4], null, v[41:42], v[41:42], v[39:40]
	v_div_scale_f64 v[45:46], vcc_lo, v[39:40], v[41:42], v[39:40]
	v_rcp_f64_e32 v[5:6], v[3:4]
	v_fma_f64 v[37:38], -v[3:4], v[5:6], 1.0
	v_fma_f64 v[5:6], v[5:6], v[37:38], v[5:6]
	v_fma_f64 v[37:38], -v[3:4], v[5:6], 1.0
	v_fma_f64 v[5:6], v[5:6], v[37:38], v[5:6]
	v_mul_f64 v[37:38], v[45:46], v[5:6]
	v_fma_f64 v[3:4], -v[3:4], v[37:38], v[45:46]
	v_div_fmas_f64 v[3:4], v[3:4], v[5:6], v[37:38]
	v_div_fixup_f64 v[3:4], v[3:4], v[41:42], v[39:40]
	v_fma_f64 v[5:6], v[39:40], v[3:4], v[41:42]
	v_div_scale_f64 v[37:38], null, v[5:6], v[5:6], 1.0
	v_div_scale_f64 v[45:46], vcc_lo, 1.0, v[5:6], 1.0
	v_rcp_f64_e32 v[39:40], v[37:38]
	v_fma_f64 v[41:42], -v[37:38], v[39:40], 1.0
	v_fma_f64 v[39:40], v[39:40], v[41:42], v[39:40]
	v_fma_f64 v[41:42], -v[37:38], v[39:40], 1.0
	v_fma_f64 v[39:40], v[39:40], v[41:42], v[39:40]
	v_mul_f64 v[41:42], v[45:46], v[39:40]
	v_fma_f64 v[37:38], -v[37:38], v[41:42], v[45:46]
	v_div_fmas_f64 v[37:38], v[37:38], v[39:40], v[41:42]
                                        ; implicit-def: $vgpr39_vgpr40
                                        ; implicit-def: $vgpr41_vgpr42
	v_div_fixup_f64 v[5:6], v[37:38], v[5:6], 1.0
	v_mul_f64 v[37:38], v[3:4], v[5:6]
	v_xor_b32_e32 v6, 0x80000000, v6
	v_xor_b32_e32 v4, 0x80000000, v38
	v_mov_b32_e32 v3, v37
.LBB14_15:
	s_andn2_saveexec_b32 s7, s7
	s_cbranch_execz .LBB14_17
; %bb.16:
	v_div_scale_f64 v[3:4], null, v[39:40], v[39:40], v[41:42]
	v_div_scale_f64 v[45:46], vcc_lo, v[41:42], v[39:40], v[41:42]
	v_rcp_f64_e32 v[5:6], v[3:4]
	v_fma_f64 v[37:38], -v[3:4], v[5:6], 1.0
	v_fma_f64 v[5:6], v[5:6], v[37:38], v[5:6]
	v_fma_f64 v[37:38], -v[3:4], v[5:6], 1.0
	v_fma_f64 v[5:6], v[5:6], v[37:38], v[5:6]
	v_mul_f64 v[37:38], v[45:46], v[5:6]
	v_fma_f64 v[3:4], -v[3:4], v[37:38], v[45:46]
	v_div_fmas_f64 v[3:4], v[3:4], v[5:6], v[37:38]
	v_div_fixup_f64 v[3:4], v[3:4], v[39:40], v[41:42]
	v_fma_f64 v[5:6], v[41:42], v[3:4], v[39:40]
	v_div_scale_f64 v[37:38], null, v[5:6], v[5:6], 1.0
	v_rcp_f64_e32 v[39:40], v[37:38]
	v_fma_f64 v[41:42], -v[37:38], v[39:40], 1.0
	v_fma_f64 v[39:40], v[39:40], v[41:42], v[39:40]
	v_fma_f64 v[41:42], -v[37:38], v[39:40], 1.0
	v_fma_f64 v[39:40], v[39:40], v[41:42], v[39:40]
	v_div_scale_f64 v[41:42], vcc_lo, 1.0, v[5:6], 1.0
	v_mul_f64 v[45:46], v[41:42], v[39:40]
	v_fma_f64 v[37:38], -v[37:38], v[45:46], v[41:42]
	v_div_fmas_f64 v[37:38], v[37:38], v[39:40], v[45:46]
	v_div_fixup_f64 v[37:38], v[37:38], v[5:6], 1.0
	v_mul_f64 v[5:6], v[3:4], -v[37:38]
	v_xor_b32_e32 v4, 0x80000000, v38
	v_mov_b32_e32 v3, v37
.LBB14_17:
	s_or_b32 exec_lo, exec_lo, s7
	v_mov_b32_e32 v42, s27
	buffer_store_dword v38, v44, s[0:3], 0 offen offset:4
	buffer_store_dword v37, v44, s[0:3], 0 offen
	buffer_store_dword v6, v44, s[0:3], 0 offen offset:12
	buffer_store_dword v5, v44, s[0:3], 0 offen offset:8
	v_xor_b32_e32 v6, 0x80000000, v6
	v_add_nc_u32_e32 v37, 0xf0, v43
	s_clause 0x3
	buffer_load_dword v41, v42, s[0:3], 0 offen offset:12
	buffer_load_dword v40, v42, s[0:3], 0 offen offset:8
	buffer_load_dword v39, v42, s[0:3], 0 offen offset:4
	buffer_load_dword v38, v42, s[0:3], 0 offen
	ds_write_b128 v43, v[3:6]
	s_waitcnt vmcnt(0)
	ds_write_b128 v43, v[38:41] offset:240
	s_waitcnt lgkmcnt(0)
	s_waitcnt_vscnt null, 0x0
	s_barrier
	buffer_gl0_inv
	s_and_saveexec_b32 s7, s6
	s_cbranch_execz .LBB14_19
; %bb.18:
	s_clause 0x3
	buffer_load_dword v45, v44, s[0:3], 0 offen offset:8
	buffer_load_dword v46, v44, s[0:3], 0 offen offset:12
	buffer_load_dword v47, v44, s[0:3], 0 offen
	buffer_load_dword v48, v44, s[0:3], 0 offen offset:4
	ds_read_b128 v[3:6], v37
	v_mov_b32_e32 v38, 0
	ds_read_b128 v[38:41], v38 offset:16
	s_waitcnt vmcnt(2) lgkmcnt(1)
	v_mul_f64 v[49:50], v[3:4], v[45:46]
	v_mul_f64 v[45:46], v[5:6], v[45:46]
	s_waitcnt vmcnt(0)
	v_fma_f64 v[5:6], v[5:6], v[47:48], v[49:50]
	v_fma_f64 v[3:4], v[3:4], v[47:48], -v[45:46]
	v_add_f64 v[5:6], v[5:6], 0
	v_add_f64 v[3:4], v[3:4], 0
	s_waitcnt lgkmcnt(0)
	v_mul_f64 v[45:46], v[5:6], v[40:41]
	v_mul_f64 v[40:41], v[3:4], v[40:41]
	v_fma_f64 v[3:4], v[3:4], v[38:39], -v[45:46]
	v_fma_f64 v[5:6], v[5:6], v[38:39], v[40:41]
	buffer_store_dword v3, off, s[0:3], 0 offset:16
	buffer_store_dword v4, off, s[0:3], 0 offset:20
	;; [unrolled: 1-line block ×4, first 2 shown]
.LBB14_19:
	s_or_b32 exec_lo, exec_lo, s7
	v_mov_b32_e32 v6, s26
	s_waitcnt_vscnt null, 0x0
	s_barrier
	buffer_gl0_inv
	s_mov_b32 s7, exec_lo
	s_clause 0x3
	buffer_load_dword v3, v6, s[0:3], 0 offen
	buffer_load_dword v4, v6, s[0:3], 0 offen offset:4
	buffer_load_dword v5, v6, s[0:3], 0 offen offset:8
	;; [unrolled: 1-line block ×3, first 2 shown]
	s_waitcnt vmcnt(0)
	ds_write_b128 v37, v[3:6]
	s_waitcnt lgkmcnt(0)
	s_barrier
	buffer_gl0_inv
	v_cmpx_gt_u32_e32 2, v0
	s_cbranch_execz .LBB14_23
; %bb.20:
	s_clause 0x3
	buffer_load_dword v38, v44, s[0:3], 0 offen offset:8
	buffer_load_dword v39, v44, s[0:3], 0 offen offset:12
	buffer_load_dword v40, v44, s[0:3], 0 offen
	buffer_load_dword v41, v44, s[0:3], 0 offen offset:4
	ds_read_b128 v[3:6], v37
	s_waitcnt vmcnt(2) lgkmcnt(0)
	v_mul_f64 v[44:45], v[5:6], v[38:39]
	v_mul_f64 v[38:39], v[3:4], v[38:39]
	s_waitcnt vmcnt(0)
	v_fma_f64 v[3:4], v[3:4], v[40:41], -v[44:45]
	v_fma_f64 v[5:6], v[5:6], v[40:41], v[38:39]
	v_add_f64 v[3:4], v[3:4], 0
	v_add_f64 v[5:6], v[5:6], 0
	s_and_saveexec_b32 s29, s6
	s_cbranch_execz .LBB14_22
; %bb.21:
	s_clause 0x3
	buffer_load_dword v44, off, s[0:3], 0 offset:24
	buffer_load_dword v45, off, s[0:3], 0 offset:28
	;; [unrolled: 1-line block ×4, first 2 shown]
	v_mov_b32_e32 v38, 0
	ds_read_b128 v[38:41], v38 offset:256
	s_waitcnt vmcnt(2) lgkmcnt(0)
	v_mul_f64 v[48:49], v[38:39], v[44:45]
	v_mul_f64 v[44:45], v[40:41], v[44:45]
	s_waitcnt vmcnt(0)
	v_fma_f64 v[40:41], v[40:41], v[46:47], v[48:49]
	v_fma_f64 v[38:39], v[38:39], v[46:47], -v[44:45]
	v_add_f64 v[5:6], v[5:6], v[40:41]
	v_add_f64 v[3:4], v[3:4], v[38:39]
.LBB14_22:
	s_or_b32 exec_lo, exec_lo, s29
	v_mov_b32_e32 v38, 0
	ds_read_b128 v[38:41], v38 offset:32
	s_waitcnt lgkmcnt(0)
	v_mul_f64 v[44:45], v[5:6], v[40:41]
	v_mul_f64 v[40:41], v[3:4], v[40:41]
	v_fma_f64 v[3:4], v[3:4], v[38:39], -v[44:45]
	v_fma_f64 v[5:6], v[5:6], v[38:39], v[40:41]
	buffer_store_dword v4, off, s[0:3], 0 offset:36
	buffer_store_dword v3, off, s[0:3], 0 offset:32
	;; [unrolled: 1-line block ×4, first 2 shown]
.LBB14_23:
	s_or_b32 exec_lo, exec_lo, s7
	v_mov_b32_e32 v6, s25
	s_waitcnt_vscnt null, 0x0
	s_barrier
	buffer_gl0_inv
	v_add_nc_u32_e32 v38, -1, v0
	s_clause 0x3
	buffer_load_dword v3, v6, s[0:3], 0 offen
	buffer_load_dword v4, v6, s[0:3], 0 offen offset:4
	buffer_load_dword v5, v6, s[0:3], 0 offen offset:8
	;; [unrolled: 1-line block ×3, first 2 shown]
	s_mov_b32 s6, exec_lo
	s_waitcnt vmcnt(0)
	ds_write_b128 v37, v[3:6]
	s_waitcnt lgkmcnt(0)
	s_barrier
	buffer_gl0_inv
	v_cmpx_gt_u32_e32 3, v0
	s_cbranch_execz .LBB14_27
; %bb.24:
	v_mov_b32_e32 v3, 0
	v_mov_b32_e32 v5, 0
	v_add_nc_u32_e32 v39, -1, v0
	v_add_nc_u32_e32 v40, 0xf0, v43
	v_mov_b32_e32 v4, 0
	v_mov_b32_e32 v6, 0
	;; [unrolled: 1-line block ×3, first 2 shown]
	s_mov_b32 s7, 0
	.p2align	6
.LBB14_25:                              ; =>This Inner Loop Header: Depth=1
	s_clause 0x3
	buffer_load_dword v48, v41, s[0:3], 0 offen offset:8
	buffer_load_dword v49, v41, s[0:3], 0 offen offset:12
	buffer_load_dword v50, v41, s[0:3], 0 offen
	buffer_load_dword v51, v41, s[0:3], 0 offen offset:4
	ds_read_b128 v[44:47], v40
	v_add_nc_u32_e32 v39, 1, v39
	v_add_nc_u32_e32 v40, 16, v40
	;; [unrolled: 1-line block ×3, first 2 shown]
	v_cmp_lt_u32_e32 vcc_lo, 1, v39
	s_or_b32 s7, vcc_lo, s7
	s_waitcnt vmcnt(2) lgkmcnt(0)
	v_mul_f64 v[52:53], v[46:47], v[48:49]
	v_mul_f64 v[48:49], v[44:45], v[48:49]
	s_waitcnt vmcnt(0)
	v_fma_f64 v[44:45], v[44:45], v[50:51], -v[52:53]
	v_fma_f64 v[46:47], v[46:47], v[50:51], v[48:49]
	v_add_f64 v[5:6], v[5:6], v[44:45]
	v_add_f64 v[3:4], v[3:4], v[46:47]
	s_andn2_b32 exec_lo, exec_lo, s7
	s_cbranch_execnz .LBB14_25
; %bb.26:
	s_or_b32 exec_lo, exec_lo, s7
	v_mov_b32_e32 v39, 0
	ds_read_b128 v[39:42], v39 offset:48
	s_waitcnt lgkmcnt(0)
	v_mul_f64 v[44:45], v[3:4], v[41:42]
	v_mul_f64 v[41:42], v[5:6], v[41:42]
	v_fma_f64 v[5:6], v[5:6], v[39:40], -v[44:45]
	v_fma_f64 v[3:4], v[3:4], v[39:40], v[41:42]
	buffer_store_dword v6, off, s[0:3], 0 offset:52
	buffer_store_dword v5, off, s[0:3], 0 offset:48
	;; [unrolled: 1-line block ×4, first 2 shown]
.LBB14_27:
	s_or_b32 exec_lo, exec_lo, s6
	v_mov_b32_e32 v6, s24
	s_waitcnt_vscnt null, 0x0
	s_barrier
	buffer_gl0_inv
	s_mov_b32 s6, exec_lo
	s_clause 0x3
	buffer_load_dword v3, v6, s[0:3], 0 offen
	buffer_load_dword v4, v6, s[0:3], 0 offen offset:4
	buffer_load_dword v5, v6, s[0:3], 0 offen offset:8
	;; [unrolled: 1-line block ×3, first 2 shown]
	s_waitcnt vmcnt(0)
	ds_write_b128 v37, v[3:6]
	s_waitcnt lgkmcnt(0)
	s_barrier
	buffer_gl0_inv
	v_cmpx_gt_u32_e32 4, v0
	s_cbranch_execz .LBB14_31
; %bb.28:
	v_mov_b32_e32 v3, 0
	v_mov_b32_e32 v5, 0
	v_add_nc_u32_e32 v39, -1, v0
	v_add_nc_u32_e32 v40, 0xf0, v43
	v_mov_b32_e32 v4, 0
	v_mov_b32_e32 v6, 0
	;; [unrolled: 1-line block ×3, first 2 shown]
	s_mov_b32 s7, 0
	.p2align	6
.LBB14_29:                              ; =>This Inner Loop Header: Depth=1
	s_clause 0x3
	buffer_load_dword v48, v41, s[0:3], 0 offen offset:8
	buffer_load_dword v49, v41, s[0:3], 0 offen offset:12
	buffer_load_dword v50, v41, s[0:3], 0 offen
	buffer_load_dword v51, v41, s[0:3], 0 offen offset:4
	ds_read_b128 v[44:47], v40
	v_add_nc_u32_e32 v39, 1, v39
	v_add_nc_u32_e32 v40, 16, v40
	;; [unrolled: 1-line block ×3, first 2 shown]
	v_cmp_lt_u32_e32 vcc_lo, 2, v39
	s_or_b32 s7, vcc_lo, s7
	s_waitcnt vmcnt(2) lgkmcnt(0)
	v_mul_f64 v[52:53], v[46:47], v[48:49]
	v_mul_f64 v[48:49], v[44:45], v[48:49]
	s_waitcnt vmcnt(0)
	v_fma_f64 v[44:45], v[44:45], v[50:51], -v[52:53]
	v_fma_f64 v[46:47], v[46:47], v[50:51], v[48:49]
	v_add_f64 v[5:6], v[5:6], v[44:45]
	v_add_f64 v[3:4], v[3:4], v[46:47]
	s_andn2_b32 exec_lo, exec_lo, s7
	s_cbranch_execnz .LBB14_29
; %bb.30:
	s_or_b32 exec_lo, exec_lo, s7
	v_mov_b32_e32 v39, 0
	ds_read_b128 v[39:42], v39 offset:64
	s_waitcnt lgkmcnt(0)
	v_mul_f64 v[44:45], v[3:4], v[41:42]
	v_mul_f64 v[41:42], v[5:6], v[41:42]
	v_fma_f64 v[5:6], v[5:6], v[39:40], -v[44:45]
	v_fma_f64 v[3:4], v[3:4], v[39:40], v[41:42]
	buffer_store_dword v6, off, s[0:3], 0 offset:68
	buffer_store_dword v5, off, s[0:3], 0 offset:64
	;; [unrolled: 1-line block ×4, first 2 shown]
.LBB14_31:
	s_or_b32 exec_lo, exec_lo, s6
	v_mov_b32_e32 v6, s23
	s_waitcnt_vscnt null, 0x0
	s_barrier
	buffer_gl0_inv
	s_mov_b32 s6, exec_lo
	s_clause 0x3
	buffer_load_dword v3, v6, s[0:3], 0 offen
	buffer_load_dword v4, v6, s[0:3], 0 offen offset:4
	buffer_load_dword v5, v6, s[0:3], 0 offen offset:8
	;; [unrolled: 1-line block ×3, first 2 shown]
	s_waitcnt vmcnt(0)
	ds_write_b128 v37, v[3:6]
	s_waitcnt lgkmcnt(0)
	s_barrier
	buffer_gl0_inv
	v_cmpx_gt_u32_e32 5, v0
	s_cbranch_execz .LBB14_35
; %bb.32:
	v_mov_b32_e32 v3, 0
	v_mov_b32_e32 v5, 0
	v_add_nc_u32_e32 v39, -1, v0
	v_add_nc_u32_e32 v40, 0xf0, v43
	v_mov_b32_e32 v4, 0
	v_mov_b32_e32 v6, 0
	;; [unrolled: 1-line block ×3, first 2 shown]
	s_mov_b32 s7, 0
	.p2align	6
.LBB14_33:                              ; =>This Inner Loop Header: Depth=1
	s_clause 0x3
	buffer_load_dword v48, v41, s[0:3], 0 offen offset:8
	buffer_load_dword v49, v41, s[0:3], 0 offen offset:12
	buffer_load_dword v50, v41, s[0:3], 0 offen
	buffer_load_dword v51, v41, s[0:3], 0 offen offset:4
	ds_read_b128 v[44:47], v40
	v_add_nc_u32_e32 v39, 1, v39
	v_add_nc_u32_e32 v40, 16, v40
	;; [unrolled: 1-line block ×3, first 2 shown]
	v_cmp_lt_u32_e32 vcc_lo, 3, v39
	s_or_b32 s7, vcc_lo, s7
	s_waitcnt vmcnt(2) lgkmcnt(0)
	v_mul_f64 v[52:53], v[46:47], v[48:49]
	v_mul_f64 v[48:49], v[44:45], v[48:49]
	s_waitcnt vmcnt(0)
	v_fma_f64 v[44:45], v[44:45], v[50:51], -v[52:53]
	v_fma_f64 v[46:47], v[46:47], v[50:51], v[48:49]
	v_add_f64 v[5:6], v[5:6], v[44:45]
	v_add_f64 v[3:4], v[3:4], v[46:47]
	s_andn2_b32 exec_lo, exec_lo, s7
	s_cbranch_execnz .LBB14_33
; %bb.34:
	s_or_b32 exec_lo, exec_lo, s7
	v_mov_b32_e32 v39, 0
	ds_read_b128 v[39:42], v39 offset:80
	s_waitcnt lgkmcnt(0)
	v_mul_f64 v[44:45], v[3:4], v[41:42]
	v_mul_f64 v[41:42], v[5:6], v[41:42]
	v_fma_f64 v[5:6], v[5:6], v[39:40], -v[44:45]
	v_fma_f64 v[3:4], v[3:4], v[39:40], v[41:42]
	buffer_store_dword v6, off, s[0:3], 0 offset:84
	buffer_store_dword v5, off, s[0:3], 0 offset:80
	;; [unrolled: 1-line block ×4, first 2 shown]
.LBB14_35:
	s_or_b32 exec_lo, exec_lo, s6
	v_mov_b32_e32 v6, s22
	s_waitcnt_vscnt null, 0x0
	s_barrier
	buffer_gl0_inv
	s_mov_b32 s6, exec_lo
	s_clause 0x3
	buffer_load_dword v3, v6, s[0:3], 0 offen
	buffer_load_dword v4, v6, s[0:3], 0 offen offset:4
	buffer_load_dword v5, v6, s[0:3], 0 offen offset:8
	;; [unrolled: 1-line block ×3, first 2 shown]
	s_waitcnt vmcnt(0)
	ds_write_b128 v37, v[3:6]
	s_waitcnt lgkmcnt(0)
	s_barrier
	buffer_gl0_inv
	v_cmpx_gt_u32_e32 6, v0
	s_cbranch_execz .LBB14_39
; %bb.36:
	v_mov_b32_e32 v3, 0
	v_mov_b32_e32 v5, 0
	v_add_nc_u32_e32 v39, -1, v0
	v_add_nc_u32_e32 v40, 0xf0, v43
	v_mov_b32_e32 v4, 0
	v_mov_b32_e32 v6, 0
	;; [unrolled: 1-line block ×3, first 2 shown]
	s_mov_b32 s7, 0
	.p2align	6
.LBB14_37:                              ; =>This Inner Loop Header: Depth=1
	s_clause 0x3
	buffer_load_dword v48, v41, s[0:3], 0 offen offset:8
	buffer_load_dword v49, v41, s[0:3], 0 offen offset:12
	buffer_load_dword v50, v41, s[0:3], 0 offen
	buffer_load_dword v51, v41, s[0:3], 0 offen offset:4
	ds_read_b128 v[44:47], v40
	v_add_nc_u32_e32 v39, 1, v39
	v_add_nc_u32_e32 v40, 16, v40
	;; [unrolled: 1-line block ×3, first 2 shown]
	v_cmp_lt_u32_e32 vcc_lo, 4, v39
	s_or_b32 s7, vcc_lo, s7
	s_waitcnt vmcnt(2) lgkmcnt(0)
	v_mul_f64 v[52:53], v[46:47], v[48:49]
	v_mul_f64 v[48:49], v[44:45], v[48:49]
	s_waitcnt vmcnt(0)
	v_fma_f64 v[44:45], v[44:45], v[50:51], -v[52:53]
	v_fma_f64 v[46:47], v[46:47], v[50:51], v[48:49]
	v_add_f64 v[5:6], v[5:6], v[44:45]
	v_add_f64 v[3:4], v[3:4], v[46:47]
	s_andn2_b32 exec_lo, exec_lo, s7
	s_cbranch_execnz .LBB14_37
; %bb.38:
	s_or_b32 exec_lo, exec_lo, s7
	v_mov_b32_e32 v39, 0
	ds_read_b128 v[39:42], v39 offset:96
	s_waitcnt lgkmcnt(0)
	v_mul_f64 v[44:45], v[3:4], v[41:42]
	v_mul_f64 v[41:42], v[5:6], v[41:42]
	v_fma_f64 v[5:6], v[5:6], v[39:40], -v[44:45]
	v_fma_f64 v[3:4], v[3:4], v[39:40], v[41:42]
	buffer_store_dword v6, off, s[0:3], 0 offset:100
	buffer_store_dword v5, off, s[0:3], 0 offset:96
	;; [unrolled: 1-line block ×4, first 2 shown]
.LBB14_39:
	s_or_b32 exec_lo, exec_lo, s6
	v_mov_b32_e32 v6, s21
	s_waitcnt_vscnt null, 0x0
	s_barrier
	buffer_gl0_inv
	s_mov_b32 s6, exec_lo
	s_clause 0x3
	buffer_load_dword v3, v6, s[0:3], 0 offen
	buffer_load_dword v4, v6, s[0:3], 0 offen offset:4
	buffer_load_dword v5, v6, s[0:3], 0 offen offset:8
	;; [unrolled: 1-line block ×3, first 2 shown]
	s_waitcnt vmcnt(0)
	ds_write_b128 v37, v[3:6]
	s_waitcnt lgkmcnt(0)
	s_barrier
	buffer_gl0_inv
	v_cmpx_gt_u32_e32 7, v0
	s_cbranch_execz .LBB14_43
; %bb.40:
	v_mov_b32_e32 v3, 0
	v_mov_b32_e32 v5, 0
	v_add_nc_u32_e32 v39, -1, v0
	v_add_nc_u32_e32 v40, 0xf0, v43
	v_mov_b32_e32 v4, 0
	v_mov_b32_e32 v6, 0
	v_mov_b32_e32 v41, v43
	s_mov_b32 s7, 0
	.p2align	6
.LBB14_41:                              ; =>This Inner Loop Header: Depth=1
	s_clause 0x3
	buffer_load_dword v48, v41, s[0:3], 0 offen offset:8
	buffer_load_dword v49, v41, s[0:3], 0 offen offset:12
	buffer_load_dword v50, v41, s[0:3], 0 offen
	buffer_load_dword v51, v41, s[0:3], 0 offen offset:4
	ds_read_b128 v[44:47], v40
	v_add_nc_u32_e32 v39, 1, v39
	v_add_nc_u32_e32 v40, 16, v40
	;; [unrolled: 1-line block ×3, first 2 shown]
	v_cmp_lt_u32_e32 vcc_lo, 5, v39
	s_or_b32 s7, vcc_lo, s7
	s_waitcnt vmcnt(2) lgkmcnt(0)
	v_mul_f64 v[52:53], v[46:47], v[48:49]
	v_mul_f64 v[48:49], v[44:45], v[48:49]
	s_waitcnt vmcnt(0)
	v_fma_f64 v[44:45], v[44:45], v[50:51], -v[52:53]
	v_fma_f64 v[46:47], v[46:47], v[50:51], v[48:49]
	v_add_f64 v[5:6], v[5:6], v[44:45]
	v_add_f64 v[3:4], v[3:4], v[46:47]
	s_andn2_b32 exec_lo, exec_lo, s7
	s_cbranch_execnz .LBB14_41
; %bb.42:
	s_or_b32 exec_lo, exec_lo, s7
	v_mov_b32_e32 v39, 0
	ds_read_b128 v[39:42], v39 offset:112
	s_waitcnt lgkmcnt(0)
	v_mul_f64 v[44:45], v[3:4], v[41:42]
	v_mul_f64 v[41:42], v[5:6], v[41:42]
	v_fma_f64 v[5:6], v[5:6], v[39:40], -v[44:45]
	v_fma_f64 v[3:4], v[3:4], v[39:40], v[41:42]
	buffer_store_dword v6, off, s[0:3], 0 offset:116
	buffer_store_dword v5, off, s[0:3], 0 offset:112
	;; [unrolled: 1-line block ×4, first 2 shown]
.LBB14_43:
	s_or_b32 exec_lo, exec_lo, s6
	v_mov_b32_e32 v6, s20
	s_waitcnt_vscnt null, 0x0
	s_barrier
	buffer_gl0_inv
	s_mov_b32 s6, exec_lo
	s_clause 0x3
	buffer_load_dword v3, v6, s[0:3], 0 offen
	buffer_load_dword v4, v6, s[0:3], 0 offen offset:4
	buffer_load_dword v5, v6, s[0:3], 0 offen offset:8
	;; [unrolled: 1-line block ×3, first 2 shown]
	s_waitcnt vmcnt(0)
	ds_write_b128 v37, v[3:6]
	s_waitcnt lgkmcnt(0)
	s_barrier
	buffer_gl0_inv
	v_cmpx_gt_u32_e32 8, v0
	s_cbranch_execz .LBB14_47
; %bb.44:
	v_mov_b32_e32 v3, 0
	v_mov_b32_e32 v5, 0
	v_add_nc_u32_e32 v39, -1, v0
	v_add_nc_u32_e32 v40, 0xf0, v43
	v_mov_b32_e32 v4, 0
	v_mov_b32_e32 v6, 0
	;; [unrolled: 1-line block ×3, first 2 shown]
	s_mov_b32 s7, 0
	.p2align	6
.LBB14_45:                              ; =>This Inner Loop Header: Depth=1
	s_clause 0x3
	buffer_load_dword v48, v41, s[0:3], 0 offen offset:8
	buffer_load_dword v49, v41, s[0:3], 0 offen offset:12
	buffer_load_dword v50, v41, s[0:3], 0 offen
	buffer_load_dword v51, v41, s[0:3], 0 offen offset:4
	ds_read_b128 v[44:47], v40
	v_add_nc_u32_e32 v39, 1, v39
	v_add_nc_u32_e32 v40, 16, v40
	;; [unrolled: 1-line block ×3, first 2 shown]
	v_cmp_lt_u32_e32 vcc_lo, 6, v39
	s_or_b32 s7, vcc_lo, s7
	s_waitcnt vmcnt(2) lgkmcnt(0)
	v_mul_f64 v[52:53], v[46:47], v[48:49]
	v_mul_f64 v[48:49], v[44:45], v[48:49]
	s_waitcnt vmcnt(0)
	v_fma_f64 v[44:45], v[44:45], v[50:51], -v[52:53]
	v_fma_f64 v[46:47], v[46:47], v[50:51], v[48:49]
	v_add_f64 v[5:6], v[5:6], v[44:45]
	v_add_f64 v[3:4], v[3:4], v[46:47]
	s_andn2_b32 exec_lo, exec_lo, s7
	s_cbranch_execnz .LBB14_45
; %bb.46:
	s_or_b32 exec_lo, exec_lo, s7
	v_mov_b32_e32 v39, 0
	ds_read_b128 v[39:42], v39 offset:128
	s_waitcnt lgkmcnt(0)
	v_mul_f64 v[44:45], v[3:4], v[41:42]
	v_mul_f64 v[41:42], v[5:6], v[41:42]
	v_fma_f64 v[5:6], v[5:6], v[39:40], -v[44:45]
	v_fma_f64 v[3:4], v[3:4], v[39:40], v[41:42]
	buffer_store_dword v6, off, s[0:3], 0 offset:132
	buffer_store_dword v5, off, s[0:3], 0 offset:128
	;; [unrolled: 1-line block ×4, first 2 shown]
.LBB14_47:
	s_or_b32 exec_lo, exec_lo, s6
	v_mov_b32_e32 v6, s19
	s_waitcnt_vscnt null, 0x0
	s_barrier
	buffer_gl0_inv
	s_mov_b32 s6, exec_lo
	s_clause 0x3
	buffer_load_dword v3, v6, s[0:3], 0 offen
	buffer_load_dword v4, v6, s[0:3], 0 offen offset:4
	buffer_load_dword v5, v6, s[0:3], 0 offen offset:8
	;; [unrolled: 1-line block ×3, first 2 shown]
	s_waitcnt vmcnt(0)
	ds_write_b128 v37, v[3:6]
	s_waitcnt lgkmcnt(0)
	s_barrier
	buffer_gl0_inv
	v_cmpx_gt_u32_e32 9, v0
	s_cbranch_execz .LBB14_51
; %bb.48:
	v_mov_b32_e32 v3, 0
	v_mov_b32_e32 v5, 0
	v_add_nc_u32_e32 v39, -1, v0
	v_add_nc_u32_e32 v40, 0xf0, v43
	v_mov_b32_e32 v4, 0
	v_mov_b32_e32 v6, 0
	;; [unrolled: 1-line block ×3, first 2 shown]
	s_mov_b32 s7, 0
	.p2align	6
.LBB14_49:                              ; =>This Inner Loop Header: Depth=1
	s_clause 0x3
	buffer_load_dword v48, v41, s[0:3], 0 offen offset:8
	buffer_load_dword v49, v41, s[0:3], 0 offen offset:12
	buffer_load_dword v50, v41, s[0:3], 0 offen
	buffer_load_dword v51, v41, s[0:3], 0 offen offset:4
	ds_read_b128 v[44:47], v40
	v_add_nc_u32_e32 v39, 1, v39
	v_add_nc_u32_e32 v40, 16, v40
	;; [unrolled: 1-line block ×3, first 2 shown]
	v_cmp_lt_u32_e32 vcc_lo, 7, v39
	s_or_b32 s7, vcc_lo, s7
	s_waitcnt vmcnt(2) lgkmcnt(0)
	v_mul_f64 v[52:53], v[46:47], v[48:49]
	v_mul_f64 v[48:49], v[44:45], v[48:49]
	s_waitcnt vmcnt(0)
	v_fma_f64 v[44:45], v[44:45], v[50:51], -v[52:53]
	v_fma_f64 v[46:47], v[46:47], v[50:51], v[48:49]
	v_add_f64 v[5:6], v[5:6], v[44:45]
	v_add_f64 v[3:4], v[3:4], v[46:47]
	s_andn2_b32 exec_lo, exec_lo, s7
	s_cbranch_execnz .LBB14_49
; %bb.50:
	s_or_b32 exec_lo, exec_lo, s7
	v_mov_b32_e32 v39, 0
	ds_read_b128 v[39:42], v39 offset:144
	s_waitcnt lgkmcnt(0)
	v_mul_f64 v[44:45], v[3:4], v[41:42]
	v_mul_f64 v[41:42], v[5:6], v[41:42]
	v_fma_f64 v[5:6], v[5:6], v[39:40], -v[44:45]
	v_fma_f64 v[3:4], v[3:4], v[39:40], v[41:42]
	buffer_store_dword v6, off, s[0:3], 0 offset:148
	buffer_store_dword v5, off, s[0:3], 0 offset:144
	;; [unrolled: 1-line block ×4, first 2 shown]
.LBB14_51:
	s_or_b32 exec_lo, exec_lo, s6
	v_mov_b32_e32 v6, s18
	s_waitcnt_vscnt null, 0x0
	s_barrier
	buffer_gl0_inv
	s_mov_b32 s6, exec_lo
	s_clause 0x3
	buffer_load_dword v3, v6, s[0:3], 0 offen
	buffer_load_dword v4, v6, s[0:3], 0 offen offset:4
	buffer_load_dword v5, v6, s[0:3], 0 offen offset:8
	;; [unrolled: 1-line block ×3, first 2 shown]
	s_waitcnt vmcnt(0)
	ds_write_b128 v37, v[3:6]
	s_waitcnt lgkmcnt(0)
	s_barrier
	buffer_gl0_inv
	v_cmpx_gt_u32_e32 10, v0
	s_cbranch_execz .LBB14_55
; %bb.52:
	v_mov_b32_e32 v3, 0
	v_mov_b32_e32 v5, 0
	v_add_nc_u32_e32 v39, -1, v0
	v_add_nc_u32_e32 v40, 0xf0, v43
	v_mov_b32_e32 v4, 0
	v_mov_b32_e32 v6, 0
	;; [unrolled: 1-line block ×3, first 2 shown]
	s_mov_b32 s7, 0
	.p2align	6
.LBB14_53:                              ; =>This Inner Loop Header: Depth=1
	s_clause 0x3
	buffer_load_dword v48, v41, s[0:3], 0 offen offset:8
	buffer_load_dword v49, v41, s[0:3], 0 offen offset:12
	buffer_load_dword v50, v41, s[0:3], 0 offen
	buffer_load_dword v51, v41, s[0:3], 0 offen offset:4
	ds_read_b128 v[44:47], v40
	v_add_nc_u32_e32 v39, 1, v39
	v_add_nc_u32_e32 v40, 16, v40
	;; [unrolled: 1-line block ×3, first 2 shown]
	v_cmp_lt_u32_e32 vcc_lo, 8, v39
	s_or_b32 s7, vcc_lo, s7
	s_waitcnt vmcnt(2) lgkmcnt(0)
	v_mul_f64 v[52:53], v[46:47], v[48:49]
	v_mul_f64 v[48:49], v[44:45], v[48:49]
	s_waitcnt vmcnt(0)
	v_fma_f64 v[44:45], v[44:45], v[50:51], -v[52:53]
	v_fma_f64 v[46:47], v[46:47], v[50:51], v[48:49]
	v_add_f64 v[5:6], v[5:6], v[44:45]
	v_add_f64 v[3:4], v[3:4], v[46:47]
	s_andn2_b32 exec_lo, exec_lo, s7
	s_cbranch_execnz .LBB14_53
; %bb.54:
	s_or_b32 exec_lo, exec_lo, s7
	v_mov_b32_e32 v39, 0
	ds_read_b128 v[39:42], v39 offset:160
	s_waitcnt lgkmcnt(0)
	v_mul_f64 v[44:45], v[3:4], v[41:42]
	v_mul_f64 v[41:42], v[5:6], v[41:42]
	v_fma_f64 v[5:6], v[5:6], v[39:40], -v[44:45]
	v_fma_f64 v[3:4], v[3:4], v[39:40], v[41:42]
	buffer_store_dword v6, off, s[0:3], 0 offset:164
	buffer_store_dword v5, off, s[0:3], 0 offset:160
	;; [unrolled: 1-line block ×4, first 2 shown]
.LBB14_55:
	s_or_b32 exec_lo, exec_lo, s6
	v_mov_b32_e32 v6, s17
	s_waitcnt_vscnt null, 0x0
	s_barrier
	buffer_gl0_inv
	s_mov_b32 s6, exec_lo
	s_clause 0x3
	buffer_load_dword v3, v6, s[0:3], 0 offen
	buffer_load_dword v4, v6, s[0:3], 0 offen offset:4
	buffer_load_dword v5, v6, s[0:3], 0 offen offset:8
	;; [unrolled: 1-line block ×3, first 2 shown]
	s_waitcnt vmcnt(0)
	ds_write_b128 v37, v[3:6]
	s_waitcnt lgkmcnt(0)
	s_barrier
	buffer_gl0_inv
	v_cmpx_gt_u32_e32 11, v0
	s_cbranch_execz .LBB14_59
; %bb.56:
	v_mov_b32_e32 v3, 0
	v_mov_b32_e32 v5, 0
	v_add_nc_u32_e32 v39, -1, v0
	v_add_nc_u32_e32 v40, 0xf0, v43
	v_mov_b32_e32 v4, 0
	v_mov_b32_e32 v6, 0
	;; [unrolled: 1-line block ×3, first 2 shown]
	s_mov_b32 s7, 0
	.p2align	6
.LBB14_57:                              ; =>This Inner Loop Header: Depth=1
	s_clause 0x3
	buffer_load_dword v48, v41, s[0:3], 0 offen offset:8
	buffer_load_dword v49, v41, s[0:3], 0 offen offset:12
	buffer_load_dword v50, v41, s[0:3], 0 offen
	buffer_load_dword v51, v41, s[0:3], 0 offen offset:4
	ds_read_b128 v[44:47], v40
	v_add_nc_u32_e32 v39, 1, v39
	v_add_nc_u32_e32 v40, 16, v40
	;; [unrolled: 1-line block ×3, first 2 shown]
	v_cmp_lt_u32_e32 vcc_lo, 9, v39
	s_or_b32 s7, vcc_lo, s7
	s_waitcnt vmcnt(2) lgkmcnt(0)
	v_mul_f64 v[52:53], v[46:47], v[48:49]
	v_mul_f64 v[48:49], v[44:45], v[48:49]
	s_waitcnt vmcnt(0)
	v_fma_f64 v[44:45], v[44:45], v[50:51], -v[52:53]
	v_fma_f64 v[46:47], v[46:47], v[50:51], v[48:49]
	v_add_f64 v[5:6], v[5:6], v[44:45]
	v_add_f64 v[3:4], v[3:4], v[46:47]
	s_andn2_b32 exec_lo, exec_lo, s7
	s_cbranch_execnz .LBB14_57
; %bb.58:
	s_or_b32 exec_lo, exec_lo, s7
	v_mov_b32_e32 v39, 0
	ds_read_b128 v[39:42], v39 offset:176
	s_waitcnt lgkmcnt(0)
	v_mul_f64 v[44:45], v[3:4], v[41:42]
	v_mul_f64 v[41:42], v[5:6], v[41:42]
	v_fma_f64 v[5:6], v[5:6], v[39:40], -v[44:45]
	v_fma_f64 v[3:4], v[3:4], v[39:40], v[41:42]
	buffer_store_dword v6, off, s[0:3], 0 offset:180
	buffer_store_dword v5, off, s[0:3], 0 offset:176
	;; [unrolled: 1-line block ×4, first 2 shown]
.LBB14_59:
	s_or_b32 exec_lo, exec_lo, s6
	v_mov_b32_e32 v6, s16
	s_waitcnt_vscnt null, 0x0
	s_barrier
	buffer_gl0_inv
	s_mov_b32 s6, exec_lo
	s_clause 0x3
	buffer_load_dword v3, v6, s[0:3], 0 offen
	buffer_load_dword v4, v6, s[0:3], 0 offen offset:4
	buffer_load_dword v5, v6, s[0:3], 0 offen offset:8
	;; [unrolled: 1-line block ×3, first 2 shown]
	s_waitcnt vmcnt(0)
	ds_write_b128 v37, v[3:6]
	s_waitcnt lgkmcnt(0)
	s_barrier
	buffer_gl0_inv
	v_cmpx_gt_u32_e32 12, v0
	s_cbranch_execz .LBB14_63
; %bb.60:
	v_mov_b32_e32 v3, 0
	v_mov_b32_e32 v5, 0
	v_add_nc_u32_e32 v39, -1, v0
	v_add_nc_u32_e32 v40, 0xf0, v43
	v_mov_b32_e32 v4, 0
	v_mov_b32_e32 v6, 0
	;; [unrolled: 1-line block ×3, first 2 shown]
	s_mov_b32 s7, 0
	.p2align	6
.LBB14_61:                              ; =>This Inner Loop Header: Depth=1
	s_clause 0x3
	buffer_load_dword v48, v41, s[0:3], 0 offen offset:8
	buffer_load_dword v49, v41, s[0:3], 0 offen offset:12
	buffer_load_dword v50, v41, s[0:3], 0 offen
	buffer_load_dword v51, v41, s[0:3], 0 offen offset:4
	ds_read_b128 v[44:47], v40
	v_add_nc_u32_e32 v39, 1, v39
	v_add_nc_u32_e32 v40, 16, v40
	;; [unrolled: 1-line block ×3, first 2 shown]
	v_cmp_lt_u32_e32 vcc_lo, 10, v39
	s_or_b32 s7, vcc_lo, s7
	s_waitcnt vmcnt(2) lgkmcnt(0)
	v_mul_f64 v[52:53], v[46:47], v[48:49]
	v_mul_f64 v[48:49], v[44:45], v[48:49]
	s_waitcnt vmcnt(0)
	v_fma_f64 v[44:45], v[44:45], v[50:51], -v[52:53]
	v_fma_f64 v[46:47], v[46:47], v[50:51], v[48:49]
	v_add_f64 v[5:6], v[5:6], v[44:45]
	v_add_f64 v[3:4], v[3:4], v[46:47]
	s_andn2_b32 exec_lo, exec_lo, s7
	s_cbranch_execnz .LBB14_61
; %bb.62:
	s_or_b32 exec_lo, exec_lo, s7
	v_mov_b32_e32 v39, 0
	ds_read_b128 v[39:42], v39 offset:192
	s_waitcnt lgkmcnt(0)
	v_mul_f64 v[44:45], v[3:4], v[41:42]
	v_mul_f64 v[41:42], v[5:6], v[41:42]
	v_fma_f64 v[5:6], v[5:6], v[39:40], -v[44:45]
	v_fma_f64 v[3:4], v[3:4], v[39:40], v[41:42]
	buffer_store_dword v6, off, s[0:3], 0 offset:196
	buffer_store_dword v5, off, s[0:3], 0 offset:192
	;; [unrolled: 1-line block ×4, first 2 shown]
.LBB14_63:
	s_or_b32 exec_lo, exec_lo, s6
	v_mov_b32_e32 v6, s13
	s_waitcnt_vscnt null, 0x0
	s_barrier
	buffer_gl0_inv
	s_mov_b32 s6, exec_lo
	s_clause 0x3
	buffer_load_dword v3, v6, s[0:3], 0 offen
	buffer_load_dword v4, v6, s[0:3], 0 offen offset:4
	buffer_load_dword v5, v6, s[0:3], 0 offen offset:8
	;; [unrolled: 1-line block ×3, first 2 shown]
	s_waitcnt vmcnt(0)
	ds_write_b128 v37, v[3:6]
	s_waitcnt lgkmcnt(0)
	s_barrier
	buffer_gl0_inv
	v_cmpx_gt_u32_e32 13, v0
	s_cbranch_execz .LBB14_67
; %bb.64:
	v_mov_b32_e32 v3, 0
	v_mov_b32_e32 v5, 0
	v_add_nc_u32_e32 v39, -1, v0
	v_add_nc_u32_e32 v40, 0xf0, v43
	v_mov_b32_e32 v4, 0
	v_mov_b32_e32 v6, 0
	v_mov_b32_e32 v41, v43
	s_mov_b32 s7, 0
	.p2align	6
.LBB14_65:                              ; =>This Inner Loop Header: Depth=1
	s_clause 0x3
	buffer_load_dword v48, v41, s[0:3], 0 offen offset:8
	buffer_load_dword v49, v41, s[0:3], 0 offen offset:12
	buffer_load_dword v50, v41, s[0:3], 0 offen
	buffer_load_dword v51, v41, s[0:3], 0 offen offset:4
	ds_read_b128 v[44:47], v40
	v_add_nc_u32_e32 v39, 1, v39
	v_add_nc_u32_e32 v40, 16, v40
	;; [unrolled: 1-line block ×3, first 2 shown]
	v_cmp_lt_u32_e32 vcc_lo, 11, v39
	s_or_b32 s7, vcc_lo, s7
	s_waitcnt vmcnt(2) lgkmcnt(0)
	v_mul_f64 v[52:53], v[46:47], v[48:49]
	v_mul_f64 v[48:49], v[44:45], v[48:49]
	s_waitcnt vmcnt(0)
	v_fma_f64 v[44:45], v[44:45], v[50:51], -v[52:53]
	v_fma_f64 v[46:47], v[46:47], v[50:51], v[48:49]
	v_add_f64 v[5:6], v[5:6], v[44:45]
	v_add_f64 v[3:4], v[3:4], v[46:47]
	s_andn2_b32 exec_lo, exec_lo, s7
	s_cbranch_execnz .LBB14_65
; %bb.66:
	s_or_b32 exec_lo, exec_lo, s7
	v_mov_b32_e32 v39, 0
	ds_read_b128 v[39:42], v39 offset:208
	s_waitcnt lgkmcnt(0)
	v_mul_f64 v[44:45], v[3:4], v[41:42]
	v_mul_f64 v[41:42], v[5:6], v[41:42]
	v_fma_f64 v[5:6], v[5:6], v[39:40], -v[44:45]
	v_fma_f64 v[3:4], v[3:4], v[39:40], v[41:42]
	buffer_store_dword v6, off, s[0:3], 0 offset:212
	buffer_store_dword v5, off, s[0:3], 0 offset:208
	;; [unrolled: 1-line block ×4, first 2 shown]
.LBB14_67:
	s_or_b32 exec_lo, exec_lo, s6
	v_mov_b32_e32 v6, s12
	s_waitcnt_vscnt null, 0x0
	s_barrier
	buffer_gl0_inv
	s_mov_b32 s6, exec_lo
	s_clause 0x3
	buffer_load_dword v3, v6, s[0:3], 0 offen
	buffer_load_dword v4, v6, s[0:3], 0 offen offset:4
	buffer_load_dword v5, v6, s[0:3], 0 offen offset:8
	;; [unrolled: 1-line block ×3, first 2 shown]
	s_waitcnt vmcnt(0)
	ds_write_b128 v37, v[3:6]
	s_waitcnt lgkmcnt(0)
	s_barrier
	buffer_gl0_inv
	v_cmpx_ne_u32_e32 14, v0
	s_cbranch_execz .LBB14_71
; %bb.68:
	v_mov_b32_e32 v3, 0
	v_mov_b32_e32 v5, 0
	;; [unrolled: 1-line block ×5, first 2 shown]
	s_mov_b32 s7, 0
	.p2align	6
.LBB14_69:                              ; =>This Inner Loop Header: Depth=1
	s_clause 0x3
	buffer_load_dword v44, v39, s[0:3], 0 offen offset:8
	buffer_load_dword v45, v39, s[0:3], 0 offen offset:12
	buffer_load_dword v46, v39, s[0:3], 0 offen
	buffer_load_dword v47, v39, s[0:3], 0 offen offset:4
	ds_read_b128 v[40:43], v37
	v_add_nc_u32_e32 v38, 1, v38
	v_add_nc_u32_e32 v37, 16, v37
	;; [unrolled: 1-line block ×3, first 2 shown]
	v_cmp_lt_u32_e32 vcc_lo, 12, v38
	s_or_b32 s7, vcc_lo, s7
	s_waitcnt vmcnt(2) lgkmcnt(0)
	v_mul_f64 v[48:49], v[42:43], v[44:45]
	v_mul_f64 v[44:45], v[40:41], v[44:45]
	s_waitcnt vmcnt(0)
	v_fma_f64 v[40:41], v[40:41], v[46:47], -v[48:49]
	v_fma_f64 v[42:43], v[42:43], v[46:47], v[44:45]
	v_add_f64 v[5:6], v[5:6], v[40:41]
	v_add_f64 v[3:4], v[3:4], v[42:43]
	s_andn2_b32 exec_lo, exec_lo, s7
	s_cbranch_execnz .LBB14_69
; %bb.70:
	s_or_b32 exec_lo, exec_lo, s7
	v_mov_b32_e32 v37, 0
	ds_read_b128 v[37:40], v37 offset:224
	s_waitcnt lgkmcnt(0)
	v_mul_f64 v[41:42], v[3:4], v[39:40]
	v_mul_f64 v[39:40], v[5:6], v[39:40]
	v_fma_f64 v[5:6], v[5:6], v[37:38], -v[41:42]
	v_fma_f64 v[3:4], v[3:4], v[37:38], v[39:40]
	buffer_store_dword v6, off, s[0:3], 0 offset:228
	buffer_store_dword v5, off, s[0:3], 0 offset:224
	;; [unrolled: 1-line block ×4, first 2 shown]
.LBB14_71:
	s_or_b32 exec_lo, exec_lo, s6
	s_mov_b32 s7, -1
	s_waitcnt_vscnt null, 0x0
	s_barrier
	buffer_gl0_inv
.LBB14_72:
	s_and_b32 vcc_lo, exec_lo, s7
	s_cbranch_vccz .LBB14_74
; %bb.73:
	s_lshl_b64 s[6:7], s[8:9], 2
	v_mov_b32_e32 v3, 0
	s_add_u32 s6, s14, s6
	s_addc_u32 s7, s15, s7
	global_load_dword v3, v3, s[6:7]
	s_waitcnt vmcnt(0)
	v_cmp_ne_u32_e32 vcc_lo, 0, v3
	s_cbranch_vccz .LBB14_75
.LBB14_74:
	s_endpgm
.LBB14_75:
	v_lshl_add_u32 v3, v0, 4, 0xf0
	s_mov_b32 s6, exec_lo
	v_cmpx_eq_u32_e32 14, v0
	s_cbranch_execz .LBB14_77
; %bb.76:
	v_mov_b32_e32 v4, s13
	s_clause 0x3
	buffer_load_dword v37, v4, s[0:3], 0 offen
	buffer_load_dword v38, v4, s[0:3], 0 offen offset:4
	buffer_load_dword v39, v4, s[0:3], 0 offen offset:8
	buffer_load_dword v40, v4, s[0:3], 0 offen offset:12
	v_mov_b32_e32 v4, 0
	buffer_store_dword v4, off, s[0:3], 0 offset:208
	buffer_store_dword v4, off, s[0:3], 0 offset:212
	;; [unrolled: 1-line block ×4, first 2 shown]
	s_waitcnt vmcnt(0)
	ds_write_b128 v3, v[37:40]
.LBB14_77:
	s_or_b32 exec_lo, exec_lo, s6
	s_waitcnt lgkmcnt(0)
	s_waitcnt_vscnt null, 0x0
	s_barrier
	buffer_gl0_inv
	s_clause 0x7
	buffer_load_dword v5, off, s[0:3], 0 offset:232
	buffer_load_dword v6, off, s[0:3], 0 offset:236
	;; [unrolled: 1-line block ×8, first 2 shown]
	v_mov_b32_e32 v4, 0
	s_mov_b32 s6, exec_lo
	ds_read_b128 v[37:40], v4 offset:464
	s_waitcnt vmcnt(6) lgkmcnt(0)
	v_mul_f64 v[47:48], v[39:40], v[5:6]
	v_mul_f64 v[5:6], v[37:38], v[5:6]
	s_waitcnt vmcnt(4)
	v_fma_f64 v[37:38], v[37:38], v[41:42], -v[47:48]
	v_fma_f64 v[5:6], v[39:40], v[41:42], v[5:6]
	v_add_f64 v[37:38], v[37:38], 0
	v_add_f64 v[5:6], v[5:6], 0
	s_waitcnt vmcnt(2)
	v_add_f64 v[37:38], v[43:44], -v[37:38]
	s_waitcnt vmcnt(0)
	v_add_f64 v[5:6], v[45:46], -v[5:6]
	buffer_store_dword v37, off, s[0:3], 0 offset:208
	buffer_store_dword v38, off, s[0:3], 0 offset:212
	;; [unrolled: 1-line block ×4, first 2 shown]
	v_cmpx_lt_u32_e32 12, v0
	s_cbranch_execz .LBB14_79
; %bb.78:
	v_mov_b32_e32 v5, s16
	s_clause 0x3
	buffer_load_dword v37, v5, s[0:3], 0 offen
	buffer_load_dword v38, v5, s[0:3], 0 offen offset:4
	buffer_load_dword v39, v5, s[0:3], 0 offen offset:8
	;; [unrolled: 1-line block ×3, first 2 shown]
	buffer_store_dword v4, off, s[0:3], 0 offset:192
	buffer_store_dword v4, off, s[0:3], 0 offset:196
	buffer_store_dword v4, off, s[0:3], 0 offset:200
	buffer_store_dword v4, off, s[0:3], 0 offset:204
	s_waitcnt vmcnt(0)
	ds_write_b128 v3, v[37:40]
.LBB14_79:
	s_or_b32 exec_lo, exec_lo, s6
	s_waitcnt lgkmcnt(0)
	s_waitcnt_vscnt null, 0x0
	s_barrier
	buffer_gl0_inv
	s_clause 0xb
	buffer_load_dword v5, off, s[0:3], 0 offset:216
	buffer_load_dword v6, off, s[0:3], 0 offset:220
	buffer_load_dword v45, off, s[0:3], 0 offset:232
	buffer_load_dword v46, off, s[0:3], 0 offset:236
	buffer_load_dword v47, off, s[0:3], 0 offset:208
	buffer_load_dword v48, off, s[0:3], 0 offset:212
	buffer_load_dword v49, off, s[0:3], 0 offset:224
	buffer_load_dword v50, off, s[0:3], 0 offset:228
	buffer_load_dword v51, off, s[0:3], 0 offset:192
	buffer_load_dword v52, off, s[0:3], 0 offset:196
	buffer_load_dword v53, off, s[0:3], 0 offset:200
	buffer_load_dword v54, off, s[0:3], 0 offset:204
	ds_read_b128 v[37:40], v4 offset:448
	ds_read_b128 v[41:44], v4 offset:464
	s_mov_b32 s6, exec_lo
	s_waitcnt vmcnt(10) lgkmcnt(1)
	v_mul_f64 v[55:56], v[39:40], v[5:6]
	v_mul_f64 v[4:5], v[37:38], v[5:6]
	s_waitcnt vmcnt(8) lgkmcnt(0)
	v_mul_f64 v[57:58], v[43:44], v[45:46]
	v_mul_f64 v[45:46], v[41:42], v[45:46]
	s_waitcnt vmcnt(6)
	v_fma_f64 v[37:38], v[37:38], v[47:48], -v[55:56]
	v_fma_f64 v[4:5], v[39:40], v[47:48], v[4:5]
	s_waitcnt vmcnt(4)
	v_fma_f64 v[39:40], v[41:42], v[49:50], -v[57:58]
	v_fma_f64 v[41:42], v[43:44], v[49:50], v[45:46]
	v_add_f64 v[37:38], v[37:38], 0
	v_add_f64 v[4:5], v[4:5], 0
	;; [unrolled: 1-line block ×4, first 2 shown]
	s_waitcnt vmcnt(2)
	v_add_f64 v[37:38], v[51:52], -v[37:38]
	s_waitcnt vmcnt(0)
	v_add_f64 v[4:5], v[53:54], -v[4:5]
	buffer_store_dword v37, off, s[0:3], 0 offset:192
	buffer_store_dword v38, off, s[0:3], 0 offset:196
	;; [unrolled: 1-line block ×4, first 2 shown]
	v_cmpx_lt_u32_e32 11, v0
	s_cbranch_execz .LBB14_81
; %bb.80:
	v_mov_b32_e32 v4, s17
	s_clause 0x3
	buffer_load_dword v37, v4, s[0:3], 0 offen
	buffer_load_dword v38, v4, s[0:3], 0 offen offset:4
	buffer_load_dword v39, v4, s[0:3], 0 offen offset:8
	;; [unrolled: 1-line block ×3, first 2 shown]
	v_mov_b32_e32 v4, 0
	buffer_store_dword v4, off, s[0:3], 0 offset:176
	buffer_store_dword v4, off, s[0:3], 0 offset:180
	;; [unrolled: 1-line block ×4, first 2 shown]
	s_waitcnt vmcnt(0)
	ds_write_b128 v3, v[37:40]
.LBB14_81:
	s_or_b32 exec_lo, exec_lo, s6
	s_waitcnt lgkmcnt(0)
	s_waitcnt_vscnt null, 0x0
	s_barrier
	buffer_gl0_inv
	s_clause 0xf
	buffer_load_dword v5, off, s[0:3], 0 offset:200
	buffer_load_dword v6, off, s[0:3], 0 offset:204
	;; [unrolled: 1-line block ×16, first 2 shown]
	v_mov_b32_e32 v4, 0
	ds_read_b128 v[37:40], v4 offset:432
	ds_read_b128 v[41:44], v4 offset:448
	;; [unrolled: 1-line block ×3, first 2 shown]
	s_mov_b32 s6, exec_lo
	s_waitcnt vmcnt(14) lgkmcnt(2)
	v_mul_f64 v[63:64], v[39:40], v[5:6]
	v_mul_f64 v[5:6], v[37:38], v[5:6]
	s_waitcnt vmcnt(12) lgkmcnt(1)
	v_mul_f64 v[65:66], v[43:44], v[49:50]
	v_mul_f64 v[49:50], v[41:42], v[49:50]
	s_waitcnt vmcnt(10)
	v_fma_f64 v[37:38], v[37:38], v[51:52], -v[63:64]
	v_fma_f64 v[5:6], v[39:40], v[51:52], v[5:6]
	s_waitcnt vmcnt(8) lgkmcnt(0)
	v_mul_f64 v[51:52], v[47:48], v[53:54]
	s_waitcnt vmcnt(6)
	v_fma_f64 v[41:42], v[41:42], v[55:56], -v[65:66]
	v_mul_f64 v[39:40], v[45:46], v[53:54]
	v_fma_f64 v[43:44], v[43:44], v[55:56], v[49:50]
	v_add_f64 v[37:38], v[37:38], 0
	v_add_f64 v[5:6], v[5:6], 0
	s_waitcnt vmcnt(4)
	v_fma_f64 v[45:46], v[45:46], v[57:58], -v[51:52]
	v_fma_f64 v[39:40], v[47:48], v[57:58], v[39:40]
	v_add_f64 v[37:38], v[37:38], v[41:42]
	v_add_f64 v[5:6], v[5:6], v[43:44]
	;; [unrolled: 1-line block ×4, first 2 shown]
	s_waitcnt vmcnt(2)
	v_add_f64 v[37:38], v[59:60], -v[37:38]
	s_waitcnt vmcnt(0)
	v_add_f64 v[5:6], v[61:62], -v[5:6]
	buffer_store_dword v37, off, s[0:3], 0 offset:176
	buffer_store_dword v38, off, s[0:3], 0 offset:180
	buffer_store_dword v5, off, s[0:3], 0 offset:184
	buffer_store_dword v6, off, s[0:3], 0 offset:188
	v_cmpx_lt_u32_e32 10, v0
	s_cbranch_execz .LBB14_83
; %bb.82:
	v_mov_b32_e32 v5, s18
	s_clause 0x3
	buffer_load_dword v37, v5, s[0:3], 0 offen
	buffer_load_dword v38, v5, s[0:3], 0 offen offset:4
	buffer_load_dword v39, v5, s[0:3], 0 offen offset:8
	;; [unrolled: 1-line block ×3, first 2 shown]
	buffer_store_dword v4, off, s[0:3], 0 offset:160
	buffer_store_dword v4, off, s[0:3], 0 offset:164
	;; [unrolled: 1-line block ×4, first 2 shown]
	s_waitcnt vmcnt(0)
	ds_write_b128 v3, v[37:40]
.LBB14_83:
	s_or_b32 exec_lo, exec_lo, s6
	s_waitcnt lgkmcnt(0)
	s_waitcnt_vscnt null, 0x0
	s_barrier
	buffer_gl0_inv
	s_clause 0x13
	buffer_load_dword v5, off, s[0:3], 0 offset:184
	buffer_load_dword v6, off, s[0:3], 0 offset:188
	;; [unrolled: 1-line block ×20, first 2 shown]
	ds_read_b128 v[37:40], v4 offset:416
	ds_read_b128 v[41:44], v4 offset:432
	;; [unrolled: 1-line block ×3, first 2 shown]
	s_mov_b32 s6, exec_lo
	s_waitcnt vmcnt(18) lgkmcnt(2)
	v_mul_f64 v[67:68], v[39:40], v[5:6]
	v_mul_f64 v[5:6], v[37:38], v[5:6]
	s_waitcnt vmcnt(16) lgkmcnt(1)
	v_mul_f64 v[69:70], v[43:44], v[49:50]
	v_mul_f64 v[49:50], v[41:42], v[49:50]
	s_waitcnt vmcnt(14)
	v_fma_f64 v[67:68], v[37:38], v[51:52], -v[67:68]
	v_fma_f64 v[5:6], v[39:40], v[51:52], v[5:6]
	ds_read_b128 v[37:40], v4 offset:464
	s_waitcnt vmcnt(12) lgkmcnt(1)
	v_mul_f64 v[51:52], v[45:46], v[53:54]
	v_mul_f64 v[53:54], v[47:48], v[53:54]
	s_waitcnt vmcnt(10)
	v_fma_f64 v[41:42], v[41:42], v[55:56], -v[69:70]
	v_fma_f64 v[43:44], v[43:44], v[55:56], v[49:50]
	s_waitcnt vmcnt(8) lgkmcnt(0)
	v_mul_f64 v[55:56], v[39:40], v[57:58]
	v_add_f64 v[67:68], v[67:68], 0
	v_add_f64 v[4:5], v[5:6], 0
	v_mul_f64 v[49:50], v[37:38], v[57:58]
	s_waitcnt vmcnt(6)
	v_fma_f64 v[45:46], v[45:46], v[59:60], -v[53:54]
	v_fma_f64 v[47:48], v[47:48], v[59:60], v[51:52]
	s_waitcnt vmcnt(4)
	v_fma_f64 v[37:38], v[37:38], v[61:62], -v[55:56]
	v_add_f64 v[41:42], v[67:68], v[41:42]
	v_add_f64 v[4:5], v[4:5], v[43:44]
	v_fma_f64 v[39:40], v[39:40], v[61:62], v[49:50]
	v_add_f64 v[41:42], v[41:42], v[45:46]
	v_add_f64 v[4:5], v[4:5], v[47:48]
	v_add_f64 v[37:38], v[41:42], v[37:38]
	v_add_f64 v[4:5], v[4:5], v[39:40]
	s_waitcnt vmcnt(2)
	v_add_f64 v[37:38], v[63:64], -v[37:38]
	s_waitcnt vmcnt(0)
	v_add_f64 v[4:5], v[65:66], -v[4:5]
	buffer_store_dword v37, off, s[0:3], 0 offset:160
	buffer_store_dword v38, off, s[0:3], 0 offset:164
	;; [unrolled: 1-line block ×4, first 2 shown]
	v_cmpx_lt_u32_e32 9, v0
	s_cbranch_execz .LBB14_85
; %bb.84:
	v_mov_b32_e32 v4, s19
	s_clause 0x3
	buffer_load_dword v37, v4, s[0:3], 0 offen
	buffer_load_dword v38, v4, s[0:3], 0 offen offset:4
	buffer_load_dword v39, v4, s[0:3], 0 offen offset:8
	buffer_load_dword v40, v4, s[0:3], 0 offen offset:12
	v_mov_b32_e32 v4, 0
	buffer_store_dword v4, off, s[0:3], 0 offset:144
	buffer_store_dword v4, off, s[0:3], 0 offset:148
	;; [unrolled: 1-line block ×4, first 2 shown]
	s_waitcnt vmcnt(0)
	ds_write_b128 v3, v[37:40]
.LBB14_85:
	s_or_b32 exec_lo, exec_lo, s6
	s_waitcnt lgkmcnt(0)
	s_waitcnt_vscnt null, 0x0
	s_barrier
	buffer_gl0_inv
	s_clause 0x17
	buffer_load_dword v5, off, s[0:3], 0 offset:168
	buffer_load_dword v6, off, s[0:3], 0 offset:172
	buffer_load_dword v49, off, s[0:3], 0 offset:184
	buffer_load_dword v50, off, s[0:3], 0 offset:188
	buffer_load_dword v51, off, s[0:3], 0 offset:160
	buffer_load_dword v52, off, s[0:3], 0 offset:164
	buffer_load_dword v53, off, s[0:3], 0 offset:200
	buffer_load_dword v54, off, s[0:3], 0 offset:204
	buffer_load_dword v55, off, s[0:3], 0 offset:176
	buffer_load_dword v56, off, s[0:3], 0 offset:180
	buffer_load_dword v58, off, s[0:3], 0 offset:220
	buffer_load_dword v59, off, s[0:3], 0 offset:232
	buffer_load_dword v61, off, s[0:3], 0 offset:224
	buffer_load_dword v57, off, s[0:3], 0 offset:216
	buffer_load_dword v63, off, s[0:3], 0 offset:192
	buffer_load_dword v64, off, s[0:3], 0 offset:196
	buffer_load_dword v60, off, s[0:3], 0 offset:236
	buffer_load_dword v66, off, s[0:3], 0 offset:212
	buffer_load_dword v65, off, s[0:3], 0 offset:208
	buffer_load_dword v62, off, s[0:3], 0 offset:228
	buffer_load_dword v67, off, s[0:3], 0 offset:144
	buffer_load_dword v68, off, s[0:3], 0 offset:148
	buffer_load_dword v69, off, s[0:3], 0 offset:152
	buffer_load_dword v70, off, s[0:3], 0 offset:156
	v_mov_b32_e32 v4, 0
	ds_read_b128 v[37:40], v4 offset:400
	ds_read_b128 v[41:44], v4 offset:416
	;; [unrolled: 1-line block ×3, first 2 shown]
	s_mov_b32 s6, exec_lo
	s_waitcnt vmcnt(22) lgkmcnt(2)
	v_mul_f64 v[71:72], v[39:40], v[5:6]
	v_mul_f64 v[5:6], v[37:38], v[5:6]
	s_waitcnt vmcnt(20) lgkmcnt(1)
	v_mul_f64 v[73:74], v[43:44], v[49:50]
	v_mul_f64 v[49:50], v[41:42], v[49:50]
	s_waitcnt vmcnt(18)
	v_fma_f64 v[71:72], v[37:38], v[51:52], -v[71:72]
	v_fma_f64 v[5:6], v[39:40], v[51:52], v[5:6]
	ds_read_b128 v[37:40], v4 offset:448
	s_waitcnt vmcnt(16) lgkmcnt(1)
	v_mul_f64 v[51:52], v[45:46], v[53:54]
	v_mul_f64 v[53:54], v[47:48], v[53:54]
	s_waitcnt vmcnt(14)
	v_fma_f64 v[73:74], v[41:42], v[55:56], -v[73:74]
	v_fma_f64 v[49:50], v[43:44], v[55:56], v[49:50]
	ds_read_b128 v[41:44], v4 offset:464
	s_waitcnt vmcnt(10) lgkmcnt(1)
	v_mul_f64 v[55:56], v[37:38], v[57:58]
	v_add_f64 v[71:72], v[71:72], 0
	v_add_f64 v[5:6], v[5:6], 0
	v_mul_f64 v[57:58], v[39:40], v[57:58]
	s_waitcnt vmcnt(8)
	v_fma_f64 v[45:46], v[45:46], v[63:64], -v[53:54]
	v_fma_f64 v[47:48], v[47:48], v[63:64], v[51:52]
	s_waitcnt vmcnt(7) lgkmcnt(0)
	v_mul_f64 v[51:52], v[43:44], v[59:60]
	s_waitcnt vmcnt(5)
	v_fma_f64 v[39:40], v[39:40], v[65:66], v[55:56]
	v_add_f64 v[53:54], v[71:72], v[73:74]
	v_add_f64 v[5:6], v[5:6], v[49:50]
	v_fma_f64 v[37:38], v[37:38], v[65:66], -v[57:58]
	v_mul_f64 v[49:50], v[41:42], v[59:60]
	s_waitcnt vmcnt(4)
	v_fma_f64 v[41:42], v[41:42], v[61:62], -v[51:52]
	v_add_f64 v[45:46], v[53:54], v[45:46]
	v_add_f64 v[5:6], v[5:6], v[47:48]
	v_fma_f64 v[43:44], v[43:44], v[61:62], v[49:50]
	v_add_f64 v[37:38], v[45:46], v[37:38]
	v_add_f64 v[5:6], v[5:6], v[39:40]
	;; [unrolled: 1-line block ×4, first 2 shown]
	s_waitcnt vmcnt(2)
	v_add_f64 v[37:38], v[67:68], -v[37:38]
	s_waitcnt vmcnt(0)
	v_add_f64 v[5:6], v[69:70], -v[5:6]
	buffer_store_dword v38, off, s[0:3], 0 offset:148
	buffer_store_dword v37, off, s[0:3], 0 offset:144
	;; [unrolled: 1-line block ×4, first 2 shown]
	v_cmpx_lt_u32_e32 8, v0
	s_cbranch_execz .LBB14_87
; %bb.86:
	v_mov_b32_e32 v5, s20
	s_clause 0x3
	buffer_load_dword v37, v5, s[0:3], 0 offen
	buffer_load_dword v38, v5, s[0:3], 0 offen offset:4
	buffer_load_dword v39, v5, s[0:3], 0 offen offset:8
	;; [unrolled: 1-line block ×3, first 2 shown]
	buffer_store_dword v4, off, s[0:3], 0 offset:128
	buffer_store_dword v4, off, s[0:3], 0 offset:132
	;; [unrolled: 1-line block ×4, first 2 shown]
	s_waitcnt vmcnt(0)
	ds_write_b128 v3, v[37:40]
.LBB14_87:
	s_or_b32 exec_lo, exec_lo, s6
	s_waitcnt lgkmcnt(0)
	s_waitcnt_vscnt null, 0x0
	s_barrier
	buffer_gl0_inv
	s_clause 0x1b
	buffer_load_dword v5, off, s[0:3], 0 offset:152
	buffer_load_dword v6, off, s[0:3], 0 offset:156
	;; [unrolled: 1-line block ×28, first 2 shown]
	ds_read_b128 v[37:40], v4 offset:384
	ds_read_b128 v[41:44], v4 offset:400
	;; [unrolled: 1-line block ×3, first 2 shown]
	s_mov_b32 s6, exec_lo
	s_waitcnt vmcnt(26) lgkmcnt(2)
	v_mul_f64 v[75:76], v[39:40], v[5:6]
	v_mul_f64 v[5:6], v[37:38], v[5:6]
	s_waitcnt vmcnt(24) lgkmcnt(1)
	v_mul_f64 v[77:78], v[43:44], v[49:50]
	v_mul_f64 v[49:50], v[41:42], v[49:50]
	s_waitcnt vmcnt(22)
	v_fma_f64 v[75:76], v[37:38], v[51:52], -v[75:76]
	v_fma_f64 v[5:6], v[39:40], v[51:52], v[5:6]
	ds_read_b128 v[37:40], v4 offset:432
	s_waitcnt vmcnt(20) lgkmcnt(1)
	v_mul_f64 v[51:52], v[45:46], v[53:54]
	v_mul_f64 v[53:54], v[47:48], v[53:54]
	s_waitcnt vmcnt(18)
	v_fma_f64 v[77:78], v[41:42], v[55:56], -v[77:78]
	v_fma_f64 v[49:50], v[43:44], v[55:56], v[49:50]
	ds_read_b128 v[41:44], v4 offset:448
	s_waitcnt vmcnt(14) lgkmcnt(1)
	v_mul_f64 v[55:56], v[37:38], v[57:58]
	v_add_f64 v[75:76], v[75:76], 0
	v_add_f64 v[5:6], v[5:6], 0
	v_mul_f64 v[57:58], v[39:40], v[57:58]
	s_waitcnt vmcnt(12)
	v_fma_f64 v[53:54], v[45:46], v[63:64], -v[53:54]
	v_fma_f64 v[51:52], v[47:48], v[63:64], v[51:52]
	ds_read_b128 v[45:48], v4 offset:464
	s_waitcnt vmcnt(9)
	v_fma_f64 v[39:40], v[39:40], v[65:66], v[55:56]
	v_add_f64 v[75:76], v[75:76], v[77:78]
	v_add_f64 v[5:6], v[5:6], v[49:50]
	s_waitcnt lgkmcnt(1)
	v_mul_f64 v[49:50], v[41:42], v[59:60]
	v_mul_f64 v[59:60], v[43:44], v[59:60]
	v_fma_f64 v[37:38], v[37:38], v[65:66], -v[57:58]
	s_waitcnt vmcnt(7) lgkmcnt(0)
	v_mul_f64 v[55:56], v[47:48], v[67:68]
	v_add_f64 v[53:54], v[75:76], v[53:54]
	v_add_f64 v[4:5], v[5:6], v[51:52]
	v_mul_f64 v[51:52], v[45:46], v[67:68]
	s_waitcnt vmcnt(6)
	v_fma_f64 v[41:42], v[41:42], v[61:62], -v[59:60]
	v_fma_f64 v[43:44], v[43:44], v[61:62], v[49:50]
	v_add_f64 v[37:38], v[53:54], v[37:38]
	v_add_f64 v[4:5], v[4:5], v[39:40]
	s_waitcnt vmcnt(4)
	v_fma_f64 v[39:40], v[45:46], v[69:70], -v[55:56]
	v_add_f64 v[37:38], v[37:38], v[41:42]
	v_fma_f64 v[41:42], v[47:48], v[69:70], v[51:52]
	v_add_f64 v[4:5], v[4:5], v[43:44]
	v_add_f64 v[37:38], v[37:38], v[39:40]
	;; [unrolled: 1-line block ×3, first 2 shown]
	s_waitcnt vmcnt(2)
	v_add_f64 v[37:38], v[71:72], -v[37:38]
	s_waitcnt vmcnt(0)
	v_add_f64 v[4:5], v[73:74], -v[4:5]
	buffer_store_dword v38, off, s[0:3], 0 offset:132
	buffer_store_dword v37, off, s[0:3], 0 offset:128
	;; [unrolled: 1-line block ×4, first 2 shown]
	v_cmpx_lt_u32_e32 7, v0
	s_cbranch_execz .LBB14_89
; %bb.88:
	v_mov_b32_e32 v4, s21
	s_clause 0x3
	buffer_load_dword v37, v4, s[0:3], 0 offen
	buffer_load_dword v38, v4, s[0:3], 0 offen offset:4
	buffer_load_dword v39, v4, s[0:3], 0 offen offset:8
	buffer_load_dword v40, v4, s[0:3], 0 offen offset:12
	v_mov_b32_e32 v4, 0
	buffer_store_dword v4, off, s[0:3], 0 offset:112
	buffer_store_dword v4, off, s[0:3], 0 offset:116
	;; [unrolled: 1-line block ×4, first 2 shown]
	s_waitcnt vmcnt(0)
	ds_write_b128 v3, v[37:40]
.LBB14_89:
	s_or_b32 exec_lo, exec_lo, s6
	s_waitcnt lgkmcnt(0)
	s_waitcnt_vscnt null, 0x0
	s_barrier
	buffer_gl0_inv
	s_clause 0x1f
	buffer_load_dword v5, off, s[0:3], 0 offset:136
	buffer_load_dword v6, off, s[0:3], 0 offset:140
	buffer_load_dword v49, off, s[0:3], 0 offset:152
	buffer_load_dword v50, off, s[0:3], 0 offset:156
	buffer_load_dword v51, off, s[0:3], 0 offset:128
	buffer_load_dword v52, off, s[0:3], 0 offset:132
	buffer_load_dword v53, off, s[0:3], 0 offset:168
	buffer_load_dword v54, off, s[0:3], 0 offset:172
	buffer_load_dword v55, off, s[0:3], 0 offset:144
	buffer_load_dword v56, off, s[0:3], 0 offset:148
	buffer_load_dword v58, off, s[0:3], 0 offset:188
	buffer_load_dword v59, off, s[0:3], 0 offset:200
	buffer_load_dword v61, off, s[0:3], 0 offset:192
	buffer_load_dword v57, off, s[0:3], 0 offset:184
	buffer_load_dword v63, off, s[0:3], 0 offset:160
	buffer_load_dword v64, off, s[0:3], 0 offset:164
	buffer_load_dword v60, off, s[0:3], 0 offset:204
	buffer_load_dword v66, off, s[0:3], 0 offset:180
	buffer_load_dword v65, off, s[0:3], 0 offset:176
	buffer_load_dword v68, off, s[0:3], 0 offset:220
	buffer_load_dword v69, off, s[0:3], 0 offset:232
	buffer_load_dword v71, off, s[0:3], 0 offset:224
	buffer_load_dword v67, off, s[0:3], 0 offset:216
	buffer_load_dword v62, off, s[0:3], 0 offset:196
	buffer_load_dword v70, off, s[0:3], 0 offset:236
	buffer_load_dword v74, off, s[0:3], 0 offset:212
	buffer_load_dword v73, off, s[0:3], 0 offset:208
	buffer_load_dword v72, off, s[0:3], 0 offset:228
	buffer_load_dword v75, off, s[0:3], 0 offset:112
	buffer_load_dword v76, off, s[0:3], 0 offset:116
	buffer_load_dword v77, off, s[0:3], 0 offset:120
	buffer_load_dword v78, off, s[0:3], 0 offset:124
	v_mov_b32_e32 v4, 0
	ds_read_b128 v[37:40], v4 offset:368
	ds_read_b128 v[41:44], v4 offset:384
	;; [unrolled: 1-line block ×3, first 2 shown]
	s_mov_b32 s6, exec_lo
	s_waitcnt vmcnt(30) lgkmcnt(2)
	v_mul_f64 v[79:80], v[39:40], v[5:6]
	v_mul_f64 v[5:6], v[37:38], v[5:6]
	s_waitcnt vmcnt(28) lgkmcnt(1)
	v_mul_f64 v[81:82], v[43:44], v[49:50]
	v_mul_f64 v[49:50], v[41:42], v[49:50]
	s_waitcnt vmcnt(26)
	v_fma_f64 v[79:80], v[37:38], v[51:52], -v[79:80]
	v_fma_f64 v[5:6], v[39:40], v[51:52], v[5:6]
	ds_read_b128 v[37:40], v4 offset:416
	s_waitcnt vmcnt(24) lgkmcnt(1)
	v_mul_f64 v[51:52], v[45:46], v[53:54]
	v_mul_f64 v[53:54], v[47:48], v[53:54]
	s_waitcnt vmcnt(22)
	v_fma_f64 v[81:82], v[41:42], v[55:56], -v[81:82]
	v_fma_f64 v[49:50], v[43:44], v[55:56], v[49:50]
	ds_read_b128 v[41:44], v4 offset:432
	s_waitcnt vmcnt(18) lgkmcnt(1)
	v_mul_f64 v[55:56], v[37:38], v[57:58]
	v_add_f64 v[79:80], v[79:80], 0
	v_add_f64 v[5:6], v[5:6], 0
	v_mul_f64 v[57:58], v[39:40], v[57:58]
	s_waitcnt vmcnt(16)
	v_fma_f64 v[53:54], v[45:46], v[63:64], -v[53:54]
	v_fma_f64 v[51:52], v[47:48], v[63:64], v[51:52]
	ds_read_b128 v[45:48], v4 offset:448
	s_waitcnt vmcnt(13)
	v_fma_f64 v[55:56], v[39:40], v[65:66], v[55:56]
	v_add_f64 v[79:80], v[79:80], v[81:82]
	v_add_f64 v[5:6], v[5:6], v[49:50]
	s_waitcnt lgkmcnt(1)
	v_mul_f64 v[49:50], v[41:42], v[59:60]
	v_mul_f64 v[59:60], v[43:44], v[59:60]
	v_fma_f64 v[57:58], v[37:38], v[65:66], -v[57:58]
	s_waitcnt vmcnt(9) lgkmcnt(0)
	v_mul_f64 v[63:64], v[47:48], v[67:68]
	ds_read_b128 v[37:40], v4 offset:464
	v_add_f64 v[53:54], v[79:80], v[53:54]
	v_add_f64 v[5:6], v[5:6], v[51:52]
	v_mul_f64 v[51:52], v[45:46], v[67:68]
	s_waitcnt vmcnt(8)
	v_fma_f64 v[41:42], v[41:42], v[61:62], -v[59:60]
	v_fma_f64 v[43:44], v[43:44], v[61:62], v[49:50]
	s_waitcnt vmcnt(5)
	v_fma_f64 v[45:46], v[45:46], v[73:74], -v[63:64]
	s_waitcnt lgkmcnt(0)
	v_mul_f64 v[49:50], v[37:38], v[69:70]
	v_add_f64 v[53:54], v[53:54], v[57:58]
	v_add_f64 v[5:6], v[5:6], v[55:56]
	v_mul_f64 v[55:56], v[39:40], v[69:70]
	v_fma_f64 v[47:48], v[47:48], v[73:74], v[51:52]
	s_waitcnt vmcnt(4)
	v_fma_f64 v[39:40], v[39:40], v[71:72], v[49:50]
	v_add_f64 v[41:42], v[53:54], v[41:42]
	v_add_f64 v[5:6], v[5:6], v[43:44]
	v_fma_f64 v[37:38], v[37:38], v[71:72], -v[55:56]
	v_add_f64 v[41:42], v[41:42], v[45:46]
	v_add_f64 v[5:6], v[5:6], v[47:48]
	;; [unrolled: 1-line block ×4, first 2 shown]
	s_waitcnt vmcnt(2)
	v_add_f64 v[37:38], v[75:76], -v[37:38]
	s_waitcnt vmcnt(0)
	v_add_f64 v[5:6], v[77:78], -v[5:6]
	buffer_store_dword v38, off, s[0:3], 0 offset:116
	buffer_store_dword v37, off, s[0:3], 0 offset:112
	;; [unrolled: 1-line block ×4, first 2 shown]
	v_cmpx_lt_u32_e32 6, v0
	s_cbranch_execz .LBB14_91
; %bb.90:
	v_mov_b32_e32 v5, s22
	s_clause 0x3
	buffer_load_dword v37, v5, s[0:3], 0 offen
	buffer_load_dword v38, v5, s[0:3], 0 offen offset:4
	buffer_load_dword v39, v5, s[0:3], 0 offen offset:8
	;; [unrolled: 1-line block ×3, first 2 shown]
	buffer_store_dword v4, off, s[0:3], 0 offset:96
	buffer_store_dword v4, off, s[0:3], 0 offset:100
	;; [unrolled: 1-line block ×4, first 2 shown]
	s_waitcnt vmcnt(0)
	ds_write_b128 v3, v[37:40]
.LBB14_91:
	s_or_b32 exec_lo, exec_lo, s6
	s_waitcnt lgkmcnt(0)
	s_waitcnt_vscnt null, 0x0
	s_barrier
	buffer_gl0_inv
	s_clause 0x23
	buffer_load_dword v5, off, s[0:3], 0 offset:120
	buffer_load_dword v6, off, s[0:3], 0 offset:124
	;; [unrolled: 1-line block ×36, first 2 shown]
	ds_read_b128 v[37:40], v4 offset:352
	ds_read_b128 v[41:44], v4 offset:368
	;; [unrolled: 1-line block ×3, first 2 shown]
	s_mov_b32 s6, exec_lo
	s_waitcnt vmcnt(34) lgkmcnt(2)
	v_mul_f64 v[83:84], v[39:40], v[5:6]
	v_mul_f64 v[5:6], v[37:38], v[5:6]
	s_waitcnt vmcnt(32) lgkmcnt(1)
	v_mul_f64 v[85:86], v[43:44], v[49:50]
	v_mul_f64 v[49:50], v[41:42], v[49:50]
	s_waitcnt vmcnt(30)
	v_fma_f64 v[83:84], v[37:38], v[51:52], -v[83:84]
	v_fma_f64 v[5:6], v[39:40], v[51:52], v[5:6]
	ds_read_b128 v[37:40], v4 offset:400
	s_waitcnt vmcnt(28) lgkmcnt(1)
	v_mul_f64 v[51:52], v[45:46], v[53:54]
	v_mul_f64 v[53:54], v[47:48], v[53:54]
	s_waitcnt vmcnt(26)
	v_fma_f64 v[85:86], v[41:42], v[55:56], -v[85:86]
	v_fma_f64 v[49:50], v[43:44], v[55:56], v[49:50]
	ds_read_b128 v[41:44], v4 offset:416
	s_waitcnt vmcnt(22) lgkmcnt(1)
	v_mul_f64 v[55:56], v[37:38], v[57:58]
	v_add_f64 v[83:84], v[83:84], 0
	v_add_f64 v[5:6], v[5:6], 0
	v_mul_f64 v[57:58], v[39:40], v[57:58]
	s_waitcnt vmcnt(20)
	v_fma_f64 v[53:54], v[45:46], v[63:64], -v[53:54]
	v_fma_f64 v[51:52], v[47:48], v[63:64], v[51:52]
	ds_read_b128 v[45:48], v4 offset:432
	s_waitcnt vmcnt(17)
	v_fma_f64 v[55:56], v[39:40], v[65:66], v[55:56]
	v_add_f64 v[83:84], v[83:84], v[85:86]
	v_add_f64 v[5:6], v[5:6], v[49:50]
	s_waitcnt lgkmcnt(1)
	v_mul_f64 v[49:50], v[41:42], v[59:60]
	v_mul_f64 v[59:60], v[43:44], v[59:60]
	v_fma_f64 v[57:58], v[37:38], v[65:66], -v[57:58]
	s_waitcnt vmcnt(13) lgkmcnt(0)
	v_mul_f64 v[63:64], v[47:48], v[67:68]
	ds_read_b128 v[37:40], v4 offset:448
	v_add_f64 v[53:54], v[83:84], v[53:54]
	v_add_f64 v[5:6], v[5:6], v[51:52]
	v_mul_f64 v[51:52], v[45:46], v[67:68]
	s_waitcnt vmcnt(12)
	v_fma_f64 v[59:60], v[41:42], v[61:62], -v[59:60]
	v_fma_f64 v[49:50], v[43:44], v[61:62], v[49:50]
	ds_read_b128 v[41:44], v4 offset:464
	s_waitcnt vmcnt(9)
	v_fma_f64 v[45:46], v[45:46], v[73:74], -v[63:64]
	v_add_f64 v[53:54], v[53:54], v[57:58]
	v_add_f64 v[5:6], v[5:6], v[55:56]
	s_waitcnt lgkmcnt(1)
	v_mul_f64 v[57:58], v[39:40], v[69:70]
	v_mul_f64 v[55:56], v[37:38], v[69:70]
	v_fma_f64 v[47:48], v[47:48], v[73:74], v[51:52]
	s_waitcnt vmcnt(7) lgkmcnt(0)
	v_mul_f64 v[51:52], v[43:44], v[75:76]
	v_add_f64 v[53:54], v[53:54], v[59:60]
	v_add_f64 v[4:5], v[5:6], v[49:50]
	s_waitcnt vmcnt(6)
	v_fma_f64 v[37:38], v[37:38], v[71:72], -v[57:58]
	v_mul_f64 v[49:50], v[41:42], v[75:76]
	v_fma_f64 v[39:40], v[39:40], v[71:72], v[55:56]
	s_waitcnt vmcnt(4)
	v_fma_f64 v[41:42], v[41:42], v[77:78], -v[51:52]
	v_add_f64 v[45:46], v[53:54], v[45:46]
	v_add_f64 v[4:5], v[4:5], v[47:48]
	v_fma_f64 v[43:44], v[43:44], v[77:78], v[49:50]
	v_add_f64 v[37:38], v[45:46], v[37:38]
	v_add_f64 v[4:5], v[4:5], v[39:40]
	;; [unrolled: 1-line block ×4, first 2 shown]
	s_waitcnt vmcnt(2)
	v_add_f64 v[37:38], v[79:80], -v[37:38]
	s_waitcnt vmcnt(0)
	v_add_f64 v[4:5], v[81:82], -v[4:5]
	buffer_store_dword v38, off, s[0:3], 0 offset:100
	buffer_store_dword v37, off, s[0:3], 0 offset:96
	;; [unrolled: 1-line block ×4, first 2 shown]
	v_cmpx_lt_u32_e32 5, v0
	s_cbranch_execz .LBB14_93
; %bb.92:
	v_mov_b32_e32 v4, s23
	s_clause 0x3
	buffer_load_dword v37, v4, s[0:3], 0 offen
	buffer_load_dword v38, v4, s[0:3], 0 offen offset:4
	buffer_load_dword v39, v4, s[0:3], 0 offen offset:8
	;; [unrolled: 1-line block ×3, first 2 shown]
	v_mov_b32_e32 v4, 0
	buffer_store_dword v4, off, s[0:3], 0 offset:80
	buffer_store_dword v4, off, s[0:3], 0 offset:84
	;; [unrolled: 1-line block ×4, first 2 shown]
	s_waitcnt vmcnt(0)
	ds_write_b128 v3, v[37:40]
.LBB14_93:
	s_or_b32 exec_lo, exec_lo, s6
	s_waitcnt lgkmcnt(0)
	s_waitcnt_vscnt null, 0x0
	s_barrier
	buffer_gl0_inv
	s_clause 0x27
	buffer_load_dword v5, off, s[0:3], 0 offset:104
	buffer_load_dword v6, off, s[0:3], 0 offset:108
	buffer_load_dword v49, off, s[0:3], 0 offset:120
	buffer_load_dword v50, off, s[0:3], 0 offset:124
	buffer_load_dword v51, off, s[0:3], 0 offset:96
	buffer_load_dword v52, off, s[0:3], 0 offset:100
	buffer_load_dword v53, off, s[0:3], 0 offset:136
	buffer_load_dword v54, off, s[0:3], 0 offset:140
	buffer_load_dword v55, off, s[0:3], 0 offset:112
	buffer_load_dword v56, off, s[0:3], 0 offset:116
	buffer_load_dword v58, off, s[0:3], 0 offset:156
	buffer_load_dword v59, off, s[0:3], 0 offset:168
	buffer_load_dword v61, off, s[0:3], 0 offset:160
	buffer_load_dword v57, off, s[0:3], 0 offset:152
	buffer_load_dword v63, off, s[0:3], 0 offset:128
	buffer_load_dword v64, off, s[0:3], 0 offset:132
	buffer_load_dword v60, off, s[0:3], 0 offset:172
	buffer_load_dword v66, off, s[0:3], 0 offset:148
	buffer_load_dword v65, off, s[0:3], 0 offset:144
	buffer_load_dword v68, off, s[0:3], 0 offset:188
	buffer_load_dword v69, off, s[0:3], 0 offset:200
	buffer_load_dword v71, off, s[0:3], 0 offset:192
	buffer_load_dword v67, off, s[0:3], 0 offset:184
	buffer_load_dword v62, off, s[0:3], 0 offset:164
	buffer_load_dword v70, off, s[0:3], 0 offset:204
	buffer_load_dword v74, off, s[0:3], 0 offset:180
	buffer_load_dword v73, off, s[0:3], 0 offset:176
	buffer_load_dword v76, off, s[0:3], 0 offset:220
	buffer_load_dword v77, off, s[0:3], 0 offset:232
	buffer_load_dword v79, off, s[0:3], 0 offset:224
	buffer_load_dword v75, off, s[0:3], 0 offset:216
	buffer_load_dword v72, off, s[0:3], 0 offset:196
	buffer_load_dword v78, off, s[0:3], 0 offset:236
	buffer_load_dword v82, off, s[0:3], 0 offset:212
	buffer_load_dword v81, off, s[0:3], 0 offset:208
	buffer_load_dword v80, off, s[0:3], 0 offset:228
	buffer_load_dword v83, off, s[0:3], 0 offset:80
	buffer_load_dword v84, off, s[0:3], 0 offset:84
	buffer_load_dword v85, off, s[0:3], 0 offset:88
	buffer_load_dword v86, off, s[0:3], 0 offset:92
	v_mov_b32_e32 v4, 0
	ds_read_b128 v[37:40], v4 offset:336
	ds_read_b128 v[41:44], v4 offset:352
	;; [unrolled: 1-line block ×3, first 2 shown]
	s_mov_b32 s6, exec_lo
	s_waitcnt vmcnt(38) lgkmcnt(2)
	v_mul_f64 v[87:88], v[39:40], v[5:6]
	v_mul_f64 v[5:6], v[37:38], v[5:6]
	s_waitcnt vmcnt(36) lgkmcnt(1)
	v_mul_f64 v[89:90], v[43:44], v[49:50]
	v_mul_f64 v[49:50], v[41:42], v[49:50]
	s_waitcnt vmcnt(34)
	v_fma_f64 v[87:88], v[37:38], v[51:52], -v[87:88]
	v_fma_f64 v[5:6], v[39:40], v[51:52], v[5:6]
	ds_read_b128 v[37:40], v4 offset:384
	s_waitcnt vmcnt(32) lgkmcnt(1)
	v_mul_f64 v[51:52], v[45:46], v[53:54]
	v_mul_f64 v[53:54], v[47:48], v[53:54]
	s_waitcnt vmcnt(30)
	v_fma_f64 v[89:90], v[41:42], v[55:56], -v[89:90]
	v_fma_f64 v[49:50], v[43:44], v[55:56], v[49:50]
	ds_read_b128 v[41:44], v4 offset:400
	s_waitcnt vmcnt(26) lgkmcnt(1)
	v_mul_f64 v[55:56], v[37:38], v[57:58]
	v_add_f64 v[87:88], v[87:88], 0
	v_add_f64 v[5:6], v[5:6], 0
	v_mul_f64 v[57:58], v[39:40], v[57:58]
	s_waitcnt vmcnt(24)
	v_fma_f64 v[53:54], v[45:46], v[63:64], -v[53:54]
	v_fma_f64 v[51:52], v[47:48], v[63:64], v[51:52]
	ds_read_b128 v[45:48], v4 offset:416
	s_waitcnt vmcnt(21)
	v_fma_f64 v[55:56], v[39:40], v[65:66], v[55:56]
	v_add_f64 v[87:88], v[87:88], v[89:90]
	v_add_f64 v[5:6], v[5:6], v[49:50]
	s_waitcnt lgkmcnt(1)
	v_mul_f64 v[49:50], v[41:42], v[59:60]
	v_mul_f64 v[59:60], v[43:44], v[59:60]
	v_fma_f64 v[57:58], v[37:38], v[65:66], -v[57:58]
	s_waitcnt vmcnt(17) lgkmcnt(0)
	v_mul_f64 v[63:64], v[47:48], v[67:68]
	ds_read_b128 v[37:40], v4 offset:432
	v_add_f64 v[53:54], v[87:88], v[53:54]
	v_add_f64 v[5:6], v[5:6], v[51:52]
	v_mul_f64 v[51:52], v[45:46], v[67:68]
	s_waitcnt vmcnt(16)
	v_fma_f64 v[59:60], v[41:42], v[61:62], -v[59:60]
	v_fma_f64 v[49:50], v[43:44], v[61:62], v[49:50]
	ds_read_b128 v[41:44], v4 offset:448
	s_waitcnt vmcnt(13)
	v_fma_f64 v[61:62], v[45:46], v[73:74], -v[63:64]
	v_add_f64 v[53:54], v[53:54], v[57:58]
	v_add_f64 v[5:6], v[5:6], v[55:56]
	s_waitcnt lgkmcnt(1)
	v_mul_f64 v[57:58], v[39:40], v[69:70]
	v_mul_f64 v[55:56], v[37:38], v[69:70]
	v_fma_f64 v[51:52], v[47:48], v[73:74], v[51:52]
	ds_read_b128 v[45:48], v4 offset:464
	v_add_f64 v[53:54], v[53:54], v[59:60]
	v_add_f64 v[5:6], v[5:6], v[49:50]
	s_waitcnt vmcnt(9) lgkmcnt(1)
	v_mul_f64 v[59:60], v[43:44], v[75:76]
	s_waitcnt vmcnt(8)
	v_fma_f64 v[37:38], v[37:38], v[71:72], -v[57:58]
	v_mul_f64 v[49:50], v[41:42], v[75:76]
	v_fma_f64 v[39:40], v[39:40], v[71:72], v[55:56]
	s_waitcnt vmcnt(7) lgkmcnt(0)
	v_mul_f64 v[55:56], v[47:48], v[77:78]
	v_add_f64 v[53:54], v[53:54], v[61:62]
	v_add_f64 v[5:6], v[5:6], v[51:52]
	s_waitcnt vmcnt(5)
	v_fma_f64 v[41:42], v[41:42], v[81:82], -v[59:60]
	v_mul_f64 v[51:52], v[45:46], v[77:78]
	v_fma_f64 v[43:44], v[43:44], v[81:82], v[49:50]
	v_add_f64 v[37:38], v[53:54], v[37:38]
	v_add_f64 v[5:6], v[5:6], v[39:40]
	s_waitcnt vmcnt(4)
	v_fma_f64 v[39:40], v[45:46], v[79:80], -v[55:56]
	v_add_f64 v[37:38], v[37:38], v[41:42]
	v_fma_f64 v[41:42], v[47:48], v[79:80], v[51:52]
	v_add_f64 v[5:6], v[5:6], v[43:44]
	v_add_f64 v[37:38], v[37:38], v[39:40]
	v_add_f64 v[5:6], v[5:6], v[41:42]
	s_waitcnt vmcnt(2)
	v_add_f64 v[37:38], v[83:84], -v[37:38]
	s_waitcnt vmcnt(0)
	v_add_f64 v[5:6], v[85:86], -v[5:6]
	buffer_store_dword v38, off, s[0:3], 0 offset:84
	buffer_store_dword v37, off, s[0:3], 0 offset:80
	;; [unrolled: 1-line block ×4, first 2 shown]
	v_cmpx_lt_u32_e32 4, v0
	s_cbranch_execz .LBB14_95
; %bb.94:
	v_mov_b32_e32 v5, s24
	s_clause 0x3
	buffer_load_dword v37, v5, s[0:3], 0 offen
	buffer_load_dword v38, v5, s[0:3], 0 offen offset:4
	buffer_load_dword v39, v5, s[0:3], 0 offen offset:8
	;; [unrolled: 1-line block ×3, first 2 shown]
	buffer_store_dword v4, off, s[0:3], 0 offset:64
	buffer_store_dword v4, off, s[0:3], 0 offset:68
	;; [unrolled: 1-line block ×4, first 2 shown]
	s_waitcnt vmcnt(0)
	ds_write_b128 v3, v[37:40]
.LBB14_95:
	s_or_b32 exec_lo, exec_lo, s6
	s_waitcnt lgkmcnt(0)
	s_waitcnt_vscnt null, 0x0
	s_barrier
	buffer_gl0_inv
	s_clause 0x2b
	buffer_load_dword v5, off, s[0:3], 0 offset:88
	buffer_load_dword v6, off, s[0:3], 0 offset:92
	;; [unrolled: 1-line block ×44, first 2 shown]
	ds_read_b128 v[37:40], v4 offset:320
	ds_read_b128 v[41:44], v4 offset:336
	;; [unrolled: 1-line block ×3, first 2 shown]
	s_mov_b32 s6, exec_lo
	s_waitcnt vmcnt(42) lgkmcnt(2)
	v_mul_f64 v[91:92], v[39:40], v[5:6]
	v_mul_f64 v[5:6], v[37:38], v[5:6]
	s_waitcnt vmcnt(40) lgkmcnt(1)
	v_mul_f64 v[93:94], v[43:44], v[49:50]
	v_mul_f64 v[49:50], v[41:42], v[49:50]
	s_waitcnt vmcnt(38)
	v_fma_f64 v[91:92], v[37:38], v[51:52], -v[91:92]
	v_fma_f64 v[5:6], v[39:40], v[51:52], v[5:6]
	ds_read_b128 v[37:40], v4 offset:368
	s_waitcnt vmcnt(36) lgkmcnt(1)
	v_mul_f64 v[51:52], v[45:46], v[53:54]
	v_mul_f64 v[53:54], v[47:48], v[53:54]
	s_waitcnt vmcnt(34)
	v_fma_f64 v[93:94], v[41:42], v[55:56], -v[93:94]
	v_fma_f64 v[49:50], v[43:44], v[55:56], v[49:50]
	ds_read_b128 v[41:44], v4 offset:384
	s_waitcnt vmcnt(32) lgkmcnt(1)
	v_mul_f64 v[55:56], v[37:38], v[57:58]
	v_add_f64 v[91:92], v[91:92], 0
	v_add_f64 v[5:6], v[5:6], 0
	v_mul_f64 v[57:58], v[39:40], v[57:58]
	s_waitcnt vmcnt(30)
	v_fma_f64 v[53:54], v[45:46], v[59:60], -v[53:54]
	v_fma_f64 v[51:52], v[47:48], v[59:60], v[51:52]
	ds_read_b128 v[45:48], v4 offset:400
	s_waitcnt vmcnt(28) lgkmcnt(1)
	v_mul_f64 v[59:60], v[43:44], v[61:62]
	s_waitcnt vmcnt(26)
	v_fma_f64 v[55:56], v[39:40], v[63:64], v[55:56]
	v_add_f64 v[91:92], v[91:92], v[93:94]
	v_add_f64 v[5:6], v[5:6], v[49:50]
	v_fma_f64 v[57:58], v[37:38], v[63:64], -v[57:58]
	v_mul_f64 v[49:50], v[41:42], v[61:62]
	s_waitcnt vmcnt(24) lgkmcnt(0)
	v_mul_f64 v[61:62], v[47:48], v[65:66]
	ds_read_b128 v[37:40], v4 offset:416
	s_waitcnt vmcnt(22)
	v_fma_f64 v[59:60], v[41:42], v[67:68], -v[59:60]
	v_add_f64 v[53:54], v[91:92], v[53:54]
	v_add_f64 v[5:6], v[5:6], v[51:52]
	v_mul_f64 v[51:52], v[45:46], v[65:66]
	v_fma_f64 v[49:50], v[43:44], v[67:68], v[49:50]
	ds_read_b128 v[41:44], v4 offset:432
	s_waitcnt vmcnt(18)
	v_fma_f64 v[61:62], v[45:46], v[71:72], -v[61:62]
	v_add_f64 v[53:54], v[53:54], v[57:58]
	v_add_f64 v[5:6], v[5:6], v[55:56]
	s_waitcnt lgkmcnt(1)
	v_mul_f64 v[57:58], v[39:40], v[69:70]
	v_mul_f64 v[55:56], v[37:38], v[69:70]
	v_fma_f64 v[51:52], v[47:48], v[71:72], v[51:52]
	ds_read_b128 v[45:48], v4 offset:448
	v_add_f64 v[53:54], v[53:54], v[59:60]
	v_add_f64 v[5:6], v[5:6], v[49:50]
	s_waitcnt vmcnt(16) lgkmcnt(1)
	v_mul_f64 v[59:60], v[43:44], v[73:74]
	s_waitcnt vmcnt(14)
	v_fma_f64 v[57:58], v[37:38], v[75:76], -v[57:58]
	v_mul_f64 v[49:50], v[41:42], v[73:74]
	v_fma_f64 v[55:56], v[39:40], v[75:76], v[55:56]
	ds_read_b128 v[37:40], v4 offset:464
	v_add_f64 v[53:54], v[53:54], v[61:62]
	v_add_f64 v[5:6], v[5:6], v[51:52]
	s_waitcnt vmcnt(12) lgkmcnt(1)
	v_mul_f64 v[61:62], v[47:48], v[77:78]
	s_waitcnt vmcnt(10)
	v_fma_f64 v[41:42], v[41:42], v[79:80], -v[59:60]
	v_mul_f64 v[51:52], v[45:46], v[77:78]
	v_fma_f64 v[43:44], v[43:44], v[79:80], v[49:50]
	s_waitcnt vmcnt(8) lgkmcnt(0)
	v_mul_f64 v[49:50], v[37:38], v[81:82]
	v_add_f64 v[53:54], v[53:54], v[57:58]
	v_add_f64 v[4:5], v[5:6], v[55:56]
	v_mul_f64 v[55:56], v[39:40], v[81:82]
	s_waitcnt vmcnt(6)
	v_fma_f64 v[45:46], v[45:46], v[83:84], -v[61:62]
	v_fma_f64 v[47:48], v[47:48], v[83:84], v[51:52]
	s_waitcnt vmcnt(4)
	v_fma_f64 v[39:40], v[39:40], v[85:86], v[49:50]
	v_add_f64 v[41:42], v[53:54], v[41:42]
	v_add_f64 v[4:5], v[4:5], v[43:44]
	v_fma_f64 v[37:38], v[37:38], v[85:86], -v[55:56]
	v_add_f64 v[41:42], v[41:42], v[45:46]
	v_add_f64 v[4:5], v[4:5], v[47:48]
	;; [unrolled: 1-line block ×4, first 2 shown]
	s_waitcnt vmcnt(2)
	v_add_f64 v[37:38], v[87:88], -v[37:38]
	s_waitcnt vmcnt(0)
	v_add_f64 v[4:5], v[89:90], -v[4:5]
	buffer_store_dword v38, off, s[0:3], 0 offset:68
	buffer_store_dword v37, off, s[0:3], 0 offset:64
	;; [unrolled: 1-line block ×4, first 2 shown]
	v_cmpx_lt_u32_e32 3, v0
	s_cbranch_execz .LBB14_97
; %bb.96:
	v_mov_b32_e32 v4, s25
	s_clause 0x3
	buffer_load_dword v37, v4, s[0:3], 0 offen
	buffer_load_dword v38, v4, s[0:3], 0 offen offset:4
	buffer_load_dword v39, v4, s[0:3], 0 offen offset:8
	;; [unrolled: 1-line block ×3, first 2 shown]
	v_mov_b32_e32 v4, 0
	buffer_store_dword v4, off, s[0:3], 0 offset:48
	buffer_store_dword v4, off, s[0:3], 0 offset:52
	buffer_store_dword v4, off, s[0:3], 0 offset:56
	buffer_store_dword v4, off, s[0:3], 0 offset:60
	s_waitcnt vmcnt(0)
	ds_write_b128 v3, v[37:40]
.LBB14_97:
	s_or_b32 exec_lo, exec_lo, s6
	s_waitcnt lgkmcnt(0)
	s_waitcnt_vscnt null, 0x0
	s_barrier
	buffer_gl0_inv
	s_clause 0x2f
	buffer_load_dword v5, off, s[0:3], 0 offset:72
	buffer_load_dword v6, off, s[0:3], 0 offset:76
	;; [unrolled: 1-line block ×48, first 2 shown]
	v_mov_b32_e32 v4, 0
	ds_read_b128 v[37:40], v4 offset:304
	ds_read_b128 v[41:44], v4 offset:320
	;; [unrolled: 1-line block ×3, first 2 shown]
	s_mov_b32 s6, exec_lo
	s_waitcnt vmcnt(46) lgkmcnt(2)
	v_mul_f64 v[95:96], v[39:40], v[5:6]
	v_mul_f64 v[5:6], v[37:38], v[5:6]
	s_waitcnt vmcnt(44) lgkmcnt(1)
	v_mul_f64 v[97:98], v[43:44], v[49:50]
	v_mul_f64 v[49:50], v[41:42], v[49:50]
	s_waitcnt vmcnt(42)
	v_fma_f64 v[95:96], v[37:38], v[51:52], -v[95:96]
	v_fma_f64 v[5:6], v[39:40], v[51:52], v[5:6]
	ds_read_b128 v[37:40], v4 offset:352
	s_waitcnt vmcnt(40) lgkmcnt(1)
	v_mul_f64 v[51:52], v[45:46], v[53:54]
	v_mul_f64 v[53:54], v[47:48], v[53:54]
	s_waitcnt vmcnt(38)
	v_fma_f64 v[97:98], v[41:42], v[55:56], -v[97:98]
	v_fma_f64 v[49:50], v[43:44], v[55:56], v[49:50]
	ds_read_b128 v[41:44], v4 offset:368
	s_waitcnt vmcnt(34) lgkmcnt(1)
	v_mul_f64 v[55:56], v[37:38], v[57:58]
	v_add_f64 v[95:96], v[95:96], 0
	v_add_f64 v[5:6], v[5:6], 0
	v_mul_f64 v[57:58], v[39:40], v[57:58]
	s_waitcnt vmcnt(32)
	v_fma_f64 v[53:54], v[45:46], v[63:64], -v[53:54]
	v_fma_f64 v[51:52], v[47:48], v[63:64], v[51:52]
	ds_read_b128 v[45:48], v4 offset:384
	s_waitcnt vmcnt(29)
	v_fma_f64 v[55:56], v[39:40], v[65:66], v[55:56]
	v_add_f64 v[95:96], v[95:96], v[97:98]
	v_add_f64 v[5:6], v[5:6], v[49:50]
	s_waitcnt lgkmcnt(1)
	v_mul_f64 v[49:50], v[41:42], v[59:60]
	v_mul_f64 v[59:60], v[43:44], v[59:60]
	v_fma_f64 v[57:58], v[37:38], v[65:66], -v[57:58]
	s_waitcnt vmcnt(25) lgkmcnt(0)
	v_mul_f64 v[63:64], v[47:48], v[67:68]
	ds_read_b128 v[37:40], v4 offset:400
	v_add_f64 v[53:54], v[95:96], v[53:54]
	v_add_f64 v[5:6], v[5:6], v[51:52]
	v_mul_f64 v[51:52], v[45:46], v[67:68]
	s_waitcnt vmcnt(24)
	v_fma_f64 v[59:60], v[41:42], v[61:62], -v[59:60]
	v_fma_f64 v[49:50], v[43:44], v[61:62], v[49:50]
	ds_read_b128 v[41:44], v4 offset:416
	s_waitcnt vmcnt(21)
	v_fma_f64 v[61:62], v[45:46], v[73:74], -v[63:64]
	v_add_f64 v[53:54], v[53:54], v[57:58]
	v_add_f64 v[5:6], v[5:6], v[55:56]
	s_waitcnt lgkmcnt(1)
	v_mul_f64 v[57:58], v[39:40], v[69:70]
	v_mul_f64 v[55:56], v[37:38], v[69:70]
	v_fma_f64 v[51:52], v[47:48], v[73:74], v[51:52]
	ds_read_b128 v[45:48], v4 offset:432
	v_add_f64 v[53:54], v[53:54], v[59:60]
	v_add_f64 v[5:6], v[5:6], v[49:50]
	s_waitcnt vmcnt(17) lgkmcnt(1)
	v_mul_f64 v[59:60], v[43:44], v[75:76]
	s_waitcnt vmcnt(16)
	v_fma_f64 v[57:58], v[37:38], v[71:72], -v[57:58]
	v_mul_f64 v[49:50], v[41:42], v[75:76]
	v_fma_f64 v[55:56], v[39:40], v[71:72], v[55:56]
	ds_read_b128 v[37:40], v4 offset:448
	v_add_f64 v[53:54], v[53:54], v[61:62]
	v_add_f64 v[5:6], v[5:6], v[51:52]
	s_waitcnt vmcnt(15) lgkmcnt(1)
	v_mul_f64 v[61:62], v[47:48], v[77:78]
	s_waitcnt vmcnt(13)
	v_fma_f64 v[59:60], v[41:42], v[81:82], -v[59:60]
	;; [unrolled: 9-line block ×3, first 2 shown]
	v_mul_f64 v[55:56], v[37:38], v[83:84]
	v_fma_f64 v[47:48], v[47:48], v[79:80], v[51:52]
	s_waitcnt vmcnt(7) lgkmcnt(0)
	v_mul_f64 v[51:52], v[43:44], v[85:86]
	v_add_f64 v[53:54], v[53:54], v[59:60]
	v_add_f64 v[5:6], v[5:6], v[49:50]
	s_waitcnt vmcnt(5)
	v_fma_f64 v[37:38], v[37:38], v[89:90], -v[57:58]
	v_mul_f64 v[49:50], v[41:42], v[85:86]
	v_fma_f64 v[39:40], v[39:40], v[89:90], v[55:56]
	s_waitcnt vmcnt(4)
	v_fma_f64 v[41:42], v[41:42], v[87:88], -v[51:52]
	v_add_f64 v[45:46], v[53:54], v[45:46]
	v_add_f64 v[5:6], v[5:6], v[47:48]
	v_fma_f64 v[43:44], v[43:44], v[87:88], v[49:50]
	v_add_f64 v[37:38], v[45:46], v[37:38]
	v_add_f64 v[5:6], v[5:6], v[39:40]
	;; [unrolled: 1-line block ×4, first 2 shown]
	s_waitcnt vmcnt(2)
	v_add_f64 v[37:38], v[91:92], -v[37:38]
	s_waitcnt vmcnt(0)
	v_add_f64 v[5:6], v[93:94], -v[5:6]
	buffer_store_dword v38, off, s[0:3], 0 offset:52
	buffer_store_dword v37, off, s[0:3], 0 offset:48
	;; [unrolled: 1-line block ×4, first 2 shown]
	v_cmpx_lt_u32_e32 2, v0
	s_cbranch_execz .LBB14_99
; %bb.98:
	v_mov_b32_e32 v5, s26
	s_clause 0x3
	buffer_load_dword v37, v5, s[0:3], 0 offen
	buffer_load_dword v38, v5, s[0:3], 0 offen offset:4
	buffer_load_dword v39, v5, s[0:3], 0 offen offset:8
	;; [unrolled: 1-line block ×3, first 2 shown]
	buffer_store_dword v4, off, s[0:3], 0 offset:32
	buffer_store_dword v4, off, s[0:3], 0 offset:36
	;; [unrolled: 1-line block ×4, first 2 shown]
	s_waitcnt vmcnt(0)
	ds_write_b128 v3, v[37:40]
.LBB14_99:
	s_or_b32 exec_lo, exec_lo, s6
	s_waitcnt lgkmcnt(0)
	s_waitcnt_vscnt null, 0x0
	s_barrier
	buffer_gl0_inv
	s_clause 0x2f
	buffer_load_dword v5, off, s[0:3], 0 offset:56
	buffer_load_dword v6, off, s[0:3], 0 offset:60
	buffer_load_dword v49, off, s[0:3], 0 offset:72
	buffer_load_dword v50, off, s[0:3], 0 offset:76
	buffer_load_dword v51, off, s[0:3], 0 offset:48
	buffer_load_dword v52, off, s[0:3], 0 offset:52
	buffer_load_dword v53, off, s[0:3], 0 offset:88
	buffer_load_dword v54, off, s[0:3], 0 offset:92
	buffer_load_dword v55, off, s[0:3], 0 offset:64
	buffer_load_dword v56, off, s[0:3], 0 offset:68
	buffer_load_dword v58, off, s[0:3], 0 offset:108
	buffer_load_dword v59, off, s[0:3], 0 offset:120
	buffer_load_dword v61, off, s[0:3], 0 offset:112
	buffer_load_dword v57, off, s[0:3], 0 offset:104
	buffer_load_dword v63, off, s[0:3], 0 offset:80
	buffer_load_dword v64, off, s[0:3], 0 offset:84
	buffer_load_dword v60, off, s[0:3], 0 offset:124
	buffer_load_dword v66, off, s[0:3], 0 offset:100
	buffer_load_dword v65, off, s[0:3], 0 offset:96
	buffer_load_dword v68, off, s[0:3], 0 offset:140
	buffer_load_dword v69, off, s[0:3], 0 offset:152
	buffer_load_dword v71, off, s[0:3], 0 offset:144
	buffer_load_dword v67, off, s[0:3], 0 offset:136
	buffer_load_dword v62, off, s[0:3], 0 offset:116
	buffer_load_dword v70, off, s[0:3], 0 offset:156
	buffer_load_dword v74, off, s[0:3], 0 offset:132
	buffer_load_dword v73, off, s[0:3], 0 offset:128
	buffer_load_dword v76, off, s[0:3], 0 offset:172
	buffer_load_dword v77, off, s[0:3], 0 offset:184
	buffer_load_dword v79, off, s[0:3], 0 offset:176
	buffer_load_dword v75, off, s[0:3], 0 offset:168
	buffer_load_dword v72, off, s[0:3], 0 offset:148
	buffer_load_dword v78, off, s[0:3], 0 offset:188
	buffer_load_dword v82, off, s[0:3], 0 offset:164
	buffer_load_dword v81, off, s[0:3], 0 offset:160
	buffer_load_dword v84, off, s[0:3], 0 offset:204
	buffer_load_dword v85, off, s[0:3], 0 offset:216
	buffer_load_dword v87, off, s[0:3], 0 offset:208
	buffer_load_dword v83, off, s[0:3], 0 offset:200
	buffer_load_dword v80, off, s[0:3], 0 offset:180
	buffer_load_dword v86, off, s[0:3], 0 offset:220
	buffer_load_dword v90, off, s[0:3], 0 offset:196
	buffer_load_dword v89, off, s[0:3], 0 offset:192
	buffer_load_dword v92, off, s[0:3], 0 offset:236
	buffer_load_dword v91, off, s[0:3], 0 offset:232
	buffer_load_dword v88, off, s[0:3], 0 offset:212
	buffer_load_dword v94, off, s[0:3], 0 offset:228
	buffer_load_dword v93, off, s[0:3], 0 offset:224
	ds_read_b128 v[37:40], v4 offset:288
	s_clause 0x3
	buffer_load_dword v95, off, s[0:3], 0 offset:32
	buffer_load_dword v96, off, s[0:3], 0 offset:36
	;; [unrolled: 1-line block ×4, first 2 shown]
	ds_read_b128 v[41:44], v4 offset:304
	ds_read_b128 v[45:48], v4 offset:320
	s_mov_b32 s6, exec_lo
	s_waitcnt vmcnt(50) lgkmcnt(2)
	v_mul_f64 v[99:100], v[39:40], v[5:6]
	v_mul_f64 v[5:6], v[37:38], v[5:6]
	s_waitcnt vmcnt(48) lgkmcnt(1)
	v_mul_f64 v[101:102], v[43:44], v[49:50]
	v_mul_f64 v[49:50], v[41:42], v[49:50]
	s_waitcnt vmcnt(46)
	v_fma_f64 v[99:100], v[37:38], v[51:52], -v[99:100]
	v_fma_f64 v[5:6], v[39:40], v[51:52], v[5:6]
	s_waitcnt vmcnt(44) lgkmcnt(0)
	v_mul_f64 v[51:52], v[45:46], v[53:54]
	v_mul_f64 v[53:54], v[47:48], v[53:54]
	s_waitcnt vmcnt(42)
	v_fma_f64 v[101:102], v[41:42], v[55:56], -v[101:102]
	ds_read_b128 v[37:40], v4 offset:336
	v_fma_f64 v[49:50], v[43:44], v[55:56], v[49:50]
	ds_read_b128 v[41:44], v4 offset:352
	v_add_f64 v[99:100], v[99:100], 0
	v_add_f64 v[5:6], v[5:6], 0
	s_waitcnt vmcnt(36)
	v_fma_f64 v[51:52], v[47:48], v[63:64], v[51:52]
	s_waitcnt lgkmcnt(1)
	v_mul_f64 v[55:56], v[37:38], v[57:58]
	v_mul_f64 v[57:58], v[39:40], v[57:58]
	v_fma_f64 v[53:54], v[45:46], v[63:64], -v[53:54]
	ds_read_b128 v[45:48], v4 offset:368
	v_add_f64 v[99:100], v[99:100], v[101:102]
	v_add_f64 v[5:6], v[5:6], v[49:50]
	s_waitcnt vmcnt(35) lgkmcnt(1)
	v_mul_f64 v[49:50], v[41:42], v[59:60]
	v_mul_f64 v[59:60], v[43:44], v[59:60]
	s_waitcnt vmcnt(33)
	v_fma_f64 v[57:58], v[37:38], v[65:66], -v[57:58]
	v_fma_f64 v[55:56], v[39:40], v[65:66], v[55:56]
	ds_read_b128 v[37:40], v4 offset:384
	s_waitcnt vmcnt(29) lgkmcnt(1)
	v_mul_f64 v[63:64], v[47:48], v[67:68]
	v_add_f64 v[53:54], v[99:100], v[53:54]
	v_add_f64 v[5:6], v[5:6], v[51:52]
	v_mul_f64 v[51:52], v[45:46], v[67:68]
	s_waitcnt vmcnt(28)
	v_fma_f64 v[59:60], v[41:42], v[61:62], -v[59:60]
	v_fma_f64 v[49:50], v[43:44], v[61:62], v[49:50]
	ds_read_b128 v[41:44], v4 offset:400
	s_waitcnt vmcnt(25)
	v_fma_f64 v[61:62], v[45:46], v[73:74], -v[63:64]
	v_add_f64 v[53:54], v[53:54], v[57:58]
	v_add_f64 v[5:6], v[5:6], v[55:56]
	s_waitcnt lgkmcnt(1)
	v_mul_f64 v[57:58], v[39:40], v[69:70]
	v_mul_f64 v[55:56], v[37:38], v[69:70]
	v_fma_f64 v[51:52], v[47:48], v[73:74], v[51:52]
	ds_read_b128 v[45:48], v4 offset:416
	v_add_f64 v[53:54], v[53:54], v[59:60]
	v_add_f64 v[5:6], v[5:6], v[49:50]
	s_waitcnt vmcnt(21) lgkmcnt(1)
	v_mul_f64 v[59:60], v[43:44], v[75:76]
	s_waitcnt vmcnt(20)
	v_fma_f64 v[57:58], v[37:38], v[71:72], -v[57:58]
	v_mul_f64 v[49:50], v[41:42], v[75:76]
	v_fma_f64 v[55:56], v[39:40], v[71:72], v[55:56]
	ds_read_b128 v[37:40], v4 offset:432
	v_add_f64 v[53:54], v[53:54], v[61:62]
	v_add_f64 v[5:6], v[5:6], v[51:52]
	s_waitcnt vmcnt(19) lgkmcnt(1)
	v_mul_f64 v[61:62], v[47:48], v[77:78]
	s_waitcnt vmcnt(17)
	v_fma_f64 v[59:60], v[41:42], v[81:82], -v[59:60]
	;; [unrolled: 9-line block ×4, first 2 shown]
	v_mul_f64 v[49:50], v[41:42], v[85:86]
	v_fma_f64 v[39:40], v[39:40], v[89:90], v[55:56]
	s_waitcnt vmcnt(7) lgkmcnt(0)
	v_mul_f64 v[55:56], v[47:48], v[91:92]
	v_add_f64 v[53:54], v[53:54], v[61:62]
	v_add_f64 v[4:5], v[5:6], v[51:52]
	s_waitcnt vmcnt(6)
	v_fma_f64 v[41:42], v[41:42], v[87:88], -v[59:60]
	v_mul_f64 v[51:52], v[45:46], v[91:92]
	v_fma_f64 v[43:44], v[43:44], v[87:88], v[49:50]
	v_add_f64 v[37:38], v[53:54], v[37:38]
	v_add_f64 v[4:5], v[4:5], v[39:40]
	s_waitcnt vmcnt(4)
	v_fma_f64 v[39:40], v[45:46], v[93:94], -v[55:56]
	v_add_f64 v[37:38], v[37:38], v[41:42]
	v_fma_f64 v[41:42], v[47:48], v[93:94], v[51:52]
	v_add_f64 v[4:5], v[4:5], v[43:44]
	v_add_f64 v[37:38], v[37:38], v[39:40]
	;; [unrolled: 1-line block ×3, first 2 shown]
	s_waitcnt vmcnt(2)
	v_add_f64 v[37:38], v[95:96], -v[37:38]
	s_waitcnt vmcnt(0)
	v_add_f64 v[4:5], v[97:98], -v[4:5]
	buffer_store_dword v38, off, s[0:3], 0 offset:36
	buffer_store_dword v37, off, s[0:3], 0 offset:32
	;; [unrolled: 1-line block ×4, first 2 shown]
	v_cmpx_lt_u32_e32 1, v0
	s_cbranch_execz .LBB14_101
; %bb.100:
	v_mov_b32_e32 v4, s27
	s_clause 0x3
	buffer_load_dword v37, v4, s[0:3], 0 offen
	buffer_load_dword v38, v4, s[0:3], 0 offen offset:4
	buffer_load_dword v39, v4, s[0:3], 0 offen offset:8
	;; [unrolled: 1-line block ×3, first 2 shown]
	v_mov_b32_e32 v4, 0
	buffer_store_dword v4, off, s[0:3], 0 offset:16
	buffer_store_dword v4, off, s[0:3], 0 offset:20
	;; [unrolled: 1-line block ×4, first 2 shown]
	s_waitcnt vmcnt(0)
	ds_write_b128 v3, v[37:40]
.LBB14_101:
	s_or_b32 exec_lo, exec_lo, s6
	s_waitcnt lgkmcnt(0)
	s_waitcnt_vscnt null, 0x0
	s_barrier
	buffer_gl0_inv
	s_clause 0x33
	buffer_load_dword v5, off, s[0:3], 0 offset:40
	buffer_load_dword v6, off, s[0:3], 0 offset:44
	;; [unrolled: 1-line block ×52, first 2 shown]
	v_mov_b32_e32 v4, 0
	ds_read_b128 v[37:40], v4 offset:272
	ds_read_b128 v[41:44], v4 offset:288
	s_clause 0x3
	buffer_load_dword v101, off, s[0:3], 0 offset:16
	buffer_load_dword v102, off, s[0:3], 0 offset:20
	;; [unrolled: 1-line block ×4, first 2 shown]
	ds_read_b128 v[45:48], v4 offset:304
	s_mov_b32 s6, exec_lo
	s_waitcnt vmcnt(54) lgkmcnt(2)
	v_mul_f64 v[99:100], v[39:40], v[5:6]
	v_mul_f64 v[5:6], v[37:38], v[5:6]
	s_waitcnt vmcnt(52) lgkmcnt(1)
	v_mul_f64 v[105:106], v[43:44], v[49:50]
	v_mul_f64 v[49:50], v[41:42], v[49:50]
	s_waitcnt vmcnt(50)
	v_fma_f64 v[99:100], v[37:38], v[51:52], -v[99:100]
	v_fma_f64 v[5:6], v[39:40], v[51:52], v[5:6]
	ds_read_b128 v[37:40], v4 offset:320
	s_waitcnt vmcnt(48) lgkmcnt(1)
	v_mul_f64 v[51:52], v[45:46], v[53:54]
	v_mul_f64 v[53:54], v[47:48], v[53:54]
	s_waitcnt vmcnt(46)
	v_fma_f64 v[105:106], v[41:42], v[55:56], -v[105:106]
	v_fma_f64 v[49:50], v[43:44], v[55:56], v[49:50]
	ds_read_b128 v[41:44], v4 offset:336
	s_waitcnt vmcnt(42) lgkmcnt(1)
	v_mul_f64 v[55:56], v[37:38], v[57:58]
	v_add_f64 v[99:100], v[99:100], 0
	v_add_f64 v[5:6], v[5:6], 0
	v_mul_f64 v[57:58], v[39:40], v[57:58]
	s_waitcnt vmcnt(40)
	v_fma_f64 v[53:54], v[45:46], v[63:64], -v[53:54]
	v_fma_f64 v[51:52], v[47:48], v[63:64], v[51:52]
	ds_read_b128 v[45:48], v4 offset:352
	s_waitcnt vmcnt(37)
	v_fma_f64 v[55:56], v[39:40], v[65:66], v[55:56]
	v_add_f64 v[99:100], v[99:100], v[105:106]
	v_add_f64 v[5:6], v[5:6], v[49:50]
	s_waitcnt lgkmcnt(1)
	v_mul_f64 v[49:50], v[41:42], v[59:60]
	v_mul_f64 v[59:60], v[43:44], v[59:60]
	v_fma_f64 v[57:58], v[37:38], v[65:66], -v[57:58]
	s_waitcnt vmcnt(33) lgkmcnt(0)
	v_mul_f64 v[63:64], v[47:48], v[67:68]
	ds_read_b128 v[37:40], v4 offset:368
	v_add_f64 v[53:54], v[99:100], v[53:54]
	v_add_f64 v[5:6], v[5:6], v[51:52]
	v_mul_f64 v[51:52], v[45:46], v[67:68]
	s_waitcnt vmcnt(32)
	v_fma_f64 v[59:60], v[41:42], v[61:62], -v[59:60]
	v_fma_f64 v[49:50], v[43:44], v[61:62], v[49:50]
	ds_read_b128 v[41:44], v4 offset:384
	s_waitcnt vmcnt(29)
	v_fma_f64 v[61:62], v[45:46], v[73:74], -v[63:64]
	v_add_f64 v[53:54], v[53:54], v[57:58]
	v_add_f64 v[5:6], v[5:6], v[55:56]
	s_waitcnt lgkmcnt(1)
	v_mul_f64 v[57:58], v[39:40], v[69:70]
	v_mul_f64 v[55:56], v[37:38], v[69:70]
	v_fma_f64 v[51:52], v[47:48], v[73:74], v[51:52]
	ds_read_b128 v[45:48], v4 offset:400
	v_add_f64 v[53:54], v[53:54], v[59:60]
	v_add_f64 v[5:6], v[5:6], v[49:50]
	s_waitcnt vmcnt(25) lgkmcnt(1)
	v_mul_f64 v[59:60], v[43:44], v[75:76]
	s_waitcnt vmcnt(24)
	v_fma_f64 v[57:58], v[37:38], v[71:72], -v[57:58]
	v_mul_f64 v[49:50], v[41:42], v[75:76]
	v_fma_f64 v[55:56], v[39:40], v[71:72], v[55:56]
	ds_read_b128 v[37:40], v4 offset:416
	v_add_f64 v[53:54], v[53:54], v[61:62]
	v_add_f64 v[5:6], v[5:6], v[51:52]
	s_waitcnt vmcnt(23) lgkmcnt(1)
	v_mul_f64 v[61:62], v[47:48], v[77:78]
	s_waitcnt vmcnt(21)
	v_fma_f64 v[59:60], v[41:42], v[81:82], -v[59:60]
	;; [unrolled: 9-line block ×5, first 2 shown]
	v_mul_f64 v[51:52], v[45:46], v[91:92]
	v_fma_f64 v[43:44], v[43:44], v[87:88], v[49:50]
	s_waitcnt vmcnt(7) lgkmcnt(0)
	v_mul_f64 v[49:50], v[37:38], v[93:94]
	v_add_f64 v[53:54], v[53:54], v[57:58]
	v_add_f64 v[5:6], v[5:6], v[55:56]
	v_mul_f64 v[55:56], v[39:40], v[93:94]
	s_waitcnt vmcnt(5)
	v_fma_f64 v[45:46], v[45:46], v[97:98], -v[61:62]
	v_fma_f64 v[47:48], v[47:48], v[97:98], v[51:52]
	s_waitcnt vmcnt(4)
	v_fma_f64 v[39:40], v[39:40], v[95:96], v[49:50]
	v_add_f64 v[41:42], v[53:54], v[41:42]
	v_add_f64 v[5:6], v[5:6], v[43:44]
	v_fma_f64 v[37:38], v[37:38], v[95:96], -v[55:56]
	v_add_f64 v[41:42], v[41:42], v[45:46]
	v_add_f64 v[5:6], v[5:6], v[47:48]
	;; [unrolled: 1-line block ×4, first 2 shown]
	s_waitcnt vmcnt(2)
	v_add_f64 v[37:38], v[101:102], -v[37:38]
	s_waitcnt vmcnt(0)
	v_add_f64 v[5:6], v[103:104], -v[5:6]
	buffer_store_dword v38, off, s[0:3], 0 offset:20
	buffer_store_dword v37, off, s[0:3], 0 offset:16
	;; [unrolled: 1-line block ×4, first 2 shown]
	v_cmpx_ne_u32_e32 0, v0
	s_cbranch_execz .LBB14_103
; %bb.102:
	s_clause 0x3
	buffer_load_dword v37, off, s[0:3], 0
	buffer_load_dword v38, off, s[0:3], 0 offset:4
	buffer_load_dword v39, off, s[0:3], 0 offset:8
	;; [unrolled: 1-line block ×3, first 2 shown]
	buffer_store_dword v4, off, s[0:3], 0
	buffer_store_dword v4, off, s[0:3], 0 offset:4
	buffer_store_dword v4, off, s[0:3], 0 offset:8
	;; [unrolled: 1-line block ×3, first 2 shown]
	s_waitcnt vmcnt(0)
	ds_write_b128 v3, v[37:40]
.LBB14_103:
	s_or_b32 exec_lo, exec_lo, s6
	s_waitcnt lgkmcnt(0)
	s_waitcnt_vscnt null, 0x0
	s_barrier
	buffer_gl0_inv
	s_clause 0x35
	buffer_load_dword v5, off, s[0:3], 0 offset:24
	buffer_load_dword v6, off, s[0:3], 0 offset:28
	;; [unrolled: 1-line block ×54, first 2 shown]
	ds_read_b128 v[37:40], v4 offset:256
	s_clause 0x1
	buffer_load_dword v102, off, s[0:3], 0 offset:228
	buffer_load_dword v101, off, s[0:3], 0 offset:224
	ds_read_b128 v[41:44], v4 offset:272
	ds_read_b128 v[45:48], v4 offset:288
	s_and_b32 vcc_lo, exec_lo, s28
	s_waitcnt vmcnt(54) lgkmcnt(2)
	v_mul_f64 v[103:104], v[39:40], v[5:6]
	v_mul_f64 v[5:6], v[37:38], v[5:6]
	s_waitcnt vmcnt(52) lgkmcnt(1)
	v_mul_f64 v[105:106], v[43:44], v[49:50]
	v_mul_f64 v[49:50], v[41:42], v[49:50]
	;; [unrolled: 3-line block ×3, first 2 shown]
	v_fma_f64 v[103:104], v[37:38], v[51:52], -v[103:104]
	v_fma_f64 v[5:6], v[39:40], v[51:52], v[5:6]
	s_clause 0x3
	buffer_load_dword v51, off, s[0:3], 0
	buffer_load_dword v52, off, s[0:3], 0 offset:4
	buffer_load_dword v107, off, s[0:3], 0 offset:8
	;; [unrolled: 1-line block ×3, first 2 shown]
	s_waitcnt vmcnt(50)
	v_fma_f64 v[105:106], v[41:42], v[55:56], -v[105:106]
	ds_read_b128 v[37:40], v4 offset:304
	v_fma_f64 v[49:50], v[43:44], v[55:56], v[49:50]
	ds_read_b128 v[41:44], v4 offset:320
	s_waitcnt vmcnt(44)
	v_fma_f64 v[53:54], v[45:46], v[63:64], -v[53:54]
	v_fma_f64 v[63:64], v[47:48], v[63:64], v[109:110]
	ds_read_b128 v[45:48], v4 offset:336
	v_add_f64 v[103:104], v[103:104], 0
	v_add_f64 v[5:6], v[5:6], 0
	s_waitcnt lgkmcnt(2)
	v_mul_f64 v[55:56], v[37:38], v[57:58]
	v_mul_f64 v[57:58], v[39:40], v[57:58]
	v_add_f64 v[103:104], v[103:104], v[105:106]
	v_add_f64 v[5:6], v[5:6], v[49:50]
	s_waitcnt vmcnt(43) lgkmcnt(1)
	v_mul_f64 v[49:50], v[41:42], v[59:60]
	v_mul_f64 v[59:60], v[43:44], v[59:60]
	s_waitcnt vmcnt(41)
	v_fma_f64 v[57:58], v[37:38], v[65:66], -v[57:58]
	v_fma_f64 v[55:56], v[39:40], v[65:66], v[55:56]
	ds_read_b128 v[37:40], v4 offset:352
	s_waitcnt vmcnt(37) lgkmcnt(1)
	v_mul_f64 v[65:66], v[47:48], v[67:68]
	v_add_f64 v[53:54], v[103:104], v[53:54]
	v_add_f64 v[5:6], v[5:6], v[63:64]
	v_mul_f64 v[63:64], v[45:46], v[67:68]
	s_waitcnt vmcnt(36)
	v_fma_f64 v[59:60], v[41:42], v[61:62], -v[59:60]
	v_fma_f64 v[49:50], v[43:44], v[61:62], v[49:50]
	ds_read_b128 v[41:44], v4 offset:368
	s_waitcnt vmcnt(33)
	v_fma_f64 v[61:62], v[45:46], v[73:74], -v[65:66]
	v_add_f64 v[53:54], v[53:54], v[57:58]
	v_add_f64 v[5:6], v[5:6], v[55:56]
	s_waitcnt lgkmcnt(1)
	v_mul_f64 v[57:58], v[39:40], v[69:70]
	v_mul_f64 v[55:56], v[37:38], v[69:70]
	v_add_f64 v[53:54], v[53:54], v[59:60]
	v_fma_f64 v[59:60], v[47:48], v[73:74], v[63:64]
	v_add_f64 v[5:6], v[5:6], v[49:50]
	ds_read_b128 v[45:48], v4 offset:384
	s_waitcnt vmcnt(29) lgkmcnt(1)
	v_mul_f64 v[63:64], v[43:44], v[75:76]
	s_waitcnt vmcnt(28)
	v_fma_f64 v[57:58], v[37:38], v[71:72], -v[57:58]
	v_mul_f64 v[49:50], v[41:42], v[75:76]
	v_fma_f64 v[55:56], v[39:40], v[71:72], v[55:56]
	ds_read_b128 v[37:40], v4 offset:400
	v_add_f64 v[53:54], v[53:54], v[61:62]
	s_waitcnt vmcnt(27) lgkmcnt(1)
	v_mul_f64 v[61:62], v[47:48], v[77:78]
	v_add_f64 v[5:6], v[5:6], v[59:60]
	v_mul_f64 v[59:60], v[45:46], v[77:78]
	s_waitcnt vmcnt(25)
	v_fma_f64 v[63:64], v[41:42], v[81:82], -v[63:64]
	v_fma_f64 v[49:50], v[43:44], v[81:82], v[49:50]
	ds_read_b128 v[41:44], v4 offset:416
	v_add_f64 v[53:54], v[53:54], v[57:58]
	s_waitcnt vmcnt(21) lgkmcnt(1)
	v_mul_f64 v[57:58], v[39:40], v[83:84]
	v_add_f64 v[5:6], v[5:6], v[55:56]
	s_waitcnt vmcnt(20)
	v_fma_f64 v[61:62], v[45:46], v[79:80], -v[61:62]
	v_mul_f64 v[55:56], v[37:38], v[83:84]
	v_fma_f64 v[59:60], v[47:48], v[79:80], v[59:60]
	ds_read_b128 v[45:48], v4 offset:432
	v_add_f64 v[53:54], v[53:54], v[63:64]
	s_waitcnt vmcnt(19) lgkmcnt(1)
	v_mul_f64 v[63:64], v[43:44], v[85:86]
	v_add_f64 v[5:6], v[5:6], v[49:50]
	s_waitcnt vmcnt(17)
	v_fma_f64 v[57:58], v[37:38], v[89:90], -v[57:58]
	v_mul_f64 v[49:50], v[41:42], v[85:86]
	v_fma_f64 v[55:56], v[39:40], v[89:90], v[55:56]
	ds_read_b128 v[37:40], v4 offset:448
	v_add_f64 v[53:54], v[53:54], v[61:62]
	s_waitcnt vmcnt(13) lgkmcnt(1)
	v_mul_f64 v[61:62], v[47:48], v[91:92]
	v_add_f64 v[5:6], v[5:6], v[59:60]
	s_waitcnt vmcnt(12)
	v_fma_f64 v[41:42], v[41:42], v[87:88], -v[63:64]
	v_mul_f64 v[59:60], v[45:46], v[91:92]
	v_fma_f64 v[43:44], v[43:44], v[87:88], v[49:50]
	v_add_f64 v[53:54], v[53:54], v[57:58]
	s_waitcnt vmcnt(11) lgkmcnt(0)
	v_mul_f64 v[57:58], v[39:40], v[93:94]
	v_add_f64 v[49:50], v[5:6], v[55:56]
	s_waitcnt vmcnt(9)
	v_fma_f64 v[45:46], v[45:46], v[97:98], -v[61:62]
	ds_read_b128 v[3:6], v4 offset:464
	v_mul_f64 v[55:56], v[37:38], v[93:94]
	v_fma_f64 v[47:48], v[47:48], v[97:98], v[59:60]
	v_add_f64 v[41:42], v[53:54], v[41:42]
	s_waitcnt vmcnt(6)
	v_fma_f64 v[37:38], v[37:38], v[95:96], -v[57:58]
	v_add_f64 v[43:44], v[49:50], v[43:44]
	s_waitcnt lgkmcnt(0)
	v_mul_f64 v[53:54], v[5:6], v[99:100]
	v_mul_f64 v[49:50], v[3:4], v[99:100]
	v_fma_f64 v[39:40], v[39:40], v[95:96], v[55:56]
	v_add_f64 v[41:42], v[41:42], v[45:46]
	v_add_f64 v[43:44], v[43:44], v[47:48]
	s_waitcnt vmcnt(4)
	v_fma_f64 v[3:4], v[3:4], v[101:102], -v[53:54]
	v_fma_f64 v[5:6], v[5:6], v[101:102], v[49:50]
	v_add_f64 v[37:38], v[41:42], v[37:38]
	v_add_f64 v[39:40], v[43:44], v[39:40]
	;; [unrolled: 1-line block ×4, first 2 shown]
	s_waitcnt vmcnt(2)
	v_add_f64 v[3:4], v[51:52], -v[3:4]
	s_waitcnt vmcnt(0)
	v_add_f64 v[5:6], v[107:108], -v[5:6]
	buffer_store_dword v4, off, s[0:3], 0 offset:4
	buffer_store_dword v3, off, s[0:3], 0
	buffer_store_dword v6, off, s[0:3], 0 offset:12
	buffer_store_dword v5, off, s[0:3], 0 offset:8
	s_cbranch_vccz .LBB14_132
; %bb.104:
	v_mov_b32_e32 v3, 0
	s_load_dwordx2 s[4:5], s[4:5], 0x4
	global_load_dword v4, v3, s[10:11] offset:52
	s_waitcnt lgkmcnt(0)
	s_lshr_b32 s4, s4, 16
	v_mul_u32_u24_e32 v5, s5, v1
	s_mul_i32 s4, s4, s5
	v_mul_u32_u24_e32 v0, s4, v0
	v_add3_u32 v0, v0, v5, v2
	v_lshl_add_u32 v0, v0, 4, 0x1e8
	s_waitcnt vmcnt(0)
	v_add_nc_u32_e32 v1, -1, v4
	v_cmp_ne_u32_e32 vcc_lo, 13, v1
	s_cbranch_vccz .LBB14_106
; %bb.105:
	v_lshlrev_b32_e32 v1, 4, v1
	v_mov_b32_e32 v6, s13
	v_mov_b32_e32 v37, v1
	s_clause 0x7
	buffer_load_dword v1, v6, s[0:3], 0 offen
	buffer_load_dword v2, v6, s[0:3], 0 offen offset:4
	buffer_load_dword v4, v6, s[0:3], 0 offen offset:8
	;; [unrolled: 1-line block ×3, first 2 shown]
	buffer_load_dword v38, v37, s[0:3], 0 offen
	buffer_load_dword v39, v37, s[0:3], 0 offen offset:4
	buffer_load_dword v40, v37, s[0:3], 0 offen offset:8
	;; [unrolled: 1-line block ×3, first 2 shown]
	s_waitcnt vmcnt(4)
	ds_write2_b64 v0, v[1:2], v[4:5] offset1:1
	s_waitcnt vmcnt(3)
	buffer_store_dword v38, v6, s[0:3], 0 offen
	s_waitcnt vmcnt(2)
	buffer_store_dword v39, v6, s[0:3], 0 offen offset:4
	s_waitcnt vmcnt(1)
	buffer_store_dword v40, v6, s[0:3], 0 offen offset:8
	s_waitcnt vmcnt(0)
	buffer_store_dword v41, v6, s[0:3], 0 offen offset:12
	buffer_store_dword v5, v37, s[0:3], 0 offen offset:12
	buffer_store_dword v4, v37, s[0:3], 0 offen offset:8
	;; [unrolled: 1-line block ×3, first 2 shown]
	buffer_store_dword v1, v37, s[0:3], 0 offen
.LBB14_106:
	global_load_dword v1, v3, s[10:11] offset:48
	s_waitcnt vmcnt(0)
	v_add_nc_u32_e32 v1, -1, v1
	v_cmp_eq_u32_e32 vcc_lo, 12, v1
	s_cbranch_vccnz .LBB14_108
; %bb.107:
	v_lshlrev_b32_e32 v1, 4, v1
	v_mov_b32_e32 v5, s16
	v_mov_b32_e32 v6, v1
	s_clause 0x7
	buffer_load_dword v1, v5, s[0:3], 0 offen
	buffer_load_dword v2, v5, s[0:3], 0 offen offset:4
	buffer_load_dword v3, v5, s[0:3], 0 offen offset:8
	;; [unrolled: 1-line block ×3, first 2 shown]
	buffer_load_dword v37, v6, s[0:3], 0 offen
	buffer_load_dword v38, v6, s[0:3], 0 offen offset:4
	buffer_load_dword v39, v6, s[0:3], 0 offen offset:8
	;; [unrolled: 1-line block ×3, first 2 shown]
	s_waitcnt vmcnt(4)
	ds_write2_b64 v0, v[1:2], v[3:4] offset1:1
	s_waitcnt vmcnt(3)
	buffer_store_dword v37, v5, s[0:3], 0 offen
	s_waitcnt vmcnt(2)
	buffer_store_dword v38, v5, s[0:3], 0 offen offset:4
	s_waitcnt vmcnt(1)
	buffer_store_dword v39, v5, s[0:3], 0 offen offset:8
	;; [unrolled: 2-line block ×3, first 2 shown]
	buffer_store_dword v4, v6, s[0:3], 0 offen offset:12
	buffer_store_dword v3, v6, s[0:3], 0 offen offset:8
	;; [unrolled: 1-line block ×3, first 2 shown]
	buffer_store_dword v1, v6, s[0:3], 0 offen
.LBB14_108:
	v_mov_b32_e32 v1, 0
	global_load_dword v2, v1, s[10:11] offset:44
	s_waitcnt vmcnt(0)
	v_add_nc_u32_e32 v2, -1, v2
	v_cmp_eq_u32_e32 vcc_lo, 11, v2
	s_cbranch_vccnz .LBB14_110
; %bb.109:
	v_lshlrev_b32_e32 v2, 4, v2
	v_mov_b32_e32 v6, s17
	v_mov_b32_e32 v37, v2
	s_clause 0x7
	buffer_load_dword v2, v6, s[0:3], 0 offen
	buffer_load_dword v3, v6, s[0:3], 0 offen offset:4
	buffer_load_dword v4, v6, s[0:3], 0 offen offset:8
	buffer_load_dword v5, v6, s[0:3], 0 offen offset:12
	buffer_load_dword v38, v37, s[0:3], 0 offen
	buffer_load_dword v39, v37, s[0:3], 0 offen offset:4
	buffer_load_dword v40, v37, s[0:3], 0 offen offset:8
	;; [unrolled: 1-line block ×3, first 2 shown]
	s_waitcnt vmcnt(4)
	ds_write2_b64 v0, v[2:3], v[4:5] offset1:1
	s_waitcnt vmcnt(3)
	buffer_store_dword v38, v6, s[0:3], 0 offen
	s_waitcnt vmcnt(2)
	buffer_store_dword v39, v6, s[0:3], 0 offen offset:4
	s_waitcnt vmcnt(1)
	buffer_store_dword v40, v6, s[0:3], 0 offen offset:8
	;; [unrolled: 2-line block ×3, first 2 shown]
	buffer_store_dword v5, v37, s[0:3], 0 offen offset:12
	buffer_store_dword v4, v37, s[0:3], 0 offen offset:8
	;; [unrolled: 1-line block ×3, first 2 shown]
	buffer_store_dword v2, v37, s[0:3], 0 offen
.LBB14_110:
	global_load_dword v1, v1, s[10:11] offset:40
	s_waitcnt vmcnt(0)
	v_add_nc_u32_e32 v1, -1, v1
	v_cmp_eq_u32_e32 vcc_lo, 10, v1
	s_cbranch_vccnz .LBB14_112
; %bb.111:
	v_lshlrev_b32_e32 v1, 4, v1
	v_mov_b32_e32 v5, s18
	v_mov_b32_e32 v6, v1
	s_clause 0x7
	buffer_load_dword v1, v5, s[0:3], 0 offen
	buffer_load_dword v2, v5, s[0:3], 0 offen offset:4
	buffer_load_dword v3, v5, s[0:3], 0 offen offset:8
	buffer_load_dword v4, v5, s[0:3], 0 offen offset:12
	buffer_load_dword v37, v6, s[0:3], 0 offen
	buffer_load_dword v38, v6, s[0:3], 0 offen offset:4
	buffer_load_dword v39, v6, s[0:3], 0 offen offset:8
	;; [unrolled: 1-line block ×3, first 2 shown]
	s_waitcnt vmcnt(4)
	ds_write2_b64 v0, v[1:2], v[3:4] offset1:1
	s_waitcnt vmcnt(3)
	buffer_store_dword v37, v5, s[0:3], 0 offen
	s_waitcnt vmcnt(2)
	buffer_store_dword v38, v5, s[0:3], 0 offen offset:4
	s_waitcnt vmcnt(1)
	buffer_store_dword v39, v5, s[0:3], 0 offen offset:8
	;; [unrolled: 2-line block ×3, first 2 shown]
	buffer_store_dword v4, v6, s[0:3], 0 offen offset:12
	buffer_store_dword v3, v6, s[0:3], 0 offen offset:8
	buffer_store_dword v2, v6, s[0:3], 0 offen offset:4
	buffer_store_dword v1, v6, s[0:3], 0 offen
.LBB14_112:
	v_mov_b32_e32 v1, 0
	global_load_dword v2, v1, s[10:11] offset:36
	s_waitcnt vmcnt(0)
	v_add_nc_u32_e32 v2, -1, v2
	v_cmp_eq_u32_e32 vcc_lo, 9, v2
	s_cbranch_vccnz .LBB14_114
; %bb.113:
	v_lshlrev_b32_e32 v2, 4, v2
	v_mov_b32_e32 v6, s19
	v_mov_b32_e32 v37, v2
	s_clause 0x7
	buffer_load_dword v2, v6, s[0:3], 0 offen
	buffer_load_dword v3, v6, s[0:3], 0 offen offset:4
	buffer_load_dword v4, v6, s[0:3], 0 offen offset:8
	;; [unrolled: 1-line block ×3, first 2 shown]
	buffer_load_dword v38, v37, s[0:3], 0 offen
	buffer_load_dword v39, v37, s[0:3], 0 offen offset:4
	buffer_load_dword v40, v37, s[0:3], 0 offen offset:8
	;; [unrolled: 1-line block ×3, first 2 shown]
	s_waitcnt vmcnt(4)
	ds_write2_b64 v0, v[2:3], v[4:5] offset1:1
	s_waitcnt vmcnt(3)
	buffer_store_dword v38, v6, s[0:3], 0 offen
	s_waitcnt vmcnt(2)
	buffer_store_dword v39, v6, s[0:3], 0 offen offset:4
	s_waitcnt vmcnt(1)
	buffer_store_dword v40, v6, s[0:3], 0 offen offset:8
	;; [unrolled: 2-line block ×3, first 2 shown]
	buffer_store_dword v5, v37, s[0:3], 0 offen offset:12
	buffer_store_dword v4, v37, s[0:3], 0 offen offset:8
	;; [unrolled: 1-line block ×3, first 2 shown]
	buffer_store_dword v2, v37, s[0:3], 0 offen
.LBB14_114:
	global_load_dword v1, v1, s[10:11] offset:32
	s_waitcnt vmcnt(0)
	v_add_nc_u32_e32 v1, -1, v1
	v_cmp_eq_u32_e32 vcc_lo, 8, v1
	s_cbranch_vccnz .LBB14_116
; %bb.115:
	v_lshlrev_b32_e32 v1, 4, v1
	v_mov_b32_e32 v5, s20
	v_mov_b32_e32 v6, v1
	s_clause 0x7
	buffer_load_dword v1, v5, s[0:3], 0 offen
	buffer_load_dword v2, v5, s[0:3], 0 offen offset:4
	buffer_load_dword v3, v5, s[0:3], 0 offen offset:8
	;; [unrolled: 1-line block ×3, first 2 shown]
	buffer_load_dword v37, v6, s[0:3], 0 offen
	buffer_load_dword v38, v6, s[0:3], 0 offen offset:4
	buffer_load_dword v39, v6, s[0:3], 0 offen offset:8
	;; [unrolled: 1-line block ×3, first 2 shown]
	s_waitcnt vmcnt(4)
	ds_write2_b64 v0, v[1:2], v[3:4] offset1:1
	s_waitcnt vmcnt(3)
	buffer_store_dword v37, v5, s[0:3], 0 offen
	s_waitcnt vmcnt(2)
	buffer_store_dword v38, v5, s[0:3], 0 offen offset:4
	s_waitcnt vmcnt(1)
	buffer_store_dword v39, v5, s[0:3], 0 offen offset:8
	;; [unrolled: 2-line block ×3, first 2 shown]
	buffer_store_dword v4, v6, s[0:3], 0 offen offset:12
	buffer_store_dword v3, v6, s[0:3], 0 offen offset:8
	;; [unrolled: 1-line block ×3, first 2 shown]
	buffer_store_dword v1, v6, s[0:3], 0 offen
.LBB14_116:
	v_mov_b32_e32 v1, 0
	global_load_dword v2, v1, s[10:11] offset:28
	s_waitcnt vmcnt(0)
	v_add_nc_u32_e32 v2, -1, v2
	v_cmp_eq_u32_e32 vcc_lo, 7, v2
	s_cbranch_vccnz .LBB14_118
; %bb.117:
	v_lshlrev_b32_e32 v2, 4, v2
	v_mov_b32_e32 v6, s21
	v_mov_b32_e32 v37, v2
	s_clause 0x7
	buffer_load_dword v2, v6, s[0:3], 0 offen
	buffer_load_dword v3, v6, s[0:3], 0 offen offset:4
	buffer_load_dword v4, v6, s[0:3], 0 offen offset:8
	;; [unrolled: 1-line block ×3, first 2 shown]
	buffer_load_dword v38, v37, s[0:3], 0 offen
	buffer_load_dword v39, v37, s[0:3], 0 offen offset:4
	buffer_load_dword v40, v37, s[0:3], 0 offen offset:8
	;; [unrolled: 1-line block ×3, first 2 shown]
	s_waitcnt vmcnt(4)
	ds_write2_b64 v0, v[2:3], v[4:5] offset1:1
	s_waitcnt vmcnt(3)
	buffer_store_dword v38, v6, s[0:3], 0 offen
	s_waitcnt vmcnt(2)
	buffer_store_dword v39, v6, s[0:3], 0 offen offset:4
	s_waitcnt vmcnt(1)
	buffer_store_dword v40, v6, s[0:3], 0 offen offset:8
	;; [unrolled: 2-line block ×3, first 2 shown]
	buffer_store_dword v5, v37, s[0:3], 0 offen offset:12
	buffer_store_dword v4, v37, s[0:3], 0 offen offset:8
	;; [unrolled: 1-line block ×3, first 2 shown]
	buffer_store_dword v2, v37, s[0:3], 0 offen
.LBB14_118:
	global_load_dword v1, v1, s[10:11] offset:24
	s_waitcnt vmcnt(0)
	v_add_nc_u32_e32 v1, -1, v1
	v_cmp_eq_u32_e32 vcc_lo, 6, v1
	s_cbranch_vccnz .LBB14_120
; %bb.119:
	v_lshlrev_b32_e32 v1, 4, v1
	v_mov_b32_e32 v5, s22
	v_mov_b32_e32 v6, v1
	s_clause 0x7
	buffer_load_dword v1, v5, s[0:3], 0 offen
	buffer_load_dword v2, v5, s[0:3], 0 offen offset:4
	buffer_load_dword v3, v5, s[0:3], 0 offen offset:8
	;; [unrolled: 1-line block ×3, first 2 shown]
	buffer_load_dword v37, v6, s[0:3], 0 offen
	buffer_load_dword v38, v6, s[0:3], 0 offen offset:4
	buffer_load_dword v39, v6, s[0:3], 0 offen offset:8
	;; [unrolled: 1-line block ×3, first 2 shown]
	s_waitcnt vmcnt(4)
	ds_write2_b64 v0, v[1:2], v[3:4] offset1:1
	s_waitcnt vmcnt(3)
	buffer_store_dword v37, v5, s[0:3], 0 offen
	s_waitcnt vmcnt(2)
	buffer_store_dword v38, v5, s[0:3], 0 offen offset:4
	s_waitcnt vmcnt(1)
	buffer_store_dword v39, v5, s[0:3], 0 offen offset:8
	;; [unrolled: 2-line block ×3, first 2 shown]
	buffer_store_dword v4, v6, s[0:3], 0 offen offset:12
	buffer_store_dword v3, v6, s[0:3], 0 offen offset:8
	;; [unrolled: 1-line block ×3, first 2 shown]
	buffer_store_dword v1, v6, s[0:3], 0 offen
.LBB14_120:
	v_mov_b32_e32 v1, 0
	global_load_dword v2, v1, s[10:11] offset:20
	s_waitcnt vmcnt(0)
	v_add_nc_u32_e32 v2, -1, v2
	v_cmp_eq_u32_e32 vcc_lo, 5, v2
	s_cbranch_vccnz .LBB14_122
; %bb.121:
	v_lshlrev_b32_e32 v2, 4, v2
	v_mov_b32_e32 v6, s23
	v_mov_b32_e32 v37, v2
	s_clause 0x7
	buffer_load_dword v2, v6, s[0:3], 0 offen
	buffer_load_dword v3, v6, s[0:3], 0 offen offset:4
	buffer_load_dword v4, v6, s[0:3], 0 offen offset:8
	;; [unrolled: 1-line block ×3, first 2 shown]
	buffer_load_dword v38, v37, s[0:3], 0 offen
	buffer_load_dword v39, v37, s[0:3], 0 offen offset:4
	buffer_load_dword v40, v37, s[0:3], 0 offen offset:8
	;; [unrolled: 1-line block ×3, first 2 shown]
	s_waitcnt vmcnt(4)
	ds_write2_b64 v0, v[2:3], v[4:5] offset1:1
	s_waitcnt vmcnt(3)
	buffer_store_dword v38, v6, s[0:3], 0 offen
	s_waitcnt vmcnt(2)
	buffer_store_dword v39, v6, s[0:3], 0 offen offset:4
	s_waitcnt vmcnt(1)
	buffer_store_dword v40, v6, s[0:3], 0 offen offset:8
	s_waitcnt vmcnt(0)
	buffer_store_dword v41, v6, s[0:3], 0 offen offset:12
	buffer_store_dword v5, v37, s[0:3], 0 offen offset:12
	buffer_store_dword v4, v37, s[0:3], 0 offen offset:8
	;; [unrolled: 1-line block ×3, first 2 shown]
	buffer_store_dword v2, v37, s[0:3], 0 offen
.LBB14_122:
	global_load_dword v1, v1, s[10:11] offset:16
	s_waitcnt vmcnt(0)
	v_add_nc_u32_e32 v1, -1, v1
	v_cmp_eq_u32_e32 vcc_lo, 4, v1
	s_cbranch_vccnz .LBB14_124
; %bb.123:
	v_lshlrev_b32_e32 v1, 4, v1
	v_mov_b32_e32 v5, s24
	v_mov_b32_e32 v6, v1
	s_clause 0x7
	buffer_load_dword v1, v5, s[0:3], 0 offen
	buffer_load_dword v2, v5, s[0:3], 0 offen offset:4
	buffer_load_dword v3, v5, s[0:3], 0 offen offset:8
	;; [unrolled: 1-line block ×3, first 2 shown]
	buffer_load_dword v37, v6, s[0:3], 0 offen
	buffer_load_dword v38, v6, s[0:3], 0 offen offset:4
	buffer_load_dword v39, v6, s[0:3], 0 offen offset:8
	buffer_load_dword v40, v6, s[0:3], 0 offen offset:12
	s_waitcnt vmcnt(4)
	ds_write2_b64 v0, v[1:2], v[3:4] offset1:1
	s_waitcnt vmcnt(3)
	buffer_store_dword v37, v5, s[0:3], 0 offen
	s_waitcnt vmcnt(2)
	buffer_store_dword v38, v5, s[0:3], 0 offen offset:4
	s_waitcnt vmcnt(1)
	buffer_store_dword v39, v5, s[0:3], 0 offen offset:8
	s_waitcnt vmcnt(0)
	buffer_store_dword v40, v5, s[0:3], 0 offen offset:12
	buffer_store_dword v4, v6, s[0:3], 0 offen offset:12
	buffer_store_dword v3, v6, s[0:3], 0 offen offset:8
	;; [unrolled: 1-line block ×3, first 2 shown]
	buffer_store_dword v1, v6, s[0:3], 0 offen
.LBB14_124:
	v_mov_b32_e32 v1, 0
	global_load_dword v2, v1, s[10:11] offset:12
	s_waitcnt vmcnt(0)
	v_add_nc_u32_e32 v2, -1, v2
	v_cmp_eq_u32_e32 vcc_lo, 3, v2
	s_cbranch_vccnz .LBB14_126
; %bb.125:
	v_lshlrev_b32_e32 v2, 4, v2
	v_mov_b32_e32 v6, s25
	v_mov_b32_e32 v37, v2
	s_clause 0x7
	buffer_load_dword v2, v6, s[0:3], 0 offen
	buffer_load_dword v3, v6, s[0:3], 0 offen offset:4
	buffer_load_dword v4, v6, s[0:3], 0 offen offset:8
	;; [unrolled: 1-line block ×3, first 2 shown]
	buffer_load_dword v38, v37, s[0:3], 0 offen
	buffer_load_dword v39, v37, s[0:3], 0 offen offset:4
	buffer_load_dword v40, v37, s[0:3], 0 offen offset:8
	;; [unrolled: 1-line block ×3, first 2 shown]
	s_waitcnt vmcnt(4)
	ds_write2_b64 v0, v[2:3], v[4:5] offset1:1
	s_waitcnt vmcnt(3)
	buffer_store_dword v38, v6, s[0:3], 0 offen
	s_waitcnt vmcnt(2)
	buffer_store_dword v39, v6, s[0:3], 0 offen offset:4
	s_waitcnt vmcnt(1)
	buffer_store_dword v40, v6, s[0:3], 0 offen offset:8
	;; [unrolled: 2-line block ×3, first 2 shown]
	buffer_store_dword v5, v37, s[0:3], 0 offen offset:12
	buffer_store_dword v4, v37, s[0:3], 0 offen offset:8
	;; [unrolled: 1-line block ×3, first 2 shown]
	buffer_store_dword v2, v37, s[0:3], 0 offen
.LBB14_126:
	global_load_dword v1, v1, s[10:11] offset:8
	s_waitcnt vmcnt(0)
	v_add_nc_u32_e32 v1, -1, v1
	v_cmp_eq_u32_e32 vcc_lo, 2, v1
	s_cbranch_vccnz .LBB14_128
; %bb.127:
	v_lshlrev_b32_e32 v1, 4, v1
	v_mov_b32_e32 v5, s26
	v_mov_b32_e32 v6, v1
	s_clause 0x7
	buffer_load_dword v1, v5, s[0:3], 0 offen
	buffer_load_dword v2, v5, s[0:3], 0 offen offset:4
	buffer_load_dword v3, v5, s[0:3], 0 offen offset:8
	;; [unrolled: 1-line block ×3, first 2 shown]
	buffer_load_dword v37, v6, s[0:3], 0 offen
	buffer_load_dword v38, v6, s[0:3], 0 offen offset:4
	buffer_load_dword v39, v6, s[0:3], 0 offen offset:8
	;; [unrolled: 1-line block ×3, first 2 shown]
	s_waitcnt vmcnt(4)
	ds_write2_b64 v0, v[1:2], v[3:4] offset1:1
	s_waitcnt vmcnt(3)
	buffer_store_dword v37, v5, s[0:3], 0 offen
	s_waitcnt vmcnt(2)
	buffer_store_dword v38, v5, s[0:3], 0 offen offset:4
	s_waitcnt vmcnt(1)
	buffer_store_dword v39, v5, s[0:3], 0 offen offset:8
	;; [unrolled: 2-line block ×3, first 2 shown]
	buffer_store_dword v4, v6, s[0:3], 0 offen offset:12
	buffer_store_dword v3, v6, s[0:3], 0 offen offset:8
	;; [unrolled: 1-line block ×3, first 2 shown]
	buffer_store_dword v1, v6, s[0:3], 0 offen
.LBB14_128:
	v_mov_b32_e32 v1, 0
	global_load_dword v2, v1, s[10:11] offset:4
	s_waitcnt vmcnt(0)
	v_add_nc_u32_e32 v2, -1, v2
	v_cmp_eq_u32_e32 vcc_lo, 1, v2
	s_cbranch_vccnz .LBB14_130
; %bb.129:
	v_lshlrev_b32_e32 v2, 4, v2
	v_mov_b32_e32 v6, s27
	v_mov_b32_e32 v37, v2
	s_clause 0x7
	buffer_load_dword v2, v6, s[0:3], 0 offen
	buffer_load_dword v3, v6, s[0:3], 0 offen offset:4
	buffer_load_dword v4, v6, s[0:3], 0 offen offset:8
	;; [unrolled: 1-line block ×3, first 2 shown]
	buffer_load_dword v38, v37, s[0:3], 0 offen
	buffer_load_dword v39, v37, s[0:3], 0 offen offset:4
	buffer_load_dword v40, v37, s[0:3], 0 offen offset:8
	;; [unrolled: 1-line block ×3, first 2 shown]
	s_waitcnt vmcnt(4)
	ds_write2_b64 v0, v[2:3], v[4:5] offset1:1
	s_waitcnt vmcnt(3)
	buffer_store_dword v38, v6, s[0:3], 0 offen
	s_waitcnt vmcnt(2)
	buffer_store_dword v39, v6, s[0:3], 0 offen offset:4
	s_waitcnt vmcnt(1)
	buffer_store_dword v40, v6, s[0:3], 0 offen offset:8
	;; [unrolled: 2-line block ×3, first 2 shown]
	buffer_store_dword v5, v37, s[0:3], 0 offen offset:12
	buffer_store_dword v4, v37, s[0:3], 0 offen offset:8
	;; [unrolled: 1-line block ×3, first 2 shown]
	buffer_store_dword v2, v37, s[0:3], 0 offen
.LBB14_130:
	global_load_dword v1, v1, s[10:11]
	s_waitcnt vmcnt(0)
	v_add_nc_u32_e32 v1, -1, v1
	v_cmp_eq_u32_e32 vcc_lo, 0, v1
	s_cbranch_vccnz .LBB14_132
; %bb.131:
	v_lshlrev_b32_e32 v1, 4, v1
	v_mov_b32_e32 v5, v1
	s_clause 0x7
	buffer_load_dword v1, off, s[0:3], 0
	buffer_load_dword v2, off, s[0:3], 0 offset:4
	buffer_load_dword v3, off, s[0:3], 0 offset:8
	;; [unrolled: 1-line block ×3, first 2 shown]
	buffer_load_dword v6, v5, s[0:3], 0 offen
	buffer_load_dword v37, v5, s[0:3], 0 offen offset:4
	buffer_load_dword v38, v5, s[0:3], 0 offen offset:8
	;; [unrolled: 1-line block ×3, first 2 shown]
	s_waitcnt vmcnt(4)
	ds_write2_b64 v0, v[1:2], v[3:4] offset1:1
	s_waitcnt vmcnt(3)
	buffer_store_dword v6, off, s[0:3], 0
	s_waitcnt vmcnt(2)
	buffer_store_dword v37, off, s[0:3], 0 offset:4
	s_waitcnt vmcnt(1)
	buffer_store_dword v38, off, s[0:3], 0 offset:8
	;; [unrolled: 2-line block ×3, first 2 shown]
	buffer_store_dword v4, v5, s[0:3], 0 offen offset:12
	buffer_store_dword v3, v5, s[0:3], 0 offen offset:8
	;; [unrolled: 1-line block ×3, first 2 shown]
	buffer_store_dword v1, v5, s[0:3], 0 offen
.LBB14_132:
	v_mov_b32_e32 v5, s26
	v_mov_b32_e32 v6, s24
	v_mov_b32_e32 v4, s27
	s_clause 0x7
	buffer_load_dword v0, off, s[0:3], 0
	buffer_load_dword v1, off, s[0:3], 0 offset:4
	buffer_load_dword v2, off, s[0:3], 0 offset:8
	;; [unrolled: 1-line block ×3, first 2 shown]
	buffer_load_dword v37, v4, s[0:3], 0 offen
	buffer_load_dword v38, v4, s[0:3], 0 offen offset:4
	buffer_load_dword v39, v4, s[0:3], 0 offen offset:8
	;; [unrolled: 1-line block ×3, first 2 shown]
	v_mov_b32_e32 v4, s25
	s_clause 0x7
	buffer_load_dword v41, v5, s[0:3], 0 offen
	buffer_load_dword v42, v5, s[0:3], 0 offen offset:4
	buffer_load_dword v43, v5, s[0:3], 0 offen offset:8
	buffer_load_dword v44, v5, s[0:3], 0 offen offset:12
	buffer_load_dword v45, v4, s[0:3], 0 offen
	buffer_load_dword v46, v4, s[0:3], 0 offen offset:4
	buffer_load_dword v47, v4, s[0:3], 0 offen offset:8
	buffer_load_dword v48, v4, s[0:3], 0 offen offset:12
	v_mov_b32_e32 v4, s23
	v_mov_b32_e32 v5, s22
	s_clause 0x7
	buffer_load_dword v49, v6, s[0:3], 0 offen
	buffer_load_dword v50, v6, s[0:3], 0 offen offset:4
	buffer_load_dword v51, v6, s[0:3], 0 offen offset:8
	buffer_load_dword v52, v6, s[0:3], 0 offen offset:12
	buffer_load_dword v53, v4, s[0:3], 0 offen
	buffer_load_dword v54, v4, s[0:3], 0 offen offset:4
	buffer_load_dword v55, v4, s[0:3], 0 offen offset:8
	buffer_load_dword v56, v4, s[0:3], 0 offen offset:12
	v_mov_b32_e32 v6, s20
	;; [unrolled: 11-line block ×5, first 2 shown]
	v_mov_b32_e32 v5, s12
	s_clause 0xb
	buffer_load_dword v81, v6, s[0:3], 0 offen
	buffer_load_dword v82, v6, s[0:3], 0 offen offset:4
	buffer_load_dword v83, v6, s[0:3], 0 offen offset:8
	buffer_load_dword v84, v6, s[0:3], 0 offen offset:12
	buffer_load_dword v85, v4, s[0:3], 0 offen
	buffer_load_dword v86, v4, s[0:3], 0 offen offset:4
	buffer_load_dword v87, v4, s[0:3], 0 offen offset:8
	buffer_load_dword v88, v4, s[0:3], 0 offen offset:12
	;; [unrolled: 4-line block ×3, first 2 shown]
	s_waitcnt vmcnt(56)
	global_store_dwordx4 v[7:8], v[0:3], off
	s_waitcnt vmcnt(52)
	global_store_dwordx4 v[9:10], v[37:40], off
	;; [unrolled: 2-line block ×15, first 2 shown]
	s_endpgm
	.section	.rodata,"a",@progbits
	.p2align	6, 0x0
	.amdhsa_kernel _ZN9rocsolver6v33100L18getri_kernel_smallILi15E19rocblas_complex_numIdEPS3_EEvT1_iilPiilS6_bb
		.amdhsa_group_segment_fixed_size 1512
		.amdhsa_private_segment_fixed_size 256
		.amdhsa_kernarg_size 60
		.amdhsa_user_sgpr_count 8
		.amdhsa_user_sgpr_private_segment_buffer 1
		.amdhsa_user_sgpr_dispatch_ptr 1
		.amdhsa_user_sgpr_queue_ptr 0
		.amdhsa_user_sgpr_kernarg_segment_ptr 1
		.amdhsa_user_sgpr_dispatch_id 0
		.amdhsa_user_sgpr_flat_scratch_init 0
		.amdhsa_user_sgpr_private_segment_size 0
		.amdhsa_wavefront_size32 1
		.amdhsa_uses_dynamic_stack 0
		.amdhsa_system_sgpr_private_segment_wavefront_offset 1
		.amdhsa_system_sgpr_workgroup_id_x 1
		.amdhsa_system_sgpr_workgroup_id_y 0
		.amdhsa_system_sgpr_workgroup_id_z 0
		.amdhsa_system_sgpr_workgroup_info 0
		.amdhsa_system_vgpr_workitem_id 2
		.amdhsa_next_free_vgpr 111
		.amdhsa_next_free_sgpr 35
		.amdhsa_reserve_vcc 1
		.amdhsa_reserve_flat_scratch 0
		.amdhsa_float_round_mode_32 0
		.amdhsa_float_round_mode_16_64 0
		.amdhsa_float_denorm_mode_32 3
		.amdhsa_float_denorm_mode_16_64 3
		.amdhsa_dx10_clamp 1
		.amdhsa_ieee_mode 1
		.amdhsa_fp16_overflow 0
		.amdhsa_workgroup_processor_mode 1
		.amdhsa_memory_ordered 1
		.amdhsa_forward_progress 1
		.amdhsa_shared_vgpr_count 0
		.amdhsa_exception_fp_ieee_invalid_op 0
		.amdhsa_exception_fp_denorm_src 0
		.amdhsa_exception_fp_ieee_div_zero 0
		.amdhsa_exception_fp_ieee_overflow 0
		.amdhsa_exception_fp_ieee_underflow 0
		.amdhsa_exception_fp_ieee_inexact 0
		.amdhsa_exception_int_div_zero 0
	.end_amdhsa_kernel
	.section	.text._ZN9rocsolver6v33100L18getri_kernel_smallILi15E19rocblas_complex_numIdEPS3_EEvT1_iilPiilS6_bb,"axG",@progbits,_ZN9rocsolver6v33100L18getri_kernel_smallILi15E19rocblas_complex_numIdEPS3_EEvT1_iilPiilS6_bb,comdat
.Lfunc_end14:
	.size	_ZN9rocsolver6v33100L18getri_kernel_smallILi15E19rocblas_complex_numIdEPS3_EEvT1_iilPiilS6_bb, .Lfunc_end14-_ZN9rocsolver6v33100L18getri_kernel_smallILi15E19rocblas_complex_numIdEPS3_EEvT1_iilPiilS6_bb
                                        ; -- End function
	.set _ZN9rocsolver6v33100L18getri_kernel_smallILi15E19rocblas_complex_numIdEPS3_EEvT1_iilPiilS6_bb.num_vgpr, 111
	.set _ZN9rocsolver6v33100L18getri_kernel_smallILi15E19rocblas_complex_numIdEPS3_EEvT1_iilPiilS6_bb.num_agpr, 0
	.set _ZN9rocsolver6v33100L18getri_kernel_smallILi15E19rocblas_complex_numIdEPS3_EEvT1_iilPiilS6_bb.numbered_sgpr, 35
	.set _ZN9rocsolver6v33100L18getri_kernel_smallILi15E19rocblas_complex_numIdEPS3_EEvT1_iilPiilS6_bb.num_named_barrier, 0
	.set _ZN9rocsolver6v33100L18getri_kernel_smallILi15E19rocblas_complex_numIdEPS3_EEvT1_iilPiilS6_bb.private_seg_size, 256
	.set _ZN9rocsolver6v33100L18getri_kernel_smallILi15E19rocblas_complex_numIdEPS3_EEvT1_iilPiilS6_bb.uses_vcc, 1
	.set _ZN9rocsolver6v33100L18getri_kernel_smallILi15E19rocblas_complex_numIdEPS3_EEvT1_iilPiilS6_bb.uses_flat_scratch, 0
	.set _ZN9rocsolver6v33100L18getri_kernel_smallILi15E19rocblas_complex_numIdEPS3_EEvT1_iilPiilS6_bb.has_dyn_sized_stack, 0
	.set _ZN9rocsolver6v33100L18getri_kernel_smallILi15E19rocblas_complex_numIdEPS3_EEvT1_iilPiilS6_bb.has_recursion, 0
	.set _ZN9rocsolver6v33100L18getri_kernel_smallILi15E19rocblas_complex_numIdEPS3_EEvT1_iilPiilS6_bb.has_indirect_call, 0
	.section	.AMDGPU.csdata,"",@progbits
; Kernel info:
; codeLenInByte = 24340
; TotalNumSgprs: 37
; NumVgprs: 111
; ScratchSize: 256
; MemoryBound: 0
; FloatMode: 240
; IeeeMode: 1
; LDSByteSize: 1512 bytes/workgroup (compile time only)
; SGPRBlocks: 0
; VGPRBlocks: 13
; NumSGPRsForWavesPerEU: 37
; NumVGPRsForWavesPerEU: 111
; Occupancy: 9
; WaveLimiterHint : 1
; COMPUTE_PGM_RSRC2:SCRATCH_EN: 1
; COMPUTE_PGM_RSRC2:USER_SGPR: 8
; COMPUTE_PGM_RSRC2:TRAP_HANDLER: 0
; COMPUTE_PGM_RSRC2:TGID_X_EN: 1
; COMPUTE_PGM_RSRC2:TGID_Y_EN: 0
; COMPUTE_PGM_RSRC2:TGID_Z_EN: 0
; COMPUTE_PGM_RSRC2:TIDIG_COMP_CNT: 2
	.section	.text._ZN9rocsolver6v33100L18getri_kernel_smallILi16E19rocblas_complex_numIdEPS3_EEvT1_iilPiilS6_bb,"axG",@progbits,_ZN9rocsolver6v33100L18getri_kernel_smallILi16E19rocblas_complex_numIdEPS3_EEvT1_iilPiilS6_bb,comdat
	.globl	_ZN9rocsolver6v33100L18getri_kernel_smallILi16E19rocblas_complex_numIdEPS3_EEvT1_iilPiilS6_bb ; -- Begin function _ZN9rocsolver6v33100L18getri_kernel_smallILi16E19rocblas_complex_numIdEPS3_EEvT1_iilPiilS6_bb
	.p2align	8
	.type	_ZN9rocsolver6v33100L18getri_kernel_smallILi16E19rocblas_complex_numIdEPS3_EEvT1_iilPiilS6_bb,@function
_ZN9rocsolver6v33100L18getri_kernel_smallILi16E19rocblas_complex_numIdEPS3_EEvT1_iilPiilS6_bb: ; @_ZN9rocsolver6v33100L18getri_kernel_smallILi16E19rocblas_complex_numIdEPS3_EEvT1_iilPiilS6_bb
; %bb.0:
	s_add_u32 s0, s0, s9
	s_addc_u32 s1, s1, 0
	s_mov_b32 s9, exec_lo
	v_cmpx_gt_u32_e32 16, v0
	s_cbranch_execz .LBB15_78
; %bb.1:
	s_clause 0x2
	s_load_dword s9, s[6:7], 0x38
	s_load_dwordx4 s[20:23], s[6:7], 0x10
	s_load_dwordx4 s[12:15], s[6:7], 0x28
	s_waitcnt lgkmcnt(0)
	s_bitcmp1_b32 s9, 8
	s_cselect_b32 s29, -1, 0
	s_bfe_u32 s10, s9, 0x10008
	s_ashr_i32 s9, s8, 31
	s_cmp_eq_u32 s10, 0
                                        ; implicit-def: $sgpr10_sgpr11
	s_cbranch_scc1 .LBB15_3
; %bb.2:
	s_load_dword s10, s[6:7], 0x20
	s_mul_i32 s11, s12, s9
	s_mul_hi_u32 s16, s12, s8
	s_mul_i32 s13, s13, s8
	s_add_i32 s11, s16, s11
	s_mul_i32 s12, s12, s8
	s_add_i32 s13, s11, s13
	s_lshl_b64 s[12:13], s[12:13], 2
	s_waitcnt lgkmcnt(0)
	s_ashr_i32 s11, s10, 31
	s_add_u32 s12, s22, s12
	s_addc_u32 s13, s23, s13
	s_lshl_b64 s[10:11], s[10:11], 2
	s_add_u32 s10, s12, s10
	s_addc_u32 s11, s13, s11
.LBB15_3:
	s_clause 0x1
	s_load_dwordx4 s[16:19], s[6:7], 0x0
	s_load_dword s30, s[6:7], 0x38
	s_mul_i32 s6, s20, s9
	s_mul_hi_u32 s7, s20, s8
	s_mul_i32 s12, s21, s8
	s_add_i32 s7, s7, s6
	s_mul_i32 s6, s20, s8
	s_add_i32 s7, s7, s12
	v_lshlrev_b32_e32 v45, 4, v0
	s_lshl_b64 s[6:7], s[6:7], 4
	s_movk_i32 s31, 0xb0
	s_movk_i32 s33, 0xc0
	;; [unrolled: 1-line block ×10, first 2 shown]
	s_waitcnt lgkmcnt(0)
	v_add3_u32 v9, s19, s19, v0
	s_ashr_i32 s13, s18, 31
	s_mov_b32 s12, s18
	s_add_u32 s16, s16, s6
	s_addc_u32 s17, s17, s7
	v_add_nc_u32_e32 v13, s19, v9
	s_lshl_b64 s[6:7], s[12:13], 4
	v_ashrrev_i32_e32 v10, 31, v9
	s_add_u32 s6, s16, s6
	s_addc_u32 s7, s17, s7
	v_add_nc_u32_e32 v15, s19, v13
	v_ashrrev_i32_e32 v14, 31, v13
	v_add_co_u32 v7, s16, s6, v45
	s_mov_b32 s12, s19
	v_add_nc_u32_e32 v17, s19, v15
	v_ashrrev_i32_e32 v16, 31, v15
	s_ashr_i32 s13, s19, 31
	v_lshlrev_b64 v[11:12], 4, v[9:10]
	v_add_co_ci_u32_e64 v8, null, s7, 0, s16
	v_add_nc_u32_e32 v19, s19, v17
	v_ashrrev_i32_e32 v18, 31, v17
	s_lshl_b64 s[12:13], s[12:13], 4
	v_lshlrev_b64 v[13:14], 4, v[13:14]
	v_add_co_u32 v9, vcc_lo, v7, s12
	v_add_nc_u32_e32 v21, s19, v19
	v_ashrrev_i32_e32 v20, 31, v19
	v_lshlrev_b64 v[15:16], 4, v[15:16]
	v_add_co_ci_u32_e64 v10, null, s13, v8, vcc_lo
	v_add_nc_u32_e32 v23, s19, v21
	v_ashrrev_i32_e32 v22, 31, v21
	v_add_co_u32 v11, vcc_lo, s6, v11
	v_lshlrev_b64 v[17:18], 4, v[17:18]
	v_add_nc_u32_e32 v25, s19, v23
	v_ashrrev_i32_e32 v24, 31, v23
	v_add_co_ci_u32_e64 v12, null, s7, v12, vcc_lo
	v_add_co_u32 v13, vcc_lo, s6, v13
	v_add_nc_u32_e32 v28, s19, v25
	v_lshlrev_b64 v[19:20], 4, v[19:20]
	v_ashrrev_i32_e32 v26, 31, v25
	v_add_co_ci_u32_e64 v14, null, s7, v14, vcc_lo
	v_add_nc_u32_e32 v30, s19, v28
	v_add_co_u32 v15, vcc_lo, s6, v15
	v_lshlrev_b64 v[21:22], 4, v[21:22]
	v_add_co_ci_u32_e64 v16, null, s7, v16, vcc_lo
	v_add_nc_u32_e32 v32, s19, v30
	v_add_co_u32 v17, vcc_lo, s6, v17
	v_lshlrev_b64 v[23:24], 4, v[23:24]
	;; [unrolled: 4-line block ×3, first 2 shown]
	v_add_co_ci_u32_e64 v20, null, s7, v20, vcc_lo
	v_add_co_u32 v21, vcc_lo, s6, v21
	v_ashrrev_i32_e32 v29, 31, v28
	v_add_nc_u32_e32 v36, s19, v34
	v_add_co_ci_u32_e64 v22, null, s7, v22, vcc_lo
	v_add_co_u32 v23, vcc_lo, s6, v23
	v_ashrrev_i32_e32 v31, 31, v30
	v_add_co_ci_u32_e64 v24, null, s7, v24, vcc_lo
	v_add_co_u32 v25, vcc_lo, s6, v26
	v_ashrrev_i32_e32 v33, 31, v32
	v_add_co_ci_u32_e64 v26, null, s7, v27, vcc_lo
	v_lshlrev_b64 v[27:28], 4, v[28:29]
	v_add_nc_u32_e32 v43, s19, v36
	v_ashrrev_i32_e32 v35, 31, v34
	v_lshlrev_b64 v[29:30], 4, v[30:31]
	v_ashrrev_i32_e32 v37, 31, v36
	v_lshlrev_b64 v[31:32], 4, v[32:33]
	v_ashrrev_i32_e32 v44, 31, v43
	v_add_co_u32 v27, vcc_lo, s6, v27
	v_lshlrev_b64 v[33:34], 4, v[34:35]
	v_add_co_ci_u32_e64 v28, null, s7, v28, vcc_lo
	v_add_co_u32 v29, vcc_lo, s6, v29
	v_lshlrev_b64 v[35:36], 4, v[36:37]
	v_add_co_ci_u32_e64 v30, null, s7, v30, vcc_lo
	;; [unrolled: 3-line block ×3, first 2 shown]
	v_add_co_u32 v33, vcc_lo, s6, v33
	v_add_co_ci_u32_e64 v34, null, s7, v34, vcc_lo
	v_add_co_u32 v35, vcc_lo, s6, v35
	v_add_co_ci_u32_e64 v36, null, s7, v36, vcc_lo
	;; [unrolled: 2-line block ×3, first 2 shown]
	s_clause 0xf
	global_load_dwordx4 v[3:6], v45, s[6:7]
	global_load_dwordx4 v[39:42], v[9:10], off
	global_load_dwordx4 v[46:49], v[11:12], off
	;; [unrolled: 1-line block ×15, first 2 shown]
	s_movk_i32 s19, 0xa0
	s_mov_b32 s7, -1
	s_mov_b32 s28, 16
	s_mov_b32 s27, 32
	;; [unrolled: 1-line block ×9, first 2 shown]
	s_bitcmp0_b32 s30, 0
	s_waitcnt vmcnt(15)
	buffer_store_dword v6, off, s[0:3], 0 offset:12
	buffer_store_dword v5, off, s[0:3], 0 offset:8
	;; [unrolled: 1-line block ×3, first 2 shown]
	buffer_store_dword v3, off, s[0:3], 0
	s_waitcnt vmcnt(14)
	buffer_store_dword v42, off, s[0:3], 0 offset:28
	buffer_store_dword v41, off, s[0:3], 0 offset:24
	buffer_store_dword v40, off, s[0:3], 0 offset:20
	buffer_store_dword v39, off, s[0:3], 0 offset:16
	s_waitcnt vmcnt(13)
	buffer_store_dword v49, off, s[0:3], 0 offset:44
	buffer_store_dword v48, off, s[0:3], 0 offset:40
	buffer_store_dword v47, off, s[0:3], 0 offset:36
	buffer_store_dword v46, off, s[0:3], 0 offset:32
	;; [unrolled: 5-line block ×15, first 2 shown]
	s_cbranch_scc1 .LBB15_76
; %bb.4:
	v_cmp_eq_u32_e64 s6, 0, v0
	s_and_saveexec_b32 s7, s6
; %bb.5:
	v_mov_b32_e32 v3, 0
	ds_write_b32 v3, v3 offset:512
; %bb.6:
	s_or_b32 exec_lo, exec_lo, s7
	v_lshl_add_u32 v46, v0, 4, 0
	s_waitcnt lgkmcnt(0)
	s_waitcnt_vscnt null, 0x0
	s_barrier
	buffer_gl0_inv
	s_clause 0x3
	buffer_load_dword v3, v46, s[0:3], 0 offen
	buffer_load_dword v4, v46, s[0:3], 0 offen offset:4
	buffer_load_dword v5, v46, s[0:3], 0 offen offset:8
	;; [unrolled: 1-line block ×3, first 2 shown]
	s_waitcnt vmcnt(2)
	v_cmp_eq_f64_e32 vcc_lo, 0, v[3:4]
	s_waitcnt vmcnt(0)
	v_cmp_eq_f64_e64 s7, 0, v[5:6]
	s_and_b32 s7, vcc_lo, s7
	s_and_saveexec_b32 s30, s7
	s_cbranch_execz .LBB15_10
; %bb.7:
	v_mov_b32_e32 v3, 0
	s_mov_b32 s31, 0
	ds_read_b32 v4, v3 offset:512
	s_waitcnt lgkmcnt(0)
	v_readfirstlane_b32 s7, v4
	v_add_nc_u32_e32 v4, 1, v0
	s_cmp_eq_u32 s7, 0
	v_cmp_gt_i32_e32 vcc_lo, s7, v4
	s_cselect_b32 s33, -1, 0
	s_or_b32 s33, s33, vcc_lo
	s_and_b32 exec_lo, exec_lo, s33
	s_cbranch_execz .LBB15_10
; %bb.8:
	v_mov_b32_e32 v5, s7
.LBB15_9:                               ; =>This Inner Loop Header: Depth=1
	ds_cmpst_rtn_b32 v5, v3, v5, v4 offset:512
	s_waitcnt lgkmcnt(0)
	v_cmp_ne_u32_e32 vcc_lo, 0, v5
	v_cmp_le_i32_e64 s7, v5, v4
	s_and_b32 s7, vcc_lo, s7
	s_and_b32 s7, exec_lo, s7
	s_or_b32 s31, s7, s31
	s_andn2_b32 exec_lo, exec_lo, s31
	s_cbranch_execnz .LBB15_9
.LBB15_10:
	s_or_b32 exec_lo, exec_lo, s30
	v_mov_b32_e32 v3, 0
	s_barrier
	buffer_gl0_inv
	ds_read_b32 v4, v3 offset:512
	s_and_saveexec_b32 s7, s6
	s_cbranch_execz .LBB15_12
; %bb.11:
	s_lshl_b64 s[30:31], s[8:9], 2
	s_add_u32 s30, s14, s30
	s_addc_u32 s31, s15, s31
	s_waitcnt lgkmcnt(0)
	global_store_dword v3, v4, s[30:31]
.LBB15_12:
	s_or_b32 exec_lo, exec_lo, s7
	s_waitcnt lgkmcnt(0)
	v_cmp_ne_u32_e32 vcc_lo, 0, v4
	s_mov_b32 s7, 0
	s_cbranch_vccnz .LBB15_76
; %bb.13:
	s_clause 0x3
	buffer_load_dword v41, v46, s[0:3], 0 offen
	buffer_load_dword v42, v46, s[0:3], 0 offen offset:4
	buffer_load_dword v43, v46, s[0:3], 0 offen offset:8
	;; [unrolled: 1-line block ×3, first 2 shown]
                                        ; implicit-def: $vgpr39_vgpr40
                                        ; implicit-def: $vgpr5_vgpr6
	s_waitcnt vmcnt(0)
	v_cmp_ngt_f64_e64 s7, |v[41:42]|, |v[43:44]|
	s_and_saveexec_b32 s30, s7
	s_xor_b32 s7, exec_lo, s30
	s_cbranch_execz .LBB15_15
; %bb.14:
	v_div_scale_f64 v[3:4], null, v[43:44], v[43:44], v[41:42]
	v_div_scale_f64 v[47:48], vcc_lo, v[41:42], v[43:44], v[41:42]
	v_rcp_f64_e32 v[5:6], v[3:4]
	v_fma_f64 v[39:40], -v[3:4], v[5:6], 1.0
	v_fma_f64 v[5:6], v[5:6], v[39:40], v[5:6]
	v_fma_f64 v[39:40], -v[3:4], v[5:6], 1.0
	v_fma_f64 v[5:6], v[5:6], v[39:40], v[5:6]
	v_mul_f64 v[39:40], v[47:48], v[5:6]
	v_fma_f64 v[3:4], -v[3:4], v[39:40], v[47:48]
	v_div_fmas_f64 v[3:4], v[3:4], v[5:6], v[39:40]
	v_div_fixup_f64 v[3:4], v[3:4], v[43:44], v[41:42]
	v_fma_f64 v[5:6], v[41:42], v[3:4], v[43:44]
	v_div_scale_f64 v[39:40], null, v[5:6], v[5:6], 1.0
	v_div_scale_f64 v[47:48], vcc_lo, 1.0, v[5:6], 1.0
	v_rcp_f64_e32 v[41:42], v[39:40]
	v_fma_f64 v[43:44], -v[39:40], v[41:42], 1.0
	v_fma_f64 v[41:42], v[41:42], v[43:44], v[41:42]
	v_fma_f64 v[43:44], -v[39:40], v[41:42], 1.0
	v_fma_f64 v[41:42], v[41:42], v[43:44], v[41:42]
	v_mul_f64 v[43:44], v[47:48], v[41:42]
	v_fma_f64 v[39:40], -v[39:40], v[43:44], v[47:48]
	v_div_fmas_f64 v[39:40], v[39:40], v[41:42], v[43:44]
                                        ; implicit-def: $vgpr41_vgpr42
                                        ; implicit-def: $vgpr43_vgpr44
	v_div_fixup_f64 v[5:6], v[39:40], v[5:6], 1.0
	v_mul_f64 v[39:40], v[3:4], v[5:6]
	v_xor_b32_e32 v6, 0x80000000, v6
	v_xor_b32_e32 v4, 0x80000000, v40
	v_mov_b32_e32 v3, v39
.LBB15_15:
	s_andn2_saveexec_b32 s7, s7
	s_cbranch_execz .LBB15_17
; %bb.16:
	v_div_scale_f64 v[3:4], null, v[41:42], v[41:42], v[43:44]
	v_div_scale_f64 v[47:48], vcc_lo, v[43:44], v[41:42], v[43:44]
	v_rcp_f64_e32 v[5:6], v[3:4]
	v_fma_f64 v[39:40], -v[3:4], v[5:6], 1.0
	v_fma_f64 v[5:6], v[5:6], v[39:40], v[5:6]
	v_fma_f64 v[39:40], -v[3:4], v[5:6], 1.0
	v_fma_f64 v[5:6], v[5:6], v[39:40], v[5:6]
	v_mul_f64 v[39:40], v[47:48], v[5:6]
	v_fma_f64 v[3:4], -v[3:4], v[39:40], v[47:48]
	v_div_fmas_f64 v[3:4], v[3:4], v[5:6], v[39:40]
	v_div_fixup_f64 v[3:4], v[3:4], v[41:42], v[43:44]
	v_fma_f64 v[5:6], v[43:44], v[3:4], v[41:42]
	v_div_scale_f64 v[39:40], null, v[5:6], v[5:6], 1.0
	v_rcp_f64_e32 v[41:42], v[39:40]
	v_fma_f64 v[43:44], -v[39:40], v[41:42], 1.0
	v_fma_f64 v[41:42], v[41:42], v[43:44], v[41:42]
	v_fma_f64 v[43:44], -v[39:40], v[41:42], 1.0
	v_fma_f64 v[41:42], v[41:42], v[43:44], v[41:42]
	v_div_scale_f64 v[43:44], vcc_lo, 1.0, v[5:6], 1.0
	v_mul_f64 v[47:48], v[43:44], v[41:42]
	v_fma_f64 v[39:40], -v[39:40], v[47:48], v[43:44]
	v_div_fmas_f64 v[39:40], v[39:40], v[41:42], v[47:48]
	v_div_fixup_f64 v[39:40], v[39:40], v[5:6], 1.0
	v_mul_f64 v[5:6], v[3:4], -v[39:40]
	v_xor_b32_e32 v4, 0x80000000, v40
	v_mov_b32_e32 v3, v39
.LBB15_17:
	s_or_b32 exec_lo, exec_lo, s7
	v_mov_b32_e32 v44, s28
	buffer_store_dword v40, v46, s[0:3], 0 offen offset:4
	buffer_store_dword v39, v46, s[0:3], 0 offen
	buffer_store_dword v6, v46, s[0:3], 0 offen offset:12
	buffer_store_dword v5, v46, s[0:3], 0 offen offset:8
	v_xor_b32_e32 v6, 0x80000000, v6
	v_add_nc_u32_e32 v39, 0x100, v45
	s_clause 0x3
	buffer_load_dword v43, v44, s[0:3], 0 offen offset:12
	buffer_load_dword v42, v44, s[0:3], 0 offen offset:8
	;; [unrolled: 1-line block ×3, first 2 shown]
	buffer_load_dword v40, v44, s[0:3], 0 offen
	ds_write_b128 v45, v[3:6]
	s_waitcnt vmcnt(0)
	ds_write_b128 v45, v[40:43] offset:256
	s_waitcnt lgkmcnt(0)
	s_waitcnt_vscnt null, 0x0
	s_barrier
	buffer_gl0_inv
	s_and_saveexec_b32 s7, s6
	s_cbranch_execz .LBB15_19
; %bb.18:
	s_clause 0x3
	buffer_load_dword v47, v46, s[0:3], 0 offen offset:8
	buffer_load_dword v48, v46, s[0:3], 0 offen offset:12
	buffer_load_dword v49, v46, s[0:3], 0 offen
	buffer_load_dword v50, v46, s[0:3], 0 offen offset:4
	ds_read_b128 v[3:6], v39
	v_mov_b32_e32 v40, 0
	ds_read_b128 v[40:43], v40 offset:16
	s_waitcnt vmcnt(2) lgkmcnt(1)
	v_mul_f64 v[51:52], v[3:4], v[47:48]
	v_mul_f64 v[47:48], v[5:6], v[47:48]
	s_waitcnt vmcnt(0)
	v_fma_f64 v[5:6], v[5:6], v[49:50], v[51:52]
	v_fma_f64 v[3:4], v[3:4], v[49:50], -v[47:48]
	v_add_f64 v[5:6], v[5:6], 0
	v_add_f64 v[3:4], v[3:4], 0
	s_waitcnt lgkmcnt(0)
	v_mul_f64 v[47:48], v[5:6], v[42:43]
	v_mul_f64 v[42:43], v[3:4], v[42:43]
	v_fma_f64 v[3:4], v[3:4], v[40:41], -v[47:48]
	v_fma_f64 v[5:6], v[5:6], v[40:41], v[42:43]
	buffer_store_dword v3, off, s[0:3], 0 offset:16
	buffer_store_dword v4, off, s[0:3], 0 offset:20
	;; [unrolled: 1-line block ×4, first 2 shown]
.LBB15_19:
	s_or_b32 exec_lo, exec_lo, s7
	v_mov_b32_e32 v6, s27
	s_waitcnt_vscnt null, 0x0
	s_barrier
	buffer_gl0_inv
	s_mov_b32 s7, exec_lo
	s_clause 0x3
	buffer_load_dword v3, v6, s[0:3], 0 offen
	buffer_load_dword v4, v6, s[0:3], 0 offen offset:4
	buffer_load_dword v5, v6, s[0:3], 0 offen offset:8
	;; [unrolled: 1-line block ×3, first 2 shown]
	s_waitcnt vmcnt(0)
	ds_write_b128 v39, v[3:6]
	s_waitcnt lgkmcnt(0)
	s_barrier
	buffer_gl0_inv
	v_cmpx_gt_u32_e32 2, v0
	s_cbranch_execz .LBB15_23
; %bb.20:
	s_clause 0x3
	buffer_load_dword v40, v46, s[0:3], 0 offen offset:8
	buffer_load_dword v41, v46, s[0:3], 0 offen offset:12
	buffer_load_dword v42, v46, s[0:3], 0 offen
	buffer_load_dword v43, v46, s[0:3], 0 offen offset:4
	ds_read_b128 v[3:6], v39
	s_waitcnt vmcnt(2) lgkmcnt(0)
	v_mul_f64 v[46:47], v[5:6], v[40:41]
	v_mul_f64 v[40:41], v[3:4], v[40:41]
	s_waitcnt vmcnt(0)
	v_fma_f64 v[3:4], v[3:4], v[42:43], -v[46:47]
	v_fma_f64 v[5:6], v[5:6], v[42:43], v[40:41]
	v_add_f64 v[3:4], v[3:4], 0
	v_add_f64 v[5:6], v[5:6], 0
	s_and_saveexec_b32 s30, s6
	s_cbranch_execz .LBB15_22
; %bb.21:
	s_clause 0x3
	buffer_load_dword v46, off, s[0:3], 0 offset:24
	buffer_load_dword v47, off, s[0:3], 0 offset:28
	;; [unrolled: 1-line block ×4, first 2 shown]
	v_mov_b32_e32 v40, 0
	ds_read_b128 v[40:43], v40 offset:272
	s_waitcnt vmcnt(2) lgkmcnt(0)
	v_mul_f64 v[50:51], v[40:41], v[46:47]
	v_mul_f64 v[46:47], v[42:43], v[46:47]
	s_waitcnt vmcnt(0)
	v_fma_f64 v[42:43], v[42:43], v[48:49], v[50:51]
	v_fma_f64 v[40:41], v[40:41], v[48:49], -v[46:47]
	v_add_f64 v[5:6], v[5:6], v[42:43]
	v_add_f64 v[3:4], v[3:4], v[40:41]
.LBB15_22:
	s_or_b32 exec_lo, exec_lo, s30
	v_mov_b32_e32 v40, 0
	ds_read_b128 v[40:43], v40 offset:32
	s_waitcnt lgkmcnt(0)
	v_mul_f64 v[46:47], v[5:6], v[42:43]
	v_mul_f64 v[42:43], v[3:4], v[42:43]
	v_fma_f64 v[3:4], v[3:4], v[40:41], -v[46:47]
	v_fma_f64 v[5:6], v[5:6], v[40:41], v[42:43]
	buffer_store_dword v4, off, s[0:3], 0 offset:36
	buffer_store_dword v3, off, s[0:3], 0 offset:32
	;; [unrolled: 1-line block ×4, first 2 shown]
.LBB15_23:
	s_or_b32 exec_lo, exec_lo, s7
	v_mov_b32_e32 v6, s26
	s_waitcnt_vscnt null, 0x0
	s_barrier
	buffer_gl0_inv
	v_add_nc_u32_e32 v40, -1, v0
	s_clause 0x3
	buffer_load_dword v3, v6, s[0:3], 0 offen
	buffer_load_dword v4, v6, s[0:3], 0 offen offset:4
	buffer_load_dword v5, v6, s[0:3], 0 offen offset:8
	;; [unrolled: 1-line block ×3, first 2 shown]
	s_mov_b32 s6, exec_lo
	s_waitcnt vmcnt(0)
	ds_write_b128 v39, v[3:6]
	s_waitcnt lgkmcnt(0)
	s_barrier
	buffer_gl0_inv
	v_cmpx_gt_u32_e32 3, v0
	s_cbranch_execz .LBB15_27
; %bb.24:
	v_mov_b32_e32 v3, 0
	v_mov_b32_e32 v5, 0
	v_add_nc_u32_e32 v41, -1, v0
	v_add_nc_u32_e32 v42, 0x100, v45
	v_mov_b32_e32 v4, 0
	v_mov_b32_e32 v6, 0
	;; [unrolled: 1-line block ×3, first 2 shown]
	s_mov_b32 s7, 0
	.p2align	6
.LBB15_25:                              ; =>This Inner Loop Header: Depth=1
	s_clause 0x3
	buffer_load_dword v50, v43, s[0:3], 0 offen offset:8
	buffer_load_dword v51, v43, s[0:3], 0 offen offset:12
	buffer_load_dword v52, v43, s[0:3], 0 offen
	buffer_load_dword v53, v43, s[0:3], 0 offen offset:4
	ds_read_b128 v[46:49], v42
	v_add_nc_u32_e32 v41, 1, v41
	v_add_nc_u32_e32 v42, 16, v42
	;; [unrolled: 1-line block ×3, first 2 shown]
	v_cmp_lt_u32_e32 vcc_lo, 1, v41
	s_or_b32 s7, vcc_lo, s7
	s_waitcnt vmcnt(2) lgkmcnt(0)
	v_mul_f64 v[54:55], v[48:49], v[50:51]
	v_mul_f64 v[50:51], v[46:47], v[50:51]
	s_waitcnt vmcnt(0)
	v_fma_f64 v[46:47], v[46:47], v[52:53], -v[54:55]
	v_fma_f64 v[48:49], v[48:49], v[52:53], v[50:51]
	v_add_f64 v[5:6], v[5:6], v[46:47]
	v_add_f64 v[3:4], v[3:4], v[48:49]
	s_andn2_b32 exec_lo, exec_lo, s7
	s_cbranch_execnz .LBB15_25
; %bb.26:
	s_or_b32 exec_lo, exec_lo, s7
	v_mov_b32_e32 v41, 0
	ds_read_b128 v[41:44], v41 offset:48
	s_waitcnt lgkmcnt(0)
	v_mul_f64 v[46:47], v[3:4], v[43:44]
	v_mul_f64 v[43:44], v[5:6], v[43:44]
	v_fma_f64 v[5:6], v[5:6], v[41:42], -v[46:47]
	v_fma_f64 v[3:4], v[3:4], v[41:42], v[43:44]
	buffer_store_dword v6, off, s[0:3], 0 offset:52
	buffer_store_dword v5, off, s[0:3], 0 offset:48
	;; [unrolled: 1-line block ×4, first 2 shown]
.LBB15_27:
	s_or_b32 exec_lo, exec_lo, s6
	v_mov_b32_e32 v6, s25
	s_waitcnt_vscnt null, 0x0
	s_barrier
	buffer_gl0_inv
	s_mov_b32 s6, exec_lo
	s_clause 0x3
	buffer_load_dword v3, v6, s[0:3], 0 offen
	buffer_load_dword v4, v6, s[0:3], 0 offen offset:4
	buffer_load_dword v5, v6, s[0:3], 0 offen offset:8
	;; [unrolled: 1-line block ×3, first 2 shown]
	s_waitcnt vmcnt(0)
	ds_write_b128 v39, v[3:6]
	s_waitcnt lgkmcnt(0)
	s_barrier
	buffer_gl0_inv
	v_cmpx_gt_u32_e32 4, v0
	s_cbranch_execz .LBB15_31
; %bb.28:
	v_mov_b32_e32 v3, 0
	v_mov_b32_e32 v5, 0
	v_add_nc_u32_e32 v41, -1, v0
	v_add_nc_u32_e32 v42, 0x100, v45
	v_mov_b32_e32 v4, 0
	v_mov_b32_e32 v6, 0
	;; [unrolled: 1-line block ×3, first 2 shown]
	s_mov_b32 s7, 0
	.p2align	6
.LBB15_29:                              ; =>This Inner Loop Header: Depth=1
	s_clause 0x3
	buffer_load_dword v50, v43, s[0:3], 0 offen offset:8
	buffer_load_dword v51, v43, s[0:3], 0 offen offset:12
	buffer_load_dword v52, v43, s[0:3], 0 offen
	buffer_load_dword v53, v43, s[0:3], 0 offen offset:4
	ds_read_b128 v[46:49], v42
	v_add_nc_u32_e32 v41, 1, v41
	v_add_nc_u32_e32 v42, 16, v42
	;; [unrolled: 1-line block ×3, first 2 shown]
	v_cmp_lt_u32_e32 vcc_lo, 2, v41
	s_or_b32 s7, vcc_lo, s7
	s_waitcnt vmcnt(2) lgkmcnt(0)
	v_mul_f64 v[54:55], v[48:49], v[50:51]
	v_mul_f64 v[50:51], v[46:47], v[50:51]
	s_waitcnt vmcnt(0)
	v_fma_f64 v[46:47], v[46:47], v[52:53], -v[54:55]
	v_fma_f64 v[48:49], v[48:49], v[52:53], v[50:51]
	v_add_f64 v[5:6], v[5:6], v[46:47]
	v_add_f64 v[3:4], v[3:4], v[48:49]
	s_andn2_b32 exec_lo, exec_lo, s7
	s_cbranch_execnz .LBB15_29
; %bb.30:
	s_or_b32 exec_lo, exec_lo, s7
	v_mov_b32_e32 v41, 0
	ds_read_b128 v[41:44], v41 offset:64
	s_waitcnt lgkmcnt(0)
	v_mul_f64 v[46:47], v[3:4], v[43:44]
	v_mul_f64 v[43:44], v[5:6], v[43:44]
	v_fma_f64 v[5:6], v[5:6], v[41:42], -v[46:47]
	v_fma_f64 v[3:4], v[3:4], v[41:42], v[43:44]
	buffer_store_dword v6, off, s[0:3], 0 offset:68
	buffer_store_dword v5, off, s[0:3], 0 offset:64
	;; [unrolled: 1-line block ×4, first 2 shown]
.LBB15_31:
	s_or_b32 exec_lo, exec_lo, s6
	v_mov_b32_e32 v6, s24
	s_waitcnt_vscnt null, 0x0
	s_barrier
	buffer_gl0_inv
	s_mov_b32 s6, exec_lo
	s_clause 0x3
	buffer_load_dword v3, v6, s[0:3], 0 offen
	buffer_load_dword v4, v6, s[0:3], 0 offen offset:4
	buffer_load_dword v5, v6, s[0:3], 0 offen offset:8
	;; [unrolled: 1-line block ×3, first 2 shown]
	s_waitcnt vmcnt(0)
	ds_write_b128 v39, v[3:6]
	s_waitcnt lgkmcnt(0)
	s_barrier
	buffer_gl0_inv
	v_cmpx_gt_u32_e32 5, v0
	s_cbranch_execz .LBB15_35
; %bb.32:
	v_mov_b32_e32 v3, 0
	v_mov_b32_e32 v5, 0
	v_add_nc_u32_e32 v41, -1, v0
	v_add_nc_u32_e32 v42, 0x100, v45
	v_mov_b32_e32 v4, 0
	v_mov_b32_e32 v6, 0
	;; [unrolled: 1-line block ×3, first 2 shown]
	s_mov_b32 s7, 0
	.p2align	6
.LBB15_33:                              ; =>This Inner Loop Header: Depth=1
	s_clause 0x3
	buffer_load_dword v50, v43, s[0:3], 0 offen offset:8
	buffer_load_dword v51, v43, s[0:3], 0 offen offset:12
	buffer_load_dword v52, v43, s[0:3], 0 offen
	buffer_load_dword v53, v43, s[0:3], 0 offen offset:4
	ds_read_b128 v[46:49], v42
	v_add_nc_u32_e32 v41, 1, v41
	v_add_nc_u32_e32 v42, 16, v42
	;; [unrolled: 1-line block ×3, first 2 shown]
	v_cmp_lt_u32_e32 vcc_lo, 3, v41
	s_or_b32 s7, vcc_lo, s7
	s_waitcnt vmcnt(2) lgkmcnt(0)
	v_mul_f64 v[54:55], v[48:49], v[50:51]
	v_mul_f64 v[50:51], v[46:47], v[50:51]
	s_waitcnt vmcnt(0)
	v_fma_f64 v[46:47], v[46:47], v[52:53], -v[54:55]
	v_fma_f64 v[48:49], v[48:49], v[52:53], v[50:51]
	v_add_f64 v[5:6], v[5:6], v[46:47]
	v_add_f64 v[3:4], v[3:4], v[48:49]
	s_andn2_b32 exec_lo, exec_lo, s7
	s_cbranch_execnz .LBB15_33
; %bb.34:
	s_or_b32 exec_lo, exec_lo, s7
	v_mov_b32_e32 v41, 0
	ds_read_b128 v[41:44], v41 offset:80
	s_waitcnt lgkmcnt(0)
	v_mul_f64 v[46:47], v[3:4], v[43:44]
	v_mul_f64 v[43:44], v[5:6], v[43:44]
	v_fma_f64 v[5:6], v[5:6], v[41:42], -v[46:47]
	v_fma_f64 v[3:4], v[3:4], v[41:42], v[43:44]
	buffer_store_dword v6, off, s[0:3], 0 offset:84
	buffer_store_dword v5, off, s[0:3], 0 offset:80
	;; [unrolled: 1-line block ×4, first 2 shown]
.LBB15_35:
	s_or_b32 exec_lo, exec_lo, s6
	v_mov_b32_e32 v6, s23
	s_waitcnt_vscnt null, 0x0
	s_barrier
	buffer_gl0_inv
	s_mov_b32 s6, exec_lo
	s_clause 0x3
	buffer_load_dword v3, v6, s[0:3], 0 offen
	buffer_load_dword v4, v6, s[0:3], 0 offen offset:4
	buffer_load_dword v5, v6, s[0:3], 0 offen offset:8
	;; [unrolled: 1-line block ×3, first 2 shown]
	s_waitcnt vmcnt(0)
	ds_write_b128 v39, v[3:6]
	s_waitcnt lgkmcnt(0)
	s_barrier
	buffer_gl0_inv
	v_cmpx_gt_u32_e32 6, v0
	s_cbranch_execz .LBB15_39
; %bb.36:
	v_mov_b32_e32 v3, 0
	v_mov_b32_e32 v5, 0
	v_add_nc_u32_e32 v41, -1, v0
	v_add_nc_u32_e32 v42, 0x100, v45
	v_mov_b32_e32 v4, 0
	v_mov_b32_e32 v6, 0
	;; [unrolled: 1-line block ×3, first 2 shown]
	s_mov_b32 s7, 0
	.p2align	6
.LBB15_37:                              ; =>This Inner Loop Header: Depth=1
	s_clause 0x3
	buffer_load_dword v50, v43, s[0:3], 0 offen offset:8
	buffer_load_dword v51, v43, s[0:3], 0 offen offset:12
	buffer_load_dword v52, v43, s[0:3], 0 offen
	buffer_load_dword v53, v43, s[0:3], 0 offen offset:4
	ds_read_b128 v[46:49], v42
	v_add_nc_u32_e32 v41, 1, v41
	v_add_nc_u32_e32 v42, 16, v42
	;; [unrolled: 1-line block ×3, first 2 shown]
	v_cmp_lt_u32_e32 vcc_lo, 4, v41
	s_or_b32 s7, vcc_lo, s7
	s_waitcnt vmcnt(2) lgkmcnt(0)
	v_mul_f64 v[54:55], v[48:49], v[50:51]
	v_mul_f64 v[50:51], v[46:47], v[50:51]
	s_waitcnt vmcnt(0)
	v_fma_f64 v[46:47], v[46:47], v[52:53], -v[54:55]
	v_fma_f64 v[48:49], v[48:49], v[52:53], v[50:51]
	v_add_f64 v[5:6], v[5:6], v[46:47]
	v_add_f64 v[3:4], v[3:4], v[48:49]
	s_andn2_b32 exec_lo, exec_lo, s7
	s_cbranch_execnz .LBB15_37
; %bb.38:
	s_or_b32 exec_lo, exec_lo, s7
	v_mov_b32_e32 v41, 0
	ds_read_b128 v[41:44], v41 offset:96
	s_waitcnt lgkmcnt(0)
	v_mul_f64 v[46:47], v[3:4], v[43:44]
	v_mul_f64 v[43:44], v[5:6], v[43:44]
	v_fma_f64 v[5:6], v[5:6], v[41:42], -v[46:47]
	v_fma_f64 v[3:4], v[3:4], v[41:42], v[43:44]
	buffer_store_dword v6, off, s[0:3], 0 offset:100
	buffer_store_dword v5, off, s[0:3], 0 offset:96
	;; [unrolled: 1-line block ×4, first 2 shown]
.LBB15_39:
	s_or_b32 exec_lo, exec_lo, s6
	v_mov_b32_e32 v6, s22
	s_waitcnt_vscnt null, 0x0
	s_barrier
	buffer_gl0_inv
	s_mov_b32 s6, exec_lo
	s_clause 0x3
	buffer_load_dword v3, v6, s[0:3], 0 offen
	buffer_load_dword v4, v6, s[0:3], 0 offen offset:4
	buffer_load_dword v5, v6, s[0:3], 0 offen offset:8
	;; [unrolled: 1-line block ×3, first 2 shown]
	s_waitcnt vmcnt(0)
	ds_write_b128 v39, v[3:6]
	s_waitcnt lgkmcnt(0)
	s_barrier
	buffer_gl0_inv
	v_cmpx_gt_u32_e32 7, v0
	s_cbranch_execz .LBB15_43
; %bb.40:
	v_mov_b32_e32 v3, 0
	v_mov_b32_e32 v5, 0
	v_add_nc_u32_e32 v41, -1, v0
	v_add_nc_u32_e32 v42, 0x100, v45
	v_mov_b32_e32 v4, 0
	v_mov_b32_e32 v6, 0
	;; [unrolled: 1-line block ×3, first 2 shown]
	s_mov_b32 s7, 0
	.p2align	6
.LBB15_41:                              ; =>This Inner Loop Header: Depth=1
	s_clause 0x3
	buffer_load_dword v50, v43, s[0:3], 0 offen offset:8
	buffer_load_dword v51, v43, s[0:3], 0 offen offset:12
	buffer_load_dword v52, v43, s[0:3], 0 offen
	buffer_load_dword v53, v43, s[0:3], 0 offen offset:4
	ds_read_b128 v[46:49], v42
	v_add_nc_u32_e32 v41, 1, v41
	v_add_nc_u32_e32 v42, 16, v42
	;; [unrolled: 1-line block ×3, first 2 shown]
	v_cmp_lt_u32_e32 vcc_lo, 5, v41
	s_or_b32 s7, vcc_lo, s7
	s_waitcnt vmcnt(2) lgkmcnt(0)
	v_mul_f64 v[54:55], v[48:49], v[50:51]
	v_mul_f64 v[50:51], v[46:47], v[50:51]
	s_waitcnt vmcnt(0)
	v_fma_f64 v[46:47], v[46:47], v[52:53], -v[54:55]
	v_fma_f64 v[48:49], v[48:49], v[52:53], v[50:51]
	v_add_f64 v[5:6], v[5:6], v[46:47]
	v_add_f64 v[3:4], v[3:4], v[48:49]
	s_andn2_b32 exec_lo, exec_lo, s7
	s_cbranch_execnz .LBB15_41
; %bb.42:
	s_or_b32 exec_lo, exec_lo, s7
	v_mov_b32_e32 v41, 0
	ds_read_b128 v[41:44], v41 offset:112
	s_waitcnt lgkmcnt(0)
	v_mul_f64 v[46:47], v[3:4], v[43:44]
	v_mul_f64 v[43:44], v[5:6], v[43:44]
	v_fma_f64 v[5:6], v[5:6], v[41:42], -v[46:47]
	v_fma_f64 v[3:4], v[3:4], v[41:42], v[43:44]
	buffer_store_dword v6, off, s[0:3], 0 offset:116
	buffer_store_dword v5, off, s[0:3], 0 offset:112
	;; [unrolled: 1-line block ×4, first 2 shown]
.LBB15_43:
	s_or_b32 exec_lo, exec_lo, s6
	v_mov_b32_e32 v6, s21
	s_waitcnt_vscnt null, 0x0
	s_barrier
	buffer_gl0_inv
	s_mov_b32 s6, exec_lo
	s_clause 0x3
	buffer_load_dword v3, v6, s[0:3], 0 offen
	buffer_load_dword v4, v6, s[0:3], 0 offen offset:4
	buffer_load_dword v5, v6, s[0:3], 0 offen offset:8
	;; [unrolled: 1-line block ×3, first 2 shown]
	s_waitcnt vmcnt(0)
	ds_write_b128 v39, v[3:6]
	s_waitcnt lgkmcnt(0)
	s_barrier
	buffer_gl0_inv
	v_cmpx_gt_u32_e32 8, v0
	s_cbranch_execz .LBB15_47
; %bb.44:
	v_mov_b32_e32 v3, 0
	v_mov_b32_e32 v5, 0
	v_add_nc_u32_e32 v41, -1, v0
	v_add_nc_u32_e32 v42, 0x100, v45
	v_mov_b32_e32 v4, 0
	v_mov_b32_e32 v6, 0
	;; [unrolled: 1-line block ×3, first 2 shown]
	s_mov_b32 s7, 0
	.p2align	6
.LBB15_45:                              ; =>This Inner Loop Header: Depth=1
	s_clause 0x3
	buffer_load_dword v50, v43, s[0:3], 0 offen offset:8
	buffer_load_dword v51, v43, s[0:3], 0 offen offset:12
	buffer_load_dword v52, v43, s[0:3], 0 offen
	buffer_load_dword v53, v43, s[0:3], 0 offen offset:4
	ds_read_b128 v[46:49], v42
	v_add_nc_u32_e32 v41, 1, v41
	v_add_nc_u32_e32 v42, 16, v42
	;; [unrolled: 1-line block ×3, first 2 shown]
	v_cmp_lt_u32_e32 vcc_lo, 6, v41
	s_or_b32 s7, vcc_lo, s7
	s_waitcnt vmcnt(2) lgkmcnt(0)
	v_mul_f64 v[54:55], v[48:49], v[50:51]
	v_mul_f64 v[50:51], v[46:47], v[50:51]
	s_waitcnt vmcnt(0)
	v_fma_f64 v[46:47], v[46:47], v[52:53], -v[54:55]
	v_fma_f64 v[48:49], v[48:49], v[52:53], v[50:51]
	v_add_f64 v[5:6], v[5:6], v[46:47]
	v_add_f64 v[3:4], v[3:4], v[48:49]
	s_andn2_b32 exec_lo, exec_lo, s7
	s_cbranch_execnz .LBB15_45
; %bb.46:
	s_or_b32 exec_lo, exec_lo, s7
	v_mov_b32_e32 v41, 0
	ds_read_b128 v[41:44], v41 offset:128
	s_waitcnt lgkmcnt(0)
	v_mul_f64 v[46:47], v[3:4], v[43:44]
	v_mul_f64 v[43:44], v[5:6], v[43:44]
	v_fma_f64 v[5:6], v[5:6], v[41:42], -v[46:47]
	v_fma_f64 v[3:4], v[3:4], v[41:42], v[43:44]
	buffer_store_dword v6, off, s[0:3], 0 offset:132
	buffer_store_dword v5, off, s[0:3], 0 offset:128
	;; [unrolled: 1-line block ×4, first 2 shown]
.LBB15_47:
	s_or_b32 exec_lo, exec_lo, s6
	v_mov_b32_e32 v6, s20
	s_waitcnt_vscnt null, 0x0
	s_barrier
	buffer_gl0_inv
	s_mov_b32 s6, exec_lo
	s_clause 0x3
	buffer_load_dword v3, v6, s[0:3], 0 offen
	buffer_load_dword v4, v6, s[0:3], 0 offen offset:4
	buffer_load_dword v5, v6, s[0:3], 0 offen offset:8
	;; [unrolled: 1-line block ×3, first 2 shown]
	s_waitcnt vmcnt(0)
	ds_write_b128 v39, v[3:6]
	s_waitcnt lgkmcnt(0)
	s_barrier
	buffer_gl0_inv
	v_cmpx_gt_u32_e32 9, v0
	s_cbranch_execz .LBB15_51
; %bb.48:
	v_mov_b32_e32 v3, 0
	v_mov_b32_e32 v5, 0
	v_add_nc_u32_e32 v41, -1, v0
	v_add_nc_u32_e32 v42, 0x100, v45
	v_mov_b32_e32 v4, 0
	v_mov_b32_e32 v6, 0
	;; [unrolled: 1-line block ×3, first 2 shown]
	s_mov_b32 s7, 0
	.p2align	6
.LBB15_49:                              ; =>This Inner Loop Header: Depth=1
	s_clause 0x3
	buffer_load_dword v50, v43, s[0:3], 0 offen offset:8
	buffer_load_dword v51, v43, s[0:3], 0 offen offset:12
	buffer_load_dword v52, v43, s[0:3], 0 offen
	buffer_load_dword v53, v43, s[0:3], 0 offen offset:4
	ds_read_b128 v[46:49], v42
	v_add_nc_u32_e32 v41, 1, v41
	v_add_nc_u32_e32 v42, 16, v42
	;; [unrolled: 1-line block ×3, first 2 shown]
	v_cmp_lt_u32_e32 vcc_lo, 7, v41
	s_or_b32 s7, vcc_lo, s7
	s_waitcnt vmcnt(2) lgkmcnt(0)
	v_mul_f64 v[54:55], v[48:49], v[50:51]
	v_mul_f64 v[50:51], v[46:47], v[50:51]
	s_waitcnt vmcnt(0)
	v_fma_f64 v[46:47], v[46:47], v[52:53], -v[54:55]
	v_fma_f64 v[48:49], v[48:49], v[52:53], v[50:51]
	v_add_f64 v[5:6], v[5:6], v[46:47]
	v_add_f64 v[3:4], v[3:4], v[48:49]
	s_andn2_b32 exec_lo, exec_lo, s7
	s_cbranch_execnz .LBB15_49
; %bb.50:
	s_or_b32 exec_lo, exec_lo, s7
	v_mov_b32_e32 v41, 0
	ds_read_b128 v[41:44], v41 offset:144
	s_waitcnt lgkmcnt(0)
	v_mul_f64 v[46:47], v[3:4], v[43:44]
	v_mul_f64 v[43:44], v[5:6], v[43:44]
	v_fma_f64 v[5:6], v[5:6], v[41:42], -v[46:47]
	v_fma_f64 v[3:4], v[3:4], v[41:42], v[43:44]
	buffer_store_dword v6, off, s[0:3], 0 offset:148
	buffer_store_dword v5, off, s[0:3], 0 offset:144
	;; [unrolled: 1-line block ×4, first 2 shown]
.LBB15_51:
	s_or_b32 exec_lo, exec_lo, s6
	v_mov_b32_e32 v6, s19
	s_waitcnt_vscnt null, 0x0
	s_barrier
	buffer_gl0_inv
	s_mov_b32 s6, exec_lo
	s_clause 0x3
	buffer_load_dword v3, v6, s[0:3], 0 offen
	buffer_load_dword v4, v6, s[0:3], 0 offen offset:4
	buffer_load_dword v5, v6, s[0:3], 0 offen offset:8
	;; [unrolled: 1-line block ×3, first 2 shown]
	s_waitcnt vmcnt(0)
	ds_write_b128 v39, v[3:6]
	s_waitcnt lgkmcnt(0)
	s_barrier
	buffer_gl0_inv
	v_cmpx_gt_u32_e32 10, v0
	s_cbranch_execz .LBB15_55
; %bb.52:
	v_mov_b32_e32 v3, 0
	v_mov_b32_e32 v5, 0
	v_add_nc_u32_e32 v41, -1, v0
	v_add_nc_u32_e32 v42, 0x100, v45
	v_mov_b32_e32 v4, 0
	v_mov_b32_e32 v6, 0
	;; [unrolled: 1-line block ×3, first 2 shown]
	s_mov_b32 s7, 0
	.p2align	6
.LBB15_53:                              ; =>This Inner Loop Header: Depth=1
	s_clause 0x3
	buffer_load_dword v50, v43, s[0:3], 0 offen offset:8
	buffer_load_dword v51, v43, s[0:3], 0 offen offset:12
	buffer_load_dword v52, v43, s[0:3], 0 offen
	buffer_load_dword v53, v43, s[0:3], 0 offen offset:4
	ds_read_b128 v[46:49], v42
	v_add_nc_u32_e32 v41, 1, v41
	v_add_nc_u32_e32 v42, 16, v42
	;; [unrolled: 1-line block ×3, first 2 shown]
	v_cmp_lt_u32_e32 vcc_lo, 8, v41
	s_or_b32 s7, vcc_lo, s7
	s_waitcnt vmcnt(2) lgkmcnt(0)
	v_mul_f64 v[54:55], v[48:49], v[50:51]
	v_mul_f64 v[50:51], v[46:47], v[50:51]
	s_waitcnt vmcnt(0)
	v_fma_f64 v[46:47], v[46:47], v[52:53], -v[54:55]
	v_fma_f64 v[48:49], v[48:49], v[52:53], v[50:51]
	v_add_f64 v[5:6], v[5:6], v[46:47]
	v_add_f64 v[3:4], v[3:4], v[48:49]
	s_andn2_b32 exec_lo, exec_lo, s7
	s_cbranch_execnz .LBB15_53
; %bb.54:
	s_or_b32 exec_lo, exec_lo, s7
	v_mov_b32_e32 v41, 0
	ds_read_b128 v[41:44], v41 offset:160
	s_waitcnt lgkmcnt(0)
	v_mul_f64 v[46:47], v[3:4], v[43:44]
	v_mul_f64 v[43:44], v[5:6], v[43:44]
	v_fma_f64 v[5:6], v[5:6], v[41:42], -v[46:47]
	v_fma_f64 v[3:4], v[3:4], v[41:42], v[43:44]
	buffer_store_dword v6, off, s[0:3], 0 offset:164
	buffer_store_dword v5, off, s[0:3], 0 offset:160
	;; [unrolled: 1-line block ×4, first 2 shown]
.LBB15_55:
	s_or_b32 exec_lo, exec_lo, s6
	v_mov_b32_e32 v6, s18
	s_waitcnt_vscnt null, 0x0
	s_barrier
	buffer_gl0_inv
	s_mov_b32 s6, exec_lo
	s_clause 0x3
	buffer_load_dword v3, v6, s[0:3], 0 offen
	buffer_load_dword v4, v6, s[0:3], 0 offen offset:4
	buffer_load_dword v5, v6, s[0:3], 0 offen offset:8
	;; [unrolled: 1-line block ×3, first 2 shown]
	s_waitcnt vmcnt(0)
	ds_write_b128 v39, v[3:6]
	s_waitcnt lgkmcnt(0)
	s_barrier
	buffer_gl0_inv
	v_cmpx_gt_u32_e32 11, v0
	s_cbranch_execz .LBB15_59
; %bb.56:
	v_mov_b32_e32 v3, 0
	v_mov_b32_e32 v5, 0
	v_add_nc_u32_e32 v41, -1, v0
	v_add_nc_u32_e32 v42, 0x100, v45
	v_mov_b32_e32 v4, 0
	v_mov_b32_e32 v6, 0
	;; [unrolled: 1-line block ×3, first 2 shown]
	s_mov_b32 s7, 0
	.p2align	6
.LBB15_57:                              ; =>This Inner Loop Header: Depth=1
	s_clause 0x3
	buffer_load_dword v50, v43, s[0:3], 0 offen offset:8
	buffer_load_dword v51, v43, s[0:3], 0 offen offset:12
	buffer_load_dword v52, v43, s[0:3], 0 offen
	buffer_load_dword v53, v43, s[0:3], 0 offen offset:4
	ds_read_b128 v[46:49], v42
	v_add_nc_u32_e32 v41, 1, v41
	v_add_nc_u32_e32 v42, 16, v42
	;; [unrolled: 1-line block ×3, first 2 shown]
	v_cmp_lt_u32_e32 vcc_lo, 9, v41
	s_or_b32 s7, vcc_lo, s7
	s_waitcnt vmcnt(2) lgkmcnt(0)
	v_mul_f64 v[54:55], v[48:49], v[50:51]
	v_mul_f64 v[50:51], v[46:47], v[50:51]
	s_waitcnt vmcnt(0)
	v_fma_f64 v[46:47], v[46:47], v[52:53], -v[54:55]
	v_fma_f64 v[48:49], v[48:49], v[52:53], v[50:51]
	v_add_f64 v[5:6], v[5:6], v[46:47]
	v_add_f64 v[3:4], v[3:4], v[48:49]
	s_andn2_b32 exec_lo, exec_lo, s7
	s_cbranch_execnz .LBB15_57
; %bb.58:
	s_or_b32 exec_lo, exec_lo, s7
	v_mov_b32_e32 v41, 0
	ds_read_b128 v[41:44], v41 offset:176
	s_waitcnt lgkmcnt(0)
	v_mul_f64 v[46:47], v[3:4], v[43:44]
	v_mul_f64 v[43:44], v[5:6], v[43:44]
	v_fma_f64 v[5:6], v[5:6], v[41:42], -v[46:47]
	v_fma_f64 v[3:4], v[3:4], v[41:42], v[43:44]
	buffer_store_dword v6, off, s[0:3], 0 offset:180
	buffer_store_dword v5, off, s[0:3], 0 offset:176
	;; [unrolled: 1-line block ×4, first 2 shown]
.LBB15_59:
	s_or_b32 exec_lo, exec_lo, s6
	v_mov_b32_e32 v6, s17
	s_waitcnt_vscnt null, 0x0
	s_barrier
	buffer_gl0_inv
	s_mov_b32 s6, exec_lo
	s_clause 0x3
	buffer_load_dword v3, v6, s[0:3], 0 offen
	buffer_load_dword v4, v6, s[0:3], 0 offen offset:4
	buffer_load_dword v5, v6, s[0:3], 0 offen offset:8
	;; [unrolled: 1-line block ×3, first 2 shown]
	s_waitcnt vmcnt(0)
	ds_write_b128 v39, v[3:6]
	s_waitcnt lgkmcnt(0)
	s_barrier
	buffer_gl0_inv
	v_cmpx_gt_u32_e32 12, v0
	s_cbranch_execz .LBB15_63
; %bb.60:
	v_mov_b32_e32 v3, 0
	v_mov_b32_e32 v5, 0
	v_add_nc_u32_e32 v41, -1, v0
	v_add_nc_u32_e32 v42, 0x100, v45
	v_mov_b32_e32 v4, 0
	v_mov_b32_e32 v6, 0
	;; [unrolled: 1-line block ×3, first 2 shown]
	s_mov_b32 s7, 0
	.p2align	6
.LBB15_61:                              ; =>This Inner Loop Header: Depth=1
	s_clause 0x3
	buffer_load_dword v50, v43, s[0:3], 0 offen offset:8
	buffer_load_dword v51, v43, s[0:3], 0 offen offset:12
	buffer_load_dword v52, v43, s[0:3], 0 offen
	buffer_load_dword v53, v43, s[0:3], 0 offen offset:4
	ds_read_b128 v[46:49], v42
	v_add_nc_u32_e32 v41, 1, v41
	v_add_nc_u32_e32 v42, 16, v42
	;; [unrolled: 1-line block ×3, first 2 shown]
	v_cmp_lt_u32_e32 vcc_lo, 10, v41
	s_or_b32 s7, vcc_lo, s7
	s_waitcnt vmcnt(2) lgkmcnt(0)
	v_mul_f64 v[54:55], v[48:49], v[50:51]
	v_mul_f64 v[50:51], v[46:47], v[50:51]
	s_waitcnt vmcnt(0)
	v_fma_f64 v[46:47], v[46:47], v[52:53], -v[54:55]
	v_fma_f64 v[48:49], v[48:49], v[52:53], v[50:51]
	v_add_f64 v[5:6], v[5:6], v[46:47]
	v_add_f64 v[3:4], v[3:4], v[48:49]
	s_andn2_b32 exec_lo, exec_lo, s7
	s_cbranch_execnz .LBB15_61
; %bb.62:
	s_or_b32 exec_lo, exec_lo, s7
	v_mov_b32_e32 v41, 0
	ds_read_b128 v[41:44], v41 offset:192
	s_waitcnt lgkmcnt(0)
	v_mul_f64 v[46:47], v[3:4], v[43:44]
	v_mul_f64 v[43:44], v[5:6], v[43:44]
	v_fma_f64 v[5:6], v[5:6], v[41:42], -v[46:47]
	v_fma_f64 v[3:4], v[3:4], v[41:42], v[43:44]
	buffer_store_dword v6, off, s[0:3], 0 offset:196
	buffer_store_dword v5, off, s[0:3], 0 offset:192
	;; [unrolled: 1-line block ×4, first 2 shown]
.LBB15_63:
	s_or_b32 exec_lo, exec_lo, s6
	v_mov_b32_e32 v6, s16
	s_waitcnt_vscnt null, 0x0
	s_barrier
	buffer_gl0_inv
	s_mov_b32 s6, exec_lo
	s_clause 0x3
	buffer_load_dword v3, v6, s[0:3], 0 offen
	buffer_load_dword v4, v6, s[0:3], 0 offen offset:4
	buffer_load_dword v5, v6, s[0:3], 0 offen offset:8
	;; [unrolled: 1-line block ×3, first 2 shown]
	s_waitcnt vmcnt(0)
	ds_write_b128 v39, v[3:6]
	s_waitcnt lgkmcnt(0)
	s_barrier
	buffer_gl0_inv
	v_cmpx_gt_u32_e32 13, v0
	s_cbranch_execz .LBB15_67
; %bb.64:
	v_mov_b32_e32 v3, 0
	v_mov_b32_e32 v5, 0
	v_add_nc_u32_e32 v41, -1, v0
	v_add_nc_u32_e32 v42, 0x100, v45
	v_mov_b32_e32 v4, 0
	v_mov_b32_e32 v6, 0
	;; [unrolled: 1-line block ×3, first 2 shown]
	s_mov_b32 s7, 0
	.p2align	6
.LBB15_65:                              ; =>This Inner Loop Header: Depth=1
	s_clause 0x3
	buffer_load_dword v50, v43, s[0:3], 0 offen offset:8
	buffer_load_dword v51, v43, s[0:3], 0 offen offset:12
	buffer_load_dword v52, v43, s[0:3], 0 offen
	buffer_load_dword v53, v43, s[0:3], 0 offen offset:4
	ds_read_b128 v[46:49], v42
	v_add_nc_u32_e32 v41, 1, v41
	v_add_nc_u32_e32 v42, 16, v42
	v_add_nc_u32_e32 v43, 16, v43
	v_cmp_lt_u32_e32 vcc_lo, 11, v41
	s_or_b32 s7, vcc_lo, s7
	s_waitcnt vmcnt(2) lgkmcnt(0)
	v_mul_f64 v[54:55], v[48:49], v[50:51]
	v_mul_f64 v[50:51], v[46:47], v[50:51]
	s_waitcnt vmcnt(0)
	v_fma_f64 v[46:47], v[46:47], v[52:53], -v[54:55]
	v_fma_f64 v[48:49], v[48:49], v[52:53], v[50:51]
	v_add_f64 v[5:6], v[5:6], v[46:47]
	v_add_f64 v[3:4], v[3:4], v[48:49]
	s_andn2_b32 exec_lo, exec_lo, s7
	s_cbranch_execnz .LBB15_65
; %bb.66:
	s_or_b32 exec_lo, exec_lo, s7
	v_mov_b32_e32 v41, 0
	ds_read_b128 v[41:44], v41 offset:208
	s_waitcnt lgkmcnt(0)
	v_mul_f64 v[46:47], v[3:4], v[43:44]
	v_mul_f64 v[43:44], v[5:6], v[43:44]
	v_fma_f64 v[5:6], v[5:6], v[41:42], -v[46:47]
	v_fma_f64 v[3:4], v[3:4], v[41:42], v[43:44]
	buffer_store_dword v6, off, s[0:3], 0 offset:212
	buffer_store_dword v5, off, s[0:3], 0 offset:208
	;; [unrolled: 1-line block ×4, first 2 shown]
.LBB15_67:
	s_or_b32 exec_lo, exec_lo, s6
	v_mov_b32_e32 v6, s13
	s_waitcnt_vscnt null, 0x0
	s_barrier
	buffer_gl0_inv
	s_mov_b32 s6, exec_lo
	s_clause 0x3
	buffer_load_dword v3, v6, s[0:3], 0 offen
	buffer_load_dword v4, v6, s[0:3], 0 offen offset:4
	buffer_load_dword v5, v6, s[0:3], 0 offen offset:8
	;; [unrolled: 1-line block ×3, first 2 shown]
	s_waitcnt vmcnt(0)
	ds_write_b128 v39, v[3:6]
	s_waitcnt lgkmcnt(0)
	s_barrier
	buffer_gl0_inv
	v_cmpx_gt_u32_e32 14, v0
	s_cbranch_execz .LBB15_71
; %bb.68:
	v_mov_b32_e32 v3, 0
	v_mov_b32_e32 v5, 0
	v_add_nc_u32_e32 v41, -1, v0
	v_add_nc_u32_e32 v42, 0x100, v45
	v_mov_b32_e32 v4, 0
	v_mov_b32_e32 v6, 0
	;; [unrolled: 1-line block ×3, first 2 shown]
	s_mov_b32 s7, 0
	.p2align	6
.LBB15_69:                              ; =>This Inner Loop Header: Depth=1
	s_clause 0x3
	buffer_load_dword v50, v43, s[0:3], 0 offen offset:8
	buffer_load_dword v51, v43, s[0:3], 0 offen offset:12
	buffer_load_dword v52, v43, s[0:3], 0 offen
	buffer_load_dword v53, v43, s[0:3], 0 offen offset:4
	ds_read_b128 v[46:49], v42
	v_add_nc_u32_e32 v41, 1, v41
	v_add_nc_u32_e32 v42, 16, v42
	;; [unrolled: 1-line block ×3, first 2 shown]
	v_cmp_lt_u32_e32 vcc_lo, 12, v41
	s_or_b32 s7, vcc_lo, s7
	s_waitcnt vmcnt(2) lgkmcnt(0)
	v_mul_f64 v[54:55], v[48:49], v[50:51]
	v_mul_f64 v[50:51], v[46:47], v[50:51]
	s_waitcnt vmcnt(0)
	v_fma_f64 v[46:47], v[46:47], v[52:53], -v[54:55]
	v_fma_f64 v[48:49], v[48:49], v[52:53], v[50:51]
	v_add_f64 v[5:6], v[5:6], v[46:47]
	v_add_f64 v[3:4], v[3:4], v[48:49]
	s_andn2_b32 exec_lo, exec_lo, s7
	s_cbranch_execnz .LBB15_69
; %bb.70:
	s_or_b32 exec_lo, exec_lo, s7
	v_mov_b32_e32 v41, 0
	ds_read_b128 v[41:44], v41 offset:224
	s_waitcnt lgkmcnt(0)
	v_mul_f64 v[46:47], v[3:4], v[43:44]
	v_mul_f64 v[43:44], v[5:6], v[43:44]
	v_fma_f64 v[5:6], v[5:6], v[41:42], -v[46:47]
	v_fma_f64 v[3:4], v[3:4], v[41:42], v[43:44]
	buffer_store_dword v6, off, s[0:3], 0 offset:228
	buffer_store_dword v5, off, s[0:3], 0 offset:224
	;; [unrolled: 1-line block ×4, first 2 shown]
.LBB15_71:
	s_or_b32 exec_lo, exec_lo, s6
	v_mov_b32_e32 v6, s12
	s_waitcnt_vscnt null, 0x0
	s_barrier
	buffer_gl0_inv
	s_mov_b32 s6, exec_lo
	s_clause 0x3
	buffer_load_dword v3, v6, s[0:3], 0 offen
	buffer_load_dword v4, v6, s[0:3], 0 offen offset:4
	buffer_load_dword v5, v6, s[0:3], 0 offen offset:8
	;; [unrolled: 1-line block ×3, first 2 shown]
	s_waitcnt vmcnt(0)
	ds_write_b128 v39, v[3:6]
	s_waitcnt lgkmcnt(0)
	s_barrier
	buffer_gl0_inv
	v_cmpx_ne_u32_e32 15, v0
	s_cbranch_execz .LBB15_75
; %bb.72:
	v_mov_b32_e32 v3, 0
	v_mov_b32_e32 v5, 0
	;; [unrolled: 1-line block ×5, first 2 shown]
	s_mov_b32 s7, 0
	.p2align	6
.LBB15_73:                              ; =>This Inner Loop Header: Depth=1
	s_clause 0x3
	buffer_load_dword v46, v41, s[0:3], 0 offen offset:8
	buffer_load_dword v47, v41, s[0:3], 0 offen offset:12
	buffer_load_dword v48, v41, s[0:3], 0 offen
	buffer_load_dword v49, v41, s[0:3], 0 offen offset:4
	ds_read_b128 v[42:45], v39
	v_add_nc_u32_e32 v40, 1, v40
	v_add_nc_u32_e32 v39, 16, v39
	;; [unrolled: 1-line block ×3, first 2 shown]
	v_cmp_lt_u32_e32 vcc_lo, 13, v40
	s_or_b32 s7, vcc_lo, s7
	s_waitcnt vmcnt(2) lgkmcnt(0)
	v_mul_f64 v[50:51], v[44:45], v[46:47]
	v_mul_f64 v[46:47], v[42:43], v[46:47]
	s_waitcnt vmcnt(0)
	v_fma_f64 v[42:43], v[42:43], v[48:49], -v[50:51]
	v_fma_f64 v[44:45], v[44:45], v[48:49], v[46:47]
	v_add_f64 v[5:6], v[5:6], v[42:43]
	v_add_f64 v[3:4], v[3:4], v[44:45]
	s_andn2_b32 exec_lo, exec_lo, s7
	s_cbranch_execnz .LBB15_73
; %bb.74:
	s_or_b32 exec_lo, exec_lo, s7
	v_mov_b32_e32 v39, 0
	ds_read_b128 v[39:42], v39 offset:240
	s_waitcnt lgkmcnt(0)
	v_mul_f64 v[43:44], v[3:4], v[41:42]
	v_mul_f64 v[41:42], v[5:6], v[41:42]
	v_fma_f64 v[5:6], v[5:6], v[39:40], -v[43:44]
	v_fma_f64 v[3:4], v[3:4], v[39:40], v[41:42]
	buffer_store_dword v6, off, s[0:3], 0 offset:244
	buffer_store_dword v5, off, s[0:3], 0 offset:240
	;; [unrolled: 1-line block ×4, first 2 shown]
.LBB15_75:
	s_or_b32 exec_lo, exec_lo, s6
	s_mov_b32 s7, -1
	s_waitcnt_vscnt null, 0x0
	s_barrier
	buffer_gl0_inv
.LBB15_76:
	s_and_b32 vcc_lo, exec_lo, s7
	s_cbranch_vccz .LBB15_78
; %bb.77:
	s_lshl_b64 s[6:7], s[8:9], 2
	v_mov_b32_e32 v3, 0
	s_add_u32 s6, s14, s6
	s_addc_u32 s7, s15, s7
	global_load_dword v3, v3, s[6:7]
	s_waitcnt vmcnt(0)
	v_cmp_ne_u32_e32 vcc_lo, 0, v3
	s_cbranch_vccz .LBB15_79
.LBB15_78:
	s_endpgm
.LBB15_79:
	v_lshl_add_u32 v3, v0, 4, 0x100
	s_mov_b32 s6, exec_lo
	v_cmpx_eq_u32_e32 15, v0
	s_cbranch_execz .LBB15_81
; %bb.80:
	v_mov_b32_e32 v4, s13
	s_clause 0x3
	buffer_load_dword v39, v4, s[0:3], 0 offen
	buffer_load_dword v40, v4, s[0:3], 0 offen offset:4
	buffer_load_dword v41, v4, s[0:3], 0 offen offset:8
	;; [unrolled: 1-line block ×3, first 2 shown]
	v_mov_b32_e32 v4, 0
	buffer_store_dword v4, off, s[0:3], 0 offset:224
	buffer_store_dword v4, off, s[0:3], 0 offset:228
	;; [unrolled: 1-line block ×4, first 2 shown]
	s_waitcnt vmcnt(0)
	ds_write_b128 v3, v[39:42]
.LBB15_81:
	s_or_b32 exec_lo, exec_lo, s6
	s_waitcnt lgkmcnt(0)
	s_waitcnt_vscnt null, 0x0
	s_barrier
	buffer_gl0_inv
	s_clause 0x7
	buffer_load_dword v5, off, s[0:3], 0 offset:248
	buffer_load_dword v6, off, s[0:3], 0 offset:252
	;; [unrolled: 1-line block ×8, first 2 shown]
	v_mov_b32_e32 v4, 0
	s_mov_b32 s6, exec_lo
	ds_read_b128 v[39:42], v4 offset:496
	s_waitcnt vmcnt(6) lgkmcnt(0)
	v_mul_f64 v[49:50], v[41:42], v[5:6]
	v_mul_f64 v[5:6], v[39:40], v[5:6]
	s_waitcnt vmcnt(4)
	v_fma_f64 v[39:40], v[39:40], v[43:44], -v[49:50]
	v_fma_f64 v[5:6], v[41:42], v[43:44], v[5:6]
	v_add_f64 v[39:40], v[39:40], 0
	v_add_f64 v[5:6], v[5:6], 0
	s_waitcnt vmcnt(2)
	v_add_f64 v[39:40], v[45:46], -v[39:40]
	s_waitcnt vmcnt(0)
	v_add_f64 v[5:6], v[47:48], -v[5:6]
	buffer_store_dword v39, off, s[0:3], 0 offset:224
	buffer_store_dword v40, off, s[0:3], 0 offset:228
	;; [unrolled: 1-line block ×4, first 2 shown]
	v_cmpx_lt_u32_e32 13, v0
	s_cbranch_execz .LBB15_83
; %bb.82:
	v_mov_b32_e32 v5, s16
	s_clause 0x3
	buffer_load_dword v39, v5, s[0:3], 0 offen
	buffer_load_dword v40, v5, s[0:3], 0 offen offset:4
	buffer_load_dword v41, v5, s[0:3], 0 offen offset:8
	;; [unrolled: 1-line block ×3, first 2 shown]
	buffer_store_dword v4, off, s[0:3], 0 offset:208
	buffer_store_dword v4, off, s[0:3], 0 offset:212
	;; [unrolled: 1-line block ×4, first 2 shown]
	s_waitcnt vmcnt(0)
	ds_write_b128 v3, v[39:42]
.LBB15_83:
	s_or_b32 exec_lo, exec_lo, s6
	s_waitcnt lgkmcnt(0)
	s_waitcnt_vscnt null, 0x0
	s_barrier
	buffer_gl0_inv
	s_clause 0xb
	buffer_load_dword v5, off, s[0:3], 0 offset:232
	buffer_load_dword v6, off, s[0:3], 0 offset:236
	;; [unrolled: 1-line block ×12, first 2 shown]
	ds_read_b128 v[39:42], v4 offset:480
	ds_read_b128 v[43:46], v4 offset:496
	s_mov_b32 s6, exec_lo
	s_waitcnt vmcnt(10) lgkmcnt(1)
	v_mul_f64 v[57:58], v[41:42], v[5:6]
	v_mul_f64 v[4:5], v[39:40], v[5:6]
	s_waitcnt vmcnt(8) lgkmcnt(0)
	v_mul_f64 v[59:60], v[45:46], v[47:48]
	v_mul_f64 v[47:48], v[43:44], v[47:48]
	s_waitcnt vmcnt(6)
	v_fma_f64 v[39:40], v[39:40], v[49:50], -v[57:58]
	v_fma_f64 v[4:5], v[41:42], v[49:50], v[4:5]
	s_waitcnt vmcnt(4)
	v_fma_f64 v[41:42], v[43:44], v[51:52], -v[59:60]
	v_fma_f64 v[43:44], v[45:46], v[51:52], v[47:48]
	v_add_f64 v[39:40], v[39:40], 0
	v_add_f64 v[4:5], v[4:5], 0
	;; [unrolled: 1-line block ×4, first 2 shown]
	s_waitcnt vmcnt(2)
	v_add_f64 v[39:40], v[53:54], -v[39:40]
	s_waitcnt vmcnt(0)
	v_add_f64 v[4:5], v[55:56], -v[4:5]
	buffer_store_dword v39, off, s[0:3], 0 offset:208
	buffer_store_dword v40, off, s[0:3], 0 offset:212
	;; [unrolled: 1-line block ×4, first 2 shown]
	v_cmpx_lt_u32_e32 12, v0
	s_cbranch_execz .LBB15_85
; %bb.84:
	v_mov_b32_e32 v4, s17
	s_clause 0x3
	buffer_load_dword v39, v4, s[0:3], 0 offen
	buffer_load_dword v40, v4, s[0:3], 0 offen offset:4
	buffer_load_dword v41, v4, s[0:3], 0 offen offset:8
	;; [unrolled: 1-line block ×3, first 2 shown]
	v_mov_b32_e32 v4, 0
	buffer_store_dword v4, off, s[0:3], 0 offset:192
	buffer_store_dword v4, off, s[0:3], 0 offset:196
	;; [unrolled: 1-line block ×4, first 2 shown]
	s_waitcnt vmcnt(0)
	ds_write_b128 v3, v[39:42]
.LBB15_85:
	s_or_b32 exec_lo, exec_lo, s6
	s_waitcnt lgkmcnt(0)
	s_waitcnt_vscnt null, 0x0
	s_barrier
	buffer_gl0_inv
	s_clause 0xf
	buffer_load_dword v5, off, s[0:3], 0 offset:216
	buffer_load_dword v6, off, s[0:3], 0 offset:220
	;; [unrolled: 1-line block ×16, first 2 shown]
	v_mov_b32_e32 v4, 0
	ds_read_b128 v[39:42], v4 offset:464
	ds_read_b128 v[43:46], v4 offset:480
	;; [unrolled: 1-line block ×3, first 2 shown]
	s_mov_b32 s6, exec_lo
	s_waitcnt vmcnt(14) lgkmcnt(2)
	v_mul_f64 v[65:66], v[41:42], v[5:6]
	v_mul_f64 v[5:6], v[39:40], v[5:6]
	s_waitcnt vmcnt(12) lgkmcnt(1)
	v_mul_f64 v[67:68], v[45:46], v[51:52]
	v_mul_f64 v[51:52], v[43:44], v[51:52]
	s_waitcnt vmcnt(10)
	v_fma_f64 v[39:40], v[39:40], v[53:54], -v[65:66]
	v_fma_f64 v[5:6], v[41:42], v[53:54], v[5:6]
	s_waitcnt vmcnt(8) lgkmcnt(0)
	v_mul_f64 v[53:54], v[49:50], v[55:56]
	s_waitcnt vmcnt(6)
	v_fma_f64 v[43:44], v[43:44], v[57:58], -v[67:68]
	v_mul_f64 v[41:42], v[47:48], v[55:56]
	v_fma_f64 v[45:46], v[45:46], v[57:58], v[51:52]
	v_add_f64 v[39:40], v[39:40], 0
	v_add_f64 v[5:6], v[5:6], 0
	s_waitcnt vmcnt(4)
	v_fma_f64 v[47:48], v[47:48], v[59:60], -v[53:54]
	v_fma_f64 v[41:42], v[49:50], v[59:60], v[41:42]
	v_add_f64 v[39:40], v[39:40], v[43:44]
	v_add_f64 v[5:6], v[5:6], v[45:46]
	;; [unrolled: 1-line block ×4, first 2 shown]
	s_waitcnt vmcnt(2)
	v_add_f64 v[39:40], v[61:62], -v[39:40]
	s_waitcnt vmcnt(0)
	v_add_f64 v[5:6], v[63:64], -v[5:6]
	buffer_store_dword v39, off, s[0:3], 0 offset:192
	buffer_store_dword v40, off, s[0:3], 0 offset:196
	;; [unrolled: 1-line block ×4, first 2 shown]
	v_cmpx_lt_u32_e32 11, v0
	s_cbranch_execz .LBB15_87
; %bb.86:
	v_mov_b32_e32 v5, s18
	s_clause 0x3
	buffer_load_dword v39, v5, s[0:3], 0 offen
	buffer_load_dword v40, v5, s[0:3], 0 offen offset:4
	buffer_load_dword v41, v5, s[0:3], 0 offen offset:8
	;; [unrolled: 1-line block ×3, first 2 shown]
	buffer_store_dword v4, off, s[0:3], 0 offset:176
	buffer_store_dword v4, off, s[0:3], 0 offset:180
	;; [unrolled: 1-line block ×4, first 2 shown]
	s_waitcnt vmcnt(0)
	ds_write_b128 v3, v[39:42]
.LBB15_87:
	s_or_b32 exec_lo, exec_lo, s6
	s_waitcnt lgkmcnt(0)
	s_waitcnt_vscnt null, 0x0
	s_barrier
	buffer_gl0_inv
	s_clause 0x13
	buffer_load_dword v5, off, s[0:3], 0 offset:200
	buffer_load_dword v6, off, s[0:3], 0 offset:204
	;; [unrolled: 1-line block ×20, first 2 shown]
	ds_read_b128 v[39:42], v4 offset:448
	ds_read_b128 v[43:46], v4 offset:464
	;; [unrolled: 1-line block ×3, first 2 shown]
	s_mov_b32 s6, exec_lo
	s_waitcnt vmcnt(18) lgkmcnt(2)
	v_mul_f64 v[69:70], v[41:42], v[5:6]
	v_mul_f64 v[5:6], v[39:40], v[5:6]
	s_waitcnt vmcnt(16) lgkmcnt(1)
	v_mul_f64 v[71:72], v[45:46], v[51:52]
	v_mul_f64 v[51:52], v[43:44], v[51:52]
	s_waitcnt vmcnt(14)
	v_fma_f64 v[69:70], v[39:40], v[53:54], -v[69:70]
	v_fma_f64 v[5:6], v[41:42], v[53:54], v[5:6]
	ds_read_b128 v[39:42], v4 offset:496
	s_waitcnt vmcnt(12) lgkmcnt(1)
	v_mul_f64 v[53:54], v[47:48], v[55:56]
	v_mul_f64 v[55:56], v[49:50], v[55:56]
	s_waitcnt vmcnt(10)
	v_fma_f64 v[43:44], v[43:44], v[57:58], -v[71:72]
	v_fma_f64 v[45:46], v[45:46], v[57:58], v[51:52]
	s_waitcnt vmcnt(8) lgkmcnt(0)
	v_mul_f64 v[57:58], v[41:42], v[59:60]
	v_add_f64 v[69:70], v[69:70], 0
	v_add_f64 v[4:5], v[5:6], 0
	v_mul_f64 v[51:52], v[39:40], v[59:60]
	s_waitcnt vmcnt(6)
	v_fma_f64 v[47:48], v[47:48], v[61:62], -v[55:56]
	v_fma_f64 v[49:50], v[49:50], v[61:62], v[53:54]
	s_waitcnt vmcnt(4)
	v_fma_f64 v[39:40], v[39:40], v[63:64], -v[57:58]
	v_add_f64 v[43:44], v[69:70], v[43:44]
	v_add_f64 v[4:5], v[4:5], v[45:46]
	v_fma_f64 v[41:42], v[41:42], v[63:64], v[51:52]
	v_add_f64 v[43:44], v[43:44], v[47:48]
	v_add_f64 v[4:5], v[4:5], v[49:50]
	;; [unrolled: 1-line block ×4, first 2 shown]
	s_waitcnt vmcnt(2)
	v_add_f64 v[39:40], v[65:66], -v[39:40]
	s_waitcnt vmcnt(0)
	v_add_f64 v[4:5], v[67:68], -v[4:5]
	buffer_store_dword v39, off, s[0:3], 0 offset:176
	buffer_store_dword v40, off, s[0:3], 0 offset:180
	;; [unrolled: 1-line block ×4, first 2 shown]
	v_cmpx_lt_u32_e32 10, v0
	s_cbranch_execz .LBB15_89
; %bb.88:
	v_mov_b32_e32 v4, s19
	s_clause 0x3
	buffer_load_dword v39, v4, s[0:3], 0 offen
	buffer_load_dword v40, v4, s[0:3], 0 offen offset:4
	buffer_load_dword v41, v4, s[0:3], 0 offen offset:8
	;; [unrolled: 1-line block ×3, first 2 shown]
	v_mov_b32_e32 v4, 0
	buffer_store_dword v4, off, s[0:3], 0 offset:160
	buffer_store_dword v4, off, s[0:3], 0 offset:164
	;; [unrolled: 1-line block ×4, first 2 shown]
	s_waitcnt vmcnt(0)
	ds_write_b128 v3, v[39:42]
.LBB15_89:
	s_or_b32 exec_lo, exec_lo, s6
	s_waitcnt lgkmcnt(0)
	s_waitcnt_vscnt null, 0x0
	s_barrier
	buffer_gl0_inv
	s_clause 0x17
	buffer_load_dword v5, off, s[0:3], 0 offset:184
	buffer_load_dword v6, off, s[0:3], 0 offset:188
	;; [unrolled: 1-line block ×24, first 2 shown]
	v_mov_b32_e32 v4, 0
	ds_read_b128 v[39:42], v4 offset:432
	ds_read_b128 v[43:46], v4 offset:448
	;; [unrolled: 1-line block ×3, first 2 shown]
	s_mov_b32 s6, exec_lo
	s_waitcnt vmcnt(22) lgkmcnt(2)
	v_mul_f64 v[73:74], v[41:42], v[5:6]
	v_mul_f64 v[5:6], v[39:40], v[5:6]
	s_waitcnt vmcnt(20) lgkmcnt(1)
	v_mul_f64 v[75:76], v[45:46], v[51:52]
	v_mul_f64 v[51:52], v[43:44], v[51:52]
	s_waitcnt vmcnt(18)
	v_fma_f64 v[73:74], v[39:40], v[53:54], -v[73:74]
	v_fma_f64 v[5:6], v[41:42], v[53:54], v[5:6]
	ds_read_b128 v[39:42], v4 offset:480
	s_waitcnt vmcnt(16) lgkmcnt(1)
	v_mul_f64 v[53:54], v[47:48], v[55:56]
	v_mul_f64 v[55:56], v[49:50], v[55:56]
	s_waitcnt vmcnt(14)
	v_fma_f64 v[75:76], v[43:44], v[57:58], -v[75:76]
	v_fma_f64 v[51:52], v[45:46], v[57:58], v[51:52]
	ds_read_b128 v[43:46], v4 offset:496
	s_waitcnt vmcnt(10) lgkmcnt(1)
	v_mul_f64 v[57:58], v[39:40], v[59:60]
	v_add_f64 v[73:74], v[73:74], 0
	v_add_f64 v[5:6], v[5:6], 0
	v_mul_f64 v[59:60], v[41:42], v[59:60]
	s_waitcnt vmcnt(8)
	v_fma_f64 v[47:48], v[47:48], v[65:66], -v[55:56]
	v_fma_f64 v[49:50], v[49:50], v[65:66], v[53:54]
	s_waitcnt vmcnt(7) lgkmcnt(0)
	v_mul_f64 v[53:54], v[45:46], v[61:62]
	s_waitcnt vmcnt(5)
	v_fma_f64 v[41:42], v[41:42], v[67:68], v[57:58]
	v_add_f64 v[55:56], v[73:74], v[75:76]
	v_add_f64 v[5:6], v[5:6], v[51:52]
	v_fma_f64 v[39:40], v[39:40], v[67:68], -v[59:60]
	v_mul_f64 v[51:52], v[43:44], v[61:62]
	s_waitcnt vmcnt(4)
	v_fma_f64 v[43:44], v[43:44], v[63:64], -v[53:54]
	v_add_f64 v[47:48], v[55:56], v[47:48]
	v_add_f64 v[5:6], v[5:6], v[49:50]
	v_fma_f64 v[45:46], v[45:46], v[63:64], v[51:52]
	v_add_f64 v[39:40], v[47:48], v[39:40]
	v_add_f64 v[5:6], v[5:6], v[41:42]
	v_add_f64 v[39:40], v[39:40], v[43:44]
	v_add_f64 v[5:6], v[5:6], v[45:46]
	s_waitcnt vmcnt(2)
	v_add_f64 v[39:40], v[69:70], -v[39:40]
	s_waitcnt vmcnt(0)
	v_add_f64 v[5:6], v[71:72], -v[5:6]
	buffer_store_dword v40, off, s[0:3], 0 offset:164
	buffer_store_dword v39, off, s[0:3], 0 offset:160
	;; [unrolled: 1-line block ×4, first 2 shown]
	v_cmpx_lt_u32_e32 9, v0
	s_cbranch_execz .LBB15_91
; %bb.90:
	v_mov_b32_e32 v5, s20
	s_clause 0x3
	buffer_load_dword v39, v5, s[0:3], 0 offen
	buffer_load_dword v40, v5, s[0:3], 0 offen offset:4
	buffer_load_dword v41, v5, s[0:3], 0 offen offset:8
	;; [unrolled: 1-line block ×3, first 2 shown]
	buffer_store_dword v4, off, s[0:3], 0 offset:144
	buffer_store_dword v4, off, s[0:3], 0 offset:148
	;; [unrolled: 1-line block ×4, first 2 shown]
	s_waitcnt vmcnt(0)
	ds_write_b128 v3, v[39:42]
.LBB15_91:
	s_or_b32 exec_lo, exec_lo, s6
	s_waitcnt lgkmcnt(0)
	s_waitcnt_vscnt null, 0x0
	s_barrier
	buffer_gl0_inv
	s_clause 0x1b
	buffer_load_dword v5, off, s[0:3], 0 offset:168
	buffer_load_dword v6, off, s[0:3], 0 offset:172
	;; [unrolled: 1-line block ×28, first 2 shown]
	ds_read_b128 v[39:42], v4 offset:416
	ds_read_b128 v[43:46], v4 offset:432
	ds_read_b128 v[47:50], v4 offset:448
	s_mov_b32 s6, exec_lo
	s_waitcnt vmcnt(26) lgkmcnt(2)
	v_mul_f64 v[77:78], v[41:42], v[5:6]
	v_mul_f64 v[5:6], v[39:40], v[5:6]
	s_waitcnt vmcnt(24) lgkmcnt(1)
	v_mul_f64 v[79:80], v[45:46], v[51:52]
	v_mul_f64 v[51:52], v[43:44], v[51:52]
	s_waitcnt vmcnt(22)
	v_fma_f64 v[77:78], v[39:40], v[53:54], -v[77:78]
	v_fma_f64 v[5:6], v[41:42], v[53:54], v[5:6]
	ds_read_b128 v[39:42], v4 offset:464
	s_waitcnt vmcnt(20) lgkmcnt(1)
	v_mul_f64 v[53:54], v[47:48], v[55:56]
	v_mul_f64 v[55:56], v[49:50], v[55:56]
	s_waitcnt vmcnt(18)
	v_fma_f64 v[79:80], v[43:44], v[57:58], -v[79:80]
	v_fma_f64 v[51:52], v[45:46], v[57:58], v[51:52]
	ds_read_b128 v[43:46], v4 offset:480
	s_waitcnt vmcnt(14) lgkmcnt(1)
	v_mul_f64 v[57:58], v[39:40], v[59:60]
	v_add_f64 v[77:78], v[77:78], 0
	v_add_f64 v[5:6], v[5:6], 0
	v_mul_f64 v[59:60], v[41:42], v[59:60]
	s_waitcnt vmcnt(12)
	v_fma_f64 v[55:56], v[47:48], v[65:66], -v[55:56]
	v_fma_f64 v[53:54], v[49:50], v[65:66], v[53:54]
	ds_read_b128 v[47:50], v4 offset:496
	s_waitcnt vmcnt(9)
	v_fma_f64 v[41:42], v[41:42], v[67:68], v[57:58]
	v_add_f64 v[77:78], v[77:78], v[79:80]
	v_add_f64 v[5:6], v[5:6], v[51:52]
	s_waitcnt lgkmcnt(1)
	v_mul_f64 v[51:52], v[43:44], v[61:62]
	v_mul_f64 v[61:62], v[45:46], v[61:62]
	v_fma_f64 v[39:40], v[39:40], v[67:68], -v[59:60]
	s_waitcnt vmcnt(7) lgkmcnt(0)
	v_mul_f64 v[57:58], v[49:50], v[69:70]
	v_add_f64 v[55:56], v[77:78], v[55:56]
	v_add_f64 v[4:5], v[5:6], v[53:54]
	v_mul_f64 v[53:54], v[47:48], v[69:70]
	s_waitcnt vmcnt(6)
	v_fma_f64 v[43:44], v[43:44], v[63:64], -v[61:62]
	v_fma_f64 v[45:46], v[45:46], v[63:64], v[51:52]
	v_add_f64 v[39:40], v[55:56], v[39:40]
	v_add_f64 v[4:5], v[4:5], v[41:42]
	s_waitcnt vmcnt(4)
	v_fma_f64 v[41:42], v[47:48], v[71:72], -v[57:58]
	v_add_f64 v[39:40], v[39:40], v[43:44]
	v_fma_f64 v[43:44], v[49:50], v[71:72], v[53:54]
	v_add_f64 v[4:5], v[4:5], v[45:46]
	v_add_f64 v[39:40], v[39:40], v[41:42]
	;; [unrolled: 1-line block ×3, first 2 shown]
	s_waitcnt vmcnt(2)
	v_add_f64 v[39:40], v[73:74], -v[39:40]
	s_waitcnt vmcnt(0)
	v_add_f64 v[4:5], v[75:76], -v[4:5]
	buffer_store_dword v40, off, s[0:3], 0 offset:148
	buffer_store_dword v39, off, s[0:3], 0 offset:144
	;; [unrolled: 1-line block ×4, first 2 shown]
	v_cmpx_lt_u32_e32 8, v0
	s_cbranch_execz .LBB15_93
; %bb.92:
	v_mov_b32_e32 v4, s21
	s_clause 0x3
	buffer_load_dword v39, v4, s[0:3], 0 offen
	buffer_load_dword v40, v4, s[0:3], 0 offen offset:4
	buffer_load_dword v41, v4, s[0:3], 0 offen offset:8
	;; [unrolled: 1-line block ×3, first 2 shown]
	v_mov_b32_e32 v4, 0
	buffer_store_dword v4, off, s[0:3], 0 offset:128
	buffer_store_dword v4, off, s[0:3], 0 offset:132
	;; [unrolled: 1-line block ×4, first 2 shown]
	s_waitcnt vmcnt(0)
	ds_write_b128 v3, v[39:42]
.LBB15_93:
	s_or_b32 exec_lo, exec_lo, s6
	s_waitcnt lgkmcnt(0)
	s_waitcnt_vscnt null, 0x0
	s_barrier
	buffer_gl0_inv
	s_clause 0x1f
	buffer_load_dword v5, off, s[0:3], 0 offset:152
	buffer_load_dword v6, off, s[0:3], 0 offset:156
	;; [unrolled: 1-line block ×32, first 2 shown]
	v_mov_b32_e32 v4, 0
	ds_read_b128 v[39:42], v4 offset:400
	ds_read_b128 v[43:46], v4 offset:416
	;; [unrolled: 1-line block ×3, first 2 shown]
	s_mov_b32 s6, exec_lo
	s_waitcnt vmcnt(30) lgkmcnt(2)
	v_mul_f64 v[81:82], v[41:42], v[5:6]
	v_mul_f64 v[5:6], v[39:40], v[5:6]
	s_waitcnt vmcnt(28) lgkmcnt(1)
	v_mul_f64 v[83:84], v[45:46], v[51:52]
	v_mul_f64 v[51:52], v[43:44], v[51:52]
	s_waitcnt vmcnt(26)
	v_fma_f64 v[81:82], v[39:40], v[53:54], -v[81:82]
	v_fma_f64 v[5:6], v[41:42], v[53:54], v[5:6]
	ds_read_b128 v[39:42], v4 offset:448
	s_waitcnt vmcnt(24) lgkmcnt(1)
	v_mul_f64 v[53:54], v[47:48], v[55:56]
	v_mul_f64 v[55:56], v[49:50], v[55:56]
	s_waitcnt vmcnt(22)
	v_fma_f64 v[83:84], v[43:44], v[57:58], -v[83:84]
	v_fma_f64 v[51:52], v[45:46], v[57:58], v[51:52]
	ds_read_b128 v[43:46], v4 offset:464
	s_waitcnt vmcnt(18) lgkmcnt(1)
	v_mul_f64 v[57:58], v[39:40], v[59:60]
	v_add_f64 v[81:82], v[81:82], 0
	v_add_f64 v[5:6], v[5:6], 0
	v_mul_f64 v[59:60], v[41:42], v[59:60]
	s_waitcnt vmcnt(16)
	v_fma_f64 v[55:56], v[47:48], v[65:66], -v[55:56]
	v_fma_f64 v[53:54], v[49:50], v[65:66], v[53:54]
	ds_read_b128 v[47:50], v4 offset:480
	s_waitcnt vmcnt(13)
	v_fma_f64 v[57:58], v[41:42], v[67:68], v[57:58]
	v_add_f64 v[81:82], v[81:82], v[83:84]
	v_add_f64 v[5:6], v[5:6], v[51:52]
	s_waitcnt lgkmcnt(1)
	v_mul_f64 v[51:52], v[43:44], v[61:62]
	v_mul_f64 v[61:62], v[45:46], v[61:62]
	v_fma_f64 v[59:60], v[39:40], v[67:68], -v[59:60]
	s_waitcnt vmcnt(9) lgkmcnt(0)
	v_mul_f64 v[65:66], v[49:50], v[69:70]
	ds_read_b128 v[39:42], v4 offset:496
	v_add_f64 v[55:56], v[81:82], v[55:56]
	v_add_f64 v[5:6], v[5:6], v[53:54]
	v_mul_f64 v[53:54], v[47:48], v[69:70]
	s_waitcnt vmcnt(8)
	v_fma_f64 v[43:44], v[43:44], v[63:64], -v[61:62]
	v_fma_f64 v[45:46], v[45:46], v[63:64], v[51:52]
	s_waitcnt vmcnt(5)
	v_fma_f64 v[47:48], v[47:48], v[75:76], -v[65:66]
	s_waitcnt lgkmcnt(0)
	v_mul_f64 v[51:52], v[39:40], v[71:72]
	v_add_f64 v[55:56], v[55:56], v[59:60]
	v_add_f64 v[5:6], v[5:6], v[57:58]
	v_mul_f64 v[57:58], v[41:42], v[71:72]
	v_fma_f64 v[49:50], v[49:50], v[75:76], v[53:54]
	s_waitcnt vmcnt(4)
	v_fma_f64 v[41:42], v[41:42], v[73:74], v[51:52]
	v_add_f64 v[43:44], v[55:56], v[43:44]
	v_add_f64 v[5:6], v[5:6], v[45:46]
	v_fma_f64 v[39:40], v[39:40], v[73:74], -v[57:58]
	v_add_f64 v[43:44], v[43:44], v[47:48]
	v_add_f64 v[5:6], v[5:6], v[49:50]
	v_add_f64 v[39:40], v[43:44], v[39:40]
	v_add_f64 v[5:6], v[5:6], v[41:42]
	s_waitcnt vmcnt(2)
	v_add_f64 v[39:40], v[77:78], -v[39:40]
	s_waitcnt vmcnt(0)
	v_add_f64 v[5:6], v[79:80], -v[5:6]
	buffer_store_dword v40, off, s[0:3], 0 offset:132
	buffer_store_dword v39, off, s[0:3], 0 offset:128
	;; [unrolled: 1-line block ×4, first 2 shown]
	v_cmpx_lt_u32_e32 7, v0
	s_cbranch_execz .LBB15_95
; %bb.94:
	v_mov_b32_e32 v5, s22
	s_clause 0x3
	buffer_load_dword v39, v5, s[0:3], 0 offen
	buffer_load_dword v40, v5, s[0:3], 0 offen offset:4
	buffer_load_dword v41, v5, s[0:3], 0 offen offset:8
	;; [unrolled: 1-line block ×3, first 2 shown]
	buffer_store_dword v4, off, s[0:3], 0 offset:112
	buffer_store_dword v4, off, s[0:3], 0 offset:116
	;; [unrolled: 1-line block ×4, first 2 shown]
	s_waitcnt vmcnt(0)
	ds_write_b128 v3, v[39:42]
.LBB15_95:
	s_or_b32 exec_lo, exec_lo, s6
	s_waitcnt lgkmcnt(0)
	s_waitcnt_vscnt null, 0x0
	s_barrier
	buffer_gl0_inv
	s_clause 0x23
	buffer_load_dword v5, off, s[0:3], 0 offset:136
	buffer_load_dword v6, off, s[0:3], 0 offset:140
	;; [unrolled: 1-line block ×36, first 2 shown]
	ds_read_b128 v[39:42], v4 offset:384
	ds_read_b128 v[43:46], v4 offset:400
	;; [unrolled: 1-line block ×3, first 2 shown]
	s_mov_b32 s6, exec_lo
	s_waitcnt vmcnt(34) lgkmcnt(2)
	v_mul_f64 v[85:86], v[41:42], v[5:6]
	v_mul_f64 v[5:6], v[39:40], v[5:6]
	s_waitcnt vmcnt(32) lgkmcnt(1)
	v_mul_f64 v[87:88], v[45:46], v[51:52]
	v_mul_f64 v[51:52], v[43:44], v[51:52]
	s_waitcnt vmcnt(30)
	v_fma_f64 v[85:86], v[39:40], v[53:54], -v[85:86]
	v_fma_f64 v[5:6], v[41:42], v[53:54], v[5:6]
	ds_read_b128 v[39:42], v4 offset:432
	s_waitcnt vmcnt(28) lgkmcnt(1)
	v_mul_f64 v[53:54], v[47:48], v[55:56]
	v_mul_f64 v[55:56], v[49:50], v[55:56]
	s_waitcnt vmcnt(26)
	v_fma_f64 v[87:88], v[43:44], v[57:58], -v[87:88]
	v_fma_f64 v[51:52], v[45:46], v[57:58], v[51:52]
	ds_read_b128 v[43:46], v4 offset:448
	s_waitcnt vmcnt(22) lgkmcnt(1)
	v_mul_f64 v[57:58], v[39:40], v[59:60]
	v_add_f64 v[85:86], v[85:86], 0
	v_add_f64 v[5:6], v[5:6], 0
	v_mul_f64 v[59:60], v[41:42], v[59:60]
	s_waitcnt vmcnt(20)
	v_fma_f64 v[55:56], v[47:48], v[65:66], -v[55:56]
	v_fma_f64 v[53:54], v[49:50], v[65:66], v[53:54]
	ds_read_b128 v[47:50], v4 offset:464
	s_waitcnt vmcnt(17)
	v_fma_f64 v[57:58], v[41:42], v[67:68], v[57:58]
	v_add_f64 v[85:86], v[85:86], v[87:88]
	v_add_f64 v[5:6], v[5:6], v[51:52]
	s_waitcnt lgkmcnt(1)
	v_mul_f64 v[51:52], v[43:44], v[61:62]
	v_mul_f64 v[61:62], v[45:46], v[61:62]
	v_fma_f64 v[59:60], v[39:40], v[67:68], -v[59:60]
	s_waitcnt vmcnt(13) lgkmcnt(0)
	v_mul_f64 v[65:66], v[49:50], v[69:70]
	ds_read_b128 v[39:42], v4 offset:480
	v_add_f64 v[55:56], v[85:86], v[55:56]
	v_add_f64 v[5:6], v[5:6], v[53:54]
	v_mul_f64 v[53:54], v[47:48], v[69:70]
	s_waitcnt vmcnt(12)
	v_fma_f64 v[61:62], v[43:44], v[63:64], -v[61:62]
	v_fma_f64 v[51:52], v[45:46], v[63:64], v[51:52]
	ds_read_b128 v[43:46], v4 offset:496
	s_waitcnt vmcnt(9)
	v_fma_f64 v[47:48], v[47:48], v[75:76], -v[65:66]
	v_add_f64 v[55:56], v[55:56], v[59:60]
	v_add_f64 v[5:6], v[5:6], v[57:58]
	s_waitcnt lgkmcnt(1)
	v_mul_f64 v[59:60], v[41:42], v[71:72]
	v_mul_f64 v[57:58], v[39:40], v[71:72]
	v_fma_f64 v[49:50], v[49:50], v[75:76], v[53:54]
	s_waitcnt vmcnt(7) lgkmcnt(0)
	v_mul_f64 v[53:54], v[45:46], v[77:78]
	v_add_f64 v[55:56], v[55:56], v[61:62]
	v_add_f64 v[4:5], v[5:6], v[51:52]
	s_waitcnt vmcnt(6)
	v_fma_f64 v[39:40], v[39:40], v[73:74], -v[59:60]
	v_mul_f64 v[51:52], v[43:44], v[77:78]
	v_fma_f64 v[41:42], v[41:42], v[73:74], v[57:58]
	s_waitcnt vmcnt(4)
	v_fma_f64 v[43:44], v[43:44], v[79:80], -v[53:54]
	v_add_f64 v[47:48], v[55:56], v[47:48]
	v_add_f64 v[4:5], v[4:5], v[49:50]
	v_fma_f64 v[45:46], v[45:46], v[79:80], v[51:52]
	v_add_f64 v[39:40], v[47:48], v[39:40]
	v_add_f64 v[4:5], v[4:5], v[41:42]
	;; [unrolled: 1-line block ×4, first 2 shown]
	s_waitcnt vmcnt(2)
	v_add_f64 v[39:40], v[81:82], -v[39:40]
	s_waitcnt vmcnt(0)
	v_add_f64 v[4:5], v[83:84], -v[4:5]
	buffer_store_dword v40, off, s[0:3], 0 offset:116
	buffer_store_dword v39, off, s[0:3], 0 offset:112
	buffer_store_dword v5, off, s[0:3], 0 offset:124
	buffer_store_dword v4, off, s[0:3], 0 offset:120
	v_cmpx_lt_u32_e32 6, v0
	s_cbranch_execz .LBB15_97
; %bb.96:
	v_mov_b32_e32 v4, s23
	s_clause 0x3
	buffer_load_dword v39, v4, s[0:3], 0 offen
	buffer_load_dword v40, v4, s[0:3], 0 offen offset:4
	buffer_load_dword v41, v4, s[0:3], 0 offen offset:8
	;; [unrolled: 1-line block ×3, first 2 shown]
	v_mov_b32_e32 v4, 0
	buffer_store_dword v4, off, s[0:3], 0 offset:96
	buffer_store_dword v4, off, s[0:3], 0 offset:100
	;; [unrolled: 1-line block ×4, first 2 shown]
	s_waitcnt vmcnt(0)
	ds_write_b128 v3, v[39:42]
.LBB15_97:
	s_or_b32 exec_lo, exec_lo, s6
	s_waitcnt lgkmcnt(0)
	s_waitcnt_vscnt null, 0x0
	s_barrier
	buffer_gl0_inv
	s_clause 0x27
	buffer_load_dword v5, off, s[0:3], 0 offset:120
	buffer_load_dword v6, off, s[0:3], 0 offset:124
	;; [unrolled: 1-line block ×40, first 2 shown]
	v_mov_b32_e32 v4, 0
	ds_read_b128 v[39:42], v4 offset:368
	ds_read_b128 v[43:46], v4 offset:384
	;; [unrolled: 1-line block ×3, first 2 shown]
	s_mov_b32 s6, exec_lo
	s_waitcnt vmcnt(38) lgkmcnt(2)
	v_mul_f64 v[89:90], v[41:42], v[5:6]
	v_mul_f64 v[5:6], v[39:40], v[5:6]
	s_waitcnt vmcnt(36) lgkmcnt(1)
	v_mul_f64 v[91:92], v[45:46], v[51:52]
	v_mul_f64 v[51:52], v[43:44], v[51:52]
	s_waitcnt vmcnt(34)
	v_fma_f64 v[89:90], v[39:40], v[53:54], -v[89:90]
	v_fma_f64 v[5:6], v[41:42], v[53:54], v[5:6]
	ds_read_b128 v[39:42], v4 offset:416
	s_waitcnt vmcnt(32) lgkmcnt(1)
	v_mul_f64 v[53:54], v[47:48], v[55:56]
	v_mul_f64 v[55:56], v[49:50], v[55:56]
	s_waitcnt vmcnt(30)
	v_fma_f64 v[91:92], v[43:44], v[57:58], -v[91:92]
	v_fma_f64 v[51:52], v[45:46], v[57:58], v[51:52]
	ds_read_b128 v[43:46], v4 offset:432
	s_waitcnt vmcnt(26) lgkmcnt(1)
	v_mul_f64 v[57:58], v[39:40], v[59:60]
	v_add_f64 v[89:90], v[89:90], 0
	v_add_f64 v[5:6], v[5:6], 0
	v_mul_f64 v[59:60], v[41:42], v[59:60]
	s_waitcnt vmcnt(24)
	v_fma_f64 v[55:56], v[47:48], v[65:66], -v[55:56]
	v_fma_f64 v[53:54], v[49:50], v[65:66], v[53:54]
	ds_read_b128 v[47:50], v4 offset:448
	s_waitcnt vmcnt(21)
	v_fma_f64 v[57:58], v[41:42], v[67:68], v[57:58]
	v_add_f64 v[89:90], v[89:90], v[91:92]
	v_add_f64 v[5:6], v[5:6], v[51:52]
	s_waitcnt lgkmcnt(1)
	v_mul_f64 v[51:52], v[43:44], v[61:62]
	v_mul_f64 v[61:62], v[45:46], v[61:62]
	v_fma_f64 v[59:60], v[39:40], v[67:68], -v[59:60]
	s_waitcnt vmcnt(17) lgkmcnt(0)
	v_mul_f64 v[65:66], v[49:50], v[69:70]
	ds_read_b128 v[39:42], v4 offset:464
	v_add_f64 v[55:56], v[89:90], v[55:56]
	v_add_f64 v[5:6], v[5:6], v[53:54]
	v_mul_f64 v[53:54], v[47:48], v[69:70]
	s_waitcnt vmcnt(16)
	v_fma_f64 v[61:62], v[43:44], v[63:64], -v[61:62]
	v_fma_f64 v[51:52], v[45:46], v[63:64], v[51:52]
	ds_read_b128 v[43:46], v4 offset:480
	s_waitcnt vmcnt(13)
	v_fma_f64 v[63:64], v[47:48], v[75:76], -v[65:66]
	v_add_f64 v[55:56], v[55:56], v[59:60]
	v_add_f64 v[5:6], v[5:6], v[57:58]
	s_waitcnt lgkmcnt(1)
	v_mul_f64 v[59:60], v[41:42], v[71:72]
	v_mul_f64 v[57:58], v[39:40], v[71:72]
	v_fma_f64 v[53:54], v[49:50], v[75:76], v[53:54]
	ds_read_b128 v[47:50], v4 offset:496
	v_add_f64 v[55:56], v[55:56], v[61:62]
	v_add_f64 v[5:6], v[5:6], v[51:52]
	s_waitcnt vmcnt(9) lgkmcnt(1)
	v_mul_f64 v[61:62], v[45:46], v[77:78]
	s_waitcnt vmcnt(8)
	v_fma_f64 v[39:40], v[39:40], v[73:74], -v[59:60]
	v_mul_f64 v[51:52], v[43:44], v[77:78]
	v_fma_f64 v[41:42], v[41:42], v[73:74], v[57:58]
	s_waitcnt vmcnt(7) lgkmcnt(0)
	v_mul_f64 v[57:58], v[49:50], v[79:80]
	v_add_f64 v[55:56], v[55:56], v[63:64]
	v_add_f64 v[5:6], v[5:6], v[53:54]
	s_waitcnt vmcnt(5)
	v_fma_f64 v[43:44], v[43:44], v[83:84], -v[61:62]
	v_mul_f64 v[53:54], v[47:48], v[79:80]
	v_fma_f64 v[45:46], v[45:46], v[83:84], v[51:52]
	v_add_f64 v[39:40], v[55:56], v[39:40]
	v_add_f64 v[5:6], v[5:6], v[41:42]
	s_waitcnt vmcnt(4)
	v_fma_f64 v[41:42], v[47:48], v[81:82], -v[57:58]
	v_add_f64 v[39:40], v[39:40], v[43:44]
	v_fma_f64 v[43:44], v[49:50], v[81:82], v[53:54]
	v_add_f64 v[5:6], v[5:6], v[45:46]
	v_add_f64 v[39:40], v[39:40], v[41:42]
	v_add_f64 v[5:6], v[5:6], v[43:44]
	s_waitcnt vmcnt(2)
	v_add_f64 v[39:40], v[85:86], -v[39:40]
	s_waitcnt vmcnt(0)
	v_add_f64 v[5:6], v[87:88], -v[5:6]
	buffer_store_dword v40, off, s[0:3], 0 offset:100
	buffer_store_dword v39, off, s[0:3], 0 offset:96
	;; [unrolled: 1-line block ×4, first 2 shown]
	v_cmpx_lt_u32_e32 5, v0
	s_cbranch_execz .LBB15_99
; %bb.98:
	v_mov_b32_e32 v5, s24
	s_clause 0x3
	buffer_load_dword v39, v5, s[0:3], 0 offen
	buffer_load_dword v40, v5, s[0:3], 0 offen offset:4
	buffer_load_dword v41, v5, s[0:3], 0 offen offset:8
	;; [unrolled: 1-line block ×3, first 2 shown]
	buffer_store_dword v4, off, s[0:3], 0 offset:80
	buffer_store_dword v4, off, s[0:3], 0 offset:84
	;; [unrolled: 1-line block ×4, first 2 shown]
	s_waitcnt vmcnt(0)
	ds_write_b128 v3, v[39:42]
.LBB15_99:
	s_or_b32 exec_lo, exec_lo, s6
	s_waitcnt lgkmcnt(0)
	s_waitcnt_vscnt null, 0x0
	s_barrier
	buffer_gl0_inv
	s_clause 0x2b
	buffer_load_dword v5, off, s[0:3], 0 offset:104
	buffer_load_dword v6, off, s[0:3], 0 offset:108
	;; [unrolled: 1-line block ×44, first 2 shown]
	ds_read_b128 v[39:42], v4 offset:352
	ds_read_b128 v[43:46], v4 offset:368
	;; [unrolled: 1-line block ×3, first 2 shown]
	s_mov_b32 s6, exec_lo
	s_waitcnt vmcnt(42) lgkmcnt(2)
	v_mul_f64 v[93:94], v[41:42], v[5:6]
	v_mul_f64 v[5:6], v[39:40], v[5:6]
	s_waitcnt vmcnt(40) lgkmcnt(1)
	v_mul_f64 v[95:96], v[45:46], v[51:52]
	v_mul_f64 v[51:52], v[43:44], v[51:52]
	s_waitcnt vmcnt(38)
	v_fma_f64 v[93:94], v[39:40], v[53:54], -v[93:94]
	v_fma_f64 v[5:6], v[41:42], v[53:54], v[5:6]
	ds_read_b128 v[39:42], v4 offset:400
	s_waitcnt vmcnt(36) lgkmcnt(1)
	v_mul_f64 v[53:54], v[47:48], v[55:56]
	v_mul_f64 v[55:56], v[49:50], v[55:56]
	s_waitcnt vmcnt(34)
	v_fma_f64 v[95:96], v[43:44], v[57:58], -v[95:96]
	v_fma_f64 v[51:52], v[45:46], v[57:58], v[51:52]
	ds_read_b128 v[43:46], v4 offset:416
	s_waitcnt vmcnt(30) lgkmcnt(1)
	v_mul_f64 v[57:58], v[39:40], v[59:60]
	v_add_f64 v[93:94], v[93:94], 0
	v_add_f64 v[5:6], v[5:6], 0
	v_mul_f64 v[59:60], v[41:42], v[59:60]
	s_waitcnt vmcnt(28)
	v_fma_f64 v[55:56], v[47:48], v[65:66], -v[55:56]
	v_fma_f64 v[53:54], v[49:50], v[65:66], v[53:54]
	ds_read_b128 v[47:50], v4 offset:432
	s_waitcnt vmcnt(25)
	v_fma_f64 v[57:58], v[41:42], v[67:68], v[57:58]
	v_add_f64 v[93:94], v[93:94], v[95:96]
	v_add_f64 v[5:6], v[5:6], v[51:52]
	s_waitcnt lgkmcnt(1)
	v_mul_f64 v[51:52], v[43:44], v[61:62]
	v_mul_f64 v[61:62], v[45:46], v[61:62]
	v_fma_f64 v[59:60], v[39:40], v[67:68], -v[59:60]
	s_waitcnt vmcnt(21) lgkmcnt(0)
	v_mul_f64 v[65:66], v[49:50], v[69:70]
	ds_read_b128 v[39:42], v4 offset:448
	v_add_f64 v[55:56], v[93:94], v[55:56]
	v_add_f64 v[5:6], v[5:6], v[53:54]
	v_mul_f64 v[53:54], v[47:48], v[69:70]
	s_waitcnt vmcnt(20)
	v_fma_f64 v[61:62], v[43:44], v[63:64], -v[61:62]
	v_fma_f64 v[51:52], v[45:46], v[63:64], v[51:52]
	ds_read_b128 v[43:46], v4 offset:464
	s_waitcnt vmcnt(17)
	v_fma_f64 v[63:64], v[47:48], v[75:76], -v[65:66]
	v_add_f64 v[55:56], v[55:56], v[59:60]
	v_add_f64 v[5:6], v[5:6], v[57:58]
	s_waitcnt lgkmcnt(1)
	v_mul_f64 v[59:60], v[41:42], v[71:72]
	v_mul_f64 v[57:58], v[39:40], v[71:72]
	v_fma_f64 v[53:54], v[49:50], v[75:76], v[53:54]
	ds_read_b128 v[47:50], v4 offset:480
	v_add_f64 v[55:56], v[55:56], v[61:62]
	v_add_f64 v[5:6], v[5:6], v[51:52]
	s_waitcnt vmcnt(13) lgkmcnt(1)
	v_mul_f64 v[61:62], v[45:46], v[77:78]
	s_waitcnt vmcnt(12)
	v_fma_f64 v[59:60], v[39:40], v[73:74], -v[59:60]
	v_mul_f64 v[51:52], v[43:44], v[77:78]
	v_fma_f64 v[57:58], v[41:42], v[73:74], v[57:58]
	ds_read_b128 v[39:42], v4 offset:496
	v_add_f64 v[55:56], v[55:56], v[63:64]
	v_add_f64 v[5:6], v[5:6], v[53:54]
	s_waitcnt vmcnt(11) lgkmcnt(1)
	v_mul_f64 v[63:64], v[49:50], v[79:80]
	s_waitcnt vmcnt(9)
	v_fma_f64 v[43:44], v[43:44], v[83:84], -v[61:62]
	v_mul_f64 v[53:54], v[47:48], v[79:80]
	v_fma_f64 v[45:46], v[45:46], v[83:84], v[51:52]
	s_waitcnt vmcnt(7) lgkmcnt(0)
	v_mul_f64 v[51:52], v[39:40], v[85:86]
	v_add_f64 v[55:56], v[55:56], v[59:60]
	v_add_f64 v[4:5], v[5:6], v[57:58]
	v_mul_f64 v[57:58], v[41:42], v[85:86]
	s_waitcnt vmcnt(6)
	v_fma_f64 v[47:48], v[47:48], v[81:82], -v[63:64]
	v_fma_f64 v[49:50], v[49:50], v[81:82], v[53:54]
	s_waitcnt vmcnt(4)
	v_fma_f64 v[41:42], v[41:42], v[87:88], v[51:52]
	v_add_f64 v[43:44], v[55:56], v[43:44]
	v_add_f64 v[4:5], v[4:5], v[45:46]
	v_fma_f64 v[39:40], v[39:40], v[87:88], -v[57:58]
	v_add_f64 v[43:44], v[43:44], v[47:48]
	v_add_f64 v[4:5], v[4:5], v[49:50]
	;; [unrolled: 1-line block ×4, first 2 shown]
	s_waitcnt vmcnt(2)
	v_add_f64 v[39:40], v[89:90], -v[39:40]
	s_waitcnt vmcnt(0)
	v_add_f64 v[4:5], v[91:92], -v[4:5]
	buffer_store_dword v40, off, s[0:3], 0 offset:84
	buffer_store_dword v39, off, s[0:3], 0 offset:80
	;; [unrolled: 1-line block ×4, first 2 shown]
	v_cmpx_lt_u32_e32 4, v0
	s_cbranch_execz .LBB15_101
; %bb.100:
	v_mov_b32_e32 v4, s25
	s_clause 0x3
	buffer_load_dword v39, v4, s[0:3], 0 offen
	buffer_load_dword v40, v4, s[0:3], 0 offen offset:4
	buffer_load_dword v41, v4, s[0:3], 0 offen offset:8
	;; [unrolled: 1-line block ×3, first 2 shown]
	v_mov_b32_e32 v4, 0
	buffer_store_dword v4, off, s[0:3], 0 offset:64
	buffer_store_dword v4, off, s[0:3], 0 offset:68
	;; [unrolled: 1-line block ×4, first 2 shown]
	s_waitcnt vmcnt(0)
	ds_write_b128 v3, v[39:42]
.LBB15_101:
	s_or_b32 exec_lo, exec_lo, s6
	s_waitcnt lgkmcnt(0)
	s_waitcnt_vscnt null, 0x0
	s_barrier
	buffer_gl0_inv
	s_clause 0x2f
	buffer_load_dword v5, off, s[0:3], 0 offset:88
	buffer_load_dword v6, off, s[0:3], 0 offset:92
	;; [unrolled: 1-line block ×48, first 2 shown]
	v_mov_b32_e32 v4, 0
	ds_read_b128 v[39:42], v4 offset:336
	ds_read_b128 v[43:46], v4 offset:352
	;; [unrolled: 1-line block ×3, first 2 shown]
	s_mov_b32 s6, exec_lo
	s_waitcnt vmcnt(46) lgkmcnt(2)
	v_mul_f64 v[97:98], v[41:42], v[5:6]
	v_mul_f64 v[5:6], v[39:40], v[5:6]
	s_waitcnt vmcnt(44) lgkmcnt(1)
	v_mul_f64 v[99:100], v[45:46], v[51:52]
	v_mul_f64 v[51:52], v[43:44], v[51:52]
	s_waitcnt vmcnt(42)
	v_fma_f64 v[97:98], v[39:40], v[53:54], -v[97:98]
	v_fma_f64 v[5:6], v[41:42], v[53:54], v[5:6]
	ds_read_b128 v[39:42], v4 offset:384
	s_waitcnt vmcnt(40) lgkmcnt(1)
	v_mul_f64 v[53:54], v[47:48], v[55:56]
	v_mul_f64 v[55:56], v[49:50], v[55:56]
	s_waitcnt vmcnt(38)
	v_fma_f64 v[99:100], v[43:44], v[57:58], -v[99:100]
	v_fma_f64 v[51:52], v[45:46], v[57:58], v[51:52]
	ds_read_b128 v[43:46], v4 offset:400
	s_waitcnt vmcnt(34) lgkmcnt(1)
	v_mul_f64 v[57:58], v[39:40], v[59:60]
	v_add_f64 v[97:98], v[97:98], 0
	v_add_f64 v[5:6], v[5:6], 0
	v_mul_f64 v[59:60], v[41:42], v[59:60]
	s_waitcnt vmcnt(32)
	v_fma_f64 v[55:56], v[47:48], v[65:66], -v[55:56]
	v_fma_f64 v[53:54], v[49:50], v[65:66], v[53:54]
	ds_read_b128 v[47:50], v4 offset:416
	s_waitcnt vmcnt(29)
	v_fma_f64 v[57:58], v[41:42], v[67:68], v[57:58]
	v_add_f64 v[97:98], v[97:98], v[99:100]
	v_add_f64 v[5:6], v[5:6], v[51:52]
	s_waitcnt lgkmcnt(1)
	v_mul_f64 v[51:52], v[43:44], v[61:62]
	v_mul_f64 v[61:62], v[45:46], v[61:62]
	v_fma_f64 v[59:60], v[39:40], v[67:68], -v[59:60]
	s_waitcnt vmcnt(25) lgkmcnt(0)
	v_mul_f64 v[65:66], v[49:50], v[69:70]
	ds_read_b128 v[39:42], v4 offset:432
	v_add_f64 v[55:56], v[97:98], v[55:56]
	v_add_f64 v[5:6], v[5:6], v[53:54]
	v_mul_f64 v[53:54], v[47:48], v[69:70]
	s_waitcnt vmcnt(24)
	v_fma_f64 v[61:62], v[43:44], v[63:64], -v[61:62]
	v_fma_f64 v[51:52], v[45:46], v[63:64], v[51:52]
	ds_read_b128 v[43:46], v4 offset:448
	s_waitcnt vmcnt(21)
	v_fma_f64 v[63:64], v[47:48], v[75:76], -v[65:66]
	v_add_f64 v[55:56], v[55:56], v[59:60]
	v_add_f64 v[5:6], v[5:6], v[57:58]
	s_waitcnt lgkmcnt(1)
	v_mul_f64 v[59:60], v[41:42], v[71:72]
	v_mul_f64 v[57:58], v[39:40], v[71:72]
	v_fma_f64 v[53:54], v[49:50], v[75:76], v[53:54]
	ds_read_b128 v[47:50], v4 offset:464
	v_add_f64 v[55:56], v[55:56], v[61:62]
	v_add_f64 v[5:6], v[5:6], v[51:52]
	s_waitcnt vmcnt(17) lgkmcnt(1)
	v_mul_f64 v[61:62], v[45:46], v[77:78]
	s_waitcnt vmcnt(16)
	v_fma_f64 v[59:60], v[39:40], v[73:74], -v[59:60]
	v_mul_f64 v[51:52], v[43:44], v[77:78]
	v_fma_f64 v[57:58], v[41:42], v[73:74], v[57:58]
	ds_read_b128 v[39:42], v4 offset:480
	v_add_f64 v[55:56], v[55:56], v[63:64]
	v_add_f64 v[5:6], v[5:6], v[53:54]
	s_waitcnt vmcnt(15) lgkmcnt(1)
	v_mul_f64 v[63:64], v[49:50], v[79:80]
	s_waitcnt vmcnt(13)
	v_fma_f64 v[61:62], v[43:44], v[83:84], -v[61:62]
	;; [unrolled: 9-line block ×3, first 2 shown]
	v_mul_f64 v[57:58], v[39:40], v[85:86]
	v_fma_f64 v[49:50], v[49:50], v[81:82], v[53:54]
	s_waitcnt vmcnt(7) lgkmcnt(0)
	v_mul_f64 v[53:54], v[45:46], v[87:88]
	v_add_f64 v[55:56], v[55:56], v[61:62]
	v_add_f64 v[5:6], v[5:6], v[51:52]
	s_waitcnt vmcnt(5)
	v_fma_f64 v[39:40], v[39:40], v[91:92], -v[59:60]
	v_mul_f64 v[51:52], v[43:44], v[87:88]
	v_fma_f64 v[41:42], v[41:42], v[91:92], v[57:58]
	s_waitcnt vmcnt(4)
	v_fma_f64 v[43:44], v[43:44], v[89:90], -v[53:54]
	v_add_f64 v[47:48], v[55:56], v[47:48]
	v_add_f64 v[5:6], v[5:6], v[49:50]
	v_fma_f64 v[45:46], v[45:46], v[89:90], v[51:52]
	v_add_f64 v[39:40], v[47:48], v[39:40]
	v_add_f64 v[5:6], v[5:6], v[41:42]
	;; [unrolled: 1-line block ×4, first 2 shown]
	s_waitcnt vmcnt(2)
	v_add_f64 v[39:40], v[93:94], -v[39:40]
	s_waitcnt vmcnt(0)
	v_add_f64 v[5:6], v[95:96], -v[5:6]
	buffer_store_dword v40, off, s[0:3], 0 offset:68
	buffer_store_dword v39, off, s[0:3], 0 offset:64
	;; [unrolled: 1-line block ×4, first 2 shown]
	v_cmpx_lt_u32_e32 3, v0
	s_cbranch_execz .LBB15_103
; %bb.102:
	v_mov_b32_e32 v5, s26
	s_clause 0x3
	buffer_load_dword v39, v5, s[0:3], 0 offen
	buffer_load_dword v40, v5, s[0:3], 0 offen offset:4
	buffer_load_dword v41, v5, s[0:3], 0 offen offset:8
	buffer_load_dword v42, v5, s[0:3], 0 offen offset:12
	buffer_store_dword v4, off, s[0:3], 0 offset:48
	buffer_store_dword v4, off, s[0:3], 0 offset:52
	;; [unrolled: 1-line block ×4, first 2 shown]
	s_waitcnt vmcnt(0)
	ds_write_b128 v3, v[39:42]
.LBB15_103:
	s_or_b32 exec_lo, exec_lo, s6
	s_waitcnt lgkmcnt(0)
	s_waitcnt_vscnt null, 0x0
	s_barrier
	buffer_gl0_inv
	s_clause 0x2f
	buffer_load_dword v5, off, s[0:3], 0 offset:72
	buffer_load_dword v6, off, s[0:3], 0 offset:76
	;; [unrolled: 1-line block ×48, first 2 shown]
	ds_read_b128 v[39:42], v4 offset:320
	s_clause 0x3
	buffer_load_dword v97, off, s[0:3], 0 offset:48
	buffer_load_dword v98, off, s[0:3], 0 offset:52
	;; [unrolled: 1-line block ×4, first 2 shown]
	ds_read_b128 v[43:46], v4 offset:336
	ds_read_b128 v[47:50], v4 offset:352
	s_mov_b32 s6, exec_lo
	s_waitcnt vmcnt(50) lgkmcnt(2)
	v_mul_f64 v[101:102], v[41:42], v[5:6]
	v_mul_f64 v[5:6], v[39:40], v[5:6]
	s_waitcnt vmcnt(48) lgkmcnt(1)
	v_mul_f64 v[103:104], v[45:46], v[51:52]
	v_mul_f64 v[51:52], v[43:44], v[51:52]
	s_waitcnt vmcnt(46)
	v_fma_f64 v[101:102], v[39:40], v[53:54], -v[101:102]
	v_fma_f64 v[5:6], v[41:42], v[53:54], v[5:6]
	s_waitcnt vmcnt(44) lgkmcnt(0)
	v_mul_f64 v[53:54], v[47:48], v[55:56]
	v_mul_f64 v[55:56], v[49:50], v[55:56]
	s_waitcnt vmcnt(42)
	v_fma_f64 v[103:104], v[43:44], v[57:58], -v[103:104]
	ds_read_b128 v[39:42], v4 offset:368
	v_fma_f64 v[51:52], v[45:46], v[57:58], v[51:52]
	ds_read_b128 v[43:46], v4 offset:384
	v_add_f64 v[101:102], v[101:102], 0
	v_add_f64 v[5:6], v[5:6], 0
	s_waitcnt vmcnt(36)
	v_fma_f64 v[53:54], v[49:50], v[65:66], v[53:54]
	s_waitcnt lgkmcnt(1)
	v_mul_f64 v[57:58], v[39:40], v[59:60]
	v_mul_f64 v[59:60], v[41:42], v[59:60]
	v_fma_f64 v[55:56], v[47:48], v[65:66], -v[55:56]
	ds_read_b128 v[47:50], v4 offset:400
	v_add_f64 v[101:102], v[101:102], v[103:104]
	v_add_f64 v[5:6], v[5:6], v[51:52]
	s_waitcnt vmcnt(35) lgkmcnt(1)
	v_mul_f64 v[51:52], v[43:44], v[61:62]
	v_mul_f64 v[61:62], v[45:46], v[61:62]
	s_waitcnt vmcnt(33)
	v_fma_f64 v[59:60], v[39:40], v[67:68], -v[59:60]
	v_fma_f64 v[57:58], v[41:42], v[67:68], v[57:58]
	ds_read_b128 v[39:42], v4 offset:416
	s_waitcnt vmcnt(29) lgkmcnt(1)
	v_mul_f64 v[65:66], v[49:50], v[69:70]
	v_add_f64 v[55:56], v[101:102], v[55:56]
	v_add_f64 v[5:6], v[5:6], v[53:54]
	v_mul_f64 v[53:54], v[47:48], v[69:70]
	s_waitcnt vmcnt(28)
	v_fma_f64 v[61:62], v[43:44], v[63:64], -v[61:62]
	v_fma_f64 v[51:52], v[45:46], v[63:64], v[51:52]
	ds_read_b128 v[43:46], v4 offset:432
	s_waitcnt vmcnt(25)
	v_fma_f64 v[63:64], v[47:48], v[75:76], -v[65:66]
	v_add_f64 v[55:56], v[55:56], v[59:60]
	v_add_f64 v[5:6], v[5:6], v[57:58]
	s_waitcnt lgkmcnt(1)
	v_mul_f64 v[59:60], v[41:42], v[71:72]
	v_mul_f64 v[57:58], v[39:40], v[71:72]
	v_fma_f64 v[53:54], v[49:50], v[75:76], v[53:54]
	ds_read_b128 v[47:50], v4 offset:448
	v_add_f64 v[55:56], v[55:56], v[61:62]
	v_add_f64 v[5:6], v[5:6], v[51:52]
	s_waitcnt vmcnt(21) lgkmcnt(1)
	v_mul_f64 v[61:62], v[45:46], v[77:78]
	s_waitcnt vmcnt(20)
	v_fma_f64 v[59:60], v[39:40], v[73:74], -v[59:60]
	v_mul_f64 v[51:52], v[43:44], v[77:78]
	v_fma_f64 v[57:58], v[41:42], v[73:74], v[57:58]
	ds_read_b128 v[39:42], v4 offset:464
	v_add_f64 v[55:56], v[55:56], v[63:64]
	v_add_f64 v[5:6], v[5:6], v[53:54]
	s_waitcnt vmcnt(19) lgkmcnt(1)
	v_mul_f64 v[63:64], v[49:50], v[79:80]
	s_waitcnt vmcnt(17)
	v_fma_f64 v[61:62], v[43:44], v[83:84], -v[61:62]
	;; [unrolled: 9-line block ×4, first 2 shown]
	v_mul_f64 v[51:52], v[43:44], v[87:88]
	v_fma_f64 v[41:42], v[41:42], v[91:92], v[57:58]
	s_waitcnt vmcnt(7) lgkmcnt(0)
	v_mul_f64 v[57:58], v[49:50], v[93:94]
	v_add_f64 v[55:56], v[55:56], v[63:64]
	v_add_f64 v[4:5], v[5:6], v[53:54]
	s_waitcnt vmcnt(6)
	v_fma_f64 v[43:44], v[43:44], v[89:90], -v[61:62]
	v_mul_f64 v[53:54], v[47:48], v[93:94]
	v_fma_f64 v[45:46], v[45:46], v[89:90], v[51:52]
	v_add_f64 v[39:40], v[55:56], v[39:40]
	v_add_f64 v[4:5], v[4:5], v[41:42]
	s_waitcnt vmcnt(4)
	v_fma_f64 v[41:42], v[47:48], v[95:96], -v[57:58]
	v_add_f64 v[39:40], v[39:40], v[43:44]
	v_fma_f64 v[43:44], v[49:50], v[95:96], v[53:54]
	v_add_f64 v[4:5], v[4:5], v[45:46]
	v_add_f64 v[39:40], v[39:40], v[41:42]
	;; [unrolled: 1-line block ×3, first 2 shown]
	s_waitcnt vmcnt(2)
	v_add_f64 v[39:40], v[97:98], -v[39:40]
	s_waitcnt vmcnt(0)
	v_add_f64 v[4:5], v[99:100], -v[4:5]
	buffer_store_dword v40, off, s[0:3], 0 offset:52
	buffer_store_dword v39, off, s[0:3], 0 offset:48
	;; [unrolled: 1-line block ×4, first 2 shown]
	v_cmpx_lt_u32_e32 2, v0
	s_cbranch_execz .LBB15_105
; %bb.104:
	v_mov_b32_e32 v4, s27
	s_clause 0x3
	buffer_load_dword v39, v4, s[0:3], 0 offen
	buffer_load_dword v40, v4, s[0:3], 0 offen offset:4
	buffer_load_dword v41, v4, s[0:3], 0 offen offset:8
	;; [unrolled: 1-line block ×3, first 2 shown]
	v_mov_b32_e32 v4, 0
	buffer_store_dword v4, off, s[0:3], 0 offset:32
	buffer_store_dword v4, off, s[0:3], 0 offset:36
	;; [unrolled: 1-line block ×4, first 2 shown]
	s_waitcnt vmcnt(0)
	ds_write_b128 v3, v[39:42]
.LBB15_105:
	s_or_b32 exec_lo, exec_lo, s6
	s_waitcnt lgkmcnt(0)
	s_waitcnt_vscnt null, 0x0
	s_barrier
	buffer_gl0_inv
	s_clause 0x33
	buffer_load_dword v5, off, s[0:3], 0 offset:56
	buffer_load_dword v6, off, s[0:3], 0 offset:60
	;; [unrolled: 1-line block ×52, first 2 shown]
	v_mov_b32_e32 v4, 0
	ds_read_b128 v[39:42], v4 offset:304
	ds_read_b128 v[43:46], v4 offset:320
	s_clause 0x3
	buffer_load_dword v103, off, s[0:3], 0 offset:32
	buffer_load_dword v104, off, s[0:3], 0 offset:36
	buffer_load_dword v105, off, s[0:3], 0 offset:40
	buffer_load_dword v106, off, s[0:3], 0 offset:44
	ds_read_b128 v[47:50], v4 offset:336
	s_mov_b32 s6, exec_lo
	s_waitcnt vmcnt(54) lgkmcnt(2)
	v_mul_f64 v[101:102], v[41:42], v[5:6]
	v_mul_f64 v[5:6], v[39:40], v[5:6]
	s_waitcnt vmcnt(52) lgkmcnt(1)
	v_mul_f64 v[107:108], v[45:46], v[51:52]
	v_mul_f64 v[51:52], v[43:44], v[51:52]
	s_waitcnt vmcnt(50)
	v_fma_f64 v[101:102], v[39:40], v[53:54], -v[101:102]
	v_fma_f64 v[5:6], v[41:42], v[53:54], v[5:6]
	ds_read_b128 v[39:42], v4 offset:352
	s_waitcnt vmcnt(48) lgkmcnt(1)
	v_mul_f64 v[53:54], v[47:48], v[55:56]
	v_mul_f64 v[55:56], v[49:50], v[55:56]
	s_waitcnt vmcnt(46)
	v_fma_f64 v[107:108], v[43:44], v[57:58], -v[107:108]
	v_fma_f64 v[51:52], v[45:46], v[57:58], v[51:52]
	ds_read_b128 v[43:46], v4 offset:368
	s_waitcnt vmcnt(42) lgkmcnt(1)
	v_mul_f64 v[57:58], v[39:40], v[59:60]
	v_add_f64 v[101:102], v[101:102], 0
	v_add_f64 v[5:6], v[5:6], 0
	v_mul_f64 v[59:60], v[41:42], v[59:60]
	s_waitcnt vmcnt(40)
	v_fma_f64 v[55:56], v[47:48], v[65:66], -v[55:56]
	v_fma_f64 v[53:54], v[49:50], v[65:66], v[53:54]
	ds_read_b128 v[47:50], v4 offset:384
	s_waitcnt vmcnt(37)
	v_fma_f64 v[57:58], v[41:42], v[67:68], v[57:58]
	v_add_f64 v[101:102], v[101:102], v[107:108]
	v_add_f64 v[5:6], v[5:6], v[51:52]
	s_waitcnt lgkmcnt(1)
	v_mul_f64 v[51:52], v[43:44], v[61:62]
	v_mul_f64 v[61:62], v[45:46], v[61:62]
	v_fma_f64 v[59:60], v[39:40], v[67:68], -v[59:60]
	s_waitcnt vmcnt(33) lgkmcnt(0)
	v_mul_f64 v[65:66], v[49:50], v[69:70]
	ds_read_b128 v[39:42], v4 offset:400
	v_add_f64 v[55:56], v[101:102], v[55:56]
	v_add_f64 v[5:6], v[5:6], v[53:54]
	v_mul_f64 v[53:54], v[47:48], v[69:70]
	s_waitcnt vmcnt(32)
	v_fma_f64 v[61:62], v[43:44], v[63:64], -v[61:62]
	v_fma_f64 v[51:52], v[45:46], v[63:64], v[51:52]
	ds_read_b128 v[43:46], v4 offset:416
	s_waitcnt vmcnt(29)
	v_fma_f64 v[63:64], v[47:48], v[75:76], -v[65:66]
	v_add_f64 v[55:56], v[55:56], v[59:60]
	v_add_f64 v[5:6], v[5:6], v[57:58]
	s_waitcnt lgkmcnt(1)
	v_mul_f64 v[59:60], v[41:42], v[71:72]
	v_mul_f64 v[57:58], v[39:40], v[71:72]
	v_fma_f64 v[53:54], v[49:50], v[75:76], v[53:54]
	ds_read_b128 v[47:50], v4 offset:432
	v_add_f64 v[55:56], v[55:56], v[61:62]
	v_add_f64 v[5:6], v[5:6], v[51:52]
	s_waitcnt vmcnt(25) lgkmcnt(1)
	v_mul_f64 v[61:62], v[45:46], v[77:78]
	s_waitcnt vmcnt(24)
	v_fma_f64 v[59:60], v[39:40], v[73:74], -v[59:60]
	v_mul_f64 v[51:52], v[43:44], v[77:78]
	v_fma_f64 v[57:58], v[41:42], v[73:74], v[57:58]
	ds_read_b128 v[39:42], v4 offset:448
	v_add_f64 v[55:56], v[55:56], v[63:64]
	v_add_f64 v[5:6], v[5:6], v[53:54]
	s_waitcnt vmcnt(23) lgkmcnt(1)
	v_mul_f64 v[63:64], v[49:50], v[79:80]
	s_waitcnt vmcnt(21)
	v_fma_f64 v[61:62], v[43:44], v[83:84], -v[61:62]
	v_mul_f64 v[53:54], v[47:48], v[79:80]
	v_fma_f64 v[51:52], v[45:46], v[83:84], v[51:52]
	ds_read_b128 v[43:46], v4 offset:464
	v_add_f64 v[55:56], v[55:56], v[59:60]
	v_add_f64 v[5:6], v[5:6], v[57:58]
	s_waitcnt vmcnt(17) lgkmcnt(1)
	v_mul_f64 v[59:60], v[41:42], v[85:86]
	s_waitcnt vmcnt(16)
	v_fma_f64 v[63:64], v[47:48], v[81:82], -v[63:64]
	v_mul_f64 v[57:58], v[39:40], v[85:86]
	v_fma_f64 v[53:54], v[49:50], v[81:82], v[53:54]
	ds_read_b128 v[47:50], v4 offset:480
	v_add_f64 v[55:56], v[55:56], v[61:62]
	v_add_f64 v[5:6], v[5:6], v[51:52]
	s_waitcnt vmcnt(15) lgkmcnt(1)
	v_mul_f64 v[61:62], v[45:46], v[87:88]
	s_waitcnt vmcnt(13)
	v_fma_f64 v[59:60], v[39:40], v[91:92], -v[59:60]
	v_mul_f64 v[51:52], v[43:44], v[87:88]
	v_fma_f64 v[57:58], v[41:42], v[91:92], v[57:58]
	ds_read_b128 v[39:42], v4 offset:496
	v_add_f64 v[55:56], v[55:56], v[63:64]
	v_add_f64 v[5:6], v[5:6], v[53:54]
	s_waitcnt vmcnt(9) lgkmcnt(1)
	v_mul_f64 v[63:64], v[49:50], v[93:94]
	s_waitcnt vmcnt(8)
	v_fma_f64 v[43:44], v[43:44], v[89:90], -v[61:62]
	v_mul_f64 v[53:54], v[47:48], v[93:94]
	v_fma_f64 v[45:46], v[45:46], v[89:90], v[51:52]
	s_waitcnt vmcnt(7) lgkmcnt(0)
	v_mul_f64 v[51:52], v[39:40], v[95:96]
	v_add_f64 v[55:56], v[55:56], v[59:60]
	v_add_f64 v[5:6], v[5:6], v[57:58]
	v_mul_f64 v[57:58], v[41:42], v[95:96]
	s_waitcnt vmcnt(5)
	v_fma_f64 v[47:48], v[47:48], v[99:100], -v[63:64]
	v_fma_f64 v[49:50], v[49:50], v[99:100], v[53:54]
	s_waitcnt vmcnt(4)
	v_fma_f64 v[41:42], v[41:42], v[97:98], v[51:52]
	v_add_f64 v[43:44], v[55:56], v[43:44]
	v_add_f64 v[5:6], v[5:6], v[45:46]
	v_fma_f64 v[39:40], v[39:40], v[97:98], -v[57:58]
	v_add_f64 v[43:44], v[43:44], v[47:48]
	v_add_f64 v[5:6], v[5:6], v[49:50]
	;; [unrolled: 1-line block ×4, first 2 shown]
	s_waitcnt vmcnt(2)
	v_add_f64 v[39:40], v[103:104], -v[39:40]
	s_waitcnt vmcnt(0)
	v_add_f64 v[5:6], v[105:106], -v[5:6]
	buffer_store_dword v40, off, s[0:3], 0 offset:36
	buffer_store_dword v39, off, s[0:3], 0 offset:32
	;; [unrolled: 1-line block ×4, first 2 shown]
	v_cmpx_lt_u32_e32 1, v0
	s_cbranch_execz .LBB15_107
; %bb.106:
	v_mov_b32_e32 v5, s28
	s_clause 0x3
	buffer_load_dword v39, v5, s[0:3], 0 offen
	buffer_load_dword v40, v5, s[0:3], 0 offen offset:4
	buffer_load_dword v41, v5, s[0:3], 0 offen offset:8
	;; [unrolled: 1-line block ×3, first 2 shown]
	buffer_store_dword v4, off, s[0:3], 0 offset:16
	buffer_store_dword v4, off, s[0:3], 0 offset:20
	;; [unrolled: 1-line block ×4, first 2 shown]
	s_waitcnt vmcnt(0)
	ds_write_b128 v3, v[39:42]
.LBB15_107:
	s_or_b32 exec_lo, exec_lo, s6
	s_waitcnt lgkmcnt(0)
	s_waitcnt_vscnt null, 0x0
	s_barrier
	buffer_gl0_inv
	s_clause 0x35
	buffer_load_dword v5, off, s[0:3], 0 offset:40
	buffer_load_dword v6, off, s[0:3], 0 offset:44
	;; [unrolled: 1-line block ×54, first 2 shown]
	ds_read_b128 v[39:42], v4 offset:288
	s_clause 0x1
	buffer_load_dword v104, off, s[0:3], 0 offset:244
	buffer_load_dword v103, off, s[0:3], 0 offset:240
	ds_read_b128 v[43:46], v4 offset:304
	ds_read_b128 v[47:50], v4 offset:320
	s_mov_b32 s6, exec_lo
	s_waitcnt vmcnt(54) lgkmcnt(2)
	v_mul_f64 v[105:106], v[41:42], v[5:6]
	v_mul_f64 v[5:6], v[39:40], v[5:6]
	s_waitcnt vmcnt(52) lgkmcnt(1)
	v_mul_f64 v[107:108], v[45:46], v[51:52]
	v_mul_f64 v[51:52], v[43:44], v[51:52]
	;; [unrolled: 3-line block ×3, first 2 shown]
	v_fma_f64 v[105:106], v[39:40], v[53:54], -v[105:106]
	v_fma_f64 v[5:6], v[41:42], v[53:54], v[5:6]
	s_clause 0x3
	buffer_load_dword v53, off, s[0:3], 0 offset:16
	buffer_load_dword v54, off, s[0:3], 0 offset:20
	;; [unrolled: 1-line block ×4, first 2 shown]
	s_waitcnt vmcnt(50)
	v_fma_f64 v[107:108], v[43:44], v[57:58], -v[107:108]
	ds_read_b128 v[39:42], v4 offset:336
	v_fma_f64 v[51:52], v[45:46], v[57:58], v[51:52]
	ds_read_b128 v[43:46], v4 offset:352
	s_waitcnt vmcnt(46)
	v_fma_f64 v[55:56], v[47:48], v[61:62], -v[55:56]
	v_fma_f64 v[61:62], v[49:50], v[61:62], v[111:112]
	ds_read_b128 v[47:50], v4 offset:368
	v_add_f64 v[105:106], v[105:106], 0
	v_add_f64 v[5:6], v[5:6], 0
	s_waitcnt lgkmcnt(2)
	v_mul_f64 v[57:58], v[39:40], v[59:60]
	v_mul_f64 v[59:60], v[41:42], v[59:60]
	v_add_f64 v[105:106], v[105:106], v[107:108]
	v_add_f64 v[5:6], v[5:6], v[51:52]
	s_waitcnt vmcnt(44) lgkmcnt(1)
	v_mul_f64 v[51:52], v[43:44], v[63:64]
	v_mul_f64 v[63:64], v[45:46], v[63:64]
	s_waitcnt vmcnt(42)
	v_fma_f64 v[59:60], v[39:40], v[65:66], -v[59:60]
	v_fma_f64 v[57:58], v[41:42], v[65:66], v[57:58]
	ds_read_b128 v[39:42], v4 offset:384
	s_waitcnt vmcnt(40) lgkmcnt(1)
	v_mul_f64 v[65:66], v[49:50], v[67:68]
	v_add_f64 v[55:56], v[105:106], v[55:56]
	v_add_f64 v[5:6], v[5:6], v[61:62]
	v_mul_f64 v[61:62], v[47:48], v[67:68]
	s_waitcnt vmcnt(38)
	v_fma_f64 v[63:64], v[43:44], v[69:70], -v[63:64]
	v_fma_f64 v[51:52], v[45:46], v[69:70], v[51:52]
	ds_read_b128 v[43:46], v4 offset:400
	s_waitcnt vmcnt(34)
	v_fma_f64 v[65:66], v[47:48], v[73:74], -v[65:66]
	v_add_f64 v[55:56], v[55:56], v[59:60]
	v_add_f64 v[5:6], v[5:6], v[57:58]
	s_waitcnt lgkmcnt(1)
	v_mul_f64 v[59:60], v[41:42], v[71:72]
	v_mul_f64 v[57:58], v[39:40], v[71:72]
	v_fma_f64 v[61:62], v[49:50], v[73:74], v[61:62]
	ds_read_b128 v[47:50], v4 offset:416
	v_add_f64 v[55:56], v[55:56], v[63:64]
	v_add_f64 v[5:6], v[5:6], v[51:52]
	s_waitcnt vmcnt(32) lgkmcnt(1)
	v_mul_f64 v[63:64], v[45:46], v[75:76]
	s_waitcnt vmcnt(30)
	v_fma_f64 v[59:60], v[39:40], v[77:78], -v[59:60]
	v_mul_f64 v[51:52], v[43:44], v[75:76]
	v_fma_f64 v[57:58], v[41:42], v[77:78], v[57:58]
	ds_read_b128 v[39:42], v4 offset:432
	v_add_f64 v[55:56], v[55:56], v[65:66]
	v_add_f64 v[5:6], v[5:6], v[61:62]
	s_waitcnt vmcnt(28) lgkmcnt(1)
	v_mul_f64 v[65:66], v[49:50], v[79:80]
	s_waitcnt vmcnt(26)
	v_fma_f64 v[63:64], v[43:44], v[81:82], -v[63:64]
	;; [unrolled: 9-line block ×6, first 2 shown]
	v_mul_f64 v[57:58], v[39:40], v[95:96]
	v_fma_f64 v[49:50], v[49:50], v[97:98], v[61:62]
	s_waitcnt vmcnt(8) lgkmcnt(0)
	v_mul_f64 v[61:62], v[45:46], v[99:100]
	v_add_f64 v[55:56], v[55:56], v[63:64]
	v_add_f64 v[4:5], v[5:6], v[51:52]
	s_waitcnt vmcnt(6)
	v_fma_f64 v[39:40], v[39:40], v[101:102], -v[59:60]
	v_mul_f64 v[51:52], v[43:44], v[99:100]
	v_fma_f64 v[41:42], v[41:42], v[101:102], v[57:58]
	s_waitcnt vmcnt(4)
	v_fma_f64 v[43:44], v[43:44], v[103:104], -v[61:62]
	v_add_f64 v[47:48], v[55:56], v[47:48]
	v_add_f64 v[4:5], v[4:5], v[49:50]
	v_fma_f64 v[45:46], v[45:46], v[103:104], v[51:52]
	v_add_f64 v[39:40], v[47:48], v[39:40]
	v_add_f64 v[4:5], v[4:5], v[41:42]
	;; [unrolled: 1-line block ×4, first 2 shown]
	s_waitcnt vmcnt(2)
	v_add_f64 v[39:40], v[53:54], -v[39:40]
	s_waitcnt vmcnt(0)
	v_add_f64 v[4:5], v[109:110], -v[4:5]
	buffer_store_dword v40, off, s[0:3], 0 offset:20
	buffer_store_dword v39, off, s[0:3], 0 offset:16
	;; [unrolled: 1-line block ×4, first 2 shown]
	v_cmpx_ne_u32_e32 0, v0
	s_cbranch_execz .LBB15_109
; %bb.108:
	s_clause 0x3
	buffer_load_dword v39, off, s[0:3], 0
	buffer_load_dword v40, off, s[0:3], 0 offset:4
	buffer_load_dword v41, off, s[0:3], 0 offset:8
	;; [unrolled: 1-line block ×3, first 2 shown]
	v_mov_b32_e32 v4, 0
	buffer_store_dword v4, off, s[0:3], 0
	buffer_store_dword v4, off, s[0:3], 0 offset:4
	buffer_store_dword v4, off, s[0:3], 0 offset:8
	;; [unrolled: 1-line block ×3, first 2 shown]
	s_waitcnt vmcnt(0)
	ds_write_b128 v3, v[39:42]
.LBB15_109:
	s_or_b32 exec_lo, exec_lo, s6
	s_waitcnt lgkmcnt(0)
	s_waitcnt_vscnt null, 0x0
	s_barrier
	buffer_gl0_inv
	s_clause 0x37
	buffer_load_dword v4, off, s[0:3], 0 offset:24
	buffer_load_dword v5, off, s[0:3], 0 offset:28
	;; [unrolled: 1-line block ×56, first 2 shown]
	v_mov_b32_e32 v3, 0
	s_and_b32 vcc_lo, exec_lo, s29
	ds_read_b128 v[39:42], v3 offset:272
	s_clause 0x2
	buffer_load_dword v104, off, s[0:3], 0 offset:252
	buffer_load_dword v108, off, s[0:3], 0 offset:228
	buffer_load_dword v107, off, s[0:3], 0 offset:224
	ds_read_b128 v[43:46], v3 offset:288
	ds_read_b128 v[47:50], v3 offset:304
	buffer_load_dword v106, off, s[0:3], 0 offset:244
	s_waitcnt vmcnt(58) lgkmcnt(2)
	v_mul_f64 v[109:110], v[41:42], v[4:5]
	v_mul_f64 v[4:5], v[39:40], v[4:5]
	s_waitcnt vmcnt(56) lgkmcnt(1)
	v_mul_f64 v[111:112], v[45:46], v[51:52]
	v_mul_f64 v[51:52], v[43:44], v[51:52]
	s_waitcnt vmcnt(54)
	v_fma_f64 v[109:110], v[39:40], v[53:54], -v[109:110]
	v_fma_f64 v[4:5], v[41:42], v[53:54], v[4:5]
	s_waitcnt vmcnt(52) lgkmcnt(0)
	v_mul_f64 v[53:54], v[47:48], v[55:56]
	v_mul_f64 v[55:56], v[49:50], v[55:56]
	s_waitcnt vmcnt(50)
	v_fma_f64 v[111:112], v[43:44], v[57:58], -v[111:112]
	ds_read_b128 v[39:42], v3 offset:320
	v_fma_f64 v[51:52], v[45:46], v[57:58], v[51:52]
	s_clause 0x3
	buffer_load_dword v57, off, s[0:3], 0
	buffer_load_dword v58, off, s[0:3], 0 offset:4
	buffer_load_dword v113, off, s[0:3], 0 offset:8
	;; [unrolled: 1-line block ×3, first 2 shown]
	ds_read_b128 v[43:46], v3 offset:336
	v_add_f64 v[109:110], v[109:110], 0
	v_add_f64 v[4:5], v[4:5], 0
	s_waitcnt vmcnt(48)
	v_fma_f64 v[53:54], v[49:50], v[65:66], v[53:54]
	s_waitcnt lgkmcnt(1)
	v_mul_f64 v[115:116], v[39:40], v[59:60]
	v_mul_f64 v[59:60], v[41:42], v[59:60]
	v_fma_f64 v[55:56], v[47:48], v[65:66], -v[55:56]
	ds_read_b128 v[47:50], v3 offset:352
	v_add_f64 v[109:110], v[109:110], v[111:112]
	v_add_f64 v[4:5], v[4:5], v[51:52]
	s_waitcnt vmcnt(47) lgkmcnt(1)
	v_mul_f64 v[51:52], v[43:44], v[61:62]
	v_mul_f64 v[61:62], v[45:46], v[61:62]
	s_waitcnt vmcnt(45)
	v_fma_f64 v[59:60], v[39:40], v[67:68], -v[59:60]
	v_fma_f64 v[65:66], v[41:42], v[67:68], v[115:116]
	s_waitcnt vmcnt(41) lgkmcnt(0)
	v_mul_f64 v[67:68], v[49:50], v[69:70]
	ds_read_b128 v[39:42], v3 offset:368
	v_add_f64 v[55:56], v[109:110], v[55:56]
	v_add_f64 v[4:5], v[4:5], v[53:54]
	v_mul_f64 v[53:54], v[47:48], v[69:70]
	s_waitcnt vmcnt(40)
	v_fma_f64 v[61:62], v[43:44], v[63:64], -v[61:62]
	v_fma_f64 v[51:52], v[45:46], v[63:64], v[51:52]
	ds_read_b128 v[43:46], v3 offset:384
	s_waitcnt vmcnt(39) lgkmcnt(1)
	v_mul_f64 v[63:64], v[41:42], v[71:72]
	v_add_f64 v[55:56], v[55:56], v[59:60]
	v_add_f64 v[4:5], v[4:5], v[65:66]
	s_waitcnt vmcnt(37)
	v_fma_f64 v[65:66], v[47:48], v[75:76], -v[67:68]
	v_mul_f64 v[59:60], v[39:40], v[71:72]
	v_fma_f64 v[53:54], v[49:50], v[75:76], v[53:54]
	ds_read_b128 v[47:50], v3 offset:400
	s_waitcnt vmcnt(32)
	v_fma_f64 v[63:64], v[39:40], v[73:74], -v[63:64]
	v_add_f64 v[55:56], v[55:56], v[61:62]
	v_add_f64 v[4:5], v[4:5], v[51:52]
	s_waitcnt lgkmcnt(1)
	v_mul_f64 v[61:62], v[45:46], v[77:78]
	v_mul_f64 v[51:52], v[43:44], v[77:78]
	v_fma_f64 v[59:60], v[41:42], v[73:74], v[59:60]
	ds_read_b128 v[39:42], v3 offset:416
	v_add_f64 v[55:56], v[55:56], v[65:66]
	v_add_f64 v[4:5], v[4:5], v[53:54]
	s_waitcnt vmcnt(31) lgkmcnt(1)
	v_mul_f64 v[65:66], v[49:50], v[79:80]
	s_waitcnt vmcnt(29)
	v_fma_f64 v[61:62], v[43:44], v[83:84], -v[61:62]
	v_mul_f64 v[53:54], v[47:48], v[79:80]
	v_fma_f64 v[51:52], v[45:46], v[83:84], v[51:52]
	ds_read_b128 v[43:46], v3 offset:432
	v_add_f64 v[55:56], v[55:56], v[63:64]
	v_add_f64 v[4:5], v[4:5], v[59:60]
	s_waitcnt vmcnt(25) lgkmcnt(1)
	v_mul_f64 v[63:64], v[41:42], v[85:86]
	s_waitcnt vmcnt(24)
	v_fma_f64 v[65:66], v[47:48], v[81:82], -v[65:66]
	;; [unrolled: 9-line block ×6, first 2 shown]
	v_mul_f64 v[51:52], v[43:44], v[101:102]
	v_fma_f64 v[41:42], v[41:42], v[97:98], v[59:60]
	s_waitcnt vmcnt(7) lgkmcnt(0)
	v_mul_f64 v[59:60], v[49:50], v[103:104]
	v_add_f64 v[55:56], v[55:56], v[65:66]
	v_add_f64 v[4:5], v[4:5], v[53:54]
	s_waitcnt vmcnt(5)
	v_fma_f64 v[43:44], v[43:44], v[107:108], -v[61:62]
	v_mul_f64 v[53:54], v[47:48], v[103:104]
	v_fma_f64 v[45:46], v[45:46], v[107:108], v[51:52]
	v_add_f64 v[39:40], v[55:56], v[39:40]
	v_add_f64 v[4:5], v[4:5], v[41:42]
	s_waitcnt vmcnt(4)
	v_fma_f64 v[41:42], v[47:48], v[105:106], -v[59:60]
	v_add_f64 v[39:40], v[39:40], v[43:44]
	v_fma_f64 v[43:44], v[49:50], v[105:106], v[53:54]
	v_add_f64 v[4:5], v[4:5], v[45:46]
	v_add_f64 v[39:40], v[39:40], v[41:42]
	;; [unrolled: 1-line block ×3, first 2 shown]
	s_waitcnt vmcnt(2)
	v_add_f64 v[39:40], v[57:58], -v[39:40]
	s_waitcnt vmcnt(0)
	v_add_f64 v[4:5], v[113:114], -v[4:5]
	buffer_store_dword v40, off, s[0:3], 0 offset:4
	buffer_store_dword v39, off, s[0:3], 0
	buffer_store_dword v5, off, s[0:3], 0 offset:12
	buffer_store_dword v4, off, s[0:3], 0 offset:8
	s_cbranch_vccz .LBB15_140
; %bb.110:
	global_load_dword v3, v3, s[10:11] offset:56
	s_load_dwordx2 s[4:5], s[4:5], 0x4
	s_waitcnt lgkmcnt(0)
	s_lshr_b32 s4, s4, 16
	v_mul_u32_u24_e32 v4, s5, v1
	s_mul_i32 s4, s4, s5
	v_mul_u32_u24_e32 v0, s4, v0
	v_add3_u32 v0, v0, v4, v2
	v_lshl_add_u32 v0, v0, 4, 0x208
	s_waitcnt vmcnt(0)
	v_add_nc_u32_e32 v1, -1, v3
	v_cmp_ne_u32_e32 vcc_lo, 14, v1
	s_cbranch_vccz .LBB15_112
; %bb.111:
	v_lshlrev_b32_e32 v1, 4, v1
	v_mov_b32_e32 v5, s13
	v_mov_b32_e32 v6, v1
	s_clause 0x7
	buffer_load_dword v1, v5, s[0:3], 0 offen
	buffer_load_dword v2, v5, s[0:3], 0 offen offset:4
	buffer_load_dword v3, v5, s[0:3], 0 offen offset:8
	;; [unrolled: 1-line block ×3, first 2 shown]
	buffer_load_dword v39, v6, s[0:3], 0 offen
	buffer_load_dword v40, v6, s[0:3], 0 offen offset:4
	buffer_load_dword v41, v6, s[0:3], 0 offen offset:8
	;; [unrolled: 1-line block ×3, first 2 shown]
	s_waitcnt vmcnt(4)
	ds_write2_b64 v0, v[1:2], v[3:4] offset1:1
	s_waitcnt vmcnt(3)
	buffer_store_dword v39, v5, s[0:3], 0 offen
	s_waitcnt vmcnt(2)
	buffer_store_dword v40, v5, s[0:3], 0 offen offset:4
	s_waitcnt vmcnt(1)
	buffer_store_dword v41, v5, s[0:3], 0 offen offset:8
	;; [unrolled: 2-line block ×3, first 2 shown]
	buffer_store_dword v4, v6, s[0:3], 0 offen offset:12
	buffer_store_dword v3, v6, s[0:3], 0 offen offset:8
	;; [unrolled: 1-line block ×3, first 2 shown]
	buffer_store_dword v1, v6, s[0:3], 0 offen
.LBB15_112:
	v_mov_b32_e32 v1, 0
	global_load_dword v2, v1, s[10:11] offset:52
	s_waitcnt vmcnt(0)
	v_add_nc_u32_e32 v2, -1, v2
	v_cmp_eq_u32_e32 vcc_lo, 13, v2
	s_cbranch_vccnz .LBB15_114
; %bb.113:
	v_lshlrev_b32_e32 v2, 4, v2
	v_mov_b32_e32 v6, s16
	v_mov_b32_e32 v39, v2
	s_clause 0x7
	buffer_load_dword v2, v6, s[0:3], 0 offen
	buffer_load_dword v3, v6, s[0:3], 0 offen offset:4
	buffer_load_dword v4, v6, s[0:3], 0 offen offset:8
	;; [unrolled: 1-line block ×3, first 2 shown]
	buffer_load_dword v40, v39, s[0:3], 0 offen
	buffer_load_dword v41, v39, s[0:3], 0 offen offset:4
	buffer_load_dword v42, v39, s[0:3], 0 offen offset:8
	;; [unrolled: 1-line block ×3, first 2 shown]
	s_waitcnt vmcnt(4)
	ds_write2_b64 v0, v[2:3], v[4:5] offset1:1
	s_waitcnt vmcnt(3)
	buffer_store_dword v40, v6, s[0:3], 0 offen
	s_waitcnt vmcnt(2)
	buffer_store_dword v41, v6, s[0:3], 0 offen offset:4
	s_waitcnt vmcnt(1)
	buffer_store_dword v42, v6, s[0:3], 0 offen offset:8
	;; [unrolled: 2-line block ×3, first 2 shown]
	buffer_store_dword v5, v39, s[0:3], 0 offen offset:12
	buffer_store_dword v4, v39, s[0:3], 0 offen offset:8
	;; [unrolled: 1-line block ×3, first 2 shown]
	buffer_store_dword v2, v39, s[0:3], 0 offen
.LBB15_114:
	global_load_dword v1, v1, s[10:11] offset:48
	s_waitcnt vmcnt(0)
	v_add_nc_u32_e32 v1, -1, v1
	v_cmp_eq_u32_e32 vcc_lo, 12, v1
	s_cbranch_vccnz .LBB15_116
; %bb.115:
	v_lshlrev_b32_e32 v1, 4, v1
	v_mov_b32_e32 v5, s17
	v_mov_b32_e32 v6, v1
	s_clause 0x7
	buffer_load_dword v1, v5, s[0:3], 0 offen
	buffer_load_dword v2, v5, s[0:3], 0 offen offset:4
	buffer_load_dword v3, v5, s[0:3], 0 offen offset:8
	buffer_load_dword v4, v5, s[0:3], 0 offen offset:12
	buffer_load_dword v39, v6, s[0:3], 0 offen
	buffer_load_dword v40, v6, s[0:3], 0 offen offset:4
	buffer_load_dword v41, v6, s[0:3], 0 offen offset:8
	;; [unrolled: 1-line block ×3, first 2 shown]
	s_waitcnt vmcnt(4)
	ds_write2_b64 v0, v[1:2], v[3:4] offset1:1
	s_waitcnt vmcnt(3)
	buffer_store_dword v39, v5, s[0:3], 0 offen
	s_waitcnt vmcnt(2)
	buffer_store_dword v40, v5, s[0:3], 0 offen offset:4
	s_waitcnt vmcnt(1)
	buffer_store_dword v41, v5, s[0:3], 0 offen offset:8
	;; [unrolled: 2-line block ×3, first 2 shown]
	buffer_store_dword v4, v6, s[0:3], 0 offen offset:12
	buffer_store_dword v3, v6, s[0:3], 0 offen offset:8
	;; [unrolled: 1-line block ×3, first 2 shown]
	buffer_store_dword v1, v6, s[0:3], 0 offen
.LBB15_116:
	v_mov_b32_e32 v1, 0
	global_load_dword v2, v1, s[10:11] offset:44
	s_waitcnt vmcnt(0)
	v_add_nc_u32_e32 v2, -1, v2
	v_cmp_eq_u32_e32 vcc_lo, 11, v2
	s_cbranch_vccnz .LBB15_118
; %bb.117:
	v_lshlrev_b32_e32 v2, 4, v2
	v_mov_b32_e32 v6, s18
	v_mov_b32_e32 v39, v2
	s_clause 0x7
	buffer_load_dword v2, v6, s[0:3], 0 offen
	buffer_load_dword v3, v6, s[0:3], 0 offen offset:4
	buffer_load_dword v4, v6, s[0:3], 0 offen offset:8
	;; [unrolled: 1-line block ×3, first 2 shown]
	buffer_load_dword v40, v39, s[0:3], 0 offen
	buffer_load_dword v41, v39, s[0:3], 0 offen offset:4
	buffer_load_dword v42, v39, s[0:3], 0 offen offset:8
	;; [unrolled: 1-line block ×3, first 2 shown]
	s_waitcnt vmcnt(4)
	ds_write2_b64 v0, v[2:3], v[4:5] offset1:1
	s_waitcnt vmcnt(3)
	buffer_store_dword v40, v6, s[0:3], 0 offen
	s_waitcnt vmcnt(2)
	buffer_store_dword v41, v6, s[0:3], 0 offen offset:4
	s_waitcnt vmcnt(1)
	buffer_store_dword v42, v6, s[0:3], 0 offen offset:8
	;; [unrolled: 2-line block ×3, first 2 shown]
	buffer_store_dword v5, v39, s[0:3], 0 offen offset:12
	buffer_store_dword v4, v39, s[0:3], 0 offen offset:8
	buffer_store_dword v3, v39, s[0:3], 0 offen offset:4
	buffer_store_dword v2, v39, s[0:3], 0 offen
.LBB15_118:
	global_load_dword v1, v1, s[10:11] offset:40
	s_waitcnt vmcnt(0)
	v_add_nc_u32_e32 v1, -1, v1
	v_cmp_eq_u32_e32 vcc_lo, 10, v1
	s_cbranch_vccnz .LBB15_120
; %bb.119:
	v_lshlrev_b32_e32 v1, 4, v1
	v_mov_b32_e32 v5, s19
	v_mov_b32_e32 v6, v1
	s_clause 0x7
	buffer_load_dword v1, v5, s[0:3], 0 offen
	buffer_load_dword v2, v5, s[0:3], 0 offen offset:4
	buffer_load_dword v3, v5, s[0:3], 0 offen offset:8
	;; [unrolled: 1-line block ×3, first 2 shown]
	buffer_load_dword v39, v6, s[0:3], 0 offen
	buffer_load_dword v40, v6, s[0:3], 0 offen offset:4
	buffer_load_dword v41, v6, s[0:3], 0 offen offset:8
	;; [unrolled: 1-line block ×3, first 2 shown]
	s_waitcnt vmcnt(4)
	ds_write2_b64 v0, v[1:2], v[3:4] offset1:1
	s_waitcnt vmcnt(3)
	buffer_store_dword v39, v5, s[0:3], 0 offen
	s_waitcnt vmcnt(2)
	buffer_store_dword v40, v5, s[0:3], 0 offen offset:4
	s_waitcnt vmcnt(1)
	buffer_store_dword v41, v5, s[0:3], 0 offen offset:8
	;; [unrolled: 2-line block ×3, first 2 shown]
	buffer_store_dword v4, v6, s[0:3], 0 offen offset:12
	buffer_store_dword v3, v6, s[0:3], 0 offen offset:8
	;; [unrolled: 1-line block ×3, first 2 shown]
	buffer_store_dword v1, v6, s[0:3], 0 offen
.LBB15_120:
	v_mov_b32_e32 v1, 0
	global_load_dword v2, v1, s[10:11] offset:36
	s_waitcnt vmcnt(0)
	v_add_nc_u32_e32 v2, -1, v2
	v_cmp_eq_u32_e32 vcc_lo, 9, v2
	s_cbranch_vccnz .LBB15_122
; %bb.121:
	v_lshlrev_b32_e32 v2, 4, v2
	v_mov_b32_e32 v6, s20
	v_mov_b32_e32 v39, v2
	s_clause 0x7
	buffer_load_dword v2, v6, s[0:3], 0 offen
	buffer_load_dword v3, v6, s[0:3], 0 offen offset:4
	buffer_load_dword v4, v6, s[0:3], 0 offen offset:8
	;; [unrolled: 1-line block ×3, first 2 shown]
	buffer_load_dword v40, v39, s[0:3], 0 offen
	buffer_load_dword v41, v39, s[0:3], 0 offen offset:4
	buffer_load_dword v42, v39, s[0:3], 0 offen offset:8
	;; [unrolled: 1-line block ×3, first 2 shown]
	s_waitcnt vmcnt(4)
	ds_write2_b64 v0, v[2:3], v[4:5] offset1:1
	s_waitcnt vmcnt(3)
	buffer_store_dword v40, v6, s[0:3], 0 offen
	s_waitcnt vmcnt(2)
	buffer_store_dword v41, v6, s[0:3], 0 offen offset:4
	s_waitcnt vmcnt(1)
	buffer_store_dword v42, v6, s[0:3], 0 offen offset:8
	;; [unrolled: 2-line block ×3, first 2 shown]
	buffer_store_dword v5, v39, s[0:3], 0 offen offset:12
	buffer_store_dword v4, v39, s[0:3], 0 offen offset:8
	;; [unrolled: 1-line block ×3, first 2 shown]
	buffer_store_dword v2, v39, s[0:3], 0 offen
.LBB15_122:
	global_load_dword v1, v1, s[10:11] offset:32
	s_waitcnt vmcnt(0)
	v_add_nc_u32_e32 v1, -1, v1
	v_cmp_eq_u32_e32 vcc_lo, 8, v1
	s_cbranch_vccnz .LBB15_124
; %bb.123:
	v_lshlrev_b32_e32 v1, 4, v1
	v_mov_b32_e32 v5, s21
	v_mov_b32_e32 v6, v1
	s_clause 0x7
	buffer_load_dword v1, v5, s[0:3], 0 offen
	buffer_load_dword v2, v5, s[0:3], 0 offen offset:4
	buffer_load_dword v3, v5, s[0:3], 0 offen offset:8
	buffer_load_dword v4, v5, s[0:3], 0 offen offset:12
	buffer_load_dword v39, v6, s[0:3], 0 offen
	buffer_load_dword v40, v6, s[0:3], 0 offen offset:4
	buffer_load_dword v41, v6, s[0:3], 0 offen offset:8
	;; [unrolled: 1-line block ×3, first 2 shown]
	s_waitcnt vmcnt(4)
	ds_write2_b64 v0, v[1:2], v[3:4] offset1:1
	s_waitcnt vmcnt(3)
	buffer_store_dword v39, v5, s[0:3], 0 offen
	s_waitcnt vmcnt(2)
	buffer_store_dword v40, v5, s[0:3], 0 offen offset:4
	s_waitcnt vmcnt(1)
	buffer_store_dword v41, v5, s[0:3], 0 offen offset:8
	;; [unrolled: 2-line block ×3, first 2 shown]
	buffer_store_dword v4, v6, s[0:3], 0 offen offset:12
	buffer_store_dword v3, v6, s[0:3], 0 offen offset:8
	;; [unrolled: 1-line block ×3, first 2 shown]
	buffer_store_dword v1, v6, s[0:3], 0 offen
.LBB15_124:
	v_mov_b32_e32 v1, 0
	global_load_dword v2, v1, s[10:11] offset:28
	s_waitcnt vmcnt(0)
	v_add_nc_u32_e32 v2, -1, v2
	v_cmp_eq_u32_e32 vcc_lo, 7, v2
	s_cbranch_vccnz .LBB15_126
; %bb.125:
	v_lshlrev_b32_e32 v2, 4, v2
	v_mov_b32_e32 v6, s22
	v_mov_b32_e32 v39, v2
	s_clause 0x7
	buffer_load_dword v2, v6, s[0:3], 0 offen
	buffer_load_dword v3, v6, s[0:3], 0 offen offset:4
	buffer_load_dword v4, v6, s[0:3], 0 offen offset:8
	;; [unrolled: 1-line block ×3, first 2 shown]
	buffer_load_dword v40, v39, s[0:3], 0 offen
	buffer_load_dword v41, v39, s[0:3], 0 offen offset:4
	buffer_load_dword v42, v39, s[0:3], 0 offen offset:8
	;; [unrolled: 1-line block ×3, first 2 shown]
	s_waitcnt vmcnt(4)
	ds_write2_b64 v0, v[2:3], v[4:5] offset1:1
	s_waitcnt vmcnt(3)
	buffer_store_dword v40, v6, s[0:3], 0 offen
	s_waitcnt vmcnt(2)
	buffer_store_dword v41, v6, s[0:3], 0 offen offset:4
	s_waitcnt vmcnt(1)
	buffer_store_dword v42, v6, s[0:3], 0 offen offset:8
	;; [unrolled: 2-line block ×3, first 2 shown]
	buffer_store_dword v5, v39, s[0:3], 0 offen offset:12
	buffer_store_dword v4, v39, s[0:3], 0 offen offset:8
	;; [unrolled: 1-line block ×3, first 2 shown]
	buffer_store_dword v2, v39, s[0:3], 0 offen
.LBB15_126:
	global_load_dword v1, v1, s[10:11] offset:24
	s_waitcnt vmcnt(0)
	v_add_nc_u32_e32 v1, -1, v1
	v_cmp_eq_u32_e32 vcc_lo, 6, v1
	s_cbranch_vccnz .LBB15_128
; %bb.127:
	v_lshlrev_b32_e32 v1, 4, v1
	v_mov_b32_e32 v5, s23
	v_mov_b32_e32 v6, v1
	s_clause 0x7
	buffer_load_dword v1, v5, s[0:3], 0 offen
	buffer_load_dword v2, v5, s[0:3], 0 offen offset:4
	buffer_load_dword v3, v5, s[0:3], 0 offen offset:8
	;; [unrolled: 1-line block ×3, first 2 shown]
	buffer_load_dword v39, v6, s[0:3], 0 offen
	buffer_load_dword v40, v6, s[0:3], 0 offen offset:4
	buffer_load_dword v41, v6, s[0:3], 0 offen offset:8
	;; [unrolled: 1-line block ×3, first 2 shown]
	s_waitcnt vmcnt(4)
	ds_write2_b64 v0, v[1:2], v[3:4] offset1:1
	s_waitcnt vmcnt(3)
	buffer_store_dword v39, v5, s[0:3], 0 offen
	s_waitcnt vmcnt(2)
	buffer_store_dword v40, v5, s[0:3], 0 offen offset:4
	s_waitcnt vmcnt(1)
	buffer_store_dword v41, v5, s[0:3], 0 offen offset:8
	;; [unrolled: 2-line block ×3, first 2 shown]
	buffer_store_dword v4, v6, s[0:3], 0 offen offset:12
	buffer_store_dword v3, v6, s[0:3], 0 offen offset:8
	;; [unrolled: 1-line block ×3, first 2 shown]
	buffer_store_dword v1, v6, s[0:3], 0 offen
.LBB15_128:
	v_mov_b32_e32 v1, 0
	global_load_dword v2, v1, s[10:11] offset:20
	s_waitcnt vmcnt(0)
	v_add_nc_u32_e32 v2, -1, v2
	v_cmp_eq_u32_e32 vcc_lo, 5, v2
	s_cbranch_vccnz .LBB15_130
; %bb.129:
	v_lshlrev_b32_e32 v2, 4, v2
	v_mov_b32_e32 v6, s24
	v_mov_b32_e32 v39, v2
	s_clause 0x7
	buffer_load_dword v2, v6, s[0:3], 0 offen
	buffer_load_dword v3, v6, s[0:3], 0 offen offset:4
	buffer_load_dword v4, v6, s[0:3], 0 offen offset:8
	;; [unrolled: 1-line block ×3, first 2 shown]
	buffer_load_dword v40, v39, s[0:3], 0 offen
	buffer_load_dword v41, v39, s[0:3], 0 offen offset:4
	buffer_load_dword v42, v39, s[0:3], 0 offen offset:8
	;; [unrolled: 1-line block ×3, first 2 shown]
	s_waitcnt vmcnt(4)
	ds_write2_b64 v0, v[2:3], v[4:5] offset1:1
	s_waitcnt vmcnt(3)
	buffer_store_dword v40, v6, s[0:3], 0 offen
	s_waitcnt vmcnt(2)
	buffer_store_dword v41, v6, s[0:3], 0 offen offset:4
	s_waitcnt vmcnt(1)
	buffer_store_dword v42, v6, s[0:3], 0 offen offset:8
	;; [unrolled: 2-line block ×3, first 2 shown]
	buffer_store_dword v5, v39, s[0:3], 0 offen offset:12
	buffer_store_dword v4, v39, s[0:3], 0 offen offset:8
	;; [unrolled: 1-line block ×3, first 2 shown]
	buffer_store_dword v2, v39, s[0:3], 0 offen
.LBB15_130:
	global_load_dword v1, v1, s[10:11] offset:16
	s_waitcnt vmcnt(0)
	v_add_nc_u32_e32 v1, -1, v1
	v_cmp_eq_u32_e32 vcc_lo, 4, v1
	s_cbranch_vccnz .LBB15_132
; %bb.131:
	v_lshlrev_b32_e32 v1, 4, v1
	v_mov_b32_e32 v5, s25
	v_mov_b32_e32 v6, v1
	s_clause 0x7
	buffer_load_dword v1, v5, s[0:3], 0 offen
	buffer_load_dword v2, v5, s[0:3], 0 offen offset:4
	buffer_load_dword v3, v5, s[0:3], 0 offen offset:8
	;; [unrolled: 1-line block ×3, first 2 shown]
	buffer_load_dword v39, v6, s[0:3], 0 offen
	buffer_load_dword v40, v6, s[0:3], 0 offen offset:4
	buffer_load_dword v41, v6, s[0:3], 0 offen offset:8
	;; [unrolled: 1-line block ×3, first 2 shown]
	s_waitcnt vmcnt(4)
	ds_write2_b64 v0, v[1:2], v[3:4] offset1:1
	s_waitcnt vmcnt(3)
	buffer_store_dword v39, v5, s[0:3], 0 offen
	s_waitcnt vmcnt(2)
	buffer_store_dword v40, v5, s[0:3], 0 offen offset:4
	s_waitcnt vmcnt(1)
	buffer_store_dword v41, v5, s[0:3], 0 offen offset:8
	;; [unrolled: 2-line block ×3, first 2 shown]
	buffer_store_dword v4, v6, s[0:3], 0 offen offset:12
	buffer_store_dword v3, v6, s[0:3], 0 offen offset:8
	;; [unrolled: 1-line block ×3, first 2 shown]
	buffer_store_dword v1, v6, s[0:3], 0 offen
.LBB15_132:
	v_mov_b32_e32 v1, 0
	global_load_dword v2, v1, s[10:11] offset:12
	s_waitcnt vmcnt(0)
	v_add_nc_u32_e32 v2, -1, v2
	v_cmp_eq_u32_e32 vcc_lo, 3, v2
	s_cbranch_vccnz .LBB15_134
; %bb.133:
	v_lshlrev_b32_e32 v2, 4, v2
	v_mov_b32_e32 v6, s26
	v_mov_b32_e32 v39, v2
	s_clause 0x7
	buffer_load_dword v2, v6, s[0:3], 0 offen
	buffer_load_dword v3, v6, s[0:3], 0 offen offset:4
	buffer_load_dword v4, v6, s[0:3], 0 offen offset:8
	;; [unrolled: 1-line block ×3, first 2 shown]
	buffer_load_dword v40, v39, s[0:3], 0 offen
	buffer_load_dword v41, v39, s[0:3], 0 offen offset:4
	buffer_load_dword v42, v39, s[0:3], 0 offen offset:8
	;; [unrolled: 1-line block ×3, first 2 shown]
	s_waitcnt vmcnt(4)
	ds_write2_b64 v0, v[2:3], v[4:5] offset1:1
	s_waitcnt vmcnt(3)
	buffer_store_dword v40, v6, s[0:3], 0 offen
	s_waitcnt vmcnt(2)
	buffer_store_dword v41, v6, s[0:3], 0 offen offset:4
	s_waitcnt vmcnt(1)
	buffer_store_dword v42, v6, s[0:3], 0 offen offset:8
	;; [unrolled: 2-line block ×3, first 2 shown]
	buffer_store_dword v5, v39, s[0:3], 0 offen offset:12
	buffer_store_dword v4, v39, s[0:3], 0 offen offset:8
	;; [unrolled: 1-line block ×3, first 2 shown]
	buffer_store_dword v2, v39, s[0:3], 0 offen
.LBB15_134:
	global_load_dword v1, v1, s[10:11] offset:8
	s_waitcnt vmcnt(0)
	v_add_nc_u32_e32 v1, -1, v1
	v_cmp_eq_u32_e32 vcc_lo, 2, v1
	s_cbranch_vccnz .LBB15_136
; %bb.135:
	v_lshlrev_b32_e32 v1, 4, v1
	v_mov_b32_e32 v5, s27
	v_mov_b32_e32 v6, v1
	s_clause 0x7
	buffer_load_dword v1, v5, s[0:3], 0 offen
	buffer_load_dword v2, v5, s[0:3], 0 offen offset:4
	buffer_load_dword v3, v5, s[0:3], 0 offen offset:8
	;; [unrolled: 1-line block ×3, first 2 shown]
	buffer_load_dword v39, v6, s[0:3], 0 offen
	buffer_load_dword v40, v6, s[0:3], 0 offen offset:4
	buffer_load_dword v41, v6, s[0:3], 0 offen offset:8
	;; [unrolled: 1-line block ×3, first 2 shown]
	s_waitcnt vmcnt(4)
	ds_write2_b64 v0, v[1:2], v[3:4] offset1:1
	s_waitcnt vmcnt(3)
	buffer_store_dword v39, v5, s[0:3], 0 offen
	s_waitcnt vmcnt(2)
	buffer_store_dword v40, v5, s[0:3], 0 offen offset:4
	s_waitcnt vmcnt(1)
	buffer_store_dword v41, v5, s[0:3], 0 offen offset:8
	;; [unrolled: 2-line block ×3, first 2 shown]
	buffer_store_dword v4, v6, s[0:3], 0 offen offset:12
	buffer_store_dword v3, v6, s[0:3], 0 offen offset:8
	;; [unrolled: 1-line block ×3, first 2 shown]
	buffer_store_dword v1, v6, s[0:3], 0 offen
.LBB15_136:
	v_mov_b32_e32 v1, 0
	global_load_dword v2, v1, s[10:11] offset:4
	s_waitcnt vmcnt(0)
	v_add_nc_u32_e32 v2, -1, v2
	v_cmp_eq_u32_e32 vcc_lo, 1, v2
	s_cbranch_vccnz .LBB15_138
; %bb.137:
	v_lshlrev_b32_e32 v2, 4, v2
	v_mov_b32_e32 v6, s28
	v_mov_b32_e32 v39, v2
	s_clause 0x7
	buffer_load_dword v2, v6, s[0:3], 0 offen
	buffer_load_dword v3, v6, s[0:3], 0 offen offset:4
	buffer_load_dword v4, v6, s[0:3], 0 offen offset:8
	;; [unrolled: 1-line block ×3, first 2 shown]
	buffer_load_dword v40, v39, s[0:3], 0 offen
	buffer_load_dword v41, v39, s[0:3], 0 offen offset:4
	buffer_load_dword v42, v39, s[0:3], 0 offen offset:8
	;; [unrolled: 1-line block ×3, first 2 shown]
	s_waitcnt vmcnt(4)
	ds_write2_b64 v0, v[2:3], v[4:5] offset1:1
	s_waitcnt vmcnt(3)
	buffer_store_dword v40, v6, s[0:3], 0 offen
	s_waitcnt vmcnt(2)
	buffer_store_dword v41, v6, s[0:3], 0 offen offset:4
	s_waitcnt vmcnt(1)
	buffer_store_dword v42, v6, s[0:3], 0 offen offset:8
	;; [unrolled: 2-line block ×3, first 2 shown]
	buffer_store_dword v5, v39, s[0:3], 0 offen offset:12
	buffer_store_dword v4, v39, s[0:3], 0 offen offset:8
	;; [unrolled: 1-line block ×3, first 2 shown]
	buffer_store_dword v2, v39, s[0:3], 0 offen
.LBB15_138:
	global_load_dword v1, v1, s[10:11]
	s_waitcnt vmcnt(0)
	v_add_nc_u32_e32 v1, -1, v1
	v_cmp_eq_u32_e32 vcc_lo, 0, v1
	s_cbranch_vccnz .LBB15_140
; %bb.139:
	v_lshlrev_b32_e32 v1, 4, v1
	v_mov_b32_e32 v5, v1
	s_clause 0x7
	buffer_load_dword v1, off, s[0:3], 0
	buffer_load_dword v2, off, s[0:3], 0 offset:4
	buffer_load_dword v3, off, s[0:3], 0 offset:8
	;; [unrolled: 1-line block ×3, first 2 shown]
	buffer_load_dword v6, v5, s[0:3], 0 offen
	buffer_load_dword v39, v5, s[0:3], 0 offen offset:4
	buffer_load_dword v40, v5, s[0:3], 0 offen offset:8
	buffer_load_dword v41, v5, s[0:3], 0 offen offset:12
	s_waitcnt vmcnt(4)
	ds_write2_b64 v0, v[1:2], v[3:4] offset1:1
	s_waitcnt vmcnt(3)
	buffer_store_dword v6, off, s[0:3], 0
	s_waitcnt vmcnt(2)
	buffer_store_dword v39, off, s[0:3], 0 offset:4
	s_waitcnt vmcnt(1)
	buffer_store_dword v40, off, s[0:3], 0 offset:8
	;; [unrolled: 2-line block ×3, first 2 shown]
	buffer_store_dword v4, v5, s[0:3], 0 offen offset:12
	buffer_store_dword v3, v5, s[0:3], 0 offen offset:8
	;; [unrolled: 1-line block ×3, first 2 shown]
	buffer_store_dword v1, v5, s[0:3], 0 offen
.LBB15_140:
	v_mov_b32_e32 v5, s27
	v_mov_b32_e32 v4, s28
	s_clause 0x7
	buffer_load_dword v0, off, s[0:3], 0
	buffer_load_dword v1, off, s[0:3], 0 offset:4
	buffer_load_dword v2, off, s[0:3], 0 offset:8
	buffer_load_dword v3, off, s[0:3], 0 offset:12
	buffer_load_dword v39, v4, s[0:3], 0 offen
	buffer_load_dword v40, v4, s[0:3], 0 offen offset:4
	buffer_load_dword v41, v4, s[0:3], 0 offen offset:8
	buffer_load_dword v42, v4, s[0:3], 0 offen offset:12
	v_mov_b32_e32 v4, s26
	v_mov_b32_e32 v6, s25
	s_clause 0x7
	buffer_load_dword v43, v5, s[0:3], 0 offen
	buffer_load_dword v44, v5, s[0:3], 0 offen offset:4
	buffer_load_dword v45, v5, s[0:3], 0 offen offset:8
	buffer_load_dword v46, v5, s[0:3], 0 offen offset:12
	buffer_load_dword v47, v4, s[0:3], 0 offen
	buffer_load_dword v48, v4, s[0:3], 0 offen offset:4
	buffer_load_dword v49, v4, s[0:3], 0 offen offset:8
	buffer_load_dword v50, v4, s[0:3], 0 offen offset:12
	v_mov_b32_e32 v5, s23
	v_mov_b32_e32 v4, s24
	s_clause 0x7
	buffer_load_dword v51, v6, s[0:3], 0 offen
	buffer_load_dword v52, v6, s[0:3], 0 offen offset:4
	buffer_load_dword v53, v6, s[0:3], 0 offen offset:8
	buffer_load_dword v54, v6, s[0:3], 0 offen offset:12
	;; [unrolled: 11-line block ×6, first 2 shown]
	buffer_load_dword v87, v4, s[0:3], 0 offen
	buffer_load_dword v88, v4, s[0:3], 0 offen offset:4
	buffer_load_dword v89, v4, s[0:3], 0 offen offset:8
	;; [unrolled: 1-line block ×3, first 2 shown]
	v_mov_b32_e32 v4, s12
	s_clause 0x7
	buffer_load_dword v91, v5, s[0:3], 0 offen
	buffer_load_dword v92, v5, s[0:3], 0 offen offset:4
	buffer_load_dword v93, v5, s[0:3], 0 offen offset:8
	;; [unrolled: 1-line block ×3, first 2 shown]
	buffer_load_dword v95, v4, s[0:3], 0 offen
	buffer_load_dword v96, v4, s[0:3], 0 offen offset:4
	buffer_load_dword v97, v4, s[0:3], 0 offen offset:8
	;; [unrolled: 1-line block ×3, first 2 shown]
	s_waitcnt vmcnt(60)
	global_store_dwordx4 v[7:8], v[0:3], off
	s_waitcnt vmcnt(56)
	global_store_dwordx4 v[9:10], v[39:42], off
	;; [unrolled: 2-line block ×16, first 2 shown]
	s_endpgm
	.section	.rodata,"a",@progbits
	.p2align	6, 0x0
	.amdhsa_kernel _ZN9rocsolver6v33100L18getri_kernel_smallILi16E19rocblas_complex_numIdEPS3_EEvT1_iilPiilS6_bb
		.amdhsa_group_segment_fixed_size 1544
		.amdhsa_private_segment_fixed_size 272
		.amdhsa_kernarg_size 60
		.amdhsa_user_sgpr_count 8
		.amdhsa_user_sgpr_private_segment_buffer 1
		.amdhsa_user_sgpr_dispatch_ptr 1
		.amdhsa_user_sgpr_queue_ptr 0
		.amdhsa_user_sgpr_kernarg_segment_ptr 1
		.amdhsa_user_sgpr_dispatch_id 0
		.amdhsa_user_sgpr_flat_scratch_init 0
		.amdhsa_user_sgpr_private_segment_size 0
		.amdhsa_wavefront_size32 1
		.amdhsa_uses_dynamic_stack 0
		.amdhsa_system_sgpr_private_segment_wavefront_offset 1
		.amdhsa_system_sgpr_workgroup_id_x 1
		.amdhsa_system_sgpr_workgroup_id_y 0
		.amdhsa_system_sgpr_workgroup_id_z 0
		.amdhsa_system_sgpr_workgroup_info 0
		.amdhsa_system_vgpr_workitem_id 2
		.amdhsa_next_free_vgpr 117
		.amdhsa_next_free_sgpr 37
		.amdhsa_reserve_vcc 1
		.amdhsa_reserve_flat_scratch 0
		.amdhsa_float_round_mode_32 0
		.amdhsa_float_round_mode_16_64 0
		.amdhsa_float_denorm_mode_32 3
		.amdhsa_float_denorm_mode_16_64 3
		.amdhsa_dx10_clamp 1
		.amdhsa_ieee_mode 1
		.amdhsa_fp16_overflow 0
		.amdhsa_workgroup_processor_mode 1
		.amdhsa_memory_ordered 1
		.amdhsa_forward_progress 1
		.amdhsa_shared_vgpr_count 0
		.amdhsa_exception_fp_ieee_invalid_op 0
		.amdhsa_exception_fp_denorm_src 0
		.amdhsa_exception_fp_ieee_div_zero 0
		.amdhsa_exception_fp_ieee_overflow 0
		.amdhsa_exception_fp_ieee_underflow 0
		.amdhsa_exception_fp_ieee_inexact 0
		.amdhsa_exception_int_div_zero 0
	.end_amdhsa_kernel
	.section	.text._ZN9rocsolver6v33100L18getri_kernel_smallILi16E19rocblas_complex_numIdEPS3_EEvT1_iilPiilS6_bb,"axG",@progbits,_ZN9rocsolver6v33100L18getri_kernel_smallILi16E19rocblas_complex_numIdEPS3_EEvT1_iilPiilS6_bb,comdat
.Lfunc_end15:
	.size	_ZN9rocsolver6v33100L18getri_kernel_smallILi16E19rocblas_complex_numIdEPS3_EEvT1_iilPiilS6_bb, .Lfunc_end15-_ZN9rocsolver6v33100L18getri_kernel_smallILi16E19rocblas_complex_numIdEPS3_EEvT1_iilPiilS6_bb
                                        ; -- End function
	.set _ZN9rocsolver6v33100L18getri_kernel_smallILi16E19rocblas_complex_numIdEPS3_EEvT1_iilPiilS6_bb.num_vgpr, 117
	.set _ZN9rocsolver6v33100L18getri_kernel_smallILi16E19rocblas_complex_numIdEPS3_EEvT1_iilPiilS6_bb.num_agpr, 0
	.set _ZN9rocsolver6v33100L18getri_kernel_smallILi16E19rocblas_complex_numIdEPS3_EEvT1_iilPiilS6_bb.numbered_sgpr, 37
	.set _ZN9rocsolver6v33100L18getri_kernel_smallILi16E19rocblas_complex_numIdEPS3_EEvT1_iilPiilS6_bb.num_named_barrier, 0
	.set _ZN9rocsolver6v33100L18getri_kernel_smallILi16E19rocblas_complex_numIdEPS3_EEvT1_iilPiilS6_bb.private_seg_size, 272
	.set _ZN9rocsolver6v33100L18getri_kernel_smallILi16E19rocblas_complex_numIdEPS3_EEvT1_iilPiilS6_bb.uses_vcc, 1
	.set _ZN9rocsolver6v33100L18getri_kernel_smallILi16E19rocblas_complex_numIdEPS3_EEvT1_iilPiilS6_bb.uses_flat_scratch, 0
	.set _ZN9rocsolver6v33100L18getri_kernel_smallILi16E19rocblas_complex_numIdEPS3_EEvT1_iilPiilS6_bb.has_dyn_sized_stack, 0
	.set _ZN9rocsolver6v33100L18getri_kernel_smallILi16E19rocblas_complex_numIdEPS3_EEvT1_iilPiilS6_bb.has_recursion, 0
	.set _ZN9rocsolver6v33100L18getri_kernel_smallILi16E19rocblas_complex_numIdEPS3_EEvT1_iilPiilS6_bb.has_indirect_call, 0
	.section	.AMDGPU.csdata,"",@progbits
; Kernel info:
; codeLenInByte = 26704
; TotalNumSgprs: 39
; NumVgprs: 117
; ScratchSize: 272
; MemoryBound: 0
; FloatMode: 240
; IeeeMode: 1
; LDSByteSize: 1544 bytes/workgroup (compile time only)
; SGPRBlocks: 0
; VGPRBlocks: 14
; NumSGPRsForWavesPerEU: 39
; NumVGPRsForWavesPerEU: 117
; Occupancy: 8
; WaveLimiterHint : 1
; COMPUTE_PGM_RSRC2:SCRATCH_EN: 1
; COMPUTE_PGM_RSRC2:USER_SGPR: 8
; COMPUTE_PGM_RSRC2:TRAP_HANDLER: 0
; COMPUTE_PGM_RSRC2:TGID_X_EN: 1
; COMPUTE_PGM_RSRC2:TGID_Y_EN: 0
; COMPUTE_PGM_RSRC2:TGID_Z_EN: 0
; COMPUTE_PGM_RSRC2:TIDIG_COMP_CNT: 2
	.section	.text._ZN9rocsolver6v33100L18getri_kernel_smallILi17E19rocblas_complex_numIdEPS3_EEvT1_iilPiilS6_bb,"axG",@progbits,_ZN9rocsolver6v33100L18getri_kernel_smallILi17E19rocblas_complex_numIdEPS3_EEvT1_iilPiilS6_bb,comdat
	.globl	_ZN9rocsolver6v33100L18getri_kernel_smallILi17E19rocblas_complex_numIdEPS3_EEvT1_iilPiilS6_bb ; -- Begin function _ZN9rocsolver6v33100L18getri_kernel_smallILi17E19rocblas_complex_numIdEPS3_EEvT1_iilPiilS6_bb
	.p2align	8
	.type	_ZN9rocsolver6v33100L18getri_kernel_smallILi17E19rocblas_complex_numIdEPS3_EEvT1_iilPiilS6_bb,@function
_ZN9rocsolver6v33100L18getri_kernel_smallILi17E19rocblas_complex_numIdEPS3_EEvT1_iilPiilS6_bb: ; @_ZN9rocsolver6v33100L18getri_kernel_smallILi17E19rocblas_complex_numIdEPS3_EEvT1_iilPiilS6_bb
; %bb.0:
	s_add_u32 s0, s0, s7
	s_addc_u32 s1, s1, 0
	s_mov_b32 s7, exec_lo
	v_cmpx_gt_u32_e32 17, v0
	s_cbranch_execz .LBB16_82
; %bb.1:
	s_clause 0x2
	s_load_dword s7, s[4:5], 0x38
	s_load_dwordx4 s[16:19], s[4:5], 0x10
	s_load_dwordx4 s[8:11], s[4:5], 0x28
                                        ; implicit-def: $sgpr20_sgpr21
	s_waitcnt lgkmcnt(0)
	s_bitcmp1_b32 s7, 8
	s_cselect_b32 s28, -1, 0
	s_bfe_u32 s12, s7, 0x10008
	s_ashr_i32 s7, s6, 31
	s_cmp_eq_u32 s12, 0
	s_cbranch_scc1 .LBB16_3
; %bb.2:
	s_load_dword s12, s[4:5], 0x20
	s_mul_i32 s13, s8, s7
	s_mul_hi_u32 s14, s8, s6
	s_mul_i32 s9, s9, s6
	s_add_i32 s13, s14, s13
	s_mul_i32 s8, s8, s6
	s_add_i32 s9, s13, s9
	s_lshl_b64 s[8:9], s[8:9], 2
	s_waitcnt lgkmcnt(0)
	s_ashr_i32 s13, s12, 31
	s_add_u32 s14, s18, s8
	s_addc_u32 s15, s19, s9
	s_lshl_b64 s[8:9], s[12:13], 2
	s_add_u32 s20, s14, s8
	s_addc_u32 s21, s15, s9
.LBB16_3:
	s_clause 0x1
	s_load_dwordx4 s[12:15], s[4:5], 0x0
	s_load_dword s29, s[4:5], 0x38
	s_mul_i32 s4, s16, s7
	s_mul_hi_u32 s5, s16, s6
	s_mul_i32 s8, s17, s6
	s_add_i32 s5, s5, s4
	s_mul_i32 s4, s16, s6
	s_add_i32 s5, s5, s8
	v_lshlrev_b32_e32 v45, 4, v0
	s_lshl_b64 s[4:5], s[4:5], 4
	s_movk_i32 s30, 0xc0
	s_movk_i32 s31, 0xd0
	;; [unrolled: 1-line block ×5, first 2 shown]
	s_mov_b32 s27, 32
	s_mov_b32 s26, 48
	;; [unrolled: 1-line block ×3, first 2 shown]
	s_movk_i32 s24, 0x50
	s_waitcnt lgkmcnt(0)
	v_add3_u32 v1, s15, s15, v0
	s_ashr_i32 s9, s14, 31
	s_mov_b32 s8, s14
	s_add_u32 s12, s12, s4
	s_addc_u32 s13, s13, s5
	v_add_nc_u32_e32 v11, s15, v1
	s_lshl_b64 s[4:5], s[8:9], 4
	v_ashrrev_i32_e32 v2, 31, v1
	s_add_u32 s4, s12, s4
	s_addc_u32 s5, s13, s5
	v_add_nc_u32_e32 v13, s15, v11
	v_ashrrev_i32_e32 v12, 31, v11
	v_add_co_u32 v5, s12, s4, v45
	s_mov_b32 s8, s15
	v_add_nc_u32_e32 v16, s15, v13
	v_ashrrev_i32_e32 v14, 31, v13
	s_ashr_i32 s9, s15, 31
	v_lshlrev_b64 v[1:2], 4, v[1:2]
	v_add_co_ci_u32_e64 v6, null, s5, 0, s12
	s_lshl_b64 s[8:9], s[8:9], 4
	v_lshlrev_b64 v[11:12], 4, v[11:12]
	v_add_nc_u32_e32 v18, s15, v16
	v_add_co_u32 v7, vcc_lo, v5, s8
	v_lshlrev_b64 v[14:15], 4, v[13:14]
	v_add_co_ci_u32_e64 v8, null, s9, v6, vcc_lo
	v_add_co_u32 v9, vcc_lo, s4, v1
	v_ashrrev_i32_e32 v17, 31, v16
	v_ashrrev_i32_e32 v19, 31, v18
	v_add_nc_u32_e32 v20, s15, v18
	v_add_co_ci_u32_e64 v10, null, s5, v2, vcc_lo
	v_add_co_u32 v11, vcc_lo, s4, v11
	v_add_co_ci_u32_e64 v12, null, s5, v12, vcc_lo
	v_add_co_u32 v13, vcc_lo, s4, v14
	v_add_co_ci_u32_e64 v14, null, s5, v15, vcc_lo
	v_lshlrev_b64 v[15:16], 4, v[16:17]
	v_lshlrev_b64 v[17:18], 4, v[18:19]
	v_add_nc_u32_e32 v19, s15, v20
	v_ashrrev_i32_e32 v21, 31, v20
	s_clause 0x2
	global_load_dwordx4 v[1:4], v45, s[4:5]
	global_load_dwordx4 v[39:42], v[7:8], off
	global_load_dwordx4 v[46:49], v[9:10], off
	v_add_co_u32 v15, vcc_lo, s4, v15
	v_add_nc_u32_e32 v23, s15, v19
	v_lshlrev_b64 v[21:22], 4, v[20:21]
	v_ashrrev_i32_e32 v20, 31, v19
	v_add_co_ci_u32_e64 v16, null, s5, v16, vcc_lo
	v_add_nc_u32_e32 v27, s15, v23
	v_add_co_u32 v17, vcc_lo, s4, v17
	v_lshlrev_b64 v[25:26], 4, v[19:20]
	v_add_co_ci_u32_e64 v18, null, s5, v18, vcc_lo
	v_ashrrev_i32_e32 v28, 31, v27
	v_add_nc_u32_e32 v29, s15, v27
	v_add_co_u32 v19, vcc_lo, s4, v21
	v_add_co_ci_u32_e64 v20, null, s5, v22, vcc_lo
	v_add_co_u32 v21, vcc_lo, s4, v25
	v_add_co_ci_u32_e64 v22, null, s5, v26, vcc_lo
	v_lshlrev_b64 v[25:26], 4, v[27:28]
	v_add_nc_u32_e32 v27, s15, v29
	v_ashrrev_i32_e32 v24, 31, v23
	v_ashrrev_i32_e32 v30, 31, v29
	s_clause 0x3
	global_load_dwordx4 v[50:53], v[11:12], off
	global_load_dwordx4 v[54:57], v[13:14], off
	;; [unrolled: 1-line block ×4, first 2 shown]
	v_add_nc_u32_e32 v31, s15, v27
	v_lshlrev_b64 v[23:24], 4, v[23:24]
	v_ashrrev_i32_e32 v28, 31, v27
	v_lshlrev_b64 v[29:30], 4, v[29:30]
	s_clause 0x1
	global_load_dwordx4 v[66:69], v[19:20], off
	global_load_dwordx4 v[70:73], v[21:22], off
	v_add_nc_u32_e32 v35, s15, v31
	v_add_co_u32 v23, vcc_lo, s4, v23
	v_lshlrev_b64 v[33:34], 4, v[27:28]
	v_add_co_ci_u32_e64 v24, null, s5, v24, vcc_lo
	v_add_co_u32 v25, vcc_lo, s4, v25
	v_ashrrev_i32_e32 v36, 31, v35
	v_add_nc_u32_e32 v37, s15, v35
	v_add_co_ci_u32_e64 v26, null, s5, v26, vcc_lo
	v_add_co_u32 v27, vcc_lo, s4, v29
	v_add_co_ci_u32_e64 v28, null, s5, v30, vcc_lo
	v_add_co_u32 v29, vcc_lo, s4, v33
	v_ashrrev_i32_e32 v32, 31, v31
	v_add_co_ci_u32_e64 v30, null, s5, v34, vcc_lo
	v_lshlrev_b64 v[33:34], 4, v[35:36]
	v_add_nc_u32_e32 v35, s15, v37
	v_ashrrev_i32_e32 v38, 31, v37
	v_lshlrev_b64 v[31:32], 4, v[31:32]
	s_clause 0x1
	global_load_dwordx4 v[74:77], v[23:24], off
	global_load_dwordx4 v[78:81], v[25:26], off
	v_ashrrev_i32_e32 v36, 31, v35
	v_lshlrev_b64 v[37:38], 4, v[37:38]
	s_clause 0x1
	global_load_dwordx4 v[82:85], v[27:28], off
	global_load_dwordx4 v[86:89], v[29:30], off
	v_add_co_u32 v31, vcc_lo, s4, v31
	v_lshlrev_b64 v[43:44], 4, v[35:36]
	v_add_co_ci_u32_e64 v32, null, s5, v32, vcc_lo
	v_add_co_u32 v33, vcc_lo, s4, v33
	v_add_co_ci_u32_e64 v34, null, s5, v34, vcc_lo
	v_add_co_u32 v35, vcc_lo, s4, v37
	;; [unrolled: 2-line block ×3, first 2 shown]
	v_add_co_ci_u32_e64 v38, null, s5, v44, vcc_lo
	s_clause 0x3
	global_load_dwordx4 v[90:93], v[31:32], off
	global_load_dwordx4 v[94:97], v[33:34], off
	;; [unrolled: 1-line block ×4, first 2 shown]
	s_movk_i32 s4, 0x50
	s_movk_i32 s8, 0x60
	;; [unrolled: 1-line block ×7, first 2 shown]
	s_add_i32 s23, s4, 16
	s_add_i32 s22, s8, 16
	;; [unrolled: 1-line block ×12, first 2 shown]
	s_mov_b32 s5, -1
	s_bitcmp0_b32 s29, 0
	s_waitcnt vmcnt(16)
	buffer_store_dword v4, off, s[0:3], 0 offset:28
	buffer_store_dword v3, off, s[0:3], 0 offset:24
	buffer_store_dword v2, off, s[0:3], 0 offset:20
	buffer_store_dword v1, off, s[0:3], 0 offset:16
	s_waitcnt vmcnt(15)
	buffer_store_dword v42, off, s[0:3], 0 offset:44
	buffer_store_dword v41, off, s[0:3], 0 offset:40
	buffer_store_dword v40, off, s[0:3], 0 offset:36
	buffer_store_dword v39, off, s[0:3], 0 offset:32
	;; [unrolled: 5-line block ×17, first 2 shown]
	s_cbranch_scc1 .LBB16_80
; %bb.4:
	v_cmp_eq_u32_e64 s4, 0, v0
	s_and_saveexec_b32 s5, s4
; %bb.5:
	v_mov_b32_e32 v1, 0
	ds_write_b32 v1, v1 offset:544
; %bb.6:
	s_or_b32 exec_lo, exec_lo, s5
	v_lshl_add_u32 v46, v0, 4, 16
	s_waitcnt lgkmcnt(0)
	s_waitcnt_vscnt null, 0x0
	s_barrier
	buffer_gl0_inv
	s_clause 0x3
	buffer_load_dword v1, v46, s[0:3], 0 offen
	buffer_load_dword v2, v46, s[0:3], 0 offen offset:4
	buffer_load_dword v3, v46, s[0:3], 0 offen offset:8
	;; [unrolled: 1-line block ×3, first 2 shown]
	s_waitcnt vmcnt(2)
	v_cmp_eq_f64_e32 vcc_lo, 0, v[1:2]
	s_waitcnt vmcnt(0)
	v_cmp_eq_f64_e64 s5, 0, v[3:4]
	s_and_b32 s5, vcc_lo, s5
	s_and_saveexec_b32 s29, s5
	s_cbranch_execz .LBB16_10
; %bb.7:
	v_mov_b32_e32 v1, 0
	s_mov_b32 s30, 0
	ds_read_b32 v2, v1 offset:544
	s_waitcnt lgkmcnt(0)
	v_readfirstlane_b32 s5, v2
	v_add_nc_u32_e32 v2, 1, v0
	s_cmp_eq_u32 s5, 0
	v_cmp_gt_i32_e32 vcc_lo, s5, v2
	s_cselect_b32 s31, -1, 0
	s_or_b32 s31, s31, vcc_lo
	s_and_b32 exec_lo, exec_lo, s31
	s_cbranch_execz .LBB16_10
; %bb.8:
	v_mov_b32_e32 v3, s5
.LBB16_9:                               ; =>This Inner Loop Header: Depth=1
	ds_cmpst_rtn_b32 v3, v1, v3, v2 offset:544
	s_waitcnt lgkmcnt(0)
	v_cmp_ne_u32_e32 vcc_lo, 0, v3
	v_cmp_le_i32_e64 s5, v3, v2
	s_and_b32 s5, vcc_lo, s5
	s_and_b32 s5, exec_lo, s5
	s_or_b32 s30, s5, s30
	s_andn2_b32 exec_lo, exec_lo, s30
	s_cbranch_execnz .LBB16_9
.LBB16_10:
	s_or_b32 exec_lo, exec_lo, s29
	v_mov_b32_e32 v1, 0
	s_barrier
	buffer_gl0_inv
	ds_read_b32 v2, v1 offset:544
	s_and_saveexec_b32 s5, s4
	s_cbranch_execz .LBB16_12
; %bb.11:
	s_lshl_b64 s[30:31], s[6:7], 2
	s_add_u32 s30, s10, s30
	s_addc_u32 s31, s11, s31
	s_waitcnt lgkmcnt(0)
	global_store_dword v1, v2, s[30:31]
.LBB16_12:
	s_or_b32 exec_lo, exec_lo, s5
	s_waitcnt lgkmcnt(0)
	v_cmp_ne_u32_e32 vcc_lo, 0, v2
	s_mov_b32 s5, 0
	s_cbranch_vccnz .LBB16_80
; %bb.13:
	s_clause 0x3
	buffer_load_dword v41, v46, s[0:3], 0 offen
	buffer_load_dword v42, v46, s[0:3], 0 offen offset:4
	buffer_load_dword v43, v46, s[0:3], 0 offen offset:8
	;; [unrolled: 1-line block ×3, first 2 shown]
                                        ; implicit-def: $vgpr39_vgpr40
                                        ; implicit-def: $vgpr3_vgpr4
	s_waitcnt vmcnt(0)
	v_cmp_ngt_f64_e64 s5, |v[41:42]|, |v[43:44]|
	s_and_saveexec_b32 s29, s5
	s_xor_b32 s5, exec_lo, s29
	s_cbranch_execz .LBB16_15
; %bb.14:
	v_div_scale_f64 v[1:2], null, v[43:44], v[43:44], v[41:42]
	v_div_scale_f64 v[47:48], vcc_lo, v[41:42], v[43:44], v[41:42]
	v_rcp_f64_e32 v[3:4], v[1:2]
	v_fma_f64 v[39:40], -v[1:2], v[3:4], 1.0
	v_fma_f64 v[3:4], v[3:4], v[39:40], v[3:4]
	v_fma_f64 v[39:40], -v[1:2], v[3:4], 1.0
	v_fma_f64 v[3:4], v[3:4], v[39:40], v[3:4]
	v_mul_f64 v[39:40], v[47:48], v[3:4]
	v_fma_f64 v[1:2], -v[1:2], v[39:40], v[47:48]
	v_div_fmas_f64 v[1:2], v[1:2], v[3:4], v[39:40]
	v_div_fixup_f64 v[1:2], v[1:2], v[43:44], v[41:42]
	v_fma_f64 v[3:4], v[41:42], v[1:2], v[43:44]
	v_div_scale_f64 v[39:40], null, v[3:4], v[3:4], 1.0
	v_div_scale_f64 v[47:48], vcc_lo, 1.0, v[3:4], 1.0
	v_rcp_f64_e32 v[41:42], v[39:40]
	v_fma_f64 v[43:44], -v[39:40], v[41:42], 1.0
	v_fma_f64 v[41:42], v[41:42], v[43:44], v[41:42]
	v_fma_f64 v[43:44], -v[39:40], v[41:42], 1.0
	v_fma_f64 v[41:42], v[41:42], v[43:44], v[41:42]
	v_mul_f64 v[43:44], v[47:48], v[41:42]
	v_fma_f64 v[39:40], -v[39:40], v[43:44], v[47:48]
	v_div_fmas_f64 v[39:40], v[39:40], v[41:42], v[43:44]
                                        ; implicit-def: $vgpr41_vgpr42
                                        ; implicit-def: $vgpr43_vgpr44
	v_div_fixup_f64 v[3:4], v[39:40], v[3:4], 1.0
	v_mul_f64 v[39:40], v[1:2], v[3:4]
	v_xor_b32_e32 v4, 0x80000000, v4
	v_xor_b32_e32 v2, 0x80000000, v40
	v_mov_b32_e32 v1, v39
.LBB16_15:
	s_andn2_saveexec_b32 s5, s5
	s_cbranch_execz .LBB16_17
; %bb.16:
	v_div_scale_f64 v[1:2], null, v[41:42], v[41:42], v[43:44]
	v_div_scale_f64 v[47:48], vcc_lo, v[43:44], v[41:42], v[43:44]
	v_rcp_f64_e32 v[3:4], v[1:2]
	v_fma_f64 v[39:40], -v[1:2], v[3:4], 1.0
	v_fma_f64 v[3:4], v[3:4], v[39:40], v[3:4]
	v_fma_f64 v[39:40], -v[1:2], v[3:4], 1.0
	v_fma_f64 v[3:4], v[3:4], v[39:40], v[3:4]
	v_mul_f64 v[39:40], v[47:48], v[3:4]
	v_fma_f64 v[1:2], -v[1:2], v[39:40], v[47:48]
	v_div_fmas_f64 v[1:2], v[1:2], v[3:4], v[39:40]
	v_div_fixup_f64 v[1:2], v[1:2], v[41:42], v[43:44]
	v_fma_f64 v[3:4], v[43:44], v[1:2], v[41:42]
	v_div_scale_f64 v[39:40], null, v[3:4], v[3:4], 1.0
	v_rcp_f64_e32 v[41:42], v[39:40]
	v_fma_f64 v[43:44], -v[39:40], v[41:42], 1.0
	v_fma_f64 v[41:42], v[41:42], v[43:44], v[41:42]
	v_fma_f64 v[43:44], -v[39:40], v[41:42], 1.0
	v_fma_f64 v[41:42], v[41:42], v[43:44], v[41:42]
	v_div_scale_f64 v[43:44], vcc_lo, 1.0, v[3:4], 1.0
	v_mul_f64 v[47:48], v[43:44], v[41:42]
	v_fma_f64 v[39:40], -v[39:40], v[47:48], v[43:44]
	v_div_fmas_f64 v[39:40], v[39:40], v[41:42], v[47:48]
	v_div_fixup_f64 v[39:40], v[39:40], v[3:4], 1.0
	v_mul_f64 v[3:4], v[1:2], -v[39:40]
	v_xor_b32_e32 v2, 0x80000000, v40
	v_mov_b32_e32 v1, v39
.LBB16_17:
	s_or_b32 exec_lo, exec_lo, s5
	v_mov_b32_e32 v44, s27
	buffer_store_dword v40, v46, s[0:3], 0 offen offset:4
	buffer_store_dword v39, v46, s[0:3], 0 offen
	buffer_store_dword v4, v46, s[0:3], 0 offen offset:12
	buffer_store_dword v3, v46, s[0:3], 0 offen offset:8
	v_xor_b32_e32 v4, 0x80000000, v4
	v_add_nc_u32_e32 v39, 0x110, v45
	s_clause 0x3
	buffer_load_dword v43, v44, s[0:3], 0 offen offset:12
	buffer_load_dword v42, v44, s[0:3], 0 offen offset:8
	;; [unrolled: 1-line block ×3, first 2 shown]
	buffer_load_dword v40, v44, s[0:3], 0 offen
	ds_write_b128 v45, v[1:4]
	s_waitcnt vmcnt(0)
	ds_write_b128 v45, v[40:43] offset:272
	s_waitcnt lgkmcnt(0)
	s_waitcnt_vscnt null, 0x0
	s_barrier
	buffer_gl0_inv
	s_and_saveexec_b32 s5, s4
	s_cbranch_execz .LBB16_19
; %bb.18:
	s_clause 0x3
	buffer_load_dword v47, v46, s[0:3], 0 offen offset:8
	buffer_load_dword v48, v46, s[0:3], 0 offen offset:12
	buffer_load_dword v49, v46, s[0:3], 0 offen
	buffer_load_dword v50, v46, s[0:3], 0 offen offset:4
	ds_read_b128 v[1:4], v39
	v_mov_b32_e32 v40, 0
	ds_read_b128 v[40:43], v40 offset:16
	s_waitcnt vmcnt(2) lgkmcnt(1)
	v_mul_f64 v[51:52], v[1:2], v[47:48]
	v_mul_f64 v[47:48], v[3:4], v[47:48]
	s_waitcnt vmcnt(0)
	v_fma_f64 v[3:4], v[3:4], v[49:50], v[51:52]
	v_fma_f64 v[1:2], v[1:2], v[49:50], -v[47:48]
	v_add_f64 v[3:4], v[3:4], 0
	v_add_f64 v[1:2], v[1:2], 0
	s_waitcnt lgkmcnt(0)
	v_mul_f64 v[47:48], v[3:4], v[42:43]
	v_mul_f64 v[42:43], v[1:2], v[42:43]
	v_fma_f64 v[1:2], v[1:2], v[40:41], -v[47:48]
	v_fma_f64 v[3:4], v[3:4], v[40:41], v[42:43]
	buffer_store_dword v1, off, s[0:3], 0 offset:32
	buffer_store_dword v2, off, s[0:3], 0 offset:36
	;; [unrolled: 1-line block ×4, first 2 shown]
.LBB16_19:
	s_or_b32 exec_lo, exec_lo, s5
	v_mov_b32_e32 v4, s26
	s_waitcnt_vscnt null, 0x0
	s_barrier
	buffer_gl0_inv
	s_mov_b32 s5, exec_lo
	s_clause 0x3
	buffer_load_dword v1, v4, s[0:3], 0 offen
	buffer_load_dword v2, v4, s[0:3], 0 offen offset:4
	buffer_load_dword v3, v4, s[0:3], 0 offen offset:8
	buffer_load_dword v4, v4, s[0:3], 0 offen offset:12
	s_waitcnt vmcnt(0)
	ds_write_b128 v39, v[1:4]
	s_waitcnt lgkmcnt(0)
	s_barrier
	buffer_gl0_inv
	v_cmpx_gt_u32_e32 2, v0
	s_cbranch_execz .LBB16_23
; %bb.20:
	s_clause 0x3
	buffer_load_dword v40, v46, s[0:3], 0 offen offset:8
	buffer_load_dword v41, v46, s[0:3], 0 offen offset:12
	buffer_load_dword v42, v46, s[0:3], 0 offen
	buffer_load_dword v43, v46, s[0:3], 0 offen offset:4
	ds_read_b128 v[1:4], v39
	s_waitcnt vmcnt(2) lgkmcnt(0)
	v_mul_f64 v[46:47], v[3:4], v[40:41]
	v_mul_f64 v[40:41], v[1:2], v[40:41]
	s_waitcnt vmcnt(0)
	v_fma_f64 v[1:2], v[1:2], v[42:43], -v[46:47]
	v_fma_f64 v[3:4], v[3:4], v[42:43], v[40:41]
	v_add_f64 v[1:2], v[1:2], 0
	v_add_f64 v[3:4], v[3:4], 0
	s_and_saveexec_b32 s29, s4
	s_cbranch_execz .LBB16_22
; %bb.21:
	s_clause 0x3
	buffer_load_dword v46, off, s[0:3], 0 offset:40
	buffer_load_dword v47, off, s[0:3], 0 offset:44
	;; [unrolled: 1-line block ×4, first 2 shown]
	v_mov_b32_e32 v40, 0
	ds_read_b128 v[40:43], v40 offset:288
	s_waitcnt vmcnt(2) lgkmcnt(0)
	v_mul_f64 v[50:51], v[40:41], v[46:47]
	v_mul_f64 v[46:47], v[42:43], v[46:47]
	s_waitcnt vmcnt(0)
	v_fma_f64 v[42:43], v[42:43], v[48:49], v[50:51]
	v_fma_f64 v[40:41], v[40:41], v[48:49], -v[46:47]
	v_add_f64 v[3:4], v[3:4], v[42:43]
	v_add_f64 v[1:2], v[1:2], v[40:41]
.LBB16_22:
	s_or_b32 exec_lo, exec_lo, s29
	v_mov_b32_e32 v40, 0
	ds_read_b128 v[40:43], v40 offset:32
	s_waitcnt lgkmcnt(0)
	v_mul_f64 v[46:47], v[3:4], v[42:43]
	v_mul_f64 v[42:43], v[1:2], v[42:43]
	v_fma_f64 v[1:2], v[1:2], v[40:41], -v[46:47]
	v_fma_f64 v[3:4], v[3:4], v[40:41], v[42:43]
	buffer_store_dword v2, off, s[0:3], 0 offset:52
	buffer_store_dword v1, off, s[0:3], 0 offset:48
	;; [unrolled: 1-line block ×4, first 2 shown]
.LBB16_23:
	s_or_b32 exec_lo, exec_lo, s5
	v_mov_b32_e32 v4, s25
	s_waitcnt_vscnt null, 0x0
	s_barrier
	buffer_gl0_inv
	v_add_nc_u32_e32 v40, -1, v0
	s_clause 0x3
	buffer_load_dword v1, v4, s[0:3], 0 offen
	buffer_load_dword v2, v4, s[0:3], 0 offen offset:4
	buffer_load_dword v3, v4, s[0:3], 0 offen offset:8
	;; [unrolled: 1-line block ×3, first 2 shown]
	s_mov_b32 s4, exec_lo
	s_waitcnt vmcnt(0)
	ds_write_b128 v39, v[1:4]
	s_waitcnt lgkmcnt(0)
	s_barrier
	buffer_gl0_inv
	v_cmpx_gt_u32_e32 3, v0
	s_cbranch_execz .LBB16_27
; %bb.24:
	v_mov_b32_e32 v1, 0
	v_mov_b32_e32 v3, 0
	v_add_nc_u32_e32 v41, -1, v0
	v_add_nc_u32_e32 v42, 0x110, v45
	v_mov_b32_e32 v2, 0
	v_mov_b32_e32 v4, 0
	v_add_nc_u32_e32 v43, 16, v45
	s_mov_b32 s5, 0
	.p2align	6
.LBB16_25:                              ; =>This Inner Loop Header: Depth=1
	s_clause 0x3
	buffer_load_dword v50, v43, s[0:3], 0 offen offset:8
	buffer_load_dword v51, v43, s[0:3], 0 offen offset:12
	buffer_load_dword v52, v43, s[0:3], 0 offen
	buffer_load_dword v53, v43, s[0:3], 0 offen offset:4
	ds_read_b128 v[46:49], v42
	v_add_nc_u32_e32 v41, 1, v41
	v_add_nc_u32_e32 v42, 16, v42
	;; [unrolled: 1-line block ×3, first 2 shown]
	v_cmp_lt_u32_e32 vcc_lo, 1, v41
	s_or_b32 s5, vcc_lo, s5
	s_waitcnt vmcnt(2) lgkmcnt(0)
	v_mul_f64 v[54:55], v[48:49], v[50:51]
	v_mul_f64 v[50:51], v[46:47], v[50:51]
	s_waitcnt vmcnt(0)
	v_fma_f64 v[46:47], v[46:47], v[52:53], -v[54:55]
	v_fma_f64 v[48:49], v[48:49], v[52:53], v[50:51]
	v_add_f64 v[3:4], v[3:4], v[46:47]
	v_add_f64 v[1:2], v[1:2], v[48:49]
	s_andn2_b32 exec_lo, exec_lo, s5
	s_cbranch_execnz .LBB16_25
; %bb.26:
	s_or_b32 exec_lo, exec_lo, s5
	v_mov_b32_e32 v41, 0
	ds_read_b128 v[41:44], v41 offset:48
	s_waitcnt lgkmcnt(0)
	v_mul_f64 v[46:47], v[1:2], v[43:44]
	v_mul_f64 v[43:44], v[3:4], v[43:44]
	v_fma_f64 v[3:4], v[3:4], v[41:42], -v[46:47]
	v_fma_f64 v[1:2], v[1:2], v[41:42], v[43:44]
	buffer_store_dword v4, off, s[0:3], 0 offset:68
	buffer_store_dword v3, off, s[0:3], 0 offset:64
	;; [unrolled: 1-line block ×4, first 2 shown]
.LBB16_27:
	s_or_b32 exec_lo, exec_lo, s4
	v_mov_b32_e32 v4, s24
	s_waitcnt_vscnt null, 0x0
	s_barrier
	buffer_gl0_inv
	s_mov_b32 s4, exec_lo
	s_clause 0x3
	buffer_load_dword v1, v4, s[0:3], 0 offen
	buffer_load_dword v2, v4, s[0:3], 0 offen offset:4
	buffer_load_dword v3, v4, s[0:3], 0 offen offset:8
	;; [unrolled: 1-line block ×3, first 2 shown]
	s_waitcnt vmcnt(0)
	ds_write_b128 v39, v[1:4]
	s_waitcnt lgkmcnt(0)
	s_barrier
	buffer_gl0_inv
	v_cmpx_gt_u32_e32 4, v0
	s_cbranch_execz .LBB16_31
; %bb.28:
	v_mov_b32_e32 v1, 0
	v_mov_b32_e32 v3, 0
	v_add_nc_u32_e32 v41, -1, v0
	v_add_nc_u32_e32 v42, 0x110, v45
	v_mov_b32_e32 v2, 0
	v_mov_b32_e32 v4, 0
	v_add_nc_u32_e32 v43, 16, v45
	s_mov_b32 s5, 0
	.p2align	6
.LBB16_29:                              ; =>This Inner Loop Header: Depth=1
	s_clause 0x3
	buffer_load_dword v50, v43, s[0:3], 0 offen offset:8
	buffer_load_dword v51, v43, s[0:3], 0 offen offset:12
	buffer_load_dword v52, v43, s[0:3], 0 offen
	buffer_load_dword v53, v43, s[0:3], 0 offen offset:4
	ds_read_b128 v[46:49], v42
	v_add_nc_u32_e32 v41, 1, v41
	v_add_nc_u32_e32 v42, 16, v42
	;; [unrolled: 1-line block ×3, first 2 shown]
	v_cmp_lt_u32_e32 vcc_lo, 2, v41
	s_or_b32 s5, vcc_lo, s5
	s_waitcnt vmcnt(2) lgkmcnt(0)
	v_mul_f64 v[54:55], v[48:49], v[50:51]
	v_mul_f64 v[50:51], v[46:47], v[50:51]
	s_waitcnt vmcnt(0)
	v_fma_f64 v[46:47], v[46:47], v[52:53], -v[54:55]
	v_fma_f64 v[48:49], v[48:49], v[52:53], v[50:51]
	v_add_f64 v[3:4], v[3:4], v[46:47]
	v_add_f64 v[1:2], v[1:2], v[48:49]
	s_andn2_b32 exec_lo, exec_lo, s5
	s_cbranch_execnz .LBB16_29
; %bb.30:
	s_or_b32 exec_lo, exec_lo, s5
	v_mov_b32_e32 v41, 0
	ds_read_b128 v[41:44], v41 offset:64
	s_waitcnt lgkmcnt(0)
	v_mul_f64 v[46:47], v[1:2], v[43:44]
	v_mul_f64 v[43:44], v[3:4], v[43:44]
	v_fma_f64 v[3:4], v[3:4], v[41:42], -v[46:47]
	v_fma_f64 v[1:2], v[1:2], v[41:42], v[43:44]
	buffer_store_dword v4, off, s[0:3], 0 offset:84
	buffer_store_dword v3, off, s[0:3], 0 offset:80
	;; [unrolled: 1-line block ×4, first 2 shown]
.LBB16_31:
	s_or_b32 exec_lo, exec_lo, s4
	v_mov_b32_e32 v4, s23
	s_waitcnt_vscnt null, 0x0
	s_barrier
	buffer_gl0_inv
	s_mov_b32 s4, exec_lo
	s_clause 0x3
	buffer_load_dword v1, v4, s[0:3], 0 offen
	buffer_load_dword v2, v4, s[0:3], 0 offen offset:4
	buffer_load_dword v3, v4, s[0:3], 0 offen offset:8
	buffer_load_dword v4, v4, s[0:3], 0 offen offset:12
	s_waitcnt vmcnt(0)
	ds_write_b128 v39, v[1:4]
	s_waitcnt lgkmcnt(0)
	s_barrier
	buffer_gl0_inv
	v_cmpx_gt_u32_e32 5, v0
	s_cbranch_execz .LBB16_35
; %bb.32:
	v_mov_b32_e32 v1, 0
	v_mov_b32_e32 v3, 0
	v_add_nc_u32_e32 v41, -1, v0
	v_add_nc_u32_e32 v42, 0x110, v45
	v_mov_b32_e32 v2, 0
	v_mov_b32_e32 v4, 0
	v_add_nc_u32_e32 v43, 16, v45
	s_mov_b32 s5, 0
	.p2align	6
.LBB16_33:                              ; =>This Inner Loop Header: Depth=1
	s_clause 0x3
	buffer_load_dword v50, v43, s[0:3], 0 offen offset:8
	buffer_load_dword v51, v43, s[0:3], 0 offen offset:12
	buffer_load_dword v52, v43, s[0:3], 0 offen
	buffer_load_dword v53, v43, s[0:3], 0 offen offset:4
	ds_read_b128 v[46:49], v42
	v_add_nc_u32_e32 v41, 1, v41
	v_add_nc_u32_e32 v42, 16, v42
	;; [unrolled: 1-line block ×3, first 2 shown]
	v_cmp_lt_u32_e32 vcc_lo, 3, v41
	s_or_b32 s5, vcc_lo, s5
	s_waitcnt vmcnt(2) lgkmcnt(0)
	v_mul_f64 v[54:55], v[48:49], v[50:51]
	v_mul_f64 v[50:51], v[46:47], v[50:51]
	s_waitcnt vmcnt(0)
	v_fma_f64 v[46:47], v[46:47], v[52:53], -v[54:55]
	v_fma_f64 v[48:49], v[48:49], v[52:53], v[50:51]
	v_add_f64 v[3:4], v[3:4], v[46:47]
	v_add_f64 v[1:2], v[1:2], v[48:49]
	s_andn2_b32 exec_lo, exec_lo, s5
	s_cbranch_execnz .LBB16_33
; %bb.34:
	s_or_b32 exec_lo, exec_lo, s5
	v_mov_b32_e32 v41, 0
	ds_read_b128 v[41:44], v41 offset:80
	s_waitcnt lgkmcnt(0)
	v_mul_f64 v[46:47], v[1:2], v[43:44]
	v_mul_f64 v[43:44], v[3:4], v[43:44]
	v_fma_f64 v[3:4], v[3:4], v[41:42], -v[46:47]
	v_fma_f64 v[1:2], v[1:2], v[41:42], v[43:44]
	buffer_store_dword v4, off, s[0:3], 0 offset:100
	buffer_store_dword v3, off, s[0:3], 0 offset:96
	buffer_store_dword v2, off, s[0:3], 0 offset:108
	buffer_store_dword v1, off, s[0:3], 0 offset:104
.LBB16_35:
	s_or_b32 exec_lo, exec_lo, s4
	v_mov_b32_e32 v4, s22
	s_waitcnt_vscnt null, 0x0
	s_barrier
	buffer_gl0_inv
	s_mov_b32 s4, exec_lo
	s_clause 0x3
	buffer_load_dword v1, v4, s[0:3], 0 offen
	buffer_load_dword v2, v4, s[0:3], 0 offen offset:4
	buffer_load_dword v3, v4, s[0:3], 0 offen offset:8
	;; [unrolled: 1-line block ×3, first 2 shown]
	s_waitcnt vmcnt(0)
	ds_write_b128 v39, v[1:4]
	s_waitcnt lgkmcnt(0)
	s_barrier
	buffer_gl0_inv
	v_cmpx_gt_u32_e32 6, v0
	s_cbranch_execz .LBB16_39
; %bb.36:
	v_mov_b32_e32 v1, 0
	v_mov_b32_e32 v3, 0
	v_add_nc_u32_e32 v41, -1, v0
	v_add_nc_u32_e32 v42, 0x110, v45
	v_mov_b32_e32 v2, 0
	v_mov_b32_e32 v4, 0
	v_add_nc_u32_e32 v43, 16, v45
	s_mov_b32 s5, 0
	.p2align	6
.LBB16_37:                              ; =>This Inner Loop Header: Depth=1
	s_clause 0x3
	buffer_load_dword v50, v43, s[0:3], 0 offen offset:8
	buffer_load_dword v51, v43, s[0:3], 0 offen offset:12
	buffer_load_dword v52, v43, s[0:3], 0 offen
	buffer_load_dword v53, v43, s[0:3], 0 offen offset:4
	ds_read_b128 v[46:49], v42
	v_add_nc_u32_e32 v41, 1, v41
	v_add_nc_u32_e32 v42, 16, v42
	;; [unrolled: 1-line block ×3, first 2 shown]
	v_cmp_lt_u32_e32 vcc_lo, 4, v41
	s_or_b32 s5, vcc_lo, s5
	s_waitcnt vmcnt(2) lgkmcnt(0)
	v_mul_f64 v[54:55], v[48:49], v[50:51]
	v_mul_f64 v[50:51], v[46:47], v[50:51]
	s_waitcnt vmcnt(0)
	v_fma_f64 v[46:47], v[46:47], v[52:53], -v[54:55]
	v_fma_f64 v[48:49], v[48:49], v[52:53], v[50:51]
	v_add_f64 v[3:4], v[3:4], v[46:47]
	v_add_f64 v[1:2], v[1:2], v[48:49]
	s_andn2_b32 exec_lo, exec_lo, s5
	s_cbranch_execnz .LBB16_37
; %bb.38:
	s_or_b32 exec_lo, exec_lo, s5
	v_mov_b32_e32 v41, 0
	ds_read_b128 v[41:44], v41 offset:96
	s_waitcnt lgkmcnt(0)
	v_mul_f64 v[46:47], v[1:2], v[43:44]
	v_mul_f64 v[43:44], v[3:4], v[43:44]
	v_fma_f64 v[3:4], v[3:4], v[41:42], -v[46:47]
	v_fma_f64 v[1:2], v[1:2], v[41:42], v[43:44]
	buffer_store_dword v4, off, s[0:3], 0 offset:116
	buffer_store_dword v3, off, s[0:3], 0 offset:112
	;; [unrolled: 1-line block ×4, first 2 shown]
.LBB16_39:
	s_or_b32 exec_lo, exec_lo, s4
	v_mov_b32_e32 v4, s19
	s_waitcnt_vscnt null, 0x0
	s_barrier
	buffer_gl0_inv
	s_mov_b32 s4, exec_lo
	s_clause 0x3
	buffer_load_dword v1, v4, s[0:3], 0 offen
	buffer_load_dword v2, v4, s[0:3], 0 offen offset:4
	buffer_load_dword v3, v4, s[0:3], 0 offen offset:8
	;; [unrolled: 1-line block ×3, first 2 shown]
	s_waitcnt vmcnt(0)
	ds_write_b128 v39, v[1:4]
	s_waitcnt lgkmcnt(0)
	s_barrier
	buffer_gl0_inv
	v_cmpx_gt_u32_e32 7, v0
	s_cbranch_execz .LBB16_43
; %bb.40:
	v_mov_b32_e32 v1, 0
	v_mov_b32_e32 v3, 0
	v_add_nc_u32_e32 v41, -1, v0
	v_add_nc_u32_e32 v42, 0x110, v45
	v_mov_b32_e32 v2, 0
	v_mov_b32_e32 v4, 0
	v_add_nc_u32_e32 v43, 16, v45
	s_mov_b32 s5, 0
	.p2align	6
.LBB16_41:                              ; =>This Inner Loop Header: Depth=1
	s_clause 0x3
	buffer_load_dword v50, v43, s[0:3], 0 offen offset:8
	buffer_load_dword v51, v43, s[0:3], 0 offen offset:12
	buffer_load_dword v52, v43, s[0:3], 0 offen
	buffer_load_dword v53, v43, s[0:3], 0 offen offset:4
	ds_read_b128 v[46:49], v42
	v_add_nc_u32_e32 v41, 1, v41
	v_add_nc_u32_e32 v42, 16, v42
	;; [unrolled: 1-line block ×3, first 2 shown]
	v_cmp_lt_u32_e32 vcc_lo, 5, v41
	s_or_b32 s5, vcc_lo, s5
	s_waitcnt vmcnt(2) lgkmcnt(0)
	v_mul_f64 v[54:55], v[48:49], v[50:51]
	v_mul_f64 v[50:51], v[46:47], v[50:51]
	s_waitcnt vmcnt(0)
	v_fma_f64 v[46:47], v[46:47], v[52:53], -v[54:55]
	v_fma_f64 v[48:49], v[48:49], v[52:53], v[50:51]
	v_add_f64 v[3:4], v[3:4], v[46:47]
	v_add_f64 v[1:2], v[1:2], v[48:49]
	s_andn2_b32 exec_lo, exec_lo, s5
	s_cbranch_execnz .LBB16_41
; %bb.42:
	s_or_b32 exec_lo, exec_lo, s5
	v_mov_b32_e32 v41, 0
	ds_read_b128 v[41:44], v41 offset:112
	s_waitcnt lgkmcnt(0)
	v_mul_f64 v[46:47], v[1:2], v[43:44]
	v_mul_f64 v[43:44], v[3:4], v[43:44]
	v_fma_f64 v[3:4], v[3:4], v[41:42], -v[46:47]
	v_fma_f64 v[1:2], v[1:2], v[41:42], v[43:44]
	buffer_store_dword v4, off, s[0:3], 0 offset:132
	buffer_store_dword v3, off, s[0:3], 0 offset:128
	;; [unrolled: 1-line block ×4, first 2 shown]
.LBB16_43:
	s_or_b32 exec_lo, exec_lo, s4
	v_mov_b32_e32 v4, s18
	s_waitcnt_vscnt null, 0x0
	s_barrier
	buffer_gl0_inv
	s_mov_b32 s4, exec_lo
	s_clause 0x3
	buffer_load_dword v1, v4, s[0:3], 0 offen
	buffer_load_dword v2, v4, s[0:3], 0 offen offset:4
	buffer_load_dword v3, v4, s[0:3], 0 offen offset:8
	;; [unrolled: 1-line block ×3, first 2 shown]
	s_waitcnt vmcnt(0)
	ds_write_b128 v39, v[1:4]
	s_waitcnt lgkmcnt(0)
	s_barrier
	buffer_gl0_inv
	v_cmpx_gt_u32_e32 8, v0
	s_cbranch_execz .LBB16_47
; %bb.44:
	v_mov_b32_e32 v1, 0
	v_mov_b32_e32 v3, 0
	v_add_nc_u32_e32 v41, -1, v0
	v_add_nc_u32_e32 v42, 0x110, v45
	v_mov_b32_e32 v2, 0
	v_mov_b32_e32 v4, 0
	v_add_nc_u32_e32 v43, 16, v45
	s_mov_b32 s5, 0
	.p2align	6
.LBB16_45:                              ; =>This Inner Loop Header: Depth=1
	s_clause 0x3
	buffer_load_dword v50, v43, s[0:3], 0 offen offset:8
	buffer_load_dword v51, v43, s[0:3], 0 offen offset:12
	buffer_load_dword v52, v43, s[0:3], 0 offen
	buffer_load_dword v53, v43, s[0:3], 0 offen offset:4
	ds_read_b128 v[46:49], v42
	v_add_nc_u32_e32 v41, 1, v41
	v_add_nc_u32_e32 v42, 16, v42
	v_add_nc_u32_e32 v43, 16, v43
	v_cmp_lt_u32_e32 vcc_lo, 6, v41
	s_or_b32 s5, vcc_lo, s5
	s_waitcnt vmcnt(2) lgkmcnt(0)
	v_mul_f64 v[54:55], v[48:49], v[50:51]
	v_mul_f64 v[50:51], v[46:47], v[50:51]
	s_waitcnt vmcnt(0)
	v_fma_f64 v[46:47], v[46:47], v[52:53], -v[54:55]
	v_fma_f64 v[48:49], v[48:49], v[52:53], v[50:51]
	v_add_f64 v[3:4], v[3:4], v[46:47]
	v_add_f64 v[1:2], v[1:2], v[48:49]
	s_andn2_b32 exec_lo, exec_lo, s5
	s_cbranch_execnz .LBB16_45
; %bb.46:
	s_or_b32 exec_lo, exec_lo, s5
	v_mov_b32_e32 v41, 0
	ds_read_b128 v[41:44], v41 offset:128
	s_waitcnt lgkmcnt(0)
	v_mul_f64 v[46:47], v[1:2], v[43:44]
	v_mul_f64 v[43:44], v[3:4], v[43:44]
	v_fma_f64 v[3:4], v[3:4], v[41:42], -v[46:47]
	v_fma_f64 v[1:2], v[1:2], v[41:42], v[43:44]
	buffer_store_dword v4, off, s[0:3], 0 offset:148
	buffer_store_dword v3, off, s[0:3], 0 offset:144
	;; [unrolled: 1-line block ×4, first 2 shown]
.LBB16_47:
	s_or_b32 exec_lo, exec_lo, s4
	v_mov_b32_e32 v4, s17
	s_waitcnt_vscnt null, 0x0
	s_barrier
	buffer_gl0_inv
	s_mov_b32 s4, exec_lo
	s_clause 0x3
	buffer_load_dword v1, v4, s[0:3], 0 offen
	buffer_load_dword v2, v4, s[0:3], 0 offen offset:4
	buffer_load_dword v3, v4, s[0:3], 0 offen offset:8
	buffer_load_dword v4, v4, s[0:3], 0 offen offset:12
	s_waitcnt vmcnt(0)
	ds_write_b128 v39, v[1:4]
	s_waitcnt lgkmcnt(0)
	s_barrier
	buffer_gl0_inv
	v_cmpx_gt_u32_e32 9, v0
	s_cbranch_execz .LBB16_51
; %bb.48:
	v_mov_b32_e32 v1, 0
	v_mov_b32_e32 v3, 0
	v_add_nc_u32_e32 v41, -1, v0
	v_add_nc_u32_e32 v42, 0x110, v45
	v_mov_b32_e32 v2, 0
	v_mov_b32_e32 v4, 0
	v_add_nc_u32_e32 v43, 16, v45
	s_mov_b32 s5, 0
	.p2align	6
.LBB16_49:                              ; =>This Inner Loop Header: Depth=1
	s_clause 0x3
	buffer_load_dword v50, v43, s[0:3], 0 offen offset:8
	buffer_load_dword v51, v43, s[0:3], 0 offen offset:12
	buffer_load_dword v52, v43, s[0:3], 0 offen
	buffer_load_dword v53, v43, s[0:3], 0 offen offset:4
	ds_read_b128 v[46:49], v42
	v_add_nc_u32_e32 v41, 1, v41
	v_add_nc_u32_e32 v42, 16, v42
	;; [unrolled: 1-line block ×3, first 2 shown]
	v_cmp_lt_u32_e32 vcc_lo, 7, v41
	s_or_b32 s5, vcc_lo, s5
	s_waitcnt vmcnt(2) lgkmcnt(0)
	v_mul_f64 v[54:55], v[48:49], v[50:51]
	v_mul_f64 v[50:51], v[46:47], v[50:51]
	s_waitcnt vmcnt(0)
	v_fma_f64 v[46:47], v[46:47], v[52:53], -v[54:55]
	v_fma_f64 v[48:49], v[48:49], v[52:53], v[50:51]
	v_add_f64 v[3:4], v[3:4], v[46:47]
	v_add_f64 v[1:2], v[1:2], v[48:49]
	s_andn2_b32 exec_lo, exec_lo, s5
	s_cbranch_execnz .LBB16_49
; %bb.50:
	s_or_b32 exec_lo, exec_lo, s5
	v_mov_b32_e32 v41, 0
	ds_read_b128 v[41:44], v41 offset:144
	s_waitcnt lgkmcnt(0)
	v_mul_f64 v[46:47], v[1:2], v[43:44]
	v_mul_f64 v[43:44], v[3:4], v[43:44]
	v_fma_f64 v[3:4], v[3:4], v[41:42], -v[46:47]
	v_fma_f64 v[1:2], v[1:2], v[41:42], v[43:44]
	buffer_store_dword v4, off, s[0:3], 0 offset:164
	buffer_store_dword v3, off, s[0:3], 0 offset:160
	;; [unrolled: 1-line block ×4, first 2 shown]
.LBB16_51:
	s_or_b32 exec_lo, exec_lo, s4
	v_mov_b32_e32 v4, s16
	s_waitcnt_vscnt null, 0x0
	s_barrier
	buffer_gl0_inv
	s_mov_b32 s4, exec_lo
	s_clause 0x3
	buffer_load_dword v1, v4, s[0:3], 0 offen
	buffer_load_dword v2, v4, s[0:3], 0 offen offset:4
	buffer_load_dword v3, v4, s[0:3], 0 offen offset:8
	;; [unrolled: 1-line block ×3, first 2 shown]
	s_waitcnt vmcnt(0)
	ds_write_b128 v39, v[1:4]
	s_waitcnt lgkmcnt(0)
	s_barrier
	buffer_gl0_inv
	v_cmpx_gt_u32_e32 10, v0
	s_cbranch_execz .LBB16_55
; %bb.52:
	v_mov_b32_e32 v1, 0
	v_mov_b32_e32 v3, 0
	v_add_nc_u32_e32 v41, -1, v0
	v_add_nc_u32_e32 v42, 0x110, v45
	v_mov_b32_e32 v2, 0
	v_mov_b32_e32 v4, 0
	v_add_nc_u32_e32 v43, 16, v45
	s_mov_b32 s5, 0
	.p2align	6
.LBB16_53:                              ; =>This Inner Loop Header: Depth=1
	s_clause 0x3
	buffer_load_dword v50, v43, s[0:3], 0 offen offset:8
	buffer_load_dword v51, v43, s[0:3], 0 offen offset:12
	buffer_load_dword v52, v43, s[0:3], 0 offen
	buffer_load_dword v53, v43, s[0:3], 0 offen offset:4
	ds_read_b128 v[46:49], v42
	v_add_nc_u32_e32 v41, 1, v41
	v_add_nc_u32_e32 v42, 16, v42
	;; [unrolled: 1-line block ×3, first 2 shown]
	v_cmp_lt_u32_e32 vcc_lo, 8, v41
	s_or_b32 s5, vcc_lo, s5
	s_waitcnt vmcnt(2) lgkmcnt(0)
	v_mul_f64 v[54:55], v[48:49], v[50:51]
	v_mul_f64 v[50:51], v[46:47], v[50:51]
	s_waitcnt vmcnt(0)
	v_fma_f64 v[46:47], v[46:47], v[52:53], -v[54:55]
	v_fma_f64 v[48:49], v[48:49], v[52:53], v[50:51]
	v_add_f64 v[3:4], v[3:4], v[46:47]
	v_add_f64 v[1:2], v[1:2], v[48:49]
	s_andn2_b32 exec_lo, exec_lo, s5
	s_cbranch_execnz .LBB16_53
; %bb.54:
	s_or_b32 exec_lo, exec_lo, s5
	v_mov_b32_e32 v41, 0
	ds_read_b128 v[41:44], v41 offset:160
	s_waitcnt lgkmcnt(0)
	v_mul_f64 v[46:47], v[1:2], v[43:44]
	v_mul_f64 v[43:44], v[3:4], v[43:44]
	v_fma_f64 v[3:4], v[3:4], v[41:42], -v[46:47]
	v_fma_f64 v[1:2], v[1:2], v[41:42], v[43:44]
	buffer_store_dword v4, off, s[0:3], 0 offset:180
	buffer_store_dword v3, off, s[0:3], 0 offset:176
	;; [unrolled: 1-line block ×4, first 2 shown]
.LBB16_55:
	s_or_b32 exec_lo, exec_lo, s4
	v_mov_b32_e32 v4, s15
	s_waitcnt_vscnt null, 0x0
	s_barrier
	buffer_gl0_inv
	s_mov_b32 s4, exec_lo
	s_clause 0x3
	buffer_load_dword v1, v4, s[0:3], 0 offen
	buffer_load_dword v2, v4, s[0:3], 0 offen offset:4
	buffer_load_dword v3, v4, s[0:3], 0 offen offset:8
	buffer_load_dword v4, v4, s[0:3], 0 offen offset:12
	s_waitcnt vmcnt(0)
	ds_write_b128 v39, v[1:4]
	s_waitcnt lgkmcnt(0)
	s_barrier
	buffer_gl0_inv
	v_cmpx_gt_u32_e32 11, v0
	s_cbranch_execz .LBB16_59
; %bb.56:
	v_mov_b32_e32 v1, 0
	v_mov_b32_e32 v3, 0
	v_add_nc_u32_e32 v41, -1, v0
	v_add_nc_u32_e32 v42, 0x110, v45
	v_mov_b32_e32 v2, 0
	v_mov_b32_e32 v4, 0
	v_add_nc_u32_e32 v43, 16, v45
	s_mov_b32 s5, 0
	.p2align	6
.LBB16_57:                              ; =>This Inner Loop Header: Depth=1
	s_clause 0x3
	buffer_load_dword v50, v43, s[0:3], 0 offen offset:8
	buffer_load_dword v51, v43, s[0:3], 0 offen offset:12
	buffer_load_dword v52, v43, s[0:3], 0 offen
	buffer_load_dword v53, v43, s[0:3], 0 offen offset:4
	ds_read_b128 v[46:49], v42
	v_add_nc_u32_e32 v41, 1, v41
	v_add_nc_u32_e32 v42, 16, v42
	;; [unrolled: 1-line block ×3, first 2 shown]
	v_cmp_lt_u32_e32 vcc_lo, 9, v41
	s_or_b32 s5, vcc_lo, s5
	s_waitcnt vmcnt(2) lgkmcnt(0)
	v_mul_f64 v[54:55], v[48:49], v[50:51]
	v_mul_f64 v[50:51], v[46:47], v[50:51]
	s_waitcnt vmcnt(0)
	v_fma_f64 v[46:47], v[46:47], v[52:53], -v[54:55]
	v_fma_f64 v[48:49], v[48:49], v[52:53], v[50:51]
	v_add_f64 v[3:4], v[3:4], v[46:47]
	v_add_f64 v[1:2], v[1:2], v[48:49]
	s_andn2_b32 exec_lo, exec_lo, s5
	s_cbranch_execnz .LBB16_57
; %bb.58:
	s_or_b32 exec_lo, exec_lo, s5
	v_mov_b32_e32 v41, 0
	ds_read_b128 v[41:44], v41 offset:176
	s_waitcnt lgkmcnt(0)
	v_mul_f64 v[46:47], v[1:2], v[43:44]
	v_mul_f64 v[43:44], v[3:4], v[43:44]
	v_fma_f64 v[3:4], v[3:4], v[41:42], -v[46:47]
	v_fma_f64 v[1:2], v[1:2], v[41:42], v[43:44]
	buffer_store_dword v4, off, s[0:3], 0 offset:196
	buffer_store_dword v3, off, s[0:3], 0 offset:192
	;; [unrolled: 1-line block ×4, first 2 shown]
.LBB16_59:
	s_or_b32 exec_lo, exec_lo, s4
	v_mov_b32_e32 v4, s14
	s_waitcnt_vscnt null, 0x0
	s_barrier
	buffer_gl0_inv
	s_mov_b32 s4, exec_lo
	s_clause 0x3
	buffer_load_dword v1, v4, s[0:3], 0 offen
	buffer_load_dword v2, v4, s[0:3], 0 offen offset:4
	buffer_load_dword v3, v4, s[0:3], 0 offen offset:8
	;; [unrolled: 1-line block ×3, first 2 shown]
	s_waitcnt vmcnt(0)
	ds_write_b128 v39, v[1:4]
	s_waitcnt lgkmcnt(0)
	s_barrier
	buffer_gl0_inv
	v_cmpx_gt_u32_e32 12, v0
	s_cbranch_execz .LBB16_63
; %bb.60:
	v_mov_b32_e32 v1, 0
	v_mov_b32_e32 v3, 0
	v_add_nc_u32_e32 v41, -1, v0
	v_add_nc_u32_e32 v42, 0x110, v45
	v_mov_b32_e32 v2, 0
	v_mov_b32_e32 v4, 0
	v_add_nc_u32_e32 v43, 16, v45
	s_mov_b32 s5, 0
	.p2align	6
.LBB16_61:                              ; =>This Inner Loop Header: Depth=1
	s_clause 0x3
	buffer_load_dword v50, v43, s[0:3], 0 offen offset:8
	buffer_load_dword v51, v43, s[0:3], 0 offen offset:12
	buffer_load_dword v52, v43, s[0:3], 0 offen
	buffer_load_dword v53, v43, s[0:3], 0 offen offset:4
	ds_read_b128 v[46:49], v42
	v_add_nc_u32_e32 v41, 1, v41
	v_add_nc_u32_e32 v42, 16, v42
	;; [unrolled: 1-line block ×3, first 2 shown]
	v_cmp_lt_u32_e32 vcc_lo, 10, v41
	s_or_b32 s5, vcc_lo, s5
	s_waitcnt vmcnt(2) lgkmcnt(0)
	v_mul_f64 v[54:55], v[48:49], v[50:51]
	v_mul_f64 v[50:51], v[46:47], v[50:51]
	s_waitcnt vmcnt(0)
	v_fma_f64 v[46:47], v[46:47], v[52:53], -v[54:55]
	v_fma_f64 v[48:49], v[48:49], v[52:53], v[50:51]
	v_add_f64 v[3:4], v[3:4], v[46:47]
	v_add_f64 v[1:2], v[1:2], v[48:49]
	s_andn2_b32 exec_lo, exec_lo, s5
	s_cbranch_execnz .LBB16_61
; %bb.62:
	s_or_b32 exec_lo, exec_lo, s5
	v_mov_b32_e32 v41, 0
	ds_read_b128 v[41:44], v41 offset:192
	s_waitcnt lgkmcnt(0)
	v_mul_f64 v[46:47], v[1:2], v[43:44]
	v_mul_f64 v[43:44], v[3:4], v[43:44]
	v_fma_f64 v[3:4], v[3:4], v[41:42], -v[46:47]
	v_fma_f64 v[1:2], v[1:2], v[41:42], v[43:44]
	buffer_store_dword v4, off, s[0:3], 0 offset:212
	buffer_store_dword v3, off, s[0:3], 0 offset:208
	;; [unrolled: 1-line block ×4, first 2 shown]
.LBB16_63:
	s_or_b32 exec_lo, exec_lo, s4
	v_mov_b32_e32 v4, s13
	s_waitcnt_vscnt null, 0x0
	s_barrier
	buffer_gl0_inv
	s_mov_b32 s4, exec_lo
	s_clause 0x3
	buffer_load_dword v1, v4, s[0:3], 0 offen
	buffer_load_dword v2, v4, s[0:3], 0 offen offset:4
	buffer_load_dword v3, v4, s[0:3], 0 offen offset:8
	;; [unrolled: 1-line block ×3, first 2 shown]
	s_waitcnt vmcnt(0)
	ds_write_b128 v39, v[1:4]
	s_waitcnt lgkmcnt(0)
	s_barrier
	buffer_gl0_inv
	v_cmpx_gt_u32_e32 13, v0
	s_cbranch_execz .LBB16_67
; %bb.64:
	v_mov_b32_e32 v1, 0
	v_mov_b32_e32 v3, 0
	v_add_nc_u32_e32 v41, -1, v0
	v_add_nc_u32_e32 v42, 0x110, v45
	v_mov_b32_e32 v2, 0
	v_mov_b32_e32 v4, 0
	v_add_nc_u32_e32 v43, 16, v45
	s_mov_b32 s5, 0
	.p2align	6
.LBB16_65:                              ; =>This Inner Loop Header: Depth=1
	s_clause 0x3
	buffer_load_dword v50, v43, s[0:3], 0 offen offset:8
	buffer_load_dword v51, v43, s[0:3], 0 offen offset:12
	buffer_load_dword v52, v43, s[0:3], 0 offen
	buffer_load_dword v53, v43, s[0:3], 0 offen offset:4
	ds_read_b128 v[46:49], v42
	v_add_nc_u32_e32 v41, 1, v41
	v_add_nc_u32_e32 v42, 16, v42
	;; [unrolled: 1-line block ×3, first 2 shown]
	v_cmp_lt_u32_e32 vcc_lo, 11, v41
	s_or_b32 s5, vcc_lo, s5
	s_waitcnt vmcnt(2) lgkmcnt(0)
	v_mul_f64 v[54:55], v[48:49], v[50:51]
	v_mul_f64 v[50:51], v[46:47], v[50:51]
	s_waitcnt vmcnt(0)
	v_fma_f64 v[46:47], v[46:47], v[52:53], -v[54:55]
	v_fma_f64 v[48:49], v[48:49], v[52:53], v[50:51]
	v_add_f64 v[3:4], v[3:4], v[46:47]
	v_add_f64 v[1:2], v[1:2], v[48:49]
	s_andn2_b32 exec_lo, exec_lo, s5
	s_cbranch_execnz .LBB16_65
; %bb.66:
	s_or_b32 exec_lo, exec_lo, s5
	v_mov_b32_e32 v41, 0
	ds_read_b128 v[41:44], v41 offset:208
	s_waitcnt lgkmcnt(0)
	v_mul_f64 v[46:47], v[1:2], v[43:44]
	v_mul_f64 v[43:44], v[3:4], v[43:44]
	v_fma_f64 v[3:4], v[3:4], v[41:42], -v[46:47]
	v_fma_f64 v[1:2], v[1:2], v[41:42], v[43:44]
	buffer_store_dword v4, off, s[0:3], 0 offset:228
	buffer_store_dword v3, off, s[0:3], 0 offset:224
	buffer_store_dword v2, off, s[0:3], 0 offset:236
	buffer_store_dword v1, off, s[0:3], 0 offset:232
.LBB16_67:
	s_or_b32 exec_lo, exec_lo, s4
	v_mov_b32_e32 v4, s12
	s_waitcnt_vscnt null, 0x0
	s_barrier
	buffer_gl0_inv
	s_mov_b32 s4, exec_lo
	s_clause 0x3
	buffer_load_dword v1, v4, s[0:3], 0 offen
	buffer_load_dword v2, v4, s[0:3], 0 offen offset:4
	buffer_load_dword v3, v4, s[0:3], 0 offen offset:8
	;; [unrolled: 1-line block ×3, first 2 shown]
	s_waitcnt vmcnt(0)
	ds_write_b128 v39, v[1:4]
	s_waitcnt lgkmcnt(0)
	s_barrier
	buffer_gl0_inv
	v_cmpx_gt_u32_e32 14, v0
	s_cbranch_execz .LBB16_71
; %bb.68:
	v_mov_b32_e32 v1, 0
	v_mov_b32_e32 v3, 0
	v_add_nc_u32_e32 v41, -1, v0
	v_add_nc_u32_e32 v42, 0x110, v45
	v_mov_b32_e32 v2, 0
	v_mov_b32_e32 v4, 0
	v_add_nc_u32_e32 v43, 16, v45
	s_mov_b32 s5, 0
	.p2align	6
.LBB16_69:                              ; =>This Inner Loop Header: Depth=1
	s_clause 0x3
	buffer_load_dword v50, v43, s[0:3], 0 offen offset:8
	buffer_load_dword v51, v43, s[0:3], 0 offen offset:12
	buffer_load_dword v52, v43, s[0:3], 0 offen
	buffer_load_dword v53, v43, s[0:3], 0 offen offset:4
	ds_read_b128 v[46:49], v42
	v_add_nc_u32_e32 v41, 1, v41
	v_add_nc_u32_e32 v42, 16, v42
	;; [unrolled: 1-line block ×3, first 2 shown]
	v_cmp_lt_u32_e32 vcc_lo, 12, v41
	s_or_b32 s5, vcc_lo, s5
	s_waitcnt vmcnt(2) lgkmcnt(0)
	v_mul_f64 v[54:55], v[48:49], v[50:51]
	v_mul_f64 v[50:51], v[46:47], v[50:51]
	s_waitcnt vmcnt(0)
	v_fma_f64 v[46:47], v[46:47], v[52:53], -v[54:55]
	v_fma_f64 v[48:49], v[48:49], v[52:53], v[50:51]
	v_add_f64 v[3:4], v[3:4], v[46:47]
	v_add_f64 v[1:2], v[1:2], v[48:49]
	s_andn2_b32 exec_lo, exec_lo, s5
	s_cbranch_execnz .LBB16_69
; %bb.70:
	s_or_b32 exec_lo, exec_lo, s5
	v_mov_b32_e32 v41, 0
	ds_read_b128 v[41:44], v41 offset:224
	s_waitcnt lgkmcnt(0)
	v_mul_f64 v[46:47], v[1:2], v[43:44]
	v_mul_f64 v[43:44], v[3:4], v[43:44]
	v_fma_f64 v[3:4], v[3:4], v[41:42], -v[46:47]
	v_fma_f64 v[1:2], v[1:2], v[41:42], v[43:44]
	buffer_store_dword v4, off, s[0:3], 0 offset:244
	buffer_store_dword v3, off, s[0:3], 0 offset:240
	;; [unrolled: 1-line block ×4, first 2 shown]
.LBB16_71:
	s_or_b32 exec_lo, exec_lo, s4
	v_mov_b32_e32 v4, s9
	s_waitcnt_vscnt null, 0x0
	s_barrier
	buffer_gl0_inv
	s_mov_b32 s4, exec_lo
	s_clause 0x3
	buffer_load_dword v1, v4, s[0:3], 0 offen
	buffer_load_dword v2, v4, s[0:3], 0 offen offset:4
	buffer_load_dword v3, v4, s[0:3], 0 offen offset:8
	;; [unrolled: 1-line block ×3, first 2 shown]
	s_waitcnt vmcnt(0)
	ds_write_b128 v39, v[1:4]
	s_waitcnt lgkmcnt(0)
	s_barrier
	buffer_gl0_inv
	v_cmpx_gt_u32_e32 15, v0
	s_cbranch_execz .LBB16_75
; %bb.72:
	v_mov_b32_e32 v1, 0
	v_mov_b32_e32 v3, 0
	v_add_nc_u32_e32 v41, -1, v0
	v_add_nc_u32_e32 v42, 0x110, v45
	v_mov_b32_e32 v2, 0
	v_mov_b32_e32 v4, 0
	v_add_nc_u32_e32 v43, 16, v45
	s_mov_b32 s5, 0
	.p2align	6
.LBB16_73:                              ; =>This Inner Loop Header: Depth=1
	s_clause 0x3
	buffer_load_dword v50, v43, s[0:3], 0 offen offset:8
	buffer_load_dword v51, v43, s[0:3], 0 offen offset:12
	buffer_load_dword v52, v43, s[0:3], 0 offen
	buffer_load_dword v53, v43, s[0:3], 0 offen offset:4
	ds_read_b128 v[46:49], v42
	v_add_nc_u32_e32 v41, 1, v41
	v_add_nc_u32_e32 v42, 16, v42
	;; [unrolled: 1-line block ×3, first 2 shown]
	v_cmp_lt_u32_e32 vcc_lo, 13, v41
	s_or_b32 s5, vcc_lo, s5
	s_waitcnt vmcnt(2) lgkmcnt(0)
	v_mul_f64 v[54:55], v[48:49], v[50:51]
	v_mul_f64 v[50:51], v[46:47], v[50:51]
	s_waitcnt vmcnt(0)
	v_fma_f64 v[46:47], v[46:47], v[52:53], -v[54:55]
	v_fma_f64 v[48:49], v[48:49], v[52:53], v[50:51]
	v_add_f64 v[3:4], v[3:4], v[46:47]
	v_add_f64 v[1:2], v[1:2], v[48:49]
	s_andn2_b32 exec_lo, exec_lo, s5
	s_cbranch_execnz .LBB16_73
; %bb.74:
	s_or_b32 exec_lo, exec_lo, s5
	v_mov_b32_e32 v41, 0
	ds_read_b128 v[41:44], v41 offset:240
	s_waitcnt lgkmcnt(0)
	v_mul_f64 v[46:47], v[1:2], v[43:44]
	v_mul_f64 v[43:44], v[3:4], v[43:44]
	v_fma_f64 v[3:4], v[3:4], v[41:42], -v[46:47]
	v_fma_f64 v[1:2], v[1:2], v[41:42], v[43:44]
	buffer_store_dword v4, off, s[0:3], 0 offset:260
	buffer_store_dword v3, off, s[0:3], 0 offset:256
	;; [unrolled: 1-line block ×4, first 2 shown]
.LBB16_75:
	s_or_b32 exec_lo, exec_lo, s4
	v_mov_b32_e32 v4, s8
	s_waitcnt_vscnt null, 0x0
	s_barrier
	buffer_gl0_inv
	s_mov_b32 s4, exec_lo
	s_clause 0x3
	buffer_load_dword v1, v4, s[0:3], 0 offen
	buffer_load_dword v2, v4, s[0:3], 0 offen offset:4
	buffer_load_dword v3, v4, s[0:3], 0 offen offset:8
	;; [unrolled: 1-line block ×3, first 2 shown]
	s_waitcnt vmcnt(0)
	ds_write_b128 v39, v[1:4]
	s_waitcnt lgkmcnt(0)
	s_barrier
	buffer_gl0_inv
	v_cmpx_ne_u32_e32 16, v0
	s_cbranch_execz .LBB16_79
; %bb.76:
	v_mov_b32_e32 v1, 0
	v_mov_b32_e32 v3, 0
	;; [unrolled: 1-line block ×4, first 2 shown]
	v_add_nc_u32_e32 v41, 16, v45
	s_mov_b32 s5, 0
	.p2align	6
.LBB16_77:                              ; =>This Inner Loop Header: Depth=1
	s_clause 0x3
	buffer_load_dword v46, v41, s[0:3], 0 offen offset:8
	buffer_load_dword v47, v41, s[0:3], 0 offen offset:12
	buffer_load_dword v48, v41, s[0:3], 0 offen
	buffer_load_dword v49, v41, s[0:3], 0 offen offset:4
	ds_read_b128 v[42:45], v39
	v_add_nc_u32_e32 v40, 1, v40
	v_add_nc_u32_e32 v39, 16, v39
	;; [unrolled: 1-line block ×3, first 2 shown]
	v_cmp_lt_u32_e32 vcc_lo, 14, v40
	s_or_b32 s5, vcc_lo, s5
	s_waitcnt vmcnt(2) lgkmcnt(0)
	v_mul_f64 v[50:51], v[44:45], v[46:47]
	v_mul_f64 v[46:47], v[42:43], v[46:47]
	s_waitcnt vmcnt(0)
	v_fma_f64 v[42:43], v[42:43], v[48:49], -v[50:51]
	v_fma_f64 v[44:45], v[44:45], v[48:49], v[46:47]
	v_add_f64 v[3:4], v[3:4], v[42:43]
	v_add_f64 v[1:2], v[1:2], v[44:45]
	s_andn2_b32 exec_lo, exec_lo, s5
	s_cbranch_execnz .LBB16_77
; %bb.78:
	s_or_b32 exec_lo, exec_lo, s5
	v_mov_b32_e32 v39, 0
	ds_read_b128 v[39:42], v39 offset:256
	s_waitcnt lgkmcnt(0)
	v_mul_f64 v[43:44], v[1:2], v[41:42]
	v_mul_f64 v[41:42], v[3:4], v[41:42]
	v_fma_f64 v[3:4], v[3:4], v[39:40], -v[43:44]
	v_fma_f64 v[1:2], v[1:2], v[39:40], v[41:42]
	buffer_store_dword v4, off, s[0:3], 0 offset:276
	buffer_store_dword v3, off, s[0:3], 0 offset:272
	;; [unrolled: 1-line block ×4, first 2 shown]
.LBB16_79:
	s_or_b32 exec_lo, exec_lo, s4
	s_mov_b32 s5, -1
	s_waitcnt_vscnt null, 0x0
	s_barrier
	buffer_gl0_inv
.LBB16_80:
	s_and_b32 vcc_lo, exec_lo, s5
	s_cbranch_vccz .LBB16_82
; %bb.81:
	s_lshl_b64 s[4:5], s[6:7], 2
	v_mov_b32_e32 v1, 0
	s_add_u32 s4, s10, s4
	s_addc_u32 s5, s11, s5
	global_load_dword v1, v1, s[4:5]
	s_waitcnt vmcnt(0)
	v_cmp_ne_u32_e32 vcc_lo, 0, v1
	s_cbranch_vccz .LBB16_83
.LBB16_82:
	s_endpgm
.LBB16_83:
	v_lshl_add_u32 v1, v0, 4, 0x110
	s_mov_b32 s4, exec_lo
	v_cmpx_eq_u32_e32 16, v0
	s_cbranch_execz .LBB16_85
; %bb.84:
	v_mov_b32_e32 v2, s9
	s_clause 0x3
	buffer_load_dword v39, v2, s[0:3], 0 offen
	buffer_load_dword v40, v2, s[0:3], 0 offen offset:4
	buffer_load_dword v41, v2, s[0:3], 0 offen offset:8
	;; [unrolled: 1-line block ×3, first 2 shown]
	v_mov_b32_e32 v2, 0
	buffer_store_dword v2, off, s[0:3], 0 offset:256
	buffer_store_dword v2, off, s[0:3], 0 offset:260
	;; [unrolled: 1-line block ×4, first 2 shown]
	s_waitcnt vmcnt(0)
	ds_write_b128 v1, v[39:42]
.LBB16_85:
	s_or_b32 exec_lo, exec_lo, s4
	s_waitcnt lgkmcnt(0)
	s_waitcnt_vscnt null, 0x0
	s_barrier
	buffer_gl0_inv
	s_clause 0x7
	buffer_load_dword v3, off, s[0:3], 0 offset:280
	buffer_load_dword v4, off, s[0:3], 0 offset:284
	;; [unrolled: 1-line block ×8, first 2 shown]
	v_mov_b32_e32 v2, 0
	s_mov_b32 s4, exec_lo
	ds_read_b128 v[39:42], v2 offset:528
	s_waitcnt vmcnt(6) lgkmcnt(0)
	v_mul_f64 v[49:50], v[41:42], v[3:4]
	v_mul_f64 v[3:4], v[39:40], v[3:4]
	s_waitcnt vmcnt(4)
	v_fma_f64 v[39:40], v[39:40], v[43:44], -v[49:50]
	v_fma_f64 v[3:4], v[41:42], v[43:44], v[3:4]
	v_add_f64 v[39:40], v[39:40], 0
	v_add_f64 v[3:4], v[3:4], 0
	s_waitcnt vmcnt(2)
	v_add_f64 v[39:40], v[45:46], -v[39:40]
	s_waitcnt vmcnt(0)
	v_add_f64 v[3:4], v[47:48], -v[3:4]
	buffer_store_dword v39, off, s[0:3], 0 offset:256
	buffer_store_dword v40, off, s[0:3], 0 offset:260
	buffer_store_dword v3, off, s[0:3], 0 offset:264
	buffer_store_dword v4, off, s[0:3], 0 offset:268
	v_cmpx_lt_u32_e32 14, v0
	s_cbranch_execz .LBB16_87
; %bb.86:
	v_mov_b32_e32 v3, s12
	s_clause 0x3
	buffer_load_dword v39, v3, s[0:3], 0 offen
	buffer_load_dword v40, v3, s[0:3], 0 offen offset:4
	buffer_load_dword v41, v3, s[0:3], 0 offen offset:8
	;; [unrolled: 1-line block ×3, first 2 shown]
	buffer_store_dword v2, off, s[0:3], 0 offset:240
	buffer_store_dword v2, off, s[0:3], 0 offset:244
	;; [unrolled: 1-line block ×4, first 2 shown]
	s_waitcnt vmcnt(0)
	ds_write_b128 v1, v[39:42]
.LBB16_87:
	s_or_b32 exec_lo, exec_lo, s4
	s_waitcnt lgkmcnt(0)
	s_waitcnt_vscnt null, 0x0
	s_barrier
	buffer_gl0_inv
	s_clause 0xb
	buffer_load_dword v3, off, s[0:3], 0 offset:264
	buffer_load_dword v4, off, s[0:3], 0 offset:268
	;; [unrolled: 1-line block ×12, first 2 shown]
	ds_read_b128 v[39:42], v2 offset:512
	ds_read_b128 v[43:46], v2 offset:528
	s_mov_b32 s4, exec_lo
	s_waitcnt vmcnt(10) lgkmcnt(1)
	v_mul_f64 v[57:58], v[41:42], v[3:4]
	v_mul_f64 v[2:3], v[39:40], v[3:4]
	s_waitcnt vmcnt(8) lgkmcnt(0)
	v_mul_f64 v[59:60], v[45:46], v[47:48]
	v_mul_f64 v[47:48], v[43:44], v[47:48]
	s_waitcnt vmcnt(6)
	v_fma_f64 v[39:40], v[39:40], v[49:50], -v[57:58]
	v_fma_f64 v[2:3], v[41:42], v[49:50], v[2:3]
	s_waitcnt vmcnt(4)
	v_fma_f64 v[41:42], v[43:44], v[51:52], -v[59:60]
	v_fma_f64 v[43:44], v[45:46], v[51:52], v[47:48]
	v_add_f64 v[39:40], v[39:40], 0
	v_add_f64 v[2:3], v[2:3], 0
	;; [unrolled: 1-line block ×4, first 2 shown]
	s_waitcnt vmcnt(2)
	v_add_f64 v[39:40], v[53:54], -v[39:40]
	s_waitcnt vmcnt(0)
	v_add_f64 v[2:3], v[55:56], -v[2:3]
	buffer_store_dword v39, off, s[0:3], 0 offset:240
	buffer_store_dword v40, off, s[0:3], 0 offset:244
	;; [unrolled: 1-line block ×4, first 2 shown]
	v_cmpx_lt_u32_e32 13, v0
	s_cbranch_execz .LBB16_89
; %bb.88:
	v_mov_b32_e32 v2, s13
	s_clause 0x3
	buffer_load_dword v39, v2, s[0:3], 0 offen
	buffer_load_dword v40, v2, s[0:3], 0 offen offset:4
	buffer_load_dword v41, v2, s[0:3], 0 offen offset:8
	;; [unrolled: 1-line block ×3, first 2 shown]
	v_mov_b32_e32 v2, 0
	buffer_store_dword v2, off, s[0:3], 0 offset:224
	buffer_store_dword v2, off, s[0:3], 0 offset:228
	;; [unrolled: 1-line block ×4, first 2 shown]
	s_waitcnt vmcnt(0)
	ds_write_b128 v1, v[39:42]
.LBB16_89:
	s_or_b32 exec_lo, exec_lo, s4
	s_waitcnt lgkmcnt(0)
	s_waitcnt_vscnt null, 0x0
	s_barrier
	buffer_gl0_inv
	s_clause 0xf
	buffer_load_dword v3, off, s[0:3], 0 offset:248
	buffer_load_dword v4, off, s[0:3], 0 offset:252
	;; [unrolled: 1-line block ×16, first 2 shown]
	v_mov_b32_e32 v2, 0
	ds_read_b128 v[39:42], v2 offset:496
	ds_read_b128 v[43:46], v2 offset:512
	;; [unrolled: 1-line block ×3, first 2 shown]
	s_mov_b32 s4, exec_lo
	s_waitcnt vmcnt(14) lgkmcnt(2)
	v_mul_f64 v[65:66], v[41:42], v[3:4]
	v_mul_f64 v[3:4], v[39:40], v[3:4]
	s_waitcnt vmcnt(12) lgkmcnt(1)
	v_mul_f64 v[67:68], v[45:46], v[51:52]
	v_mul_f64 v[51:52], v[43:44], v[51:52]
	s_waitcnt vmcnt(10)
	v_fma_f64 v[39:40], v[39:40], v[53:54], -v[65:66]
	v_fma_f64 v[3:4], v[41:42], v[53:54], v[3:4]
	s_waitcnt vmcnt(8) lgkmcnt(0)
	v_mul_f64 v[53:54], v[49:50], v[55:56]
	s_waitcnt vmcnt(6)
	v_fma_f64 v[43:44], v[43:44], v[57:58], -v[67:68]
	v_mul_f64 v[41:42], v[47:48], v[55:56]
	v_fma_f64 v[45:46], v[45:46], v[57:58], v[51:52]
	v_add_f64 v[39:40], v[39:40], 0
	v_add_f64 v[3:4], v[3:4], 0
	s_waitcnt vmcnt(4)
	v_fma_f64 v[47:48], v[47:48], v[59:60], -v[53:54]
	v_fma_f64 v[41:42], v[49:50], v[59:60], v[41:42]
	v_add_f64 v[39:40], v[39:40], v[43:44]
	v_add_f64 v[3:4], v[3:4], v[45:46]
	;; [unrolled: 1-line block ×4, first 2 shown]
	s_waitcnt vmcnt(2)
	v_add_f64 v[39:40], v[61:62], -v[39:40]
	s_waitcnt vmcnt(0)
	v_add_f64 v[3:4], v[63:64], -v[3:4]
	buffer_store_dword v39, off, s[0:3], 0 offset:224
	buffer_store_dword v40, off, s[0:3], 0 offset:228
	;; [unrolled: 1-line block ×4, first 2 shown]
	v_cmpx_lt_u32_e32 12, v0
	s_cbranch_execz .LBB16_91
; %bb.90:
	v_mov_b32_e32 v3, s14
	s_clause 0x3
	buffer_load_dword v39, v3, s[0:3], 0 offen
	buffer_load_dword v40, v3, s[0:3], 0 offen offset:4
	buffer_load_dword v41, v3, s[0:3], 0 offen offset:8
	;; [unrolled: 1-line block ×3, first 2 shown]
	buffer_store_dword v2, off, s[0:3], 0 offset:208
	buffer_store_dword v2, off, s[0:3], 0 offset:212
	;; [unrolled: 1-line block ×4, first 2 shown]
	s_waitcnt vmcnt(0)
	ds_write_b128 v1, v[39:42]
.LBB16_91:
	s_or_b32 exec_lo, exec_lo, s4
	s_waitcnt lgkmcnt(0)
	s_waitcnt_vscnt null, 0x0
	s_barrier
	buffer_gl0_inv
	s_clause 0x13
	buffer_load_dword v3, off, s[0:3], 0 offset:232
	buffer_load_dword v4, off, s[0:3], 0 offset:236
	buffer_load_dword v51, off, s[0:3], 0 offset:248
	buffer_load_dword v52, off, s[0:3], 0 offset:252
	buffer_load_dword v53, off, s[0:3], 0 offset:224
	buffer_load_dword v54, off, s[0:3], 0 offset:228
	buffer_load_dword v55, off, s[0:3], 0 offset:264
	buffer_load_dword v56, off, s[0:3], 0 offset:268
	buffer_load_dword v57, off, s[0:3], 0 offset:240
	buffer_load_dword v58, off, s[0:3], 0 offset:244
	buffer_load_dword v60, off, s[0:3], 0 offset:284
	buffer_load_dword v59, off, s[0:3], 0 offset:280
	buffer_load_dword v61, off, s[0:3], 0 offset:256
	buffer_load_dword v62, off, s[0:3], 0 offset:260
	buffer_load_dword v64, off, s[0:3], 0 offset:276
	buffer_load_dword v63, off, s[0:3], 0 offset:272
	buffer_load_dword v65, off, s[0:3], 0 offset:208
	buffer_load_dword v66, off, s[0:3], 0 offset:212
	buffer_load_dword v67, off, s[0:3], 0 offset:216
	buffer_load_dword v68, off, s[0:3], 0 offset:220
	ds_read_b128 v[39:42], v2 offset:480
	ds_read_b128 v[43:46], v2 offset:496
	ds_read_b128 v[47:50], v2 offset:512
	s_mov_b32 s4, exec_lo
	s_waitcnt vmcnt(18) lgkmcnt(2)
	v_mul_f64 v[69:70], v[41:42], v[3:4]
	v_mul_f64 v[3:4], v[39:40], v[3:4]
	s_waitcnt vmcnt(16) lgkmcnt(1)
	v_mul_f64 v[71:72], v[45:46], v[51:52]
	v_mul_f64 v[51:52], v[43:44], v[51:52]
	s_waitcnt vmcnt(14)
	v_fma_f64 v[69:70], v[39:40], v[53:54], -v[69:70]
	v_fma_f64 v[3:4], v[41:42], v[53:54], v[3:4]
	ds_read_b128 v[39:42], v2 offset:528
	s_waitcnt vmcnt(12) lgkmcnt(1)
	v_mul_f64 v[53:54], v[47:48], v[55:56]
	v_mul_f64 v[55:56], v[49:50], v[55:56]
	s_waitcnt vmcnt(10)
	v_fma_f64 v[43:44], v[43:44], v[57:58], -v[71:72]
	v_fma_f64 v[45:46], v[45:46], v[57:58], v[51:52]
	s_waitcnt vmcnt(8) lgkmcnt(0)
	v_mul_f64 v[57:58], v[41:42], v[59:60]
	v_add_f64 v[69:70], v[69:70], 0
	v_add_f64 v[2:3], v[3:4], 0
	v_mul_f64 v[51:52], v[39:40], v[59:60]
	s_waitcnt vmcnt(6)
	v_fma_f64 v[47:48], v[47:48], v[61:62], -v[55:56]
	v_fma_f64 v[49:50], v[49:50], v[61:62], v[53:54]
	s_waitcnt vmcnt(4)
	v_fma_f64 v[39:40], v[39:40], v[63:64], -v[57:58]
	v_add_f64 v[43:44], v[69:70], v[43:44]
	v_add_f64 v[2:3], v[2:3], v[45:46]
	v_fma_f64 v[41:42], v[41:42], v[63:64], v[51:52]
	v_add_f64 v[43:44], v[43:44], v[47:48]
	v_add_f64 v[2:3], v[2:3], v[49:50]
	;; [unrolled: 1-line block ×4, first 2 shown]
	s_waitcnt vmcnt(2)
	v_add_f64 v[39:40], v[65:66], -v[39:40]
	s_waitcnt vmcnt(0)
	v_add_f64 v[2:3], v[67:68], -v[2:3]
	buffer_store_dword v39, off, s[0:3], 0 offset:208
	buffer_store_dword v40, off, s[0:3], 0 offset:212
	;; [unrolled: 1-line block ×4, first 2 shown]
	v_cmpx_lt_u32_e32 11, v0
	s_cbranch_execz .LBB16_93
; %bb.92:
	v_mov_b32_e32 v2, s15
	s_clause 0x3
	buffer_load_dword v39, v2, s[0:3], 0 offen
	buffer_load_dword v40, v2, s[0:3], 0 offen offset:4
	buffer_load_dword v41, v2, s[0:3], 0 offen offset:8
	;; [unrolled: 1-line block ×3, first 2 shown]
	v_mov_b32_e32 v2, 0
	buffer_store_dword v2, off, s[0:3], 0 offset:192
	buffer_store_dword v2, off, s[0:3], 0 offset:196
	;; [unrolled: 1-line block ×4, first 2 shown]
	s_waitcnt vmcnt(0)
	ds_write_b128 v1, v[39:42]
.LBB16_93:
	s_or_b32 exec_lo, exec_lo, s4
	s_waitcnt lgkmcnt(0)
	s_waitcnt_vscnt null, 0x0
	s_barrier
	buffer_gl0_inv
	s_clause 0x17
	buffer_load_dword v3, off, s[0:3], 0 offset:216
	buffer_load_dword v4, off, s[0:3], 0 offset:220
	buffer_load_dword v51, off, s[0:3], 0 offset:232
	buffer_load_dword v52, off, s[0:3], 0 offset:236
	buffer_load_dword v53, off, s[0:3], 0 offset:208
	buffer_load_dword v54, off, s[0:3], 0 offset:212
	buffer_load_dword v55, off, s[0:3], 0 offset:248
	buffer_load_dword v56, off, s[0:3], 0 offset:252
	buffer_load_dword v57, off, s[0:3], 0 offset:224
	buffer_load_dword v58, off, s[0:3], 0 offset:228
	buffer_load_dword v60, off, s[0:3], 0 offset:268
	buffer_load_dword v61, off, s[0:3], 0 offset:280
	buffer_load_dword v63, off, s[0:3], 0 offset:272
	buffer_load_dword v59, off, s[0:3], 0 offset:264
	buffer_load_dword v65, off, s[0:3], 0 offset:240
	buffer_load_dword v66, off, s[0:3], 0 offset:244
	buffer_load_dword v62, off, s[0:3], 0 offset:284
	buffer_load_dword v68, off, s[0:3], 0 offset:260
	buffer_load_dword v67, off, s[0:3], 0 offset:256
	buffer_load_dword v64, off, s[0:3], 0 offset:276
	buffer_load_dword v69, off, s[0:3], 0 offset:192
	buffer_load_dword v70, off, s[0:3], 0 offset:196
	buffer_load_dword v71, off, s[0:3], 0 offset:200
	buffer_load_dword v72, off, s[0:3], 0 offset:204
	v_mov_b32_e32 v2, 0
	ds_read_b128 v[39:42], v2 offset:464
	ds_read_b128 v[43:46], v2 offset:480
	;; [unrolled: 1-line block ×3, first 2 shown]
	s_mov_b32 s4, exec_lo
	s_waitcnt vmcnt(22) lgkmcnt(2)
	v_mul_f64 v[73:74], v[41:42], v[3:4]
	v_mul_f64 v[3:4], v[39:40], v[3:4]
	s_waitcnt vmcnt(20) lgkmcnt(1)
	v_mul_f64 v[75:76], v[45:46], v[51:52]
	v_mul_f64 v[51:52], v[43:44], v[51:52]
	s_waitcnt vmcnt(18)
	v_fma_f64 v[73:74], v[39:40], v[53:54], -v[73:74]
	v_fma_f64 v[3:4], v[41:42], v[53:54], v[3:4]
	ds_read_b128 v[39:42], v2 offset:512
	s_waitcnt vmcnt(16) lgkmcnt(1)
	v_mul_f64 v[53:54], v[47:48], v[55:56]
	v_mul_f64 v[55:56], v[49:50], v[55:56]
	s_waitcnt vmcnt(14)
	v_fma_f64 v[75:76], v[43:44], v[57:58], -v[75:76]
	v_fma_f64 v[51:52], v[45:46], v[57:58], v[51:52]
	ds_read_b128 v[43:46], v2 offset:528
	s_waitcnt vmcnt(10) lgkmcnt(1)
	v_mul_f64 v[57:58], v[39:40], v[59:60]
	v_add_f64 v[73:74], v[73:74], 0
	v_add_f64 v[3:4], v[3:4], 0
	v_mul_f64 v[59:60], v[41:42], v[59:60]
	s_waitcnt vmcnt(8)
	v_fma_f64 v[47:48], v[47:48], v[65:66], -v[55:56]
	v_fma_f64 v[49:50], v[49:50], v[65:66], v[53:54]
	s_waitcnt vmcnt(7) lgkmcnt(0)
	v_mul_f64 v[53:54], v[45:46], v[61:62]
	s_waitcnt vmcnt(5)
	v_fma_f64 v[41:42], v[41:42], v[67:68], v[57:58]
	v_add_f64 v[55:56], v[73:74], v[75:76]
	v_add_f64 v[3:4], v[3:4], v[51:52]
	v_fma_f64 v[39:40], v[39:40], v[67:68], -v[59:60]
	v_mul_f64 v[51:52], v[43:44], v[61:62]
	s_waitcnt vmcnt(4)
	v_fma_f64 v[43:44], v[43:44], v[63:64], -v[53:54]
	v_add_f64 v[47:48], v[55:56], v[47:48]
	v_add_f64 v[3:4], v[3:4], v[49:50]
	v_fma_f64 v[45:46], v[45:46], v[63:64], v[51:52]
	v_add_f64 v[39:40], v[47:48], v[39:40]
	v_add_f64 v[3:4], v[3:4], v[41:42]
	;; [unrolled: 1-line block ×4, first 2 shown]
	s_waitcnt vmcnt(2)
	v_add_f64 v[39:40], v[69:70], -v[39:40]
	s_waitcnt vmcnt(0)
	v_add_f64 v[3:4], v[71:72], -v[3:4]
	buffer_store_dword v40, off, s[0:3], 0 offset:196
	buffer_store_dword v39, off, s[0:3], 0 offset:192
	buffer_store_dword v4, off, s[0:3], 0 offset:204
	buffer_store_dword v3, off, s[0:3], 0 offset:200
	v_cmpx_lt_u32_e32 10, v0
	s_cbranch_execz .LBB16_95
; %bb.94:
	v_mov_b32_e32 v3, s16
	s_clause 0x3
	buffer_load_dword v39, v3, s[0:3], 0 offen
	buffer_load_dword v40, v3, s[0:3], 0 offen offset:4
	buffer_load_dword v41, v3, s[0:3], 0 offen offset:8
	;; [unrolled: 1-line block ×3, first 2 shown]
	buffer_store_dword v2, off, s[0:3], 0 offset:176
	buffer_store_dword v2, off, s[0:3], 0 offset:180
	;; [unrolled: 1-line block ×4, first 2 shown]
	s_waitcnt vmcnt(0)
	ds_write_b128 v1, v[39:42]
.LBB16_95:
	s_or_b32 exec_lo, exec_lo, s4
	s_waitcnt lgkmcnt(0)
	s_waitcnt_vscnt null, 0x0
	s_barrier
	buffer_gl0_inv
	s_clause 0x1b
	buffer_load_dword v3, off, s[0:3], 0 offset:200
	buffer_load_dword v4, off, s[0:3], 0 offset:204
	;; [unrolled: 1-line block ×28, first 2 shown]
	ds_read_b128 v[39:42], v2 offset:448
	ds_read_b128 v[43:46], v2 offset:464
	;; [unrolled: 1-line block ×3, first 2 shown]
	s_mov_b32 s4, exec_lo
	s_waitcnt vmcnt(26) lgkmcnt(2)
	v_mul_f64 v[77:78], v[41:42], v[3:4]
	v_mul_f64 v[3:4], v[39:40], v[3:4]
	s_waitcnt vmcnt(24) lgkmcnt(1)
	v_mul_f64 v[79:80], v[45:46], v[51:52]
	v_mul_f64 v[51:52], v[43:44], v[51:52]
	s_waitcnt vmcnt(22)
	v_fma_f64 v[77:78], v[39:40], v[53:54], -v[77:78]
	v_fma_f64 v[3:4], v[41:42], v[53:54], v[3:4]
	ds_read_b128 v[39:42], v2 offset:496
	s_waitcnt vmcnt(20) lgkmcnt(1)
	v_mul_f64 v[53:54], v[47:48], v[55:56]
	v_mul_f64 v[55:56], v[49:50], v[55:56]
	s_waitcnt vmcnt(18)
	v_fma_f64 v[79:80], v[43:44], v[57:58], -v[79:80]
	v_fma_f64 v[51:52], v[45:46], v[57:58], v[51:52]
	ds_read_b128 v[43:46], v2 offset:512
	s_waitcnt vmcnt(14) lgkmcnt(1)
	v_mul_f64 v[57:58], v[39:40], v[59:60]
	v_add_f64 v[77:78], v[77:78], 0
	v_add_f64 v[3:4], v[3:4], 0
	v_mul_f64 v[59:60], v[41:42], v[59:60]
	s_waitcnt vmcnt(12)
	v_fma_f64 v[55:56], v[47:48], v[65:66], -v[55:56]
	v_fma_f64 v[53:54], v[49:50], v[65:66], v[53:54]
	ds_read_b128 v[47:50], v2 offset:528
	s_waitcnt vmcnt(9)
	v_fma_f64 v[41:42], v[41:42], v[67:68], v[57:58]
	v_add_f64 v[77:78], v[77:78], v[79:80]
	v_add_f64 v[3:4], v[3:4], v[51:52]
	s_waitcnt lgkmcnt(1)
	v_mul_f64 v[51:52], v[43:44], v[61:62]
	v_mul_f64 v[61:62], v[45:46], v[61:62]
	v_fma_f64 v[39:40], v[39:40], v[67:68], -v[59:60]
	s_waitcnt vmcnt(7) lgkmcnt(0)
	v_mul_f64 v[57:58], v[49:50], v[69:70]
	v_add_f64 v[55:56], v[77:78], v[55:56]
	v_add_f64 v[2:3], v[3:4], v[53:54]
	v_mul_f64 v[53:54], v[47:48], v[69:70]
	s_waitcnt vmcnt(6)
	v_fma_f64 v[43:44], v[43:44], v[63:64], -v[61:62]
	v_fma_f64 v[45:46], v[45:46], v[63:64], v[51:52]
	v_add_f64 v[39:40], v[55:56], v[39:40]
	v_add_f64 v[2:3], v[2:3], v[41:42]
	s_waitcnt vmcnt(4)
	v_fma_f64 v[41:42], v[47:48], v[71:72], -v[57:58]
	v_add_f64 v[39:40], v[39:40], v[43:44]
	v_fma_f64 v[43:44], v[49:50], v[71:72], v[53:54]
	v_add_f64 v[2:3], v[2:3], v[45:46]
	v_add_f64 v[39:40], v[39:40], v[41:42]
	v_add_f64 v[2:3], v[2:3], v[43:44]
	s_waitcnt vmcnt(2)
	v_add_f64 v[39:40], v[73:74], -v[39:40]
	s_waitcnt vmcnt(0)
	v_add_f64 v[2:3], v[75:76], -v[2:3]
	buffer_store_dword v40, off, s[0:3], 0 offset:180
	buffer_store_dword v39, off, s[0:3], 0 offset:176
	;; [unrolled: 1-line block ×4, first 2 shown]
	v_cmpx_lt_u32_e32 9, v0
	s_cbranch_execz .LBB16_97
; %bb.96:
	v_mov_b32_e32 v2, s17
	s_clause 0x3
	buffer_load_dword v39, v2, s[0:3], 0 offen
	buffer_load_dword v40, v2, s[0:3], 0 offen offset:4
	buffer_load_dword v41, v2, s[0:3], 0 offen offset:8
	;; [unrolled: 1-line block ×3, first 2 shown]
	v_mov_b32_e32 v2, 0
	buffer_store_dword v2, off, s[0:3], 0 offset:160
	buffer_store_dword v2, off, s[0:3], 0 offset:164
	;; [unrolled: 1-line block ×4, first 2 shown]
	s_waitcnt vmcnt(0)
	ds_write_b128 v1, v[39:42]
.LBB16_97:
	s_or_b32 exec_lo, exec_lo, s4
	s_waitcnt lgkmcnt(0)
	s_waitcnt_vscnt null, 0x0
	s_barrier
	buffer_gl0_inv
	s_clause 0x1f
	buffer_load_dword v3, off, s[0:3], 0 offset:184
	buffer_load_dword v4, off, s[0:3], 0 offset:188
	buffer_load_dword v51, off, s[0:3], 0 offset:200
	buffer_load_dword v52, off, s[0:3], 0 offset:204
	buffer_load_dword v53, off, s[0:3], 0 offset:176
	buffer_load_dword v54, off, s[0:3], 0 offset:180
	buffer_load_dword v55, off, s[0:3], 0 offset:216
	buffer_load_dword v56, off, s[0:3], 0 offset:220
	buffer_load_dword v57, off, s[0:3], 0 offset:192
	buffer_load_dword v58, off, s[0:3], 0 offset:196
	buffer_load_dword v60, off, s[0:3], 0 offset:236
	buffer_load_dword v61, off, s[0:3], 0 offset:248
	buffer_load_dword v63, off, s[0:3], 0 offset:240
	buffer_load_dword v59, off, s[0:3], 0 offset:232
	buffer_load_dword v65, off, s[0:3], 0 offset:208
	buffer_load_dword v66, off, s[0:3], 0 offset:212
	buffer_load_dword v62, off, s[0:3], 0 offset:252
	buffer_load_dword v68, off, s[0:3], 0 offset:228
	buffer_load_dword v67, off, s[0:3], 0 offset:224
	buffer_load_dword v70, off, s[0:3], 0 offset:268
	buffer_load_dword v71, off, s[0:3], 0 offset:280
	buffer_load_dword v73, off, s[0:3], 0 offset:272
	buffer_load_dword v69, off, s[0:3], 0 offset:264
	buffer_load_dword v64, off, s[0:3], 0 offset:244
	buffer_load_dword v72, off, s[0:3], 0 offset:284
	buffer_load_dword v76, off, s[0:3], 0 offset:260
	buffer_load_dword v75, off, s[0:3], 0 offset:256
	buffer_load_dword v74, off, s[0:3], 0 offset:276
	buffer_load_dword v77, off, s[0:3], 0 offset:160
	buffer_load_dword v78, off, s[0:3], 0 offset:164
	buffer_load_dword v79, off, s[0:3], 0 offset:168
	buffer_load_dword v80, off, s[0:3], 0 offset:172
	v_mov_b32_e32 v2, 0
	ds_read_b128 v[39:42], v2 offset:432
	ds_read_b128 v[43:46], v2 offset:448
	;; [unrolled: 1-line block ×3, first 2 shown]
	s_mov_b32 s4, exec_lo
	s_waitcnt vmcnt(30) lgkmcnt(2)
	v_mul_f64 v[81:82], v[41:42], v[3:4]
	v_mul_f64 v[3:4], v[39:40], v[3:4]
	s_waitcnt vmcnt(28) lgkmcnt(1)
	v_mul_f64 v[83:84], v[45:46], v[51:52]
	v_mul_f64 v[51:52], v[43:44], v[51:52]
	s_waitcnt vmcnt(26)
	v_fma_f64 v[81:82], v[39:40], v[53:54], -v[81:82]
	v_fma_f64 v[3:4], v[41:42], v[53:54], v[3:4]
	ds_read_b128 v[39:42], v2 offset:480
	s_waitcnt vmcnt(24) lgkmcnt(1)
	v_mul_f64 v[53:54], v[47:48], v[55:56]
	v_mul_f64 v[55:56], v[49:50], v[55:56]
	s_waitcnt vmcnt(22)
	v_fma_f64 v[83:84], v[43:44], v[57:58], -v[83:84]
	v_fma_f64 v[51:52], v[45:46], v[57:58], v[51:52]
	ds_read_b128 v[43:46], v2 offset:496
	s_waitcnt vmcnt(18) lgkmcnt(1)
	v_mul_f64 v[57:58], v[39:40], v[59:60]
	v_add_f64 v[81:82], v[81:82], 0
	v_add_f64 v[3:4], v[3:4], 0
	v_mul_f64 v[59:60], v[41:42], v[59:60]
	s_waitcnt vmcnt(16)
	v_fma_f64 v[55:56], v[47:48], v[65:66], -v[55:56]
	v_fma_f64 v[53:54], v[49:50], v[65:66], v[53:54]
	ds_read_b128 v[47:50], v2 offset:512
	s_waitcnt vmcnt(13)
	v_fma_f64 v[57:58], v[41:42], v[67:68], v[57:58]
	v_add_f64 v[81:82], v[81:82], v[83:84]
	v_add_f64 v[3:4], v[3:4], v[51:52]
	s_waitcnt lgkmcnt(1)
	v_mul_f64 v[51:52], v[43:44], v[61:62]
	v_mul_f64 v[61:62], v[45:46], v[61:62]
	v_fma_f64 v[59:60], v[39:40], v[67:68], -v[59:60]
	s_waitcnt vmcnt(9) lgkmcnt(0)
	v_mul_f64 v[65:66], v[49:50], v[69:70]
	ds_read_b128 v[39:42], v2 offset:528
	v_add_f64 v[55:56], v[81:82], v[55:56]
	v_add_f64 v[3:4], v[3:4], v[53:54]
	v_mul_f64 v[53:54], v[47:48], v[69:70]
	s_waitcnt vmcnt(8)
	v_fma_f64 v[43:44], v[43:44], v[63:64], -v[61:62]
	v_fma_f64 v[45:46], v[45:46], v[63:64], v[51:52]
	s_waitcnt vmcnt(5)
	v_fma_f64 v[47:48], v[47:48], v[75:76], -v[65:66]
	s_waitcnt lgkmcnt(0)
	v_mul_f64 v[51:52], v[39:40], v[71:72]
	v_add_f64 v[55:56], v[55:56], v[59:60]
	v_add_f64 v[3:4], v[3:4], v[57:58]
	v_mul_f64 v[57:58], v[41:42], v[71:72]
	v_fma_f64 v[49:50], v[49:50], v[75:76], v[53:54]
	s_waitcnt vmcnt(4)
	v_fma_f64 v[41:42], v[41:42], v[73:74], v[51:52]
	v_add_f64 v[43:44], v[55:56], v[43:44]
	v_add_f64 v[3:4], v[3:4], v[45:46]
	v_fma_f64 v[39:40], v[39:40], v[73:74], -v[57:58]
	v_add_f64 v[43:44], v[43:44], v[47:48]
	v_add_f64 v[3:4], v[3:4], v[49:50]
	;; [unrolled: 1-line block ×4, first 2 shown]
	s_waitcnt vmcnt(2)
	v_add_f64 v[39:40], v[77:78], -v[39:40]
	s_waitcnt vmcnt(0)
	v_add_f64 v[3:4], v[79:80], -v[3:4]
	buffer_store_dword v40, off, s[0:3], 0 offset:164
	buffer_store_dword v39, off, s[0:3], 0 offset:160
	;; [unrolled: 1-line block ×4, first 2 shown]
	v_cmpx_lt_u32_e32 8, v0
	s_cbranch_execz .LBB16_99
; %bb.98:
	v_mov_b32_e32 v3, s18
	s_clause 0x3
	buffer_load_dword v39, v3, s[0:3], 0 offen
	buffer_load_dword v40, v3, s[0:3], 0 offen offset:4
	buffer_load_dword v41, v3, s[0:3], 0 offen offset:8
	;; [unrolled: 1-line block ×3, first 2 shown]
	buffer_store_dword v2, off, s[0:3], 0 offset:144
	buffer_store_dword v2, off, s[0:3], 0 offset:148
	;; [unrolled: 1-line block ×4, first 2 shown]
	s_waitcnt vmcnt(0)
	ds_write_b128 v1, v[39:42]
.LBB16_99:
	s_or_b32 exec_lo, exec_lo, s4
	s_waitcnt lgkmcnt(0)
	s_waitcnt_vscnt null, 0x0
	s_barrier
	buffer_gl0_inv
	s_clause 0x23
	buffer_load_dword v3, off, s[0:3], 0 offset:168
	buffer_load_dword v4, off, s[0:3], 0 offset:172
	;; [unrolled: 1-line block ×36, first 2 shown]
	ds_read_b128 v[39:42], v2 offset:416
	ds_read_b128 v[43:46], v2 offset:432
	;; [unrolled: 1-line block ×3, first 2 shown]
	s_mov_b32 s4, exec_lo
	s_waitcnt vmcnt(34) lgkmcnt(2)
	v_mul_f64 v[85:86], v[41:42], v[3:4]
	v_mul_f64 v[3:4], v[39:40], v[3:4]
	s_waitcnt vmcnt(32) lgkmcnt(1)
	v_mul_f64 v[87:88], v[45:46], v[51:52]
	v_mul_f64 v[51:52], v[43:44], v[51:52]
	s_waitcnt vmcnt(30)
	v_fma_f64 v[85:86], v[39:40], v[53:54], -v[85:86]
	v_fma_f64 v[3:4], v[41:42], v[53:54], v[3:4]
	ds_read_b128 v[39:42], v2 offset:464
	s_waitcnt vmcnt(28) lgkmcnt(1)
	v_mul_f64 v[53:54], v[47:48], v[55:56]
	v_mul_f64 v[55:56], v[49:50], v[55:56]
	s_waitcnt vmcnt(26)
	v_fma_f64 v[87:88], v[43:44], v[57:58], -v[87:88]
	v_fma_f64 v[51:52], v[45:46], v[57:58], v[51:52]
	ds_read_b128 v[43:46], v2 offset:480
	s_waitcnt vmcnt(22) lgkmcnt(1)
	v_mul_f64 v[57:58], v[39:40], v[59:60]
	v_add_f64 v[85:86], v[85:86], 0
	v_add_f64 v[3:4], v[3:4], 0
	v_mul_f64 v[59:60], v[41:42], v[59:60]
	s_waitcnt vmcnt(20)
	v_fma_f64 v[55:56], v[47:48], v[65:66], -v[55:56]
	v_fma_f64 v[53:54], v[49:50], v[65:66], v[53:54]
	ds_read_b128 v[47:50], v2 offset:496
	s_waitcnt vmcnt(17)
	v_fma_f64 v[57:58], v[41:42], v[67:68], v[57:58]
	v_add_f64 v[85:86], v[85:86], v[87:88]
	v_add_f64 v[3:4], v[3:4], v[51:52]
	s_waitcnt lgkmcnt(1)
	v_mul_f64 v[51:52], v[43:44], v[61:62]
	v_mul_f64 v[61:62], v[45:46], v[61:62]
	v_fma_f64 v[59:60], v[39:40], v[67:68], -v[59:60]
	s_waitcnt vmcnt(13) lgkmcnt(0)
	v_mul_f64 v[65:66], v[49:50], v[69:70]
	ds_read_b128 v[39:42], v2 offset:512
	v_add_f64 v[55:56], v[85:86], v[55:56]
	v_add_f64 v[3:4], v[3:4], v[53:54]
	v_mul_f64 v[53:54], v[47:48], v[69:70]
	s_waitcnt vmcnt(12)
	v_fma_f64 v[61:62], v[43:44], v[63:64], -v[61:62]
	v_fma_f64 v[51:52], v[45:46], v[63:64], v[51:52]
	ds_read_b128 v[43:46], v2 offset:528
	s_waitcnt vmcnt(9)
	v_fma_f64 v[47:48], v[47:48], v[75:76], -v[65:66]
	v_add_f64 v[55:56], v[55:56], v[59:60]
	v_add_f64 v[3:4], v[3:4], v[57:58]
	s_waitcnt lgkmcnt(1)
	v_mul_f64 v[59:60], v[41:42], v[71:72]
	v_mul_f64 v[57:58], v[39:40], v[71:72]
	v_fma_f64 v[49:50], v[49:50], v[75:76], v[53:54]
	s_waitcnt vmcnt(7) lgkmcnt(0)
	v_mul_f64 v[53:54], v[45:46], v[77:78]
	v_add_f64 v[55:56], v[55:56], v[61:62]
	v_add_f64 v[2:3], v[3:4], v[51:52]
	s_waitcnt vmcnt(6)
	v_fma_f64 v[39:40], v[39:40], v[73:74], -v[59:60]
	v_mul_f64 v[51:52], v[43:44], v[77:78]
	v_fma_f64 v[41:42], v[41:42], v[73:74], v[57:58]
	s_waitcnt vmcnt(4)
	v_fma_f64 v[43:44], v[43:44], v[79:80], -v[53:54]
	v_add_f64 v[47:48], v[55:56], v[47:48]
	v_add_f64 v[2:3], v[2:3], v[49:50]
	v_fma_f64 v[45:46], v[45:46], v[79:80], v[51:52]
	v_add_f64 v[39:40], v[47:48], v[39:40]
	v_add_f64 v[2:3], v[2:3], v[41:42]
	;; [unrolled: 1-line block ×4, first 2 shown]
	s_waitcnt vmcnt(2)
	v_add_f64 v[39:40], v[81:82], -v[39:40]
	s_waitcnt vmcnt(0)
	v_add_f64 v[2:3], v[83:84], -v[2:3]
	buffer_store_dword v40, off, s[0:3], 0 offset:148
	buffer_store_dword v39, off, s[0:3], 0 offset:144
	buffer_store_dword v3, off, s[0:3], 0 offset:156
	buffer_store_dword v2, off, s[0:3], 0 offset:152
	v_cmpx_lt_u32_e32 7, v0
	s_cbranch_execz .LBB16_101
; %bb.100:
	v_mov_b32_e32 v2, s19
	s_clause 0x3
	buffer_load_dword v39, v2, s[0:3], 0 offen
	buffer_load_dword v40, v2, s[0:3], 0 offen offset:4
	buffer_load_dword v41, v2, s[0:3], 0 offen offset:8
	buffer_load_dword v42, v2, s[0:3], 0 offen offset:12
	v_mov_b32_e32 v2, 0
	buffer_store_dword v2, off, s[0:3], 0 offset:128
	buffer_store_dword v2, off, s[0:3], 0 offset:132
	;; [unrolled: 1-line block ×4, first 2 shown]
	s_waitcnt vmcnt(0)
	ds_write_b128 v1, v[39:42]
.LBB16_101:
	s_or_b32 exec_lo, exec_lo, s4
	s_waitcnt lgkmcnt(0)
	s_waitcnt_vscnt null, 0x0
	s_barrier
	buffer_gl0_inv
	s_clause 0x27
	buffer_load_dword v3, off, s[0:3], 0 offset:152
	buffer_load_dword v4, off, s[0:3], 0 offset:156
	;; [unrolled: 1-line block ×40, first 2 shown]
	v_mov_b32_e32 v2, 0
	ds_read_b128 v[39:42], v2 offset:400
	ds_read_b128 v[43:46], v2 offset:416
	;; [unrolled: 1-line block ×3, first 2 shown]
	s_mov_b32 s4, exec_lo
	s_waitcnt vmcnt(38) lgkmcnt(2)
	v_mul_f64 v[89:90], v[41:42], v[3:4]
	v_mul_f64 v[3:4], v[39:40], v[3:4]
	s_waitcnt vmcnt(36) lgkmcnt(1)
	v_mul_f64 v[91:92], v[45:46], v[51:52]
	v_mul_f64 v[51:52], v[43:44], v[51:52]
	s_waitcnt vmcnt(34)
	v_fma_f64 v[89:90], v[39:40], v[53:54], -v[89:90]
	v_fma_f64 v[3:4], v[41:42], v[53:54], v[3:4]
	ds_read_b128 v[39:42], v2 offset:448
	s_waitcnt vmcnt(32) lgkmcnt(1)
	v_mul_f64 v[53:54], v[47:48], v[55:56]
	v_mul_f64 v[55:56], v[49:50], v[55:56]
	s_waitcnt vmcnt(30)
	v_fma_f64 v[91:92], v[43:44], v[57:58], -v[91:92]
	v_fma_f64 v[51:52], v[45:46], v[57:58], v[51:52]
	ds_read_b128 v[43:46], v2 offset:464
	s_waitcnt vmcnt(26) lgkmcnt(1)
	v_mul_f64 v[57:58], v[39:40], v[59:60]
	v_add_f64 v[89:90], v[89:90], 0
	v_add_f64 v[3:4], v[3:4], 0
	v_mul_f64 v[59:60], v[41:42], v[59:60]
	s_waitcnt vmcnt(24)
	v_fma_f64 v[55:56], v[47:48], v[65:66], -v[55:56]
	v_fma_f64 v[53:54], v[49:50], v[65:66], v[53:54]
	ds_read_b128 v[47:50], v2 offset:480
	s_waitcnt vmcnt(21)
	v_fma_f64 v[57:58], v[41:42], v[67:68], v[57:58]
	v_add_f64 v[89:90], v[89:90], v[91:92]
	v_add_f64 v[3:4], v[3:4], v[51:52]
	s_waitcnt lgkmcnt(1)
	v_mul_f64 v[51:52], v[43:44], v[61:62]
	v_mul_f64 v[61:62], v[45:46], v[61:62]
	v_fma_f64 v[59:60], v[39:40], v[67:68], -v[59:60]
	s_waitcnt vmcnt(17) lgkmcnt(0)
	v_mul_f64 v[65:66], v[49:50], v[69:70]
	ds_read_b128 v[39:42], v2 offset:496
	v_add_f64 v[55:56], v[89:90], v[55:56]
	v_add_f64 v[3:4], v[3:4], v[53:54]
	v_mul_f64 v[53:54], v[47:48], v[69:70]
	s_waitcnt vmcnt(16)
	v_fma_f64 v[61:62], v[43:44], v[63:64], -v[61:62]
	v_fma_f64 v[51:52], v[45:46], v[63:64], v[51:52]
	ds_read_b128 v[43:46], v2 offset:512
	s_waitcnt vmcnt(13)
	v_fma_f64 v[63:64], v[47:48], v[75:76], -v[65:66]
	v_add_f64 v[55:56], v[55:56], v[59:60]
	v_add_f64 v[3:4], v[3:4], v[57:58]
	s_waitcnt lgkmcnt(1)
	v_mul_f64 v[59:60], v[41:42], v[71:72]
	v_mul_f64 v[57:58], v[39:40], v[71:72]
	v_fma_f64 v[53:54], v[49:50], v[75:76], v[53:54]
	ds_read_b128 v[47:50], v2 offset:528
	v_add_f64 v[55:56], v[55:56], v[61:62]
	v_add_f64 v[3:4], v[3:4], v[51:52]
	s_waitcnt vmcnt(9) lgkmcnt(1)
	v_mul_f64 v[61:62], v[45:46], v[77:78]
	s_waitcnt vmcnt(8)
	v_fma_f64 v[39:40], v[39:40], v[73:74], -v[59:60]
	v_mul_f64 v[51:52], v[43:44], v[77:78]
	v_fma_f64 v[41:42], v[41:42], v[73:74], v[57:58]
	s_waitcnt vmcnt(7) lgkmcnt(0)
	v_mul_f64 v[57:58], v[49:50], v[79:80]
	v_add_f64 v[55:56], v[55:56], v[63:64]
	v_add_f64 v[3:4], v[3:4], v[53:54]
	s_waitcnt vmcnt(5)
	v_fma_f64 v[43:44], v[43:44], v[83:84], -v[61:62]
	v_mul_f64 v[53:54], v[47:48], v[79:80]
	v_fma_f64 v[45:46], v[45:46], v[83:84], v[51:52]
	v_add_f64 v[39:40], v[55:56], v[39:40]
	v_add_f64 v[3:4], v[3:4], v[41:42]
	s_waitcnt vmcnt(4)
	v_fma_f64 v[41:42], v[47:48], v[81:82], -v[57:58]
	v_add_f64 v[39:40], v[39:40], v[43:44]
	v_fma_f64 v[43:44], v[49:50], v[81:82], v[53:54]
	v_add_f64 v[3:4], v[3:4], v[45:46]
	v_add_f64 v[39:40], v[39:40], v[41:42]
	;; [unrolled: 1-line block ×3, first 2 shown]
	s_waitcnt vmcnt(2)
	v_add_f64 v[39:40], v[85:86], -v[39:40]
	s_waitcnt vmcnt(0)
	v_add_f64 v[3:4], v[87:88], -v[3:4]
	buffer_store_dword v40, off, s[0:3], 0 offset:132
	buffer_store_dword v39, off, s[0:3], 0 offset:128
	;; [unrolled: 1-line block ×4, first 2 shown]
	v_cmpx_lt_u32_e32 6, v0
	s_cbranch_execz .LBB16_103
; %bb.102:
	v_mov_b32_e32 v3, s22
	s_clause 0x3
	buffer_load_dword v39, v3, s[0:3], 0 offen
	buffer_load_dword v40, v3, s[0:3], 0 offen offset:4
	buffer_load_dword v41, v3, s[0:3], 0 offen offset:8
	;; [unrolled: 1-line block ×3, first 2 shown]
	buffer_store_dword v2, off, s[0:3], 0 offset:112
	buffer_store_dword v2, off, s[0:3], 0 offset:116
	;; [unrolled: 1-line block ×4, first 2 shown]
	s_waitcnt vmcnt(0)
	ds_write_b128 v1, v[39:42]
.LBB16_103:
	s_or_b32 exec_lo, exec_lo, s4
	s_waitcnt lgkmcnt(0)
	s_waitcnt_vscnt null, 0x0
	s_barrier
	buffer_gl0_inv
	s_clause 0x2b
	buffer_load_dword v3, off, s[0:3], 0 offset:136
	buffer_load_dword v4, off, s[0:3], 0 offset:140
	;; [unrolled: 1-line block ×44, first 2 shown]
	ds_read_b128 v[39:42], v2 offset:384
	ds_read_b128 v[43:46], v2 offset:400
	;; [unrolled: 1-line block ×3, first 2 shown]
	s_mov_b32 s4, exec_lo
	s_waitcnt vmcnt(42) lgkmcnt(2)
	v_mul_f64 v[93:94], v[41:42], v[3:4]
	v_mul_f64 v[3:4], v[39:40], v[3:4]
	s_waitcnt vmcnt(40) lgkmcnt(1)
	v_mul_f64 v[95:96], v[45:46], v[51:52]
	v_mul_f64 v[51:52], v[43:44], v[51:52]
	s_waitcnt vmcnt(38)
	v_fma_f64 v[93:94], v[39:40], v[53:54], -v[93:94]
	v_fma_f64 v[3:4], v[41:42], v[53:54], v[3:4]
	ds_read_b128 v[39:42], v2 offset:432
	s_waitcnt vmcnt(36) lgkmcnt(1)
	v_mul_f64 v[53:54], v[47:48], v[55:56]
	v_mul_f64 v[55:56], v[49:50], v[55:56]
	s_waitcnt vmcnt(34)
	v_fma_f64 v[95:96], v[43:44], v[57:58], -v[95:96]
	v_fma_f64 v[51:52], v[45:46], v[57:58], v[51:52]
	ds_read_b128 v[43:46], v2 offset:448
	s_waitcnt vmcnt(30) lgkmcnt(1)
	v_mul_f64 v[57:58], v[39:40], v[59:60]
	v_add_f64 v[93:94], v[93:94], 0
	v_add_f64 v[3:4], v[3:4], 0
	v_mul_f64 v[59:60], v[41:42], v[59:60]
	s_waitcnt vmcnt(28)
	v_fma_f64 v[55:56], v[47:48], v[65:66], -v[55:56]
	v_fma_f64 v[53:54], v[49:50], v[65:66], v[53:54]
	ds_read_b128 v[47:50], v2 offset:464
	s_waitcnt vmcnt(25)
	v_fma_f64 v[57:58], v[41:42], v[67:68], v[57:58]
	v_add_f64 v[93:94], v[93:94], v[95:96]
	v_add_f64 v[3:4], v[3:4], v[51:52]
	s_waitcnt lgkmcnt(1)
	v_mul_f64 v[51:52], v[43:44], v[61:62]
	v_mul_f64 v[61:62], v[45:46], v[61:62]
	v_fma_f64 v[59:60], v[39:40], v[67:68], -v[59:60]
	s_waitcnt vmcnt(21) lgkmcnt(0)
	v_mul_f64 v[65:66], v[49:50], v[69:70]
	ds_read_b128 v[39:42], v2 offset:480
	v_add_f64 v[55:56], v[93:94], v[55:56]
	v_add_f64 v[3:4], v[3:4], v[53:54]
	v_mul_f64 v[53:54], v[47:48], v[69:70]
	s_waitcnt vmcnt(20)
	v_fma_f64 v[61:62], v[43:44], v[63:64], -v[61:62]
	v_fma_f64 v[51:52], v[45:46], v[63:64], v[51:52]
	ds_read_b128 v[43:46], v2 offset:496
	s_waitcnt vmcnt(17)
	v_fma_f64 v[63:64], v[47:48], v[75:76], -v[65:66]
	v_add_f64 v[55:56], v[55:56], v[59:60]
	v_add_f64 v[3:4], v[3:4], v[57:58]
	s_waitcnt lgkmcnt(1)
	v_mul_f64 v[59:60], v[41:42], v[71:72]
	v_mul_f64 v[57:58], v[39:40], v[71:72]
	v_fma_f64 v[53:54], v[49:50], v[75:76], v[53:54]
	ds_read_b128 v[47:50], v2 offset:512
	v_add_f64 v[55:56], v[55:56], v[61:62]
	v_add_f64 v[3:4], v[3:4], v[51:52]
	s_waitcnt vmcnt(13) lgkmcnt(1)
	v_mul_f64 v[61:62], v[45:46], v[77:78]
	s_waitcnt vmcnt(12)
	v_fma_f64 v[59:60], v[39:40], v[73:74], -v[59:60]
	v_mul_f64 v[51:52], v[43:44], v[77:78]
	v_fma_f64 v[57:58], v[41:42], v[73:74], v[57:58]
	ds_read_b128 v[39:42], v2 offset:528
	v_add_f64 v[55:56], v[55:56], v[63:64]
	v_add_f64 v[3:4], v[3:4], v[53:54]
	s_waitcnt vmcnt(11) lgkmcnt(1)
	v_mul_f64 v[63:64], v[49:50], v[79:80]
	s_waitcnt vmcnt(9)
	v_fma_f64 v[43:44], v[43:44], v[83:84], -v[61:62]
	v_mul_f64 v[53:54], v[47:48], v[79:80]
	v_fma_f64 v[45:46], v[45:46], v[83:84], v[51:52]
	s_waitcnt vmcnt(7) lgkmcnt(0)
	v_mul_f64 v[51:52], v[39:40], v[85:86]
	v_add_f64 v[55:56], v[55:56], v[59:60]
	v_add_f64 v[2:3], v[3:4], v[57:58]
	v_mul_f64 v[57:58], v[41:42], v[85:86]
	s_waitcnt vmcnt(6)
	v_fma_f64 v[47:48], v[47:48], v[81:82], -v[63:64]
	v_fma_f64 v[49:50], v[49:50], v[81:82], v[53:54]
	s_waitcnt vmcnt(4)
	v_fma_f64 v[41:42], v[41:42], v[87:88], v[51:52]
	v_add_f64 v[43:44], v[55:56], v[43:44]
	v_add_f64 v[2:3], v[2:3], v[45:46]
	v_fma_f64 v[39:40], v[39:40], v[87:88], -v[57:58]
	v_add_f64 v[43:44], v[43:44], v[47:48]
	v_add_f64 v[2:3], v[2:3], v[49:50]
	;; [unrolled: 1-line block ×4, first 2 shown]
	s_waitcnt vmcnt(2)
	v_add_f64 v[39:40], v[89:90], -v[39:40]
	s_waitcnt vmcnt(0)
	v_add_f64 v[2:3], v[91:92], -v[2:3]
	buffer_store_dword v40, off, s[0:3], 0 offset:116
	buffer_store_dword v39, off, s[0:3], 0 offset:112
	;; [unrolled: 1-line block ×4, first 2 shown]
	v_cmpx_lt_u32_e32 5, v0
	s_cbranch_execz .LBB16_105
; %bb.104:
	v_mov_b32_e32 v2, s23
	s_clause 0x3
	buffer_load_dword v39, v2, s[0:3], 0 offen
	buffer_load_dword v40, v2, s[0:3], 0 offen offset:4
	buffer_load_dword v41, v2, s[0:3], 0 offen offset:8
	;; [unrolled: 1-line block ×3, first 2 shown]
	v_mov_b32_e32 v2, 0
	buffer_store_dword v2, off, s[0:3], 0 offset:96
	buffer_store_dword v2, off, s[0:3], 0 offset:100
	;; [unrolled: 1-line block ×4, first 2 shown]
	s_waitcnt vmcnt(0)
	ds_write_b128 v1, v[39:42]
.LBB16_105:
	s_or_b32 exec_lo, exec_lo, s4
	s_waitcnt lgkmcnt(0)
	s_waitcnt_vscnt null, 0x0
	s_barrier
	buffer_gl0_inv
	s_clause 0x2f
	buffer_load_dword v3, off, s[0:3], 0 offset:120
	buffer_load_dword v4, off, s[0:3], 0 offset:124
	;; [unrolled: 1-line block ×48, first 2 shown]
	v_mov_b32_e32 v2, 0
	ds_read_b128 v[39:42], v2 offset:368
	ds_read_b128 v[43:46], v2 offset:384
	;; [unrolled: 1-line block ×3, first 2 shown]
	s_mov_b32 s4, exec_lo
	s_waitcnt vmcnt(46) lgkmcnt(2)
	v_mul_f64 v[97:98], v[41:42], v[3:4]
	v_mul_f64 v[3:4], v[39:40], v[3:4]
	s_waitcnt vmcnt(44) lgkmcnt(1)
	v_mul_f64 v[99:100], v[45:46], v[51:52]
	v_mul_f64 v[51:52], v[43:44], v[51:52]
	s_waitcnt vmcnt(42)
	v_fma_f64 v[97:98], v[39:40], v[53:54], -v[97:98]
	v_fma_f64 v[3:4], v[41:42], v[53:54], v[3:4]
	ds_read_b128 v[39:42], v2 offset:416
	s_waitcnt vmcnt(40) lgkmcnt(1)
	v_mul_f64 v[53:54], v[47:48], v[55:56]
	v_mul_f64 v[55:56], v[49:50], v[55:56]
	s_waitcnt vmcnt(38)
	v_fma_f64 v[99:100], v[43:44], v[57:58], -v[99:100]
	v_fma_f64 v[51:52], v[45:46], v[57:58], v[51:52]
	ds_read_b128 v[43:46], v2 offset:432
	s_waitcnt vmcnt(34) lgkmcnt(1)
	v_mul_f64 v[57:58], v[39:40], v[59:60]
	v_add_f64 v[97:98], v[97:98], 0
	v_add_f64 v[3:4], v[3:4], 0
	v_mul_f64 v[59:60], v[41:42], v[59:60]
	s_waitcnt vmcnt(32)
	v_fma_f64 v[55:56], v[47:48], v[65:66], -v[55:56]
	v_fma_f64 v[53:54], v[49:50], v[65:66], v[53:54]
	ds_read_b128 v[47:50], v2 offset:448
	s_waitcnt vmcnt(29)
	v_fma_f64 v[57:58], v[41:42], v[67:68], v[57:58]
	v_add_f64 v[97:98], v[97:98], v[99:100]
	v_add_f64 v[3:4], v[3:4], v[51:52]
	s_waitcnt lgkmcnt(1)
	v_mul_f64 v[51:52], v[43:44], v[61:62]
	v_mul_f64 v[61:62], v[45:46], v[61:62]
	v_fma_f64 v[59:60], v[39:40], v[67:68], -v[59:60]
	s_waitcnt vmcnt(25) lgkmcnt(0)
	v_mul_f64 v[65:66], v[49:50], v[69:70]
	ds_read_b128 v[39:42], v2 offset:464
	v_add_f64 v[55:56], v[97:98], v[55:56]
	v_add_f64 v[3:4], v[3:4], v[53:54]
	v_mul_f64 v[53:54], v[47:48], v[69:70]
	s_waitcnt vmcnt(24)
	v_fma_f64 v[61:62], v[43:44], v[63:64], -v[61:62]
	v_fma_f64 v[51:52], v[45:46], v[63:64], v[51:52]
	ds_read_b128 v[43:46], v2 offset:480
	s_waitcnt vmcnt(21)
	v_fma_f64 v[63:64], v[47:48], v[75:76], -v[65:66]
	v_add_f64 v[55:56], v[55:56], v[59:60]
	v_add_f64 v[3:4], v[3:4], v[57:58]
	s_waitcnt lgkmcnt(1)
	v_mul_f64 v[59:60], v[41:42], v[71:72]
	v_mul_f64 v[57:58], v[39:40], v[71:72]
	v_fma_f64 v[53:54], v[49:50], v[75:76], v[53:54]
	ds_read_b128 v[47:50], v2 offset:496
	v_add_f64 v[55:56], v[55:56], v[61:62]
	v_add_f64 v[3:4], v[3:4], v[51:52]
	s_waitcnt vmcnt(17) lgkmcnt(1)
	v_mul_f64 v[61:62], v[45:46], v[77:78]
	s_waitcnt vmcnt(16)
	v_fma_f64 v[59:60], v[39:40], v[73:74], -v[59:60]
	v_mul_f64 v[51:52], v[43:44], v[77:78]
	v_fma_f64 v[57:58], v[41:42], v[73:74], v[57:58]
	ds_read_b128 v[39:42], v2 offset:512
	v_add_f64 v[55:56], v[55:56], v[63:64]
	v_add_f64 v[3:4], v[3:4], v[53:54]
	s_waitcnt vmcnt(15) lgkmcnt(1)
	v_mul_f64 v[63:64], v[49:50], v[79:80]
	s_waitcnt vmcnt(13)
	v_fma_f64 v[61:62], v[43:44], v[83:84], -v[61:62]
	;; [unrolled: 9-line block ×3, first 2 shown]
	v_mul_f64 v[57:58], v[39:40], v[85:86]
	v_fma_f64 v[49:50], v[49:50], v[81:82], v[53:54]
	s_waitcnt vmcnt(7) lgkmcnt(0)
	v_mul_f64 v[53:54], v[45:46], v[87:88]
	v_add_f64 v[55:56], v[55:56], v[61:62]
	v_add_f64 v[3:4], v[3:4], v[51:52]
	s_waitcnt vmcnt(5)
	v_fma_f64 v[39:40], v[39:40], v[91:92], -v[59:60]
	v_mul_f64 v[51:52], v[43:44], v[87:88]
	v_fma_f64 v[41:42], v[41:42], v[91:92], v[57:58]
	s_waitcnt vmcnt(4)
	v_fma_f64 v[43:44], v[43:44], v[89:90], -v[53:54]
	v_add_f64 v[47:48], v[55:56], v[47:48]
	v_add_f64 v[3:4], v[3:4], v[49:50]
	v_fma_f64 v[45:46], v[45:46], v[89:90], v[51:52]
	v_add_f64 v[39:40], v[47:48], v[39:40]
	v_add_f64 v[3:4], v[3:4], v[41:42]
	;; [unrolled: 1-line block ×4, first 2 shown]
	s_waitcnt vmcnt(2)
	v_add_f64 v[39:40], v[93:94], -v[39:40]
	s_waitcnt vmcnt(0)
	v_add_f64 v[3:4], v[95:96], -v[3:4]
	buffer_store_dword v40, off, s[0:3], 0 offset:100
	buffer_store_dword v39, off, s[0:3], 0 offset:96
	;; [unrolled: 1-line block ×4, first 2 shown]
	v_cmpx_lt_u32_e32 4, v0
	s_cbranch_execz .LBB16_107
; %bb.106:
	v_mov_b32_e32 v3, s24
	s_clause 0x3
	buffer_load_dword v39, v3, s[0:3], 0 offen
	buffer_load_dword v40, v3, s[0:3], 0 offen offset:4
	buffer_load_dword v41, v3, s[0:3], 0 offen offset:8
	;; [unrolled: 1-line block ×3, first 2 shown]
	buffer_store_dword v2, off, s[0:3], 0 offset:80
	buffer_store_dword v2, off, s[0:3], 0 offset:84
	;; [unrolled: 1-line block ×4, first 2 shown]
	s_waitcnt vmcnt(0)
	ds_write_b128 v1, v[39:42]
.LBB16_107:
	s_or_b32 exec_lo, exec_lo, s4
	s_waitcnt lgkmcnt(0)
	s_waitcnt_vscnt null, 0x0
	s_barrier
	buffer_gl0_inv
	s_clause 0x2f
	buffer_load_dword v3, off, s[0:3], 0 offset:104
	buffer_load_dword v4, off, s[0:3], 0 offset:108
	;; [unrolled: 1-line block ×48, first 2 shown]
	ds_read_b128 v[39:42], v2 offset:352
	s_clause 0x3
	buffer_load_dword v97, off, s[0:3], 0 offset:80
	buffer_load_dword v98, off, s[0:3], 0 offset:84
	;; [unrolled: 1-line block ×4, first 2 shown]
	ds_read_b128 v[43:46], v2 offset:368
	ds_read_b128 v[47:50], v2 offset:384
	s_mov_b32 s4, exec_lo
	s_waitcnt vmcnt(50) lgkmcnt(2)
	v_mul_f64 v[101:102], v[41:42], v[3:4]
	v_mul_f64 v[3:4], v[39:40], v[3:4]
	s_waitcnt vmcnt(48) lgkmcnt(1)
	v_mul_f64 v[103:104], v[45:46], v[51:52]
	v_mul_f64 v[51:52], v[43:44], v[51:52]
	s_waitcnt vmcnt(46)
	v_fma_f64 v[101:102], v[39:40], v[53:54], -v[101:102]
	v_fma_f64 v[3:4], v[41:42], v[53:54], v[3:4]
	s_waitcnt vmcnt(44) lgkmcnt(0)
	v_mul_f64 v[53:54], v[47:48], v[55:56]
	v_mul_f64 v[55:56], v[49:50], v[55:56]
	s_waitcnt vmcnt(42)
	v_fma_f64 v[103:104], v[43:44], v[57:58], -v[103:104]
	ds_read_b128 v[39:42], v2 offset:400
	v_fma_f64 v[51:52], v[45:46], v[57:58], v[51:52]
	ds_read_b128 v[43:46], v2 offset:416
	v_add_f64 v[101:102], v[101:102], 0
	v_add_f64 v[3:4], v[3:4], 0
	s_waitcnt vmcnt(36)
	v_fma_f64 v[53:54], v[49:50], v[65:66], v[53:54]
	s_waitcnt lgkmcnt(1)
	v_mul_f64 v[57:58], v[39:40], v[59:60]
	v_mul_f64 v[59:60], v[41:42], v[59:60]
	v_fma_f64 v[55:56], v[47:48], v[65:66], -v[55:56]
	ds_read_b128 v[47:50], v2 offset:432
	v_add_f64 v[101:102], v[101:102], v[103:104]
	v_add_f64 v[3:4], v[3:4], v[51:52]
	s_waitcnt vmcnt(35) lgkmcnt(1)
	v_mul_f64 v[51:52], v[43:44], v[61:62]
	v_mul_f64 v[61:62], v[45:46], v[61:62]
	s_waitcnt vmcnt(33)
	v_fma_f64 v[59:60], v[39:40], v[67:68], -v[59:60]
	v_fma_f64 v[57:58], v[41:42], v[67:68], v[57:58]
	ds_read_b128 v[39:42], v2 offset:448
	s_waitcnt vmcnt(29) lgkmcnt(1)
	v_mul_f64 v[65:66], v[49:50], v[69:70]
	v_add_f64 v[55:56], v[101:102], v[55:56]
	v_add_f64 v[3:4], v[3:4], v[53:54]
	v_mul_f64 v[53:54], v[47:48], v[69:70]
	s_waitcnt vmcnt(28)
	v_fma_f64 v[61:62], v[43:44], v[63:64], -v[61:62]
	v_fma_f64 v[51:52], v[45:46], v[63:64], v[51:52]
	ds_read_b128 v[43:46], v2 offset:464
	s_waitcnt vmcnt(25)
	v_fma_f64 v[63:64], v[47:48], v[75:76], -v[65:66]
	v_add_f64 v[55:56], v[55:56], v[59:60]
	v_add_f64 v[3:4], v[3:4], v[57:58]
	s_waitcnt lgkmcnt(1)
	v_mul_f64 v[59:60], v[41:42], v[71:72]
	v_mul_f64 v[57:58], v[39:40], v[71:72]
	v_fma_f64 v[53:54], v[49:50], v[75:76], v[53:54]
	ds_read_b128 v[47:50], v2 offset:480
	v_add_f64 v[55:56], v[55:56], v[61:62]
	v_add_f64 v[3:4], v[3:4], v[51:52]
	s_waitcnt vmcnt(21) lgkmcnt(1)
	v_mul_f64 v[61:62], v[45:46], v[77:78]
	s_waitcnt vmcnt(20)
	v_fma_f64 v[59:60], v[39:40], v[73:74], -v[59:60]
	v_mul_f64 v[51:52], v[43:44], v[77:78]
	v_fma_f64 v[57:58], v[41:42], v[73:74], v[57:58]
	ds_read_b128 v[39:42], v2 offset:496
	v_add_f64 v[55:56], v[55:56], v[63:64]
	v_add_f64 v[3:4], v[3:4], v[53:54]
	s_waitcnt vmcnt(19) lgkmcnt(1)
	v_mul_f64 v[63:64], v[49:50], v[79:80]
	s_waitcnt vmcnt(17)
	v_fma_f64 v[61:62], v[43:44], v[83:84], -v[61:62]
	;; [unrolled: 9-line block ×4, first 2 shown]
	v_mul_f64 v[51:52], v[43:44], v[87:88]
	v_fma_f64 v[41:42], v[41:42], v[91:92], v[57:58]
	s_waitcnt vmcnt(7) lgkmcnt(0)
	v_mul_f64 v[57:58], v[49:50], v[93:94]
	v_add_f64 v[55:56], v[55:56], v[63:64]
	v_add_f64 v[2:3], v[3:4], v[53:54]
	s_waitcnt vmcnt(6)
	v_fma_f64 v[43:44], v[43:44], v[89:90], -v[61:62]
	v_mul_f64 v[53:54], v[47:48], v[93:94]
	v_fma_f64 v[45:46], v[45:46], v[89:90], v[51:52]
	v_add_f64 v[39:40], v[55:56], v[39:40]
	v_add_f64 v[2:3], v[2:3], v[41:42]
	s_waitcnt vmcnt(4)
	v_fma_f64 v[41:42], v[47:48], v[95:96], -v[57:58]
	v_add_f64 v[39:40], v[39:40], v[43:44]
	v_fma_f64 v[43:44], v[49:50], v[95:96], v[53:54]
	v_add_f64 v[2:3], v[2:3], v[45:46]
	v_add_f64 v[39:40], v[39:40], v[41:42]
	;; [unrolled: 1-line block ×3, first 2 shown]
	s_waitcnt vmcnt(2)
	v_add_f64 v[39:40], v[97:98], -v[39:40]
	s_waitcnt vmcnt(0)
	v_add_f64 v[2:3], v[99:100], -v[2:3]
	buffer_store_dword v40, off, s[0:3], 0 offset:84
	buffer_store_dword v39, off, s[0:3], 0 offset:80
	;; [unrolled: 1-line block ×4, first 2 shown]
	v_cmpx_lt_u32_e32 3, v0
	s_cbranch_execz .LBB16_109
; %bb.108:
	v_mov_b32_e32 v2, s25
	s_clause 0x3
	buffer_load_dword v39, v2, s[0:3], 0 offen
	buffer_load_dword v40, v2, s[0:3], 0 offen offset:4
	buffer_load_dword v41, v2, s[0:3], 0 offen offset:8
	;; [unrolled: 1-line block ×3, first 2 shown]
	v_mov_b32_e32 v2, 0
	buffer_store_dword v2, off, s[0:3], 0 offset:64
	buffer_store_dword v2, off, s[0:3], 0 offset:68
	;; [unrolled: 1-line block ×4, first 2 shown]
	s_waitcnt vmcnt(0)
	ds_write_b128 v1, v[39:42]
.LBB16_109:
	s_or_b32 exec_lo, exec_lo, s4
	s_waitcnt lgkmcnt(0)
	s_waitcnt_vscnt null, 0x0
	s_barrier
	buffer_gl0_inv
	s_clause 0x33
	buffer_load_dword v3, off, s[0:3], 0 offset:88
	buffer_load_dword v4, off, s[0:3], 0 offset:92
	;; [unrolled: 1-line block ×52, first 2 shown]
	v_mov_b32_e32 v2, 0
	ds_read_b128 v[39:42], v2 offset:336
	ds_read_b128 v[43:46], v2 offset:352
	s_clause 0x3
	buffer_load_dword v103, off, s[0:3], 0 offset:64
	buffer_load_dword v104, off, s[0:3], 0 offset:68
	;; [unrolled: 1-line block ×4, first 2 shown]
	ds_read_b128 v[47:50], v2 offset:368
	s_mov_b32 s4, exec_lo
	s_waitcnt vmcnt(54) lgkmcnt(2)
	v_mul_f64 v[101:102], v[41:42], v[3:4]
	v_mul_f64 v[3:4], v[39:40], v[3:4]
	s_waitcnt vmcnt(52) lgkmcnt(1)
	v_mul_f64 v[107:108], v[45:46], v[51:52]
	v_mul_f64 v[51:52], v[43:44], v[51:52]
	s_waitcnt vmcnt(50)
	v_fma_f64 v[101:102], v[39:40], v[53:54], -v[101:102]
	v_fma_f64 v[3:4], v[41:42], v[53:54], v[3:4]
	ds_read_b128 v[39:42], v2 offset:384
	s_waitcnt vmcnt(48) lgkmcnt(1)
	v_mul_f64 v[53:54], v[47:48], v[55:56]
	v_mul_f64 v[55:56], v[49:50], v[55:56]
	s_waitcnt vmcnt(46)
	v_fma_f64 v[107:108], v[43:44], v[57:58], -v[107:108]
	v_fma_f64 v[51:52], v[45:46], v[57:58], v[51:52]
	ds_read_b128 v[43:46], v2 offset:400
	s_waitcnt vmcnt(42) lgkmcnt(1)
	v_mul_f64 v[57:58], v[39:40], v[59:60]
	v_add_f64 v[101:102], v[101:102], 0
	v_add_f64 v[3:4], v[3:4], 0
	v_mul_f64 v[59:60], v[41:42], v[59:60]
	s_waitcnt vmcnt(40)
	v_fma_f64 v[55:56], v[47:48], v[65:66], -v[55:56]
	v_fma_f64 v[53:54], v[49:50], v[65:66], v[53:54]
	ds_read_b128 v[47:50], v2 offset:416
	s_waitcnt vmcnt(37)
	v_fma_f64 v[57:58], v[41:42], v[67:68], v[57:58]
	v_add_f64 v[101:102], v[101:102], v[107:108]
	v_add_f64 v[3:4], v[3:4], v[51:52]
	s_waitcnt lgkmcnt(1)
	v_mul_f64 v[51:52], v[43:44], v[61:62]
	v_mul_f64 v[61:62], v[45:46], v[61:62]
	v_fma_f64 v[59:60], v[39:40], v[67:68], -v[59:60]
	s_waitcnt vmcnt(33) lgkmcnt(0)
	v_mul_f64 v[65:66], v[49:50], v[69:70]
	ds_read_b128 v[39:42], v2 offset:432
	v_add_f64 v[55:56], v[101:102], v[55:56]
	v_add_f64 v[3:4], v[3:4], v[53:54]
	v_mul_f64 v[53:54], v[47:48], v[69:70]
	s_waitcnt vmcnt(32)
	v_fma_f64 v[61:62], v[43:44], v[63:64], -v[61:62]
	v_fma_f64 v[51:52], v[45:46], v[63:64], v[51:52]
	ds_read_b128 v[43:46], v2 offset:448
	s_waitcnt vmcnt(29)
	v_fma_f64 v[63:64], v[47:48], v[75:76], -v[65:66]
	v_add_f64 v[55:56], v[55:56], v[59:60]
	v_add_f64 v[3:4], v[3:4], v[57:58]
	s_waitcnt lgkmcnt(1)
	v_mul_f64 v[59:60], v[41:42], v[71:72]
	v_mul_f64 v[57:58], v[39:40], v[71:72]
	v_fma_f64 v[53:54], v[49:50], v[75:76], v[53:54]
	ds_read_b128 v[47:50], v2 offset:464
	v_add_f64 v[55:56], v[55:56], v[61:62]
	v_add_f64 v[3:4], v[3:4], v[51:52]
	s_waitcnt vmcnt(25) lgkmcnt(1)
	v_mul_f64 v[61:62], v[45:46], v[77:78]
	s_waitcnt vmcnt(24)
	v_fma_f64 v[59:60], v[39:40], v[73:74], -v[59:60]
	v_mul_f64 v[51:52], v[43:44], v[77:78]
	v_fma_f64 v[57:58], v[41:42], v[73:74], v[57:58]
	ds_read_b128 v[39:42], v2 offset:480
	v_add_f64 v[55:56], v[55:56], v[63:64]
	v_add_f64 v[3:4], v[3:4], v[53:54]
	s_waitcnt vmcnt(23) lgkmcnt(1)
	v_mul_f64 v[63:64], v[49:50], v[79:80]
	s_waitcnt vmcnt(21)
	v_fma_f64 v[61:62], v[43:44], v[83:84], -v[61:62]
	;; [unrolled: 9-line block ×5, first 2 shown]
	v_mul_f64 v[53:54], v[47:48], v[93:94]
	v_fma_f64 v[45:46], v[45:46], v[89:90], v[51:52]
	s_waitcnt vmcnt(7) lgkmcnt(0)
	v_mul_f64 v[51:52], v[39:40], v[95:96]
	v_add_f64 v[55:56], v[55:56], v[59:60]
	v_add_f64 v[3:4], v[3:4], v[57:58]
	v_mul_f64 v[57:58], v[41:42], v[95:96]
	s_waitcnt vmcnt(5)
	v_fma_f64 v[47:48], v[47:48], v[99:100], -v[63:64]
	v_fma_f64 v[49:50], v[49:50], v[99:100], v[53:54]
	s_waitcnt vmcnt(4)
	v_fma_f64 v[41:42], v[41:42], v[97:98], v[51:52]
	v_add_f64 v[43:44], v[55:56], v[43:44]
	v_add_f64 v[3:4], v[3:4], v[45:46]
	v_fma_f64 v[39:40], v[39:40], v[97:98], -v[57:58]
	v_add_f64 v[43:44], v[43:44], v[47:48]
	v_add_f64 v[3:4], v[3:4], v[49:50]
	;; [unrolled: 1-line block ×4, first 2 shown]
	s_waitcnt vmcnt(2)
	v_add_f64 v[39:40], v[103:104], -v[39:40]
	s_waitcnt vmcnt(0)
	v_add_f64 v[3:4], v[105:106], -v[3:4]
	buffer_store_dword v40, off, s[0:3], 0 offset:68
	buffer_store_dword v39, off, s[0:3], 0 offset:64
	;; [unrolled: 1-line block ×4, first 2 shown]
	v_cmpx_lt_u32_e32 2, v0
	s_cbranch_execz .LBB16_111
; %bb.110:
	v_mov_b32_e32 v3, s26
	s_clause 0x3
	buffer_load_dword v39, v3, s[0:3], 0 offen
	buffer_load_dword v40, v3, s[0:3], 0 offen offset:4
	buffer_load_dword v41, v3, s[0:3], 0 offen offset:8
	;; [unrolled: 1-line block ×3, first 2 shown]
	buffer_store_dword v2, off, s[0:3], 0 offset:48
	buffer_store_dword v2, off, s[0:3], 0 offset:52
	;; [unrolled: 1-line block ×4, first 2 shown]
	s_waitcnt vmcnt(0)
	ds_write_b128 v1, v[39:42]
.LBB16_111:
	s_or_b32 exec_lo, exec_lo, s4
	s_waitcnt lgkmcnt(0)
	s_waitcnt_vscnt null, 0x0
	s_barrier
	buffer_gl0_inv
	s_clause 0x35
	buffer_load_dword v3, off, s[0:3], 0 offset:72
	buffer_load_dword v4, off, s[0:3], 0 offset:76
	;; [unrolled: 1-line block ×54, first 2 shown]
	ds_read_b128 v[39:42], v2 offset:320
	s_clause 0x1
	buffer_load_dword v104, off, s[0:3], 0 offset:276
	buffer_load_dword v103, off, s[0:3], 0 offset:272
	ds_read_b128 v[43:46], v2 offset:336
	ds_read_b128 v[47:50], v2 offset:352
	s_mov_b32 s4, exec_lo
	s_waitcnt vmcnt(54) lgkmcnt(2)
	v_mul_f64 v[105:106], v[41:42], v[3:4]
	v_mul_f64 v[3:4], v[39:40], v[3:4]
	s_waitcnt vmcnt(52) lgkmcnt(1)
	v_mul_f64 v[107:108], v[45:46], v[51:52]
	v_mul_f64 v[51:52], v[43:44], v[51:52]
	;; [unrolled: 3-line block ×3, first 2 shown]
	v_fma_f64 v[105:106], v[39:40], v[53:54], -v[105:106]
	v_fma_f64 v[3:4], v[41:42], v[53:54], v[3:4]
	s_clause 0x3
	buffer_load_dword v53, off, s[0:3], 0 offset:48
	buffer_load_dword v54, off, s[0:3], 0 offset:52
	buffer_load_dword v109, off, s[0:3], 0 offset:56
	buffer_load_dword v110, off, s[0:3], 0 offset:60
	s_waitcnt vmcnt(50)
	v_fma_f64 v[107:108], v[43:44], v[57:58], -v[107:108]
	ds_read_b128 v[39:42], v2 offset:368
	v_fma_f64 v[51:52], v[45:46], v[57:58], v[51:52]
	ds_read_b128 v[43:46], v2 offset:384
	s_waitcnt vmcnt(46)
	v_fma_f64 v[55:56], v[47:48], v[61:62], -v[55:56]
	v_fma_f64 v[61:62], v[49:50], v[61:62], v[111:112]
	ds_read_b128 v[47:50], v2 offset:400
	v_add_f64 v[105:106], v[105:106], 0
	v_add_f64 v[3:4], v[3:4], 0
	s_waitcnt lgkmcnt(2)
	v_mul_f64 v[57:58], v[39:40], v[59:60]
	v_mul_f64 v[59:60], v[41:42], v[59:60]
	v_add_f64 v[105:106], v[105:106], v[107:108]
	v_add_f64 v[3:4], v[3:4], v[51:52]
	s_waitcnt vmcnt(44) lgkmcnt(1)
	v_mul_f64 v[51:52], v[43:44], v[63:64]
	v_mul_f64 v[63:64], v[45:46], v[63:64]
	s_waitcnt vmcnt(42)
	v_fma_f64 v[59:60], v[39:40], v[65:66], -v[59:60]
	v_fma_f64 v[57:58], v[41:42], v[65:66], v[57:58]
	ds_read_b128 v[39:42], v2 offset:416
	s_waitcnt vmcnt(40) lgkmcnt(1)
	v_mul_f64 v[65:66], v[49:50], v[67:68]
	v_add_f64 v[55:56], v[105:106], v[55:56]
	v_add_f64 v[3:4], v[3:4], v[61:62]
	v_mul_f64 v[61:62], v[47:48], v[67:68]
	s_waitcnt vmcnt(38)
	v_fma_f64 v[63:64], v[43:44], v[69:70], -v[63:64]
	v_fma_f64 v[51:52], v[45:46], v[69:70], v[51:52]
	ds_read_b128 v[43:46], v2 offset:432
	s_waitcnt vmcnt(34)
	v_fma_f64 v[65:66], v[47:48], v[73:74], -v[65:66]
	v_add_f64 v[55:56], v[55:56], v[59:60]
	v_add_f64 v[3:4], v[3:4], v[57:58]
	s_waitcnt lgkmcnt(1)
	v_mul_f64 v[59:60], v[41:42], v[71:72]
	v_mul_f64 v[57:58], v[39:40], v[71:72]
	v_fma_f64 v[61:62], v[49:50], v[73:74], v[61:62]
	ds_read_b128 v[47:50], v2 offset:448
	v_add_f64 v[55:56], v[55:56], v[63:64]
	v_add_f64 v[3:4], v[3:4], v[51:52]
	s_waitcnt vmcnt(32) lgkmcnt(1)
	v_mul_f64 v[63:64], v[45:46], v[75:76]
	s_waitcnt vmcnt(30)
	v_fma_f64 v[59:60], v[39:40], v[77:78], -v[59:60]
	v_mul_f64 v[51:52], v[43:44], v[75:76]
	v_fma_f64 v[57:58], v[41:42], v[77:78], v[57:58]
	ds_read_b128 v[39:42], v2 offset:464
	v_add_f64 v[55:56], v[55:56], v[65:66]
	v_add_f64 v[3:4], v[3:4], v[61:62]
	s_waitcnt vmcnt(28) lgkmcnt(1)
	v_mul_f64 v[65:66], v[49:50], v[79:80]
	s_waitcnt vmcnt(26)
	v_fma_f64 v[63:64], v[43:44], v[81:82], -v[63:64]
	;; [unrolled: 9-line block ×6, first 2 shown]
	v_mul_f64 v[57:58], v[39:40], v[95:96]
	v_fma_f64 v[49:50], v[49:50], v[97:98], v[61:62]
	s_waitcnt vmcnt(8) lgkmcnt(0)
	v_mul_f64 v[61:62], v[45:46], v[99:100]
	v_add_f64 v[55:56], v[55:56], v[63:64]
	v_add_f64 v[2:3], v[3:4], v[51:52]
	s_waitcnt vmcnt(6)
	v_fma_f64 v[39:40], v[39:40], v[101:102], -v[59:60]
	v_mul_f64 v[51:52], v[43:44], v[99:100]
	v_fma_f64 v[41:42], v[41:42], v[101:102], v[57:58]
	s_waitcnt vmcnt(4)
	v_fma_f64 v[43:44], v[43:44], v[103:104], -v[61:62]
	v_add_f64 v[47:48], v[55:56], v[47:48]
	v_add_f64 v[2:3], v[2:3], v[49:50]
	v_fma_f64 v[45:46], v[45:46], v[103:104], v[51:52]
	v_add_f64 v[39:40], v[47:48], v[39:40]
	v_add_f64 v[2:3], v[2:3], v[41:42]
	;; [unrolled: 1-line block ×4, first 2 shown]
	s_waitcnt vmcnt(2)
	v_add_f64 v[39:40], v[53:54], -v[39:40]
	s_waitcnt vmcnt(0)
	v_add_f64 v[2:3], v[109:110], -v[2:3]
	buffer_store_dword v40, off, s[0:3], 0 offset:52
	buffer_store_dword v39, off, s[0:3], 0 offset:48
	;; [unrolled: 1-line block ×4, first 2 shown]
	v_cmpx_lt_u32_e32 1, v0
	s_cbranch_execz .LBB16_113
; %bb.112:
	v_mov_b32_e32 v2, s27
	s_clause 0x3
	buffer_load_dword v39, v2, s[0:3], 0 offen
	buffer_load_dword v40, v2, s[0:3], 0 offen offset:4
	buffer_load_dword v41, v2, s[0:3], 0 offen offset:8
	;; [unrolled: 1-line block ×3, first 2 shown]
	v_mov_b32_e32 v2, 0
	buffer_store_dword v2, off, s[0:3], 0 offset:32
	buffer_store_dword v2, off, s[0:3], 0 offset:36
	;; [unrolled: 1-line block ×4, first 2 shown]
	s_waitcnt vmcnt(0)
	ds_write_b128 v1, v[39:42]
.LBB16_113:
	s_or_b32 exec_lo, exec_lo, s4
	s_waitcnt lgkmcnt(0)
	s_waitcnt_vscnt null, 0x0
	s_barrier
	buffer_gl0_inv
	s_clause 0x37
	buffer_load_dword v3, off, s[0:3], 0 offset:56
	buffer_load_dword v4, off, s[0:3], 0 offset:60
	;; [unrolled: 1-line block ×56, first 2 shown]
	v_mov_b32_e32 v2, 0
	s_mov_b32 s4, exec_lo
	ds_read_b128 v[39:42], v2 offset:304
	s_clause 0x2
	buffer_load_dword v104, off, s[0:3], 0 offset:284
	buffer_load_dword v108, off, s[0:3], 0 offset:260
	;; [unrolled: 1-line block ×3, first 2 shown]
	ds_read_b128 v[43:46], v2 offset:320
	ds_read_b128 v[47:50], v2 offset:336
	buffer_load_dword v106, off, s[0:3], 0 offset:276
	s_waitcnt vmcnt(58) lgkmcnt(2)
	v_mul_f64 v[109:110], v[41:42], v[3:4]
	v_mul_f64 v[3:4], v[39:40], v[3:4]
	s_waitcnt vmcnt(56) lgkmcnt(1)
	v_mul_f64 v[111:112], v[45:46], v[51:52]
	v_mul_f64 v[51:52], v[43:44], v[51:52]
	s_waitcnt vmcnt(54)
	v_fma_f64 v[109:110], v[39:40], v[53:54], -v[109:110]
	v_fma_f64 v[3:4], v[41:42], v[53:54], v[3:4]
	s_waitcnt vmcnt(52) lgkmcnt(0)
	v_mul_f64 v[53:54], v[47:48], v[55:56]
	v_mul_f64 v[55:56], v[49:50], v[55:56]
	s_waitcnt vmcnt(50)
	v_fma_f64 v[111:112], v[43:44], v[57:58], -v[111:112]
	ds_read_b128 v[39:42], v2 offset:352
	v_fma_f64 v[51:52], v[45:46], v[57:58], v[51:52]
	s_clause 0x3
	buffer_load_dword v57, off, s[0:3], 0 offset:32
	buffer_load_dword v58, off, s[0:3], 0 offset:36
	;; [unrolled: 1-line block ×4, first 2 shown]
	ds_read_b128 v[43:46], v2 offset:368
	v_add_f64 v[109:110], v[109:110], 0
	v_add_f64 v[3:4], v[3:4], 0
	s_waitcnt vmcnt(48)
	v_fma_f64 v[53:54], v[49:50], v[65:66], v[53:54]
	s_waitcnt lgkmcnt(1)
	v_mul_f64 v[115:116], v[39:40], v[59:60]
	v_mul_f64 v[59:60], v[41:42], v[59:60]
	v_fma_f64 v[55:56], v[47:48], v[65:66], -v[55:56]
	ds_read_b128 v[47:50], v2 offset:384
	v_add_f64 v[109:110], v[109:110], v[111:112]
	v_add_f64 v[3:4], v[3:4], v[51:52]
	s_waitcnt vmcnt(47) lgkmcnt(1)
	v_mul_f64 v[51:52], v[43:44], v[61:62]
	v_mul_f64 v[61:62], v[45:46], v[61:62]
	s_waitcnt vmcnt(45)
	v_fma_f64 v[59:60], v[39:40], v[67:68], -v[59:60]
	v_fma_f64 v[65:66], v[41:42], v[67:68], v[115:116]
	s_waitcnt vmcnt(41) lgkmcnt(0)
	v_mul_f64 v[67:68], v[49:50], v[69:70]
	ds_read_b128 v[39:42], v2 offset:400
	v_add_f64 v[55:56], v[109:110], v[55:56]
	v_add_f64 v[3:4], v[3:4], v[53:54]
	v_mul_f64 v[53:54], v[47:48], v[69:70]
	s_waitcnt vmcnt(40)
	v_fma_f64 v[61:62], v[43:44], v[63:64], -v[61:62]
	v_fma_f64 v[51:52], v[45:46], v[63:64], v[51:52]
	ds_read_b128 v[43:46], v2 offset:416
	s_waitcnt vmcnt(39) lgkmcnt(1)
	v_mul_f64 v[63:64], v[41:42], v[71:72]
	v_add_f64 v[55:56], v[55:56], v[59:60]
	v_add_f64 v[3:4], v[3:4], v[65:66]
	s_waitcnt vmcnt(37)
	v_fma_f64 v[65:66], v[47:48], v[75:76], -v[67:68]
	v_mul_f64 v[59:60], v[39:40], v[71:72]
	v_fma_f64 v[53:54], v[49:50], v[75:76], v[53:54]
	ds_read_b128 v[47:50], v2 offset:432
	s_waitcnt vmcnt(32)
	v_fma_f64 v[63:64], v[39:40], v[73:74], -v[63:64]
	v_add_f64 v[55:56], v[55:56], v[61:62]
	v_add_f64 v[3:4], v[3:4], v[51:52]
	s_waitcnt lgkmcnt(1)
	v_mul_f64 v[61:62], v[45:46], v[77:78]
	v_mul_f64 v[51:52], v[43:44], v[77:78]
	v_fma_f64 v[59:60], v[41:42], v[73:74], v[59:60]
	ds_read_b128 v[39:42], v2 offset:448
	v_add_f64 v[55:56], v[55:56], v[65:66]
	v_add_f64 v[3:4], v[3:4], v[53:54]
	s_waitcnt vmcnt(31) lgkmcnt(1)
	v_mul_f64 v[65:66], v[49:50], v[79:80]
	s_waitcnt vmcnt(29)
	v_fma_f64 v[61:62], v[43:44], v[83:84], -v[61:62]
	v_mul_f64 v[53:54], v[47:48], v[79:80]
	v_fma_f64 v[51:52], v[45:46], v[83:84], v[51:52]
	ds_read_b128 v[43:46], v2 offset:464
	v_add_f64 v[55:56], v[55:56], v[63:64]
	v_add_f64 v[3:4], v[3:4], v[59:60]
	s_waitcnt vmcnt(25) lgkmcnt(1)
	v_mul_f64 v[63:64], v[41:42], v[85:86]
	s_waitcnt vmcnt(24)
	v_fma_f64 v[65:66], v[47:48], v[81:82], -v[65:66]
	;; [unrolled: 9-line block ×6, first 2 shown]
	v_mul_f64 v[51:52], v[43:44], v[101:102]
	v_fma_f64 v[41:42], v[41:42], v[97:98], v[59:60]
	s_waitcnt vmcnt(7) lgkmcnt(0)
	v_mul_f64 v[59:60], v[49:50], v[103:104]
	v_add_f64 v[55:56], v[55:56], v[65:66]
	v_add_f64 v[3:4], v[3:4], v[53:54]
	s_waitcnt vmcnt(5)
	v_fma_f64 v[43:44], v[43:44], v[107:108], -v[61:62]
	v_mul_f64 v[53:54], v[47:48], v[103:104]
	v_fma_f64 v[45:46], v[45:46], v[107:108], v[51:52]
	v_add_f64 v[39:40], v[55:56], v[39:40]
	v_add_f64 v[3:4], v[3:4], v[41:42]
	s_waitcnt vmcnt(4)
	v_fma_f64 v[41:42], v[47:48], v[105:106], -v[59:60]
	v_add_f64 v[39:40], v[39:40], v[43:44]
	v_fma_f64 v[43:44], v[49:50], v[105:106], v[53:54]
	v_add_f64 v[3:4], v[3:4], v[45:46]
	v_add_f64 v[39:40], v[39:40], v[41:42]
	;; [unrolled: 1-line block ×3, first 2 shown]
	s_waitcnt vmcnt(2)
	v_add_f64 v[39:40], v[57:58], -v[39:40]
	s_waitcnt vmcnt(0)
	v_add_f64 v[3:4], v[113:114], -v[3:4]
	buffer_store_dword v40, off, s[0:3], 0 offset:36
	buffer_store_dword v39, off, s[0:3], 0 offset:32
	;; [unrolled: 1-line block ×4, first 2 shown]
	v_cmpx_ne_u32_e32 0, v0
	s_cbranch_execz .LBB16_115
; %bb.114:
	s_clause 0x3
	buffer_load_dword v39, off, s[0:3], 0 offset:16
	buffer_load_dword v40, off, s[0:3], 0 offset:20
	;; [unrolled: 1-line block ×4, first 2 shown]
	buffer_store_dword v2, off, s[0:3], 0 offset:16
	buffer_store_dword v2, off, s[0:3], 0 offset:20
	;; [unrolled: 1-line block ×4, first 2 shown]
	s_waitcnt vmcnt(0)
	ds_write_b128 v1, v[39:42]
.LBB16_115:
	s_or_b32 exec_lo, exec_lo, s4
	s_waitcnt lgkmcnt(0)
	s_waitcnt_vscnt null, 0x0
	s_barrier
	buffer_gl0_inv
	s_clause 0x37
	buffer_load_dword v0, off, s[0:3], 0 offset:40
	buffer_load_dword v1, off, s[0:3], 0 offset:44
	;; [unrolled: 1-line block ×56, first 2 shown]
	ds_read_b128 v[39:42], v2 offset:288
	s_clause 0x2
	buffer_load_dword v102, off, s[0:3], 0 offset:268
	buffer_load_dword v106, off, s[0:3], 0 offset:244
	;; [unrolled: 1-line block ×3, first 2 shown]
	ds_read_b128 v[43:46], v2 offset:304
	s_clause 0x2
	buffer_load_dword v110, off, s[0:3], 0 offset:284
	buffer_load_dword v109, off, s[0:3], 0 offset:280
	;; [unrolled: 1-line block ×3, first 2 shown]
	ds_read_b128 v[47:50], v2 offset:320
	s_and_b32 vcc_lo, exec_lo, s28
	s_waitcnt vmcnt(60) lgkmcnt(2)
	v_mul_f64 v[107:108], v[41:42], v[0:1]
	v_mul_f64 v[0:1], v[39:40], v[0:1]
	s_waitcnt vmcnt(58) lgkmcnt(1)
	v_mul_f64 v[111:112], v[45:46], v[3:4]
	v_mul_f64 v[3:4], v[43:44], v[3:4]
	;; [unrolled: 3-line block ×3, first 2 shown]
	v_fma_f64 v[107:108], v[39:40], v[51:52], -v[107:108]
	v_fma_f64 v[0:1], v[41:42], v[51:52], v[0:1]
	s_clause 0x1
	buffer_load_dword v52, off, s[0:3], 0 offset:276
	buffer_load_dword v51, off, s[0:3], 0 offset:272
	s_waitcnt vmcnt(54)
	v_fma_f64 v[111:112], v[43:44], v[55:56], -v[111:112]
	ds_read_b128 v[39:42], v2 offset:336
	v_fma_f64 v[3:4], v[45:46], v[55:56], v[3:4]
	ds_read_b128 v[43:46], v2 offset:352
	s_waitcnt vmcnt(48)
	v_fma_f64 v[53:54], v[47:48], v[63:64], -v[53:54]
	v_fma_f64 v[63:64], v[49:50], v[63:64], v[113:114]
	v_add_f64 v[107:108], v[107:108], 0
	v_add_f64 v[0:1], v[0:1], 0
	s_waitcnt lgkmcnt(1)
	v_mul_f64 v[55:56], v[39:40], v[57:58]
	v_mul_f64 v[57:58], v[41:42], v[57:58]
	v_add_f64 v[107:108], v[107:108], v[111:112]
	v_add_f64 v[0:1], v[0:1], v[3:4]
	s_clause 0x3
	buffer_load_dword v111, off, s[0:3], 0 offset:16
	buffer_load_dword v112, off, s[0:3], 0 offset:20
	;; [unrolled: 1-line block ×4, first 2 shown]
	s_waitcnt vmcnt(51) lgkmcnt(0)
	v_mul_f64 v[3:4], v[43:44], v[59:60]
	v_mul_f64 v[59:60], v[45:46], v[59:60]
	s_waitcnt vmcnt(49)
	v_fma_f64 v[57:58], v[39:40], v[65:66], -v[57:58]
	ds_read_b128 v[47:50], v2 offset:368
	v_fma_f64 v[55:56], v[41:42], v[65:66], v[55:56]
	ds_read_b128 v[39:42], v2 offset:384
	v_add_f64 v[53:54], v[107:108], v[53:54]
	v_add_f64 v[0:1], v[0:1], v[63:64]
	s_waitcnt vmcnt(44)
	v_fma_f64 v[3:4], v[45:46], v[61:62], v[3:4]
	s_waitcnt lgkmcnt(1)
	v_mul_f64 v[65:66], v[49:50], v[67:68]
	v_fma_f64 v[59:60], v[43:44], v[61:62], -v[59:60]
	v_mul_f64 v[63:64], v[47:48], v[67:68]
	ds_read_b128 v[43:46], v2 offset:400
	v_add_f64 v[53:54], v[53:54], v[57:58]
	v_add_f64 v[0:1], v[0:1], v[55:56]
	s_waitcnt vmcnt(43) lgkmcnt(1)
	v_mul_f64 v[57:58], v[41:42], v[69:70]
	v_mul_f64 v[55:56], v[39:40], v[69:70]
	s_waitcnt vmcnt(41)
	v_fma_f64 v[61:62], v[47:48], v[73:74], -v[65:66]
	v_add_f64 v[53:54], v[53:54], v[59:60]
	v_fma_f64 v[59:60], v[49:50], v[73:74], v[63:64]
	v_add_f64 v[0:1], v[0:1], v[3:4]
	ds_read_b128 v[47:50], v2 offset:416
	s_waitcnt vmcnt(37) lgkmcnt(1)
	v_mul_f64 v[63:64], v[45:46], v[75:76]
	s_waitcnt vmcnt(36)
	v_fma_f64 v[57:58], v[39:40], v[71:72], -v[57:58]
	v_mul_f64 v[3:4], v[43:44], v[75:76]
	v_fma_f64 v[55:56], v[41:42], v[71:72], v[55:56]
	ds_read_b128 v[39:42], v2 offset:432
	v_add_f64 v[53:54], v[53:54], v[61:62]
	s_waitcnt vmcnt(35) lgkmcnt(1)
	v_mul_f64 v[61:62], v[49:50], v[77:78]
	v_add_f64 v[0:1], v[0:1], v[59:60]
	v_mul_f64 v[59:60], v[47:48], v[77:78]
	s_waitcnt vmcnt(33)
	v_fma_f64 v[63:64], v[43:44], v[81:82], -v[63:64]
	v_fma_f64 v[3:4], v[45:46], v[81:82], v[3:4]
	ds_read_b128 v[43:46], v2 offset:448
	v_add_f64 v[53:54], v[53:54], v[57:58]
	s_waitcnt vmcnt(29) lgkmcnt(1)
	v_mul_f64 v[57:58], v[41:42], v[83:84]
	v_add_f64 v[0:1], v[0:1], v[55:56]
	s_waitcnt vmcnt(28)
	v_fma_f64 v[61:62], v[47:48], v[79:80], -v[61:62]
	v_mul_f64 v[55:56], v[39:40], v[83:84]
	v_fma_f64 v[59:60], v[49:50], v[79:80], v[59:60]
	ds_read_b128 v[47:50], v2 offset:464
	v_add_f64 v[53:54], v[53:54], v[63:64]
	s_waitcnt vmcnt(27) lgkmcnt(1)
	v_mul_f64 v[63:64], v[45:46], v[85:86]
	v_add_f64 v[0:1], v[0:1], v[3:4]
	s_waitcnt vmcnt(25)
	v_fma_f64 v[57:58], v[39:40], v[89:90], -v[57:58]
	v_mul_f64 v[3:4], v[43:44], v[85:86]
	;; [unrolled: 9-line block ×4, first 2 shown]
	v_fma_f64 v[59:60], v[49:50], v[97:98], v[59:60]
	ds_read_b128 v[47:50], v2 offset:512
	s_waitcnt vmcnt(13) lgkmcnt(1)
	v_mul_f64 v[65:66], v[45:46], v[99:100]
	v_add_f64 v[53:54], v[53:54], v[63:64]
	s_waitcnt vmcnt(12)
	v_fma_f64 v[39:40], v[39:40], v[95:96], -v[57:58]
	v_add_f64 v[0:1], v[0:1], v[3:4]
	v_mul_f64 v[63:64], v[43:44], v[99:100]
	v_fma_f64 v[41:42], v[41:42], v[95:96], v[55:56]
	s_waitcnt vmcnt(11) lgkmcnt(0)
	v_mul_f64 v[57:58], v[47:48], v[101:102]
	s_waitcnt vmcnt(9)
	v_fma_f64 v[43:44], v[43:44], v[105:106], -v[65:66]
	v_add_f64 v[53:54], v[53:54], v[61:62]
	v_add_f64 v[55:56], v[0:1], v[59:60]
	v_mul_f64 v[59:60], v[49:50], v[101:102]
	ds_read_b128 v[0:3], v2 offset:528
	v_fma_f64 v[45:46], v[45:46], v[105:106], v[63:64]
	v_add_f64 v[39:40], v[53:54], v[39:40]
	v_add_f64 v[41:42], v[55:56], v[41:42]
	s_waitcnt vmcnt(7) lgkmcnt(0)
	v_mul_f64 v[55:56], v[2:3], v[109:110]
	s_waitcnt vmcnt(6)
	v_fma_f64 v[47:48], v[47:48], v[103:104], -v[59:60]
	v_mul_f64 v[53:54], v[0:1], v[109:110]
	v_add_f64 v[39:40], v[39:40], v[43:44]
	v_fma_f64 v[43:44], v[49:50], v[103:104], v[57:58]
	v_add_f64 v[41:42], v[41:42], v[45:46]
	s_waitcnt vmcnt(4)
	v_fma_f64 v[0:1], v[0:1], v[51:52], -v[55:56]
	v_fma_f64 v[2:3], v[2:3], v[51:52], v[53:54]
	v_add_f64 v[39:40], v[39:40], v[47:48]
	v_add_f64 v[41:42], v[41:42], v[43:44]
	;; [unrolled: 1-line block ×4, first 2 shown]
	s_waitcnt vmcnt(2)
	v_add_f64 v[0:1], v[111:112], -v[0:1]
	s_waitcnt vmcnt(0)
	v_add_f64 v[2:3], v[113:114], -v[2:3]
	buffer_store_dword v1, off, s[0:3], 0 offset:20
	buffer_store_dword v0, off, s[0:3], 0 offset:16
	;; [unrolled: 1-line block ×4, first 2 shown]
	s_cbranch_vccz .LBB16_148
; %bb.116:
	v_mov_b32_e32 v0, 0
	global_load_dword v1, v0, s[20:21] offset:60
	s_waitcnt vmcnt(0)
	v_add_nc_u32_e32 v1, -1, v1
	v_cmp_ne_u32_e32 vcc_lo, 15, v1
	s_cbranch_vccz .LBB16_118
; %bb.117:
	v_lshlrev_b32_e32 v1, 4, v1
	v_mov_b32_e32 v2, s9
	v_add_nc_u32_e32 v1, 16, v1
	s_clause 0x7
	buffer_load_dword v3, v1, s[0:3], 0 offen
	buffer_load_dword v4, v1, s[0:3], 0 offen offset:4
	buffer_load_dword v39, v1, s[0:3], 0 offen offset:8
	;; [unrolled: 1-line block ×6, first 2 shown]
	buffer_load_dword v44, v2, s[0:3], 0 offen
	s_waitcnt vmcnt(7)
	buffer_store_dword v3, v2, s[0:3], 0 offen
	s_waitcnt vmcnt(6)
	buffer_store_dword v4, v2, s[0:3], 0 offen offset:4
	s_waitcnt vmcnt(5)
	buffer_store_dword v39, v2, s[0:3], 0 offen offset:8
	;; [unrolled: 2-line block ×6, first 2 shown]
	s_waitcnt vmcnt(0)
	buffer_store_dword v44, v1, s[0:3], 0 offen
.LBB16_118:
	global_load_dword v0, v0, s[20:21] offset:56
	s_waitcnt vmcnt(0)
	v_add_nc_u32_e32 v0, -1, v0
	v_cmp_eq_u32_e32 vcc_lo, 14, v0
	s_cbranch_vccnz .LBB16_120
; %bb.119:
	v_lshlrev_b32_e32 v0, 4, v0
	v_mov_b32_e32 v1, s12
	v_add_nc_u32_e32 v0, 16, v0
	s_clause 0x7
	buffer_load_dword v2, v0, s[0:3], 0 offen
	buffer_load_dword v3, v0, s[0:3], 0 offen offset:4
	buffer_load_dword v4, v0, s[0:3], 0 offen offset:8
	;; [unrolled: 1-line block ×6, first 2 shown]
	buffer_load_dword v43, v1, s[0:3], 0 offen
	s_waitcnt vmcnt(7)
	buffer_store_dword v2, v1, s[0:3], 0 offen
	s_waitcnt vmcnt(6)
	buffer_store_dword v3, v1, s[0:3], 0 offen offset:4
	s_waitcnt vmcnt(5)
	buffer_store_dword v4, v1, s[0:3], 0 offen offset:8
	s_waitcnt vmcnt(4)
	buffer_store_dword v39, v1, s[0:3], 0 offen offset:12
	s_waitcnt vmcnt(3)
	buffer_store_dword v40, v0, s[0:3], 0 offen offset:12
	s_waitcnt vmcnt(2)
	buffer_store_dword v41, v0, s[0:3], 0 offen offset:8
	s_waitcnt vmcnt(1)
	buffer_store_dword v42, v0, s[0:3], 0 offen offset:4
	s_waitcnt vmcnt(0)
	buffer_store_dword v43, v0, s[0:3], 0 offen
.LBB16_120:
	v_mov_b32_e32 v0, 0
	global_load_dword v1, v0, s[20:21] offset:52
	s_waitcnt vmcnt(0)
	v_add_nc_u32_e32 v1, -1, v1
	v_cmp_eq_u32_e32 vcc_lo, 13, v1
	s_cbranch_vccnz .LBB16_122
; %bb.121:
	v_lshlrev_b32_e32 v1, 4, v1
	v_mov_b32_e32 v2, s13
	v_add_nc_u32_e32 v1, 16, v1
	s_clause 0x7
	buffer_load_dword v3, v1, s[0:3], 0 offen
	buffer_load_dword v4, v1, s[0:3], 0 offen offset:4
	buffer_load_dword v39, v1, s[0:3], 0 offen offset:8
	;; [unrolled: 1-line block ×6, first 2 shown]
	buffer_load_dword v44, v2, s[0:3], 0 offen
	s_waitcnt vmcnt(7)
	buffer_store_dword v3, v2, s[0:3], 0 offen
	s_waitcnt vmcnt(6)
	buffer_store_dword v4, v2, s[0:3], 0 offen offset:4
	s_waitcnt vmcnt(5)
	buffer_store_dword v39, v2, s[0:3], 0 offen offset:8
	;; [unrolled: 2-line block ×6, first 2 shown]
	s_waitcnt vmcnt(0)
	buffer_store_dword v44, v1, s[0:3], 0 offen
.LBB16_122:
	global_load_dword v0, v0, s[20:21] offset:48
	s_waitcnt vmcnt(0)
	v_add_nc_u32_e32 v0, -1, v0
	v_cmp_eq_u32_e32 vcc_lo, 12, v0
	s_cbranch_vccnz .LBB16_124
; %bb.123:
	v_lshlrev_b32_e32 v0, 4, v0
	v_mov_b32_e32 v1, s14
	v_add_nc_u32_e32 v0, 16, v0
	s_clause 0x7
	buffer_load_dword v2, v0, s[0:3], 0 offen
	buffer_load_dword v3, v0, s[0:3], 0 offen offset:4
	buffer_load_dword v4, v0, s[0:3], 0 offen offset:8
	;; [unrolled: 1-line block ×6, first 2 shown]
	buffer_load_dword v43, v1, s[0:3], 0 offen
	s_waitcnt vmcnt(7)
	buffer_store_dword v2, v1, s[0:3], 0 offen
	s_waitcnt vmcnt(6)
	buffer_store_dword v3, v1, s[0:3], 0 offen offset:4
	s_waitcnt vmcnt(5)
	buffer_store_dword v4, v1, s[0:3], 0 offen offset:8
	;; [unrolled: 2-line block ×6, first 2 shown]
	s_waitcnt vmcnt(0)
	buffer_store_dword v43, v0, s[0:3], 0 offen
.LBB16_124:
	v_mov_b32_e32 v0, 0
	global_load_dword v1, v0, s[20:21] offset:44
	s_waitcnt vmcnt(0)
	v_add_nc_u32_e32 v1, -1, v1
	v_cmp_eq_u32_e32 vcc_lo, 11, v1
	s_cbranch_vccnz .LBB16_126
; %bb.125:
	v_lshlrev_b32_e32 v1, 4, v1
	v_mov_b32_e32 v2, s15
	v_add_nc_u32_e32 v1, 16, v1
	s_clause 0x7
	buffer_load_dword v3, v1, s[0:3], 0 offen
	buffer_load_dword v4, v1, s[0:3], 0 offen offset:4
	buffer_load_dword v39, v1, s[0:3], 0 offen offset:8
	;; [unrolled: 1-line block ×6, first 2 shown]
	buffer_load_dword v44, v2, s[0:3], 0 offen
	s_waitcnt vmcnt(7)
	buffer_store_dword v3, v2, s[0:3], 0 offen
	s_waitcnt vmcnt(6)
	buffer_store_dword v4, v2, s[0:3], 0 offen offset:4
	s_waitcnt vmcnt(5)
	buffer_store_dword v39, v2, s[0:3], 0 offen offset:8
	;; [unrolled: 2-line block ×6, first 2 shown]
	s_waitcnt vmcnt(0)
	buffer_store_dword v44, v1, s[0:3], 0 offen
.LBB16_126:
	global_load_dword v0, v0, s[20:21] offset:40
	s_waitcnt vmcnt(0)
	v_add_nc_u32_e32 v0, -1, v0
	v_cmp_eq_u32_e32 vcc_lo, 10, v0
	s_cbranch_vccnz .LBB16_128
; %bb.127:
	v_lshlrev_b32_e32 v0, 4, v0
	v_mov_b32_e32 v1, s16
	v_add_nc_u32_e32 v0, 16, v0
	s_clause 0x7
	buffer_load_dword v2, v0, s[0:3], 0 offen
	buffer_load_dword v3, v0, s[0:3], 0 offen offset:4
	buffer_load_dword v4, v0, s[0:3], 0 offen offset:8
	buffer_load_dword v39, v0, s[0:3], 0 offen offset:12
	buffer_load_dword v40, v1, s[0:3], 0 offen offset:12
	buffer_load_dword v41, v1, s[0:3], 0 offen offset:8
	buffer_load_dword v42, v1, s[0:3], 0 offen offset:4
	buffer_load_dword v43, v1, s[0:3], 0 offen
	s_waitcnt vmcnt(7)
	buffer_store_dword v2, v1, s[0:3], 0 offen
	s_waitcnt vmcnt(6)
	buffer_store_dword v3, v1, s[0:3], 0 offen offset:4
	s_waitcnt vmcnt(5)
	buffer_store_dword v4, v1, s[0:3], 0 offen offset:8
	;; [unrolled: 2-line block ×6, first 2 shown]
	s_waitcnt vmcnt(0)
	buffer_store_dword v43, v0, s[0:3], 0 offen
.LBB16_128:
	v_mov_b32_e32 v0, 0
	global_load_dword v1, v0, s[20:21] offset:36
	s_waitcnt vmcnt(0)
	v_add_nc_u32_e32 v1, -1, v1
	v_cmp_eq_u32_e32 vcc_lo, 9, v1
	s_cbranch_vccnz .LBB16_130
; %bb.129:
	v_lshlrev_b32_e32 v1, 4, v1
	v_mov_b32_e32 v2, s17
	v_add_nc_u32_e32 v1, 16, v1
	s_clause 0x7
	buffer_load_dword v3, v1, s[0:3], 0 offen
	buffer_load_dword v4, v1, s[0:3], 0 offen offset:4
	buffer_load_dword v39, v1, s[0:3], 0 offen offset:8
	;; [unrolled: 1-line block ×6, first 2 shown]
	buffer_load_dword v44, v2, s[0:3], 0 offen
	s_waitcnt vmcnt(7)
	buffer_store_dword v3, v2, s[0:3], 0 offen
	s_waitcnt vmcnt(6)
	buffer_store_dword v4, v2, s[0:3], 0 offen offset:4
	s_waitcnt vmcnt(5)
	buffer_store_dword v39, v2, s[0:3], 0 offen offset:8
	;; [unrolled: 2-line block ×6, first 2 shown]
	s_waitcnt vmcnt(0)
	buffer_store_dword v44, v1, s[0:3], 0 offen
.LBB16_130:
	global_load_dword v0, v0, s[20:21] offset:32
	s_waitcnt vmcnt(0)
	v_add_nc_u32_e32 v0, -1, v0
	v_cmp_eq_u32_e32 vcc_lo, 8, v0
	s_cbranch_vccnz .LBB16_132
; %bb.131:
	v_lshlrev_b32_e32 v0, 4, v0
	v_mov_b32_e32 v1, s18
	v_add_nc_u32_e32 v0, 16, v0
	s_clause 0x7
	buffer_load_dword v2, v0, s[0:3], 0 offen
	buffer_load_dword v3, v0, s[0:3], 0 offen offset:4
	buffer_load_dword v4, v0, s[0:3], 0 offen offset:8
	;; [unrolled: 1-line block ×6, first 2 shown]
	buffer_load_dword v43, v1, s[0:3], 0 offen
	s_waitcnt vmcnt(7)
	buffer_store_dword v2, v1, s[0:3], 0 offen
	s_waitcnt vmcnt(6)
	buffer_store_dword v3, v1, s[0:3], 0 offen offset:4
	s_waitcnt vmcnt(5)
	buffer_store_dword v4, v1, s[0:3], 0 offen offset:8
	s_waitcnt vmcnt(4)
	buffer_store_dword v39, v1, s[0:3], 0 offen offset:12
	s_waitcnt vmcnt(3)
	buffer_store_dword v40, v0, s[0:3], 0 offen offset:12
	s_waitcnt vmcnt(2)
	buffer_store_dword v41, v0, s[0:3], 0 offen offset:8
	s_waitcnt vmcnt(1)
	buffer_store_dword v42, v0, s[0:3], 0 offen offset:4
	s_waitcnt vmcnt(0)
	buffer_store_dword v43, v0, s[0:3], 0 offen
.LBB16_132:
	v_mov_b32_e32 v0, 0
	global_load_dword v1, v0, s[20:21] offset:28
	s_waitcnt vmcnt(0)
	v_add_nc_u32_e32 v1, -1, v1
	v_cmp_eq_u32_e32 vcc_lo, 7, v1
	s_cbranch_vccnz .LBB16_134
; %bb.133:
	v_lshlrev_b32_e32 v1, 4, v1
	v_mov_b32_e32 v2, s19
	v_add_nc_u32_e32 v1, 16, v1
	s_clause 0x7
	buffer_load_dword v3, v1, s[0:3], 0 offen
	buffer_load_dword v4, v1, s[0:3], 0 offen offset:4
	buffer_load_dword v39, v1, s[0:3], 0 offen offset:8
	;; [unrolled: 1-line block ×6, first 2 shown]
	buffer_load_dword v44, v2, s[0:3], 0 offen
	s_waitcnt vmcnt(7)
	buffer_store_dword v3, v2, s[0:3], 0 offen
	s_waitcnt vmcnt(6)
	buffer_store_dword v4, v2, s[0:3], 0 offen offset:4
	s_waitcnt vmcnt(5)
	buffer_store_dword v39, v2, s[0:3], 0 offen offset:8
	;; [unrolled: 2-line block ×6, first 2 shown]
	s_waitcnt vmcnt(0)
	buffer_store_dword v44, v1, s[0:3], 0 offen
.LBB16_134:
	global_load_dword v0, v0, s[20:21] offset:24
	s_waitcnt vmcnt(0)
	v_add_nc_u32_e32 v0, -1, v0
	v_cmp_eq_u32_e32 vcc_lo, 6, v0
	s_cbranch_vccnz .LBB16_136
; %bb.135:
	v_lshlrev_b32_e32 v0, 4, v0
	v_mov_b32_e32 v1, s22
	v_add_nc_u32_e32 v0, 16, v0
	s_clause 0x7
	buffer_load_dword v2, v0, s[0:3], 0 offen
	buffer_load_dword v3, v0, s[0:3], 0 offen offset:4
	buffer_load_dword v4, v0, s[0:3], 0 offen offset:8
	;; [unrolled: 1-line block ×6, first 2 shown]
	buffer_load_dword v43, v1, s[0:3], 0 offen
	s_waitcnt vmcnt(7)
	buffer_store_dword v2, v1, s[0:3], 0 offen
	s_waitcnt vmcnt(6)
	buffer_store_dword v3, v1, s[0:3], 0 offen offset:4
	s_waitcnt vmcnt(5)
	buffer_store_dword v4, v1, s[0:3], 0 offen offset:8
	;; [unrolled: 2-line block ×6, first 2 shown]
	s_waitcnt vmcnt(0)
	buffer_store_dword v43, v0, s[0:3], 0 offen
.LBB16_136:
	v_mov_b32_e32 v0, 0
	global_load_dword v1, v0, s[20:21] offset:20
	s_waitcnt vmcnt(0)
	v_add_nc_u32_e32 v1, -1, v1
	v_cmp_eq_u32_e32 vcc_lo, 5, v1
	s_cbranch_vccnz .LBB16_138
; %bb.137:
	v_lshlrev_b32_e32 v1, 4, v1
	v_mov_b32_e32 v2, s23
	v_add_nc_u32_e32 v1, 16, v1
	s_clause 0x7
	buffer_load_dword v3, v1, s[0:3], 0 offen
	buffer_load_dword v4, v1, s[0:3], 0 offen offset:4
	buffer_load_dword v39, v1, s[0:3], 0 offen offset:8
	;; [unrolled: 1-line block ×6, first 2 shown]
	buffer_load_dword v44, v2, s[0:3], 0 offen
	s_waitcnt vmcnt(7)
	buffer_store_dword v3, v2, s[0:3], 0 offen
	s_waitcnt vmcnt(6)
	buffer_store_dword v4, v2, s[0:3], 0 offen offset:4
	s_waitcnt vmcnt(5)
	buffer_store_dword v39, v2, s[0:3], 0 offen offset:8
	s_waitcnt vmcnt(4)
	buffer_store_dword v40, v2, s[0:3], 0 offen offset:12
	s_waitcnt vmcnt(3)
	buffer_store_dword v41, v1, s[0:3], 0 offen offset:12
	s_waitcnt vmcnt(2)
	buffer_store_dword v42, v1, s[0:3], 0 offen offset:8
	s_waitcnt vmcnt(1)
	buffer_store_dword v43, v1, s[0:3], 0 offen offset:4
	s_waitcnt vmcnt(0)
	buffer_store_dword v44, v1, s[0:3], 0 offen
.LBB16_138:
	global_load_dword v0, v0, s[20:21] offset:16
	s_waitcnt vmcnt(0)
	v_add_nc_u32_e32 v0, -1, v0
	v_cmp_eq_u32_e32 vcc_lo, 4, v0
	s_cbranch_vccnz .LBB16_140
; %bb.139:
	v_lshlrev_b32_e32 v0, 4, v0
	v_mov_b32_e32 v1, s24
	v_add_nc_u32_e32 v0, 16, v0
	s_clause 0x7
	buffer_load_dword v2, v0, s[0:3], 0 offen
	buffer_load_dword v3, v0, s[0:3], 0 offen offset:4
	buffer_load_dword v4, v0, s[0:3], 0 offen offset:8
	;; [unrolled: 1-line block ×6, first 2 shown]
	buffer_load_dword v43, v1, s[0:3], 0 offen
	s_waitcnt vmcnt(7)
	buffer_store_dword v2, v1, s[0:3], 0 offen
	s_waitcnt vmcnt(6)
	buffer_store_dword v3, v1, s[0:3], 0 offen offset:4
	s_waitcnt vmcnt(5)
	buffer_store_dword v4, v1, s[0:3], 0 offen offset:8
	;; [unrolled: 2-line block ×6, first 2 shown]
	s_waitcnt vmcnt(0)
	buffer_store_dword v43, v0, s[0:3], 0 offen
.LBB16_140:
	v_mov_b32_e32 v0, 0
	global_load_dword v1, v0, s[20:21] offset:12
	s_waitcnt vmcnt(0)
	v_add_nc_u32_e32 v1, -1, v1
	v_cmp_eq_u32_e32 vcc_lo, 3, v1
	s_cbranch_vccnz .LBB16_142
; %bb.141:
	v_lshlrev_b32_e32 v1, 4, v1
	v_mov_b32_e32 v2, s25
	v_add_nc_u32_e32 v1, 16, v1
	s_clause 0x7
	buffer_load_dword v3, v1, s[0:3], 0 offen
	buffer_load_dword v4, v1, s[0:3], 0 offen offset:4
	buffer_load_dword v39, v1, s[0:3], 0 offen offset:8
	;; [unrolled: 1-line block ×6, first 2 shown]
	buffer_load_dword v44, v2, s[0:3], 0 offen
	s_waitcnt vmcnt(7)
	buffer_store_dword v3, v2, s[0:3], 0 offen
	s_waitcnt vmcnt(6)
	buffer_store_dword v4, v2, s[0:3], 0 offen offset:4
	s_waitcnt vmcnt(5)
	buffer_store_dword v39, v2, s[0:3], 0 offen offset:8
	;; [unrolled: 2-line block ×6, first 2 shown]
	s_waitcnt vmcnt(0)
	buffer_store_dword v44, v1, s[0:3], 0 offen
.LBB16_142:
	global_load_dword v0, v0, s[20:21] offset:8
	s_waitcnt vmcnt(0)
	v_add_nc_u32_e32 v0, -1, v0
	v_cmp_eq_u32_e32 vcc_lo, 2, v0
	s_cbranch_vccnz .LBB16_144
; %bb.143:
	v_lshlrev_b32_e32 v0, 4, v0
	v_mov_b32_e32 v1, s26
	v_add_nc_u32_e32 v0, 16, v0
	s_clause 0x7
	buffer_load_dword v2, v0, s[0:3], 0 offen
	buffer_load_dword v3, v0, s[0:3], 0 offen offset:4
	buffer_load_dword v4, v0, s[0:3], 0 offen offset:8
	;; [unrolled: 1-line block ×6, first 2 shown]
	buffer_load_dword v43, v1, s[0:3], 0 offen
	s_waitcnt vmcnt(7)
	buffer_store_dword v2, v1, s[0:3], 0 offen
	s_waitcnt vmcnt(6)
	buffer_store_dword v3, v1, s[0:3], 0 offen offset:4
	s_waitcnt vmcnt(5)
	buffer_store_dword v4, v1, s[0:3], 0 offen offset:8
	;; [unrolled: 2-line block ×6, first 2 shown]
	s_waitcnt vmcnt(0)
	buffer_store_dword v43, v0, s[0:3], 0 offen
.LBB16_144:
	v_mov_b32_e32 v0, 0
	global_load_dword v1, v0, s[20:21] offset:4
	s_waitcnt vmcnt(0)
	v_add_nc_u32_e32 v1, -1, v1
	v_cmp_eq_u32_e32 vcc_lo, 1, v1
	s_cbranch_vccnz .LBB16_146
; %bb.145:
	v_lshlrev_b32_e32 v1, 4, v1
	v_mov_b32_e32 v2, s27
	v_add_nc_u32_e32 v1, 16, v1
	s_clause 0x7
	buffer_load_dword v3, v1, s[0:3], 0 offen
	buffer_load_dword v4, v1, s[0:3], 0 offen offset:4
	buffer_load_dword v39, v1, s[0:3], 0 offen offset:8
	buffer_load_dword v40, v1, s[0:3], 0 offen offset:12
	buffer_load_dword v41, v2, s[0:3], 0 offen offset:12
	buffer_load_dword v42, v2, s[0:3], 0 offen offset:8
	buffer_load_dword v43, v2, s[0:3], 0 offen offset:4
	buffer_load_dword v44, v2, s[0:3], 0 offen
	s_waitcnt vmcnt(7)
	buffer_store_dword v3, v2, s[0:3], 0 offen
	s_waitcnt vmcnt(6)
	buffer_store_dword v4, v2, s[0:3], 0 offen offset:4
	s_waitcnt vmcnt(5)
	buffer_store_dword v39, v2, s[0:3], 0 offen offset:8
	;; [unrolled: 2-line block ×6, first 2 shown]
	s_waitcnt vmcnt(0)
	buffer_store_dword v44, v1, s[0:3], 0 offen
.LBB16_146:
	global_load_dword v0, v0, s[20:21]
	s_waitcnt vmcnt(0)
	v_add_nc_u32_e32 v0, -1, v0
	v_cmp_eq_u32_e32 vcc_lo, 0, v0
	s_cbranch_vccnz .LBB16_148
; %bb.147:
	v_lshlrev_b32_e32 v0, 4, v0
	v_add_nc_u32_e32 v0, 16, v0
	s_clause 0x7
	buffer_load_dword v1, v0, s[0:3], 0 offen
	buffer_load_dword v2, v0, s[0:3], 0 offen offset:4
	buffer_load_dword v3, v0, s[0:3], 0 offen offset:8
	;; [unrolled: 1-line block ×3, first 2 shown]
	buffer_load_dword v39, off, s[0:3], 0 offset:28
	buffer_load_dword v40, off, s[0:3], 0 offset:24
	;; [unrolled: 1-line block ×4, first 2 shown]
	s_waitcnt vmcnt(7)
	buffer_store_dword v1, off, s[0:3], 0 offset:16
	s_waitcnt vmcnt(6)
	buffer_store_dword v2, off, s[0:3], 0 offset:20
	;; [unrolled: 2-line block ×4, first 2 shown]
	s_waitcnt vmcnt(3)
	buffer_store_dword v39, v0, s[0:3], 0 offen offset:12
	s_waitcnt vmcnt(2)
	buffer_store_dword v40, v0, s[0:3], 0 offen offset:8
	;; [unrolled: 2-line block ×3, first 2 shown]
	s_waitcnt vmcnt(0)
	buffer_store_dword v42, v0, s[0:3], 0 offen
.LBB16_148:
	v_mov_b32_e32 v46, s26
	v_mov_b32_e32 v54, s24
	;; [unrolled: 1-line block ×5, first 2 shown]
	s_clause 0x7
	buffer_load_dword v0, off, s[0:3], 0 offset:16
	buffer_load_dword v1, off, s[0:3], 0 offset:20
	;; [unrolled: 1-line block ×4, first 2 shown]
	buffer_load_dword v39, v4, s[0:3], 0 offen
	buffer_load_dword v40, v4, s[0:3], 0 offen offset:4
	buffer_load_dword v41, v4, s[0:3], 0 offen offset:8
	buffer_load_dword v42, v4, s[0:3], 0 offen offset:12
	v_mov_b32_e32 v4, s25
	v_mov_b32_e32 v78, s16
	s_clause 0x7
	buffer_load_dword v43, v46, s[0:3], 0 offen
	buffer_load_dword v44, v46, s[0:3], 0 offen offset:4
	buffer_load_dword v45, v46, s[0:3], 0 offen offset:8
	buffer_load_dword v46, v46, s[0:3], 0 offen offset:12
	buffer_load_dword v47, v4, s[0:3], 0 offen
	buffer_load_dword v48, v4, s[0:3], 0 offen offset:4
	buffer_load_dword v49, v4, s[0:3], 0 offen offset:8
	buffer_load_dword v50, v4, s[0:3], 0 offen offset:12
	v_mov_b32_e32 v4, s23
	v_mov_b32_e32 v86, s14
	s_clause 0x7
	buffer_load_dword v51, v54, s[0:3], 0 offen
	buffer_load_dword v52, v54, s[0:3], 0 offen offset:4
	buffer_load_dword v53, v54, s[0:3], 0 offen offset:8
	buffer_load_dword v54, v54, s[0:3], 0 offen offset:12
	;; [unrolled: 11-line block ×3, first 2 shown]
	buffer_load_dword v63, v4, s[0:3], 0 offen
	buffer_load_dword v64, v4, s[0:3], 0 offen offset:4
	buffer_load_dword v65, v4, s[0:3], 0 offen offset:8
	buffer_load_dword v66, v4, s[0:3], 0 offen offset:12
	v_mov_b32_e32 v4, s17
	s_clause 0x7
	buffer_load_dword v67, v70, s[0:3], 0 offen
	buffer_load_dword v68, v70, s[0:3], 0 offen offset:4
	buffer_load_dword v69, v70, s[0:3], 0 offen offset:8
	buffer_load_dword v70, v70, s[0:3], 0 offen offset:12
	buffer_load_dword v71, v4, s[0:3], 0 offen
	buffer_load_dword v72, v4, s[0:3], 0 offen offset:4
	buffer_load_dword v73, v4, s[0:3], 0 offen offset:8
	buffer_load_dword v74, v4, s[0:3], 0 offen offset:12
	v_mov_b32_e32 v4, s15
	s_clause 0x7
	buffer_load_dword v75, v78, s[0:3], 0 offen
	buffer_load_dword v76, v78, s[0:3], 0 offen offset:4
	buffer_load_dword v77, v78, s[0:3], 0 offen offset:8
	buffer_load_dword v78, v78, s[0:3], 0 offen offset:12
	;; [unrolled: 10-line block ×3, first 2 shown]
	buffer_load_dword v87, v4, s[0:3], 0 offen
	buffer_load_dword v88, v4, s[0:3], 0 offen offset:4
	buffer_load_dword v89, v4, s[0:3], 0 offen offset:8
	;; [unrolled: 1-line block ×3, first 2 shown]
	v_mov_b32_e32 v4, s9
	v_mov_b32_e32 v102, s8
	s_clause 0xb
	buffer_load_dword v91, v94, s[0:3], 0 offen
	buffer_load_dword v92, v94, s[0:3], 0 offen offset:4
	buffer_load_dword v93, v94, s[0:3], 0 offen offset:8
	buffer_load_dword v94, v94, s[0:3], 0 offen offset:12
	buffer_load_dword v95, v4, s[0:3], 0 offen
	buffer_load_dword v96, v4, s[0:3], 0 offen offset:4
	buffer_load_dword v97, v4, s[0:3], 0 offen offset:8
	buffer_load_dword v98, v4, s[0:3], 0 offen offset:12
	;; [unrolled: 4-line block ×3, first 2 shown]
	s_waitcnt vmcnt(62)
	global_store_dwordx4 v[5:6], v[0:3], off
	s_waitcnt vmcnt(60)
	global_store_dwordx4 v[7:8], v[39:42], off
	;; [unrolled: 2-line block ×17, first 2 shown]
	s_endpgm
	.section	.rodata,"a",@progbits
	.p2align	6, 0x0
	.amdhsa_kernel _ZN9rocsolver6v33100L18getri_kernel_smallILi17E19rocblas_complex_numIdEPS3_EEvT1_iilPiilS6_bb
		.amdhsa_group_segment_fixed_size 552
		.amdhsa_private_segment_fixed_size 304
		.amdhsa_kernarg_size 60
		.amdhsa_user_sgpr_count 6
		.amdhsa_user_sgpr_private_segment_buffer 1
		.amdhsa_user_sgpr_dispatch_ptr 0
		.amdhsa_user_sgpr_queue_ptr 0
		.amdhsa_user_sgpr_kernarg_segment_ptr 1
		.amdhsa_user_sgpr_dispatch_id 0
		.amdhsa_user_sgpr_flat_scratch_init 0
		.amdhsa_user_sgpr_private_segment_size 0
		.amdhsa_wavefront_size32 1
		.amdhsa_uses_dynamic_stack 0
		.amdhsa_system_sgpr_private_segment_wavefront_offset 1
		.amdhsa_system_sgpr_workgroup_id_x 1
		.amdhsa_system_sgpr_workgroup_id_y 0
		.amdhsa_system_sgpr_workgroup_id_z 0
		.amdhsa_system_sgpr_workgroup_info 0
		.amdhsa_system_vgpr_workitem_id 0
		.amdhsa_next_free_vgpr 117
		.amdhsa_next_free_sgpr 36
		.amdhsa_reserve_vcc 1
		.amdhsa_reserve_flat_scratch 0
		.amdhsa_float_round_mode_32 0
		.amdhsa_float_round_mode_16_64 0
		.amdhsa_float_denorm_mode_32 3
		.amdhsa_float_denorm_mode_16_64 3
		.amdhsa_dx10_clamp 1
		.amdhsa_ieee_mode 1
		.amdhsa_fp16_overflow 0
		.amdhsa_workgroup_processor_mode 1
		.amdhsa_memory_ordered 1
		.amdhsa_forward_progress 1
		.amdhsa_shared_vgpr_count 0
		.amdhsa_exception_fp_ieee_invalid_op 0
		.amdhsa_exception_fp_denorm_src 0
		.amdhsa_exception_fp_ieee_div_zero 0
		.amdhsa_exception_fp_ieee_overflow 0
		.amdhsa_exception_fp_ieee_underflow 0
		.amdhsa_exception_fp_ieee_inexact 0
		.amdhsa_exception_int_div_zero 0
	.end_amdhsa_kernel
	.section	.text._ZN9rocsolver6v33100L18getri_kernel_smallILi17E19rocblas_complex_numIdEPS3_EEvT1_iilPiilS6_bb,"axG",@progbits,_ZN9rocsolver6v33100L18getri_kernel_smallILi17E19rocblas_complex_numIdEPS3_EEvT1_iilPiilS6_bb,comdat
.Lfunc_end16:
	.size	_ZN9rocsolver6v33100L18getri_kernel_smallILi17E19rocblas_complex_numIdEPS3_EEvT1_iilPiilS6_bb, .Lfunc_end16-_ZN9rocsolver6v33100L18getri_kernel_smallILi17E19rocblas_complex_numIdEPS3_EEvT1_iilPiilS6_bb
                                        ; -- End function
	.set _ZN9rocsolver6v33100L18getri_kernel_smallILi17E19rocblas_complex_numIdEPS3_EEvT1_iilPiilS6_bb.num_vgpr, 117
	.set _ZN9rocsolver6v33100L18getri_kernel_smallILi17E19rocblas_complex_numIdEPS3_EEvT1_iilPiilS6_bb.num_agpr, 0
	.set _ZN9rocsolver6v33100L18getri_kernel_smallILi17E19rocblas_complex_numIdEPS3_EEvT1_iilPiilS6_bb.numbered_sgpr, 36
	.set _ZN9rocsolver6v33100L18getri_kernel_smallILi17E19rocblas_complex_numIdEPS3_EEvT1_iilPiilS6_bb.num_named_barrier, 0
	.set _ZN9rocsolver6v33100L18getri_kernel_smallILi17E19rocblas_complex_numIdEPS3_EEvT1_iilPiilS6_bb.private_seg_size, 304
	.set _ZN9rocsolver6v33100L18getri_kernel_smallILi17E19rocblas_complex_numIdEPS3_EEvT1_iilPiilS6_bb.uses_vcc, 1
	.set _ZN9rocsolver6v33100L18getri_kernel_smallILi17E19rocblas_complex_numIdEPS3_EEvT1_iilPiilS6_bb.uses_flat_scratch, 0
	.set _ZN9rocsolver6v33100L18getri_kernel_smallILi17E19rocblas_complex_numIdEPS3_EEvT1_iilPiilS6_bb.has_dyn_sized_stack, 0
	.set _ZN9rocsolver6v33100L18getri_kernel_smallILi17E19rocblas_complex_numIdEPS3_EEvT1_iilPiilS6_bb.has_recursion, 0
	.set _ZN9rocsolver6v33100L18getri_kernel_smallILi17E19rocblas_complex_numIdEPS3_EEvT1_iilPiilS6_bb.has_indirect_call, 0
	.section	.AMDGPU.csdata,"",@progbits
; Kernel info:
; codeLenInByte = 29240
; TotalNumSgprs: 38
; NumVgprs: 117
; ScratchSize: 304
; MemoryBound: 0
; FloatMode: 240
; IeeeMode: 1
; LDSByteSize: 552 bytes/workgroup (compile time only)
; SGPRBlocks: 0
; VGPRBlocks: 14
; NumSGPRsForWavesPerEU: 38
; NumVGPRsForWavesPerEU: 117
; Occupancy: 8
; WaveLimiterHint : 1
; COMPUTE_PGM_RSRC2:SCRATCH_EN: 1
; COMPUTE_PGM_RSRC2:USER_SGPR: 6
; COMPUTE_PGM_RSRC2:TRAP_HANDLER: 0
; COMPUTE_PGM_RSRC2:TGID_X_EN: 1
; COMPUTE_PGM_RSRC2:TGID_Y_EN: 0
; COMPUTE_PGM_RSRC2:TGID_Z_EN: 0
; COMPUTE_PGM_RSRC2:TIDIG_COMP_CNT: 0
	.section	.text._ZN9rocsolver6v33100L18getri_kernel_smallILi18E19rocblas_complex_numIdEPS3_EEvT1_iilPiilS6_bb,"axG",@progbits,_ZN9rocsolver6v33100L18getri_kernel_smallILi18E19rocblas_complex_numIdEPS3_EEvT1_iilPiilS6_bb,comdat
	.globl	_ZN9rocsolver6v33100L18getri_kernel_smallILi18E19rocblas_complex_numIdEPS3_EEvT1_iilPiilS6_bb ; -- Begin function _ZN9rocsolver6v33100L18getri_kernel_smallILi18E19rocblas_complex_numIdEPS3_EEvT1_iilPiilS6_bb
	.p2align	8
	.type	_ZN9rocsolver6v33100L18getri_kernel_smallILi18E19rocblas_complex_numIdEPS3_EEvT1_iilPiilS6_bb,@function
_ZN9rocsolver6v33100L18getri_kernel_smallILi18E19rocblas_complex_numIdEPS3_EEvT1_iilPiilS6_bb: ; @_ZN9rocsolver6v33100L18getri_kernel_smallILi18E19rocblas_complex_numIdEPS3_EEvT1_iilPiilS6_bb
; %bb.0:
	s_add_u32 s0, s0, s7
	s_addc_u32 s1, s1, 0
	s_mov_b32 s7, exec_lo
	v_cmpx_gt_u32_e32 18, v0
	s_cbranch_execz .LBB17_86
; %bb.1:
	s_clause 0x2
	s_load_dword s7, s[4:5], 0x38
	s_load_dwordx4 s[16:19], s[4:5], 0x10
	s_load_dwordx4 s[8:11], s[4:5], 0x28
                                        ; implicit-def: $sgpr20_sgpr21
	s_waitcnt lgkmcnt(0)
	s_bitcmp1_b32 s7, 8
	s_cselect_b32 s29, -1, 0
	s_bfe_u32 s12, s7, 0x10008
	s_ashr_i32 s7, s6, 31
	s_cmp_eq_u32 s12, 0
	s_cbranch_scc1 .LBB17_3
; %bb.2:
	s_load_dword s12, s[4:5], 0x20
	s_mul_i32 s13, s8, s7
	s_mul_hi_u32 s14, s8, s6
	s_mul_i32 s9, s9, s6
	s_add_i32 s13, s14, s13
	s_mul_i32 s8, s8, s6
	s_add_i32 s9, s13, s9
	s_lshl_b64 s[8:9], s[8:9], 2
	s_waitcnt lgkmcnt(0)
	s_ashr_i32 s13, s12, 31
	s_add_u32 s14, s18, s8
	s_addc_u32 s15, s19, s9
	s_lshl_b64 s[8:9], s[12:13], 2
	s_add_u32 s20, s14, s8
	s_addc_u32 s21, s15, s9
.LBB17_3:
	s_clause 0x1
	s_load_dwordx4 s[12:15], s[4:5], 0x0
	s_load_dword s30, s[4:5], 0x38
	s_mul_i32 s4, s16, s7
	s_mul_hi_u32 s5, s16, s6
	s_mul_i32 s8, s17, s6
	s_add_i32 s5, s5, s4
	s_mul_i32 s4, s16, s6
	s_add_i32 s5, s5, s8
	v_lshlrev_b32_e32 v47, 4, v0
	s_lshl_b64 s[4:5], s[4:5], 4
	s_movk_i32 s31, 0xc0
	s_movk_i32 s33, 0xd0
	;; [unrolled: 1-line block ×6, first 2 shown]
	s_mov_b32 s28, 32
	s_mov_b32 s27, 48
	;; [unrolled: 1-line block ×3, first 2 shown]
	s_movk_i32 s25, 0x50
	s_waitcnt lgkmcnt(0)
	v_add3_u32 v1, s15, s15, v0
	s_ashr_i32 s9, s14, 31
	s_mov_b32 s8, s14
	s_add_u32 s12, s12, s4
	s_addc_u32 s13, s13, s5
	v_add_nc_u32_e32 v11, s15, v1
	s_lshl_b64 s[4:5], s[8:9], 4
	v_ashrrev_i32_e32 v2, 31, v1
	s_add_u32 s4, s12, s4
	s_addc_u32 s5, s13, s5
	v_add_nc_u32_e32 v13, s15, v11
	v_ashrrev_i32_e32 v12, 31, v11
	v_add_co_u32 v5, s12, s4, v47
	s_mov_b32 s8, s15
	v_add_nc_u32_e32 v15, s15, v13
	v_ashrrev_i32_e32 v14, 31, v13
	s_ashr_i32 s9, s15, 31
	v_lshlrev_b64 v[1:2], 4, v[1:2]
	v_add_co_ci_u32_e64 v6, null, s5, 0, s12
	v_add_nc_u32_e32 v17, s15, v15
	v_ashrrev_i32_e32 v16, 31, v15
	s_lshl_b64 s[8:9], s[8:9], 4
	v_lshlrev_b64 v[11:12], 4, v[11:12]
	v_add_co_u32 v7, vcc_lo, v5, s8
	v_add_nc_u32_e32 v19, s15, v17
	v_ashrrev_i32_e32 v18, 31, v17
	v_lshlrev_b64 v[13:14], 4, v[13:14]
	v_add_co_ci_u32_e64 v8, null, s9, v6, vcc_lo
	v_add_nc_u32_e32 v21, s15, v19
	v_ashrrev_i32_e32 v20, 31, v19
	v_add_co_u32 v9, vcc_lo, s4, v1
	v_lshlrev_b64 v[15:16], 4, v[15:16]
	v_add_nc_u32_e32 v23, s15, v21
	v_ashrrev_i32_e32 v22, 31, v21
	v_add_co_ci_u32_e64 v10, null, s5, v2, vcc_lo
	v_add_co_u32 v11, vcc_lo, s4, v11
	v_add_nc_u32_e32 v25, s15, v23
	v_lshlrev_b64 v[17:18], 4, v[17:18]
	v_ashrrev_i32_e32 v24, 31, v23
	v_add_co_ci_u32_e64 v12, null, s5, v12, vcc_lo
	v_add_nc_u32_e32 v27, s15, v25
	v_add_co_u32 v13, vcc_lo, s4, v13
	v_lshlrev_b64 v[19:20], 4, v[19:20]
	v_ashrrev_i32_e32 v26, 31, v25
	v_add_nc_u32_e32 v29, s15, v27
	v_add_co_ci_u32_e64 v14, null, s5, v14, vcc_lo
	v_add_co_u32 v15, vcc_lo, s4, v15
	v_add_nc_u32_e32 v32, s15, v29
	v_lshlrev_b64 v[21:22], 4, v[21:22]
	v_ashrrev_i32_e32 v28, 31, v27
	v_add_co_ci_u32_e64 v16, null, s5, v16, vcc_lo
	v_add_nc_u32_e32 v34, s15, v32
	v_add_co_u32 v17, vcc_lo, s4, v17
	v_lshlrev_b64 v[23:24], 4, v[23:24]
	v_ashrrev_i32_e32 v30, 31, v29
	v_add_co_ci_u32_e64 v18, null, s5, v18, vcc_lo
	v_add_co_u32 v19, vcc_lo, s4, v19
	v_lshlrev_b64 v[25:26], 4, v[25:26]
	v_add_nc_u32_e32 v36, s15, v34
	v_add_co_ci_u32_e64 v20, null, s5, v20, vcc_lo
	v_add_co_u32 v21, vcc_lo, s4, v21
	v_lshlrev_b64 v[27:28], 4, v[27:28]
	v_add_co_ci_u32_e64 v22, null, s5, v22, vcc_lo
	v_add_co_u32 v23, vcc_lo, s4, v23
	v_lshlrev_b64 v[30:31], 4, v[29:30]
	v_add_nc_u32_e32 v38, s15, v36
	v_add_co_ci_u32_e64 v24, null, s5, v24, vcc_lo
	v_add_co_u32 v25, vcc_lo, s4, v25
	v_ashrrev_i32_e32 v33, 31, v32
	v_add_co_ci_u32_e64 v26, null, s5, v26, vcc_lo
	v_add_co_u32 v27, vcc_lo, s4, v27
	v_ashrrev_i32_e32 v35, 31, v34
	v_add_co_ci_u32_e64 v28, null, s5, v28, vcc_lo
	v_add_co_u32 v29, vcc_lo, s4, v30
	v_add_nc_u32_e32 v45, s15, v38
	v_ashrrev_i32_e32 v37, 31, v36
	v_add_co_ci_u32_e64 v30, null, s5, v31, vcc_lo
	v_lshlrev_b64 v[31:32], 4, v[32:33]
	v_ashrrev_i32_e32 v39, 31, v38
	v_lshlrev_b64 v[33:34], 4, v[34:35]
	v_ashrrev_i32_e32 v46, 31, v45
	v_lshlrev_b64 v[35:36], 4, v[36:37]
	global_load_dwordx4 v[1:4], v47, s[4:5]
	v_add_co_u32 v31, vcc_lo, s4, v31
	v_lshlrev_b64 v[37:38], 4, v[38:39]
	v_add_co_ci_u32_e64 v32, null, s5, v32, vcc_lo
	v_add_co_u32 v33, vcc_lo, s4, v33
	v_lshlrev_b64 v[39:40], 4, v[45:46]
	v_add_co_ci_u32_e64 v34, null, s5, v34, vcc_lo
	v_add_co_u32 v35, vcc_lo, s4, v35
	v_add_co_ci_u32_e64 v36, null, s5, v36, vcc_lo
	v_add_co_u32 v37, vcc_lo, s4, v37
	;; [unrolled: 2-line block ×3, first 2 shown]
	v_add_co_ci_u32_e64 v40, null, s5, v40, vcc_lo
	s_clause 0x10
	global_load_dwordx4 v[41:44], v[7:8], off
	global_load_dwordx4 v[48:51], v[9:10], off
	;; [unrolled: 1-line block ×17, first 2 shown]
	s_movk_i32 s4, 0x50
	s_movk_i32 s8, 0x60
	;; [unrolled: 1-line block ×7, first 2 shown]
	s_add_i32 s24, s4, 16
	s_add_i32 s23, s8, 16
	;; [unrolled: 1-line block ×13, first 2 shown]
	s_mov_b32 s5, -1
	s_bitcmp0_b32 s30, 0
	s_waitcnt vmcnt(17)
	buffer_store_dword v4, off, s[0:3], 0 offset:28
	buffer_store_dword v3, off, s[0:3], 0 offset:24
	buffer_store_dword v2, off, s[0:3], 0 offset:20
	buffer_store_dword v1, off, s[0:3], 0 offset:16
	s_waitcnt vmcnt(16)
	buffer_store_dword v44, off, s[0:3], 0 offset:44
	buffer_store_dword v43, off, s[0:3], 0 offset:40
	buffer_store_dword v42, off, s[0:3], 0 offset:36
	buffer_store_dword v41, off, s[0:3], 0 offset:32
	;; [unrolled: 5-line block ×18, first 2 shown]
	s_cbranch_scc1 .LBB17_84
; %bb.4:
	v_cmp_eq_u32_e64 s4, 0, v0
	s_and_saveexec_b32 s5, s4
; %bb.5:
	v_mov_b32_e32 v1, 0
	ds_write_b32 v1, v1 offset:576
; %bb.6:
	s_or_b32 exec_lo, exec_lo, s5
	v_lshl_add_u32 v48, v0, 4, 16
	s_waitcnt lgkmcnt(0)
	s_waitcnt_vscnt null, 0x0
	s_barrier
	buffer_gl0_inv
	s_clause 0x3
	buffer_load_dword v1, v48, s[0:3], 0 offen
	buffer_load_dword v2, v48, s[0:3], 0 offen offset:4
	buffer_load_dword v3, v48, s[0:3], 0 offen offset:8
	;; [unrolled: 1-line block ×3, first 2 shown]
	s_waitcnt vmcnt(2)
	v_cmp_eq_f64_e32 vcc_lo, 0, v[1:2]
	s_waitcnt vmcnt(0)
	v_cmp_eq_f64_e64 s5, 0, v[3:4]
	s_and_b32 s5, vcc_lo, s5
	s_and_saveexec_b32 s30, s5
	s_cbranch_execz .LBB17_10
; %bb.7:
	v_mov_b32_e32 v1, 0
	s_mov_b32 s31, 0
	ds_read_b32 v2, v1 offset:576
	s_waitcnt lgkmcnt(0)
	v_readfirstlane_b32 s5, v2
	v_add_nc_u32_e32 v2, 1, v0
	s_cmp_eq_u32 s5, 0
	v_cmp_gt_i32_e32 vcc_lo, s5, v2
	s_cselect_b32 s33, -1, 0
	s_or_b32 s33, s33, vcc_lo
	s_and_b32 exec_lo, exec_lo, s33
	s_cbranch_execz .LBB17_10
; %bb.8:
	v_mov_b32_e32 v3, s5
.LBB17_9:                               ; =>This Inner Loop Header: Depth=1
	ds_cmpst_rtn_b32 v3, v1, v3, v2 offset:576
	s_waitcnt lgkmcnt(0)
	v_cmp_ne_u32_e32 vcc_lo, 0, v3
	v_cmp_le_i32_e64 s5, v3, v2
	s_and_b32 s5, vcc_lo, s5
	s_and_b32 s5, exec_lo, s5
	s_or_b32 s31, s5, s31
	s_andn2_b32 exec_lo, exec_lo, s31
	s_cbranch_execnz .LBB17_9
.LBB17_10:
	s_or_b32 exec_lo, exec_lo, s30
	v_mov_b32_e32 v1, 0
	s_barrier
	buffer_gl0_inv
	ds_read_b32 v2, v1 offset:576
	s_and_saveexec_b32 s5, s4
	s_cbranch_execz .LBB17_12
; %bb.11:
	s_lshl_b64 s[30:31], s[6:7], 2
	s_add_u32 s30, s10, s30
	s_addc_u32 s31, s11, s31
	s_waitcnt lgkmcnt(0)
	global_store_dword v1, v2, s[30:31]
.LBB17_12:
	s_or_b32 exec_lo, exec_lo, s5
	s_waitcnt lgkmcnt(0)
	v_cmp_ne_u32_e32 vcc_lo, 0, v2
	s_mov_b32 s5, 0
	s_cbranch_vccnz .LBB17_84
; %bb.13:
	s_clause 0x3
	buffer_load_dword v43, v48, s[0:3], 0 offen
	buffer_load_dword v44, v48, s[0:3], 0 offen offset:4
	buffer_load_dword v45, v48, s[0:3], 0 offen offset:8
	;; [unrolled: 1-line block ×3, first 2 shown]
                                        ; implicit-def: $vgpr41_vgpr42
                                        ; implicit-def: $vgpr3_vgpr4
	s_waitcnt vmcnt(0)
	v_cmp_ngt_f64_e64 s5, |v[43:44]|, |v[45:46]|
	s_and_saveexec_b32 s30, s5
	s_xor_b32 s5, exec_lo, s30
	s_cbranch_execz .LBB17_15
; %bb.14:
	v_div_scale_f64 v[1:2], null, v[45:46], v[45:46], v[43:44]
	v_div_scale_f64 v[49:50], vcc_lo, v[43:44], v[45:46], v[43:44]
	v_rcp_f64_e32 v[3:4], v[1:2]
	v_fma_f64 v[41:42], -v[1:2], v[3:4], 1.0
	v_fma_f64 v[3:4], v[3:4], v[41:42], v[3:4]
	v_fma_f64 v[41:42], -v[1:2], v[3:4], 1.0
	v_fma_f64 v[3:4], v[3:4], v[41:42], v[3:4]
	v_mul_f64 v[41:42], v[49:50], v[3:4]
	v_fma_f64 v[1:2], -v[1:2], v[41:42], v[49:50]
	v_div_fmas_f64 v[1:2], v[1:2], v[3:4], v[41:42]
	v_div_fixup_f64 v[1:2], v[1:2], v[45:46], v[43:44]
	v_fma_f64 v[3:4], v[43:44], v[1:2], v[45:46]
	v_div_scale_f64 v[41:42], null, v[3:4], v[3:4], 1.0
	v_div_scale_f64 v[49:50], vcc_lo, 1.0, v[3:4], 1.0
	v_rcp_f64_e32 v[43:44], v[41:42]
	v_fma_f64 v[45:46], -v[41:42], v[43:44], 1.0
	v_fma_f64 v[43:44], v[43:44], v[45:46], v[43:44]
	v_fma_f64 v[45:46], -v[41:42], v[43:44], 1.0
	v_fma_f64 v[43:44], v[43:44], v[45:46], v[43:44]
	v_mul_f64 v[45:46], v[49:50], v[43:44]
	v_fma_f64 v[41:42], -v[41:42], v[45:46], v[49:50]
	v_div_fmas_f64 v[41:42], v[41:42], v[43:44], v[45:46]
                                        ; implicit-def: $vgpr43_vgpr44
                                        ; implicit-def: $vgpr45_vgpr46
	v_div_fixup_f64 v[3:4], v[41:42], v[3:4], 1.0
	v_mul_f64 v[41:42], v[1:2], v[3:4]
	v_xor_b32_e32 v4, 0x80000000, v4
	v_xor_b32_e32 v2, 0x80000000, v42
	v_mov_b32_e32 v1, v41
.LBB17_15:
	s_andn2_saveexec_b32 s5, s5
	s_cbranch_execz .LBB17_17
; %bb.16:
	v_div_scale_f64 v[1:2], null, v[43:44], v[43:44], v[45:46]
	v_div_scale_f64 v[49:50], vcc_lo, v[45:46], v[43:44], v[45:46]
	v_rcp_f64_e32 v[3:4], v[1:2]
	v_fma_f64 v[41:42], -v[1:2], v[3:4], 1.0
	v_fma_f64 v[3:4], v[3:4], v[41:42], v[3:4]
	v_fma_f64 v[41:42], -v[1:2], v[3:4], 1.0
	v_fma_f64 v[3:4], v[3:4], v[41:42], v[3:4]
	v_mul_f64 v[41:42], v[49:50], v[3:4]
	v_fma_f64 v[1:2], -v[1:2], v[41:42], v[49:50]
	v_div_fmas_f64 v[1:2], v[1:2], v[3:4], v[41:42]
	v_div_fixup_f64 v[1:2], v[1:2], v[43:44], v[45:46]
	v_fma_f64 v[3:4], v[45:46], v[1:2], v[43:44]
	v_div_scale_f64 v[41:42], null, v[3:4], v[3:4], 1.0
	v_rcp_f64_e32 v[43:44], v[41:42]
	v_fma_f64 v[45:46], -v[41:42], v[43:44], 1.0
	v_fma_f64 v[43:44], v[43:44], v[45:46], v[43:44]
	v_fma_f64 v[45:46], -v[41:42], v[43:44], 1.0
	v_fma_f64 v[43:44], v[43:44], v[45:46], v[43:44]
	v_div_scale_f64 v[45:46], vcc_lo, 1.0, v[3:4], 1.0
	v_mul_f64 v[49:50], v[45:46], v[43:44]
	v_fma_f64 v[41:42], -v[41:42], v[49:50], v[45:46]
	v_div_fmas_f64 v[41:42], v[41:42], v[43:44], v[49:50]
	v_div_fixup_f64 v[41:42], v[41:42], v[3:4], 1.0
	v_mul_f64 v[3:4], v[1:2], -v[41:42]
	v_xor_b32_e32 v2, 0x80000000, v42
	v_mov_b32_e32 v1, v41
.LBB17_17:
	s_or_b32 exec_lo, exec_lo, s5
	v_mov_b32_e32 v46, s28
	buffer_store_dword v42, v48, s[0:3], 0 offen offset:4
	buffer_store_dword v41, v48, s[0:3], 0 offen
	buffer_store_dword v4, v48, s[0:3], 0 offen offset:12
	buffer_store_dword v3, v48, s[0:3], 0 offen offset:8
	v_xor_b32_e32 v4, 0x80000000, v4
	v_add_nc_u32_e32 v41, 0x120, v47
	s_clause 0x3
	buffer_load_dword v45, v46, s[0:3], 0 offen offset:12
	buffer_load_dword v44, v46, s[0:3], 0 offen offset:8
	;; [unrolled: 1-line block ×3, first 2 shown]
	buffer_load_dword v42, v46, s[0:3], 0 offen
	ds_write_b128 v47, v[1:4]
	s_waitcnt vmcnt(0)
	ds_write_b128 v47, v[42:45] offset:288
	s_waitcnt lgkmcnt(0)
	s_waitcnt_vscnt null, 0x0
	s_barrier
	buffer_gl0_inv
	s_and_saveexec_b32 s5, s4
	s_cbranch_execz .LBB17_19
; %bb.18:
	s_clause 0x3
	buffer_load_dword v49, v48, s[0:3], 0 offen offset:8
	buffer_load_dword v50, v48, s[0:3], 0 offen offset:12
	buffer_load_dword v51, v48, s[0:3], 0 offen
	buffer_load_dword v52, v48, s[0:3], 0 offen offset:4
	ds_read_b128 v[1:4], v41
	v_mov_b32_e32 v42, 0
	ds_read_b128 v[42:45], v42 offset:16
	s_waitcnt vmcnt(2) lgkmcnt(1)
	v_mul_f64 v[53:54], v[1:2], v[49:50]
	v_mul_f64 v[49:50], v[3:4], v[49:50]
	s_waitcnt vmcnt(0)
	v_fma_f64 v[3:4], v[3:4], v[51:52], v[53:54]
	v_fma_f64 v[1:2], v[1:2], v[51:52], -v[49:50]
	v_add_f64 v[3:4], v[3:4], 0
	v_add_f64 v[1:2], v[1:2], 0
	s_waitcnt lgkmcnt(0)
	v_mul_f64 v[49:50], v[3:4], v[44:45]
	v_mul_f64 v[44:45], v[1:2], v[44:45]
	v_fma_f64 v[1:2], v[1:2], v[42:43], -v[49:50]
	v_fma_f64 v[3:4], v[3:4], v[42:43], v[44:45]
	buffer_store_dword v1, off, s[0:3], 0 offset:32
	buffer_store_dword v2, off, s[0:3], 0 offset:36
	;; [unrolled: 1-line block ×4, first 2 shown]
.LBB17_19:
	s_or_b32 exec_lo, exec_lo, s5
	v_mov_b32_e32 v4, s27
	s_waitcnt_vscnt null, 0x0
	s_barrier
	buffer_gl0_inv
	s_mov_b32 s5, exec_lo
	s_clause 0x3
	buffer_load_dword v1, v4, s[0:3], 0 offen
	buffer_load_dword v2, v4, s[0:3], 0 offen offset:4
	buffer_load_dword v3, v4, s[0:3], 0 offen offset:8
	;; [unrolled: 1-line block ×3, first 2 shown]
	s_waitcnt vmcnt(0)
	ds_write_b128 v41, v[1:4]
	s_waitcnt lgkmcnt(0)
	s_barrier
	buffer_gl0_inv
	v_cmpx_gt_u32_e32 2, v0
	s_cbranch_execz .LBB17_23
; %bb.20:
	s_clause 0x3
	buffer_load_dword v42, v48, s[0:3], 0 offen offset:8
	buffer_load_dword v43, v48, s[0:3], 0 offen offset:12
	buffer_load_dword v44, v48, s[0:3], 0 offen
	buffer_load_dword v45, v48, s[0:3], 0 offen offset:4
	ds_read_b128 v[1:4], v41
	s_waitcnt vmcnt(2) lgkmcnt(0)
	v_mul_f64 v[48:49], v[3:4], v[42:43]
	v_mul_f64 v[42:43], v[1:2], v[42:43]
	s_waitcnt vmcnt(0)
	v_fma_f64 v[1:2], v[1:2], v[44:45], -v[48:49]
	v_fma_f64 v[3:4], v[3:4], v[44:45], v[42:43]
	v_add_f64 v[1:2], v[1:2], 0
	v_add_f64 v[3:4], v[3:4], 0
	s_and_saveexec_b32 s30, s4
	s_cbranch_execz .LBB17_22
; %bb.21:
	s_clause 0x3
	buffer_load_dword v48, off, s[0:3], 0 offset:40
	buffer_load_dword v49, off, s[0:3], 0 offset:44
	;; [unrolled: 1-line block ×4, first 2 shown]
	v_mov_b32_e32 v42, 0
	ds_read_b128 v[42:45], v42 offset:304
	s_waitcnt vmcnt(2) lgkmcnt(0)
	v_mul_f64 v[52:53], v[42:43], v[48:49]
	v_mul_f64 v[48:49], v[44:45], v[48:49]
	s_waitcnt vmcnt(0)
	v_fma_f64 v[44:45], v[44:45], v[50:51], v[52:53]
	v_fma_f64 v[42:43], v[42:43], v[50:51], -v[48:49]
	v_add_f64 v[3:4], v[3:4], v[44:45]
	v_add_f64 v[1:2], v[1:2], v[42:43]
.LBB17_22:
	s_or_b32 exec_lo, exec_lo, s30
	v_mov_b32_e32 v42, 0
	ds_read_b128 v[42:45], v42 offset:32
	s_waitcnt lgkmcnt(0)
	v_mul_f64 v[48:49], v[3:4], v[44:45]
	v_mul_f64 v[44:45], v[1:2], v[44:45]
	v_fma_f64 v[1:2], v[1:2], v[42:43], -v[48:49]
	v_fma_f64 v[3:4], v[3:4], v[42:43], v[44:45]
	buffer_store_dword v2, off, s[0:3], 0 offset:52
	buffer_store_dword v1, off, s[0:3], 0 offset:48
	;; [unrolled: 1-line block ×4, first 2 shown]
.LBB17_23:
	s_or_b32 exec_lo, exec_lo, s5
	v_mov_b32_e32 v4, s26
	s_waitcnt_vscnt null, 0x0
	s_barrier
	buffer_gl0_inv
	v_add_nc_u32_e32 v42, -1, v0
	s_clause 0x3
	buffer_load_dword v1, v4, s[0:3], 0 offen
	buffer_load_dword v2, v4, s[0:3], 0 offen offset:4
	buffer_load_dword v3, v4, s[0:3], 0 offen offset:8
	;; [unrolled: 1-line block ×3, first 2 shown]
	s_mov_b32 s4, exec_lo
	s_waitcnt vmcnt(0)
	ds_write_b128 v41, v[1:4]
	s_waitcnt lgkmcnt(0)
	s_barrier
	buffer_gl0_inv
	v_cmpx_gt_u32_e32 3, v0
	s_cbranch_execz .LBB17_27
; %bb.24:
	v_mov_b32_e32 v1, 0
	v_mov_b32_e32 v3, 0
	v_add_nc_u32_e32 v43, -1, v0
	v_add_nc_u32_e32 v44, 0x120, v47
	v_mov_b32_e32 v2, 0
	v_mov_b32_e32 v4, 0
	v_add_nc_u32_e32 v45, 16, v47
	s_mov_b32 s5, 0
	.p2align	6
.LBB17_25:                              ; =>This Inner Loop Header: Depth=1
	s_clause 0x3
	buffer_load_dword v52, v45, s[0:3], 0 offen offset:8
	buffer_load_dword v53, v45, s[0:3], 0 offen offset:12
	buffer_load_dword v54, v45, s[0:3], 0 offen
	buffer_load_dword v55, v45, s[0:3], 0 offen offset:4
	ds_read_b128 v[48:51], v44
	v_add_nc_u32_e32 v43, 1, v43
	v_add_nc_u32_e32 v44, 16, v44
	;; [unrolled: 1-line block ×3, first 2 shown]
	v_cmp_lt_u32_e32 vcc_lo, 1, v43
	s_or_b32 s5, vcc_lo, s5
	s_waitcnt vmcnt(2) lgkmcnt(0)
	v_mul_f64 v[56:57], v[50:51], v[52:53]
	v_mul_f64 v[52:53], v[48:49], v[52:53]
	s_waitcnt vmcnt(0)
	v_fma_f64 v[48:49], v[48:49], v[54:55], -v[56:57]
	v_fma_f64 v[50:51], v[50:51], v[54:55], v[52:53]
	v_add_f64 v[3:4], v[3:4], v[48:49]
	v_add_f64 v[1:2], v[1:2], v[50:51]
	s_andn2_b32 exec_lo, exec_lo, s5
	s_cbranch_execnz .LBB17_25
; %bb.26:
	s_or_b32 exec_lo, exec_lo, s5
	v_mov_b32_e32 v43, 0
	ds_read_b128 v[43:46], v43 offset:48
	s_waitcnt lgkmcnt(0)
	v_mul_f64 v[48:49], v[1:2], v[45:46]
	v_mul_f64 v[45:46], v[3:4], v[45:46]
	v_fma_f64 v[3:4], v[3:4], v[43:44], -v[48:49]
	v_fma_f64 v[1:2], v[1:2], v[43:44], v[45:46]
	buffer_store_dword v4, off, s[0:3], 0 offset:68
	buffer_store_dword v3, off, s[0:3], 0 offset:64
	;; [unrolled: 1-line block ×4, first 2 shown]
.LBB17_27:
	s_or_b32 exec_lo, exec_lo, s4
	v_mov_b32_e32 v4, s25
	s_waitcnt_vscnt null, 0x0
	s_barrier
	buffer_gl0_inv
	s_mov_b32 s4, exec_lo
	s_clause 0x3
	buffer_load_dword v1, v4, s[0:3], 0 offen
	buffer_load_dword v2, v4, s[0:3], 0 offen offset:4
	buffer_load_dword v3, v4, s[0:3], 0 offen offset:8
	;; [unrolled: 1-line block ×3, first 2 shown]
	s_waitcnt vmcnt(0)
	ds_write_b128 v41, v[1:4]
	s_waitcnt lgkmcnt(0)
	s_barrier
	buffer_gl0_inv
	v_cmpx_gt_u32_e32 4, v0
	s_cbranch_execz .LBB17_31
; %bb.28:
	v_mov_b32_e32 v1, 0
	v_mov_b32_e32 v3, 0
	v_add_nc_u32_e32 v43, -1, v0
	v_add_nc_u32_e32 v44, 0x120, v47
	v_mov_b32_e32 v2, 0
	v_mov_b32_e32 v4, 0
	v_add_nc_u32_e32 v45, 16, v47
	s_mov_b32 s5, 0
	.p2align	6
.LBB17_29:                              ; =>This Inner Loop Header: Depth=1
	s_clause 0x3
	buffer_load_dword v52, v45, s[0:3], 0 offen offset:8
	buffer_load_dword v53, v45, s[0:3], 0 offen offset:12
	buffer_load_dword v54, v45, s[0:3], 0 offen
	buffer_load_dword v55, v45, s[0:3], 0 offen offset:4
	ds_read_b128 v[48:51], v44
	v_add_nc_u32_e32 v43, 1, v43
	v_add_nc_u32_e32 v44, 16, v44
	;; [unrolled: 1-line block ×3, first 2 shown]
	v_cmp_lt_u32_e32 vcc_lo, 2, v43
	s_or_b32 s5, vcc_lo, s5
	s_waitcnt vmcnt(2) lgkmcnt(0)
	v_mul_f64 v[56:57], v[50:51], v[52:53]
	v_mul_f64 v[52:53], v[48:49], v[52:53]
	s_waitcnt vmcnt(0)
	v_fma_f64 v[48:49], v[48:49], v[54:55], -v[56:57]
	v_fma_f64 v[50:51], v[50:51], v[54:55], v[52:53]
	v_add_f64 v[3:4], v[3:4], v[48:49]
	v_add_f64 v[1:2], v[1:2], v[50:51]
	s_andn2_b32 exec_lo, exec_lo, s5
	s_cbranch_execnz .LBB17_29
; %bb.30:
	s_or_b32 exec_lo, exec_lo, s5
	v_mov_b32_e32 v43, 0
	ds_read_b128 v[43:46], v43 offset:64
	s_waitcnt lgkmcnt(0)
	v_mul_f64 v[48:49], v[1:2], v[45:46]
	v_mul_f64 v[45:46], v[3:4], v[45:46]
	v_fma_f64 v[3:4], v[3:4], v[43:44], -v[48:49]
	v_fma_f64 v[1:2], v[1:2], v[43:44], v[45:46]
	buffer_store_dword v4, off, s[0:3], 0 offset:84
	buffer_store_dword v3, off, s[0:3], 0 offset:80
	;; [unrolled: 1-line block ×4, first 2 shown]
.LBB17_31:
	s_or_b32 exec_lo, exec_lo, s4
	v_mov_b32_e32 v4, s24
	s_waitcnt_vscnt null, 0x0
	s_barrier
	buffer_gl0_inv
	s_mov_b32 s4, exec_lo
	s_clause 0x3
	buffer_load_dword v1, v4, s[0:3], 0 offen
	buffer_load_dword v2, v4, s[0:3], 0 offen offset:4
	buffer_load_dword v3, v4, s[0:3], 0 offen offset:8
	;; [unrolled: 1-line block ×3, first 2 shown]
	s_waitcnt vmcnt(0)
	ds_write_b128 v41, v[1:4]
	s_waitcnt lgkmcnt(0)
	s_barrier
	buffer_gl0_inv
	v_cmpx_gt_u32_e32 5, v0
	s_cbranch_execz .LBB17_35
; %bb.32:
	v_mov_b32_e32 v1, 0
	v_mov_b32_e32 v3, 0
	v_add_nc_u32_e32 v43, -1, v0
	v_add_nc_u32_e32 v44, 0x120, v47
	v_mov_b32_e32 v2, 0
	v_mov_b32_e32 v4, 0
	v_add_nc_u32_e32 v45, 16, v47
	s_mov_b32 s5, 0
	.p2align	6
.LBB17_33:                              ; =>This Inner Loop Header: Depth=1
	s_clause 0x3
	buffer_load_dword v52, v45, s[0:3], 0 offen offset:8
	buffer_load_dword v53, v45, s[0:3], 0 offen offset:12
	buffer_load_dword v54, v45, s[0:3], 0 offen
	buffer_load_dword v55, v45, s[0:3], 0 offen offset:4
	ds_read_b128 v[48:51], v44
	v_add_nc_u32_e32 v43, 1, v43
	v_add_nc_u32_e32 v44, 16, v44
	;; [unrolled: 1-line block ×3, first 2 shown]
	v_cmp_lt_u32_e32 vcc_lo, 3, v43
	s_or_b32 s5, vcc_lo, s5
	s_waitcnt vmcnt(2) lgkmcnt(0)
	v_mul_f64 v[56:57], v[50:51], v[52:53]
	v_mul_f64 v[52:53], v[48:49], v[52:53]
	s_waitcnt vmcnt(0)
	v_fma_f64 v[48:49], v[48:49], v[54:55], -v[56:57]
	v_fma_f64 v[50:51], v[50:51], v[54:55], v[52:53]
	v_add_f64 v[3:4], v[3:4], v[48:49]
	v_add_f64 v[1:2], v[1:2], v[50:51]
	s_andn2_b32 exec_lo, exec_lo, s5
	s_cbranch_execnz .LBB17_33
; %bb.34:
	s_or_b32 exec_lo, exec_lo, s5
	v_mov_b32_e32 v43, 0
	ds_read_b128 v[43:46], v43 offset:80
	s_waitcnt lgkmcnt(0)
	v_mul_f64 v[48:49], v[1:2], v[45:46]
	v_mul_f64 v[45:46], v[3:4], v[45:46]
	v_fma_f64 v[3:4], v[3:4], v[43:44], -v[48:49]
	v_fma_f64 v[1:2], v[1:2], v[43:44], v[45:46]
	buffer_store_dword v4, off, s[0:3], 0 offset:100
	buffer_store_dword v3, off, s[0:3], 0 offset:96
	;; [unrolled: 1-line block ×4, first 2 shown]
.LBB17_35:
	s_or_b32 exec_lo, exec_lo, s4
	v_mov_b32_e32 v4, s23
	s_waitcnt_vscnt null, 0x0
	s_barrier
	buffer_gl0_inv
	s_mov_b32 s4, exec_lo
	s_clause 0x3
	buffer_load_dword v1, v4, s[0:3], 0 offen
	buffer_load_dword v2, v4, s[0:3], 0 offen offset:4
	buffer_load_dword v3, v4, s[0:3], 0 offen offset:8
	;; [unrolled: 1-line block ×3, first 2 shown]
	s_waitcnt vmcnt(0)
	ds_write_b128 v41, v[1:4]
	s_waitcnt lgkmcnt(0)
	s_barrier
	buffer_gl0_inv
	v_cmpx_gt_u32_e32 6, v0
	s_cbranch_execz .LBB17_39
; %bb.36:
	v_mov_b32_e32 v1, 0
	v_mov_b32_e32 v3, 0
	v_add_nc_u32_e32 v43, -1, v0
	v_add_nc_u32_e32 v44, 0x120, v47
	v_mov_b32_e32 v2, 0
	v_mov_b32_e32 v4, 0
	v_add_nc_u32_e32 v45, 16, v47
	s_mov_b32 s5, 0
	.p2align	6
.LBB17_37:                              ; =>This Inner Loop Header: Depth=1
	s_clause 0x3
	buffer_load_dword v52, v45, s[0:3], 0 offen offset:8
	buffer_load_dword v53, v45, s[0:3], 0 offen offset:12
	buffer_load_dword v54, v45, s[0:3], 0 offen
	buffer_load_dword v55, v45, s[0:3], 0 offen offset:4
	ds_read_b128 v[48:51], v44
	v_add_nc_u32_e32 v43, 1, v43
	v_add_nc_u32_e32 v44, 16, v44
	;; [unrolled: 1-line block ×3, first 2 shown]
	v_cmp_lt_u32_e32 vcc_lo, 4, v43
	s_or_b32 s5, vcc_lo, s5
	s_waitcnt vmcnt(2) lgkmcnt(0)
	v_mul_f64 v[56:57], v[50:51], v[52:53]
	v_mul_f64 v[52:53], v[48:49], v[52:53]
	s_waitcnt vmcnt(0)
	v_fma_f64 v[48:49], v[48:49], v[54:55], -v[56:57]
	v_fma_f64 v[50:51], v[50:51], v[54:55], v[52:53]
	v_add_f64 v[3:4], v[3:4], v[48:49]
	v_add_f64 v[1:2], v[1:2], v[50:51]
	s_andn2_b32 exec_lo, exec_lo, s5
	s_cbranch_execnz .LBB17_37
; %bb.38:
	s_or_b32 exec_lo, exec_lo, s5
	v_mov_b32_e32 v43, 0
	ds_read_b128 v[43:46], v43 offset:96
	s_waitcnt lgkmcnt(0)
	v_mul_f64 v[48:49], v[1:2], v[45:46]
	v_mul_f64 v[45:46], v[3:4], v[45:46]
	v_fma_f64 v[3:4], v[3:4], v[43:44], -v[48:49]
	v_fma_f64 v[1:2], v[1:2], v[43:44], v[45:46]
	buffer_store_dword v4, off, s[0:3], 0 offset:116
	buffer_store_dword v3, off, s[0:3], 0 offset:112
	;; [unrolled: 1-line block ×4, first 2 shown]
.LBB17_39:
	s_or_b32 exec_lo, exec_lo, s4
	v_mov_b32_e32 v4, s22
	s_waitcnt_vscnt null, 0x0
	s_barrier
	buffer_gl0_inv
	s_mov_b32 s4, exec_lo
	s_clause 0x3
	buffer_load_dword v1, v4, s[0:3], 0 offen
	buffer_load_dword v2, v4, s[0:3], 0 offen offset:4
	buffer_load_dword v3, v4, s[0:3], 0 offen offset:8
	;; [unrolled: 1-line block ×3, first 2 shown]
	s_waitcnt vmcnt(0)
	ds_write_b128 v41, v[1:4]
	s_waitcnt lgkmcnt(0)
	s_barrier
	buffer_gl0_inv
	v_cmpx_gt_u32_e32 7, v0
	s_cbranch_execz .LBB17_43
; %bb.40:
	v_mov_b32_e32 v1, 0
	v_mov_b32_e32 v3, 0
	v_add_nc_u32_e32 v43, -1, v0
	v_add_nc_u32_e32 v44, 0x120, v47
	v_mov_b32_e32 v2, 0
	v_mov_b32_e32 v4, 0
	v_add_nc_u32_e32 v45, 16, v47
	s_mov_b32 s5, 0
	.p2align	6
.LBB17_41:                              ; =>This Inner Loop Header: Depth=1
	s_clause 0x3
	buffer_load_dword v52, v45, s[0:3], 0 offen offset:8
	buffer_load_dword v53, v45, s[0:3], 0 offen offset:12
	buffer_load_dword v54, v45, s[0:3], 0 offen
	buffer_load_dword v55, v45, s[0:3], 0 offen offset:4
	ds_read_b128 v[48:51], v44
	v_add_nc_u32_e32 v43, 1, v43
	v_add_nc_u32_e32 v44, 16, v44
	;; [unrolled: 1-line block ×3, first 2 shown]
	v_cmp_lt_u32_e32 vcc_lo, 5, v43
	s_or_b32 s5, vcc_lo, s5
	s_waitcnt vmcnt(2) lgkmcnt(0)
	v_mul_f64 v[56:57], v[50:51], v[52:53]
	v_mul_f64 v[52:53], v[48:49], v[52:53]
	s_waitcnt vmcnt(0)
	v_fma_f64 v[48:49], v[48:49], v[54:55], -v[56:57]
	v_fma_f64 v[50:51], v[50:51], v[54:55], v[52:53]
	v_add_f64 v[3:4], v[3:4], v[48:49]
	v_add_f64 v[1:2], v[1:2], v[50:51]
	s_andn2_b32 exec_lo, exec_lo, s5
	s_cbranch_execnz .LBB17_41
; %bb.42:
	s_or_b32 exec_lo, exec_lo, s5
	v_mov_b32_e32 v43, 0
	ds_read_b128 v[43:46], v43 offset:112
	s_waitcnt lgkmcnt(0)
	v_mul_f64 v[48:49], v[1:2], v[45:46]
	v_mul_f64 v[45:46], v[3:4], v[45:46]
	v_fma_f64 v[3:4], v[3:4], v[43:44], -v[48:49]
	v_fma_f64 v[1:2], v[1:2], v[43:44], v[45:46]
	buffer_store_dword v4, off, s[0:3], 0 offset:132
	buffer_store_dword v3, off, s[0:3], 0 offset:128
	;; [unrolled: 1-line block ×4, first 2 shown]
.LBB17_43:
	s_or_b32 exec_lo, exec_lo, s4
	v_mov_b32_e32 v4, s19
	s_waitcnt_vscnt null, 0x0
	s_barrier
	buffer_gl0_inv
	s_mov_b32 s4, exec_lo
	s_clause 0x3
	buffer_load_dword v1, v4, s[0:3], 0 offen
	buffer_load_dword v2, v4, s[0:3], 0 offen offset:4
	buffer_load_dword v3, v4, s[0:3], 0 offen offset:8
	buffer_load_dword v4, v4, s[0:3], 0 offen offset:12
	s_waitcnt vmcnt(0)
	ds_write_b128 v41, v[1:4]
	s_waitcnt lgkmcnt(0)
	s_barrier
	buffer_gl0_inv
	v_cmpx_gt_u32_e32 8, v0
	s_cbranch_execz .LBB17_47
; %bb.44:
	v_mov_b32_e32 v1, 0
	v_mov_b32_e32 v3, 0
	v_add_nc_u32_e32 v43, -1, v0
	v_add_nc_u32_e32 v44, 0x120, v47
	v_mov_b32_e32 v2, 0
	v_mov_b32_e32 v4, 0
	v_add_nc_u32_e32 v45, 16, v47
	s_mov_b32 s5, 0
	.p2align	6
.LBB17_45:                              ; =>This Inner Loop Header: Depth=1
	s_clause 0x3
	buffer_load_dword v52, v45, s[0:3], 0 offen offset:8
	buffer_load_dword v53, v45, s[0:3], 0 offen offset:12
	buffer_load_dword v54, v45, s[0:3], 0 offen
	buffer_load_dword v55, v45, s[0:3], 0 offen offset:4
	ds_read_b128 v[48:51], v44
	v_add_nc_u32_e32 v43, 1, v43
	v_add_nc_u32_e32 v44, 16, v44
	;; [unrolled: 1-line block ×3, first 2 shown]
	v_cmp_lt_u32_e32 vcc_lo, 6, v43
	s_or_b32 s5, vcc_lo, s5
	s_waitcnt vmcnt(2) lgkmcnt(0)
	v_mul_f64 v[56:57], v[50:51], v[52:53]
	v_mul_f64 v[52:53], v[48:49], v[52:53]
	s_waitcnt vmcnt(0)
	v_fma_f64 v[48:49], v[48:49], v[54:55], -v[56:57]
	v_fma_f64 v[50:51], v[50:51], v[54:55], v[52:53]
	v_add_f64 v[3:4], v[3:4], v[48:49]
	v_add_f64 v[1:2], v[1:2], v[50:51]
	s_andn2_b32 exec_lo, exec_lo, s5
	s_cbranch_execnz .LBB17_45
; %bb.46:
	s_or_b32 exec_lo, exec_lo, s5
	v_mov_b32_e32 v43, 0
	ds_read_b128 v[43:46], v43 offset:128
	s_waitcnt lgkmcnt(0)
	v_mul_f64 v[48:49], v[1:2], v[45:46]
	v_mul_f64 v[45:46], v[3:4], v[45:46]
	v_fma_f64 v[3:4], v[3:4], v[43:44], -v[48:49]
	v_fma_f64 v[1:2], v[1:2], v[43:44], v[45:46]
	buffer_store_dword v4, off, s[0:3], 0 offset:148
	buffer_store_dword v3, off, s[0:3], 0 offset:144
	;; [unrolled: 1-line block ×4, first 2 shown]
.LBB17_47:
	s_or_b32 exec_lo, exec_lo, s4
	v_mov_b32_e32 v4, s18
	s_waitcnt_vscnt null, 0x0
	s_barrier
	buffer_gl0_inv
	s_mov_b32 s4, exec_lo
	s_clause 0x3
	buffer_load_dword v1, v4, s[0:3], 0 offen
	buffer_load_dword v2, v4, s[0:3], 0 offen offset:4
	buffer_load_dword v3, v4, s[0:3], 0 offen offset:8
	buffer_load_dword v4, v4, s[0:3], 0 offen offset:12
	s_waitcnt vmcnt(0)
	ds_write_b128 v41, v[1:4]
	s_waitcnt lgkmcnt(0)
	s_barrier
	buffer_gl0_inv
	v_cmpx_gt_u32_e32 9, v0
	s_cbranch_execz .LBB17_51
; %bb.48:
	v_mov_b32_e32 v1, 0
	v_mov_b32_e32 v3, 0
	v_add_nc_u32_e32 v43, -1, v0
	v_add_nc_u32_e32 v44, 0x120, v47
	v_mov_b32_e32 v2, 0
	v_mov_b32_e32 v4, 0
	v_add_nc_u32_e32 v45, 16, v47
	s_mov_b32 s5, 0
	.p2align	6
.LBB17_49:                              ; =>This Inner Loop Header: Depth=1
	s_clause 0x3
	buffer_load_dword v52, v45, s[0:3], 0 offen offset:8
	buffer_load_dword v53, v45, s[0:3], 0 offen offset:12
	buffer_load_dword v54, v45, s[0:3], 0 offen
	buffer_load_dword v55, v45, s[0:3], 0 offen offset:4
	ds_read_b128 v[48:51], v44
	v_add_nc_u32_e32 v43, 1, v43
	v_add_nc_u32_e32 v44, 16, v44
	;; [unrolled: 1-line block ×3, first 2 shown]
	v_cmp_lt_u32_e32 vcc_lo, 7, v43
	s_or_b32 s5, vcc_lo, s5
	s_waitcnt vmcnt(2) lgkmcnt(0)
	v_mul_f64 v[56:57], v[50:51], v[52:53]
	v_mul_f64 v[52:53], v[48:49], v[52:53]
	s_waitcnt vmcnt(0)
	v_fma_f64 v[48:49], v[48:49], v[54:55], -v[56:57]
	v_fma_f64 v[50:51], v[50:51], v[54:55], v[52:53]
	v_add_f64 v[3:4], v[3:4], v[48:49]
	v_add_f64 v[1:2], v[1:2], v[50:51]
	s_andn2_b32 exec_lo, exec_lo, s5
	s_cbranch_execnz .LBB17_49
; %bb.50:
	s_or_b32 exec_lo, exec_lo, s5
	v_mov_b32_e32 v43, 0
	ds_read_b128 v[43:46], v43 offset:144
	s_waitcnt lgkmcnt(0)
	v_mul_f64 v[48:49], v[1:2], v[45:46]
	v_mul_f64 v[45:46], v[3:4], v[45:46]
	v_fma_f64 v[3:4], v[3:4], v[43:44], -v[48:49]
	v_fma_f64 v[1:2], v[1:2], v[43:44], v[45:46]
	buffer_store_dword v4, off, s[0:3], 0 offset:164
	buffer_store_dword v3, off, s[0:3], 0 offset:160
	;; [unrolled: 1-line block ×4, first 2 shown]
.LBB17_51:
	s_or_b32 exec_lo, exec_lo, s4
	v_mov_b32_e32 v4, s17
	s_waitcnt_vscnt null, 0x0
	s_barrier
	buffer_gl0_inv
	s_mov_b32 s4, exec_lo
	s_clause 0x3
	buffer_load_dword v1, v4, s[0:3], 0 offen
	buffer_load_dword v2, v4, s[0:3], 0 offen offset:4
	buffer_load_dword v3, v4, s[0:3], 0 offen offset:8
	;; [unrolled: 1-line block ×3, first 2 shown]
	s_waitcnt vmcnt(0)
	ds_write_b128 v41, v[1:4]
	s_waitcnt lgkmcnt(0)
	s_barrier
	buffer_gl0_inv
	v_cmpx_gt_u32_e32 10, v0
	s_cbranch_execz .LBB17_55
; %bb.52:
	v_mov_b32_e32 v1, 0
	v_mov_b32_e32 v3, 0
	v_add_nc_u32_e32 v43, -1, v0
	v_add_nc_u32_e32 v44, 0x120, v47
	v_mov_b32_e32 v2, 0
	v_mov_b32_e32 v4, 0
	v_add_nc_u32_e32 v45, 16, v47
	s_mov_b32 s5, 0
	.p2align	6
.LBB17_53:                              ; =>This Inner Loop Header: Depth=1
	s_clause 0x3
	buffer_load_dword v52, v45, s[0:3], 0 offen offset:8
	buffer_load_dword v53, v45, s[0:3], 0 offen offset:12
	buffer_load_dword v54, v45, s[0:3], 0 offen
	buffer_load_dword v55, v45, s[0:3], 0 offen offset:4
	ds_read_b128 v[48:51], v44
	v_add_nc_u32_e32 v43, 1, v43
	v_add_nc_u32_e32 v44, 16, v44
	;; [unrolled: 1-line block ×3, first 2 shown]
	v_cmp_lt_u32_e32 vcc_lo, 8, v43
	s_or_b32 s5, vcc_lo, s5
	s_waitcnt vmcnt(2) lgkmcnt(0)
	v_mul_f64 v[56:57], v[50:51], v[52:53]
	v_mul_f64 v[52:53], v[48:49], v[52:53]
	s_waitcnt vmcnt(0)
	v_fma_f64 v[48:49], v[48:49], v[54:55], -v[56:57]
	v_fma_f64 v[50:51], v[50:51], v[54:55], v[52:53]
	v_add_f64 v[3:4], v[3:4], v[48:49]
	v_add_f64 v[1:2], v[1:2], v[50:51]
	s_andn2_b32 exec_lo, exec_lo, s5
	s_cbranch_execnz .LBB17_53
; %bb.54:
	s_or_b32 exec_lo, exec_lo, s5
	v_mov_b32_e32 v43, 0
	ds_read_b128 v[43:46], v43 offset:160
	s_waitcnt lgkmcnt(0)
	v_mul_f64 v[48:49], v[1:2], v[45:46]
	v_mul_f64 v[45:46], v[3:4], v[45:46]
	v_fma_f64 v[3:4], v[3:4], v[43:44], -v[48:49]
	v_fma_f64 v[1:2], v[1:2], v[43:44], v[45:46]
	buffer_store_dword v4, off, s[0:3], 0 offset:180
	buffer_store_dword v3, off, s[0:3], 0 offset:176
	;; [unrolled: 1-line block ×4, first 2 shown]
.LBB17_55:
	s_or_b32 exec_lo, exec_lo, s4
	v_mov_b32_e32 v4, s16
	s_waitcnt_vscnt null, 0x0
	s_barrier
	buffer_gl0_inv
	s_mov_b32 s4, exec_lo
	s_clause 0x3
	buffer_load_dword v1, v4, s[0:3], 0 offen
	buffer_load_dword v2, v4, s[0:3], 0 offen offset:4
	buffer_load_dword v3, v4, s[0:3], 0 offen offset:8
	;; [unrolled: 1-line block ×3, first 2 shown]
	s_waitcnt vmcnt(0)
	ds_write_b128 v41, v[1:4]
	s_waitcnt lgkmcnt(0)
	s_barrier
	buffer_gl0_inv
	v_cmpx_gt_u32_e32 11, v0
	s_cbranch_execz .LBB17_59
; %bb.56:
	v_mov_b32_e32 v1, 0
	v_mov_b32_e32 v3, 0
	v_add_nc_u32_e32 v43, -1, v0
	v_add_nc_u32_e32 v44, 0x120, v47
	v_mov_b32_e32 v2, 0
	v_mov_b32_e32 v4, 0
	v_add_nc_u32_e32 v45, 16, v47
	s_mov_b32 s5, 0
	.p2align	6
.LBB17_57:                              ; =>This Inner Loop Header: Depth=1
	s_clause 0x3
	buffer_load_dword v52, v45, s[0:3], 0 offen offset:8
	buffer_load_dword v53, v45, s[0:3], 0 offen offset:12
	buffer_load_dword v54, v45, s[0:3], 0 offen
	buffer_load_dword v55, v45, s[0:3], 0 offen offset:4
	ds_read_b128 v[48:51], v44
	v_add_nc_u32_e32 v43, 1, v43
	v_add_nc_u32_e32 v44, 16, v44
	;; [unrolled: 1-line block ×3, first 2 shown]
	v_cmp_lt_u32_e32 vcc_lo, 9, v43
	s_or_b32 s5, vcc_lo, s5
	s_waitcnt vmcnt(2) lgkmcnt(0)
	v_mul_f64 v[56:57], v[50:51], v[52:53]
	v_mul_f64 v[52:53], v[48:49], v[52:53]
	s_waitcnt vmcnt(0)
	v_fma_f64 v[48:49], v[48:49], v[54:55], -v[56:57]
	v_fma_f64 v[50:51], v[50:51], v[54:55], v[52:53]
	v_add_f64 v[3:4], v[3:4], v[48:49]
	v_add_f64 v[1:2], v[1:2], v[50:51]
	s_andn2_b32 exec_lo, exec_lo, s5
	s_cbranch_execnz .LBB17_57
; %bb.58:
	s_or_b32 exec_lo, exec_lo, s5
	v_mov_b32_e32 v43, 0
	ds_read_b128 v[43:46], v43 offset:176
	s_waitcnt lgkmcnt(0)
	v_mul_f64 v[48:49], v[1:2], v[45:46]
	v_mul_f64 v[45:46], v[3:4], v[45:46]
	v_fma_f64 v[3:4], v[3:4], v[43:44], -v[48:49]
	v_fma_f64 v[1:2], v[1:2], v[43:44], v[45:46]
	buffer_store_dword v4, off, s[0:3], 0 offset:196
	buffer_store_dword v3, off, s[0:3], 0 offset:192
	;; [unrolled: 1-line block ×4, first 2 shown]
.LBB17_59:
	s_or_b32 exec_lo, exec_lo, s4
	v_mov_b32_e32 v4, s15
	s_waitcnt_vscnt null, 0x0
	s_barrier
	buffer_gl0_inv
	s_mov_b32 s4, exec_lo
	s_clause 0x3
	buffer_load_dword v1, v4, s[0:3], 0 offen
	buffer_load_dword v2, v4, s[0:3], 0 offen offset:4
	buffer_load_dword v3, v4, s[0:3], 0 offen offset:8
	;; [unrolled: 1-line block ×3, first 2 shown]
	s_waitcnt vmcnt(0)
	ds_write_b128 v41, v[1:4]
	s_waitcnt lgkmcnt(0)
	s_barrier
	buffer_gl0_inv
	v_cmpx_gt_u32_e32 12, v0
	s_cbranch_execz .LBB17_63
; %bb.60:
	v_mov_b32_e32 v1, 0
	v_mov_b32_e32 v3, 0
	v_add_nc_u32_e32 v43, -1, v0
	v_add_nc_u32_e32 v44, 0x120, v47
	v_mov_b32_e32 v2, 0
	v_mov_b32_e32 v4, 0
	v_add_nc_u32_e32 v45, 16, v47
	s_mov_b32 s5, 0
	.p2align	6
.LBB17_61:                              ; =>This Inner Loop Header: Depth=1
	s_clause 0x3
	buffer_load_dword v52, v45, s[0:3], 0 offen offset:8
	buffer_load_dword v53, v45, s[0:3], 0 offen offset:12
	buffer_load_dword v54, v45, s[0:3], 0 offen
	buffer_load_dword v55, v45, s[0:3], 0 offen offset:4
	ds_read_b128 v[48:51], v44
	v_add_nc_u32_e32 v43, 1, v43
	v_add_nc_u32_e32 v44, 16, v44
	;; [unrolled: 1-line block ×3, first 2 shown]
	v_cmp_lt_u32_e32 vcc_lo, 10, v43
	s_or_b32 s5, vcc_lo, s5
	s_waitcnt vmcnt(2) lgkmcnt(0)
	v_mul_f64 v[56:57], v[50:51], v[52:53]
	v_mul_f64 v[52:53], v[48:49], v[52:53]
	s_waitcnt vmcnt(0)
	v_fma_f64 v[48:49], v[48:49], v[54:55], -v[56:57]
	v_fma_f64 v[50:51], v[50:51], v[54:55], v[52:53]
	v_add_f64 v[3:4], v[3:4], v[48:49]
	v_add_f64 v[1:2], v[1:2], v[50:51]
	s_andn2_b32 exec_lo, exec_lo, s5
	s_cbranch_execnz .LBB17_61
; %bb.62:
	s_or_b32 exec_lo, exec_lo, s5
	v_mov_b32_e32 v43, 0
	ds_read_b128 v[43:46], v43 offset:192
	s_waitcnt lgkmcnt(0)
	v_mul_f64 v[48:49], v[1:2], v[45:46]
	v_mul_f64 v[45:46], v[3:4], v[45:46]
	v_fma_f64 v[3:4], v[3:4], v[43:44], -v[48:49]
	v_fma_f64 v[1:2], v[1:2], v[43:44], v[45:46]
	buffer_store_dword v4, off, s[0:3], 0 offset:212
	buffer_store_dword v3, off, s[0:3], 0 offset:208
	;; [unrolled: 1-line block ×4, first 2 shown]
.LBB17_63:
	s_or_b32 exec_lo, exec_lo, s4
	v_mov_b32_e32 v4, s14
	s_waitcnt_vscnt null, 0x0
	s_barrier
	buffer_gl0_inv
	s_mov_b32 s4, exec_lo
	s_clause 0x3
	buffer_load_dword v1, v4, s[0:3], 0 offen
	buffer_load_dword v2, v4, s[0:3], 0 offen offset:4
	buffer_load_dword v3, v4, s[0:3], 0 offen offset:8
	buffer_load_dword v4, v4, s[0:3], 0 offen offset:12
	s_waitcnt vmcnt(0)
	ds_write_b128 v41, v[1:4]
	s_waitcnt lgkmcnt(0)
	s_barrier
	buffer_gl0_inv
	v_cmpx_gt_u32_e32 13, v0
	s_cbranch_execz .LBB17_67
; %bb.64:
	v_mov_b32_e32 v1, 0
	v_mov_b32_e32 v3, 0
	v_add_nc_u32_e32 v43, -1, v0
	v_add_nc_u32_e32 v44, 0x120, v47
	v_mov_b32_e32 v2, 0
	v_mov_b32_e32 v4, 0
	v_add_nc_u32_e32 v45, 16, v47
	s_mov_b32 s5, 0
	.p2align	6
.LBB17_65:                              ; =>This Inner Loop Header: Depth=1
	s_clause 0x3
	buffer_load_dword v52, v45, s[0:3], 0 offen offset:8
	buffer_load_dword v53, v45, s[0:3], 0 offen offset:12
	buffer_load_dword v54, v45, s[0:3], 0 offen
	buffer_load_dword v55, v45, s[0:3], 0 offen offset:4
	ds_read_b128 v[48:51], v44
	v_add_nc_u32_e32 v43, 1, v43
	v_add_nc_u32_e32 v44, 16, v44
	;; [unrolled: 1-line block ×3, first 2 shown]
	v_cmp_lt_u32_e32 vcc_lo, 11, v43
	s_or_b32 s5, vcc_lo, s5
	s_waitcnt vmcnt(2) lgkmcnt(0)
	v_mul_f64 v[56:57], v[50:51], v[52:53]
	v_mul_f64 v[52:53], v[48:49], v[52:53]
	s_waitcnt vmcnt(0)
	v_fma_f64 v[48:49], v[48:49], v[54:55], -v[56:57]
	v_fma_f64 v[50:51], v[50:51], v[54:55], v[52:53]
	v_add_f64 v[3:4], v[3:4], v[48:49]
	v_add_f64 v[1:2], v[1:2], v[50:51]
	s_andn2_b32 exec_lo, exec_lo, s5
	s_cbranch_execnz .LBB17_65
; %bb.66:
	s_or_b32 exec_lo, exec_lo, s5
	v_mov_b32_e32 v43, 0
	ds_read_b128 v[43:46], v43 offset:208
	s_waitcnt lgkmcnt(0)
	v_mul_f64 v[48:49], v[1:2], v[45:46]
	v_mul_f64 v[45:46], v[3:4], v[45:46]
	v_fma_f64 v[3:4], v[3:4], v[43:44], -v[48:49]
	v_fma_f64 v[1:2], v[1:2], v[43:44], v[45:46]
	buffer_store_dword v4, off, s[0:3], 0 offset:228
	buffer_store_dword v3, off, s[0:3], 0 offset:224
	;; [unrolled: 1-line block ×4, first 2 shown]
.LBB17_67:
	s_or_b32 exec_lo, exec_lo, s4
	v_mov_b32_e32 v4, s13
	s_waitcnt_vscnt null, 0x0
	s_barrier
	buffer_gl0_inv
	s_mov_b32 s4, exec_lo
	s_clause 0x3
	buffer_load_dword v1, v4, s[0:3], 0 offen
	buffer_load_dword v2, v4, s[0:3], 0 offen offset:4
	buffer_load_dword v3, v4, s[0:3], 0 offen offset:8
	;; [unrolled: 1-line block ×3, first 2 shown]
	s_waitcnt vmcnt(0)
	ds_write_b128 v41, v[1:4]
	s_waitcnt lgkmcnt(0)
	s_barrier
	buffer_gl0_inv
	v_cmpx_gt_u32_e32 14, v0
	s_cbranch_execz .LBB17_71
; %bb.68:
	v_mov_b32_e32 v1, 0
	v_mov_b32_e32 v3, 0
	v_add_nc_u32_e32 v43, -1, v0
	v_add_nc_u32_e32 v44, 0x120, v47
	v_mov_b32_e32 v2, 0
	v_mov_b32_e32 v4, 0
	v_add_nc_u32_e32 v45, 16, v47
	s_mov_b32 s5, 0
	.p2align	6
.LBB17_69:                              ; =>This Inner Loop Header: Depth=1
	s_clause 0x3
	buffer_load_dword v52, v45, s[0:3], 0 offen offset:8
	buffer_load_dword v53, v45, s[0:3], 0 offen offset:12
	buffer_load_dword v54, v45, s[0:3], 0 offen
	buffer_load_dword v55, v45, s[0:3], 0 offen offset:4
	ds_read_b128 v[48:51], v44
	v_add_nc_u32_e32 v43, 1, v43
	v_add_nc_u32_e32 v44, 16, v44
	v_add_nc_u32_e32 v45, 16, v45
	v_cmp_lt_u32_e32 vcc_lo, 12, v43
	s_or_b32 s5, vcc_lo, s5
	s_waitcnt vmcnt(2) lgkmcnt(0)
	v_mul_f64 v[56:57], v[50:51], v[52:53]
	v_mul_f64 v[52:53], v[48:49], v[52:53]
	s_waitcnt vmcnt(0)
	v_fma_f64 v[48:49], v[48:49], v[54:55], -v[56:57]
	v_fma_f64 v[50:51], v[50:51], v[54:55], v[52:53]
	v_add_f64 v[3:4], v[3:4], v[48:49]
	v_add_f64 v[1:2], v[1:2], v[50:51]
	s_andn2_b32 exec_lo, exec_lo, s5
	s_cbranch_execnz .LBB17_69
; %bb.70:
	s_or_b32 exec_lo, exec_lo, s5
	v_mov_b32_e32 v43, 0
	ds_read_b128 v[43:46], v43 offset:224
	s_waitcnt lgkmcnt(0)
	v_mul_f64 v[48:49], v[1:2], v[45:46]
	v_mul_f64 v[45:46], v[3:4], v[45:46]
	v_fma_f64 v[3:4], v[3:4], v[43:44], -v[48:49]
	v_fma_f64 v[1:2], v[1:2], v[43:44], v[45:46]
	buffer_store_dword v4, off, s[0:3], 0 offset:244
	buffer_store_dword v3, off, s[0:3], 0 offset:240
	;; [unrolled: 1-line block ×4, first 2 shown]
.LBB17_71:
	s_or_b32 exec_lo, exec_lo, s4
	v_mov_b32_e32 v4, s12
	s_waitcnt_vscnt null, 0x0
	s_barrier
	buffer_gl0_inv
	s_mov_b32 s4, exec_lo
	s_clause 0x3
	buffer_load_dword v1, v4, s[0:3], 0 offen
	buffer_load_dword v2, v4, s[0:3], 0 offen offset:4
	buffer_load_dword v3, v4, s[0:3], 0 offen offset:8
	;; [unrolled: 1-line block ×3, first 2 shown]
	s_waitcnt vmcnt(0)
	ds_write_b128 v41, v[1:4]
	s_waitcnt lgkmcnt(0)
	s_barrier
	buffer_gl0_inv
	v_cmpx_gt_u32_e32 15, v0
	s_cbranch_execz .LBB17_75
; %bb.72:
	v_mov_b32_e32 v1, 0
	v_mov_b32_e32 v3, 0
	v_add_nc_u32_e32 v43, -1, v0
	v_add_nc_u32_e32 v44, 0x120, v47
	v_mov_b32_e32 v2, 0
	v_mov_b32_e32 v4, 0
	v_add_nc_u32_e32 v45, 16, v47
	s_mov_b32 s5, 0
	.p2align	6
.LBB17_73:                              ; =>This Inner Loop Header: Depth=1
	s_clause 0x3
	buffer_load_dword v52, v45, s[0:3], 0 offen offset:8
	buffer_load_dword v53, v45, s[0:3], 0 offen offset:12
	buffer_load_dword v54, v45, s[0:3], 0 offen
	buffer_load_dword v55, v45, s[0:3], 0 offen offset:4
	ds_read_b128 v[48:51], v44
	v_add_nc_u32_e32 v43, 1, v43
	v_add_nc_u32_e32 v44, 16, v44
	;; [unrolled: 1-line block ×3, first 2 shown]
	v_cmp_lt_u32_e32 vcc_lo, 13, v43
	s_or_b32 s5, vcc_lo, s5
	s_waitcnt vmcnt(2) lgkmcnt(0)
	v_mul_f64 v[56:57], v[50:51], v[52:53]
	v_mul_f64 v[52:53], v[48:49], v[52:53]
	s_waitcnt vmcnt(0)
	v_fma_f64 v[48:49], v[48:49], v[54:55], -v[56:57]
	v_fma_f64 v[50:51], v[50:51], v[54:55], v[52:53]
	v_add_f64 v[3:4], v[3:4], v[48:49]
	v_add_f64 v[1:2], v[1:2], v[50:51]
	s_andn2_b32 exec_lo, exec_lo, s5
	s_cbranch_execnz .LBB17_73
; %bb.74:
	s_or_b32 exec_lo, exec_lo, s5
	v_mov_b32_e32 v43, 0
	ds_read_b128 v[43:46], v43 offset:240
	s_waitcnt lgkmcnt(0)
	v_mul_f64 v[48:49], v[1:2], v[45:46]
	v_mul_f64 v[45:46], v[3:4], v[45:46]
	v_fma_f64 v[3:4], v[3:4], v[43:44], -v[48:49]
	v_fma_f64 v[1:2], v[1:2], v[43:44], v[45:46]
	buffer_store_dword v4, off, s[0:3], 0 offset:260
	buffer_store_dword v3, off, s[0:3], 0 offset:256
	;; [unrolled: 1-line block ×4, first 2 shown]
.LBB17_75:
	s_or_b32 exec_lo, exec_lo, s4
	v_mov_b32_e32 v4, s9
	s_waitcnt_vscnt null, 0x0
	s_barrier
	buffer_gl0_inv
	s_mov_b32 s4, exec_lo
	s_clause 0x3
	buffer_load_dword v1, v4, s[0:3], 0 offen
	buffer_load_dword v2, v4, s[0:3], 0 offen offset:4
	buffer_load_dword v3, v4, s[0:3], 0 offen offset:8
	;; [unrolled: 1-line block ×3, first 2 shown]
	s_waitcnt vmcnt(0)
	ds_write_b128 v41, v[1:4]
	s_waitcnt lgkmcnt(0)
	s_barrier
	buffer_gl0_inv
	v_cmpx_gt_u32_e32 16, v0
	s_cbranch_execz .LBB17_79
; %bb.76:
	v_mov_b32_e32 v1, 0
	v_mov_b32_e32 v3, 0
	v_add_nc_u32_e32 v43, -1, v0
	v_add_nc_u32_e32 v44, 0x120, v47
	v_mov_b32_e32 v2, 0
	v_mov_b32_e32 v4, 0
	v_add_nc_u32_e32 v45, 16, v47
	s_mov_b32 s5, 0
	.p2align	6
.LBB17_77:                              ; =>This Inner Loop Header: Depth=1
	s_clause 0x3
	buffer_load_dword v52, v45, s[0:3], 0 offen offset:8
	buffer_load_dword v53, v45, s[0:3], 0 offen offset:12
	buffer_load_dword v54, v45, s[0:3], 0 offen
	buffer_load_dword v55, v45, s[0:3], 0 offen offset:4
	ds_read_b128 v[48:51], v44
	v_add_nc_u32_e32 v43, 1, v43
	v_add_nc_u32_e32 v44, 16, v44
	;; [unrolled: 1-line block ×3, first 2 shown]
	v_cmp_lt_u32_e32 vcc_lo, 14, v43
	s_or_b32 s5, vcc_lo, s5
	s_waitcnt vmcnt(2) lgkmcnt(0)
	v_mul_f64 v[56:57], v[50:51], v[52:53]
	v_mul_f64 v[52:53], v[48:49], v[52:53]
	s_waitcnt vmcnt(0)
	v_fma_f64 v[48:49], v[48:49], v[54:55], -v[56:57]
	v_fma_f64 v[50:51], v[50:51], v[54:55], v[52:53]
	v_add_f64 v[3:4], v[3:4], v[48:49]
	v_add_f64 v[1:2], v[1:2], v[50:51]
	s_andn2_b32 exec_lo, exec_lo, s5
	s_cbranch_execnz .LBB17_77
; %bb.78:
	s_or_b32 exec_lo, exec_lo, s5
	v_mov_b32_e32 v43, 0
	ds_read_b128 v[43:46], v43 offset:256
	s_waitcnt lgkmcnt(0)
	v_mul_f64 v[48:49], v[1:2], v[45:46]
	v_mul_f64 v[45:46], v[3:4], v[45:46]
	v_fma_f64 v[3:4], v[3:4], v[43:44], -v[48:49]
	v_fma_f64 v[1:2], v[1:2], v[43:44], v[45:46]
	buffer_store_dword v4, off, s[0:3], 0 offset:276
	buffer_store_dword v3, off, s[0:3], 0 offset:272
	;; [unrolled: 1-line block ×4, first 2 shown]
.LBB17_79:
	s_or_b32 exec_lo, exec_lo, s4
	v_mov_b32_e32 v4, s8
	s_waitcnt_vscnt null, 0x0
	s_barrier
	buffer_gl0_inv
	s_mov_b32 s4, exec_lo
	s_clause 0x3
	buffer_load_dword v1, v4, s[0:3], 0 offen
	buffer_load_dword v2, v4, s[0:3], 0 offen offset:4
	buffer_load_dword v3, v4, s[0:3], 0 offen offset:8
	;; [unrolled: 1-line block ×3, first 2 shown]
	s_waitcnt vmcnt(0)
	ds_write_b128 v41, v[1:4]
	s_waitcnt lgkmcnt(0)
	s_barrier
	buffer_gl0_inv
	v_cmpx_ne_u32_e32 17, v0
	s_cbranch_execz .LBB17_83
; %bb.80:
	v_mov_b32_e32 v1, 0
	v_mov_b32_e32 v3, 0
	;; [unrolled: 1-line block ×4, first 2 shown]
	v_add_nc_u32_e32 v43, 16, v47
	s_mov_b32 s5, 0
	.p2align	6
.LBB17_81:                              ; =>This Inner Loop Header: Depth=1
	s_clause 0x3
	buffer_load_dword v48, v43, s[0:3], 0 offen offset:8
	buffer_load_dword v49, v43, s[0:3], 0 offen offset:12
	buffer_load_dword v50, v43, s[0:3], 0 offen
	buffer_load_dword v51, v43, s[0:3], 0 offen offset:4
	ds_read_b128 v[44:47], v41
	v_add_nc_u32_e32 v42, 1, v42
	v_add_nc_u32_e32 v41, 16, v41
	v_add_nc_u32_e32 v43, 16, v43
	v_cmp_lt_u32_e32 vcc_lo, 15, v42
	s_or_b32 s5, vcc_lo, s5
	s_waitcnt vmcnt(2) lgkmcnt(0)
	v_mul_f64 v[52:53], v[46:47], v[48:49]
	v_mul_f64 v[48:49], v[44:45], v[48:49]
	s_waitcnt vmcnt(0)
	v_fma_f64 v[44:45], v[44:45], v[50:51], -v[52:53]
	v_fma_f64 v[46:47], v[46:47], v[50:51], v[48:49]
	v_add_f64 v[3:4], v[3:4], v[44:45]
	v_add_f64 v[1:2], v[1:2], v[46:47]
	s_andn2_b32 exec_lo, exec_lo, s5
	s_cbranch_execnz .LBB17_81
; %bb.82:
	s_or_b32 exec_lo, exec_lo, s5
	v_mov_b32_e32 v41, 0
	ds_read_b128 v[41:44], v41 offset:272
	s_waitcnt lgkmcnt(0)
	v_mul_f64 v[45:46], v[1:2], v[43:44]
	v_mul_f64 v[43:44], v[3:4], v[43:44]
	v_fma_f64 v[3:4], v[3:4], v[41:42], -v[45:46]
	v_fma_f64 v[1:2], v[1:2], v[41:42], v[43:44]
	buffer_store_dword v4, off, s[0:3], 0 offset:292
	buffer_store_dword v3, off, s[0:3], 0 offset:288
	;; [unrolled: 1-line block ×4, first 2 shown]
.LBB17_83:
	s_or_b32 exec_lo, exec_lo, s4
	s_mov_b32 s5, -1
	s_waitcnt_vscnt null, 0x0
	s_barrier
	buffer_gl0_inv
.LBB17_84:
	s_and_b32 vcc_lo, exec_lo, s5
	s_cbranch_vccz .LBB17_86
; %bb.85:
	s_lshl_b64 s[4:5], s[6:7], 2
	v_mov_b32_e32 v1, 0
	s_add_u32 s4, s10, s4
	s_addc_u32 s5, s11, s5
	global_load_dword v1, v1, s[4:5]
	s_waitcnt vmcnt(0)
	v_cmp_ne_u32_e32 vcc_lo, 0, v1
	s_cbranch_vccz .LBB17_87
.LBB17_86:
	s_endpgm
.LBB17_87:
	v_lshl_add_u32 v1, v0, 4, 0x120
	s_mov_b32 s4, exec_lo
	v_cmpx_eq_u32_e32 17, v0
	s_cbranch_execz .LBB17_89
; %bb.88:
	v_mov_b32_e32 v2, s9
	s_clause 0x3
	buffer_load_dword v41, v2, s[0:3], 0 offen
	buffer_load_dword v42, v2, s[0:3], 0 offen offset:4
	buffer_load_dword v43, v2, s[0:3], 0 offen offset:8
	;; [unrolled: 1-line block ×3, first 2 shown]
	v_mov_b32_e32 v2, 0
	buffer_store_dword v2, off, s[0:3], 0 offset:272
	buffer_store_dword v2, off, s[0:3], 0 offset:276
	;; [unrolled: 1-line block ×4, first 2 shown]
	s_waitcnt vmcnt(0)
	ds_write_b128 v1, v[41:44]
.LBB17_89:
	s_or_b32 exec_lo, exec_lo, s4
	s_waitcnt lgkmcnt(0)
	s_waitcnt_vscnt null, 0x0
	s_barrier
	buffer_gl0_inv
	s_clause 0x7
	buffer_load_dword v3, off, s[0:3], 0 offset:296
	buffer_load_dword v4, off, s[0:3], 0 offset:300
	;; [unrolled: 1-line block ×8, first 2 shown]
	v_mov_b32_e32 v2, 0
	s_mov_b32 s4, exec_lo
	ds_read_b128 v[41:44], v2 offset:560
	s_waitcnt vmcnt(6) lgkmcnt(0)
	v_mul_f64 v[51:52], v[43:44], v[3:4]
	v_mul_f64 v[3:4], v[41:42], v[3:4]
	s_waitcnt vmcnt(4)
	v_fma_f64 v[41:42], v[41:42], v[45:46], -v[51:52]
	v_fma_f64 v[3:4], v[43:44], v[45:46], v[3:4]
	v_add_f64 v[41:42], v[41:42], 0
	v_add_f64 v[3:4], v[3:4], 0
	s_waitcnt vmcnt(2)
	v_add_f64 v[41:42], v[47:48], -v[41:42]
	s_waitcnt vmcnt(0)
	v_add_f64 v[3:4], v[49:50], -v[3:4]
	buffer_store_dword v41, off, s[0:3], 0 offset:272
	buffer_store_dword v42, off, s[0:3], 0 offset:276
	;; [unrolled: 1-line block ×4, first 2 shown]
	v_cmpx_lt_u32_e32 15, v0
	s_cbranch_execz .LBB17_91
; %bb.90:
	v_mov_b32_e32 v3, s12
	s_clause 0x3
	buffer_load_dword v41, v3, s[0:3], 0 offen
	buffer_load_dword v42, v3, s[0:3], 0 offen offset:4
	buffer_load_dword v43, v3, s[0:3], 0 offen offset:8
	;; [unrolled: 1-line block ×3, first 2 shown]
	buffer_store_dword v2, off, s[0:3], 0 offset:256
	buffer_store_dword v2, off, s[0:3], 0 offset:260
	buffer_store_dword v2, off, s[0:3], 0 offset:264
	buffer_store_dword v2, off, s[0:3], 0 offset:268
	s_waitcnt vmcnt(0)
	ds_write_b128 v1, v[41:44]
.LBB17_91:
	s_or_b32 exec_lo, exec_lo, s4
	s_waitcnt lgkmcnt(0)
	s_waitcnt_vscnt null, 0x0
	s_barrier
	buffer_gl0_inv
	s_clause 0xb
	buffer_load_dword v3, off, s[0:3], 0 offset:280
	buffer_load_dword v4, off, s[0:3], 0 offset:284
	;; [unrolled: 1-line block ×12, first 2 shown]
	ds_read_b128 v[41:44], v2 offset:544
	ds_read_b128 v[45:48], v2 offset:560
	s_mov_b32 s4, exec_lo
	s_waitcnt vmcnt(10) lgkmcnt(1)
	v_mul_f64 v[59:60], v[43:44], v[3:4]
	v_mul_f64 v[2:3], v[41:42], v[3:4]
	s_waitcnt vmcnt(8) lgkmcnt(0)
	v_mul_f64 v[61:62], v[47:48], v[49:50]
	v_mul_f64 v[49:50], v[45:46], v[49:50]
	s_waitcnt vmcnt(6)
	v_fma_f64 v[41:42], v[41:42], v[51:52], -v[59:60]
	v_fma_f64 v[2:3], v[43:44], v[51:52], v[2:3]
	s_waitcnt vmcnt(4)
	v_fma_f64 v[43:44], v[45:46], v[53:54], -v[61:62]
	v_fma_f64 v[45:46], v[47:48], v[53:54], v[49:50]
	v_add_f64 v[41:42], v[41:42], 0
	v_add_f64 v[2:3], v[2:3], 0
	;; [unrolled: 1-line block ×4, first 2 shown]
	s_waitcnt vmcnt(2)
	v_add_f64 v[41:42], v[55:56], -v[41:42]
	s_waitcnt vmcnt(0)
	v_add_f64 v[2:3], v[57:58], -v[2:3]
	buffer_store_dword v41, off, s[0:3], 0 offset:256
	buffer_store_dword v42, off, s[0:3], 0 offset:260
	;; [unrolled: 1-line block ×4, first 2 shown]
	v_cmpx_lt_u32_e32 14, v0
	s_cbranch_execz .LBB17_93
; %bb.92:
	v_mov_b32_e32 v2, s13
	s_clause 0x3
	buffer_load_dword v41, v2, s[0:3], 0 offen
	buffer_load_dword v42, v2, s[0:3], 0 offen offset:4
	buffer_load_dword v43, v2, s[0:3], 0 offen offset:8
	;; [unrolled: 1-line block ×3, first 2 shown]
	v_mov_b32_e32 v2, 0
	buffer_store_dword v2, off, s[0:3], 0 offset:240
	buffer_store_dword v2, off, s[0:3], 0 offset:244
	;; [unrolled: 1-line block ×4, first 2 shown]
	s_waitcnt vmcnt(0)
	ds_write_b128 v1, v[41:44]
.LBB17_93:
	s_or_b32 exec_lo, exec_lo, s4
	s_waitcnt lgkmcnt(0)
	s_waitcnt_vscnt null, 0x0
	s_barrier
	buffer_gl0_inv
	s_clause 0xf
	buffer_load_dword v3, off, s[0:3], 0 offset:264
	buffer_load_dword v4, off, s[0:3], 0 offset:268
	;; [unrolled: 1-line block ×16, first 2 shown]
	v_mov_b32_e32 v2, 0
	ds_read_b128 v[41:44], v2 offset:528
	ds_read_b128 v[45:48], v2 offset:544
	ds_read_b128 v[49:52], v2 offset:560
	s_mov_b32 s4, exec_lo
	s_waitcnt vmcnt(14) lgkmcnt(2)
	v_mul_f64 v[67:68], v[43:44], v[3:4]
	v_mul_f64 v[3:4], v[41:42], v[3:4]
	s_waitcnt vmcnt(12) lgkmcnt(1)
	v_mul_f64 v[69:70], v[47:48], v[53:54]
	v_mul_f64 v[53:54], v[45:46], v[53:54]
	s_waitcnt vmcnt(10)
	v_fma_f64 v[41:42], v[41:42], v[55:56], -v[67:68]
	v_fma_f64 v[3:4], v[43:44], v[55:56], v[3:4]
	s_waitcnt vmcnt(8) lgkmcnt(0)
	v_mul_f64 v[55:56], v[51:52], v[57:58]
	s_waitcnt vmcnt(6)
	v_fma_f64 v[45:46], v[45:46], v[59:60], -v[69:70]
	v_mul_f64 v[43:44], v[49:50], v[57:58]
	v_fma_f64 v[47:48], v[47:48], v[59:60], v[53:54]
	v_add_f64 v[41:42], v[41:42], 0
	v_add_f64 v[3:4], v[3:4], 0
	s_waitcnt vmcnt(4)
	v_fma_f64 v[49:50], v[49:50], v[61:62], -v[55:56]
	v_fma_f64 v[43:44], v[51:52], v[61:62], v[43:44]
	v_add_f64 v[41:42], v[41:42], v[45:46]
	v_add_f64 v[3:4], v[3:4], v[47:48]
	;; [unrolled: 1-line block ×4, first 2 shown]
	s_waitcnt vmcnt(2)
	v_add_f64 v[41:42], v[63:64], -v[41:42]
	s_waitcnt vmcnt(0)
	v_add_f64 v[3:4], v[65:66], -v[3:4]
	buffer_store_dword v41, off, s[0:3], 0 offset:240
	buffer_store_dword v42, off, s[0:3], 0 offset:244
	;; [unrolled: 1-line block ×4, first 2 shown]
	v_cmpx_lt_u32_e32 13, v0
	s_cbranch_execz .LBB17_95
; %bb.94:
	v_mov_b32_e32 v3, s14
	s_clause 0x3
	buffer_load_dword v41, v3, s[0:3], 0 offen
	buffer_load_dword v42, v3, s[0:3], 0 offen offset:4
	buffer_load_dword v43, v3, s[0:3], 0 offen offset:8
	;; [unrolled: 1-line block ×3, first 2 shown]
	buffer_store_dword v2, off, s[0:3], 0 offset:224
	buffer_store_dword v2, off, s[0:3], 0 offset:228
	;; [unrolled: 1-line block ×4, first 2 shown]
	s_waitcnt vmcnt(0)
	ds_write_b128 v1, v[41:44]
.LBB17_95:
	s_or_b32 exec_lo, exec_lo, s4
	s_waitcnt lgkmcnt(0)
	s_waitcnt_vscnt null, 0x0
	s_barrier
	buffer_gl0_inv
	s_clause 0x13
	buffer_load_dword v3, off, s[0:3], 0 offset:248
	buffer_load_dword v4, off, s[0:3], 0 offset:252
	;; [unrolled: 1-line block ×20, first 2 shown]
	ds_read_b128 v[41:44], v2 offset:512
	ds_read_b128 v[45:48], v2 offset:528
	;; [unrolled: 1-line block ×3, first 2 shown]
	s_mov_b32 s4, exec_lo
	s_waitcnt vmcnt(18) lgkmcnt(2)
	v_mul_f64 v[71:72], v[43:44], v[3:4]
	v_mul_f64 v[3:4], v[41:42], v[3:4]
	s_waitcnt vmcnt(16) lgkmcnt(1)
	v_mul_f64 v[73:74], v[47:48], v[53:54]
	v_mul_f64 v[53:54], v[45:46], v[53:54]
	s_waitcnt vmcnt(14)
	v_fma_f64 v[71:72], v[41:42], v[55:56], -v[71:72]
	v_fma_f64 v[3:4], v[43:44], v[55:56], v[3:4]
	ds_read_b128 v[41:44], v2 offset:560
	s_waitcnt vmcnt(12) lgkmcnt(1)
	v_mul_f64 v[55:56], v[49:50], v[57:58]
	v_mul_f64 v[57:58], v[51:52], v[57:58]
	s_waitcnt vmcnt(10)
	v_fma_f64 v[45:46], v[45:46], v[59:60], -v[73:74]
	v_fma_f64 v[47:48], v[47:48], v[59:60], v[53:54]
	s_waitcnt vmcnt(8) lgkmcnt(0)
	v_mul_f64 v[59:60], v[43:44], v[61:62]
	v_add_f64 v[71:72], v[71:72], 0
	v_add_f64 v[2:3], v[3:4], 0
	v_mul_f64 v[53:54], v[41:42], v[61:62]
	s_waitcnt vmcnt(6)
	v_fma_f64 v[49:50], v[49:50], v[63:64], -v[57:58]
	v_fma_f64 v[51:52], v[51:52], v[63:64], v[55:56]
	s_waitcnt vmcnt(4)
	v_fma_f64 v[41:42], v[41:42], v[65:66], -v[59:60]
	v_add_f64 v[45:46], v[71:72], v[45:46]
	v_add_f64 v[2:3], v[2:3], v[47:48]
	v_fma_f64 v[43:44], v[43:44], v[65:66], v[53:54]
	v_add_f64 v[45:46], v[45:46], v[49:50]
	v_add_f64 v[2:3], v[2:3], v[51:52]
	;; [unrolled: 1-line block ×4, first 2 shown]
	s_waitcnt vmcnt(2)
	v_add_f64 v[41:42], v[67:68], -v[41:42]
	s_waitcnt vmcnt(0)
	v_add_f64 v[2:3], v[69:70], -v[2:3]
	buffer_store_dword v41, off, s[0:3], 0 offset:224
	buffer_store_dword v42, off, s[0:3], 0 offset:228
	;; [unrolled: 1-line block ×4, first 2 shown]
	v_cmpx_lt_u32_e32 12, v0
	s_cbranch_execz .LBB17_97
; %bb.96:
	v_mov_b32_e32 v2, s15
	s_clause 0x3
	buffer_load_dword v41, v2, s[0:3], 0 offen
	buffer_load_dword v42, v2, s[0:3], 0 offen offset:4
	buffer_load_dword v43, v2, s[0:3], 0 offen offset:8
	;; [unrolled: 1-line block ×3, first 2 shown]
	v_mov_b32_e32 v2, 0
	buffer_store_dword v2, off, s[0:3], 0 offset:208
	buffer_store_dword v2, off, s[0:3], 0 offset:212
	;; [unrolled: 1-line block ×4, first 2 shown]
	s_waitcnt vmcnt(0)
	ds_write_b128 v1, v[41:44]
.LBB17_97:
	s_or_b32 exec_lo, exec_lo, s4
	s_waitcnt lgkmcnt(0)
	s_waitcnt_vscnt null, 0x0
	s_barrier
	buffer_gl0_inv
	s_clause 0x17
	buffer_load_dword v3, off, s[0:3], 0 offset:232
	buffer_load_dword v4, off, s[0:3], 0 offset:236
	;; [unrolled: 1-line block ×24, first 2 shown]
	v_mov_b32_e32 v2, 0
	ds_read_b128 v[41:44], v2 offset:496
	ds_read_b128 v[45:48], v2 offset:512
	;; [unrolled: 1-line block ×3, first 2 shown]
	s_mov_b32 s4, exec_lo
	s_waitcnt vmcnt(22) lgkmcnt(2)
	v_mul_f64 v[75:76], v[43:44], v[3:4]
	v_mul_f64 v[3:4], v[41:42], v[3:4]
	s_waitcnt vmcnt(20) lgkmcnt(1)
	v_mul_f64 v[77:78], v[47:48], v[53:54]
	v_mul_f64 v[53:54], v[45:46], v[53:54]
	s_waitcnt vmcnt(18)
	v_fma_f64 v[75:76], v[41:42], v[55:56], -v[75:76]
	v_fma_f64 v[3:4], v[43:44], v[55:56], v[3:4]
	ds_read_b128 v[41:44], v2 offset:544
	s_waitcnt vmcnt(16) lgkmcnt(1)
	v_mul_f64 v[55:56], v[49:50], v[57:58]
	v_mul_f64 v[57:58], v[51:52], v[57:58]
	s_waitcnt vmcnt(14)
	v_fma_f64 v[77:78], v[45:46], v[59:60], -v[77:78]
	v_fma_f64 v[53:54], v[47:48], v[59:60], v[53:54]
	ds_read_b128 v[45:48], v2 offset:560
	s_waitcnt vmcnt(10) lgkmcnt(1)
	v_mul_f64 v[59:60], v[41:42], v[61:62]
	v_add_f64 v[75:76], v[75:76], 0
	v_add_f64 v[3:4], v[3:4], 0
	v_mul_f64 v[61:62], v[43:44], v[61:62]
	s_waitcnt vmcnt(8)
	v_fma_f64 v[49:50], v[49:50], v[67:68], -v[57:58]
	v_fma_f64 v[51:52], v[51:52], v[67:68], v[55:56]
	s_waitcnt vmcnt(7) lgkmcnt(0)
	v_mul_f64 v[55:56], v[47:48], v[63:64]
	s_waitcnt vmcnt(5)
	v_fma_f64 v[43:44], v[43:44], v[69:70], v[59:60]
	v_add_f64 v[57:58], v[75:76], v[77:78]
	v_add_f64 v[3:4], v[3:4], v[53:54]
	v_fma_f64 v[41:42], v[41:42], v[69:70], -v[61:62]
	v_mul_f64 v[53:54], v[45:46], v[63:64]
	s_waitcnt vmcnt(4)
	v_fma_f64 v[45:46], v[45:46], v[65:66], -v[55:56]
	v_add_f64 v[49:50], v[57:58], v[49:50]
	v_add_f64 v[3:4], v[3:4], v[51:52]
	v_fma_f64 v[47:48], v[47:48], v[65:66], v[53:54]
	v_add_f64 v[41:42], v[49:50], v[41:42]
	v_add_f64 v[3:4], v[3:4], v[43:44]
	;; [unrolled: 1-line block ×4, first 2 shown]
	s_waitcnt vmcnt(2)
	v_add_f64 v[41:42], v[71:72], -v[41:42]
	s_waitcnt vmcnt(0)
	v_add_f64 v[3:4], v[73:74], -v[3:4]
	buffer_store_dword v42, off, s[0:3], 0 offset:212
	buffer_store_dword v41, off, s[0:3], 0 offset:208
	;; [unrolled: 1-line block ×4, first 2 shown]
	v_cmpx_lt_u32_e32 11, v0
	s_cbranch_execz .LBB17_99
; %bb.98:
	v_mov_b32_e32 v3, s16
	s_clause 0x3
	buffer_load_dword v41, v3, s[0:3], 0 offen
	buffer_load_dword v42, v3, s[0:3], 0 offen offset:4
	buffer_load_dword v43, v3, s[0:3], 0 offen offset:8
	;; [unrolled: 1-line block ×3, first 2 shown]
	buffer_store_dword v2, off, s[0:3], 0 offset:192
	buffer_store_dword v2, off, s[0:3], 0 offset:196
	;; [unrolled: 1-line block ×4, first 2 shown]
	s_waitcnt vmcnt(0)
	ds_write_b128 v1, v[41:44]
.LBB17_99:
	s_or_b32 exec_lo, exec_lo, s4
	s_waitcnt lgkmcnt(0)
	s_waitcnt_vscnt null, 0x0
	s_barrier
	buffer_gl0_inv
	s_clause 0x1b
	buffer_load_dword v3, off, s[0:3], 0 offset:216
	buffer_load_dword v4, off, s[0:3], 0 offset:220
	buffer_load_dword v53, off, s[0:3], 0 offset:232
	buffer_load_dword v54, off, s[0:3], 0 offset:236
	buffer_load_dword v55, off, s[0:3], 0 offset:208
	buffer_load_dword v56, off, s[0:3], 0 offset:212
	buffer_load_dword v57, off, s[0:3], 0 offset:248
	buffer_load_dword v58, off, s[0:3], 0 offset:252
	buffer_load_dword v59, off, s[0:3], 0 offset:224
	buffer_load_dword v60, off, s[0:3], 0 offset:228
	buffer_load_dword v62, off, s[0:3], 0 offset:268
	buffer_load_dword v63, off, s[0:3], 0 offset:280
	buffer_load_dword v65, off, s[0:3], 0 offset:272
	buffer_load_dword v61, off, s[0:3], 0 offset:264
	buffer_load_dword v67, off, s[0:3], 0 offset:240
	buffer_load_dword v68, off, s[0:3], 0 offset:244
	buffer_load_dword v64, off, s[0:3], 0 offset:284
	buffer_load_dword v70, off, s[0:3], 0 offset:260
	buffer_load_dword v69, off, s[0:3], 0 offset:256
	buffer_load_dword v72, off, s[0:3], 0 offset:300
	buffer_load_dword v71, off, s[0:3], 0 offset:296
	buffer_load_dword v66, off, s[0:3], 0 offset:276
	buffer_load_dword v74, off, s[0:3], 0 offset:292
	buffer_load_dword v73, off, s[0:3], 0 offset:288
	buffer_load_dword v75, off, s[0:3], 0 offset:192
	buffer_load_dword v76, off, s[0:3], 0 offset:196
	buffer_load_dword v77, off, s[0:3], 0 offset:200
	buffer_load_dword v78, off, s[0:3], 0 offset:204
	ds_read_b128 v[41:44], v2 offset:480
	ds_read_b128 v[45:48], v2 offset:496
	;; [unrolled: 1-line block ×3, first 2 shown]
	s_mov_b32 s4, exec_lo
	s_waitcnt vmcnt(26) lgkmcnt(2)
	v_mul_f64 v[79:80], v[43:44], v[3:4]
	v_mul_f64 v[3:4], v[41:42], v[3:4]
	s_waitcnt vmcnt(24) lgkmcnt(1)
	v_mul_f64 v[81:82], v[47:48], v[53:54]
	v_mul_f64 v[53:54], v[45:46], v[53:54]
	s_waitcnt vmcnt(22)
	v_fma_f64 v[79:80], v[41:42], v[55:56], -v[79:80]
	v_fma_f64 v[3:4], v[43:44], v[55:56], v[3:4]
	ds_read_b128 v[41:44], v2 offset:528
	s_waitcnt vmcnt(20) lgkmcnt(1)
	v_mul_f64 v[55:56], v[49:50], v[57:58]
	v_mul_f64 v[57:58], v[51:52], v[57:58]
	s_waitcnt vmcnt(18)
	v_fma_f64 v[81:82], v[45:46], v[59:60], -v[81:82]
	v_fma_f64 v[53:54], v[47:48], v[59:60], v[53:54]
	ds_read_b128 v[45:48], v2 offset:544
	s_waitcnt vmcnt(14) lgkmcnt(1)
	v_mul_f64 v[59:60], v[41:42], v[61:62]
	v_add_f64 v[79:80], v[79:80], 0
	v_add_f64 v[3:4], v[3:4], 0
	v_mul_f64 v[61:62], v[43:44], v[61:62]
	s_waitcnt vmcnt(12)
	v_fma_f64 v[57:58], v[49:50], v[67:68], -v[57:58]
	v_fma_f64 v[55:56], v[51:52], v[67:68], v[55:56]
	ds_read_b128 v[49:52], v2 offset:560
	s_waitcnt vmcnt(9)
	v_fma_f64 v[43:44], v[43:44], v[69:70], v[59:60]
	v_add_f64 v[79:80], v[79:80], v[81:82]
	v_add_f64 v[3:4], v[3:4], v[53:54]
	s_waitcnt lgkmcnt(1)
	v_mul_f64 v[53:54], v[45:46], v[63:64]
	v_mul_f64 v[63:64], v[47:48], v[63:64]
	v_fma_f64 v[41:42], v[41:42], v[69:70], -v[61:62]
	s_waitcnt vmcnt(7) lgkmcnt(0)
	v_mul_f64 v[59:60], v[51:52], v[71:72]
	v_add_f64 v[57:58], v[79:80], v[57:58]
	v_add_f64 v[2:3], v[3:4], v[55:56]
	v_mul_f64 v[55:56], v[49:50], v[71:72]
	s_waitcnt vmcnt(6)
	v_fma_f64 v[45:46], v[45:46], v[65:66], -v[63:64]
	v_fma_f64 v[47:48], v[47:48], v[65:66], v[53:54]
	v_add_f64 v[41:42], v[57:58], v[41:42]
	v_add_f64 v[2:3], v[2:3], v[43:44]
	s_waitcnt vmcnt(4)
	v_fma_f64 v[43:44], v[49:50], v[73:74], -v[59:60]
	v_add_f64 v[41:42], v[41:42], v[45:46]
	v_fma_f64 v[45:46], v[51:52], v[73:74], v[55:56]
	v_add_f64 v[2:3], v[2:3], v[47:48]
	v_add_f64 v[41:42], v[41:42], v[43:44]
	;; [unrolled: 1-line block ×3, first 2 shown]
	s_waitcnt vmcnt(2)
	v_add_f64 v[41:42], v[75:76], -v[41:42]
	s_waitcnt vmcnt(0)
	v_add_f64 v[2:3], v[77:78], -v[2:3]
	buffer_store_dword v42, off, s[0:3], 0 offset:196
	buffer_store_dword v41, off, s[0:3], 0 offset:192
	;; [unrolled: 1-line block ×4, first 2 shown]
	v_cmpx_lt_u32_e32 10, v0
	s_cbranch_execz .LBB17_101
; %bb.100:
	v_mov_b32_e32 v2, s17
	s_clause 0x3
	buffer_load_dword v41, v2, s[0:3], 0 offen
	buffer_load_dword v42, v2, s[0:3], 0 offen offset:4
	buffer_load_dword v43, v2, s[0:3], 0 offen offset:8
	;; [unrolled: 1-line block ×3, first 2 shown]
	v_mov_b32_e32 v2, 0
	buffer_store_dword v2, off, s[0:3], 0 offset:176
	buffer_store_dword v2, off, s[0:3], 0 offset:180
	;; [unrolled: 1-line block ×4, first 2 shown]
	s_waitcnt vmcnt(0)
	ds_write_b128 v1, v[41:44]
.LBB17_101:
	s_or_b32 exec_lo, exec_lo, s4
	s_waitcnt lgkmcnt(0)
	s_waitcnt_vscnt null, 0x0
	s_barrier
	buffer_gl0_inv
	s_clause 0x1f
	buffer_load_dword v3, off, s[0:3], 0 offset:200
	buffer_load_dword v4, off, s[0:3], 0 offset:204
	;; [unrolled: 1-line block ×32, first 2 shown]
	v_mov_b32_e32 v2, 0
	ds_read_b128 v[41:44], v2 offset:464
	ds_read_b128 v[45:48], v2 offset:480
	;; [unrolled: 1-line block ×3, first 2 shown]
	s_mov_b32 s4, exec_lo
	s_waitcnt vmcnt(30) lgkmcnt(2)
	v_mul_f64 v[83:84], v[43:44], v[3:4]
	v_mul_f64 v[3:4], v[41:42], v[3:4]
	s_waitcnt vmcnt(28) lgkmcnt(1)
	v_mul_f64 v[85:86], v[47:48], v[53:54]
	v_mul_f64 v[53:54], v[45:46], v[53:54]
	s_waitcnt vmcnt(26)
	v_fma_f64 v[83:84], v[41:42], v[55:56], -v[83:84]
	v_fma_f64 v[3:4], v[43:44], v[55:56], v[3:4]
	ds_read_b128 v[41:44], v2 offset:512
	s_waitcnt vmcnt(24) lgkmcnt(1)
	v_mul_f64 v[55:56], v[49:50], v[57:58]
	v_mul_f64 v[57:58], v[51:52], v[57:58]
	s_waitcnt vmcnt(22)
	v_fma_f64 v[85:86], v[45:46], v[59:60], -v[85:86]
	v_fma_f64 v[53:54], v[47:48], v[59:60], v[53:54]
	ds_read_b128 v[45:48], v2 offset:528
	s_waitcnt vmcnt(18) lgkmcnt(1)
	v_mul_f64 v[59:60], v[41:42], v[61:62]
	v_add_f64 v[83:84], v[83:84], 0
	v_add_f64 v[3:4], v[3:4], 0
	v_mul_f64 v[61:62], v[43:44], v[61:62]
	s_waitcnt vmcnt(16)
	v_fma_f64 v[57:58], v[49:50], v[67:68], -v[57:58]
	v_fma_f64 v[55:56], v[51:52], v[67:68], v[55:56]
	ds_read_b128 v[49:52], v2 offset:544
	s_waitcnt vmcnt(13)
	v_fma_f64 v[59:60], v[43:44], v[69:70], v[59:60]
	v_add_f64 v[83:84], v[83:84], v[85:86]
	v_add_f64 v[3:4], v[3:4], v[53:54]
	s_waitcnt lgkmcnt(1)
	v_mul_f64 v[53:54], v[45:46], v[63:64]
	v_mul_f64 v[63:64], v[47:48], v[63:64]
	v_fma_f64 v[61:62], v[41:42], v[69:70], -v[61:62]
	s_waitcnt vmcnt(9) lgkmcnt(0)
	v_mul_f64 v[67:68], v[51:52], v[71:72]
	ds_read_b128 v[41:44], v2 offset:560
	v_add_f64 v[57:58], v[83:84], v[57:58]
	v_add_f64 v[3:4], v[3:4], v[55:56]
	v_mul_f64 v[55:56], v[49:50], v[71:72]
	s_waitcnt vmcnt(8)
	v_fma_f64 v[45:46], v[45:46], v[65:66], -v[63:64]
	v_fma_f64 v[47:48], v[47:48], v[65:66], v[53:54]
	s_waitcnt vmcnt(5)
	v_fma_f64 v[49:50], v[49:50], v[77:78], -v[67:68]
	s_waitcnt lgkmcnt(0)
	v_mul_f64 v[53:54], v[41:42], v[73:74]
	v_add_f64 v[57:58], v[57:58], v[61:62]
	v_add_f64 v[3:4], v[3:4], v[59:60]
	v_mul_f64 v[59:60], v[43:44], v[73:74]
	v_fma_f64 v[51:52], v[51:52], v[77:78], v[55:56]
	s_waitcnt vmcnt(4)
	v_fma_f64 v[43:44], v[43:44], v[75:76], v[53:54]
	v_add_f64 v[45:46], v[57:58], v[45:46]
	v_add_f64 v[3:4], v[3:4], v[47:48]
	v_fma_f64 v[41:42], v[41:42], v[75:76], -v[59:60]
	v_add_f64 v[45:46], v[45:46], v[49:50]
	v_add_f64 v[3:4], v[3:4], v[51:52]
	;; [unrolled: 1-line block ×4, first 2 shown]
	s_waitcnt vmcnt(2)
	v_add_f64 v[41:42], v[79:80], -v[41:42]
	s_waitcnt vmcnt(0)
	v_add_f64 v[3:4], v[81:82], -v[3:4]
	buffer_store_dword v42, off, s[0:3], 0 offset:180
	buffer_store_dword v41, off, s[0:3], 0 offset:176
	;; [unrolled: 1-line block ×4, first 2 shown]
	v_cmpx_lt_u32_e32 9, v0
	s_cbranch_execz .LBB17_103
; %bb.102:
	v_mov_b32_e32 v3, s18
	s_clause 0x3
	buffer_load_dword v41, v3, s[0:3], 0 offen
	buffer_load_dword v42, v3, s[0:3], 0 offen offset:4
	buffer_load_dword v43, v3, s[0:3], 0 offen offset:8
	;; [unrolled: 1-line block ×3, first 2 shown]
	buffer_store_dword v2, off, s[0:3], 0 offset:160
	buffer_store_dword v2, off, s[0:3], 0 offset:164
	;; [unrolled: 1-line block ×4, first 2 shown]
	s_waitcnt vmcnt(0)
	ds_write_b128 v1, v[41:44]
.LBB17_103:
	s_or_b32 exec_lo, exec_lo, s4
	s_waitcnt lgkmcnt(0)
	s_waitcnt_vscnt null, 0x0
	s_barrier
	buffer_gl0_inv
	s_clause 0x23
	buffer_load_dword v3, off, s[0:3], 0 offset:184
	buffer_load_dword v4, off, s[0:3], 0 offset:188
	;; [unrolled: 1-line block ×36, first 2 shown]
	ds_read_b128 v[41:44], v2 offset:448
	ds_read_b128 v[45:48], v2 offset:464
	;; [unrolled: 1-line block ×3, first 2 shown]
	s_mov_b32 s4, exec_lo
	s_waitcnt vmcnt(34) lgkmcnt(2)
	v_mul_f64 v[87:88], v[43:44], v[3:4]
	v_mul_f64 v[3:4], v[41:42], v[3:4]
	s_waitcnt vmcnt(32) lgkmcnt(1)
	v_mul_f64 v[89:90], v[47:48], v[53:54]
	v_mul_f64 v[53:54], v[45:46], v[53:54]
	s_waitcnt vmcnt(30)
	v_fma_f64 v[87:88], v[41:42], v[55:56], -v[87:88]
	v_fma_f64 v[3:4], v[43:44], v[55:56], v[3:4]
	ds_read_b128 v[41:44], v2 offset:496
	s_waitcnt vmcnt(28) lgkmcnt(1)
	v_mul_f64 v[55:56], v[49:50], v[57:58]
	v_mul_f64 v[57:58], v[51:52], v[57:58]
	s_waitcnt vmcnt(26)
	v_fma_f64 v[89:90], v[45:46], v[59:60], -v[89:90]
	v_fma_f64 v[53:54], v[47:48], v[59:60], v[53:54]
	ds_read_b128 v[45:48], v2 offset:512
	s_waitcnt vmcnt(22) lgkmcnt(1)
	v_mul_f64 v[59:60], v[41:42], v[61:62]
	v_add_f64 v[87:88], v[87:88], 0
	v_add_f64 v[3:4], v[3:4], 0
	v_mul_f64 v[61:62], v[43:44], v[61:62]
	s_waitcnt vmcnt(20)
	v_fma_f64 v[57:58], v[49:50], v[67:68], -v[57:58]
	v_fma_f64 v[55:56], v[51:52], v[67:68], v[55:56]
	ds_read_b128 v[49:52], v2 offset:528
	s_waitcnt vmcnt(17)
	v_fma_f64 v[59:60], v[43:44], v[69:70], v[59:60]
	v_add_f64 v[87:88], v[87:88], v[89:90]
	v_add_f64 v[3:4], v[3:4], v[53:54]
	s_waitcnt lgkmcnt(1)
	v_mul_f64 v[53:54], v[45:46], v[63:64]
	v_mul_f64 v[63:64], v[47:48], v[63:64]
	v_fma_f64 v[61:62], v[41:42], v[69:70], -v[61:62]
	s_waitcnt vmcnt(13) lgkmcnt(0)
	v_mul_f64 v[67:68], v[51:52], v[71:72]
	ds_read_b128 v[41:44], v2 offset:544
	v_add_f64 v[57:58], v[87:88], v[57:58]
	v_add_f64 v[3:4], v[3:4], v[55:56]
	v_mul_f64 v[55:56], v[49:50], v[71:72]
	s_waitcnt vmcnt(12)
	v_fma_f64 v[63:64], v[45:46], v[65:66], -v[63:64]
	v_fma_f64 v[53:54], v[47:48], v[65:66], v[53:54]
	ds_read_b128 v[45:48], v2 offset:560
	s_waitcnt vmcnt(9)
	v_fma_f64 v[49:50], v[49:50], v[77:78], -v[67:68]
	v_add_f64 v[57:58], v[57:58], v[61:62]
	v_add_f64 v[3:4], v[3:4], v[59:60]
	s_waitcnt lgkmcnt(1)
	v_mul_f64 v[61:62], v[43:44], v[73:74]
	v_mul_f64 v[59:60], v[41:42], v[73:74]
	v_fma_f64 v[51:52], v[51:52], v[77:78], v[55:56]
	s_waitcnt vmcnt(7) lgkmcnt(0)
	v_mul_f64 v[55:56], v[47:48], v[79:80]
	v_add_f64 v[57:58], v[57:58], v[63:64]
	v_add_f64 v[2:3], v[3:4], v[53:54]
	s_waitcnt vmcnt(6)
	v_fma_f64 v[41:42], v[41:42], v[75:76], -v[61:62]
	v_mul_f64 v[53:54], v[45:46], v[79:80]
	v_fma_f64 v[43:44], v[43:44], v[75:76], v[59:60]
	s_waitcnt vmcnt(4)
	v_fma_f64 v[45:46], v[45:46], v[81:82], -v[55:56]
	v_add_f64 v[49:50], v[57:58], v[49:50]
	v_add_f64 v[2:3], v[2:3], v[51:52]
	v_fma_f64 v[47:48], v[47:48], v[81:82], v[53:54]
	v_add_f64 v[41:42], v[49:50], v[41:42]
	v_add_f64 v[2:3], v[2:3], v[43:44]
	;; [unrolled: 1-line block ×4, first 2 shown]
	s_waitcnt vmcnt(2)
	v_add_f64 v[41:42], v[83:84], -v[41:42]
	s_waitcnt vmcnt(0)
	v_add_f64 v[2:3], v[85:86], -v[2:3]
	buffer_store_dword v42, off, s[0:3], 0 offset:164
	buffer_store_dword v41, off, s[0:3], 0 offset:160
	;; [unrolled: 1-line block ×4, first 2 shown]
	v_cmpx_lt_u32_e32 8, v0
	s_cbranch_execz .LBB17_105
; %bb.104:
	v_mov_b32_e32 v2, s19
	s_clause 0x3
	buffer_load_dword v41, v2, s[0:3], 0 offen
	buffer_load_dword v42, v2, s[0:3], 0 offen offset:4
	buffer_load_dword v43, v2, s[0:3], 0 offen offset:8
	;; [unrolled: 1-line block ×3, first 2 shown]
	v_mov_b32_e32 v2, 0
	buffer_store_dword v2, off, s[0:3], 0 offset:144
	buffer_store_dword v2, off, s[0:3], 0 offset:148
	;; [unrolled: 1-line block ×4, first 2 shown]
	s_waitcnt vmcnt(0)
	ds_write_b128 v1, v[41:44]
.LBB17_105:
	s_or_b32 exec_lo, exec_lo, s4
	s_waitcnt lgkmcnt(0)
	s_waitcnt_vscnt null, 0x0
	s_barrier
	buffer_gl0_inv
	s_clause 0x27
	buffer_load_dword v3, off, s[0:3], 0 offset:168
	buffer_load_dword v4, off, s[0:3], 0 offset:172
	;; [unrolled: 1-line block ×40, first 2 shown]
	v_mov_b32_e32 v2, 0
	ds_read_b128 v[41:44], v2 offset:432
	ds_read_b128 v[45:48], v2 offset:448
	;; [unrolled: 1-line block ×3, first 2 shown]
	s_mov_b32 s4, exec_lo
	s_waitcnt vmcnt(38) lgkmcnt(2)
	v_mul_f64 v[91:92], v[43:44], v[3:4]
	v_mul_f64 v[3:4], v[41:42], v[3:4]
	s_waitcnt vmcnt(36) lgkmcnt(1)
	v_mul_f64 v[93:94], v[47:48], v[53:54]
	v_mul_f64 v[53:54], v[45:46], v[53:54]
	s_waitcnt vmcnt(34)
	v_fma_f64 v[91:92], v[41:42], v[55:56], -v[91:92]
	v_fma_f64 v[3:4], v[43:44], v[55:56], v[3:4]
	ds_read_b128 v[41:44], v2 offset:480
	s_waitcnt vmcnt(32) lgkmcnt(1)
	v_mul_f64 v[55:56], v[49:50], v[57:58]
	v_mul_f64 v[57:58], v[51:52], v[57:58]
	s_waitcnt vmcnt(30)
	v_fma_f64 v[93:94], v[45:46], v[59:60], -v[93:94]
	v_fma_f64 v[53:54], v[47:48], v[59:60], v[53:54]
	ds_read_b128 v[45:48], v2 offset:496
	s_waitcnt vmcnt(26) lgkmcnt(1)
	v_mul_f64 v[59:60], v[41:42], v[61:62]
	v_add_f64 v[91:92], v[91:92], 0
	v_add_f64 v[3:4], v[3:4], 0
	v_mul_f64 v[61:62], v[43:44], v[61:62]
	s_waitcnt vmcnt(24)
	v_fma_f64 v[57:58], v[49:50], v[67:68], -v[57:58]
	v_fma_f64 v[55:56], v[51:52], v[67:68], v[55:56]
	ds_read_b128 v[49:52], v2 offset:512
	s_waitcnt vmcnt(21)
	v_fma_f64 v[59:60], v[43:44], v[69:70], v[59:60]
	v_add_f64 v[91:92], v[91:92], v[93:94]
	v_add_f64 v[3:4], v[3:4], v[53:54]
	s_waitcnt lgkmcnt(1)
	v_mul_f64 v[53:54], v[45:46], v[63:64]
	v_mul_f64 v[63:64], v[47:48], v[63:64]
	v_fma_f64 v[61:62], v[41:42], v[69:70], -v[61:62]
	s_waitcnt vmcnt(17) lgkmcnt(0)
	v_mul_f64 v[67:68], v[51:52], v[71:72]
	ds_read_b128 v[41:44], v2 offset:528
	v_add_f64 v[57:58], v[91:92], v[57:58]
	v_add_f64 v[3:4], v[3:4], v[55:56]
	v_mul_f64 v[55:56], v[49:50], v[71:72]
	s_waitcnt vmcnt(16)
	v_fma_f64 v[63:64], v[45:46], v[65:66], -v[63:64]
	v_fma_f64 v[53:54], v[47:48], v[65:66], v[53:54]
	ds_read_b128 v[45:48], v2 offset:544
	s_waitcnt vmcnt(13)
	v_fma_f64 v[65:66], v[49:50], v[77:78], -v[67:68]
	v_add_f64 v[57:58], v[57:58], v[61:62]
	v_add_f64 v[3:4], v[3:4], v[59:60]
	s_waitcnt lgkmcnt(1)
	v_mul_f64 v[61:62], v[43:44], v[73:74]
	v_mul_f64 v[59:60], v[41:42], v[73:74]
	v_fma_f64 v[55:56], v[51:52], v[77:78], v[55:56]
	ds_read_b128 v[49:52], v2 offset:560
	v_add_f64 v[57:58], v[57:58], v[63:64]
	v_add_f64 v[3:4], v[3:4], v[53:54]
	s_waitcnt vmcnt(9) lgkmcnt(1)
	v_mul_f64 v[63:64], v[47:48], v[79:80]
	s_waitcnt vmcnt(8)
	v_fma_f64 v[41:42], v[41:42], v[75:76], -v[61:62]
	v_mul_f64 v[53:54], v[45:46], v[79:80]
	v_fma_f64 v[43:44], v[43:44], v[75:76], v[59:60]
	s_waitcnt vmcnt(7) lgkmcnt(0)
	v_mul_f64 v[59:60], v[51:52], v[81:82]
	v_add_f64 v[57:58], v[57:58], v[65:66]
	v_add_f64 v[3:4], v[3:4], v[55:56]
	s_waitcnt vmcnt(5)
	v_fma_f64 v[45:46], v[45:46], v[85:86], -v[63:64]
	v_mul_f64 v[55:56], v[49:50], v[81:82]
	v_fma_f64 v[47:48], v[47:48], v[85:86], v[53:54]
	v_add_f64 v[41:42], v[57:58], v[41:42]
	v_add_f64 v[3:4], v[3:4], v[43:44]
	s_waitcnt vmcnt(4)
	v_fma_f64 v[43:44], v[49:50], v[83:84], -v[59:60]
	v_add_f64 v[41:42], v[41:42], v[45:46]
	v_fma_f64 v[45:46], v[51:52], v[83:84], v[55:56]
	v_add_f64 v[3:4], v[3:4], v[47:48]
	v_add_f64 v[41:42], v[41:42], v[43:44]
	;; [unrolled: 1-line block ×3, first 2 shown]
	s_waitcnt vmcnt(2)
	v_add_f64 v[41:42], v[87:88], -v[41:42]
	s_waitcnt vmcnt(0)
	v_add_f64 v[3:4], v[89:90], -v[3:4]
	buffer_store_dword v42, off, s[0:3], 0 offset:148
	buffer_store_dword v41, off, s[0:3], 0 offset:144
	;; [unrolled: 1-line block ×4, first 2 shown]
	v_cmpx_lt_u32_e32 7, v0
	s_cbranch_execz .LBB17_107
; %bb.106:
	v_mov_b32_e32 v3, s22
	s_clause 0x3
	buffer_load_dword v41, v3, s[0:3], 0 offen
	buffer_load_dword v42, v3, s[0:3], 0 offen offset:4
	buffer_load_dword v43, v3, s[0:3], 0 offen offset:8
	;; [unrolled: 1-line block ×3, first 2 shown]
	buffer_store_dword v2, off, s[0:3], 0 offset:128
	buffer_store_dword v2, off, s[0:3], 0 offset:132
	;; [unrolled: 1-line block ×4, first 2 shown]
	s_waitcnt vmcnt(0)
	ds_write_b128 v1, v[41:44]
.LBB17_107:
	s_or_b32 exec_lo, exec_lo, s4
	s_waitcnt lgkmcnt(0)
	s_waitcnt_vscnt null, 0x0
	s_barrier
	buffer_gl0_inv
	s_clause 0x2b
	buffer_load_dword v3, off, s[0:3], 0 offset:152
	buffer_load_dword v4, off, s[0:3], 0 offset:156
	;; [unrolled: 1-line block ×44, first 2 shown]
	ds_read_b128 v[41:44], v2 offset:416
	ds_read_b128 v[45:48], v2 offset:432
	;; [unrolled: 1-line block ×3, first 2 shown]
	s_mov_b32 s4, exec_lo
	s_waitcnt vmcnt(42) lgkmcnt(2)
	v_mul_f64 v[95:96], v[43:44], v[3:4]
	v_mul_f64 v[3:4], v[41:42], v[3:4]
	s_waitcnt vmcnt(40) lgkmcnt(1)
	v_mul_f64 v[97:98], v[47:48], v[53:54]
	v_mul_f64 v[53:54], v[45:46], v[53:54]
	s_waitcnt vmcnt(38)
	v_fma_f64 v[95:96], v[41:42], v[55:56], -v[95:96]
	v_fma_f64 v[3:4], v[43:44], v[55:56], v[3:4]
	ds_read_b128 v[41:44], v2 offset:464
	s_waitcnt vmcnt(36) lgkmcnt(1)
	v_mul_f64 v[55:56], v[49:50], v[57:58]
	v_mul_f64 v[57:58], v[51:52], v[57:58]
	s_waitcnt vmcnt(34)
	v_fma_f64 v[97:98], v[45:46], v[59:60], -v[97:98]
	v_fma_f64 v[53:54], v[47:48], v[59:60], v[53:54]
	ds_read_b128 v[45:48], v2 offset:480
	s_waitcnt vmcnt(30) lgkmcnt(1)
	v_mul_f64 v[59:60], v[41:42], v[61:62]
	v_add_f64 v[95:96], v[95:96], 0
	v_add_f64 v[3:4], v[3:4], 0
	v_mul_f64 v[61:62], v[43:44], v[61:62]
	s_waitcnt vmcnt(28)
	v_fma_f64 v[57:58], v[49:50], v[67:68], -v[57:58]
	v_fma_f64 v[55:56], v[51:52], v[67:68], v[55:56]
	ds_read_b128 v[49:52], v2 offset:496
	s_waitcnt vmcnt(25)
	v_fma_f64 v[59:60], v[43:44], v[69:70], v[59:60]
	v_add_f64 v[95:96], v[95:96], v[97:98]
	v_add_f64 v[3:4], v[3:4], v[53:54]
	s_waitcnt lgkmcnt(1)
	v_mul_f64 v[53:54], v[45:46], v[63:64]
	v_mul_f64 v[63:64], v[47:48], v[63:64]
	v_fma_f64 v[61:62], v[41:42], v[69:70], -v[61:62]
	s_waitcnt vmcnt(21) lgkmcnt(0)
	v_mul_f64 v[67:68], v[51:52], v[71:72]
	ds_read_b128 v[41:44], v2 offset:512
	v_add_f64 v[57:58], v[95:96], v[57:58]
	v_add_f64 v[3:4], v[3:4], v[55:56]
	v_mul_f64 v[55:56], v[49:50], v[71:72]
	s_waitcnt vmcnt(20)
	v_fma_f64 v[63:64], v[45:46], v[65:66], -v[63:64]
	v_fma_f64 v[53:54], v[47:48], v[65:66], v[53:54]
	ds_read_b128 v[45:48], v2 offset:528
	s_waitcnt vmcnt(17)
	v_fma_f64 v[65:66], v[49:50], v[77:78], -v[67:68]
	v_add_f64 v[57:58], v[57:58], v[61:62]
	v_add_f64 v[3:4], v[3:4], v[59:60]
	s_waitcnt lgkmcnt(1)
	v_mul_f64 v[61:62], v[43:44], v[73:74]
	v_mul_f64 v[59:60], v[41:42], v[73:74]
	v_fma_f64 v[55:56], v[51:52], v[77:78], v[55:56]
	ds_read_b128 v[49:52], v2 offset:544
	v_add_f64 v[57:58], v[57:58], v[63:64]
	v_add_f64 v[3:4], v[3:4], v[53:54]
	s_waitcnt vmcnt(13) lgkmcnt(1)
	v_mul_f64 v[63:64], v[47:48], v[79:80]
	s_waitcnt vmcnt(12)
	v_fma_f64 v[61:62], v[41:42], v[75:76], -v[61:62]
	v_mul_f64 v[53:54], v[45:46], v[79:80]
	v_fma_f64 v[59:60], v[43:44], v[75:76], v[59:60]
	ds_read_b128 v[41:44], v2 offset:560
	v_add_f64 v[57:58], v[57:58], v[65:66]
	v_add_f64 v[3:4], v[3:4], v[55:56]
	s_waitcnt vmcnt(11) lgkmcnt(1)
	v_mul_f64 v[65:66], v[51:52], v[81:82]
	s_waitcnt vmcnt(9)
	v_fma_f64 v[45:46], v[45:46], v[85:86], -v[63:64]
	v_mul_f64 v[55:56], v[49:50], v[81:82]
	v_fma_f64 v[47:48], v[47:48], v[85:86], v[53:54]
	s_waitcnt vmcnt(7) lgkmcnt(0)
	v_mul_f64 v[53:54], v[41:42], v[87:88]
	v_add_f64 v[57:58], v[57:58], v[61:62]
	v_add_f64 v[2:3], v[3:4], v[59:60]
	v_mul_f64 v[59:60], v[43:44], v[87:88]
	s_waitcnt vmcnt(6)
	v_fma_f64 v[49:50], v[49:50], v[83:84], -v[65:66]
	v_fma_f64 v[51:52], v[51:52], v[83:84], v[55:56]
	s_waitcnt vmcnt(4)
	v_fma_f64 v[43:44], v[43:44], v[89:90], v[53:54]
	v_add_f64 v[45:46], v[57:58], v[45:46]
	v_add_f64 v[2:3], v[2:3], v[47:48]
	v_fma_f64 v[41:42], v[41:42], v[89:90], -v[59:60]
	v_add_f64 v[45:46], v[45:46], v[49:50]
	v_add_f64 v[2:3], v[2:3], v[51:52]
	;; [unrolled: 1-line block ×4, first 2 shown]
	s_waitcnt vmcnt(2)
	v_add_f64 v[41:42], v[91:92], -v[41:42]
	s_waitcnt vmcnt(0)
	v_add_f64 v[2:3], v[93:94], -v[2:3]
	buffer_store_dword v42, off, s[0:3], 0 offset:132
	buffer_store_dword v41, off, s[0:3], 0 offset:128
	;; [unrolled: 1-line block ×4, first 2 shown]
	v_cmpx_lt_u32_e32 6, v0
	s_cbranch_execz .LBB17_109
; %bb.108:
	v_mov_b32_e32 v2, s23
	s_clause 0x3
	buffer_load_dword v41, v2, s[0:3], 0 offen
	buffer_load_dword v42, v2, s[0:3], 0 offen offset:4
	buffer_load_dword v43, v2, s[0:3], 0 offen offset:8
	buffer_load_dword v44, v2, s[0:3], 0 offen offset:12
	v_mov_b32_e32 v2, 0
	buffer_store_dword v2, off, s[0:3], 0 offset:112
	buffer_store_dword v2, off, s[0:3], 0 offset:116
	;; [unrolled: 1-line block ×4, first 2 shown]
	s_waitcnt vmcnt(0)
	ds_write_b128 v1, v[41:44]
.LBB17_109:
	s_or_b32 exec_lo, exec_lo, s4
	s_waitcnt lgkmcnt(0)
	s_waitcnt_vscnt null, 0x0
	s_barrier
	buffer_gl0_inv
	s_clause 0x2f
	buffer_load_dword v3, off, s[0:3], 0 offset:136
	buffer_load_dword v4, off, s[0:3], 0 offset:140
	buffer_load_dword v53, off, s[0:3], 0 offset:152
	buffer_load_dword v54, off, s[0:3], 0 offset:156
	buffer_load_dword v55, off, s[0:3], 0 offset:128
	buffer_load_dword v56, off, s[0:3], 0 offset:132
	buffer_load_dword v57, off, s[0:3], 0 offset:168
	buffer_load_dword v58, off, s[0:3], 0 offset:172
	buffer_load_dword v59, off, s[0:3], 0 offset:144
	buffer_load_dword v60, off, s[0:3], 0 offset:148
	buffer_load_dword v62, off, s[0:3], 0 offset:188
	buffer_load_dword v63, off, s[0:3], 0 offset:200
	buffer_load_dword v65, off, s[0:3], 0 offset:192
	buffer_load_dword v61, off, s[0:3], 0 offset:184
	buffer_load_dword v67, off, s[0:3], 0 offset:160
	buffer_load_dword v68, off, s[0:3], 0 offset:164
	buffer_load_dword v64, off, s[0:3], 0 offset:204
	buffer_load_dword v70, off, s[0:3], 0 offset:180
	buffer_load_dword v69, off, s[0:3], 0 offset:176
	buffer_load_dword v72, off, s[0:3], 0 offset:220
	buffer_load_dword v73, off, s[0:3], 0 offset:232
	buffer_load_dword v75, off, s[0:3], 0 offset:224
	buffer_load_dword v71, off, s[0:3], 0 offset:216
	buffer_load_dword v66, off, s[0:3], 0 offset:196
	buffer_load_dword v74, off, s[0:3], 0 offset:236
	buffer_load_dword v78, off, s[0:3], 0 offset:212
	buffer_load_dword v77, off, s[0:3], 0 offset:208
	buffer_load_dword v80, off, s[0:3], 0 offset:252
	buffer_load_dword v81, off, s[0:3], 0 offset:264
	buffer_load_dword v83, off, s[0:3], 0 offset:256
	buffer_load_dword v79, off, s[0:3], 0 offset:248
	buffer_load_dword v76, off, s[0:3], 0 offset:228
	buffer_load_dword v82, off, s[0:3], 0 offset:268
	buffer_load_dword v86, off, s[0:3], 0 offset:244
	buffer_load_dword v85, off, s[0:3], 0 offset:240
	buffer_load_dword v88, off, s[0:3], 0 offset:284
	buffer_load_dword v89, off, s[0:3], 0 offset:296
	buffer_load_dword v91, off, s[0:3], 0 offset:288
	buffer_load_dword v87, off, s[0:3], 0 offset:280
	buffer_load_dword v84, off, s[0:3], 0 offset:260
	buffer_load_dword v90, off, s[0:3], 0 offset:300
	buffer_load_dword v94, off, s[0:3], 0 offset:276
	buffer_load_dword v93, off, s[0:3], 0 offset:272
	buffer_load_dword v92, off, s[0:3], 0 offset:292
	buffer_load_dword v95, off, s[0:3], 0 offset:112
	buffer_load_dword v96, off, s[0:3], 0 offset:116
	buffer_load_dword v97, off, s[0:3], 0 offset:120
	buffer_load_dword v98, off, s[0:3], 0 offset:124
	v_mov_b32_e32 v2, 0
	ds_read_b128 v[41:44], v2 offset:400
	ds_read_b128 v[45:48], v2 offset:416
	;; [unrolled: 1-line block ×3, first 2 shown]
	s_mov_b32 s4, exec_lo
	s_waitcnt vmcnt(46) lgkmcnt(2)
	v_mul_f64 v[99:100], v[43:44], v[3:4]
	v_mul_f64 v[3:4], v[41:42], v[3:4]
	s_waitcnt vmcnt(44) lgkmcnt(1)
	v_mul_f64 v[101:102], v[47:48], v[53:54]
	v_mul_f64 v[53:54], v[45:46], v[53:54]
	s_waitcnt vmcnt(42)
	v_fma_f64 v[99:100], v[41:42], v[55:56], -v[99:100]
	v_fma_f64 v[3:4], v[43:44], v[55:56], v[3:4]
	ds_read_b128 v[41:44], v2 offset:448
	s_waitcnt vmcnt(40) lgkmcnt(1)
	v_mul_f64 v[55:56], v[49:50], v[57:58]
	v_mul_f64 v[57:58], v[51:52], v[57:58]
	s_waitcnt vmcnt(38)
	v_fma_f64 v[101:102], v[45:46], v[59:60], -v[101:102]
	v_fma_f64 v[53:54], v[47:48], v[59:60], v[53:54]
	ds_read_b128 v[45:48], v2 offset:464
	s_waitcnt vmcnt(34) lgkmcnt(1)
	v_mul_f64 v[59:60], v[41:42], v[61:62]
	v_add_f64 v[99:100], v[99:100], 0
	v_add_f64 v[3:4], v[3:4], 0
	v_mul_f64 v[61:62], v[43:44], v[61:62]
	s_waitcnt vmcnt(32)
	v_fma_f64 v[57:58], v[49:50], v[67:68], -v[57:58]
	v_fma_f64 v[55:56], v[51:52], v[67:68], v[55:56]
	ds_read_b128 v[49:52], v2 offset:480
	s_waitcnt vmcnt(29)
	v_fma_f64 v[59:60], v[43:44], v[69:70], v[59:60]
	v_add_f64 v[99:100], v[99:100], v[101:102]
	v_add_f64 v[3:4], v[3:4], v[53:54]
	s_waitcnt lgkmcnt(1)
	v_mul_f64 v[53:54], v[45:46], v[63:64]
	v_mul_f64 v[63:64], v[47:48], v[63:64]
	v_fma_f64 v[61:62], v[41:42], v[69:70], -v[61:62]
	s_waitcnt vmcnt(25) lgkmcnt(0)
	v_mul_f64 v[67:68], v[51:52], v[71:72]
	ds_read_b128 v[41:44], v2 offset:496
	v_add_f64 v[57:58], v[99:100], v[57:58]
	v_add_f64 v[3:4], v[3:4], v[55:56]
	v_mul_f64 v[55:56], v[49:50], v[71:72]
	s_waitcnt vmcnt(24)
	v_fma_f64 v[63:64], v[45:46], v[65:66], -v[63:64]
	v_fma_f64 v[53:54], v[47:48], v[65:66], v[53:54]
	ds_read_b128 v[45:48], v2 offset:512
	s_waitcnt vmcnt(21)
	v_fma_f64 v[65:66], v[49:50], v[77:78], -v[67:68]
	v_add_f64 v[57:58], v[57:58], v[61:62]
	v_add_f64 v[3:4], v[3:4], v[59:60]
	s_waitcnt lgkmcnt(1)
	v_mul_f64 v[61:62], v[43:44], v[73:74]
	v_mul_f64 v[59:60], v[41:42], v[73:74]
	v_fma_f64 v[55:56], v[51:52], v[77:78], v[55:56]
	ds_read_b128 v[49:52], v2 offset:528
	v_add_f64 v[57:58], v[57:58], v[63:64]
	v_add_f64 v[3:4], v[3:4], v[53:54]
	s_waitcnt vmcnt(17) lgkmcnt(1)
	v_mul_f64 v[63:64], v[47:48], v[79:80]
	s_waitcnt vmcnt(16)
	v_fma_f64 v[61:62], v[41:42], v[75:76], -v[61:62]
	v_mul_f64 v[53:54], v[45:46], v[79:80]
	v_fma_f64 v[59:60], v[43:44], v[75:76], v[59:60]
	ds_read_b128 v[41:44], v2 offset:544
	v_add_f64 v[57:58], v[57:58], v[65:66]
	v_add_f64 v[3:4], v[3:4], v[55:56]
	s_waitcnt vmcnt(15) lgkmcnt(1)
	v_mul_f64 v[65:66], v[51:52], v[81:82]
	s_waitcnt vmcnt(13)
	v_fma_f64 v[63:64], v[45:46], v[85:86], -v[63:64]
	;; [unrolled: 9-line block ×3, first 2 shown]
	v_mul_f64 v[59:60], v[41:42], v[87:88]
	v_fma_f64 v[51:52], v[51:52], v[83:84], v[55:56]
	s_waitcnt vmcnt(7) lgkmcnt(0)
	v_mul_f64 v[55:56], v[47:48], v[89:90]
	v_add_f64 v[57:58], v[57:58], v[63:64]
	v_add_f64 v[3:4], v[3:4], v[53:54]
	s_waitcnt vmcnt(5)
	v_fma_f64 v[41:42], v[41:42], v[93:94], -v[61:62]
	v_mul_f64 v[53:54], v[45:46], v[89:90]
	v_fma_f64 v[43:44], v[43:44], v[93:94], v[59:60]
	s_waitcnt vmcnt(4)
	v_fma_f64 v[45:46], v[45:46], v[91:92], -v[55:56]
	v_add_f64 v[49:50], v[57:58], v[49:50]
	v_add_f64 v[3:4], v[3:4], v[51:52]
	v_fma_f64 v[47:48], v[47:48], v[91:92], v[53:54]
	v_add_f64 v[41:42], v[49:50], v[41:42]
	v_add_f64 v[3:4], v[3:4], v[43:44]
	;; [unrolled: 1-line block ×4, first 2 shown]
	s_waitcnt vmcnt(2)
	v_add_f64 v[41:42], v[95:96], -v[41:42]
	s_waitcnt vmcnt(0)
	v_add_f64 v[3:4], v[97:98], -v[3:4]
	buffer_store_dword v42, off, s[0:3], 0 offset:116
	buffer_store_dword v41, off, s[0:3], 0 offset:112
	;; [unrolled: 1-line block ×4, first 2 shown]
	v_cmpx_lt_u32_e32 5, v0
	s_cbranch_execz .LBB17_111
; %bb.110:
	v_mov_b32_e32 v3, s24
	s_clause 0x3
	buffer_load_dword v41, v3, s[0:3], 0 offen
	buffer_load_dword v42, v3, s[0:3], 0 offen offset:4
	buffer_load_dword v43, v3, s[0:3], 0 offen offset:8
	;; [unrolled: 1-line block ×3, first 2 shown]
	buffer_store_dword v2, off, s[0:3], 0 offset:96
	buffer_store_dword v2, off, s[0:3], 0 offset:100
	;; [unrolled: 1-line block ×4, first 2 shown]
	s_waitcnt vmcnt(0)
	ds_write_b128 v1, v[41:44]
.LBB17_111:
	s_or_b32 exec_lo, exec_lo, s4
	s_waitcnt lgkmcnt(0)
	s_waitcnt_vscnt null, 0x0
	s_barrier
	buffer_gl0_inv
	s_clause 0x2f
	buffer_load_dword v3, off, s[0:3], 0 offset:120
	buffer_load_dword v4, off, s[0:3], 0 offset:124
	;; [unrolled: 1-line block ×48, first 2 shown]
	ds_read_b128 v[41:44], v2 offset:384
	s_clause 0x3
	buffer_load_dword v99, off, s[0:3], 0 offset:96
	buffer_load_dword v100, off, s[0:3], 0 offset:100
	;; [unrolled: 1-line block ×4, first 2 shown]
	ds_read_b128 v[45:48], v2 offset:400
	ds_read_b128 v[49:52], v2 offset:416
	s_mov_b32 s4, exec_lo
	s_waitcnt vmcnt(50) lgkmcnt(2)
	v_mul_f64 v[103:104], v[43:44], v[3:4]
	v_mul_f64 v[3:4], v[41:42], v[3:4]
	s_waitcnt vmcnt(48) lgkmcnt(1)
	v_mul_f64 v[105:106], v[47:48], v[53:54]
	v_mul_f64 v[53:54], v[45:46], v[53:54]
	s_waitcnt vmcnt(46)
	v_fma_f64 v[103:104], v[41:42], v[55:56], -v[103:104]
	v_fma_f64 v[3:4], v[43:44], v[55:56], v[3:4]
	s_waitcnt vmcnt(44) lgkmcnt(0)
	v_mul_f64 v[55:56], v[49:50], v[57:58]
	v_mul_f64 v[57:58], v[51:52], v[57:58]
	s_waitcnt vmcnt(42)
	v_fma_f64 v[105:106], v[45:46], v[59:60], -v[105:106]
	ds_read_b128 v[41:44], v2 offset:432
	v_fma_f64 v[53:54], v[47:48], v[59:60], v[53:54]
	ds_read_b128 v[45:48], v2 offset:448
	v_add_f64 v[103:104], v[103:104], 0
	v_add_f64 v[3:4], v[3:4], 0
	s_waitcnt vmcnt(36)
	v_fma_f64 v[55:56], v[51:52], v[67:68], v[55:56]
	s_waitcnt lgkmcnt(1)
	v_mul_f64 v[59:60], v[41:42], v[61:62]
	v_mul_f64 v[61:62], v[43:44], v[61:62]
	v_fma_f64 v[57:58], v[49:50], v[67:68], -v[57:58]
	ds_read_b128 v[49:52], v2 offset:464
	v_add_f64 v[103:104], v[103:104], v[105:106]
	v_add_f64 v[3:4], v[3:4], v[53:54]
	s_waitcnt vmcnt(35) lgkmcnt(1)
	v_mul_f64 v[53:54], v[45:46], v[63:64]
	v_mul_f64 v[63:64], v[47:48], v[63:64]
	s_waitcnt vmcnt(33)
	v_fma_f64 v[61:62], v[41:42], v[69:70], -v[61:62]
	v_fma_f64 v[59:60], v[43:44], v[69:70], v[59:60]
	ds_read_b128 v[41:44], v2 offset:480
	s_waitcnt vmcnt(29) lgkmcnt(1)
	v_mul_f64 v[67:68], v[51:52], v[71:72]
	v_add_f64 v[57:58], v[103:104], v[57:58]
	v_add_f64 v[3:4], v[3:4], v[55:56]
	v_mul_f64 v[55:56], v[49:50], v[71:72]
	s_waitcnt vmcnt(28)
	v_fma_f64 v[63:64], v[45:46], v[65:66], -v[63:64]
	v_fma_f64 v[53:54], v[47:48], v[65:66], v[53:54]
	ds_read_b128 v[45:48], v2 offset:496
	s_waitcnt vmcnt(25)
	v_fma_f64 v[65:66], v[49:50], v[77:78], -v[67:68]
	v_add_f64 v[57:58], v[57:58], v[61:62]
	v_add_f64 v[3:4], v[3:4], v[59:60]
	s_waitcnt lgkmcnt(1)
	v_mul_f64 v[61:62], v[43:44], v[73:74]
	v_mul_f64 v[59:60], v[41:42], v[73:74]
	v_fma_f64 v[55:56], v[51:52], v[77:78], v[55:56]
	ds_read_b128 v[49:52], v2 offset:512
	v_add_f64 v[57:58], v[57:58], v[63:64]
	v_add_f64 v[3:4], v[3:4], v[53:54]
	s_waitcnt vmcnt(21) lgkmcnt(1)
	v_mul_f64 v[63:64], v[47:48], v[79:80]
	s_waitcnt vmcnt(20)
	v_fma_f64 v[61:62], v[41:42], v[75:76], -v[61:62]
	v_mul_f64 v[53:54], v[45:46], v[79:80]
	v_fma_f64 v[59:60], v[43:44], v[75:76], v[59:60]
	ds_read_b128 v[41:44], v2 offset:528
	v_add_f64 v[57:58], v[57:58], v[65:66]
	v_add_f64 v[3:4], v[3:4], v[55:56]
	s_waitcnt vmcnt(19) lgkmcnt(1)
	v_mul_f64 v[65:66], v[51:52], v[81:82]
	s_waitcnt vmcnt(17)
	v_fma_f64 v[63:64], v[45:46], v[85:86], -v[63:64]
	;; [unrolled: 9-line block ×4, first 2 shown]
	v_mul_f64 v[53:54], v[45:46], v[89:90]
	v_fma_f64 v[43:44], v[43:44], v[93:94], v[59:60]
	s_waitcnt vmcnt(7) lgkmcnt(0)
	v_mul_f64 v[59:60], v[51:52], v[95:96]
	v_add_f64 v[57:58], v[57:58], v[65:66]
	v_add_f64 v[2:3], v[3:4], v[55:56]
	s_waitcnt vmcnt(6)
	v_fma_f64 v[45:46], v[45:46], v[91:92], -v[63:64]
	v_mul_f64 v[55:56], v[49:50], v[95:96]
	v_fma_f64 v[47:48], v[47:48], v[91:92], v[53:54]
	v_add_f64 v[41:42], v[57:58], v[41:42]
	v_add_f64 v[2:3], v[2:3], v[43:44]
	s_waitcnt vmcnt(4)
	v_fma_f64 v[43:44], v[49:50], v[97:98], -v[59:60]
	v_add_f64 v[41:42], v[41:42], v[45:46]
	v_fma_f64 v[45:46], v[51:52], v[97:98], v[55:56]
	v_add_f64 v[2:3], v[2:3], v[47:48]
	v_add_f64 v[41:42], v[41:42], v[43:44]
	;; [unrolled: 1-line block ×3, first 2 shown]
	s_waitcnt vmcnt(2)
	v_add_f64 v[41:42], v[99:100], -v[41:42]
	s_waitcnt vmcnt(0)
	v_add_f64 v[2:3], v[101:102], -v[2:3]
	buffer_store_dword v42, off, s[0:3], 0 offset:100
	buffer_store_dword v41, off, s[0:3], 0 offset:96
	;; [unrolled: 1-line block ×4, first 2 shown]
	v_cmpx_lt_u32_e32 4, v0
	s_cbranch_execz .LBB17_113
; %bb.112:
	v_mov_b32_e32 v2, s25
	s_clause 0x3
	buffer_load_dword v41, v2, s[0:3], 0 offen
	buffer_load_dword v42, v2, s[0:3], 0 offen offset:4
	buffer_load_dword v43, v2, s[0:3], 0 offen offset:8
	;; [unrolled: 1-line block ×3, first 2 shown]
	v_mov_b32_e32 v2, 0
	buffer_store_dword v2, off, s[0:3], 0 offset:80
	buffer_store_dword v2, off, s[0:3], 0 offset:84
	;; [unrolled: 1-line block ×4, first 2 shown]
	s_waitcnt vmcnt(0)
	ds_write_b128 v1, v[41:44]
.LBB17_113:
	s_or_b32 exec_lo, exec_lo, s4
	s_waitcnt lgkmcnt(0)
	s_waitcnt_vscnt null, 0x0
	s_barrier
	buffer_gl0_inv
	s_clause 0x33
	buffer_load_dword v3, off, s[0:3], 0 offset:104
	buffer_load_dword v4, off, s[0:3], 0 offset:108
	buffer_load_dword v53, off, s[0:3], 0 offset:120
	buffer_load_dword v54, off, s[0:3], 0 offset:124
	buffer_load_dword v55, off, s[0:3], 0 offset:96
	buffer_load_dword v56, off, s[0:3], 0 offset:100
	buffer_load_dword v57, off, s[0:3], 0 offset:136
	buffer_load_dword v58, off, s[0:3], 0 offset:140
	buffer_load_dword v59, off, s[0:3], 0 offset:112
	buffer_load_dword v60, off, s[0:3], 0 offset:116
	buffer_load_dword v62, off, s[0:3], 0 offset:156
	buffer_load_dword v61, off, s[0:3], 0 offset:152
	buffer_load_dword v63, off, s[0:3], 0 offset:128
	buffer_load_dword v64, off, s[0:3], 0 offset:132
	buffer_load_dword v65, off, s[0:3], 0 offset:168
	buffer_load_dword v66, off, s[0:3], 0 offset:172
	buffer_load_dword v68, off, s[0:3], 0 offset:148
	buffer_load_dword v67, off, s[0:3], 0 offset:144
	buffer_load_dword v70, off, s[0:3], 0 offset:188
	buffer_load_dword v69, off, s[0:3], 0 offset:184
	buffer_load_dword v71, off, s[0:3], 0 offset:160
	buffer_load_dword v72, off, s[0:3], 0 offset:164
	buffer_load_dword v73, off, s[0:3], 0 offset:200
	buffer_load_dword v74, off, s[0:3], 0 offset:204
	buffer_load_dword v76, off, s[0:3], 0 offset:180
	buffer_load_dword v75, off, s[0:3], 0 offset:176
	buffer_load_dword v78, off, s[0:3], 0 offset:220
	buffer_load_dword v77, off, s[0:3], 0 offset:216
	buffer_load_dword v79, off, s[0:3], 0 offset:192
	buffer_load_dword v80, off, s[0:3], 0 offset:196
	buffer_load_dword v81, off, s[0:3], 0 offset:232
	buffer_load_dword v82, off, s[0:3], 0 offset:236
	buffer_load_dword v84, off, s[0:3], 0 offset:212
	buffer_load_dword v83, off, s[0:3], 0 offset:208
	buffer_load_dword v86, off, s[0:3], 0 offset:252
	buffer_load_dword v85, off, s[0:3], 0 offset:248
	buffer_load_dword v87, off, s[0:3], 0 offset:224
	buffer_load_dword v88, off, s[0:3], 0 offset:228
	buffer_load_dword v89, off, s[0:3], 0 offset:264
	buffer_load_dword v90, off, s[0:3], 0 offset:268
	buffer_load_dword v92, off, s[0:3], 0 offset:244
	buffer_load_dword v91, off, s[0:3], 0 offset:240
	buffer_load_dword v94, off, s[0:3], 0 offset:284
	buffer_load_dword v93, off, s[0:3], 0 offset:280
	buffer_load_dword v95, off, s[0:3], 0 offset:256
	buffer_load_dword v96, off, s[0:3], 0 offset:260
	buffer_load_dword v97, off, s[0:3], 0 offset:296
	buffer_load_dword v98, off, s[0:3], 0 offset:300
	buffer_load_dword v100, off, s[0:3], 0 offset:276
	buffer_load_dword v99, off, s[0:3], 0 offset:272
	buffer_load_dword v101, off, s[0:3], 0 offset:288
	buffer_load_dword v102, off, s[0:3], 0 offset:292
	v_mov_b32_e32 v2, 0
	s_mov_b32 s4, exec_lo
	ds_read_b128 v[41:44], v2 offset:368
	ds_read_b128 v[45:48], v2 offset:384
	s_clause 0x3
	buffer_load_dword v105, off, s[0:3], 0 offset:80
	buffer_load_dword v106, off, s[0:3], 0 offset:84
	buffer_load_dword v107, off, s[0:3], 0 offset:88
	buffer_load_dword v108, off, s[0:3], 0 offset:92
	ds_read_b128 v[49:52], v2 offset:400
	s_waitcnt vmcnt(54) lgkmcnt(2)
	v_mul_f64 v[103:104], v[43:44], v[3:4]
	v_mul_f64 v[3:4], v[41:42], v[3:4]
	s_waitcnt vmcnt(52) lgkmcnt(1)
	v_mul_f64 v[109:110], v[47:48], v[53:54]
	v_mul_f64 v[53:54], v[45:46], v[53:54]
	s_waitcnt vmcnt(50)
	v_fma_f64 v[103:104], v[41:42], v[55:56], -v[103:104]
	v_fma_f64 v[3:4], v[43:44], v[55:56], v[3:4]
	ds_read_b128 v[41:44], v2 offset:416
	s_waitcnt vmcnt(48) lgkmcnt(1)
	v_mul_f64 v[55:56], v[49:50], v[57:58]
	v_mul_f64 v[57:58], v[51:52], v[57:58]
	s_waitcnt vmcnt(46)
	v_fma_f64 v[109:110], v[45:46], v[59:60], -v[109:110]
	v_fma_f64 v[53:54], v[47:48], v[59:60], v[53:54]
	ds_read_b128 v[45:48], v2 offset:432
	s_waitcnt vmcnt(44) lgkmcnt(1)
	v_mul_f64 v[59:60], v[41:42], v[61:62]
	v_add_f64 v[103:104], v[103:104], 0
	v_add_f64 v[3:4], v[3:4], 0
	v_mul_f64 v[61:62], v[43:44], v[61:62]
	s_waitcnt vmcnt(42)
	v_fma_f64 v[57:58], v[49:50], v[63:64], -v[57:58]
	v_fma_f64 v[55:56], v[51:52], v[63:64], v[55:56]
	ds_read_b128 v[49:52], v2 offset:448
	s_waitcnt vmcnt(40) lgkmcnt(1)
	v_mul_f64 v[63:64], v[47:48], v[65:66]
	s_waitcnt vmcnt(38)
	v_fma_f64 v[59:60], v[43:44], v[67:68], v[59:60]
	v_add_f64 v[103:104], v[103:104], v[109:110]
	v_add_f64 v[3:4], v[3:4], v[53:54]
	v_fma_f64 v[61:62], v[41:42], v[67:68], -v[61:62]
	v_mul_f64 v[53:54], v[45:46], v[65:66]
	s_waitcnt vmcnt(36) lgkmcnt(0)
	v_mul_f64 v[65:66], v[51:52], v[69:70]
	ds_read_b128 v[41:44], v2 offset:464
	s_waitcnt vmcnt(34)
	v_fma_f64 v[63:64], v[45:46], v[71:72], -v[63:64]
	v_add_f64 v[57:58], v[103:104], v[57:58]
	v_add_f64 v[3:4], v[3:4], v[55:56]
	v_mul_f64 v[55:56], v[49:50], v[69:70]
	v_fma_f64 v[53:54], v[47:48], v[71:72], v[53:54]
	ds_read_b128 v[45:48], v2 offset:480
	s_waitcnt vmcnt(30)
	v_fma_f64 v[65:66], v[49:50], v[75:76], -v[65:66]
	v_add_f64 v[57:58], v[57:58], v[61:62]
	v_add_f64 v[3:4], v[3:4], v[59:60]
	s_waitcnt lgkmcnt(1)
	v_mul_f64 v[61:62], v[43:44], v[73:74]
	v_mul_f64 v[59:60], v[41:42], v[73:74]
	v_fma_f64 v[55:56], v[51:52], v[75:76], v[55:56]
	ds_read_b128 v[49:52], v2 offset:496
	v_add_f64 v[57:58], v[57:58], v[63:64]
	v_add_f64 v[3:4], v[3:4], v[53:54]
	s_waitcnt vmcnt(28) lgkmcnt(1)
	v_mul_f64 v[63:64], v[47:48], v[77:78]
	s_waitcnt vmcnt(26)
	v_fma_f64 v[61:62], v[41:42], v[79:80], -v[61:62]
	v_mul_f64 v[53:54], v[45:46], v[77:78]
	v_fma_f64 v[59:60], v[43:44], v[79:80], v[59:60]
	ds_read_b128 v[41:44], v2 offset:512
	v_add_f64 v[57:58], v[57:58], v[65:66]
	v_add_f64 v[3:4], v[3:4], v[55:56]
	s_waitcnt vmcnt(24) lgkmcnt(1)
	v_mul_f64 v[65:66], v[51:52], v[81:82]
	s_waitcnt vmcnt(22)
	v_fma_f64 v[63:64], v[45:46], v[83:84], -v[63:64]
	;; [unrolled: 9-line block ×5, first 2 shown]
	v_mul_f64 v[55:56], v[49:50], v[93:94]
	v_fma_f64 v[47:48], v[47:48], v[95:96], v[53:54]
	s_waitcnt vmcnt(8) lgkmcnt(0)
	v_mul_f64 v[53:54], v[41:42], v[97:98]
	v_add_f64 v[57:58], v[57:58], v[61:62]
	v_add_f64 v[3:4], v[3:4], v[59:60]
	v_mul_f64 v[59:60], v[43:44], v[97:98]
	s_waitcnt vmcnt(6)
	v_fma_f64 v[49:50], v[49:50], v[99:100], -v[65:66]
	v_fma_f64 v[51:52], v[51:52], v[99:100], v[55:56]
	s_waitcnt vmcnt(4)
	v_fma_f64 v[43:44], v[43:44], v[101:102], v[53:54]
	v_add_f64 v[45:46], v[57:58], v[45:46]
	v_add_f64 v[3:4], v[3:4], v[47:48]
	v_fma_f64 v[41:42], v[41:42], v[101:102], -v[59:60]
	v_add_f64 v[45:46], v[45:46], v[49:50]
	v_add_f64 v[3:4], v[3:4], v[51:52]
	v_add_f64 v[41:42], v[45:46], v[41:42]
	v_add_f64 v[3:4], v[3:4], v[43:44]
	s_waitcnt vmcnt(2)
	v_add_f64 v[41:42], v[105:106], -v[41:42]
	s_waitcnt vmcnt(0)
	v_add_f64 v[3:4], v[107:108], -v[3:4]
	buffer_store_dword v42, off, s[0:3], 0 offset:84
	buffer_store_dword v41, off, s[0:3], 0 offset:80
	;; [unrolled: 1-line block ×4, first 2 shown]
	v_cmpx_lt_u32_e32 3, v0
	s_cbranch_execz .LBB17_115
; %bb.114:
	v_mov_b32_e32 v3, s26
	s_clause 0x3
	buffer_load_dword v41, v3, s[0:3], 0 offen
	buffer_load_dword v42, v3, s[0:3], 0 offen offset:4
	buffer_load_dword v43, v3, s[0:3], 0 offen offset:8
	;; [unrolled: 1-line block ×3, first 2 shown]
	buffer_store_dword v2, off, s[0:3], 0 offset:64
	buffer_store_dword v2, off, s[0:3], 0 offset:68
	;; [unrolled: 1-line block ×4, first 2 shown]
	s_waitcnt vmcnt(0)
	ds_write_b128 v1, v[41:44]
.LBB17_115:
	s_or_b32 exec_lo, exec_lo, s4
	s_waitcnt lgkmcnt(0)
	s_waitcnt_vscnt null, 0x0
	s_barrier
	buffer_gl0_inv
	s_clause 0x35
	buffer_load_dword v3, off, s[0:3], 0 offset:88
	buffer_load_dword v4, off, s[0:3], 0 offset:92
	;; [unrolled: 1-line block ×54, first 2 shown]
	ds_read_b128 v[41:44], v2 offset:352
	s_clause 0x1
	buffer_load_dword v106, off, s[0:3], 0 offset:292
	buffer_load_dword v105, off, s[0:3], 0 offset:288
	ds_read_b128 v[45:48], v2 offset:368
	ds_read_b128 v[49:52], v2 offset:384
	s_mov_b32 s4, exec_lo
	s_waitcnt vmcnt(54) lgkmcnt(2)
	v_mul_f64 v[107:108], v[43:44], v[3:4]
	v_mul_f64 v[3:4], v[41:42], v[3:4]
	s_waitcnt vmcnt(52) lgkmcnt(1)
	v_mul_f64 v[109:110], v[47:48], v[53:54]
	v_mul_f64 v[53:54], v[45:46], v[53:54]
	;; [unrolled: 3-line block ×3, first 2 shown]
	v_fma_f64 v[107:108], v[41:42], v[55:56], -v[107:108]
	v_fma_f64 v[3:4], v[43:44], v[55:56], v[3:4]
	s_clause 0x3
	buffer_load_dword v55, off, s[0:3], 0 offset:64
	buffer_load_dword v56, off, s[0:3], 0 offset:68
	;; [unrolled: 1-line block ×4, first 2 shown]
	s_waitcnt vmcnt(50)
	v_fma_f64 v[109:110], v[45:46], v[59:60], -v[109:110]
	ds_read_b128 v[41:44], v2 offset:400
	v_fma_f64 v[53:54], v[47:48], v[59:60], v[53:54]
	ds_read_b128 v[45:48], v2 offset:416
	s_waitcnt vmcnt(44)
	v_fma_f64 v[57:58], v[49:50], v[67:68], -v[57:58]
	v_fma_f64 v[67:68], v[51:52], v[67:68], v[113:114]
	ds_read_b128 v[49:52], v2 offset:432
	v_add_f64 v[107:108], v[107:108], 0
	v_add_f64 v[3:4], v[3:4], 0
	s_waitcnt lgkmcnt(2)
	v_mul_f64 v[59:60], v[41:42], v[61:62]
	v_mul_f64 v[61:62], v[43:44], v[61:62]
	v_add_f64 v[107:108], v[107:108], v[109:110]
	v_add_f64 v[3:4], v[3:4], v[53:54]
	s_waitcnt vmcnt(43) lgkmcnt(1)
	v_mul_f64 v[53:54], v[45:46], v[63:64]
	v_mul_f64 v[63:64], v[47:48], v[63:64]
	s_waitcnt vmcnt(41)
	v_fma_f64 v[61:62], v[41:42], v[69:70], -v[61:62]
	v_fma_f64 v[59:60], v[43:44], v[69:70], v[59:60]
	ds_read_b128 v[41:44], v2 offset:448
	s_waitcnt vmcnt(37) lgkmcnt(1)
	v_mul_f64 v[69:70], v[51:52], v[71:72]
	v_add_f64 v[57:58], v[107:108], v[57:58]
	v_add_f64 v[3:4], v[3:4], v[67:68]
	v_mul_f64 v[67:68], v[49:50], v[71:72]
	s_waitcnt vmcnt(36)
	v_fma_f64 v[63:64], v[45:46], v[65:66], -v[63:64]
	v_fma_f64 v[53:54], v[47:48], v[65:66], v[53:54]
	ds_read_b128 v[45:48], v2 offset:464
	s_waitcnt vmcnt(33)
	v_fma_f64 v[65:66], v[49:50], v[77:78], -v[69:70]
	v_add_f64 v[57:58], v[57:58], v[61:62]
	v_add_f64 v[3:4], v[3:4], v[59:60]
	s_waitcnt lgkmcnt(1)
	v_mul_f64 v[61:62], v[43:44], v[73:74]
	v_mul_f64 v[59:60], v[41:42], v[73:74]
	v_add_f64 v[57:58], v[57:58], v[63:64]
	v_fma_f64 v[63:64], v[51:52], v[77:78], v[67:68]
	v_add_f64 v[3:4], v[3:4], v[53:54]
	ds_read_b128 v[49:52], v2 offset:480
	s_waitcnt vmcnt(29) lgkmcnt(1)
	v_mul_f64 v[67:68], v[47:48], v[79:80]
	s_waitcnt vmcnt(28)
	v_fma_f64 v[61:62], v[41:42], v[75:76], -v[61:62]
	v_mul_f64 v[53:54], v[45:46], v[79:80]
	v_fma_f64 v[59:60], v[43:44], v[75:76], v[59:60]
	ds_read_b128 v[41:44], v2 offset:496
	v_add_f64 v[57:58], v[57:58], v[65:66]
	s_waitcnt vmcnt(27) lgkmcnt(1)
	v_mul_f64 v[65:66], v[51:52], v[81:82]
	v_add_f64 v[3:4], v[3:4], v[63:64]
	v_mul_f64 v[63:64], v[49:50], v[81:82]
	s_waitcnt vmcnt(25)
	v_fma_f64 v[67:68], v[45:46], v[85:86], -v[67:68]
	v_fma_f64 v[53:54], v[47:48], v[85:86], v[53:54]
	ds_read_b128 v[45:48], v2 offset:512
	v_add_f64 v[57:58], v[57:58], v[61:62]
	s_waitcnt vmcnt(21) lgkmcnt(1)
	v_mul_f64 v[61:62], v[43:44], v[87:88]
	v_add_f64 v[3:4], v[3:4], v[59:60]
	s_waitcnt vmcnt(20)
	v_fma_f64 v[65:66], v[49:50], v[83:84], -v[65:66]
	v_mul_f64 v[59:60], v[41:42], v[87:88]
	v_fma_f64 v[63:64], v[51:52], v[83:84], v[63:64]
	ds_read_b128 v[49:52], v2 offset:528
	v_add_f64 v[57:58], v[57:58], v[67:68]
	s_waitcnt vmcnt(19) lgkmcnt(1)
	v_mul_f64 v[67:68], v[47:48], v[89:90]
	v_add_f64 v[3:4], v[3:4], v[53:54]
	s_waitcnt vmcnt(17)
	v_fma_f64 v[61:62], v[41:42], v[93:94], -v[61:62]
	v_mul_f64 v[53:54], v[45:46], v[89:90]
	;; [unrolled: 9-line block ×4, first 2 shown]
	v_fma_f64 v[51:52], v[51:52], v[101:102], v[63:64]
	s_waitcnt vmcnt(7) lgkmcnt(0)
	v_mul_f64 v[63:64], v[47:48], v[103:104]
	v_add_f64 v[57:58], v[57:58], v[67:68]
	s_waitcnt vmcnt(6)
	v_fma_f64 v[41:42], v[41:42], v[99:100], -v[61:62]
	v_add_f64 v[2:3], v[3:4], v[53:54]
	v_mul_f64 v[53:54], v[45:46], v[103:104]
	v_fma_f64 v[43:44], v[43:44], v[99:100], v[59:60]
	s_waitcnt vmcnt(4)
	v_fma_f64 v[45:46], v[45:46], v[105:106], -v[63:64]
	v_add_f64 v[49:50], v[57:58], v[49:50]
	v_add_f64 v[2:3], v[2:3], v[51:52]
	v_fma_f64 v[47:48], v[47:48], v[105:106], v[53:54]
	v_add_f64 v[41:42], v[49:50], v[41:42]
	v_add_f64 v[2:3], v[2:3], v[43:44]
	;; [unrolled: 1-line block ×4, first 2 shown]
	s_waitcnt vmcnt(2)
	v_add_f64 v[41:42], v[55:56], -v[41:42]
	s_waitcnt vmcnt(0)
	v_add_f64 v[2:3], v[111:112], -v[2:3]
	buffer_store_dword v42, off, s[0:3], 0 offset:68
	buffer_store_dword v41, off, s[0:3], 0 offset:64
	;; [unrolled: 1-line block ×4, first 2 shown]
	v_cmpx_lt_u32_e32 2, v0
	s_cbranch_execz .LBB17_117
; %bb.116:
	v_mov_b32_e32 v2, s27
	s_clause 0x3
	buffer_load_dword v41, v2, s[0:3], 0 offen
	buffer_load_dword v42, v2, s[0:3], 0 offen offset:4
	buffer_load_dword v43, v2, s[0:3], 0 offen offset:8
	;; [unrolled: 1-line block ×3, first 2 shown]
	v_mov_b32_e32 v2, 0
	buffer_store_dword v2, off, s[0:3], 0 offset:48
	buffer_store_dword v2, off, s[0:3], 0 offset:52
	;; [unrolled: 1-line block ×4, first 2 shown]
	s_waitcnt vmcnt(0)
	ds_write_b128 v1, v[41:44]
.LBB17_117:
	s_or_b32 exec_lo, exec_lo, s4
	s_waitcnt lgkmcnt(0)
	s_waitcnt_vscnt null, 0x0
	s_barrier
	buffer_gl0_inv
	s_clause 0x37
	buffer_load_dword v3, off, s[0:3], 0 offset:72
	buffer_load_dword v4, off, s[0:3], 0 offset:76
	;; [unrolled: 1-line block ×56, first 2 shown]
	v_mov_b32_e32 v2, 0
	s_mov_b32 s4, exec_lo
	ds_read_b128 v[41:44], v2 offset:336
	s_clause 0x2
	buffer_load_dword v106, off, s[0:3], 0 offset:300
	buffer_load_dword v110, off, s[0:3], 0 offset:276
	;; [unrolled: 1-line block ×3, first 2 shown]
	ds_read_b128 v[45:48], v2 offset:352
	ds_read_b128 v[49:52], v2 offset:368
	buffer_load_dword v108, off, s[0:3], 0 offset:292
	s_waitcnt vmcnt(58) lgkmcnt(2)
	v_mul_f64 v[111:112], v[43:44], v[3:4]
	v_mul_f64 v[3:4], v[41:42], v[3:4]
	s_waitcnt vmcnt(56) lgkmcnt(1)
	v_mul_f64 v[113:114], v[47:48], v[53:54]
	v_mul_f64 v[53:54], v[45:46], v[53:54]
	s_waitcnt vmcnt(54)
	v_fma_f64 v[111:112], v[41:42], v[55:56], -v[111:112]
	v_fma_f64 v[3:4], v[43:44], v[55:56], v[3:4]
	s_waitcnt vmcnt(52) lgkmcnt(0)
	v_mul_f64 v[55:56], v[49:50], v[57:58]
	v_mul_f64 v[57:58], v[51:52], v[57:58]
	s_waitcnt vmcnt(50)
	v_fma_f64 v[113:114], v[45:46], v[59:60], -v[113:114]
	ds_read_b128 v[41:44], v2 offset:384
	v_fma_f64 v[53:54], v[47:48], v[59:60], v[53:54]
	s_clause 0x3
	buffer_load_dword v59, off, s[0:3], 0 offset:48
	buffer_load_dword v60, off, s[0:3], 0 offset:52
	;; [unrolled: 1-line block ×4, first 2 shown]
	ds_read_b128 v[45:48], v2 offset:400
	v_add_f64 v[111:112], v[111:112], 0
	v_add_f64 v[3:4], v[3:4], 0
	s_waitcnt vmcnt(48)
	v_fma_f64 v[55:56], v[51:52], v[67:68], v[55:56]
	s_waitcnt lgkmcnt(1)
	v_mul_f64 v[117:118], v[41:42], v[61:62]
	v_mul_f64 v[61:62], v[43:44], v[61:62]
	v_fma_f64 v[57:58], v[49:50], v[67:68], -v[57:58]
	ds_read_b128 v[49:52], v2 offset:416
	v_add_f64 v[111:112], v[111:112], v[113:114]
	v_add_f64 v[3:4], v[3:4], v[53:54]
	s_waitcnt vmcnt(47) lgkmcnt(1)
	v_mul_f64 v[53:54], v[45:46], v[63:64]
	v_mul_f64 v[63:64], v[47:48], v[63:64]
	s_waitcnt vmcnt(45)
	v_fma_f64 v[61:62], v[41:42], v[69:70], -v[61:62]
	v_fma_f64 v[67:68], v[43:44], v[69:70], v[117:118]
	s_waitcnt vmcnt(41) lgkmcnt(0)
	v_mul_f64 v[69:70], v[51:52], v[71:72]
	ds_read_b128 v[41:44], v2 offset:432
	v_add_f64 v[57:58], v[111:112], v[57:58]
	v_add_f64 v[3:4], v[3:4], v[55:56]
	v_mul_f64 v[55:56], v[49:50], v[71:72]
	s_waitcnt vmcnt(40)
	v_fma_f64 v[63:64], v[45:46], v[65:66], -v[63:64]
	v_fma_f64 v[53:54], v[47:48], v[65:66], v[53:54]
	ds_read_b128 v[45:48], v2 offset:448
	s_waitcnt vmcnt(39) lgkmcnt(1)
	v_mul_f64 v[65:66], v[43:44], v[73:74]
	v_add_f64 v[57:58], v[57:58], v[61:62]
	v_add_f64 v[3:4], v[3:4], v[67:68]
	s_waitcnt vmcnt(37)
	v_fma_f64 v[67:68], v[49:50], v[77:78], -v[69:70]
	v_mul_f64 v[61:62], v[41:42], v[73:74]
	v_fma_f64 v[55:56], v[51:52], v[77:78], v[55:56]
	ds_read_b128 v[49:52], v2 offset:464
	s_waitcnt vmcnt(32)
	v_fma_f64 v[65:66], v[41:42], v[75:76], -v[65:66]
	v_add_f64 v[57:58], v[57:58], v[63:64]
	v_add_f64 v[3:4], v[3:4], v[53:54]
	s_waitcnt lgkmcnt(1)
	v_mul_f64 v[63:64], v[47:48], v[79:80]
	v_mul_f64 v[53:54], v[45:46], v[79:80]
	v_fma_f64 v[61:62], v[43:44], v[75:76], v[61:62]
	ds_read_b128 v[41:44], v2 offset:480
	v_add_f64 v[57:58], v[57:58], v[67:68]
	v_add_f64 v[3:4], v[3:4], v[55:56]
	s_waitcnt vmcnt(31) lgkmcnt(1)
	v_mul_f64 v[67:68], v[51:52], v[81:82]
	s_waitcnt vmcnt(29)
	v_fma_f64 v[63:64], v[45:46], v[85:86], -v[63:64]
	v_mul_f64 v[55:56], v[49:50], v[81:82]
	v_fma_f64 v[53:54], v[47:48], v[85:86], v[53:54]
	ds_read_b128 v[45:48], v2 offset:496
	v_add_f64 v[57:58], v[57:58], v[65:66]
	v_add_f64 v[3:4], v[3:4], v[61:62]
	s_waitcnt vmcnt(25) lgkmcnt(1)
	v_mul_f64 v[65:66], v[43:44], v[87:88]
	s_waitcnt vmcnt(24)
	v_fma_f64 v[67:68], v[49:50], v[83:84], -v[67:68]
	;; [unrolled: 9-line block ×6, first 2 shown]
	v_mul_f64 v[53:54], v[45:46], v[103:104]
	v_fma_f64 v[43:44], v[43:44], v[99:100], v[61:62]
	s_waitcnt vmcnt(7) lgkmcnt(0)
	v_mul_f64 v[61:62], v[51:52], v[105:106]
	v_add_f64 v[57:58], v[57:58], v[67:68]
	v_add_f64 v[3:4], v[3:4], v[55:56]
	s_waitcnt vmcnt(5)
	v_fma_f64 v[45:46], v[45:46], v[109:110], -v[63:64]
	v_mul_f64 v[55:56], v[49:50], v[105:106]
	v_fma_f64 v[47:48], v[47:48], v[109:110], v[53:54]
	v_add_f64 v[41:42], v[57:58], v[41:42]
	v_add_f64 v[3:4], v[3:4], v[43:44]
	s_waitcnt vmcnt(4)
	v_fma_f64 v[43:44], v[49:50], v[107:108], -v[61:62]
	v_add_f64 v[41:42], v[41:42], v[45:46]
	v_fma_f64 v[45:46], v[51:52], v[107:108], v[55:56]
	v_add_f64 v[3:4], v[3:4], v[47:48]
	v_add_f64 v[41:42], v[41:42], v[43:44]
	v_add_f64 v[3:4], v[3:4], v[45:46]
	s_waitcnt vmcnt(2)
	v_add_f64 v[41:42], v[59:60], -v[41:42]
	s_waitcnt vmcnt(0)
	v_add_f64 v[3:4], v[115:116], -v[3:4]
	buffer_store_dword v42, off, s[0:3], 0 offset:52
	buffer_store_dword v41, off, s[0:3], 0 offset:48
	;; [unrolled: 1-line block ×4, first 2 shown]
	v_cmpx_lt_u32_e32 1, v0
	s_cbranch_execz .LBB17_119
; %bb.118:
	v_mov_b32_e32 v3, s28
	s_clause 0x3
	buffer_load_dword v41, v3, s[0:3], 0 offen
	buffer_load_dword v42, v3, s[0:3], 0 offen offset:4
	buffer_load_dword v43, v3, s[0:3], 0 offen offset:8
	;; [unrolled: 1-line block ×3, first 2 shown]
	buffer_store_dword v2, off, s[0:3], 0 offset:32
	buffer_store_dword v2, off, s[0:3], 0 offset:36
	;; [unrolled: 1-line block ×4, first 2 shown]
	s_waitcnt vmcnt(0)
	ds_write_b128 v1, v[41:44]
.LBB17_119:
	s_or_b32 exec_lo, exec_lo, s4
	s_waitcnt lgkmcnt(0)
	s_waitcnt_vscnt null, 0x0
	s_barrier
	buffer_gl0_inv
	s_clause 0x37
	buffer_load_dword v3, off, s[0:3], 0 offset:56
	buffer_load_dword v4, off, s[0:3], 0 offset:60
	;; [unrolled: 1-line block ×56, first 2 shown]
	ds_read_b128 v[41:44], v2 offset:320
	s_clause 0x2
	buffer_load_dword v106, off, s[0:3], 0 offset:284
	buffer_load_dword v110, off, s[0:3], 0 offset:260
	;; [unrolled: 1-line block ×3, first 2 shown]
	ds_read_b128 v[45:48], v2 offset:336
	s_clause 0x2
	buffer_load_dword v114, off, s[0:3], 0 offset:300
	buffer_load_dword v113, off, s[0:3], 0 offset:296
	;; [unrolled: 1-line block ×3, first 2 shown]
	ds_read_b128 v[49:52], v2 offset:352
	s_mov_b32 s4, exec_lo
	s_waitcnt vmcnt(60) lgkmcnt(2)
	v_mul_f64 v[111:112], v[43:44], v[3:4]
	v_mul_f64 v[3:4], v[41:42], v[3:4]
	s_waitcnt vmcnt(58) lgkmcnt(1)
	v_mul_f64 v[115:116], v[47:48], v[53:54]
	v_mul_f64 v[53:54], v[45:46], v[53:54]
	;; [unrolled: 3-line block ×3, first 2 shown]
	v_fma_f64 v[111:112], v[41:42], v[55:56], -v[111:112]
	v_fma_f64 v[3:4], v[43:44], v[55:56], v[3:4]
	s_clause 0x1
	buffer_load_dword v56, off, s[0:3], 0 offset:292
	buffer_load_dword v55, off, s[0:3], 0 offset:288
	s_waitcnt vmcnt(54)
	v_fma_f64 v[115:116], v[45:46], v[59:60], -v[115:116]
	ds_read_b128 v[41:44], v2 offset:368
	v_fma_f64 v[53:54], v[47:48], v[59:60], v[53:54]
	ds_read_b128 v[45:48], v2 offset:384
	s_waitcnt vmcnt(48)
	v_fma_f64 v[57:58], v[49:50], v[67:68], -v[57:58]
	v_fma_f64 v[67:68], v[51:52], v[67:68], v[117:118]
	v_add_f64 v[111:112], v[111:112], 0
	v_add_f64 v[3:4], v[3:4], 0
	s_waitcnt lgkmcnt(1)
	v_mul_f64 v[59:60], v[41:42], v[61:62]
	v_mul_f64 v[61:62], v[43:44], v[61:62]
	s_waitcnt vmcnt(47) lgkmcnt(0)
	v_mul_f64 v[117:118], v[45:46], v[63:64]
	v_mul_f64 v[63:64], v[47:48], v[63:64]
	v_add_f64 v[111:112], v[111:112], v[115:116]
	v_add_f64 v[3:4], v[3:4], v[53:54]
	s_clause 0x3
	buffer_load_dword v53, off, s[0:3], 0 offset:32
	buffer_load_dword v54, off, s[0:3], 0 offset:36
	;; [unrolled: 1-line block ×4, first 2 shown]
	s_waitcnt vmcnt(49)
	v_fma_f64 v[61:62], v[41:42], v[69:70], -v[61:62]
	ds_read_b128 v[49:52], v2 offset:400
	v_fma_f64 v[59:60], v[43:44], v[69:70], v[59:60]
	ds_read_b128 v[41:44], v2 offset:416
	s_waitcnt vmcnt(44)
	v_fma_f64 v[63:64], v[45:46], v[65:66], -v[63:64]
	v_add_f64 v[57:58], v[111:112], v[57:58]
	v_add_f64 v[3:4], v[3:4], v[67:68]
	s_waitcnt lgkmcnt(1)
	v_mul_f64 v[69:70], v[51:52], v[71:72]
	v_mul_f64 v[67:68], v[49:50], v[71:72]
	v_add_f64 v[57:58], v[57:58], v[61:62]
	v_fma_f64 v[61:62], v[47:48], v[65:66], v[117:118]
	v_add_f64 v[3:4], v[3:4], v[59:60]
	s_waitcnt vmcnt(43) lgkmcnt(0)
	v_mul_f64 v[65:66], v[43:44], v[73:74]
	s_waitcnt vmcnt(41)
	v_fma_f64 v[69:70], v[49:50], v[77:78], -v[69:70]
	ds_read_b128 v[45:48], v2 offset:432
	v_mul_f64 v[59:60], v[41:42], v[73:74]
	v_add_f64 v[57:58], v[57:58], v[63:64]
	v_fma_f64 v[63:64], v[51:52], v[77:78], v[67:68]
	v_add_f64 v[3:4], v[3:4], v[61:62]
	ds_read_b128 v[49:52], v2 offset:448
	s_waitcnt vmcnt(37) lgkmcnt(1)
	v_mul_f64 v[67:68], v[47:48], v[79:80]
	s_waitcnt vmcnt(36)
	v_fma_f64 v[65:66], v[41:42], v[75:76], -v[65:66]
	v_mul_f64 v[61:62], v[45:46], v[79:80]
	v_fma_f64 v[59:60], v[43:44], v[75:76], v[59:60]
	ds_read_b128 v[41:44], v2 offset:464
	v_add_f64 v[57:58], v[57:58], v[69:70]
	s_waitcnt vmcnt(35) lgkmcnt(1)
	v_mul_f64 v[69:70], v[51:52], v[81:82]
	v_add_f64 v[3:4], v[3:4], v[63:64]
	v_mul_f64 v[63:64], v[49:50], v[81:82]
	s_waitcnt vmcnt(33)
	v_fma_f64 v[67:68], v[45:46], v[85:86], -v[67:68]
	v_fma_f64 v[61:62], v[47:48], v[85:86], v[61:62]
	ds_read_b128 v[45:48], v2 offset:480
	v_add_f64 v[57:58], v[57:58], v[65:66]
	s_waitcnt vmcnt(29) lgkmcnt(1)
	v_mul_f64 v[65:66], v[43:44], v[87:88]
	v_add_f64 v[3:4], v[3:4], v[59:60]
	s_waitcnt vmcnt(28)
	v_fma_f64 v[69:70], v[49:50], v[83:84], -v[69:70]
	v_mul_f64 v[59:60], v[41:42], v[87:88]
	v_fma_f64 v[63:64], v[51:52], v[83:84], v[63:64]
	ds_read_b128 v[49:52], v2 offset:496
	v_add_f64 v[57:58], v[57:58], v[67:68]
	s_waitcnt vmcnt(27) lgkmcnt(1)
	v_mul_f64 v[67:68], v[47:48], v[89:90]
	v_add_f64 v[3:4], v[3:4], v[61:62]
	s_waitcnt vmcnt(25)
	v_fma_f64 v[65:66], v[41:42], v[93:94], -v[65:66]
	v_mul_f64 v[61:62], v[45:46], v[89:90]
	;; [unrolled: 9-line block ×6, first 2 shown]
	v_fma_f64 v[47:48], v[47:48], v[109:110], v[61:62]
	s_waitcnt vmcnt(7) lgkmcnt(0)
	v_mul_f64 v[61:62], v[43:44], v[113:114]
	v_add_f64 v[57:58], v[57:58], v[65:66]
	s_waitcnt vmcnt(6)
	v_fma_f64 v[49:50], v[49:50], v[107:108], -v[69:70]
	v_add_f64 v[2:3], v[3:4], v[59:60]
	v_mul_f64 v[59:60], v[41:42], v[113:114]
	v_fma_f64 v[51:52], v[51:52], v[107:108], v[63:64]
	v_add_f64 v[45:46], v[57:58], v[45:46]
	v_add_f64 v[2:3], v[2:3], v[47:48]
	s_waitcnt vmcnt(4)
	v_fma_f64 v[41:42], v[41:42], v[55:56], -v[61:62]
	v_fma_f64 v[43:44], v[43:44], v[55:56], v[59:60]
	v_add_f64 v[45:46], v[45:46], v[49:50]
	v_add_f64 v[2:3], v[2:3], v[51:52]
	;; [unrolled: 1-line block ×4, first 2 shown]
	s_waitcnt vmcnt(2)
	v_add_f64 v[41:42], v[53:54], -v[41:42]
	s_waitcnt vmcnt(0)
	v_add_f64 v[2:3], v[115:116], -v[2:3]
	buffer_store_dword v42, off, s[0:3], 0 offset:36
	buffer_store_dword v41, off, s[0:3], 0 offset:32
	;; [unrolled: 1-line block ×4, first 2 shown]
	v_cmpx_ne_u32_e32 0, v0
	s_cbranch_execz .LBB17_121
; %bb.120:
	s_clause 0x3
	buffer_load_dword v41, off, s[0:3], 0 offset:16
	buffer_load_dword v42, off, s[0:3], 0 offset:20
	;; [unrolled: 1-line block ×4, first 2 shown]
	v_mov_b32_e32 v0, 0
	buffer_store_dword v0, off, s[0:3], 0 offset:16
	buffer_store_dword v0, off, s[0:3], 0 offset:20
	;; [unrolled: 1-line block ×4, first 2 shown]
	s_waitcnt vmcnt(0)
	ds_write_b128 v1, v[41:44]
.LBB17_121:
	s_or_b32 exec_lo, exec_lo, s4
	s_waitcnt lgkmcnt(0)
	s_waitcnt_vscnt null, 0x0
	s_barrier
	buffer_gl0_inv
	s_clause 0x37
	buffer_load_dword v45, off, s[0:3], 0 offset:40
	buffer_load_dword v46, off, s[0:3], 0 offset:44
	;; [unrolled: 1-line block ×56, first 2 shown]
	v_mov_b32_e32 v0, 0
	s_and_b32 vcc_lo, exec_lo, s29
	ds_read_b128 v[1:4], v0 offset:304
	s_clause 0x2
	buffer_load_dword v102, off, s[0:3], 0 offset:268
	buffer_load_dword v106, off, s[0:3], 0 offset:244
	buffer_load_dword v105, off, s[0:3], 0 offset:240
	ds_read_b128 v[41:44], v0 offset:320
	s_clause 0x4
	buffer_load_dword v112, off, s[0:3], 0 offset:284
	buffer_load_dword v113, off, s[0:3], 0 offset:296
	;; [unrolled: 1-line block ×5, first 2 shown]
	s_waitcnt vmcnt(62) lgkmcnt(1)
	v_mul_f64 v[107:108], v[3:4], v[45:46]
	v_mul_f64 v[109:110], v[1:2], v[45:46]
	s_waitcnt vmcnt(60) lgkmcnt(0)
	v_mul_f64 v[116:117], v[43:44], v[49:50]
	ds_read_b128 v[45:48], v0 offset:336
	v_mul_f64 v[49:50], v[41:42], v[49:50]
	s_waitcnt vmcnt(58)
	v_fma_f64 v[107:108], v[1:2], v[51:52], -v[107:108]
	v_fma_f64 v[51:52], v[3:4], v[51:52], v[109:110]
	s_clause 0x2
	buffer_load_dword v114, off, s[0:3], 0 offset:300
	buffer_load_dword v110, off, s[0:3], 0 offset:276
	;; [unrolled: 1-line block ×3, first 2 shown]
	s_waitcnt vmcnt(59) lgkmcnt(0)
	v_mul_f64 v[118:119], v[45:46], v[53:54]
	v_mul_f64 v[53:54], v[47:48], v[53:54]
	s_waitcnt vmcnt(57)
	v_fma_f64 v[120:121], v[41:42], v[55:56], -v[116:117]
	ds_read_b128 v[1:4], v0 offset:352
	v_fma_f64 v[49:50], v[43:44], v[55:56], v[49:50]
	buffer_load_dword v116, off, s[0:3], 0 offset:292
	ds_read_b128 v[41:44], v0 offset:368
	v_add_f64 v[107:108], v[107:108], 0
	v_add_f64 v[51:52], v[51:52], 0
	s_waitcnt vmcnt(54) lgkmcnt(1)
	v_mul_f64 v[55:56], v[1:2], v[57:58]
	v_mul_f64 v[57:58], v[3:4], v[57:58]
	s_waitcnt vmcnt(52)
	v_fma_f64 v[53:54], v[45:46], v[63:64], -v[53:54]
	v_fma_f64 v[63:64], v[47:48], v[63:64], v[118:119]
	ds_read_b128 v[45:48], v0 offset:384
	v_add_f64 v[107:108], v[107:108], v[120:121]
	v_add_f64 v[49:50], v[51:52], v[49:50]
	s_waitcnt vmcnt(51) lgkmcnt(1)
	v_mul_f64 v[51:52], v[41:42], v[59:60]
	v_mul_f64 v[59:60], v[43:44], v[59:60]
	s_waitcnt vmcnt(49)
	v_fma_f64 v[55:56], v[3:4], v[65:66], v[55:56]
	v_fma_f64 v[57:58], v[1:2], v[65:66], -v[57:58]
	v_add_f64 v[53:54], v[107:108], v[53:54]
	v_add_f64 v[49:50], v[49:50], v[63:64]
	s_clause 0x3
	buffer_load_dword v63, off, s[0:3], 0 offset:16
	buffer_load_dword v64, off, s[0:3], 0 offset:20
	;; [unrolled: 1-line block ×4, first 2 shown]
	s_waitcnt vmcnt(49) lgkmcnt(0)
	v_mul_f64 v[107:108], v[45:46], v[67:68]
	v_mul_f64 v[67:68], v[47:48], v[67:68]
	s_waitcnt vmcnt(48)
	v_fma_f64 v[59:60], v[41:42], v[61:62], -v[59:60]
	ds_read_b128 v[1:4], v0 offset:400
	v_fma_f64 v[51:52], v[43:44], v[61:62], v[51:52]
	ds_read_b128 v[41:44], v0 offset:416
	v_add_f64 v[53:54], v[53:54], v[57:58]
	v_add_f64 v[49:50], v[49:50], v[55:56]
	s_waitcnt vmcnt(47) lgkmcnt(1)
	v_mul_f64 v[57:58], v[3:4], v[69:70]
	s_waitcnt vmcnt(45)
	v_fma_f64 v[61:62], v[45:46], v[73:74], -v[67:68]
	v_mul_f64 v[55:56], v[1:2], v[69:70]
	s_waitcnt vmcnt(41) lgkmcnt(0)
	v_mul_f64 v[67:68], v[43:44], v[75:76]
	v_add_f64 v[53:54], v[53:54], v[59:60]
	v_fma_f64 v[59:60], v[47:48], v[73:74], v[107:108]
	v_add_f64 v[49:50], v[49:50], v[51:52]
	ds_read_b128 v[45:48], v0 offset:432
	s_waitcnt vmcnt(40)
	v_fma_f64 v[57:58], v[1:2], v[71:72], -v[57:58]
	v_mul_f64 v[51:52], v[41:42], v[75:76]
	v_fma_f64 v[55:56], v[3:4], v[71:72], v[55:56]
	ds_read_b128 v[1:4], v0 offset:448
	s_waitcnt vmcnt(37)
	v_fma_f64 v[67:68], v[41:42], v[81:82], -v[67:68]
	v_add_f64 v[53:54], v[53:54], v[61:62]
	s_waitcnt lgkmcnt(1)
	v_mul_f64 v[61:62], v[47:48], v[77:78]
	v_add_f64 v[49:50], v[49:50], v[59:60]
	v_mul_f64 v[59:60], v[45:46], v[77:78]
	v_fma_f64 v[51:52], v[43:44], v[81:82], v[51:52]
	ds_read_b128 v[41:44], v0 offset:464
	v_add_f64 v[53:54], v[53:54], v[57:58]
	s_waitcnt vmcnt(33) lgkmcnt(1)
	v_mul_f64 v[57:58], v[3:4], v[83:84]
	v_add_f64 v[49:50], v[49:50], v[55:56]
	s_waitcnt vmcnt(32)
	v_fma_f64 v[61:62], v[45:46], v[79:80], -v[61:62]
	v_mul_f64 v[55:56], v[1:2], v[83:84]
	v_fma_f64 v[59:60], v[47:48], v[79:80], v[59:60]
	ds_read_b128 v[45:48], v0 offset:480
	v_add_f64 v[53:54], v[53:54], v[67:68]
	s_waitcnt vmcnt(31) lgkmcnt(1)
	v_mul_f64 v[67:68], v[43:44], v[85:86]
	v_add_f64 v[49:50], v[49:50], v[51:52]
	s_waitcnt vmcnt(29)
	v_fma_f64 v[57:58], v[1:2], v[89:90], -v[57:58]
	;; [unrolled: 9-line block ×7, first 2 shown]
	v_mul_f64 v[55:56], v[1:2], v[111:112]
	v_fma_f64 v[47:48], v[47:48], v[103:104], v[59:60]
	v_add_f64 v[53:54], v[53:54], v[67:68]
	v_add_f64 v[49:50], v[49:50], v[51:52]
	s_waitcnt vmcnt(7) lgkmcnt(0)
	v_mul_f64 v[59:60], v[43:44], v[113:114]
	v_mul_f64 v[51:52], v[41:42], v[113:114]
	s_waitcnt vmcnt(5)
	v_fma_f64 v[1:2], v[1:2], v[109:110], -v[57:58]
	v_fma_f64 v[3:4], v[3:4], v[109:110], v[55:56]
	v_add_f64 v[45:46], v[53:54], v[45:46]
	v_add_f64 v[47:48], v[49:50], v[47:48]
	s_waitcnt vmcnt(4)
	v_fma_f64 v[41:42], v[41:42], v[115:116], -v[59:60]
	v_fma_f64 v[43:44], v[43:44], v[115:116], v[51:52]
	v_add_f64 v[1:2], v[45:46], v[1:2]
	v_add_f64 v[3:4], v[47:48], v[3:4]
	;; [unrolled: 1-line block ×4, first 2 shown]
	s_waitcnt vmcnt(2)
	v_add_f64 v[1:2], v[63:64], -v[1:2]
	s_waitcnt vmcnt(0)
	v_add_f64 v[3:4], v[65:66], -v[3:4]
	buffer_store_dword v2, off, s[0:3], 0 offset:20
	buffer_store_dword v1, off, s[0:3], 0 offset:16
	;; [unrolled: 1-line block ×4, first 2 shown]
	s_cbranch_vccz .LBB17_156
; %bb.122:
	global_load_dword v0, v0, s[20:21] offset:64
	s_waitcnt vmcnt(0)
	v_add_nc_u32_e32 v0, -1, v0
	v_cmp_ne_u32_e32 vcc_lo, 16, v0
	s_cbranch_vccz .LBB17_124
; %bb.123:
	v_lshlrev_b32_e32 v0, 4, v0
	v_mov_b32_e32 v1, s9
	v_add_nc_u32_e32 v0, 16, v0
	s_clause 0x7
	buffer_load_dword v2, v0, s[0:3], 0 offen
	buffer_load_dword v3, v0, s[0:3], 0 offen offset:4
	buffer_load_dword v4, v0, s[0:3], 0 offen offset:8
	;; [unrolled: 1-line block ×6, first 2 shown]
	buffer_load_dword v45, v1, s[0:3], 0 offen
	s_waitcnt vmcnt(7)
	buffer_store_dword v2, v1, s[0:3], 0 offen
	s_waitcnt vmcnt(6)
	buffer_store_dword v3, v1, s[0:3], 0 offen offset:4
	s_waitcnt vmcnt(5)
	buffer_store_dword v4, v1, s[0:3], 0 offen offset:8
	;; [unrolled: 2-line block ×6, first 2 shown]
	s_waitcnt vmcnt(0)
	buffer_store_dword v45, v0, s[0:3], 0 offen
.LBB17_124:
	v_mov_b32_e32 v0, 0
	global_load_dword v1, v0, s[20:21] offset:60
	s_waitcnt vmcnt(0)
	v_add_nc_u32_e32 v1, -1, v1
	v_cmp_eq_u32_e32 vcc_lo, 15, v1
	s_cbranch_vccnz .LBB17_126
; %bb.125:
	v_lshlrev_b32_e32 v1, 4, v1
	v_mov_b32_e32 v2, s12
	v_add_nc_u32_e32 v1, 16, v1
	s_clause 0x7
	buffer_load_dword v3, v1, s[0:3], 0 offen
	buffer_load_dword v4, v1, s[0:3], 0 offen offset:4
	buffer_load_dword v41, v1, s[0:3], 0 offen offset:8
	;; [unrolled: 1-line block ×6, first 2 shown]
	buffer_load_dword v46, v2, s[0:3], 0 offen
	s_waitcnt vmcnt(7)
	buffer_store_dword v3, v2, s[0:3], 0 offen
	s_waitcnt vmcnt(6)
	buffer_store_dword v4, v2, s[0:3], 0 offen offset:4
	s_waitcnt vmcnt(5)
	buffer_store_dword v41, v2, s[0:3], 0 offen offset:8
	;; [unrolled: 2-line block ×6, first 2 shown]
	s_waitcnt vmcnt(0)
	buffer_store_dword v46, v1, s[0:3], 0 offen
.LBB17_126:
	global_load_dword v0, v0, s[20:21] offset:56
	s_waitcnt vmcnt(0)
	v_add_nc_u32_e32 v0, -1, v0
	v_cmp_eq_u32_e32 vcc_lo, 14, v0
	s_cbranch_vccnz .LBB17_128
; %bb.127:
	v_lshlrev_b32_e32 v0, 4, v0
	v_mov_b32_e32 v1, s13
	v_add_nc_u32_e32 v0, 16, v0
	s_clause 0x7
	buffer_load_dword v2, v0, s[0:3], 0 offen
	buffer_load_dword v3, v0, s[0:3], 0 offen offset:4
	buffer_load_dword v4, v0, s[0:3], 0 offen offset:8
	;; [unrolled: 1-line block ×6, first 2 shown]
	buffer_load_dword v45, v1, s[0:3], 0 offen
	s_waitcnt vmcnt(7)
	buffer_store_dword v2, v1, s[0:3], 0 offen
	s_waitcnt vmcnt(6)
	buffer_store_dword v3, v1, s[0:3], 0 offen offset:4
	s_waitcnt vmcnt(5)
	buffer_store_dword v4, v1, s[0:3], 0 offen offset:8
	;; [unrolled: 2-line block ×6, first 2 shown]
	s_waitcnt vmcnt(0)
	buffer_store_dword v45, v0, s[0:3], 0 offen
.LBB17_128:
	v_mov_b32_e32 v0, 0
	global_load_dword v1, v0, s[20:21] offset:52
	s_waitcnt vmcnt(0)
	v_add_nc_u32_e32 v1, -1, v1
	v_cmp_eq_u32_e32 vcc_lo, 13, v1
	s_cbranch_vccnz .LBB17_130
; %bb.129:
	v_lshlrev_b32_e32 v1, 4, v1
	v_mov_b32_e32 v2, s14
	v_add_nc_u32_e32 v1, 16, v1
	s_clause 0x7
	buffer_load_dword v3, v1, s[0:3], 0 offen
	buffer_load_dword v4, v1, s[0:3], 0 offen offset:4
	buffer_load_dword v41, v1, s[0:3], 0 offen offset:8
	;; [unrolled: 1-line block ×6, first 2 shown]
	buffer_load_dword v46, v2, s[0:3], 0 offen
	s_waitcnt vmcnt(7)
	buffer_store_dword v3, v2, s[0:3], 0 offen
	s_waitcnt vmcnt(6)
	buffer_store_dword v4, v2, s[0:3], 0 offen offset:4
	s_waitcnt vmcnt(5)
	buffer_store_dword v41, v2, s[0:3], 0 offen offset:8
	;; [unrolled: 2-line block ×6, first 2 shown]
	s_waitcnt vmcnt(0)
	buffer_store_dword v46, v1, s[0:3], 0 offen
.LBB17_130:
	global_load_dword v0, v0, s[20:21] offset:48
	s_waitcnt vmcnt(0)
	v_add_nc_u32_e32 v0, -1, v0
	v_cmp_eq_u32_e32 vcc_lo, 12, v0
	s_cbranch_vccnz .LBB17_132
; %bb.131:
	v_lshlrev_b32_e32 v0, 4, v0
	v_mov_b32_e32 v1, s15
	v_add_nc_u32_e32 v0, 16, v0
	s_clause 0x7
	buffer_load_dword v2, v0, s[0:3], 0 offen
	buffer_load_dword v3, v0, s[0:3], 0 offen offset:4
	buffer_load_dword v4, v0, s[0:3], 0 offen offset:8
	;; [unrolled: 1-line block ×6, first 2 shown]
	buffer_load_dword v45, v1, s[0:3], 0 offen
	s_waitcnt vmcnt(7)
	buffer_store_dword v2, v1, s[0:3], 0 offen
	s_waitcnt vmcnt(6)
	buffer_store_dword v3, v1, s[0:3], 0 offen offset:4
	s_waitcnt vmcnt(5)
	buffer_store_dword v4, v1, s[0:3], 0 offen offset:8
	;; [unrolled: 2-line block ×6, first 2 shown]
	s_waitcnt vmcnt(0)
	buffer_store_dword v45, v0, s[0:3], 0 offen
.LBB17_132:
	v_mov_b32_e32 v0, 0
	global_load_dword v1, v0, s[20:21] offset:44
	s_waitcnt vmcnt(0)
	v_add_nc_u32_e32 v1, -1, v1
	v_cmp_eq_u32_e32 vcc_lo, 11, v1
	s_cbranch_vccnz .LBB17_134
; %bb.133:
	v_lshlrev_b32_e32 v1, 4, v1
	v_mov_b32_e32 v2, s16
	v_add_nc_u32_e32 v1, 16, v1
	s_clause 0x7
	buffer_load_dword v3, v1, s[0:3], 0 offen
	buffer_load_dword v4, v1, s[0:3], 0 offen offset:4
	buffer_load_dword v41, v1, s[0:3], 0 offen offset:8
	;; [unrolled: 1-line block ×6, first 2 shown]
	buffer_load_dword v46, v2, s[0:3], 0 offen
	s_waitcnt vmcnt(7)
	buffer_store_dword v3, v2, s[0:3], 0 offen
	s_waitcnt vmcnt(6)
	buffer_store_dword v4, v2, s[0:3], 0 offen offset:4
	s_waitcnt vmcnt(5)
	buffer_store_dword v41, v2, s[0:3], 0 offen offset:8
	s_waitcnt vmcnt(4)
	buffer_store_dword v42, v2, s[0:3], 0 offen offset:12
	s_waitcnt vmcnt(3)
	buffer_store_dword v43, v1, s[0:3], 0 offen offset:12
	s_waitcnt vmcnt(2)
	buffer_store_dword v44, v1, s[0:3], 0 offen offset:8
	s_waitcnt vmcnt(1)
	buffer_store_dword v45, v1, s[0:3], 0 offen offset:4
	s_waitcnt vmcnt(0)
	buffer_store_dword v46, v1, s[0:3], 0 offen
.LBB17_134:
	global_load_dword v0, v0, s[20:21] offset:40
	s_waitcnt vmcnt(0)
	v_add_nc_u32_e32 v0, -1, v0
	v_cmp_eq_u32_e32 vcc_lo, 10, v0
	s_cbranch_vccnz .LBB17_136
; %bb.135:
	v_lshlrev_b32_e32 v0, 4, v0
	v_mov_b32_e32 v1, s17
	v_add_nc_u32_e32 v0, 16, v0
	s_clause 0x7
	buffer_load_dword v2, v0, s[0:3], 0 offen
	buffer_load_dword v3, v0, s[0:3], 0 offen offset:4
	buffer_load_dword v4, v0, s[0:3], 0 offen offset:8
	buffer_load_dword v41, v0, s[0:3], 0 offen offset:12
	buffer_load_dword v42, v1, s[0:3], 0 offen offset:12
	buffer_load_dword v43, v1, s[0:3], 0 offen offset:8
	buffer_load_dword v44, v1, s[0:3], 0 offen offset:4
	buffer_load_dword v45, v1, s[0:3], 0 offen
	s_waitcnt vmcnt(7)
	buffer_store_dword v2, v1, s[0:3], 0 offen
	s_waitcnt vmcnt(6)
	buffer_store_dword v3, v1, s[0:3], 0 offen offset:4
	s_waitcnt vmcnt(5)
	buffer_store_dword v4, v1, s[0:3], 0 offen offset:8
	;; [unrolled: 2-line block ×6, first 2 shown]
	s_waitcnt vmcnt(0)
	buffer_store_dword v45, v0, s[0:3], 0 offen
.LBB17_136:
	v_mov_b32_e32 v0, 0
	global_load_dword v1, v0, s[20:21] offset:36
	s_waitcnt vmcnt(0)
	v_add_nc_u32_e32 v1, -1, v1
	v_cmp_eq_u32_e32 vcc_lo, 9, v1
	s_cbranch_vccnz .LBB17_138
; %bb.137:
	v_lshlrev_b32_e32 v1, 4, v1
	v_mov_b32_e32 v2, s18
	v_add_nc_u32_e32 v1, 16, v1
	s_clause 0x7
	buffer_load_dword v3, v1, s[0:3], 0 offen
	buffer_load_dword v4, v1, s[0:3], 0 offen offset:4
	buffer_load_dword v41, v1, s[0:3], 0 offen offset:8
	;; [unrolled: 1-line block ×6, first 2 shown]
	buffer_load_dword v46, v2, s[0:3], 0 offen
	s_waitcnt vmcnt(7)
	buffer_store_dword v3, v2, s[0:3], 0 offen
	s_waitcnt vmcnt(6)
	buffer_store_dword v4, v2, s[0:3], 0 offen offset:4
	s_waitcnt vmcnt(5)
	buffer_store_dword v41, v2, s[0:3], 0 offen offset:8
	s_waitcnt vmcnt(4)
	buffer_store_dword v42, v2, s[0:3], 0 offen offset:12
	s_waitcnt vmcnt(3)
	buffer_store_dword v43, v1, s[0:3], 0 offen offset:12
	s_waitcnt vmcnt(2)
	buffer_store_dword v44, v1, s[0:3], 0 offen offset:8
	s_waitcnt vmcnt(1)
	buffer_store_dword v45, v1, s[0:3], 0 offen offset:4
	s_waitcnt vmcnt(0)
	buffer_store_dword v46, v1, s[0:3], 0 offen
.LBB17_138:
	global_load_dword v0, v0, s[20:21] offset:32
	s_waitcnt vmcnt(0)
	v_add_nc_u32_e32 v0, -1, v0
	v_cmp_eq_u32_e32 vcc_lo, 8, v0
	s_cbranch_vccnz .LBB17_140
; %bb.139:
	v_lshlrev_b32_e32 v0, 4, v0
	v_mov_b32_e32 v1, s19
	v_add_nc_u32_e32 v0, 16, v0
	s_clause 0x7
	buffer_load_dword v2, v0, s[0:3], 0 offen
	buffer_load_dword v3, v0, s[0:3], 0 offen offset:4
	buffer_load_dword v4, v0, s[0:3], 0 offen offset:8
	;; [unrolled: 1-line block ×6, first 2 shown]
	buffer_load_dword v45, v1, s[0:3], 0 offen
	s_waitcnt vmcnt(7)
	buffer_store_dword v2, v1, s[0:3], 0 offen
	s_waitcnt vmcnt(6)
	buffer_store_dword v3, v1, s[0:3], 0 offen offset:4
	s_waitcnt vmcnt(5)
	buffer_store_dword v4, v1, s[0:3], 0 offen offset:8
	;; [unrolled: 2-line block ×6, first 2 shown]
	s_waitcnt vmcnt(0)
	buffer_store_dword v45, v0, s[0:3], 0 offen
.LBB17_140:
	v_mov_b32_e32 v0, 0
	global_load_dword v1, v0, s[20:21] offset:28
	s_waitcnt vmcnt(0)
	v_add_nc_u32_e32 v1, -1, v1
	v_cmp_eq_u32_e32 vcc_lo, 7, v1
	s_cbranch_vccnz .LBB17_142
; %bb.141:
	v_lshlrev_b32_e32 v1, 4, v1
	v_mov_b32_e32 v2, s22
	v_add_nc_u32_e32 v1, 16, v1
	s_clause 0x7
	buffer_load_dword v3, v1, s[0:3], 0 offen
	buffer_load_dword v4, v1, s[0:3], 0 offen offset:4
	buffer_load_dword v41, v1, s[0:3], 0 offen offset:8
	;; [unrolled: 1-line block ×6, first 2 shown]
	buffer_load_dword v46, v2, s[0:3], 0 offen
	s_waitcnt vmcnt(7)
	buffer_store_dword v3, v2, s[0:3], 0 offen
	s_waitcnt vmcnt(6)
	buffer_store_dword v4, v2, s[0:3], 0 offen offset:4
	s_waitcnt vmcnt(5)
	buffer_store_dword v41, v2, s[0:3], 0 offen offset:8
	;; [unrolled: 2-line block ×6, first 2 shown]
	s_waitcnt vmcnt(0)
	buffer_store_dword v46, v1, s[0:3], 0 offen
.LBB17_142:
	global_load_dword v0, v0, s[20:21] offset:24
	s_waitcnt vmcnt(0)
	v_add_nc_u32_e32 v0, -1, v0
	v_cmp_eq_u32_e32 vcc_lo, 6, v0
	s_cbranch_vccnz .LBB17_144
; %bb.143:
	v_lshlrev_b32_e32 v0, 4, v0
	v_mov_b32_e32 v1, s23
	v_add_nc_u32_e32 v0, 16, v0
	s_clause 0x7
	buffer_load_dword v2, v0, s[0:3], 0 offen
	buffer_load_dword v3, v0, s[0:3], 0 offen offset:4
	buffer_load_dword v4, v0, s[0:3], 0 offen offset:8
	;; [unrolled: 1-line block ×6, first 2 shown]
	buffer_load_dword v45, v1, s[0:3], 0 offen
	s_waitcnt vmcnt(7)
	buffer_store_dword v2, v1, s[0:3], 0 offen
	s_waitcnt vmcnt(6)
	buffer_store_dword v3, v1, s[0:3], 0 offen offset:4
	s_waitcnt vmcnt(5)
	buffer_store_dword v4, v1, s[0:3], 0 offen offset:8
	;; [unrolled: 2-line block ×6, first 2 shown]
	s_waitcnt vmcnt(0)
	buffer_store_dword v45, v0, s[0:3], 0 offen
.LBB17_144:
	v_mov_b32_e32 v0, 0
	global_load_dword v1, v0, s[20:21] offset:20
	s_waitcnt vmcnt(0)
	v_add_nc_u32_e32 v1, -1, v1
	v_cmp_eq_u32_e32 vcc_lo, 5, v1
	s_cbranch_vccnz .LBB17_146
; %bb.145:
	v_lshlrev_b32_e32 v1, 4, v1
	v_mov_b32_e32 v2, s24
	v_add_nc_u32_e32 v1, 16, v1
	s_clause 0x7
	buffer_load_dword v3, v1, s[0:3], 0 offen
	buffer_load_dword v4, v1, s[0:3], 0 offen offset:4
	buffer_load_dword v41, v1, s[0:3], 0 offen offset:8
	;; [unrolled: 1-line block ×6, first 2 shown]
	buffer_load_dword v46, v2, s[0:3], 0 offen
	s_waitcnt vmcnt(7)
	buffer_store_dword v3, v2, s[0:3], 0 offen
	s_waitcnt vmcnt(6)
	buffer_store_dword v4, v2, s[0:3], 0 offen offset:4
	s_waitcnt vmcnt(5)
	buffer_store_dword v41, v2, s[0:3], 0 offen offset:8
	;; [unrolled: 2-line block ×6, first 2 shown]
	s_waitcnt vmcnt(0)
	buffer_store_dword v46, v1, s[0:3], 0 offen
.LBB17_146:
	global_load_dword v0, v0, s[20:21] offset:16
	s_waitcnt vmcnt(0)
	v_add_nc_u32_e32 v0, -1, v0
	v_cmp_eq_u32_e32 vcc_lo, 4, v0
	s_cbranch_vccnz .LBB17_148
; %bb.147:
	v_lshlrev_b32_e32 v0, 4, v0
	v_mov_b32_e32 v1, s25
	v_add_nc_u32_e32 v0, 16, v0
	s_clause 0x7
	buffer_load_dword v2, v0, s[0:3], 0 offen
	buffer_load_dword v3, v0, s[0:3], 0 offen offset:4
	buffer_load_dword v4, v0, s[0:3], 0 offen offset:8
	;; [unrolled: 1-line block ×6, first 2 shown]
	buffer_load_dword v45, v1, s[0:3], 0 offen
	s_waitcnt vmcnt(7)
	buffer_store_dword v2, v1, s[0:3], 0 offen
	s_waitcnt vmcnt(6)
	buffer_store_dword v3, v1, s[0:3], 0 offen offset:4
	s_waitcnt vmcnt(5)
	buffer_store_dword v4, v1, s[0:3], 0 offen offset:8
	;; [unrolled: 2-line block ×6, first 2 shown]
	s_waitcnt vmcnt(0)
	buffer_store_dword v45, v0, s[0:3], 0 offen
.LBB17_148:
	v_mov_b32_e32 v0, 0
	global_load_dword v1, v0, s[20:21] offset:12
	s_waitcnt vmcnt(0)
	v_add_nc_u32_e32 v1, -1, v1
	v_cmp_eq_u32_e32 vcc_lo, 3, v1
	s_cbranch_vccnz .LBB17_150
; %bb.149:
	v_lshlrev_b32_e32 v1, 4, v1
	v_mov_b32_e32 v2, s26
	v_add_nc_u32_e32 v1, 16, v1
	s_clause 0x7
	buffer_load_dword v3, v1, s[0:3], 0 offen
	buffer_load_dword v4, v1, s[0:3], 0 offen offset:4
	buffer_load_dword v41, v1, s[0:3], 0 offen offset:8
	;; [unrolled: 1-line block ×6, first 2 shown]
	buffer_load_dword v46, v2, s[0:3], 0 offen
	s_waitcnt vmcnt(7)
	buffer_store_dword v3, v2, s[0:3], 0 offen
	s_waitcnt vmcnt(6)
	buffer_store_dword v4, v2, s[0:3], 0 offen offset:4
	s_waitcnt vmcnt(5)
	buffer_store_dword v41, v2, s[0:3], 0 offen offset:8
	;; [unrolled: 2-line block ×6, first 2 shown]
	s_waitcnt vmcnt(0)
	buffer_store_dword v46, v1, s[0:3], 0 offen
.LBB17_150:
	global_load_dword v0, v0, s[20:21] offset:8
	s_waitcnt vmcnt(0)
	v_add_nc_u32_e32 v0, -1, v0
	v_cmp_eq_u32_e32 vcc_lo, 2, v0
	s_cbranch_vccnz .LBB17_152
; %bb.151:
	v_lshlrev_b32_e32 v0, 4, v0
	v_mov_b32_e32 v1, s27
	v_add_nc_u32_e32 v0, 16, v0
	s_clause 0x7
	buffer_load_dword v2, v0, s[0:3], 0 offen
	buffer_load_dword v3, v0, s[0:3], 0 offen offset:4
	buffer_load_dword v4, v0, s[0:3], 0 offen offset:8
	buffer_load_dword v41, v0, s[0:3], 0 offen offset:12
	buffer_load_dword v42, v1, s[0:3], 0 offen offset:12
	buffer_load_dword v43, v1, s[0:3], 0 offen offset:8
	buffer_load_dword v44, v1, s[0:3], 0 offen offset:4
	buffer_load_dword v45, v1, s[0:3], 0 offen
	s_waitcnt vmcnt(7)
	buffer_store_dword v2, v1, s[0:3], 0 offen
	s_waitcnt vmcnt(6)
	buffer_store_dword v3, v1, s[0:3], 0 offen offset:4
	s_waitcnt vmcnt(5)
	buffer_store_dword v4, v1, s[0:3], 0 offen offset:8
	;; [unrolled: 2-line block ×6, first 2 shown]
	s_waitcnt vmcnt(0)
	buffer_store_dword v45, v0, s[0:3], 0 offen
.LBB17_152:
	v_mov_b32_e32 v0, 0
	global_load_dword v1, v0, s[20:21] offset:4
	s_waitcnt vmcnt(0)
	v_add_nc_u32_e32 v1, -1, v1
	v_cmp_eq_u32_e32 vcc_lo, 1, v1
	s_cbranch_vccnz .LBB17_154
; %bb.153:
	v_lshlrev_b32_e32 v1, 4, v1
	v_mov_b32_e32 v2, s28
	v_add_nc_u32_e32 v1, 16, v1
	s_clause 0x7
	buffer_load_dword v3, v1, s[0:3], 0 offen
	buffer_load_dword v4, v1, s[0:3], 0 offen offset:4
	buffer_load_dword v41, v1, s[0:3], 0 offen offset:8
	;; [unrolled: 1-line block ×6, first 2 shown]
	buffer_load_dword v46, v2, s[0:3], 0 offen
	s_waitcnt vmcnt(7)
	buffer_store_dword v3, v2, s[0:3], 0 offen
	s_waitcnt vmcnt(6)
	buffer_store_dword v4, v2, s[0:3], 0 offen offset:4
	s_waitcnt vmcnt(5)
	buffer_store_dword v41, v2, s[0:3], 0 offen offset:8
	s_waitcnt vmcnt(4)
	buffer_store_dword v42, v2, s[0:3], 0 offen offset:12
	s_waitcnt vmcnt(3)
	buffer_store_dword v43, v1, s[0:3], 0 offen offset:12
	s_waitcnt vmcnt(2)
	buffer_store_dword v44, v1, s[0:3], 0 offen offset:8
	s_waitcnt vmcnt(1)
	buffer_store_dword v45, v1, s[0:3], 0 offen offset:4
	s_waitcnt vmcnt(0)
	buffer_store_dword v46, v1, s[0:3], 0 offen
.LBB17_154:
	global_load_dword v0, v0, s[20:21]
	s_waitcnt vmcnt(0)
	v_add_nc_u32_e32 v0, -1, v0
	v_cmp_eq_u32_e32 vcc_lo, 0, v0
	s_cbranch_vccnz .LBB17_156
; %bb.155:
	v_lshlrev_b32_e32 v0, 4, v0
	v_add_nc_u32_e32 v0, 16, v0
	s_clause 0x7
	buffer_load_dword v1, v0, s[0:3], 0 offen
	buffer_load_dword v2, v0, s[0:3], 0 offen offset:4
	buffer_load_dword v3, v0, s[0:3], 0 offen offset:8
	;; [unrolled: 1-line block ×3, first 2 shown]
	buffer_load_dword v41, off, s[0:3], 0 offset:28
	buffer_load_dword v42, off, s[0:3], 0 offset:24
	;; [unrolled: 1-line block ×4, first 2 shown]
	s_waitcnt vmcnt(7)
	buffer_store_dword v1, off, s[0:3], 0 offset:16
	s_waitcnt vmcnt(6)
	buffer_store_dword v2, off, s[0:3], 0 offset:20
	;; [unrolled: 2-line block ×4, first 2 shown]
	s_waitcnt vmcnt(3)
	buffer_store_dword v41, v0, s[0:3], 0 offen offset:12
	s_waitcnt vmcnt(2)
	buffer_store_dword v42, v0, s[0:3], 0 offen offset:8
	s_waitcnt vmcnt(1)
	buffer_store_dword v43, v0, s[0:3], 0 offen offset:4
	s_waitcnt vmcnt(0)
	buffer_store_dword v44, v0, s[0:3], 0 offen
.LBB17_156:
	v_mov_b32_e32 v48, s27
	v_mov_b32_e32 v56, s25
	v_mov_b32_e32 v64, s23
	v_mov_b32_e32 v4, s28
	v_mov_b32_e32 v72, s19
	s_clause 0x7
	buffer_load_dword v0, off, s[0:3], 0 offset:16
	buffer_load_dword v1, off, s[0:3], 0 offset:20
	;; [unrolled: 1-line block ×4, first 2 shown]
	buffer_load_dword v41, v4, s[0:3], 0 offen
	buffer_load_dword v42, v4, s[0:3], 0 offen offset:4
	buffer_load_dword v43, v4, s[0:3], 0 offen offset:8
	buffer_load_dword v44, v4, s[0:3], 0 offen offset:12
	v_mov_b32_e32 v4, s26
	v_mov_b32_e32 v80, s17
	s_clause 0x7
	buffer_load_dword v45, v48, s[0:3], 0 offen
	buffer_load_dword v46, v48, s[0:3], 0 offen offset:4
	buffer_load_dword v47, v48, s[0:3], 0 offen offset:8
	buffer_load_dword v48, v48, s[0:3], 0 offen offset:12
	buffer_load_dword v49, v4, s[0:3], 0 offen
	buffer_load_dword v50, v4, s[0:3], 0 offen offset:4
	buffer_load_dword v51, v4, s[0:3], 0 offen offset:8
	buffer_load_dword v52, v4, s[0:3], 0 offen offset:12
	v_mov_b32_e32 v4, s24
	v_mov_b32_e32 v88, s15
	s_clause 0x7
	buffer_load_dword v53, v56, s[0:3], 0 offen
	buffer_load_dword v54, v56, s[0:3], 0 offen offset:4
	buffer_load_dword v55, v56, s[0:3], 0 offen offset:8
	buffer_load_dword v56, v56, s[0:3], 0 offen offset:12
	;; [unrolled: 11-line block ×4, first 2 shown]
	buffer_load_dword v73, v4, s[0:3], 0 offen
	buffer_load_dword v74, v4, s[0:3], 0 offen offset:4
	buffer_load_dword v75, v4, s[0:3], 0 offen offset:8
	buffer_load_dword v76, v4, s[0:3], 0 offen offset:12
	v_mov_b32_e32 v4, s16
	s_clause 0x7
	buffer_load_dword v77, v80, s[0:3], 0 offen
	buffer_load_dword v78, v80, s[0:3], 0 offen offset:4
	buffer_load_dword v79, v80, s[0:3], 0 offen offset:8
	buffer_load_dword v80, v80, s[0:3], 0 offen offset:12
	buffer_load_dword v81, v4, s[0:3], 0 offen
	buffer_load_dword v82, v4, s[0:3], 0 offen offset:4
	buffer_load_dword v83, v4, s[0:3], 0 offen offset:8
	buffer_load_dword v84, v4, s[0:3], 0 offen offset:12
	v_mov_b32_e32 v4, s14
	s_clause 0x7
	buffer_load_dword v85, v88, s[0:3], 0 offen
	buffer_load_dword v86, v88, s[0:3], 0 offen offset:4
	buffer_load_dword v87, v88, s[0:3], 0 offen offset:8
	buffer_load_dword v88, v88, s[0:3], 0 offen offset:12
	;; [unrolled: 10-line block ×4, first 2 shown]
	buffer_load_dword v105, v4, s[0:3], 0 offen
	buffer_load_dword v106, v4, s[0:3], 0 offen offset:4
	buffer_load_dword v107, v4, s[0:3], 0 offen offset:8
	;; [unrolled: 1-line block ×3, first 2 shown]
	s_waitcnt vmcnt(62)
	global_store_dwordx4 v[5:6], v[0:3], off
	global_store_dwordx4 v[7:8], v[41:44], off
	s_waitcnt vmcnt(60)
	global_store_dwordx4 v[9:10], v[45:48], off
	s_waitcnt vmcnt(56)
	;; [unrolled: 2-line block ×16, first 2 shown]
	global_store_dwordx4 v[39:40], v[105:108], off
	s_endpgm
	.section	.rodata,"a",@progbits
	.p2align	6, 0x0
	.amdhsa_kernel _ZN9rocsolver6v33100L18getri_kernel_smallILi18E19rocblas_complex_numIdEPS3_EEvT1_iilPiilS6_bb
		.amdhsa_group_segment_fixed_size 584
		.amdhsa_private_segment_fixed_size 320
		.amdhsa_kernarg_size 60
		.amdhsa_user_sgpr_count 6
		.amdhsa_user_sgpr_private_segment_buffer 1
		.amdhsa_user_sgpr_dispatch_ptr 0
		.amdhsa_user_sgpr_queue_ptr 0
		.amdhsa_user_sgpr_kernarg_segment_ptr 1
		.amdhsa_user_sgpr_dispatch_id 0
		.amdhsa_user_sgpr_flat_scratch_init 0
		.amdhsa_user_sgpr_private_segment_size 0
		.amdhsa_wavefront_size32 1
		.amdhsa_uses_dynamic_stack 0
		.amdhsa_system_sgpr_private_segment_wavefront_offset 1
		.amdhsa_system_sgpr_workgroup_id_x 1
		.amdhsa_system_sgpr_workgroup_id_y 0
		.amdhsa_system_sgpr_workgroup_id_z 0
		.amdhsa_system_sgpr_workgroup_info 0
		.amdhsa_system_vgpr_workitem_id 0
		.amdhsa_next_free_vgpr 122
		.amdhsa_next_free_sgpr 38
		.amdhsa_reserve_vcc 1
		.amdhsa_reserve_flat_scratch 0
		.amdhsa_float_round_mode_32 0
		.amdhsa_float_round_mode_16_64 0
		.amdhsa_float_denorm_mode_32 3
		.amdhsa_float_denorm_mode_16_64 3
		.amdhsa_dx10_clamp 1
		.amdhsa_ieee_mode 1
		.amdhsa_fp16_overflow 0
		.amdhsa_workgroup_processor_mode 1
		.amdhsa_memory_ordered 1
		.amdhsa_forward_progress 1
		.amdhsa_shared_vgpr_count 0
		.amdhsa_exception_fp_ieee_invalid_op 0
		.amdhsa_exception_fp_denorm_src 0
		.amdhsa_exception_fp_ieee_div_zero 0
		.amdhsa_exception_fp_ieee_overflow 0
		.amdhsa_exception_fp_ieee_underflow 0
		.amdhsa_exception_fp_ieee_inexact 0
		.amdhsa_exception_int_div_zero 0
	.end_amdhsa_kernel
	.section	.text._ZN9rocsolver6v33100L18getri_kernel_smallILi18E19rocblas_complex_numIdEPS3_EEvT1_iilPiilS6_bb,"axG",@progbits,_ZN9rocsolver6v33100L18getri_kernel_smallILi18E19rocblas_complex_numIdEPS3_EEvT1_iilPiilS6_bb,comdat
.Lfunc_end17:
	.size	_ZN9rocsolver6v33100L18getri_kernel_smallILi18E19rocblas_complex_numIdEPS3_EEvT1_iilPiilS6_bb, .Lfunc_end17-_ZN9rocsolver6v33100L18getri_kernel_smallILi18E19rocblas_complex_numIdEPS3_EEvT1_iilPiilS6_bb
                                        ; -- End function
	.set _ZN9rocsolver6v33100L18getri_kernel_smallILi18E19rocblas_complex_numIdEPS3_EEvT1_iilPiilS6_bb.num_vgpr, 122
	.set _ZN9rocsolver6v33100L18getri_kernel_smallILi18E19rocblas_complex_numIdEPS3_EEvT1_iilPiilS6_bb.num_agpr, 0
	.set _ZN9rocsolver6v33100L18getri_kernel_smallILi18E19rocblas_complex_numIdEPS3_EEvT1_iilPiilS6_bb.numbered_sgpr, 38
	.set _ZN9rocsolver6v33100L18getri_kernel_smallILi18E19rocblas_complex_numIdEPS3_EEvT1_iilPiilS6_bb.num_named_barrier, 0
	.set _ZN9rocsolver6v33100L18getri_kernel_smallILi18E19rocblas_complex_numIdEPS3_EEvT1_iilPiilS6_bb.private_seg_size, 320
	.set _ZN9rocsolver6v33100L18getri_kernel_smallILi18E19rocblas_complex_numIdEPS3_EEvT1_iilPiilS6_bb.uses_vcc, 1
	.set _ZN9rocsolver6v33100L18getri_kernel_smallILi18E19rocblas_complex_numIdEPS3_EEvT1_iilPiilS6_bb.uses_flat_scratch, 0
	.set _ZN9rocsolver6v33100L18getri_kernel_smallILi18E19rocblas_complex_numIdEPS3_EEvT1_iilPiilS6_bb.has_dyn_sized_stack, 0
	.set _ZN9rocsolver6v33100L18getri_kernel_smallILi18E19rocblas_complex_numIdEPS3_EEvT1_iilPiilS6_bb.has_recursion, 0
	.set _ZN9rocsolver6v33100L18getri_kernel_smallILi18E19rocblas_complex_numIdEPS3_EEvT1_iilPiilS6_bb.has_indirect_call, 0
	.section	.AMDGPU.csdata,"",@progbits
; Kernel info:
; codeLenInByte = 31804
; TotalNumSgprs: 40
; NumVgprs: 122
; ScratchSize: 320
; MemoryBound: 0
; FloatMode: 240
; IeeeMode: 1
; LDSByteSize: 584 bytes/workgroup (compile time only)
; SGPRBlocks: 0
; VGPRBlocks: 15
; NumSGPRsForWavesPerEU: 40
; NumVGPRsForWavesPerEU: 122
; Occupancy: 8
; WaveLimiterHint : 1
; COMPUTE_PGM_RSRC2:SCRATCH_EN: 1
; COMPUTE_PGM_RSRC2:USER_SGPR: 6
; COMPUTE_PGM_RSRC2:TRAP_HANDLER: 0
; COMPUTE_PGM_RSRC2:TGID_X_EN: 1
; COMPUTE_PGM_RSRC2:TGID_Y_EN: 0
; COMPUTE_PGM_RSRC2:TGID_Z_EN: 0
; COMPUTE_PGM_RSRC2:TIDIG_COMP_CNT: 0
	.section	.text._ZN9rocsolver6v33100L18getri_kernel_smallILi19E19rocblas_complex_numIdEPS3_EEvT1_iilPiilS6_bb,"axG",@progbits,_ZN9rocsolver6v33100L18getri_kernel_smallILi19E19rocblas_complex_numIdEPS3_EEvT1_iilPiilS6_bb,comdat
	.globl	_ZN9rocsolver6v33100L18getri_kernel_smallILi19E19rocblas_complex_numIdEPS3_EEvT1_iilPiilS6_bb ; -- Begin function _ZN9rocsolver6v33100L18getri_kernel_smallILi19E19rocblas_complex_numIdEPS3_EEvT1_iilPiilS6_bb
	.p2align	8
	.type	_ZN9rocsolver6v33100L18getri_kernel_smallILi19E19rocblas_complex_numIdEPS3_EEvT1_iilPiilS6_bb,@function
_ZN9rocsolver6v33100L18getri_kernel_smallILi19E19rocblas_complex_numIdEPS3_EEvT1_iilPiilS6_bb: ; @_ZN9rocsolver6v33100L18getri_kernel_smallILi19E19rocblas_complex_numIdEPS3_EEvT1_iilPiilS6_bb
; %bb.0:
	s_add_u32 s0, s0, s7
	s_addc_u32 s1, s1, 0
	s_mov_b32 s7, exec_lo
	v_cmpx_gt_u32_e32 19, v0
	s_cbranch_execz .LBB18_90
; %bb.1:
	s_clause 0x2
	s_load_dword s7, s[4:5], 0x38
	s_load_dwordx4 s[16:19], s[4:5], 0x10
	s_load_dwordx4 s[8:11], s[4:5], 0x28
                                        ; implicit-def: $sgpr20_sgpr21
	s_waitcnt lgkmcnt(0)
	s_bitcmp1_b32 s7, 8
	s_cselect_b32 s30, -1, 0
	s_bfe_u32 s12, s7, 0x10008
	s_ashr_i32 s7, s6, 31
	s_cmp_eq_u32 s12, 0
	s_cbranch_scc1 .LBB18_3
; %bb.2:
	s_load_dword s12, s[4:5], 0x20
	s_mul_i32 s13, s8, s7
	s_mul_hi_u32 s14, s8, s6
	s_mul_i32 s9, s9, s6
	s_add_i32 s13, s14, s13
	s_mul_i32 s8, s8, s6
	s_add_i32 s9, s13, s9
	s_lshl_b64 s[8:9], s[8:9], 2
	s_waitcnt lgkmcnt(0)
	s_ashr_i32 s13, s12, 31
	s_add_u32 s14, s18, s8
	s_addc_u32 s15, s19, s9
	s_lshl_b64 s[8:9], s[12:13], 2
	s_add_u32 s20, s14, s8
	s_addc_u32 s21, s15, s9
.LBB18_3:
	s_clause 0x1
	s_load_dwordx4 s[12:15], s[4:5], 0x0
	s_load_dword s31, s[4:5], 0x38
	s_mul_i32 s4, s16, s7
	s_mul_hi_u32 s5, s16, s6
	s_mul_i32 s8, s17, s6
	s_add_i32 s5, s5, s4
	s_mul_i32 s4, s16, s6
	s_add_i32 s5, s5, s8
	v_lshlrev_b32_e32 v49, 4, v0
	s_lshl_b64 s[4:5], s[4:5], 4
	s_movk_i32 s16, 0xc0
	s_movk_i32 s33, 0xd0
	;; [unrolled: 1-line block ×7, first 2 shown]
	s_mov_b32 s29, 32
	s_mov_b32 s28, 48
	;; [unrolled: 1-line block ×3, first 2 shown]
	s_waitcnt lgkmcnt(0)
	v_add3_u32 v7, s15, s15, v0
	s_ashr_i32 s9, s14, 31
	s_mov_b32 s8, s14
	s_add_u32 s12, s12, s4
	s_addc_u32 s13, s13, s5
	v_add_nc_u32_e32 v9, s15, v7
	s_lshl_b64 s[4:5], s[8:9], 4
	v_ashrrev_i32_e32 v8, 31, v7
	s_add_u32 s4, s12, s4
	s_addc_u32 s5, s13, s5
	v_ashrrev_i32_e32 v10, 31, v9
	v_add_co_u32 v5, s12, s4, v49
	s_mov_b32 s8, s15
	s_ashr_i32 s9, s15, 31
	v_lshlrev_b64 v[11:12], 4, v[7:8]
	v_add_nc_u32_e32 v13, s15, v9
	v_add_co_ci_u32_e64 v6, null, s5, 0, s12
	s_lshl_b64 s[8:9], s[8:9], 4
	v_lshlrev_b64 v[14:15], 4, v[9:10]
	v_add_co_u32 v7, vcc_lo, v5, s8
	v_add_nc_u32_e32 v16, s15, v13
	v_add_co_ci_u32_e64 v8, null, s9, v6, vcc_lo
	v_add_co_u32 v9, vcc_lo, s4, v11
	v_add_co_ci_u32_e64 v10, null, s5, v12, vcc_lo
	v_add_co_u32 v11, vcc_lo, s4, v14
	v_add_co_ci_u32_e64 v12, null, s5, v15, vcc_lo
	v_add_nc_u32_e32 v15, s15, v16
	v_ashrrev_i32_e32 v17, 31, v16
	v_ashrrev_i32_e32 v14, 31, v13
	s_clause 0x2
	global_load_dwordx4 v[1:4], v49, s[4:5]
	global_load_dwordx4 v[43:46], v[7:8], off
	global_load_dwordx4 v[50:53], v[9:10], off
	v_add_nc_u32_e32 v19, s15, v15
	v_lshlrev_b64 v[17:18], 4, v[16:17]
	v_ashrrev_i32_e32 v16, 31, v15
	v_lshlrev_b64 v[13:14], 4, v[13:14]
	global_load_dwordx4 v[54:57], v[11:12], off
	v_add_nc_u32_e32 v23, s15, v19
	v_ashrrev_i32_e32 v20, 31, v19
	v_lshlrev_b64 v[21:22], 4, v[15:16]
	s_movk_i32 s8, 0x60
	v_add_co_u32 v13, vcc_lo, s4, v13
	v_ashrrev_i32_e32 v24, 31, v23
	v_add_nc_u32_e32 v25, s15, v23
	v_add_co_ci_u32_e64 v14, null, s5, v14, vcc_lo
	v_add_co_u32 v15, vcc_lo, s4, v17
	v_add_co_ci_u32_e64 v16, null, s5, v18, vcc_lo
	v_add_co_u32 v17, vcc_lo, s4, v21
	v_add_co_ci_u32_e64 v18, null, s5, v22, vcc_lo
	v_lshlrev_b64 v[21:22], 4, v[23:24]
	v_add_nc_u32_e32 v23, s15, v25
	v_ashrrev_i32_e32 v26, 31, v25
	v_lshlrev_b64 v[19:20], 4, v[19:20]
	s_clause 0x1
	global_load_dwordx4 v[58:61], v[13:14], off
	global_load_dwordx4 v[62:65], v[15:16], off
	v_add_nc_u32_e32 v27, s15, v23
	v_ashrrev_i32_e32 v24, 31, v23
	v_lshlrev_b64 v[25:26], 4, v[25:26]
	v_add_co_u32 v19, vcc_lo, s4, v19
	v_add_nc_u32_e32 v31, s15, v27
	v_lshlrev_b64 v[29:30], 4, v[23:24]
	v_add_co_ci_u32_e64 v20, null, s5, v20, vcc_lo
	v_add_co_u32 v21, vcc_lo, s4, v21
	v_ashrrev_i32_e32 v32, 31, v31
	v_add_nc_u32_e32 v33, s15, v31
	v_add_co_ci_u32_e64 v22, null, s5, v22, vcc_lo
	v_add_co_u32 v23, vcc_lo, s4, v25
	v_add_co_ci_u32_e64 v24, null, s5, v26, vcc_lo
	v_add_co_u32 v25, vcc_lo, s4, v29
	v_add_co_ci_u32_e64 v26, null, s5, v30, vcc_lo
	v_lshlrev_b64 v[29:30], 4, v[31:32]
	v_add_nc_u32_e32 v31, s15, v33
	v_ashrrev_i32_e32 v28, 31, v27
	v_ashrrev_i32_e32 v34, 31, v33
	s_clause 0x3
	global_load_dwordx4 v[66:69], v[17:18], off
	global_load_dwordx4 v[70:73], v[19:20], off
	global_load_dwordx4 v[74:77], v[21:22], off
	global_load_dwordx4 v[78:81], v[23:24], off
	v_add_nc_u32_e32 v35, s15, v31
	v_lshlrev_b64 v[27:28], 4, v[27:28]
	v_ashrrev_i32_e32 v32, 31, v31
	v_lshlrev_b64 v[33:34], 4, v[33:34]
	global_load_dwordx4 v[82:85], v[25:26], off
	v_add_nc_u32_e32 v39, s15, v35
	v_ashrrev_i32_e32 v36, 31, v35
	v_add_co_u32 v27, vcc_lo, s4, v27
	v_lshlrev_b64 v[37:38], 4, v[31:32]
	v_add_co_ci_u32_e64 v28, null, s5, v28, vcc_lo
	v_add_co_u32 v29, vcc_lo, s4, v29
	v_ashrrev_i32_e32 v40, 31, v39
	v_add_nc_u32_e32 v41, s15, v39
	v_add_co_ci_u32_e64 v30, null, s5, v30, vcc_lo
	v_add_co_u32 v31, vcc_lo, s4, v33
	v_add_co_ci_u32_e64 v32, null, s5, v34, vcc_lo
	v_add_co_u32 v33, vcc_lo, s4, v37
	v_add_co_ci_u32_e64 v34, null, s5, v38, vcc_lo
	v_lshlrev_b64 v[37:38], 4, v[39:40]
	v_add_nc_u32_e32 v39, s15, v41
	v_ashrrev_i32_e32 v42, 31, v41
	v_lshlrev_b64 v[35:36], 4, v[35:36]
	s_clause 0x2
	global_load_dwordx4 v[86:89], v[27:28], off
	global_load_dwordx4 v[90:93], v[29:30], off
	;; [unrolled: 1-line block ×3, first 2 shown]
	v_ashrrev_i32_e32 v40, 31, v39
	v_lshlrev_b64 v[41:42], 4, v[41:42]
	v_add_co_u32 v35, vcc_lo, s4, v35
	v_add_co_ci_u32_e64 v36, null, s5, v36, vcc_lo
	v_lshlrev_b64 v[47:48], 4, v[39:40]
	v_add_co_u32 v37, vcc_lo, s4, v37
	v_add_co_ci_u32_e64 v38, null, s5, v38, vcc_lo
	v_add_co_u32 v39, vcc_lo, s4, v41
	v_add_co_ci_u32_e64 v40, null, s5, v42, vcc_lo
	;; [unrolled: 2-line block ×3, first 2 shown]
	s_clause 0x4
	global_load_dwordx4 v[98:101], v[33:34], off
	global_load_dwordx4 v[102:105], v[35:36], off
	;; [unrolled: 1-line block ×5, first 2 shown]
	s_movk_i32 s4, 0x50
	s_movk_i32 s9, 0x70
	;; [unrolled: 1-line block ×6, first 2 shown]
	s_add_i32 s25, s4, 16
	s_add_i32 s24, s8, 16
	;; [unrolled: 1-line block ×14, first 2 shown]
	s_mov_b32 s5, -1
	s_movk_i32 s26, 0x50
	s_bitcmp0_b32 s31, 0
	s_waitcnt vmcnt(18)
	buffer_store_dword v4, off, s[0:3], 0 offset:28
	buffer_store_dword v3, off, s[0:3], 0 offset:24
	buffer_store_dword v2, off, s[0:3], 0 offset:20
	buffer_store_dword v1, off, s[0:3], 0 offset:16
	s_waitcnt vmcnt(17)
	buffer_store_dword v46, off, s[0:3], 0 offset:44
	buffer_store_dword v45, off, s[0:3], 0 offset:40
	buffer_store_dword v44, off, s[0:3], 0 offset:36
	buffer_store_dword v43, off, s[0:3], 0 offset:32
	;; [unrolled: 5-line block ×19, first 2 shown]
	s_cbranch_scc1 .LBB18_88
; %bb.4:
	v_cmp_eq_u32_e64 s4, 0, v0
	s_and_saveexec_b32 s5, s4
; %bb.5:
	v_mov_b32_e32 v1, 0
	ds_write_b32 v1, v1 offset:608
; %bb.6:
	s_or_b32 exec_lo, exec_lo, s5
	v_lshl_add_u32 v50, v0, 4, 16
	s_waitcnt lgkmcnt(0)
	s_waitcnt_vscnt null, 0x0
	s_barrier
	buffer_gl0_inv
	s_clause 0x3
	buffer_load_dword v1, v50, s[0:3], 0 offen
	buffer_load_dword v2, v50, s[0:3], 0 offen offset:4
	buffer_load_dword v3, v50, s[0:3], 0 offen offset:8
	;; [unrolled: 1-line block ×3, first 2 shown]
	s_waitcnt vmcnt(2)
	v_cmp_eq_f64_e32 vcc_lo, 0, v[1:2]
	s_waitcnt vmcnt(0)
	v_cmp_eq_f64_e64 s5, 0, v[3:4]
	s_and_b32 s5, vcc_lo, s5
	s_and_saveexec_b32 s31, s5
	s_cbranch_execz .LBB18_10
; %bb.7:
	v_mov_b32_e32 v1, 0
	s_mov_b32 s33, 0
	ds_read_b32 v2, v1 offset:608
	s_waitcnt lgkmcnt(0)
	v_readfirstlane_b32 s5, v2
	v_add_nc_u32_e32 v2, 1, v0
	s_cmp_eq_u32 s5, 0
	v_cmp_gt_i32_e32 vcc_lo, s5, v2
	s_cselect_b32 s34, -1, 0
	s_or_b32 s34, s34, vcc_lo
	s_and_b32 exec_lo, exec_lo, s34
	s_cbranch_execz .LBB18_10
; %bb.8:
	v_mov_b32_e32 v3, s5
.LBB18_9:                               ; =>This Inner Loop Header: Depth=1
	ds_cmpst_rtn_b32 v3, v1, v3, v2 offset:608
	s_waitcnt lgkmcnt(0)
	v_cmp_ne_u32_e32 vcc_lo, 0, v3
	v_cmp_le_i32_e64 s5, v3, v2
	s_and_b32 s5, vcc_lo, s5
	s_and_b32 s5, exec_lo, s5
	s_or_b32 s33, s5, s33
	s_andn2_b32 exec_lo, exec_lo, s33
	s_cbranch_execnz .LBB18_9
.LBB18_10:
	s_or_b32 exec_lo, exec_lo, s31
	v_mov_b32_e32 v1, 0
	s_barrier
	buffer_gl0_inv
	ds_read_b32 v2, v1 offset:608
	s_and_saveexec_b32 s5, s4
	s_cbranch_execz .LBB18_12
; %bb.11:
	s_lshl_b64 s[34:35], s[6:7], 2
	s_add_u32 s34, s10, s34
	s_addc_u32 s35, s11, s35
	s_waitcnt lgkmcnt(0)
	global_store_dword v1, v2, s[34:35]
.LBB18_12:
	s_or_b32 exec_lo, exec_lo, s5
	s_waitcnt lgkmcnt(0)
	v_cmp_ne_u32_e32 vcc_lo, 0, v2
	s_mov_b32 s5, 0
	s_cbranch_vccnz .LBB18_88
; %bb.13:
	s_clause 0x3
	buffer_load_dword v45, v50, s[0:3], 0 offen
	buffer_load_dword v46, v50, s[0:3], 0 offen offset:4
	buffer_load_dword v47, v50, s[0:3], 0 offen offset:8
	;; [unrolled: 1-line block ×3, first 2 shown]
                                        ; implicit-def: $vgpr43_vgpr44
                                        ; implicit-def: $vgpr3_vgpr4
	s_waitcnt vmcnt(0)
	v_cmp_ngt_f64_e64 s5, |v[45:46]|, |v[47:48]|
	s_and_saveexec_b32 s31, s5
	s_xor_b32 s5, exec_lo, s31
	s_cbranch_execz .LBB18_15
; %bb.14:
	v_div_scale_f64 v[1:2], null, v[47:48], v[47:48], v[45:46]
	v_div_scale_f64 v[51:52], vcc_lo, v[45:46], v[47:48], v[45:46]
	v_rcp_f64_e32 v[3:4], v[1:2]
	v_fma_f64 v[43:44], -v[1:2], v[3:4], 1.0
	v_fma_f64 v[3:4], v[3:4], v[43:44], v[3:4]
	v_fma_f64 v[43:44], -v[1:2], v[3:4], 1.0
	v_fma_f64 v[3:4], v[3:4], v[43:44], v[3:4]
	v_mul_f64 v[43:44], v[51:52], v[3:4]
	v_fma_f64 v[1:2], -v[1:2], v[43:44], v[51:52]
	v_div_fmas_f64 v[1:2], v[1:2], v[3:4], v[43:44]
	v_div_fixup_f64 v[1:2], v[1:2], v[47:48], v[45:46]
	v_fma_f64 v[3:4], v[45:46], v[1:2], v[47:48]
	v_div_scale_f64 v[43:44], null, v[3:4], v[3:4], 1.0
	v_div_scale_f64 v[51:52], vcc_lo, 1.0, v[3:4], 1.0
	v_rcp_f64_e32 v[45:46], v[43:44]
	v_fma_f64 v[47:48], -v[43:44], v[45:46], 1.0
	v_fma_f64 v[45:46], v[45:46], v[47:48], v[45:46]
	v_fma_f64 v[47:48], -v[43:44], v[45:46], 1.0
	v_fma_f64 v[45:46], v[45:46], v[47:48], v[45:46]
	v_mul_f64 v[47:48], v[51:52], v[45:46]
	v_fma_f64 v[43:44], -v[43:44], v[47:48], v[51:52]
	v_div_fmas_f64 v[43:44], v[43:44], v[45:46], v[47:48]
                                        ; implicit-def: $vgpr45_vgpr46
                                        ; implicit-def: $vgpr47_vgpr48
	v_div_fixup_f64 v[3:4], v[43:44], v[3:4], 1.0
	v_mul_f64 v[43:44], v[1:2], v[3:4]
	v_xor_b32_e32 v4, 0x80000000, v4
	v_xor_b32_e32 v2, 0x80000000, v44
	v_mov_b32_e32 v1, v43
.LBB18_15:
	s_andn2_saveexec_b32 s5, s5
	s_cbranch_execz .LBB18_17
; %bb.16:
	v_div_scale_f64 v[1:2], null, v[45:46], v[45:46], v[47:48]
	v_div_scale_f64 v[51:52], vcc_lo, v[47:48], v[45:46], v[47:48]
	v_rcp_f64_e32 v[3:4], v[1:2]
	v_fma_f64 v[43:44], -v[1:2], v[3:4], 1.0
	v_fma_f64 v[3:4], v[3:4], v[43:44], v[3:4]
	v_fma_f64 v[43:44], -v[1:2], v[3:4], 1.0
	v_fma_f64 v[3:4], v[3:4], v[43:44], v[3:4]
	v_mul_f64 v[43:44], v[51:52], v[3:4]
	v_fma_f64 v[1:2], -v[1:2], v[43:44], v[51:52]
	v_div_fmas_f64 v[1:2], v[1:2], v[3:4], v[43:44]
	v_div_fixup_f64 v[1:2], v[1:2], v[45:46], v[47:48]
	v_fma_f64 v[3:4], v[47:48], v[1:2], v[45:46]
	v_div_scale_f64 v[43:44], null, v[3:4], v[3:4], 1.0
	v_rcp_f64_e32 v[45:46], v[43:44]
	v_fma_f64 v[47:48], -v[43:44], v[45:46], 1.0
	v_fma_f64 v[45:46], v[45:46], v[47:48], v[45:46]
	v_fma_f64 v[47:48], -v[43:44], v[45:46], 1.0
	v_fma_f64 v[45:46], v[45:46], v[47:48], v[45:46]
	v_div_scale_f64 v[47:48], vcc_lo, 1.0, v[3:4], 1.0
	v_mul_f64 v[51:52], v[47:48], v[45:46]
	v_fma_f64 v[43:44], -v[43:44], v[51:52], v[47:48]
	v_div_fmas_f64 v[43:44], v[43:44], v[45:46], v[51:52]
	v_div_fixup_f64 v[43:44], v[43:44], v[3:4], 1.0
	v_mul_f64 v[3:4], v[1:2], -v[43:44]
	v_xor_b32_e32 v2, 0x80000000, v44
	v_mov_b32_e32 v1, v43
.LBB18_17:
	s_or_b32 exec_lo, exec_lo, s5
	v_mov_b32_e32 v48, s29
	buffer_store_dword v44, v50, s[0:3], 0 offen offset:4
	buffer_store_dword v43, v50, s[0:3], 0 offen
	buffer_store_dword v4, v50, s[0:3], 0 offen offset:12
	buffer_store_dword v3, v50, s[0:3], 0 offen offset:8
	v_xor_b32_e32 v4, 0x80000000, v4
	v_add_nc_u32_e32 v43, 0x130, v49
	s_clause 0x3
	buffer_load_dword v47, v48, s[0:3], 0 offen offset:12
	buffer_load_dword v46, v48, s[0:3], 0 offen offset:8
	;; [unrolled: 1-line block ×3, first 2 shown]
	buffer_load_dword v44, v48, s[0:3], 0 offen
	ds_write_b128 v49, v[1:4]
	s_waitcnt vmcnt(0)
	ds_write_b128 v49, v[44:47] offset:304
	s_waitcnt lgkmcnt(0)
	s_waitcnt_vscnt null, 0x0
	s_barrier
	buffer_gl0_inv
	s_and_saveexec_b32 s5, s4
	s_cbranch_execz .LBB18_19
; %bb.18:
	s_clause 0x3
	buffer_load_dword v51, v50, s[0:3], 0 offen offset:8
	buffer_load_dword v52, v50, s[0:3], 0 offen offset:12
	buffer_load_dword v53, v50, s[0:3], 0 offen
	buffer_load_dword v54, v50, s[0:3], 0 offen offset:4
	ds_read_b128 v[1:4], v43
	v_mov_b32_e32 v44, 0
	ds_read_b128 v[44:47], v44 offset:16
	s_waitcnt vmcnt(2) lgkmcnt(1)
	v_mul_f64 v[55:56], v[1:2], v[51:52]
	v_mul_f64 v[51:52], v[3:4], v[51:52]
	s_waitcnt vmcnt(0)
	v_fma_f64 v[3:4], v[3:4], v[53:54], v[55:56]
	v_fma_f64 v[1:2], v[1:2], v[53:54], -v[51:52]
	v_add_f64 v[3:4], v[3:4], 0
	v_add_f64 v[1:2], v[1:2], 0
	s_waitcnt lgkmcnt(0)
	v_mul_f64 v[51:52], v[3:4], v[46:47]
	v_mul_f64 v[46:47], v[1:2], v[46:47]
	v_fma_f64 v[1:2], v[1:2], v[44:45], -v[51:52]
	v_fma_f64 v[3:4], v[3:4], v[44:45], v[46:47]
	buffer_store_dword v1, off, s[0:3], 0 offset:32
	buffer_store_dword v2, off, s[0:3], 0 offset:36
	;; [unrolled: 1-line block ×4, first 2 shown]
.LBB18_19:
	s_or_b32 exec_lo, exec_lo, s5
	v_mov_b32_e32 v4, s28
	s_waitcnt_vscnt null, 0x0
	s_barrier
	buffer_gl0_inv
	s_mov_b32 s5, exec_lo
	s_clause 0x3
	buffer_load_dword v1, v4, s[0:3], 0 offen
	buffer_load_dword v2, v4, s[0:3], 0 offen offset:4
	buffer_load_dword v3, v4, s[0:3], 0 offen offset:8
	;; [unrolled: 1-line block ×3, first 2 shown]
	s_waitcnt vmcnt(0)
	ds_write_b128 v43, v[1:4]
	s_waitcnt lgkmcnt(0)
	s_barrier
	buffer_gl0_inv
	v_cmpx_gt_u32_e32 2, v0
	s_cbranch_execz .LBB18_23
; %bb.20:
	s_clause 0x3
	buffer_load_dword v44, v50, s[0:3], 0 offen offset:8
	buffer_load_dword v45, v50, s[0:3], 0 offen offset:12
	buffer_load_dword v46, v50, s[0:3], 0 offen
	buffer_load_dword v47, v50, s[0:3], 0 offen offset:4
	ds_read_b128 v[1:4], v43
	s_waitcnt vmcnt(2) lgkmcnt(0)
	v_mul_f64 v[50:51], v[3:4], v[44:45]
	v_mul_f64 v[44:45], v[1:2], v[44:45]
	s_waitcnt vmcnt(0)
	v_fma_f64 v[1:2], v[1:2], v[46:47], -v[50:51]
	v_fma_f64 v[3:4], v[3:4], v[46:47], v[44:45]
	v_add_f64 v[1:2], v[1:2], 0
	v_add_f64 v[3:4], v[3:4], 0
	s_and_saveexec_b32 s31, s4
	s_cbranch_execz .LBB18_22
; %bb.21:
	s_clause 0x3
	buffer_load_dword v50, off, s[0:3], 0 offset:40
	buffer_load_dword v51, off, s[0:3], 0 offset:44
	;; [unrolled: 1-line block ×4, first 2 shown]
	v_mov_b32_e32 v44, 0
	ds_read_b128 v[44:47], v44 offset:320
	s_waitcnt vmcnt(2) lgkmcnt(0)
	v_mul_f64 v[54:55], v[44:45], v[50:51]
	v_mul_f64 v[50:51], v[46:47], v[50:51]
	s_waitcnt vmcnt(0)
	v_fma_f64 v[46:47], v[46:47], v[52:53], v[54:55]
	v_fma_f64 v[44:45], v[44:45], v[52:53], -v[50:51]
	v_add_f64 v[3:4], v[3:4], v[46:47]
	v_add_f64 v[1:2], v[1:2], v[44:45]
.LBB18_22:
	s_or_b32 exec_lo, exec_lo, s31
	v_mov_b32_e32 v44, 0
	ds_read_b128 v[44:47], v44 offset:32
	s_waitcnt lgkmcnt(0)
	v_mul_f64 v[50:51], v[3:4], v[46:47]
	v_mul_f64 v[46:47], v[1:2], v[46:47]
	v_fma_f64 v[1:2], v[1:2], v[44:45], -v[50:51]
	v_fma_f64 v[3:4], v[3:4], v[44:45], v[46:47]
	buffer_store_dword v2, off, s[0:3], 0 offset:52
	buffer_store_dword v1, off, s[0:3], 0 offset:48
	;; [unrolled: 1-line block ×4, first 2 shown]
.LBB18_23:
	s_or_b32 exec_lo, exec_lo, s5
	v_mov_b32_e32 v4, s27
	s_waitcnt_vscnt null, 0x0
	s_barrier
	buffer_gl0_inv
	v_add_nc_u32_e32 v44, -1, v0
	s_clause 0x3
	buffer_load_dword v1, v4, s[0:3], 0 offen
	buffer_load_dword v2, v4, s[0:3], 0 offen offset:4
	buffer_load_dword v3, v4, s[0:3], 0 offen offset:8
	;; [unrolled: 1-line block ×3, first 2 shown]
	s_mov_b32 s4, exec_lo
	s_waitcnt vmcnt(0)
	ds_write_b128 v43, v[1:4]
	s_waitcnt lgkmcnt(0)
	s_barrier
	buffer_gl0_inv
	v_cmpx_gt_u32_e32 3, v0
	s_cbranch_execz .LBB18_27
; %bb.24:
	v_mov_b32_e32 v1, 0
	v_mov_b32_e32 v3, 0
	v_add_nc_u32_e32 v45, -1, v0
	v_add_nc_u32_e32 v46, 0x130, v49
	v_mov_b32_e32 v2, 0
	v_mov_b32_e32 v4, 0
	v_add_nc_u32_e32 v47, 16, v49
	s_mov_b32 s5, 0
	.p2align	6
.LBB18_25:                              ; =>This Inner Loop Header: Depth=1
	s_clause 0x3
	buffer_load_dword v54, v47, s[0:3], 0 offen offset:8
	buffer_load_dword v55, v47, s[0:3], 0 offen offset:12
	buffer_load_dword v56, v47, s[0:3], 0 offen
	buffer_load_dword v57, v47, s[0:3], 0 offen offset:4
	ds_read_b128 v[50:53], v46
	v_add_nc_u32_e32 v45, 1, v45
	v_add_nc_u32_e32 v46, 16, v46
	;; [unrolled: 1-line block ×3, first 2 shown]
	v_cmp_lt_u32_e32 vcc_lo, 1, v45
	s_or_b32 s5, vcc_lo, s5
	s_waitcnt vmcnt(2) lgkmcnt(0)
	v_mul_f64 v[58:59], v[52:53], v[54:55]
	v_mul_f64 v[54:55], v[50:51], v[54:55]
	s_waitcnt vmcnt(0)
	v_fma_f64 v[50:51], v[50:51], v[56:57], -v[58:59]
	v_fma_f64 v[52:53], v[52:53], v[56:57], v[54:55]
	v_add_f64 v[3:4], v[3:4], v[50:51]
	v_add_f64 v[1:2], v[1:2], v[52:53]
	s_andn2_b32 exec_lo, exec_lo, s5
	s_cbranch_execnz .LBB18_25
; %bb.26:
	s_or_b32 exec_lo, exec_lo, s5
	v_mov_b32_e32 v45, 0
	ds_read_b128 v[45:48], v45 offset:48
	s_waitcnt lgkmcnt(0)
	v_mul_f64 v[50:51], v[1:2], v[47:48]
	v_mul_f64 v[47:48], v[3:4], v[47:48]
	v_fma_f64 v[3:4], v[3:4], v[45:46], -v[50:51]
	v_fma_f64 v[1:2], v[1:2], v[45:46], v[47:48]
	buffer_store_dword v4, off, s[0:3], 0 offset:68
	buffer_store_dword v3, off, s[0:3], 0 offset:64
	;; [unrolled: 1-line block ×4, first 2 shown]
.LBB18_27:
	s_or_b32 exec_lo, exec_lo, s4
	v_mov_b32_e32 v4, s26
	s_waitcnt_vscnt null, 0x0
	s_barrier
	buffer_gl0_inv
	s_mov_b32 s4, exec_lo
	s_clause 0x3
	buffer_load_dword v1, v4, s[0:3], 0 offen
	buffer_load_dword v2, v4, s[0:3], 0 offen offset:4
	buffer_load_dword v3, v4, s[0:3], 0 offen offset:8
	;; [unrolled: 1-line block ×3, first 2 shown]
	s_waitcnt vmcnt(0)
	ds_write_b128 v43, v[1:4]
	s_waitcnt lgkmcnt(0)
	s_barrier
	buffer_gl0_inv
	v_cmpx_gt_u32_e32 4, v0
	s_cbranch_execz .LBB18_31
; %bb.28:
	v_mov_b32_e32 v1, 0
	v_mov_b32_e32 v3, 0
	v_add_nc_u32_e32 v45, -1, v0
	v_add_nc_u32_e32 v46, 0x130, v49
	v_mov_b32_e32 v2, 0
	v_mov_b32_e32 v4, 0
	v_add_nc_u32_e32 v47, 16, v49
	s_mov_b32 s5, 0
	.p2align	6
.LBB18_29:                              ; =>This Inner Loop Header: Depth=1
	s_clause 0x3
	buffer_load_dword v54, v47, s[0:3], 0 offen offset:8
	buffer_load_dword v55, v47, s[0:3], 0 offen offset:12
	buffer_load_dword v56, v47, s[0:3], 0 offen
	buffer_load_dword v57, v47, s[0:3], 0 offen offset:4
	ds_read_b128 v[50:53], v46
	v_add_nc_u32_e32 v45, 1, v45
	v_add_nc_u32_e32 v46, 16, v46
	;; [unrolled: 1-line block ×3, first 2 shown]
	v_cmp_lt_u32_e32 vcc_lo, 2, v45
	s_or_b32 s5, vcc_lo, s5
	s_waitcnt vmcnt(2) lgkmcnt(0)
	v_mul_f64 v[58:59], v[52:53], v[54:55]
	v_mul_f64 v[54:55], v[50:51], v[54:55]
	s_waitcnt vmcnt(0)
	v_fma_f64 v[50:51], v[50:51], v[56:57], -v[58:59]
	v_fma_f64 v[52:53], v[52:53], v[56:57], v[54:55]
	v_add_f64 v[3:4], v[3:4], v[50:51]
	v_add_f64 v[1:2], v[1:2], v[52:53]
	s_andn2_b32 exec_lo, exec_lo, s5
	s_cbranch_execnz .LBB18_29
; %bb.30:
	s_or_b32 exec_lo, exec_lo, s5
	v_mov_b32_e32 v45, 0
	ds_read_b128 v[45:48], v45 offset:64
	s_waitcnt lgkmcnt(0)
	v_mul_f64 v[50:51], v[1:2], v[47:48]
	v_mul_f64 v[47:48], v[3:4], v[47:48]
	v_fma_f64 v[3:4], v[3:4], v[45:46], -v[50:51]
	v_fma_f64 v[1:2], v[1:2], v[45:46], v[47:48]
	buffer_store_dword v4, off, s[0:3], 0 offset:84
	buffer_store_dword v3, off, s[0:3], 0 offset:80
	;; [unrolled: 1-line block ×4, first 2 shown]
.LBB18_31:
	s_or_b32 exec_lo, exec_lo, s4
	v_mov_b32_e32 v4, s25
	s_waitcnt_vscnt null, 0x0
	s_barrier
	buffer_gl0_inv
	s_mov_b32 s4, exec_lo
	s_clause 0x3
	buffer_load_dword v1, v4, s[0:3], 0 offen
	buffer_load_dword v2, v4, s[0:3], 0 offen offset:4
	buffer_load_dword v3, v4, s[0:3], 0 offen offset:8
	buffer_load_dword v4, v4, s[0:3], 0 offen offset:12
	s_waitcnt vmcnt(0)
	ds_write_b128 v43, v[1:4]
	s_waitcnt lgkmcnt(0)
	s_barrier
	buffer_gl0_inv
	v_cmpx_gt_u32_e32 5, v0
	s_cbranch_execz .LBB18_35
; %bb.32:
	v_mov_b32_e32 v1, 0
	v_mov_b32_e32 v3, 0
	v_add_nc_u32_e32 v45, -1, v0
	v_add_nc_u32_e32 v46, 0x130, v49
	v_mov_b32_e32 v2, 0
	v_mov_b32_e32 v4, 0
	v_add_nc_u32_e32 v47, 16, v49
	s_mov_b32 s5, 0
	.p2align	6
.LBB18_33:                              ; =>This Inner Loop Header: Depth=1
	s_clause 0x3
	buffer_load_dword v54, v47, s[0:3], 0 offen offset:8
	buffer_load_dword v55, v47, s[0:3], 0 offen offset:12
	buffer_load_dword v56, v47, s[0:3], 0 offen
	buffer_load_dword v57, v47, s[0:3], 0 offen offset:4
	ds_read_b128 v[50:53], v46
	v_add_nc_u32_e32 v45, 1, v45
	v_add_nc_u32_e32 v46, 16, v46
	;; [unrolled: 1-line block ×3, first 2 shown]
	v_cmp_lt_u32_e32 vcc_lo, 3, v45
	s_or_b32 s5, vcc_lo, s5
	s_waitcnt vmcnt(2) lgkmcnt(0)
	v_mul_f64 v[58:59], v[52:53], v[54:55]
	v_mul_f64 v[54:55], v[50:51], v[54:55]
	s_waitcnt vmcnt(0)
	v_fma_f64 v[50:51], v[50:51], v[56:57], -v[58:59]
	v_fma_f64 v[52:53], v[52:53], v[56:57], v[54:55]
	v_add_f64 v[3:4], v[3:4], v[50:51]
	v_add_f64 v[1:2], v[1:2], v[52:53]
	s_andn2_b32 exec_lo, exec_lo, s5
	s_cbranch_execnz .LBB18_33
; %bb.34:
	s_or_b32 exec_lo, exec_lo, s5
	v_mov_b32_e32 v45, 0
	ds_read_b128 v[45:48], v45 offset:80
	s_waitcnt lgkmcnt(0)
	v_mul_f64 v[50:51], v[1:2], v[47:48]
	v_mul_f64 v[47:48], v[3:4], v[47:48]
	v_fma_f64 v[3:4], v[3:4], v[45:46], -v[50:51]
	v_fma_f64 v[1:2], v[1:2], v[45:46], v[47:48]
	buffer_store_dword v4, off, s[0:3], 0 offset:100
	buffer_store_dword v3, off, s[0:3], 0 offset:96
	;; [unrolled: 1-line block ×4, first 2 shown]
.LBB18_35:
	s_or_b32 exec_lo, exec_lo, s4
	v_mov_b32_e32 v4, s24
	s_waitcnt_vscnt null, 0x0
	s_barrier
	buffer_gl0_inv
	s_mov_b32 s4, exec_lo
	s_clause 0x3
	buffer_load_dword v1, v4, s[0:3], 0 offen
	buffer_load_dword v2, v4, s[0:3], 0 offen offset:4
	buffer_load_dword v3, v4, s[0:3], 0 offen offset:8
	;; [unrolled: 1-line block ×3, first 2 shown]
	s_waitcnt vmcnt(0)
	ds_write_b128 v43, v[1:4]
	s_waitcnt lgkmcnt(0)
	s_barrier
	buffer_gl0_inv
	v_cmpx_gt_u32_e32 6, v0
	s_cbranch_execz .LBB18_39
; %bb.36:
	v_mov_b32_e32 v1, 0
	v_mov_b32_e32 v3, 0
	v_add_nc_u32_e32 v45, -1, v0
	v_add_nc_u32_e32 v46, 0x130, v49
	v_mov_b32_e32 v2, 0
	v_mov_b32_e32 v4, 0
	v_add_nc_u32_e32 v47, 16, v49
	s_mov_b32 s5, 0
	.p2align	6
.LBB18_37:                              ; =>This Inner Loop Header: Depth=1
	s_clause 0x3
	buffer_load_dword v54, v47, s[0:3], 0 offen offset:8
	buffer_load_dword v55, v47, s[0:3], 0 offen offset:12
	buffer_load_dword v56, v47, s[0:3], 0 offen
	buffer_load_dword v57, v47, s[0:3], 0 offen offset:4
	ds_read_b128 v[50:53], v46
	v_add_nc_u32_e32 v45, 1, v45
	v_add_nc_u32_e32 v46, 16, v46
	;; [unrolled: 1-line block ×3, first 2 shown]
	v_cmp_lt_u32_e32 vcc_lo, 4, v45
	s_or_b32 s5, vcc_lo, s5
	s_waitcnt vmcnt(2) lgkmcnt(0)
	v_mul_f64 v[58:59], v[52:53], v[54:55]
	v_mul_f64 v[54:55], v[50:51], v[54:55]
	s_waitcnt vmcnt(0)
	v_fma_f64 v[50:51], v[50:51], v[56:57], -v[58:59]
	v_fma_f64 v[52:53], v[52:53], v[56:57], v[54:55]
	v_add_f64 v[3:4], v[3:4], v[50:51]
	v_add_f64 v[1:2], v[1:2], v[52:53]
	s_andn2_b32 exec_lo, exec_lo, s5
	s_cbranch_execnz .LBB18_37
; %bb.38:
	s_or_b32 exec_lo, exec_lo, s5
	v_mov_b32_e32 v45, 0
	ds_read_b128 v[45:48], v45 offset:96
	s_waitcnt lgkmcnt(0)
	v_mul_f64 v[50:51], v[1:2], v[47:48]
	v_mul_f64 v[47:48], v[3:4], v[47:48]
	v_fma_f64 v[3:4], v[3:4], v[45:46], -v[50:51]
	v_fma_f64 v[1:2], v[1:2], v[45:46], v[47:48]
	buffer_store_dword v4, off, s[0:3], 0 offset:116
	buffer_store_dword v3, off, s[0:3], 0 offset:112
	;; [unrolled: 1-line block ×4, first 2 shown]
.LBB18_39:
	s_or_b32 exec_lo, exec_lo, s4
	v_mov_b32_e32 v4, s23
	s_waitcnt_vscnt null, 0x0
	s_barrier
	buffer_gl0_inv
	s_mov_b32 s4, exec_lo
	s_clause 0x3
	buffer_load_dword v1, v4, s[0:3], 0 offen
	buffer_load_dword v2, v4, s[0:3], 0 offen offset:4
	buffer_load_dword v3, v4, s[0:3], 0 offen offset:8
	;; [unrolled: 1-line block ×3, first 2 shown]
	s_waitcnt vmcnt(0)
	ds_write_b128 v43, v[1:4]
	s_waitcnt lgkmcnt(0)
	s_barrier
	buffer_gl0_inv
	v_cmpx_gt_u32_e32 7, v0
	s_cbranch_execz .LBB18_43
; %bb.40:
	v_mov_b32_e32 v1, 0
	v_mov_b32_e32 v3, 0
	v_add_nc_u32_e32 v45, -1, v0
	v_add_nc_u32_e32 v46, 0x130, v49
	v_mov_b32_e32 v2, 0
	v_mov_b32_e32 v4, 0
	v_add_nc_u32_e32 v47, 16, v49
	s_mov_b32 s5, 0
	.p2align	6
.LBB18_41:                              ; =>This Inner Loop Header: Depth=1
	s_clause 0x3
	buffer_load_dword v54, v47, s[0:3], 0 offen offset:8
	buffer_load_dword v55, v47, s[0:3], 0 offen offset:12
	buffer_load_dword v56, v47, s[0:3], 0 offen
	buffer_load_dword v57, v47, s[0:3], 0 offen offset:4
	ds_read_b128 v[50:53], v46
	v_add_nc_u32_e32 v45, 1, v45
	v_add_nc_u32_e32 v46, 16, v46
	;; [unrolled: 1-line block ×3, first 2 shown]
	v_cmp_lt_u32_e32 vcc_lo, 5, v45
	s_or_b32 s5, vcc_lo, s5
	s_waitcnt vmcnt(2) lgkmcnt(0)
	v_mul_f64 v[58:59], v[52:53], v[54:55]
	v_mul_f64 v[54:55], v[50:51], v[54:55]
	s_waitcnt vmcnt(0)
	v_fma_f64 v[50:51], v[50:51], v[56:57], -v[58:59]
	v_fma_f64 v[52:53], v[52:53], v[56:57], v[54:55]
	v_add_f64 v[3:4], v[3:4], v[50:51]
	v_add_f64 v[1:2], v[1:2], v[52:53]
	s_andn2_b32 exec_lo, exec_lo, s5
	s_cbranch_execnz .LBB18_41
; %bb.42:
	s_or_b32 exec_lo, exec_lo, s5
	v_mov_b32_e32 v45, 0
	ds_read_b128 v[45:48], v45 offset:112
	s_waitcnt lgkmcnt(0)
	v_mul_f64 v[50:51], v[1:2], v[47:48]
	v_mul_f64 v[47:48], v[3:4], v[47:48]
	v_fma_f64 v[3:4], v[3:4], v[45:46], -v[50:51]
	v_fma_f64 v[1:2], v[1:2], v[45:46], v[47:48]
	buffer_store_dword v4, off, s[0:3], 0 offset:132
	buffer_store_dword v3, off, s[0:3], 0 offset:128
	;; [unrolled: 1-line block ×4, first 2 shown]
.LBB18_43:
	s_or_b32 exec_lo, exec_lo, s4
	v_mov_b32_e32 v4, s22
	s_waitcnt_vscnt null, 0x0
	s_barrier
	buffer_gl0_inv
	s_mov_b32 s4, exec_lo
	s_clause 0x3
	buffer_load_dword v1, v4, s[0:3], 0 offen
	buffer_load_dword v2, v4, s[0:3], 0 offen offset:4
	buffer_load_dword v3, v4, s[0:3], 0 offen offset:8
	;; [unrolled: 1-line block ×3, first 2 shown]
	s_waitcnt vmcnt(0)
	ds_write_b128 v43, v[1:4]
	s_waitcnt lgkmcnt(0)
	s_barrier
	buffer_gl0_inv
	v_cmpx_gt_u32_e32 8, v0
	s_cbranch_execz .LBB18_47
; %bb.44:
	v_mov_b32_e32 v1, 0
	v_mov_b32_e32 v3, 0
	v_add_nc_u32_e32 v45, -1, v0
	v_add_nc_u32_e32 v46, 0x130, v49
	v_mov_b32_e32 v2, 0
	v_mov_b32_e32 v4, 0
	v_add_nc_u32_e32 v47, 16, v49
	s_mov_b32 s5, 0
	.p2align	6
.LBB18_45:                              ; =>This Inner Loop Header: Depth=1
	s_clause 0x3
	buffer_load_dword v54, v47, s[0:3], 0 offen offset:8
	buffer_load_dword v55, v47, s[0:3], 0 offen offset:12
	buffer_load_dword v56, v47, s[0:3], 0 offen
	buffer_load_dword v57, v47, s[0:3], 0 offen offset:4
	ds_read_b128 v[50:53], v46
	v_add_nc_u32_e32 v45, 1, v45
	v_add_nc_u32_e32 v46, 16, v46
	;; [unrolled: 1-line block ×3, first 2 shown]
	v_cmp_lt_u32_e32 vcc_lo, 6, v45
	s_or_b32 s5, vcc_lo, s5
	s_waitcnt vmcnt(2) lgkmcnt(0)
	v_mul_f64 v[58:59], v[52:53], v[54:55]
	v_mul_f64 v[54:55], v[50:51], v[54:55]
	s_waitcnt vmcnt(0)
	v_fma_f64 v[50:51], v[50:51], v[56:57], -v[58:59]
	v_fma_f64 v[52:53], v[52:53], v[56:57], v[54:55]
	v_add_f64 v[3:4], v[3:4], v[50:51]
	v_add_f64 v[1:2], v[1:2], v[52:53]
	s_andn2_b32 exec_lo, exec_lo, s5
	s_cbranch_execnz .LBB18_45
; %bb.46:
	s_or_b32 exec_lo, exec_lo, s5
	v_mov_b32_e32 v45, 0
	ds_read_b128 v[45:48], v45 offset:128
	s_waitcnt lgkmcnt(0)
	v_mul_f64 v[50:51], v[1:2], v[47:48]
	v_mul_f64 v[47:48], v[3:4], v[47:48]
	v_fma_f64 v[3:4], v[3:4], v[45:46], -v[50:51]
	v_fma_f64 v[1:2], v[1:2], v[45:46], v[47:48]
	buffer_store_dword v4, off, s[0:3], 0 offset:148
	buffer_store_dword v3, off, s[0:3], 0 offset:144
	buffer_store_dword v2, off, s[0:3], 0 offset:156
	buffer_store_dword v1, off, s[0:3], 0 offset:152
.LBB18_47:
	s_or_b32 exec_lo, exec_lo, s4
	v_mov_b32_e32 v4, s19
	s_waitcnt_vscnt null, 0x0
	s_barrier
	buffer_gl0_inv
	s_mov_b32 s4, exec_lo
	s_clause 0x3
	buffer_load_dword v1, v4, s[0:3], 0 offen
	buffer_load_dword v2, v4, s[0:3], 0 offen offset:4
	buffer_load_dword v3, v4, s[0:3], 0 offen offset:8
	;; [unrolled: 1-line block ×3, first 2 shown]
	s_waitcnt vmcnt(0)
	ds_write_b128 v43, v[1:4]
	s_waitcnt lgkmcnt(0)
	s_barrier
	buffer_gl0_inv
	v_cmpx_gt_u32_e32 9, v0
	s_cbranch_execz .LBB18_51
; %bb.48:
	v_mov_b32_e32 v1, 0
	v_mov_b32_e32 v3, 0
	v_add_nc_u32_e32 v45, -1, v0
	v_add_nc_u32_e32 v46, 0x130, v49
	v_mov_b32_e32 v2, 0
	v_mov_b32_e32 v4, 0
	v_add_nc_u32_e32 v47, 16, v49
	s_mov_b32 s5, 0
	.p2align	6
.LBB18_49:                              ; =>This Inner Loop Header: Depth=1
	s_clause 0x3
	buffer_load_dword v54, v47, s[0:3], 0 offen offset:8
	buffer_load_dword v55, v47, s[0:3], 0 offen offset:12
	buffer_load_dword v56, v47, s[0:3], 0 offen
	buffer_load_dword v57, v47, s[0:3], 0 offen offset:4
	ds_read_b128 v[50:53], v46
	v_add_nc_u32_e32 v45, 1, v45
	v_add_nc_u32_e32 v46, 16, v46
	;; [unrolled: 1-line block ×3, first 2 shown]
	v_cmp_lt_u32_e32 vcc_lo, 7, v45
	s_or_b32 s5, vcc_lo, s5
	s_waitcnt vmcnt(2) lgkmcnt(0)
	v_mul_f64 v[58:59], v[52:53], v[54:55]
	v_mul_f64 v[54:55], v[50:51], v[54:55]
	s_waitcnt vmcnt(0)
	v_fma_f64 v[50:51], v[50:51], v[56:57], -v[58:59]
	v_fma_f64 v[52:53], v[52:53], v[56:57], v[54:55]
	v_add_f64 v[3:4], v[3:4], v[50:51]
	v_add_f64 v[1:2], v[1:2], v[52:53]
	s_andn2_b32 exec_lo, exec_lo, s5
	s_cbranch_execnz .LBB18_49
; %bb.50:
	s_or_b32 exec_lo, exec_lo, s5
	v_mov_b32_e32 v45, 0
	ds_read_b128 v[45:48], v45 offset:144
	s_waitcnt lgkmcnt(0)
	v_mul_f64 v[50:51], v[1:2], v[47:48]
	v_mul_f64 v[47:48], v[3:4], v[47:48]
	v_fma_f64 v[3:4], v[3:4], v[45:46], -v[50:51]
	v_fma_f64 v[1:2], v[1:2], v[45:46], v[47:48]
	buffer_store_dword v4, off, s[0:3], 0 offset:164
	buffer_store_dword v3, off, s[0:3], 0 offset:160
	;; [unrolled: 1-line block ×4, first 2 shown]
.LBB18_51:
	s_or_b32 exec_lo, exec_lo, s4
	v_mov_b32_e32 v4, s18
	s_waitcnt_vscnt null, 0x0
	s_barrier
	buffer_gl0_inv
	s_mov_b32 s4, exec_lo
	s_clause 0x3
	buffer_load_dword v1, v4, s[0:3], 0 offen
	buffer_load_dword v2, v4, s[0:3], 0 offen offset:4
	buffer_load_dword v3, v4, s[0:3], 0 offen offset:8
	;; [unrolled: 1-line block ×3, first 2 shown]
	s_waitcnt vmcnt(0)
	ds_write_b128 v43, v[1:4]
	s_waitcnt lgkmcnt(0)
	s_barrier
	buffer_gl0_inv
	v_cmpx_gt_u32_e32 10, v0
	s_cbranch_execz .LBB18_55
; %bb.52:
	v_mov_b32_e32 v1, 0
	v_mov_b32_e32 v3, 0
	v_add_nc_u32_e32 v45, -1, v0
	v_add_nc_u32_e32 v46, 0x130, v49
	v_mov_b32_e32 v2, 0
	v_mov_b32_e32 v4, 0
	v_add_nc_u32_e32 v47, 16, v49
	s_mov_b32 s5, 0
	.p2align	6
.LBB18_53:                              ; =>This Inner Loop Header: Depth=1
	s_clause 0x3
	buffer_load_dword v54, v47, s[0:3], 0 offen offset:8
	buffer_load_dword v55, v47, s[0:3], 0 offen offset:12
	buffer_load_dword v56, v47, s[0:3], 0 offen
	buffer_load_dword v57, v47, s[0:3], 0 offen offset:4
	ds_read_b128 v[50:53], v46
	v_add_nc_u32_e32 v45, 1, v45
	v_add_nc_u32_e32 v46, 16, v46
	;; [unrolled: 1-line block ×3, first 2 shown]
	v_cmp_lt_u32_e32 vcc_lo, 8, v45
	s_or_b32 s5, vcc_lo, s5
	s_waitcnt vmcnt(2) lgkmcnt(0)
	v_mul_f64 v[58:59], v[52:53], v[54:55]
	v_mul_f64 v[54:55], v[50:51], v[54:55]
	s_waitcnt vmcnt(0)
	v_fma_f64 v[50:51], v[50:51], v[56:57], -v[58:59]
	v_fma_f64 v[52:53], v[52:53], v[56:57], v[54:55]
	v_add_f64 v[3:4], v[3:4], v[50:51]
	v_add_f64 v[1:2], v[1:2], v[52:53]
	s_andn2_b32 exec_lo, exec_lo, s5
	s_cbranch_execnz .LBB18_53
; %bb.54:
	s_or_b32 exec_lo, exec_lo, s5
	v_mov_b32_e32 v45, 0
	ds_read_b128 v[45:48], v45 offset:160
	s_waitcnt lgkmcnt(0)
	v_mul_f64 v[50:51], v[1:2], v[47:48]
	v_mul_f64 v[47:48], v[3:4], v[47:48]
	v_fma_f64 v[3:4], v[3:4], v[45:46], -v[50:51]
	v_fma_f64 v[1:2], v[1:2], v[45:46], v[47:48]
	buffer_store_dword v4, off, s[0:3], 0 offset:180
	buffer_store_dword v3, off, s[0:3], 0 offset:176
	;; [unrolled: 1-line block ×4, first 2 shown]
.LBB18_55:
	s_or_b32 exec_lo, exec_lo, s4
	v_mov_b32_e32 v4, s17
	s_waitcnt_vscnt null, 0x0
	s_barrier
	buffer_gl0_inv
	s_mov_b32 s4, exec_lo
	s_clause 0x3
	buffer_load_dword v1, v4, s[0:3], 0 offen
	buffer_load_dword v2, v4, s[0:3], 0 offen offset:4
	buffer_load_dword v3, v4, s[0:3], 0 offen offset:8
	;; [unrolled: 1-line block ×3, first 2 shown]
	s_waitcnt vmcnt(0)
	ds_write_b128 v43, v[1:4]
	s_waitcnt lgkmcnt(0)
	s_barrier
	buffer_gl0_inv
	v_cmpx_gt_u32_e32 11, v0
	s_cbranch_execz .LBB18_59
; %bb.56:
	v_mov_b32_e32 v1, 0
	v_mov_b32_e32 v3, 0
	v_add_nc_u32_e32 v45, -1, v0
	v_add_nc_u32_e32 v46, 0x130, v49
	v_mov_b32_e32 v2, 0
	v_mov_b32_e32 v4, 0
	v_add_nc_u32_e32 v47, 16, v49
	s_mov_b32 s5, 0
	.p2align	6
.LBB18_57:                              ; =>This Inner Loop Header: Depth=1
	s_clause 0x3
	buffer_load_dword v54, v47, s[0:3], 0 offen offset:8
	buffer_load_dword v55, v47, s[0:3], 0 offen offset:12
	buffer_load_dword v56, v47, s[0:3], 0 offen
	buffer_load_dword v57, v47, s[0:3], 0 offen offset:4
	ds_read_b128 v[50:53], v46
	v_add_nc_u32_e32 v45, 1, v45
	v_add_nc_u32_e32 v46, 16, v46
	;; [unrolled: 1-line block ×3, first 2 shown]
	v_cmp_lt_u32_e32 vcc_lo, 9, v45
	s_or_b32 s5, vcc_lo, s5
	s_waitcnt vmcnt(2) lgkmcnt(0)
	v_mul_f64 v[58:59], v[52:53], v[54:55]
	v_mul_f64 v[54:55], v[50:51], v[54:55]
	s_waitcnt vmcnt(0)
	v_fma_f64 v[50:51], v[50:51], v[56:57], -v[58:59]
	v_fma_f64 v[52:53], v[52:53], v[56:57], v[54:55]
	v_add_f64 v[3:4], v[3:4], v[50:51]
	v_add_f64 v[1:2], v[1:2], v[52:53]
	s_andn2_b32 exec_lo, exec_lo, s5
	s_cbranch_execnz .LBB18_57
; %bb.58:
	s_or_b32 exec_lo, exec_lo, s5
	v_mov_b32_e32 v45, 0
	ds_read_b128 v[45:48], v45 offset:176
	s_waitcnt lgkmcnt(0)
	v_mul_f64 v[50:51], v[1:2], v[47:48]
	v_mul_f64 v[47:48], v[3:4], v[47:48]
	v_fma_f64 v[3:4], v[3:4], v[45:46], -v[50:51]
	v_fma_f64 v[1:2], v[1:2], v[45:46], v[47:48]
	buffer_store_dword v4, off, s[0:3], 0 offset:196
	buffer_store_dword v3, off, s[0:3], 0 offset:192
	;; [unrolled: 1-line block ×4, first 2 shown]
.LBB18_59:
	s_or_b32 exec_lo, exec_lo, s4
	v_mov_b32_e32 v4, s16
	s_waitcnt_vscnt null, 0x0
	s_barrier
	buffer_gl0_inv
	s_mov_b32 s4, exec_lo
	s_clause 0x3
	buffer_load_dword v1, v4, s[0:3], 0 offen
	buffer_load_dword v2, v4, s[0:3], 0 offen offset:4
	buffer_load_dword v3, v4, s[0:3], 0 offen offset:8
	;; [unrolled: 1-line block ×3, first 2 shown]
	s_waitcnt vmcnt(0)
	ds_write_b128 v43, v[1:4]
	s_waitcnt lgkmcnt(0)
	s_barrier
	buffer_gl0_inv
	v_cmpx_gt_u32_e32 12, v0
	s_cbranch_execz .LBB18_63
; %bb.60:
	v_mov_b32_e32 v1, 0
	v_mov_b32_e32 v3, 0
	v_add_nc_u32_e32 v45, -1, v0
	v_add_nc_u32_e32 v46, 0x130, v49
	v_mov_b32_e32 v2, 0
	v_mov_b32_e32 v4, 0
	v_add_nc_u32_e32 v47, 16, v49
	s_mov_b32 s5, 0
	.p2align	6
.LBB18_61:                              ; =>This Inner Loop Header: Depth=1
	s_clause 0x3
	buffer_load_dword v54, v47, s[0:3], 0 offen offset:8
	buffer_load_dword v55, v47, s[0:3], 0 offen offset:12
	buffer_load_dword v56, v47, s[0:3], 0 offen
	buffer_load_dword v57, v47, s[0:3], 0 offen offset:4
	ds_read_b128 v[50:53], v46
	v_add_nc_u32_e32 v45, 1, v45
	v_add_nc_u32_e32 v46, 16, v46
	;; [unrolled: 1-line block ×3, first 2 shown]
	v_cmp_lt_u32_e32 vcc_lo, 10, v45
	s_or_b32 s5, vcc_lo, s5
	s_waitcnt vmcnt(2) lgkmcnt(0)
	v_mul_f64 v[58:59], v[52:53], v[54:55]
	v_mul_f64 v[54:55], v[50:51], v[54:55]
	s_waitcnt vmcnt(0)
	v_fma_f64 v[50:51], v[50:51], v[56:57], -v[58:59]
	v_fma_f64 v[52:53], v[52:53], v[56:57], v[54:55]
	v_add_f64 v[3:4], v[3:4], v[50:51]
	v_add_f64 v[1:2], v[1:2], v[52:53]
	s_andn2_b32 exec_lo, exec_lo, s5
	s_cbranch_execnz .LBB18_61
; %bb.62:
	s_or_b32 exec_lo, exec_lo, s5
	v_mov_b32_e32 v45, 0
	ds_read_b128 v[45:48], v45 offset:192
	s_waitcnt lgkmcnt(0)
	v_mul_f64 v[50:51], v[1:2], v[47:48]
	v_mul_f64 v[47:48], v[3:4], v[47:48]
	v_fma_f64 v[3:4], v[3:4], v[45:46], -v[50:51]
	v_fma_f64 v[1:2], v[1:2], v[45:46], v[47:48]
	buffer_store_dword v4, off, s[0:3], 0 offset:212
	buffer_store_dword v3, off, s[0:3], 0 offset:208
	;; [unrolled: 1-line block ×4, first 2 shown]
.LBB18_63:
	s_or_b32 exec_lo, exec_lo, s4
	v_mov_b32_e32 v4, s15
	s_waitcnt_vscnt null, 0x0
	s_barrier
	buffer_gl0_inv
	s_mov_b32 s4, exec_lo
	s_clause 0x3
	buffer_load_dword v1, v4, s[0:3], 0 offen
	buffer_load_dword v2, v4, s[0:3], 0 offen offset:4
	buffer_load_dword v3, v4, s[0:3], 0 offen offset:8
	;; [unrolled: 1-line block ×3, first 2 shown]
	s_waitcnt vmcnt(0)
	ds_write_b128 v43, v[1:4]
	s_waitcnt lgkmcnt(0)
	s_barrier
	buffer_gl0_inv
	v_cmpx_gt_u32_e32 13, v0
	s_cbranch_execz .LBB18_67
; %bb.64:
	v_mov_b32_e32 v1, 0
	v_mov_b32_e32 v3, 0
	v_add_nc_u32_e32 v45, -1, v0
	v_add_nc_u32_e32 v46, 0x130, v49
	v_mov_b32_e32 v2, 0
	v_mov_b32_e32 v4, 0
	v_add_nc_u32_e32 v47, 16, v49
	s_mov_b32 s5, 0
	.p2align	6
.LBB18_65:                              ; =>This Inner Loop Header: Depth=1
	s_clause 0x3
	buffer_load_dword v54, v47, s[0:3], 0 offen offset:8
	buffer_load_dword v55, v47, s[0:3], 0 offen offset:12
	buffer_load_dword v56, v47, s[0:3], 0 offen
	buffer_load_dword v57, v47, s[0:3], 0 offen offset:4
	ds_read_b128 v[50:53], v46
	v_add_nc_u32_e32 v45, 1, v45
	v_add_nc_u32_e32 v46, 16, v46
	;; [unrolled: 1-line block ×3, first 2 shown]
	v_cmp_lt_u32_e32 vcc_lo, 11, v45
	s_or_b32 s5, vcc_lo, s5
	s_waitcnt vmcnt(2) lgkmcnt(0)
	v_mul_f64 v[58:59], v[52:53], v[54:55]
	v_mul_f64 v[54:55], v[50:51], v[54:55]
	s_waitcnt vmcnt(0)
	v_fma_f64 v[50:51], v[50:51], v[56:57], -v[58:59]
	v_fma_f64 v[52:53], v[52:53], v[56:57], v[54:55]
	v_add_f64 v[3:4], v[3:4], v[50:51]
	v_add_f64 v[1:2], v[1:2], v[52:53]
	s_andn2_b32 exec_lo, exec_lo, s5
	s_cbranch_execnz .LBB18_65
; %bb.66:
	s_or_b32 exec_lo, exec_lo, s5
	v_mov_b32_e32 v45, 0
	ds_read_b128 v[45:48], v45 offset:208
	s_waitcnt lgkmcnt(0)
	v_mul_f64 v[50:51], v[1:2], v[47:48]
	v_mul_f64 v[47:48], v[3:4], v[47:48]
	v_fma_f64 v[3:4], v[3:4], v[45:46], -v[50:51]
	v_fma_f64 v[1:2], v[1:2], v[45:46], v[47:48]
	buffer_store_dword v4, off, s[0:3], 0 offset:228
	buffer_store_dword v3, off, s[0:3], 0 offset:224
	;; [unrolled: 1-line block ×4, first 2 shown]
.LBB18_67:
	s_or_b32 exec_lo, exec_lo, s4
	v_mov_b32_e32 v4, s14
	s_waitcnt_vscnt null, 0x0
	s_barrier
	buffer_gl0_inv
	s_mov_b32 s4, exec_lo
	s_clause 0x3
	buffer_load_dword v1, v4, s[0:3], 0 offen
	buffer_load_dword v2, v4, s[0:3], 0 offen offset:4
	buffer_load_dword v3, v4, s[0:3], 0 offen offset:8
	;; [unrolled: 1-line block ×3, first 2 shown]
	s_waitcnt vmcnt(0)
	ds_write_b128 v43, v[1:4]
	s_waitcnt lgkmcnt(0)
	s_barrier
	buffer_gl0_inv
	v_cmpx_gt_u32_e32 14, v0
	s_cbranch_execz .LBB18_71
; %bb.68:
	v_mov_b32_e32 v1, 0
	v_mov_b32_e32 v3, 0
	v_add_nc_u32_e32 v45, -1, v0
	v_add_nc_u32_e32 v46, 0x130, v49
	v_mov_b32_e32 v2, 0
	v_mov_b32_e32 v4, 0
	v_add_nc_u32_e32 v47, 16, v49
	s_mov_b32 s5, 0
	.p2align	6
.LBB18_69:                              ; =>This Inner Loop Header: Depth=1
	s_clause 0x3
	buffer_load_dword v54, v47, s[0:3], 0 offen offset:8
	buffer_load_dword v55, v47, s[0:3], 0 offen offset:12
	buffer_load_dword v56, v47, s[0:3], 0 offen
	buffer_load_dword v57, v47, s[0:3], 0 offen offset:4
	ds_read_b128 v[50:53], v46
	v_add_nc_u32_e32 v45, 1, v45
	v_add_nc_u32_e32 v46, 16, v46
	;; [unrolled: 1-line block ×3, first 2 shown]
	v_cmp_lt_u32_e32 vcc_lo, 12, v45
	s_or_b32 s5, vcc_lo, s5
	s_waitcnt vmcnt(2) lgkmcnt(0)
	v_mul_f64 v[58:59], v[52:53], v[54:55]
	v_mul_f64 v[54:55], v[50:51], v[54:55]
	s_waitcnt vmcnt(0)
	v_fma_f64 v[50:51], v[50:51], v[56:57], -v[58:59]
	v_fma_f64 v[52:53], v[52:53], v[56:57], v[54:55]
	v_add_f64 v[3:4], v[3:4], v[50:51]
	v_add_f64 v[1:2], v[1:2], v[52:53]
	s_andn2_b32 exec_lo, exec_lo, s5
	s_cbranch_execnz .LBB18_69
; %bb.70:
	s_or_b32 exec_lo, exec_lo, s5
	v_mov_b32_e32 v45, 0
	ds_read_b128 v[45:48], v45 offset:224
	s_waitcnt lgkmcnt(0)
	v_mul_f64 v[50:51], v[1:2], v[47:48]
	v_mul_f64 v[47:48], v[3:4], v[47:48]
	v_fma_f64 v[3:4], v[3:4], v[45:46], -v[50:51]
	v_fma_f64 v[1:2], v[1:2], v[45:46], v[47:48]
	buffer_store_dword v4, off, s[0:3], 0 offset:244
	buffer_store_dword v3, off, s[0:3], 0 offset:240
	;; [unrolled: 1-line block ×4, first 2 shown]
.LBB18_71:
	s_or_b32 exec_lo, exec_lo, s4
	v_mov_b32_e32 v4, s13
	s_waitcnt_vscnt null, 0x0
	s_barrier
	buffer_gl0_inv
	s_mov_b32 s4, exec_lo
	s_clause 0x3
	buffer_load_dword v1, v4, s[0:3], 0 offen
	buffer_load_dword v2, v4, s[0:3], 0 offen offset:4
	buffer_load_dword v3, v4, s[0:3], 0 offen offset:8
	;; [unrolled: 1-line block ×3, first 2 shown]
	s_waitcnt vmcnt(0)
	ds_write_b128 v43, v[1:4]
	s_waitcnt lgkmcnt(0)
	s_barrier
	buffer_gl0_inv
	v_cmpx_gt_u32_e32 15, v0
	s_cbranch_execz .LBB18_75
; %bb.72:
	v_mov_b32_e32 v1, 0
	v_mov_b32_e32 v3, 0
	v_add_nc_u32_e32 v45, -1, v0
	v_add_nc_u32_e32 v46, 0x130, v49
	v_mov_b32_e32 v2, 0
	v_mov_b32_e32 v4, 0
	v_add_nc_u32_e32 v47, 16, v49
	s_mov_b32 s5, 0
	.p2align	6
.LBB18_73:                              ; =>This Inner Loop Header: Depth=1
	s_clause 0x3
	buffer_load_dword v54, v47, s[0:3], 0 offen offset:8
	buffer_load_dword v55, v47, s[0:3], 0 offen offset:12
	buffer_load_dword v56, v47, s[0:3], 0 offen
	buffer_load_dword v57, v47, s[0:3], 0 offen offset:4
	ds_read_b128 v[50:53], v46
	v_add_nc_u32_e32 v45, 1, v45
	v_add_nc_u32_e32 v46, 16, v46
	;; [unrolled: 1-line block ×3, first 2 shown]
	v_cmp_lt_u32_e32 vcc_lo, 13, v45
	s_or_b32 s5, vcc_lo, s5
	s_waitcnt vmcnt(2) lgkmcnt(0)
	v_mul_f64 v[58:59], v[52:53], v[54:55]
	v_mul_f64 v[54:55], v[50:51], v[54:55]
	s_waitcnt vmcnt(0)
	v_fma_f64 v[50:51], v[50:51], v[56:57], -v[58:59]
	v_fma_f64 v[52:53], v[52:53], v[56:57], v[54:55]
	v_add_f64 v[3:4], v[3:4], v[50:51]
	v_add_f64 v[1:2], v[1:2], v[52:53]
	s_andn2_b32 exec_lo, exec_lo, s5
	s_cbranch_execnz .LBB18_73
; %bb.74:
	s_or_b32 exec_lo, exec_lo, s5
	v_mov_b32_e32 v45, 0
	ds_read_b128 v[45:48], v45 offset:240
	s_waitcnt lgkmcnt(0)
	v_mul_f64 v[50:51], v[1:2], v[47:48]
	v_mul_f64 v[47:48], v[3:4], v[47:48]
	v_fma_f64 v[3:4], v[3:4], v[45:46], -v[50:51]
	v_fma_f64 v[1:2], v[1:2], v[45:46], v[47:48]
	buffer_store_dword v4, off, s[0:3], 0 offset:260
	buffer_store_dword v3, off, s[0:3], 0 offset:256
	buffer_store_dword v2, off, s[0:3], 0 offset:268
	buffer_store_dword v1, off, s[0:3], 0 offset:264
.LBB18_75:
	s_or_b32 exec_lo, exec_lo, s4
	v_mov_b32_e32 v4, s12
	s_waitcnt_vscnt null, 0x0
	s_barrier
	buffer_gl0_inv
	s_mov_b32 s4, exec_lo
	s_clause 0x3
	buffer_load_dword v1, v4, s[0:3], 0 offen
	buffer_load_dword v2, v4, s[0:3], 0 offen offset:4
	buffer_load_dword v3, v4, s[0:3], 0 offen offset:8
	;; [unrolled: 1-line block ×3, first 2 shown]
	s_waitcnt vmcnt(0)
	ds_write_b128 v43, v[1:4]
	s_waitcnt lgkmcnt(0)
	s_barrier
	buffer_gl0_inv
	v_cmpx_gt_u32_e32 16, v0
	s_cbranch_execz .LBB18_79
; %bb.76:
	v_mov_b32_e32 v1, 0
	v_mov_b32_e32 v3, 0
	v_add_nc_u32_e32 v45, -1, v0
	v_add_nc_u32_e32 v46, 0x130, v49
	v_mov_b32_e32 v2, 0
	v_mov_b32_e32 v4, 0
	v_add_nc_u32_e32 v47, 16, v49
	s_mov_b32 s5, 0
	.p2align	6
.LBB18_77:                              ; =>This Inner Loop Header: Depth=1
	s_clause 0x3
	buffer_load_dword v54, v47, s[0:3], 0 offen offset:8
	buffer_load_dword v55, v47, s[0:3], 0 offen offset:12
	buffer_load_dword v56, v47, s[0:3], 0 offen
	buffer_load_dword v57, v47, s[0:3], 0 offen offset:4
	ds_read_b128 v[50:53], v46
	v_add_nc_u32_e32 v45, 1, v45
	v_add_nc_u32_e32 v46, 16, v46
	;; [unrolled: 1-line block ×3, first 2 shown]
	v_cmp_lt_u32_e32 vcc_lo, 14, v45
	s_or_b32 s5, vcc_lo, s5
	s_waitcnt vmcnt(2) lgkmcnt(0)
	v_mul_f64 v[58:59], v[52:53], v[54:55]
	v_mul_f64 v[54:55], v[50:51], v[54:55]
	s_waitcnt vmcnt(0)
	v_fma_f64 v[50:51], v[50:51], v[56:57], -v[58:59]
	v_fma_f64 v[52:53], v[52:53], v[56:57], v[54:55]
	v_add_f64 v[3:4], v[3:4], v[50:51]
	v_add_f64 v[1:2], v[1:2], v[52:53]
	s_andn2_b32 exec_lo, exec_lo, s5
	s_cbranch_execnz .LBB18_77
; %bb.78:
	s_or_b32 exec_lo, exec_lo, s5
	v_mov_b32_e32 v45, 0
	ds_read_b128 v[45:48], v45 offset:256
	s_waitcnt lgkmcnt(0)
	v_mul_f64 v[50:51], v[1:2], v[47:48]
	v_mul_f64 v[47:48], v[3:4], v[47:48]
	v_fma_f64 v[3:4], v[3:4], v[45:46], -v[50:51]
	v_fma_f64 v[1:2], v[1:2], v[45:46], v[47:48]
	buffer_store_dword v4, off, s[0:3], 0 offset:276
	buffer_store_dword v3, off, s[0:3], 0 offset:272
	;; [unrolled: 1-line block ×4, first 2 shown]
.LBB18_79:
	s_or_b32 exec_lo, exec_lo, s4
	v_mov_b32_e32 v4, s9
	s_waitcnt_vscnt null, 0x0
	s_barrier
	buffer_gl0_inv
	s_mov_b32 s4, exec_lo
	s_clause 0x3
	buffer_load_dword v1, v4, s[0:3], 0 offen
	buffer_load_dword v2, v4, s[0:3], 0 offen offset:4
	buffer_load_dword v3, v4, s[0:3], 0 offen offset:8
	buffer_load_dword v4, v4, s[0:3], 0 offen offset:12
	s_waitcnt vmcnt(0)
	ds_write_b128 v43, v[1:4]
	s_waitcnt lgkmcnt(0)
	s_barrier
	buffer_gl0_inv
	v_cmpx_gt_u32_e32 17, v0
	s_cbranch_execz .LBB18_83
; %bb.80:
	v_mov_b32_e32 v1, 0
	v_mov_b32_e32 v3, 0
	v_add_nc_u32_e32 v45, -1, v0
	v_add_nc_u32_e32 v46, 0x130, v49
	v_mov_b32_e32 v2, 0
	v_mov_b32_e32 v4, 0
	v_add_nc_u32_e32 v47, 16, v49
	s_mov_b32 s5, 0
	.p2align	6
.LBB18_81:                              ; =>This Inner Loop Header: Depth=1
	s_clause 0x3
	buffer_load_dword v54, v47, s[0:3], 0 offen offset:8
	buffer_load_dword v55, v47, s[0:3], 0 offen offset:12
	buffer_load_dword v56, v47, s[0:3], 0 offen
	buffer_load_dword v57, v47, s[0:3], 0 offen offset:4
	ds_read_b128 v[50:53], v46
	v_add_nc_u32_e32 v45, 1, v45
	v_add_nc_u32_e32 v46, 16, v46
	;; [unrolled: 1-line block ×3, first 2 shown]
	v_cmp_lt_u32_e32 vcc_lo, 15, v45
	s_or_b32 s5, vcc_lo, s5
	s_waitcnt vmcnt(2) lgkmcnt(0)
	v_mul_f64 v[58:59], v[52:53], v[54:55]
	v_mul_f64 v[54:55], v[50:51], v[54:55]
	s_waitcnt vmcnt(0)
	v_fma_f64 v[50:51], v[50:51], v[56:57], -v[58:59]
	v_fma_f64 v[52:53], v[52:53], v[56:57], v[54:55]
	v_add_f64 v[3:4], v[3:4], v[50:51]
	v_add_f64 v[1:2], v[1:2], v[52:53]
	s_andn2_b32 exec_lo, exec_lo, s5
	s_cbranch_execnz .LBB18_81
; %bb.82:
	s_or_b32 exec_lo, exec_lo, s5
	v_mov_b32_e32 v45, 0
	ds_read_b128 v[45:48], v45 offset:272
	s_waitcnt lgkmcnt(0)
	v_mul_f64 v[50:51], v[1:2], v[47:48]
	v_mul_f64 v[47:48], v[3:4], v[47:48]
	v_fma_f64 v[3:4], v[3:4], v[45:46], -v[50:51]
	v_fma_f64 v[1:2], v[1:2], v[45:46], v[47:48]
	buffer_store_dword v4, off, s[0:3], 0 offset:292
	buffer_store_dword v3, off, s[0:3], 0 offset:288
	;; [unrolled: 1-line block ×4, first 2 shown]
.LBB18_83:
	s_or_b32 exec_lo, exec_lo, s4
	v_mov_b32_e32 v4, s8
	s_waitcnt_vscnt null, 0x0
	s_barrier
	buffer_gl0_inv
	s_mov_b32 s4, exec_lo
	s_clause 0x3
	buffer_load_dword v1, v4, s[0:3], 0 offen
	buffer_load_dword v2, v4, s[0:3], 0 offen offset:4
	buffer_load_dword v3, v4, s[0:3], 0 offen offset:8
	;; [unrolled: 1-line block ×3, first 2 shown]
	s_waitcnt vmcnt(0)
	ds_write_b128 v43, v[1:4]
	s_waitcnt lgkmcnt(0)
	s_barrier
	buffer_gl0_inv
	v_cmpx_ne_u32_e32 18, v0
	s_cbranch_execz .LBB18_87
; %bb.84:
	v_mov_b32_e32 v1, 0
	v_mov_b32_e32 v3, 0
	;; [unrolled: 1-line block ×4, first 2 shown]
	v_add_nc_u32_e32 v45, 16, v49
	s_mov_b32 s5, 0
	.p2align	6
.LBB18_85:                              ; =>This Inner Loop Header: Depth=1
	s_clause 0x3
	buffer_load_dword v50, v45, s[0:3], 0 offen offset:8
	buffer_load_dword v51, v45, s[0:3], 0 offen offset:12
	buffer_load_dword v52, v45, s[0:3], 0 offen
	buffer_load_dword v53, v45, s[0:3], 0 offen offset:4
	ds_read_b128 v[46:49], v43
	v_add_nc_u32_e32 v44, 1, v44
	v_add_nc_u32_e32 v43, 16, v43
	;; [unrolled: 1-line block ×3, first 2 shown]
	v_cmp_lt_u32_e32 vcc_lo, 16, v44
	s_or_b32 s5, vcc_lo, s5
	s_waitcnt vmcnt(2) lgkmcnt(0)
	v_mul_f64 v[54:55], v[48:49], v[50:51]
	v_mul_f64 v[50:51], v[46:47], v[50:51]
	s_waitcnt vmcnt(0)
	v_fma_f64 v[46:47], v[46:47], v[52:53], -v[54:55]
	v_fma_f64 v[48:49], v[48:49], v[52:53], v[50:51]
	v_add_f64 v[3:4], v[3:4], v[46:47]
	v_add_f64 v[1:2], v[1:2], v[48:49]
	s_andn2_b32 exec_lo, exec_lo, s5
	s_cbranch_execnz .LBB18_85
; %bb.86:
	s_or_b32 exec_lo, exec_lo, s5
	v_mov_b32_e32 v43, 0
	ds_read_b128 v[43:46], v43 offset:288
	s_waitcnt lgkmcnt(0)
	v_mul_f64 v[47:48], v[1:2], v[45:46]
	v_mul_f64 v[45:46], v[3:4], v[45:46]
	v_fma_f64 v[3:4], v[3:4], v[43:44], -v[47:48]
	v_fma_f64 v[1:2], v[1:2], v[43:44], v[45:46]
	buffer_store_dword v4, off, s[0:3], 0 offset:308
	buffer_store_dword v3, off, s[0:3], 0 offset:304
	;; [unrolled: 1-line block ×4, first 2 shown]
.LBB18_87:
	s_or_b32 exec_lo, exec_lo, s4
	s_mov_b32 s5, -1
	s_waitcnt_vscnt null, 0x0
	s_barrier
	buffer_gl0_inv
.LBB18_88:
	s_and_b32 vcc_lo, exec_lo, s5
	s_cbranch_vccz .LBB18_90
; %bb.89:
	s_lshl_b64 s[4:5], s[6:7], 2
	v_mov_b32_e32 v1, 0
	s_add_u32 s4, s10, s4
	s_addc_u32 s5, s11, s5
	global_load_dword v1, v1, s[4:5]
	s_waitcnt vmcnt(0)
	v_cmp_ne_u32_e32 vcc_lo, 0, v1
	s_cbranch_vccz .LBB18_91
.LBB18_90:
	s_endpgm
.LBB18_91:
	v_lshl_add_u32 v1, v0, 4, 0x130
	s_mov_b32 s4, exec_lo
	v_cmpx_eq_u32_e32 18, v0
	s_cbranch_execz .LBB18_93
; %bb.92:
	v_mov_b32_e32 v2, s9
	s_clause 0x3
	buffer_load_dword v43, v2, s[0:3], 0 offen
	buffer_load_dword v44, v2, s[0:3], 0 offen offset:4
	buffer_load_dword v45, v2, s[0:3], 0 offen offset:8
	;; [unrolled: 1-line block ×3, first 2 shown]
	v_mov_b32_e32 v2, 0
	buffer_store_dword v2, off, s[0:3], 0 offset:288
	buffer_store_dword v2, off, s[0:3], 0 offset:292
	;; [unrolled: 1-line block ×4, first 2 shown]
	s_waitcnt vmcnt(0)
	ds_write_b128 v1, v[43:46]
.LBB18_93:
	s_or_b32 exec_lo, exec_lo, s4
	s_waitcnt lgkmcnt(0)
	s_waitcnt_vscnt null, 0x0
	s_barrier
	buffer_gl0_inv
	s_clause 0x7
	buffer_load_dword v3, off, s[0:3], 0 offset:312
	buffer_load_dword v4, off, s[0:3], 0 offset:316
	;; [unrolled: 1-line block ×8, first 2 shown]
	v_mov_b32_e32 v2, 0
	s_mov_b32 s4, exec_lo
	ds_read_b128 v[43:46], v2 offset:592
	s_waitcnt vmcnt(6) lgkmcnt(0)
	v_mul_f64 v[53:54], v[45:46], v[3:4]
	v_mul_f64 v[3:4], v[43:44], v[3:4]
	s_waitcnt vmcnt(4)
	v_fma_f64 v[43:44], v[43:44], v[47:48], -v[53:54]
	v_fma_f64 v[3:4], v[45:46], v[47:48], v[3:4]
	v_add_f64 v[43:44], v[43:44], 0
	v_add_f64 v[3:4], v[3:4], 0
	s_waitcnt vmcnt(2)
	v_add_f64 v[43:44], v[49:50], -v[43:44]
	s_waitcnt vmcnt(0)
	v_add_f64 v[3:4], v[51:52], -v[3:4]
	buffer_store_dword v43, off, s[0:3], 0 offset:288
	buffer_store_dword v44, off, s[0:3], 0 offset:292
	buffer_store_dword v3, off, s[0:3], 0 offset:296
	buffer_store_dword v4, off, s[0:3], 0 offset:300
	v_cmpx_lt_u32_e32 16, v0
	s_cbranch_execz .LBB18_95
; %bb.94:
	v_mov_b32_e32 v3, s12
	s_clause 0x3
	buffer_load_dword v43, v3, s[0:3], 0 offen
	buffer_load_dword v44, v3, s[0:3], 0 offen offset:4
	buffer_load_dword v45, v3, s[0:3], 0 offen offset:8
	;; [unrolled: 1-line block ×3, first 2 shown]
	buffer_store_dword v2, off, s[0:3], 0 offset:272
	buffer_store_dword v2, off, s[0:3], 0 offset:276
	;; [unrolled: 1-line block ×4, first 2 shown]
	s_waitcnt vmcnt(0)
	ds_write_b128 v1, v[43:46]
.LBB18_95:
	s_or_b32 exec_lo, exec_lo, s4
	s_waitcnt lgkmcnt(0)
	s_waitcnt_vscnt null, 0x0
	s_barrier
	buffer_gl0_inv
	s_clause 0xb
	buffer_load_dword v3, off, s[0:3], 0 offset:296
	buffer_load_dword v4, off, s[0:3], 0 offset:300
	;; [unrolled: 1-line block ×12, first 2 shown]
	ds_read_b128 v[43:46], v2 offset:576
	ds_read_b128 v[47:50], v2 offset:592
	s_mov_b32 s4, exec_lo
	s_waitcnt vmcnt(10) lgkmcnt(1)
	v_mul_f64 v[61:62], v[45:46], v[3:4]
	v_mul_f64 v[2:3], v[43:44], v[3:4]
	s_waitcnt vmcnt(8) lgkmcnt(0)
	v_mul_f64 v[63:64], v[49:50], v[51:52]
	v_mul_f64 v[51:52], v[47:48], v[51:52]
	s_waitcnt vmcnt(6)
	v_fma_f64 v[43:44], v[43:44], v[53:54], -v[61:62]
	v_fma_f64 v[2:3], v[45:46], v[53:54], v[2:3]
	s_waitcnt vmcnt(4)
	v_fma_f64 v[45:46], v[47:48], v[55:56], -v[63:64]
	v_fma_f64 v[47:48], v[49:50], v[55:56], v[51:52]
	v_add_f64 v[43:44], v[43:44], 0
	v_add_f64 v[2:3], v[2:3], 0
	;; [unrolled: 1-line block ×4, first 2 shown]
	s_waitcnt vmcnt(2)
	v_add_f64 v[43:44], v[57:58], -v[43:44]
	s_waitcnt vmcnt(0)
	v_add_f64 v[2:3], v[59:60], -v[2:3]
	buffer_store_dword v43, off, s[0:3], 0 offset:272
	buffer_store_dword v44, off, s[0:3], 0 offset:276
	;; [unrolled: 1-line block ×4, first 2 shown]
	v_cmpx_lt_u32_e32 15, v0
	s_cbranch_execz .LBB18_97
; %bb.96:
	v_mov_b32_e32 v2, s13
	s_clause 0x3
	buffer_load_dword v43, v2, s[0:3], 0 offen
	buffer_load_dword v44, v2, s[0:3], 0 offen offset:4
	buffer_load_dword v45, v2, s[0:3], 0 offen offset:8
	;; [unrolled: 1-line block ×3, first 2 shown]
	v_mov_b32_e32 v2, 0
	buffer_store_dword v2, off, s[0:3], 0 offset:256
	buffer_store_dword v2, off, s[0:3], 0 offset:260
	;; [unrolled: 1-line block ×4, first 2 shown]
	s_waitcnt vmcnt(0)
	ds_write_b128 v1, v[43:46]
.LBB18_97:
	s_or_b32 exec_lo, exec_lo, s4
	s_waitcnt lgkmcnt(0)
	s_waitcnt_vscnt null, 0x0
	s_barrier
	buffer_gl0_inv
	s_clause 0xf
	buffer_load_dword v3, off, s[0:3], 0 offset:280
	buffer_load_dword v4, off, s[0:3], 0 offset:284
	;; [unrolled: 1-line block ×16, first 2 shown]
	v_mov_b32_e32 v2, 0
	ds_read_b128 v[43:46], v2 offset:560
	ds_read_b128 v[47:50], v2 offset:576
	;; [unrolled: 1-line block ×3, first 2 shown]
	s_mov_b32 s4, exec_lo
	s_waitcnt vmcnt(14) lgkmcnt(2)
	v_mul_f64 v[69:70], v[45:46], v[3:4]
	v_mul_f64 v[3:4], v[43:44], v[3:4]
	s_waitcnt vmcnt(12) lgkmcnt(1)
	v_mul_f64 v[71:72], v[49:50], v[55:56]
	v_mul_f64 v[55:56], v[47:48], v[55:56]
	s_waitcnt vmcnt(10)
	v_fma_f64 v[43:44], v[43:44], v[57:58], -v[69:70]
	v_fma_f64 v[3:4], v[45:46], v[57:58], v[3:4]
	s_waitcnt vmcnt(8) lgkmcnt(0)
	v_mul_f64 v[57:58], v[53:54], v[59:60]
	s_waitcnt vmcnt(6)
	v_fma_f64 v[47:48], v[47:48], v[61:62], -v[71:72]
	v_mul_f64 v[45:46], v[51:52], v[59:60]
	v_fma_f64 v[49:50], v[49:50], v[61:62], v[55:56]
	v_add_f64 v[43:44], v[43:44], 0
	v_add_f64 v[3:4], v[3:4], 0
	s_waitcnt vmcnt(4)
	v_fma_f64 v[51:52], v[51:52], v[63:64], -v[57:58]
	v_fma_f64 v[45:46], v[53:54], v[63:64], v[45:46]
	v_add_f64 v[43:44], v[43:44], v[47:48]
	v_add_f64 v[3:4], v[3:4], v[49:50]
	;; [unrolled: 1-line block ×4, first 2 shown]
	s_waitcnt vmcnt(2)
	v_add_f64 v[43:44], v[65:66], -v[43:44]
	s_waitcnt vmcnt(0)
	v_add_f64 v[3:4], v[67:68], -v[3:4]
	buffer_store_dword v43, off, s[0:3], 0 offset:256
	buffer_store_dword v44, off, s[0:3], 0 offset:260
	;; [unrolled: 1-line block ×4, first 2 shown]
	v_cmpx_lt_u32_e32 14, v0
	s_cbranch_execz .LBB18_99
; %bb.98:
	v_mov_b32_e32 v3, s14
	s_clause 0x3
	buffer_load_dword v43, v3, s[0:3], 0 offen
	buffer_load_dword v44, v3, s[0:3], 0 offen offset:4
	buffer_load_dword v45, v3, s[0:3], 0 offen offset:8
	;; [unrolled: 1-line block ×3, first 2 shown]
	buffer_store_dword v2, off, s[0:3], 0 offset:240
	buffer_store_dword v2, off, s[0:3], 0 offset:244
	;; [unrolled: 1-line block ×4, first 2 shown]
	s_waitcnt vmcnt(0)
	ds_write_b128 v1, v[43:46]
.LBB18_99:
	s_or_b32 exec_lo, exec_lo, s4
	s_waitcnt lgkmcnt(0)
	s_waitcnt_vscnt null, 0x0
	s_barrier
	buffer_gl0_inv
	s_clause 0x13
	buffer_load_dword v3, off, s[0:3], 0 offset:264
	buffer_load_dword v4, off, s[0:3], 0 offset:268
	;; [unrolled: 1-line block ×20, first 2 shown]
	ds_read_b128 v[43:46], v2 offset:544
	ds_read_b128 v[47:50], v2 offset:560
	;; [unrolled: 1-line block ×3, first 2 shown]
	s_mov_b32 s4, exec_lo
	s_waitcnt vmcnt(18) lgkmcnt(2)
	v_mul_f64 v[73:74], v[45:46], v[3:4]
	v_mul_f64 v[3:4], v[43:44], v[3:4]
	s_waitcnt vmcnt(16) lgkmcnt(1)
	v_mul_f64 v[75:76], v[49:50], v[55:56]
	v_mul_f64 v[55:56], v[47:48], v[55:56]
	s_waitcnt vmcnt(14)
	v_fma_f64 v[73:74], v[43:44], v[57:58], -v[73:74]
	v_fma_f64 v[3:4], v[45:46], v[57:58], v[3:4]
	ds_read_b128 v[43:46], v2 offset:592
	s_waitcnt vmcnt(12) lgkmcnt(1)
	v_mul_f64 v[57:58], v[51:52], v[59:60]
	v_mul_f64 v[59:60], v[53:54], v[59:60]
	s_waitcnt vmcnt(10)
	v_fma_f64 v[47:48], v[47:48], v[61:62], -v[75:76]
	v_fma_f64 v[49:50], v[49:50], v[61:62], v[55:56]
	s_waitcnt vmcnt(8) lgkmcnt(0)
	v_mul_f64 v[61:62], v[45:46], v[63:64]
	v_add_f64 v[73:74], v[73:74], 0
	v_add_f64 v[2:3], v[3:4], 0
	v_mul_f64 v[55:56], v[43:44], v[63:64]
	s_waitcnt vmcnt(6)
	v_fma_f64 v[51:52], v[51:52], v[65:66], -v[59:60]
	v_fma_f64 v[53:54], v[53:54], v[65:66], v[57:58]
	s_waitcnt vmcnt(4)
	v_fma_f64 v[43:44], v[43:44], v[67:68], -v[61:62]
	v_add_f64 v[47:48], v[73:74], v[47:48]
	v_add_f64 v[2:3], v[2:3], v[49:50]
	v_fma_f64 v[45:46], v[45:46], v[67:68], v[55:56]
	v_add_f64 v[47:48], v[47:48], v[51:52]
	v_add_f64 v[2:3], v[2:3], v[53:54]
	v_add_f64 v[43:44], v[47:48], v[43:44]
	v_add_f64 v[2:3], v[2:3], v[45:46]
	s_waitcnt vmcnt(2)
	v_add_f64 v[43:44], v[69:70], -v[43:44]
	s_waitcnt vmcnt(0)
	v_add_f64 v[2:3], v[71:72], -v[2:3]
	buffer_store_dword v43, off, s[0:3], 0 offset:240
	buffer_store_dword v44, off, s[0:3], 0 offset:244
	;; [unrolled: 1-line block ×4, first 2 shown]
	v_cmpx_lt_u32_e32 13, v0
	s_cbranch_execz .LBB18_101
; %bb.100:
	v_mov_b32_e32 v2, s15
	s_clause 0x3
	buffer_load_dword v43, v2, s[0:3], 0 offen
	buffer_load_dword v44, v2, s[0:3], 0 offen offset:4
	buffer_load_dword v45, v2, s[0:3], 0 offen offset:8
	;; [unrolled: 1-line block ×3, first 2 shown]
	v_mov_b32_e32 v2, 0
	buffer_store_dword v2, off, s[0:3], 0 offset:224
	buffer_store_dword v2, off, s[0:3], 0 offset:228
	;; [unrolled: 1-line block ×4, first 2 shown]
	s_waitcnt vmcnt(0)
	ds_write_b128 v1, v[43:46]
.LBB18_101:
	s_or_b32 exec_lo, exec_lo, s4
	s_waitcnt lgkmcnt(0)
	s_waitcnt_vscnt null, 0x0
	s_barrier
	buffer_gl0_inv
	s_clause 0x17
	buffer_load_dword v3, off, s[0:3], 0 offset:248
	buffer_load_dword v4, off, s[0:3], 0 offset:252
	;; [unrolled: 1-line block ×24, first 2 shown]
	v_mov_b32_e32 v2, 0
	ds_read_b128 v[43:46], v2 offset:528
	ds_read_b128 v[47:50], v2 offset:544
	;; [unrolled: 1-line block ×3, first 2 shown]
	s_mov_b32 s4, exec_lo
	s_waitcnt vmcnt(22) lgkmcnt(2)
	v_mul_f64 v[77:78], v[45:46], v[3:4]
	v_mul_f64 v[3:4], v[43:44], v[3:4]
	s_waitcnt vmcnt(20) lgkmcnt(1)
	v_mul_f64 v[79:80], v[49:50], v[55:56]
	v_mul_f64 v[55:56], v[47:48], v[55:56]
	s_waitcnt vmcnt(18)
	v_fma_f64 v[77:78], v[43:44], v[57:58], -v[77:78]
	v_fma_f64 v[3:4], v[45:46], v[57:58], v[3:4]
	ds_read_b128 v[43:46], v2 offset:576
	s_waitcnt vmcnt(16) lgkmcnt(1)
	v_mul_f64 v[57:58], v[51:52], v[59:60]
	v_mul_f64 v[59:60], v[53:54], v[59:60]
	s_waitcnt vmcnt(14)
	v_fma_f64 v[79:80], v[47:48], v[61:62], -v[79:80]
	v_fma_f64 v[55:56], v[49:50], v[61:62], v[55:56]
	ds_read_b128 v[47:50], v2 offset:592
	s_waitcnt vmcnt(10) lgkmcnt(1)
	v_mul_f64 v[61:62], v[43:44], v[63:64]
	v_add_f64 v[77:78], v[77:78], 0
	v_add_f64 v[3:4], v[3:4], 0
	v_mul_f64 v[63:64], v[45:46], v[63:64]
	s_waitcnt vmcnt(8)
	v_fma_f64 v[51:52], v[51:52], v[69:70], -v[59:60]
	v_fma_f64 v[53:54], v[53:54], v[69:70], v[57:58]
	s_waitcnt vmcnt(7) lgkmcnt(0)
	v_mul_f64 v[57:58], v[49:50], v[65:66]
	s_waitcnt vmcnt(5)
	v_fma_f64 v[45:46], v[45:46], v[71:72], v[61:62]
	v_add_f64 v[59:60], v[77:78], v[79:80]
	v_add_f64 v[3:4], v[3:4], v[55:56]
	v_fma_f64 v[43:44], v[43:44], v[71:72], -v[63:64]
	v_mul_f64 v[55:56], v[47:48], v[65:66]
	s_waitcnt vmcnt(4)
	v_fma_f64 v[47:48], v[47:48], v[67:68], -v[57:58]
	v_add_f64 v[51:52], v[59:60], v[51:52]
	v_add_f64 v[3:4], v[3:4], v[53:54]
	v_fma_f64 v[49:50], v[49:50], v[67:68], v[55:56]
	v_add_f64 v[43:44], v[51:52], v[43:44]
	v_add_f64 v[3:4], v[3:4], v[45:46]
	v_add_f64 v[43:44], v[43:44], v[47:48]
	v_add_f64 v[3:4], v[3:4], v[49:50]
	s_waitcnt vmcnt(2)
	v_add_f64 v[43:44], v[73:74], -v[43:44]
	s_waitcnt vmcnt(0)
	v_add_f64 v[3:4], v[75:76], -v[3:4]
	buffer_store_dword v44, off, s[0:3], 0 offset:228
	buffer_store_dword v43, off, s[0:3], 0 offset:224
	;; [unrolled: 1-line block ×4, first 2 shown]
	v_cmpx_lt_u32_e32 12, v0
	s_cbranch_execz .LBB18_103
; %bb.102:
	v_mov_b32_e32 v3, s16
	s_clause 0x3
	buffer_load_dword v43, v3, s[0:3], 0 offen
	buffer_load_dword v44, v3, s[0:3], 0 offen offset:4
	buffer_load_dword v45, v3, s[0:3], 0 offen offset:8
	;; [unrolled: 1-line block ×3, first 2 shown]
	buffer_store_dword v2, off, s[0:3], 0 offset:208
	buffer_store_dword v2, off, s[0:3], 0 offset:212
	;; [unrolled: 1-line block ×4, first 2 shown]
	s_waitcnt vmcnt(0)
	ds_write_b128 v1, v[43:46]
.LBB18_103:
	s_or_b32 exec_lo, exec_lo, s4
	s_waitcnt lgkmcnt(0)
	s_waitcnt_vscnt null, 0x0
	s_barrier
	buffer_gl0_inv
	s_clause 0x1b
	buffer_load_dword v3, off, s[0:3], 0 offset:232
	buffer_load_dword v4, off, s[0:3], 0 offset:236
	buffer_load_dword v55, off, s[0:3], 0 offset:248
	buffer_load_dword v56, off, s[0:3], 0 offset:252
	buffer_load_dword v57, off, s[0:3], 0 offset:224
	buffer_load_dword v58, off, s[0:3], 0 offset:228
	buffer_load_dword v59, off, s[0:3], 0 offset:264
	buffer_load_dword v60, off, s[0:3], 0 offset:268
	buffer_load_dword v61, off, s[0:3], 0 offset:240
	buffer_load_dword v62, off, s[0:3], 0 offset:244
	buffer_load_dword v64, off, s[0:3], 0 offset:284
	buffer_load_dword v65, off, s[0:3], 0 offset:296
	buffer_load_dword v67, off, s[0:3], 0 offset:288
	buffer_load_dword v63, off, s[0:3], 0 offset:280
	buffer_load_dword v69, off, s[0:3], 0 offset:256
	buffer_load_dword v70, off, s[0:3], 0 offset:260
	buffer_load_dword v66, off, s[0:3], 0 offset:300
	buffer_load_dword v72, off, s[0:3], 0 offset:276
	buffer_load_dword v71, off, s[0:3], 0 offset:272
	buffer_load_dword v74, off, s[0:3], 0 offset:316
	buffer_load_dword v73, off, s[0:3], 0 offset:312
	buffer_load_dword v68, off, s[0:3], 0 offset:292
	buffer_load_dword v76, off, s[0:3], 0 offset:308
	buffer_load_dword v75, off, s[0:3], 0 offset:304
	buffer_load_dword v77, off, s[0:3], 0 offset:208
	buffer_load_dword v78, off, s[0:3], 0 offset:212
	buffer_load_dword v79, off, s[0:3], 0 offset:216
	buffer_load_dword v80, off, s[0:3], 0 offset:220
	ds_read_b128 v[43:46], v2 offset:512
	ds_read_b128 v[47:50], v2 offset:528
	;; [unrolled: 1-line block ×3, first 2 shown]
	s_mov_b32 s4, exec_lo
	s_waitcnt vmcnt(26) lgkmcnt(2)
	v_mul_f64 v[81:82], v[45:46], v[3:4]
	v_mul_f64 v[3:4], v[43:44], v[3:4]
	s_waitcnt vmcnt(24) lgkmcnt(1)
	v_mul_f64 v[83:84], v[49:50], v[55:56]
	v_mul_f64 v[55:56], v[47:48], v[55:56]
	s_waitcnt vmcnt(22)
	v_fma_f64 v[81:82], v[43:44], v[57:58], -v[81:82]
	v_fma_f64 v[3:4], v[45:46], v[57:58], v[3:4]
	ds_read_b128 v[43:46], v2 offset:560
	s_waitcnt vmcnt(20) lgkmcnt(1)
	v_mul_f64 v[57:58], v[51:52], v[59:60]
	v_mul_f64 v[59:60], v[53:54], v[59:60]
	s_waitcnt vmcnt(18)
	v_fma_f64 v[83:84], v[47:48], v[61:62], -v[83:84]
	v_fma_f64 v[55:56], v[49:50], v[61:62], v[55:56]
	ds_read_b128 v[47:50], v2 offset:576
	s_waitcnt vmcnt(14) lgkmcnt(1)
	v_mul_f64 v[61:62], v[43:44], v[63:64]
	v_add_f64 v[81:82], v[81:82], 0
	v_add_f64 v[3:4], v[3:4], 0
	v_mul_f64 v[63:64], v[45:46], v[63:64]
	s_waitcnt vmcnt(12)
	v_fma_f64 v[59:60], v[51:52], v[69:70], -v[59:60]
	v_fma_f64 v[57:58], v[53:54], v[69:70], v[57:58]
	ds_read_b128 v[51:54], v2 offset:592
	s_waitcnt vmcnt(9)
	v_fma_f64 v[45:46], v[45:46], v[71:72], v[61:62]
	v_add_f64 v[81:82], v[81:82], v[83:84]
	v_add_f64 v[3:4], v[3:4], v[55:56]
	s_waitcnt lgkmcnt(1)
	v_mul_f64 v[55:56], v[47:48], v[65:66]
	v_mul_f64 v[65:66], v[49:50], v[65:66]
	v_fma_f64 v[43:44], v[43:44], v[71:72], -v[63:64]
	s_waitcnt vmcnt(7) lgkmcnt(0)
	v_mul_f64 v[61:62], v[53:54], v[73:74]
	v_add_f64 v[59:60], v[81:82], v[59:60]
	v_add_f64 v[2:3], v[3:4], v[57:58]
	v_mul_f64 v[57:58], v[51:52], v[73:74]
	s_waitcnt vmcnt(6)
	v_fma_f64 v[47:48], v[47:48], v[67:68], -v[65:66]
	v_fma_f64 v[49:50], v[49:50], v[67:68], v[55:56]
	v_add_f64 v[43:44], v[59:60], v[43:44]
	v_add_f64 v[2:3], v[2:3], v[45:46]
	s_waitcnt vmcnt(4)
	v_fma_f64 v[45:46], v[51:52], v[75:76], -v[61:62]
	v_add_f64 v[43:44], v[43:44], v[47:48]
	v_fma_f64 v[47:48], v[53:54], v[75:76], v[57:58]
	v_add_f64 v[2:3], v[2:3], v[49:50]
	v_add_f64 v[43:44], v[43:44], v[45:46]
	;; [unrolled: 1-line block ×3, first 2 shown]
	s_waitcnt vmcnt(2)
	v_add_f64 v[43:44], v[77:78], -v[43:44]
	s_waitcnt vmcnt(0)
	v_add_f64 v[2:3], v[79:80], -v[2:3]
	buffer_store_dword v44, off, s[0:3], 0 offset:212
	buffer_store_dword v43, off, s[0:3], 0 offset:208
	;; [unrolled: 1-line block ×4, first 2 shown]
	v_cmpx_lt_u32_e32 11, v0
	s_cbranch_execz .LBB18_105
; %bb.104:
	v_mov_b32_e32 v2, s17
	s_clause 0x3
	buffer_load_dword v43, v2, s[0:3], 0 offen
	buffer_load_dword v44, v2, s[0:3], 0 offen offset:4
	buffer_load_dword v45, v2, s[0:3], 0 offen offset:8
	;; [unrolled: 1-line block ×3, first 2 shown]
	v_mov_b32_e32 v2, 0
	buffer_store_dword v2, off, s[0:3], 0 offset:192
	buffer_store_dword v2, off, s[0:3], 0 offset:196
	;; [unrolled: 1-line block ×4, first 2 shown]
	s_waitcnt vmcnt(0)
	ds_write_b128 v1, v[43:46]
.LBB18_105:
	s_or_b32 exec_lo, exec_lo, s4
	s_waitcnt lgkmcnt(0)
	s_waitcnt_vscnt null, 0x0
	s_barrier
	buffer_gl0_inv
	s_clause 0x1f
	buffer_load_dword v3, off, s[0:3], 0 offset:216
	buffer_load_dword v4, off, s[0:3], 0 offset:220
	;; [unrolled: 1-line block ×32, first 2 shown]
	v_mov_b32_e32 v2, 0
	ds_read_b128 v[43:46], v2 offset:496
	ds_read_b128 v[47:50], v2 offset:512
	;; [unrolled: 1-line block ×3, first 2 shown]
	s_mov_b32 s4, exec_lo
	s_waitcnt vmcnt(30) lgkmcnt(2)
	v_mul_f64 v[85:86], v[45:46], v[3:4]
	v_mul_f64 v[3:4], v[43:44], v[3:4]
	s_waitcnt vmcnt(28) lgkmcnt(1)
	v_mul_f64 v[87:88], v[49:50], v[55:56]
	v_mul_f64 v[55:56], v[47:48], v[55:56]
	s_waitcnt vmcnt(26)
	v_fma_f64 v[85:86], v[43:44], v[57:58], -v[85:86]
	v_fma_f64 v[3:4], v[45:46], v[57:58], v[3:4]
	ds_read_b128 v[43:46], v2 offset:544
	s_waitcnt vmcnt(24) lgkmcnt(1)
	v_mul_f64 v[57:58], v[51:52], v[59:60]
	v_mul_f64 v[59:60], v[53:54], v[59:60]
	s_waitcnt vmcnt(22)
	v_fma_f64 v[87:88], v[47:48], v[61:62], -v[87:88]
	v_fma_f64 v[55:56], v[49:50], v[61:62], v[55:56]
	ds_read_b128 v[47:50], v2 offset:560
	s_waitcnt vmcnt(18) lgkmcnt(1)
	v_mul_f64 v[61:62], v[43:44], v[63:64]
	v_add_f64 v[85:86], v[85:86], 0
	v_add_f64 v[3:4], v[3:4], 0
	v_mul_f64 v[63:64], v[45:46], v[63:64]
	s_waitcnt vmcnt(16)
	v_fma_f64 v[59:60], v[51:52], v[69:70], -v[59:60]
	v_fma_f64 v[57:58], v[53:54], v[69:70], v[57:58]
	ds_read_b128 v[51:54], v2 offset:576
	s_waitcnt vmcnt(13)
	v_fma_f64 v[61:62], v[45:46], v[71:72], v[61:62]
	v_add_f64 v[85:86], v[85:86], v[87:88]
	v_add_f64 v[3:4], v[3:4], v[55:56]
	s_waitcnt lgkmcnt(1)
	v_mul_f64 v[55:56], v[47:48], v[65:66]
	v_mul_f64 v[65:66], v[49:50], v[65:66]
	v_fma_f64 v[63:64], v[43:44], v[71:72], -v[63:64]
	s_waitcnt vmcnt(9) lgkmcnt(0)
	v_mul_f64 v[69:70], v[53:54], v[73:74]
	ds_read_b128 v[43:46], v2 offset:592
	v_add_f64 v[59:60], v[85:86], v[59:60]
	v_add_f64 v[3:4], v[3:4], v[57:58]
	v_mul_f64 v[57:58], v[51:52], v[73:74]
	s_waitcnt vmcnt(8)
	v_fma_f64 v[47:48], v[47:48], v[67:68], -v[65:66]
	v_fma_f64 v[49:50], v[49:50], v[67:68], v[55:56]
	s_waitcnt vmcnt(5)
	v_fma_f64 v[51:52], v[51:52], v[79:80], -v[69:70]
	s_waitcnt lgkmcnt(0)
	v_mul_f64 v[55:56], v[43:44], v[75:76]
	v_add_f64 v[59:60], v[59:60], v[63:64]
	v_add_f64 v[3:4], v[3:4], v[61:62]
	v_mul_f64 v[61:62], v[45:46], v[75:76]
	v_fma_f64 v[53:54], v[53:54], v[79:80], v[57:58]
	s_waitcnt vmcnt(4)
	v_fma_f64 v[45:46], v[45:46], v[77:78], v[55:56]
	v_add_f64 v[47:48], v[59:60], v[47:48]
	v_add_f64 v[3:4], v[3:4], v[49:50]
	v_fma_f64 v[43:44], v[43:44], v[77:78], -v[61:62]
	v_add_f64 v[47:48], v[47:48], v[51:52]
	v_add_f64 v[3:4], v[3:4], v[53:54]
	;; [unrolled: 1-line block ×4, first 2 shown]
	s_waitcnt vmcnt(2)
	v_add_f64 v[43:44], v[81:82], -v[43:44]
	s_waitcnt vmcnt(0)
	v_add_f64 v[3:4], v[83:84], -v[3:4]
	buffer_store_dword v44, off, s[0:3], 0 offset:196
	buffer_store_dword v43, off, s[0:3], 0 offset:192
	;; [unrolled: 1-line block ×4, first 2 shown]
	v_cmpx_lt_u32_e32 10, v0
	s_cbranch_execz .LBB18_107
; %bb.106:
	v_mov_b32_e32 v3, s18
	s_clause 0x3
	buffer_load_dword v43, v3, s[0:3], 0 offen
	buffer_load_dword v44, v3, s[0:3], 0 offen offset:4
	buffer_load_dword v45, v3, s[0:3], 0 offen offset:8
	;; [unrolled: 1-line block ×3, first 2 shown]
	buffer_store_dword v2, off, s[0:3], 0 offset:176
	buffer_store_dword v2, off, s[0:3], 0 offset:180
	;; [unrolled: 1-line block ×4, first 2 shown]
	s_waitcnt vmcnt(0)
	ds_write_b128 v1, v[43:46]
.LBB18_107:
	s_or_b32 exec_lo, exec_lo, s4
	s_waitcnt lgkmcnt(0)
	s_waitcnt_vscnt null, 0x0
	s_barrier
	buffer_gl0_inv
	s_clause 0x23
	buffer_load_dword v3, off, s[0:3], 0 offset:200
	buffer_load_dword v4, off, s[0:3], 0 offset:204
	;; [unrolled: 1-line block ×36, first 2 shown]
	ds_read_b128 v[43:46], v2 offset:480
	ds_read_b128 v[47:50], v2 offset:496
	;; [unrolled: 1-line block ×3, first 2 shown]
	s_mov_b32 s4, exec_lo
	s_waitcnt vmcnt(34) lgkmcnt(2)
	v_mul_f64 v[89:90], v[45:46], v[3:4]
	v_mul_f64 v[3:4], v[43:44], v[3:4]
	s_waitcnt vmcnt(32) lgkmcnt(1)
	v_mul_f64 v[91:92], v[49:50], v[55:56]
	v_mul_f64 v[55:56], v[47:48], v[55:56]
	s_waitcnt vmcnt(30)
	v_fma_f64 v[89:90], v[43:44], v[57:58], -v[89:90]
	v_fma_f64 v[3:4], v[45:46], v[57:58], v[3:4]
	ds_read_b128 v[43:46], v2 offset:528
	s_waitcnt vmcnt(28) lgkmcnt(1)
	v_mul_f64 v[57:58], v[51:52], v[59:60]
	v_mul_f64 v[59:60], v[53:54], v[59:60]
	s_waitcnt vmcnt(26)
	v_fma_f64 v[91:92], v[47:48], v[61:62], -v[91:92]
	v_fma_f64 v[55:56], v[49:50], v[61:62], v[55:56]
	ds_read_b128 v[47:50], v2 offset:544
	s_waitcnt vmcnt(22) lgkmcnt(1)
	v_mul_f64 v[61:62], v[43:44], v[63:64]
	v_add_f64 v[89:90], v[89:90], 0
	v_add_f64 v[3:4], v[3:4], 0
	v_mul_f64 v[63:64], v[45:46], v[63:64]
	s_waitcnt vmcnt(20)
	v_fma_f64 v[59:60], v[51:52], v[69:70], -v[59:60]
	v_fma_f64 v[57:58], v[53:54], v[69:70], v[57:58]
	ds_read_b128 v[51:54], v2 offset:560
	s_waitcnt vmcnt(17)
	v_fma_f64 v[61:62], v[45:46], v[71:72], v[61:62]
	v_add_f64 v[89:90], v[89:90], v[91:92]
	v_add_f64 v[3:4], v[3:4], v[55:56]
	s_waitcnt lgkmcnt(1)
	v_mul_f64 v[55:56], v[47:48], v[65:66]
	v_mul_f64 v[65:66], v[49:50], v[65:66]
	v_fma_f64 v[63:64], v[43:44], v[71:72], -v[63:64]
	s_waitcnt vmcnt(13) lgkmcnt(0)
	v_mul_f64 v[69:70], v[53:54], v[73:74]
	ds_read_b128 v[43:46], v2 offset:576
	v_add_f64 v[59:60], v[89:90], v[59:60]
	v_add_f64 v[3:4], v[3:4], v[57:58]
	v_mul_f64 v[57:58], v[51:52], v[73:74]
	s_waitcnt vmcnt(12)
	v_fma_f64 v[65:66], v[47:48], v[67:68], -v[65:66]
	v_fma_f64 v[55:56], v[49:50], v[67:68], v[55:56]
	ds_read_b128 v[47:50], v2 offset:592
	s_waitcnt vmcnt(9)
	v_fma_f64 v[51:52], v[51:52], v[79:80], -v[69:70]
	v_add_f64 v[59:60], v[59:60], v[63:64]
	v_add_f64 v[3:4], v[3:4], v[61:62]
	s_waitcnt lgkmcnt(1)
	v_mul_f64 v[63:64], v[45:46], v[75:76]
	v_mul_f64 v[61:62], v[43:44], v[75:76]
	v_fma_f64 v[53:54], v[53:54], v[79:80], v[57:58]
	s_waitcnt vmcnt(7) lgkmcnt(0)
	v_mul_f64 v[57:58], v[49:50], v[81:82]
	v_add_f64 v[59:60], v[59:60], v[65:66]
	v_add_f64 v[2:3], v[3:4], v[55:56]
	s_waitcnt vmcnt(6)
	v_fma_f64 v[43:44], v[43:44], v[77:78], -v[63:64]
	v_mul_f64 v[55:56], v[47:48], v[81:82]
	v_fma_f64 v[45:46], v[45:46], v[77:78], v[61:62]
	s_waitcnt vmcnt(4)
	v_fma_f64 v[47:48], v[47:48], v[83:84], -v[57:58]
	v_add_f64 v[51:52], v[59:60], v[51:52]
	v_add_f64 v[2:3], v[2:3], v[53:54]
	v_fma_f64 v[49:50], v[49:50], v[83:84], v[55:56]
	v_add_f64 v[43:44], v[51:52], v[43:44]
	v_add_f64 v[2:3], v[2:3], v[45:46]
	;; [unrolled: 1-line block ×4, first 2 shown]
	s_waitcnt vmcnt(2)
	v_add_f64 v[43:44], v[85:86], -v[43:44]
	s_waitcnt vmcnt(0)
	v_add_f64 v[2:3], v[87:88], -v[2:3]
	buffer_store_dword v44, off, s[0:3], 0 offset:180
	buffer_store_dword v43, off, s[0:3], 0 offset:176
	;; [unrolled: 1-line block ×4, first 2 shown]
	v_cmpx_lt_u32_e32 9, v0
	s_cbranch_execz .LBB18_109
; %bb.108:
	v_mov_b32_e32 v2, s19
	s_clause 0x3
	buffer_load_dword v43, v2, s[0:3], 0 offen
	buffer_load_dword v44, v2, s[0:3], 0 offen offset:4
	buffer_load_dword v45, v2, s[0:3], 0 offen offset:8
	;; [unrolled: 1-line block ×3, first 2 shown]
	v_mov_b32_e32 v2, 0
	buffer_store_dword v2, off, s[0:3], 0 offset:160
	buffer_store_dword v2, off, s[0:3], 0 offset:164
	;; [unrolled: 1-line block ×4, first 2 shown]
	s_waitcnt vmcnt(0)
	ds_write_b128 v1, v[43:46]
.LBB18_109:
	s_or_b32 exec_lo, exec_lo, s4
	s_waitcnt lgkmcnt(0)
	s_waitcnt_vscnt null, 0x0
	s_barrier
	buffer_gl0_inv
	s_clause 0x27
	buffer_load_dword v3, off, s[0:3], 0 offset:184
	buffer_load_dword v4, off, s[0:3], 0 offset:188
	;; [unrolled: 1-line block ×40, first 2 shown]
	v_mov_b32_e32 v2, 0
	ds_read_b128 v[43:46], v2 offset:464
	ds_read_b128 v[47:50], v2 offset:480
	;; [unrolled: 1-line block ×3, first 2 shown]
	s_mov_b32 s4, exec_lo
	s_waitcnt vmcnt(38) lgkmcnt(2)
	v_mul_f64 v[93:94], v[45:46], v[3:4]
	v_mul_f64 v[3:4], v[43:44], v[3:4]
	s_waitcnt vmcnt(36) lgkmcnt(1)
	v_mul_f64 v[95:96], v[49:50], v[55:56]
	v_mul_f64 v[55:56], v[47:48], v[55:56]
	s_waitcnt vmcnt(34)
	v_fma_f64 v[93:94], v[43:44], v[57:58], -v[93:94]
	v_fma_f64 v[3:4], v[45:46], v[57:58], v[3:4]
	ds_read_b128 v[43:46], v2 offset:512
	s_waitcnt vmcnt(32) lgkmcnt(1)
	v_mul_f64 v[57:58], v[51:52], v[59:60]
	v_mul_f64 v[59:60], v[53:54], v[59:60]
	s_waitcnt vmcnt(30)
	v_fma_f64 v[95:96], v[47:48], v[61:62], -v[95:96]
	v_fma_f64 v[55:56], v[49:50], v[61:62], v[55:56]
	ds_read_b128 v[47:50], v2 offset:528
	s_waitcnt vmcnt(26) lgkmcnt(1)
	v_mul_f64 v[61:62], v[43:44], v[63:64]
	v_add_f64 v[93:94], v[93:94], 0
	v_add_f64 v[3:4], v[3:4], 0
	v_mul_f64 v[63:64], v[45:46], v[63:64]
	s_waitcnt vmcnt(24)
	v_fma_f64 v[59:60], v[51:52], v[69:70], -v[59:60]
	v_fma_f64 v[57:58], v[53:54], v[69:70], v[57:58]
	ds_read_b128 v[51:54], v2 offset:544
	s_waitcnt vmcnt(21)
	v_fma_f64 v[61:62], v[45:46], v[71:72], v[61:62]
	v_add_f64 v[93:94], v[93:94], v[95:96]
	v_add_f64 v[3:4], v[3:4], v[55:56]
	s_waitcnt lgkmcnt(1)
	v_mul_f64 v[55:56], v[47:48], v[65:66]
	v_mul_f64 v[65:66], v[49:50], v[65:66]
	v_fma_f64 v[63:64], v[43:44], v[71:72], -v[63:64]
	s_waitcnt vmcnt(17) lgkmcnt(0)
	v_mul_f64 v[69:70], v[53:54], v[73:74]
	ds_read_b128 v[43:46], v2 offset:560
	v_add_f64 v[59:60], v[93:94], v[59:60]
	v_add_f64 v[3:4], v[3:4], v[57:58]
	v_mul_f64 v[57:58], v[51:52], v[73:74]
	s_waitcnt vmcnt(16)
	v_fma_f64 v[65:66], v[47:48], v[67:68], -v[65:66]
	v_fma_f64 v[55:56], v[49:50], v[67:68], v[55:56]
	ds_read_b128 v[47:50], v2 offset:576
	s_waitcnt vmcnt(13)
	v_fma_f64 v[67:68], v[51:52], v[79:80], -v[69:70]
	v_add_f64 v[59:60], v[59:60], v[63:64]
	v_add_f64 v[3:4], v[3:4], v[61:62]
	s_waitcnt lgkmcnt(1)
	v_mul_f64 v[63:64], v[45:46], v[75:76]
	v_mul_f64 v[61:62], v[43:44], v[75:76]
	v_fma_f64 v[57:58], v[53:54], v[79:80], v[57:58]
	ds_read_b128 v[51:54], v2 offset:592
	v_add_f64 v[59:60], v[59:60], v[65:66]
	v_add_f64 v[3:4], v[3:4], v[55:56]
	s_waitcnt vmcnt(9) lgkmcnt(1)
	v_mul_f64 v[65:66], v[49:50], v[81:82]
	s_waitcnt vmcnt(8)
	v_fma_f64 v[43:44], v[43:44], v[77:78], -v[63:64]
	v_mul_f64 v[55:56], v[47:48], v[81:82]
	v_fma_f64 v[45:46], v[45:46], v[77:78], v[61:62]
	s_waitcnt vmcnt(7) lgkmcnt(0)
	v_mul_f64 v[61:62], v[53:54], v[83:84]
	v_add_f64 v[59:60], v[59:60], v[67:68]
	v_add_f64 v[3:4], v[3:4], v[57:58]
	s_waitcnt vmcnt(5)
	v_fma_f64 v[47:48], v[47:48], v[87:88], -v[65:66]
	v_mul_f64 v[57:58], v[51:52], v[83:84]
	v_fma_f64 v[49:50], v[49:50], v[87:88], v[55:56]
	v_add_f64 v[43:44], v[59:60], v[43:44]
	v_add_f64 v[3:4], v[3:4], v[45:46]
	s_waitcnt vmcnt(4)
	v_fma_f64 v[45:46], v[51:52], v[85:86], -v[61:62]
	v_add_f64 v[43:44], v[43:44], v[47:48]
	v_fma_f64 v[47:48], v[53:54], v[85:86], v[57:58]
	v_add_f64 v[3:4], v[3:4], v[49:50]
	v_add_f64 v[43:44], v[43:44], v[45:46]
	;; [unrolled: 1-line block ×3, first 2 shown]
	s_waitcnt vmcnt(2)
	v_add_f64 v[43:44], v[89:90], -v[43:44]
	s_waitcnt vmcnt(0)
	v_add_f64 v[3:4], v[91:92], -v[3:4]
	buffer_store_dword v44, off, s[0:3], 0 offset:164
	buffer_store_dword v43, off, s[0:3], 0 offset:160
	;; [unrolled: 1-line block ×4, first 2 shown]
	v_cmpx_lt_u32_e32 8, v0
	s_cbranch_execz .LBB18_111
; %bb.110:
	v_mov_b32_e32 v3, s22
	s_clause 0x3
	buffer_load_dword v43, v3, s[0:3], 0 offen
	buffer_load_dword v44, v3, s[0:3], 0 offen offset:4
	buffer_load_dword v45, v3, s[0:3], 0 offen offset:8
	;; [unrolled: 1-line block ×3, first 2 shown]
	buffer_store_dword v2, off, s[0:3], 0 offset:144
	buffer_store_dword v2, off, s[0:3], 0 offset:148
	;; [unrolled: 1-line block ×4, first 2 shown]
	s_waitcnt vmcnt(0)
	ds_write_b128 v1, v[43:46]
.LBB18_111:
	s_or_b32 exec_lo, exec_lo, s4
	s_waitcnt lgkmcnt(0)
	s_waitcnt_vscnt null, 0x0
	s_barrier
	buffer_gl0_inv
	s_clause 0x2b
	buffer_load_dword v3, off, s[0:3], 0 offset:168
	buffer_load_dword v4, off, s[0:3], 0 offset:172
	buffer_load_dword v55, off, s[0:3], 0 offset:184
	buffer_load_dword v56, off, s[0:3], 0 offset:188
	buffer_load_dword v57, off, s[0:3], 0 offset:160
	buffer_load_dword v58, off, s[0:3], 0 offset:164
	buffer_load_dword v59, off, s[0:3], 0 offset:200
	buffer_load_dword v60, off, s[0:3], 0 offset:204
	buffer_load_dword v61, off, s[0:3], 0 offset:176
	buffer_load_dword v62, off, s[0:3], 0 offset:180
	buffer_load_dword v64, off, s[0:3], 0 offset:220
	buffer_load_dword v65, off, s[0:3], 0 offset:232
	buffer_load_dword v67, off, s[0:3], 0 offset:224
	buffer_load_dword v63, off, s[0:3], 0 offset:216
	buffer_load_dword v69, off, s[0:3], 0 offset:192
	buffer_load_dword v70, off, s[0:3], 0 offset:196
	buffer_load_dword v66, off, s[0:3], 0 offset:236
	buffer_load_dword v72, off, s[0:3], 0 offset:212
	buffer_load_dword v71, off, s[0:3], 0 offset:208
	buffer_load_dword v74, off, s[0:3], 0 offset:252
	buffer_load_dword v75, off, s[0:3], 0 offset:264
	buffer_load_dword v77, off, s[0:3], 0 offset:256
	buffer_load_dword v73, off, s[0:3], 0 offset:248
	buffer_load_dword v68, off, s[0:3], 0 offset:228
	buffer_load_dword v76, off, s[0:3], 0 offset:268
	buffer_load_dword v80, off, s[0:3], 0 offset:244
	buffer_load_dword v79, off, s[0:3], 0 offset:240
	buffer_load_dword v82, off, s[0:3], 0 offset:284
	buffer_load_dword v83, off, s[0:3], 0 offset:296
	buffer_load_dword v85, off, s[0:3], 0 offset:288
	buffer_load_dword v81, off, s[0:3], 0 offset:280
	buffer_load_dword v78, off, s[0:3], 0 offset:260
	buffer_load_dword v84, off, s[0:3], 0 offset:300
	buffer_load_dword v88, off, s[0:3], 0 offset:276
	buffer_load_dword v87, off, s[0:3], 0 offset:272
	buffer_load_dword v90, off, s[0:3], 0 offset:316
	buffer_load_dword v89, off, s[0:3], 0 offset:312
	buffer_load_dword v86, off, s[0:3], 0 offset:292
	buffer_load_dword v92, off, s[0:3], 0 offset:308
	buffer_load_dword v91, off, s[0:3], 0 offset:304
	buffer_load_dword v93, off, s[0:3], 0 offset:144
	buffer_load_dword v94, off, s[0:3], 0 offset:148
	buffer_load_dword v95, off, s[0:3], 0 offset:152
	buffer_load_dword v96, off, s[0:3], 0 offset:156
	ds_read_b128 v[43:46], v2 offset:448
	ds_read_b128 v[47:50], v2 offset:464
	;; [unrolled: 1-line block ×3, first 2 shown]
	s_mov_b32 s4, exec_lo
	s_waitcnt vmcnt(42) lgkmcnt(2)
	v_mul_f64 v[97:98], v[45:46], v[3:4]
	v_mul_f64 v[3:4], v[43:44], v[3:4]
	s_waitcnt vmcnt(40) lgkmcnt(1)
	v_mul_f64 v[99:100], v[49:50], v[55:56]
	v_mul_f64 v[55:56], v[47:48], v[55:56]
	s_waitcnt vmcnt(38)
	v_fma_f64 v[97:98], v[43:44], v[57:58], -v[97:98]
	v_fma_f64 v[3:4], v[45:46], v[57:58], v[3:4]
	ds_read_b128 v[43:46], v2 offset:496
	s_waitcnt vmcnt(36) lgkmcnt(1)
	v_mul_f64 v[57:58], v[51:52], v[59:60]
	v_mul_f64 v[59:60], v[53:54], v[59:60]
	s_waitcnt vmcnt(34)
	v_fma_f64 v[99:100], v[47:48], v[61:62], -v[99:100]
	v_fma_f64 v[55:56], v[49:50], v[61:62], v[55:56]
	ds_read_b128 v[47:50], v2 offset:512
	s_waitcnt vmcnt(30) lgkmcnt(1)
	v_mul_f64 v[61:62], v[43:44], v[63:64]
	v_add_f64 v[97:98], v[97:98], 0
	v_add_f64 v[3:4], v[3:4], 0
	v_mul_f64 v[63:64], v[45:46], v[63:64]
	s_waitcnt vmcnt(28)
	v_fma_f64 v[59:60], v[51:52], v[69:70], -v[59:60]
	v_fma_f64 v[57:58], v[53:54], v[69:70], v[57:58]
	ds_read_b128 v[51:54], v2 offset:528
	s_waitcnt vmcnt(25)
	v_fma_f64 v[61:62], v[45:46], v[71:72], v[61:62]
	v_add_f64 v[97:98], v[97:98], v[99:100]
	v_add_f64 v[3:4], v[3:4], v[55:56]
	s_waitcnt lgkmcnt(1)
	v_mul_f64 v[55:56], v[47:48], v[65:66]
	v_mul_f64 v[65:66], v[49:50], v[65:66]
	v_fma_f64 v[63:64], v[43:44], v[71:72], -v[63:64]
	s_waitcnt vmcnt(21) lgkmcnt(0)
	v_mul_f64 v[69:70], v[53:54], v[73:74]
	ds_read_b128 v[43:46], v2 offset:544
	v_add_f64 v[59:60], v[97:98], v[59:60]
	v_add_f64 v[3:4], v[3:4], v[57:58]
	v_mul_f64 v[57:58], v[51:52], v[73:74]
	s_waitcnt vmcnt(20)
	v_fma_f64 v[65:66], v[47:48], v[67:68], -v[65:66]
	v_fma_f64 v[55:56], v[49:50], v[67:68], v[55:56]
	ds_read_b128 v[47:50], v2 offset:560
	s_waitcnt vmcnt(17)
	v_fma_f64 v[67:68], v[51:52], v[79:80], -v[69:70]
	v_add_f64 v[59:60], v[59:60], v[63:64]
	v_add_f64 v[3:4], v[3:4], v[61:62]
	s_waitcnt lgkmcnt(1)
	v_mul_f64 v[63:64], v[45:46], v[75:76]
	v_mul_f64 v[61:62], v[43:44], v[75:76]
	v_fma_f64 v[57:58], v[53:54], v[79:80], v[57:58]
	ds_read_b128 v[51:54], v2 offset:576
	v_add_f64 v[59:60], v[59:60], v[65:66]
	v_add_f64 v[3:4], v[3:4], v[55:56]
	s_waitcnt vmcnt(13) lgkmcnt(1)
	v_mul_f64 v[65:66], v[49:50], v[81:82]
	s_waitcnt vmcnt(12)
	v_fma_f64 v[63:64], v[43:44], v[77:78], -v[63:64]
	v_mul_f64 v[55:56], v[47:48], v[81:82]
	v_fma_f64 v[61:62], v[45:46], v[77:78], v[61:62]
	ds_read_b128 v[43:46], v2 offset:592
	v_add_f64 v[59:60], v[59:60], v[67:68]
	v_add_f64 v[3:4], v[3:4], v[57:58]
	s_waitcnt vmcnt(11) lgkmcnt(1)
	v_mul_f64 v[67:68], v[53:54], v[83:84]
	s_waitcnt vmcnt(9)
	v_fma_f64 v[47:48], v[47:48], v[87:88], -v[65:66]
	v_mul_f64 v[57:58], v[51:52], v[83:84]
	v_fma_f64 v[49:50], v[49:50], v[87:88], v[55:56]
	s_waitcnt vmcnt(7) lgkmcnt(0)
	v_mul_f64 v[55:56], v[43:44], v[89:90]
	v_add_f64 v[59:60], v[59:60], v[63:64]
	v_add_f64 v[2:3], v[3:4], v[61:62]
	v_mul_f64 v[61:62], v[45:46], v[89:90]
	s_waitcnt vmcnt(6)
	v_fma_f64 v[51:52], v[51:52], v[85:86], -v[67:68]
	v_fma_f64 v[53:54], v[53:54], v[85:86], v[57:58]
	s_waitcnt vmcnt(4)
	v_fma_f64 v[45:46], v[45:46], v[91:92], v[55:56]
	v_add_f64 v[47:48], v[59:60], v[47:48]
	v_add_f64 v[2:3], v[2:3], v[49:50]
	v_fma_f64 v[43:44], v[43:44], v[91:92], -v[61:62]
	v_add_f64 v[47:48], v[47:48], v[51:52]
	v_add_f64 v[2:3], v[2:3], v[53:54]
	;; [unrolled: 1-line block ×4, first 2 shown]
	s_waitcnt vmcnt(2)
	v_add_f64 v[43:44], v[93:94], -v[43:44]
	s_waitcnt vmcnt(0)
	v_add_f64 v[2:3], v[95:96], -v[2:3]
	buffer_store_dword v44, off, s[0:3], 0 offset:148
	buffer_store_dword v43, off, s[0:3], 0 offset:144
	;; [unrolled: 1-line block ×4, first 2 shown]
	v_cmpx_lt_u32_e32 7, v0
	s_cbranch_execz .LBB18_113
; %bb.112:
	v_mov_b32_e32 v2, s23
	s_clause 0x3
	buffer_load_dword v43, v2, s[0:3], 0 offen
	buffer_load_dword v44, v2, s[0:3], 0 offen offset:4
	buffer_load_dword v45, v2, s[0:3], 0 offen offset:8
	;; [unrolled: 1-line block ×3, first 2 shown]
	v_mov_b32_e32 v2, 0
	buffer_store_dword v2, off, s[0:3], 0 offset:128
	buffer_store_dword v2, off, s[0:3], 0 offset:132
	;; [unrolled: 1-line block ×4, first 2 shown]
	s_waitcnt vmcnt(0)
	ds_write_b128 v1, v[43:46]
.LBB18_113:
	s_or_b32 exec_lo, exec_lo, s4
	s_waitcnt lgkmcnt(0)
	s_waitcnt_vscnt null, 0x0
	s_barrier
	buffer_gl0_inv
	s_clause 0x2f
	buffer_load_dword v3, off, s[0:3], 0 offset:152
	buffer_load_dword v4, off, s[0:3], 0 offset:156
	;; [unrolled: 1-line block ×48, first 2 shown]
	v_mov_b32_e32 v2, 0
	ds_read_b128 v[43:46], v2 offset:432
	ds_read_b128 v[47:50], v2 offset:448
	;; [unrolled: 1-line block ×3, first 2 shown]
	s_mov_b32 s4, exec_lo
	s_waitcnt vmcnt(46) lgkmcnt(2)
	v_mul_f64 v[101:102], v[45:46], v[3:4]
	v_mul_f64 v[3:4], v[43:44], v[3:4]
	s_waitcnt vmcnt(44) lgkmcnt(1)
	v_mul_f64 v[103:104], v[49:50], v[55:56]
	v_mul_f64 v[55:56], v[47:48], v[55:56]
	s_waitcnt vmcnt(42)
	v_fma_f64 v[101:102], v[43:44], v[57:58], -v[101:102]
	v_fma_f64 v[3:4], v[45:46], v[57:58], v[3:4]
	ds_read_b128 v[43:46], v2 offset:480
	s_waitcnt vmcnt(40) lgkmcnt(1)
	v_mul_f64 v[57:58], v[51:52], v[59:60]
	v_mul_f64 v[59:60], v[53:54], v[59:60]
	s_waitcnt vmcnt(38)
	v_fma_f64 v[103:104], v[47:48], v[61:62], -v[103:104]
	v_fma_f64 v[55:56], v[49:50], v[61:62], v[55:56]
	ds_read_b128 v[47:50], v2 offset:496
	s_waitcnt vmcnt(34) lgkmcnt(1)
	v_mul_f64 v[61:62], v[43:44], v[63:64]
	v_add_f64 v[101:102], v[101:102], 0
	v_add_f64 v[3:4], v[3:4], 0
	v_mul_f64 v[63:64], v[45:46], v[63:64]
	s_waitcnt vmcnt(32)
	v_fma_f64 v[59:60], v[51:52], v[69:70], -v[59:60]
	v_fma_f64 v[57:58], v[53:54], v[69:70], v[57:58]
	ds_read_b128 v[51:54], v2 offset:512
	s_waitcnt vmcnt(29)
	v_fma_f64 v[61:62], v[45:46], v[71:72], v[61:62]
	v_add_f64 v[101:102], v[101:102], v[103:104]
	v_add_f64 v[3:4], v[3:4], v[55:56]
	s_waitcnt lgkmcnt(1)
	v_mul_f64 v[55:56], v[47:48], v[65:66]
	v_mul_f64 v[65:66], v[49:50], v[65:66]
	v_fma_f64 v[63:64], v[43:44], v[71:72], -v[63:64]
	s_waitcnt vmcnt(25) lgkmcnt(0)
	v_mul_f64 v[69:70], v[53:54], v[73:74]
	ds_read_b128 v[43:46], v2 offset:528
	v_add_f64 v[59:60], v[101:102], v[59:60]
	v_add_f64 v[3:4], v[3:4], v[57:58]
	v_mul_f64 v[57:58], v[51:52], v[73:74]
	s_waitcnt vmcnt(24)
	v_fma_f64 v[65:66], v[47:48], v[67:68], -v[65:66]
	v_fma_f64 v[55:56], v[49:50], v[67:68], v[55:56]
	ds_read_b128 v[47:50], v2 offset:544
	s_waitcnt vmcnt(21)
	v_fma_f64 v[67:68], v[51:52], v[79:80], -v[69:70]
	v_add_f64 v[59:60], v[59:60], v[63:64]
	v_add_f64 v[3:4], v[3:4], v[61:62]
	s_waitcnt lgkmcnt(1)
	v_mul_f64 v[63:64], v[45:46], v[75:76]
	v_mul_f64 v[61:62], v[43:44], v[75:76]
	v_fma_f64 v[57:58], v[53:54], v[79:80], v[57:58]
	ds_read_b128 v[51:54], v2 offset:560
	v_add_f64 v[59:60], v[59:60], v[65:66]
	v_add_f64 v[3:4], v[3:4], v[55:56]
	s_waitcnt vmcnt(17) lgkmcnt(1)
	v_mul_f64 v[65:66], v[49:50], v[81:82]
	s_waitcnt vmcnt(16)
	v_fma_f64 v[63:64], v[43:44], v[77:78], -v[63:64]
	v_mul_f64 v[55:56], v[47:48], v[81:82]
	v_fma_f64 v[61:62], v[45:46], v[77:78], v[61:62]
	ds_read_b128 v[43:46], v2 offset:576
	v_add_f64 v[59:60], v[59:60], v[67:68]
	v_add_f64 v[3:4], v[3:4], v[57:58]
	s_waitcnt vmcnt(15) lgkmcnt(1)
	v_mul_f64 v[67:68], v[53:54], v[83:84]
	s_waitcnt vmcnt(13)
	v_fma_f64 v[65:66], v[47:48], v[87:88], -v[65:66]
	;; [unrolled: 9-line block ×3, first 2 shown]
	v_mul_f64 v[61:62], v[43:44], v[89:90]
	v_fma_f64 v[53:54], v[53:54], v[85:86], v[57:58]
	s_waitcnt vmcnt(7) lgkmcnt(0)
	v_mul_f64 v[57:58], v[49:50], v[91:92]
	v_add_f64 v[59:60], v[59:60], v[65:66]
	v_add_f64 v[3:4], v[3:4], v[55:56]
	s_waitcnt vmcnt(5)
	v_fma_f64 v[43:44], v[43:44], v[95:96], -v[63:64]
	v_mul_f64 v[55:56], v[47:48], v[91:92]
	v_fma_f64 v[45:46], v[45:46], v[95:96], v[61:62]
	s_waitcnt vmcnt(4)
	v_fma_f64 v[47:48], v[47:48], v[93:94], -v[57:58]
	v_add_f64 v[51:52], v[59:60], v[51:52]
	v_add_f64 v[3:4], v[3:4], v[53:54]
	v_fma_f64 v[49:50], v[49:50], v[93:94], v[55:56]
	v_add_f64 v[43:44], v[51:52], v[43:44]
	v_add_f64 v[3:4], v[3:4], v[45:46]
	;; [unrolled: 1-line block ×4, first 2 shown]
	s_waitcnt vmcnt(2)
	v_add_f64 v[43:44], v[97:98], -v[43:44]
	s_waitcnt vmcnt(0)
	v_add_f64 v[3:4], v[99:100], -v[3:4]
	buffer_store_dword v44, off, s[0:3], 0 offset:132
	buffer_store_dword v43, off, s[0:3], 0 offset:128
	;; [unrolled: 1-line block ×4, first 2 shown]
	v_cmpx_lt_u32_e32 6, v0
	s_cbranch_execz .LBB18_115
; %bb.114:
	v_mov_b32_e32 v3, s24
	s_clause 0x3
	buffer_load_dword v43, v3, s[0:3], 0 offen
	buffer_load_dword v44, v3, s[0:3], 0 offen offset:4
	buffer_load_dword v45, v3, s[0:3], 0 offen offset:8
	;; [unrolled: 1-line block ×3, first 2 shown]
	buffer_store_dword v2, off, s[0:3], 0 offset:112
	buffer_store_dword v2, off, s[0:3], 0 offset:116
	;; [unrolled: 1-line block ×4, first 2 shown]
	s_waitcnt vmcnt(0)
	ds_write_b128 v1, v[43:46]
.LBB18_115:
	s_or_b32 exec_lo, exec_lo, s4
	s_waitcnt lgkmcnt(0)
	s_waitcnt_vscnt null, 0x0
	s_barrier
	buffer_gl0_inv
	s_clause 0x2f
	buffer_load_dword v3, off, s[0:3], 0 offset:136
	buffer_load_dword v4, off, s[0:3], 0 offset:140
	;; [unrolled: 1-line block ×48, first 2 shown]
	ds_read_b128 v[43:46], v2 offset:416
	s_clause 0x3
	buffer_load_dword v101, off, s[0:3], 0 offset:112
	buffer_load_dword v102, off, s[0:3], 0 offset:116
	;; [unrolled: 1-line block ×4, first 2 shown]
	ds_read_b128 v[47:50], v2 offset:432
	ds_read_b128 v[51:54], v2 offset:448
	s_mov_b32 s4, exec_lo
	s_waitcnt vmcnt(50) lgkmcnt(2)
	v_mul_f64 v[105:106], v[45:46], v[3:4]
	v_mul_f64 v[3:4], v[43:44], v[3:4]
	s_waitcnt vmcnt(48) lgkmcnt(1)
	v_mul_f64 v[107:108], v[49:50], v[55:56]
	v_mul_f64 v[55:56], v[47:48], v[55:56]
	s_waitcnt vmcnt(46)
	v_fma_f64 v[105:106], v[43:44], v[57:58], -v[105:106]
	v_fma_f64 v[3:4], v[45:46], v[57:58], v[3:4]
	s_waitcnt vmcnt(44) lgkmcnt(0)
	v_mul_f64 v[57:58], v[51:52], v[59:60]
	v_mul_f64 v[59:60], v[53:54], v[59:60]
	s_waitcnt vmcnt(42)
	v_fma_f64 v[107:108], v[47:48], v[61:62], -v[107:108]
	ds_read_b128 v[43:46], v2 offset:464
	v_fma_f64 v[55:56], v[49:50], v[61:62], v[55:56]
	ds_read_b128 v[47:50], v2 offset:480
	v_add_f64 v[105:106], v[105:106], 0
	v_add_f64 v[3:4], v[3:4], 0
	s_waitcnt vmcnt(36)
	v_fma_f64 v[57:58], v[53:54], v[69:70], v[57:58]
	s_waitcnt lgkmcnt(1)
	v_mul_f64 v[61:62], v[43:44], v[63:64]
	v_mul_f64 v[63:64], v[45:46], v[63:64]
	v_fma_f64 v[59:60], v[51:52], v[69:70], -v[59:60]
	ds_read_b128 v[51:54], v2 offset:496
	v_add_f64 v[105:106], v[105:106], v[107:108]
	v_add_f64 v[3:4], v[3:4], v[55:56]
	s_waitcnt vmcnt(35) lgkmcnt(1)
	v_mul_f64 v[55:56], v[47:48], v[65:66]
	v_mul_f64 v[65:66], v[49:50], v[65:66]
	s_waitcnt vmcnt(33)
	v_fma_f64 v[63:64], v[43:44], v[71:72], -v[63:64]
	v_fma_f64 v[61:62], v[45:46], v[71:72], v[61:62]
	ds_read_b128 v[43:46], v2 offset:512
	s_waitcnt vmcnt(29) lgkmcnt(1)
	v_mul_f64 v[69:70], v[53:54], v[73:74]
	v_add_f64 v[59:60], v[105:106], v[59:60]
	v_add_f64 v[3:4], v[3:4], v[57:58]
	v_mul_f64 v[57:58], v[51:52], v[73:74]
	s_waitcnt vmcnt(28)
	v_fma_f64 v[65:66], v[47:48], v[67:68], -v[65:66]
	v_fma_f64 v[55:56], v[49:50], v[67:68], v[55:56]
	ds_read_b128 v[47:50], v2 offset:528
	s_waitcnt vmcnt(25)
	v_fma_f64 v[67:68], v[51:52], v[79:80], -v[69:70]
	v_add_f64 v[59:60], v[59:60], v[63:64]
	v_add_f64 v[3:4], v[3:4], v[61:62]
	s_waitcnt lgkmcnt(1)
	v_mul_f64 v[63:64], v[45:46], v[75:76]
	v_mul_f64 v[61:62], v[43:44], v[75:76]
	v_fma_f64 v[57:58], v[53:54], v[79:80], v[57:58]
	ds_read_b128 v[51:54], v2 offset:544
	v_add_f64 v[59:60], v[59:60], v[65:66]
	v_add_f64 v[3:4], v[3:4], v[55:56]
	s_waitcnt vmcnt(21) lgkmcnt(1)
	v_mul_f64 v[65:66], v[49:50], v[81:82]
	s_waitcnt vmcnt(20)
	v_fma_f64 v[63:64], v[43:44], v[77:78], -v[63:64]
	v_mul_f64 v[55:56], v[47:48], v[81:82]
	v_fma_f64 v[61:62], v[45:46], v[77:78], v[61:62]
	ds_read_b128 v[43:46], v2 offset:560
	v_add_f64 v[59:60], v[59:60], v[67:68]
	v_add_f64 v[3:4], v[3:4], v[57:58]
	s_waitcnt vmcnt(19) lgkmcnt(1)
	v_mul_f64 v[67:68], v[53:54], v[83:84]
	s_waitcnt vmcnt(17)
	v_fma_f64 v[65:66], v[47:48], v[87:88], -v[65:66]
	;; [unrolled: 9-line block ×4, first 2 shown]
	v_mul_f64 v[55:56], v[47:48], v[91:92]
	v_fma_f64 v[45:46], v[45:46], v[95:96], v[61:62]
	s_waitcnt vmcnt(7) lgkmcnt(0)
	v_mul_f64 v[61:62], v[53:54], v[97:98]
	v_add_f64 v[59:60], v[59:60], v[67:68]
	v_add_f64 v[2:3], v[3:4], v[57:58]
	s_waitcnt vmcnt(6)
	v_fma_f64 v[47:48], v[47:48], v[93:94], -v[65:66]
	v_mul_f64 v[57:58], v[51:52], v[97:98]
	v_fma_f64 v[49:50], v[49:50], v[93:94], v[55:56]
	v_add_f64 v[43:44], v[59:60], v[43:44]
	v_add_f64 v[2:3], v[2:3], v[45:46]
	s_waitcnt vmcnt(4)
	v_fma_f64 v[45:46], v[51:52], v[99:100], -v[61:62]
	v_add_f64 v[43:44], v[43:44], v[47:48]
	v_fma_f64 v[47:48], v[53:54], v[99:100], v[57:58]
	v_add_f64 v[2:3], v[2:3], v[49:50]
	v_add_f64 v[43:44], v[43:44], v[45:46]
	;; [unrolled: 1-line block ×3, first 2 shown]
	s_waitcnt vmcnt(2)
	v_add_f64 v[43:44], v[101:102], -v[43:44]
	s_waitcnt vmcnt(0)
	v_add_f64 v[2:3], v[103:104], -v[2:3]
	buffer_store_dword v44, off, s[0:3], 0 offset:116
	buffer_store_dword v43, off, s[0:3], 0 offset:112
	;; [unrolled: 1-line block ×4, first 2 shown]
	v_cmpx_lt_u32_e32 5, v0
	s_cbranch_execz .LBB18_117
; %bb.116:
	v_mov_b32_e32 v2, s25
	s_clause 0x3
	buffer_load_dword v43, v2, s[0:3], 0 offen
	buffer_load_dword v44, v2, s[0:3], 0 offen offset:4
	buffer_load_dword v45, v2, s[0:3], 0 offen offset:8
	buffer_load_dword v46, v2, s[0:3], 0 offen offset:12
	v_mov_b32_e32 v2, 0
	buffer_store_dword v2, off, s[0:3], 0 offset:96
	buffer_store_dword v2, off, s[0:3], 0 offset:100
	buffer_store_dword v2, off, s[0:3], 0 offset:104
	buffer_store_dword v2, off, s[0:3], 0 offset:108
	s_waitcnt vmcnt(0)
	ds_write_b128 v1, v[43:46]
.LBB18_117:
	s_or_b32 exec_lo, exec_lo, s4
	s_waitcnt lgkmcnt(0)
	s_waitcnt_vscnt null, 0x0
	s_barrier
	buffer_gl0_inv
	s_clause 0x33
	buffer_load_dword v3, off, s[0:3], 0 offset:120
	buffer_load_dword v4, off, s[0:3], 0 offset:124
	;; [unrolled: 1-line block ×52, first 2 shown]
	v_mov_b32_e32 v2, 0
	s_mov_b32 s4, exec_lo
	ds_read_b128 v[43:46], v2 offset:400
	ds_read_b128 v[47:50], v2 offset:416
	s_clause 0x3
	buffer_load_dword v107, off, s[0:3], 0 offset:96
	buffer_load_dword v108, off, s[0:3], 0 offset:100
	;; [unrolled: 1-line block ×4, first 2 shown]
	ds_read_b128 v[51:54], v2 offset:432
	s_waitcnt vmcnt(54) lgkmcnt(2)
	v_mul_f64 v[105:106], v[45:46], v[3:4]
	v_mul_f64 v[3:4], v[43:44], v[3:4]
	s_waitcnt vmcnt(52) lgkmcnt(1)
	v_mul_f64 v[111:112], v[49:50], v[55:56]
	v_mul_f64 v[55:56], v[47:48], v[55:56]
	s_waitcnt vmcnt(50)
	v_fma_f64 v[105:106], v[43:44], v[57:58], -v[105:106]
	v_fma_f64 v[3:4], v[45:46], v[57:58], v[3:4]
	ds_read_b128 v[43:46], v2 offset:448
	s_waitcnt vmcnt(48) lgkmcnt(1)
	v_mul_f64 v[57:58], v[51:52], v[59:60]
	v_mul_f64 v[59:60], v[53:54], v[59:60]
	s_waitcnt vmcnt(46)
	v_fma_f64 v[111:112], v[47:48], v[61:62], -v[111:112]
	v_fma_f64 v[55:56], v[49:50], v[61:62], v[55:56]
	ds_read_b128 v[47:50], v2 offset:464
	s_waitcnt vmcnt(44) lgkmcnt(1)
	v_mul_f64 v[61:62], v[43:44], v[63:64]
	v_add_f64 v[105:106], v[105:106], 0
	v_add_f64 v[3:4], v[3:4], 0
	v_mul_f64 v[63:64], v[45:46], v[63:64]
	s_waitcnt vmcnt(42)
	v_fma_f64 v[59:60], v[51:52], v[65:66], -v[59:60]
	v_fma_f64 v[57:58], v[53:54], v[65:66], v[57:58]
	ds_read_b128 v[51:54], v2 offset:480
	s_waitcnt vmcnt(40) lgkmcnt(1)
	v_mul_f64 v[65:66], v[49:50], v[67:68]
	s_waitcnt vmcnt(38)
	v_fma_f64 v[61:62], v[45:46], v[69:70], v[61:62]
	v_add_f64 v[105:106], v[105:106], v[111:112]
	v_add_f64 v[3:4], v[3:4], v[55:56]
	v_fma_f64 v[63:64], v[43:44], v[69:70], -v[63:64]
	v_mul_f64 v[55:56], v[47:48], v[67:68]
	s_waitcnt vmcnt(36) lgkmcnt(0)
	v_mul_f64 v[67:68], v[53:54], v[71:72]
	ds_read_b128 v[43:46], v2 offset:496
	s_waitcnt vmcnt(34)
	v_fma_f64 v[65:66], v[47:48], v[73:74], -v[65:66]
	v_add_f64 v[59:60], v[105:106], v[59:60]
	v_add_f64 v[3:4], v[3:4], v[57:58]
	v_mul_f64 v[57:58], v[51:52], v[71:72]
	v_fma_f64 v[55:56], v[49:50], v[73:74], v[55:56]
	ds_read_b128 v[47:50], v2 offset:512
	s_waitcnt vmcnt(30)
	v_fma_f64 v[67:68], v[51:52], v[77:78], -v[67:68]
	v_add_f64 v[59:60], v[59:60], v[63:64]
	v_add_f64 v[3:4], v[3:4], v[61:62]
	s_waitcnt lgkmcnt(1)
	v_mul_f64 v[63:64], v[45:46], v[75:76]
	v_mul_f64 v[61:62], v[43:44], v[75:76]
	v_fma_f64 v[57:58], v[53:54], v[77:78], v[57:58]
	ds_read_b128 v[51:54], v2 offset:528
	v_add_f64 v[59:60], v[59:60], v[65:66]
	v_add_f64 v[3:4], v[3:4], v[55:56]
	s_waitcnt vmcnt(28) lgkmcnt(1)
	v_mul_f64 v[65:66], v[49:50], v[79:80]
	s_waitcnt vmcnt(26)
	v_fma_f64 v[63:64], v[43:44], v[81:82], -v[63:64]
	v_mul_f64 v[55:56], v[47:48], v[79:80]
	v_fma_f64 v[61:62], v[45:46], v[81:82], v[61:62]
	ds_read_b128 v[43:46], v2 offset:544
	v_add_f64 v[59:60], v[59:60], v[67:68]
	v_add_f64 v[3:4], v[3:4], v[57:58]
	s_waitcnt vmcnt(24) lgkmcnt(1)
	v_mul_f64 v[67:68], v[53:54], v[83:84]
	s_waitcnt vmcnt(22)
	v_fma_f64 v[65:66], v[47:48], v[85:86], -v[65:66]
	;; [unrolled: 9-line block ×5, first 2 shown]
	v_mul_f64 v[57:58], v[51:52], v[95:96]
	v_fma_f64 v[49:50], v[49:50], v[97:98], v[55:56]
	s_waitcnt vmcnt(8) lgkmcnt(0)
	v_mul_f64 v[55:56], v[43:44], v[99:100]
	v_add_f64 v[59:60], v[59:60], v[63:64]
	v_add_f64 v[3:4], v[3:4], v[61:62]
	v_mul_f64 v[61:62], v[45:46], v[99:100]
	s_waitcnt vmcnt(6)
	v_fma_f64 v[51:52], v[51:52], v[101:102], -v[67:68]
	v_fma_f64 v[53:54], v[53:54], v[101:102], v[57:58]
	s_waitcnt vmcnt(4)
	v_fma_f64 v[45:46], v[45:46], v[103:104], v[55:56]
	v_add_f64 v[47:48], v[59:60], v[47:48]
	v_add_f64 v[3:4], v[3:4], v[49:50]
	v_fma_f64 v[43:44], v[43:44], v[103:104], -v[61:62]
	v_add_f64 v[47:48], v[47:48], v[51:52]
	v_add_f64 v[3:4], v[3:4], v[53:54]
	v_add_f64 v[43:44], v[47:48], v[43:44]
	v_add_f64 v[3:4], v[3:4], v[45:46]
	s_waitcnt vmcnt(2)
	v_add_f64 v[43:44], v[107:108], -v[43:44]
	s_waitcnt vmcnt(0)
	v_add_f64 v[3:4], v[109:110], -v[3:4]
	buffer_store_dword v44, off, s[0:3], 0 offset:100
	buffer_store_dword v43, off, s[0:3], 0 offset:96
	;; [unrolled: 1-line block ×4, first 2 shown]
	v_cmpx_lt_u32_e32 4, v0
	s_cbranch_execz .LBB18_119
; %bb.118:
	v_mov_b32_e32 v3, s26
	s_clause 0x3
	buffer_load_dword v43, v3, s[0:3], 0 offen
	buffer_load_dword v44, v3, s[0:3], 0 offen offset:4
	buffer_load_dword v45, v3, s[0:3], 0 offen offset:8
	;; [unrolled: 1-line block ×3, first 2 shown]
	buffer_store_dword v2, off, s[0:3], 0 offset:80
	buffer_store_dword v2, off, s[0:3], 0 offset:84
	;; [unrolled: 1-line block ×4, first 2 shown]
	s_waitcnt vmcnt(0)
	ds_write_b128 v1, v[43:46]
.LBB18_119:
	s_or_b32 exec_lo, exec_lo, s4
	s_waitcnt lgkmcnt(0)
	s_waitcnt_vscnt null, 0x0
	s_barrier
	buffer_gl0_inv
	s_clause 0x35
	buffer_load_dword v3, off, s[0:3], 0 offset:104
	buffer_load_dword v4, off, s[0:3], 0 offset:108
	;; [unrolled: 1-line block ×54, first 2 shown]
	ds_read_b128 v[43:46], v2 offset:384
	s_clause 0x1
	buffer_load_dword v108, off, s[0:3], 0 offset:308
	buffer_load_dword v107, off, s[0:3], 0 offset:304
	ds_read_b128 v[47:50], v2 offset:400
	ds_read_b128 v[51:54], v2 offset:416
	s_mov_b32 s4, exec_lo
	s_waitcnt vmcnt(54) lgkmcnt(2)
	v_mul_f64 v[109:110], v[45:46], v[3:4]
	v_mul_f64 v[3:4], v[43:44], v[3:4]
	s_waitcnt vmcnt(52) lgkmcnt(1)
	v_mul_f64 v[111:112], v[49:50], v[55:56]
	v_mul_f64 v[55:56], v[47:48], v[55:56]
	;; [unrolled: 3-line block ×3, first 2 shown]
	v_fma_f64 v[109:110], v[43:44], v[57:58], -v[109:110]
	v_fma_f64 v[3:4], v[45:46], v[57:58], v[3:4]
	s_clause 0x3
	buffer_load_dword v57, off, s[0:3], 0 offset:80
	buffer_load_dword v58, off, s[0:3], 0 offset:84
	;; [unrolled: 1-line block ×4, first 2 shown]
	s_waitcnt vmcnt(50)
	v_fma_f64 v[111:112], v[47:48], v[61:62], -v[111:112]
	ds_read_b128 v[43:46], v2 offset:432
	v_fma_f64 v[55:56], v[49:50], v[61:62], v[55:56]
	ds_read_b128 v[47:50], v2 offset:448
	s_waitcnt vmcnt(44)
	v_fma_f64 v[59:60], v[51:52], v[69:70], -v[59:60]
	v_fma_f64 v[69:70], v[53:54], v[69:70], v[115:116]
	ds_read_b128 v[51:54], v2 offset:464
	v_add_f64 v[109:110], v[109:110], 0
	v_add_f64 v[3:4], v[3:4], 0
	s_waitcnt lgkmcnt(2)
	v_mul_f64 v[61:62], v[43:44], v[63:64]
	v_mul_f64 v[63:64], v[45:46], v[63:64]
	v_add_f64 v[109:110], v[109:110], v[111:112]
	v_add_f64 v[3:4], v[3:4], v[55:56]
	s_waitcnt vmcnt(43) lgkmcnt(1)
	v_mul_f64 v[55:56], v[47:48], v[65:66]
	v_mul_f64 v[65:66], v[49:50], v[65:66]
	s_waitcnt vmcnt(41)
	v_fma_f64 v[63:64], v[43:44], v[71:72], -v[63:64]
	v_fma_f64 v[61:62], v[45:46], v[71:72], v[61:62]
	ds_read_b128 v[43:46], v2 offset:480
	s_waitcnt vmcnt(37) lgkmcnt(1)
	v_mul_f64 v[71:72], v[53:54], v[73:74]
	v_add_f64 v[59:60], v[109:110], v[59:60]
	v_add_f64 v[3:4], v[3:4], v[69:70]
	v_mul_f64 v[69:70], v[51:52], v[73:74]
	s_waitcnt vmcnt(36)
	v_fma_f64 v[65:66], v[47:48], v[67:68], -v[65:66]
	v_fma_f64 v[55:56], v[49:50], v[67:68], v[55:56]
	ds_read_b128 v[47:50], v2 offset:496
	s_waitcnt vmcnt(33)
	v_fma_f64 v[67:68], v[51:52], v[79:80], -v[71:72]
	v_add_f64 v[59:60], v[59:60], v[63:64]
	v_add_f64 v[3:4], v[3:4], v[61:62]
	s_waitcnt lgkmcnt(1)
	v_mul_f64 v[63:64], v[45:46], v[75:76]
	v_mul_f64 v[61:62], v[43:44], v[75:76]
	v_add_f64 v[59:60], v[59:60], v[65:66]
	v_fma_f64 v[65:66], v[53:54], v[79:80], v[69:70]
	v_add_f64 v[3:4], v[3:4], v[55:56]
	ds_read_b128 v[51:54], v2 offset:512
	s_waitcnt vmcnt(29) lgkmcnt(1)
	v_mul_f64 v[69:70], v[49:50], v[81:82]
	s_waitcnt vmcnt(28)
	v_fma_f64 v[63:64], v[43:44], v[77:78], -v[63:64]
	v_mul_f64 v[55:56], v[47:48], v[81:82]
	v_fma_f64 v[61:62], v[45:46], v[77:78], v[61:62]
	ds_read_b128 v[43:46], v2 offset:528
	v_add_f64 v[59:60], v[59:60], v[67:68]
	s_waitcnt vmcnt(27) lgkmcnt(1)
	v_mul_f64 v[67:68], v[53:54], v[83:84]
	v_add_f64 v[3:4], v[3:4], v[65:66]
	v_mul_f64 v[65:66], v[51:52], v[83:84]
	s_waitcnt vmcnt(25)
	v_fma_f64 v[69:70], v[47:48], v[87:88], -v[69:70]
	v_fma_f64 v[55:56], v[49:50], v[87:88], v[55:56]
	ds_read_b128 v[47:50], v2 offset:544
	v_add_f64 v[59:60], v[59:60], v[63:64]
	s_waitcnt vmcnt(21) lgkmcnt(1)
	v_mul_f64 v[63:64], v[45:46], v[89:90]
	v_add_f64 v[3:4], v[3:4], v[61:62]
	s_waitcnt vmcnt(20)
	v_fma_f64 v[67:68], v[51:52], v[85:86], -v[67:68]
	v_mul_f64 v[61:62], v[43:44], v[89:90]
	v_fma_f64 v[65:66], v[53:54], v[85:86], v[65:66]
	ds_read_b128 v[51:54], v2 offset:560
	v_add_f64 v[59:60], v[59:60], v[69:70]
	s_waitcnt vmcnt(19) lgkmcnt(1)
	v_mul_f64 v[69:70], v[49:50], v[91:92]
	v_add_f64 v[3:4], v[3:4], v[55:56]
	s_waitcnt vmcnt(17)
	v_fma_f64 v[63:64], v[43:44], v[95:96], -v[63:64]
	v_mul_f64 v[55:56], v[47:48], v[91:92]
	v_fma_f64 v[61:62], v[45:46], v[95:96], v[61:62]
	ds_read_b128 v[43:46], v2 offset:576
	v_add_f64 v[59:60], v[59:60], v[67:68]
	s_waitcnt vmcnt(13) lgkmcnt(1)
	v_mul_f64 v[67:68], v[53:54], v[97:98]
	v_add_f64 v[3:4], v[3:4], v[65:66]
	s_waitcnt vmcnt(12)
	v_fma_f64 v[69:70], v[47:48], v[93:94], -v[69:70]
	v_mul_f64 v[65:66], v[51:52], v[97:98]
	v_fma_f64 v[55:56], v[49:50], v[93:94], v[55:56]
	ds_read_b128 v[47:50], v2 offset:592
	v_add_f64 v[59:60], v[59:60], v[63:64]
	s_waitcnt vmcnt(11) lgkmcnt(1)
	v_mul_f64 v[63:64], v[45:46], v[99:100]
	v_add_f64 v[3:4], v[3:4], v[61:62]
	s_waitcnt vmcnt(9)
	v_fma_f64 v[51:52], v[51:52], v[103:104], -v[67:68]
	v_mul_f64 v[61:62], v[43:44], v[99:100]
	v_fma_f64 v[53:54], v[53:54], v[103:104], v[65:66]
	s_waitcnt vmcnt(7) lgkmcnt(0)
	v_mul_f64 v[65:66], v[49:50], v[105:106]
	v_add_f64 v[59:60], v[59:60], v[69:70]
	s_waitcnt vmcnt(6)
	v_fma_f64 v[43:44], v[43:44], v[101:102], -v[63:64]
	v_add_f64 v[2:3], v[3:4], v[55:56]
	v_mul_f64 v[55:56], v[47:48], v[105:106]
	v_fma_f64 v[45:46], v[45:46], v[101:102], v[61:62]
	s_waitcnt vmcnt(4)
	v_fma_f64 v[47:48], v[47:48], v[107:108], -v[65:66]
	v_add_f64 v[51:52], v[59:60], v[51:52]
	v_add_f64 v[2:3], v[2:3], v[53:54]
	v_fma_f64 v[49:50], v[49:50], v[107:108], v[55:56]
	v_add_f64 v[43:44], v[51:52], v[43:44]
	v_add_f64 v[2:3], v[2:3], v[45:46]
	;; [unrolled: 1-line block ×4, first 2 shown]
	s_waitcnt vmcnt(2)
	v_add_f64 v[43:44], v[57:58], -v[43:44]
	s_waitcnt vmcnt(0)
	v_add_f64 v[2:3], v[113:114], -v[2:3]
	buffer_store_dword v44, off, s[0:3], 0 offset:84
	buffer_store_dword v43, off, s[0:3], 0 offset:80
	;; [unrolled: 1-line block ×4, first 2 shown]
	v_cmpx_lt_u32_e32 3, v0
	s_cbranch_execz .LBB18_121
; %bb.120:
	v_mov_b32_e32 v2, s27
	s_clause 0x3
	buffer_load_dword v43, v2, s[0:3], 0 offen
	buffer_load_dword v44, v2, s[0:3], 0 offen offset:4
	buffer_load_dword v45, v2, s[0:3], 0 offen offset:8
	;; [unrolled: 1-line block ×3, first 2 shown]
	v_mov_b32_e32 v2, 0
	buffer_store_dword v2, off, s[0:3], 0 offset:64
	buffer_store_dword v2, off, s[0:3], 0 offset:68
	;; [unrolled: 1-line block ×4, first 2 shown]
	s_waitcnt vmcnt(0)
	ds_write_b128 v1, v[43:46]
.LBB18_121:
	s_or_b32 exec_lo, exec_lo, s4
	s_waitcnt lgkmcnt(0)
	s_waitcnt_vscnt null, 0x0
	s_barrier
	buffer_gl0_inv
	s_clause 0x37
	buffer_load_dword v3, off, s[0:3], 0 offset:88
	buffer_load_dword v4, off, s[0:3], 0 offset:92
	buffer_load_dword v55, off, s[0:3], 0 offset:104
	buffer_load_dword v56, off, s[0:3], 0 offset:108
	buffer_load_dword v57, off, s[0:3], 0 offset:80
	buffer_load_dword v58, off, s[0:3], 0 offset:84
	buffer_load_dword v59, off, s[0:3], 0 offset:120
	buffer_load_dword v60, off, s[0:3], 0 offset:124
	buffer_load_dword v61, off, s[0:3], 0 offset:96
	buffer_load_dword v62, off, s[0:3], 0 offset:100
	buffer_load_dword v64, off, s[0:3], 0 offset:140
	buffer_load_dword v65, off, s[0:3], 0 offset:152
	buffer_load_dword v67, off, s[0:3], 0 offset:144
	buffer_load_dword v63, off, s[0:3], 0 offset:136
	buffer_load_dword v69, off, s[0:3], 0 offset:112
	buffer_load_dword v70, off, s[0:3], 0 offset:116
	buffer_load_dword v66, off, s[0:3], 0 offset:156
	buffer_load_dword v72, off, s[0:3], 0 offset:132
	buffer_load_dword v71, off, s[0:3], 0 offset:128
	buffer_load_dword v74, off, s[0:3], 0 offset:172
	buffer_load_dword v75, off, s[0:3], 0 offset:184
	buffer_load_dword v77, off, s[0:3], 0 offset:176
	buffer_load_dword v73, off, s[0:3], 0 offset:168
	buffer_load_dword v68, off, s[0:3], 0 offset:148
	buffer_load_dword v76, off, s[0:3], 0 offset:188
	buffer_load_dword v80, off, s[0:3], 0 offset:164
	buffer_load_dword v79, off, s[0:3], 0 offset:160
	buffer_load_dword v82, off, s[0:3], 0 offset:204
	buffer_load_dword v83, off, s[0:3], 0 offset:216
	buffer_load_dword v85, off, s[0:3], 0 offset:208
	buffer_load_dword v81, off, s[0:3], 0 offset:200
	buffer_load_dword v78, off, s[0:3], 0 offset:180
	buffer_load_dword v84, off, s[0:3], 0 offset:220
	buffer_load_dword v88, off, s[0:3], 0 offset:196
	buffer_load_dword v87, off, s[0:3], 0 offset:192
	buffer_load_dword v90, off, s[0:3], 0 offset:236
	buffer_load_dword v91, off, s[0:3], 0 offset:248
	buffer_load_dword v93, off, s[0:3], 0 offset:240
	buffer_load_dword v89, off, s[0:3], 0 offset:232
	buffer_load_dword v86, off, s[0:3], 0 offset:212
	buffer_load_dword v92, off, s[0:3], 0 offset:252
	buffer_load_dword v96, off, s[0:3], 0 offset:228
	buffer_load_dword v95, off, s[0:3], 0 offset:224
	buffer_load_dword v98, off, s[0:3], 0 offset:268
	buffer_load_dword v99, off, s[0:3], 0 offset:280
	buffer_load_dword v101, off, s[0:3], 0 offset:272
	buffer_load_dword v97, off, s[0:3], 0 offset:264
	buffer_load_dword v94, off, s[0:3], 0 offset:244
	buffer_load_dword v100, off, s[0:3], 0 offset:284
	buffer_load_dword v104, off, s[0:3], 0 offset:260
	buffer_load_dword v103, off, s[0:3], 0 offset:256
	buffer_load_dword v106, off, s[0:3], 0 offset:300
	buffer_load_dword v107, off, s[0:3], 0 offset:312
	buffer_load_dword v109, off, s[0:3], 0 offset:304
	buffer_load_dword v105, off, s[0:3], 0 offset:296
	buffer_load_dword v102, off, s[0:3], 0 offset:276
	v_mov_b32_e32 v2, 0
	s_mov_b32 s4, exec_lo
	ds_read_b128 v[43:46], v2 offset:368
	s_clause 0x2
	buffer_load_dword v108, off, s[0:3], 0 offset:316
	buffer_load_dword v112, off, s[0:3], 0 offset:292
	;; [unrolled: 1-line block ×3, first 2 shown]
	ds_read_b128 v[47:50], v2 offset:384
	ds_read_b128 v[51:54], v2 offset:400
	buffer_load_dword v110, off, s[0:3], 0 offset:308
	s_waitcnt vmcnt(58) lgkmcnt(2)
	v_mul_f64 v[113:114], v[45:46], v[3:4]
	v_mul_f64 v[3:4], v[43:44], v[3:4]
	s_waitcnt vmcnt(56) lgkmcnt(1)
	v_mul_f64 v[115:116], v[49:50], v[55:56]
	v_mul_f64 v[55:56], v[47:48], v[55:56]
	s_waitcnt vmcnt(54)
	v_fma_f64 v[113:114], v[43:44], v[57:58], -v[113:114]
	v_fma_f64 v[3:4], v[45:46], v[57:58], v[3:4]
	s_waitcnt vmcnt(52) lgkmcnt(0)
	v_mul_f64 v[57:58], v[51:52], v[59:60]
	v_mul_f64 v[59:60], v[53:54], v[59:60]
	s_waitcnt vmcnt(50)
	v_fma_f64 v[115:116], v[47:48], v[61:62], -v[115:116]
	ds_read_b128 v[43:46], v2 offset:416
	v_fma_f64 v[55:56], v[49:50], v[61:62], v[55:56]
	s_clause 0x3
	buffer_load_dword v61, off, s[0:3], 0 offset:64
	buffer_load_dword v62, off, s[0:3], 0 offset:68
	;; [unrolled: 1-line block ×4, first 2 shown]
	ds_read_b128 v[47:50], v2 offset:432
	v_add_f64 v[113:114], v[113:114], 0
	v_add_f64 v[3:4], v[3:4], 0
	s_waitcnt vmcnt(48)
	v_fma_f64 v[57:58], v[53:54], v[69:70], v[57:58]
	s_waitcnt lgkmcnt(1)
	v_mul_f64 v[119:120], v[43:44], v[63:64]
	v_mul_f64 v[63:64], v[45:46], v[63:64]
	v_fma_f64 v[59:60], v[51:52], v[69:70], -v[59:60]
	ds_read_b128 v[51:54], v2 offset:448
	v_add_f64 v[113:114], v[113:114], v[115:116]
	v_add_f64 v[3:4], v[3:4], v[55:56]
	s_waitcnt vmcnt(47) lgkmcnt(1)
	v_mul_f64 v[55:56], v[47:48], v[65:66]
	v_mul_f64 v[65:66], v[49:50], v[65:66]
	s_waitcnt vmcnt(45)
	v_fma_f64 v[63:64], v[43:44], v[71:72], -v[63:64]
	v_fma_f64 v[69:70], v[45:46], v[71:72], v[119:120]
	s_waitcnt vmcnt(41) lgkmcnt(0)
	v_mul_f64 v[71:72], v[53:54], v[73:74]
	ds_read_b128 v[43:46], v2 offset:464
	v_add_f64 v[59:60], v[113:114], v[59:60]
	v_add_f64 v[3:4], v[3:4], v[57:58]
	v_mul_f64 v[57:58], v[51:52], v[73:74]
	s_waitcnt vmcnt(40)
	v_fma_f64 v[65:66], v[47:48], v[67:68], -v[65:66]
	v_fma_f64 v[55:56], v[49:50], v[67:68], v[55:56]
	ds_read_b128 v[47:50], v2 offset:480
	s_waitcnt vmcnt(39) lgkmcnt(1)
	v_mul_f64 v[67:68], v[45:46], v[75:76]
	v_add_f64 v[59:60], v[59:60], v[63:64]
	v_add_f64 v[3:4], v[3:4], v[69:70]
	s_waitcnt vmcnt(37)
	v_fma_f64 v[69:70], v[51:52], v[79:80], -v[71:72]
	v_mul_f64 v[63:64], v[43:44], v[75:76]
	v_fma_f64 v[57:58], v[53:54], v[79:80], v[57:58]
	ds_read_b128 v[51:54], v2 offset:496
	s_waitcnt vmcnt(32)
	v_fma_f64 v[67:68], v[43:44], v[77:78], -v[67:68]
	v_add_f64 v[59:60], v[59:60], v[65:66]
	v_add_f64 v[3:4], v[3:4], v[55:56]
	s_waitcnt lgkmcnt(1)
	v_mul_f64 v[65:66], v[49:50], v[81:82]
	v_mul_f64 v[55:56], v[47:48], v[81:82]
	v_fma_f64 v[63:64], v[45:46], v[77:78], v[63:64]
	ds_read_b128 v[43:46], v2 offset:512
	v_add_f64 v[59:60], v[59:60], v[69:70]
	v_add_f64 v[3:4], v[3:4], v[57:58]
	s_waitcnt vmcnt(31) lgkmcnt(1)
	v_mul_f64 v[69:70], v[53:54], v[83:84]
	s_waitcnt vmcnt(29)
	v_fma_f64 v[65:66], v[47:48], v[87:88], -v[65:66]
	v_mul_f64 v[57:58], v[51:52], v[83:84]
	v_fma_f64 v[55:56], v[49:50], v[87:88], v[55:56]
	ds_read_b128 v[47:50], v2 offset:528
	v_add_f64 v[59:60], v[59:60], v[67:68]
	v_add_f64 v[3:4], v[3:4], v[63:64]
	s_waitcnt vmcnt(25) lgkmcnt(1)
	v_mul_f64 v[67:68], v[45:46], v[89:90]
	s_waitcnt vmcnt(24)
	v_fma_f64 v[69:70], v[51:52], v[85:86], -v[69:70]
	;; [unrolled: 9-line block ×6, first 2 shown]
	v_mul_f64 v[55:56], v[47:48], v[105:106]
	v_fma_f64 v[45:46], v[45:46], v[101:102], v[63:64]
	s_waitcnt vmcnt(7) lgkmcnt(0)
	v_mul_f64 v[63:64], v[53:54], v[107:108]
	v_add_f64 v[59:60], v[59:60], v[69:70]
	v_add_f64 v[3:4], v[3:4], v[57:58]
	s_waitcnt vmcnt(5)
	v_fma_f64 v[47:48], v[47:48], v[111:112], -v[65:66]
	v_mul_f64 v[57:58], v[51:52], v[107:108]
	v_fma_f64 v[49:50], v[49:50], v[111:112], v[55:56]
	v_add_f64 v[43:44], v[59:60], v[43:44]
	v_add_f64 v[3:4], v[3:4], v[45:46]
	s_waitcnt vmcnt(4)
	v_fma_f64 v[45:46], v[51:52], v[109:110], -v[63:64]
	v_add_f64 v[43:44], v[43:44], v[47:48]
	v_fma_f64 v[47:48], v[53:54], v[109:110], v[57:58]
	v_add_f64 v[3:4], v[3:4], v[49:50]
	v_add_f64 v[43:44], v[43:44], v[45:46]
	;; [unrolled: 1-line block ×3, first 2 shown]
	s_waitcnt vmcnt(2)
	v_add_f64 v[43:44], v[61:62], -v[43:44]
	s_waitcnt vmcnt(0)
	v_add_f64 v[3:4], v[117:118], -v[3:4]
	buffer_store_dword v44, off, s[0:3], 0 offset:68
	buffer_store_dword v43, off, s[0:3], 0 offset:64
	;; [unrolled: 1-line block ×4, first 2 shown]
	v_cmpx_lt_u32_e32 2, v0
	s_cbranch_execz .LBB18_123
; %bb.122:
	v_mov_b32_e32 v3, s28
	s_clause 0x3
	buffer_load_dword v43, v3, s[0:3], 0 offen
	buffer_load_dword v44, v3, s[0:3], 0 offen offset:4
	buffer_load_dword v45, v3, s[0:3], 0 offen offset:8
	;; [unrolled: 1-line block ×3, first 2 shown]
	buffer_store_dword v2, off, s[0:3], 0 offset:48
	buffer_store_dword v2, off, s[0:3], 0 offset:52
	;; [unrolled: 1-line block ×4, first 2 shown]
	s_waitcnt vmcnt(0)
	ds_write_b128 v1, v[43:46]
.LBB18_123:
	s_or_b32 exec_lo, exec_lo, s4
	s_waitcnt lgkmcnt(0)
	s_waitcnt_vscnt null, 0x0
	s_barrier
	buffer_gl0_inv
	s_clause 0x37
	buffer_load_dword v3, off, s[0:3], 0 offset:72
	buffer_load_dword v4, off, s[0:3], 0 offset:76
	buffer_load_dword v55, off, s[0:3], 0 offset:88
	buffer_load_dword v56, off, s[0:3], 0 offset:92
	buffer_load_dword v57, off, s[0:3], 0 offset:64
	buffer_load_dword v58, off, s[0:3], 0 offset:68
	buffer_load_dword v59, off, s[0:3], 0 offset:104
	buffer_load_dword v60, off, s[0:3], 0 offset:108
	buffer_load_dword v61, off, s[0:3], 0 offset:80
	buffer_load_dword v62, off, s[0:3], 0 offset:84
	buffer_load_dword v64, off, s[0:3], 0 offset:124
	buffer_load_dword v65, off, s[0:3], 0 offset:136
	buffer_load_dword v67, off, s[0:3], 0 offset:128
	buffer_load_dword v63, off, s[0:3], 0 offset:120
	buffer_load_dword v69, off, s[0:3], 0 offset:96
	buffer_load_dword v70, off, s[0:3], 0 offset:100
	buffer_load_dword v66, off, s[0:3], 0 offset:140
	buffer_load_dword v72, off, s[0:3], 0 offset:116
	buffer_load_dword v71, off, s[0:3], 0 offset:112
	buffer_load_dword v74, off, s[0:3], 0 offset:156
	buffer_load_dword v75, off, s[0:3], 0 offset:168
	buffer_load_dword v77, off, s[0:3], 0 offset:160
	buffer_load_dword v73, off, s[0:3], 0 offset:152
	buffer_load_dword v68, off, s[0:3], 0 offset:132
	buffer_load_dword v76, off, s[0:3], 0 offset:172
	buffer_load_dword v80, off, s[0:3], 0 offset:148
	buffer_load_dword v79, off, s[0:3], 0 offset:144
	buffer_load_dword v82, off, s[0:3], 0 offset:188
	buffer_load_dword v83, off, s[0:3], 0 offset:200
	buffer_load_dword v85, off, s[0:3], 0 offset:192
	buffer_load_dword v81, off, s[0:3], 0 offset:184
	buffer_load_dword v78, off, s[0:3], 0 offset:164
	buffer_load_dword v84, off, s[0:3], 0 offset:204
	buffer_load_dword v88, off, s[0:3], 0 offset:180
	buffer_load_dword v87, off, s[0:3], 0 offset:176
	buffer_load_dword v90, off, s[0:3], 0 offset:220
	buffer_load_dword v91, off, s[0:3], 0 offset:232
	buffer_load_dword v93, off, s[0:3], 0 offset:224
	buffer_load_dword v89, off, s[0:3], 0 offset:216
	buffer_load_dword v86, off, s[0:3], 0 offset:196
	buffer_load_dword v92, off, s[0:3], 0 offset:236
	buffer_load_dword v96, off, s[0:3], 0 offset:212
	buffer_load_dword v95, off, s[0:3], 0 offset:208
	buffer_load_dword v98, off, s[0:3], 0 offset:252
	buffer_load_dword v99, off, s[0:3], 0 offset:264
	buffer_load_dword v101, off, s[0:3], 0 offset:256
	buffer_load_dword v97, off, s[0:3], 0 offset:248
	buffer_load_dword v94, off, s[0:3], 0 offset:228
	buffer_load_dword v100, off, s[0:3], 0 offset:268
	buffer_load_dword v104, off, s[0:3], 0 offset:244
	buffer_load_dword v103, off, s[0:3], 0 offset:240
	buffer_load_dword v106, off, s[0:3], 0 offset:284
	buffer_load_dword v107, off, s[0:3], 0 offset:296
	buffer_load_dword v109, off, s[0:3], 0 offset:288
	buffer_load_dword v105, off, s[0:3], 0 offset:280
	buffer_load_dword v102, off, s[0:3], 0 offset:260
	ds_read_b128 v[43:46], v2 offset:352
	s_clause 0x2
	buffer_load_dword v108, off, s[0:3], 0 offset:300
	buffer_load_dword v112, off, s[0:3], 0 offset:276
	buffer_load_dword v111, off, s[0:3], 0 offset:272
	ds_read_b128 v[47:50], v2 offset:368
	s_clause 0x2
	buffer_load_dword v116, off, s[0:3], 0 offset:316
	buffer_load_dword v115, off, s[0:3], 0 offset:312
	;; [unrolled: 1-line block ×3, first 2 shown]
	ds_read_b128 v[51:54], v2 offset:384
	s_mov_b32 s4, exec_lo
	s_waitcnt vmcnt(60) lgkmcnt(2)
	v_mul_f64 v[113:114], v[45:46], v[3:4]
	v_mul_f64 v[3:4], v[43:44], v[3:4]
	s_waitcnt vmcnt(58) lgkmcnt(1)
	v_mul_f64 v[117:118], v[49:50], v[55:56]
	v_mul_f64 v[55:56], v[47:48], v[55:56]
	;; [unrolled: 3-line block ×3, first 2 shown]
	v_fma_f64 v[113:114], v[43:44], v[57:58], -v[113:114]
	v_fma_f64 v[3:4], v[45:46], v[57:58], v[3:4]
	s_clause 0x1
	buffer_load_dword v58, off, s[0:3], 0 offset:308
	buffer_load_dword v57, off, s[0:3], 0 offset:304
	s_waitcnt vmcnt(54)
	v_fma_f64 v[117:118], v[47:48], v[61:62], -v[117:118]
	ds_read_b128 v[43:46], v2 offset:400
	v_fma_f64 v[55:56], v[49:50], v[61:62], v[55:56]
	ds_read_b128 v[47:50], v2 offset:416
	s_waitcnt vmcnt(48)
	v_fma_f64 v[59:60], v[51:52], v[69:70], -v[59:60]
	v_fma_f64 v[69:70], v[53:54], v[69:70], v[119:120]
	v_add_f64 v[113:114], v[113:114], 0
	v_add_f64 v[3:4], v[3:4], 0
	s_waitcnt lgkmcnt(1)
	v_mul_f64 v[61:62], v[43:44], v[63:64]
	v_mul_f64 v[63:64], v[45:46], v[63:64]
	s_waitcnt vmcnt(47) lgkmcnt(0)
	v_mul_f64 v[119:120], v[47:48], v[65:66]
	v_mul_f64 v[65:66], v[49:50], v[65:66]
	v_add_f64 v[113:114], v[113:114], v[117:118]
	v_add_f64 v[3:4], v[3:4], v[55:56]
	s_clause 0x3
	buffer_load_dword v55, off, s[0:3], 0 offset:48
	buffer_load_dword v56, off, s[0:3], 0 offset:52
	;; [unrolled: 1-line block ×4, first 2 shown]
	s_waitcnt vmcnt(49)
	v_fma_f64 v[63:64], v[43:44], v[71:72], -v[63:64]
	ds_read_b128 v[51:54], v2 offset:432
	v_fma_f64 v[61:62], v[45:46], v[71:72], v[61:62]
	ds_read_b128 v[43:46], v2 offset:448
	s_waitcnt vmcnt(44)
	v_fma_f64 v[65:66], v[47:48], v[67:68], -v[65:66]
	v_add_f64 v[59:60], v[113:114], v[59:60]
	v_add_f64 v[3:4], v[3:4], v[69:70]
	s_waitcnt lgkmcnt(1)
	v_mul_f64 v[71:72], v[53:54], v[73:74]
	v_mul_f64 v[69:70], v[51:52], v[73:74]
	v_add_f64 v[59:60], v[59:60], v[63:64]
	v_fma_f64 v[63:64], v[49:50], v[67:68], v[119:120]
	v_add_f64 v[3:4], v[3:4], v[61:62]
	s_waitcnt vmcnt(43) lgkmcnt(0)
	v_mul_f64 v[67:68], v[45:46], v[75:76]
	s_waitcnt vmcnt(41)
	v_fma_f64 v[71:72], v[51:52], v[79:80], -v[71:72]
	ds_read_b128 v[47:50], v2 offset:464
	v_mul_f64 v[61:62], v[43:44], v[75:76]
	v_add_f64 v[59:60], v[59:60], v[65:66]
	v_fma_f64 v[65:66], v[53:54], v[79:80], v[69:70]
	v_add_f64 v[3:4], v[3:4], v[63:64]
	ds_read_b128 v[51:54], v2 offset:480
	s_waitcnt vmcnt(37) lgkmcnt(1)
	v_mul_f64 v[69:70], v[49:50], v[81:82]
	s_waitcnt vmcnt(36)
	v_fma_f64 v[67:68], v[43:44], v[77:78], -v[67:68]
	v_mul_f64 v[63:64], v[47:48], v[81:82]
	v_fma_f64 v[61:62], v[45:46], v[77:78], v[61:62]
	ds_read_b128 v[43:46], v2 offset:496
	v_add_f64 v[59:60], v[59:60], v[71:72]
	s_waitcnt vmcnt(35) lgkmcnt(1)
	v_mul_f64 v[71:72], v[53:54], v[83:84]
	v_add_f64 v[3:4], v[3:4], v[65:66]
	v_mul_f64 v[65:66], v[51:52], v[83:84]
	s_waitcnt vmcnt(33)
	v_fma_f64 v[69:70], v[47:48], v[87:88], -v[69:70]
	v_fma_f64 v[63:64], v[49:50], v[87:88], v[63:64]
	ds_read_b128 v[47:50], v2 offset:512
	v_add_f64 v[59:60], v[59:60], v[67:68]
	s_waitcnt vmcnt(29) lgkmcnt(1)
	v_mul_f64 v[67:68], v[45:46], v[89:90]
	v_add_f64 v[3:4], v[3:4], v[61:62]
	s_waitcnt vmcnt(28)
	v_fma_f64 v[71:72], v[51:52], v[85:86], -v[71:72]
	v_mul_f64 v[61:62], v[43:44], v[89:90]
	v_fma_f64 v[65:66], v[53:54], v[85:86], v[65:66]
	ds_read_b128 v[51:54], v2 offset:528
	v_add_f64 v[59:60], v[59:60], v[69:70]
	s_waitcnt vmcnt(27) lgkmcnt(1)
	v_mul_f64 v[69:70], v[49:50], v[91:92]
	v_add_f64 v[3:4], v[3:4], v[63:64]
	s_waitcnt vmcnt(25)
	v_fma_f64 v[67:68], v[43:44], v[95:96], -v[67:68]
	v_mul_f64 v[63:64], v[47:48], v[91:92]
	;; [unrolled: 9-line block ×6, first 2 shown]
	v_fma_f64 v[49:50], v[49:50], v[111:112], v[63:64]
	s_waitcnt vmcnt(7) lgkmcnt(0)
	v_mul_f64 v[63:64], v[45:46], v[115:116]
	v_add_f64 v[59:60], v[59:60], v[67:68]
	s_waitcnt vmcnt(6)
	v_fma_f64 v[51:52], v[51:52], v[109:110], -v[71:72]
	v_add_f64 v[2:3], v[3:4], v[61:62]
	v_mul_f64 v[61:62], v[43:44], v[115:116]
	v_fma_f64 v[53:54], v[53:54], v[109:110], v[65:66]
	v_add_f64 v[47:48], v[59:60], v[47:48]
	v_add_f64 v[2:3], v[2:3], v[49:50]
	s_waitcnt vmcnt(4)
	v_fma_f64 v[43:44], v[43:44], v[57:58], -v[63:64]
	v_fma_f64 v[45:46], v[45:46], v[57:58], v[61:62]
	v_add_f64 v[47:48], v[47:48], v[51:52]
	v_add_f64 v[2:3], v[2:3], v[53:54]
	;; [unrolled: 1-line block ×4, first 2 shown]
	s_waitcnt vmcnt(2)
	v_add_f64 v[43:44], v[55:56], -v[43:44]
	s_waitcnt vmcnt(0)
	v_add_f64 v[2:3], v[117:118], -v[2:3]
	buffer_store_dword v44, off, s[0:3], 0 offset:52
	buffer_store_dword v43, off, s[0:3], 0 offset:48
	;; [unrolled: 1-line block ×4, first 2 shown]
	v_cmpx_lt_u32_e32 1, v0
	s_cbranch_execz .LBB18_125
; %bb.124:
	v_mov_b32_e32 v2, s29
	s_clause 0x3
	buffer_load_dword v43, v2, s[0:3], 0 offen
	buffer_load_dword v44, v2, s[0:3], 0 offen offset:4
	buffer_load_dword v45, v2, s[0:3], 0 offen offset:8
	;; [unrolled: 1-line block ×3, first 2 shown]
	v_mov_b32_e32 v2, 0
	buffer_store_dword v2, off, s[0:3], 0 offset:32
	buffer_store_dword v2, off, s[0:3], 0 offset:36
	buffer_store_dword v2, off, s[0:3], 0 offset:40
	buffer_store_dword v2, off, s[0:3], 0 offset:44
	s_waitcnt vmcnt(0)
	ds_write_b128 v1, v[43:46]
.LBB18_125:
	s_or_b32 exec_lo, exec_lo, s4
	s_waitcnt lgkmcnt(0)
	s_waitcnt_vscnt null, 0x0
	s_barrier
	buffer_gl0_inv
	s_clause 0x37
	buffer_load_dword v3, off, s[0:3], 0 offset:56
	buffer_load_dword v4, off, s[0:3], 0 offset:60
	;; [unrolled: 1-line block ×56, first 2 shown]
	v_mov_b32_e32 v2, 0
	s_mov_b32 s4, exec_lo
	ds_read_b128 v[43:46], v2 offset:336
	s_clause 0x2
	buffer_load_dword v108, off, s[0:3], 0 offset:284
	buffer_load_dword v112, off, s[0:3], 0 offset:260
	;; [unrolled: 1-line block ×3, first 2 shown]
	ds_read_b128 v[47:50], v2 offset:352
	s_clause 0x4
	buffer_load_dword v116, off, s[0:3], 0 offset:300
	buffer_load_dword v117, off, s[0:3], 0 offset:312
	;; [unrolled: 1-line block ×5, first 2 shown]
	ds_read_b128 v[51:54], v2 offset:368
	s_waitcnt vmcnt(62) lgkmcnt(2)
	v_mul_f64 v[113:114], v[45:46], v[3:4]
	v_mul_f64 v[3:4], v[43:44], v[3:4]
	s_waitcnt vmcnt(60) lgkmcnt(1)
	v_mul_f64 v[120:121], v[49:50], v[55:56]
	v_mul_f64 v[55:56], v[47:48], v[55:56]
	s_waitcnt vmcnt(56) lgkmcnt(0)
	v_mul_f64 v[122:123], v[51:52], v[59:60]
	v_mul_f64 v[59:60], v[53:54], v[59:60]
	v_fma_f64 v[113:114], v[43:44], v[57:58], -v[113:114]
	v_fma_f64 v[3:4], v[45:46], v[57:58], v[3:4]
	s_clause 0x2
	buffer_load_dword v118, off, s[0:3], 0 offset:316
	buffer_load_dword v58, off, s[0:3], 0 offset:292
	;; [unrolled: 1-line block ×3, first 2 shown]
	s_waitcnt vmcnt(57)
	v_fma_f64 v[124:125], v[47:48], v[61:62], -v[120:121]
	ds_read_b128 v[43:46], v2 offset:384
	v_fma_f64 v[55:56], v[49:50], v[61:62], v[55:56]
	buffer_load_dword v120, off, s[0:3], 0 offset:308
	ds_read_b128 v[47:50], v2 offset:400
	s_waitcnt vmcnt(52)
	v_fma_f64 v[59:60], v[51:52], v[69:70], -v[59:60]
	v_fma_f64 v[69:70], v[53:54], v[69:70], v[122:123]
	ds_read_b128 v[51:54], v2 offset:416
	v_add_f64 v[113:114], v[113:114], 0
	v_add_f64 v[3:4], v[3:4], 0
	s_waitcnt lgkmcnt(2)
	v_mul_f64 v[61:62], v[43:44], v[63:64]
	v_mul_f64 v[63:64], v[45:46], v[63:64]
	v_add_f64 v[113:114], v[113:114], v[124:125]
	v_add_f64 v[3:4], v[3:4], v[55:56]
	s_waitcnt vmcnt(51) lgkmcnt(1)
	v_mul_f64 v[55:56], v[47:48], v[65:66]
	v_mul_f64 v[65:66], v[49:50], v[65:66]
	s_waitcnt vmcnt(49)
	v_fma_f64 v[63:64], v[43:44], v[71:72], -v[63:64]
	v_fma_f64 v[61:62], v[45:46], v[71:72], v[61:62]
	v_add_f64 v[59:60], v[113:114], v[59:60]
	v_add_f64 v[3:4], v[3:4], v[69:70]
	s_clause 0x3
	buffer_load_dword v69, off, s[0:3], 0 offset:32
	buffer_load_dword v70, off, s[0:3], 0 offset:36
	;; [unrolled: 1-line block ×4, first 2 shown]
	s_waitcnt vmcnt(49) lgkmcnt(0)
	v_mul_f64 v[113:114], v[51:52], v[73:74]
	v_mul_f64 v[73:74], v[53:54], v[73:74]
	s_waitcnt vmcnt(48)
	v_fma_f64 v[65:66], v[47:48], v[67:68], -v[65:66]
	ds_read_b128 v[43:46], v2 offset:432
	v_fma_f64 v[55:56], v[49:50], v[67:68], v[55:56]
	ds_read_b128 v[47:50], v2 offset:448
	v_add_f64 v[59:60], v[59:60], v[63:64]
	v_add_f64 v[3:4], v[3:4], v[61:62]
	s_waitcnt vmcnt(47) lgkmcnt(1)
	v_mul_f64 v[63:64], v[45:46], v[75:76]
	s_waitcnt vmcnt(45)
	v_fma_f64 v[67:68], v[51:52], v[79:80], -v[73:74]
	v_mul_f64 v[61:62], v[43:44], v[75:76]
	s_waitcnt vmcnt(41) lgkmcnt(0)
	v_mul_f64 v[73:74], v[49:50], v[81:82]
	v_add_f64 v[59:60], v[59:60], v[65:66]
	v_fma_f64 v[65:66], v[53:54], v[79:80], v[113:114]
	v_add_f64 v[3:4], v[3:4], v[55:56]
	ds_read_b128 v[51:54], v2 offset:464
	s_waitcnt vmcnt(40)
	v_fma_f64 v[63:64], v[43:44], v[77:78], -v[63:64]
	v_mul_f64 v[55:56], v[47:48], v[81:82]
	v_fma_f64 v[61:62], v[45:46], v[77:78], v[61:62]
	ds_read_b128 v[43:46], v2 offset:480
	s_waitcnt vmcnt(37)
	v_fma_f64 v[73:74], v[47:48], v[87:88], -v[73:74]
	v_add_f64 v[59:60], v[59:60], v[67:68]
	s_waitcnt lgkmcnt(1)
	v_mul_f64 v[67:68], v[53:54], v[83:84]
	v_add_f64 v[3:4], v[3:4], v[65:66]
	v_mul_f64 v[65:66], v[51:52], v[83:84]
	v_fma_f64 v[55:56], v[49:50], v[87:88], v[55:56]
	ds_read_b128 v[47:50], v2 offset:496
	v_add_f64 v[59:60], v[59:60], v[63:64]
	s_waitcnt vmcnt(33) lgkmcnt(1)
	v_mul_f64 v[63:64], v[45:46], v[89:90]
	v_add_f64 v[3:4], v[3:4], v[61:62]
	s_waitcnt vmcnt(32)
	v_fma_f64 v[67:68], v[51:52], v[85:86], -v[67:68]
	v_mul_f64 v[61:62], v[43:44], v[89:90]
	v_fma_f64 v[65:66], v[53:54], v[85:86], v[65:66]
	ds_read_b128 v[51:54], v2 offset:512
	v_add_f64 v[59:60], v[59:60], v[73:74]
	s_waitcnt vmcnt(31) lgkmcnt(1)
	v_mul_f64 v[73:74], v[49:50], v[91:92]
	v_add_f64 v[3:4], v[3:4], v[55:56]
	s_waitcnt vmcnt(29)
	v_fma_f64 v[63:64], v[43:44], v[95:96], -v[63:64]
	;; [unrolled: 9-line block ×7, first 2 shown]
	v_mul_f64 v[61:62], v[43:44], v[115:116]
	v_fma_f64 v[53:54], v[53:54], v[109:110], v[65:66]
	v_add_f64 v[59:60], v[59:60], v[73:74]
	v_add_f64 v[3:4], v[3:4], v[55:56]
	s_waitcnt vmcnt(7) lgkmcnt(0)
	v_mul_f64 v[65:66], v[49:50], v[117:118]
	v_mul_f64 v[55:56], v[47:48], v[117:118]
	s_waitcnt vmcnt(5)
	v_fma_f64 v[43:44], v[43:44], v[57:58], -v[63:64]
	v_fma_f64 v[45:46], v[45:46], v[57:58], v[61:62]
	v_add_f64 v[51:52], v[59:60], v[51:52]
	v_add_f64 v[3:4], v[3:4], v[53:54]
	s_waitcnt vmcnt(4)
	v_fma_f64 v[47:48], v[47:48], v[119:120], -v[65:66]
	v_fma_f64 v[49:50], v[49:50], v[119:120], v[55:56]
	v_add_f64 v[43:44], v[51:52], v[43:44]
	v_add_f64 v[3:4], v[3:4], v[45:46]
	;; [unrolled: 1-line block ×4, first 2 shown]
	s_waitcnt vmcnt(2)
	v_add_f64 v[43:44], v[69:70], -v[43:44]
	s_waitcnt vmcnt(0)
	v_add_f64 v[3:4], v[71:72], -v[3:4]
	buffer_store_dword v44, off, s[0:3], 0 offset:36
	buffer_store_dword v43, off, s[0:3], 0 offset:32
	;; [unrolled: 1-line block ×4, first 2 shown]
	v_cmpx_ne_u32_e32 0, v0
	s_cbranch_execz .LBB18_127
; %bb.126:
	s_clause 0x3
	buffer_load_dword v43, off, s[0:3], 0 offset:16
	buffer_load_dword v44, off, s[0:3], 0 offset:20
	;; [unrolled: 1-line block ×4, first 2 shown]
	buffer_store_dword v2, off, s[0:3], 0 offset:16
	buffer_store_dword v2, off, s[0:3], 0 offset:20
	;; [unrolled: 1-line block ×4, first 2 shown]
	s_waitcnt vmcnt(0)
	ds_write_b128 v1, v[43:46]
.LBB18_127:
	s_or_b32 exec_lo, exec_lo, s4
	s_waitcnt lgkmcnt(0)
	s_waitcnt_vscnt null, 0x0
	s_barrier
	buffer_gl0_inv
	s_clause 0x37
	buffer_load_dword v0, off, s[0:3], 0 offset:40
	buffer_load_dword v1, off, s[0:3], 0 offset:44
	;; [unrolled: 1-line block ×56, first 2 shown]
	ds_read_b128 v[43:46], v2 offset:320
	s_clause 0x2
	buffer_load_dword v106, off, s[0:3], 0 offset:268
	buffer_load_dword v110, off, s[0:3], 0 offset:244
	;; [unrolled: 1-line block ×3, first 2 shown]
	ds_read_b128 v[47:50], v2 offset:336
	s_clause 0x4
	buffer_load_dword v114, off, s[0:3], 0 offset:284
	buffer_load_dword v115, off, s[0:3], 0 offset:296
	;; [unrolled: 1-line block ×5, first 2 shown]
	ds_read_b128 v[51:54], v2 offset:352
	s_and_b32 vcc_lo, exec_lo, s30
	s_waitcnt vmcnt(62) lgkmcnt(2)
	v_mul_f64 v[111:112], v[45:46], v[0:1]
	v_mul_f64 v[0:1], v[43:44], v[0:1]
	s_waitcnt vmcnt(60) lgkmcnt(1)
	v_mul_f64 v[118:119], v[49:50], v[3:4]
	v_mul_f64 v[3:4], v[47:48], v[3:4]
	;; [unrolled: 3-line block ×3, first 2 shown]
	v_fma_f64 v[111:112], v[43:44], v[55:56], -v[111:112]
	v_fma_f64 v[0:1], v[45:46], v[55:56], v[0:1]
	s_clause 0x2
	buffer_load_dword v116, off, s[0:3], 0 offset:300
	buffer_load_dword v56, off, s[0:3], 0 offset:276
	;; [unrolled: 1-line block ×3, first 2 shown]
	s_waitcnt vmcnt(57)
	v_fma_f64 v[122:123], v[47:48], v[59:60], -v[118:119]
	ds_read_b128 v[43:46], v2 offset:368
	v_fma_f64 v[3:4], v[49:50], v[59:60], v[3:4]
	s_clause 0x2
	buffer_load_dword v60, off, s[0:3], 0 offset:316
	buffer_load_dword v59, off, s[0:3], 0 offset:312
	buffer_load_dword v118, off, s[0:3], 0 offset:292
	s_waitcnt vmcnt(54)
	v_fma_f64 v[57:58], v[51:52], v[67:68], -v[57:58]
	ds_read_b128 v[47:50], v2 offset:384
	v_fma_f64 v[67:68], v[53:54], v[67:68], v[120:121]
	s_clause 0x1
	buffer_load_dword v120, off, s[0:3], 0 offset:308
	buffer_load_dword v119, off, s[0:3], 0 offset:304
	ds_read_b128 v[51:54], v2 offset:400
	v_add_f64 v[111:112], v[111:112], 0
	v_add_f64 v[0:1], v[0:1], 0
	s_waitcnt lgkmcnt(2)
	v_mul_f64 v[124:125], v[43:44], v[61:62]
	v_mul_f64 v[61:62], v[45:46], v[61:62]
	v_add_f64 v[111:112], v[111:112], v[122:123]
	v_add_f64 v[0:1], v[0:1], v[3:4]
	s_waitcnt vmcnt(55) lgkmcnt(1)
	v_mul_f64 v[3:4], v[47:48], v[63:64]
	v_mul_f64 v[63:64], v[49:50], v[63:64]
	s_waitcnt vmcnt(53)
	v_fma_f64 v[61:62], v[43:44], v[69:70], -v[61:62]
	v_fma_f64 v[69:70], v[45:46], v[69:70], v[124:125]
	ds_read_b128 v[43:46], v2 offset:416
	v_add_f64 v[57:58], v[111:112], v[57:58]
	v_add_f64 v[0:1], v[0:1], v[67:68]
	s_waitcnt vmcnt(49) lgkmcnt(1)
	v_mul_f64 v[67:68], v[51:52], v[71:72]
	v_mul_f64 v[71:72], v[53:54], v[71:72]
	s_waitcnt vmcnt(48)
	v_fma_f64 v[63:64], v[47:48], v[65:66], -v[63:64]
	v_fma_f64 v[3:4], v[49:50], v[65:66], v[3:4]
	v_add_f64 v[57:58], v[57:58], v[61:62]
	v_add_f64 v[0:1], v[0:1], v[69:70]
	s_clause 0x3
	buffer_load_dword v61, off, s[0:3], 0 offset:16
	buffer_load_dword v62, off, s[0:3], 0 offset:20
	;; [unrolled: 1-line block ×4, first 2 shown]
	s_waitcnt vmcnt(51) lgkmcnt(0)
	v_mul_f64 v[69:70], v[43:44], v[73:74]
	v_mul_f64 v[73:74], v[45:46], v[73:74]
	s_waitcnt vmcnt(49)
	v_fma_f64 v[71:72], v[51:52], v[77:78], -v[71:72]
	ds_read_b128 v[47:50], v2 offset:432
	v_add_f64 v[57:58], v[57:58], v[63:64]
	v_fma_f64 v[63:64], v[53:54], v[77:78], v[67:68]
	v_add_f64 v[0:1], v[0:1], v[3:4]
	ds_read_b128 v[51:54], v2 offset:448
	s_waitcnt vmcnt(45) lgkmcnt(1)
	v_mul_f64 v[67:68], v[49:50], v[79:80]
	s_waitcnt vmcnt(44)
	v_fma_f64 v[73:74], v[43:44], v[75:76], -v[73:74]
	v_mul_f64 v[3:4], v[47:48], v[79:80]
	v_fma_f64 v[69:70], v[45:46], v[75:76], v[69:70]
	ds_read_b128 v[43:46], v2 offset:464
	v_add_f64 v[57:58], v[57:58], v[71:72]
	s_waitcnt vmcnt(43) lgkmcnt(1)
	v_mul_f64 v[71:72], v[53:54], v[81:82]
	v_add_f64 v[0:1], v[0:1], v[63:64]
	v_mul_f64 v[63:64], v[51:52], v[81:82]
	s_waitcnt vmcnt(41)
	v_fma_f64 v[67:68], v[47:48], v[85:86], -v[67:68]
	v_fma_f64 v[3:4], v[49:50], v[85:86], v[3:4]
	ds_read_b128 v[47:50], v2 offset:480
	v_add_f64 v[57:58], v[57:58], v[73:74]
	s_waitcnt vmcnt(37) lgkmcnt(1)
	v_mul_f64 v[73:74], v[45:46], v[87:88]
	v_add_f64 v[0:1], v[0:1], v[69:70]
	s_waitcnt vmcnt(36)
	v_fma_f64 v[71:72], v[51:52], v[83:84], -v[71:72]
	v_mul_f64 v[69:70], v[43:44], v[87:88]
	v_fma_f64 v[63:64], v[53:54], v[83:84], v[63:64]
	ds_read_b128 v[51:54], v2 offset:496
	v_add_f64 v[57:58], v[57:58], v[67:68]
	s_waitcnt vmcnt(35) lgkmcnt(1)
	v_mul_f64 v[67:68], v[49:50], v[89:90]
	v_add_f64 v[0:1], v[0:1], v[3:4]
	s_waitcnt vmcnt(33)
	v_fma_f64 v[73:74], v[43:44], v[93:94], -v[73:74]
	v_mul_f64 v[3:4], v[47:48], v[89:90]
	;; [unrolled: 9-line block ×7, first 2 shown]
	v_fma_f64 v[53:54], v[53:54], v[107:108], v[63:64]
	v_add_f64 v[57:58], v[57:58], v[67:68]
	v_add_f64 v[63:64], v[0:1], v[3:4]
	ds_read_b128 v[0:3], v2 offset:592
	s_waitcnt vmcnt(11) lgkmcnt(1)
	v_mul_f64 v[71:72], v[49:50], v[115:116]
	v_mul_f64 v[67:68], v[47:48], v[115:116]
	s_waitcnt vmcnt(9)
	v_fma_f64 v[43:44], v[43:44], v[55:56], -v[73:74]
	v_fma_f64 v[45:46], v[45:46], v[55:56], v[69:70]
	v_add_f64 v[51:52], v[57:58], v[51:52]
	s_waitcnt vmcnt(7) lgkmcnt(0)
	v_mul_f64 v[57:58], v[2:3], v[59:60]
	v_add_f64 v[53:54], v[63:64], v[53:54]
	v_mul_f64 v[55:56], v[0:1], v[59:60]
	s_waitcnt vmcnt(6)
	v_fma_f64 v[47:48], v[47:48], v[117:118], -v[71:72]
	v_fma_f64 v[49:50], v[49:50], v[117:118], v[67:68]
	v_add_f64 v[43:44], v[51:52], v[43:44]
	s_waitcnt vmcnt(4)
	v_fma_f64 v[0:1], v[0:1], v[119:120], -v[57:58]
	v_add_f64 v[45:46], v[53:54], v[45:46]
	v_fma_f64 v[2:3], v[2:3], v[119:120], v[55:56]
	v_add_f64 v[43:44], v[43:44], v[47:48]
	v_add_f64 v[45:46], v[45:46], v[49:50]
	;; [unrolled: 1-line block ×4, first 2 shown]
	s_waitcnt vmcnt(2)
	v_add_f64 v[0:1], v[61:62], -v[0:1]
	s_waitcnt vmcnt(0)
	v_add_f64 v[2:3], v[65:66], -v[2:3]
	buffer_store_dword v1, off, s[0:3], 0 offset:20
	buffer_store_dword v0, off, s[0:3], 0 offset:16
	buffer_store_dword v3, off, s[0:3], 0 offset:28
	buffer_store_dword v2, off, s[0:3], 0 offset:24
	s_cbranch_vccz .LBB18_164
; %bb.128:
	v_mov_b32_e32 v0, 0
	global_load_dword v1, v0, s[20:21] offset:68
	s_waitcnt vmcnt(0)
	v_add_nc_u32_e32 v1, -1, v1
	v_cmp_ne_u32_e32 vcc_lo, 17, v1
	s_cbranch_vccz .LBB18_130
; %bb.129:
	v_lshlrev_b32_e32 v1, 4, v1
	v_mov_b32_e32 v2, s9
	v_add_nc_u32_e32 v1, 16, v1
	s_clause 0x7
	buffer_load_dword v3, v1, s[0:3], 0 offen
	buffer_load_dword v4, v1, s[0:3], 0 offen offset:4
	buffer_load_dword v43, v1, s[0:3], 0 offen offset:8
	;; [unrolled: 1-line block ×6, first 2 shown]
	buffer_load_dword v48, v2, s[0:3], 0 offen
	s_waitcnt vmcnt(7)
	buffer_store_dword v3, v2, s[0:3], 0 offen
	s_waitcnt vmcnt(6)
	buffer_store_dword v4, v2, s[0:3], 0 offen offset:4
	s_waitcnt vmcnt(5)
	buffer_store_dword v43, v2, s[0:3], 0 offen offset:8
	;; [unrolled: 2-line block ×6, first 2 shown]
	s_waitcnt vmcnt(0)
	buffer_store_dword v48, v1, s[0:3], 0 offen
.LBB18_130:
	global_load_dword v0, v0, s[20:21] offset:64
	s_waitcnt vmcnt(0)
	v_add_nc_u32_e32 v0, -1, v0
	v_cmp_eq_u32_e32 vcc_lo, 16, v0
	s_cbranch_vccnz .LBB18_132
; %bb.131:
	v_lshlrev_b32_e32 v0, 4, v0
	v_mov_b32_e32 v1, s12
	v_add_nc_u32_e32 v0, 16, v0
	s_clause 0x7
	buffer_load_dword v2, v0, s[0:3], 0 offen
	buffer_load_dword v3, v0, s[0:3], 0 offen offset:4
	buffer_load_dword v4, v0, s[0:3], 0 offen offset:8
	;; [unrolled: 1-line block ×6, first 2 shown]
	buffer_load_dword v47, v1, s[0:3], 0 offen
	s_waitcnt vmcnt(7)
	buffer_store_dword v2, v1, s[0:3], 0 offen
	s_waitcnt vmcnt(6)
	buffer_store_dword v3, v1, s[0:3], 0 offen offset:4
	s_waitcnt vmcnt(5)
	buffer_store_dword v4, v1, s[0:3], 0 offen offset:8
	;; [unrolled: 2-line block ×6, first 2 shown]
	s_waitcnt vmcnt(0)
	buffer_store_dword v47, v0, s[0:3], 0 offen
.LBB18_132:
	v_mov_b32_e32 v0, 0
	global_load_dword v1, v0, s[20:21] offset:60
	s_waitcnt vmcnt(0)
	v_add_nc_u32_e32 v1, -1, v1
	v_cmp_eq_u32_e32 vcc_lo, 15, v1
	s_cbranch_vccnz .LBB18_134
; %bb.133:
	v_lshlrev_b32_e32 v1, 4, v1
	v_mov_b32_e32 v2, s13
	v_add_nc_u32_e32 v1, 16, v1
	s_clause 0x7
	buffer_load_dword v3, v1, s[0:3], 0 offen
	buffer_load_dword v4, v1, s[0:3], 0 offen offset:4
	buffer_load_dword v43, v1, s[0:3], 0 offen offset:8
	;; [unrolled: 1-line block ×6, first 2 shown]
	buffer_load_dword v48, v2, s[0:3], 0 offen
	s_waitcnt vmcnt(7)
	buffer_store_dword v3, v2, s[0:3], 0 offen
	s_waitcnt vmcnt(6)
	buffer_store_dword v4, v2, s[0:3], 0 offen offset:4
	s_waitcnt vmcnt(5)
	buffer_store_dword v43, v2, s[0:3], 0 offen offset:8
	;; [unrolled: 2-line block ×6, first 2 shown]
	s_waitcnt vmcnt(0)
	buffer_store_dword v48, v1, s[0:3], 0 offen
.LBB18_134:
	global_load_dword v0, v0, s[20:21] offset:56
	s_waitcnt vmcnt(0)
	v_add_nc_u32_e32 v0, -1, v0
	v_cmp_eq_u32_e32 vcc_lo, 14, v0
	s_cbranch_vccnz .LBB18_136
; %bb.135:
	v_lshlrev_b32_e32 v0, 4, v0
	v_mov_b32_e32 v1, s14
	v_add_nc_u32_e32 v0, 16, v0
	s_clause 0x7
	buffer_load_dword v2, v0, s[0:3], 0 offen
	buffer_load_dword v3, v0, s[0:3], 0 offen offset:4
	buffer_load_dword v4, v0, s[0:3], 0 offen offset:8
	;; [unrolled: 1-line block ×6, first 2 shown]
	buffer_load_dword v47, v1, s[0:3], 0 offen
	s_waitcnt vmcnt(7)
	buffer_store_dword v2, v1, s[0:3], 0 offen
	s_waitcnt vmcnt(6)
	buffer_store_dword v3, v1, s[0:3], 0 offen offset:4
	s_waitcnt vmcnt(5)
	buffer_store_dword v4, v1, s[0:3], 0 offen offset:8
	;; [unrolled: 2-line block ×6, first 2 shown]
	s_waitcnt vmcnt(0)
	buffer_store_dword v47, v0, s[0:3], 0 offen
.LBB18_136:
	v_mov_b32_e32 v0, 0
	global_load_dword v1, v0, s[20:21] offset:52
	s_waitcnt vmcnt(0)
	v_add_nc_u32_e32 v1, -1, v1
	v_cmp_eq_u32_e32 vcc_lo, 13, v1
	s_cbranch_vccnz .LBB18_138
; %bb.137:
	v_lshlrev_b32_e32 v1, 4, v1
	v_mov_b32_e32 v2, s15
	v_add_nc_u32_e32 v1, 16, v1
	s_clause 0x7
	buffer_load_dword v3, v1, s[0:3], 0 offen
	buffer_load_dword v4, v1, s[0:3], 0 offen offset:4
	buffer_load_dword v43, v1, s[0:3], 0 offen offset:8
	;; [unrolled: 1-line block ×6, first 2 shown]
	buffer_load_dword v48, v2, s[0:3], 0 offen
	s_waitcnt vmcnt(7)
	buffer_store_dword v3, v2, s[0:3], 0 offen
	s_waitcnt vmcnt(6)
	buffer_store_dword v4, v2, s[0:3], 0 offen offset:4
	s_waitcnt vmcnt(5)
	buffer_store_dword v43, v2, s[0:3], 0 offen offset:8
	;; [unrolled: 2-line block ×6, first 2 shown]
	s_waitcnt vmcnt(0)
	buffer_store_dword v48, v1, s[0:3], 0 offen
.LBB18_138:
	global_load_dword v0, v0, s[20:21] offset:48
	s_waitcnt vmcnt(0)
	v_add_nc_u32_e32 v0, -1, v0
	v_cmp_eq_u32_e32 vcc_lo, 12, v0
	s_cbranch_vccnz .LBB18_140
; %bb.139:
	v_lshlrev_b32_e32 v0, 4, v0
	v_mov_b32_e32 v1, s16
	v_add_nc_u32_e32 v0, 16, v0
	s_clause 0x7
	buffer_load_dword v2, v0, s[0:3], 0 offen
	buffer_load_dword v3, v0, s[0:3], 0 offen offset:4
	buffer_load_dword v4, v0, s[0:3], 0 offen offset:8
	;; [unrolled: 1-line block ×6, first 2 shown]
	buffer_load_dword v47, v1, s[0:3], 0 offen
	s_waitcnt vmcnt(7)
	buffer_store_dword v2, v1, s[0:3], 0 offen
	s_waitcnt vmcnt(6)
	buffer_store_dword v3, v1, s[0:3], 0 offen offset:4
	s_waitcnt vmcnt(5)
	buffer_store_dword v4, v1, s[0:3], 0 offen offset:8
	;; [unrolled: 2-line block ×6, first 2 shown]
	s_waitcnt vmcnt(0)
	buffer_store_dword v47, v0, s[0:3], 0 offen
.LBB18_140:
	v_mov_b32_e32 v0, 0
	global_load_dword v1, v0, s[20:21] offset:44
	s_waitcnt vmcnt(0)
	v_add_nc_u32_e32 v1, -1, v1
	v_cmp_eq_u32_e32 vcc_lo, 11, v1
	s_cbranch_vccnz .LBB18_142
; %bb.141:
	v_lshlrev_b32_e32 v1, 4, v1
	v_mov_b32_e32 v2, s17
	v_add_nc_u32_e32 v1, 16, v1
	s_clause 0x7
	buffer_load_dword v3, v1, s[0:3], 0 offen
	buffer_load_dword v4, v1, s[0:3], 0 offen offset:4
	buffer_load_dword v43, v1, s[0:3], 0 offen offset:8
	;; [unrolled: 1-line block ×6, first 2 shown]
	buffer_load_dword v48, v2, s[0:3], 0 offen
	s_waitcnt vmcnt(7)
	buffer_store_dword v3, v2, s[0:3], 0 offen
	s_waitcnt vmcnt(6)
	buffer_store_dword v4, v2, s[0:3], 0 offen offset:4
	s_waitcnt vmcnt(5)
	buffer_store_dword v43, v2, s[0:3], 0 offen offset:8
	;; [unrolled: 2-line block ×6, first 2 shown]
	s_waitcnt vmcnt(0)
	buffer_store_dword v48, v1, s[0:3], 0 offen
.LBB18_142:
	global_load_dword v0, v0, s[20:21] offset:40
	s_waitcnt vmcnt(0)
	v_add_nc_u32_e32 v0, -1, v0
	v_cmp_eq_u32_e32 vcc_lo, 10, v0
	s_cbranch_vccnz .LBB18_144
; %bb.143:
	v_lshlrev_b32_e32 v0, 4, v0
	v_mov_b32_e32 v1, s18
	v_add_nc_u32_e32 v0, 16, v0
	s_clause 0x7
	buffer_load_dword v2, v0, s[0:3], 0 offen
	buffer_load_dword v3, v0, s[0:3], 0 offen offset:4
	buffer_load_dword v4, v0, s[0:3], 0 offen offset:8
	;; [unrolled: 1-line block ×6, first 2 shown]
	buffer_load_dword v47, v1, s[0:3], 0 offen
	s_waitcnt vmcnt(7)
	buffer_store_dword v2, v1, s[0:3], 0 offen
	s_waitcnt vmcnt(6)
	buffer_store_dword v3, v1, s[0:3], 0 offen offset:4
	s_waitcnt vmcnt(5)
	buffer_store_dword v4, v1, s[0:3], 0 offen offset:8
	;; [unrolled: 2-line block ×6, first 2 shown]
	s_waitcnt vmcnt(0)
	buffer_store_dword v47, v0, s[0:3], 0 offen
.LBB18_144:
	v_mov_b32_e32 v0, 0
	global_load_dword v1, v0, s[20:21] offset:36
	s_waitcnt vmcnt(0)
	v_add_nc_u32_e32 v1, -1, v1
	v_cmp_eq_u32_e32 vcc_lo, 9, v1
	s_cbranch_vccnz .LBB18_146
; %bb.145:
	v_lshlrev_b32_e32 v1, 4, v1
	v_mov_b32_e32 v2, s19
	v_add_nc_u32_e32 v1, 16, v1
	s_clause 0x7
	buffer_load_dword v3, v1, s[0:3], 0 offen
	buffer_load_dword v4, v1, s[0:3], 0 offen offset:4
	buffer_load_dword v43, v1, s[0:3], 0 offen offset:8
	buffer_load_dword v44, v1, s[0:3], 0 offen offset:12
	buffer_load_dword v45, v2, s[0:3], 0 offen offset:12
	buffer_load_dword v46, v2, s[0:3], 0 offen offset:8
	buffer_load_dword v47, v2, s[0:3], 0 offen offset:4
	buffer_load_dword v48, v2, s[0:3], 0 offen
	s_waitcnt vmcnt(7)
	buffer_store_dword v3, v2, s[0:3], 0 offen
	s_waitcnt vmcnt(6)
	buffer_store_dword v4, v2, s[0:3], 0 offen offset:4
	s_waitcnt vmcnt(5)
	buffer_store_dword v43, v2, s[0:3], 0 offen offset:8
	;; [unrolled: 2-line block ×6, first 2 shown]
	s_waitcnt vmcnt(0)
	buffer_store_dword v48, v1, s[0:3], 0 offen
.LBB18_146:
	global_load_dword v0, v0, s[20:21] offset:32
	s_waitcnt vmcnt(0)
	v_add_nc_u32_e32 v0, -1, v0
	v_cmp_eq_u32_e32 vcc_lo, 8, v0
	s_cbranch_vccnz .LBB18_148
; %bb.147:
	v_lshlrev_b32_e32 v0, 4, v0
	v_mov_b32_e32 v1, s22
	v_add_nc_u32_e32 v0, 16, v0
	s_clause 0x7
	buffer_load_dword v2, v0, s[0:3], 0 offen
	buffer_load_dword v3, v0, s[0:3], 0 offen offset:4
	buffer_load_dword v4, v0, s[0:3], 0 offen offset:8
	;; [unrolled: 1-line block ×6, first 2 shown]
	buffer_load_dword v47, v1, s[0:3], 0 offen
	s_waitcnt vmcnt(7)
	buffer_store_dword v2, v1, s[0:3], 0 offen
	s_waitcnt vmcnt(6)
	buffer_store_dword v3, v1, s[0:3], 0 offen offset:4
	s_waitcnt vmcnt(5)
	buffer_store_dword v4, v1, s[0:3], 0 offen offset:8
	;; [unrolled: 2-line block ×6, first 2 shown]
	s_waitcnt vmcnt(0)
	buffer_store_dword v47, v0, s[0:3], 0 offen
.LBB18_148:
	v_mov_b32_e32 v0, 0
	global_load_dword v1, v0, s[20:21] offset:28
	s_waitcnt vmcnt(0)
	v_add_nc_u32_e32 v1, -1, v1
	v_cmp_eq_u32_e32 vcc_lo, 7, v1
	s_cbranch_vccnz .LBB18_150
; %bb.149:
	v_lshlrev_b32_e32 v1, 4, v1
	v_mov_b32_e32 v2, s23
	v_add_nc_u32_e32 v1, 16, v1
	s_clause 0x7
	buffer_load_dword v3, v1, s[0:3], 0 offen
	buffer_load_dword v4, v1, s[0:3], 0 offen offset:4
	buffer_load_dword v43, v1, s[0:3], 0 offen offset:8
	;; [unrolled: 1-line block ×6, first 2 shown]
	buffer_load_dword v48, v2, s[0:3], 0 offen
	s_waitcnt vmcnt(7)
	buffer_store_dword v3, v2, s[0:3], 0 offen
	s_waitcnt vmcnt(6)
	buffer_store_dword v4, v2, s[0:3], 0 offen offset:4
	s_waitcnt vmcnt(5)
	buffer_store_dword v43, v2, s[0:3], 0 offen offset:8
	s_waitcnt vmcnt(4)
	buffer_store_dword v44, v2, s[0:3], 0 offen offset:12
	s_waitcnt vmcnt(3)
	buffer_store_dword v45, v1, s[0:3], 0 offen offset:12
	s_waitcnt vmcnt(2)
	buffer_store_dword v46, v1, s[0:3], 0 offen offset:8
	s_waitcnt vmcnt(1)
	buffer_store_dword v47, v1, s[0:3], 0 offen offset:4
	s_waitcnt vmcnt(0)
	buffer_store_dword v48, v1, s[0:3], 0 offen
.LBB18_150:
	global_load_dword v0, v0, s[20:21] offset:24
	s_waitcnt vmcnt(0)
	v_add_nc_u32_e32 v0, -1, v0
	v_cmp_eq_u32_e32 vcc_lo, 6, v0
	s_cbranch_vccnz .LBB18_152
; %bb.151:
	v_lshlrev_b32_e32 v0, 4, v0
	v_mov_b32_e32 v1, s24
	v_add_nc_u32_e32 v0, 16, v0
	s_clause 0x7
	buffer_load_dword v2, v0, s[0:3], 0 offen
	buffer_load_dword v3, v0, s[0:3], 0 offen offset:4
	buffer_load_dword v4, v0, s[0:3], 0 offen offset:8
	;; [unrolled: 1-line block ×6, first 2 shown]
	buffer_load_dword v47, v1, s[0:3], 0 offen
	s_waitcnt vmcnt(7)
	buffer_store_dword v2, v1, s[0:3], 0 offen
	s_waitcnt vmcnt(6)
	buffer_store_dword v3, v1, s[0:3], 0 offen offset:4
	s_waitcnt vmcnt(5)
	buffer_store_dword v4, v1, s[0:3], 0 offen offset:8
	;; [unrolled: 2-line block ×6, first 2 shown]
	s_waitcnt vmcnt(0)
	buffer_store_dword v47, v0, s[0:3], 0 offen
.LBB18_152:
	v_mov_b32_e32 v0, 0
	global_load_dword v1, v0, s[20:21] offset:20
	s_waitcnt vmcnt(0)
	v_add_nc_u32_e32 v1, -1, v1
	v_cmp_eq_u32_e32 vcc_lo, 5, v1
	s_cbranch_vccnz .LBB18_154
; %bb.153:
	v_lshlrev_b32_e32 v1, 4, v1
	v_mov_b32_e32 v2, s25
	v_add_nc_u32_e32 v1, 16, v1
	s_clause 0x7
	buffer_load_dword v3, v1, s[0:3], 0 offen
	buffer_load_dword v4, v1, s[0:3], 0 offen offset:4
	buffer_load_dword v43, v1, s[0:3], 0 offen offset:8
	;; [unrolled: 1-line block ×6, first 2 shown]
	buffer_load_dword v48, v2, s[0:3], 0 offen
	s_waitcnt vmcnt(7)
	buffer_store_dword v3, v2, s[0:3], 0 offen
	s_waitcnt vmcnt(6)
	buffer_store_dword v4, v2, s[0:3], 0 offen offset:4
	s_waitcnt vmcnt(5)
	buffer_store_dword v43, v2, s[0:3], 0 offen offset:8
	;; [unrolled: 2-line block ×6, first 2 shown]
	s_waitcnt vmcnt(0)
	buffer_store_dword v48, v1, s[0:3], 0 offen
.LBB18_154:
	global_load_dword v0, v0, s[20:21] offset:16
	s_waitcnt vmcnt(0)
	v_add_nc_u32_e32 v0, -1, v0
	v_cmp_eq_u32_e32 vcc_lo, 4, v0
	s_cbranch_vccnz .LBB18_156
; %bb.155:
	v_lshlrev_b32_e32 v0, 4, v0
	v_mov_b32_e32 v1, s26
	v_add_nc_u32_e32 v0, 16, v0
	s_clause 0x7
	buffer_load_dword v2, v0, s[0:3], 0 offen
	buffer_load_dword v3, v0, s[0:3], 0 offen offset:4
	buffer_load_dword v4, v0, s[0:3], 0 offen offset:8
	;; [unrolled: 1-line block ×6, first 2 shown]
	buffer_load_dword v47, v1, s[0:3], 0 offen
	s_waitcnt vmcnt(7)
	buffer_store_dword v2, v1, s[0:3], 0 offen
	s_waitcnt vmcnt(6)
	buffer_store_dword v3, v1, s[0:3], 0 offen offset:4
	s_waitcnt vmcnt(5)
	buffer_store_dword v4, v1, s[0:3], 0 offen offset:8
	;; [unrolled: 2-line block ×6, first 2 shown]
	s_waitcnt vmcnt(0)
	buffer_store_dword v47, v0, s[0:3], 0 offen
.LBB18_156:
	v_mov_b32_e32 v0, 0
	global_load_dword v1, v0, s[20:21] offset:12
	s_waitcnt vmcnt(0)
	v_add_nc_u32_e32 v1, -1, v1
	v_cmp_eq_u32_e32 vcc_lo, 3, v1
	s_cbranch_vccnz .LBB18_158
; %bb.157:
	v_lshlrev_b32_e32 v1, 4, v1
	v_mov_b32_e32 v2, s27
	v_add_nc_u32_e32 v1, 16, v1
	s_clause 0x7
	buffer_load_dword v3, v1, s[0:3], 0 offen
	buffer_load_dword v4, v1, s[0:3], 0 offen offset:4
	buffer_load_dword v43, v1, s[0:3], 0 offen offset:8
	;; [unrolled: 1-line block ×6, first 2 shown]
	buffer_load_dword v48, v2, s[0:3], 0 offen
	s_waitcnt vmcnt(7)
	buffer_store_dword v3, v2, s[0:3], 0 offen
	s_waitcnt vmcnt(6)
	buffer_store_dword v4, v2, s[0:3], 0 offen offset:4
	s_waitcnt vmcnt(5)
	buffer_store_dword v43, v2, s[0:3], 0 offen offset:8
	;; [unrolled: 2-line block ×6, first 2 shown]
	s_waitcnt vmcnt(0)
	buffer_store_dword v48, v1, s[0:3], 0 offen
.LBB18_158:
	global_load_dword v0, v0, s[20:21] offset:8
	s_waitcnt vmcnt(0)
	v_add_nc_u32_e32 v0, -1, v0
	v_cmp_eq_u32_e32 vcc_lo, 2, v0
	s_cbranch_vccnz .LBB18_160
; %bb.159:
	v_lshlrev_b32_e32 v0, 4, v0
	v_mov_b32_e32 v1, s28
	v_add_nc_u32_e32 v0, 16, v0
	s_clause 0x7
	buffer_load_dword v2, v0, s[0:3], 0 offen
	buffer_load_dword v3, v0, s[0:3], 0 offen offset:4
	buffer_load_dword v4, v0, s[0:3], 0 offen offset:8
	buffer_load_dword v43, v0, s[0:3], 0 offen offset:12
	buffer_load_dword v44, v1, s[0:3], 0 offen offset:12
	buffer_load_dword v45, v1, s[0:3], 0 offen offset:8
	buffer_load_dword v46, v1, s[0:3], 0 offen offset:4
	buffer_load_dword v47, v1, s[0:3], 0 offen
	s_waitcnt vmcnt(7)
	buffer_store_dword v2, v1, s[0:3], 0 offen
	s_waitcnt vmcnt(6)
	buffer_store_dword v3, v1, s[0:3], 0 offen offset:4
	s_waitcnt vmcnt(5)
	buffer_store_dword v4, v1, s[0:3], 0 offen offset:8
	;; [unrolled: 2-line block ×6, first 2 shown]
	s_waitcnt vmcnt(0)
	buffer_store_dword v47, v0, s[0:3], 0 offen
.LBB18_160:
	v_mov_b32_e32 v0, 0
	global_load_dword v1, v0, s[20:21] offset:4
	s_waitcnt vmcnt(0)
	v_add_nc_u32_e32 v1, -1, v1
	v_cmp_eq_u32_e32 vcc_lo, 1, v1
	s_cbranch_vccnz .LBB18_162
; %bb.161:
	v_lshlrev_b32_e32 v1, 4, v1
	v_mov_b32_e32 v2, s29
	v_add_nc_u32_e32 v1, 16, v1
	s_clause 0x7
	buffer_load_dword v3, v1, s[0:3], 0 offen
	buffer_load_dword v4, v1, s[0:3], 0 offen offset:4
	buffer_load_dword v43, v1, s[0:3], 0 offen offset:8
	;; [unrolled: 1-line block ×6, first 2 shown]
	buffer_load_dword v48, v2, s[0:3], 0 offen
	s_waitcnt vmcnt(7)
	buffer_store_dword v3, v2, s[0:3], 0 offen
	s_waitcnt vmcnt(6)
	buffer_store_dword v4, v2, s[0:3], 0 offen offset:4
	s_waitcnt vmcnt(5)
	buffer_store_dword v43, v2, s[0:3], 0 offen offset:8
	s_waitcnt vmcnt(4)
	buffer_store_dword v44, v2, s[0:3], 0 offen offset:12
	s_waitcnt vmcnt(3)
	buffer_store_dword v45, v1, s[0:3], 0 offen offset:12
	s_waitcnt vmcnt(2)
	buffer_store_dword v46, v1, s[0:3], 0 offen offset:8
	s_waitcnt vmcnt(1)
	buffer_store_dword v47, v1, s[0:3], 0 offen offset:4
	s_waitcnt vmcnt(0)
	buffer_store_dword v48, v1, s[0:3], 0 offen
.LBB18_162:
	global_load_dword v0, v0, s[20:21]
	s_waitcnt vmcnt(0)
	v_add_nc_u32_e32 v0, -1, v0
	v_cmp_eq_u32_e32 vcc_lo, 0, v0
	s_cbranch_vccnz .LBB18_164
; %bb.163:
	v_lshlrev_b32_e32 v0, 4, v0
	v_add_nc_u32_e32 v0, 16, v0
	s_clause 0x7
	buffer_load_dword v1, v0, s[0:3], 0 offen
	buffer_load_dword v2, v0, s[0:3], 0 offen offset:4
	buffer_load_dword v3, v0, s[0:3], 0 offen offset:8
	;; [unrolled: 1-line block ×3, first 2 shown]
	buffer_load_dword v43, off, s[0:3], 0 offset:28
	buffer_load_dword v44, off, s[0:3], 0 offset:24
	;; [unrolled: 1-line block ×4, first 2 shown]
	s_waitcnt vmcnt(7)
	buffer_store_dword v1, off, s[0:3], 0 offset:16
	s_waitcnt vmcnt(6)
	buffer_store_dword v2, off, s[0:3], 0 offset:20
	;; [unrolled: 2-line block ×4, first 2 shown]
	s_waitcnt vmcnt(3)
	buffer_store_dword v43, v0, s[0:3], 0 offen offset:12
	s_waitcnt vmcnt(2)
	buffer_store_dword v44, v0, s[0:3], 0 offen offset:8
	;; [unrolled: 2-line block ×3, first 2 shown]
	s_waitcnt vmcnt(0)
	buffer_store_dword v46, v0, s[0:3], 0 offen
.LBB18_164:
	v_mov_b32_e32 v50, s28
	v_mov_b32_e32 v58, s26
	;; [unrolled: 1-line block ×5, first 2 shown]
	s_clause 0x7
	buffer_load_dword v0, off, s[0:3], 0 offset:16
	buffer_load_dword v1, off, s[0:3], 0 offset:20
	;; [unrolled: 1-line block ×4, first 2 shown]
	buffer_load_dword v43, v4, s[0:3], 0 offen
	buffer_load_dword v44, v4, s[0:3], 0 offen offset:4
	buffer_load_dword v45, v4, s[0:3], 0 offen offset:8
	buffer_load_dword v46, v4, s[0:3], 0 offen offset:12
	v_mov_b32_e32 v4, s27
	v_mov_b32_e32 v82, s18
	s_clause 0x7
	buffer_load_dword v47, v50, s[0:3], 0 offen
	buffer_load_dword v48, v50, s[0:3], 0 offen offset:4
	buffer_load_dword v49, v50, s[0:3], 0 offen offset:8
	buffer_load_dword v50, v50, s[0:3], 0 offen offset:12
	buffer_load_dword v51, v4, s[0:3], 0 offen
	buffer_load_dword v52, v4, s[0:3], 0 offen offset:4
	buffer_load_dword v53, v4, s[0:3], 0 offen offset:8
	buffer_load_dword v54, v4, s[0:3], 0 offen offset:12
	v_mov_b32_e32 v4, s25
	v_mov_b32_e32 v90, s16
	s_clause 0x7
	buffer_load_dword v55, v58, s[0:3], 0 offen
	buffer_load_dword v56, v58, s[0:3], 0 offen offset:4
	buffer_load_dword v57, v58, s[0:3], 0 offen offset:8
	buffer_load_dword v58, v58, s[0:3], 0 offen offset:12
	;; [unrolled: 11-line block ×4, first 2 shown]
	buffer_load_dword v75, v4, s[0:3], 0 offen
	buffer_load_dword v76, v4, s[0:3], 0 offen offset:4
	buffer_load_dword v77, v4, s[0:3], 0 offen offset:8
	buffer_load_dword v78, v4, s[0:3], 0 offen offset:12
	v_mov_b32_e32 v4, s17
	s_clause 0x7
	buffer_load_dword v79, v82, s[0:3], 0 offen
	buffer_load_dword v80, v82, s[0:3], 0 offen offset:4
	buffer_load_dword v81, v82, s[0:3], 0 offen offset:8
	buffer_load_dword v82, v82, s[0:3], 0 offen offset:12
	buffer_load_dword v83, v4, s[0:3], 0 offen
	buffer_load_dword v84, v4, s[0:3], 0 offen offset:4
	buffer_load_dword v85, v4, s[0:3], 0 offen offset:8
	buffer_load_dword v86, v4, s[0:3], 0 offen offset:12
	v_mov_b32_e32 v4, s15
	s_clause 0x7
	buffer_load_dword v87, v90, s[0:3], 0 offen
	buffer_load_dword v88, v90, s[0:3], 0 offen offset:4
	buffer_load_dword v89, v90, s[0:3], 0 offen offset:8
	buffer_load_dword v90, v90, s[0:3], 0 offen offset:12
	;; [unrolled: 10-line block ×3, first 2 shown]
	buffer_load_dword v99, v4, s[0:3], 0 offen
	buffer_load_dword v100, v4, s[0:3], 0 offen offset:4
	buffer_load_dword v101, v4, s[0:3], 0 offen offset:8
	buffer_load_dword v102, v4, s[0:3], 0 offen offset:12
	v_mov_b32_e32 v4, s9
	v_mov_b32_e32 v114, s8
	s_clause 0xb
	buffer_load_dword v103, v106, s[0:3], 0 offen
	buffer_load_dword v104, v106, s[0:3], 0 offen offset:4
	buffer_load_dword v105, v106, s[0:3], 0 offen offset:8
	buffer_load_dword v106, v106, s[0:3], 0 offen offset:12
	buffer_load_dword v107, v4, s[0:3], 0 offen
	buffer_load_dword v108, v4, s[0:3], 0 offen offset:4
	buffer_load_dword v109, v4, s[0:3], 0 offen offset:8
	buffer_load_dword v110, v4, s[0:3], 0 offen offset:12
	;; [unrolled: 4-line block ×3, first 2 shown]
	s_waitcnt vmcnt(62)
	global_store_dwordx4 v[5:6], v[0:3], off
	global_store_dwordx4 v[7:8], v[43:46], off
	;; [unrolled: 1-line block ×3, first 2 shown]
	s_waitcnt vmcnt(60)
	global_store_dwordx4 v[11:12], v[51:54], off
	s_waitcnt vmcnt(56)
	global_store_dwordx4 v[13:14], v[55:58], off
	;; [unrolled: 2-line block ×16, first 2 shown]
	s_endpgm
	.section	.rodata,"a",@progbits
	.p2align	6, 0x0
	.amdhsa_kernel _ZN9rocsolver6v33100L18getri_kernel_smallILi19E19rocblas_complex_numIdEPS3_EEvT1_iilPiilS6_bb
		.amdhsa_group_segment_fixed_size 616
		.amdhsa_private_segment_fixed_size 336
		.amdhsa_kernarg_size 60
		.amdhsa_user_sgpr_count 6
		.amdhsa_user_sgpr_private_segment_buffer 1
		.amdhsa_user_sgpr_dispatch_ptr 0
		.amdhsa_user_sgpr_queue_ptr 0
		.amdhsa_user_sgpr_kernarg_segment_ptr 1
		.amdhsa_user_sgpr_dispatch_id 0
		.amdhsa_user_sgpr_flat_scratch_init 0
		.amdhsa_user_sgpr_private_segment_size 0
		.amdhsa_wavefront_size32 1
		.amdhsa_uses_dynamic_stack 0
		.amdhsa_system_sgpr_private_segment_wavefront_offset 1
		.amdhsa_system_sgpr_workgroup_id_x 1
		.amdhsa_system_sgpr_workgroup_id_y 0
		.amdhsa_system_sgpr_workgroup_id_z 0
		.amdhsa_system_sgpr_workgroup_info 0
		.amdhsa_system_vgpr_workitem_id 0
		.amdhsa_next_free_vgpr 126
		.amdhsa_next_free_sgpr 39
		.amdhsa_reserve_vcc 1
		.amdhsa_reserve_flat_scratch 0
		.amdhsa_float_round_mode_32 0
		.amdhsa_float_round_mode_16_64 0
		.amdhsa_float_denorm_mode_32 3
		.amdhsa_float_denorm_mode_16_64 3
		.amdhsa_dx10_clamp 1
		.amdhsa_ieee_mode 1
		.amdhsa_fp16_overflow 0
		.amdhsa_workgroup_processor_mode 1
		.amdhsa_memory_ordered 1
		.amdhsa_forward_progress 1
		.amdhsa_shared_vgpr_count 0
		.amdhsa_exception_fp_ieee_invalid_op 0
		.amdhsa_exception_fp_denorm_src 0
		.amdhsa_exception_fp_ieee_div_zero 0
		.amdhsa_exception_fp_ieee_overflow 0
		.amdhsa_exception_fp_ieee_underflow 0
		.amdhsa_exception_fp_ieee_inexact 0
		.amdhsa_exception_int_div_zero 0
	.end_amdhsa_kernel
	.section	.text._ZN9rocsolver6v33100L18getri_kernel_smallILi19E19rocblas_complex_numIdEPS3_EEvT1_iilPiilS6_bb,"axG",@progbits,_ZN9rocsolver6v33100L18getri_kernel_smallILi19E19rocblas_complex_numIdEPS3_EEvT1_iilPiilS6_bb,comdat
.Lfunc_end18:
	.size	_ZN9rocsolver6v33100L18getri_kernel_smallILi19E19rocblas_complex_numIdEPS3_EEvT1_iilPiilS6_bb, .Lfunc_end18-_ZN9rocsolver6v33100L18getri_kernel_smallILi19E19rocblas_complex_numIdEPS3_EEvT1_iilPiilS6_bb
                                        ; -- End function
	.set _ZN9rocsolver6v33100L18getri_kernel_smallILi19E19rocblas_complex_numIdEPS3_EEvT1_iilPiilS6_bb.num_vgpr, 126
	.set _ZN9rocsolver6v33100L18getri_kernel_smallILi19E19rocblas_complex_numIdEPS3_EEvT1_iilPiilS6_bb.num_agpr, 0
	.set _ZN9rocsolver6v33100L18getri_kernel_smallILi19E19rocblas_complex_numIdEPS3_EEvT1_iilPiilS6_bb.numbered_sgpr, 39
	.set _ZN9rocsolver6v33100L18getri_kernel_smallILi19E19rocblas_complex_numIdEPS3_EEvT1_iilPiilS6_bb.num_named_barrier, 0
	.set _ZN9rocsolver6v33100L18getri_kernel_smallILi19E19rocblas_complex_numIdEPS3_EEvT1_iilPiilS6_bb.private_seg_size, 336
	.set _ZN9rocsolver6v33100L18getri_kernel_smallILi19E19rocblas_complex_numIdEPS3_EEvT1_iilPiilS6_bb.uses_vcc, 1
	.set _ZN9rocsolver6v33100L18getri_kernel_smallILi19E19rocblas_complex_numIdEPS3_EEvT1_iilPiilS6_bb.uses_flat_scratch, 0
	.set _ZN9rocsolver6v33100L18getri_kernel_smallILi19E19rocblas_complex_numIdEPS3_EEvT1_iilPiilS6_bb.has_dyn_sized_stack, 0
	.set _ZN9rocsolver6v33100L18getri_kernel_smallILi19E19rocblas_complex_numIdEPS3_EEvT1_iilPiilS6_bb.has_recursion, 0
	.set _ZN9rocsolver6v33100L18getri_kernel_smallILi19E19rocblas_complex_numIdEPS3_EEvT1_iilPiilS6_bb.has_indirect_call, 0
	.section	.AMDGPU.csdata,"",@progbits
; Kernel info:
; codeLenInByte = 34456
; TotalNumSgprs: 41
; NumVgprs: 126
; ScratchSize: 336
; MemoryBound: 0
; FloatMode: 240
; IeeeMode: 1
; LDSByteSize: 616 bytes/workgroup (compile time only)
; SGPRBlocks: 0
; VGPRBlocks: 15
; NumSGPRsForWavesPerEU: 41
; NumVGPRsForWavesPerEU: 126
; Occupancy: 8
; WaveLimiterHint : 1
; COMPUTE_PGM_RSRC2:SCRATCH_EN: 1
; COMPUTE_PGM_RSRC2:USER_SGPR: 6
; COMPUTE_PGM_RSRC2:TRAP_HANDLER: 0
; COMPUTE_PGM_RSRC2:TGID_X_EN: 1
; COMPUTE_PGM_RSRC2:TGID_Y_EN: 0
; COMPUTE_PGM_RSRC2:TGID_Z_EN: 0
; COMPUTE_PGM_RSRC2:TIDIG_COMP_CNT: 0
	.section	.text._ZN9rocsolver6v33100L18getri_kernel_smallILi20E19rocblas_complex_numIdEPS3_EEvT1_iilPiilS6_bb,"axG",@progbits,_ZN9rocsolver6v33100L18getri_kernel_smallILi20E19rocblas_complex_numIdEPS3_EEvT1_iilPiilS6_bb,comdat
	.globl	_ZN9rocsolver6v33100L18getri_kernel_smallILi20E19rocblas_complex_numIdEPS3_EEvT1_iilPiilS6_bb ; -- Begin function _ZN9rocsolver6v33100L18getri_kernel_smallILi20E19rocblas_complex_numIdEPS3_EEvT1_iilPiilS6_bb
	.p2align	8
	.type	_ZN9rocsolver6v33100L18getri_kernel_smallILi20E19rocblas_complex_numIdEPS3_EEvT1_iilPiilS6_bb,@function
_ZN9rocsolver6v33100L18getri_kernel_smallILi20E19rocblas_complex_numIdEPS3_EEvT1_iilPiilS6_bb: ; @_ZN9rocsolver6v33100L18getri_kernel_smallILi20E19rocblas_complex_numIdEPS3_EEvT1_iilPiilS6_bb
; %bb.0:
	s_add_u32 s0, s0, s7
	s_addc_u32 s1, s1, 0
	s_mov_b32 s7, exec_lo
	v_cmpx_gt_u32_e32 20, v0
	s_cbranch_execz .LBB19_94
; %bb.1:
	s_clause 0x2
	s_load_dword s7, s[4:5], 0x38
	s_load_dwordx4 s[16:19], s[4:5], 0x10
	s_load_dwordx4 s[8:11], s[4:5], 0x28
                                        ; implicit-def: $sgpr20_sgpr21
	s_waitcnt lgkmcnt(0)
	s_bitcmp1_b32 s7, 8
	s_cselect_b32 s31, -1, 0
	s_bfe_u32 s12, s7, 0x10008
	s_ashr_i32 s7, s6, 31
	s_cmp_eq_u32 s12, 0
	s_cbranch_scc1 .LBB19_3
; %bb.2:
	s_load_dword s12, s[4:5], 0x20
	s_mul_i32 s13, s8, s7
	s_mul_hi_u32 s14, s8, s6
	s_mul_i32 s9, s9, s6
	s_add_i32 s13, s14, s13
	s_mul_i32 s8, s8, s6
	s_add_i32 s9, s13, s9
	s_lshl_b64 s[8:9], s[8:9], 2
	s_waitcnt lgkmcnt(0)
	s_ashr_i32 s13, s12, 31
	s_add_u32 s14, s18, s8
	s_addc_u32 s15, s19, s9
	s_lshl_b64 s[8:9], s[12:13], 2
	s_add_u32 s20, s14, s8
	s_addc_u32 s21, s15, s9
.LBB19_3:
	s_clause 0x1
	s_load_dwordx4 s[12:15], s[4:5], 0x0
	s_load_dword s33, s[4:5], 0x38
	s_mul_i32 s4, s16, s7
	s_mul_hi_u32 s5, s16, s6
	s_mul_i32 s8, s17, s6
	s_add_i32 s5, s5, s4
	s_mul_i32 s4, s16, s6
	s_add_i32 s5, s5, s8
	v_lshlrev_b32_e32 v51, 4, v0
	s_lshl_b64 s[4:5], s[4:5], 4
	s_movk_i32 s16, 0xc0
	s_movk_i32 s34, 0xd0
	;; [unrolled: 1-line block ×8, first 2 shown]
	s_mov_b32 s30, 32
	s_mov_b32 s29, 48
	s_waitcnt lgkmcnt(0)
	v_add3_u32 v7, s15, s15, v0
	s_ashr_i32 s9, s14, 31
	s_mov_b32 s8, s14
	s_add_u32 s12, s12, s4
	s_addc_u32 s13, s13, s5
	v_add_nc_u32_e32 v11, s15, v7
	s_lshl_b64 s[4:5], s[8:9], 4
	v_ashrrev_i32_e32 v8, 31, v7
	s_add_u32 s4, s12, s4
	s_addc_u32 s5, s13, s5
	v_add_nc_u32_e32 v13, s15, v11
	v_ashrrev_i32_e32 v12, 31, v11
	v_add_co_u32 v5, s12, s4, v51
	s_mov_b32 s8, s15
	v_add_nc_u32_e32 v15, s15, v13
	v_ashrrev_i32_e32 v14, 31, v13
	s_ashr_i32 s9, s15, 31
	v_lshlrev_b64 v[9:10], 4, v[7:8]
	v_add_co_ci_u32_e64 v6, null, s5, 0, s12
	v_add_nc_u32_e32 v17, s15, v15
	v_ashrrev_i32_e32 v16, 31, v15
	s_lshl_b64 s[8:9], s[8:9], 4
	v_lshlrev_b64 v[11:12], 4, v[11:12]
	v_add_co_u32 v7, vcc_lo, v5, s8
	v_add_nc_u32_e32 v19, s15, v17
	v_ashrrev_i32_e32 v18, 31, v17
	v_lshlrev_b64 v[13:14], 4, v[13:14]
	v_add_co_ci_u32_e64 v8, null, s9, v6, vcc_lo
	v_add_nc_u32_e32 v21, s15, v19
	v_ashrrev_i32_e32 v20, 31, v19
	v_add_co_u32 v9, vcc_lo, s4, v9
	v_lshlrev_b64 v[15:16], 4, v[15:16]
	v_add_nc_u32_e32 v23, s15, v21
	v_ashrrev_i32_e32 v22, 31, v21
	v_add_co_ci_u32_e64 v10, null, s5, v10, vcc_lo
	v_add_co_u32 v11, vcc_lo, s4, v11
	v_add_nc_u32_e32 v25, s15, v23
	v_lshlrev_b64 v[17:18], 4, v[17:18]
	v_ashrrev_i32_e32 v24, 31, v23
	v_add_co_ci_u32_e64 v12, null, s5, v12, vcc_lo
	v_add_nc_u32_e32 v27, s15, v25
	v_add_co_u32 v13, vcc_lo, s4, v13
	v_lshlrev_b64 v[19:20], 4, v[19:20]
	v_ashrrev_i32_e32 v26, 31, v25
	v_add_nc_u32_e32 v29, s15, v27
	v_add_co_ci_u32_e64 v14, null, s5, v14, vcc_lo
	v_add_co_u32 v15, vcc_lo, s4, v15
	v_add_nc_u32_e32 v31, s15, v29
	v_lshlrev_b64 v[21:22], 4, v[21:22]
	v_ashrrev_i32_e32 v28, 31, v27
	v_add_co_ci_u32_e64 v16, null, s5, v16, vcc_lo
	v_add_nc_u32_e32 v33, s15, v31
	v_add_co_u32 v17, vcc_lo, s4, v17
	v_lshlrev_b64 v[23:24], 4, v[23:24]
	v_ashrrev_i32_e32 v30, 31, v29
	v_add_nc_u32_e32 v35, s15, v33
	v_add_co_ci_u32_e64 v18, null, s5, v18, vcc_lo
	v_add_co_u32 v19, vcc_lo, s4, v19
	v_add_nc_u32_e32 v38, s15, v35
	v_lshlrev_b64 v[25:26], 4, v[25:26]
	v_ashrrev_i32_e32 v32, 31, v31
	v_add_co_ci_u32_e64 v20, null, s5, v20, vcc_lo
	v_add_co_u32 v21, vcc_lo, s4, v21
	v_lshlrev_b64 v[27:28], 4, v[27:28]
	v_ashrrev_i32_e32 v34, 31, v33
	v_add_co_ci_u32_e64 v22, null, s5, v22, vcc_lo
	v_add_co_u32 v23, vcc_lo, s4, v23
	v_lshlrev_b64 v[29:30], 4, v[29:30]
	v_add_nc_u32_e32 v40, s15, v38
	v_ashrrev_i32_e32 v36, 31, v35
	v_add_co_ci_u32_e64 v24, null, s5, v24, vcc_lo
	v_add_co_u32 v25, vcc_lo, s4, v25
	v_lshlrev_b64 v[31:32], 4, v[31:32]
	v_add_co_ci_u32_e64 v26, null, s5, v26, vcc_lo
	v_add_co_u32 v27, vcc_lo, s4, v27
	v_lshlrev_b64 v[33:34], 4, v[33:34]
	v_add_nc_u32_e32 v42, s15, v40
	v_add_co_ci_u32_e64 v28, null, s5, v28, vcc_lo
	v_add_co_u32 v29, vcc_lo, s4, v29
	v_lshlrev_b64 v[36:37], 4, v[35:36]
	v_add_co_ci_u32_e64 v30, null, s5, v30, vcc_lo
	v_add_co_u32 v31, vcc_lo, s4, v31
	v_ashrrev_i32_e32 v39, 31, v38
	v_add_co_ci_u32_e64 v32, null, s5, v32, vcc_lo
	v_add_co_u32 v33, vcc_lo, s4, v33
	v_add_nc_u32_e32 v49, s15, v42
	v_ashrrev_i32_e32 v41, 31, v40
	v_add_co_ci_u32_e64 v34, null, s5, v34, vcc_lo
	v_add_co_u32 v35, vcc_lo, s4, v36
	v_ashrrev_i32_e32 v43, 31, v42
	v_add_co_ci_u32_e64 v36, null, s5, v37, vcc_lo
	v_lshlrev_b64 v[37:38], 4, v[38:39]
	v_ashrrev_i32_e32 v50, 31, v49
	v_lshlrev_b64 v[39:40], 4, v[40:41]
	v_lshlrev_b64 v[41:42], 4, v[42:43]
	s_clause 0x2
	global_load_dwordx4 v[1:4], v51, s[4:5]
	global_load_dwordx4 v[45:48], v[7:8], off
	global_load_dwordx4 v[52:55], v[9:10], off
	v_add_co_u32 v37, vcc_lo, s4, v37
	v_lshlrev_b64 v[43:44], 4, v[49:50]
	v_add_co_ci_u32_e64 v38, null, s5, v38, vcc_lo
	v_add_co_u32 v39, vcc_lo, s4, v39
	v_add_co_ci_u32_e64 v40, null, s5, v40, vcc_lo
	v_add_co_u32 v41, vcc_lo, s4, v41
	;; [unrolled: 2-line block ×3, first 2 shown]
	v_add_co_ci_u32_e64 v44, null, s5, v44, vcc_lo
	s_clause 0x10
	global_load_dwordx4 v[56:59], v[11:12], off
	global_load_dwordx4 v[60:63], v[13:14], off
	;; [unrolled: 1-line block ×17, first 2 shown]
	s_movk_i32 s4, 0x50
	s_movk_i32 s8, 0x60
	;; [unrolled: 1-line block ×7, first 2 shown]
	s_add_i32 s26, s4, 16
	s_add_i32 s25, s8, 16
	s_add_i32 s24, s9, 16
	s_add_i32 s23, s12, 16
	s_add_i32 s22, s13, 16
	s_add_i32 s19, s14, 16
	s_add_i32 s18, s15, 16
	s_add_i32 s17, s16, 16
	s_add_i32 s16, s34, 16
	s_add_i32 s15, s35, 16
	s_add_i32 s14, s36, 16
	s_add_i32 s13, s37, 16
	s_add_i32 s12, s38, 16
	s_add_i32 s9, s39, 16
	s_add_i32 s8, s40, 16
	s_mov_b32 s5, -1
	s_mov_b32 s28, 64
	s_movk_i32 s27, 0x50
	s_bitcmp0_b32 s33, 0
	s_waitcnt vmcnt(19)
	buffer_store_dword v4, off, s[0:3], 0 offset:28
	buffer_store_dword v3, off, s[0:3], 0 offset:24
	buffer_store_dword v2, off, s[0:3], 0 offset:20
	buffer_store_dword v1, off, s[0:3], 0 offset:16
	s_waitcnt vmcnt(18)
	buffer_store_dword v48, off, s[0:3], 0 offset:44
	buffer_store_dword v47, off, s[0:3], 0 offset:40
	buffer_store_dword v46, off, s[0:3], 0 offset:36
	buffer_store_dword v45, off, s[0:3], 0 offset:32
	;; [unrolled: 5-line block ×20, first 2 shown]
	s_cbranch_scc1 .LBB19_92
; %bb.4:
	v_cmp_eq_u32_e64 s4, 0, v0
	s_and_saveexec_b32 s5, s4
; %bb.5:
	v_mov_b32_e32 v1, 0
	ds_write_b32 v1, v1 offset:640
; %bb.6:
	s_or_b32 exec_lo, exec_lo, s5
	v_lshl_add_u32 v52, v0, 4, 16
	s_waitcnt lgkmcnt(0)
	s_waitcnt_vscnt null, 0x0
	s_barrier
	buffer_gl0_inv
	s_clause 0x3
	buffer_load_dword v1, v52, s[0:3], 0 offen
	buffer_load_dword v2, v52, s[0:3], 0 offen offset:4
	buffer_load_dword v3, v52, s[0:3], 0 offen offset:8
	;; [unrolled: 1-line block ×3, first 2 shown]
	s_waitcnt vmcnt(2)
	v_cmp_eq_f64_e32 vcc_lo, 0, v[1:2]
	s_waitcnt vmcnt(0)
	v_cmp_eq_f64_e64 s5, 0, v[3:4]
	s_and_b32 s5, vcc_lo, s5
	s_and_saveexec_b32 s33, s5
	s_cbranch_execz .LBB19_10
; %bb.7:
	v_mov_b32_e32 v1, 0
	s_mov_b32 s34, 0
	ds_read_b32 v2, v1 offset:640
	s_waitcnt lgkmcnt(0)
	v_readfirstlane_b32 s5, v2
	v_add_nc_u32_e32 v2, 1, v0
	s_cmp_eq_u32 s5, 0
	v_cmp_gt_i32_e32 vcc_lo, s5, v2
	s_cselect_b32 s35, -1, 0
	s_or_b32 s35, s35, vcc_lo
	s_and_b32 exec_lo, exec_lo, s35
	s_cbranch_execz .LBB19_10
; %bb.8:
	v_mov_b32_e32 v3, s5
.LBB19_9:                               ; =>This Inner Loop Header: Depth=1
	ds_cmpst_rtn_b32 v3, v1, v3, v2 offset:640
	s_waitcnt lgkmcnt(0)
	v_cmp_ne_u32_e32 vcc_lo, 0, v3
	v_cmp_le_i32_e64 s5, v3, v2
	s_and_b32 s5, vcc_lo, s5
	s_and_b32 s5, exec_lo, s5
	s_or_b32 s34, s5, s34
	s_andn2_b32 exec_lo, exec_lo, s34
	s_cbranch_execnz .LBB19_9
.LBB19_10:
	s_or_b32 exec_lo, exec_lo, s33
	v_mov_b32_e32 v1, 0
	s_barrier
	buffer_gl0_inv
	ds_read_b32 v2, v1 offset:640
	s_and_saveexec_b32 s5, s4
	s_cbranch_execz .LBB19_12
; %bb.11:
	s_lshl_b64 s[34:35], s[6:7], 2
	s_add_u32 s34, s10, s34
	s_addc_u32 s35, s11, s35
	s_waitcnt lgkmcnt(0)
	global_store_dword v1, v2, s[34:35]
.LBB19_12:
	s_or_b32 exec_lo, exec_lo, s5
	s_waitcnt lgkmcnt(0)
	v_cmp_ne_u32_e32 vcc_lo, 0, v2
	s_mov_b32 s5, 0
	s_cbranch_vccnz .LBB19_92
; %bb.13:
	s_clause 0x3
	buffer_load_dword v47, v52, s[0:3], 0 offen
	buffer_load_dword v48, v52, s[0:3], 0 offen offset:4
	buffer_load_dword v49, v52, s[0:3], 0 offen offset:8
	;; [unrolled: 1-line block ×3, first 2 shown]
                                        ; implicit-def: $vgpr45_vgpr46
                                        ; implicit-def: $vgpr3_vgpr4
	s_waitcnt vmcnt(0)
	v_cmp_ngt_f64_e64 s5, |v[47:48]|, |v[49:50]|
	s_and_saveexec_b32 s33, s5
	s_xor_b32 s5, exec_lo, s33
	s_cbranch_execz .LBB19_15
; %bb.14:
	v_div_scale_f64 v[1:2], null, v[49:50], v[49:50], v[47:48]
	v_div_scale_f64 v[53:54], vcc_lo, v[47:48], v[49:50], v[47:48]
	v_rcp_f64_e32 v[3:4], v[1:2]
	v_fma_f64 v[45:46], -v[1:2], v[3:4], 1.0
	v_fma_f64 v[3:4], v[3:4], v[45:46], v[3:4]
	v_fma_f64 v[45:46], -v[1:2], v[3:4], 1.0
	v_fma_f64 v[3:4], v[3:4], v[45:46], v[3:4]
	v_mul_f64 v[45:46], v[53:54], v[3:4]
	v_fma_f64 v[1:2], -v[1:2], v[45:46], v[53:54]
	v_div_fmas_f64 v[1:2], v[1:2], v[3:4], v[45:46]
	v_div_fixup_f64 v[1:2], v[1:2], v[49:50], v[47:48]
	v_fma_f64 v[3:4], v[47:48], v[1:2], v[49:50]
	v_div_scale_f64 v[45:46], null, v[3:4], v[3:4], 1.0
	v_div_scale_f64 v[53:54], vcc_lo, 1.0, v[3:4], 1.0
	v_rcp_f64_e32 v[47:48], v[45:46]
	v_fma_f64 v[49:50], -v[45:46], v[47:48], 1.0
	v_fma_f64 v[47:48], v[47:48], v[49:50], v[47:48]
	v_fma_f64 v[49:50], -v[45:46], v[47:48], 1.0
	v_fma_f64 v[47:48], v[47:48], v[49:50], v[47:48]
	v_mul_f64 v[49:50], v[53:54], v[47:48]
	v_fma_f64 v[45:46], -v[45:46], v[49:50], v[53:54]
	v_div_fmas_f64 v[45:46], v[45:46], v[47:48], v[49:50]
                                        ; implicit-def: $vgpr47_vgpr48
                                        ; implicit-def: $vgpr49_vgpr50
	v_div_fixup_f64 v[3:4], v[45:46], v[3:4], 1.0
	v_mul_f64 v[45:46], v[1:2], v[3:4]
	v_xor_b32_e32 v4, 0x80000000, v4
	v_xor_b32_e32 v2, 0x80000000, v46
	v_mov_b32_e32 v1, v45
.LBB19_15:
	s_andn2_saveexec_b32 s5, s5
	s_cbranch_execz .LBB19_17
; %bb.16:
	v_div_scale_f64 v[1:2], null, v[47:48], v[47:48], v[49:50]
	v_div_scale_f64 v[53:54], vcc_lo, v[49:50], v[47:48], v[49:50]
	v_rcp_f64_e32 v[3:4], v[1:2]
	v_fma_f64 v[45:46], -v[1:2], v[3:4], 1.0
	v_fma_f64 v[3:4], v[3:4], v[45:46], v[3:4]
	v_fma_f64 v[45:46], -v[1:2], v[3:4], 1.0
	v_fma_f64 v[3:4], v[3:4], v[45:46], v[3:4]
	v_mul_f64 v[45:46], v[53:54], v[3:4]
	v_fma_f64 v[1:2], -v[1:2], v[45:46], v[53:54]
	v_div_fmas_f64 v[1:2], v[1:2], v[3:4], v[45:46]
	v_div_fixup_f64 v[1:2], v[1:2], v[47:48], v[49:50]
	v_fma_f64 v[3:4], v[49:50], v[1:2], v[47:48]
	v_div_scale_f64 v[45:46], null, v[3:4], v[3:4], 1.0
	v_rcp_f64_e32 v[47:48], v[45:46]
	v_fma_f64 v[49:50], -v[45:46], v[47:48], 1.0
	v_fma_f64 v[47:48], v[47:48], v[49:50], v[47:48]
	v_fma_f64 v[49:50], -v[45:46], v[47:48], 1.0
	v_fma_f64 v[47:48], v[47:48], v[49:50], v[47:48]
	v_div_scale_f64 v[49:50], vcc_lo, 1.0, v[3:4], 1.0
	v_mul_f64 v[53:54], v[49:50], v[47:48]
	v_fma_f64 v[45:46], -v[45:46], v[53:54], v[49:50]
	v_div_fmas_f64 v[45:46], v[45:46], v[47:48], v[53:54]
	v_div_fixup_f64 v[45:46], v[45:46], v[3:4], 1.0
	v_mul_f64 v[3:4], v[1:2], -v[45:46]
	v_xor_b32_e32 v2, 0x80000000, v46
	v_mov_b32_e32 v1, v45
.LBB19_17:
	s_or_b32 exec_lo, exec_lo, s5
	v_mov_b32_e32 v50, s30
	buffer_store_dword v46, v52, s[0:3], 0 offen offset:4
	buffer_store_dword v45, v52, s[0:3], 0 offen
	buffer_store_dword v4, v52, s[0:3], 0 offen offset:12
	buffer_store_dword v3, v52, s[0:3], 0 offen offset:8
	v_xor_b32_e32 v4, 0x80000000, v4
	v_add_nc_u32_e32 v45, 0x140, v51
	s_clause 0x3
	buffer_load_dword v49, v50, s[0:3], 0 offen offset:12
	buffer_load_dword v48, v50, s[0:3], 0 offen offset:8
	;; [unrolled: 1-line block ×3, first 2 shown]
	buffer_load_dword v46, v50, s[0:3], 0 offen
	ds_write_b128 v51, v[1:4]
	s_waitcnt vmcnt(0)
	ds_write_b128 v51, v[46:49] offset:320
	s_waitcnt lgkmcnt(0)
	s_waitcnt_vscnt null, 0x0
	s_barrier
	buffer_gl0_inv
	s_and_saveexec_b32 s5, s4
	s_cbranch_execz .LBB19_19
; %bb.18:
	s_clause 0x3
	buffer_load_dword v53, v52, s[0:3], 0 offen offset:8
	buffer_load_dword v54, v52, s[0:3], 0 offen offset:12
	buffer_load_dword v55, v52, s[0:3], 0 offen
	buffer_load_dword v56, v52, s[0:3], 0 offen offset:4
	ds_read_b128 v[1:4], v45
	v_mov_b32_e32 v46, 0
	ds_read_b128 v[46:49], v46 offset:16
	s_waitcnt vmcnt(2) lgkmcnt(1)
	v_mul_f64 v[57:58], v[1:2], v[53:54]
	v_mul_f64 v[53:54], v[3:4], v[53:54]
	s_waitcnt vmcnt(0)
	v_fma_f64 v[3:4], v[3:4], v[55:56], v[57:58]
	v_fma_f64 v[1:2], v[1:2], v[55:56], -v[53:54]
	v_add_f64 v[3:4], v[3:4], 0
	v_add_f64 v[1:2], v[1:2], 0
	s_waitcnt lgkmcnt(0)
	v_mul_f64 v[53:54], v[3:4], v[48:49]
	v_mul_f64 v[48:49], v[1:2], v[48:49]
	v_fma_f64 v[1:2], v[1:2], v[46:47], -v[53:54]
	v_fma_f64 v[3:4], v[3:4], v[46:47], v[48:49]
	buffer_store_dword v1, off, s[0:3], 0 offset:32
	buffer_store_dword v2, off, s[0:3], 0 offset:36
	;; [unrolled: 1-line block ×4, first 2 shown]
.LBB19_19:
	s_or_b32 exec_lo, exec_lo, s5
	v_mov_b32_e32 v4, s29
	s_waitcnt_vscnt null, 0x0
	s_barrier
	buffer_gl0_inv
	s_mov_b32 s5, exec_lo
	s_clause 0x3
	buffer_load_dword v1, v4, s[0:3], 0 offen
	buffer_load_dword v2, v4, s[0:3], 0 offen offset:4
	buffer_load_dword v3, v4, s[0:3], 0 offen offset:8
	;; [unrolled: 1-line block ×3, first 2 shown]
	s_waitcnt vmcnt(0)
	ds_write_b128 v45, v[1:4]
	s_waitcnt lgkmcnt(0)
	s_barrier
	buffer_gl0_inv
	v_cmpx_gt_u32_e32 2, v0
	s_cbranch_execz .LBB19_23
; %bb.20:
	s_clause 0x3
	buffer_load_dword v46, v52, s[0:3], 0 offen offset:8
	buffer_load_dword v47, v52, s[0:3], 0 offen offset:12
	buffer_load_dword v48, v52, s[0:3], 0 offen
	buffer_load_dword v49, v52, s[0:3], 0 offen offset:4
	ds_read_b128 v[1:4], v45
	s_waitcnt vmcnt(2) lgkmcnt(0)
	v_mul_f64 v[52:53], v[3:4], v[46:47]
	v_mul_f64 v[46:47], v[1:2], v[46:47]
	s_waitcnt vmcnt(0)
	v_fma_f64 v[1:2], v[1:2], v[48:49], -v[52:53]
	v_fma_f64 v[3:4], v[3:4], v[48:49], v[46:47]
	v_add_f64 v[1:2], v[1:2], 0
	v_add_f64 v[3:4], v[3:4], 0
	s_and_saveexec_b32 s33, s4
	s_cbranch_execz .LBB19_22
; %bb.21:
	s_clause 0x3
	buffer_load_dword v52, off, s[0:3], 0 offset:40
	buffer_load_dword v53, off, s[0:3], 0 offset:44
	;; [unrolled: 1-line block ×4, first 2 shown]
	v_mov_b32_e32 v46, 0
	ds_read_b128 v[46:49], v46 offset:336
	s_waitcnt vmcnt(2) lgkmcnt(0)
	v_mul_f64 v[56:57], v[46:47], v[52:53]
	v_mul_f64 v[52:53], v[48:49], v[52:53]
	s_waitcnt vmcnt(0)
	v_fma_f64 v[48:49], v[48:49], v[54:55], v[56:57]
	v_fma_f64 v[46:47], v[46:47], v[54:55], -v[52:53]
	v_add_f64 v[3:4], v[3:4], v[48:49]
	v_add_f64 v[1:2], v[1:2], v[46:47]
.LBB19_22:
	s_or_b32 exec_lo, exec_lo, s33
	v_mov_b32_e32 v46, 0
	ds_read_b128 v[46:49], v46 offset:32
	s_waitcnt lgkmcnt(0)
	v_mul_f64 v[52:53], v[3:4], v[48:49]
	v_mul_f64 v[48:49], v[1:2], v[48:49]
	v_fma_f64 v[1:2], v[1:2], v[46:47], -v[52:53]
	v_fma_f64 v[3:4], v[3:4], v[46:47], v[48:49]
	buffer_store_dword v2, off, s[0:3], 0 offset:52
	buffer_store_dword v1, off, s[0:3], 0 offset:48
	;; [unrolled: 1-line block ×4, first 2 shown]
.LBB19_23:
	s_or_b32 exec_lo, exec_lo, s5
	v_mov_b32_e32 v4, s28
	s_waitcnt_vscnt null, 0x0
	s_barrier
	buffer_gl0_inv
	v_add_nc_u32_e32 v46, -1, v0
	s_clause 0x3
	buffer_load_dword v1, v4, s[0:3], 0 offen
	buffer_load_dword v2, v4, s[0:3], 0 offen offset:4
	buffer_load_dword v3, v4, s[0:3], 0 offen offset:8
	;; [unrolled: 1-line block ×3, first 2 shown]
	s_mov_b32 s4, exec_lo
	s_waitcnt vmcnt(0)
	ds_write_b128 v45, v[1:4]
	s_waitcnt lgkmcnt(0)
	s_barrier
	buffer_gl0_inv
	v_cmpx_gt_u32_e32 3, v0
	s_cbranch_execz .LBB19_27
; %bb.24:
	v_mov_b32_e32 v1, 0
	v_mov_b32_e32 v3, 0
	v_add_nc_u32_e32 v47, -1, v0
	v_add_nc_u32_e32 v48, 0x140, v51
	v_mov_b32_e32 v2, 0
	v_mov_b32_e32 v4, 0
	v_add_nc_u32_e32 v49, 16, v51
	s_mov_b32 s5, 0
	.p2align	6
.LBB19_25:                              ; =>This Inner Loop Header: Depth=1
	s_clause 0x3
	buffer_load_dword v56, v49, s[0:3], 0 offen offset:8
	buffer_load_dword v57, v49, s[0:3], 0 offen offset:12
	buffer_load_dword v58, v49, s[0:3], 0 offen
	buffer_load_dword v59, v49, s[0:3], 0 offen offset:4
	ds_read_b128 v[52:55], v48
	v_add_nc_u32_e32 v47, 1, v47
	v_add_nc_u32_e32 v48, 16, v48
	;; [unrolled: 1-line block ×3, first 2 shown]
	v_cmp_lt_u32_e32 vcc_lo, 1, v47
	s_or_b32 s5, vcc_lo, s5
	s_waitcnt vmcnt(2) lgkmcnt(0)
	v_mul_f64 v[60:61], v[54:55], v[56:57]
	v_mul_f64 v[56:57], v[52:53], v[56:57]
	s_waitcnt vmcnt(0)
	v_fma_f64 v[52:53], v[52:53], v[58:59], -v[60:61]
	v_fma_f64 v[54:55], v[54:55], v[58:59], v[56:57]
	v_add_f64 v[3:4], v[3:4], v[52:53]
	v_add_f64 v[1:2], v[1:2], v[54:55]
	s_andn2_b32 exec_lo, exec_lo, s5
	s_cbranch_execnz .LBB19_25
; %bb.26:
	s_or_b32 exec_lo, exec_lo, s5
	v_mov_b32_e32 v47, 0
	ds_read_b128 v[47:50], v47 offset:48
	s_waitcnt lgkmcnt(0)
	v_mul_f64 v[52:53], v[1:2], v[49:50]
	v_mul_f64 v[49:50], v[3:4], v[49:50]
	v_fma_f64 v[3:4], v[3:4], v[47:48], -v[52:53]
	v_fma_f64 v[1:2], v[1:2], v[47:48], v[49:50]
	buffer_store_dword v4, off, s[0:3], 0 offset:68
	buffer_store_dword v3, off, s[0:3], 0 offset:64
	;; [unrolled: 1-line block ×4, first 2 shown]
.LBB19_27:
	s_or_b32 exec_lo, exec_lo, s4
	v_mov_b32_e32 v4, s27
	s_waitcnt_vscnt null, 0x0
	s_barrier
	buffer_gl0_inv
	s_mov_b32 s4, exec_lo
	s_clause 0x3
	buffer_load_dword v1, v4, s[0:3], 0 offen
	buffer_load_dword v2, v4, s[0:3], 0 offen offset:4
	buffer_load_dword v3, v4, s[0:3], 0 offen offset:8
	buffer_load_dword v4, v4, s[0:3], 0 offen offset:12
	s_waitcnt vmcnt(0)
	ds_write_b128 v45, v[1:4]
	s_waitcnt lgkmcnt(0)
	s_barrier
	buffer_gl0_inv
	v_cmpx_gt_u32_e32 4, v0
	s_cbranch_execz .LBB19_31
; %bb.28:
	v_mov_b32_e32 v1, 0
	v_mov_b32_e32 v3, 0
	v_add_nc_u32_e32 v47, -1, v0
	v_add_nc_u32_e32 v48, 0x140, v51
	v_mov_b32_e32 v2, 0
	v_mov_b32_e32 v4, 0
	v_add_nc_u32_e32 v49, 16, v51
	s_mov_b32 s5, 0
	.p2align	6
.LBB19_29:                              ; =>This Inner Loop Header: Depth=1
	s_clause 0x3
	buffer_load_dword v56, v49, s[0:3], 0 offen offset:8
	buffer_load_dword v57, v49, s[0:3], 0 offen offset:12
	buffer_load_dword v58, v49, s[0:3], 0 offen
	buffer_load_dword v59, v49, s[0:3], 0 offen offset:4
	ds_read_b128 v[52:55], v48
	v_add_nc_u32_e32 v47, 1, v47
	v_add_nc_u32_e32 v48, 16, v48
	;; [unrolled: 1-line block ×3, first 2 shown]
	v_cmp_lt_u32_e32 vcc_lo, 2, v47
	s_or_b32 s5, vcc_lo, s5
	s_waitcnt vmcnt(2) lgkmcnt(0)
	v_mul_f64 v[60:61], v[54:55], v[56:57]
	v_mul_f64 v[56:57], v[52:53], v[56:57]
	s_waitcnt vmcnt(0)
	v_fma_f64 v[52:53], v[52:53], v[58:59], -v[60:61]
	v_fma_f64 v[54:55], v[54:55], v[58:59], v[56:57]
	v_add_f64 v[3:4], v[3:4], v[52:53]
	v_add_f64 v[1:2], v[1:2], v[54:55]
	s_andn2_b32 exec_lo, exec_lo, s5
	s_cbranch_execnz .LBB19_29
; %bb.30:
	s_or_b32 exec_lo, exec_lo, s5
	v_mov_b32_e32 v47, 0
	ds_read_b128 v[47:50], v47 offset:64
	s_waitcnt lgkmcnt(0)
	v_mul_f64 v[52:53], v[1:2], v[49:50]
	v_mul_f64 v[49:50], v[3:4], v[49:50]
	v_fma_f64 v[3:4], v[3:4], v[47:48], -v[52:53]
	v_fma_f64 v[1:2], v[1:2], v[47:48], v[49:50]
	buffer_store_dword v4, off, s[0:3], 0 offset:84
	buffer_store_dword v3, off, s[0:3], 0 offset:80
	;; [unrolled: 1-line block ×4, first 2 shown]
.LBB19_31:
	s_or_b32 exec_lo, exec_lo, s4
	v_mov_b32_e32 v4, s26
	s_waitcnt_vscnt null, 0x0
	s_barrier
	buffer_gl0_inv
	s_mov_b32 s4, exec_lo
	s_clause 0x3
	buffer_load_dword v1, v4, s[0:3], 0 offen
	buffer_load_dword v2, v4, s[0:3], 0 offen offset:4
	buffer_load_dword v3, v4, s[0:3], 0 offen offset:8
	;; [unrolled: 1-line block ×3, first 2 shown]
	s_waitcnt vmcnt(0)
	ds_write_b128 v45, v[1:4]
	s_waitcnt lgkmcnt(0)
	s_barrier
	buffer_gl0_inv
	v_cmpx_gt_u32_e32 5, v0
	s_cbranch_execz .LBB19_35
; %bb.32:
	v_mov_b32_e32 v1, 0
	v_mov_b32_e32 v3, 0
	v_add_nc_u32_e32 v47, -1, v0
	v_add_nc_u32_e32 v48, 0x140, v51
	v_mov_b32_e32 v2, 0
	v_mov_b32_e32 v4, 0
	v_add_nc_u32_e32 v49, 16, v51
	s_mov_b32 s5, 0
	.p2align	6
.LBB19_33:                              ; =>This Inner Loop Header: Depth=1
	s_clause 0x3
	buffer_load_dword v56, v49, s[0:3], 0 offen offset:8
	buffer_load_dword v57, v49, s[0:3], 0 offen offset:12
	buffer_load_dword v58, v49, s[0:3], 0 offen
	buffer_load_dword v59, v49, s[0:3], 0 offen offset:4
	ds_read_b128 v[52:55], v48
	v_add_nc_u32_e32 v47, 1, v47
	v_add_nc_u32_e32 v48, 16, v48
	;; [unrolled: 1-line block ×3, first 2 shown]
	v_cmp_lt_u32_e32 vcc_lo, 3, v47
	s_or_b32 s5, vcc_lo, s5
	s_waitcnt vmcnt(2) lgkmcnt(0)
	v_mul_f64 v[60:61], v[54:55], v[56:57]
	v_mul_f64 v[56:57], v[52:53], v[56:57]
	s_waitcnt vmcnt(0)
	v_fma_f64 v[52:53], v[52:53], v[58:59], -v[60:61]
	v_fma_f64 v[54:55], v[54:55], v[58:59], v[56:57]
	v_add_f64 v[3:4], v[3:4], v[52:53]
	v_add_f64 v[1:2], v[1:2], v[54:55]
	s_andn2_b32 exec_lo, exec_lo, s5
	s_cbranch_execnz .LBB19_33
; %bb.34:
	s_or_b32 exec_lo, exec_lo, s5
	v_mov_b32_e32 v47, 0
	ds_read_b128 v[47:50], v47 offset:80
	s_waitcnt lgkmcnt(0)
	v_mul_f64 v[52:53], v[1:2], v[49:50]
	v_mul_f64 v[49:50], v[3:4], v[49:50]
	v_fma_f64 v[3:4], v[3:4], v[47:48], -v[52:53]
	v_fma_f64 v[1:2], v[1:2], v[47:48], v[49:50]
	buffer_store_dword v4, off, s[0:3], 0 offset:100
	buffer_store_dword v3, off, s[0:3], 0 offset:96
	;; [unrolled: 1-line block ×4, first 2 shown]
.LBB19_35:
	s_or_b32 exec_lo, exec_lo, s4
	v_mov_b32_e32 v4, s25
	s_waitcnt_vscnt null, 0x0
	s_barrier
	buffer_gl0_inv
	s_mov_b32 s4, exec_lo
	s_clause 0x3
	buffer_load_dword v1, v4, s[0:3], 0 offen
	buffer_load_dword v2, v4, s[0:3], 0 offen offset:4
	buffer_load_dword v3, v4, s[0:3], 0 offen offset:8
	;; [unrolled: 1-line block ×3, first 2 shown]
	s_waitcnt vmcnt(0)
	ds_write_b128 v45, v[1:4]
	s_waitcnt lgkmcnt(0)
	s_barrier
	buffer_gl0_inv
	v_cmpx_gt_u32_e32 6, v0
	s_cbranch_execz .LBB19_39
; %bb.36:
	v_mov_b32_e32 v1, 0
	v_mov_b32_e32 v3, 0
	v_add_nc_u32_e32 v47, -1, v0
	v_add_nc_u32_e32 v48, 0x140, v51
	v_mov_b32_e32 v2, 0
	v_mov_b32_e32 v4, 0
	v_add_nc_u32_e32 v49, 16, v51
	s_mov_b32 s5, 0
	.p2align	6
.LBB19_37:                              ; =>This Inner Loop Header: Depth=1
	s_clause 0x3
	buffer_load_dword v56, v49, s[0:3], 0 offen offset:8
	buffer_load_dword v57, v49, s[0:3], 0 offen offset:12
	buffer_load_dword v58, v49, s[0:3], 0 offen
	buffer_load_dword v59, v49, s[0:3], 0 offen offset:4
	ds_read_b128 v[52:55], v48
	v_add_nc_u32_e32 v47, 1, v47
	v_add_nc_u32_e32 v48, 16, v48
	;; [unrolled: 1-line block ×3, first 2 shown]
	v_cmp_lt_u32_e32 vcc_lo, 4, v47
	s_or_b32 s5, vcc_lo, s5
	s_waitcnt vmcnt(2) lgkmcnt(0)
	v_mul_f64 v[60:61], v[54:55], v[56:57]
	v_mul_f64 v[56:57], v[52:53], v[56:57]
	s_waitcnt vmcnt(0)
	v_fma_f64 v[52:53], v[52:53], v[58:59], -v[60:61]
	v_fma_f64 v[54:55], v[54:55], v[58:59], v[56:57]
	v_add_f64 v[3:4], v[3:4], v[52:53]
	v_add_f64 v[1:2], v[1:2], v[54:55]
	s_andn2_b32 exec_lo, exec_lo, s5
	s_cbranch_execnz .LBB19_37
; %bb.38:
	s_or_b32 exec_lo, exec_lo, s5
	v_mov_b32_e32 v47, 0
	ds_read_b128 v[47:50], v47 offset:96
	s_waitcnt lgkmcnt(0)
	v_mul_f64 v[52:53], v[1:2], v[49:50]
	v_mul_f64 v[49:50], v[3:4], v[49:50]
	v_fma_f64 v[3:4], v[3:4], v[47:48], -v[52:53]
	v_fma_f64 v[1:2], v[1:2], v[47:48], v[49:50]
	buffer_store_dword v4, off, s[0:3], 0 offset:116
	buffer_store_dword v3, off, s[0:3], 0 offset:112
	;; [unrolled: 1-line block ×4, first 2 shown]
.LBB19_39:
	s_or_b32 exec_lo, exec_lo, s4
	v_mov_b32_e32 v4, s24
	s_waitcnt_vscnt null, 0x0
	s_barrier
	buffer_gl0_inv
	s_mov_b32 s4, exec_lo
	s_clause 0x3
	buffer_load_dword v1, v4, s[0:3], 0 offen
	buffer_load_dword v2, v4, s[0:3], 0 offen offset:4
	buffer_load_dword v3, v4, s[0:3], 0 offen offset:8
	;; [unrolled: 1-line block ×3, first 2 shown]
	s_waitcnt vmcnt(0)
	ds_write_b128 v45, v[1:4]
	s_waitcnt lgkmcnt(0)
	s_barrier
	buffer_gl0_inv
	v_cmpx_gt_u32_e32 7, v0
	s_cbranch_execz .LBB19_43
; %bb.40:
	v_mov_b32_e32 v1, 0
	v_mov_b32_e32 v3, 0
	v_add_nc_u32_e32 v47, -1, v0
	v_add_nc_u32_e32 v48, 0x140, v51
	v_mov_b32_e32 v2, 0
	v_mov_b32_e32 v4, 0
	v_add_nc_u32_e32 v49, 16, v51
	s_mov_b32 s5, 0
	.p2align	6
.LBB19_41:                              ; =>This Inner Loop Header: Depth=1
	s_clause 0x3
	buffer_load_dword v56, v49, s[0:3], 0 offen offset:8
	buffer_load_dword v57, v49, s[0:3], 0 offen offset:12
	buffer_load_dword v58, v49, s[0:3], 0 offen
	buffer_load_dword v59, v49, s[0:3], 0 offen offset:4
	ds_read_b128 v[52:55], v48
	v_add_nc_u32_e32 v47, 1, v47
	v_add_nc_u32_e32 v48, 16, v48
	;; [unrolled: 1-line block ×3, first 2 shown]
	v_cmp_lt_u32_e32 vcc_lo, 5, v47
	s_or_b32 s5, vcc_lo, s5
	s_waitcnt vmcnt(2) lgkmcnt(0)
	v_mul_f64 v[60:61], v[54:55], v[56:57]
	v_mul_f64 v[56:57], v[52:53], v[56:57]
	s_waitcnt vmcnt(0)
	v_fma_f64 v[52:53], v[52:53], v[58:59], -v[60:61]
	v_fma_f64 v[54:55], v[54:55], v[58:59], v[56:57]
	v_add_f64 v[3:4], v[3:4], v[52:53]
	v_add_f64 v[1:2], v[1:2], v[54:55]
	s_andn2_b32 exec_lo, exec_lo, s5
	s_cbranch_execnz .LBB19_41
; %bb.42:
	s_or_b32 exec_lo, exec_lo, s5
	v_mov_b32_e32 v47, 0
	ds_read_b128 v[47:50], v47 offset:112
	s_waitcnt lgkmcnt(0)
	v_mul_f64 v[52:53], v[1:2], v[49:50]
	v_mul_f64 v[49:50], v[3:4], v[49:50]
	v_fma_f64 v[3:4], v[3:4], v[47:48], -v[52:53]
	v_fma_f64 v[1:2], v[1:2], v[47:48], v[49:50]
	buffer_store_dword v4, off, s[0:3], 0 offset:132
	buffer_store_dword v3, off, s[0:3], 0 offset:128
	;; [unrolled: 1-line block ×4, first 2 shown]
.LBB19_43:
	s_or_b32 exec_lo, exec_lo, s4
	v_mov_b32_e32 v4, s23
	s_waitcnt_vscnt null, 0x0
	s_barrier
	buffer_gl0_inv
	s_mov_b32 s4, exec_lo
	s_clause 0x3
	buffer_load_dword v1, v4, s[0:3], 0 offen
	buffer_load_dword v2, v4, s[0:3], 0 offen offset:4
	buffer_load_dword v3, v4, s[0:3], 0 offen offset:8
	;; [unrolled: 1-line block ×3, first 2 shown]
	s_waitcnt vmcnt(0)
	ds_write_b128 v45, v[1:4]
	s_waitcnt lgkmcnt(0)
	s_barrier
	buffer_gl0_inv
	v_cmpx_gt_u32_e32 8, v0
	s_cbranch_execz .LBB19_47
; %bb.44:
	v_mov_b32_e32 v1, 0
	v_mov_b32_e32 v3, 0
	v_add_nc_u32_e32 v47, -1, v0
	v_add_nc_u32_e32 v48, 0x140, v51
	v_mov_b32_e32 v2, 0
	v_mov_b32_e32 v4, 0
	v_add_nc_u32_e32 v49, 16, v51
	s_mov_b32 s5, 0
	.p2align	6
.LBB19_45:                              ; =>This Inner Loop Header: Depth=1
	s_clause 0x3
	buffer_load_dword v56, v49, s[0:3], 0 offen offset:8
	buffer_load_dword v57, v49, s[0:3], 0 offen offset:12
	buffer_load_dword v58, v49, s[0:3], 0 offen
	buffer_load_dword v59, v49, s[0:3], 0 offen offset:4
	ds_read_b128 v[52:55], v48
	v_add_nc_u32_e32 v47, 1, v47
	v_add_nc_u32_e32 v48, 16, v48
	v_add_nc_u32_e32 v49, 16, v49
	v_cmp_lt_u32_e32 vcc_lo, 6, v47
	s_or_b32 s5, vcc_lo, s5
	s_waitcnt vmcnt(2) lgkmcnt(0)
	v_mul_f64 v[60:61], v[54:55], v[56:57]
	v_mul_f64 v[56:57], v[52:53], v[56:57]
	s_waitcnt vmcnt(0)
	v_fma_f64 v[52:53], v[52:53], v[58:59], -v[60:61]
	v_fma_f64 v[54:55], v[54:55], v[58:59], v[56:57]
	v_add_f64 v[3:4], v[3:4], v[52:53]
	v_add_f64 v[1:2], v[1:2], v[54:55]
	s_andn2_b32 exec_lo, exec_lo, s5
	s_cbranch_execnz .LBB19_45
; %bb.46:
	s_or_b32 exec_lo, exec_lo, s5
	v_mov_b32_e32 v47, 0
	ds_read_b128 v[47:50], v47 offset:128
	s_waitcnt lgkmcnt(0)
	v_mul_f64 v[52:53], v[1:2], v[49:50]
	v_mul_f64 v[49:50], v[3:4], v[49:50]
	v_fma_f64 v[3:4], v[3:4], v[47:48], -v[52:53]
	v_fma_f64 v[1:2], v[1:2], v[47:48], v[49:50]
	buffer_store_dword v4, off, s[0:3], 0 offset:148
	buffer_store_dword v3, off, s[0:3], 0 offset:144
	;; [unrolled: 1-line block ×4, first 2 shown]
.LBB19_47:
	s_or_b32 exec_lo, exec_lo, s4
	v_mov_b32_e32 v4, s22
	s_waitcnt_vscnt null, 0x0
	s_barrier
	buffer_gl0_inv
	s_mov_b32 s4, exec_lo
	s_clause 0x3
	buffer_load_dword v1, v4, s[0:3], 0 offen
	buffer_load_dword v2, v4, s[0:3], 0 offen offset:4
	buffer_load_dword v3, v4, s[0:3], 0 offen offset:8
	;; [unrolled: 1-line block ×3, first 2 shown]
	s_waitcnt vmcnt(0)
	ds_write_b128 v45, v[1:4]
	s_waitcnt lgkmcnt(0)
	s_barrier
	buffer_gl0_inv
	v_cmpx_gt_u32_e32 9, v0
	s_cbranch_execz .LBB19_51
; %bb.48:
	v_mov_b32_e32 v1, 0
	v_mov_b32_e32 v3, 0
	v_add_nc_u32_e32 v47, -1, v0
	v_add_nc_u32_e32 v48, 0x140, v51
	v_mov_b32_e32 v2, 0
	v_mov_b32_e32 v4, 0
	v_add_nc_u32_e32 v49, 16, v51
	s_mov_b32 s5, 0
	.p2align	6
.LBB19_49:                              ; =>This Inner Loop Header: Depth=1
	s_clause 0x3
	buffer_load_dword v56, v49, s[0:3], 0 offen offset:8
	buffer_load_dword v57, v49, s[0:3], 0 offen offset:12
	buffer_load_dword v58, v49, s[0:3], 0 offen
	buffer_load_dword v59, v49, s[0:3], 0 offen offset:4
	ds_read_b128 v[52:55], v48
	v_add_nc_u32_e32 v47, 1, v47
	v_add_nc_u32_e32 v48, 16, v48
	;; [unrolled: 1-line block ×3, first 2 shown]
	v_cmp_lt_u32_e32 vcc_lo, 7, v47
	s_or_b32 s5, vcc_lo, s5
	s_waitcnt vmcnt(2) lgkmcnt(0)
	v_mul_f64 v[60:61], v[54:55], v[56:57]
	v_mul_f64 v[56:57], v[52:53], v[56:57]
	s_waitcnt vmcnt(0)
	v_fma_f64 v[52:53], v[52:53], v[58:59], -v[60:61]
	v_fma_f64 v[54:55], v[54:55], v[58:59], v[56:57]
	v_add_f64 v[3:4], v[3:4], v[52:53]
	v_add_f64 v[1:2], v[1:2], v[54:55]
	s_andn2_b32 exec_lo, exec_lo, s5
	s_cbranch_execnz .LBB19_49
; %bb.50:
	s_or_b32 exec_lo, exec_lo, s5
	v_mov_b32_e32 v47, 0
	ds_read_b128 v[47:50], v47 offset:144
	s_waitcnt lgkmcnt(0)
	v_mul_f64 v[52:53], v[1:2], v[49:50]
	v_mul_f64 v[49:50], v[3:4], v[49:50]
	v_fma_f64 v[3:4], v[3:4], v[47:48], -v[52:53]
	v_fma_f64 v[1:2], v[1:2], v[47:48], v[49:50]
	buffer_store_dword v4, off, s[0:3], 0 offset:164
	buffer_store_dword v3, off, s[0:3], 0 offset:160
	buffer_store_dword v2, off, s[0:3], 0 offset:172
	buffer_store_dword v1, off, s[0:3], 0 offset:168
.LBB19_51:
	s_or_b32 exec_lo, exec_lo, s4
	v_mov_b32_e32 v4, s19
	s_waitcnt_vscnt null, 0x0
	s_barrier
	buffer_gl0_inv
	s_mov_b32 s4, exec_lo
	s_clause 0x3
	buffer_load_dword v1, v4, s[0:3], 0 offen
	buffer_load_dword v2, v4, s[0:3], 0 offen offset:4
	buffer_load_dword v3, v4, s[0:3], 0 offen offset:8
	buffer_load_dword v4, v4, s[0:3], 0 offen offset:12
	s_waitcnt vmcnt(0)
	ds_write_b128 v45, v[1:4]
	s_waitcnt lgkmcnt(0)
	s_barrier
	buffer_gl0_inv
	v_cmpx_gt_u32_e32 10, v0
	s_cbranch_execz .LBB19_55
; %bb.52:
	v_mov_b32_e32 v1, 0
	v_mov_b32_e32 v3, 0
	v_add_nc_u32_e32 v47, -1, v0
	v_add_nc_u32_e32 v48, 0x140, v51
	v_mov_b32_e32 v2, 0
	v_mov_b32_e32 v4, 0
	v_add_nc_u32_e32 v49, 16, v51
	s_mov_b32 s5, 0
	.p2align	6
.LBB19_53:                              ; =>This Inner Loop Header: Depth=1
	s_clause 0x3
	buffer_load_dword v56, v49, s[0:3], 0 offen offset:8
	buffer_load_dword v57, v49, s[0:3], 0 offen offset:12
	buffer_load_dword v58, v49, s[0:3], 0 offen
	buffer_load_dword v59, v49, s[0:3], 0 offen offset:4
	ds_read_b128 v[52:55], v48
	v_add_nc_u32_e32 v47, 1, v47
	v_add_nc_u32_e32 v48, 16, v48
	;; [unrolled: 1-line block ×3, first 2 shown]
	v_cmp_lt_u32_e32 vcc_lo, 8, v47
	s_or_b32 s5, vcc_lo, s5
	s_waitcnt vmcnt(2) lgkmcnt(0)
	v_mul_f64 v[60:61], v[54:55], v[56:57]
	v_mul_f64 v[56:57], v[52:53], v[56:57]
	s_waitcnt vmcnt(0)
	v_fma_f64 v[52:53], v[52:53], v[58:59], -v[60:61]
	v_fma_f64 v[54:55], v[54:55], v[58:59], v[56:57]
	v_add_f64 v[3:4], v[3:4], v[52:53]
	v_add_f64 v[1:2], v[1:2], v[54:55]
	s_andn2_b32 exec_lo, exec_lo, s5
	s_cbranch_execnz .LBB19_53
; %bb.54:
	s_or_b32 exec_lo, exec_lo, s5
	v_mov_b32_e32 v47, 0
	ds_read_b128 v[47:50], v47 offset:160
	s_waitcnt lgkmcnt(0)
	v_mul_f64 v[52:53], v[1:2], v[49:50]
	v_mul_f64 v[49:50], v[3:4], v[49:50]
	v_fma_f64 v[3:4], v[3:4], v[47:48], -v[52:53]
	v_fma_f64 v[1:2], v[1:2], v[47:48], v[49:50]
	buffer_store_dword v4, off, s[0:3], 0 offset:180
	buffer_store_dword v3, off, s[0:3], 0 offset:176
	;; [unrolled: 1-line block ×4, first 2 shown]
.LBB19_55:
	s_or_b32 exec_lo, exec_lo, s4
	v_mov_b32_e32 v4, s18
	s_waitcnt_vscnt null, 0x0
	s_barrier
	buffer_gl0_inv
	s_mov_b32 s4, exec_lo
	s_clause 0x3
	buffer_load_dword v1, v4, s[0:3], 0 offen
	buffer_load_dword v2, v4, s[0:3], 0 offen offset:4
	buffer_load_dword v3, v4, s[0:3], 0 offen offset:8
	;; [unrolled: 1-line block ×3, first 2 shown]
	s_waitcnt vmcnt(0)
	ds_write_b128 v45, v[1:4]
	s_waitcnt lgkmcnt(0)
	s_barrier
	buffer_gl0_inv
	v_cmpx_gt_u32_e32 11, v0
	s_cbranch_execz .LBB19_59
; %bb.56:
	v_mov_b32_e32 v1, 0
	v_mov_b32_e32 v3, 0
	v_add_nc_u32_e32 v47, -1, v0
	v_add_nc_u32_e32 v48, 0x140, v51
	v_mov_b32_e32 v2, 0
	v_mov_b32_e32 v4, 0
	v_add_nc_u32_e32 v49, 16, v51
	s_mov_b32 s5, 0
	.p2align	6
.LBB19_57:                              ; =>This Inner Loop Header: Depth=1
	s_clause 0x3
	buffer_load_dword v56, v49, s[0:3], 0 offen offset:8
	buffer_load_dword v57, v49, s[0:3], 0 offen offset:12
	buffer_load_dword v58, v49, s[0:3], 0 offen
	buffer_load_dword v59, v49, s[0:3], 0 offen offset:4
	ds_read_b128 v[52:55], v48
	v_add_nc_u32_e32 v47, 1, v47
	v_add_nc_u32_e32 v48, 16, v48
	;; [unrolled: 1-line block ×3, first 2 shown]
	v_cmp_lt_u32_e32 vcc_lo, 9, v47
	s_or_b32 s5, vcc_lo, s5
	s_waitcnt vmcnt(2) lgkmcnt(0)
	v_mul_f64 v[60:61], v[54:55], v[56:57]
	v_mul_f64 v[56:57], v[52:53], v[56:57]
	s_waitcnt vmcnt(0)
	v_fma_f64 v[52:53], v[52:53], v[58:59], -v[60:61]
	v_fma_f64 v[54:55], v[54:55], v[58:59], v[56:57]
	v_add_f64 v[3:4], v[3:4], v[52:53]
	v_add_f64 v[1:2], v[1:2], v[54:55]
	s_andn2_b32 exec_lo, exec_lo, s5
	s_cbranch_execnz .LBB19_57
; %bb.58:
	s_or_b32 exec_lo, exec_lo, s5
	v_mov_b32_e32 v47, 0
	ds_read_b128 v[47:50], v47 offset:176
	s_waitcnt lgkmcnt(0)
	v_mul_f64 v[52:53], v[1:2], v[49:50]
	v_mul_f64 v[49:50], v[3:4], v[49:50]
	v_fma_f64 v[3:4], v[3:4], v[47:48], -v[52:53]
	v_fma_f64 v[1:2], v[1:2], v[47:48], v[49:50]
	buffer_store_dword v4, off, s[0:3], 0 offset:196
	buffer_store_dword v3, off, s[0:3], 0 offset:192
	;; [unrolled: 1-line block ×4, first 2 shown]
.LBB19_59:
	s_or_b32 exec_lo, exec_lo, s4
	v_mov_b32_e32 v4, s17
	s_waitcnt_vscnt null, 0x0
	s_barrier
	buffer_gl0_inv
	s_mov_b32 s4, exec_lo
	s_clause 0x3
	buffer_load_dword v1, v4, s[0:3], 0 offen
	buffer_load_dword v2, v4, s[0:3], 0 offen offset:4
	buffer_load_dword v3, v4, s[0:3], 0 offen offset:8
	buffer_load_dword v4, v4, s[0:3], 0 offen offset:12
	s_waitcnt vmcnt(0)
	ds_write_b128 v45, v[1:4]
	s_waitcnt lgkmcnt(0)
	s_barrier
	buffer_gl0_inv
	v_cmpx_gt_u32_e32 12, v0
	s_cbranch_execz .LBB19_63
; %bb.60:
	v_mov_b32_e32 v1, 0
	v_mov_b32_e32 v3, 0
	v_add_nc_u32_e32 v47, -1, v0
	v_add_nc_u32_e32 v48, 0x140, v51
	v_mov_b32_e32 v2, 0
	v_mov_b32_e32 v4, 0
	v_add_nc_u32_e32 v49, 16, v51
	s_mov_b32 s5, 0
	.p2align	6
.LBB19_61:                              ; =>This Inner Loop Header: Depth=1
	s_clause 0x3
	buffer_load_dword v56, v49, s[0:3], 0 offen offset:8
	buffer_load_dword v57, v49, s[0:3], 0 offen offset:12
	buffer_load_dword v58, v49, s[0:3], 0 offen
	buffer_load_dword v59, v49, s[0:3], 0 offen offset:4
	ds_read_b128 v[52:55], v48
	v_add_nc_u32_e32 v47, 1, v47
	v_add_nc_u32_e32 v48, 16, v48
	;; [unrolled: 1-line block ×3, first 2 shown]
	v_cmp_lt_u32_e32 vcc_lo, 10, v47
	s_or_b32 s5, vcc_lo, s5
	s_waitcnt vmcnt(2) lgkmcnt(0)
	v_mul_f64 v[60:61], v[54:55], v[56:57]
	v_mul_f64 v[56:57], v[52:53], v[56:57]
	s_waitcnt vmcnt(0)
	v_fma_f64 v[52:53], v[52:53], v[58:59], -v[60:61]
	v_fma_f64 v[54:55], v[54:55], v[58:59], v[56:57]
	v_add_f64 v[3:4], v[3:4], v[52:53]
	v_add_f64 v[1:2], v[1:2], v[54:55]
	s_andn2_b32 exec_lo, exec_lo, s5
	s_cbranch_execnz .LBB19_61
; %bb.62:
	s_or_b32 exec_lo, exec_lo, s5
	v_mov_b32_e32 v47, 0
	ds_read_b128 v[47:50], v47 offset:192
	s_waitcnt lgkmcnt(0)
	v_mul_f64 v[52:53], v[1:2], v[49:50]
	v_mul_f64 v[49:50], v[3:4], v[49:50]
	v_fma_f64 v[3:4], v[3:4], v[47:48], -v[52:53]
	v_fma_f64 v[1:2], v[1:2], v[47:48], v[49:50]
	buffer_store_dword v4, off, s[0:3], 0 offset:212
	buffer_store_dword v3, off, s[0:3], 0 offset:208
	;; [unrolled: 1-line block ×4, first 2 shown]
.LBB19_63:
	s_or_b32 exec_lo, exec_lo, s4
	v_mov_b32_e32 v4, s16
	s_waitcnt_vscnt null, 0x0
	s_barrier
	buffer_gl0_inv
	s_mov_b32 s4, exec_lo
	s_clause 0x3
	buffer_load_dword v1, v4, s[0:3], 0 offen
	buffer_load_dword v2, v4, s[0:3], 0 offen offset:4
	buffer_load_dword v3, v4, s[0:3], 0 offen offset:8
	;; [unrolled: 1-line block ×3, first 2 shown]
	s_waitcnt vmcnt(0)
	ds_write_b128 v45, v[1:4]
	s_waitcnt lgkmcnt(0)
	s_barrier
	buffer_gl0_inv
	v_cmpx_gt_u32_e32 13, v0
	s_cbranch_execz .LBB19_67
; %bb.64:
	v_mov_b32_e32 v1, 0
	v_mov_b32_e32 v3, 0
	v_add_nc_u32_e32 v47, -1, v0
	v_add_nc_u32_e32 v48, 0x140, v51
	v_mov_b32_e32 v2, 0
	v_mov_b32_e32 v4, 0
	v_add_nc_u32_e32 v49, 16, v51
	s_mov_b32 s5, 0
	.p2align	6
.LBB19_65:                              ; =>This Inner Loop Header: Depth=1
	s_clause 0x3
	buffer_load_dword v56, v49, s[0:3], 0 offen offset:8
	buffer_load_dword v57, v49, s[0:3], 0 offen offset:12
	buffer_load_dword v58, v49, s[0:3], 0 offen
	buffer_load_dword v59, v49, s[0:3], 0 offen offset:4
	ds_read_b128 v[52:55], v48
	v_add_nc_u32_e32 v47, 1, v47
	v_add_nc_u32_e32 v48, 16, v48
	;; [unrolled: 1-line block ×3, first 2 shown]
	v_cmp_lt_u32_e32 vcc_lo, 11, v47
	s_or_b32 s5, vcc_lo, s5
	s_waitcnt vmcnt(2) lgkmcnt(0)
	v_mul_f64 v[60:61], v[54:55], v[56:57]
	v_mul_f64 v[56:57], v[52:53], v[56:57]
	s_waitcnt vmcnt(0)
	v_fma_f64 v[52:53], v[52:53], v[58:59], -v[60:61]
	v_fma_f64 v[54:55], v[54:55], v[58:59], v[56:57]
	v_add_f64 v[3:4], v[3:4], v[52:53]
	v_add_f64 v[1:2], v[1:2], v[54:55]
	s_andn2_b32 exec_lo, exec_lo, s5
	s_cbranch_execnz .LBB19_65
; %bb.66:
	s_or_b32 exec_lo, exec_lo, s5
	v_mov_b32_e32 v47, 0
	ds_read_b128 v[47:50], v47 offset:208
	s_waitcnt lgkmcnt(0)
	v_mul_f64 v[52:53], v[1:2], v[49:50]
	v_mul_f64 v[49:50], v[3:4], v[49:50]
	v_fma_f64 v[3:4], v[3:4], v[47:48], -v[52:53]
	v_fma_f64 v[1:2], v[1:2], v[47:48], v[49:50]
	buffer_store_dword v4, off, s[0:3], 0 offset:228
	buffer_store_dword v3, off, s[0:3], 0 offset:224
	;; [unrolled: 1-line block ×4, first 2 shown]
.LBB19_67:
	s_or_b32 exec_lo, exec_lo, s4
	v_mov_b32_e32 v4, s15
	s_waitcnt_vscnt null, 0x0
	s_barrier
	buffer_gl0_inv
	s_mov_b32 s4, exec_lo
	s_clause 0x3
	buffer_load_dword v1, v4, s[0:3], 0 offen
	buffer_load_dword v2, v4, s[0:3], 0 offen offset:4
	buffer_load_dword v3, v4, s[0:3], 0 offen offset:8
	buffer_load_dword v4, v4, s[0:3], 0 offen offset:12
	s_waitcnt vmcnt(0)
	ds_write_b128 v45, v[1:4]
	s_waitcnt lgkmcnt(0)
	s_barrier
	buffer_gl0_inv
	v_cmpx_gt_u32_e32 14, v0
	s_cbranch_execz .LBB19_71
; %bb.68:
	v_mov_b32_e32 v1, 0
	v_mov_b32_e32 v3, 0
	v_add_nc_u32_e32 v47, -1, v0
	v_add_nc_u32_e32 v48, 0x140, v51
	v_mov_b32_e32 v2, 0
	v_mov_b32_e32 v4, 0
	v_add_nc_u32_e32 v49, 16, v51
	s_mov_b32 s5, 0
	.p2align	6
.LBB19_69:                              ; =>This Inner Loop Header: Depth=1
	s_clause 0x3
	buffer_load_dword v56, v49, s[0:3], 0 offen offset:8
	buffer_load_dword v57, v49, s[0:3], 0 offen offset:12
	buffer_load_dword v58, v49, s[0:3], 0 offen
	buffer_load_dword v59, v49, s[0:3], 0 offen offset:4
	ds_read_b128 v[52:55], v48
	v_add_nc_u32_e32 v47, 1, v47
	v_add_nc_u32_e32 v48, 16, v48
	;; [unrolled: 1-line block ×3, first 2 shown]
	v_cmp_lt_u32_e32 vcc_lo, 12, v47
	s_or_b32 s5, vcc_lo, s5
	s_waitcnt vmcnt(2) lgkmcnt(0)
	v_mul_f64 v[60:61], v[54:55], v[56:57]
	v_mul_f64 v[56:57], v[52:53], v[56:57]
	s_waitcnt vmcnt(0)
	v_fma_f64 v[52:53], v[52:53], v[58:59], -v[60:61]
	v_fma_f64 v[54:55], v[54:55], v[58:59], v[56:57]
	v_add_f64 v[3:4], v[3:4], v[52:53]
	v_add_f64 v[1:2], v[1:2], v[54:55]
	s_andn2_b32 exec_lo, exec_lo, s5
	s_cbranch_execnz .LBB19_69
; %bb.70:
	s_or_b32 exec_lo, exec_lo, s5
	v_mov_b32_e32 v47, 0
	ds_read_b128 v[47:50], v47 offset:224
	s_waitcnt lgkmcnt(0)
	v_mul_f64 v[52:53], v[1:2], v[49:50]
	v_mul_f64 v[49:50], v[3:4], v[49:50]
	v_fma_f64 v[3:4], v[3:4], v[47:48], -v[52:53]
	v_fma_f64 v[1:2], v[1:2], v[47:48], v[49:50]
	buffer_store_dword v4, off, s[0:3], 0 offset:244
	buffer_store_dword v3, off, s[0:3], 0 offset:240
	buffer_store_dword v2, off, s[0:3], 0 offset:252
	buffer_store_dword v1, off, s[0:3], 0 offset:248
.LBB19_71:
	s_or_b32 exec_lo, exec_lo, s4
	v_mov_b32_e32 v4, s14
	s_waitcnt_vscnt null, 0x0
	s_barrier
	buffer_gl0_inv
	s_mov_b32 s4, exec_lo
	s_clause 0x3
	buffer_load_dword v1, v4, s[0:3], 0 offen
	buffer_load_dword v2, v4, s[0:3], 0 offen offset:4
	buffer_load_dword v3, v4, s[0:3], 0 offen offset:8
	;; [unrolled: 1-line block ×3, first 2 shown]
	s_waitcnt vmcnt(0)
	ds_write_b128 v45, v[1:4]
	s_waitcnt lgkmcnt(0)
	s_barrier
	buffer_gl0_inv
	v_cmpx_gt_u32_e32 15, v0
	s_cbranch_execz .LBB19_75
; %bb.72:
	v_mov_b32_e32 v1, 0
	v_mov_b32_e32 v3, 0
	v_add_nc_u32_e32 v47, -1, v0
	v_add_nc_u32_e32 v48, 0x140, v51
	v_mov_b32_e32 v2, 0
	v_mov_b32_e32 v4, 0
	v_add_nc_u32_e32 v49, 16, v51
	s_mov_b32 s5, 0
	.p2align	6
.LBB19_73:                              ; =>This Inner Loop Header: Depth=1
	s_clause 0x3
	buffer_load_dword v56, v49, s[0:3], 0 offen offset:8
	buffer_load_dword v57, v49, s[0:3], 0 offen offset:12
	buffer_load_dword v58, v49, s[0:3], 0 offen
	buffer_load_dword v59, v49, s[0:3], 0 offen offset:4
	ds_read_b128 v[52:55], v48
	v_add_nc_u32_e32 v47, 1, v47
	v_add_nc_u32_e32 v48, 16, v48
	;; [unrolled: 1-line block ×3, first 2 shown]
	v_cmp_lt_u32_e32 vcc_lo, 13, v47
	s_or_b32 s5, vcc_lo, s5
	s_waitcnt vmcnt(2) lgkmcnt(0)
	v_mul_f64 v[60:61], v[54:55], v[56:57]
	v_mul_f64 v[56:57], v[52:53], v[56:57]
	s_waitcnt vmcnt(0)
	v_fma_f64 v[52:53], v[52:53], v[58:59], -v[60:61]
	v_fma_f64 v[54:55], v[54:55], v[58:59], v[56:57]
	v_add_f64 v[3:4], v[3:4], v[52:53]
	v_add_f64 v[1:2], v[1:2], v[54:55]
	s_andn2_b32 exec_lo, exec_lo, s5
	s_cbranch_execnz .LBB19_73
; %bb.74:
	s_or_b32 exec_lo, exec_lo, s5
	v_mov_b32_e32 v47, 0
	ds_read_b128 v[47:50], v47 offset:240
	s_waitcnt lgkmcnt(0)
	v_mul_f64 v[52:53], v[1:2], v[49:50]
	v_mul_f64 v[49:50], v[3:4], v[49:50]
	v_fma_f64 v[3:4], v[3:4], v[47:48], -v[52:53]
	v_fma_f64 v[1:2], v[1:2], v[47:48], v[49:50]
	buffer_store_dword v4, off, s[0:3], 0 offset:260
	buffer_store_dword v3, off, s[0:3], 0 offset:256
	buffer_store_dword v2, off, s[0:3], 0 offset:268
	buffer_store_dword v1, off, s[0:3], 0 offset:264
.LBB19_75:
	s_or_b32 exec_lo, exec_lo, s4
	v_mov_b32_e32 v4, s13
	s_waitcnt_vscnt null, 0x0
	s_barrier
	buffer_gl0_inv
	s_mov_b32 s4, exec_lo
	s_clause 0x3
	buffer_load_dword v1, v4, s[0:3], 0 offen
	buffer_load_dword v2, v4, s[0:3], 0 offen offset:4
	buffer_load_dword v3, v4, s[0:3], 0 offen offset:8
	;; [unrolled: 1-line block ×3, first 2 shown]
	s_waitcnt vmcnt(0)
	ds_write_b128 v45, v[1:4]
	s_waitcnt lgkmcnt(0)
	s_barrier
	buffer_gl0_inv
	v_cmpx_gt_u32_e32 16, v0
	s_cbranch_execz .LBB19_79
; %bb.76:
	v_mov_b32_e32 v1, 0
	v_mov_b32_e32 v3, 0
	v_add_nc_u32_e32 v47, -1, v0
	v_add_nc_u32_e32 v48, 0x140, v51
	v_mov_b32_e32 v2, 0
	v_mov_b32_e32 v4, 0
	v_add_nc_u32_e32 v49, 16, v51
	s_mov_b32 s5, 0
	.p2align	6
.LBB19_77:                              ; =>This Inner Loop Header: Depth=1
	s_clause 0x3
	buffer_load_dword v56, v49, s[0:3], 0 offen offset:8
	buffer_load_dword v57, v49, s[0:3], 0 offen offset:12
	buffer_load_dword v58, v49, s[0:3], 0 offen
	buffer_load_dword v59, v49, s[0:3], 0 offen offset:4
	ds_read_b128 v[52:55], v48
	v_add_nc_u32_e32 v47, 1, v47
	v_add_nc_u32_e32 v48, 16, v48
	;; [unrolled: 1-line block ×3, first 2 shown]
	v_cmp_lt_u32_e32 vcc_lo, 14, v47
	s_or_b32 s5, vcc_lo, s5
	s_waitcnt vmcnt(2) lgkmcnt(0)
	v_mul_f64 v[60:61], v[54:55], v[56:57]
	v_mul_f64 v[56:57], v[52:53], v[56:57]
	s_waitcnt vmcnt(0)
	v_fma_f64 v[52:53], v[52:53], v[58:59], -v[60:61]
	v_fma_f64 v[54:55], v[54:55], v[58:59], v[56:57]
	v_add_f64 v[3:4], v[3:4], v[52:53]
	v_add_f64 v[1:2], v[1:2], v[54:55]
	s_andn2_b32 exec_lo, exec_lo, s5
	s_cbranch_execnz .LBB19_77
; %bb.78:
	s_or_b32 exec_lo, exec_lo, s5
	v_mov_b32_e32 v47, 0
	ds_read_b128 v[47:50], v47 offset:256
	s_waitcnt lgkmcnt(0)
	v_mul_f64 v[52:53], v[1:2], v[49:50]
	v_mul_f64 v[49:50], v[3:4], v[49:50]
	v_fma_f64 v[3:4], v[3:4], v[47:48], -v[52:53]
	v_fma_f64 v[1:2], v[1:2], v[47:48], v[49:50]
	buffer_store_dword v4, off, s[0:3], 0 offset:276
	buffer_store_dword v3, off, s[0:3], 0 offset:272
	;; [unrolled: 1-line block ×4, first 2 shown]
.LBB19_79:
	s_or_b32 exec_lo, exec_lo, s4
	v_mov_b32_e32 v4, s12
	s_waitcnt_vscnt null, 0x0
	s_barrier
	buffer_gl0_inv
	s_mov_b32 s4, exec_lo
	s_clause 0x3
	buffer_load_dword v1, v4, s[0:3], 0 offen
	buffer_load_dword v2, v4, s[0:3], 0 offen offset:4
	buffer_load_dword v3, v4, s[0:3], 0 offen offset:8
	;; [unrolled: 1-line block ×3, first 2 shown]
	s_waitcnt vmcnt(0)
	ds_write_b128 v45, v[1:4]
	s_waitcnt lgkmcnt(0)
	s_barrier
	buffer_gl0_inv
	v_cmpx_gt_u32_e32 17, v0
	s_cbranch_execz .LBB19_83
; %bb.80:
	v_mov_b32_e32 v1, 0
	v_mov_b32_e32 v3, 0
	v_add_nc_u32_e32 v47, -1, v0
	v_add_nc_u32_e32 v48, 0x140, v51
	v_mov_b32_e32 v2, 0
	v_mov_b32_e32 v4, 0
	v_add_nc_u32_e32 v49, 16, v51
	s_mov_b32 s5, 0
	.p2align	6
.LBB19_81:                              ; =>This Inner Loop Header: Depth=1
	s_clause 0x3
	buffer_load_dword v56, v49, s[0:3], 0 offen offset:8
	buffer_load_dword v57, v49, s[0:3], 0 offen offset:12
	buffer_load_dword v58, v49, s[0:3], 0 offen
	buffer_load_dword v59, v49, s[0:3], 0 offen offset:4
	ds_read_b128 v[52:55], v48
	v_add_nc_u32_e32 v47, 1, v47
	v_add_nc_u32_e32 v48, 16, v48
	;; [unrolled: 1-line block ×3, first 2 shown]
	v_cmp_lt_u32_e32 vcc_lo, 15, v47
	s_or_b32 s5, vcc_lo, s5
	s_waitcnt vmcnt(2) lgkmcnt(0)
	v_mul_f64 v[60:61], v[54:55], v[56:57]
	v_mul_f64 v[56:57], v[52:53], v[56:57]
	s_waitcnt vmcnt(0)
	v_fma_f64 v[52:53], v[52:53], v[58:59], -v[60:61]
	v_fma_f64 v[54:55], v[54:55], v[58:59], v[56:57]
	v_add_f64 v[3:4], v[3:4], v[52:53]
	v_add_f64 v[1:2], v[1:2], v[54:55]
	s_andn2_b32 exec_lo, exec_lo, s5
	s_cbranch_execnz .LBB19_81
; %bb.82:
	s_or_b32 exec_lo, exec_lo, s5
	v_mov_b32_e32 v47, 0
	ds_read_b128 v[47:50], v47 offset:272
	s_waitcnt lgkmcnt(0)
	v_mul_f64 v[52:53], v[1:2], v[49:50]
	v_mul_f64 v[49:50], v[3:4], v[49:50]
	v_fma_f64 v[3:4], v[3:4], v[47:48], -v[52:53]
	v_fma_f64 v[1:2], v[1:2], v[47:48], v[49:50]
	buffer_store_dword v4, off, s[0:3], 0 offset:292
	buffer_store_dword v3, off, s[0:3], 0 offset:288
	;; [unrolled: 1-line block ×4, first 2 shown]
.LBB19_83:
	s_or_b32 exec_lo, exec_lo, s4
	v_mov_b32_e32 v4, s9
	s_waitcnt_vscnt null, 0x0
	s_barrier
	buffer_gl0_inv
	s_mov_b32 s4, exec_lo
	s_clause 0x3
	buffer_load_dword v1, v4, s[0:3], 0 offen
	buffer_load_dword v2, v4, s[0:3], 0 offen offset:4
	buffer_load_dword v3, v4, s[0:3], 0 offen offset:8
	;; [unrolled: 1-line block ×3, first 2 shown]
	s_waitcnt vmcnt(0)
	ds_write_b128 v45, v[1:4]
	s_waitcnt lgkmcnt(0)
	s_barrier
	buffer_gl0_inv
	v_cmpx_gt_u32_e32 18, v0
	s_cbranch_execz .LBB19_87
; %bb.84:
	v_mov_b32_e32 v1, 0
	v_mov_b32_e32 v3, 0
	v_add_nc_u32_e32 v47, -1, v0
	v_add_nc_u32_e32 v48, 0x140, v51
	v_mov_b32_e32 v2, 0
	v_mov_b32_e32 v4, 0
	v_add_nc_u32_e32 v49, 16, v51
	s_mov_b32 s5, 0
	.p2align	6
.LBB19_85:                              ; =>This Inner Loop Header: Depth=1
	s_clause 0x3
	buffer_load_dword v56, v49, s[0:3], 0 offen offset:8
	buffer_load_dword v57, v49, s[0:3], 0 offen offset:12
	buffer_load_dword v58, v49, s[0:3], 0 offen
	buffer_load_dword v59, v49, s[0:3], 0 offen offset:4
	ds_read_b128 v[52:55], v48
	v_add_nc_u32_e32 v47, 1, v47
	v_add_nc_u32_e32 v48, 16, v48
	;; [unrolled: 1-line block ×3, first 2 shown]
	v_cmp_lt_u32_e32 vcc_lo, 16, v47
	s_or_b32 s5, vcc_lo, s5
	s_waitcnt vmcnt(2) lgkmcnt(0)
	v_mul_f64 v[60:61], v[54:55], v[56:57]
	v_mul_f64 v[56:57], v[52:53], v[56:57]
	s_waitcnt vmcnt(0)
	v_fma_f64 v[52:53], v[52:53], v[58:59], -v[60:61]
	v_fma_f64 v[54:55], v[54:55], v[58:59], v[56:57]
	v_add_f64 v[3:4], v[3:4], v[52:53]
	v_add_f64 v[1:2], v[1:2], v[54:55]
	s_andn2_b32 exec_lo, exec_lo, s5
	s_cbranch_execnz .LBB19_85
; %bb.86:
	s_or_b32 exec_lo, exec_lo, s5
	v_mov_b32_e32 v47, 0
	ds_read_b128 v[47:50], v47 offset:288
	s_waitcnt lgkmcnt(0)
	v_mul_f64 v[52:53], v[1:2], v[49:50]
	v_mul_f64 v[49:50], v[3:4], v[49:50]
	v_fma_f64 v[3:4], v[3:4], v[47:48], -v[52:53]
	v_fma_f64 v[1:2], v[1:2], v[47:48], v[49:50]
	buffer_store_dword v4, off, s[0:3], 0 offset:308
	buffer_store_dword v3, off, s[0:3], 0 offset:304
	;; [unrolled: 1-line block ×4, first 2 shown]
.LBB19_87:
	s_or_b32 exec_lo, exec_lo, s4
	v_mov_b32_e32 v4, s8
	s_waitcnt_vscnt null, 0x0
	s_barrier
	buffer_gl0_inv
	s_mov_b32 s4, exec_lo
	s_clause 0x3
	buffer_load_dword v1, v4, s[0:3], 0 offen
	buffer_load_dword v2, v4, s[0:3], 0 offen offset:4
	buffer_load_dword v3, v4, s[0:3], 0 offen offset:8
	;; [unrolled: 1-line block ×3, first 2 shown]
	s_waitcnt vmcnt(0)
	ds_write_b128 v45, v[1:4]
	s_waitcnt lgkmcnt(0)
	s_barrier
	buffer_gl0_inv
	v_cmpx_ne_u32_e32 19, v0
	s_cbranch_execz .LBB19_91
; %bb.88:
	v_mov_b32_e32 v1, 0
	v_mov_b32_e32 v3, 0
	;; [unrolled: 1-line block ×4, first 2 shown]
	v_add_nc_u32_e32 v47, 16, v51
	s_mov_b32 s5, 0
	.p2align	6
.LBB19_89:                              ; =>This Inner Loop Header: Depth=1
	s_clause 0x3
	buffer_load_dword v52, v47, s[0:3], 0 offen offset:8
	buffer_load_dword v53, v47, s[0:3], 0 offen offset:12
	buffer_load_dword v54, v47, s[0:3], 0 offen
	buffer_load_dword v55, v47, s[0:3], 0 offen offset:4
	ds_read_b128 v[48:51], v45
	v_add_nc_u32_e32 v46, 1, v46
	v_add_nc_u32_e32 v45, 16, v45
	;; [unrolled: 1-line block ×3, first 2 shown]
	v_cmp_lt_u32_e32 vcc_lo, 17, v46
	s_or_b32 s5, vcc_lo, s5
	s_waitcnt vmcnt(2) lgkmcnt(0)
	v_mul_f64 v[56:57], v[50:51], v[52:53]
	v_mul_f64 v[52:53], v[48:49], v[52:53]
	s_waitcnt vmcnt(0)
	v_fma_f64 v[48:49], v[48:49], v[54:55], -v[56:57]
	v_fma_f64 v[50:51], v[50:51], v[54:55], v[52:53]
	v_add_f64 v[3:4], v[3:4], v[48:49]
	v_add_f64 v[1:2], v[1:2], v[50:51]
	s_andn2_b32 exec_lo, exec_lo, s5
	s_cbranch_execnz .LBB19_89
; %bb.90:
	s_or_b32 exec_lo, exec_lo, s5
	v_mov_b32_e32 v45, 0
	ds_read_b128 v[45:48], v45 offset:304
	s_waitcnt lgkmcnt(0)
	v_mul_f64 v[49:50], v[1:2], v[47:48]
	v_mul_f64 v[47:48], v[3:4], v[47:48]
	v_fma_f64 v[3:4], v[3:4], v[45:46], -v[49:50]
	v_fma_f64 v[1:2], v[1:2], v[45:46], v[47:48]
	buffer_store_dword v4, off, s[0:3], 0 offset:324
	buffer_store_dword v3, off, s[0:3], 0 offset:320
	;; [unrolled: 1-line block ×4, first 2 shown]
.LBB19_91:
	s_or_b32 exec_lo, exec_lo, s4
	s_mov_b32 s5, -1
	s_waitcnt_vscnt null, 0x0
	s_barrier
	buffer_gl0_inv
.LBB19_92:
	s_and_b32 vcc_lo, exec_lo, s5
	s_cbranch_vccz .LBB19_94
; %bb.93:
	s_lshl_b64 s[4:5], s[6:7], 2
	v_mov_b32_e32 v1, 0
	s_add_u32 s4, s10, s4
	s_addc_u32 s5, s11, s5
	global_load_dword v1, v1, s[4:5]
	s_waitcnt vmcnt(0)
	v_cmp_ne_u32_e32 vcc_lo, 0, v1
	s_cbranch_vccz .LBB19_95
.LBB19_94:
	s_endpgm
.LBB19_95:
	v_lshl_add_u32 v1, v0, 4, 0x140
	s_mov_b32 s4, exec_lo
	v_cmpx_eq_u32_e32 19, v0
	s_cbranch_execz .LBB19_97
; %bb.96:
	v_mov_b32_e32 v2, s9
	s_clause 0x3
	buffer_load_dword v45, v2, s[0:3], 0 offen
	buffer_load_dword v46, v2, s[0:3], 0 offen offset:4
	buffer_load_dword v47, v2, s[0:3], 0 offen offset:8
	;; [unrolled: 1-line block ×3, first 2 shown]
	v_mov_b32_e32 v2, 0
	buffer_store_dword v2, off, s[0:3], 0 offset:304
	buffer_store_dword v2, off, s[0:3], 0 offset:308
	;; [unrolled: 1-line block ×4, first 2 shown]
	s_waitcnt vmcnt(0)
	ds_write_b128 v1, v[45:48]
.LBB19_97:
	s_or_b32 exec_lo, exec_lo, s4
	s_waitcnt lgkmcnt(0)
	s_waitcnt_vscnt null, 0x0
	s_barrier
	buffer_gl0_inv
	s_clause 0x7
	buffer_load_dword v3, off, s[0:3], 0 offset:328
	buffer_load_dword v4, off, s[0:3], 0 offset:332
	;; [unrolled: 1-line block ×8, first 2 shown]
	v_mov_b32_e32 v2, 0
	s_mov_b32 s4, exec_lo
	ds_read_b128 v[45:48], v2 offset:624
	s_waitcnt vmcnt(6) lgkmcnt(0)
	v_mul_f64 v[55:56], v[47:48], v[3:4]
	v_mul_f64 v[3:4], v[45:46], v[3:4]
	s_waitcnt vmcnt(4)
	v_fma_f64 v[45:46], v[45:46], v[49:50], -v[55:56]
	v_fma_f64 v[3:4], v[47:48], v[49:50], v[3:4]
	v_add_f64 v[45:46], v[45:46], 0
	v_add_f64 v[3:4], v[3:4], 0
	s_waitcnt vmcnt(2)
	v_add_f64 v[45:46], v[51:52], -v[45:46]
	s_waitcnt vmcnt(0)
	v_add_f64 v[3:4], v[53:54], -v[3:4]
	buffer_store_dword v45, off, s[0:3], 0 offset:304
	buffer_store_dword v46, off, s[0:3], 0 offset:308
	;; [unrolled: 1-line block ×4, first 2 shown]
	v_cmpx_lt_u32_e32 17, v0
	s_cbranch_execz .LBB19_99
; %bb.98:
	v_mov_b32_e32 v3, s12
	s_clause 0x3
	buffer_load_dword v45, v3, s[0:3], 0 offen
	buffer_load_dword v46, v3, s[0:3], 0 offen offset:4
	buffer_load_dword v47, v3, s[0:3], 0 offen offset:8
	;; [unrolled: 1-line block ×3, first 2 shown]
	buffer_store_dword v2, off, s[0:3], 0 offset:288
	buffer_store_dword v2, off, s[0:3], 0 offset:292
	;; [unrolled: 1-line block ×4, first 2 shown]
	s_waitcnt vmcnt(0)
	ds_write_b128 v1, v[45:48]
.LBB19_99:
	s_or_b32 exec_lo, exec_lo, s4
	s_waitcnt lgkmcnt(0)
	s_waitcnt_vscnt null, 0x0
	s_barrier
	buffer_gl0_inv
	s_clause 0xb
	buffer_load_dword v3, off, s[0:3], 0 offset:312
	buffer_load_dword v4, off, s[0:3], 0 offset:316
	;; [unrolled: 1-line block ×12, first 2 shown]
	ds_read_b128 v[45:48], v2 offset:608
	ds_read_b128 v[49:52], v2 offset:624
	s_mov_b32 s4, exec_lo
	s_waitcnt vmcnt(10) lgkmcnt(1)
	v_mul_f64 v[63:64], v[47:48], v[3:4]
	v_mul_f64 v[2:3], v[45:46], v[3:4]
	s_waitcnt vmcnt(8) lgkmcnt(0)
	v_mul_f64 v[65:66], v[51:52], v[53:54]
	v_mul_f64 v[53:54], v[49:50], v[53:54]
	s_waitcnt vmcnt(6)
	v_fma_f64 v[45:46], v[45:46], v[55:56], -v[63:64]
	v_fma_f64 v[2:3], v[47:48], v[55:56], v[2:3]
	s_waitcnt vmcnt(4)
	v_fma_f64 v[47:48], v[49:50], v[57:58], -v[65:66]
	v_fma_f64 v[49:50], v[51:52], v[57:58], v[53:54]
	v_add_f64 v[45:46], v[45:46], 0
	v_add_f64 v[2:3], v[2:3], 0
	;; [unrolled: 1-line block ×4, first 2 shown]
	s_waitcnt vmcnt(2)
	v_add_f64 v[45:46], v[59:60], -v[45:46]
	s_waitcnt vmcnt(0)
	v_add_f64 v[2:3], v[61:62], -v[2:3]
	buffer_store_dword v45, off, s[0:3], 0 offset:288
	buffer_store_dword v46, off, s[0:3], 0 offset:292
	;; [unrolled: 1-line block ×4, first 2 shown]
	v_cmpx_lt_u32_e32 16, v0
	s_cbranch_execz .LBB19_101
; %bb.100:
	v_mov_b32_e32 v2, s13
	s_clause 0x3
	buffer_load_dword v45, v2, s[0:3], 0 offen
	buffer_load_dword v46, v2, s[0:3], 0 offen offset:4
	buffer_load_dword v47, v2, s[0:3], 0 offen offset:8
	;; [unrolled: 1-line block ×3, first 2 shown]
	v_mov_b32_e32 v2, 0
	buffer_store_dword v2, off, s[0:3], 0 offset:272
	buffer_store_dword v2, off, s[0:3], 0 offset:276
	;; [unrolled: 1-line block ×4, first 2 shown]
	s_waitcnt vmcnt(0)
	ds_write_b128 v1, v[45:48]
.LBB19_101:
	s_or_b32 exec_lo, exec_lo, s4
	s_waitcnt lgkmcnt(0)
	s_waitcnt_vscnt null, 0x0
	s_barrier
	buffer_gl0_inv
	s_clause 0xf
	buffer_load_dword v3, off, s[0:3], 0 offset:296
	buffer_load_dword v4, off, s[0:3], 0 offset:300
	;; [unrolled: 1-line block ×16, first 2 shown]
	v_mov_b32_e32 v2, 0
	ds_read_b128 v[45:48], v2 offset:592
	ds_read_b128 v[49:52], v2 offset:608
	;; [unrolled: 1-line block ×3, first 2 shown]
	s_mov_b32 s4, exec_lo
	s_waitcnt vmcnt(14) lgkmcnt(2)
	v_mul_f64 v[71:72], v[47:48], v[3:4]
	v_mul_f64 v[3:4], v[45:46], v[3:4]
	s_waitcnt vmcnt(12) lgkmcnt(1)
	v_mul_f64 v[73:74], v[51:52], v[57:58]
	v_mul_f64 v[57:58], v[49:50], v[57:58]
	s_waitcnt vmcnt(10)
	v_fma_f64 v[45:46], v[45:46], v[59:60], -v[71:72]
	v_fma_f64 v[3:4], v[47:48], v[59:60], v[3:4]
	s_waitcnt vmcnt(8) lgkmcnt(0)
	v_mul_f64 v[59:60], v[55:56], v[61:62]
	s_waitcnt vmcnt(6)
	v_fma_f64 v[49:50], v[49:50], v[63:64], -v[73:74]
	v_mul_f64 v[47:48], v[53:54], v[61:62]
	v_fma_f64 v[51:52], v[51:52], v[63:64], v[57:58]
	v_add_f64 v[45:46], v[45:46], 0
	v_add_f64 v[3:4], v[3:4], 0
	s_waitcnt vmcnt(4)
	v_fma_f64 v[53:54], v[53:54], v[65:66], -v[59:60]
	v_fma_f64 v[47:48], v[55:56], v[65:66], v[47:48]
	v_add_f64 v[45:46], v[45:46], v[49:50]
	v_add_f64 v[3:4], v[3:4], v[51:52]
	;; [unrolled: 1-line block ×4, first 2 shown]
	s_waitcnt vmcnt(2)
	v_add_f64 v[45:46], v[67:68], -v[45:46]
	s_waitcnt vmcnt(0)
	v_add_f64 v[3:4], v[69:70], -v[3:4]
	buffer_store_dword v45, off, s[0:3], 0 offset:272
	buffer_store_dword v46, off, s[0:3], 0 offset:276
	;; [unrolled: 1-line block ×4, first 2 shown]
	v_cmpx_lt_u32_e32 15, v0
	s_cbranch_execz .LBB19_103
; %bb.102:
	v_mov_b32_e32 v3, s14
	s_clause 0x3
	buffer_load_dword v45, v3, s[0:3], 0 offen
	buffer_load_dword v46, v3, s[0:3], 0 offen offset:4
	buffer_load_dword v47, v3, s[0:3], 0 offen offset:8
	;; [unrolled: 1-line block ×3, first 2 shown]
	buffer_store_dword v2, off, s[0:3], 0 offset:256
	buffer_store_dword v2, off, s[0:3], 0 offset:260
	;; [unrolled: 1-line block ×4, first 2 shown]
	s_waitcnt vmcnt(0)
	ds_write_b128 v1, v[45:48]
.LBB19_103:
	s_or_b32 exec_lo, exec_lo, s4
	s_waitcnt lgkmcnt(0)
	s_waitcnt_vscnt null, 0x0
	s_barrier
	buffer_gl0_inv
	s_clause 0x13
	buffer_load_dword v3, off, s[0:3], 0 offset:280
	buffer_load_dword v4, off, s[0:3], 0 offset:284
	;; [unrolled: 1-line block ×20, first 2 shown]
	ds_read_b128 v[45:48], v2 offset:576
	ds_read_b128 v[49:52], v2 offset:592
	;; [unrolled: 1-line block ×3, first 2 shown]
	s_mov_b32 s4, exec_lo
	s_waitcnt vmcnt(18) lgkmcnt(2)
	v_mul_f64 v[75:76], v[47:48], v[3:4]
	v_mul_f64 v[3:4], v[45:46], v[3:4]
	s_waitcnt vmcnt(16) lgkmcnt(1)
	v_mul_f64 v[77:78], v[51:52], v[57:58]
	v_mul_f64 v[57:58], v[49:50], v[57:58]
	s_waitcnt vmcnt(14)
	v_fma_f64 v[75:76], v[45:46], v[59:60], -v[75:76]
	v_fma_f64 v[3:4], v[47:48], v[59:60], v[3:4]
	ds_read_b128 v[45:48], v2 offset:624
	s_waitcnt vmcnt(12) lgkmcnt(1)
	v_mul_f64 v[59:60], v[53:54], v[61:62]
	v_mul_f64 v[61:62], v[55:56], v[61:62]
	s_waitcnt vmcnt(10)
	v_fma_f64 v[49:50], v[49:50], v[63:64], -v[77:78]
	v_fma_f64 v[51:52], v[51:52], v[63:64], v[57:58]
	s_waitcnt vmcnt(8) lgkmcnt(0)
	v_mul_f64 v[63:64], v[47:48], v[65:66]
	v_add_f64 v[75:76], v[75:76], 0
	v_add_f64 v[2:3], v[3:4], 0
	v_mul_f64 v[57:58], v[45:46], v[65:66]
	s_waitcnt vmcnt(6)
	v_fma_f64 v[53:54], v[53:54], v[67:68], -v[61:62]
	v_fma_f64 v[55:56], v[55:56], v[67:68], v[59:60]
	s_waitcnt vmcnt(4)
	v_fma_f64 v[45:46], v[45:46], v[69:70], -v[63:64]
	v_add_f64 v[49:50], v[75:76], v[49:50]
	v_add_f64 v[2:3], v[2:3], v[51:52]
	v_fma_f64 v[47:48], v[47:48], v[69:70], v[57:58]
	v_add_f64 v[49:50], v[49:50], v[53:54]
	v_add_f64 v[2:3], v[2:3], v[55:56]
	;; [unrolled: 1-line block ×4, first 2 shown]
	s_waitcnt vmcnt(2)
	v_add_f64 v[45:46], v[71:72], -v[45:46]
	s_waitcnt vmcnt(0)
	v_add_f64 v[2:3], v[73:74], -v[2:3]
	buffer_store_dword v45, off, s[0:3], 0 offset:256
	buffer_store_dword v46, off, s[0:3], 0 offset:260
	;; [unrolled: 1-line block ×4, first 2 shown]
	v_cmpx_lt_u32_e32 14, v0
	s_cbranch_execz .LBB19_105
; %bb.104:
	v_mov_b32_e32 v2, s15
	s_clause 0x3
	buffer_load_dword v45, v2, s[0:3], 0 offen
	buffer_load_dword v46, v2, s[0:3], 0 offen offset:4
	buffer_load_dword v47, v2, s[0:3], 0 offen offset:8
	;; [unrolled: 1-line block ×3, first 2 shown]
	v_mov_b32_e32 v2, 0
	buffer_store_dword v2, off, s[0:3], 0 offset:240
	buffer_store_dword v2, off, s[0:3], 0 offset:244
	;; [unrolled: 1-line block ×4, first 2 shown]
	s_waitcnt vmcnt(0)
	ds_write_b128 v1, v[45:48]
.LBB19_105:
	s_or_b32 exec_lo, exec_lo, s4
	s_waitcnt lgkmcnt(0)
	s_waitcnt_vscnt null, 0x0
	s_barrier
	buffer_gl0_inv
	s_clause 0x17
	buffer_load_dword v3, off, s[0:3], 0 offset:264
	buffer_load_dword v4, off, s[0:3], 0 offset:268
	;; [unrolled: 1-line block ×24, first 2 shown]
	v_mov_b32_e32 v2, 0
	ds_read_b128 v[45:48], v2 offset:560
	ds_read_b128 v[49:52], v2 offset:576
	;; [unrolled: 1-line block ×3, first 2 shown]
	s_mov_b32 s4, exec_lo
	s_waitcnt vmcnt(22) lgkmcnt(2)
	v_mul_f64 v[79:80], v[47:48], v[3:4]
	v_mul_f64 v[3:4], v[45:46], v[3:4]
	s_waitcnt vmcnt(20) lgkmcnt(1)
	v_mul_f64 v[81:82], v[51:52], v[57:58]
	v_mul_f64 v[57:58], v[49:50], v[57:58]
	s_waitcnt vmcnt(18)
	v_fma_f64 v[79:80], v[45:46], v[59:60], -v[79:80]
	v_fma_f64 v[3:4], v[47:48], v[59:60], v[3:4]
	ds_read_b128 v[45:48], v2 offset:608
	s_waitcnt vmcnt(16) lgkmcnt(1)
	v_mul_f64 v[59:60], v[53:54], v[61:62]
	v_mul_f64 v[61:62], v[55:56], v[61:62]
	s_waitcnt vmcnt(14)
	v_fma_f64 v[81:82], v[49:50], v[63:64], -v[81:82]
	v_fma_f64 v[57:58], v[51:52], v[63:64], v[57:58]
	ds_read_b128 v[49:52], v2 offset:624
	s_waitcnt vmcnt(10) lgkmcnt(1)
	v_mul_f64 v[63:64], v[45:46], v[65:66]
	v_add_f64 v[79:80], v[79:80], 0
	v_add_f64 v[3:4], v[3:4], 0
	v_mul_f64 v[65:66], v[47:48], v[65:66]
	s_waitcnt vmcnt(8)
	v_fma_f64 v[53:54], v[53:54], v[71:72], -v[61:62]
	v_fma_f64 v[55:56], v[55:56], v[71:72], v[59:60]
	s_waitcnt vmcnt(7) lgkmcnt(0)
	v_mul_f64 v[59:60], v[51:52], v[67:68]
	s_waitcnt vmcnt(5)
	v_fma_f64 v[47:48], v[47:48], v[73:74], v[63:64]
	v_add_f64 v[61:62], v[79:80], v[81:82]
	v_add_f64 v[3:4], v[3:4], v[57:58]
	v_fma_f64 v[45:46], v[45:46], v[73:74], -v[65:66]
	v_mul_f64 v[57:58], v[49:50], v[67:68]
	s_waitcnt vmcnt(4)
	v_fma_f64 v[49:50], v[49:50], v[69:70], -v[59:60]
	v_add_f64 v[53:54], v[61:62], v[53:54]
	v_add_f64 v[3:4], v[3:4], v[55:56]
	v_fma_f64 v[51:52], v[51:52], v[69:70], v[57:58]
	v_add_f64 v[45:46], v[53:54], v[45:46]
	v_add_f64 v[3:4], v[3:4], v[47:48]
	;; [unrolled: 1-line block ×4, first 2 shown]
	s_waitcnt vmcnt(2)
	v_add_f64 v[45:46], v[75:76], -v[45:46]
	s_waitcnt vmcnt(0)
	v_add_f64 v[3:4], v[77:78], -v[3:4]
	buffer_store_dword v46, off, s[0:3], 0 offset:244
	buffer_store_dword v45, off, s[0:3], 0 offset:240
	;; [unrolled: 1-line block ×4, first 2 shown]
	v_cmpx_lt_u32_e32 13, v0
	s_cbranch_execz .LBB19_107
; %bb.106:
	v_mov_b32_e32 v3, s16
	s_clause 0x3
	buffer_load_dword v45, v3, s[0:3], 0 offen
	buffer_load_dword v46, v3, s[0:3], 0 offen offset:4
	buffer_load_dword v47, v3, s[0:3], 0 offen offset:8
	;; [unrolled: 1-line block ×3, first 2 shown]
	buffer_store_dword v2, off, s[0:3], 0 offset:224
	buffer_store_dword v2, off, s[0:3], 0 offset:228
	buffer_store_dword v2, off, s[0:3], 0 offset:232
	buffer_store_dword v2, off, s[0:3], 0 offset:236
	s_waitcnt vmcnt(0)
	ds_write_b128 v1, v[45:48]
.LBB19_107:
	s_or_b32 exec_lo, exec_lo, s4
	s_waitcnt lgkmcnt(0)
	s_waitcnt_vscnt null, 0x0
	s_barrier
	buffer_gl0_inv
	s_clause 0x1b
	buffer_load_dword v3, off, s[0:3], 0 offset:248
	buffer_load_dword v4, off, s[0:3], 0 offset:252
	;; [unrolled: 1-line block ×28, first 2 shown]
	ds_read_b128 v[45:48], v2 offset:544
	ds_read_b128 v[49:52], v2 offset:560
	;; [unrolled: 1-line block ×3, first 2 shown]
	s_mov_b32 s4, exec_lo
	s_waitcnt vmcnt(26) lgkmcnt(2)
	v_mul_f64 v[83:84], v[47:48], v[3:4]
	v_mul_f64 v[3:4], v[45:46], v[3:4]
	s_waitcnt vmcnt(24) lgkmcnt(1)
	v_mul_f64 v[85:86], v[51:52], v[57:58]
	v_mul_f64 v[57:58], v[49:50], v[57:58]
	s_waitcnt vmcnt(22)
	v_fma_f64 v[83:84], v[45:46], v[59:60], -v[83:84]
	v_fma_f64 v[3:4], v[47:48], v[59:60], v[3:4]
	ds_read_b128 v[45:48], v2 offset:592
	s_waitcnt vmcnt(20) lgkmcnt(1)
	v_mul_f64 v[59:60], v[53:54], v[61:62]
	v_mul_f64 v[61:62], v[55:56], v[61:62]
	s_waitcnt vmcnt(18)
	v_fma_f64 v[85:86], v[49:50], v[63:64], -v[85:86]
	v_fma_f64 v[57:58], v[51:52], v[63:64], v[57:58]
	ds_read_b128 v[49:52], v2 offset:608
	s_waitcnt vmcnt(14) lgkmcnt(1)
	v_mul_f64 v[63:64], v[45:46], v[65:66]
	v_add_f64 v[83:84], v[83:84], 0
	v_add_f64 v[3:4], v[3:4], 0
	v_mul_f64 v[65:66], v[47:48], v[65:66]
	s_waitcnt vmcnt(12)
	v_fma_f64 v[61:62], v[53:54], v[71:72], -v[61:62]
	v_fma_f64 v[59:60], v[55:56], v[71:72], v[59:60]
	ds_read_b128 v[53:56], v2 offset:624
	s_waitcnt vmcnt(9)
	v_fma_f64 v[47:48], v[47:48], v[73:74], v[63:64]
	v_add_f64 v[83:84], v[83:84], v[85:86]
	v_add_f64 v[3:4], v[3:4], v[57:58]
	s_waitcnt lgkmcnt(1)
	v_mul_f64 v[57:58], v[49:50], v[67:68]
	v_mul_f64 v[67:68], v[51:52], v[67:68]
	v_fma_f64 v[45:46], v[45:46], v[73:74], -v[65:66]
	s_waitcnt vmcnt(7) lgkmcnt(0)
	v_mul_f64 v[63:64], v[55:56], v[75:76]
	v_add_f64 v[61:62], v[83:84], v[61:62]
	v_add_f64 v[2:3], v[3:4], v[59:60]
	v_mul_f64 v[59:60], v[53:54], v[75:76]
	s_waitcnt vmcnt(6)
	v_fma_f64 v[49:50], v[49:50], v[69:70], -v[67:68]
	v_fma_f64 v[51:52], v[51:52], v[69:70], v[57:58]
	v_add_f64 v[45:46], v[61:62], v[45:46]
	v_add_f64 v[2:3], v[2:3], v[47:48]
	s_waitcnt vmcnt(4)
	v_fma_f64 v[47:48], v[53:54], v[77:78], -v[63:64]
	v_add_f64 v[45:46], v[45:46], v[49:50]
	v_fma_f64 v[49:50], v[55:56], v[77:78], v[59:60]
	v_add_f64 v[2:3], v[2:3], v[51:52]
	v_add_f64 v[45:46], v[45:46], v[47:48]
	v_add_f64 v[2:3], v[2:3], v[49:50]
	s_waitcnt vmcnt(2)
	v_add_f64 v[45:46], v[79:80], -v[45:46]
	s_waitcnt vmcnt(0)
	v_add_f64 v[2:3], v[81:82], -v[2:3]
	buffer_store_dword v46, off, s[0:3], 0 offset:228
	buffer_store_dword v45, off, s[0:3], 0 offset:224
	;; [unrolled: 1-line block ×4, first 2 shown]
	v_cmpx_lt_u32_e32 12, v0
	s_cbranch_execz .LBB19_109
; %bb.108:
	v_mov_b32_e32 v2, s17
	s_clause 0x3
	buffer_load_dword v45, v2, s[0:3], 0 offen
	buffer_load_dword v46, v2, s[0:3], 0 offen offset:4
	buffer_load_dword v47, v2, s[0:3], 0 offen offset:8
	buffer_load_dword v48, v2, s[0:3], 0 offen offset:12
	v_mov_b32_e32 v2, 0
	buffer_store_dword v2, off, s[0:3], 0 offset:208
	buffer_store_dword v2, off, s[0:3], 0 offset:212
	;; [unrolled: 1-line block ×4, first 2 shown]
	s_waitcnt vmcnt(0)
	ds_write_b128 v1, v[45:48]
.LBB19_109:
	s_or_b32 exec_lo, exec_lo, s4
	s_waitcnt lgkmcnt(0)
	s_waitcnt_vscnt null, 0x0
	s_barrier
	buffer_gl0_inv
	s_clause 0x1f
	buffer_load_dword v3, off, s[0:3], 0 offset:232
	buffer_load_dword v4, off, s[0:3], 0 offset:236
	;; [unrolled: 1-line block ×32, first 2 shown]
	v_mov_b32_e32 v2, 0
	ds_read_b128 v[45:48], v2 offset:528
	ds_read_b128 v[49:52], v2 offset:544
	;; [unrolled: 1-line block ×3, first 2 shown]
	s_mov_b32 s4, exec_lo
	s_waitcnt vmcnt(30) lgkmcnt(2)
	v_mul_f64 v[87:88], v[47:48], v[3:4]
	v_mul_f64 v[3:4], v[45:46], v[3:4]
	s_waitcnt vmcnt(28) lgkmcnt(1)
	v_mul_f64 v[89:90], v[51:52], v[57:58]
	v_mul_f64 v[57:58], v[49:50], v[57:58]
	s_waitcnt vmcnt(26)
	v_fma_f64 v[87:88], v[45:46], v[59:60], -v[87:88]
	v_fma_f64 v[3:4], v[47:48], v[59:60], v[3:4]
	ds_read_b128 v[45:48], v2 offset:576
	s_waitcnt vmcnt(24) lgkmcnt(1)
	v_mul_f64 v[59:60], v[53:54], v[61:62]
	v_mul_f64 v[61:62], v[55:56], v[61:62]
	s_waitcnt vmcnt(22)
	v_fma_f64 v[89:90], v[49:50], v[63:64], -v[89:90]
	v_fma_f64 v[57:58], v[51:52], v[63:64], v[57:58]
	ds_read_b128 v[49:52], v2 offset:592
	s_waitcnt vmcnt(18) lgkmcnt(1)
	v_mul_f64 v[63:64], v[45:46], v[65:66]
	v_add_f64 v[87:88], v[87:88], 0
	v_add_f64 v[3:4], v[3:4], 0
	v_mul_f64 v[65:66], v[47:48], v[65:66]
	s_waitcnt vmcnt(16)
	v_fma_f64 v[61:62], v[53:54], v[71:72], -v[61:62]
	v_fma_f64 v[59:60], v[55:56], v[71:72], v[59:60]
	ds_read_b128 v[53:56], v2 offset:608
	s_waitcnt vmcnt(13)
	v_fma_f64 v[63:64], v[47:48], v[73:74], v[63:64]
	v_add_f64 v[87:88], v[87:88], v[89:90]
	v_add_f64 v[3:4], v[3:4], v[57:58]
	s_waitcnt lgkmcnt(1)
	v_mul_f64 v[57:58], v[49:50], v[67:68]
	v_mul_f64 v[67:68], v[51:52], v[67:68]
	v_fma_f64 v[65:66], v[45:46], v[73:74], -v[65:66]
	s_waitcnt vmcnt(9) lgkmcnt(0)
	v_mul_f64 v[71:72], v[55:56], v[75:76]
	ds_read_b128 v[45:48], v2 offset:624
	v_add_f64 v[61:62], v[87:88], v[61:62]
	v_add_f64 v[3:4], v[3:4], v[59:60]
	v_mul_f64 v[59:60], v[53:54], v[75:76]
	s_waitcnt vmcnt(8)
	v_fma_f64 v[49:50], v[49:50], v[69:70], -v[67:68]
	v_fma_f64 v[51:52], v[51:52], v[69:70], v[57:58]
	s_waitcnt vmcnt(5)
	v_fma_f64 v[53:54], v[53:54], v[81:82], -v[71:72]
	s_waitcnt lgkmcnt(0)
	v_mul_f64 v[57:58], v[45:46], v[77:78]
	v_add_f64 v[61:62], v[61:62], v[65:66]
	v_add_f64 v[3:4], v[3:4], v[63:64]
	v_mul_f64 v[63:64], v[47:48], v[77:78]
	v_fma_f64 v[55:56], v[55:56], v[81:82], v[59:60]
	s_waitcnt vmcnt(4)
	v_fma_f64 v[47:48], v[47:48], v[79:80], v[57:58]
	v_add_f64 v[49:50], v[61:62], v[49:50]
	v_add_f64 v[3:4], v[3:4], v[51:52]
	v_fma_f64 v[45:46], v[45:46], v[79:80], -v[63:64]
	v_add_f64 v[49:50], v[49:50], v[53:54]
	v_add_f64 v[3:4], v[3:4], v[55:56]
	;; [unrolled: 1-line block ×4, first 2 shown]
	s_waitcnt vmcnt(2)
	v_add_f64 v[45:46], v[83:84], -v[45:46]
	s_waitcnt vmcnt(0)
	v_add_f64 v[3:4], v[85:86], -v[3:4]
	buffer_store_dword v46, off, s[0:3], 0 offset:212
	buffer_store_dword v45, off, s[0:3], 0 offset:208
	;; [unrolled: 1-line block ×4, first 2 shown]
	v_cmpx_lt_u32_e32 11, v0
	s_cbranch_execz .LBB19_111
; %bb.110:
	v_mov_b32_e32 v3, s18
	s_clause 0x3
	buffer_load_dword v45, v3, s[0:3], 0 offen
	buffer_load_dword v46, v3, s[0:3], 0 offen offset:4
	buffer_load_dword v47, v3, s[0:3], 0 offen offset:8
	;; [unrolled: 1-line block ×3, first 2 shown]
	buffer_store_dword v2, off, s[0:3], 0 offset:192
	buffer_store_dword v2, off, s[0:3], 0 offset:196
	;; [unrolled: 1-line block ×4, first 2 shown]
	s_waitcnt vmcnt(0)
	ds_write_b128 v1, v[45:48]
.LBB19_111:
	s_or_b32 exec_lo, exec_lo, s4
	s_waitcnt lgkmcnt(0)
	s_waitcnt_vscnt null, 0x0
	s_barrier
	buffer_gl0_inv
	s_clause 0x23
	buffer_load_dword v3, off, s[0:3], 0 offset:216
	buffer_load_dword v4, off, s[0:3], 0 offset:220
	;; [unrolled: 1-line block ×36, first 2 shown]
	ds_read_b128 v[45:48], v2 offset:512
	ds_read_b128 v[49:52], v2 offset:528
	;; [unrolled: 1-line block ×3, first 2 shown]
	s_mov_b32 s4, exec_lo
	s_waitcnt vmcnt(34) lgkmcnt(2)
	v_mul_f64 v[91:92], v[47:48], v[3:4]
	v_mul_f64 v[3:4], v[45:46], v[3:4]
	s_waitcnt vmcnt(32) lgkmcnt(1)
	v_mul_f64 v[93:94], v[51:52], v[57:58]
	v_mul_f64 v[57:58], v[49:50], v[57:58]
	s_waitcnt vmcnt(30)
	v_fma_f64 v[91:92], v[45:46], v[59:60], -v[91:92]
	v_fma_f64 v[3:4], v[47:48], v[59:60], v[3:4]
	ds_read_b128 v[45:48], v2 offset:560
	s_waitcnt vmcnt(28) lgkmcnt(1)
	v_mul_f64 v[59:60], v[53:54], v[61:62]
	v_mul_f64 v[61:62], v[55:56], v[61:62]
	s_waitcnt vmcnt(26)
	v_fma_f64 v[93:94], v[49:50], v[63:64], -v[93:94]
	v_fma_f64 v[57:58], v[51:52], v[63:64], v[57:58]
	ds_read_b128 v[49:52], v2 offset:576
	s_waitcnt vmcnt(22) lgkmcnt(1)
	v_mul_f64 v[63:64], v[45:46], v[65:66]
	v_add_f64 v[91:92], v[91:92], 0
	v_add_f64 v[3:4], v[3:4], 0
	v_mul_f64 v[65:66], v[47:48], v[65:66]
	s_waitcnt vmcnt(20)
	v_fma_f64 v[61:62], v[53:54], v[71:72], -v[61:62]
	v_fma_f64 v[59:60], v[55:56], v[71:72], v[59:60]
	ds_read_b128 v[53:56], v2 offset:592
	s_waitcnt vmcnt(17)
	v_fma_f64 v[63:64], v[47:48], v[73:74], v[63:64]
	v_add_f64 v[91:92], v[91:92], v[93:94]
	v_add_f64 v[3:4], v[3:4], v[57:58]
	s_waitcnt lgkmcnt(1)
	v_mul_f64 v[57:58], v[49:50], v[67:68]
	v_mul_f64 v[67:68], v[51:52], v[67:68]
	v_fma_f64 v[65:66], v[45:46], v[73:74], -v[65:66]
	s_waitcnt vmcnt(13) lgkmcnt(0)
	v_mul_f64 v[71:72], v[55:56], v[75:76]
	ds_read_b128 v[45:48], v2 offset:608
	v_add_f64 v[61:62], v[91:92], v[61:62]
	v_add_f64 v[3:4], v[3:4], v[59:60]
	v_mul_f64 v[59:60], v[53:54], v[75:76]
	s_waitcnt vmcnt(12)
	v_fma_f64 v[67:68], v[49:50], v[69:70], -v[67:68]
	v_fma_f64 v[57:58], v[51:52], v[69:70], v[57:58]
	ds_read_b128 v[49:52], v2 offset:624
	s_waitcnt vmcnt(9)
	v_fma_f64 v[53:54], v[53:54], v[81:82], -v[71:72]
	v_add_f64 v[61:62], v[61:62], v[65:66]
	v_add_f64 v[3:4], v[3:4], v[63:64]
	s_waitcnt lgkmcnt(1)
	v_mul_f64 v[65:66], v[47:48], v[77:78]
	v_mul_f64 v[63:64], v[45:46], v[77:78]
	v_fma_f64 v[55:56], v[55:56], v[81:82], v[59:60]
	s_waitcnt vmcnt(7) lgkmcnt(0)
	v_mul_f64 v[59:60], v[51:52], v[83:84]
	v_add_f64 v[61:62], v[61:62], v[67:68]
	v_add_f64 v[2:3], v[3:4], v[57:58]
	s_waitcnt vmcnt(6)
	v_fma_f64 v[45:46], v[45:46], v[79:80], -v[65:66]
	v_mul_f64 v[57:58], v[49:50], v[83:84]
	v_fma_f64 v[47:48], v[47:48], v[79:80], v[63:64]
	s_waitcnt vmcnt(4)
	v_fma_f64 v[49:50], v[49:50], v[85:86], -v[59:60]
	v_add_f64 v[53:54], v[61:62], v[53:54]
	v_add_f64 v[2:3], v[2:3], v[55:56]
	v_fma_f64 v[51:52], v[51:52], v[85:86], v[57:58]
	v_add_f64 v[45:46], v[53:54], v[45:46]
	v_add_f64 v[2:3], v[2:3], v[47:48]
	;; [unrolled: 1-line block ×4, first 2 shown]
	s_waitcnt vmcnt(2)
	v_add_f64 v[45:46], v[87:88], -v[45:46]
	s_waitcnt vmcnt(0)
	v_add_f64 v[2:3], v[89:90], -v[2:3]
	buffer_store_dword v46, off, s[0:3], 0 offset:196
	buffer_store_dword v45, off, s[0:3], 0 offset:192
	buffer_store_dword v3, off, s[0:3], 0 offset:204
	buffer_store_dword v2, off, s[0:3], 0 offset:200
	v_cmpx_lt_u32_e32 10, v0
	s_cbranch_execz .LBB19_113
; %bb.112:
	v_mov_b32_e32 v2, s19
	s_clause 0x3
	buffer_load_dword v45, v2, s[0:3], 0 offen
	buffer_load_dword v46, v2, s[0:3], 0 offen offset:4
	buffer_load_dword v47, v2, s[0:3], 0 offen offset:8
	;; [unrolled: 1-line block ×3, first 2 shown]
	v_mov_b32_e32 v2, 0
	buffer_store_dword v2, off, s[0:3], 0 offset:176
	buffer_store_dword v2, off, s[0:3], 0 offset:180
	;; [unrolled: 1-line block ×4, first 2 shown]
	s_waitcnt vmcnt(0)
	ds_write_b128 v1, v[45:48]
.LBB19_113:
	s_or_b32 exec_lo, exec_lo, s4
	s_waitcnt lgkmcnt(0)
	s_waitcnt_vscnt null, 0x0
	s_barrier
	buffer_gl0_inv
	s_clause 0x27
	buffer_load_dword v3, off, s[0:3], 0 offset:200
	buffer_load_dword v4, off, s[0:3], 0 offset:204
	;; [unrolled: 1-line block ×40, first 2 shown]
	v_mov_b32_e32 v2, 0
	ds_read_b128 v[45:48], v2 offset:496
	ds_read_b128 v[49:52], v2 offset:512
	;; [unrolled: 1-line block ×3, first 2 shown]
	s_mov_b32 s4, exec_lo
	s_waitcnt vmcnt(38) lgkmcnt(2)
	v_mul_f64 v[95:96], v[47:48], v[3:4]
	v_mul_f64 v[3:4], v[45:46], v[3:4]
	s_waitcnt vmcnt(36) lgkmcnt(1)
	v_mul_f64 v[97:98], v[51:52], v[57:58]
	v_mul_f64 v[57:58], v[49:50], v[57:58]
	s_waitcnt vmcnt(34)
	v_fma_f64 v[95:96], v[45:46], v[59:60], -v[95:96]
	v_fma_f64 v[3:4], v[47:48], v[59:60], v[3:4]
	ds_read_b128 v[45:48], v2 offset:544
	s_waitcnt vmcnt(32) lgkmcnt(1)
	v_mul_f64 v[59:60], v[53:54], v[61:62]
	v_mul_f64 v[61:62], v[55:56], v[61:62]
	s_waitcnt vmcnt(30)
	v_fma_f64 v[97:98], v[49:50], v[63:64], -v[97:98]
	v_fma_f64 v[57:58], v[51:52], v[63:64], v[57:58]
	ds_read_b128 v[49:52], v2 offset:560
	s_waitcnt vmcnt(26) lgkmcnt(1)
	v_mul_f64 v[63:64], v[45:46], v[65:66]
	v_add_f64 v[95:96], v[95:96], 0
	v_add_f64 v[3:4], v[3:4], 0
	v_mul_f64 v[65:66], v[47:48], v[65:66]
	s_waitcnt vmcnt(24)
	v_fma_f64 v[61:62], v[53:54], v[71:72], -v[61:62]
	v_fma_f64 v[59:60], v[55:56], v[71:72], v[59:60]
	ds_read_b128 v[53:56], v2 offset:576
	s_waitcnt vmcnt(21)
	v_fma_f64 v[63:64], v[47:48], v[73:74], v[63:64]
	v_add_f64 v[95:96], v[95:96], v[97:98]
	v_add_f64 v[3:4], v[3:4], v[57:58]
	s_waitcnt lgkmcnt(1)
	v_mul_f64 v[57:58], v[49:50], v[67:68]
	v_mul_f64 v[67:68], v[51:52], v[67:68]
	v_fma_f64 v[65:66], v[45:46], v[73:74], -v[65:66]
	s_waitcnt vmcnt(17) lgkmcnt(0)
	v_mul_f64 v[71:72], v[55:56], v[75:76]
	ds_read_b128 v[45:48], v2 offset:592
	v_add_f64 v[61:62], v[95:96], v[61:62]
	v_add_f64 v[3:4], v[3:4], v[59:60]
	v_mul_f64 v[59:60], v[53:54], v[75:76]
	s_waitcnt vmcnt(16)
	v_fma_f64 v[67:68], v[49:50], v[69:70], -v[67:68]
	v_fma_f64 v[57:58], v[51:52], v[69:70], v[57:58]
	ds_read_b128 v[49:52], v2 offset:608
	s_waitcnt vmcnt(13)
	v_fma_f64 v[69:70], v[53:54], v[81:82], -v[71:72]
	v_add_f64 v[61:62], v[61:62], v[65:66]
	v_add_f64 v[3:4], v[3:4], v[63:64]
	s_waitcnt lgkmcnt(1)
	v_mul_f64 v[65:66], v[47:48], v[77:78]
	v_mul_f64 v[63:64], v[45:46], v[77:78]
	v_fma_f64 v[59:60], v[55:56], v[81:82], v[59:60]
	ds_read_b128 v[53:56], v2 offset:624
	v_add_f64 v[61:62], v[61:62], v[67:68]
	v_add_f64 v[3:4], v[3:4], v[57:58]
	s_waitcnt vmcnt(9) lgkmcnt(1)
	v_mul_f64 v[67:68], v[51:52], v[83:84]
	s_waitcnt vmcnt(8)
	v_fma_f64 v[45:46], v[45:46], v[79:80], -v[65:66]
	v_mul_f64 v[57:58], v[49:50], v[83:84]
	v_fma_f64 v[47:48], v[47:48], v[79:80], v[63:64]
	s_waitcnt vmcnt(7) lgkmcnt(0)
	v_mul_f64 v[63:64], v[55:56], v[85:86]
	v_add_f64 v[61:62], v[61:62], v[69:70]
	v_add_f64 v[3:4], v[3:4], v[59:60]
	s_waitcnt vmcnt(5)
	v_fma_f64 v[49:50], v[49:50], v[89:90], -v[67:68]
	v_mul_f64 v[59:60], v[53:54], v[85:86]
	v_fma_f64 v[51:52], v[51:52], v[89:90], v[57:58]
	v_add_f64 v[45:46], v[61:62], v[45:46]
	v_add_f64 v[3:4], v[3:4], v[47:48]
	s_waitcnt vmcnt(4)
	v_fma_f64 v[47:48], v[53:54], v[87:88], -v[63:64]
	v_add_f64 v[45:46], v[45:46], v[49:50]
	v_fma_f64 v[49:50], v[55:56], v[87:88], v[59:60]
	v_add_f64 v[3:4], v[3:4], v[51:52]
	v_add_f64 v[45:46], v[45:46], v[47:48]
	;; [unrolled: 1-line block ×3, first 2 shown]
	s_waitcnt vmcnt(2)
	v_add_f64 v[45:46], v[91:92], -v[45:46]
	s_waitcnt vmcnt(0)
	v_add_f64 v[3:4], v[93:94], -v[3:4]
	buffer_store_dword v46, off, s[0:3], 0 offset:180
	buffer_store_dword v45, off, s[0:3], 0 offset:176
	;; [unrolled: 1-line block ×4, first 2 shown]
	v_cmpx_lt_u32_e32 9, v0
	s_cbranch_execz .LBB19_115
; %bb.114:
	v_mov_b32_e32 v3, s22
	s_clause 0x3
	buffer_load_dword v45, v3, s[0:3], 0 offen
	buffer_load_dword v46, v3, s[0:3], 0 offen offset:4
	buffer_load_dword v47, v3, s[0:3], 0 offen offset:8
	;; [unrolled: 1-line block ×3, first 2 shown]
	buffer_store_dword v2, off, s[0:3], 0 offset:160
	buffer_store_dword v2, off, s[0:3], 0 offset:164
	;; [unrolled: 1-line block ×4, first 2 shown]
	s_waitcnt vmcnt(0)
	ds_write_b128 v1, v[45:48]
.LBB19_115:
	s_or_b32 exec_lo, exec_lo, s4
	s_waitcnt lgkmcnt(0)
	s_waitcnt_vscnt null, 0x0
	s_barrier
	buffer_gl0_inv
	s_clause 0x2b
	buffer_load_dword v3, off, s[0:3], 0 offset:184
	buffer_load_dword v4, off, s[0:3], 0 offset:188
	;; [unrolled: 1-line block ×44, first 2 shown]
	ds_read_b128 v[45:48], v2 offset:480
	ds_read_b128 v[49:52], v2 offset:496
	;; [unrolled: 1-line block ×3, first 2 shown]
	s_mov_b32 s4, exec_lo
	s_waitcnt vmcnt(42) lgkmcnt(2)
	v_mul_f64 v[99:100], v[47:48], v[3:4]
	v_mul_f64 v[3:4], v[45:46], v[3:4]
	s_waitcnt vmcnt(40) lgkmcnt(1)
	v_mul_f64 v[101:102], v[51:52], v[57:58]
	v_mul_f64 v[57:58], v[49:50], v[57:58]
	s_waitcnt vmcnt(38)
	v_fma_f64 v[99:100], v[45:46], v[59:60], -v[99:100]
	v_fma_f64 v[3:4], v[47:48], v[59:60], v[3:4]
	ds_read_b128 v[45:48], v2 offset:528
	s_waitcnt vmcnt(36) lgkmcnt(1)
	v_mul_f64 v[59:60], v[53:54], v[61:62]
	v_mul_f64 v[61:62], v[55:56], v[61:62]
	s_waitcnt vmcnt(34)
	v_fma_f64 v[101:102], v[49:50], v[63:64], -v[101:102]
	v_fma_f64 v[57:58], v[51:52], v[63:64], v[57:58]
	ds_read_b128 v[49:52], v2 offset:544
	s_waitcnt vmcnt(30) lgkmcnt(1)
	v_mul_f64 v[63:64], v[45:46], v[65:66]
	v_add_f64 v[99:100], v[99:100], 0
	v_add_f64 v[3:4], v[3:4], 0
	v_mul_f64 v[65:66], v[47:48], v[65:66]
	s_waitcnt vmcnt(28)
	v_fma_f64 v[61:62], v[53:54], v[71:72], -v[61:62]
	v_fma_f64 v[59:60], v[55:56], v[71:72], v[59:60]
	ds_read_b128 v[53:56], v2 offset:560
	s_waitcnt vmcnt(25)
	v_fma_f64 v[63:64], v[47:48], v[73:74], v[63:64]
	v_add_f64 v[99:100], v[99:100], v[101:102]
	v_add_f64 v[3:4], v[3:4], v[57:58]
	s_waitcnt lgkmcnt(1)
	v_mul_f64 v[57:58], v[49:50], v[67:68]
	v_mul_f64 v[67:68], v[51:52], v[67:68]
	v_fma_f64 v[65:66], v[45:46], v[73:74], -v[65:66]
	s_waitcnt vmcnt(21) lgkmcnt(0)
	v_mul_f64 v[71:72], v[55:56], v[75:76]
	ds_read_b128 v[45:48], v2 offset:576
	v_add_f64 v[61:62], v[99:100], v[61:62]
	v_add_f64 v[3:4], v[3:4], v[59:60]
	v_mul_f64 v[59:60], v[53:54], v[75:76]
	s_waitcnt vmcnt(20)
	v_fma_f64 v[67:68], v[49:50], v[69:70], -v[67:68]
	v_fma_f64 v[57:58], v[51:52], v[69:70], v[57:58]
	ds_read_b128 v[49:52], v2 offset:592
	s_waitcnt vmcnt(17)
	v_fma_f64 v[69:70], v[53:54], v[81:82], -v[71:72]
	v_add_f64 v[61:62], v[61:62], v[65:66]
	v_add_f64 v[3:4], v[3:4], v[63:64]
	s_waitcnt lgkmcnt(1)
	v_mul_f64 v[65:66], v[47:48], v[77:78]
	v_mul_f64 v[63:64], v[45:46], v[77:78]
	v_fma_f64 v[59:60], v[55:56], v[81:82], v[59:60]
	ds_read_b128 v[53:56], v2 offset:608
	v_add_f64 v[61:62], v[61:62], v[67:68]
	v_add_f64 v[3:4], v[3:4], v[57:58]
	s_waitcnt vmcnt(13) lgkmcnt(1)
	v_mul_f64 v[67:68], v[51:52], v[83:84]
	s_waitcnt vmcnt(12)
	v_fma_f64 v[65:66], v[45:46], v[79:80], -v[65:66]
	v_mul_f64 v[57:58], v[49:50], v[83:84]
	v_fma_f64 v[63:64], v[47:48], v[79:80], v[63:64]
	ds_read_b128 v[45:48], v2 offset:624
	v_add_f64 v[61:62], v[61:62], v[69:70]
	v_add_f64 v[3:4], v[3:4], v[59:60]
	s_waitcnt vmcnt(11) lgkmcnt(1)
	v_mul_f64 v[69:70], v[55:56], v[85:86]
	s_waitcnt vmcnt(9)
	v_fma_f64 v[49:50], v[49:50], v[89:90], -v[67:68]
	v_mul_f64 v[59:60], v[53:54], v[85:86]
	v_fma_f64 v[51:52], v[51:52], v[89:90], v[57:58]
	s_waitcnt vmcnt(7) lgkmcnt(0)
	v_mul_f64 v[57:58], v[45:46], v[91:92]
	v_add_f64 v[61:62], v[61:62], v[65:66]
	v_add_f64 v[2:3], v[3:4], v[63:64]
	v_mul_f64 v[63:64], v[47:48], v[91:92]
	s_waitcnt vmcnt(6)
	v_fma_f64 v[53:54], v[53:54], v[87:88], -v[69:70]
	v_fma_f64 v[55:56], v[55:56], v[87:88], v[59:60]
	s_waitcnt vmcnt(4)
	v_fma_f64 v[47:48], v[47:48], v[93:94], v[57:58]
	v_add_f64 v[49:50], v[61:62], v[49:50]
	v_add_f64 v[2:3], v[2:3], v[51:52]
	v_fma_f64 v[45:46], v[45:46], v[93:94], -v[63:64]
	v_add_f64 v[49:50], v[49:50], v[53:54]
	v_add_f64 v[2:3], v[2:3], v[55:56]
	;; [unrolled: 1-line block ×4, first 2 shown]
	s_waitcnt vmcnt(2)
	v_add_f64 v[45:46], v[95:96], -v[45:46]
	s_waitcnt vmcnt(0)
	v_add_f64 v[2:3], v[97:98], -v[2:3]
	buffer_store_dword v46, off, s[0:3], 0 offset:164
	buffer_store_dword v45, off, s[0:3], 0 offset:160
	;; [unrolled: 1-line block ×4, first 2 shown]
	v_cmpx_lt_u32_e32 8, v0
	s_cbranch_execz .LBB19_117
; %bb.116:
	v_mov_b32_e32 v2, s23
	s_clause 0x3
	buffer_load_dword v45, v2, s[0:3], 0 offen
	buffer_load_dword v46, v2, s[0:3], 0 offen offset:4
	buffer_load_dword v47, v2, s[0:3], 0 offen offset:8
	;; [unrolled: 1-line block ×3, first 2 shown]
	v_mov_b32_e32 v2, 0
	buffer_store_dword v2, off, s[0:3], 0 offset:144
	buffer_store_dword v2, off, s[0:3], 0 offset:148
	;; [unrolled: 1-line block ×4, first 2 shown]
	s_waitcnt vmcnt(0)
	ds_write_b128 v1, v[45:48]
.LBB19_117:
	s_or_b32 exec_lo, exec_lo, s4
	s_waitcnt lgkmcnt(0)
	s_waitcnt_vscnt null, 0x0
	s_barrier
	buffer_gl0_inv
	s_clause 0x2f
	buffer_load_dword v3, off, s[0:3], 0 offset:168
	buffer_load_dword v4, off, s[0:3], 0 offset:172
	;; [unrolled: 1-line block ×48, first 2 shown]
	v_mov_b32_e32 v2, 0
	ds_read_b128 v[45:48], v2 offset:464
	ds_read_b128 v[49:52], v2 offset:480
	ds_read_b128 v[53:56], v2 offset:496
	s_mov_b32 s4, exec_lo
	s_waitcnt vmcnt(46) lgkmcnt(2)
	v_mul_f64 v[103:104], v[47:48], v[3:4]
	v_mul_f64 v[3:4], v[45:46], v[3:4]
	s_waitcnt vmcnt(44) lgkmcnt(1)
	v_mul_f64 v[105:106], v[51:52], v[57:58]
	v_mul_f64 v[57:58], v[49:50], v[57:58]
	s_waitcnt vmcnt(42)
	v_fma_f64 v[103:104], v[45:46], v[59:60], -v[103:104]
	v_fma_f64 v[3:4], v[47:48], v[59:60], v[3:4]
	ds_read_b128 v[45:48], v2 offset:512
	s_waitcnt vmcnt(40) lgkmcnt(1)
	v_mul_f64 v[59:60], v[53:54], v[61:62]
	v_mul_f64 v[61:62], v[55:56], v[61:62]
	s_waitcnt vmcnt(38)
	v_fma_f64 v[105:106], v[49:50], v[63:64], -v[105:106]
	v_fma_f64 v[57:58], v[51:52], v[63:64], v[57:58]
	ds_read_b128 v[49:52], v2 offset:528
	s_waitcnt vmcnt(34) lgkmcnt(1)
	v_mul_f64 v[63:64], v[45:46], v[65:66]
	v_add_f64 v[103:104], v[103:104], 0
	v_add_f64 v[3:4], v[3:4], 0
	v_mul_f64 v[65:66], v[47:48], v[65:66]
	s_waitcnt vmcnt(32)
	v_fma_f64 v[61:62], v[53:54], v[71:72], -v[61:62]
	v_fma_f64 v[59:60], v[55:56], v[71:72], v[59:60]
	ds_read_b128 v[53:56], v2 offset:544
	s_waitcnt vmcnt(29)
	v_fma_f64 v[63:64], v[47:48], v[73:74], v[63:64]
	v_add_f64 v[103:104], v[103:104], v[105:106]
	v_add_f64 v[3:4], v[3:4], v[57:58]
	s_waitcnt lgkmcnt(1)
	v_mul_f64 v[57:58], v[49:50], v[67:68]
	v_mul_f64 v[67:68], v[51:52], v[67:68]
	v_fma_f64 v[65:66], v[45:46], v[73:74], -v[65:66]
	s_waitcnt vmcnt(25) lgkmcnt(0)
	v_mul_f64 v[71:72], v[55:56], v[75:76]
	ds_read_b128 v[45:48], v2 offset:560
	v_add_f64 v[61:62], v[103:104], v[61:62]
	v_add_f64 v[3:4], v[3:4], v[59:60]
	v_mul_f64 v[59:60], v[53:54], v[75:76]
	s_waitcnt vmcnt(24)
	v_fma_f64 v[67:68], v[49:50], v[69:70], -v[67:68]
	v_fma_f64 v[57:58], v[51:52], v[69:70], v[57:58]
	ds_read_b128 v[49:52], v2 offset:576
	s_waitcnt vmcnt(21)
	v_fma_f64 v[69:70], v[53:54], v[81:82], -v[71:72]
	v_add_f64 v[61:62], v[61:62], v[65:66]
	v_add_f64 v[3:4], v[3:4], v[63:64]
	s_waitcnt lgkmcnt(1)
	v_mul_f64 v[65:66], v[47:48], v[77:78]
	v_mul_f64 v[63:64], v[45:46], v[77:78]
	v_fma_f64 v[59:60], v[55:56], v[81:82], v[59:60]
	ds_read_b128 v[53:56], v2 offset:592
	v_add_f64 v[61:62], v[61:62], v[67:68]
	v_add_f64 v[3:4], v[3:4], v[57:58]
	s_waitcnt vmcnt(17) lgkmcnt(1)
	v_mul_f64 v[67:68], v[51:52], v[83:84]
	s_waitcnt vmcnt(16)
	v_fma_f64 v[65:66], v[45:46], v[79:80], -v[65:66]
	v_mul_f64 v[57:58], v[49:50], v[83:84]
	v_fma_f64 v[63:64], v[47:48], v[79:80], v[63:64]
	ds_read_b128 v[45:48], v2 offset:608
	v_add_f64 v[61:62], v[61:62], v[69:70]
	v_add_f64 v[3:4], v[3:4], v[59:60]
	s_waitcnt vmcnt(15) lgkmcnt(1)
	v_mul_f64 v[69:70], v[55:56], v[85:86]
	s_waitcnt vmcnt(13)
	v_fma_f64 v[67:68], v[49:50], v[89:90], -v[67:68]
	;; [unrolled: 9-line block ×3, first 2 shown]
	v_mul_f64 v[63:64], v[45:46], v[91:92]
	v_fma_f64 v[55:56], v[55:56], v[87:88], v[59:60]
	s_waitcnt vmcnt(7) lgkmcnt(0)
	v_mul_f64 v[59:60], v[51:52], v[93:94]
	v_add_f64 v[61:62], v[61:62], v[67:68]
	v_add_f64 v[3:4], v[3:4], v[57:58]
	s_waitcnt vmcnt(5)
	v_fma_f64 v[45:46], v[45:46], v[97:98], -v[65:66]
	v_mul_f64 v[57:58], v[49:50], v[93:94]
	v_fma_f64 v[47:48], v[47:48], v[97:98], v[63:64]
	s_waitcnt vmcnt(4)
	v_fma_f64 v[49:50], v[49:50], v[95:96], -v[59:60]
	v_add_f64 v[53:54], v[61:62], v[53:54]
	v_add_f64 v[3:4], v[3:4], v[55:56]
	v_fma_f64 v[51:52], v[51:52], v[95:96], v[57:58]
	v_add_f64 v[45:46], v[53:54], v[45:46]
	v_add_f64 v[3:4], v[3:4], v[47:48]
	;; [unrolled: 1-line block ×4, first 2 shown]
	s_waitcnt vmcnt(2)
	v_add_f64 v[45:46], v[99:100], -v[45:46]
	s_waitcnt vmcnt(0)
	v_add_f64 v[3:4], v[101:102], -v[3:4]
	buffer_store_dword v46, off, s[0:3], 0 offset:148
	buffer_store_dword v45, off, s[0:3], 0 offset:144
	;; [unrolled: 1-line block ×4, first 2 shown]
	v_cmpx_lt_u32_e32 7, v0
	s_cbranch_execz .LBB19_119
; %bb.118:
	v_mov_b32_e32 v3, s24
	s_clause 0x3
	buffer_load_dword v45, v3, s[0:3], 0 offen
	buffer_load_dword v46, v3, s[0:3], 0 offen offset:4
	buffer_load_dword v47, v3, s[0:3], 0 offen offset:8
	;; [unrolled: 1-line block ×3, first 2 shown]
	buffer_store_dword v2, off, s[0:3], 0 offset:128
	buffer_store_dword v2, off, s[0:3], 0 offset:132
	;; [unrolled: 1-line block ×4, first 2 shown]
	s_waitcnt vmcnt(0)
	ds_write_b128 v1, v[45:48]
.LBB19_119:
	s_or_b32 exec_lo, exec_lo, s4
	s_waitcnt lgkmcnt(0)
	s_waitcnt_vscnt null, 0x0
	s_barrier
	buffer_gl0_inv
	s_clause 0x2f
	buffer_load_dword v3, off, s[0:3], 0 offset:152
	buffer_load_dword v4, off, s[0:3], 0 offset:156
	;; [unrolled: 1-line block ×48, first 2 shown]
	ds_read_b128 v[45:48], v2 offset:448
	s_clause 0x3
	buffer_load_dword v103, off, s[0:3], 0 offset:128
	buffer_load_dword v104, off, s[0:3], 0 offset:132
	;; [unrolled: 1-line block ×4, first 2 shown]
	ds_read_b128 v[49:52], v2 offset:464
	ds_read_b128 v[53:56], v2 offset:480
	s_mov_b32 s4, exec_lo
	s_waitcnt vmcnt(50) lgkmcnt(2)
	v_mul_f64 v[107:108], v[47:48], v[3:4]
	v_mul_f64 v[3:4], v[45:46], v[3:4]
	s_waitcnt vmcnt(48) lgkmcnt(1)
	v_mul_f64 v[109:110], v[51:52], v[57:58]
	v_mul_f64 v[57:58], v[49:50], v[57:58]
	s_waitcnt vmcnt(46)
	v_fma_f64 v[107:108], v[45:46], v[59:60], -v[107:108]
	v_fma_f64 v[3:4], v[47:48], v[59:60], v[3:4]
	s_waitcnt vmcnt(44) lgkmcnt(0)
	v_mul_f64 v[59:60], v[53:54], v[61:62]
	v_mul_f64 v[61:62], v[55:56], v[61:62]
	s_waitcnt vmcnt(42)
	v_fma_f64 v[109:110], v[49:50], v[63:64], -v[109:110]
	ds_read_b128 v[45:48], v2 offset:496
	v_fma_f64 v[57:58], v[51:52], v[63:64], v[57:58]
	ds_read_b128 v[49:52], v2 offset:512
	v_add_f64 v[107:108], v[107:108], 0
	v_add_f64 v[3:4], v[3:4], 0
	s_waitcnt vmcnt(36)
	v_fma_f64 v[59:60], v[55:56], v[71:72], v[59:60]
	s_waitcnt lgkmcnt(1)
	v_mul_f64 v[63:64], v[45:46], v[65:66]
	v_mul_f64 v[65:66], v[47:48], v[65:66]
	v_fma_f64 v[61:62], v[53:54], v[71:72], -v[61:62]
	ds_read_b128 v[53:56], v2 offset:528
	v_add_f64 v[107:108], v[107:108], v[109:110]
	v_add_f64 v[3:4], v[3:4], v[57:58]
	s_waitcnt vmcnt(35) lgkmcnt(1)
	v_mul_f64 v[57:58], v[49:50], v[67:68]
	v_mul_f64 v[67:68], v[51:52], v[67:68]
	s_waitcnt vmcnt(33)
	v_fma_f64 v[65:66], v[45:46], v[73:74], -v[65:66]
	v_fma_f64 v[63:64], v[47:48], v[73:74], v[63:64]
	ds_read_b128 v[45:48], v2 offset:544
	s_waitcnt vmcnt(29) lgkmcnt(1)
	v_mul_f64 v[71:72], v[55:56], v[75:76]
	v_add_f64 v[61:62], v[107:108], v[61:62]
	v_add_f64 v[3:4], v[3:4], v[59:60]
	v_mul_f64 v[59:60], v[53:54], v[75:76]
	s_waitcnt vmcnt(28)
	v_fma_f64 v[67:68], v[49:50], v[69:70], -v[67:68]
	v_fma_f64 v[57:58], v[51:52], v[69:70], v[57:58]
	ds_read_b128 v[49:52], v2 offset:560
	s_waitcnt vmcnt(25)
	v_fma_f64 v[69:70], v[53:54], v[81:82], -v[71:72]
	v_add_f64 v[61:62], v[61:62], v[65:66]
	v_add_f64 v[3:4], v[3:4], v[63:64]
	s_waitcnt lgkmcnt(1)
	v_mul_f64 v[65:66], v[47:48], v[77:78]
	v_mul_f64 v[63:64], v[45:46], v[77:78]
	v_fma_f64 v[59:60], v[55:56], v[81:82], v[59:60]
	ds_read_b128 v[53:56], v2 offset:576
	v_add_f64 v[61:62], v[61:62], v[67:68]
	v_add_f64 v[3:4], v[3:4], v[57:58]
	s_waitcnt vmcnt(21) lgkmcnt(1)
	v_mul_f64 v[67:68], v[51:52], v[83:84]
	s_waitcnt vmcnt(20)
	v_fma_f64 v[65:66], v[45:46], v[79:80], -v[65:66]
	v_mul_f64 v[57:58], v[49:50], v[83:84]
	v_fma_f64 v[63:64], v[47:48], v[79:80], v[63:64]
	ds_read_b128 v[45:48], v2 offset:592
	v_add_f64 v[61:62], v[61:62], v[69:70]
	v_add_f64 v[3:4], v[3:4], v[59:60]
	s_waitcnt vmcnt(19) lgkmcnt(1)
	v_mul_f64 v[69:70], v[55:56], v[85:86]
	s_waitcnt vmcnt(17)
	v_fma_f64 v[67:68], v[49:50], v[89:90], -v[67:68]
	;; [unrolled: 9-line block ×4, first 2 shown]
	v_mul_f64 v[57:58], v[49:50], v[93:94]
	v_fma_f64 v[47:48], v[47:48], v[97:98], v[63:64]
	s_waitcnt vmcnt(7) lgkmcnt(0)
	v_mul_f64 v[63:64], v[55:56], v[99:100]
	v_add_f64 v[61:62], v[61:62], v[69:70]
	v_add_f64 v[2:3], v[3:4], v[59:60]
	s_waitcnt vmcnt(6)
	v_fma_f64 v[49:50], v[49:50], v[95:96], -v[67:68]
	v_mul_f64 v[59:60], v[53:54], v[99:100]
	v_fma_f64 v[51:52], v[51:52], v[95:96], v[57:58]
	v_add_f64 v[45:46], v[61:62], v[45:46]
	v_add_f64 v[2:3], v[2:3], v[47:48]
	s_waitcnt vmcnt(4)
	v_fma_f64 v[47:48], v[53:54], v[101:102], -v[63:64]
	v_add_f64 v[45:46], v[45:46], v[49:50]
	v_fma_f64 v[49:50], v[55:56], v[101:102], v[59:60]
	v_add_f64 v[2:3], v[2:3], v[51:52]
	v_add_f64 v[45:46], v[45:46], v[47:48]
	;; [unrolled: 1-line block ×3, first 2 shown]
	s_waitcnt vmcnt(2)
	v_add_f64 v[45:46], v[103:104], -v[45:46]
	s_waitcnt vmcnt(0)
	v_add_f64 v[2:3], v[105:106], -v[2:3]
	buffer_store_dword v46, off, s[0:3], 0 offset:132
	buffer_store_dword v45, off, s[0:3], 0 offset:128
	;; [unrolled: 1-line block ×4, first 2 shown]
	v_cmpx_lt_u32_e32 6, v0
	s_cbranch_execz .LBB19_121
; %bb.120:
	v_mov_b32_e32 v2, s25
	s_clause 0x3
	buffer_load_dword v45, v2, s[0:3], 0 offen
	buffer_load_dword v46, v2, s[0:3], 0 offen offset:4
	buffer_load_dword v47, v2, s[0:3], 0 offen offset:8
	;; [unrolled: 1-line block ×3, first 2 shown]
	v_mov_b32_e32 v2, 0
	buffer_store_dword v2, off, s[0:3], 0 offset:112
	buffer_store_dword v2, off, s[0:3], 0 offset:116
	;; [unrolled: 1-line block ×4, first 2 shown]
	s_waitcnt vmcnt(0)
	ds_write_b128 v1, v[45:48]
.LBB19_121:
	s_or_b32 exec_lo, exec_lo, s4
	s_waitcnt lgkmcnt(0)
	s_waitcnt_vscnt null, 0x0
	s_barrier
	buffer_gl0_inv
	s_clause 0x33
	buffer_load_dword v3, off, s[0:3], 0 offset:136
	buffer_load_dword v4, off, s[0:3], 0 offset:140
	;; [unrolled: 1-line block ×52, first 2 shown]
	v_mov_b32_e32 v2, 0
	ds_read_b128 v[45:48], v2 offset:432
	ds_read_b128 v[49:52], v2 offset:448
	s_clause 0x3
	buffer_load_dword v109, off, s[0:3], 0 offset:112
	buffer_load_dword v110, off, s[0:3], 0 offset:116
	;; [unrolled: 1-line block ×4, first 2 shown]
	ds_read_b128 v[53:56], v2 offset:464
	s_mov_b32 s4, exec_lo
	s_waitcnt vmcnt(54) lgkmcnt(2)
	v_mul_f64 v[107:108], v[47:48], v[3:4]
	v_mul_f64 v[3:4], v[45:46], v[3:4]
	s_waitcnt vmcnt(52) lgkmcnt(1)
	v_mul_f64 v[113:114], v[51:52], v[57:58]
	v_mul_f64 v[57:58], v[49:50], v[57:58]
	s_waitcnt vmcnt(50)
	v_fma_f64 v[107:108], v[45:46], v[59:60], -v[107:108]
	v_fma_f64 v[3:4], v[47:48], v[59:60], v[3:4]
	ds_read_b128 v[45:48], v2 offset:480
	s_waitcnt vmcnt(48) lgkmcnt(1)
	v_mul_f64 v[59:60], v[53:54], v[61:62]
	v_mul_f64 v[61:62], v[55:56], v[61:62]
	s_waitcnt vmcnt(46)
	v_fma_f64 v[113:114], v[49:50], v[63:64], -v[113:114]
	v_fma_f64 v[57:58], v[51:52], v[63:64], v[57:58]
	ds_read_b128 v[49:52], v2 offset:496
	s_waitcnt vmcnt(42) lgkmcnt(1)
	v_mul_f64 v[63:64], v[45:46], v[65:66]
	v_add_f64 v[107:108], v[107:108], 0
	v_add_f64 v[3:4], v[3:4], 0
	v_mul_f64 v[65:66], v[47:48], v[65:66]
	s_waitcnt vmcnt(40)
	v_fma_f64 v[61:62], v[53:54], v[71:72], -v[61:62]
	v_fma_f64 v[59:60], v[55:56], v[71:72], v[59:60]
	ds_read_b128 v[53:56], v2 offset:512
	s_waitcnt vmcnt(37)
	v_fma_f64 v[63:64], v[47:48], v[73:74], v[63:64]
	v_add_f64 v[107:108], v[107:108], v[113:114]
	v_add_f64 v[3:4], v[3:4], v[57:58]
	s_waitcnt lgkmcnt(1)
	v_mul_f64 v[57:58], v[49:50], v[67:68]
	v_mul_f64 v[67:68], v[51:52], v[67:68]
	v_fma_f64 v[65:66], v[45:46], v[73:74], -v[65:66]
	s_waitcnt vmcnt(33) lgkmcnt(0)
	v_mul_f64 v[71:72], v[55:56], v[75:76]
	ds_read_b128 v[45:48], v2 offset:528
	v_add_f64 v[61:62], v[107:108], v[61:62]
	v_add_f64 v[3:4], v[3:4], v[59:60]
	v_mul_f64 v[59:60], v[53:54], v[75:76]
	s_waitcnt vmcnt(32)
	v_fma_f64 v[67:68], v[49:50], v[69:70], -v[67:68]
	v_fma_f64 v[57:58], v[51:52], v[69:70], v[57:58]
	ds_read_b128 v[49:52], v2 offset:544
	s_waitcnt vmcnt(29)
	v_fma_f64 v[69:70], v[53:54], v[81:82], -v[71:72]
	v_add_f64 v[61:62], v[61:62], v[65:66]
	v_add_f64 v[3:4], v[3:4], v[63:64]
	s_waitcnt lgkmcnt(1)
	v_mul_f64 v[65:66], v[47:48], v[77:78]
	v_mul_f64 v[63:64], v[45:46], v[77:78]
	v_fma_f64 v[59:60], v[55:56], v[81:82], v[59:60]
	ds_read_b128 v[53:56], v2 offset:560
	v_add_f64 v[61:62], v[61:62], v[67:68]
	v_add_f64 v[3:4], v[3:4], v[57:58]
	s_waitcnt vmcnt(25) lgkmcnt(1)
	v_mul_f64 v[67:68], v[51:52], v[83:84]
	s_waitcnt vmcnt(24)
	v_fma_f64 v[65:66], v[45:46], v[79:80], -v[65:66]
	v_mul_f64 v[57:58], v[49:50], v[83:84]
	v_fma_f64 v[63:64], v[47:48], v[79:80], v[63:64]
	ds_read_b128 v[45:48], v2 offset:576
	v_add_f64 v[61:62], v[61:62], v[69:70]
	v_add_f64 v[3:4], v[3:4], v[59:60]
	s_waitcnt vmcnt(23) lgkmcnt(1)
	v_mul_f64 v[69:70], v[55:56], v[85:86]
	s_waitcnt vmcnt(21)
	v_fma_f64 v[67:68], v[49:50], v[89:90], -v[67:68]
	v_mul_f64 v[59:60], v[53:54], v[85:86]
	v_fma_f64 v[57:58], v[51:52], v[89:90], v[57:58]
	ds_read_b128 v[49:52], v2 offset:592
	v_add_f64 v[61:62], v[61:62], v[65:66]
	v_add_f64 v[3:4], v[3:4], v[63:64]
	s_waitcnt vmcnt(17) lgkmcnt(1)
	v_mul_f64 v[65:66], v[47:48], v[91:92]
	s_waitcnt vmcnt(16)
	v_fma_f64 v[69:70], v[53:54], v[87:88], -v[69:70]
	v_mul_f64 v[63:64], v[45:46], v[91:92]
	v_fma_f64 v[59:60], v[55:56], v[87:88], v[59:60]
	ds_read_b128 v[53:56], v2 offset:608
	v_add_f64 v[61:62], v[61:62], v[67:68]
	v_add_f64 v[3:4], v[3:4], v[57:58]
	s_waitcnt vmcnt(15) lgkmcnt(1)
	v_mul_f64 v[67:68], v[51:52], v[93:94]
	s_waitcnt vmcnt(13)
	v_fma_f64 v[65:66], v[45:46], v[97:98], -v[65:66]
	v_mul_f64 v[57:58], v[49:50], v[93:94]
	v_fma_f64 v[63:64], v[47:48], v[97:98], v[63:64]
	ds_read_b128 v[45:48], v2 offset:624
	v_add_f64 v[61:62], v[61:62], v[69:70]
	v_add_f64 v[3:4], v[3:4], v[59:60]
	s_waitcnt vmcnt(9) lgkmcnt(1)
	v_mul_f64 v[69:70], v[55:56], v[99:100]
	s_waitcnt vmcnt(8)
	v_fma_f64 v[49:50], v[49:50], v[95:96], -v[67:68]
	v_mul_f64 v[59:60], v[53:54], v[99:100]
	v_fma_f64 v[51:52], v[51:52], v[95:96], v[57:58]
	s_waitcnt vmcnt(7) lgkmcnt(0)
	v_mul_f64 v[57:58], v[45:46], v[101:102]
	v_add_f64 v[61:62], v[61:62], v[65:66]
	v_add_f64 v[3:4], v[3:4], v[63:64]
	v_mul_f64 v[63:64], v[47:48], v[101:102]
	s_waitcnt vmcnt(5)
	v_fma_f64 v[53:54], v[53:54], v[105:106], -v[69:70]
	v_fma_f64 v[55:56], v[55:56], v[105:106], v[59:60]
	s_waitcnt vmcnt(4)
	v_fma_f64 v[47:48], v[47:48], v[103:104], v[57:58]
	v_add_f64 v[49:50], v[61:62], v[49:50]
	v_add_f64 v[3:4], v[3:4], v[51:52]
	v_fma_f64 v[45:46], v[45:46], v[103:104], -v[63:64]
	v_add_f64 v[49:50], v[49:50], v[53:54]
	v_add_f64 v[3:4], v[3:4], v[55:56]
	;; [unrolled: 1-line block ×4, first 2 shown]
	s_waitcnt vmcnt(2)
	v_add_f64 v[45:46], v[109:110], -v[45:46]
	s_waitcnt vmcnt(0)
	v_add_f64 v[3:4], v[111:112], -v[3:4]
	buffer_store_dword v46, off, s[0:3], 0 offset:116
	buffer_store_dword v45, off, s[0:3], 0 offset:112
	;; [unrolled: 1-line block ×4, first 2 shown]
	v_cmpx_lt_u32_e32 5, v0
	s_cbranch_execz .LBB19_123
; %bb.122:
	v_mov_b32_e32 v3, s26
	s_clause 0x3
	buffer_load_dword v45, v3, s[0:3], 0 offen
	buffer_load_dword v46, v3, s[0:3], 0 offen offset:4
	buffer_load_dword v47, v3, s[0:3], 0 offen offset:8
	;; [unrolled: 1-line block ×3, first 2 shown]
	buffer_store_dword v2, off, s[0:3], 0 offset:96
	buffer_store_dword v2, off, s[0:3], 0 offset:100
	;; [unrolled: 1-line block ×4, first 2 shown]
	s_waitcnt vmcnt(0)
	ds_write_b128 v1, v[45:48]
.LBB19_123:
	s_or_b32 exec_lo, exec_lo, s4
	s_waitcnt lgkmcnt(0)
	s_waitcnt_vscnt null, 0x0
	s_barrier
	buffer_gl0_inv
	s_clause 0x35
	buffer_load_dword v3, off, s[0:3], 0 offset:120
	buffer_load_dword v4, off, s[0:3], 0 offset:124
	;; [unrolled: 1-line block ×54, first 2 shown]
	ds_read_b128 v[45:48], v2 offset:416
	s_clause 0x1
	buffer_load_dword v110, off, s[0:3], 0 offset:324
	buffer_load_dword v109, off, s[0:3], 0 offset:320
	ds_read_b128 v[49:52], v2 offset:432
	ds_read_b128 v[53:56], v2 offset:448
	s_mov_b32 s4, exec_lo
	s_waitcnt vmcnt(54) lgkmcnt(2)
	v_mul_f64 v[111:112], v[47:48], v[3:4]
	v_mul_f64 v[3:4], v[45:46], v[3:4]
	s_waitcnt vmcnt(52) lgkmcnt(1)
	v_mul_f64 v[113:114], v[51:52], v[57:58]
	v_mul_f64 v[57:58], v[49:50], v[57:58]
	;; [unrolled: 3-line block ×3, first 2 shown]
	v_fma_f64 v[111:112], v[45:46], v[59:60], -v[111:112]
	v_fma_f64 v[3:4], v[47:48], v[59:60], v[3:4]
	s_clause 0x3
	buffer_load_dword v59, off, s[0:3], 0 offset:96
	buffer_load_dword v60, off, s[0:3], 0 offset:100
	;; [unrolled: 1-line block ×4, first 2 shown]
	s_waitcnt vmcnt(50)
	v_fma_f64 v[113:114], v[49:50], v[63:64], -v[113:114]
	ds_read_b128 v[45:48], v2 offset:464
	v_fma_f64 v[57:58], v[51:52], v[63:64], v[57:58]
	ds_read_b128 v[49:52], v2 offset:480
	s_waitcnt vmcnt(44)
	v_fma_f64 v[61:62], v[53:54], v[71:72], -v[61:62]
	v_fma_f64 v[71:72], v[55:56], v[71:72], v[117:118]
	ds_read_b128 v[53:56], v2 offset:496
	v_add_f64 v[111:112], v[111:112], 0
	v_add_f64 v[3:4], v[3:4], 0
	s_waitcnt lgkmcnt(2)
	v_mul_f64 v[63:64], v[45:46], v[65:66]
	v_mul_f64 v[65:66], v[47:48], v[65:66]
	v_add_f64 v[111:112], v[111:112], v[113:114]
	v_add_f64 v[3:4], v[3:4], v[57:58]
	s_waitcnt vmcnt(43) lgkmcnt(1)
	v_mul_f64 v[57:58], v[49:50], v[67:68]
	v_mul_f64 v[67:68], v[51:52], v[67:68]
	s_waitcnt vmcnt(41)
	v_fma_f64 v[65:66], v[45:46], v[73:74], -v[65:66]
	v_fma_f64 v[63:64], v[47:48], v[73:74], v[63:64]
	ds_read_b128 v[45:48], v2 offset:512
	s_waitcnt vmcnt(37) lgkmcnt(1)
	v_mul_f64 v[73:74], v[55:56], v[75:76]
	v_add_f64 v[61:62], v[111:112], v[61:62]
	v_add_f64 v[3:4], v[3:4], v[71:72]
	v_mul_f64 v[71:72], v[53:54], v[75:76]
	s_waitcnt vmcnt(36)
	v_fma_f64 v[67:68], v[49:50], v[69:70], -v[67:68]
	v_fma_f64 v[57:58], v[51:52], v[69:70], v[57:58]
	ds_read_b128 v[49:52], v2 offset:528
	s_waitcnt vmcnt(33)
	v_fma_f64 v[69:70], v[53:54], v[81:82], -v[73:74]
	v_add_f64 v[61:62], v[61:62], v[65:66]
	v_add_f64 v[3:4], v[3:4], v[63:64]
	s_waitcnt lgkmcnt(1)
	v_mul_f64 v[65:66], v[47:48], v[77:78]
	v_mul_f64 v[63:64], v[45:46], v[77:78]
	v_add_f64 v[61:62], v[61:62], v[67:68]
	v_fma_f64 v[67:68], v[55:56], v[81:82], v[71:72]
	v_add_f64 v[3:4], v[3:4], v[57:58]
	ds_read_b128 v[53:56], v2 offset:544
	s_waitcnt vmcnt(29) lgkmcnt(1)
	v_mul_f64 v[71:72], v[51:52], v[83:84]
	s_waitcnt vmcnt(28)
	v_fma_f64 v[65:66], v[45:46], v[79:80], -v[65:66]
	v_mul_f64 v[57:58], v[49:50], v[83:84]
	v_fma_f64 v[63:64], v[47:48], v[79:80], v[63:64]
	ds_read_b128 v[45:48], v2 offset:560
	v_add_f64 v[61:62], v[61:62], v[69:70]
	s_waitcnt vmcnt(27) lgkmcnt(1)
	v_mul_f64 v[69:70], v[55:56], v[85:86]
	v_add_f64 v[3:4], v[3:4], v[67:68]
	v_mul_f64 v[67:68], v[53:54], v[85:86]
	s_waitcnt vmcnt(25)
	v_fma_f64 v[71:72], v[49:50], v[89:90], -v[71:72]
	v_fma_f64 v[57:58], v[51:52], v[89:90], v[57:58]
	ds_read_b128 v[49:52], v2 offset:576
	v_add_f64 v[61:62], v[61:62], v[65:66]
	s_waitcnt vmcnt(21) lgkmcnt(1)
	v_mul_f64 v[65:66], v[47:48], v[91:92]
	v_add_f64 v[3:4], v[3:4], v[63:64]
	s_waitcnt vmcnt(20)
	v_fma_f64 v[69:70], v[53:54], v[87:88], -v[69:70]
	v_mul_f64 v[63:64], v[45:46], v[91:92]
	v_fma_f64 v[67:68], v[55:56], v[87:88], v[67:68]
	ds_read_b128 v[53:56], v2 offset:592
	v_add_f64 v[61:62], v[61:62], v[71:72]
	s_waitcnt vmcnt(19) lgkmcnt(1)
	v_mul_f64 v[71:72], v[51:52], v[93:94]
	v_add_f64 v[3:4], v[3:4], v[57:58]
	s_waitcnt vmcnt(17)
	v_fma_f64 v[65:66], v[45:46], v[97:98], -v[65:66]
	v_mul_f64 v[57:58], v[49:50], v[93:94]
	;; [unrolled: 9-line block ×4, first 2 shown]
	v_fma_f64 v[55:56], v[55:56], v[105:106], v[67:68]
	s_waitcnt vmcnt(7) lgkmcnt(0)
	v_mul_f64 v[67:68], v[51:52], v[107:108]
	v_add_f64 v[61:62], v[61:62], v[71:72]
	s_waitcnt vmcnt(6)
	v_fma_f64 v[45:46], v[45:46], v[103:104], -v[65:66]
	v_add_f64 v[2:3], v[3:4], v[57:58]
	v_mul_f64 v[57:58], v[49:50], v[107:108]
	v_fma_f64 v[47:48], v[47:48], v[103:104], v[63:64]
	s_waitcnt vmcnt(4)
	v_fma_f64 v[49:50], v[49:50], v[109:110], -v[67:68]
	v_add_f64 v[53:54], v[61:62], v[53:54]
	v_add_f64 v[2:3], v[2:3], v[55:56]
	v_fma_f64 v[51:52], v[51:52], v[109:110], v[57:58]
	v_add_f64 v[45:46], v[53:54], v[45:46]
	v_add_f64 v[2:3], v[2:3], v[47:48]
	;; [unrolled: 1-line block ×4, first 2 shown]
	s_waitcnt vmcnt(2)
	v_add_f64 v[45:46], v[59:60], -v[45:46]
	s_waitcnt vmcnt(0)
	v_add_f64 v[2:3], v[115:116], -v[2:3]
	buffer_store_dword v46, off, s[0:3], 0 offset:100
	buffer_store_dword v45, off, s[0:3], 0 offset:96
	;; [unrolled: 1-line block ×4, first 2 shown]
	v_cmpx_lt_u32_e32 4, v0
	s_cbranch_execz .LBB19_125
; %bb.124:
	v_mov_b32_e32 v2, s27
	s_clause 0x3
	buffer_load_dword v45, v2, s[0:3], 0 offen
	buffer_load_dword v46, v2, s[0:3], 0 offen offset:4
	buffer_load_dword v47, v2, s[0:3], 0 offen offset:8
	;; [unrolled: 1-line block ×3, first 2 shown]
	v_mov_b32_e32 v2, 0
	buffer_store_dword v2, off, s[0:3], 0 offset:80
	buffer_store_dword v2, off, s[0:3], 0 offset:84
	;; [unrolled: 1-line block ×4, first 2 shown]
	s_waitcnt vmcnt(0)
	ds_write_b128 v1, v[45:48]
.LBB19_125:
	s_or_b32 exec_lo, exec_lo, s4
	s_waitcnt lgkmcnt(0)
	s_waitcnt_vscnt null, 0x0
	s_barrier
	buffer_gl0_inv
	s_clause 0x37
	buffer_load_dword v3, off, s[0:3], 0 offset:104
	buffer_load_dword v4, off, s[0:3], 0 offset:108
	;; [unrolled: 1-line block ×56, first 2 shown]
	v_mov_b32_e32 v2, 0
	s_mov_b32 s4, exec_lo
	ds_read_b128 v[45:48], v2 offset:400
	s_clause 0x2
	buffer_load_dword v110, off, s[0:3], 0 offset:332
	buffer_load_dword v114, off, s[0:3], 0 offset:308
	;; [unrolled: 1-line block ×3, first 2 shown]
	ds_read_b128 v[49:52], v2 offset:416
	ds_read_b128 v[53:56], v2 offset:432
	buffer_load_dword v112, off, s[0:3], 0 offset:324
	s_waitcnt vmcnt(58) lgkmcnt(2)
	v_mul_f64 v[115:116], v[47:48], v[3:4]
	v_mul_f64 v[3:4], v[45:46], v[3:4]
	s_waitcnt vmcnt(56) lgkmcnt(1)
	v_mul_f64 v[117:118], v[51:52], v[57:58]
	v_mul_f64 v[57:58], v[49:50], v[57:58]
	s_waitcnt vmcnt(54)
	v_fma_f64 v[115:116], v[45:46], v[59:60], -v[115:116]
	v_fma_f64 v[3:4], v[47:48], v[59:60], v[3:4]
	s_waitcnt vmcnt(52) lgkmcnt(0)
	v_mul_f64 v[59:60], v[53:54], v[61:62]
	v_mul_f64 v[61:62], v[55:56], v[61:62]
	s_waitcnt vmcnt(50)
	v_fma_f64 v[117:118], v[49:50], v[63:64], -v[117:118]
	ds_read_b128 v[45:48], v2 offset:448
	v_fma_f64 v[57:58], v[51:52], v[63:64], v[57:58]
	s_clause 0x3
	buffer_load_dword v63, off, s[0:3], 0 offset:80
	buffer_load_dword v64, off, s[0:3], 0 offset:84
	;; [unrolled: 1-line block ×4, first 2 shown]
	ds_read_b128 v[49:52], v2 offset:464
	v_add_f64 v[115:116], v[115:116], 0
	v_add_f64 v[3:4], v[3:4], 0
	s_waitcnt vmcnt(48)
	v_fma_f64 v[59:60], v[55:56], v[71:72], v[59:60]
	s_waitcnt lgkmcnt(1)
	v_mul_f64 v[121:122], v[45:46], v[65:66]
	v_mul_f64 v[65:66], v[47:48], v[65:66]
	v_fma_f64 v[61:62], v[53:54], v[71:72], -v[61:62]
	ds_read_b128 v[53:56], v2 offset:480
	v_add_f64 v[115:116], v[115:116], v[117:118]
	v_add_f64 v[3:4], v[3:4], v[57:58]
	s_waitcnt vmcnt(47) lgkmcnt(1)
	v_mul_f64 v[57:58], v[49:50], v[67:68]
	v_mul_f64 v[67:68], v[51:52], v[67:68]
	s_waitcnt vmcnt(45)
	v_fma_f64 v[65:66], v[45:46], v[73:74], -v[65:66]
	v_fma_f64 v[71:72], v[47:48], v[73:74], v[121:122]
	s_waitcnt vmcnt(41) lgkmcnt(0)
	v_mul_f64 v[73:74], v[55:56], v[75:76]
	ds_read_b128 v[45:48], v2 offset:496
	v_add_f64 v[61:62], v[115:116], v[61:62]
	v_add_f64 v[3:4], v[3:4], v[59:60]
	v_mul_f64 v[59:60], v[53:54], v[75:76]
	s_waitcnt vmcnt(40)
	v_fma_f64 v[67:68], v[49:50], v[69:70], -v[67:68]
	v_fma_f64 v[57:58], v[51:52], v[69:70], v[57:58]
	ds_read_b128 v[49:52], v2 offset:512
	s_waitcnt vmcnt(39) lgkmcnt(1)
	v_mul_f64 v[69:70], v[47:48], v[77:78]
	v_add_f64 v[61:62], v[61:62], v[65:66]
	v_add_f64 v[3:4], v[3:4], v[71:72]
	s_waitcnt vmcnt(37)
	v_fma_f64 v[71:72], v[53:54], v[81:82], -v[73:74]
	v_mul_f64 v[65:66], v[45:46], v[77:78]
	v_fma_f64 v[59:60], v[55:56], v[81:82], v[59:60]
	ds_read_b128 v[53:56], v2 offset:528
	s_waitcnt vmcnt(32)
	v_fma_f64 v[69:70], v[45:46], v[79:80], -v[69:70]
	v_add_f64 v[61:62], v[61:62], v[67:68]
	v_add_f64 v[3:4], v[3:4], v[57:58]
	s_waitcnt lgkmcnt(1)
	v_mul_f64 v[67:68], v[51:52], v[83:84]
	v_mul_f64 v[57:58], v[49:50], v[83:84]
	v_fma_f64 v[65:66], v[47:48], v[79:80], v[65:66]
	ds_read_b128 v[45:48], v2 offset:544
	v_add_f64 v[61:62], v[61:62], v[71:72]
	v_add_f64 v[3:4], v[3:4], v[59:60]
	s_waitcnt vmcnt(31) lgkmcnt(1)
	v_mul_f64 v[71:72], v[55:56], v[85:86]
	s_waitcnt vmcnt(29)
	v_fma_f64 v[67:68], v[49:50], v[89:90], -v[67:68]
	v_mul_f64 v[59:60], v[53:54], v[85:86]
	v_fma_f64 v[57:58], v[51:52], v[89:90], v[57:58]
	ds_read_b128 v[49:52], v2 offset:560
	v_add_f64 v[61:62], v[61:62], v[69:70]
	v_add_f64 v[3:4], v[3:4], v[65:66]
	s_waitcnt vmcnt(25) lgkmcnt(1)
	v_mul_f64 v[69:70], v[47:48], v[91:92]
	s_waitcnt vmcnt(24)
	v_fma_f64 v[71:72], v[53:54], v[87:88], -v[71:72]
	;; [unrolled: 9-line block ×6, first 2 shown]
	v_mul_f64 v[57:58], v[49:50], v[107:108]
	v_fma_f64 v[47:48], v[47:48], v[103:104], v[65:66]
	s_waitcnt vmcnt(7) lgkmcnt(0)
	v_mul_f64 v[65:66], v[55:56], v[109:110]
	v_add_f64 v[61:62], v[61:62], v[71:72]
	v_add_f64 v[3:4], v[3:4], v[59:60]
	s_waitcnt vmcnt(5)
	v_fma_f64 v[49:50], v[49:50], v[113:114], -v[67:68]
	v_mul_f64 v[59:60], v[53:54], v[109:110]
	v_fma_f64 v[51:52], v[51:52], v[113:114], v[57:58]
	v_add_f64 v[45:46], v[61:62], v[45:46]
	v_add_f64 v[3:4], v[3:4], v[47:48]
	s_waitcnt vmcnt(4)
	v_fma_f64 v[47:48], v[53:54], v[111:112], -v[65:66]
	v_add_f64 v[45:46], v[45:46], v[49:50]
	v_fma_f64 v[49:50], v[55:56], v[111:112], v[59:60]
	v_add_f64 v[3:4], v[3:4], v[51:52]
	v_add_f64 v[45:46], v[45:46], v[47:48]
	;; [unrolled: 1-line block ×3, first 2 shown]
	s_waitcnt vmcnt(2)
	v_add_f64 v[45:46], v[63:64], -v[45:46]
	s_waitcnt vmcnt(0)
	v_add_f64 v[3:4], v[119:120], -v[3:4]
	buffer_store_dword v46, off, s[0:3], 0 offset:84
	buffer_store_dword v45, off, s[0:3], 0 offset:80
	buffer_store_dword v4, off, s[0:3], 0 offset:92
	buffer_store_dword v3, off, s[0:3], 0 offset:88
	v_cmpx_lt_u32_e32 3, v0
	s_cbranch_execz .LBB19_127
; %bb.126:
	v_mov_b32_e32 v3, s28
	s_clause 0x3
	buffer_load_dword v45, v3, s[0:3], 0 offen
	buffer_load_dword v46, v3, s[0:3], 0 offen offset:4
	buffer_load_dword v47, v3, s[0:3], 0 offen offset:8
	buffer_load_dword v48, v3, s[0:3], 0 offen offset:12
	buffer_store_dword v2, off, s[0:3], 0 offset:64
	buffer_store_dword v2, off, s[0:3], 0 offset:68
	;; [unrolled: 1-line block ×4, first 2 shown]
	s_waitcnt vmcnt(0)
	ds_write_b128 v1, v[45:48]
.LBB19_127:
	s_or_b32 exec_lo, exec_lo, s4
	s_waitcnt lgkmcnt(0)
	s_waitcnt_vscnt null, 0x0
	s_barrier
	buffer_gl0_inv
	s_clause 0x37
	buffer_load_dword v3, off, s[0:3], 0 offset:88
	buffer_load_dword v4, off, s[0:3], 0 offset:92
	;; [unrolled: 1-line block ×56, first 2 shown]
	ds_read_b128 v[45:48], v2 offset:384
	s_clause 0x2
	buffer_load_dword v110, off, s[0:3], 0 offset:316
	buffer_load_dword v114, off, s[0:3], 0 offset:292
	;; [unrolled: 1-line block ×3, first 2 shown]
	ds_read_b128 v[49:52], v2 offset:400
	s_clause 0x2
	buffer_load_dword v118, off, s[0:3], 0 offset:332
	buffer_load_dword v117, off, s[0:3], 0 offset:328
	;; [unrolled: 1-line block ×3, first 2 shown]
	ds_read_b128 v[53:56], v2 offset:416
	s_mov_b32 s4, exec_lo
	s_waitcnt vmcnt(60) lgkmcnt(2)
	v_mul_f64 v[115:116], v[47:48], v[3:4]
	v_mul_f64 v[3:4], v[45:46], v[3:4]
	s_waitcnt vmcnt(58) lgkmcnt(1)
	v_mul_f64 v[119:120], v[51:52], v[57:58]
	v_mul_f64 v[57:58], v[49:50], v[57:58]
	;; [unrolled: 3-line block ×3, first 2 shown]
	v_fma_f64 v[115:116], v[45:46], v[59:60], -v[115:116]
	v_fma_f64 v[3:4], v[47:48], v[59:60], v[3:4]
	s_clause 0x1
	buffer_load_dword v60, off, s[0:3], 0 offset:324
	buffer_load_dword v59, off, s[0:3], 0 offset:320
	s_waitcnt vmcnt(54)
	v_fma_f64 v[119:120], v[49:50], v[63:64], -v[119:120]
	ds_read_b128 v[45:48], v2 offset:432
	v_fma_f64 v[57:58], v[51:52], v[63:64], v[57:58]
	ds_read_b128 v[49:52], v2 offset:448
	s_waitcnt vmcnt(48)
	v_fma_f64 v[61:62], v[53:54], v[71:72], -v[61:62]
	v_fma_f64 v[71:72], v[55:56], v[71:72], v[121:122]
	v_add_f64 v[115:116], v[115:116], 0
	v_add_f64 v[3:4], v[3:4], 0
	s_waitcnt lgkmcnt(1)
	v_mul_f64 v[63:64], v[45:46], v[65:66]
	v_mul_f64 v[65:66], v[47:48], v[65:66]
	s_waitcnt vmcnt(47) lgkmcnt(0)
	v_mul_f64 v[121:122], v[49:50], v[67:68]
	v_mul_f64 v[67:68], v[51:52], v[67:68]
	v_add_f64 v[115:116], v[115:116], v[119:120]
	v_add_f64 v[3:4], v[3:4], v[57:58]
	s_clause 0x3
	buffer_load_dword v57, off, s[0:3], 0 offset:64
	buffer_load_dword v58, off, s[0:3], 0 offset:68
	;; [unrolled: 1-line block ×4, first 2 shown]
	s_waitcnt vmcnt(49)
	v_fma_f64 v[65:66], v[45:46], v[73:74], -v[65:66]
	ds_read_b128 v[53:56], v2 offset:464
	v_fma_f64 v[63:64], v[47:48], v[73:74], v[63:64]
	ds_read_b128 v[45:48], v2 offset:480
	s_waitcnt vmcnt(44)
	v_fma_f64 v[67:68], v[49:50], v[69:70], -v[67:68]
	v_add_f64 v[61:62], v[115:116], v[61:62]
	v_add_f64 v[3:4], v[3:4], v[71:72]
	s_waitcnt lgkmcnt(1)
	v_mul_f64 v[73:74], v[55:56], v[75:76]
	v_mul_f64 v[71:72], v[53:54], v[75:76]
	v_add_f64 v[61:62], v[61:62], v[65:66]
	v_fma_f64 v[65:66], v[51:52], v[69:70], v[121:122]
	v_add_f64 v[3:4], v[3:4], v[63:64]
	s_waitcnt vmcnt(43) lgkmcnt(0)
	v_mul_f64 v[69:70], v[47:48], v[77:78]
	s_waitcnt vmcnt(41)
	v_fma_f64 v[73:74], v[53:54], v[81:82], -v[73:74]
	ds_read_b128 v[49:52], v2 offset:496
	v_mul_f64 v[63:64], v[45:46], v[77:78]
	v_add_f64 v[61:62], v[61:62], v[67:68]
	v_fma_f64 v[67:68], v[55:56], v[81:82], v[71:72]
	v_add_f64 v[3:4], v[3:4], v[65:66]
	ds_read_b128 v[53:56], v2 offset:512
	s_waitcnt vmcnt(37) lgkmcnt(1)
	v_mul_f64 v[71:72], v[51:52], v[83:84]
	s_waitcnt vmcnt(36)
	v_fma_f64 v[69:70], v[45:46], v[79:80], -v[69:70]
	v_mul_f64 v[65:66], v[49:50], v[83:84]
	v_fma_f64 v[63:64], v[47:48], v[79:80], v[63:64]
	ds_read_b128 v[45:48], v2 offset:528
	v_add_f64 v[61:62], v[61:62], v[73:74]
	s_waitcnt vmcnt(35) lgkmcnt(1)
	v_mul_f64 v[73:74], v[55:56], v[85:86]
	v_add_f64 v[3:4], v[3:4], v[67:68]
	v_mul_f64 v[67:68], v[53:54], v[85:86]
	s_waitcnt vmcnt(33)
	v_fma_f64 v[71:72], v[49:50], v[89:90], -v[71:72]
	v_fma_f64 v[65:66], v[51:52], v[89:90], v[65:66]
	ds_read_b128 v[49:52], v2 offset:544
	v_add_f64 v[61:62], v[61:62], v[69:70]
	s_waitcnt vmcnt(29) lgkmcnt(1)
	v_mul_f64 v[69:70], v[47:48], v[91:92]
	v_add_f64 v[3:4], v[3:4], v[63:64]
	s_waitcnt vmcnt(28)
	v_fma_f64 v[73:74], v[53:54], v[87:88], -v[73:74]
	v_mul_f64 v[63:64], v[45:46], v[91:92]
	v_fma_f64 v[67:68], v[55:56], v[87:88], v[67:68]
	ds_read_b128 v[53:56], v2 offset:560
	v_add_f64 v[61:62], v[61:62], v[71:72]
	s_waitcnt vmcnt(27) lgkmcnt(1)
	v_mul_f64 v[71:72], v[51:52], v[93:94]
	v_add_f64 v[3:4], v[3:4], v[65:66]
	s_waitcnt vmcnt(25)
	v_fma_f64 v[69:70], v[45:46], v[97:98], -v[69:70]
	v_mul_f64 v[65:66], v[49:50], v[93:94]
	v_fma_f64 v[63:64], v[47:48], v[97:98], v[63:64]
	ds_read_b128 v[45:48], v2 offset:576
	v_add_f64 v[61:62], v[61:62], v[73:74]
	s_waitcnt vmcnt(21) lgkmcnt(1)
	v_mul_f64 v[73:74], v[55:56], v[99:100]
	v_add_f64 v[3:4], v[3:4], v[67:68]
	s_waitcnt vmcnt(20)
	v_fma_f64 v[71:72], v[49:50], v[95:96], -v[71:72]
	v_mul_f64 v[67:68], v[53:54], v[99:100]
	v_fma_f64 v[65:66], v[51:52], v[95:96], v[65:66]
	ds_read_b128 v[49:52], v2 offset:592
	v_add_f64 v[61:62], v[61:62], v[69:70]
	s_waitcnt vmcnt(19) lgkmcnt(1)
	v_mul_f64 v[69:70], v[47:48], v[101:102]
	v_add_f64 v[3:4], v[3:4], v[63:64]
	s_waitcnt vmcnt(17)
	v_fma_f64 v[73:74], v[53:54], v[105:106], -v[73:74]
	v_mul_f64 v[63:64], v[45:46], v[101:102]
	v_fma_f64 v[67:68], v[55:56], v[105:106], v[67:68]
	ds_read_b128 v[53:56], v2 offset:608
	v_add_f64 v[61:62], v[61:62], v[71:72]
	s_waitcnt vmcnt(13) lgkmcnt(1)
	v_mul_f64 v[71:72], v[51:52], v[107:108]
	v_add_f64 v[3:4], v[3:4], v[65:66]
	s_waitcnt vmcnt(12)
	v_fma_f64 v[69:70], v[45:46], v[103:104], -v[69:70]
	v_mul_f64 v[65:66], v[49:50], v[107:108]
	v_fma_f64 v[63:64], v[47:48], v[103:104], v[63:64]
	ds_read_b128 v[45:48], v2 offset:624
	v_add_f64 v[61:62], v[61:62], v[73:74]
	s_waitcnt vmcnt(11) lgkmcnt(1)
	v_mul_f64 v[73:74], v[55:56], v[109:110]
	v_add_f64 v[3:4], v[3:4], v[67:68]
	s_waitcnt vmcnt(9)
	v_fma_f64 v[49:50], v[49:50], v[113:114], -v[71:72]
	v_mul_f64 v[67:68], v[53:54], v[109:110]
	v_fma_f64 v[51:52], v[51:52], v[113:114], v[65:66]
	s_waitcnt vmcnt(7) lgkmcnt(0)
	v_mul_f64 v[65:66], v[47:48], v[117:118]
	v_add_f64 v[61:62], v[61:62], v[69:70]
	s_waitcnt vmcnt(6)
	v_fma_f64 v[53:54], v[53:54], v[111:112], -v[73:74]
	v_add_f64 v[2:3], v[3:4], v[63:64]
	v_mul_f64 v[63:64], v[45:46], v[117:118]
	v_fma_f64 v[55:56], v[55:56], v[111:112], v[67:68]
	v_add_f64 v[49:50], v[61:62], v[49:50]
	v_add_f64 v[2:3], v[2:3], v[51:52]
	s_waitcnt vmcnt(4)
	v_fma_f64 v[45:46], v[45:46], v[59:60], -v[65:66]
	v_fma_f64 v[47:48], v[47:48], v[59:60], v[63:64]
	v_add_f64 v[49:50], v[49:50], v[53:54]
	v_add_f64 v[2:3], v[2:3], v[55:56]
	v_add_f64 v[45:46], v[49:50], v[45:46]
	v_add_f64 v[2:3], v[2:3], v[47:48]
	s_waitcnt vmcnt(2)
	v_add_f64 v[45:46], v[57:58], -v[45:46]
	s_waitcnt vmcnt(0)
	v_add_f64 v[2:3], v[119:120], -v[2:3]
	buffer_store_dword v46, off, s[0:3], 0 offset:68
	buffer_store_dword v45, off, s[0:3], 0 offset:64
	;; [unrolled: 1-line block ×4, first 2 shown]
	v_cmpx_lt_u32_e32 2, v0
	s_cbranch_execz .LBB19_129
; %bb.128:
	v_mov_b32_e32 v2, s29
	s_clause 0x3
	buffer_load_dword v45, v2, s[0:3], 0 offen
	buffer_load_dword v46, v2, s[0:3], 0 offen offset:4
	buffer_load_dword v47, v2, s[0:3], 0 offen offset:8
	;; [unrolled: 1-line block ×3, first 2 shown]
	v_mov_b32_e32 v2, 0
	buffer_store_dword v2, off, s[0:3], 0 offset:48
	buffer_store_dword v2, off, s[0:3], 0 offset:52
	;; [unrolled: 1-line block ×4, first 2 shown]
	s_waitcnt vmcnt(0)
	ds_write_b128 v1, v[45:48]
.LBB19_129:
	s_or_b32 exec_lo, exec_lo, s4
	s_waitcnt lgkmcnt(0)
	s_waitcnt_vscnt null, 0x0
	s_barrier
	buffer_gl0_inv
	s_clause 0x35
	buffer_load_dword v3, off, s[0:3], 0 offset:72
	buffer_load_dword v4, off, s[0:3], 0 offset:76
	;; [unrolled: 1-line block ×54, first 2 shown]
	v_mov_b32_e32 v2, 0
	s_mov_b32 s4, exec_lo
	ds_read_b128 v[45:48], v2 offset:368
	s_clause 0x3
	buffer_load_dword v109, off, s[0:3], 0 offset:296
	buffer_load_dword v110, off, s[0:3], 0 offset:300
	;; [unrolled: 1-line block ×4, first 2 shown]
	ds_read_b128 v[49:52], v2 offset:384
	s_clause 0x3
	buffer_load_dword v116, off, s[0:3], 0 offset:316
	buffer_load_dword v115, off, s[0:3], 0 offset:312
	;; [unrolled: 1-line block ×4, first 2 shown]
	ds_read_b128 v[53:56], v2 offset:400
	s_waitcnt vmcnt(60) lgkmcnt(2)
	v_mul_f64 v[113:114], v[47:48], v[3:4]
	v_mul_f64 v[3:4], v[45:46], v[3:4]
	s_waitcnt vmcnt(58) lgkmcnt(1)
	v_mul_f64 v[119:120], v[51:52], v[57:58]
	v_mul_f64 v[57:58], v[49:50], v[57:58]
	;; [unrolled: 3-line block ×3, first 2 shown]
	v_fma_f64 v[113:114], v[45:46], v[59:60], -v[113:114]
	v_fma_f64 v[3:4], v[47:48], v[59:60], v[3:4]
	s_clause 0x3
	buffer_load_dword v59, off, s[0:3], 0 offset:328
	buffer_load_dword v60, off, s[0:3], 0 offset:332
	;; [unrolled: 1-line block ×4, first 2 shown]
	s_waitcnt vmcnt(56)
	v_fma_f64 v[119:120], v[49:50], v[63:64], -v[119:120]
	ds_read_b128 v[45:48], v2 offset:416
	v_fma_f64 v[57:58], v[51:52], v[63:64], v[57:58]
	s_clause 0x1
	buffer_load_dword v63, off, s[0:3], 0 offset:320
	buffer_load_dword v64, off, s[0:3], 0 offset:324
	s_waitcnt vmcnt(54)
	v_fma_f64 v[61:62], v[53:54], v[67:68], -v[61:62]
	ds_read_b128 v[49:52], v2 offset:432
	v_fma_f64 v[67:68], v[55:56], v[67:68], v[123:124]
	ds_read_b128 v[53:56], v2 offset:448
	v_add_f64 v[113:114], v[113:114], 0
	v_add_f64 v[3:4], v[3:4], 0
	s_waitcnt lgkmcnt(2)
	v_mul_f64 v[125:126], v[45:46], v[65:66]
	v_mul_f64 v[65:66], v[47:48], v[65:66]
	v_add_f64 v[113:114], v[113:114], v[119:120]
	v_add_f64 v[3:4], v[3:4], v[57:58]
	s_waitcnt vmcnt(52) lgkmcnt(1)
	v_mul_f64 v[57:58], v[49:50], v[69:70]
	v_mul_f64 v[69:70], v[51:52], v[69:70]
	s_waitcnt vmcnt(50)
	v_fma_f64 v[65:66], v[45:46], v[71:72], -v[65:66]
	v_fma_f64 v[71:72], v[47:48], v[71:72], v[125:126]
	s_waitcnt vmcnt(48) lgkmcnt(0)
	v_mul_f64 v[119:120], v[53:54], v[73:74]
	v_mul_f64 v[73:74], v[55:56], v[73:74]
	v_add_f64 v[61:62], v[113:114], v[61:62]
	v_add_f64 v[3:4], v[3:4], v[67:68]
	s_clause 0x3
	buffer_load_dword v67, off, s[0:3], 0 offset:48
	buffer_load_dword v68, off, s[0:3], 0 offset:52
	;; [unrolled: 1-line block ×4, first 2 shown]
	s_waitcnt vmcnt(50)
	v_fma_f64 v[69:70], v[49:50], v[75:76], -v[69:70]
	ds_read_b128 v[45:48], v2 offset:464
	v_fma_f64 v[57:58], v[51:52], v[75:76], v[57:58]
	ds_read_b128 v[49:52], v2 offset:480
	s_waitcnt vmcnt(46)
	v_fma_f64 v[73:74], v[53:54], v[79:80], -v[73:74]
	v_add_f64 v[61:62], v[61:62], v[65:66]
	v_add_f64 v[3:4], v[3:4], v[71:72]
	s_waitcnt lgkmcnt(1)
	v_mul_f64 v[71:72], v[47:48], v[77:78]
	v_mul_f64 v[65:66], v[45:46], v[77:78]
	s_waitcnt vmcnt(44) lgkmcnt(0)
	v_mul_f64 v[75:76], v[51:52], v[81:82]
	v_add_f64 v[61:62], v[61:62], v[69:70]
	v_fma_f64 v[69:70], v[55:56], v[79:80], v[119:120]
	v_add_f64 v[3:4], v[3:4], v[57:58]
	s_waitcnt vmcnt(42)
	v_fma_f64 v[71:72], v[45:46], v[83:84], -v[71:72]
	ds_read_b128 v[53:56], v2 offset:496
	v_mul_f64 v[57:58], v[49:50], v[81:82]
	v_fma_f64 v[65:66], v[47:48], v[83:84], v[65:66]
	ds_read_b128 v[45:48], v2 offset:512
	s_waitcnt vmcnt(38)
	v_fma_f64 v[75:76], v[49:50], v[87:88], -v[75:76]
	v_add_f64 v[61:62], v[61:62], v[73:74]
	v_add_f64 v[3:4], v[3:4], v[69:70]
	s_waitcnt lgkmcnt(1)
	v_mul_f64 v[73:74], v[55:56], v[85:86]
	v_mul_f64 v[69:70], v[53:54], v[85:86]
	v_fma_f64 v[57:58], v[51:52], v[87:88], v[57:58]
	ds_read_b128 v[49:52], v2 offset:528
	v_add_f64 v[61:62], v[61:62], v[71:72]
	s_waitcnt vmcnt(36) lgkmcnt(1)
	v_mul_f64 v[71:72], v[47:48], v[89:90]
	v_add_f64 v[3:4], v[3:4], v[65:66]
	s_waitcnt vmcnt(34)
	v_fma_f64 v[73:74], v[53:54], v[91:92], -v[73:74]
	v_mul_f64 v[65:66], v[45:46], v[89:90]
	v_fma_f64 v[69:70], v[55:56], v[91:92], v[69:70]
	ds_read_b128 v[53:56], v2 offset:544
	v_add_f64 v[61:62], v[61:62], v[75:76]
	s_waitcnt vmcnt(32) lgkmcnt(1)
	v_mul_f64 v[75:76], v[51:52], v[93:94]
	v_add_f64 v[3:4], v[3:4], v[57:58]
	s_waitcnt vmcnt(30)
	v_fma_f64 v[71:72], v[45:46], v[95:96], -v[71:72]
	;; [unrolled: 9-line block ×7, first 2 shown]
	v_mul_f64 v[65:66], v[45:46], v[115:116]
	v_fma_f64 v[55:56], v[55:56], v[117:118], v[69:70]
	v_add_f64 v[61:62], v[61:62], v[75:76]
	v_add_f64 v[3:4], v[3:4], v[57:58]
	s_waitcnt vmcnt(8) lgkmcnt(0)
	v_mul_f64 v[57:58], v[49:50], v[59:60]
	v_mul_f64 v[59:60], v[51:52], v[59:60]
	s_waitcnt vmcnt(6)
	v_fma_f64 v[45:46], v[45:46], v[121:122], -v[71:72]
	v_fma_f64 v[47:48], v[47:48], v[121:122], v[65:66]
	v_add_f64 v[53:54], v[61:62], v[53:54]
	v_add_f64 v[3:4], v[3:4], v[55:56]
	s_waitcnt vmcnt(4)
	v_fma_f64 v[51:52], v[51:52], v[63:64], v[57:58]
	v_fma_f64 v[49:50], v[49:50], v[63:64], -v[59:60]
	v_add_f64 v[45:46], v[53:54], v[45:46]
	v_add_f64 v[3:4], v[3:4], v[47:48]
	;; [unrolled: 1-line block ×4, first 2 shown]
	s_waitcnt vmcnt(2)
	v_add_f64 v[45:46], v[67:68], -v[45:46]
	s_waitcnt vmcnt(0)
	v_add_f64 v[3:4], v[113:114], -v[3:4]
	buffer_store_dword v46, off, s[0:3], 0 offset:52
	buffer_store_dword v45, off, s[0:3], 0 offset:48
	;; [unrolled: 1-line block ×4, first 2 shown]
	v_cmpx_lt_u32_e32 1, v0
	s_cbranch_execz .LBB19_131
; %bb.130:
	v_mov_b32_e32 v3, s30
	s_clause 0x3
	buffer_load_dword v45, v3, s[0:3], 0 offen
	buffer_load_dword v46, v3, s[0:3], 0 offen offset:4
	buffer_load_dword v47, v3, s[0:3], 0 offen offset:8
	;; [unrolled: 1-line block ×3, first 2 shown]
	buffer_store_dword v2, off, s[0:3], 0 offset:32
	buffer_store_dword v2, off, s[0:3], 0 offset:36
	;; [unrolled: 1-line block ×4, first 2 shown]
	s_waitcnt vmcnt(0)
	ds_write_b128 v1, v[45:48]
.LBB19_131:
	s_or_b32 exec_lo, exec_lo, s4
	s_waitcnt lgkmcnt(0)
	s_waitcnt_vscnt null, 0x0
	s_barrier
	buffer_gl0_inv
	s_clause 0x37
	buffer_load_dword v3, off, s[0:3], 0 offset:56
	buffer_load_dword v4, off, s[0:3], 0 offset:60
	;; [unrolled: 1-line block ×56, first 2 shown]
	ds_read_b128 v[45:48], v2 offset:352
	s_clause 0x2
	buffer_load_dword v110, off, s[0:3], 0 offset:284
	buffer_load_dword v114, off, s[0:3], 0 offset:260
	buffer_load_dword v113, off, s[0:3], 0 offset:256
	ds_read_b128 v[49:52], v2 offset:368
	s_clause 0x4
	buffer_load_dword v118, off, s[0:3], 0 offset:300
	buffer_load_dword v119, off, s[0:3], 0 offset:312
	;; [unrolled: 1-line block ×5, first 2 shown]
	ds_read_b128 v[53:56], v2 offset:384
	s_mov_b32 s4, exec_lo
	s_waitcnt vmcnt(62) lgkmcnt(2)
	v_mul_f64 v[115:116], v[47:48], v[3:4]
	v_mul_f64 v[3:4], v[45:46], v[3:4]
	s_waitcnt vmcnt(60) lgkmcnt(1)
	v_mul_f64 v[122:123], v[51:52], v[57:58]
	v_mul_f64 v[57:58], v[49:50], v[57:58]
	;; [unrolled: 3-line block ×3, first 2 shown]
	v_fma_f64 v[115:116], v[45:46], v[59:60], -v[115:116]
	v_fma_f64 v[3:4], v[47:48], v[59:60], v[3:4]
	s_clause 0x2
	buffer_load_dword v120, off, s[0:3], 0 offset:316
	buffer_load_dword v60, off, s[0:3], 0 offset:292
	;; [unrolled: 1-line block ×3, first 2 shown]
	s_waitcnt vmcnt(57)
	v_fma_f64 v[126:127], v[49:50], v[63:64], -v[122:123]
	ds_read_b128 v[45:48], v2 offset:400
	v_fma_f64 v[57:58], v[51:52], v[63:64], v[57:58]
	s_clause 0x2
	buffer_load_dword v64, off, s[0:3], 0 offset:332
	buffer_load_dword v63, off, s[0:3], 0 offset:328
	;; [unrolled: 1-line block ×3, first 2 shown]
	s_waitcnt vmcnt(54)
	v_fma_f64 v[61:62], v[53:54], v[71:72], -v[61:62]
	ds_read_b128 v[49:52], v2 offset:416
	v_fma_f64 v[71:72], v[55:56], v[71:72], v[124:125]
	v_add_f64 v[115:116], v[115:116], 0
	v_add_f64 v[3:4], v[3:4], 0
	s_waitcnt lgkmcnt(1)
	v_mul_f64 v[128:129], v[45:46], v[65:66]
	v_mul_f64 v[65:66], v[47:48], v[65:66]
	s_waitcnt vmcnt(53) lgkmcnt(0)
	v_mul_f64 v[123:124], v[49:50], v[67:68]
	v_mul_f64 v[67:68], v[51:52], v[67:68]
	v_add_f64 v[115:116], v[115:116], v[126:127]
	v_add_f64 v[3:4], v[3:4], v[57:58]
	s_clause 0x1
	buffer_load_dword v58, off, s[0:3], 0 offset:324
	buffer_load_dword v57, off, s[0:3], 0 offset:320
	s_waitcnt vmcnt(53)
	v_fma_f64 v[65:66], v[45:46], v[73:74], -v[65:66]
	ds_read_b128 v[53:56], v2 offset:432
	v_fma_f64 v[73:74], v[47:48], v[73:74], v[128:129]
	ds_read_b128 v[45:48], v2 offset:448
	s_waitcnt vmcnt(48)
	v_fma_f64 v[67:68], v[49:50], v[69:70], -v[67:68]
	v_add_f64 v[61:62], v[115:116], v[61:62]
	v_add_f64 v[3:4], v[3:4], v[71:72]
	s_waitcnt lgkmcnt(1)
	v_mul_f64 v[71:72], v[53:54], v[75:76]
	v_mul_f64 v[75:76], v[55:56], v[75:76]
	s_waitcnt vmcnt(47) lgkmcnt(0)
	v_mul_f64 v[115:116], v[45:46], v[77:78]
	v_mul_f64 v[77:78], v[47:48], v[77:78]
	v_add_f64 v[61:62], v[61:62], v[65:66]
	v_fma_f64 v[65:66], v[51:52], v[69:70], v[123:124]
	v_add_f64 v[3:4], v[3:4], v[73:74]
	s_clause 0x3
	buffer_load_dword v69, off, s[0:3], 0 offset:32
	buffer_load_dword v70, off, s[0:3], 0 offset:36
	buffer_load_dword v73, off, s[0:3], 0 offset:40
	buffer_load_dword v74, off, s[0:3], 0 offset:44
	s_waitcnt vmcnt(49)
	v_fma_f64 v[75:76], v[53:54], v[81:82], -v[75:76]
	ds_read_b128 v[49:52], v2 offset:464
	s_waitcnt vmcnt(44)
	v_fma_f64 v[77:78], v[45:46], v[79:80], -v[77:78]
	v_add_f64 v[61:62], v[61:62], v[67:68]
	v_fma_f64 v[67:68], v[55:56], v[81:82], v[71:72]
	v_add_f64 v[3:4], v[3:4], v[65:66]
	ds_read_b128 v[53:56], v2 offset:480
	s_waitcnt lgkmcnt(1)
	v_mul_f64 v[71:72], v[51:52], v[83:84]
	v_mul_f64 v[65:66], v[49:50], v[83:84]
	v_add_f64 v[61:62], v[61:62], v[75:76]
	v_fma_f64 v[75:76], v[47:48], v[79:80], v[115:116]
	v_add_f64 v[3:4], v[3:4], v[67:68]
	s_waitcnt vmcnt(43) lgkmcnt(0)
	v_mul_f64 v[79:80], v[55:56], v[85:86]
	s_waitcnt vmcnt(41)
	v_fma_f64 v[71:72], v[49:50], v[89:90], -v[71:72]
	ds_read_b128 v[45:48], v2 offset:496
	v_mul_f64 v[67:68], v[53:54], v[85:86]
	v_fma_f64 v[65:66], v[51:52], v[89:90], v[65:66]
	ds_read_b128 v[49:52], v2 offset:512
	v_add_f64 v[61:62], v[61:62], v[77:78]
	v_add_f64 v[3:4], v[3:4], v[75:76]
	s_waitcnt vmcnt(37) lgkmcnt(1)
	v_mul_f64 v[77:78], v[47:48], v[91:92]
	s_waitcnt vmcnt(36)
	v_fma_f64 v[79:80], v[53:54], v[87:88], -v[79:80]
	v_mul_f64 v[75:76], v[45:46], v[91:92]
	v_fma_f64 v[67:68], v[55:56], v[87:88], v[67:68]
	ds_read_b128 v[53:56], v2 offset:528
	v_add_f64 v[61:62], v[61:62], v[71:72]
	s_waitcnt vmcnt(35) lgkmcnt(1)
	v_mul_f64 v[71:72], v[51:52], v[93:94]
	v_add_f64 v[3:4], v[3:4], v[65:66]
	s_waitcnt vmcnt(33)
	v_fma_f64 v[77:78], v[45:46], v[97:98], -v[77:78]
	v_mul_f64 v[65:66], v[49:50], v[93:94]
	v_fma_f64 v[75:76], v[47:48], v[97:98], v[75:76]
	ds_read_b128 v[45:48], v2 offset:544
	v_add_f64 v[61:62], v[61:62], v[79:80]
	s_waitcnt vmcnt(29) lgkmcnt(1)
	v_mul_f64 v[79:80], v[55:56], v[99:100]
	v_add_f64 v[3:4], v[3:4], v[67:68]
	;; [unrolled: 9-line block ×6, first 2 shown]
	s_waitcnt vmcnt(12)
	v_fma_f64 v[79:80], v[53:54], v[111:112], -v[79:80]
	v_mul_f64 v[75:76], v[45:46], v[117:118]
	v_fma_f64 v[67:68], v[55:56], v[111:112], v[67:68]
	ds_read_b128 v[53:56], v2 offset:624
	v_add_f64 v[61:62], v[61:62], v[71:72]
	v_add_f64 v[3:4], v[3:4], v[65:66]
	s_waitcnt vmcnt(11) lgkmcnt(1)
	v_mul_f64 v[71:72], v[51:52], v[119:120]
	v_mul_f64 v[65:66], v[49:50], v[119:120]
	s_waitcnt vmcnt(9)
	v_fma_f64 v[45:46], v[45:46], v[59:60], -v[77:78]
	v_fma_f64 v[47:48], v[47:48], v[59:60], v[75:76]
	s_waitcnt vmcnt(7) lgkmcnt(0)
	v_mul_f64 v[59:60], v[53:54], v[63:64]
	v_mul_f64 v[63:64], v[55:56], v[63:64]
	v_add_f64 v[61:62], v[61:62], v[79:80]
	v_add_f64 v[2:3], v[3:4], v[67:68]
	s_waitcnt vmcnt(6)
	v_fma_f64 v[49:50], v[49:50], v[121:122], -v[71:72]
	v_fma_f64 v[51:52], v[51:52], v[121:122], v[65:66]
	v_add_f64 v[45:46], v[61:62], v[45:46]
	v_add_f64 v[2:3], v[2:3], v[47:48]
	s_waitcnt vmcnt(4)
	v_fma_f64 v[47:48], v[53:54], v[57:58], -v[63:64]
	v_add_f64 v[45:46], v[45:46], v[49:50]
	v_fma_f64 v[49:50], v[55:56], v[57:58], v[59:60]
	v_add_f64 v[2:3], v[2:3], v[51:52]
	v_add_f64 v[45:46], v[45:46], v[47:48]
	;; [unrolled: 1-line block ×3, first 2 shown]
	s_waitcnt vmcnt(2)
	v_add_f64 v[45:46], v[69:70], -v[45:46]
	s_waitcnt vmcnt(0)
	v_add_f64 v[2:3], v[73:74], -v[2:3]
	buffer_store_dword v46, off, s[0:3], 0 offset:36
	buffer_store_dword v45, off, s[0:3], 0 offset:32
	;; [unrolled: 1-line block ×4, first 2 shown]
	v_cmpx_ne_u32_e32 0, v0
	s_cbranch_execz .LBB19_133
; %bb.132:
	s_clause 0x3
	buffer_load_dword v45, off, s[0:3], 0 offset:16
	buffer_load_dword v46, off, s[0:3], 0 offset:20
	;; [unrolled: 1-line block ×4, first 2 shown]
	v_mov_b32_e32 v0, 0
	buffer_store_dword v0, off, s[0:3], 0 offset:16
	buffer_store_dword v0, off, s[0:3], 0 offset:20
	;; [unrolled: 1-line block ×4, first 2 shown]
	s_waitcnt vmcnt(0)
	ds_write_b128 v1, v[45:48]
.LBB19_133:
	s_or_b32 exec_lo, exec_lo, s4
	s_waitcnt lgkmcnt(0)
	s_waitcnt_vscnt null, 0x0
	s_barrier
	buffer_gl0_inv
	s_clause 0x37
	buffer_load_dword v49, off, s[0:3], 0 offset:40
	buffer_load_dword v50, off, s[0:3], 0 offset:44
	buffer_load_dword v53, off, s[0:3], 0 offset:56
	buffer_load_dword v54, off, s[0:3], 0 offset:60
	buffer_load_dword v55, off, s[0:3], 0 offset:32
	buffer_load_dword v56, off, s[0:3], 0 offset:36
	buffer_load_dword v57, off, s[0:3], 0 offset:72
	buffer_load_dword v58, off, s[0:3], 0 offset:76
	buffer_load_dword v59, off, s[0:3], 0 offset:48
	buffer_load_dword v60, off, s[0:3], 0 offset:52
	buffer_load_dword v62, off, s[0:3], 0 offset:92
	buffer_load_dword v63, off, s[0:3], 0 offset:104
	buffer_load_dword v65, off, s[0:3], 0 offset:96
	buffer_load_dword v61, off, s[0:3], 0 offset:88
	buffer_load_dword v67, off, s[0:3], 0 offset:64
	buffer_load_dword v68, off, s[0:3], 0 offset:68
	buffer_load_dword v64, off, s[0:3], 0 offset:108
	buffer_load_dword v70, off, s[0:3], 0 offset:84
	buffer_load_dword v69, off, s[0:3], 0 offset:80
	buffer_load_dword v72, off, s[0:3], 0 offset:124
	buffer_load_dword v73, off, s[0:3], 0 offset:136
	buffer_load_dword v75, off, s[0:3], 0 offset:128
	buffer_load_dword v71, off, s[0:3], 0 offset:120
	buffer_load_dword v66, off, s[0:3], 0 offset:100
	buffer_load_dword v74, off, s[0:3], 0 offset:140
	buffer_load_dword v78, off, s[0:3], 0 offset:116
	buffer_load_dword v77, off, s[0:3], 0 offset:112
	buffer_load_dword v80, off, s[0:3], 0 offset:156
	buffer_load_dword v81, off, s[0:3], 0 offset:168
	buffer_load_dword v83, off, s[0:3], 0 offset:160
	buffer_load_dword v79, off, s[0:3], 0 offset:152
	buffer_load_dword v76, off, s[0:3], 0 offset:132
	buffer_load_dword v82, off, s[0:3], 0 offset:172
	buffer_load_dword v86, off, s[0:3], 0 offset:148
	buffer_load_dword v85, off, s[0:3], 0 offset:144
	buffer_load_dword v88, off, s[0:3], 0 offset:188
	buffer_load_dword v89, off, s[0:3], 0 offset:200
	buffer_load_dword v91, off, s[0:3], 0 offset:192
	buffer_load_dword v87, off, s[0:3], 0 offset:184
	buffer_load_dword v84, off, s[0:3], 0 offset:164
	buffer_load_dword v90, off, s[0:3], 0 offset:204
	buffer_load_dword v94, off, s[0:3], 0 offset:180
	buffer_load_dword v93, off, s[0:3], 0 offset:176
	buffer_load_dword v96, off, s[0:3], 0 offset:220
	buffer_load_dword v97, off, s[0:3], 0 offset:232
	buffer_load_dword v99, off, s[0:3], 0 offset:224
	buffer_load_dword v95, off, s[0:3], 0 offset:216
	buffer_load_dword v92, off, s[0:3], 0 offset:196
	buffer_load_dword v98, off, s[0:3], 0 offset:236
	buffer_load_dword v102, off, s[0:3], 0 offset:212
	buffer_load_dword v101, off, s[0:3], 0 offset:208
	buffer_load_dword v104, off, s[0:3], 0 offset:252
	buffer_load_dword v105, off, s[0:3], 0 offset:264
	buffer_load_dword v107, off, s[0:3], 0 offset:256
	buffer_load_dword v103, off, s[0:3], 0 offset:248
	buffer_load_dword v100, off, s[0:3], 0 offset:228
	v_mov_b32_e32 v0, 0
	s_and_b32 vcc_lo, exec_lo, s31
	ds_read_b128 v[1:4], v0 offset:336
	s_clause 0x2
	buffer_load_dword v106, off, s[0:3], 0 offset:268
	buffer_load_dword v110, off, s[0:3], 0 offset:244
	buffer_load_dword v109, off, s[0:3], 0 offset:240
	ds_read_b128 v[45:48], v0 offset:352
	s_clause 0x4
	buffer_load_dword v116, off, s[0:3], 0 offset:284
	buffer_load_dword v117, off, s[0:3], 0 offset:296
	;; [unrolled: 1-line block ×5, first 2 shown]
	s_waitcnt vmcnt(62) lgkmcnt(1)
	v_mul_f64 v[111:112], v[3:4], v[49:50]
	v_mul_f64 v[113:114], v[1:2], v[49:50]
	s_waitcnt vmcnt(60) lgkmcnt(0)
	v_mul_f64 v[120:121], v[47:48], v[53:54]
	ds_read_b128 v[49:52], v0 offset:368
	v_mul_f64 v[53:54], v[45:46], v[53:54]
	s_waitcnt vmcnt(58)
	v_fma_f64 v[111:112], v[1:2], v[55:56], -v[111:112]
	v_fma_f64 v[55:56], v[3:4], v[55:56], v[113:114]
	s_clause 0x2
	buffer_load_dword v118, off, s[0:3], 0 offset:300
	buffer_load_dword v114, off, s[0:3], 0 offset:276
	;; [unrolled: 1-line block ×3, first 2 shown]
	s_waitcnt vmcnt(59) lgkmcnt(0)
	v_mul_f64 v[122:123], v[49:50], v[57:58]
	v_mul_f64 v[57:58], v[51:52], v[57:58]
	s_waitcnt vmcnt(57)
	v_fma_f64 v[124:125], v[45:46], v[59:60], -v[120:121]
	ds_read_b128 v[1:4], v0 offset:384
	v_fma_f64 v[53:54], v[47:48], v[59:60], v[53:54]
	s_clause 0x4
	buffer_load_dword v60, off, s[0:3], 0 offset:316
	buffer_load_dword v121, off, s[0:3], 0 offset:328
	buffer_load_dword v126, off, s[0:3], 0 offset:320
	buffer_load_dword v59, off, s[0:3], 0 offset:312
	buffer_load_dword v120, off, s[0:3], 0 offset:292
	ds_read_b128 v[45:48], v0 offset:400
	v_add_f64 v[111:112], v[111:112], 0
	v_add_f64 v[55:56], v[55:56], 0
	s_waitcnt vmcnt(58) lgkmcnt(1)
	v_mul_f64 v[127:128], v[1:2], v[61:62]
	v_mul_f64 v[61:62], v[3:4], v[61:62]
	s_waitcnt vmcnt(56)
	v_fma_f64 v[57:58], v[49:50], v[67:68], -v[57:58]
	v_fma_f64 v[67:68], v[51:52], v[67:68], v[122:123]
	v_add_f64 v[111:112], v[111:112], v[124:125]
	v_add_f64 v[53:54], v[55:56], v[53:54]
	s_clause 0x2
	buffer_load_dword v122, off, s[0:3], 0 offset:332
	buffer_load_dword v56, off, s[0:3], 0 offset:308
	;; [unrolled: 1-line block ×3, first 2 shown]
	s_waitcnt vmcnt(58) lgkmcnt(0)
	v_mul_f64 v[123:124], v[45:46], v[63:64]
	v_mul_f64 v[63:64], v[47:48], v[63:64]
	s_waitcnt vmcnt(56)
	v_fma_f64 v[61:62], v[1:2], v[69:70], -v[61:62]
	ds_read_b128 v[49:52], v0 offset:416
	v_fma_f64 v[69:70], v[3:4], v[69:70], v[127:128]
	buffer_load_dword v127, off, s[0:3], 0 offset:324
	ds_read_b128 v[1:4], v0 offset:432
	v_add_f64 v[57:58], v[111:112], v[57:58]
	v_add_f64 v[53:54], v[53:54], v[67:68]
	s_waitcnt vmcnt(53) lgkmcnt(1)
	v_mul_f64 v[67:68], v[49:50], v[71:72]
	v_mul_f64 v[71:72], v[51:52], v[71:72]
	s_waitcnt vmcnt(52)
	v_fma_f64 v[63:64], v[45:46], v[65:66], -v[63:64]
	v_add_f64 v[57:58], v[57:58], v[61:62]
	v_fma_f64 v[61:62], v[47:48], v[65:66], v[123:124]
	v_add_f64 v[53:54], v[53:54], v[69:70]
	s_waitcnt vmcnt(51) lgkmcnt(0)
	v_mul_f64 v[69:70], v[3:4], v[73:74]
	ds_read_b128 v[45:48], v0 offset:448
	s_waitcnt vmcnt(49)
	v_fma_f64 v[71:72], v[49:50], v[77:78], -v[71:72]
	v_mul_f64 v[65:66], v[1:2], v[73:74]
	v_add_f64 v[57:58], v[57:58], v[63:64]
	v_fma_f64 v[63:64], v[51:52], v[77:78], v[67:68]
	v_add_f64 v[53:54], v[53:54], v[61:62]
	s_clause 0x3
	buffer_load_dword v61, off, s[0:3], 0 offset:16
	buffer_load_dword v62, off, s[0:3], 0 offset:20
	;; [unrolled: 1-line block ×4, first 2 shown]
	s_waitcnt vmcnt(49) lgkmcnt(0)
	v_mul_f64 v[77:78], v[47:48], v[79:80]
	s_waitcnt vmcnt(48)
	v_fma_f64 v[69:70], v[1:2], v[75:76], -v[69:70]
	ds_read_b128 v[49:52], v0 offset:464
	v_mul_f64 v[73:74], v[45:46], v[79:80]
	v_fma_f64 v[65:66], v[3:4], v[75:76], v[65:66]
	ds_read_b128 v[1:4], v0 offset:480
	v_add_f64 v[57:58], v[57:58], v[71:72]
	v_add_f64 v[53:54], v[53:54], v[63:64]
	s_waitcnt vmcnt(47) lgkmcnt(1)
	v_mul_f64 v[71:72], v[51:52], v[81:82]
	s_waitcnt vmcnt(45)
	v_fma_f64 v[75:76], v[45:46], v[85:86], -v[77:78]
	v_mul_f64 v[63:64], v[49:50], v[81:82]
	v_add_f64 v[57:58], v[57:58], v[69:70]
	v_fma_f64 v[69:70], v[47:48], v[85:86], v[73:74]
	v_add_f64 v[53:54], v[53:54], v[65:66]
	s_waitcnt vmcnt(41) lgkmcnt(0)
	v_mul_f64 v[73:74], v[3:4], v[87:88]
	s_waitcnt vmcnt(40)
	v_fma_f64 v[71:72], v[49:50], v[83:84], -v[71:72]
	ds_read_b128 v[45:48], v0 offset:496
	v_mul_f64 v[65:66], v[1:2], v[87:88]
	v_fma_f64 v[63:64], v[51:52], v[83:84], v[63:64]
	ds_read_b128 v[49:52], v0 offset:512
	v_add_f64 v[57:58], v[57:58], v[75:76]
	v_add_f64 v[53:54], v[53:54], v[69:70]
	s_waitcnt vmcnt(39) lgkmcnt(1)
	v_mul_f64 v[75:76], v[47:48], v[89:90]
	s_waitcnt vmcnt(37)
	v_fma_f64 v[73:74], v[1:2], v[93:94], -v[73:74]
	v_mul_f64 v[69:70], v[45:46], v[89:90]
	v_fma_f64 v[65:66], v[3:4], v[93:94], v[65:66]
	ds_read_b128 v[1:4], v0 offset:528
	v_add_f64 v[57:58], v[57:58], v[71:72]
	s_waitcnt vmcnt(33) lgkmcnt(1)
	v_mul_f64 v[71:72], v[51:52], v[95:96]
	v_add_f64 v[53:54], v[53:54], v[63:64]
	s_waitcnt vmcnt(32)
	v_fma_f64 v[75:76], v[45:46], v[91:92], -v[75:76]
	v_mul_f64 v[63:64], v[49:50], v[95:96]
	v_fma_f64 v[69:70], v[47:48], v[91:92], v[69:70]
	ds_read_b128 v[45:48], v0 offset:544
	v_add_f64 v[57:58], v[57:58], v[73:74]
	s_waitcnt vmcnt(31) lgkmcnt(1)
	v_mul_f64 v[73:74], v[3:4], v[97:98]
	v_add_f64 v[53:54], v[53:54], v[65:66]
	;; [unrolled: 9-line block ×5, first 2 shown]
	s_waitcnt vmcnt(16)
	v_fma_f64 v[71:72], v[49:50], v[107:108], -v[71:72]
	v_mul_f64 v[65:66], v[1:2], v[115:116]
	v_fma_f64 v[63:64], v[51:52], v[107:108], v[63:64]
	ds_read_b128 v[49:52], v0 offset:608
	v_add_f64 v[57:58], v[57:58], v[75:76]
	v_add_f64 v[53:54], v[53:54], v[69:70]
	s_waitcnt vmcnt(15) lgkmcnt(1)
	v_mul_f64 v[75:76], v[47:48], v[117:118]
	v_mul_f64 v[69:70], v[45:46], v[117:118]
	s_waitcnt vmcnt(13)
	v_fma_f64 v[73:74], v[1:2], v[113:114], -v[73:74]
	v_fma_f64 v[65:66], v[3:4], v[113:114], v[65:66]
	ds_read_b128 v[1:4], v0 offset:624
	v_add_f64 v[57:58], v[57:58], v[71:72]
	v_add_f64 v[53:54], v[53:54], v[63:64]
	s_waitcnt vmcnt(9) lgkmcnt(1)
	v_mul_f64 v[63:64], v[49:50], v[59:60]
	v_mul_f64 v[59:60], v[51:52], v[59:60]
	s_waitcnt vmcnt(8)
	v_fma_f64 v[45:46], v[45:46], v[119:120], -v[75:76]
	v_fma_f64 v[47:48], v[47:48], v[119:120], v[69:70]
	v_add_f64 v[57:58], v[57:58], v[73:74]
	v_add_f64 v[53:54], v[53:54], v[65:66]
	s_waitcnt vmcnt(7) lgkmcnt(0)
	v_mul_f64 v[69:70], v[3:4], v[121:122]
	v_mul_f64 v[65:66], v[1:2], v[121:122]
	s_waitcnt vmcnt(5)
	v_fma_f64 v[49:50], v[49:50], v[55:56], -v[59:60]
	v_fma_f64 v[51:52], v[51:52], v[55:56], v[63:64]
	v_add_f64 v[45:46], v[57:58], v[45:46]
	v_add_f64 v[47:48], v[53:54], v[47:48]
	s_waitcnt vmcnt(4)
	v_fma_f64 v[1:2], v[1:2], v[126:127], -v[69:70]
	v_fma_f64 v[3:4], v[3:4], v[126:127], v[65:66]
	v_add_f64 v[45:46], v[45:46], v[49:50]
	v_add_f64 v[47:48], v[47:48], v[51:52]
	;; [unrolled: 1-line block ×4, first 2 shown]
	s_waitcnt vmcnt(2)
	v_add_f64 v[1:2], v[61:62], -v[1:2]
	s_waitcnt vmcnt(0)
	v_add_f64 v[3:4], v[67:68], -v[3:4]
	buffer_store_dword v2, off, s[0:3], 0 offset:20
	buffer_store_dword v1, off, s[0:3], 0 offset:16
	;; [unrolled: 1-line block ×4, first 2 shown]
	s_cbranch_vccz .LBB19_172
; %bb.134:
	global_load_dword v0, v0, s[20:21] offset:72
	s_waitcnt vmcnt(0)
	v_add_nc_u32_e32 v0, -1, v0
	v_cmp_ne_u32_e32 vcc_lo, 18, v0
	s_cbranch_vccz .LBB19_136
; %bb.135:
	v_lshlrev_b32_e32 v0, 4, v0
	v_mov_b32_e32 v1, s9
	v_add_nc_u32_e32 v0, 16, v0
	s_clause 0x7
	buffer_load_dword v2, v0, s[0:3], 0 offen
	buffer_load_dword v3, v0, s[0:3], 0 offen offset:4
	buffer_load_dword v4, v0, s[0:3], 0 offen offset:8
	;; [unrolled: 1-line block ×6, first 2 shown]
	buffer_load_dword v49, v1, s[0:3], 0 offen
	s_waitcnt vmcnt(7)
	buffer_store_dword v2, v1, s[0:3], 0 offen
	s_waitcnt vmcnt(6)
	buffer_store_dword v3, v1, s[0:3], 0 offen offset:4
	s_waitcnt vmcnt(5)
	buffer_store_dword v4, v1, s[0:3], 0 offen offset:8
	;; [unrolled: 2-line block ×6, first 2 shown]
	s_waitcnt vmcnt(0)
	buffer_store_dword v49, v0, s[0:3], 0 offen
.LBB19_136:
	v_mov_b32_e32 v0, 0
	global_load_dword v1, v0, s[20:21] offset:68
	s_waitcnt vmcnt(0)
	v_add_nc_u32_e32 v1, -1, v1
	v_cmp_eq_u32_e32 vcc_lo, 17, v1
	s_cbranch_vccnz .LBB19_138
; %bb.137:
	v_lshlrev_b32_e32 v1, 4, v1
	v_mov_b32_e32 v2, s12
	v_add_nc_u32_e32 v1, 16, v1
	s_clause 0x7
	buffer_load_dword v3, v1, s[0:3], 0 offen
	buffer_load_dword v4, v1, s[0:3], 0 offen offset:4
	buffer_load_dword v45, v1, s[0:3], 0 offen offset:8
	;; [unrolled: 1-line block ×6, first 2 shown]
	buffer_load_dword v50, v2, s[0:3], 0 offen
	s_waitcnt vmcnt(7)
	buffer_store_dword v3, v2, s[0:3], 0 offen
	s_waitcnt vmcnt(6)
	buffer_store_dword v4, v2, s[0:3], 0 offen offset:4
	s_waitcnt vmcnt(5)
	buffer_store_dword v45, v2, s[0:3], 0 offen offset:8
	;; [unrolled: 2-line block ×6, first 2 shown]
	s_waitcnt vmcnt(0)
	buffer_store_dword v50, v1, s[0:3], 0 offen
.LBB19_138:
	global_load_dword v0, v0, s[20:21] offset:64
	s_waitcnt vmcnt(0)
	v_add_nc_u32_e32 v0, -1, v0
	v_cmp_eq_u32_e32 vcc_lo, 16, v0
	s_cbranch_vccnz .LBB19_140
; %bb.139:
	v_lshlrev_b32_e32 v0, 4, v0
	v_mov_b32_e32 v1, s13
	v_add_nc_u32_e32 v0, 16, v0
	s_clause 0x7
	buffer_load_dword v2, v0, s[0:3], 0 offen
	buffer_load_dword v3, v0, s[0:3], 0 offen offset:4
	buffer_load_dword v4, v0, s[0:3], 0 offen offset:8
	;; [unrolled: 1-line block ×6, first 2 shown]
	buffer_load_dword v49, v1, s[0:3], 0 offen
	s_waitcnt vmcnt(7)
	buffer_store_dword v2, v1, s[0:3], 0 offen
	s_waitcnt vmcnt(6)
	buffer_store_dword v3, v1, s[0:3], 0 offen offset:4
	s_waitcnt vmcnt(5)
	buffer_store_dword v4, v1, s[0:3], 0 offen offset:8
	;; [unrolled: 2-line block ×6, first 2 shown]
	s_waitcnt vmcnt(0)
	buffer_store_dword v49, v0, s[0:3], 0 offen
.LBB19_140:
	v_mov_b32_e32 v0, 0
	global_load_dword v1, v0, s[20:21] offset:60
	s_waitcnt vmcnt(0)
	v_add_nc_u32_e32 v1, -1, v1
	v_cmp_eq_u32_e32 vcc_lo, 15, v1
	s_cbranch_vccnz .LBB19_142
; %bb.141:
	v_lshlrev_b32_e32 v1, 4, v1
	v_mov_b32_e32 v2, s14
	v_add_nc_u32_e32 v1, 16, v1
	s_clause 0x7
	buffer_load_dword v3, v1, s[0:3], 0 offen
	buffer_load_dword v4, v1, s[0:3], 0 offen offset:4
	buffer_load_dword v45, v1, s[0:3], 0 offen offset:8
	;; [unrolled: 1-line block ×6, first 2 shown]
	buffer_load_dword v50, v2, s[0:3], 0 offen
	s_waitcnt vmcnt(7)
	buffer_store_dword v3, v2, s[0:3], 0 offen
	s_waitcnt vmcnt(6)
	buffer_store_dword v4, v2, s[0:3], 0 offen offset:4
	s_waitcnt vmcnt(5)
	buffer_store_dword v45, v2, s[0:3], 0 offen offset:8
	;; [unrolled: 2-line block ×6, first 2 shown]
	s_waitcnt vmcnt(0)
	buffer_store_dword v50, v1, s[0:3], 0 offen
.LBB19_142:
	global_load_dword v0, v0, s[20:21] offset:56
	s_waitcnt vmcnt(0)
	v_add_nc_u32_e32 v0, -1, v0
	v_cmp_eq_u32_e32 vcc_lo, 14, v0
	s_cbranch_vccnz .LBB19_144
; %bb.143:
	v_lshlrev_b32_e32 v0, 4, v0
	v_mov_b32_e32 v1, s15
	v_add_nc_u32_e32 v0, 16, v0
	s_clause 0x7
	buffer_load_dword v2, v0, s[0:3], 0 offen
	buffer_load_dword v3, v0, s[0:3], 0 offen offset:4
	buffer_load_dword v4, v0, s[0:3], 0 offen offset:8
	;; [unrolled: 1-line block ×6, first 2 shown]
	buffer_load_dword v49, v1, s[0:3], 0 offen
	s_waitcnt vmcnt(7)
	buffer_store_dword v2, v1, s[0:3], 0 offen
	s_waitcnt vmcnt(6)
	buffer_store_dword v3, v1, s[0:3], 0 offen offset:4
	s_waitcnt vmcnt(5)
	buffer_store_dword v4, v1, s[0:3], 0 offen offset:8
	;; [unrolled: 2-line block ×6, first 2 shown]
	s_waitcnt vmcnt(0)
	buffer_store_dword v49, v0, s[0:3], 0 offen
.LBB19_144:
	v_mov_b32_e32 v0, 0
	global_load_dword v1, v0, s[20:21] offset:52
	s_waitcnt vmcnt(0)
	v_add_nc_u32_e32 v1, -1, v1
	v_cmp_eq_u32_e32 vcc_lo, 13, v1
	s_cbranch_vccnz .LBB19_146
; %bb.145:
	v_lshlrev_b32_e32 v1, 4, v1
	v_mov_b32_e32 v2, s16
	v_add_nc_u32_e32 v1, 16, v1
	s_clause 0x7
	buffer_load_dword v3, v1, s[0:3], 0 offen
	buffer_load_dword v4, v1, s[0:3], 0 offen offset:4
	buffer_load_dword v45, v1, s[0:3], 0 offen offset:8
	;; [unrolled: 1-line block ×6, first 2 shown]
	buffer_load_dword v50, v2, s[0:3], 0 offen
	s_waitcnt vmcnt(7)
	buffer_store_dword v3, v2, s[0:3], 0 offen
	s_waitcnt vmcnt(6)
	buffer_store_dword v4, v2, s[0:3], 0 offen offset:4
	s_waitcnt vmcnt(5)
	buffer_store_dword v45, v2, s[0:3], 0 offen offset:8
	;; [unrolled: 2-line block ×6, first 2 shown]
	s_waitcnt vmcnt(0)
	buffer_store_dword v50, v1, s[0:3], 0 offen
.LBB19_146:
	global_load_dword v0, v0, s[20:21] offset:48
	s_waitcnt vmcnt(0)
	v_add_nc_u32_e32 v0, -1, v0
	v_cmp_eq_u32_e32 vcc_lo, 12, v0
	s_cbranch_vccnz .LBB19_148
; %bb.147:
	v_lshlrev_b32_e32 v0, 4, v0
	v_mov_b32_e32 v1, s17
	v_add_nc_u32_e32 v0, 16, v0
	s_clause 0x7
	buffer_load_dword v2, v0, s[0:3], 0 offen
	buffer_load_dword v3, v0, s[0:3], 0 offen offset:4
	buffer_load_dword v4, v0, s[0:3], 0 offen offset:8
	;; [unrolled: 1-line block ×6, first 2 shown]
	buffer_load_dword v49, v1, s[0:3], 0 offen
	s_waitcnt vmcnt(7)
	buffer_store_dword v2, v1, s[0:3], 0 offen
	s_waitcnt vmcnt(6)
	buffer_store_dword v3, v1, s[0:3], 0 offen offset:4
	s_waitcnt vmcnt(5)
	buffer_store_dword v4, v1, s[0:3], 0 offen offset:8
	;; [unrolled: 2-line block ×6, first 2 shown]
	s_waitcnt vmcnt(0)
	buffer_store_dword v49, v0, s[0:3], 0 offen
.LBB19_148:
	v_mov_b32_e32 v0, 0
	global_load_dword v1, v0, s[20:21] offset:44
	s_waitcnt vmcnt(0)
	v_add_nc_u32_e32 v1, -1, v1
	v_cmp_eq_u32_e32 vcc_lo, 11, v1
	s_cbranch_vccnz .LBB19_150
; %bb.149:
	v_lshlrev_b32_e32 v1, 4, v1
	v_mov_b32_e32 v2, s18
	v_add_nc_u32_e32 v1, 16, v1
	s_clause 0x7
	buffer_load_dword v3, v1, s[0:3], 0 offen
	buffer_load_dword v4, v1, s[0:3], 0 offen offset:4
	buffer_load_dword v45, v1, s[0:3], 0 offen offset:8
	;; [unrolled: 1-line block ×6, first 2 shown]
	buffer_load_dword v50, v2, s[0:3], 0 offen
	s_waitcnt vmcnt(7)
	buffer_store_dword v3, v2, s[0:3], 0 offen
	s_waitcnt vmcnt(6)
	buffer_store_dword v4, v2, s[0:3], 0 offen offset:4
	s_waitcnt vmcnt(5)
	buffer_store_dword v45, v2, s[0:3], 0 offen offset:8
	;; [unrolled: 2-line block ×6, first 2 shown]
	s_waitcnt vmcnt(0)
	buffer_store_dword v50, v1, s[0:3], 0 offen
.LBB19_150:
	global_load_dword v0, v0, s[20:21] offset:40
	s_waitcnt vmcnt(0)
	v_add_nc_u32_e32 v0, -1, v0
	v_cmp_eq_u32_e32 vcc_lo, 10, v0
	s_cbranch_vccnz .LBB19_152
; %bb.151:
	v_lshlrev_b32_e32 v0, 4, v0
	v_mov_b32_e32 v1, s19
	v_add_nc_u32_e32 v0, 16, v0
	s_clause 0x7
	buffer_load_dword v2, v0, s[0:3], 0 offen
	buffer_load_dword v3, v0, s[0:3], 0 offen offset:4
	buffer_load_dword v4, v0, s[0:3], 0 offen offset:8
	;; [unrolled: 1-line block ×6, first 2 shown]
	buffer_load_dword v49, v1, s[0:3], 0 offen
	s_waitcnt vmcnt(7)
	buffer_store_dword v2, v1, s[0:3], 0 offen
	s_waitcnt vmcnt(6)
	buffer_store_dword v3, v1, s[0:3], 0 offen offset:4
	s_waitcnt vmcnt(5)
	buffer_store_dword v4, v1, s[0:3], 0 offen offset:8
	s_waitcnt vmcnt(4)
	buffer_store_dword v45, v1, s[0:3], 0 offen offset:12
	s_waitcnt vmcnt(3)
	buffer_store_dword v46, v0, s[0:3], 0 offen offset:12
	s_waitcnt vmcnt(2)
	buffer_store_dword v47, v0, s[0:3], 0 offen offset:8
	s_waitcnt vmcnt(1)
	buffer_store_dword v48, v0, s[0:3], 0 offen offset:4
	s_waitcnt vmcnt(0)
	buffer_store_dword v49, v0, s[0:3], 0 offen
.LBB19_152:
	v_mov_b32_e32 v0, 0
	global_load_dword v1, v0, s[20:21] offset:36
	s_waitcnt vmcnt(0)
	v_add_nc_u32_e32 v1, -1, v1
	v_cmp_eq_u32_e32 vcc_lo, 9, v1
	s_cbranch_vccnz .LBB19_154
; %bb.153:
	v_lshlrev_b32_e32 v1, 4, v1
	v_mov_b32_e32 v2, s22
	v_add_nc_u32_e32 v1, 16, v1
	s_clause 0x7
	buffer_load_dword v3, v1, s[0:3], 0 offen
	buffer_load_dword v4, v1, s[0:3], 0 offen offset:4
	buffer_load_dword v45, v1, s[0:3], 0 offen offset:8
	;; [unrolled: 1-line block ×6, first 2 shown]
	buffer_load_dword v50, v2, s[0:3], 0 offen
	s_waitcnt vmcnt(7)
	buffer_store_dword v3, v2, s[0:3], 0 offen
	s_waitcnt vmcnt(6)
	buffer_store_dword v4, v2, s[0:3], 0 offen offset:4
	s_waitcnt vmcnt(5)
	buffer_store_dword v45, v2, s[0:3], 0 offen offset:8
	;; [unrolled: 2-line block ×6, first 2 shown]
	s_waitcnt vmcnt(0)
	buffer_store_dword v50, v1, s[0:3], 0 offen
.LBB19_154:
	global_load_dword v0, v0, s[20:21] offset:32
	s_waitcnt vmcnt(0)
	v_add_nc_u32_e32 v0, -1, v0
	v_cmp_eq_u32_e32 vcc_lo, 8, v0
	s_cbranch_vccnz .LBB19_156
; %bb.155:
	v_lshlrev_b32_e32 v0, 4, v0
	v_mov_b32_e32 v1, s23
	v_add_nc_u32_e32 v0, 16, v0
	s_clause 0x7
	buffer_load_dword v2, v0, s[0:3], 0 offen
	buffer_load_dword v3, v0, s[0:3], 0 offen offset:4
	buffer_load_dword v4, v0, s[0:3], 0 offen offset:8
	;; [unrolled: 1-line block ×6, first 2 shown]
	buffer_load_dword v49, v1, s[0:3], 0 offen
	s_waitcnt vmcnt(7)
	buffer_store_dword v2, v1, s[0:3], 0 offen
	s_waitcnt vmcnt(6)
	buffer_store_dword v3, v1, s[0:3], 0 offen offset:4
	s_waitcnt vmcnt(5)
	buffer_store_dword v4, v1, s[0:3], 0 offen offset:8
	;; [unrolled: 2-line block ×6, first 2 shown]
	s_waitcnt vmcnt(0)
	buffer_store_dword v49, v0, s[0:3], 0 offen
.LBB19_156:
	v_mov_b32_e32 v0, 0
	global_load_dword v1, v0, s[20:21] offset:28
	s_waitcnt vmcnt(0)
	v_add_nc_u32_e32 v1, -1, v1
	v_cmp_eq_u32_e32 vcc_lo, 7, v1
	s_cbranch_vccnz .LBB19_158
; %bb.157:
	v_lshlrev_b32_e32 v1, 4, v1
	v_mov_b32_e32 v2, s24
	v_add_nc_u32_e32 v1, 16, v1
	s_clause 0x7
	buffer_load_dword v3, v1, s[0:3], 0 offen
	buffer_load_dword v4, v1, s[0:3], 0 offen offset:4
	buffer_load_dword v45, v1, s[0:3], 0 offen offset:8
	;; [unrolled: 1-line block ×6, first 2 shown]
	buffer_load_dword v50, v2, s[0:3], 0 offen
	s_waitcnt vmcnt(7)
	buffer_store_dword v3, v2, s[0:3], 0 offen
	s_waitcnt vmcnt(6)
	buffer_store_dword v4, v2, s[0:3], 0 offen offset:4
	s_waitcnt vmcnt(5)
	buffer_store_dword v45, v2, s[0:3], 0 offen offset:8
	;; [unrolled: 2-line block ×6, first 2 shown]
	s_waitcnt vmcnt(0)
	buffer_store_dword v50, v1, s[0:3], 0 offen
.LBB19_158:
	global_load_dword v0, v0, s[20:21] offset:24
	s_waitcnt vmcnt(0)
	v_add_nc_u32_e32 v0, -1, v0
	v_cmp_eq_u32_e32 vcc_lo, 6, v0
	s_cbranch_vccnz .LBB19_160
; %bb.159:
	v_lshlrev_b32_e32 v0, 4, v0
	v_mov_b32_e32 v1, s25
	v_add_nc_u32_e32 v0, 16, v0
	s_clause 0x7
	buffer_load_dword v2, v0, s[0:3], 0 offen
	buffer_load_dword v3, v0, s[0:3], 0 offen offset:4
	buffer_load_dword v4, v0, s[0:3], 0 offen offset:8
	;; [unrolled: 1-line block ×6, first 2 shown]
	buffer_load_dword v49, v1, s[0:3], 0 offen
	s_waitcnt vmcnt(7)
	buffer_store_dword v2, v1, s[0:3], 0 offen
	s_waitcnt vmcnt(6)
	buffer_store_dword v3, v1, s[0:3], 0 offen offset:4
	s_waitcnt vmcnt(5)
	buffer_store_dword v4, v1, s[0:3], 0 offen offset:8
	;; [unrolled: 2-line block ×6, first 2 shown]
	s_waitcnt vmcnt(0)
	buffer_store_dword v49, v0, s[0:3], 0 offen
.LBB19_160:
	v_mov_b32_e32 v0, 0
	global_load_dword v1, v0, s[20:21] offset:20
	s_waitcnt vmcnt(0)
	v_add_nc_u32_e32 v1, -1, v1
	v_cmp_eq_u32_e32 vcc_lo, 5, v1
	s_cbranch_vccnz .LBB19_162
; %bb.161:
	v_lshlrev_b32_e32 v1, 4, v1
	v_mov_b32_e32 v2, s26
	v_add_nc_u32_e32 v1, 16, v1
	s_clause 0x7
	buffer_load_dword v3, v1, s[0:3], 0 offen
	buffer_load_dword v4, v1, s[0:3], 0 offen offset:4
	buffer_load_dword v45, v1, s[0:3], 0 offen offset:8
	;; [unrolled: 1-line block ×6, first 2 shown]
	buffer_load_dword v50, v2, s[0:3], 0 offen
	s_waitcnt vmcnt(7)
	buffer_store_dword v3, v2, s[0:3], 0 offen
	s_waitcnt vmcnt(6)
	buffer_store_dword v4, v2, s[0:3], 0 offen offset:4
	s_waitcnt vmcnt(5)
	buffer_store_dword v45, v2, s[0:3], 0 offen offset:8
	;; [unrolled: 2-line block ×6, first 2 shown]
	s_waitcnt vmcnt(0)
	buffer_store_dword v50, v1, s[0:3], 0 offen
.LBB19_162:
	global_load_dword v0, v0, s[20:21] offset:16
	s_waitcnt vmcnt(0)
	v_add_nc_u32_e32 v0, -1, v0
	v_cmp_eq_u32_e32 vcc_lo, 4, v0
	s_cbranch_vccnz .LBB19_164
; %bb.163:
	v_lshlrev_b32_e32 v0, 4, v0
	v_mov_b32_e32 v1, s27
	v_add_nc_u32_e32 v0, 16, v0
	s_clause 0x7
	buffer_load_dword v2, v0, s[0:3], 0 offen
	buffer_load_dword v3, v0, s[0:3], 0 offen offset:4
	buffer_load_dword v4, v0, s[0:3], 0 offen offset:8
	;; [unrolled: 1-line block ×6, first 2 shown]
	buffer_load_dword v49, v1, s[0:3], 0 offen
	s_waitcnt vmcnt(7)
	buffer_store_dword v2, v1, s[0:3], 0 offen
	s_waitcnt vmcnt(6)
	buffer_store_dword v3, v1, s[0:3], 0 offen offset:4
	s_waitcnt vmcnt(5)
	buffer_store_dword v4, v1, s[0:3], 0 offen offset:8
	;; [unrolled: 2-line block ×6, first 2 shown]
	s_waitcnt vmcnt(0)
	buffer_store_dword v49, v0, s[0:3], 0 offen
.LBB19_164:
	v_mov_b32_e32 v0, 0
	global_load_dword v1, v0, s[20:21] offset:12
	s_waitcnt vmcnt(0)
	v_add_nc_u32_e32 v1, -1, v1
	v_cmp_eq_u32_e32 vcc_lo, 3, v1
	s_cbranch_vccnz .LBB19_166
; %bb.165:
	v_lshlrev_b32_e32 v1, 4, v1
	v_mov_b32_e32 v2, s28
	v_add_nc_u32_e32 v1, 16, v1
	s_clause 0x7
	buffer_load_dword v3, v1, s[0:3], 0 offen
	buffer_load_dword v4, v1, s[0:3], 0 offen offset:4
	buffer_load_dword v45, v1, s[0:3], 0 offen offset:8
	;; [unrolled: 1-line block ×6, first 2 shown]
	buffer_load_dword v50, v2, s[0:3], 0 offen
	s_waitcnt vmcnt(7)
	buffer_store_dword v3, v2, s[0:3], 0 offen
	s_waitcnt vmcnt(6)
	buffer_store_dword v4, v2, s[0:3], 0 offen offset:4
	s_waitcnt vmcnt(5)
	buffer_store_dword v45, v2, s[0:3], 0 offen offset:8
	;; [unrolled: 2-line block ×6, first 2 shown]
	s_waitcnt vmcnt(0)
	buffer_store_dword v50, v1, s[0:3], 0 offen
.LBB19_166:
	global_load_dword v0, v0, s[20:21] offset:8
	s_waitcnt vmcnt(0)
	v_add_nc_u32_e32 v0, -1, v0
	v_cmp_eq_u32_e32 vcc_lo, 2, v0
	s_cbranch_vccnz .LBB19_168
; %bb.167:
	v_lshlrev_b32_e32 v0, 4, v0
	v_mov_b32_e32 v1, s29
	v_add_nc_u32_e32 v0, 16, v0
	s_clause 0x7
	buffer_load_dword v2, v0, s[0:3], 0 offen
	buffer_load_dword v3, v0, s[0:3], 0 offen offset:4
	buffer_load_dword v4, v0, s[0:3], 0 offen offset:8
	;; [unrolled: 1-line block ×6, first 2 shown]
	buffer_load_dword v49, v1, s[0:3], 0 offen
	s_waitcnt vmcnt(7)
	buffer_store_dword v2, v1, s[0:3], 0 offen
	s_waitcnt vmcnt(6)
	buffer_store_dword v3, v1, s[0:3], 0 offen offset:4
	s_waitcnt vmcnt(5)
	buffer_store_dword v4, v1, s[0:3], 0 offen offset:8
	;; [unrolled: 2-line block ×6, first 2 shown]
	s_waitcnt vmcnt(0)
	buffer_store_dword v49, v0, s[0:3], 0 offen
.LBB19_168:
	v_mov_b32_e32 v0, 0
	global_load_dword v1, v0, s[20:21] offset:4
	s_waitcnt vmcnt(0)
	v_add_nc_u32_e32 v1, -1, v1
	v_cmp_eq_u32_e32 vcc_lo, 1, v1
	s_cbranch_vccnz .LBB19_170
; %bb.169:
	v_lshlrev_b32_e32 v1, 4, v1
	v_mov_b32_e32 v2, s30
	v_add_nc_u32_e32 v1, 16, v1
	s_clause 0x7
	buffer_load_dword v3, v1, s[0:3], 0 offen
	buffer_load_dword v4, v1, s[0:3], 0 offen offset:4
	buffer_load_dword v45, v1, s[0:3], 0 offen offset:8
	;; [unrolled: 1-line block ×6, first 2 shown]
	buffer_load_dword v50, v2, s[0:3], 0 offen
	s_waitcnt vmcnt(7)
	buffer_store_dword v3, v2, s[0:3], 0 offen
	s_waitcnt vmcnt(6)
	buffer_store_dword v4, v2, s[0:3], 0 offen offset:4
	s_waitcnt vmcnt(5)
	buffer_store_dword v45, v2, s[0:3], 0 offen offset:8
	;; [unrolled: 2-line block ×6, first 2 shown]
	s_waitcnt vmcnt(0)
	buffer_store_dword v50, v1, s[0:3], 0 offen
.LBB19_170:
	global_load_dword v0, v0, s[20:21]
	s_waitcnt vmcnt(0)
	v_add_nc_u32_e32 v0, -1, v0
	v_cmp_eq_u32_e32 vcc_lo, 0, v0
	s_cbranch_vccnz .LBB19_172
; %bb.171:
	v_lshlrev_b32_e32 v0, 4, v0
	v_add_nc_u32_e32 v0, 16, v0
	s_clause 0x7
	buffer_load_dword v1, v0, s[0:3], 0 offen
	buffer_load_dword v2, v0, s[0:3], 0 offen offset:4
	buffer_load_dword v3, v0, s[0:3], 0 offen offset:8
	;; [unrolled: 1-line block ×3, first 2 shown]
	buffer_load_dword v45, off, s[0:3], 0 offset:28
	buffer_load_dword v46, off, s[0:3], 0 offset:24
	;; [unrolled: 1-line block ×4, first 2 shown]
	s_waitcnt vmcnt(7)
	buffer_store_dword v1, off, s[0:3], 0 offset:16
	s_waitcnt vmcnt(6)
	buffer_store_dword v2, off, s[0:3], 0 offset:20
	;; [unrolled: 2-line block ×4, first 2 shown]
	s_waitcnt vmcnt(3)
	buffer_store_dword v45, v0, s[0:3], 0 offen offset:12
	s_waitcnt vmcnt(2)
	buffer_store_dword v46, v0, s[0:3], 0 offen offset:8
	;; [unrolled: 2-line block ×3, first 2 shown]
	s_waitcnt vmcnt(0)
	buffer_store_dword v48, v0, s[0:3], 0 offen
.LBB19_172:
	v_mov_b32_e32 v52, s29
	v_mov_b32_e32 v60, s27
	;; [unrolled: 1-line block ×5, first 2 shown]
	s_clause 0x7
	buffer_load_dword v0, off, s[0:3], 0 offset:16
	buffer_load_dword v1, off, s[0:3], 0 offset:20
	;; [unrolled: 1-line block ×4, first 2 shown]
	buffer_load_dword v45, v4, s[0:3], 0 offen
	buffer_load_dword v46, v4, s[0:3], 0 offen offset:4
	buffer_load_dword v47, v4, s[0:3], 0 offen offset:8
	buffer_load_dword v48, v4, s[0:3], 0 offen offset:12
	v_mov_b32_e32 v4, s28
	v_mov_b32_e32 v84, s19
	s_clause 0x7
	buffer_load_dword v49, v52, s[0:3], 0 offen
	buffer_load_dword v50, v52, s[0:3], 0 offen offset:4
	buffer_load_dword v51, v52, s[0:3], 0 offen offset:8
	buffer_load_dword v52, v52, s[0:3], 0 offen offset:12
	buffer_load_dword v53, v4, s[0:3], 0 offen
	buffer_load_dword v54, v4, s[0:3], 0 offen offset:4
	buffer_load_dword v55, v4, s[0:3], 0 offen offset:8
	buffer_load_dword v56, v4, s[0:3], 0 offen offset:12
	v_mov_b32_e32 v4, s26
	v_mov_b32_e32 v92, s17
	s_clause 0x7
	buffer_load_dword v57, v60, s[0:3], 0 offen
	buffer_load_dword v58, v60, s[0:3], 0 offen offset:4
	buffer_load_dword v59, v60, s[0:3], 0 offen offset:8
	buffer_load_dword v60, v60, s[0:3], 0 offen offset:12
	buffer_load_dword v61, v4, s[0:3], 0 offen
	buffer_load_dword v62, v4, s[0:3], 0 offen offset:4
	buffer_load_dword v63, v4, s[0:3], 0 offen offset:8
	buffer_load_dword v64, v4, s[0:3], 0 offen offset:12
	v_mov_b32_e32 v4, s24
	v_mov_b32_e32 v100, s15
	s_clause 0x7
	buffer_load_dword v65, v68, s[0:3], 0 offen
	buffer_load_dword v66, v68, s[0:3], 0 offen offset:4
	buffer_load_dword v67, v68, s[0:3], 0 offen offset:8
	buffer_load_dword v68, v68, s[0:3], 0 offen offset:12
	buffer_load_dword v69, v4, s[0:3], 0 offen
	buffer_load_dword v70, v4, s[0:3], 0 offen offset:4
	buffer_load_dword v71, v4, s[0:3], 0 offen offset:8
	buffer_load_dword v72, v4, s[0:3], 0 offen offset:12
	v_mov_b32_e32 v4, s22
	v_mov_b32_e32 v108, s13
	s_clause 0x7
	buffer_load_dword v73, v76, s[0:3], 0 offen
	buffer_load_dword v74, v76, s[0:3], 0 offen offset:4
	buffer_load_dword v75, v76, s[0:3], 0 offen offset:8
	buffer_load_dword v76, v76, s[0:3], 0 offen offset:12
	buffer_load_dword v77, v4, s[0:3], 0 offen
	buffer_load_dword v78, v4, s[0:3], 0 offen offset:4
	buffer_load_dword v79, v4, s[0:3], 0 offen offset:8
	buffer_load_dword v80, v4, s[0:3], 0 offen offset:12
	v_mov_b32_e32 v4, s18
	v_mov_b32_e32 v116, s9
	s_clause 0x7
	buffer_load_dword v81, v84, s[0:3], 0 offen
	buffer_load_dword v82, v84, s[0:3], 0 offen offset:4
	buffer_load_dword v83, v84, s[0:3], 0 offen offset:8
	buffer_load_dword v84, v84, s[0:3], 0 offen offset:12
	buffer_load_dword v85, v4, s[0:3], 0 offen
	buffer_load_dword v86, v4, s[0:3], 0 offen offset:4
	buffer_load_dword v87, v4, s[0:3], 0 offen offset:8
	buffer_load_dword v88, v4, s[0:3], 0 offen offset:12
	v_mov_b32_e32 v4, s16
	s_clause 0x7
	buffer_load_dword v89, v92, s[0:3], 0 offen
	buffer_load_dword v90, v92, s[0:3], 0 offen offset:4
	buffer_load_dword v91, v92, s[0:3], 0 offen offset:8
	buffer_load_dword v92, v92, s[0:3], 0 offen offset:12
	buffer_load_dword v93, v4, s[0:3], 0 offen
	buffer_load_dword v94, v4, s[0:3], 0 offen offset:4
	buffer_load_dword v95, v4, s[0:3], 0 offen offset:8
	buffer_load_dword v96, v4, s[0:3], 0 offen offset:12
	v_mov_b32_e32 v4, s14
	s_clause 0x7
	buffer_load_dword v97, v100, s[0:3], 0 offen
	buffer_load_dword v98, v100, s[0:3], 0 offen offset:4
	buffer_load_dword v99, v100, s[0:3], 0 offen offset:8
	buffer_load_dword v100, v100, s[0:3], 0 offen offset:12
	;; [unrolled: 10-line block ×4, first 2 shown]
	buffer_load_dword v117, v4, s[0:3], 0 offen
	buffer_load_dword v118, v4, s[0:3], 0 offen offset:4
	buffer_load_dword v119, v4, s[0:3], 0 offen offset:8
	;; [unrolled: 1-line block ×3, first 2 shown]
	s_waitcnt vmcnt(62)
	global_store_dwordx4 v[5:6], v[0:3], off
	global_store_dwordx4 v[7:8], v[45:48], off
	;; [unrolled: 1-line block ×4, first 2 shown]
	s_waitcnt vmcnt(60)
	global_store_dwordx4 v[13:14], v[57:60], off
	s_waitcnt vmcnt(56)
	global_store_dwordx4 v[15:16], v[61:64], off
	;; [unrolled: 2-line block ×16, first 2 shown]
	s_endpgm
	.section	.rodata,"a",@progbits
	.p2align	6, 0x0
	.amdhsa_kernel _ZN9rocsolver6v33100L18getri_kernel_smallILi20E19rocblas_complex_numIdEPS3_EEvT1_iilPiilS6_bb
		.amdhsa_group_segment_fixed_size 648
		.amdhsa_private_segment_fixed_size 352
		.amdhsa_kernarg_size 60
		.amdhsa_user_sgpr_count 6
		.amdhsa_user_sgpr_private_segment_buffer 1
		.amdhsa_user_sgpr_dispatch_ptr 0
		.amdhsa_user_sgpr_queue_ptr 0
		.amdhsa_user_sgpr_kernarg_segment_ptr 1
		.amdhsa_user_sgpr_dispatch_id 0
		.amdhsa_user_sgpr_flat_scratch_init 0
		.amdhsa_user_sgpr_private_segment_size 0
		.amdhsa_wavefront_size32 1
		.amdhsa_uses_dynamic_stack 0
		.amdhsa_system_sgpr_private_segment_wavefront_offset 1
		.amdhsa_system_sgpr_workgroup_id_x 1
		.amdhsa_system_sgpr_workgroup_id_y 0
		.amdhsa_system_sgpr_workgroup_id_z 0
		.amdhsa_system_sgpr_workgroup_info 0
		.amdhsa_system_vgpr_workitem_id 0
		.amdhsa_next_free_vgpr 130
		.amdhsa_next_free_sgpr 41
		.amdhsa_reserve_vcc 1
		.amdhsa_reserve_flat_scratch 0
		.amdhsa_float_round_mode_32 0
		.amdhsa_float_round_mode_16_64 0
		.amdhsa_float_denorm_mode_32 3
		.amdhsa_float_denorm_mode_16_64 3
		.amdhsa_dx10_clamp 1
		.amdhsa_ieee_mode 1
		.amdhsa_fp16_overflow 0
		.amdhsa_workgroup_processor_mode 1
		.amdhsa_memory_ordered 1
		.amdhsa_forward_progress 1
		.amdhsa_shared_vgpr_count 0
		.amdhsa_exception_fp_ieee_invalid_op 0
		.amdhsa_exception_fp_denorm_src 0
		.amdhsa_exception_fp_ieee_div_zero 0
		.amdhsa_exception_fp_ieee_overflow 0
		.amdhsa_exception_fp_ieee_underflow 0
		.amdhsa_exception_fp_ieee_inexact 0
		.amdhsa_exception_int_div_zero 0
	.end_amdhsa_kernel
	.section	.text._ZN9rocsolver6v33100L18getri_kernel_smallILi20E19rocblas_complex_numIdEPS3_EEvT1_iilPiilS6_bb,"axG",@progbits,_ZN9rocsolver6v33100L18getri_kernel_smallILi20E19rocblas_complex_numIdEPS3_EEvT1_iilPiilS6_bb,comdat
.Lfunc_end19:
	.size	_ZN9rocsolver6v33100L18getri_kernel_smallILi20E19rocblas_complex_numIdEPS3_EEvT1_iilPiilS6_bb, .Lfunc_end19-_ZN9rocsolver6v33100L18getri_kernel_smallILi20E19rocblas_complex_numIdEPS3_EEvT1_iilPiilS6_bb
                                        ; -- End function
	.set _ZN9rocsolver6v33100L18getri_kernel_smallILi20E19rocblas_complex_numIdEPS3_EEvT1_iilPiilS6_bb.num_vgpr, 130
	.set _ZN9rocsolver6v33100L18getri_kernel_smallILi20E19rocblas_complex_numIdEPS3_EEvT1_iilPiilS6_bb.num_agpr, 0
	.set _ZN9rocsolver6v33100L18getri_kernel_smallILi20E19rocblas_complex_numIdEPS3_EEvT1_iilPiilS6_bb.numbered_sgpr, 41
	.set _ZN9rocsolver6v33100L18getri_kernel_smallILi20E19rocblas_complex_numIdEPS3_EEvT1_iilPiilS6_bb.num_named_barrier, 0
	.set _ZN9rocsolver6v33100L18getri_kernel_smallILi20E19rocblas_complex_numIdEPS3_EEvT1_iilPiilS6_bb.private_seg_size, 352
	.set _ZN9rocsolver6v33100L18getri_kernel_smallILi20E19rocblas_complex_numIdEPS3_EEvT1_iilPiilS6_bb.uses_vcc, 1
	.set _ZN9rocsolver6v33100L18getri_kernel_smallILi20E19rocblas_complex_numIdEPS3_EEvT1_iilPiilS6_bb.uses_flat_scratch, 0
	.set _ZN9rocsolver6v33100L18getri_kernel_smallILi20E19rocblas_complex_numIdEPS3_EEvT1_iilPiilS6_bb.has_dyn_sized_stack, 0
	.set _ZN9rocsolver6v33100L18getri_kernel_smallILi20E19rocblas_complex_numIdEPS3_EEvT1_iilPiilS6_bb.has_recursion, 0
	.set _ZN9rocsolver6v33100L18getri_kernel_smallILi20E19rocblas_complex_numIdEPS3_EEvT1_iilPiilS6_bb.has_indirect_call, 0
	.section	.AMDGPU.csdata,"",@progbits
; Kernel info:
; codeLenInByte = 37224
; TotalNumSgprs: 43
; NumVgprs: 130
; ScratchSize: 352
; MemoryBound: 0
; FloatMode: 240
; IeeeMode: 1
; LDSByteSize: 648 bytes/workgroup (compile time only)
; SGPRBlocks: 0
; VGPRBlocks: 16
; NumSGPRsForWavesPerEU: 43
; NumVGPRsForWavesPerEU: 130
; Occupancy: 7
; WaveLimiterHint : 1
; COMPUTE_PGM_RSRC2:SCRATCH_EN: 1
; COMPUTE_PGM_RSRC2:USER_SGPR: 6
; COMPUTE_PGM_RSRC2:TRAP_HANDLER: 0
; COMPUTE_PGM_RSRC2:TGID_X_EN: 1
; COMPUTE_PGM_RSRC2:TGID_Y_EN: 0
; COMPUTE_PGM_RSRC2:TGID_Z_EN: 0
; COMPUTE_PGM_RSRC2:TIDIG_COMP_CNT: 0
	.section	.text._ZN9rocsolver6v33100L18getri_kernel_smallILi21E19rocblas_complex_numIdEPS3_EEvT1_iilPiilS6_bb,"axG",@progbits,_ZN9rocsolver6v33100L18getri_kernel_smallILi21E19rocblas_complex_numIdEPS3_EEvT1_iilPiilS6_bb,comdat
	.globl	_ZN9rocsolver6v33100L18getri_kernel_smallILi21E19rocblas_complex_numIdEPS3_EEvT1_iilPiilS6_bb ; -- Begin function _ZN9rocsolver6v33100L18getri_kernel_smallILi21E19rocblas_complex_numIdEPS3_EEvT1_iilPiilS6_bb
	.p2align	8
	.type	_ZN9rocsolver6v33100L18getri_kernel_smallILi21E19rocblas_complex_numIdEPS3_EEvT1_iilPiilS6_bb,@function
_ZN9rocsolver6v33100L18getri_kernel_smallILi21E19rocblas_complex_numIdEPS3_EEvT1_iilPiilS6_bb: ; @_ZN9rocsolver6v33100L18getri_kernel_smallILi21E19rocblas_complex_numIdEPS3_EEvT1_iilPiilS6_bb
; %bb.0:
	s_add_u32 s0, s0, s7
	s_addc_u32 s1, s1, 0
	s_mov_b32 s7, exec_lo
	v_cmpx_gt_u32_e32 21, v0
	s_cbranch_execz .LBB20_98
; %bb.1:
	s_clause 0x2
	s_load_dword s7, s[4:5], 0x38
	s_load_dwordx4 s[16:19], s[4:5], 0x10
	s_load_dwordx4 s[8:11], s[4:5], 0x28
                                        ; implicit-def: $sgpr20_sgpr21
	s_waitcnt lgkmcnt(0)
	s_bitcmp1_b32 s7, 8
	s_cselect_b32 s33, -1, 0
	s_bfe_u32 s12, s7, 0x10008
	s_ashr_i32 s7, s6, 31
	s_cmp_eq_u32 s12, 0
	s_cbranch_scc1 .LBB20_3
; %bb.2:
	s_load_dword s12, s[4:5], 0x20
	s_mul_i32 s13, s8, s7
	s_mul_hi_u32 s14, s8, s6
	s_mul_i32 s9, s9, s6
	s_add_i32 s13, s14, s13
	s_mul_i32 s8, s8, s6
	s_add_i32 s9, s13, s9
	s_lshl_b64 s[8:9], s[8:9], 2
	s_waitcnt lgkmcnt(0)
	s_ashr_i32 s13, s12, 31
	s_add_u32 s14, s18, s8
	s_addc_u32 s15, s19, s9
	s_lshl_b64 s[8:9], s[12:13], 2
	s_add_u32 s20, s14, s8
	s_addc_u32 s21, s15, s9
.LBB20_3:
	s_clause 0x1
	s_load_dwordx4 s[12:15], s[4:5], 0x0
	s_load_dword s34, s[4:5], 0x38
	s_mul_i32 s4, s16, s7
	s_mul_hi_u32 s5, s16, s6
	s_mul_i32 s8, s17, s6
	s_add_i32 s5, s5, s4
	s_mul_i32 s4, s16, s6
	s_add_i32 s5, s5, s8
	v_lshlrev_b32_e32 v53, 4, v0
	s_lshl_b64 s[4:5], s[4:5], 4
	s_movk_i32 s16, 0xc0
	s_movk_i32 s17, 0xd0
	;; [unrolled: 1-line block ×9, first 2 shown]
	s_mov_b32 s31, 32
	s_waitcnt lgkmcnt(0)
	v_add3_u32 v7, s15, s15, v0
	s_ashr_i32 s9, s14, 31
	s_mov_b32 s8, s14
	s_add_u32 s12, s12, s4
	s_addc_u32 s13, s13, s5
	v_add_nc_u32_e32 v9, s15, v7
	s_lshl_b64 s[4:5], s[8:9], 4
	v_ashrrev_i32_e32 v8, 31, v7
	s_add_u32 s4, s12, s4
	s_addc_u32 s5, s13, s5
	v_add_nc_u32_e32 v13, s15, v9
	v_ashrrev_i32_e32 v10, 31, v9
	v_add_co_u32 v5, s12, s4, v53
	s_mov_b32 s8, s15
	s_ashr_i32 s9, s15, 31
	v_lshlrev_b64 v[11:12], 4, v[7:8]
	v_add_nc_u32_e32 v17, s15, v13
	v_add_co_ci_u32_e64 v6, null, s5, 0, s12
	s_lshl_b64 s[8:9], s[8:9], 4
	v_lshlrev_b64 v[15:16], 4, v[9:10]
	v_add_co_u32 v7, vcc_lo, v5, s8
	v_ashrrev_i32_e32 v18, 31, v17
	v_add_nc_u32_e32 v19, s15, v17
	v_add_co_ci_u32_e64 v8, null, s9, v6, vcc_lo
	v_add_co_u32 v9, vcc_lo, s4, v11
	v_add_co_ci_u32_e64 v10, null, s5, v12, vcc_lo
	v_add_co_u32 v11, vcc_lo, s4, v15
	v_add_co_ci_u32_e64 v12, null, s5, v16, vcc_lo
	v_lshlrev_b64 v[15:16], 4, v[17:18]
	v_add_nc_u32_e32 v17, s15, v19
	v_ashrrev_i32_e32 v14, 31, v13
	v_ashrrev_i32_e32 v20, 31, v19
	s_clause 0x2
	global_load_dwordx4 v[1:4], v53, s[4:5]
	global_load_dwordx4 v[47:50], v[7:8], off
	global_load_dwordx4 v[54:57], v[9:10], off
	v_add_nc_u32_e32 v21, s15, v17
	v_lshlrev_b64 v[13:14], 4, v[13:14]
	v_ashrrev_i32_e32 v18, 31, v17
	v_lshlrev_b64 v[19:20], 4, v[19:20]
	global_load_dwordx4 v[58:61], v[11:12], off
	v_add_nc_u32_e32 v25, s15, v21
	v_ashrrev_i32_e32 v22, 31, v21
	v_add_co_u32 v13, vcc_lo, s4, v13
	v_lshlrev_b64 v[23:24], 4, v[17:18]
	v_add_co_ci_u32_e64 v14, null, s5, v14, vcc_lo
	v_add_co_u32 v15, vcc_lo, s4, v15
	v_ashrrev_i32_e32 v26, 31, v25
	v_add_nc_u32_e32 v27, s15, v25
	v_add_co_ci_u32_e64 v16, null, s5, v16, vcc_lo
	v_add_co_u32 v17, vcc_lo, s4, v19
	v_add_co_ci_u32_e64 v18, null, s5, v20, vcc_lo
	v_add_co_u32 v19, vcc_lo, s4, v23
	v_add_co_ci_u32_e64 v20, null, s5, v24, vcc_lo
	v_lshlrev_b64 v[23:24], 4, v[25:26]
	v_add_nc_u32_e32 v25, s15, v27
	v_ashrrev_i32_e32 v28, 31, v27
	v_lshlrev_b64 v[21:22], 4, v[21:22]
	s_clause 0x2
	global_load_dwordx4 v[62:65], v[13:14], off
	global_load_dwordx4 v[66:69], v[15:16], off
	;; [unrolled: 1-line block ×3, first 2 shown]
	v_add_nc_u32_e32 v29, s15, v25
	v_ashrrev_i32_e32 v26, 31, v25
	v_lshlrev_b64 v[27:28], 4, v[27:28]
	v_add_co_u32 v21, vcc_lo, s4, v21
	v_add_nc_u32_e32 v33, s15, v29
	v_lshlrev_b64 v[31:32], 4, v[25:26]
	v_add_co_ci_u32_e64 v22, null, s5, v22, vcc_lo
	v_add_co_u32 v23, vcc_lo, s4, v23
	v_ashrrev_i32_e32 v34, 31, v33
	v_add_nc_u32_e32 v35, s15, v33
	v_add_co_ci_u32_e64 v24, null, s5, v24, vcc_lo
	v_add_co_u32 v25, vcc_lo, s4, v27
	v_add_co_ci_u32_e64 v26, null, s5, v28, vcc_lo
	v_add_co_u32 v27, vcc_lo, s4, v31
	v_add_co_ci_u32_e64 v28, null, s5, v32, vcc_lo
	v_lshlrev_b64 v[31:32], 4, v[33:34]
	v_add_nc_u32_e32 v33, s15, v35
	v_ashrrev_i32_e32 v30, 31, v29
	v_ashrrev_i32_e32 v36, 31, v35
	s_clause 0x2
	global_load_dwordx4 v[74:77], v[19:20], off
	global_load_dwordx4 v[78:81], v[21:22], off
	;; [unrolled: 1-line block ×3, first 2 shown]
	v_add_nc_u32_e32 v37, s15, v33
	v_lshlrev_b64 v[29:30], 4, v[29:30]
	v_ashrrev_i32_e32 v34, 31, v33
	v_lshlrev_b64 v[35:36], 4, v[35:36]
	s_clause 0x1
	global_load_dwordx4 v[86:89], v[25:26], off
	global_load_dwordx4 v[90:93], v[27:28], off
	v_add_nc_u32_e32 v41, s15, v37
	v_add_co_u32 v29, vcc_lo, s4, v29
	v_lshlrev_b64 v[39:40], 4, v[33:34]
	v_add_co_ci_u32_e64 v30, null, s5, v30, vcc_lo
	v_add_co_u32 v31, vcc_lo, s4, v31
	v_ashrrev_i32_e32 v42, 31, v41
	v_add_nc_u32_e32 v43, s15, v41
	v_add_co_ci_u32_e64 v32, null, s5, v32, vcc_lo
	v_add_co_u32 v33, vcc_lo, s4, v35
	v_add_co_ci_u32_e64 v34, null, s5, v36, vcc_lo
	v_add_co_u32 v35, vcc_lo, s4, v39
	v_add_co_ci_u32_e64 v36, null, s5, v40, vcc_lo
	v_lshlrev_b64 v[39:40], 4, v[41:42]
	v_add_nc_u32_e32 v41, s15, v43
	v_ashrrev_i32_e32 v38, 31, v37
	v_ashrrev_i32_e32 v44, 31, v43
	s_clause 0x1
	global_load_dwordx4 v[94:97], v[29:30], off
	global_load_dwordx4 v[98:101], v[31:32], off
	v_add_nc_u32_e32 v45, s15, v41
	v_lshlrev_b64 v[37:38], 4, v[37:38]
	v_ashrrev_i32_e32 v42, 31, v41
	v_lshlrev_b64 v[43:44], 4, v[43:44]
	s_clause 0x1
	global_load_dwordx4 v[102:105], v[33:34], off
	global_load_dwordx4 v[106:109], v[35:36], off
	v_ashrrev_i32_e32 v46, 31, v45
	v_add_co_u32 v37, vcc_lo, s4, v37
	v_lshlrev_b64 v[51:52], 4, v[41:42]
	v_add_co_ci_u32_e64 v38, null, s5, v38, vcc_lo
	v_add_co_u32 v39, vcc_lo, s4, v39
	v_lshlrev_b64 v[45:46], 4, v[45:46]
	v_add_co_ci_u32_e64 v40, null, s5, v40, vcc_lo
	v_add_co_u32 v41, vcc_lo, s4, v43
	v_add_co_ci_u32_e64 v42, null, s5, v44, vcc_lo
	v_add_co_u32 v43, vcc_lo, s4, v51
	;; [unrolled: 2-line block ×3, first 2 shown]
	v_add_co_ci_u32_e64 v46, null, s5, v46, vcc_lo
	s_clause 0x4
	global_load_dwordx4 v[110:113], v[37:38], off
	global_load_dwordx4 v[114:117], v[39:40], off
	;; [unrolled: 1-line block ×5, first 2 shown]
	s_movk_i32 s4, 0x50
	s_movk_i32 s8, 0x60
	;; [unrolled: 1-line block ×7, first 2 shown]
	s_add_i32 s27, s4, 16
	s_add_i32 s26, s8, 16
	;; [unrolled: 1-line block ×16, first 2 shown]
	s_mov_b32 s5, -1
	s_mov_b32 s30, 48
	s_mov_b32 s29, 64
	s_movk_i32 s28, 0x50
	s_bitcmp0_b32 s34, 0
	s_waitcnt vmcnt(20)
	buffer_store_dword v4, off, s[0:3], 0 offset:28
	buffer_store_dword v3, off, s[0:3], 0 offset:24
	buffer_store_dword v2, off, s[0:3], 0 offset:20
	buffer_store_dword v1, off, s[0:3], 0 offset:16
	s_waitcnt vmcnt(19)
	buffer_store_dword v50, off, s[0:3], 0 offset:44
	buffer_store_dword v49, off, s[0:3], 0 offset:40
	buffer_store_dword v48, off, s[0:3], 0 offset:36
	buffer_store_dword v47, off, s[0:3], 0 offset:32
	s_waitcnt vmcnt(18)
	buffer_store_dword v57, off, s[0:3], 0 offset:60
	buffer_store_dword v56, off, s[0:3], 0 offset:56
	buffer_store_dword v55, off, s[0:3], 0 offset:52
	buffer_store_dword v54, off, s[0:3], 0 offset:48
	s_waitcnt vmcnt(17)
	buffer_store_dword v61, off, s[0:3], 0 offset:76
	buffer_store_dword v60, off, s[0:3], 0 offset:72
	buffer_store_dword v59, off, s[0:3], 0 offset:68
	buffer_store_dword v58, off, s[0:3], 0 offset:64
	s_waitcnt vmcnt(16)
	buffer_store_dword v65, off, s[0:3], 0 offset:92
	buffer_store_dword v64, off, s[0:3], 0 offset:88
	buffer_store_dword v63, off, s[0:3], 0 offset:84
	buffer_store_dword v62, off, s[0:3], 0 offset:80
	s_waitcnt vmcnt(15)
	buffer_store_dword v69, off, s[0:3], 0 offset:108
	buffer_store_dword v68, off, s[0:3], 0 offset:104
	buffer_store_dword v67, off, s[0:3], 0 offset:100
	buffer_store_dword v66, off, s[0:3], 0 offset:96
	s_waitcnt vmcnt(14)
	buffer_store_dword v73, off, s[0:3], 0 offset:124
	buffer_store_dword v72, off, s[0:3], 0 offset:120
	buffer_store_dword v71, off, s[0:3], 0 offset:116
	buffer_store_dword v70, off, s[0:3], 0 offset:112
	s_waitcnt vmcnt(13)
	buffer_store_dword v77, off, s[0:3], 0 offset:140
	buffer_store_dword v76, off, s[0:3], 0 offset:136
	buffer_store_dword v75, off, s[0:3], 0 offset:132
	buffer_store_dword v74, off, s[0:3], 0 offset:128
	s_waitcnt vmcnt(12)
	buffer_store_dword v81, off, s[0:3], 0 offset:156
	buffer_store_dword v80, off, s[0:3], 0 offset:152
	buffer_store_dword v79, off, s[0:3], 0 offset:148
	buffer_store_dword v78, off, s[0:3], 0 offset:144
	s_waitcnt vmcnt(11)
	buffer_store_dword v82, off, s[0:3], 0 offset:160
	buffer_store_dword v83, off, s[0:3], 0 offset:164
	buffer_store_dword v84, off, s[0:3], 0 offset:168
	buffer_store_dword v85, off, s[0:3], 0 offset:172
	s_waitcnt vmcnt(10)
	buffer_store_dword v86, off, s[0:3], 0 offset:176
	buffer_store_dword v87, off, s[0:3], 0 offset:180
	buffer_store_dword v88, off, s[0:3], 0 offset:184
	buffer_store_dword v89, off, s[0:3], 0 offset:188
	s_waitcnt vmcnt(9)
	buffer_store_dword v90, off, s[0:3], 0 offset:192
	buffer_store_dword v91, off, s[0:3], 0 offset:196
	buffer_store_dword v92, off, s[0:3], 0 offset:200
	buffer_store_dword v93, off, s[0:3], 0 offset:204
	s_waitcnt vmcnt(8)
	buffer_store_dword v97, off, s[0:3], 0 offset:220
	buffer_store_dword v96, off, s[0:3], 0 offset:216
	buffer_store_dword v95, off, s[0:3], 0 offset:212
	buffer_store_dword v94, off, s[0:3], 0 offset:208
	s_waitcnt vmcnt(7)
	buffer_store_dword v101, off, s[0:3], 0 offset:236
	buffer_store_dword v100, off, s[0:3], 0 offset:232
	buffer_store_dword v99, off, s[0:3], 0 offset:228
	buffer_store_dword v98, off, s[0:3], 0 offset:224
	s_waitcnt vmcnt(6)
	buffer_store_dword v105, off, s[0:3], 0 offset:252
	buffer_store_dword v104, off, s[0:3], 0 offset:248
	buffer_store_dword v103, off, s[0:3], 0 offset:244
	buffer_store_dword v102, off, s[0:3], 0 offset:240
	s_waitcnt vmcnt(5)
	buffer_store_dword v109, off, s[0:3], 0 offset:268
	buffer_store_dword v108, off, s[0:3], 0 offset:264
	buffer_store_dword v107, off, s[0:3], 0 offset:260
	buffer_store_dword v106, off, s[0:3], 0 offset:256
	s_waitcnt vmcnt(4)
	buffer_store_dword v113, off, s[0:3], 0 offset:284
	buffer_store_dword v112, off, s[0:3], 0 offset:280
	buffer_store_dword v111, off, s[0:3], 0 offset:276
	buffer_store_dword v110, off, s[0:3], 0 offset:272
	s_waitcnt vmcnt(3)
	buffer_store_dword v117, off, s[0:3], 0 offset:300
	buffer_store_dword v116, off, s[0:3], 0 offset:296
	buffer_store_dword v115, off, s[0:3], 0 offset:292
	buffer_store_dword v114, off, s[0:3], 0 offset:288
	s_waitcnt vmcnt(2)
	buffer_store_dword v121, off, s[0:3], 0 offset:316
	buffer_store_dword v120, off, s[0:3], 0 offset:312
	buffer_store_dword v119, off, s[0:3], 0 offset:308
	buffer_store_dword v118, off, s[0:3], 0 offset:304
	s_waitcnt vmcnt(1)
	buffer_store_dword v125, off, s[0:3], 0 offset:332
	buffer_store_dword v124, off, s[0:3], 0 offset:328
	buffer_store_dword v123, off, s[0:3], 0 offset:324
	buffer_store_dword v122, off, s[0:3], 0 offset:320
	s_waitcnt vmcnt(0)
	buffer_store_dword v129, off, s[0:3], 0 offset:348
	buffer_store_dword v128, off, s[0:3], 0 offset:344
	buffer_store_dword v127, off, s[0:3], 0 offset:340
	buffer_store_dword v126, off, s[0:3], 0 offset:336
	s_cbranch_scc1 .LBB20_96
; %bb.4:
	v_cmp_eq_u32_e64 s4, 0, v0
	s_and_saveexec_b32 s5, s4
; %bb.5:
	v_mov_b32_e32 v1, 0
	ds_write_b32 v1, v1 offset:672
; %bb.6:
	s_or_b32 exec_lo, exec_lo, s5
	v_lshl_add_u32 v54, v0, 4, 16
	s_waitcnt lgkmcnt(0)
	s_waitcnt_vscnt null, 0x0
	s_barrier
	buffer_gl0_inv
	s_clause 0x3
	buffer_load_dword v1, v54, s[0:3], 0 offen
	buffer_load_dword v2, v54, s[0:3], 0 offen offset:4
	buffer_load_dword v3, v54, s[0:3], 0 offen offset:8
	;; [unrolled: 1-line block ×3, first 2 shown]
	s_waitcnt vmcnt(2)
	v_cmp_eq_f64_e32 vcc_lo, 0, v[1:2]
	s_waitcnt vmcnt(0)
	v_cmp_eq_f64_e64 s5, 0, v[3:4]
	s_and_b32 s5, vcc_lo, s5
	s_and_saveexec_b32 s34, s5
	s_cbranch_execz .LBB20_10
; %bb.7:
	v_mov_b32_e32 v1, 0
	s_mov_b32 s35, 0
	ds_read_b32 v2, v1 offset:672
	s_waitcnt lgkmcnt(0)
	v_readfirstlane_b32 s5, v2
	v_add_nc_u32_e32 v2, 1, v0
	s_cmp_eq_u32 s5, 0
	v_cmp_gt_i32_e32 vcc_lo, s5, v2
	s_cselect_b32 s36, -1, 0
	s_or_b32 s36, s36, vcc_lo
	s_and_b32 exec_lo, exec_lo, s36
	s_cbranch_execz .LBB20_10
; %bb.8:
	v_mov_b32_e32 v3, s5
.LBB20_9:                               ; =>This Inner Loop Header: Depth=1
	ds_cmpst_rtn_b32 v3, v1, v3, v2 offset:672
	s_waitcnt lgkmcnt(0)
	v_cmp_ne_u32_e32 vcc_lo, 0, v3
	v_cmp_le_i32_e64 s5, v3, v2
	s_and_b32 s5, vcc_lo, s5
	s_and_b32 s5, exec_lo, s5
	s_or_b32 s35, s5, s35
	s_andn2_b32 exec_lo, exec_lo, s35
	s_cbranch_execnz .LBB20_9
.LBB20_10:
	s_or_b32 exec_lo, exec_lo, s34
	v_mov_b32_e32 v1, 0
	s_barrier
	buffer_gl0_inv
	ds_read_b32 v2, v1 offset:672
	s_and_saveexec_b32 s5, s4
	s_cbranch_execz .LBB20_12
; %bb.11:
	s_lshl_b64 s[34:35], s[6:7], 2
	s_add_u32 s34, s10, s34
	s_addc_u32 s35, s11, s35
	s_waitcnt lgkmcnt(0)
	global_store_dword v1, v2, s[34:35]
.LBB20_12:
	s_or_b32 exec_lo, exec_lo, s5
	s_waitcnt lgkmcnt(0)
	v_cmp_ne_u32_e32 vcc_lo, 0, v2
	s_mov_b32 s5, 0
	s_cbranch_vccnz .LBB20_96
; %bb.13:
	s_clause 0x3
	buffer_load_dword v49, v54, s[0:3], 0 offen
	buffer_load_dword v50, v54, s[0:3], 0 offen offset:4
	buffer_load_dword v51, v54, s[0:3], 0 offen offset:8
	;; [unrolled: 1-line block ×3, first 2 shown]
                                        ; implicit-def: $vgpr47_vgpr48
                                        ; implicit-def: $vgpr3_vgpr4
	s_waitcnt vmcnt(0)
	v_cmp_ngt_f64_e64 s5, |v[49:50]|, |v[51:52]|
	s_and_saveexec_b32 s34, s5
	s_xor_b32 s5, exec_lo, s34
	s_cbranch_execz .LBB20_15
; %bb.14:
	v_div_scale_f64 v[1:2], null, v[51:52], v[51:52], v[49:50]
	v_div_scale_f64 v[55:56], vcc_lo, v[49:50], v[51:52], v[49:50]
	v_rcp_f64_e32 v[3:4], v[1:2]
	v_fma_f64 v[47:48], -v[1:2], v[3:4], 1.0
	v_fma_f64 v[3:4], v[3:4], v[47:48], v[3:4]
	v_fma_f64 v[47:48], -v[1:2], v[3:4], 1.0
	v_fma_f64 v[3:4], v[3:4], v[47:48], v[3:4]
	v_mul_f64 v[47:48], v[55:56], v[3:4]
	v_fma_f64 v[1:2], -v[1:2], v[47:48], v[55:56]
	v_div_fmas_f64 v[1:2], v[1:2], v[3:4], v[47:48]
	v_div_fixup_f64 v[1:2], v[1:2], v[51:52], v[49:50]
	v_fma_f64 v[3:4], v[49:50], v[1:2], v[51:52]
	v_div_scale_f64 v[47:48], null, v[3:4], v[3:4], 1.0
	v_div_scale_f64 v[55:56], vcc_lo, 1.0, v[3:4], 1.0
	v_rcp_f64_e32 v[49:50], v[47:48]
	v_fma_f64 v[51:52], -v[47:48], v[49:50], 1.0
	v_fma_f64 v[49:50], v[49:50], v[51:52], v[49:50]
	v_fma_f64 v[51:52], -v[47:48], v[49:50], 1.0
	v_fma_f64 v[49:50], v[49:50], v[51:52], v[49:50]
	v_mul_f64 v[51:52], v[55:56], v[49:50]
	v_fma_f64 v[47:48], -v[47:48], v[51:52], v[55:56]
	v_div_fmas_f64 v[47:48], v[47:48], v[49:50], v[51:52]
                                        ; implicit-def: $vgpr49_vgpr50
                                        ; implicit-def: $vgpr51_vgpr52
	v_div_fixup_f64 v[3:4], v[47:48], v[3:4], 1.0
	v_mul_f64 v[47:48], v[1:2], v[3:4]
	v_xor_b32_e32 v4, 0x80000000, v4
	v_xor_b32_e32 v2, 0x80000000, v48
	v_mov_b32_e32 v1, v47
.LBB20_15:
	s_andn2_saveexec_b32 s5, s5
	s_cbranch_execz .LBB20_17
; %bb.16:
	v_div_scale_f64 v[1:2], null, v[49:50], v[49:50], v[51:52]
	v_div_scale_f64 v[55:56], vcc_lo, v[51:52], v[49:50], v[51:52]
	v_rcp_f64_e32 v[3:4], v[1:2]
	v_fma_f64 v[47:48], -v[1:2], v[3:4], 1.0
	v_fma_f64 v[3:4], v[3:4], v[47:48], v[3:4]
	v_fma_f64 v[47:48], -v[1:2], v[3:4], 1.0
	v_fma_f64 v[3:4], v[3:4], v[47:48], v[3:4]
	v_mul_f64 v[47:48], v[55:56], v[3:4]
	v_fma_f64 v[1:2], -v[1:2], v[47:48], v[55:56]
	v_div_fmas_f64 v[1:2], v[1:2], v[3:4], v[47:48]
	v_div_fixup_f64 v[1:2], v[1:2], v[49:50], v[51:52]
	v_fma_f64 v[3:4], v[51:52], v[1:2], v[49:50]
	v_div_scale_f64 v[47:48], null, v[3:4], v[3:4], 1.0
	v_rcp_f64_e32 v[49:50], v[47:48]
	v_fma_f64 v[51:52], -v[47:48], v[49:50], 1.0
	v_fma_f64 v[49:50], v[49:50], v[51:52], v[49:50]
	v_fma_f64 v[51:52], -v[47:48], v[49:50], 1.0
	v_fma_f64 v[49:50], v[49:50], v[51:52], v[49:50]
	v_div_scale_f64 v[51:52], vcc_lo, 1.0, v[3:4], 1.0
	v_mul_f64 v[55:56], v[51:52], v[49:50]
	v_fma_f64 v[47:48], -v[47:48], v[55:56], v[51:52]
	v_div_fmas_f64 v[47:48], v[47:48], v[49:50], v[55:56]
	v_div_fixup_f64 v[47:48], v[47:48], v[3:4], 1.0
	v_mul_f64 v[3:4], v[1:2], -v[47:48]
	v_xor_b32_e32 v2, 0x80000000, v48
	v_mov_b32_e32 v1, v47
.LBB20_17:
	s_or_b32 exec_lo, exec_lo, s5
	v_mov_b32_e32 v52, s31
	buffer_store_dword v48, v54, s[0:3], 0 offen offset:4
	buffer_store_dword v47, v54, s[0:3], 0 offen
	buffer_store_dword v4, v54, s[0:3], 0 offen offset:12
	buffer_store_dword v3, v54, s[0:3], 0 offen offset:8
	v_xor_b32_e32 v4, 0x80000000, v4
	v_add_nc_u32_e32 v47, 0x150, v53
	s_clause 0x3
	buffer_load_dword v51, v52, s[0:3], 0 offen offset:12
	buffer_load_dword v50, v52, s[0:3], 0 offen offset:8
	;; [unrolled: 1-line block ×3, first 2 shown]
	buffer_load_dword v48, v52, s[0:3], 0 offen
	ds_write_b128 v53, v[1:4]
	s_waitcnt vmcnt(0)
	ds_write_b128 v53, v[48:51] offset:336
	s_waitcnt lgkmcnt(0)
	s_waitcnt_vscnt null, 0x0
	s_barrier
	buffer_gl0_inv
	s_and_saveexec_b32 s5, s4
	s_cbranch_execz .LBB20_19
; %bb.18:
	s_clause 0x3
	buffer_load_dword v55, v54, s[0:3], 0 offen offset:8
	buffer_load_dword v56, v54, s[0:3], 0 offen offset:12
	buffer_load_dword v57, v54, s[0:3], 0 offen
	buffer_load_dword v58, v54, s[0:3], 0 offen offset:4
	ds_read_b128 v[1:4], v47
	v_mov_b32_e32 v48, 0
	ds_read_b128 v[48:51], v48 offset:16
	s_waitcnt vmcnt(2) lgkmcnt(1)
	v_mul_f64 v[59:60], v[1:2], v[55:56]
	v_mul_f64 v[55:56], v[3:4], v[55:56]
	s_waitcnt vmcnt(0)
	v_fma_f64 v[3:4], v[3:4], v[57:58], v[59:60]
	v_fma_f64 v[1:2], v[1:2], v[57:58], -v[55:56]
	v_add_f64 v[3:4], v[3:4], 0
	v_add_f64 v[1:2], v[1:2], 0
	s_waitcnt lgkmcnt(0)
	v_mul_f64 v[55:56], v[3:4], v[50:51]
	v_mul_f64 v[50:51], v[1:2], v[50:51]
	v_fma_f64 v[1:2], v[1:2], v[48:49], -v[55:56]
	v_fma_f64 v[3:4], v[3:4], v[48:49], v[50:51]
	buffer_store_dword v1, off, s[0:3], 0 offset:32
	buffer_store_dword v2, off, s[0:3], 0 offset:36
	;; [unrolled: 1-line block ×4, first 2 shown]
.LBB20_19:
	s_or_b32 exec_lo, exec_lo, s5
	v_mov_b32_e32 v4, s30
	s_waitcnt_vscnt null, 0x0
	s_barrier
	buffer_gl0_inv
	s_mov_b32 s5, exec_lo
	s_clause 0x3
	buffer_load_dword v1, v4, s[0:3], 0 offen
	buffer_load_dword v2, v4, s[0:3], 0 offen offset:4
	buffer_load_dword v3, v4, s[0:3], 0 offen offset:8
	;; [unrolled: 1-line block ×3, first 2 shown]
	s_waitcnt vmcnt(0)
	ds_write_b128 v47, v[1:4]
	s_waitcnt lgkmcnt(0)
	s_barrier
	buffer_gl0_inv
	v_cmpx_gt_u32_e32 2, v0
	s_cbranch_execz .LBB20_23
; %bb.20:
	s_clause 0x3
	buffer_load_dword v48, v54, s[0:3], 0 offen offset:8
	buffer_load_dword v49, v54, s[0:3], 0 offen offset:12
	buffer_load_dword v50, v54, s[0:3], 0 offen
	buffer_load_dword v51, v54, s[0:3], 0 offen offset:4
	ds_read_b128 v[1:4], v47
	s_waitcnt vmcnt(2) lgkmcnt(0)
	v_mul_f64 v[54:55], v[3:4], v[48:49]
	v_mul_f64 v[48:49], v[1:2], v[48:49]
	s_waitcnt vmcnt(0)
	v_fma_f64 v[1:2], v[1:2], v[50:51], -v[54:55]
	v_fma_f64 v[3:4], v[3:4], v[50:51], v[48:49]
	v_add_f64 v[1:2], v[1:2], 0
	v_add_f64 v[3:4], v[3:4], 0
	s_and_saveexec_b32 s34, s4
	s_cbranch_execz .LBB20_22
; %bb.21:
	s_clause 0x3
	buffer_load_dword v54, off, s[0:3], 0 offset:40
	buffer_load_dword v55, off, s[0:3], 0 offset:44
	;; [unrolled: 1-line block ×4, first 2 shown]
	v_mov_b32_e32 v48, 0
	ds_read_b128 v[48:51], v48 offset:352
	s_waitcnt vmcnt(2) lgkmcnt(0)
	v_mul_f64 v[58:59], v[48:49], v[54:55]
	v_mul_f64 v[54:55], v[50:51], v[54:55]
	s_waitcnt vmcnt(0)
	v_fma_f64 v[50:51], v[50:51], v[56:57], v[58:59]
	v_fma_f64 v[48:49], v[48:49], v[56:57], -v[54:55]
	v_add_f64 v[3:4], v[3:4], v[50:51]
	v_add_f64 v[1:2], v[1:2], v[48:49]
.LBB20_22:
	s_or_b32 exec_lo, exec_lo, s34
	v_mov_b32_e32 v48, 0
	ds_read_b128 v[48:51], v48 offset:32
	s_waitcnt lgkmcnt(0)
	v_mul_f64 v[54:55], v[3:4], v[50:51]
	v_mul_f64 v[50:51], v[1:2], v[50:51]
	v_fma_f64 v[1:2], v[1:2], v[48:49], -v[54:55]
	v_fma_f64 v[3:4], v[3:4], v[48:49], v[50:51]
	buffer_store_dword v2, off, s[0:3], 0 offset:52
	buffer_store_dword v1, off, s[0:3], 0 offset:48
	;; [unrolled: 1-line block ×4, first 2 shown]
.LBB20_23:
	s_or_b32 exec_lo, exec_lo, s5
	v_mov_b32_e32 v4, s29
	s_waitcnt_vscnt null, 0x0
	s_barrier
	buffer_gl0_inv
	v_add_nc_u32_e32 v48, -1, v0
	s_clause 0x3
	buffer_load_dword v1, v4, s[0:3], 0 offen
	buffer_load_dword v2, v4, s[0:3], 0 offen offset:4
	buffer_load_dword v3, v4, s[0:3], 0 offen offset:8
	;; [unrolled: 1-line block ×3, first 2 shown]
	s_mov_b32 s4, exec_lo
	s_waitcnt vmcnt(0)
	ds_write_b128 v47, v[1:4]
	s_waitcnt lgkmcnt(0)
	s_barrier
	buffer_gl0_inv
	v_cmpx_gt_u32_e32 3, v0
	s_cbranch_execz .LBB20_27
; %bb.24:
	v_mov_b32_e32 v1, 0
	v_mov_b32_e32 v3, 0
	v_add_nc_u32_e32 v49, -1, v0
	v_add_nc_u32_e32 v50, 0x150, v53
	v_mov_b32_e32 v2, 0
	v_mov_b32_e32 v4, 0
	v_add_nc_u32_e32 v51, 16, v53
	s_mov_b32 s5, 0
	.p2align	6
.LBB20_25:                              ; =>This Inner Loop Header: Depth=1
	s_clause 0x3
	buffer_load_dword v58, v51, s[0:3], 0 offen offset:8
	buffer_load_dword v59, v51, s[0:3], 0 offen offset:12
	buffer_load_dword v60, v51, s[0:3], 0 offen
	buffer_load_dword v61, v51, s[0:3], 0 offen offset:4
	ds_read_b128 v[54:57], v50
	v_add_nc_u32_e32 v49, 1, v49
	v_add_nc_u32_e32 v50, 16, v50
	;; [unrolled: 1-line block ×3, first 2 shown]
	v_cmp_lt_u32_e32 vcc_lo, 1, v49
	s_or_b32 s5, vcc_lo, s5
	s_waitcnt vmcnt(2) lgkmcnt(0)
	v_mul_f64 v[62:63], v[56:57], v[58:59]
	v_mul_f64 v[58:59], v[54:55], v[58:59]
	s_waitcnt vmcnt(0)
	v_fma_f64 v[54:55], v[54:55], v[60:61], -v[62:63]
	v_fma_f64 v[56:57], v[56:57], v[60:61], v[58:59]
	v_add_f64 v[3:4], v[3:4], v[54:55]
	v_add_f64 v[1:2], v[1:2], v[56:57]
	s_andn2_b32 exec_lo, exec_lo, s5
	s_cbranch_execnz .LBB20_25
; %bb.26:
	s_or_b32 exec_lo, exec_lo, s5
	v_mov_b32_e32 v49, 0
	ds_read_b128 v[49:52], v49 offset:48
	s_waitcnt lgkmcnt(0)
	v_mul_f64 v[54:55], v[1:2], v[51:52]
	v_mul_f64 v[51:52], v[3:4], v[51:52]
	v_fma_f64 v[3:4], v[3:4], v[49:50], -v[54:55]
	v_fma_f64 v[1:2], v[1:2], v[49:50], v[51:52]
	buffer_store_dword v4, off, s[0:3], 0 offset:68
	buffer_store_dword v3, off, s[0:3], 0 offset:64
	;; [unrolled: 1-line block ×4, first 2 shown]
.LBB20_27:
	s_or_b32 exec_lo, exec_lo, s4
	v_mov_b32_e32 v4, s28
	s_waitcnt_vscnt null, 0x0
	s_barrier
	buffer_gl0_inv
	s_mov_b32 s4, exec_lo
	s_clause 0x3
	buffer_load_dword v1, v4, s[0:3], 0 offen
	buffer_load_dword v2, v4, s[0:3], 0 offen offset:4
	buffer_load_dword v3, v4, s[0:3], 0 offen offset:8
	;; [unrolled: 1-line block ×3, first 2 shown]
	s_waitcnt vmcnt(0)
	ds_write_b128 v47, v[1:4]
	s_waitcnt lgkmcnt(0)
	s_barrier
	buffer_gl0_inv
	v_cmpx_gt_u32_e32 4, v0
	s_cbranch_execz .LBB20_31
; %bb.28:
	v_mov_b32_e32 v1, 0
	v_mov_b32_e32 v3, 0
	v_add_nc_u32_e32 v49, -1, v0
	v_add_nc_u32_e32 v50, 0x150, v53
	v_mov_b32_e32 v2, 0
	v_mov_b32_e32 v4, 0
	v_add_nc_u32_e32 v51, 16, v53
	s_mov_b32 s5, 0
	.p2align	6
.LBB20_29:                              ; =>This Inner Loop Header: Depth=1
	s_clause 0x3
	buffer_load_dword v58, v51, s[0:3], 0 offen offset:8
	buffer_load_dword v59, v51, s[0:3], 0 offen offset:12
	buffer_load_dword v60, v51, s[0:3], 0 offen
	buffer_load_dword v61, v51, s[0:3], 0 offen offset:4
	ds_read_b128 v[54:57], v50
	v_add_nc_u32_e32 v49, 1, v49
	v_add_nc_u32_e32 v50, 16, v50
	;; [unrolled: 1-line block ×3, first 2 shown]
	v_cmp_lt_u32_e32 vcc_lo, 2, v49
	s_or_b32 s5, vcc_lo, s5
	s_waitcnt vmcnt(2) lgkmcnt(0)
	v_mul_f64 v[62:63], v[56:57], v[58:59]
	v_mul_f64 v[58:59], v[54:55], v[58:59]
	s_waitcnt vmcnt(0)
	v_fma_f64 v[54:55], v[54:55], v[60:61], -v[62:63]
	v_fma_f64 v[56:57], v[56:57], v[60:61], v[58:59]
	v_add_f64 v[3:4], v[3:4], v[54:55]
	v_add_f64 v[1:2], v[1:2], v[56:57]
	s_andn2_b32 exec_lo, exec_lo, s5
	s_cbranch_execnz .LBB20_29
; %bb.30:
	s_or_b32 exec_lo, exec_lo, s5
	v_mov_b32_e32 v49, 0
	ds_read_b128 v[49:52], v49 offset:64
	s_waitcnt lgkmcnt(0)
	v_mul_f64 v[54:55], v[1:2], v[51:52]
	v_mul_f64 v[51:52], v[3:4], v[51:52]
	v_fma_f64 v[3:4], v[3:4], v[49:50], -v[54:55]
	v_fma_f64 v[1:2], v[1:2], v[49:50], v[51:52]
	buffer_store_dword v4, off, s[0:3], 0 offset:84
	buffer_store_dword v3, off, s[0:3], 0 offset:80
	;; [unrolled: 1-line block ×4, first 2 shown]
.LBB20_31:
	s_or_b32 exec_lo, exec_lo, s4
	v_mov_b32_e32 v4, s27
	s_waitcnt_vscnt null, 0x0
	s_barrier
	buffer_gl0_inv
	s_mov_b32 s4, exec_lo
	s_clause 0x3
	buffer_load_dword v1, v4, s[0:3], 0 offen
	buffer_load_dword v2, v4, s[0:3], 0 offen offset:4
	buffer_load_dword v3, v4, s[0:3], 0 offen offset:8
	;; [unrolled: 1-line block ×3, first 2 shown]
	s_waitcnt vmcnt(0)
	ds_write_b128 v47, v[1:4]
	s_waitcnt lgkmcnt(0)
	s_barrier
	buffer_gl0_inv
	v_cmpx_gt_u32_e32 5, v0
	s_cbranch_execz .LBB20_35
; %bb.32:
	v_mov_b32_e32 v1, 0
	v_mov_b32_e32 v3, 0
	v_add_nc_u32_e32 v49, -1, v0
	v_add_nc_u32_e32 v50, 0x150, v53
	v_mov_b32_e32 v2, 0
	v_mov_b32_e32 v4, 0
	v_add_nc_u32_e32 v51, 16, v53
	s_mov_b32 s5, 0
	.p2align	6
.LBB20_33:                              ; =>This Inner Loop Header: Depth=1
	s_clause 0x3
	buffer_load_dword v58, v51, s[0:3], 0 offen offset:8
	buffer_load_dword v59, v51, s[0:3], 0 offen offset:12
	buffer_load_dword v60, v51, s[0:3], 0 offen
	buffer_load_dword v61, v51, s[0:3], 0 offen offset:4
	ds_read_b128 v[54:57], v50
	v_add_nc_u32_e32 v49, 1, v49
	v_add_nc_u32_e32 v50, 16, v50
	;; [unrolled: 1-line block ×3, first 2 shown]
	v_cmp_lt_u32_e32 vcc_lo, 3, v49
	s_or_b32 s5, vcc_lo, s5
	s_waitcnt vmcnt(2) lgkmcnt(0)
	v_mul_f64 v[62:63], v[56:57], v[58:59]
	v_mul_f64 v[58:59], v[54:55], v[58:59]
	s_waitcnt vmcnt(0)
	v_fma_f64 v[54:55], v[54:55], v[60:61], -v[62:63]
	v_fma_f64 v[56:57], v[56:57], v[60:61], v[58:59]
	v_add_f64 v[3:4], v[3:4], v[54:55]
	v_add_f64 v[1:2], v[1:2], v[56:57]
	s_andn2_b32 exec_lo, exec_lo, s5
	s_cbranch_execnz .LBB20_33
; %bb.34:
	s_or_b32 exec_lo, exec_lo, s5
	v_mov_b32_e32 v49, 0
	ds_read_b128 v[49:52], v49 offset:80
	s_waitcnt lgkmcnt(0)
	v_mul_f64 v[54:55], v[1:2], v[51:52]
	v_mul_f64 v[51:52], v[3:4], v[51:52]
	v_fma_f64 v[3:4], v[3:4], v[49:50], -v[54:55]
	v_fma_f64 v[1:2], v[1:2], v[49:50], v[51:52]
	buffer_store_dword v4, off, s[0:3], 0 offset:100
	buffer_store_dword v3, off, s[0:3], 0 offset:96
	;; [unrolled: 1-line block ×4, first 2 shown]
.LBB20_35:
	s_or_b32 exec_lo, exec_lo, s4
	v_mov_b32_e32 v4, s26
	s_waitcnt_vscnt null, 0x0
	s_barrier
	buffer_gl0_inv
	s_mov_b32 s4, exec_lo
	s_clause 0x3
	buffer_load_dword v1, v4, s[0:3], 0 offen
	buffer_load_dword v2, v4, s[0:3], 0 offen offset:4
	buffer_load_dword v3, v4, s[0:3], 0 offen offset:8
	;; [unrolled: 1-line block ×3, first 2 shown]
	s_waitcnt vmcnt(0)
	ds_write_b128 v47, v[1:4]
	s_waitcnt lgkmcnt(0)
	s_barrier
	buffer_gl0_inv
	v_cmpx_gt_u32_e32 6, v0
	s_cbranch_execz .LBB20_39
; %bb.36:
	v_mov_b32_e32 v1, 0
	v_mov_b32_e32 v3, 0
	v_add_nc_u32_e32 v49, -1, v0
	v_add_nc_u32_e32 v50, 0x150, v53
	v_mov_b32_e32 v2, 0
	v_mov_b32_e32 v4, 0
	v_add_nc_u32_e32 v51, 16, v53
	s_mov_b32 s5, 0
	.p2align	6
.LBB20_37:                              ; =>This Inner Loop Header: Depth=1
	s_clause 0x3
	buffer_load_dword v58, v51, s[0:3], 0 offen offset:8
	buffer_load_dword v59, v51, s[0:3], 0 offen offset:12
	buffer_load_dword v60, v51, s[0:3], 0 offen
	buffer_load_dword v61, v51, s[0:3], 0 offen offset:4
	ds_read_b128 v[54:57], v50
	v_add_nc_u32_e32 v49, 1, v49
	v_add_nc_u32_e32 v50, 16, v50
	;; [unrolled: 1-line block ×3, first 2 shown]
	v_cmp_lt_u32_e32 vcc_lo, 4, v49
	s_or_b32 s5, vcc_lo, s5
	s_waitcnt vmcnt(2) lgkmcnt(0)
	v_mul_f64 v[62:63], v[56:57], v[58:59]
	v_mul_f64 v[58:59], v[54:55], v[58:59]
	s_waitcnt vmcnt(0)
	v_fma_f64 v[54:55], v[54:55], v[60:61], -v[62:63]
	v_fma_f64 v[56:57], v[56:57], v[60:61], v[58:59]
	v_add_f64 v[3:4], v[3:4], v[54:55]
	v_add_f64 v[1:2], v[1:2], v[56:57]
	s_andn2_b32 exec_lo, exec_lo, s5
	s_cbranch_execnz .LBB20_37
; %bb.38:
	s_or_b32 exec_lo, exec_lo, s5
	v_mov_b32_e32 v49, 0
	ds_read_b128 v[49:52], v49 offset:96
	s_waitcnt lgkmcnt(0)
	v_mul_f64 v[54:55], v[1:2], v[51:52]
	v_mul_f64 v[51:52], v[3:4], v[51:52]
	v_fma_f64 v[3:4], v[3:4], v[49:50], -v[54:55]
	v_fma_f64 v[1:2], v[1:2], v[49:50], v[51:52]
	buffer_store_dword v4, off, s[0:3], 0 offset:116
	buffer_store_dword v3, off, s[0:3], 0 offset:112
	;; [unrolled: 1-line block ×4, first 2 shown]
.LBB20_39:
	s_or_b32 exec_lo, exec_lo, s4
	v_mov_b32_e32 v4, s25
	s_waitcnt_vscnt null, 0x0
	s_barrier
	buffer_gl0_inv
	s_mov_b32 s4, exec_lo
	s_clause 0x3
	buffer_load_dword v1, v4, s[0:3], 0 offen
	buffer_load_dword v2, v4, s[0:3], 0 offen offset:4
	buffer_load_dword v3, v4, s[0:3], 0 offen offset:8
	;; [unrolled: 1-line block ×3, first 2 shown]
	s_waitcnt vmcnt(0)
	ds_write_b128 v47, v[1:4]
	s_waitcnt lgkmcnt(0)
	s_barrier
	buffer_gl0_inv
	v_cmpx_gt_u32_e32 7, v0
	s_cbranch_execz .LBB20_43
; %bb.40:
	v_mov_b32_e32 v1, 0
	v_mov_b32_e32 v3, 0
	v_add_nc_u32_e32 v49, -1, v0
	v_add_nc_u32_e32 v50, 0x150, v53
	v_mov_b32_e32 v2, 0
	v_mov_b32_e32 v4, 0
	v_add_nc_u32_e32 v51, 16, v53
	s_mov_b32 s5, 0
	.p2align	6
.LBB20_41:                              ; =>This Inner Loop Header: Depth=1
	s_clause 0x3
	buffer_load_dword v58, v51, s[0:3], 0 offen offset:8
	buffer_load_dword v59, v51, s[0:3], 0 offen offset:12
	buffer_load_dword v60, v51, s[0:3], 0 offen
	buffer_load_dword v61, v51, s[0:3], 0 offen offset:4
	ds_read_b128 v[54:57], v50
	v_add_nc_u32_e32 v49, 1, v49
	v_add_nc_u32_e32 v50, 16, v50
	;; [unrolled: 1-line block ×3, first 2 shown]
	v_cmp_lt_u32_e32 vcc_lo, 5, v49
	s_or_b32 s5, vcc_lo, s5
	s_waitcnt vmcnt(2) lgkmcnt(0)
	v_mul_f64 v[62:63], v[56:57], v[58:59]
	v_mul_f64 v[58:59], v[54:55], v[58:59]
	s_waitcnt vmcnt(0)
	v_fma_f64 v[54:55], v[54:55], v[60:61], -v[62:63]
	v_fma_f64 v[56:57], v[56:57], v[60:61], v[58:59]
	v_add_f64 v[3:4], v[3:4], v[54:55]
	v_add_f64 v[1:2], v[1:2], v[56:57]
	s_andn2_b32 exec_lo, exec_lo, s5
	s_cbranch_execnz .LBB20_41
; %bb.42:
	s_or_b32 exec_lo, exec_lo, s5
	v_mov_b32_e32 v49, 0
	ds_read_b128 v[49:52], v49 offset:112
	s_waitcnt lgkmcnt(0)
	v_mul_f64 v[54:55], v[1:2], v[51:52]
	v_mul_f64 v[51:52], v[3:4], v[51:52]
	v_fma_f64 v[3:4], v[3:4], v[49:50], -v[54:55]
	v_fma_f64 v[1:2], v[1:2], v[49:50], v[51:52]
	buffer_store_dword v4, off, s[0:3], 0 offset:132
	buffer_store_dword v3, off, s[0:3], 0 offset:128
	;; [unrolled: 1-line block ×4, first 2 shown]
.LBB20_43:
	s_or_b32 exec_lo, exec_lo, s4
	v_mov_b32_e32 v4, s24
	s_waitcnt_vscnt null, 0x0
	s_barrier
	buffer_gl0_inv
	s_mov_b32 s4, exec_lo
	s_clause 0x3
	buffer_load_dword v1, v4, s[0:3], 0 offen
	buffer_load_dword v2, v4, s[0:3], 0 offen offset:4
	buffer_load_dword v3, v4, s[0:3], 0 offen offset:8
	;; [unrolled: 1-line block ×3, first 2 shown]
	s_waitcnt vmcnt(0)
	ds_write_b128 v47, v[1:4]
	s_waitcnt lgkmcnt(0)
	s_barrier
	buffer_gl0_inv
	v_cmpx_gt_u32_e32 8, v0
	s_cbranch_execz .LBB20_47
; %bb.44:
	v_mov_b32_e32 v1, 0
	v_mov_b32_e32 v3, 0
	v_add_nc_u32_e32 v49, -1, v0
	v_add_nc_u32_e32 v50, 0x150, v53
	v_mov_b32_e32 v2, 0
	v_mov_b32_e32 v4, 0
	v_add_nc_u32_e32 v51, 16, v53
	s_mov_b32 s5, 0
	.p2align	6
.LBB20_45:                              ; =>This Inner Loop Header: Depth=1
	s_clause 0x3
	buffer_load_dword v58, v51, s[0:3], 0 offen offset:8
	buffer_load_dword v59, v51, s[0:3], 0 offen offset:12
	buffer_load_dword v60, v51, s[0:3], 0 offen
	buffer_load_dword v61, v51, s[0:3], 0 offen offset:4
	ds_read_b128 v[54:57], v50
	v_add_nc_u32_e32 v49, 1, v49
	v_add_nc_u32_e32 v50, 16, v50
	;; [unrolled: 1-line block ×3, first 2 shown]
	v_cmp_lt_u32_e32 vcc_lo, 6, v49
	s_or_b32 s5, vcc_lo, s5
	s_waitcnt vmcnt(2) lgkmcnt(0)
	v_mul_f64 v[62:63], v[56:57], v[58:59]
	v_mul_f64 v[58:59], v[54:55], v[58:59]
	s_waitcnt vmcnt(0)
	v_fma_f64 v[54:55], v[54:55], v[60:61], -v[62:63]
	v_fma_f64 v[56:57], v[56:57], v[60:61], v[58:59]
	v_add_f64 v[3:4], v[3:4], v[54:55]
	v_add_f64 v[1:2], v[1:2], v[56:57]
	s_andn2_b32 exec_lo, exec_lo, s5
	s_cbranch_execnz .LBB20_45
; %bb.46:
	s_or_b32 exec_lo, exec_lo, s5
	v_mov_b32_e32 v49, 0
	ds_read_b128 v[49:52], v49 offset:128
	s_waitcnt lgkmcnt(0)
	v_mul_f64 v[54:55], v[1:2], v[51:52]
	v_mul_f64 v[51:52], v[3:4], v[51:52]
	v_fma_f64 v[3:4], v[3:4], v[49:50], -v[54:55]
	v_fma_f64 v[1:2], v[1:2], v[49:50], v[51:52]
	buffer_store_dword v4, off, s[0:3], 0 offset:148
	buffer_store_dword v3, off, s[0:3], 0 offset:144
	;; [unrolled: 1-line block ×4, first 2 shown]
.LBB20_47:
	s_or_b32 exec_lo, exec_lo, s4
	v_mov_b32_e32 v4, s23
	s_waitcnt_vscnt null, 0x0
	s_barrier
	buffer_gl0_inv
	s_mov_b32 s4, exec_lo
	s_clause 0x3
	buffer_load_dword v1, v4, s[0:3], 0 offen
	buffer_load_dword v2, v4, s[0:3], 0 offen offset:4
	buffer_load_dword v3, v4, s[0:3], 0 offen offset:8
	;; [unrolled: 1-line block ×3, first 2 shown]
	s_waitcnt vmcnt(0)
	ds_write_b128 v47, v[1:4]
	s_waitcnt lgkmcnt(0)
	s_barrier
	buffer_gl0_inv
	v_cmpx_gt_u32_e32 9, v0
	s_cbranch_execz .LBB20_51
; %bb.48:
	v_mov_b32_e32 v1, 0
	v_mov_b32_e32 v3, 0
	v_add_nc_u32_e32 v49, -1, v0
	v_add_nc_u32_e32 v50, 0x150, v53
	v_mov_b32_e32 v2, 0
	v_mov_b32_e32 v4, 0
	v_add_nc_u32_e32 v51, 16, v53
	s_mov_b32 s5, 0
	.p2align	6
.LBB20_49:                              ; =>This Inner Loop Header: Depth=1
	s_clause 0x3
	buffer_load_dword v58, v51, s[0:3], 0 offen offset:8
	buffer_load_dword v59, v51, s[0:3], 0 offen offset:12
	buffer_load_dword v60, v51, s[0:3], 0 offen
	buffer_load_dword v61, v51, s[0:3], 0 offen offset:4
	ds_read_b128 v[54:57], v50
	v_add_nc_u32_e32 v49, 1, v49
	v_add_nc_u32_e32 v50, 16, v50
	;; [unrolled: 1-line block ×3, first 2 shown]
	v_cmp_lt_u32_e32 vcc_lo, 7, v49
	s_or_b32 s5, vcc_lo, s5
	s_waitcnt vmcnt(2) lgkmcnt(0)
	v_mul_f64 v[62:63], v[56:57], v[58:59]
	v_mul_f64 v[58:59], v[54:55], v[58:59]
	s_waitcnt vmcnt(0)
	v_fma_f64 v[54:55], v[54:55], v[60:61], -v[62:63]
	v_fma_f64 v[56:57], v[56:57], v[60:61], v[58:59]
	v_add_f64 v[3:4], v[3:4], v[54:55]
	v_add_f64 v[1:2], v[1:2], v[56:57]
	s_andn2_b32 exec_lo, exec_lo, s5
	s_cbranch_execnz .LBB20_49
; %bb.50:
	s_or_b32 exec_lo, exec_lo, s5
	v_mov_b32_e32 v49, 0
	ds_read_b128 v[49:52], v49 offset:144
	s_waitcnt lgkmcnt(0)
	v_mul_f64 v[54:55], v[1:2], v[51:52]
	v_mul_f64 v[51:52], v[3:4], v[51:52]
	v_fma_f64 v[3:4], v[3:4], v[49:50], -v[54:55]
	v_fma_f64 v[1:2], v[1:2], v[49:50], v[51:52]
	buffer_store_dword v4, off, s[0:3], 0 offset:164
	buffer_store_dword v3, off, s[0:3], 0 offset:160
	;; [unrolled: 1-line block ×4, first 2 shown]
.LBB20_51:
	s_or_b32 exec_lo, exec_lo, s4
	v_mov_b32_e32 v4, s22
	s_waitcnt_vscnt null, 0x0
	s_barrier
	buffer_gl0_inv
	s_mov_b32 s4, exec_lo
	s_clause 0x3
	buffer_load_dword v1, v4, s[0:3], 0 offen
	buffer_load_dword v2, v4, s[0:3], 0 offen offset:4
	buffer_load_dword v3, v4, s[0:3], 0 offen offset:8
	;; [unrolled: 1-line block ×3, first 2 shown]
	s_waitcnt vmcnt(0)
	ds_write_b128 v47, v[1:4]
	s_waitcnt lgkmcnt(0)
	s_barrier
	buffer_gl0_inv
	v_cmpx_gt_u32_e32 10, v0
	s_cbranch_execz .LBB20_55
; %bb.52:
	v_mov_b32_e32 v1, 0
	v_mov_b32_e32 v3, 0
	v_add_nc_u32_e32 v49, -1, v0
	v_add_nc_u32_e32 v50, 0x150, v53
	v_mov_b32_e32 v2, 0
	v_mov_b32_e32 v4, 0
	v_add_nc_u32_e32 v51, 16, v53
	s_mov_b32 s5, 0
	.p2align	6
.LBB20_53:                              ; =>This Inner Loop Header: Depth=1
	s_clause 0x3
	buffer_load_dword v58, v51, s[0:3], 0 offen offset:8
	buffer_load_dword v59, v51, s[0:3], 0 offen offset:12
	buffer_load_dword v60, v51, s[0:3], 0 offen
	buffer_load_dword v61, v51, s[0:3], 0 offen offset:4
	ds_read_b128 v[54:57], v50
	v_add_nc_u32_e32 v49, 1, v49
	v_add_nc_u32_e32 v50, 16, v50
	;; [unrolled: 1-line block ×3, first 2 shown]
	v_cmp_lt_u32_e32 vcc_lo, 8, v49
	s_or_b32 s5, vcc_lo, s5
	s_waitcnt vmcnt(2) lgkmcnt(0)
	v_mul_f64 v[62:63], v[56:57], v[58:59]
	v_mul_f64 v[58:59], v[54:55], v[58:59]
	s_waitcnt vmcnt(0)
	v_fma_f64 v[54:55], v[54:55], v[60:61], -v[62:63]
	v_fma_f64 v[56:57], v[56:57], v[60:61], v[58:59]
	v_add_f64 v[3:4], v[3:4], v[54:55]
	v_add_f64 v[1:2], v[1:2], v[56:57]
	s_andn2_b32 exec_lo, exec_lo, s5
	s_cbranch_execnz .LBB20_53
; %bb.54:
	s_or_b32 exec_lo, exec_lo, s5
	v_mov_b32_e32 v49, 0
	ds_read_b128 v[49:52], v49 offset:160
	s_waitcnt lgkmcnt(0)
	v_mul_f64 v[54:55], v[1:2], v[51:52]
	v_mul_f64 v[51:52], v[3:4], v[51:52]
	v_fma_f64 v[3:4], v[3:4], v[49:50], -v[54:55]
	v_fma_f64 v[1:2], v[1:2], v[49:50], v[51:52]
	buffer_store_dword v4, off, s[0:3], 0 offset:180
	buffer_store_dword v3, off, s[0:3], 0 offset:176
	;; [unrolled: 1-line block ×4, first 2 shown]
.LBB20_55:
	s_or_b32 exec_lo, exec_lo, s4
	v_mov_b32_e32 v4, s19
	s_waitcnt_vscnt null, 0x0
	s_barrier
	buffer_gl0_inv
	s_mov_b32 s4, exec_lo
	s_clause 0x3
	buffer_load_dword v1, v4, s[0:3], 0 offen
	buffer_load_dword v2, v4, s[0:3], 0 offen offset:4
	buffer_load_dword v3, v4, s[0:3], 0 offen offset:8
	;; [unrolled: 1-line block ×3, first 2 shown]
	s_waitcnt vmcnt(0)
	ds_write_b128 v47, v[1:4]
	s_waitcnt lgkmcnt(0)
	s_barrier
	buffer_gl0_inv
	v_cmpx_gt_u32_e32 11, v0
	s_cbranch_execz .LBB20_59
; %bb.56:
	v_mov_b32_e32 v1, 0
	v_mov_b32_e32 v3, 0
	v_add_nc_u32_e32 v49, -1, v0
	v_add_nc_u32_e32 v50, 0x150, v53
	v_mov_b32_e32 v2, 0
	v_mov_b32_e32 v4, 0
	v_add_nc_u32_e32 v51, 16, v53
	s_mov_b32 s5, 0
	.p2align	6
.LBB20_57:                              ; =>This Inner Loop Header: Depth=1
	s_clause 0x3
	buffer_load_dword v58, v51, s[0:3], 0 offen offset:8
	buffer_load_dword v59, v51, s[0:3], 0 offen offset:12
	buffer_load_dword v60, v51, s[0:3], 0 offen
	buffer_load_dword v61, v51, s[0:3], 0 offen offset:4
	ds_read_b128 v[54:57], v50
	v_add_nc_u32_e32 v49, 1, v49
	v_add_nc_u32_e32 v50, 16, v50
	;; [unrolled: 1-line block ×3, first 2 shown]
	v_cmp_lt_u32_e32 vcc_lo, 9, v49
	s_or_b32 s5, vcc_lo, s5
	s_waitcnt vmcnt(2) lgkmcnt(0)
	v_mul_f64 v[62:63], v[56:57], v[58:59]
	v_mul_f64 v[58:59], v[54:55], v[58:59]
	s_waitcnt vmcnt(0)
	v_fma_f64 v[54:55], v[54:55], v[60:61], -v[62:63]
	v_fma_f64 v[56:57], v[56:57], v[60:61], v[58:59]
	v_add_f64 v[3:4], v[3:4], v[54:55]
	v_add_f64 v[1:2], v[1:2], v[56:57]
	s_andn2_b32 exec_lo, exec_lo, s5
	s_cbranch_execnz .LBB20_57
; %bb.58:
	s_or_b32 exec_lo, exec_lo, s5
	v_mov_b32_e32 v49, 0
	ds_read_b128 v[49:52], v49 offset:176
	s_waitcnt lgkmcnt(0)
	v_mul_f64 v[54:55], v[1:2], v[51:52]
	v_mul_f64 v[51:52], v[3:4], v[51:52]
	v_fma_f64 v[3:4], v[3:4], v[49:50], -v[54:55]
	v_fma_f64 v[1:2], v[1:2], v[49:50], v[51:52]
	buffer_store_dword v4, off, s[0:3], 0 offset:196
	buffer_store_dword v3, off, s[0:3], 0 offset:192
	;; [unrolled: 1-line block ×4, first 2 shown]
.LBB20_59:
	s_or_b32 exec_lo, exec_lo, s4
	v_mov_b32_e32 v4, s18
	s_waitcnt_vscnt null, 0x0
	s_barrier
	buffer_gl0_inv
	s_mov_b32 s4, exec_lo
	s_clause 0x3
	buffer_load_dword v1, v4, s[0:3], 0 offen
	buffer_load_dword v2, v4, s[0:3], 0 offen offset:4
	buffer_load_dword v3, v4, s[0:3], 0 offen offset:8
	;; [unrolled: 1-line block ×3, first 2 shown]
	s_waitcnt vmcnt(0)
	ds_write_b128 v47, v[1:4]
	s_waitcnt lgkmcnt(0)
	s_barrier
	buffer_gl0_inv
	v_cmpx_gt_u32_e32 12, v0
	s_cbranch_execz .LBB20_63
; %bb.60:
	v_mov_b32_e32 v1, 0
	v_mov_b32_e32 v3, 0
	v_add_nc_u32_e32 v49, -1, v0
	v_add_nc_u32_e32 v50, 0x150, v53
	v_mov_b32_e32 v2, 0
	v_mov_b32_e32 v4, 0
	v_add_nc_u32_e32 v51, 16, v53
	s_mov_b32 s5, 0
	.p2align	6
.LBB20_61:                              ; =>This Inner Loop Header: Depth=1
	s_clause 0x3
	buffer_load_dword v58, v51, s[0:3], 0 offen offset:8
	buffer_load_dword v59, v51, s[0:3], 0 offen offset:12
	buffer_load_dword v60, v51, s[0:3], 0 offen
	buffer_load_dword v61, v51, s[0:3], 0 offen offset:4
	ds_read_b128 v[54:57], v50
	v_add_nc_u32_e32 v49, 1, v49
	v_add_nc_u32_e32 v50, 16, v50
	;; [unrolled: 1-line block ×3, first 2 shown]
	v_cmp_lt_u32_e32 vcc_lo, 10, v49
	s_or_b32 s5, vcc_lo, s5
	s_waitcnt vmcnt(2) lgkmcnt(0)
	v_mul_f64 v[62:63], v[56:57], v[58:59]
	v_mul_f64 v[58:59], v[54:55], v[58:59]
	s_waitcnt vmcnt(0)
	v_fma_f64 v[54:55], v[54:55], v[60:61], -v[62:63]
	v_fma_f64 v[56:57], v[56:57], v[60:61], v[58:59]
	v_add_f64 v[3:4], v[3:4], v[54:55]
	v_add_f64 v[1:2], v[1:2], v[56:57]
	s_andn2_b32 exec_lo, exec_lo, s5
	s_cbranch_execnz .LBB20_61
; %bb.62:
	s_or_b32 exec_lo, exec_lo, s5
	v_mov_b32_e32 v49, 0
	ds_read_b128 v[49:52], v49 offset:192
	s_waitcnt lgkmcnt(0)
	v_mul_f64 v[54:55], v[1:2], v[51:52]
	v_mul_f64 v[51:52], v[3:4], v[51:52]
	v_fma_f64 v[3:4], v[3:4], v[49:50], -v[54:55]
	v_fma_f64 v[1:2], v[1:2], v[49:50], v[51:52]
	buffer_store_dword v4, off, s[0:3], 0 offset:212
	buffer_store_dword v3, off, s[0:3], 0 offset:208
	;; [unrolled: 1-line block ×4, first 2 shown]
.LBB20_63:
	s_or_b32 exec_lo, exec_lo, s4
	v_mov_b32_e32 v4, s17
	s_waitcnt_vscnt null, 0x0
	s_barrier
	buffer_gl0_inv
	s_mov_b32 s4, exec_lo
	s_clause 0x3
	buffer_load_dword v1, v4, s[0:3], 0 offen
	buffer_load_dword v2, v4, s[0:3], 0 offen offset:4
	buffer_load_dword v3, v4, s[0:3], 0 offen offset:8
	;; [unrolled: 1-line block ×3, first 2 shown]
	s_waitcnt vmcnt(0)
	ds_write_b128 v47, v[1:4]
	s_waitcnt lgkmcnt(0)
	s_barrier
	buffer_gl0_inv
	v_cmpx_gt_u32_e32 13, v0
	s_cbranch_execz .LBB20_67
; %bb.64:
	v_mov_b32_e32 v1, 0
	v_mov_b32_e32 v3, 0
	v_add_nc_u32_e32 v49, -1, v0
	v_add_nc_u32_e32 v50, 0x150, v53
	v_mov_b32_e32 v2, 0
	v_mov_b32_e32 v4, 0
	v_add_nc_u32_e32 v51, 16, v53
	s_mov_b32 s5, 0
	.p2align	6
.LBB20_65:                              ; =>This Inner Loop Header: Depth=1
	s_clause 0x3
	buffer_load_dword v58, v51, s[0:3], 0 offen offset:8
	buffer_load_dword v59, v51, s[0:3], 0 offen offset:12
	buffer_load_dword v60, v51, s[0:3], 0 offen
	buffer_load_dword v61, v51, s[0:3], 0 offen offset:4
	ds_read_b128 v[54:57], v50
	v_add_nc_u32_e32 v49, 1, v49
	v_add_nc_u32_e32 v50, 16, v50
	;; [unrolled: 1-line block ×3, first 2 shown]
	v_cmp_lt_u32_e32 vcc_lo, 11, v49
	s_or_b32 s5, vcc_lo, s5
	s_waitcnt vmcnt(2) lgkmcnt(0)
	v_mul_f64 v[62:63], v[56:57], v[58:59]
	v_mul_f64 v[58:59], v[54:55], v[58:59]
	s_waitcnt vmcnt(0)
	v_fma_f64 v[54:55], v[54:55], v[60:61], -v[62:63]
	v_fma_f64 v[56:57], v[56:57], v[60:61], v[58:59]
	v_add_f64 v[3:4], v[3:4], v[54:55]
	v_add_f64 v[1:2], v[1:2], v[56:57]
	s_andn2_b32 exec_lo, exec_lo, s5
	s_cbranch_execnz .LBB20_65
; %bb.66:
	s_or_b32 exec_lo, exec_lo, s5
	v_mov_b32_e32 v49, 0
	ds_read_b128 v[49:52], v49 offset:208
	s_waitcnt lgkmcnt(0)
	v_mul_f64 v[54:55], v[1:2], v[51:52]
	v_mul_f64 v[51:52], v[3:4], v[51:52]
	v_fma_f64 v[3:4], v[3:4], v[49:50], -v[54:55]
	v_fma_f64 v[1:2], v[1:2], v[49:50], v[51:52]
	buffer_store_dword v4, off, s[0:3], 0 offset:228
	buffer_store_dword v3, off, s[0:3], 0 offset:224
	;; [unrolled: 1-line block ×4, first 2 shown]
.LBB20_67:
	s_or_b32 exec_lo, exec_lo, s4
	v_mov_b32_e32 v4, s16
	s_waitcnt_vscnt null, 0x0
	s_barrier
	buffer_gl0_inv
	s_mov_b32 s4, exec_lo
	s_clause 0x3
	buffer_load_dword v1, v4, s[0:3], 0 offen
	buffer_load_dword v2, v4, s[0:3], 0 offen offset:4
	buffer_load_dword v3, v4, s[0:3], 0 offen offset:8
	;; [unrolled: 1-line block ×3, first 2 shown]
	s_waitcnt vmcnt(0)
	ds_write_b128 v47, v[1:4]
	s_waitcnt lgkmcnt(0)
	s_barrier
	buffer_gl0_inv
	v_cmpx_gt_u32_e32 14, v0
	s_cbranch_execz .LBB20_71
; %bb.68:
	v_mov_b32_e32 v1, 0
	v_mov_b32_e32 v3, 0
	v_add_nc_u32_e32 v49, -1, v0
	v_add_nc_u32_e32 v50, 0x150, v53
	v_mov_b32_e32 v2, 0
	v_mov_b32_e32 v4, 0
	v_add_nc_u32_e32 v51, 16, v53
	s_mov_b32 s5, 0
	.p2align	6
.LBB20_69:                              ; =>This Inner Loop Header: Depth=1
	s_clause 0x3
	buffer_load_dword v58, v51, s[0:3], 0 offen offset:8
	buffer_load_dword v59, v51, s[0:3], 0 offen offset:12
	buffer_load_dword v60, v51, s[0:3], 0 offen
	buffer_load_dword v61, v51, s[0:3], 0 offen offset:4
	ds_read_b128 v[54:57], v50
	v_add_nc_u32_e32 v49, 1, v49
	v_add_nc_u32_e32 v50, 16, v50
	;; [unrolled: 1-line block ×3, first 2 shown]
	v_cmp_lt_u32_e32 vcc_lo, 12, v49
	s_or_b32 s5, vcc_lo, s5
	s_waitcnt vmcnt(2) lgkmcnt(0)
	v_mul_f64 v[62:63], v[56:57], v[58:59]
	v_mul_f64 v[58:59], v[54:55], v[58:59]
	s_waitcnt vmcnt(0)
	v_fma_f64 v[54:55], v[54:55], v[60:61], -v[62:63]
	v_fma_f64 v[56:57], v[56:57], v[60:61], v[58:59]
	v_add_f64 v[3:4], v[3:4], v[54:55]
	v_add_f64 v[1:2], v[1:2], v[56:57]
	s_andn2_b32 exec_lo, exec_lo, s5
	s_cbranch_execnz .LBB20_69
; %bb.70:
	s_or_b32 exec_lo, exec_lo, s5
	v_mov_b32_e32 v49, 0
	ds_read_b128 v[49:52], v49 offset:224
	s_waitcnt lgkmcnt(0)
	v_mul_f64 v[54:55], v[1:2], v[51:52]
	v_mul_f64 v[51:52], v[3:4], v[51:52]
	v_fma_f64 v[3:4], v[3:4], v[49:50], -v[54:55]
	v_fma_f64 v[1:2], v[1:2], v[49:50], v[51:52]
	buffer_store_dword v4, off, s[0:3], 0 offset:244
	buffer_store_dword v3, off, s[0:3], 0 offset:240
	;; [unrolled: 1-line block ×4, first 2 shown]
.LBB20_71:
	s_or_b32 exec_lo, exec_lo, s4
	v_mov_b32_e32 v4, s15
	s_waitcnt_vscnt null, 0x0
	s_barrier
	buffer_gl0_inv
	s_mov_b32 s4, exec_lo
	s_clause 0x3
	buffer_load_dword v1, v4, s[0:3], 0 offen
	buffer_load_dword v2, v4, s[0:3], 0 offen offset:4
	buffer_load_dword v3, v4, s[0:3], 0 offen offset:8
	;; [unrolled: 1-line block ×3, first 2 shown]
	s_waitcnt vmcnt(0)
	ds_write_b128 v47, v[1:4]
	s_waitcnt lgkmcnt(0)
	s_barrier
	buffer_gl0_inv
	v_cmpx_gt_u32_e32 15, v0
	s_cbranch_execz .LBB20_75
; %bb.72:
	v_mov_b32_e32 v1, 0
	v_mov_b32_e32 v3, 0
	v_add_nc_u32_e32 v49, -1, v0
	v_add_nc_u32_e32 v50, 0x150, v53
	v_mov_b32_e32 v2, 0
	v_mov_b32_e32 v4, 0
	v_add_nc_u32_e32 v51, 16, v53
	s_mov_b32 s5, 0
	.p2align	6
.LBB20_73:                              ; =>This Inner Loop Header: Depth=1
	s_clause 0x3
	buffer_load_dword v58, v51, s[0:3], 0 offen offset:8
	buffer_load_dword v59, v51, s[0:3], 0 offen offset:12
	buffer_load_dword v60, v51, s[0:3], 0 offen
	buffer_load_dword v61, v51, s[0:3], 0 offen offset:4
	ds_read_b128 v[54:57], v50
	v_add_nc_u32_e32 v49, 1, v49
	v_add_nc_u32_e32 v50, 16, v50
	;; [unrolled: 1-line block ×3, first 2 shown]
	v_cmp_lt_u32_e32 vcc_lo, 13, v49
	s_or_b32 s5, vcc_lo, s5
	s_waitcnt vmcnt(2) lgkmcnt(0)
	v_mul_f64 v[62:63], v[56:57], v[58:59]
	v_mul_f64 v[58:59], v[54:55], v[58:59]
	s_waitcnt vmcnt(0)
	v_fma_f64 v[54:55], v[54:55], v[60:61], -v[62:63]
	v_fma_f64 v[56:57], v[56:57], v[60:61], v[58:59]
	v_add_f64 v[3:4], v[3:4], v[54:55]
	v_add_f64 v[1:2], v[1:2], v[56:57]
	s_andn2_b32 exec_lo, exec_lo, s5
	s_cbranch_execnz .LBB20_73
; %bb.74:
	s_or_b32 exec_lo, exec_lo, s5
	v_mov_b32_e32 v49, 0
	ds_read_b128 v[49:52], v49 offset:240
	s_waitcnt lgkmcnt(0)
	v_mul_f64 v[54:55], v[1:2], v[51:52]
	v_mul_f64 v[51:52], v[3:4], v[51:52]
	v_fma_f64 v[3:4], v[3:4], v[49:50], -v[54:55]
	v_fma_f64 v[1:2], v[1:2], v[49:50], v[51:52]
	buffer_store_dword v4, off, s[0:3], 0 offset:260
	buffer_store_dword v3, off, s[0:3], 0 offset:256
	;; [unrolled: 1-line block ×4, first 2 shown]
.LBB20_75:
	s_or_b32 exec_lo, exec_lo, s4
	v_mov_b32_e32 v4, s14
	s_waitcnt_vscnt null, 0x0
	s_barrier
	buffer_gl0_inv
	s_mov_b32 s4, exec_lo
	s_clause 0x3
	buffer_load_dword v1, v4, s[0:3], 0 offen
	buffer_load_dword v2, v4, s[0:3], 0 offen offset:4
	buffer_load_dword v3, v4, s[0:3], 0 offen offset:8
	;; [unrolled: 1-line block ×3, first 2 shown]
	s_waitcnt vmcnt(0)
	ds_write_b128 v47, v[1:4]
	s_waitcnt lgkmcnt(0)
	s_barrier
	buffer_gl0_inv
	v_cmpx_gt_u32_e32 16, v0
	s_cbranch_execz .LBB20_79
; %bb.76:
	v_mov_b32_e32 v1, 0
	v_mov_b32_e32 v3, 0
	v_add_nc_u32_e32 v49, -1, v0
	v_add_nc_u32_e32 v50, 0x150, v53
	v_mov_b32_e32 v2, 0
	v_mov_b32_e32 v4, 0
	v_add_nc_u32_e32 v51, 16, v53
	s_mov_b32 s5, 0
	.p2align	6
.LBB20_77:                              ; =>This Inner Loop Header: Depth=1
	s_clause 0x3
	buffer_load_dword v58, v51, s[0:3], 0 offen offset:8
	buffer_load_dword v59, v51, s[0:3], 0 offen offset:12
	buffer_load_dword v60, v51, s[0:3], 0 offen
	buffer_load_dword v61, v51, s[0:3], 0 offen offset:4
	ds_read_b128 v[54:57], v50
	v_add_nc_u32_e32 v49, 1, v49
	v_add_nc_u32_e32 v50, 16, v50
	;; [unrolled: 1-line block ×3, first 2 shown]
	v_cmp_lt_u32_e32 vcc_lo, 14, v49
	s_or_b32 s5, vcc_lo, s5
	s_waitcnt vmcnt(2) lgkmcnt(0)
	v_mul_f64 v[62:63], v[56:57], v[58:59]
	v_mul_f64 v[58:59], v[54:55], v[58:59]
	s_waitcnt vmcnt(0)
	v_fma_f64 v[54:55], v[54:55], v[60:61], -v[62:63]
	v_fma_f64 v[56:57], v[56:57], v[60:61], v[58:59]
	v_add_f64 v[3:4], v[3:4], v[54:55]
	v_add_f64 v[1:2], v[1:2], v[56:57]
	s_andn2_b32 exec_lo, exec_lo, s5
	s_cbranch_execnz .LBB20_77
; %bb.78:
	s_or_b32 exec_lo, exec_lo, s5
	v_mov_b32_e32 v49, 0
	ds_read_b128 v[49:52], v49 offset:256
	s_waitcnt lgkmcnt(0)
	v_mul_f64 v[54:55], v[1:2], v[51:52]
	v_mul_f64 v[51:52], v[3:4], v[51:52]
	v_fma_f64 v[3:4], v[3:4], v[49:50], -v[54:55]
	v_fma_f64 v[1:2], v[1:2], v[49:50], v[51:52]
	buffer_store_dword v4, off, s[0:3], 0 offset:276
	buffer_store_dword v3, off, s[0:3], 0 offset:272
	;; [unrolled: 1-line block ×4, first 2 shown]
.LBB20_79:
	s_or_b32 exec_lo, exec_lo, s4
	v_mov_b32_e32 v4, s13
	s_waitcnt_vscnt null, 0x0
	s_barrier
	buffer_gl0_inv
	s_mov_b32 s4, exec_lo
	s_clause 0x3
	buffer_load_dword v1, v4, s[0:3], 0 offen
	buffer_load_dword v2, v4, s[0:3], 0 offen offset:4
	buffer_load_dword v3, v4, s[0:3], 0 offen offset:8
	;; [unrolled: 1-line block ×3, first 2 shown]
	s_waitcnt vmcnt(0)
	ds_write_b128 v47, v[1:4]
	s_waitcnt lgkmcnt(0)
	s_barrier
	buffer_gl0_inv
	v_cmpx_gt_u32_e32 17, v0
	s_cbranch_execz .LBB20_83
; %bb.80:
	v_mov_b32_e32 v1, 0
	v_mov_b32_e32 v3, 0
	v_add_nc_u32_e32 v49, -1, v0
	v_add_nc_u32_e32 v50, 0x150, v53
	v_mov_b32_e32 v2, 0
	v_mov_b32_e32 v4, 0
	v_add_nc_u32_e32 v51, 16, v53
	s_mov_b32 s5, 0
	.p2align	6
.LBB20_81:                              ; =>This Inner Loop Header: Depth=1
	s_clause 0x3
	buffer_load_dword v58, v51, s[0:3], 0 offen offset:8
	buffer_load_dword v59, v51, s[0:3], 0 offen offset:12
	buffer_load_dword v60, v51, s[0:3], 0 offen
	buffer_load_dword v61, v51, s[0:3], 0 offen offset:4
	ds_read_b128 v[54:57], v50
	v_add_nc_u32_e32 v49, 1, v49
	v_add_nc_u32_e32 v50, 16, v50
	;; [unrolled: 1-line block ×3, first 2 shown]
	v_cmp_lt_u32_e32 vcc_lo, 15, v49
	s_or_b32 s5, vcc_lo, s5
	s_waitcnt vmcnt(2) lgkmcnt(0)
	v_mul_f64 v[62:63], v[56:57], v[58:59]
	v_mul_f64 v[58:59], v[54:55], v[58:59]
	s_waitcnt vmcnt(0)
	v_fma_f64 v[54:55], v[54:55], v[60:61], -v[62:63]
	v_fma_f64 v[56:57], v[56:57], v[60:61], v[58:59]
	v_add_f64 v[3:4], v[3:4], v[54:55]
	v_add_f64 v[1:2], v[1:2], v[56:57]
	s_andn2_b32 exec_lo, exec_lo, s5
	s_cbranch_execnz .LBB20_81
; %bb.82:
	s_or_b32 exec_lo, exec_lo, s5
	v_mov_b32_e32 v49, 0
	ds_read_b128 v[49:52], v49 offset:272
	s_waitcnt lgkmcnt(0)
	v_mul_f64 v[54:55], v[1:2], v[51:52]
	v_mul_f64 v[51:52], v[3:4], v[51:52]
	v_fma_f64 v[3:4], v[3:4], v[49:50], -v[54:55]
	v_fma_f64 v[1:2], v[1:2], v[49:50], v[51:52]
	buffer_store_dword v4, off, s[0:3], 0 offset:292
	buffer_store_dword v3, off, s[0:3], 0 offset:288
	;; [unrolled: 1-line block ×4, first 2 shown]
.LBB20_83:
	s_or_b32 exec_lo, exec_lo, s4
	v_mov_b32_e32 v4, s12
	s_waitcnt_vscnt null, 0x0
	s_barrier
	buffer_gl0_inv
	s_mov_b32 s4, exec_lo
	s_clause 0x3
	buffer_load_dword v1, v4, s[0:3], 0 offen
	buffer_load_dword v2, v4, s[0:3], 0 offen offset:4
	buffer_load_dword v3, v4, s[0:3], 0 offen offset:8
	;; [unrolled: 1-line block ×3, first 2 shown]
	s_waitcnt vmcnt(0)
	ds_write_b128 v47, v[1:4]
	s_waitcnt lgkmcnt(0)
	s_barrier
	buffer_gl0_inv
	v_cmpx_gt_u32_e32 18, v0
	s_cbranch_execz .LBB20_87
; %bb.84:
	v_mov_b32_e32 v1, 0
	v_mov_b32_e32 v3, 0
	v_add_nc_u32_e32 v49, -1, v0
	v_add_nc_u32_e32 v50, 0x150, v53
	v_mov_b32_e32 v2, 0
	v_mov_b32_e32 v4, 0
	v_add_nc_u32_e32 v51, 16, v53
	s_mov_b32 s5, 0
	.p2align	6
.LBB20_85:                              ; =>This Inner Loop Header: Depth=1
	s_clause 0x3
	buffer_load_dword v58, v51, s[0:3], 0 offen offset:8
	buffer_load_dword v59, v51, s[0:3], 0 offen offset:12
	buffer_load_dword v60, v51, s[0:3], 0 offen
	buffer_load_dword v61, v51, s[0:3], 0 offen offset:4
	ds_read_b128 v[54:57], v50
	v_add_nc_u32_e32 v49, 1, v49
	v_add_nc_u32_e32 v50, 16, v50
	;; [unrolled: 1-line block ×3, first 2 shown]
	v_cmp_lt_u32_e32 vcc_lo, 16, v49
	s_or_b32 s5, vcc_lo, s5
	s_waitcnt vmcnt(2) lgkmcnt(0)
	v_mul_f64 v[62:63], v[56:57], v[58:59]
	v_mul_f64 v[58:59], v[54:55], v[58:59]
	s_waitcnt vmcnt(0)
	v_fma_f64 v[54:55], v[54:55], v[60:61], -v[62:63]
	v_fma_f64 v[56:57], v[56:57], v[60:61], v[58:59]
	v_add_f64 v[3:4], v[3:4], v[54:55]
	v_add_f64 v[1:2], v[1:2], v[56:57]
	s_andn2_b32 exec_lo, exec_lo, s5
	s_cbranch_execnz .LBB20_85
; %bb.86:
	s_or_b32 exec_lo, exec_lo, s5
	v_mov_b32_e32 v49, 0
	ds_read_b128 v[49:52], v49 offset:288
	s_waitcnt lgkmcnt(0)
	v_mul_f64 v[54:55], v[1:2], v[51:52]
	v_mul_f64 v[51:52], v[3:4], v[51:52]
	v_fma_f64 v[3:4], v[3:4], v[49:50], -v[54:55]
	v_fma_f64 v[1:2], v[1:2], v[49:50], v[51:52]
	buffer_store_dword v4, off, s[0:3], 0 offset:308
	buffer_store_dword v3, off, s[0:3], 0 offset:304
	;; [unrolled: 1-line block ×4, first 2 shown]
.LBB20_87:
	s_or_b32 exec_lo, exec_lo, s4
	v_mov_b32_e32 v4, s9
	s_waitcnt_vscnt null, 0x0
	s_barrier
	buffer_gl0_inv
	s_mov_b32 s4, exec_lo
	s_clause 0x3
	buffer_load_dword v1, v4, s[0:3], 0 offen
	buffer_load_dword v2, v4, s[0:3], 0 offen offset:4
	buffer_load_dword v3, v4, s[0:3], 0 offen offset:8
	;; [unrolled: 1-line block ×3, first 2 shown]
	s_waitcnt vmcnt(0)
	ds_write_b128 v47, v[1:4]
	s_waitcnt lgkmcnt(0)
	s_barrier
	buffer_gl0_inv
	v_cmpx_gt_u32_e32 19, v0
	s_cbranch_execz .LBB20_91
; %bb.88:
	v_mov_b32_e32 v1, 0
	v_mov_b32_e32 v3, 0
	v_add_nc_u32_e32 v49, -1, v0
	v_add_nc_u32_e32 v50, 0x150, v53
	v_mov_b32_e32 v2, 0
	v_mov_b32_e32 v4, 0
	v_add_nc_u32_e32 v51, 16, v53
	s_mov_b32 s5, 0
	.p2align	6
.LBB20_89:                              ; =>This Inner Loop Header: Depth=1
	s_clause 0x3
	buffer_load_dword v58, v51, s[0:3], 0 offen offset:8
	buffer_load_dword v59, v51, s[0:3], 0 offen offset:12
	buffer_load_dword v60, v51, s[0:3], 0 offen
	buffer_load_dword v61, v51, s[0:3], 0 offen offset:4
	ds_read_b128 v[54:57], v50
	v_add_nc_u32_e32 v49, 1, v49
	v_add_nc_u32_e32 v50, 16, v50
	;; [unrolled: 1-line block ×3, first 2 shown]
	v_cmp_lt_u32_e32 vcc_lo, 17, v49
	s_or_b32 s5, vcc_lo, s5
	s_waitcnt vmcnt(2) lgkmcnt(0)
	v_mul_f64 v[62:63], v[56:57], v[58:59]
	v_mul_f64 v[58:59], v[54:55], v[58:59]
	s_waitcnt vmcnt(0)
	v_fma_f64 v[54:55], v[54:55], v[60:61], -v[62:63]
	v_fma_f64 v[56:57], v[56:57], v[60:61], v[58:59]
	v_add_f64 v[3:4], v[3:4], v[54:55]
	v_add_f64 v[1:2], v[1:2], v[56:57]
	s_andn2_b32 exec_lo, exec_lo, s5
	s_cbranch_execnz .LBB20_89
; %bb.90:
	s_or_b32 exec_lo, exec_lo, s5
	v_mov_b32_e32 v49, 0
	ds_read_b128 v[49:52], v49 offset:304
	s_waitcnt lgkmcnt(0)
	v_mul_f64 v[54:55], v[1:2], v[51:52]
	v_mul_f64 v[51:52], v[3:4], v[51:52]
	v_fma_f64 v[3:4], v[3:4], v[49:50], -v[54:55]
	v_fma_f64 v[1:2], v[1:2], v[49:50], v[51:52]
	buffer_store_dword v4, off, s[0:3], 0 offset:324
	buffer_store_dword v3, off, s[0:3], 0 offset:320
	;; [unrolled: 1-line block ×4, first 2 shown]
.LBB20_91:
	s_or_b32 exec_lo, exec_lo, s4
	v_mov_b32_e32 v4, s8
	s_waitcnt_vscnt null, 0x0
	s_barrier
	buffer_gl0_inv
	s_mov_b32 s4, exec_lo
	s_clause 0x3
	buffer_load_dword v1, v4, s[0:3], 0 offen
	buffer_load_dword v2, v4, s[0:3], 0 offen offset:4
	buffer_load_dword v3, v4, s[0:3], 0 offen offset:8
	;; [unrolled: 1-line block ×3, first 2 shown]
	s_waitcnt vmcnt(0)
	ds_write_b128 v47, v[1:4]
	s_waitcnt lgkmcnt(0)
	s_barrier
	buffer_gl0_inv
	v_cmpx_ne_u32_e32 20, v0
	s_cbranch_execz .LBB20_95
; %bb.92:
	v_mov_b32_e32 v1, 0
	v_mov_b32_e32 v3, 0
	;; [unrolled: 1-line block ×4, first 2 shown]
	v_add_nc_u32_e32 v49, 16, v53
	s_mov_b32 s5, 0
	.p2align	6
.LBB20_93:                              ; =>This Inner Loop Header: Depth=1
	s_clause 0x3
	buffer_load_dword v54, v49, s[0:3], 0 offen offset:8
	buffer_load_dword v55, v49, s[0:3], 0 offen offset:12
	buffer_load_dword v56, v49, s[0:3], 0 offen
	buffer_load_dword v57, v49, s[0:3], 0 offen offset:4
	ds_read_b128 v[50:53], v47
	v_add_nc_u32_e32 v48, 1, v48
	v_add_nc_u32_e32 v47, 16, v47
	;; [unrolled: 1-line block ×3, first 2 shown]
	v_cmp_lt_u32_e32 vcc_lo, 18, v48
	s_or_b32 s5, vcc_lo, s5
	s_waitcnt vmcnt(2) lgkmcnt(0)
	v_mul_f64 v[58:59], v[52:53], v[54:55]
	v_mul_f64 v[54:55], v[50:51], v[54:55]
	s_waitcnt vmcnt(0)
	v_fma_f64 v[50:51], v[50:51], v[56:57], -v[58:59]
	v_fma_f64 v[52:53], v[52:53], v[56:57], v[54:55]
	v_add_f64 v[3:4], v[3:4], v[50:51]
	v_add_f64 v[1:2], v[1:2], v[52:53]
	s_andn2_b32 exec_lo, exec_lo, s5
	s_cbranch_execnz .LBB20_93
; %bb.94:
	s_or_b32 exec_lo, exec_lo, s5
	v_mov_b32_e32 v47, 0
	ds_read_b128 v[47:50], v47 offset:320
	s_waitcnt lgkmcnt(0)
	v_mul_f64 v[51:52], v[1:2], v[49:50]
	v_mul_f64 v[49:50], v[3:4], v[49:50]
	v_fma_f64 v[3:4], v[3:4], v[47:48], -v[51:52]
	v_fma_f64 v[1:2], v[1:2], v[47:48], v[49:50]
	buffer_store_dword v4, off, s[0:3], 0 offset:340
	buffer_store_dword v3, off, s[0:3], 0 offset:336
	;; [unrolled: 1-line block ×4, first 2 shown]
.LBB20_95:
	s_or_b32 exec_lo, exec_lo, s4
	s_mov_b32 s5, -1
	s_waitcnt_vscnt null, 0x0
	s_barrier
	buffer_gl0_inv
.LBB20_96:
	s_and_b32 vcc_lo, exec_lo, s5
	s_cbranch_vccz .LBB20_98
; %bb.97:
	s_lshl_b64 s[4:5], s[6:7], 2
	v_mov_b32_e32 v1, 0
	s_add_u32 s4, s10, s4
	s_addc_u32 s5, s11, s5
	global_load_dword v1, v1, s[4:5]
	s_waitcnt vmcnt(0)
	v_cmp_ne_u32_e32 vcc_lo, 0, v1
	s_cbranch_vccz .LBB20_99
.LBB20_98:
	s_endpgm
.LBB20_99:
	v_lshl_add_u32 v1, v0, 4, 0x150
	s_mov_b32 s4, exec_lo
	v_cmpx_eq_u32_e32 20, v0
	s_cbranch_execz .LBB20_101
; %bb.100:
	v_mov_b32_e32 v2, s9
	s_clause 0x3
	buffer_load_dword v47, v2, s[0:3], 0 offen
	buffer_load_dword v48, v2, s[0:3], 0 offen offset:4
	buffer_load_dword v49, v2, s[0:3], 0 offen offset:8
	;; [unrolled: 1-line block ×3, first 2 shown]
	v_mov_b32_e32 v2, 0
	buffer_store_dword v2, off, s[0:3], 0 offset:320
	buffer_store_dword v2, off, s[0:3], 0 offset:324
	;; [unrolled: 1-line block ×4, first 2 shown]
	s_waitcnt vmcnt(0)
	ds_write_b128 v1, v[47:50]
.LBB20_101:
	s_or_b32 exec_lo, exec_lo, s4
	s_waitcnt lgkmcnt(0)
	s_waitcnt_vscnt null, 0x0
	s_barrier
	buffer_gl0_inv
	s_clause 0x7
	buffer_load_dword v3, off, s[0:3], 0 offset:344
	buffer_load_dword v4, off, s[0:3], 0 offset:348
	;; [unrolled: 1-line block ×8, first 2 shown]
	v_mov_b32_e32 v2, 0
	s_mov_b32 s4, exec_lo
	ds_read_b128 v[47:50], v2 offset:656
	s_waitcnt vmcnt(6) lgkmcnt(0)
	v_mul_f64 v[57:58], v[49:50], v[3:4]
	v_mul_f64 v[3:4], v[47:48], v[3:4]
	s_waitcnt vmcnt(4)
	v_fma_f64 v[47:48], v[47:48], v[51:52], -v[57:58]
	v_fma_f64 v[3:4], v[49:50], v[51:52], v[3:4]
	v_add_f64 v[47:48], v[47:48], 0
	v_add_f64 v[3:4], v[3:4], 0
	s_waitcnt vmcnt(2)
	v_add_f64 v[47:48], v[53:54], -v[47:48]
	s_waitcnt vmcnt(0)
	v_add_f64 v[3:4], v[55:56], -v[3:4]
	buffer_store_dword v47, off, s[0:3], 0 offset:320
	buffer_store_dword v48, off, s[0:3], 0 offset:324
	;; [unrolled: 1-line block ×4, first 2 shown]
	v_cmpx_lt_u32_e32 18, v0
	s_cbranch_execz .LBB20_103
; %bb.102:
	v_mov_b32_e32 v3, s12
	s_clause 0x3
	buffer_load_dword v47, v3, s[0:3], 0 offen
	buffer_load_dword v48, v3, s[0:3], 0 offen offset:4
	buffer_load_dword v49, v3, s[0:3], 0 offen offset:8
	;; [unrolled: 1-line block ×3, first 2 shown]
	buffer_store_dword v2, off, s[0:3], 0 offset:304
	buffer_store_dword v2, off, s[0:3], 0 offset:308
	;; [unrolled: 1-line block ×4, first 2 shown]
	s_waitcnt vmcnt(0)
	ds_write_b128 v1, v[47:50]
.LBB20_103:
	s_or_b32 exec_lo, exec_lo, s4
	s_waitcnt lgkmcnt(0)
	s_waitcnt_vscnt null, 0x0
	s_barrier
	buffer_gl0_inv
	s_clause 0xb
	buffer_load_dword v3, off, s[0:3], 0 offset:328
	buffer_load_dword v4, off, s[0:3], 0 offset:332
	;; [unrolled: 1-line block ×12, first 2 shown]
	ds_read_b128 v[47:50], v2 offset:640
	ds_read_b128 v[51:54], v2 offset:656
	s_mov_b32 s4, exec_lo
	s_waitcnt vmcnt(10) lgkmcnt(1)
	v_mul_f64 v[65:66], v[49:50], v[3:4]
	v_mul_f64 v[2:3], v[47:48], v[3:4]
	s_waitcnt vmcnt(8) lgkmcnt(0)
	v_mul_f64 v[67:68], v[53:54], v[55:56]
	v_mul_f64 v[55:56], v[51:52], v[55:56]
	s_waitcnt vmcnt(6)
	v_fma_f64 v[47:48], v[47:48], v[57:58], -v[65:66]
	v_fma_f64 v[2:3], v[49:50], v[57:58], v[2:3]
	s_waitcnt vmcnt(4)
	v_fma_f64 v[49:50], v[51:52], v[59:60], -v[67:68]
	v_fma_f64 v[51:52], v[53:54], v[59:60], v[55:56]
	v_add_f64 v[47:48], v[47:48], 0
	v_add_f64 v[2:3], v[2:3], 0
	;; [unrolled: 1-line block ×4, first 2 shown]
	s_waitcnt vmcnt(2)
	v_add_f64 v[47:48], v[61:62], -v[47:48]
	s_waitcnt vmcnt(0)
	v_add_f64 v[2:3], v[63:64], -v[2:3]
	buffer_store_dword v47, off, s[0:3], 0 offset:304
	buffer_store_dword v48, off, s[0:3], 0 offset:308
	;; [unrolled: 1-line block ×4, first 2 shown]
	v_cmpx_lt_u32_e32 17, v0
	s_cbranch_execz .LBB20_105
; %bb.104:
	v_mov_b32_e32 v2, s13
	s_clause 0x3
	buffer_load_dword v47, v2, s[0:3], 0 offen
	buffer_load_dword v48, v2, s[0:3], 0 offen offset:4
	buffer_load_dword v49, v2, s[0:3], 0 offen offset:8
	;; [unrolled: 1-line block ×3, first 2 shown]
	v_mov_b32_e32 v2, 0
	buffer_store_dword v2, off, s[0:3], 0 offset:288
	buffer_store_dword v2, off, s[0:3], 0 offset:292
	;; [unrolled: 1-line block ×4, first 2 shown]
	s_waitcnt vmcnt(0)
	ds_write_b128 v1, v[47:50]
.LBB20_105:
	s_or_b32 exec_lo, exec_lo, s4
	s_waitcnt lgkmcnt(0)
	s_waitcnt_vscnt null, 0x0
	s_barrier
	buffer_gl0_inv
	s_clause 0xf
	buffer_load_dword v3, off, s[0:3], 0 offset:312
	buffer_load_dword v4, off, s[0:3], 0 offset:316
	;; [unrolled: 1-line block ×16, first 2 shown]
	v_mov_b32_e32 v2, 0
	ds_read_b128 v[47:50], v2 offset:624
	ds_read_b128 v[51:54], v2 offset:640
	;; [unrolled: 1-line block ×3, first 2 shown]
	s_mov_b32 s4, exec_lo
	s_waitcnt vmcnt(14) lgkmcnt(2)
	v_mul_f64 v[73:74], v[49:50], v[3:4]
	v_mul_f64 v[3:4], v[47:48], v[3:4]
	s_waitcnt vmcnt(12) lgkmcnt(1)
	v_mul_f64 v[75:76], v[53:54], v[59:60]
	v_mul_f64 v[59:60], v[51:52], v[59:60]
	s_waitcnt vmcnt(10)
	v_fma_f64 v[47:48], v[47:48], v[61:62], -v[73:74]
	v_fma_f64 v[3:4], v[49:50], v[61:62], v[3:4]
	s_waitcnt vmcnt(8) lgkmcnt(0)
	v_mul_f64 v[61:62], v[57:58], v[63:64]
	s_waitcnt vmcnt(6)
	v_fma_f64 v[51:52], v[51:52], v[65:66], -v[75:76]
	v_mul_f64 v[49:50], v[55:56], v[63:64]
	v_fma_f64 v[53:54], v[53:54], v[65:66], v[59:60]
	v_add_f64 v[47:48], v[47:48], 0
	v_add_f64 v[3:4], v[3:4], 0
	s_waitcnt vmcnt(4)
	v_fma_f64 v[55:56], v[55:56], v[67:68], -v[61:62]
	v_fma_f64 v[49:50], v[57:58], v[67:68], v[49:50]
	v_add_f64 v[47:48], v[47:48], v[51:52]
	v_add_f64 v[3:4], v[3:4], v[53:54]
	;; [unrolled: 1-line block ×4, first 2 shown]
	s_waitcnt vmcnt(2)
	v_add_f64 v[47:48], v[69:70], -v[47:48]
	s_waitcnt vmcnt(0)
	v_add_f64 v[3:4], v[71:72], -v[3:4]
	buffer_store_dword v47, off, s[0:3], 0 offset:288
	buffer_store_dword v48, off, s[0:3], 0 offset:292
	;; [unrolled: 1-line block ×4, first 2 shown]
	v_cmpx_lt_u32_e32 16, v0
	s_cbranch_execz .LBB20_107
; %bb.106:
	v_mov_b32_e32 v3, s14
	s_clause 0x3
	buffer_load_dword v47, v3, s[0:3], 0 offen
	buffer_load_dword v48, v3, s[0:3], 0 offen offset:4
	buffer_load_dword v49, v3, s[0:3], 0 offen offset:8
	;; [unrolled: 1-line block ×3, first 2 shown]
	buffer_store_dword v2, off, s[0:3], 0 offset:272
	buffer_store_dword v2, off, s[0:3], 0 offset:276
	buffer_store_dword v2, off, s[0:3], 0 offset:280
	buffer_store_dword v2, off, s[0:3], 0 offset:284
	s_waitcnt vmcnt(0)
	ds_write_b128 v1, v[47:50]
.LBB20_107:
	s_or_b32 exec_lo, exec_lo, s4
	s_waitcnt lgkmcnt(0)
	s_waitcnt_vscnt null, 0x0
	s_barrier
	buffer_gl0_inv
	s_clause 0x13
	buffer_load_dword v3, off, s[0:3], 0 offset:296
	buffer_load_dword v4, off, s[0:3], 0 offset:300
	buffer_load_dword v59, off, s[0:3], 0 offset:312
	buffer_load_dword v60, off, s[0:3], 0 offset:316
	buffer_load_dword v61, off, s[0:3], 0 offset:288
	buffer_load_dword v62, off, s[0:3], 0 offset:292
	buffer_load_dword v63, off, s[0:3], 0 offset:328
	buffer_load_dword v64, off, s[0:3], 0 offset:332
	buffer_load_dword v65, off, s[0:3], 0 offset:304
	buffer_load_dword v66, off, s[0:3], 0 offset:308
	buffer_load_dword v68, off, s[0:3], 0 offset:348
	buffer_load_dword v67, off, s[0:3], 0 offset:344
	buffer_load_dword v69, off, s[0:3], 0 offset:320
	buffer_load_dword v70, off, s[0:3], 0 offset:324
	buffer_load_dword v72, off, s[0:3], 0 offset:340
	buffer_load_dword v71, off, s[0:3], 0 offset:336
	buffer_load_dword v73, off, s[0:3], 0 offset:272
	buffer_load_dword v74, off, s[0:3], 0 offset:276
	buffer_load_dword v75, off, s[0:3], 0 offset:280
	buffer_load_dword v76, off, s[0:3], 0 offset:284
	ds_read_b128 v[47:50], v2 offset:608
	ds_read_b128 v[51:54], v2 offset:624
	;; [unrolled: 1-line block ×3, first 2 shown]
	s_mov_b32 s4, exec_lo
	s_waitcnt vmcnt(18) lgkmcnt(2)
	v_mul_f64 v[77:78], v[49:50], v[3:4]
	v_mul_f64 v[3:4], v[47:48], v[3:4]
	s_waitcnt vmcnt(16) lgkmcnt(1)
	v_mul_f64 v[79:80], v[53:54], v[59:60]
	v_mul_f64 v[59:60], v[51:52], v[59:60]
	s_waitcnt vmcnt(14)
	v_fma_f64 v[77:78], v[47:48], v[61:62], -v[77:78]
	v_fma_f64 v[3:4], v[49:50], v[61:62], v[3:4]
	ds_read_b128 v[47:50], v2 offset:656
	s_waitcnt vmcnt(12) lgkmcnt(1)
	v_mul_f64 v[61:62], v[55:56], v[63:64]
	v_mul_f64 v[63:64], v[57:58], v[63:64]
	s_waitcnt vmcnt(10)
	v_fma_f64 v[51:52], v[51:52], v[65:66], -v[79:80]
	v_fma_f64 v[53:54], v[53:54], v[65:66], v[59:60]
	s_waitcnt vmcnt(8) lgkmcnt(0)
	v_mul_f64 v[65:66], v[49:50], v[67:68]
	v_add_f64 v[77:78], v[77:78], 0
	v_add_f64 v[2:3], v[3:4], 0
	v_mul_f64 v[59:60], v[47:48], v[67:68]
	s_waitcnt vmcnt(6)
	v_fma_f64 v[55:56], v[55:56], v[69:70], -v[63:64]
	v_fma_f64 v[57:58], v[57:58], v[69:70], v[61:62]
	s_waitcnt vmcnt(4)
	v_fma_f64 v[47:48], v[47:48], v[71:72], -v[65:66]
	v_add_f64 v[51:52], v[77:78], v[51:52]
	v_add_f64 v[2:3], v[2:3], v[53:54]
	v_fma_f64 v[49:50], v[49:50], v[71:72], v[59:60]
	v_add_f64 v[51:52], v[51:52], v[55:56]
	v_add_f64 v[2:3], v[2:3], v[57:58]
	;; [unrolled: 1-line block ×4, first 2 shown]
	s_waitcnt vmcnt(2)
	v_add_f64 v[47:48], v[73:74], -v[47:48]
	s_waitcnt vmcnt(0)
	v_add_f64 v[2:3], v[75:76], -v[2:3]
	buffer_store_dword v47, off, s[0:3], 0 offset:272
	buffer_store_dword v48, off, s[0:3], 0 offset:276
	buffer_store_dword v2, off, s[0:3], 0 offset:280
	buffer_store_dword v3, off, s[0:3], 0 offset:284
	v_cmpx_lt_u32_e32 15, v0
	s_cbranch_execz .LBB20_109
; %bb.108:
	v_mov_b32_e32 v2, s15
	s_clause 0x3
	buffer_load_dword v47, v2, s[0:3], 0 offen
	buffer_load_dword v48, v2, s[0:3], 0 offen offset:4
	buffer_load_dword v49, v2, s[0:3], 0 offen offset:8
	;; [unrolled: 1-line block ×3, first 2 shown]
	v_mov_b32_e32 v2, 0
	buffer_store_dword v2, off, s[0:3], 0 offset:256
	buffer_store_dword v2, off, s[0:3], 0 offset:260
	;; [unrolled: 1-line block ×4, first 2 shown]
	s_waitcnt vmcnt(0)
	ds_write_b128 v1, v[47:50]
.LBB20_109:
	s_or_b32 exec_lo, exec_lo, s4
	s_waitcnt lgkmcnt(0)
	s_waitcnt_vscnt null, 0x0
	s_barrier
	buffer_gl0_inv
	s_clause 0x17
	buffer_load_dword v3, off, s[0:3], 0 offset:280
	buffer_load_dword v4, off, s[0:3], 0 offset:284
	;; [unrolled: 1-line block ×24, first 2 shown]
	v_mov_b32_e32 v2, 0
	ds_read_b128 v[47:50], v2 offset:592
	ds_read_b128 v[51:54], v2 offset:608
	ds_read_b128 v[55:58], v2 offset:624
	s_mov_b32 s4, exec_lo
	s_waitcnt vmcnt(22) lgkmcnt(2)
	v_mul_f64 v[81:82], v[49:50], v[3:4]
	v_mul_f64 v[3:4], v[47:48], v[3:4]
	s_waitcnt vmcnt(20) lgkmcnt(1)
	v_mul_f64 v[83:84], v[53:54], v[59:60]
	v_mul_f64 v[59:60], v[51:52], v[59:60]
	s_waitcnt vmcnt(18)
	v_fma_f64 v[81:82], v[47:48], v[61:62], -v[81:82]
	v_fma_f64 v[3:4], v[49:50], v[61:62], v[3:4]
	ds_read_b128 v[47:50], v2 offset:640
	s_waitcnt vmcnt(16) lgkmcnt(1)
	v_mul_f64 v[61:62], v[55:56], v[63:64]
	v_mul_f64 v[63:64], v[57:58], v[63:64]
	s_waitcnt vmcnt(14)
	v_fma_f64 v[83:84], v[51:52], v[65:66], -v[83:84]
	v_fma_f64 v[59:60], v[53:54], v[65:66], v[59:60]
	ds_read_b128 v[51:54], v2 offset:656
	s_waitcnt vmcnt(10) lgkmcnt(1)
	v_mul_f64 v[65:66], v[47:48], v[67:68]
	v_add_f64 v[81:82], v[81:82], 0
	v_add_f64 v[3:4], v[3:4], 0
	v_mul_f64 v[67:68], v[49:50], v[67:68]
	s_waitcnt vmcnt(8)
	v_fma_f64 v[55:56], v[55:56], v[73:74], -v[63:64]
	v_fma_f64 v[57:58], v[57:58], v[73:74], v[61:62]
	s_waitcnt vmcnt(7) lgkmcnt(0)
	v_mul_f64 v[61:62], v[53:54], v[69:70]
	s_waitcnt vmcnt(5)
	v_fma_f64 v[49:50], v[49:50], v[75:76], v[65:66]
	v_add_f64 v[63:64], v[81:82], v[83:84]
	v_add_f64 v[3:4], v[3:4], v[59:60]
	v_fma_f64 v[47:48], v[47:48], v[75:76], -v[67:68]
	v_mul_f64 v[59:60], v[51:52], v[69:70]
	s_waitcnt vmcnt(4)
	v_fma_f64 v[51:52], v[51:52], v[71:72], -v[61:62]
	v_add_f64 v[55:56], v[63:64], v[55:56]
	v_add_f64 v[3:4], v[3:4], v[57:58]
	v_fma_f64 v[53:54], v[53:54], v[71:72], v[59:60]
	v_add_f64 v[47:48], v[55:56], v[47:48]
	v_add_f64 v[3:4], v[3:4], v[49:50]
	v_add_f64 v[47:48], v[47:48], v[51:52]
	v_add_f64 v[3:4], v[3:4], v[53:54]
	s_waitcnt vmcnt(2)
	v_add_f64 v[47:48], v[77:78], -v[47:48]
	s_waitcnt vmcnt(0)
	v_add_f64 v[3:4], v[79:80], -v[3:4]
	buffer_store_dword v48, off, s[0:3], 0 offset:260
	buffer_store_dword v47, off, s[0:3], 0 offset:256
	;; [unrolled: 1-line block ×4, first 2 shown]
	v_cmpx_lt_u32_e32 14, v0
	s_cbranch_execz .LBB20_111
; %bb.110:
	v_mov_b32_e32 v3, s16
	s_clause 0x3
	buffer_load_dword v47, v3, s[0:3], 0 offen
	buffer_load_dword v48, v3, s[0:3], 0 offen offset:4
	buffer_load_dword v49, v3, s[0:3], 0 offen offset:8
	;; [unrolled: 1-line block ×3, first 2 shown]
	buffer_store_dword v2, off, s[0:3], 0 offset:240
	buffer_store_dword v2, off, s[0:3], 0 offset:244
	;; [unrolled: 1-line block ×4, first 2 shown]
	s_waitcnt vmcnt(0)
	ds_write_b128 v1, v[47:50]
.LBB20_111:
	s_or_b32 exec_lo, exec_lo, s4
	s_waitcnt lgkmcnt(0)
	s_waitcnt_vscnt null, 0x0
	s_barrier
	buffer_gl0_inv
	s_clause 0x1b
	buffer_load_dword v3, off, s[0:3], 0 offset:264
	buffer_load_dword v4, off, s[0:3], 0 offset:268
	buffer_load_dword v59, off, s[0:3], 0 offset:280
	buffer_load_dword v60, off, s[0:3], 0 offset:284
	buffer_load_dword v61, off, s[0:3], 0 offset:256
	buffer_load_dword v62, off, s[0:3], 0 offset:260
	buffer_load_dword v63, off, s[0:3], 0 offset:296
	buffer_load_dword v64, off, s[0:3], 0 offset:300
	buffer_load_dword v65, off, s[0:3], 0 offset:272
	buffer_load_dword v66, off, s[0:3], 0 offset:276
	buffer_load_dword v68, off, s[0:3], 0 offset:316
	buffer_load_dword v69, off, s[0:3], 0 offset:328
	buffer_load_dword v71, off, s[0:3], 0 offset:320
	buffer_load_dword v67, off, s[0:3], 0 offset:312
	buffer_load_dword v73, off, s[0:3], 0 offset:288
	buffer_load_dword v74, off, s[0:3], 0 offset:292
	buffer_load_dword v70, off, s[0:3], 0 offset:332
	buffer_load_dword v76, off, s[0:3], 0 offset:308
	buffer_load_dword v75, off, s[0:3], 0 offset:304
	buffer_load_dword v78, off, s[0:3], 0 offset:348
	buffer_load_dword v77, off, s[0:3], 0 offset:344
	buffer_load_dword v72, off, s[0:3], 0 offset:324
	buffer_load_dword v80, off, s[0:3], 0 offset:340
	buffer_load_dword v79, off, s[0:3], 0 offset:336
	buffer_load_dword v81, off, s[0:3], 0 offset:240
	buffer_load_dword v82, off, s[0:3], 0 offset:244
	buffer_load_dword v83, off, s[0:3], 0 offset:248
	buffer_load_dword v84, off, s[0:3], 0 offset:252
	ds_read_b128 v[47:50], v2 offset:576
	ds_read_b128 v[51:54], v2 offset:592
	;; [unrolled: 1-line block ×3, first 2 shown]
	s_mov_b32 s4, exec_lo
	s_waitcnt vmcnt(26) lgkmcnt(2)
	v_mul_f64 v[85:86], v[49:50], v[3:4]
	v_mul_f64 v[3:4], v[47:48], v[3:4]
	s_waitcnt vmcnt(24) lgkmcnt(1)
	v_mul_f64 v[87:88], v[53:54], v[59:60]
	v_mul_f64 v[59:60], v[51:52], v[59:60]
	s_waitcnt vmcnt(22)
	v_fma_f64 v[85:86], v[47:48], v[61:62], -v[85:86]
	v_fma_f64 v[3:4], v[49:50], v[61:62], v[3:4]
	ds_read_b128 v[47:50], v2 offset:624
	s_waitcnt vmcnt(20) lgkmcnt(1)
	v_mul_f64 v[61:62], v[55:56], v[63:64]
	v_mul_f64 v[63:64], v[57:58], v[63:64]
	s_waitcnt vmcnt(18)
	v_fma_f64 v[87:88], v[51:52], v[65:66], -v[87:88]
	v_fma_f64 v[59:60], v[53:54], v[65:66], v[59:60]
	ds_read_b128 v[51:54], v2 offset:640
	s_waitcnt vmcnt(14) lgkmcnt(1)
	v_mul_f64 v[65:66], v[47:48], v[67:68]
	v_add_f64 v[85:86], v[85:86], 0
	v_add_f64 v[3:4], v[3:4], 0
	v_mul_f64 v[67:68], v[49:50], v[67:68]
	s_waitcnt vmcnt(12)
	v_fma_f64 v[63:64], v[55:56], v[73:74], -v[63:64]
	v_fma_f64 v[61:62], v[57:58], v[73:74], v[61:62]
	ds_read_b128 v[55:58], v2 offset:656
	s_waitcnt vmcnt(9)
	v_fma_f64 v[49:50], v[49:50], v[75:76], v[65:66]
	v_add_f64 v[85:86], v[85:86], v[87:88]
	v_add_f64 v[3:4], v[3:4], v[59:60]
	s_waitcnt lgkmcnt(1)
	v_mul_f64 v[59:60], v[51:52], v[69:70]
	v_mul_f64 v[69:70], v[53:54], v[69:70]
	v_fma_f64 v[47:48], v[47:48], v[75:76], -v[67:68]
	s_waitcnt vmcnt(7) lgkmcnt(0)
	v_mul_f64 v[65:66], v[57:58], v[77:78]
	v_add_f64 v[63:64], v[85:86], v[63:64]
	v_add_f64 v[2:3], v[3:4], v[61:62]
	v_mul_f64 v[61:62], v[55:56], v[77:78]
	s_waitcnt vmcnt(6)
	v_fma_f64 v[51:52], v[51:52], v[71:72], -v[69:70]
	v_fma_f64 v[53:54], v[53:54], v[71:72], v[59:60]
	v_add_f64 v[47:48], v[63:64], v[47:48]
	v_add_f64 v[2:3], v[2:3], v[49:50]
	s_waitcnt vmcnt(4)
	v_fma_f64 v[49:50], v[55:56], v[79:80], -v[65:66]
	v_add_f64 v[47:48], v[47:48], v[51:52]
	v_fma_f64 v[51:52], v[57:58], v[79:80], v[61:62]
	v_add_f64 v[2:3], v[2:3], v[53:54]
	v_add_f64 v[47:48], v[47:48], v[49:50]
	;; [unrolled: 1-line block ×3, first 2 shown]
	s_waitcnt vmcnt(2)
	v_add_f64 v[47:48], v[81:82], -v[47:48]
	s_waitcnt vmcnt(0)
	v_add_f64 v[2:3], v[83:84], -v[2:3]
	buffer_store_dword v48, off, s[0:3], 0 offset:244
	buffer_store_dword v47, off, s[0:3], 0 offset:240
	;; [unrolled: 1-line block ×4, first 2 shown]
	v_cmpx_lt_u32_e32 13, v0
	s_cbranch_execz .LBB20_113
; %bb.112:
	v_mov_b32_e32 v2, s17
	s_clause 0x3
	buffer_load_dword v47, v2, s[0:3], 0 offen
	buffer_load_dword v48, v2, s[0:3], 0 offen offset:4
	buffer_load_dword v49, v2, s[0:3], 0 offen offset:8
	;; [unrolled: 1-line block ×3, first 2 shown]
	v_mov_b32_e32 v2, 0
	buffer_store_dword v2, off, s[0:3], 0 offset:224
	buffer_store_dword v2, off, s[0:3], 0 offset:228
	;; [unrolled: 1-line block ×4, first 2 shown]
	s_waitcnt vmcnt(0)
	ds_write_b128 v1, v[47:50]
.LBB20_113:
	s_or_b32 exec_lo, exec_lo, s4
	s_waitcnt lgkmcnt(0)
	s_waitcnt_vscnt null, 0x0
	s_barrier
	buffer_gl0_inv
	s_clause 0x1f
	buffer_load_dword v3, off, s[0:3], 0 offset:248
	buffer_load_dword v4, off, s[0:3], 0 offset:252
	;; [unrolled: 1-line block ×32, first 2 shown]
	v_mov_b32_e32 v2, 0
	ds_read_b128 v[47:50], v2 offset:560
	ds_read_b128 v[51:54], v2 offset:576
	;; [unrolled: 1-line block ×3, first 2 shown]
	s_mov_b32 s4, exec_lo
	s_waitcnt vmcnt(30) lgkmcnt(2)
	v_mul_f64 v[89:90], v[49:50], v[3:4]
	v_mul_f64 v[3:4], v[47:48], v[3:4]
	s_waitcnt vmcnt(28) lgkmcnt(1)
	v_mul_f64 v[91:92], v[53:54], v[59:60]
	v_mul_f64 v[59:60], v[51:52], v[59:60]
	s_waitcnt vmcnt(26)
	v_fma_f64 v[89:90], v[47:48], v[61:62], -v[89:90]
	v_fma_f64 v[3:4], v[49:50], v[61:62], v[3:4]
	ds_read_b128 v[47:50], v2 offset:608
	s_waitcnt vmcnt(24) lgkmcnt(1)
	v_mul_f64 v[61:62], v[55:56], v[63:64]
	v_mul_f64 v[63:64], v[57:58], v[63:64]
	s_waitcnt vmcnt(22)
	v_fma_f64 v[91:92], v[51:52], v[65:66], -v[91:92]
	v_fma_f64 v[59:60], v[53:54], v[65:66], v[59:60]
	ds_read_b128 v[51:54], v2 offset:624
	s_waitcnt vmcnt(18) lgkmcnt(1)
	v_mul_f64 v[65:66], v[47:48], v[67:68]
	v_add_f64 v[89:90], v[89:90], 0
	v_add_f64 v[3:4], v[3:4], 0
	v_mul_f64 v[67:68], v[49:50], v[67:68]
	s_waitcnt vmcnt(16)
	v_fma_f64 v[63:64], v[55:56], v[73:74], -v[63:64]
	v_fma_f64 v[61:62], v[57:58], v[73:74], v[61:62]
	ds_read_b128 v[55:58], v2 offset:640
	s_waitcnt vmcnt(13)
	v_fma_f64 v[65:66], v[49:50], v[75:76], v[65:66]
	v_add_f64 v[89:90], v[89:90], v[91:92]
	v_add_f64 v[3:4], v[3:4], v[59:60]
	s_waitcnt lgkmcnt(1)
	v_mul_f64 v[59:60], v[51:52], v[69:70]
	v_mul_f64 v[69:70], v[53:54], v[69:70]
	v_fma_f64 v[67:68], v[47:48], v[75:76], -v[67:68]
	s_waitcnt vmcnt(9) lgkmcnt(0)
	v_mul_f64 v[73:74], v[57:58], v[77:78]
	ds_read_b128 v[47:50], v2 offset:656
	v_add_f64 v[63:64], v[89:90], v[63:64]
	v_add_f64 v[3:4], v[3:4], v[61:62]
	v_mul_f64 v[61:62], v[55:56], v[77:78]
	s_waitcnt vmcnt(8)
	v_fma_f64 v[51:52], v[51:52], v[71:72], -v[69:70]
	v_fma_f64 v[53:54], v[53:54], v[71:72], v[59:60]
	s_waitcnt vmcnt(5)
	v_fma_f64 v[55:56], v[55:56], v[83:84], -v[73:74]
	s_waitcnt lgkmcnt(0)
	v_mul_f64 v[59:60], v[47:48], v[79:80]
	v_add_f64 v[63:64], v[63:64], v[67:68]
	v_add_f64 v[3:4], v[3:4], v[65:66]
	v_mul_f64 v[65:66], v[49:50], v[79:80]
	v_fma_f64 v[57:58], v[57:58], v[83:84], v[61:62]
	s_waitcnt vmcnt(4)
	v_fma_f64 v[49:50], v[49:50], v[81:82], v[59:60]
	v_add_f64 v[51:52], v[63:64], v[51:52]
	v_add_f64 v[3:4], v[3:4], v[53:54]
	v_fma_f64 v[47:48], v[47:48], v[81:82], -v[65:66]
	v_add_f64 v[51:52], v[51:52], v[55:56]
	v_add_f64 v[3:4], v[3:4], v[57:58]
	;; [unrolled: 1-line block ×4, first 2 shown]
	s_waitcnt vmcnt(2)
	v_add_f64 v[47:48], v[85:86], -v[47:48]
	s_waitcnt vmcnt(0)
	v_add_f64 v[3:4], v[87:88], -v[3:4]
	buffer_store_dword v48, off, s[0:3], 0 offset:228
	buffer_store_dword v47, off, s[0:3], 0 offset:224
	;; [unrolled: 1-line block ×4, first 2 shown]
	v_cmpx_lt_u32_e32 12, v0
	s_cbranch_execz .LBB20_115
; %bb.114:
	v_mov_b32_e32 v3, s18
	s_clause 0x3
	buffer_load_dword v47, v3, s[0:3], 0 offen
	buffer_load_dword v48, v3, s[0:3], 0 offen offset:4
	buffer_load_dword v49, v3, s[0:3], 0 offen offset:8
	;; [unrolled: 1-line block ×3, first 2 shown]
	buffer_store_dword v2, off, s[0:3], 0 offset:208
	buffer_store_dword v2, off, s[0:3], 0 offset:212
	;; [unrolled: 1-line block ×4, first 2 shown]
	s_waitcnt vmcnt(0)
	ds_write_b128 v1, v[47:50]
.LBB20_115:
	s_or_b32 exec_lo, exec_lo, s4
	s_waitcnt lgkmcnt(0)
	s_waitcnt_vscnt null, 0x0
	s_barrier
	buffer_gl0_inv
	s_clause 0x23
	buffer_load_dword v3, off, s[0:3], 0 offset:232
	buffer_load_dword v4, off, s[0:3], 0 offset:236
	;; [unrolled: 1-line block ×36, first 2 shown]
	ds_read_b128 v[47:50], v2 offset:544
	ds_read_b128 v[51:54], v2 offset:560
	;; [unrolled: 1-line block ×3, first 2 shown]
	s_mov_b32 s4, exec_lo
	s_waitcnt vmcnt(34) lgkmcnt(2)
	v_mul_f64 v[93:94], v[49:50], v[3:4]
	v_mul_f64 v[3:4], v[47:48], v[3:4]
	s_waitcnt vmcnt(32) lgkmcnt(1)
	v_mul_f64 v[95:96], v[53:54], v[59:60]
	v_mul_f64 v[59:60], v[51:52], v[59:60]
	s_waitcnt vmcnt(30)
	v_fma_f64 v[93:94], v[47:48], v[61:62], -v[93:94]
	v_fma_f64 v[3:4], v[49:50], v[61:62], v[3:4]
	ds_read_b128 v[47:50], v2 offset:592
	s_waitcnt vmcnt(28) lgkmcnt(1)
	v_mul_f64 v[61:62], v[55:56], v[63:64]
	v_mul_f64 v[63:64], v[57:58], v[63:64]
	s_waitcnt vmcnt(26)
	v_fma_f64 v[95:96], v[51:52], v[65:66], -v[95:96]
	v_fma_f64 v[59:60], v[53:54], v[65:66], v[59:60]
	ds_read_b128 v[51:54], v2 offset:608
	s_waitcnt vmcnt(22) lgkmcnt(1)
	v_mul_f64 v[65:66], v[47:48], v[67:68]
	v_add_f64 v[93:94], v[93:94], 0
	v_add_f64 v[3:4], v[3:4], 0
	v_mul_f64 v[67:68], v[49:50], v[67:68]
	s_waitcnt vmcnt(20)
	v_fma_f64 v[63:64], v[55:56], v[73:74], -v[63:64]
	v_fma_f64 v[61:62], v[57:58], v[73:74], v[61:62]
	ds_read_b128 v[55:58], v2 offset:624
	s_waitcnt vmcnt(17)
	v_fma_f64 v[65:66], v[49:50], v[75:76], v[65:66]
	v_add_f64 v[93:94], v[93:94], v[95:96]
	v_add_f64 v[3:4], v[3:4], v[59:60]
	s_waitcnt lgkmcnt(1)
	v_mul_f64 v[59:60], v[51:52], v[69:70]
	v_mul_f64 v[69:70], v[53:54], v[69:70]
	v_fma_f64 v[67:68], v[47:48], v[75:76], -v[67:68]
	s_waitcnt vmcnt(13) lgkmcnt(0)
	v_mul_f64 v[73:74], v[57:58], v[77:78]
	ds_read_b128 v[47:50], v2 offset:640
	v_add_f64 v[63:64], v[93:94], v[63:64]
	v_add_f64 v[3:4], v[3:4], v[61:62]
	v_mul_f64 v[61:62], v[55:56], v[77:78]
	s_waitcnt vmcnt(12)
	v_fma_f64 v[69:70], v[51:52], v[71:72], -v[69:70]
	v_fma_f64 v[59:60], v[53:54], v[71:72], v[59:60]
	ds_read_b128 v[51:54], v2 offset:656
	s_waitcnt vmcnt(9)
	v_fma_f64 v[55:56], v[55:56], v[83:84], -v[73:74]
	v_add_f64 v[63:64], v[63:64], v[67:68]
	v_add_f64 v[3:4], v[3:4], v[65:66]
	s_waitcnt lgkmcnt(1)
	v_mul_f64 v[67:68], v[49:50], v[79:80]
	v_mul_f64 v[65:66], v[47:48], v[79:80]
	v_fma_f64 v[57:58], v[57:58], v[83:84], v[61:62]
	s_waitcnt vmcnt(7) lgkmcnt(0)
	v_mul_f64 v[61:62], v[53:54], v[85:86]
	v_add_f64 v[63:64], v[63:64], v[69:70]
	v_add_f64 v[2:3], v[3:4], v[59:60]
	s_waitcnt vmcnt(6)
	v_fma_f64 v[47:48], v[47:48], v[81:82], -v[67:68]
	v_mul_f64 v[59:60], v[51:52], v[85:86]
	v_fma_f64 v[49:50], v[49:50], v[81:82], v[65:66]
	s_waitcnt vmcnt(4)
	v_fma_f64 v[51:52], v[51:52], v[87:88], -v[61:62]
	v_add_f64 v[55:56], v[63:64], v[55:56]
	v_add_f64 v[2:3], v[2:3], v[57:58]
	v_fma_f64 v[53:54], v[53:54], v[87:88], v[59:60]
	v_add_f64 v[47:48], v[55:56], v[47:48]
	v_add_f64 v[2:3], v[2:3], v[49:50]
	v_add_f64 v[47:48], v[47:48], v[51:52]
	v_add_f64 v[2:3], v[2:3], v[53:54]
	s_waitcnt vmcnt(2)
	v_add_f64 v[47:48], v[89:90], -v[47:48]
	s_waitcnt vmcnt(0)
	v_add_f64 v[2:3], v[91:92], -v[2:3]
	buffer_store_dword v48, off, s[0:3], 0 offset:212
	buffer_store_dword v47, off, s[0:3], 0 offset:208
	buffer_store_dword v3, off, s[0:3], 0 offset:220
	buffer_store_dword v2, off, s[0:3], 0 offset:216
	v_cmpx_lt_u32_e32 11, v0
	s_cbranch_execz .LBB20_117
; %bb.116:
	v_mov_b32_e32 v2, s19
	s_clause 0x3
	buffer_load_dword v47, v2, s[0:3], 0 offen
	buffer_load_dword v48, v2, s[0:3], 0 offen offset:4
	buffer_load_dword v49, v2, s[0:3], 0 offen offset:8
	;; [unrolled: 1-line block ×3, first 2 shown]
	v_mov_b32_e32 v2, 0
	buffer_store_dword v2, off, s[0:3], 0 offset:192
	buffer_store_dword v2, off, s[0:3], 0 offset:196
	;; [unrolled: 1-line block ×4, first 2 shown]
	s_waitcnt vmcnt(0)
	ds_write_b128 v1, v[47:50]
.LBB20_117:
	s_or_b32 exec_lo, exec_lo, s4
	s_waitcnt lgkmcnt(0)
	s_waitcnt_vscnt null, 0x0
	s_barrier
	buffer_gl0_inv
	s_clause 0x27
	buffer_load_dword v3, off, s[0:3], 0 offset:216
	buffer_load_dword v4, off, s[0:3], 0 offset:220
	;; [unrolled: 1-line block ×40, first 2 shown]
	v_mov_b32_e32 v2, 0
	ds_read_b128 v[47:50], v2 offset:528
	ds_read_b128 v[51:54], v2 offset:544
	;; [unrolled: 1-line block ×3, first 2 shown]
	s_mov_b32 s4, exec_lo
	s_waitcnt vmcnt(38) lgkmcnt(2)
	v_mul_f64 v[97:98], v[49:50], v[3:4]
	v_mul_f64 v[3:4], v[47:48], v[3:4]
	s_waitcnt vmcnt(36) lgkmcnt(1)
	v_mul_f64 v[99:100], v[53:54], v[59:60]
	v_mul_f64 v[59:60], v[51:52], v[59:60]
	s_waitcnt vmcnt(34)
	v_fma_f64 v[97:98], v[47:48], v[61:62], -v[97:98]
	v_fma_f64 v[3:4], v[49:50], v[61:62], v[3:4]
	ds_read_b128 v[47:50], v2 offset:576
	s_waitcnt vmcnt(32) lgkmcnt(1)
	v_mul_f64 v[61:62], v[55:56], v[63:64]
	v_mul_f64 v[63:64], v[57:58], v[63:64]
	s_waitcnt vmcnt(30)
	v_fma_f64 v[99:100], v[51:52], v[65:66], -v[99:100]
	v_fma_f64 v[59:60], v[53:54], v[65:66], v[59:60]
	ds_read_b128 v[51:54], v2 offset:592
	s_waitcnt vmcnt(26) lgkmcnt(1)
	v_mul_f64 v[65:66], v[47:48], v[67:68]
	v_add_f64 v[97:98], v[97:98], 0
	v_add_f64 v[3:4], v[3:4], 0
	v_mul_f64 v[67:68], v[49:50], v[67:68]
	s_waitcnt vmcnt(24)
	v_fma_f64 v[63:64], v[55:56], v[73:74], -v[63:64]
	v_fma_f64 v[61:62], v[57:58], v[73:74], v[61:62]
	ds_read_b128 v[55:58], v2 offset:608
	s_waitcnt vmcnt(21)
	v_fma_f64 v[65:66], v[49:50], v[75:76], v[65:66]
	v_add_f64 v[97:98], v[97:98], v[99:100]
	v_add_f64 v[3:4], v[3:4], v[59:60]
	s_waitcnt lgkmcnt(1)
	v_mul_f64 v[59:60], v[51:52], v[69:70]
	v_mul_f64 v[69:70], v[53:54], v[69:70]
	v_fma_f64 v[67:68], v[47:48], v[75:76], -v[67:68]
	s_waitcnt vmcnt(17) lgkmcnt(0)
	v_mul_f64 v[73:74], v[57:58], v[77:78]
	ds_read_b128 v[47:50], v2 offset:624
	v_add_f64 v[63:64], v[97:98], v[63:64]
	v_add_f64 v[3:4], v[3:4], v[61:62]
	v_mul_f64 v[61:62], v[55:56], v[77:78]
	s_waitcnt vmcnt(16)
	v_fma_f64 v[69:70], v[51:52], v[71:72], -v[69:70]
	v_fma_f64 v[59:60], v[53:54], v[71:72], v[59:60]
	ds_read_b128 v[51:54], v2 offset:640
	s_waitcnt vmcnt(13)
	v_fma_f64 v[71:72], v[55:56], v[83:84], -v[73:74]
	v_add_f64 v[63:64], v[63:64], v[67:68]
	v_add_f64 v[3:4], v[3:4], v[65:66]
	s_waitcnt lgkmcnt(1)
	v_mul_f64 v[67:68], v[49:50], v[79:80]
	v_mul_f64 v[65:66], v[47:48], v[79:80]
	v_fma_f64 v[61:62], v[57:58], v[83:84], v[61:62]
	ds_read_b128 v[55:58], v2 offset:656
	v_add_f64 v[63:64], v[63:64], v[69:70]
	v_add_f64 v[3:4], v[3:4], v[59:60]
	s_waitcnt vmcnt(9) lgkmcnt(1)
	v_mul_f64 v[69:70], v[53:54], v[85:86]
	s_waitcnt vmcnt(8)
	v_fma_f64 v[47:48], v[47:48], v[81:82], -v[67:68]
	v_mul_f64 v[59:60], v[51:52], v[85:86]
	v_fma_f64 v[49:50], v[49:50], v[81:82], v[65:66]
	s_waitcnt vmcnt(7) lgkmcnt(0)
	v_mul_f64 v[65:66], v[57:58], v[87:88]
	v_add_f64 v[63:64], v[63:64], v[71:72]
	v_add_f64 v[3:4], v[3:4], v[61:62]
	s_waitcnt vmcnt(5)
	v_fma_f64 v[51:52], v[51:52], v[91:92], -v[69:70]
	v_mul_f64 v[61:62], v[55:56], v[87:88]
	v_fma_f64 v[53:54], v[53:54], v[91:92], v[59:60]
	v_add_f64 v[47:48], v[63:64], v[47:48]
	v_add_f64 v[3:4], v[3:4], v[49:50]
	s_waitcnt vmcnt(4)
	v_fma_f64 v[49:50], v[55:56], v[89:90], -v[65:66]
	v_add_f64 v[47:48], v[47:48], v[51:52]
	v_fma_f64 v[51:52], v[57:58], v[89:90], v[61:62]
	v_add_f64 v[3:4], v[3:4], v[53:54]
	v_add_f64 v[47:48], v[47:48], v[49:50]
	;; [unrolled: 1-line block ×3, first 2 shown]
	s_waitcnt vmcnt(2)
	v_add_f64 v[47:48], v[93:94], -v[47:48]
	s_waitcnt vmcnt(0)
	v_add_f64 v[3:4], v[95:96], -v[3:4]
	buffer_store_dword v48, off, s[0:3], 0 offset:196
	buffer_store_dword v47, off, s[0:3], 0 offset:192
	;; [unrolled: 1-line block ×4, first 2 shown]
	v_cmpx_lt_u32_e32 10, v0
	s_cbranch_execz .LBB20_119
; %bb.118:
	v_mov_b32_e32 v3, s22
	s_clause 0x3
	buffer_load_dword v47, v3, s[0:3], 0 offen
	buffer_load_dword v48, v3, s[0:3], 0 offen offset:4
	buffer_load_dword v49, v3, s[0:3], 0 offen offset:8
	;; [unrolled: 1-line block ×3, first 2 shown]
	buffer_store_dword v2, off, s[0:3], 0 offset:176
	buffer_store_dword v2, off, s[0:3], 0 offset:180
	;; [unrolled: 1-line block ×4, first 2 shown]
	s_waitcnt vmcnt(0)
	ds_write_b128 v1, v[47:50]
.LBB20_119:
	s_or_b32 exec_lo, exec_lo, s4
	s_waitcnt lgkmcnt(0)
	s_waitcnt_vscnt null, 0x0
	s_barrier
	buffer_gl0_inv
	s_clause 0x2b
	buffer_load_dword v3, off, s[0:3], 0 offset:200
	buffer_load_dword v4, off, s[0:3], 0 offset:204
	;; [unrolled: 1-line block ×44, first 2 shown]
	ds_read_b128 v[47:50], v2 offset:512
	ds_read_b128 v[51:54], v2 offset:528
	;; [unrolled: 1-line block ×3, first 2 shown]
	s_mov_b32 s4, exec_lo
	s_waitcnt vmcnt(42) lgkmcnt(2)
	v_mul_f64 v[101:102], v[49:50], v[3:4]
	v_mul_f64 v[3:4], v[47:48], v[3:4]
	s_waitcnt vmcnt(40) lgkmcnt(1)
	v_mul_f64 v[103:104], v[53:54], v[59:60]
	v_mul_f64 v[59:60], v[51:52], v[59:60]
	s_waitcnt vmcnt(38)
	v_fma_f64 v[101:102], v[47:48], v[61:62], -v[101:102]
	v_fma_f64 v[3:4], v[49:50], v[61:62], v[3:4]
	ds_read_b128 v[47:50], v2 offset:560
	s_waitcnt vmcnt(36) lgkmcnt(1)
	v_mul_f64 v[61:62], v[55:56], v[63:64]
	v_mul_f64 v[63:64], v[57:58], v[63:64]
	s_waitcnt vmcnt(34)
	v_fma_f64 v[103:104], v[51:52], v[65:66], -v[103:104]
	v_fma_f64 v[59:60], v[53:54], v[65:66], v[59:60]
	ds_read_b128 v[51:54], v2 offset:576
	s_waitcnt vmcnt(30) lgkmcnt(1)
	v_mul_f64 v[65:66], v[47:48], v[67:68]
	v_add_f64 v[101:102], v[101:102], 0
	v_add_f64 v[3:4], v[3:4], 0
	v_mul_f64 v[67:68], v[49:50], v[67:68]
	s_waitcnt vmcnt(28)
	v_fma_f64 v[63:64], v[55:56], v[73:74], -v[63:64]
	v_fma_f64 v[61:62], v[57:58], v[73:74], v[61:62]
	ds_read_b128 v[55:58], v2 offset:592
	s_waitcnt vmcnt(25)
	v_fma_f64 v[65:66], v[49:50], v[75:76], v[65:66]
	v_add_f64 v[101:102], v[101:102], v[103:104]
	v_add_f64 v[3:4], v[3:4], v[59:60]
	s_waitcnt lgkmcnt(1)
	v_mul_f64 v[59:60], v[51:52], v[69:70]
	v_mul_f64 v[69:70], v[53:54], v[69:70]
	v_fma_f64 v[67:68], v[47:48], v[75:76], -v[67:68]
	s_waitcnt vmcnt(21) lgkmcnt(0)
	v_mul_f64 v[73:74], v[57:58], v[77:78]
	ds_read_b128 v[47:50], v2 offset:608
	v_add_f64 v[63:64], v[101:102], v[63:64]
	v_add_f64 v[3:4], v[3:4], v[61:62]
	v_mul_f64 v[61:62], v[55:56], v[77:78]
	s_waitcnt vmcnt(20)
	v_fma_f64 v[69:70], v[51:52], v[71:72], -v[69:70]
	v_fma_f64 v[59:60], v[53:54], v[71:72], v[59:60]
	ds_read_b128 v[51:54], v2 offset:624
	s_waitcnt vmcnt(17)
	v_fma_f64 v[71:72], v[55:56], v[83:84], -v[73:74]
	v_add_f64 v[63:64], v[63:64], v[67:68]
	v_add_f64 v[3:4], v[3:4], v[65:66]
	s_waitcnt lgkmcnt(1)
	v_mul_f64 v[67:68], v[49:50], v[79:80]
	v_mul_f64 v[65:66], v[47:48], v[79:80]
	v_fma_f64 v[61:62], v[57:58], v[83:84], v[61:62]
	ds_read_b128 v[55:58], v2 offset:640
	v_add_f64 v[63:64], v[63:64], v[69:70]
	v_add_f64 v[3:4], v[3:4], v[59:60]
	s_waitcnt vmcnt(13) lgkmcnt(1)
	v_mul_f64 v[69:70], v[53:54], v[85:86]
	s_waitcnt vmcnt(12)
	v_fma_f64 v[67:68], v[47:48], v[81:82], -v[67:68]
	v_mul_f64 v[59:60], v[51:52], v[85:86]
	v_fma_f64 v[65:66], v[49:50], v[81:82], v[65:66]
	ds_read_b128 v[47:50], v2 offset:656
	v_add_f64 v[63:64], v[63:64], v[71:72]
	v_add_f64 v[3:4], v[3:4], v[61:62]
	s_waitcnt vmcnt(11) lgkmcnt(1)
	v_mul_f64 v[71:72], v[57:58], v[87:88]
	s_waitcnt vmcnt(9)
	v_fma_f64 v[51:52], v[51:52], v[91:92], -v[69:70]
	v_mul_f64 v[61:62], v[55:56], v[87:88]
	v_fma_f64 v[53:54], v[53:54], v[91:92], v[59:60]
	s_waitcnt vmcnt(7) lgkmcnt(0)
	v_mul_f64 v[59:60], v[47:48], v[93:94]
	v_add_f64 v[63:64], v[63:64], v[67:68]
	v_add_f64 v[2:3], v[3:4], v[65:66]
	v_mul_f64 v[65:66], v[49:50], v[93:94]
	s_waitcnt vmcnt(6)
	v_fma_f64 v[55:56], v[55:56], v[89:90], -v[71:72]
	v_fma_f64 v[57:58], v[57:58], v[89:90], v[61:62]
	s_waitcnt vmcnt(4)
	v_fma_f64 v[49:50], v[49:50], v[95:96], v[59:60]
	v_add_f64 v[51:52], v[63:64], v[51:52]
	v_add_f64 v[2:3], v[2:3], v[53:54]
	v_fma_f64 v[47:48], v[47:48], v[95:96], -v[65:66]
	v_add_f64 v[51:52], v[51:52], v[55:56]
	v_add_f64 v[2:3], v[2:3], v[57:58]
	;; [unrolled: 1-line block ×4, first 2 shown]
	s_waitcnt vmcnt(2)
	v_add_f64 v[47:48], v[97:98], -v[47:48]
	s_waitcnt vmcnt(0)
	v_add_f64 v[2:3], v[99:100], -v[2:3]
	buffer_store_dword v48, off, s[0:3], 0 offset:180
	buffer_store_dword v47, off, s[0:3], 0 offset:176
	;; [unrolled: 1-line block ×4, first 2 shown]
	v_cmpx_lt_u32_e32 9, v0
	s_cbranch_execz .LBB20_121
; %bb.120:
	v_mov_b32_e32 v2, s23
	s_clause 0x3
	buffer_load_dword v47, v2, s[0:3], 0 offen
	buffer_load_dword v48, v2, s[0:3], 0 offen offset:4
	buffer_load_dword v49, v2, s[0:3], 0 offen offset:8
	;; [unrolled: 1-line block ×3, first 2 shown]
	v_mov_b32_e32 v2, 0
	buffer_store_dword v2, off, s[0:3], 0 offset:160
	buffer_store_dword v2, off, s[0:3], 0 offset:164
	;; [unrolled: 1-line block ×4, first 2 shown]
	s_waitcnt vmcnt(0)
	ds_write_b128 v1, v[47:50]
.LBB20_121:
	s_or_b32 exec_lo, exec_lo, s4
	s_waitcnt lgkmcnt(0)
	s_waitcnt_vscnt null, 0x0
	s_barrier
	buffer_gl0_inv
	s_clause 0x2f
	buffer_load_dword v3, off, s[0:3], 0 offset:184
	buffer_load_dword v4, off, s[0:3], 0 offset:188
	;; [unrolled: 1-line block ×48, first 2 shown]
	v_mov_b32_e32 v2, 0
	ds_read_b128 v[47:50], v2 offset:496
	ds_read_b128 v[51:54], v2 offset:512
	;; [unrolled: 1-line block ×3, first 2 shown]
	s_mov_b32 s4, exec_lo
	s_waitcnt vmcnt(46) lgkmcnt(2)
	v_mul_f64 v[105:106], v[49:50], v[3:4]
	v_mul_f64 v[3:4], v[47:48], v[3:4]
	s_waitcnt vmcnt(44) lgkmcnt(1)
	v_mul_f64 v[107:108], v[53:54], v[59:60]
	v_mul_f64 v[59:60], v[51:52], v[59:60]
	s_waitcnt vmcnt(42)
	v_fma_f64 v[105:106], v[47:48], v[61:62], -v[105:106]
	v_fma_f64 v[3:4], v[49:50], v[61:62], v[3:4]
	ds_read_b128 v[47:50], v2 offset:544
	s_waitcnt vmcnt(40) lgkmcnt(1)
	v_mul_f64 v[61:62], v[55:56], v[63:64]
	v_mul_f64 v[63:64], v[57:58], v[63:64]
	s_waitcnt vmcnt(38)
	v_fma_f64 v[107:108], v[51:52], v[65:66], -v[107:108]
	v_fma_f64 v[59:60], v[53:54], v[65:66], v[59:60]
	ds_read_b128 v[51:54], v2 offset:560
	s_waitcnt vmcnt(34) lgkmcnt(1)
	v_mul_f64 v[65:66], v[47:48], v[67:68]
	v_add_f64 v[105:106], v[105:106], 0
	v_add_f64 v[3:4], v[3:4], 0
	v_mul_f64 v[67:68], v[49:50], v[67:68]
	s_waitcnt vmcnt(32)
	v_fma_f64 v[63:64], v[55:56], v[73:74], -v[63:64]
	v_fma_f64 v[61:62], v[57:58], v[73:74], v[61:62]
	ds_read_b128 v[55:58], v2 offset:576
	s_waitcnt vmcnt(29)
	v_fma_f64 v[65:66], v[49:50], v[75:76], v[65:66]
	v_add_f64 v[105:106], v[105:106], v[107:108]
	v_add_f64 v[3:4], v[3:4], v[59:60]
	s_waitcnt lgkmcnt(1)
	v_mul_f64 v[59:60], v[51:52], v[69:70]
	v_mul_f64 v[69:70], v[53:54], v[69:70]
	v_fma_f64 v[67:68], v[47:48], v[75:76], -v[67:68]
	s_waitcnt vmcnt(25) lgkmcnt(0)
	v_mul_f64 v[73:74], v[57:58], v[77:78]
	ds_read_b128 v[47:50], v2 offset:592
	v_add_f64 v[63:64], v[105:106], v[63:64]
	v_add_f64 v[3:4], v[3:4], v[61:62]
	v_mul_f64 v[61:62], v[55:56], v[77:78]
	s_waitcnt vmcnt(24)
	v_fma_f64 v[69:70], v[51:52], v[71:72], -v[69:70]
	v_fma_f64 v[59:60], v[53:54], v[71:72], v[59:60]
	ds_read_b128 v[51:54], v2 offset:608
	s_waitcnt vmcnt(21)
	v_fma_f64 v[71:72], v[55:56], v[83:84], -v[73:74]
	v_add_f64 v[63:64], v[63:64], v[67:68]
	v_add_f64 v[3:4], v[3:4], v[65:66]
	s_waitcnt lgkmcnt(1)
	v_mul_f64 v[67:68], v[49:50], v[79:80]
	v_mul_f64 v[65:66], v[47:48], v[79:80]
	v_fma_f64 v[61:62], v[57:58], v[83:84], v[61:62]
	ds_read_b128 v[55:58], v2 offset:624
	v_add_f64 v[63:64], v[63:64], v[69:70]
	v_add_f64 v[3:4], v[3:4], v[59:60]
	s_waitcnt vmcnt(17) lgkmcnt(1)
	v_mul_f64 v[69:70], v[53:54], v[85:86]
	s_waitcnt vmcnt(16)
	v_fma_f64 v[67:68], v[47:48], v[81:82], -v[67:68]
	v_mul_f64 v[59:60], v[51:52], v[85:86]
	v_fma_f64 v[65:66], v[49:50], v[81:82], v[65:66]
	ds_read_b128 v[47:50], v2 offset:640
	v_add_f64 v[63:64], v[63:64], v[71:72]
	v_add_f64 v[3:4], v[3:4], v[61:62]
	s_waitcnt vmcnt(15) lgkmcnt(1)
	v_mul_f64 v[71:72], v[57:58], v[87:88]
	s_waitcnt vmcnt(13)
	v_fma_f64 v[69:70], v[51:52], v[91:92], -v[69:70]
	;; [unrolled: 9-line block ×3, first 2 shown]
	v_mul_f64 v[65:66], v[47:48], v[93:94]
	v_fma_f64 v[57:58], v[57:58], v[89:90], v[61:62]
	s_waitcnt vmcnt(7) lgkmcnt(0)
	v_mul_f64 v[61:62], v[53:54], v[95:96]
	v_add_f64 v[63:64], v[63:64], v[69:70]
	v_add_f64 v[3:4], v[3:4], v[59:60]
	s_waitcnt vmcnt(5)
	v_fma_f64 v[47:48], v[47:48], v[99:100], -v[67:68]
	v_mul_f64 v[59:60], v[51:52], v[95:96]
	v_fma_f64 v[49:50], v[49:50], v[99:100], v[65:66]
	s_waitcnt vmcnt(4)
	v_fma_f64 v[51:52], v[51:52], v[97:98], -v[61:62]
	v_add_f64 v[55:56], v[63:64], v[55:56]
	v_add_f64 v[3:4], v[3:4], v[57:58]
	v_fma_f64 v[53:54], v[53:54], v[97:98], v[59:60]
	v_add_f64 v[47:48], v[55:56], v[47:48]
	v_add_f64 v[3:4], v[3:4], v[49:50]
	;; [unrolled: 1-line block ×4, first 2 shown]
	s_waitcnt vmcnt(2)
	v_add_f64 v[47:48], v[101:102], -v[47:48]
	s_waitcnt vmcnt(0)
	v_add_f64 v[3:4], v[103:104], -v[3:4]
	buffer_store_dword v48, off, s[0:3], 0 offset:164
	buffer_store_dword v47, off, s[0:3], 0 offset:160
	;; [unrolled: 1-line block ×4, first 2 shown]
	v_cmpx_lt_u32_e32 8, v0
	s_cbranch_execz .LBB20_123
; %bb.122:
	v_mov_b32_e32 v3, s24
	s_clause 0x3
	buffer_load_dword v47, v3, s[0:3], 0 offen
	buffer_load_dword v48, v3, s[0:3], 0 offen offset:4
	buffer_load_dword v49, v3, s[0:3], 0 offen offset:8
	buffer_load_dword v50, v3, s[0:3], 0 offen offset:12
	buffer_store_dword v2, off, s[0:3], 0 offset:144
	buffer_store_dword v2, off, s[0:3], 0 offset:148
	;; [unrolled: 1-line block ×4, first 2 shown]
	s_waitcnt vmcnt(0)
	ds_write_b128 v1, v[47:50]
.LBB20_123:
	s_or_b32 exec_lo, exec_lo, s4
	s_waitcnt lgkmcnt(0)
	s_waitcnt_vscnt null, 0x0
	s_barrier
	buffer_gl0_inv
	s_clause 0x2f
	buffer_load_dword v3, off, s[0:3], 0 offset:168
	buffer_load_dword v4, off, s[0:3], 0 offset:172
	;; [unrolled: 1-line block ×48, first 2 shown]
	ds_read_b128 v[47:50], v2 offset:480
	s_clause 0x3
	buffer_load_dword v105, off, s[0:3], 0 offset:144
	buffer_load_dword v106, off, s[0:3], 0 offset:148
	;; [unrolled: 1-line block ×4, first 2 shown]
	ds_read_b128 v[51:54], v2 offset:496
	ds_read_b128 v[55:58], v2 offset:512
	s_mov_b32 s4, exec_lo
	s_waitcnt vmcnt(50) lgkmcnt(2)
	v_mul_f64 v[109:110], v[49:50], v[3:4]
	v_mul_f64 v[3:4], v[47:48], v[3:4]
	s_waitcnt vmcnt(48) lgkmcnt(1)
	v_mul_f64 v[111:112], v[53:54], v[59:60]
	v_mul_f64 v[59:60], v[51:52], v[59:60]
	s_waitcnt vmcnt(46)
	v_fma_f64 v[109:110], v[47:48], v[61:62], -v[109:110]
	v_fma_f64 v[3:4], v[49:50], v[61:62], v[3:4]
	s_waitcnt vmcnt(44) lgkmcnt(0)
	v_mul_f64 v[61:62], v[55:56], v[63:64]
	v_mul_f64 v[63:64], v[57:58], v[63:64]
	s_waitcnt vmcnt(42)
	v_fma_f64 v[111:112], v[51:52], v[65:66], -v[111:112]
	ds_read_b128 v[47:50], v2 offset:528
	v_fma_f64 v[59:60], v[53:54], v[65:66], v[59:60]
	ds_read_b128 v[51:54], v2 offset:544
	v_add_f64 v[109:110], v[109:110], 0
	v_add_f64 v[3:4], v[3:4], 0
	s_waitcnt vmcnt(36)
	v_fma_f64 v[61:62], v[57:58], v[73:74], v[61:62]
	s_waitcnt lgkmcnt(1)
	v_mul_f64 v[65:66], v[47:48], v[67:68]
	v_mul_f64 v[67:68], v[49:50], v[67:68]
	v_fma_f64 v[63:64], v[55:56], v[73:74], -v[63:64]
	ds_read_b128 v[55:58], v2 offset:560
	v_add_f64 v[109:110], v[109:110], v[111:112]
	v_add_f64 v[3:4], v[3:4], v[59:60]
	s_waitcnt vmcnt(35) lgkmcnt(1)
	v_mul_f64 v[59:60], v[51:52], v[69:70]
	v_mul_f64 v[69:70], v[53:54], v[69:70]
	s_waitcnt vmcnt(33)
	v_fma_f64 v[67:68], v[47:48], v[75:76], -v[67:68]
	v_fma_f64 v[65:66], v[49:50], v[75:76], v[65:66]
	ds_read_b128 v[47:50], v2 offset:576
	s_waitcnt vmcnt(29) lgkmcnt(1)
	v_mul_f64 v[73:74], v[57:58], v[77:78]
	v_add_f64 v[63:64], v[109:110], v[63:64]
	v_add_f64 v[3:4], v[3:4], v[61:62]
	v_mul_f64 v[61:62], v[55:56], v[77:78]
	s_waitcnt vmcnt(28)
	v_fma_f64 v[69:70], v[51:52], v[71:72], -v[69:70]
	v_fma_f64 v[59:60], v[53:54], v[71:72], v[59:60]
	ds_read_b128 v[51:54], v2 offset:592
	s_waitcnt vmcnt(25)
	v_fma_f64 v[71:72], v[55:56], v[83:84], -v[73:74]
	v_add_f64 v[63:64], v[63:64], v[67:68]
	v_add_f64 v[3:4], v[3:4], v[65:66]
	s_waitcnt lgkmcnt(1)
	v_mul_f64 v[67:68], v[49:50], v[79:80]
	v_mul_f64 v[65:66], v[47:48], v[79:80]
	v_fma_f64 v[61:62], v[57:58], v[83:84], v[61:62]
	ds_read_b128 v[55:58], v2 offset:608
	v_add_f64 v[63:64], v[63:64], v[69:70]
	v_add_f64 v[3:4], v[3:4], v[59:60]
	s_waitcnt vmcnt(21) lgkmcnt(1)
	v_mul_f64 v[69:70], v[53:54], v[85:86]
	s_waitcnt vmcnt(20)
	v_fma_f64 v[67:68], v[47:48], v[81:82], -v[67:68]
	v_mul_f64 v[59:60], v[51:52], v[85:86]
	v_fma_f64 v[65:66], v[49:50], v[81:82], v[65:66]
	ds_read_b128 v[47:50], v2 offset:624
	v_add_f64 v[63:64], v[63:64], v[71:72]
	v_add_f64 v[3:4], v[3:4], v[61:62]
	s_waitcnt vmcnt(19) lgkmcnt(1)
	v_mul_f64 v[71:72], v[57:58], v[87:88]
	s_waitcnt vmcnt(17)
	v_fma_f64 v[69:70], v[51:52], v[91:92], -v[69:70]
	;; [unrolled: 9-line block ×4, first 2 shown]
	v_mul_f64 v[59:60], v[51:52], v[95:96]
	v_fma_f64 v[49:50], v[49:50], v[99:100], v[65:66]
	s_waitcnt vmcnt(7) lgkmcnt(0)
	v_mul_f64 v[65:66], v[57:58], v[101:102]
	v_add_f64 v[63:64], v[63:64], v[71:72]
	v_add_f64 v[2:3], v[3:4], v[61:62]
	s_waitcnt vmcnt(6)
	v_fma_f64 v[51:52], v[51:52], v[97:98], -v[69:70]
	v_mul_f64 v[61:62], v[55:56], v[101:102]
	v_fma_f64 v[53:54], v[53:54], v[97:98], v[59:60]
	v_add_f64 v[47:48], v[63:64], v[47:48]
	v_add_f64 v[2:3], v[2:3], v[49:50]
	s_waitcnt vmcnt(4)
	v_fma_f64 v[49:50], v[55:56], v[103:104], -v[65:66]
	v_add_f64 v[47:48], v[47:48], v[51:52]
	v_fma_f64 v[51:52], v[57:58], v[103:104], v[61:62]
	v_add_f64 v[2:3], v[2:3], v[53:54]
	v_add_f64 v[47:48], v[47:48], v[49:50]
	;; [unrolled: 1-line block ×3, first 2 shown]
	s_waitcnt vmcnt(2)
	v_add_f64 v[47:48], v[105:106], -v[47:48]
	s_waitcnt vmcnt(0)
	v_add_f64 v[2:3], v[107:108], -v[2:3]
	buffer_store_dword v48, off, s[0:3], 0 offset:148
	buffer_store_dword v47, off, s[0:3], 0 offset:144
	;; [unrolled: 1-line block ×4, first 2 shown]
	v_cmpx_lt_u32_e32 7, v0
	s_cbranch_execz .LBB20_125
; %bb.124:
	v_mov_b32_e32 v2, s25
	s_clause 0x3
	buffer_load_dword v47, v2, s[0:3], 0 offen
	buffer_load_dword v48, v2, s[0:3], 0 offen offset:4
	buffer_load_dword v49, v2, s[0:3], 0 offen offset:8
	;; [unrolled: 1-line block ×3, first 2 shown]
	v_mov_b32_e32 v2, 0
	buffer_store_dword v2, off, s[0:3], 0 offset:128
	buffer_store_dword v2, off, s[0:3], 0 offset:132
	;; [unrolled: 1-line block ×4, first 2 shown]
	s_waitcnt vmcnt(0)
	ds_write_b128 v1, v[47:50]
.LBB20_125:
	s_or_b32 exec_lo, exec_lo, s4
	s_waitcnt lgkmcnt(0)
	s_waitcnt_vscnt null, 0x0
	s_barrier
	buffer_gl0_inv
	s_clause 0x33
	buffer_load_dword v3, off, s[0:3], 0 offset:152
	buffer_load_dword v4, off, s[0:3], 0 offset:156
	;; [unrolled: 1-line block ×52, first 2 shown]
	v_mov_b32_e32 v2, 0
	ds_read_b128 v[47:50], v2 offset:464
	ds_read_b128 v[51:54], v2 offset:480
	s_clause 0x3
	buffer_load_dword v111, off, s[0:3], 0 offset:128
	buffer_load_dword v112, off, s[0:3], 0 offset:132
	;; [unrolled: 1-line block ×4, first 2 shown]
	ds_read_b128 v[55:58], v2 offset:496
	s_mov_b32 s4, exec_lo
	s_waitcnt vmcnt(54) lgkmcnt(2)
	v_mul_f64 v[109:110], v[49:50], v[3:4]
	v_mul_f64 v[3:4], v[47:48], v[3:4]
	s_waitcnt vmcnt(52) lgkmcnt(1)
	v_mul_f64 v[115:116], v[53:54], v[59:60]
	v_mul_f64 v[59:60], v[51:52], v[59:60]
	s_waitcnt vmcnt(50)
	v_fma_f64 v[109:110], v[47:48], v[61:62], -v[109:110]
	v_fma_f64 v[3:4], v[49:50], v[61:62], v[3:4]
	ds_read_b128 v[47:50], v2 offset:512
	s_waitcnt vmcnt(48) lgkmcnt(1)
	v_mul_f64 v[61:62], v[55:56], v[63:64]
	v_mul_f64 v[63:64], v[57:58], v[63:64]
	s_waitcnt vmcnt(46)
	v_fma_f64 v[115:116], v[51:52], v[65:66], -v[115:116]
	v_fma_f64 v[59:60], v[53:54], v[65:66], v[59:60]
	ds_read_b128 v[51:54], v2 offset:528
	s_waitcnt vmcnt(42) lgkmcnt(1)
	v_mul_f64 v[65:66], v[47:48], v[67:68]
	v_add_f64 v[109:110], v[109:110], 0
	v_add_f64 v[3:4], v[3:4], 0
	v_mul_f64 v[67:68], v[49:50], v[67:68]
	s_waitcnt vmcnt(40)
	v_fma_f64 v[63:64], v[55:56], v[73:74], -v[63:64]
	v_fma_f64 v[61:62], v[57:58], v[73:74], v[61:62]
	ds_read_b128 v[55:58], v2 offset:544
	s_waitcnt vmcnt(37)
	v_fma_f64 v[65:66], v[49:50], v[75:76], v[65:66]
	v_add_f64 v[109:110], v[109:110], v[115:116]
	v_add_f64 v[3:4], v[3:4], v[59:60]
	s_waitcnt lgkmcnt(1)
	v_mul_f64 v[59:60], v[51:52], v[69:70]
	v_mul_f64 v[69:70], v[53:54], v[69:70]
	v_fma_f64 v[67:68], v[47:48], v[75:76], -v[67:68]
	s_waitcnt vmcnt(33) lgkmcnt(0)
	v_mul_f64 v[73:74], v[57:58], v[77:78]
	ds_read_b128 v[47:50], v2 offset:560
	v_add_f64 v[63:64], v[109:110], v[63:64]
	v_add_f64 v[3:4], v[3:4], v[61:62]
	v_mul_f64 v[61:62], v[55:56], v[77:78]
	s_waitcnt vmcnt(32)
	v_fma_f64 v[69:70], v[51:52], v[71:72], -v[69:70]
	v_fma_f64 v[59:60], v[53:54], v[71:72], v[59:60]
	ds_read_b128 v[51:54], v2 offset:576
	s_waitcnt vmcnt(29)
	v_fma_f64 v[71:72], v[55:56], v[83:84], -v[73:74]
	v_add_f64 v[63:64], v[63:64], v[67:68]
	v_add_f64 v[3:4], v[3:4], v[65:66]
	s_waitcnt lgkmcnt(1)
	v_mul_f64 v[67:68], v[49:50], v[79:80]
	v_mul_f64 v[65:66], v[47:48], v[79:80]
	v_fma_f64 v[61:62], v[57:58], v[83:84], v[61:62]
	ds_read_b128 v[55:58], v2 offset:592
	v_add_f64 v[63:64], v[63:64], v[69:70]
	v_add_f64 v[3:4], v[3:4], v[59:60]
	s_waitcnt vmcnt(25) lgkmcnt(1)
	v_mul_f64 v[69:70], v[53:54], v[85:86]
	s_waitcnt vmcnt(24)
	v_fma_f64 v[67:68], v[47:48], v[81:82], -v[67:68]
	v_mul_f64 v[59:60], v[51:52], v[85:86]
	v_fma_f64 v[65:66], v[49:50], v[81:82], v[65:66]
	ds_read_b128 v[47:50], v2 offset:608
	v_add_f64 v[63:64], v[63:64], v[71:72]
	v_add_f64 v[3:4], v[3:4], v[61:62]
	s_waitcnt vmcnt(23) lgkmcnt(1)
	v_mul_f64 v[71:72], v[57:58], v[87:88]
	s_waitcnt vmcnt(21)
	v_fma_f64 v[69:70], v[51:52], v[91:92], -v[69:70]
	;; [unrolled: 9-line block ×5, first 2 shown]
	v_mul_f64 v[61:62], v[55:56], v[101:102]
	v_fma_f64 v[53:54], v[53:54], v[97:98], v[59:60]
	s_waitcnt vmcnt(7) lgkmcnt(0)
	v_mul_f64 v[59:60], v[47:48], v[103:104]
	v_add_f64 v[63:64], v[63:64], v[67:68]
	v_add_f64 v[3:4], v[3:4], v[65:66]
	v_mul_f64 v[65:66], v[49:50], v[103:104]
	s_waitcnt vmcnt(5)
	v_fma_f64 v[55:56], v[55:56], v[107:108], -v[71:72]
	v_fma_f64 v[57:58], v[57:58], v[107:108], v[61:62]
	s_waitcnt vmcnt(4)
	v_fma_f64 v[49:50], v[49:50], v[105:106], v[59:60]
	v_add_f64 v[51:52], v[63:64], v[51:52]
	v_add_f64 v[3:4], v[3:4], v[53:54]
	v_fma_f64 v[47:48], v[47:48], v[105:106], -v[65:66]
	v_add_f64 v[51:52], v[51:52], v[55:56]
	v_add_f64 v[3:4], v[3:4], v[57:58]
	;; [unrolled: 1-line block ×4, first 2 shown]
	s_waitcnt vmcnt(2)
	v_add_f64 v[47:48], v[111:112], -v[47:48]
	s_waitcnt vmcnt(0)
	v_add_f64 v[3:4], v[113:114], -v[3:4]
	buffer_store_dword v48, off, s[0:3], 0 offset:132
	buffer_store_dword v47, off, s[0:3], 0 offset:128
	buffer_store_dword v4, off, s[0:3], 0 offset:140
	buffer_store_dword v3, off, s[0:3], 0 offset:136
	v_cmpx_lt_u32_e32 6, v0
	s_cbranch_execz .LBB20_127
; %bb.126:
	v_mov_b32_e32 v3, s26
	s_clause 0x3
	buffer_load_dword v47, v3, s[0:3], 0 offen
	buffer_load_dword v48, v3, s[0:3], 0 offen offset:4
	buffer_load_dword v49, v3, s[0:3], 0 offen offset:8
	;; [unrolled: 1-line block ×3, first 2 shown]
	buffer_store_dword v2, off, s[0:3], 0 offset:112
	buffer_store_dword v2, off, s[0:3], 0 offset:116
	;; [unrolled: 1-line block ×4, first 2 shown]
	s_waitcnt vmcnt(0)
	ds_write_b128 v1, v[47:50]
.LBB20_127:
	s_or_b32 exec_lo, exec_lo, s4
	s_waitcnt lgkmcnt(0)
	s_waitcnt_vscnt null, 0x0
	s_barrier
	buffer_gl0_inv
	s_clause 0x35
	buffer_load_dword v3, off, s[0:3], 0 offset:136
	buffer_load_dword v4, off, s[0:3], 0 offset:140
	;; [unrolled: 1-line block ×54, first 2 shown]
	ds_read_b128 v[47:50], v2 offset:448
	s_clause 0x1
	buffer_load_dword v112, off, s[0:3], 0 offset:340
	buffer_load_dword v111, off, s[0:3], 0 offset:336
	ds_read_b128 v[51:54], v2 offset:464
	ds_read_b128 v[55:58], v2 offset:480
	s_mov_b32 s4, exec_lo
	s_waitcnt vmcnt(54) lgkmcnt(2)
	v_mul_f64 v[113:114], v[49:50], v[3:4]
	v_mul_f64 v[3:4], v[47:48], v[3:4]
	s_waitcnt vmcnt(52) lgkmcnt(1)
	v_mul_f64 v[115:116], v[53:54], v[59:60]
	v_mul_f64 v[59:60], v[51:52], v[59:60]
	;; [unrolled: 3-line block ×3, first 2 shown]
	v_fma_f64 v[113:114], v[47:48], v[61:62], -v[113:114]
	v_fma_f64 v[3:4], v[49:50], v[61:62], v[3:4]
	s_clause 0x3
	buffer_load_dword v61, off, s[0:3], 0 offset:112
	buffer_load_dword v62, off, s[0:3], 0 offset:116
	;; [unrolled: 1-line block ×4, first 2 shown]
	s_waitcnt vmcnt(50)
	v_fma_f64 v[115:116], v[51:52], v[65:66], -v[115:116]
	ds_read_b128 v[47:50], v2 offset:496
	v_fma_f64 v[59:60], v[53:54], v[65:66], v[59:60]
	ds_read_b128 v[51:54], v2 offset:512
	s_waitcnt vmcnt(44)
	v_fma_f64 v[63:64], v[55:56], v[73:74], -v[63:64]
	v_fma_f64 v[73:74], v[57:58], v[73:74], v[119:120]
	ds_read_b128 v[55:58], v2 offset:528
	v_add_f64 v[113:114], v[113:114], 0
	v_add_f64 v[3:4], v[3:4], 0
	s_waitcnt lgkmcnt(2)
	v_mul_f64 v[65:66], v[47:48], v[67:68]
	v_mul_f64 v[67:68], v[49:50], v[67:68]
	v_add_f64 v[113:114], v[113:114], v[115:116]
	v_add_f64 v[3:4], v[3:4], v[59:60]
	s_waitcnt vmcnt(43) lgkmcnt(1)
	v_mul_f64 v[59:60], v[51:52], v[69:70]
	v_mul_f64 v[69:70], v[53:54], v[69:70]
	s_waitcnt vmcnt(41)
	v_fma_f64 v[67:68], v[47:48], v[75:76], -v[67:68]
	v_fma_f64 v[65:66], v[49:50], v[75:76], v[65:66]
	ds_read_b128 v[47:50], v2 offset:544
	s_waitcnt vmcnt(37) lgkmcnt(1)
	v_mul_f64 v[75:76], v[57:58], v[77:78]
	v_add_f64 v[63:64], v[113:114], v[63:64]
	v_add_f64 v[3:4], v[3:4], v[73:74]
	v_mul_f64 v[73:74], v[55:56], v[77:78]
	s_waitcnt vmcnt(36)
	v_fma_f64 v[69:70], v[51:52], v[71:72], -v[69:70]
	v_fma_f64 v[59:60], v[53:54], v[71:72], v[59:60]
	ds_read_b128 v[51:54], v2 offset:560
	s_waitcnt vmcnt(33)
	v_fma_f64 v[71:72], v[55:56], v[83:84], -v[75:76]
	v_add_f64 v[63:64], v[63:64], v[67:68]
	v_add_f64 v[3:4], v[3:4], v[65:66]
	s_waitcnt lgkmcnt(1)
	v_mul_f64 v[67:68], v[49:50], v[79:80]
	v_mul_f64 v[65:66], v[47:48], v[79:80]
	v_add_f64 v[63:64], v[63:64], v[69:70]
	v_fma_f64 v[69:70], v[57:58], v[83:84], v[73:74]
	v_add_f64 v[3:4], v[3:4], v[59:60]
	ds_read_b128 v[55:58], v2 offset:576
	s_waitcnt vmcnt(29) lgkmcnt(1)
	v_mul_f64 v[73:74], v[53:54], v[85:86]
	s_waitcnt vmcnt(28)
	v_fma_f64 v[67:68], v[47:48], v[81:82], -v[67:68]
	v_mul_f64 v[59:60], v[51:52], v[85:86]
	v_fma_f64 v[65:66], v[49:50], v[81:82], v[65:66]
	ds_read_b128 v[47:50], v2 offset:592
	v_add_f64 v[63:64], v[63:64], v[71:72]
	s_waitcnt vmcnt(27) lgkmcnt(1)
	v_mul_f64 v[71:72], v[57:58], v[87:88]
	v_add_f64 v[3:4], v[3:4], v[69:70]
	v_mul_f64 v[69:70], v[55:56], v[87:88]
	s_waitcnt vmcnt(25)
	v_fma_f64 v[73:74], v[51:52], v[91:92], -v[73:74]
	v_fma_f64 v[59:60], v[53:54], v[91:92], v[59:60]
	ds_read_b128 v[51:54], v2 offset:608
	v_add_f64 v[63:64], v[63:64], v[67:68]
	s_waitcnt vmcnt(21) lgkmcnt(1)
	v_mul_f64 v[67:68], v[49:50], v[93:94]
	v_add_f64 v[3:4], v[3:4], v[65:66]
	s_waitcnt vmcnt(20)
	v_fma_f64 v[71:72], v[55:56], v[89:90], -v[71:72]
	v_mul_f64 v[65:66], v[47:48], v[93:94]
	v_fma_f64 v[69:70], v[57:58], v[89:90], v[69:70]
	ds_read_b128 v[55:58], v2 offset:624
	v_add_f64 v[63:64], v[63:64], v[73:74]
	s_waitcnt vmcnt(19) lgkmcnt(1)
	v_mul_f64 v[73:74], v[53:54], v[95:96]
	v_add_f64 v[3:4], v[3:4], v[59:60]
	s_waitcnt vmcnt(17)
	v_fma_f64 v[67:68], v[47:48], v[99:100], -v[67:68]
	v_mul_f64 v[59:60], v[51:52], v[95:96]
	;; [unrolled: 9-line block ×4, first 2 shown]
	v_fma_f64 v[57:58], v[57:58], v[107:108], v[69:70]
	s_waitcnt vmcnt(7) lgkmcnt(0)
	v_mul_f64 v[69:70], v[53:54], v[109:110]
	v_add_f64 v[63:64], v[63:64], v[73:74]
	s_waitcnt vmcnt(6)
	v_fma_f64 v[47:48], v[47:48], v[105:106], -v[67:68]
	v_add_f64 v[2:3], v[3:4], v[59:60]
	v_mul_f64 v[59:60], v[51:52], v[109:110]
	v_fma_f64 v[49:50], v[49:50], v[105:106], v[65:66]
	s_waitcnt vmcnt(4)
	v_fma_f64 v[51:52], v[51:52], v[111:112], -v[69:70]
	v_add_f64 v[55:56], v[63:64], v[55:56]
	v_add_f64 v[2:3], v[2:3], v[57:58]
	v_fma_f64 v[53:54], v[53:54], v[111:112], v[59:60]
	v_add_f64 v[47:48], v[55:56], v[47:48]
	v_add_f64 v[2:3], v[2:3], v[49:50]
	;; [unrolled: 1-line block ×4, first 2 shown]
	s_waitcnt vmcnt(2)
	v_add_f64 v[47:48], v[61:62], -v[47:48]
	s_waitcnt vmcnt(0)
	v_add_f64 v[2:3], v[117:118], -v[2:3]
	buffer_store_dword v48, off, s[0:3], 0 offset:116
	buffer_store_dword v47, off, s[0:3], 0 offset:112
	;; [unrolled: 1-line block ×4, first 2 shown]
	v_cmpx_lt_u32_e32 5, v0
	s_cbranch_execz .LBB20_129
; %bb.128:
	v_mov_b32_e32 v2, s27
	s_clause 0x3
	buffer_load_dword v47, v2, s[0:3], 0 offen
	buffer_load_dword v48, v2, s[0:3], 0 offen offset:4
	buffer_load_dword v49, v2, s[0:3], 0 offen offset:8
	;; [unrolled: 1-line block ×3, first 2 shown]
	v_mov_b32_e32 v2, 0
	buffer_store_dword v2, off, s[0:3], 0 offset:96
	buffer_store_dword v2, off, s[0:3], 0 offset:100
	;; [unrolled: 1-line block ×4, first 2 shown]
	s_waitcnt vmcnt(0)
	ds_write_b128 v1, v[47:50]
.LBB20_129:
	s_or_b32 exec_lo, exec_lo, s4
	s_waitcnt lgkmcnt(0)
	s_waitcnt_vscnt null, 0x0
	s_barrier
	buffer_gl0_inv
	s_clause 0x37
	buffer_load_dword v3, off, s[0:3], 0 offset:120
	buffer_load_dword v4, off, s[0:3], 0 offset:124
	;; [unrolled: 1-line block ×56, first 2 shown]
	v_mov_b32_e32 v2, 0
	s_mov_b32 s4, exec_lo
	ds_read_b128 v[47:50], v2 offset:432
	s_clause 0x2
	buffer_load_dword v112, off, s[0:3], 0 offset:348
	buffer_load_dword v116, off, s[0:3], 0 offset:324
	;; [unrolled: 1-line block ×3, first 2 shown]
	ds_read_b128 v[51:54], v2 offset:448
	ds_read_b128 v[55:58], v2 offset:464
	buffer_load_dword v114, off, s[0:3], 0 offset:340
	s_waitcnt vmcnt(58) lgkmcnt(2)
	v_mul_f64 v[117:118], v[49:50], v[3:4]
	v_mul_f64 v[3:4], v[47:48], v[3:4]
	s_waitcnt vmcnt(56) lgkmcnt(1)
	v_mul_f64 v[119:120], v[53:54], v[59:60]
	v_mul_f64 v[59:60], v[51:52], v[59:60]
	s_waitcnt vmcnt(54)
	v_fma_f64 v[117:118], v[47:48], v[61:62], -v[117:118]
	v_fma_f64 v[3:4], v[49:50], v[61:62], v[3:4]
	s_waitcnt vmcnt(52) lgkmcnt(0)
	v_mul_f64 v[61:62], v[55:56], v[63:64]
	v_mul_f64 v[63:64], v[57:58], v[63:64]
	s_waitcnt vmcnt(50)
	v_fma_f64 v[119:120], v[51:52], v[65:66], -v[119:120]
	ds_read_b128 v[47:50], v2 offset:480
	v_fma_f64 v[59:60], v[53:54], v[65:66], v[59:60]
	s_clause 0x3
	buffer_load_dword v65, off, s[0:3], 0 offset:96
	buffer_load_dword v66, off, s[0:3], 0 offset:100
	;; [unrolled: 1-line block ×4, first 2 shown]
	ds_read_b128 v[51:54], v2 offset:496
	v_add_f64 v[117:118], v[117:118], 0
	v_add_f64 v[3:4], v[3:4], 0
	s_waitcnt vmcnt(48)
	v_fma_f64 v[61:62], v[57:58], v[73:74], v[61:62]
	s_waitcnt lgkmcnt(1)
	v_mul_f64 v[123:124], v[47:48], v[67:68]
	v_mul_f64 v[67:68], v[49:50], v[67:68]
	v_fma_f64 v[63:64], v[55:56], v[73:74], -v[63:64]
	ds_read_b128 v[55:58], v2 offset:512
	v_add_f64 v[117:118], v[117:118], v[119:120]
	v_add_f64 v[3:4], v[3:4], v[59:60]
	s_waitcnt vmcnt(47) lgkmcnt(1)
	v_mul_f64 v[59:60], v[51:52], v[69:70]
	v_mul_f64 v[69:70], v[53:54], v[69:70]
	s_waitcnt vmcnt(45)
	v_fma_f64 v[67:68], v[47:48], v[75:76], -v[67:68]
	v_fma_f64 v[73:74], v[49:50], v[75:76], v[123:124]
	s_waitcnt vmcnt(41) lgkmcnt(0)
	v_mul_f64 v[75:76], v[57:58], v[77:78]
	ds_read_b128 v[47:50], v2 offset:528
	v_add_f64 v[63:64], v[117:118], v[63:64]
	v_add_f64 v[3:4], v[3:4], v[61:62]
	v_mul_f64 v[61:62], v[55:56], v[77:78]
	s_waitcnt vmcnt(40)
	v_fma_f64 v[69:70], v[51:52], v[71:72], -v[69:70]
	v_fma_f64 v[59:60], v[53:54], v[71:72], v[59:60]
	ds_read_b128 v[51:54], v2 offset:544
	s_waitcnt vmcnt(39) lgkmcnt(1)
	v_mul_f64 v[71:72], v[49:50], v[79:80]
	v_add_f64 v[63:64], v[63:64], v[67:68]
	v_add_f64 v[3:4], v[3:4], v[73:74]
	s_waitcnt vmcnt(37)
	v_fma_f64 v[73:74], v[55:56], v[83:84], -v[75:76]
	v_mul_f64 v[67:68], v[47:48], v[79:80]
	v_fma_f64 v[61:62], v[57:58], v[83:84], v[61:62]
	ds_read_b128 v[55:58], v2 offset:560
	s_waitcnt vmcnt(32)
	v_fma_f64 v[71:72], v[47:48], v[81:82], -v[71:72]
	v_add_f64 v[63:64], v[63:64], v[69:70]
	v_add_f64 v[3:4], v[3:4], v[59:60]
	s_waitcnt lgkmcnt(1)
	v_mul_f64 v[69:70], v[53:54], v[85:86]
	v_mul_f64 v[59:60], v[51:52], v[85:86]
	v_fma_f64 v[67:68], v[49:50], v[81:82], v[67:68]
	ds_read_b128 v[47:50], v2 offset:576
	v_add_f64 v[63:64], v[63:64], v[73:74]
	v_add_f64 v[3:4], v[3:4], v[61:62]
	s_waitcnt vmcnt(31) lgkmcnt(1)
	v_mul_f64 v[73:74], v[57:58], v[87:88]
	s_waitcnt vmcnt(29)
	v_fma_f64 v[69:70], v[51:52], v[91:92], -v[69:70]
	v_mul_f64 v[61:62], v[55:56], v[87:88]
	v_fma_f64 v[59:60], v[53:54], v[91:92], v[59:60]
	ds_read_b128 v[51:54], v2 offset:592
	v_add_f64 v[63:64], v[63:64], v[71:72]
	v_add_f64 v[3:4], v[3:4], v[67:68]
	s_waitcnt vmcnt(25) lgkmcnt(1)
	v_mul_f64 v[71:72], v[49:50], v[93:94]
	s_waitcnt vmcnt(24)
	v_fma_f64 v[73:74], v[55:56], v[89:90], -v[73:74]
	;; [unrolled: 9-line block ×6, first 2 shown]
	v_mul_f64 v[59:60], v[51:52], v[109:110]
	v_fma_f64 v[49:50], v[49:50], v[105:106], v[67:68]
	s_waitcnt vmcnt(7) lgkmcnt(0)
	v_mul_f64 v[67:68], v[57:58], v[111:112]
	v_add_f64 v[63:64], v[63:64], v[73:74]
	v_add_f64 v[3:4], v[3:4], v[61:62]
	s_waitcnt vmcnt(5)
	v_fma_f64 v[51:52], v[51:52], v[115:116], -v[69:70]
	v_mul_f64 v[61:62], v[55:56], v[111:112]
	v_fma_f64 v[53:54], v[53:54], v[115:116], v[59:60]
	v_add_f64 v[47:48], v[63:64], v[47:48]
	v_add_f64 v[3:4], v[3:4], v[49:50]
	s_waitcnt vmcnt(4)
	v_fma_f64 v[49:50], v[55:56], v[113:114], -v[67:68]
	v_add_f64 v[47:48], v[47:48], v[51:52]
	v_fma_f64 v[51:52], v[57:58], v[113:114], v[61:62]
	v_add_f64 v[3:4], v[3:4], v[53:54]
	v_add_f64 v[47:48], v[47:48], v[49:50]
	;; [unrolled: 1-line block ×3, first 2 shown]
	s_waitcnt vmcnt(2)
	v_add_f64 v[47:48], v[65:66], -v[47:48]
	s_waitcnt vmcnt(0)
	v_add_f64 v[3:4], v[121:122], -v[3:4]
	buffer_store_dword v48, off, s[0:3], 0 offset:100
	buffer_store_dword v47, off, s[0:3], 0 offset:96
	;; [unrolled: 1-line block ×4, first 2 shown]
	v_cmpx_lt_u32_e32 4, v0
	s_cbranch_execz .LBB20_131
; %bb.130:
	v_mov_b32_e32 v3, s28
	s_clause 0x3
	buffer_load_dword v47, v3, s[0:3], 0 offen
	buffer_load_dword v48, v3, s[0:3], 0 offen offset:4
	buffer_load_dword v49, v3, s[0:3], 0 offen offset:8
	;; [unrolled: 1-line block ×3, first 2 shown]
	buffer_store_dword v2, off, s[0:3], 0 offset:80
	buffer_store_dword v2, off, s[0:3], 0 offset:84
	;; [unrolled: 1-line block ×4, first 2 shown]
	s_waitcnt vmcnt(0)
	ds_write_b128 v1, v[47:50]
.LBB20_131:
	s_or_b32 exec_lo, exec_lo, s4
	s_waitcnt lgkmcnt(0)
	s_waitcnt_vscnt null, 0x0
	s_barrier
	buffer_gl0_inv
	s_clause 0x37
	buffer_load_dword v3, off, s[0:3], 0 offset:104
	buffer_load_dword v4, off, s[0:3], 0 offset:108
	;; [unrolled: 1-line block ×56, first 2 shown]
	ds_read_b128 v[47:50], v2 offset:416
	s_clause 0x2
	buffer_load_dword v112, off, s[0:3], 0 offset:332
	buffer_load_dword v116, off, s[0:3], 0 offset:308
	;; [unrolled: 1-line block ×3, first 2 shown]
	ds_read_b128 v[51:54], v2 offset:432
	s_clause 0x2
	buffer_load_dword v120, off, s[0:3], 0 offset:348
	buffer_load_dword v119, off, s[0:3], 0 offset:344
	;; [unrolled: 1-line block ×3, first 2 shown]
	ds_read_b128 v[55:58], v2 offset:448
	s_mov_b32 s4, exec_lo
	s_waitcnt vmcnt(60) lgkmcnt(2)
	v_mul_f64 v[117:118], v[49:50], v[3:4]
	v_mul_f64 v[3:4], v[47:48], v[3:4]
	s_waitcnt vmcnt(58) lgkmcnt(1)
	v_mul_f64 v[121:122], v[53:54], v[59:60]
	v_mul_f64 v[59:60], v[51:52], v[59:60]
	;; [unrolled: 3-line block ×3, first 2 shown]
	v_fma_f64 v[117:118], v[47:48], v[61:62], -v[117:118]
	v_fma_f64 v[3:4], v[49:50], v[61:62], v[3:4]
	s_clause 0x1
	buffer_load_dword v62, off, s[0:3], 0 offset:340
	buffer_load_dword v61, off, s[0:3], 0 offset:336
	s_waitcnt vmcnt(54)
	v_fma_f64 v[121:122], v[51:52], v[65:66], -v[121:122]
	ds_read_b128 v[47:50], v2 offset:464
	v_fma_f64 v[59:60], v[53:54], v[65:66], v[59:60]
	ds_read_b128 v[51:54], v2 offset:480
	s_waitcnt vmcnt(48)
	v_fma_f64 v[63:64], v[55:56], v[73:74], -v[63:64]
	v_fma_f64 v[73:74], v[57:58], v[73:74], v[123:124]
	v_add_f64 v[117:118], v[117:118], 0
	v_add_f64 v[3:4], v[3:4], 0
	s_waitcnt lgkmcnt(1)
	v_mul_f64 v[65:66], v[47:48], v[67:68]
	v_mul_f64 v[67:68], v[49:50], v[67:68]
	s_waitcnt vmcnt(47) lgkmcnt(0)
	v_mul_f64 v[123:124], v[51:52], v[69:70]
	v_mul_f64 v[69:70], v[53:54], v[69:70]
	v_add_f64 v[117:118], v[117:118], v[121:122]
	v_add_f64 v[3:4], v[3:4], v[59:60]
	s_clause 0x3
	buffer_load_dword v59, off, s[0:3], 0 offset:80
	buffer_load_dword v60, off, s[0:3], 0 offset:84
	;; [unrolled: 1-line block ×4, first 2 shown]
	s_waitcnt vmcnt(49)
	v_fma_f64 v[67:68], v[47:48], v[75:76], -v[67:68]
	ds_read_b128 v[55:58], v2 offset:496
	v_fma_f64 v[65:66], v[49:50], v[75:76], v[65:66]
	ds_read_b128 v[47:50], v2 offset:512
	s_waitcnt vmcnt(44)
	v_fma_f64 v[69:70], v[51:52], v[71:72], -v[69:70]
	v_add_f64 v[63:64], v[117:118], v[63:64]
	v_add_f64 v[3:4], v[3:4], v[73:74]
	s_waitcnt lgkmcnt(1)
	v_mul_f64 v[75:76], v[57:58], v[77:78]
	v_mul_f64 v[73:74], v[55:56], v[77:78]
	v_add_f64 v[63:64], v[63:64], v[67:68]
	v_fma_f64 v[67:68], v[53:54], v[71:72], v[123:124]
	v_add_f64 v[3:4], v[3:4], v[65:66]
	s_waitcnt vmcnt(43) lgkmcnt(0)
	v_mul_f64 v[71:72], v[49:50], v[79:80]
	s_waitcnt vmcnt(41)
	v_fma_f64 v[75:76], v[55:56], v[83:84], -v[75:76]
	ds_read_b128 v[51:54], v2 offset:528
	v_mul_f64 v[65:66], v[47:48], v[79:80]
	v_add_f64 v[63:64], v[63:64], v[69:70]
	v_fma_f64 v[69:70], v[57:58], v[83:84], v[73:74]
	v_add_f64 v[3:4], v[3:4], v[67:68]
	ds_read_b128 v[55:58], v2 offset:544
	s_waitcnt vmcnt(37) lgkmcnt(1)
	v_mul_f64 v[73:74], v[53:54], v[85:86]
	s_waitcnt vmcnt(36)
	v_fma_f64 v[71:72], v[47:48], v[81:82], -v[71:72]
	v_mul_f64 v[67:68], v[51:52], v[85:86]
	v_fma_f64 v[65:66], v[49:50], v[81:82], v[65:66]
	ds_read_b128 v[47:50], v2 offset:560
	v_add_f64 v[63:64], v[63:64], v[75:76]
	s_waitcnt vmcnt(35) lgkmcnt(1)
	v_mul_f64 v[75:76], v[57:58], v[87:88]
	v_add_f64 v[3:4], v[3:4], v[69:70]
	v_mul_f64 v[69:70], v[55:56], v[87:88]
	s_waitcnt vmcnt(33)
	v_fma_f64 v[73:74], v[51:52], v[91:92], -v[73:74]
	v_fma_f64 v[67:68], v[53:54], v[91:92], v[67:68]
	ds_read_b128 v[51:54], v2 offset:576
	v_add_f64 v[63:64], v[63:64], v[71:72]
	s_waitcnt vmcnt(29) lgkmcnt(1)
	v_mul_f64 v[71:72], v[49:50], v[93:94]
	v_add_f64 v[3:4], v[3:4], v[65:66]
	s_waitcnt vmcnt(28)
	v_fma_f64 v[75:76], v[55:56], v[89:90], -v[75:76]
	v_mul_f64 v[65:66], v[47:48], v[93:94]
	v_fma_f64 v[69:70], v[57:58], v[89:90], v[69:70]
	ds_read_b128 v[55:58], v2 offset:592
	v_add_f64 v[63:64], v[63:64], v[73:74]
	s_waitcnt vmcnt(27) lgkmcnt(1)
	v_mul_f64 v[73:74], v[53:54], v[95:96]
	v_add_f64 v[3:4], v[3:4], v[67:68]
	s_waitcnt vmcnt(25)
	v_fma_f64 v[71:72], v[47:48], v[99:100], -v[71:72]
	v_mul_f64 v[67:68], v[51:52], v[95:96]
	;; [unrolled: 9-line block ×6, first 2 shown]
	v_fma_f64 v[53:54], v[53:54], v[115:116], v[67:68]
	s_waitcnt vmcnt(7) lgkmcnt(0)
	v_mul_f64 v[67:68], v[49:50], v[119:120]
	v_add_f64 v[63:64], v[63:64], v[71:72]
	s_waitcnt vmcnt(6)
	v_fma_f64 v[55:56], v[55:56], v[113:114], -v[75:76]
	v_add_f64 v[2:3], v[3:4], v[65:66]
	v_mul_f64 v[65:66], v[47:48], v[119:120]
	v_fma_f64 v[57:58], v[57:58], v[113:114], v[69:70]
	v_add_f64 v[51:52], v[63:64], v[51:52]
	v_add_f64 v[2:3], v[2:3], v[53:54]
	s_waitcnt vmcnt(4)
	v_fma_f64 v[47:48], v[47:48], v[61:62], -v[67:68]
	v_fma_f64 v[49:50], v[49:50], v[61:62], v[65:66]
	v_add_f64 v[51:52], v[51:52], v[55:56]
	v_add_f64 v[2:3], v[2:3], v[57:58]
	;; [unrolled: 1-line block ×4, first 2 shown]
	s_waitcnt vmcnt(2)
	v_add_f64 v[47:48], v[59:60], -v[47:48]
	s_waitcnt vmcnt(0)
	v_add_f64 v[2:3], v[121:122], -v[2:3]
	buffer_store_dword v48, off, s[0:3], 0 offset:84
	buffer_store_dword v47, off, s[0:3], 0 offset:80
	;; [unrolled: 1-line block ×4, first 2 shown]
	v_cmpx_lt_u32_e32 3, v0
	s_cbranch_execz .LBB20_133
; %bb.132:
	v_mov_b32_e32 v2, s29
	s_clause 0x3
	buffer_load_dword v47, v2, s[0:3], 0 offen
	buffer_load_dword v48, v2, s[0:3], 0 offen offset:4
	buffer_load_dword v49, v2, s[0:3], 0 offen offset:8
	;; [unrolled: 1-line block ×3, first 2 shown]
	v_mov_b32_e32 v2, 0
	buffer_store_dword v2, off, s[0:3], 0 offset:64
	buffer_store_dword v2, off, s[0:3], 0 offset:68
	;; [unrolled: 1-line block ×4, first 2 shown]
	s_waitcnt vmcnt(0)
	ds_write_b128 v1, v[47:50]
.LBB20_133:
	s_or_b32 exec_lo, exec_lo, s4
	s_waitcnt lgkmcnt(0)
	s_waitcnt_vscnt null, 0x0
	s_barrier
	buffer_gl0_inv
	s_clause 0x35
	buffer_load_dword v3, off, s[0:3], 0 offset:88
	buffer_load_dword v4, off, s[0:3], 0 offset:92
	buffer_load_dword v59, off, s[0:3], 0 offset:104
	buffer_load_dword v60, off, s[0:3], 0 offset:108
	buffer_load_dword v61, off, s[0:3], 0 offset:80
	buffer_load_dword v62, off, s[0:3], 0 offset:84
	buffer_load_dword v63, off, s[0:3], 0 offset:120
	buffer_load_dword v64, off, s[0:3], 0 offset:124
	buffer_load_dword v65, off, s[0:3], 0 offset:96
	buffer_load_dword v66, off, s[0:3], 0 offset:100
	buffer_load_dword v68, off, s[0:3], 0 offset:140
	buffer_load_dword v67, off, s[0:3], 0 offset:136
	buffer_load_dword v69, off, s[0:3], 0 offset:112
	buffer_load_dword v70, off, s[0:3], 0 offset:116
	buffer_load_dword v71, off, s[0:3], 0 offset:152
	buffer_load_dword v72, off, s[0:3], 0 offset:156
	buffer_load_dword v74, off, s[0:3], 0 offset:132
	buffer_load_dword v73, off, s[0:3], 0 offset:128
	buffer_load_dword v76, off, s[0:3], 0 offset:172
	buffer_load_dword v75, off, s[0:3], 0 offset:168
	buffer_load_dword v77, off, s[0:3], 0 offset:144
	buffer_load_dword v78, off, s[0:3], 0 offset:148
	buffer_load_dword v79, off, s[0:3], 0 offset:184
	buffer_load_dword v80, off, s[0:3], 0 offset:188
	buffer_load_dword v82, off, s[0:3], 0 offset:164
	buffer_load_dword v81, off, s[0:3], 0 offset:160
	buffer_load_dword v84, off, s[0:3], 0 offset:204
	buffer_load_dword v83, off, s[0:3], 0 offset:200
	buffer_load_dword v85, off, s[0:3], 0 offset:176
	buffer_load_dword v86, off, s[0:3], 0 offset:180
	buffer_load_dword v87, off, s[0:3], 0 offset:216
	buffer_load_dword v88, off, s[0:3], 0 offset:220
	buffer_load_dword v90, off, s[0:3], 0 offset:196
	buffer_load_dword v89, off, s[0:3], 0 offset:192
	buffer_load_dword v92, off, s[0:3], 0 offset:236
	buffer_load_dword v91, off, s[0:3], 0 offset:232
	buffer_load_dword v93, off, s[0:3], 0 offset:208
	buffer_load_dword v94, off, s[0:3], 0 offset:212
	buffer_load_dword v95, off, s[0:3], 0 offset:248
	buffer_load_dword v96, off, s[0:3], 0 offset:252
	buffer_load_dword v98, off, s[0:3], 0 offset:228
	buffer_load_dword v97, off, s[0:3], 0 offset:224
	buffer_load_dword v100, off, s[0:3], 0 offset:268
	buffer_load_dword v99, off, s[0:3], 0 offset:264
	buffer_load_dword v101, off, s[0:3], 0 offset:240
	buffer_load_dword v102, off, s[0:3], 0 offset:244
	buffer_load_dword v103, off, s[0:3], 0 offset:280
	buffer_load_dword v104, off, s[0:3], 0 offset:284
	buffer_load_dword v106, off, s[0:3], 0 offset:260
	buffer_load_dword v105, off, s[0:3], 0 offset:256
	buffer_load_dword v108, off, s[0:3], 0 offset:300
	buffer_load_dword v107, off, s[0:3], 0 offset:296
	buffer_load_dword v109, off, s[0:3], 0 offset:272
	buffer_load_dword v110, off, s[0:3], 0 offset:276
	v_mov_b32_e32 v2, 0
	s_mov_b32 s4, exec_lo
	ds_read_b128 v[47:50], v2 offset:400
	s_clause 0x3
	buffer_load_dword v111, off, s[0:3], 0 offset:312
	buffer_load_dword v112, off, s[0:3], 0 offset:316
	;; [unrolled: 1-line block ×4, first 2 shown]
	ds_read_b128 v[51:54], v2 offset:416
	s_clause 0x3
	buffer_load_dword v118, off, s[0:3], 0 offset:332
	buffer_load_dword v117, off, s[0:3], 0 offset:328
	;; [unrolled: 1-line block ×4, first 2 shown]
	ds_read_b128 v[55:58], v2 offset:432
	s_waitcnt vmcnt(60) lgkmcnt(2)
	v_mul_f64 v[115:116], v[49:50], v[3:4]
	v_mul_f64 v[3:4], v[47:48], v[3:4]
	s_waitcnt vmcnt(58) lgkmcnt(1)
	v_mul_f64 v[121:122], v[53:54], v[59:60]
	v_mul_f64 v[59:60], v[51:52], v[59:60]
	;; [unrolled: 3-line block ×3, first 2 shown]
	v_fma_f64 v[115:116], v[47:48], v[61:62], -v[115:116]
	v_fma_f64 v[3:4], v[49:50], v[61:62], v[3:4]
	s_clause 0x3
	buffer_load_dword v61, off, s[0:3], 0 offset:344
	buffer_load_dword v62, off, s[0:3], 0 offset:348
	;; [unrolled: 1-line block ×4, first 2 shown]
	s_waitcnt vmcnt(56)
	v_fma_f64 v[121:122], v[51:52], v[65:66], -v[121:122]
	ds_read_b128 v[47:50], v2 offset:448
	v_fma_f64 v[59:60], v[53:54], v[65:66], v[59:60]
	s_clause 0x1
	buffer_load_dword v65, off, s[0:3], 0 offset:336
	buffer_load_dword v66, off, s[0:3], 0 offset:340
	s_waitcnt vmcnt(54)
	v_fma_f64 v[63:64], v[55:56], v[69:70], -v[63:64]
	ds_read_b128 v[51:54], v2 offset:464
	v_fma_f64 v[69:70], v[57:58], v[69:70], v[125:126]
	ds_read_b128 v[55:58], v2 offset:480
	v_add_f64 v[115:116], v[115:116], 0
	v_add_f64 v[3:4], v[3:4], 0
	s_waitcnt lgkmcnt(2)
	v_mul_f64 v[127:128], v[47:48], v[67:68]
	v_mul_f64 v[67:68], v[49:50], v[67:68]
	v_add_f64 v[115:116], v[115:116], v[121:122]
	v_add_f64 v[3:4], v[3:4], v[59:60]
	s_waitcnt vmcnt(52) lgkmcnt(1)
	v_mul_f64 v[59:60], v[51:52], v[71:72]
	v_mul_f64 v[71:72], v[53:54], v[71:72]
	s_waitcnt vmcnt(50)
	v_fma_f64 v[67:68], v[47:48], v[73:74], -v[67:68]
	v_fma_f64 v[73:74], v[49:50], v[73:74], v[127:128]
	s_waitcnt vmcnt(48) lgkmcnt(0)
	v_mul_f64 v[121:122], v[55:56], v[75:76]
	v_mul_f64 v[75:76], v[57:58], v[75:76]
	v_add_f64 v[63:64], v[115:116], v[63:64]
	v_add_f64 v[3:4], v[3:4], v[69:70]
	s_clause 0x3
	buffer_load_dword v69, off, s[0:3], 0 offset:64
	buffer_load_dword v70, off, s[0:3], 0 offset:68
	;; [unrolled: 1-line block ×4, first 2 shown]
	s_waitcnt vmcnt(50)
	v_fma_f64 v[71:72], v[51:52], v[77:78], -v[71:72]
	ds_read_b128 v[47:50], v2 offset:496
	v_fma_f64 v[59:60], v[53:54], v[77:78], v[59:60]
	ds_read_b128 v[51:54], v2 offset:512
	s_waitcnt vmcnt(46)
	v_fma_f64 v[75:76], v[55:56], v[81:82], -v[75:76]
	v_add_f64 v[63:64], v[63:64], v[67:68]
	v_add_f64 v[3:4], v[3:4], v[73:74]
	s_waitcnt lgkmcnt(1)
	v_mul_f64 v[73:74], v[49:50], v[79:80]
	v_mul_f64 v[67:68], v[47:48], v[79:80]
	s_waitcnt vmcnt(44) lgkmcnt(0)
	v_mul_f64 v[77:78], v[53:54], v[83:84]
	v_add_f64 v[63:64], v[63:64], v[71:72]
	v_fma_f64 v[71:72], v[57:58], v[81:82], v[121:122]
	v_add_f64 v[3:4], v[3:4], v[59:60]
	s_waitcnt vmcnt(42)
	v_fma_f64 v[73:74], v[47:48], v[85:86], -v[73:74]
	ds_read_b128 v[55:58], v2 offset:528
	v_mul_f64 v[59:60], v[51:52], v[83:84]
	v_fma_f64 v[67:68], v[49:50], v[85:86], v[67:68]
	ds_read_b128 v[47:50], v2 offset:544
	s_waitcnt vmcnt(38)
	v_fma_f64 v[77:78], v[51:52], v[89:90], -v[77:78]
	v_add_f64 v[63:64], v[63:64], v[75:76]
	v_add_f64 v[3:4], v[3:4], v[71:72]
	s_waitcnt lgkmcnt(1)
	v_mul_f64 v[75:76], v[57:58], v[87:88]
	v_mul_f64 v[71:72], v[55:56], v[87:88]
	v_fma_f64 v[59:60], v[53:54], v[89:90], v[59:60]
	ds_read_b128 v[51:54], v2 offset:560
	v_add_f64 v[63:64], v[63:64], v[73:74]
	s_waitcnt vmcnt(36) lgkmcnt(1)
	v_mul_f64 v[73:74], v[49:50], v[91:92]
	v_add_f64 v[3:4], v[3:4], v[67:68]
	s_waitcnt vmcnt(34)
	v_fma_f64 v[75:76], v[55:56], v[93:94], -v[75:76]
	v_mul_f64 v[67:68], v[47:48], v[91:92]
	v_fma_f64 v[71:72], v[57:58], v[93:94], v[71:72]
	ds_read_b128 v[55:58], v2 offset:576
	v_add_f64 v[63:64], v[63:64], v[77:78]
	s_waitcnt vmcnt(32) lgkmcnt(1)
	v_mul_f64 v[77:78], v[53:54], v[95:96]
	v_add_f64 v[3:4], v[3:4], v[59:60]
	s_waitcnt vmcnt(30)
	v_fma_f64 v[73:74], v[47:48], v[97:98], -v[73:74]
	;; [unrolled: 9-line block ×7, first 2 shown]
	v_mul_f64 v[67:68], v[47:48], v[117:118]
	v_fma_f64 v[57:58], v[57:58], v[119:120], v[71:72]
	v_add_f64 v[63:64], v[63:64], v[77:78]
	v_add_f64 v[3:4], v[3:4], v[59:60]
	s_waitcnt vmcnt(8) lgkmcnt(0)
	v_mul_f64 v[59:60], v[51:52], v[61:62]
	v_mul_f64 v[61:62], v[53:54], v[61:62]
	s_waitcnt vmcnt(6)
	v_fma_f64 v[47:48], v[47:48], v[123:124], -v[73:74]
	v_fma_f64 v[49:50], v[49:50], v[123:124], v[67:68]
	v_add_f64 v[55:56], v[63:64], v[55:56]
	v_add_f64 v[3:4], v[3:4], v[57:58]
	s_waitcnt vmcnt(4)
	v_fma_f64 v[53:54], v[53:54], v[65:66], v[59:60]
	v_fma_f64 v[51:52], v[51:52], v[65:66], -v[61:62]
	v_add_f64 v[47:48], v[55:56], v[47:48]
	v_add_f64 v[3:4], v[3:4], v[49:50]
	v_add_f64 v[47:48], v[47:48], v[51:52]
	v_add_f64 v[3:4], v[3:4], v[53:54]
	s_waitcnt vmcnt(2)
	v_add_f64 v[47:48], v[69:70], -v[47:48]
	s_waitcnt vmcnt(0)
	v_add_f64 v[3:4], v[115:116], -v[3:4]
	buffer_store_dword v48, off, s[0:3], 0 offset:68
	buffer_store_dword v47, off, s[0:3], 0 offset:64
	;; [unrolled: 1-line block ×4, first 2 shown]
	v_cmpx_lt_u32_e32 2, v0
	s_cbranch_execz .LBB20_135
; %bb.134:
	v_mov_b32_e32 v3, s30
	s_clause 0x3
	buffer_load_dword v47, v3, s[0:3], 0 offen
	buffer_load_dword v48, v3, s[0:3], 0 offen offset:4
	buffer_load_dword v49, v3, s[0:3], 0 offen offset:8
	;; [unrolled: 1-line block ×3, first 2 shown]
	buffer_store_dword v2, off, s[0:3], 0 offset:48
	buffer_store_dword v2, off, s[0:3], 0 offset:52
	;; [unrolled: 1-line block ×4, first 2 shown]
	s_waitcnt vmcnt(0)
	ds_write_b128 v1, v[47:50]
.LBB20_135:
	s_or_b32 exec_lo, exec_lo, s4
	s_waitcnt lgkmcnt(0)
	s_waitcnt_vscnt null, 0x0
	s_barrier
	buffer_gl0_inv
	s_clause 0x37
	buffer_load_dword v3, off, s[0:3], 0 offset:72
	buffer_load_dword v4, off, s[0:3], 0 offset:76
	buffer_load_dword v59, off, s[0:3], 0 offset:88
	buffer_load_dword v60, off, s[0:3], 0 offset:92
	buffer_load_dword v61, off, s[0:3], 0 offset:64
	buffer_load_dword v62, off, s[0:3], 0 offset:68
	buffer_load_dword v63, off, s[0:3], 0 offset:104
	buffer_load_dword v64, off, s[0:3], 0 offset:108
	buffer_load_dword v65, off, s[0:3], 0 offset:80
	buffer_load_dword v66, off, s[0:3], 0 offset:84
	buffer_load_dword v68, off, s[0:3], 0 offset:124
	buffer_load_dword v69, off, s[0:3], 0 offset:136
	buffer_load_dword v71, off, s[0:3], 0 offset:128
	buffer_load_dword v67, off, s[0:3], 0 offset:120
	buffer_load_dword v73, off, s[0:3], 0 offset:96
	buffer_load_dword v74, off, s[0:3], 0 offset:100
	buffer_load_dword v70, off, s[0:3], 0 offset:140
	buffer_load_dword v76, off, s[0:3], 0 offset:116
	buffer_load_dword v75, off, s[0:3], 0 offset:112
	buffer_load_dword v78, off, s[0:3], 0 offset:156
	buffer_load_dword v79, off, s[0:3], 0 offset:168
	buffer_load_dword v81, off, s[0:3], 0 offset:160
	buffer_load_dword v77, off, s[0:3], 0 offset:152
	buffer_load_dword v72, off, s[0:3], 0 offset:132
	buffer_load_dword v80, off, s[0:3], 0 offset:172
	buffer_load_dword v84, off, s[0:3], 0 offset:148
	buffer_load_dword v83, off, s[0:3], 0 offset:144
	buffer_load_dword v86, off, s[0:3], 0 offset:188
	buffer_load_dword v87, off, s[0:3], 0 offset:200
	buffer_load_dword v89, off, s[0:3], 0 offset:192
	buffer_load_dword v85, off, s[0:3], 0 offset:184
	buffer_load_dword v82, off, s[0:3], 0 offset:164
	buffer_load_dword v88, off, s[0:3], 0 offset:204
	buffer_load_dword v92, off, s[0:3], 0 offset:180
	buffer_load_dword v91, off, s[0:3], 0 offset:176
	buffer_load_dword v94, off, s[0:3], 0 offset:220
	buffer_load_dword v95, off, s[0:3], 0 offset:232
	buffer_load_dword v97, off, s[0:3], 0 offset:224
	buffer_load_dword v93, off, s[0:3], 0 offset:216
	buffer_load_dword v90, off, s[0:3], 0 offset:196
	buffer_load_dword v96, off, s[0:3], 0 offset:236
	buffer_load_dword v100, off, s[0:3], 0 offset:212
	buffer_load_dword v99, off, s[0:3], 0 offset:208
	buffer_load_dword v102, off, s[0:3], 0 offset:252
	buffer_load_dword v103, off, s[0:3], 0 offset:264
	buffer_load_dword v105, off, s[0:3], 0 offset:256
	buffer_load_dword v101, off, s[0:3], 0 offset:248
	buffer_load_dword v98, off, s[0:3], 0 offset:228
	buffer_load_dword v104, off, s[0:3], 0 offset:268
	buffer_load_dword v108, off, s[0:3], 0 offset:244
	buffer_load_dword v107, off, s[0:3], 0 offset:240
	buffer_load_dword v110, off, s[0:3], 0 offset:284
	buffer_load_dword v111, off, s[0:3], 0 offset:296
	buffer_load_dword v113, off, s[0:3], 0 offset:288
	buffer_load_dword v109, off, s[0:3], 0 offset:280
	buffer_load_dword v106, off, s[0:3], 0 offset:260
	ds_read_b128 v[47:50], v2 offset:384
	s_clause 0x2
	buffer_load_dword v112, off, s[0:3], 0 offset:300
	buffer_load_dword v116, off, s[0:3], 0 offset:276
	;; [unrolled: 1-line block ×3, first 2 shown]
	ds_read_b128 v[51:54], v2 offset:400
	s_clause 0x4
	buffer_load_dword v120, off, s[0:3], 0 offset:316
	buffer_load_dword v121, off, s[0:3], 0 offset:328
	buffer_load_dword v123, off, s[0:3], 0 offset:320
	buffer_load_dword v119, off, s[0:3], 0 offset:312
	buffer_load_dword v114, off, s[0:3], 0 offset:292
	ds_read_b128 v[55:58], v2 offset:416
	s_mov_b32 s4, exec_lo
	s_waitcnt vmcnt(62) lgkmcnt(2)
	v_mul_f64 v[117:118], v[49:50], v[3:4]
	v_mul_f64 v[3:4], v[47:48], v[3:4]
	s_waitcnt vmcnt(60) lgkmcnt(1)
	v_mul_f64 v[124:125], v[53:54], v[59:60]
	v_mul_f64 v[59:60], v[51:52], v[59:60]
	;; [unrolled: 3-line block ×3, first 2 shown]
	v_fma_f64 v[117:118], v[47:48], v[61:62], -v[117:118]
	v_fma_f64 v[3:4], v[49:50], v[61:62], v[3:4]
	s_clause 0x2
	buffer_load_dword v122, off, s[0:3], 0 offset:332
	buffer_load_dword v62, off, s[0:3], 0 offset:308
	;; [unrolled: 1-line block ×3, first 2 shown]
	s_waitcnt vmcnt(57)
	v_fma_f64 v[128:129], v[51:52], v[65:66], -v[124:125]
	ds_read_b128 v[47:50], v2 offset:432
	v_fma_f64 v[59:60], v[53:54], v[65:66], v[59:60]
	s_clause 0x2
	buffer_load_dword v66, off, s[0:3], 0 offset:348
	buffer_load_dword v65, off, s[0:3], 0 offset:344
	buffer_load_dword v124, off, s[0:3], 0 offset:324
	s_waitcnt vmcnt(54)
	v_fma_f64 v[63:64], v[55:56], v[73:74], -v[63:64]
	ds_read_b128 v[51:54], v2 offset:448
	v_fma_f64 v[73:74], v[57:58], v[73:74], v[126:127]
	v_add_f64 v[117:118], v[117:118], 0
	v_add_f64 v[3:4], v[3:4], 0
	s_waitcnt lgkmcnt(1)
	v_mul_f64 v[130:131], v[47:48], v[67:68]
	v_mul_f64 v[67:68], v[49:50], v[67:68]
	s_waitcnt vmcnt(53) lgkmcnt(0)
	v_mul_f64 v[125:126], v[51:52], v[69:70]
	v_mul_f64 v[69:70], v[53:54], v[69:70]
	v_add_f64 v[117:118], v[117:118], v[128:129]
	v_add_f64 v[3:4], v[3:4], v[59:60]
	s_clause 0x1
	buffer_load_dword v60, off, s[0:3], 0 offset:340
	buffer_load_dword v59, off, s[0:3], 0 offset:336
	s_waitcnt vmcnt(53)
	v_fma_f64 v[67:68], v[47:48], v[75:76], -v[67:68]
	ds_read_b128 v[55:58], v2 offset:464
	v_fma_f64 v[75:76], v[49:50], v[75:76], v[130:131]
	ds_read_b128 v[47:50], v2 offset:480
	s_waitcnt vmcnt(48)
	v_fma_f64 v[69:70], v[51:52], v[71:72], -v[69:70]
	v_add_f64 v[63:64], v[117:118], v[63:64]
	v_add_f64 v[3:4], v[3:4], v[73:74]
	s_waitcnt lgkmcnt(1)
	v_mul_f64 v[73:74], v[55:56], v[77:78]
	v_mul_f64 v[77:78], v[57:58], v[77:78]
	s_waitcnt vmcnt(47) lgkmcnt(0)
	v_mul_f64 v[117:118], v[47:48], v[79:80]
	v_mul_f64 v[79:80], v[49:50], v[79:80]
	v_add_f64 v[63:64], v[63:64], v[67:68]
	v_fma_f64 v[67:68], v[53:54], v[71:72], v[125:126]
	v_add_f64 v[3:4], v[3:4], v[75:76]
	s_clause 0x3
	buffer_load_dword v71, off, s[0:3], 0 offset:48
	buffer_load_dword v72, off, s[0:3], 0 offset:52
	;; [unrolled: 1-line block ×4, first 2 shown]
	s_waitcnt vmcnt(49)
	v_fma_f64 v[77:78], v[55:56], v[83:84], -v[77:78]
	ds_read_b128 v[51:54], v2 offset:496
	s_waitcnt vmcnt(44)
	v_fma_f64 v[79:80], v[47:48], v[81:82], -v[79:80]
	v_add_f64 v[63:64], v[63:64], v[69:70]
	v_fma_f64 v[69:70], v[57:58], v[83:84], v[73:74]
	v_add_f64 v[3:4], v[3:4], v[67:68]
	ds_read_b128 v[55:58], v2 offset:512
	s_waitcnt lgkmcnt(1)
	v_mul_f64 v[73:74], v[53:54], v[85:86]
	v_mul_f64 v[67:68], v[51:52], v[85:86]
	v_add_f64 v[63:64], v[63:64], v[77:78]
	v_fma_f64 v[77:78], v[49:50], v[81:82], v[117:118]
	v_add_f64 v[3:4], v[3:4], v[69:70]
	s_waitcnt vmcnt(43) lgkmcnt(0)
	v_mul_f64 v[81:82], v[57:58], v[87:88]
	s_waitcnt vmcnt(41)
	v_fma_f64 v[73:74], v[51:52], v[91:92], -v[73:74]
	ds_read_b128 v[47:50], v2 offset:528
	v_mul_f64 v[69:70], v[55:56], v[87:88]
	v_fma_f64 v[67:68], v[53:54], v[91:92], v[67:68]
	ds_read_b128 v[51:54], v2 offset:544
	v_add_f64 v[63:64], v[63:64], v[79:80]
	v_add_f64 v[3:4], v[3:4], v[77:78]
	s_waitcnt vmcnt(37) lgkmcnt(1)
	v_mul_f64 v[79:80], v[49:50], v[93:94]
	s_waitcnt vmcnt(36)
	v_fma_f64 v[81:82], v[55:56], v[89:90], -v[81:82]
	v_mul_f64 v[77:78], v[47:48], v[93:94]
	v_fma_f64 v[69:70], v[57:58], v[89:90], v[69:70]
	ds_read_b128 v[55:58], v2 offset:560
	v_add_f64 v[63:64], v[63:64], v[73:74]
	s_waitcnt vmcnt(35) lgkmcnt(1)
	v_mul_f64 v[73:74], v[53:54], v[95:96]
	v_add_f64 v[3:4], v[3:4], v[67:68]
	s_waitcnt vmcnt(33)
	v_fma_f64 v[79:80], v[47:48], v[99:100], -v[79:80]
	v_mul_f64 v[67:68], v[51:52], v[95:96]
	v_fma_f64 v[77:78], v[49:50], v[99:100], v[77:78]
	ds_read_b128 v[47:50], v2 offset:576
	v_add_f64 v[63:64], v[63:64], v[81:82]
	s_waitcnt vmcnt(29) lgkmcnt(1)
	v_mul_f64 v[81:82], v[57:58], v[101:102]
	v_add_f64 v[3:4], v[3:4], v[69:70]
	;; [unrolled: 9-line block ×6, first 2 shown]
	s_waitcnt vmcnt(12)
	v_fma_f64 v[81:82], v[55:56], v[113:114], -v[81:82]
	v_mul_f64 v[77:78], v[47:48], v[119:120]
	v_fma_f64 v[69:70], v[57:58], v[113:114], v[69:70]
	ds_read_b128 v[55:58], v2 offset:656
	v_add_f64 v[63:64], v[63:64], v[73:74]
	v_add_f64 v[3:4], v[3:4], v[67:68]
	s_waitcnt vmcnt(11) lgkmcnt(1)
	v_mul_f64 v[73:74], v[53:54], v[121:122]
	v_mul_f64 v[67:68], v[51:52], v[121:122]
	s_waitcnt vmcnt(9)
	v_fma_f64 v[47:48], v[47:48], v[61:62], -v[79:80]
	v_fma_f64 v[49:50], v[49:50], v[61:62], v[77:78]
	s_waitcnt vmcnt(7) lgkmcnt(0)
	v_mul_f64 v[61:62], v[55:56], v[65:66]
	v_mul_f64 v[65:66], v[57:58], v[65:66]
	v_add_f64 v[63:64], v[63:64], v[81:82]
	v_add_f64 v[2:3], v[3:4], v[69:70]
	s_waitcnt vmcnt(6)
	v_fma_f64 v[51:52], v[51:52], v[123:124], -v[73:74]
	v_fma_f64 v[53:54], v[53:54], v[123:124], v[67:68]
	v_add_f64 v[47:48], v[63:64], v[47:48]
	v_add_f64 v[2:3], v[2:3], v[49:50]
	s_waitcnt vmcnt(4)
	v_fma_f64 v[49:50], v[55:56], v[59:60], -v[65:66]
	v_add_f64 v[47:48], v[47:48], v[51:52]
	v_fma_f64 v[51:52], v[57:58], v[59:60], v[61:62]
	v_add_f64 v[2:3], v[2:3], v[53:54]
	v_add_f64 v[47:48], v[47:48], v[49:50]
	;; [unrolled: 1-line block ×3, first 2 shown]
	s_waitcnt vmcnt(2)
	v_add_f64 v[47:48], v[71:72], -v[47:48]
	s_waitcnt vmcnt(0)
	v_add_f64 v[2:3], v[75:76], -v[2:3]
	buffer_store_dword v48, off, s[0:3], 0 offset:52
	buffer_store_dword v47, off, s[0:3], 0 offset:48
	buffer_store_dword v3, off, s[0:3], 0 offset:60
	buffer_store_dword v2, off, s[0:3], 0 offset:56
	v_cmpx_lt_u32_e32 1, v0
	s_cbranch_execz .LBB20_137
; %bb.136:
	v_mov_b32_e32 v2, s31
	s_clause 0x3
	buffer_load_dword v47, v2, s[0:3], 0 offen
	buffer_load_dword v48, v2, s[0:3], 0 offen offset:4
	buffer_load_dword v49, v2, s[0:3], 0 offen offset:8
	;; [unrolled: 1-line block ×3, first 2 shown]
	v_mov_b32_e32 v2, 0
	buffer_store_dword v2, off, s[0:3], 0 offset:32
	buffer_store_dword v2, off, s[0:3], 0 offset:36
	;; [unrolled: 1-line block ×4, first 2 shown]
	s_waitcnt vmcnt(0)
	ds_write_b128 v1, v[47:50]
.LBB20_137:
	s_or_b32 exec_lo, exec_lo, s4
	s_waitcnt lgkmcnt(0)
	s_waitcnt_vscnt null, 0x0
	s_barrier
	buffer_gl0_inv
	s_clause 0x37
	buffer_load_dword v3, off, s[0:3], 0 offset:56
	buffer_load_dword v4, off, s[0:3], 0 offset:60
	;; [unrolled: 1-line block ×56, first 2 shown]
	v_mov_b32_e32 v2, 0
	s_mov_b32 s4, exec_lo
	ds_read_b128 v[47:50], v2 offset:368
	s_clause 0x2
	buffer_load_dword v112, off, s[0:3], 0 offset:284
	buffer_load_dword v116, off, s[0:3], 0 offset:260
	;; [unrolled: 1-line block ×3, first 2 shown]
	ds_read_b128 v[51:54], v2 offset:384
	s_clause 0x4
	buffer_load_dword v120, off, s[0:3], 0 offset:300
	buffer_load_dword v121, off, s[0:3], 0 offset:312
	;; [unrolled: 1-line block ×5, first 2 shown]
	ds_read_b128 v[55:58], v2 offset:400
	s_waitcnt vmcnt(62) lgkmcnt(2)
	v_mul_f64 v[117:118], v[49:50], v[3:4]
	v_mul_f64 v[3:4], v[47:48], v[3:4]
	s_waitcnt vmcnt(60) lgkmcnt(1)
	v_mul_f64 v[124:125], v[53:54], v[59:60]
	v_mul_f64 v[59:60], v[51:52], v[59:60]
	s_waitcnt vmcnt(56) lgkmcnt(0)
	v_mul_f64 v[126:127], v[55:56], v[63:64]
	v_mul_f64 v[63:64], v[57:58], v[63:64]
	v_fma_f64 v[117:118], v[47:48], v[61:62], -v[117:118]
	v_fma_f64 v[3:4], v[49:50], v[61:62], v[3:4]
	s_clause 0x2
	buffer_load_dword v122, off, s[0:3], 0 offset:316
	buffer_load_dword v62, off, s[0:3], 0 offset:292
	;; [unrolled: 1-line block ×3, first 2 shown]
	s_waitcnt vmcnt(57)
	v_fma_f64 v[128:129], v[51:52], v[65:66], -v[124:125]
	ds_read_b128 v[47:50], v2 offset:416
	v_fma_f64 v[59:60], v[53:54], v[65:66], v[59:60]
	s_clause 0x4
	buffer_load_dword v66, off, s[0:3], 0 offset:332
	buffer_load_dword v125, off, s[0:3], 0 offset:344
	;; [unrolled: 1-line block ×5, first 2 shown]
	s_waitcnt vmcnt(56)
	v_fma_f64 v[63:64], v[55:56], v[73:74], -v[63:64]
	ds_read_b128 v[51:54], v2 offset:432
	v_fma_f64 v[73:74], v[57:58], v[73:74], v[126:127]
	v_add_f64 v[117:118], v[117:118], 0
	v_add_f64 v[3:4], v[3:4], 0
	s_waitcnt lgkmcnt(1)
	v_mul_f64 v[131:132], v[47:48], v[67:68]
	v_mul_f64 v[67:68], v[49:50], v[67:68]
	v_add_f64 v[117:118], v[117:118], v[128:129]
	v_add_f64 v[3:4], v[3:4], v[59:60]
	s_clause 0x2
	buffer_load_dword v126, off, s[0:3], 0 offset:348
	buffer_load_dword v60, off, s[0:3], 0 offset:324
	;; [unrolled: 1-line block ×3, first 2 shown]
	s_waitcnt vmcnt(58) lgkmcnt(0)
	v_mul_f64 v[127:128], v[51:52], v[69:70]
	v_mul_f64 v[69:70], v[53:54], v[69:70]
	s_waitcnt vmcnt(56)
	v_fma_f64 v[67:68], v[47:48], v[75:76], -v[67:68]
	ds_read_b128 v[55:58], v2 offset:448
	v_fma_f64 v[75:76], v[49:50], v[75:76], v[131:132]
	buffer_load_dword v131, off, s[0:3], 0 offset:340
	ds_read_b128 v[47:50], v2 offset:464
	v_add_f64 v[63:64], v[117:118], v[63:64]
	v_add_f64 v[3:4], v[3:4], v[73:74]
	s_waitcnt vmcnt(53) lgkmcnt(1)
	v_mul_f64 v[73:74], v[55:56], v[77:78]
	v_mul_f64 v[77:78], v[57:58], v[77:78]
	s_waitcnt vmcnt(52)
	v_fma_f64 v[69:70], v[51:52], v[71:72], -v[69:70]
	v_add_f64 v[63:64], v[63:64], v[67:68]
	v_fma_f64 v[67:68], v[53:54], v[71:72], v[127:128]
	v_add_f64 v[3:4], v[3:4], v[75:76]
	s_waitcnt vmcnt(51) lgkmcnt(0)
	v_mul_f64 v[75:76], v[49:50], v[79:80]
	ds_read_b128 v[51:54], v2 offset:480
	s_waitcnt vmcnt(49)
	v_fma_f64 v[77:78], v[55:56], v[83:84], -v[77:78]
	v_mul_f64 v[71:72], v[47:48], v[79:80]
	v_add_f64 v[63:64], v[63:64], v[69:70]
	v_fma_f64 v[69:70], v[57:58], v[83:84], v[73:74]
	v_add_f64 v[3:4], v[3:4], v[67:68]
	s_clause 0x3
	buffer_load_dword v67, off, s[0:3], 0 offset:32
	buffer_load_dword v68, off, s[0:3], 0 offset:36
	;; [unrolled: 1-line block ×4, first 2 shown]
	s_waitcnt vmcnt(49) lgkmcnt(0)
	v_mul_f64 v[83:84], v[53:54], v[85:86]
	s_waitcnt vmcnt(48)
	v_fma_f64 v[75:76], v[47:48], v[81:82], -v[75:76]
	ds_read_b128 v[55:58], v2 offset:496
	v_mul_f64 v[79:80], v[51:52], v[85:86]
	v_fma_f64 v[71:72], v[49:50], v[81:82], v[71:72]
	ds_read_b128 v[47:50], v2 offset:512
	v_add_f64 v[63:64], v[63:64], v[77:78]
	v_add_f64 v[3:4], v[3:4], v[69:70]
	s_waitcnt vmcnt(47) lgkmcnt(1)
	v_mul_f64 v[77:78], v[57:58], v[87:88]
	s_waitcnt vmcnt(45)
	v_fma_f64 v[81:82], v[51:52], v[91:92], -v[83:84]
	v_mul_f64 v[69:70], v[55:56], v[87:88]
	v_add_f64 v[63:64], v[63:64], v[75:76]
	v_fma_f64 v[75:76], v[53:54], v[91:92], v[79:80]
	v_add_f64 v[3:4], v[3:4], v[71:72]
	s_waitcnt vmcnt(41) lgkmcnt(0)
	v_mul_f64 v[79:80], v[49:50], v[93:94]
	s_waitcnt vmcnt(40)
	v_fma_f64 v[77:78], v[55:56], v[89:90], -v[77:78]
	ds_read_b128 v[51:54], v2 offset:528
	v_mul_f64 v[71:72], v[47:48], v[93:94]
	v_fma_f64 v[69:70], v[57:58], v[89:90], v[69:70]
	ds_read_b128 v[55:58], v2 offset:544
	v_add_f64 v[63:64], v[63:64], v[81:82]
	v_add_f64 v[3:4], v[3:4], v[75:76]
	s_waitcnt vmcnt(39) lgkmcnt(1)
	v_mul_f64 v[81:82], v[53:54], v[95:96]
	s_waitcnt vmcnt(37)
	v_fma_f64 v[79:80], v[47:48], v[99:100], -v[79:80]
	v_mul_f64 v[75:76], v[51:52], v[95:96]
	v_fma_f64 v[71:72], v[49:50], v[99:100], v[71:72]
	ds_read_b128 v[47:50], v2 offset:560
	v_add_f64 v[63:64], v[63:64], v[77:78]
	s_waitcnt vmcnt(33) lgkmcnt(1)
	v_mul_f64 v[77:78], v[57:58], v[101:102]
	v_add_f64 v[3:4], v[3:4], v[69:70]
	s_waitcnt vmcnt(32)
	v_fma_f64 v[81:82], v[51:52], v[97:98], -v[81:82]
	v_mul_f64 v[69:70], v[55:56], v[101:102]
	v_fma_f64 v[75:76], v[53:54], v[97:98], v[75:76]
	ds_read_b128 v[51:54], v2 offset:576
	v_add_f64 v[63:64], v[63:64], v[79:80]
	s_waitcnt vmcnt(31) lgkmcnt(1)
	v_mul_f64 v[79:80], v[49:50], v[103:104]
	v_add_f64 v[3:4], v[3:4], v[71:72]
	;; [unrolled: 9-line block ×5, first 2 shown]
	s_waitcnt vmcnt(16)
	v_fma_f64 v[77:78], v[55:56], v[113:114], -v[77:78]
	v_mul_f64 v[71:72], v[47:48], v[119:120]
	v_fma_f64 v[69:70], v[57:58], v[113:114], v[69:70]
	ds_read_b128 v[55:58], v2 offset:640
	v_add_f64 v[63:64], v[63:64], v[81:82]
	v_add_f64 v[3:4], v[3:4], v[75:76]
	s_waitcnt vmcnt(15) lgkmcnt(1)
	v_mul_f64 v[81:82], v[53:54], v[121:122]
	v_mul_f64 v[75:76], v[51:52], v[121:122]
	s_waitcnt vmcnt(13)
	v_fma_f64 v[79:80], v[47:48], v[61:62], -v[79:80]
	v_fma_f64 v[61:62], v[49:50], v[61:62], v[71:72]
	ds_read_b128 v[47:50], v2 offset:656
	v_add_f64 v[63:64], v[63:64], v[77:78]
	v_add_f64 v[3:4], v[3:4], v[69:70]
	s_waitcnt vmcnt(9) lgkmcnt(1)
	v_mul_f64 v[69:70], v[55:56], v[65:66]
	v_mul_f64 v[65:66], v[57:58], v[65:66]
	s_waitcnt vmcnt(8)
	v_fma_f64 v[51:52], v[51:52], v[123:124], -v[81:82]
	v_fma_f64 v[53:54], v[53:54], v[123:124], v[75:76]
	v_add_f64 v[63:64], v[63:64], v[79:80]
	v_add_f64 v[3:4], v[3:4], v[61:62]
	s_waitcnt vmcnt(7) lgkmcnt(0)
	v_mul_f64 v[71:72], v[49:50], v[125:126]
	v_mul_f64 v[61:62], v[47:48], v[125:126]
	s_waitcnt vmcnt(5)
	v_fma_f64 v[55:56], v[55:56], v[59:60], -v[65:66]
	v_fma_f64 v[57:58], v[57:58], v[59:60], v[69:70]
	v_add_f64 v[51:52], v[63:64], v[51:52]
	v_add_f64 v[3:4], v[3:4], v[53:54]
	s_waitcnt vmcnt(4)
	v_fma_f64 v[47:48], v[47:48], v[130:131], -v[71:72]
	v_fma_f64 v[49:50], v[49:50], v[130:131], v[61:62]
	v_add_f64 v[51:52], v[51:52], v[55:56]
	v_add_f64 v[3:4], v[3:4], v[57:58]
	v_add_f64 v[47:48], v[51:52], v[47:48]
	v_add_f64 v[3:4], v[3:4], v[49:50]
	s_waitcnt vmcnt(2)
	v_add_f64 v[47:48], v[67:68], -v[47:48]
	s_waitcnt vmcnt(0)
	v_add_f64 v[3:4], v[73:74], -v[3:4]
	buffer_store_dword v48, off, s[0:3], 0 offset:36
	buffer_store_dword v47, off, s[0:3], 0 offset:32
	;; [unrolled: 1-line block ×4, first 2 shown]
	v_cmpx_ne_u32_e32 0, v0
	s_cbranch_execz .LBB20_139
; %bb.138:
	s_clause 0x3
	buffer_load_dword v47, off, s[0:3], 0 offset:16
	buffer_load_dword v48, off, s[0:3], 0 offset:20
	;; [unrolled: 1-line block ×4, first 2 shown]
	buffer_store_dword v2, off, s[0:3], 0 offset:16
	buffer_store_dword v2, off, s[0:3], 0 offset:20
	;; [unrolled: 1-line block ×4, first 2 shown]
	s_waitcnt vmcnt(0)
	ds_write_b128 v1, v[47:50]
.LBB20_139:
	s_or_b32 exec_lo, exec_lo, s4
	s_waitcnt lgkmcnt(0)
	s_waitcnt_vscnt null, 0x0
	s_barrier
	buffer_gl0_inv
	s_clause 0x37
	buffer_load_dword v0, off, s[0:3], 0 offset:40
	buffer_load_dword v1, off, s[0:3], 0 offset:44
	;; [unrolled: 1-line block ×56, first 2 shown]
	ds_read_b128 v[47:50], v2 offset:352
	s_clause 0x2
	buffer_load_dword v110, off, s[0:3], 0 offset:268
	buffer_load_dword v114, off, s[0:3], 0 offset:244
	;; [unrolled: 1-line block ×3, first 2 shown]
	ds_read_b128 v[51:54], v2 offset:368
	s_clause 0x4
	buffer_load_dword v118, off, s[0:3], 0 offset:284
	buffer_load_dword v119, off, s[0:3], 0 offset:296
	;; [unrolled: 1-line block ×5, first 2 shown]
	ds_read_b128 v[55:58], v2 offset:384
	s_and_b32 vcc_lo, exec_lo, s33
	s_waitcnt vmcnt(62) lgkmcnt(2)
	v_mul_f64 v[115:116], v[49:50], v[0:1]
	v_mul_f64 v[0:1], v[47:48], v[0:1]
	s_waitcnt vmcnt(60) lgkmcnt(1)
	v_mul_f64 v[122:123], v[53:54], v[3:4]
	v_mul_f64 v[3:4], v[51:52], v[3:4]
	;; [unrolled: 3-line block ×3, first 2 shown]
	v_fma_f64 v[115:116], v[47:48], v[59:60], -v[115:116]
	v_fma_f64 v[0:1], v[49:50], v[59:60], v[0:1]
	s_clause 0x2
	buffer_load_dword v120, off, s[0:3], 0 offset:300
	buffer_load_dword v60, off, s[0:3], 0 offset:276
	;; [unrolled: 1-line block ×3, first 2 shown]
	s_waitcnt vmcnt(57)
	v_fma_f64 v[126:127], v[51:52], v[63:64], -v[122:123]
	ds_read_b128 v[47:50], v2 offset:400
	v_fma_f64 v[3:4], v[53:54], v[63:64], v[3:4]
	s_clause 0x4
	buffer_load_dword v64, off, s[0:3], 0 offset:316
	buffer_load_dword v123, off, s[0:3], 0 offset:328
	;; [unrolled: 1-line block ×5, first 2 shown]
	s_waitcnt vmcnt(56)
	v_fma_f64 v[61:62], v[55:56], v[71:72], -v[61:62]
	ds_read_b128 v[51:54], v2 offset:416
	v_fma_f64 v[71:72], v[57:58], v[71:72], v[124:125]
	v_add_f64 v[115:116], v[115:116], 0
	v_add_f64 v[0:1], v[0:1], 0
	s_waitcnt lgkmcnt(1)
	v_mul_f64 v[129:130], v[47:48], v[65:66]
	v_mul_f64 v[65:66], v[49:50], v[65:66]
	v_add_f64 v[115:116], v[115:116], v[126:127]
	v_add_f64 v[0:1], v[0:1], v[3:4]
	s_clause 0x2
	buffer_load_dword v124, off, s[0:3], 0 offset:332
	buffer_load_dword v126, off, s[0:3], 0 offset:308
	;; [unrolled: 1-line block ×3, first 2 shown]
	s_waitcnt vmcnt(58) lgkmcnt(0)
	v_mul_f64 v[3:4], v[51:52], v[67:68]
	v_mul_f64 v[67:68], v[53:54], v[67:68]
	s_waitcnt vmcnt(56)
	v_fma_f64 v[65:66], v[47:48], v[73:74], -v[65:66]
	ds_read_b128 v[55:58], v2 offset:432
	v_fma_f64 v[73:74], v[49:50], v[73:74], v[129:130]
	v_add_f64 v[61:62], v[115:116], v[61:62]
	v_add_f64 v[0:1], v[0:1], v[71:72]
	s_clause 0x2
	buffer_load_dword v72, off, s[0:3], 0 offset:348
	buffer_load_dword v71, off, s[0:3], 0 offset:344
	;; [unrolled: 1-line block ×3, first 2 shown]
	ds_read_b128 v[47:50], v2 offset:448
	s_waitcnt vmcnt(55) lgkmcnt(1)
	v_mul_f64 v[115:116], v[55:56], v[75:76]
	v_mul_f64 v[75:76], v[57:58], v[75:76]
	s_waitcnt vmcnt(54)
	v_fma_f64 v[67:68], v[51:52], v[69:70], -v[67:68]
	v_fma_f64 v[3:4], v[53:54], v[69:70], v[3:4]
	v_add_f64 v[61:62], v[61:62], v[65:66]
	v_add_f64 v[0:1], v[0:1], v[73:74]
	s_clause 0x1
	buffer_load_dword v66, off, s[0:3], 0 offset:340
	buffer_load_dword v65, off, s[0:3], 0 offset:336
	s_waitcnt vmcnt(55) lgkmcnt(0)
	v_mul_f64 v[73:74], v[49:50], v[77:78]
	ds_read_b128 v[51:54], v2 offset:464
	s_waitcnt vmcnt(53)
	v_fma_f64 v[75:76], v[55:56], v[81:82], -v[75:76]
	v_mul_f64 v[69:70], v[47:48], v[77:78]
	v_add_f64 v[61:62], v[61:62], v[67:68]
	v_fma_f64 v[67:68], v[57:58], v[81:82], v[115:116]
	v_add_f64 v[0:1], v[0:1], v[3:4]
	ds_read_b128 v[55:58], v2 offset:480
	s_waitcnt vmcnt(49) lgkmcnt(1)
	v_mul_f64 v[77:78], v[53:54], v[83:84]
	s_waitcnt vmcnt(48)
	v_fma_f64 v[73:74], v[47:48], v[79:80], -v[73:74]
	v_mul_f64 v[3:4], v[51:52], v[83:84]
	v_fma_f64 v[69:70], v[49:50], v[79:80], v[69:70]
	v_add_f64 v[61:62], v[61:62], v[75:76]
	s_waitcnt vmcnt(47) lgkmcnt(0)
	v_mul_f64 v[81:82], v[57:58], v[85:86]
	v_add_f64 v[0:1], v[0:1], v[67:68]
	s_clause 0x3
	buffer_load_dword v67, off, s[0:3], 0 offset:16
	buffer_load_dword v68, off, s[0:3], 0 offset:20
	buffer_load_dword v75, off, s[0:3], 0 offset:24
	buffer_load_dword v76, off, s[0:3], 0 offset:28
	s_waitcnt vmcnt(49)
	v_fma_f64 v[77:78], v[51:52], v[89:90], -v[77:78]
	ds_read_b128 v[47:50], v2 offset:496
	v_mul_f64 v[79:80], v[55:56], v[85:86]
	v_fma_f64 v[3:4], v[53:54], v[89:90], v[3:4]
	ds_read_b128 v[51:54], v2 offset:512
	v_add_f64 v[61:62], v[61:62], v[73:74]
	s_waitcnt vmcnt(44)
	v_fma_f64 v[81:82], v[55:56], v[87:88], -v[81:82]
	v_add_f64 v[0:1], v[0:1], v[69:70]
	s_waitcnt lgkmcnt(1)
	v_mul_f64 v[73:74], v[49:50], v[91:92]
	v_mul_f64 v[69:70], v[47:48], v[91:92]
	v_add_f64 v[61:62], v[61:62], v[77:78]
	v_fma_f64 v[77:78], v[57:58], v[87:88], v[79:80]
	v_add_f64 v[0:1], v[0:1], v[3:4]
	s_waitcnt vmcnt(43) lgkmcnt(0)
	v_mul_f64 v[79:80], v[53:54], v[93:94]
	s_waitcnt vmcnt(41)
	v_fma_f64 v[73:74], v[47:48], v[97:98], -v[73:74]
	ds_read_b128 v[55:58], v2 offset:528
	v_mul_f64 v[3:4], v[51:52], v[93:94]
	v_fma_f64 v[69:70], v[49:50], v[97:98], v[69:70]
	ds_read_b128 v[47:50], v2 offset:544
	v_add_f64 v[61:62], v[61:62], v[81:82]
	v_add_f64 v[0:1], v[0:1], v[77:78]
	s_waitcnt vmcnt(37) lgkmcnt(1)
	v_mul_f64 v[81:82], v[57:58], v[99:100]
	s_waitcnt vmcnt(36)
	v_fma_f64 v[79:80], v[51:52], v[95:96], -v[79:80]
	v_mul_f64 v[77:78], v[55:56], v[99:100]
	v_fma_f64 v[3:4], v[53:54], v[95:96], v[3:4]
	ds_read_b128 v[51:54], v2 offset:560
	v_add_f64 v[61:62], v[61:62], v[73:74]
	s_waitcnt vmcnt(35) lgkmcnt(1)
	v_mul_f64 v[73:74], v[49:50], v[101:102]
	v_add_f64 v[0:1], v[0:1], v[69:70]
	s_waitcnt vmcnt(33)
	v_fma_f64 v[81:82], v[55:56], v[105:106], -v[81:82]
	v_mul_f64 v[69:70], v[47:48], v[101:102]
	v_fma_f64 v[77:78], v[57:58], v[105:106], v[77:78]
	ds_read_b128 v[55:58], v2 offset:576
	v_add_f64 v[61:62], v[61:62], v[79:80]
	s_waitcnt vmcnt(29) lgkmcnt(1)
	v_mul_f64 v[79:80], v[53:54], v[107:108]
	v_add_f64 v[0:1], v[0:1], v[3:4]
	;; [unrolled: 9-line block ×4, first 2 shown]
	s_waitcnt vmcnt(20)
	v_fma_f64 v[81:82], v[55:56], v[111:112], -v[81:82]
	v_mul_f64 v[69:70], v[47:48], v[117:118]
	v_fma_f64 v[77:78], v[57:58], v[111:112], v[77:78]
	ds_read_b128 v[55:58], v2 offset:624
	v_add_f64 v[61:62], v[61:62], v[79:80]
	v_add_f64 v[0:1], v[0:1], v[3:4]
	s_waitcnt vmcnt(19) lgkmcnt(1)
	v_mul_f64 v[79:80], v[53:54], v[119:120]
	v_mul_f64 v[3:4], v[51:52], v[119:120]
	s_waitcnt vmcnt(17)
	v_fma_f64 v[73:74], v[47:48], v[59:60], -v[73:74]
	v_fma_f64 v[59:60], v[49:50], v[59:60], v[69:70]
	ds_read_b128 v[47:50], v2 offset:640
	s_waitcnt vmcnt(13) lgkmcnt(1)
	v_mul_f64 v[69:70], v[55:56], v[63:64]
	v_mul_f64 v[63:64], v[57:58], v[63:64]
	v_add_f64 v[61:62], v[61:62], v[81:82]
	v_add_f64 v[0:1], v[0:1], v[77:78]
	s_waitcnt vmcnt(12)
	v_fma_f64 v[51:52], v[51:52], v[121:122], -v[79:80]
	v_fma_f64 v[53:54], v[53:54], v[121:122], v[3:4]
	v_add_f64 v[61:62], v[61:62], v[73:74]
	v_add_f64 v[59:60], v[0:1], v[59:60]
	ds_read_b128 v[0:3], v2 offset:656
	s_waitcnt vmcnt(11) lgkmcnt(1)
	v_mul_f64 v[77:78], v[49:50], v[123:124]
	v_mul_f64 v[73:74], v[47:48], v[123:124]
	s_waitcnt vmcnt(9)
	v_fma_f64 v[55:56], v[55:56], v[125:126], -v[63:64]
	v_fma_f64 v[57:58], v[57:58], v[125:126], v[69:70]
	v_add_f64 v[51:52], v[61:62], v[51:52]
	v_add_f64 v[53:54], v[59:60], v[53:54]
	s_waitcnt vmcnt(7) lgkmcnt(0)
	v_mul_f64 v[61:62], v[2:3], v[71:72]
	s_waitcnt vmcnt(6)
	v_fma_f64 v[47:48], v[47:48], v[128:129], -v[77:78]
	v_mul_f64 v[59:60], v[0:1], v[71:72]
	v_fma_f64 v[49:50], v[49:50], v[128:129], v[73:74]
	v_add_f64 v[51:52], v[51:52], v[55:56]
	v_add_f64 v[53:54], v[53:54], v[57:58]
	s_waitcnt vmcnt(4)
	v_fma_f64 v[0:1], v[0:1], v[65:66], -v[61:62]
	v_fma_f64 v[2:3], v[2:3], v[65:66], v[59:60]
	v_add_f64 v[47:48], v[51:52], v[47:48]
	v_add_f64 v[49:50], v[53:54], v[49:50]
	;; [unrolled: 1-line block ×4, first 2 shown]
	s_waitcnt vmcnt(2)
	v_add_f64 v[0:1], v[67:68], -v[0:1]
	s_waitcnt vmcnt(0)
	v_add_f64 v[2:3], v[75:76], -v[2:3]
	buffer_store_dword v1, off, s[0:3], 0 offset:20
	buffer_store_dword v0, off, s[0:3], 0 offset:16
	;; [unrolled: 1-line block ×4, first 2 shown]
	s_cbranch_vccz .LBB20_180
; %bb.140:
	v_mov_b32_e32 v0, 0
	global_load_dword v1, v0, s[20:21] offset:76
	s_waitcnt vmcnt(0)
	v_add_nc_u32_e32 v1, -1, v1
	v_cmp_ne_u32_e32 vcc_lo, 19, v1
	s_cbranch_vccz .LBB20_142
; %bb.141:
	v_lshlrev_b32_e32 v1, 4, v1
	v_mov_b32_e32 v2, s9
	v_add_nc_u32_e32 v1, 16, v1
	s_clause 0x7
	buffer_load_dword v3, v1, s[0:3], 0 offen
	buffer_load_dword v4, v1, s[0:3], 0 offen offset:4
	buffer_load_dword v47, v1, s[0:3], 0 offen offset:8
	buffer_load_dword v48, v1, s[0:3], 0 offen offset:12
	buffer_load_dword v49, v2, s[0:3], 0 offen offset:12
	buffer_load_dword v50, v2, s[0:3], 0 offen offset:8
	buffer_load_dword v51, v2, s[0:3], 0 offen offset:4
	buffer_load_dword v52, v2, s[0:3], 0 offen
	s_waitcnt vmcnt(7)
	buffer_store_dword v3, v2, s[0:3], 0 offen
	s_waitcnt vmcnt(6)
	buffer_store_dword v4, v2, s[0:3], 0 offen offset:4
	s_waitcnt vmcnt(5)
	buffer_store_dword v47, v2, s[0:3], 0 offen offset:8
	;; [unrolled: 2-line block ×6, first 2 shown]
	s_waitcnt vmcnt(0)
	buffer_store_dword v52, v1, s[0:3], 0 offen
.LBB20_142:
	global_load_dword v0, v0, s[20:21] offset:72
	s_waitcnt vmcnt(0)
	v_add_nc_u32_e32 v0, -1, v0
	v_cmp_eq_u32_e32 vcc_lo, 18, v0
	s_cbranch_vccnz .LBB20_144
; %bb.143:
	v_lshlrev_b32_e32 v0, 4, v0
	v_mov_b32_e32 v1, s12
	v_add_nc_u32_e32 v0, 16, v0
	s_clause 0x7
	buffer_load_dword v2, v0, s[0:3], 0 offen
	buffer_load_dword v3, v0, s[0:3], 0 offen offset:4
	buffer_load_dword v4, v0, s[0:3], 0 offen offset:8
	buffer_load_dword v47, v0, s[0:3], 0 offen offset:12
	buffer_load_dword v48, v1, s[0:3], 0 offen offset:12
	buffer_load_dword v49, v1, s[0:3], 0 offen offset:8
	buffer_load_dword v50, v1, s[0:3], 0 offen offset:4
	buffer_load_dword v51, v1, s[0:3], 0 offen
	s_waitcnt vmcnt(7)
	buffer_store_dword v2, v1, s[0:3], 0 offen
	s_waitcnt vmcnt(6)
	buffer_store_dword v3, v1, s[0:3], 0 offen offset:4
	s_waitcnt vmcnt(5)
	buffer_store_dword v4, v1, s[0:3], 0 offen offset:8
	;; [unrolled: 2-line block ×6, first 2 shown]
	s_waitcnt vmcnt(0)
	buffer_store_dword v51, v0, s[0:3], 0 offen
.LBB20_144:
	v_mov_b32_e32 v0, 0
	global_load_dword v1, v0, s[20:21] offset:68
	s_waitcnt vmcnt(0)
	v_add_nc_u32_e32 v1, -1, v1
	v_cmp_eq_u32_e32 vcc_lo, 17, v1
	s_cbranch_vccnz .LBB20_146
; %bb.145:
	v_lshlrev_b32_e32 v1, 4, v1
	v_mov_b32_e32 v2, s13
	v_add_nc_u32_e32 v1, 16, v1
	s_clause 0x7
	buffer_load_dword v3, v1, s[0:3], 0 offen
	buffer_load_dword v4, v1, s[0:3], 0 offen offset:4
	buffer_load_dword v47, v1, s[0:3], 0 offen offset:8
	;; [unrolled: 1-line block ×6, first 2 shown]
	buffer_load_dword v52, v2, s[0:3], 0 offen
	s_waitcnt vmcnt(7)
	buffer_store_dword v3, v2, s[0:3], 0 offen
	s_waitcnt vmcnt(6)
	buffer_store_dword v4, v2, s[0:3], 0 offen offset:4
	s_waitcnt vmcnt(5)
	buffer_store_dword v47, v2, s[0:3], 0 offen offset:8
	;; [unrolled: 2-line block ×6, first 2 shown]
	s_waitcnt vmcnt(0)
	buffer_store_dword v52, v1, s[0:3], 0 offen
.LBB20_146:
	global_load_dword v0, v0, s[20:21] offset:64
	s_waitcnt vmcnt(0)
	v_add_nc_u32_e32 v0, -1, v0
	v_cmp_eq_u32_e32 vcc_lo, 16, v0
	s_cbranch_vccnz .LBB20_148
; %bb.147:
	v_lshlrev_b32_e32 v0, 4, v0
	v_mov_b32_e32 v1, s14
	v_add_nc_u32_e32 v0, 16, v0
	s_clause 0x7
	buffer_load_dword v2, v0, s[0:3], 0 offen
	buffer_load_dword v3, v0, s[0:3], 0 offen offset:4
	buffer_load_dword v4, v0, s[0:3], 0 offen offset:8
	;; [unrolled: 1-line block ×6, first 2 shown]
	buffer_load_dword v51, v1, s[0:3], 0 offen
	s_waitcnt vmcnt(7)
	buffer_store_dword v2, v1, s[0:3], 0 offen
	s_waitcnt vmcnt(6)
	buffer_store_dword v3, v1, s[0:3], 0 offen offset:4
	s_waitcnt vmcnt(5)
	buffer_store_dword v4, v1, s[0:3], 0 offen offset:8
	;; [unrolled: 2-line block ×6, first 2 shown]
	s_waitcnt vmcnt(0)
	buffer_store_dword v51, v0, s[0:3], 0 offen
.LBB20_148:
	v_mov_b32_e32 v0, 0
	global_load_dword v1, v0, s[20:21] offset:60
	s_waitcnt vmcnt(0)
	v_add_nc_u32_e32 v1, -1, v1
	v_cmp_eq_u32_e32 vcc_lo, 15, v1
	s_cbranch_vccnz .LBB20_150
; %bb.149:
	v_lshlrev_b32_e32 v1, 4, v1
	v_mov_b32_e32 v2, s15
	v_add_nc_u32_e32 v1, 16, v1
	s_clause 0x7
	buffer_load_dword v3, v1, s[0:3], 0 offen
	buffer_load_dword v4, v1, s[0:3], 0 offen offset:4
	buffer_load_dword v47, v1, s[0:3], 0 offen offset:8
	;; [unrolled: 1-line block ×6, first 2 shown]
	buffer_load_dword v52, v2, s[0:3], 0 offen
	s_waitcnt vmcnt(7)
	buffer_store_dword v3, v2, s[0:3], 0 offen
	s_waitcnt vmcnt(6)
	buffer_store_dword v4, v2, s[0:3], 0 offen offset:4
	s_waitcnt vmcnt(5)
	buffer_store_dword v47, v2, s[0:3], 0 offen offset:8
	;; [unrolled: 2-line block ×6, first 2 shown]
	s_waitcnt vmcnt(0)
	buffer_store_dword v52, v1, s[0:3], 0 offen
.LBB20_150:
	global_load_dword v0, v0, s[20:21] offset:56
	s_waitcnt vmcnt(0)
	v_add_nc_u32_e32 v0, -1, v0
	v_cmp_eq_u32_e32 vcc_lo, 14, v0
	s_cbranch_vccnz .LBB20_152
; %bb.151:
	v_lshlrev_b32_e32 v0, 4, v0
	v_mov_b32_e32 v1, s16
	v_add_nc_u32_e32 v0, 16, v0
	s_clause 0x7
	buffer_load_dword v2, v0, s[0:3], 0 offen
	buffer_load_dword v3, v0, s[0:3], 0 offen offset:4
	buffer_load_dword v4, v0, s[0:3], 0 offen offset:8
	;; [unrolled: 1-line block ×6, first 2 shown]
	buffer_load_dword v51, v1, s[0:3], 0 offen
	s_waitcnt vmcnt(7)
	buffer_store_dword v2, v1, s[0:3], 0 offen
	s_waitcnt vmcnt(6)
	buffer_store_dword v3, v1, s[0:3], 0 offen offset:4
	s_waitcnt vmcnt(5)
	buffer_store_dword v4, v1, s[0:3], 0 offen offset:8
	;; [unrolled: 2-line block ×6, first 2 shown]
	s_waitcnt vmcnt(0)
	buffer_store_dword v51, v0, s[0:3], 0 offen
.LBB20_152:
	v_mov_b32_e32 v0, 0
	global_load_dword v1, v0, s[20:21] offset:52
	s_waitcnt vmcnt(0)
	v_add_nc_u32_e32 v1, -1, v1
	v_cmp_eq_u32_e32 vcc_lo, 13, v1
	s_cbranch_vccnz .LBB20_154
; %bb.153:
	v_lshlrev_b32_e32 v1, 4, v1
	v_mov_b32_e32 v2, s17
	v_add_nc_u32_e32 v1, 16, v1
	s_clause 0x7
	buffer_load_dword v3, v1, s[0:3], 0 offen
	buffer_load_dword v4, v1, s[0:3], 0 offen offset:4
	buffer_load_dword v47, v1, s[0:3], 0 offen offset:8
	;; [unrolled: 1-line block ×6, first 2 shown]
	buffer_load_dword v52, v2, s[0:3], 0 offen
	s_waitcnt vmcnt(7)
	buffer_store_dword v3, v2, s[0:3], 0 offen
	s_waitcnt vmcnt(6)
	buffer_store_dword v4, v2, s[0:3], 0 offen offset:4
	s_waitcnt vmcnt(5)
	buffer_store_dword v47, v2, s[0:3], 0 offen offset:8
	;; [unrolled: 2-line block ×6, first 2 shown]
	s_waitcnt vmcnt(0)
	buffer_store_dword v52, v1, s[0:3], 0 offen
.LBB20_154:
	global_load_dword v0, v0, s[20:21] offset:48
	s_waitcnt vmcnt(0)
	v_add_nc_u32_e32 v0, -1, v0
	v_cmp_eq_u32_e32 vcc_lo, 12, v0
	s_cbranch_vccnz .LBB20_156
; %bb.155:
	v_lshlrev_b32_e32 v0, 4, v0
	v_mov_b32_e32 v1, s18
	v_add_nc_u32_e32 v0, 16, v0
	s_clause 0x7
	buffer_load_dword v2, v0, s[0:3], 0 offen
	buffer_load_dword v3, v0, s[0:3], 0 offen offset:4
	buffer_load_dword v4, v0, s[0:3], 0 offen offset:8
	;; [unrolled: 1-line block ×6, first 2 shown]
	buffer_load_dword v51, v1, s[0:3], 0 offen
	s_waitcnt vmcnt(7)
	buffer_store_dword v2, v1, s[0:3], 0 offen
	s_waitcnt vmcnt(6)
	buffer_store_dword v3, v1, s[0:3], 0 offen offset:4
	s_waitcnt vmcnt(5)
	buffer_store_dword v4, v1, s[0:3], 0 offen offset:8
	;; [unrolled: 2-line block ×6, first 2 shown]
	s_waitcnt vmcnt(0)
	buffer_store_dword v51, v0, s[0:3], 0 offen
.LBB20_156:
	v_mov_b32_e32 v0, 0
	global_load_dword v1, v0, s[20:21] offset:44
	s_waitcnt vmcnt(0)
	v_add_nc_u32_e32 v1, -1, v1
	v_cmp_eq_u32_e32 vcc_lo, 11, v1
	s_cbranch_vccnz .LBB20_158
; %bb.157:
	v_lshlrev_b32_e32 v1, 4, v1
	v_mov_b32_e32 v2, s19
	v_add_nc_u32_e32 v1, 16, v1
	s_clause 0x7
	buffer_load_dword v3, v1, s[0:3], 0 offen
	buffer_load_dword v4, v1, s[0:3], 0 offen offset:4
	buffer_load_dword v47, v1, s[0:3], 0 offen offset:8
	;; [unrolled: 1-line block ×6, first 2 shown]
	buffer_load_dword v52, v2, s[0:3], 0 offen
	s_waitcnt vmcnt(7)
	buffer_store_dword v3, v2, s[0:3], 0 offen
	s_waitcnt vmcnt(6)
	buffer_store_dword v4, v2, s[0:3], 0 offen offset:4
	s_waitcnt vmcnt(5)
	buffer_store_dword v47, v2, s[0:3], 0 offen offset:8
	;; [unrolled: 2-line block ×6, first 2 shown]
	s_waitcnt vmcnt(0)
	buffer_store_dword v52, v1, s[0:3], 0 offen
.LBB20_158:
	global_load_dword v0, v0, s[20:21] offset:40
	s_waitcnt vmcnt(0)
	v_add_nc_u32_e32 v0, -1, v0
	v_cmp_eq_u32_e32 vcc_lo, 10, v0
	s_cbranch_vccnz .LBB20_160
; %bb.159:
	v_lshlrev_b32_e32 v0, 4, v0
	v_mov_b32_e32 v1, s22
	v_add_nc_u32_e32 v0, 16, v0
	s_clause 0x7
	buffer_load_dword v2, v0, s[0:3], 0 offen
	buffer_load_dword v3, v0, s[0:3], 0 offen offset:4
	buffer_load_dword v4, v0, s[0:3], 0 offen offset:8
	;; [unrolled: 1-line block ×6, first 2 shown]
	buffer_load_dword v51, v1, s[0:3], 0 offen
	s_waitcnt vmcnt(7)
	buffer_store_dword v2, v1, s[0:3], 0 offen
	s_waitcnt vmcnt(6)
	buffer_store_dword v3, v1, s[0:3], 0 offen offset:4
	s_waitcnt vmcnt(5)
	buffer_store_dword v4, v1, s[0:3], 0 offen offset:8
	;; [unrolled: 2-line block ×6, first 2 shown]
	s_waitcnt vmcnt(0)
	buffer_store_dword v51, v0, s[0:3], 0 offen
.LBB20_160:
	v_mov_b32_e32 v0, 0
	global_load_dword v1, v0, s[20:21] offset:36
	s_waitcnt vmcnt(0)
	v_add_nc_u32_e32 v1, -1, v1
	v_cmp_eq_u32_e32 vcc_lo, 9, v1
	s_cbranch_vccnz .LBB20_162
; %bb.161:
	v_lshlrev_b32_e32 v1, 4, v1
	v_mov_b32_e32 v2, s23
	v_add_nc_u32_e32 v1, 16, v1
	s_clause 0x7
	buffer_load_dword v3, v1, s[0:3], 0 offen
	buffer_load_dword v4, v1, s[0:3], 0 offen offset:4
	buffer_load_dword v47, v1, s[0:3], 0 offen offset:8
	;; [unrolled: 1-line block ×6, first 2 shown]
	buffer_load_dword v52, v2, s[0:3], 0 offen
	s_waitcnt vmcnt(7)
	buffer_store_dword v3, v2, s[0:3], 0 offen
	s_waitcnt vmcnt(6)
	buffer_store_dword v4, v2, s[0:3], 0 offen offset:4
	s_waitcnt vmcnt(5)
	buffer_store_dword v47, v2, s[0:3], 0 offen offset:8
	s_waitcnt vmcnt(4)
	buffer_store_dword v48, v2, s[0:3], 0 offen offset:12
	s_waitcnt vmcnt(3)
	buffer_store_dword v49, v1, s[0:3], 0 offen offset:12
	s_waitcnt vmcnt(2)
	buffer_store_dword v50, v1, s[0:3], 0 offen offset:8
	s_waitcnt vmcnt(1)
	buffer_store_dword v51, v1, s[0:3], 0 offen offset:4
	s_waitcnt vmcnt(0)
	buffer_store_dword v52, v1, s[0:3], 0 offen
.LBB20_162:
	global_load_dword v0, v0, s[20:21] offset:32
	s_waitcnt vmcnt(0)
	v_add_nc_u32_e32 v0, -1, v0
	v_cmp_eq_u32_e32 vcc_lo, 8, v0
	s_cbranch_vccnz .LBB20_164
; %bb.163:
	v_lshlrev_b32_e32 v0, 4, v0
	v_mov_b32_e32 v1, s24
	v_add_nc_u32_e32 v0, 16, v0
	s_clause 0x7
	buffer_load_dword v2, v0, s[0:3], 0 offen
	buffer_load_dword v3, v0, s[0:3], 0 offen offset:4
	buffer_load_dword v4, v0, s[0:3], 0 offen offset:8
	;; [unrolled: 1-line block ×6, first 2 shown]
	buffer_load_dword v51, v1, s[0:3], 0 offen
	s_waitcnt vmcnt(7)
	buffer_store_dword v2, v1, s[0:3], 0 offen
	s_waitcnt vmcnt(6)
	buffer_store_dword v3, v1, s[0:3], 0 offen offset:4
	s_waitcnt vmcnt(5)
	buffer_store_dword v4, v1, s[0:3], 0 offen offset:8
	;; [unrolled: 2-line block ×6, first 2 shown]
	s_waitcnt vmcnt(0)
	buffer_store_dword v51, v0, s[0:3], 0 offen
.LBB20_164:
	v_mov_b32_e32 v0, 0
	global_load_dword v1, v0, s[20:21] offset:28
	s_waitcnt vmcnt(0)
	v_add_nc_u32_e32 v1, -1, v1
	v_cmp_eq_u32_e32 vcc_lo, 7, v1
	s_cbranch_vccnz .LBB20_166
; %bb.165:
	v_lshlrev_b32_e32 v1, 4, v1
	v_mov_b32_e32 v2, s25
	v_add_nc_u32_e32 v1, 16, v1
	s_clause 0x7
	buffer_load_dword v3, v1, s[0:3], 0 offen
	buffer_load_dword v4, v1, s[0:3], 0 offen offset:4
	buffer_load_dword v47, v1, s[0:3], 0 offen offset:8
	;; [unrolled: 1-line block ×6, first 2 shown]
	buffer_load_dword v52, v2, s[0:3], 0 offen
	s_waitcnt vmcnt(7)
	buffer_store_dword v3, v2, s[0:3], 0 offen
	s_waitcnt vmcnt(6)
	buffer_store_dword v4, v2, s[0:3], 0 offen offset:4
	s_waitcnt vmcnt(5)
	buffer_store_dword v47, v2, s[0:3], 0 offen offset:8
	;; [unrolled: 2-line block ×6, first 2 shown]
	s_waitcnt vmcnt(0)
	buffer_store_dword v52, v1, s[0:3], 0 offen
.LBB20_166:
	global_load_dword v0, v0, s[20:21] offset:24
	s_waitcnt vmcnt(0)
	v_add_nc_u32_e32 v0, -1, v0
	v_cmp_eq_u32_e32 vcc_lo, 6, v0
	s_cbranch_vccnz .LBB20_168
; %bb.167:
	v_lshlrev_b32_e32 v0, 4, v0
	v_mov_b32_e32 v1, s26
	v_add_nc_u32_e32 v0, 16, v0
	s_clause 0x7
	buffer_load_dword v2, v0, s[0:3], 0 offen
	buffer_load_dword v3, v0, s[0:3], 0 offen offset:4
	buffer_load_dword v4, v0, s[0:3], 0 offen offset:8
	;; [unrolled: 1-line block ×6, first 2 shown]
	buffer_load_dword v51, v1, s[0:3], 0 offen
	s_waitcnt vmcnt(7)
	buffer_store_dword v2, v1, s[0:3], 0 offen
	s_waitcnt vmcnt(6)
	buffer_store_dword v3, v1, s[0:3], 0 offen offset:4
	s_waitcnt vmcnt(5)
	buffer_store_dword v4, v1, s[0:3], 0 offen offset:8
	;; [unrolled: 2-line block ×6, first 2 shown]
	s_waitcnt vmcnt(0)
	buffer_store_dword v51, v0, s[0:3], 0 offen
.LBB20_168:
	v_mov_b32_e32 v0, 0
	global_load_dword v1, v0, s[20:21] offset:20
	s_waitcnt vmcnt(0)
	v_add_nc_u32_e32 v1, -1, v1
	v_cmp_eq_u32_e32 vcc_lo, 5, v1
	s_cbranch_vccnz .LBB20_170
; %bb.169:
	v_lshlrev_b32_e32 v1, 4, v1
	v_mov_b32_e32 v2, s27
	v_add_nc_u32_e32 v1, 16, v1
	s_clause 0x7
	buffer_load_dword v3, v1, s[0:3], 0 offen
	buffer_load_dword v4, v1, s[0:3], 0 offen offset:4
	buffer_load_dword v47, v1, s[0:3], 0 offen offset:8
	;; [unrolled: 1-line block ×6, first 2 shown]
	buffer_load_dword v52, v2, s[0:3], 0 offen
	s_waitcnt vmcnt(7)
	buffer_store_dword v3, v2, s[0:3], 0 offen
	s_waitcnt vmcnt(6)
	buffer_store_dword v4, v2, s[0:3], 0 offen offset:4
	s_waitcnt vmcnt(5)
	buffer_store_dword v47, v2, s[0:3], 0 offen offset:8
	;; [unrolled: 2-line block ×6, first 2 shown]
	s_waitcnt vmcnt(0)
	buffer_store_dword v52, v1, s[0:3], 0 offen
.LBB20_170:
	global_load_dword v0, v0, s[20:21] offset:16
	s_waitcnt vmcnt(0)
	v_add_nc_u32_e32 v0, -1, v0
	v_cmp_eq_u32_e32 vcc_lo, 4, v0
	s_cbranch_vccnz .LBB20_172
; %bb.171:
	v_lshlrev_b32_e32 v0, 4, v0
	v_mov_b32_e32 v1, s28
	v_add_nc_u32_e32 v0, 16, v0
	s_clause 0x7
	buffer_load_dword v2, v0, s[0:3], 0 offen
	buffer_load_dword v3, v0, s[0:3], 0 offen offset:4
	buffer_load_dword v4, v0, s[0:3], 0 offen offset:8
	;; [unrolled: 1-line block ×6, first 2 shown]
	buffer_load_dword v51, v1, s[0:3], 0 offen
	s_waitcnt vmcnt(7)
	buffer_store_dword v2, v1, s[0:3], 0 offen
	s_waitcnt vmcnt(6)
	buffer_store_dword v3, v1, s[0:3], 0 offen offset:4
	s_waitcnt vmcnt(5)
	buffer_store_dword v4, v1, s[0:3], 0 offen offset:8
	;; [unrolled: 2-line block ×6, first 2 shown]
	s_waitcnt vmcnt(0)
	buffer_store_dword v51, v0, s[0:3], 0 offen
.LBB20_172:
	v_mov_b32_e32 v0, 0
	global_load_dword v1, v0, s[20:21] offset:12
	s_waitcnt vmcnt(0)
	v_add_nc_u32_e32 v1, -1, v1
	v_cmp_eq_u32_e32 vcc_lo, 3, v1
	s_cbranch_vccnz .LBB20_174
; %bb.173:
	v_lshlrev_b32_e32 v1, 4, v1
	v_mov_b32_e32 v2, s29
	v_add_nc_u32_e32 v1, 16, v1
	s_clause 0x7
	buffer_load_dword v3, v1, s[0:3], 0 offen
	buffer_load_dword v4, v1, s[0:3], 0 offen offset:4
	buffer_load_dword v47, v1, s[0:3], 0 offen offset:8
	;; [unrolled: 1-line block ×6, first 2 shown]
	buffer_load_dword v52, v2, s[0:3], 0 offen
	s_waitcnt vmcnt(7)
	buffer_store_dword v3, v2, s[0:3], 0 offen
	s_waitcnt vmcnt(6)
	buffer_store_dword v4, v2, s[0:3], 0 offen offset:4
	s_waitcnt vmcnt(5)
	buffer_store_dword v47, v2, s[0:3], 0 offen offset:8
	s_waitcnt vmcnt(4)
	buffer_store_dword v48, v2, s[0:3], 0 offen offset:12
	s_waitcnt vmcnt(3)
	buffer_store_dword v49, v1, s[0:3], 0 offen offset:12
	s_waitcnt vmcnt(2)
	buffer_store_dword v50, v1, s[0:3], 0 offen offset:8
	s_waitcnt vmcnt(1)
	buffer_store_dword v51, v1, s[0:3], 0 offen offset:4
	s_waitcnt vmcnt(0)
	buffer_store_dword v52, v1, s[0:3], 0 offen
.LBB20_174:
	global_load_dword v0, v0, s[20:21] offset:8
	s_waitcnt vmcnt(0)
	v_add_nc_u32_e32 v0, -1, v0
	v_cmp_eq_u32_e32 vcc_lo, 2, v0
	s_cbranch_vccnz .LBB20_176
; %bb.175:
	v_lshlrev_b32_e32 v0, 4, v0
	v_mov_b32_e32 v1, s30
	v_add_nc_u32_e32 v0, 16, v0
	s_clause 0x7
	buffer_load_dword v2, v0, s[0:3], 0 offen
	buffer_load_dword v3, v0, s[0:3], 0 offen offset:4
	buffer_load_dword v4, v0, s[0:3], 0 offen offset:8
	;; [unrolled: 1-line block ×6, first 2 shown]
	buffer_load_dword v51, v1, s[0:3], 0 offen
	s_waitcnt vmcnt(7)
	buffer_store_dword v2, v1, s[0:3], 0 offen
	s_waitcnt vmcnt(6)
	buffer_store_dword v3, v1, s[0:3], 0 offen offset:4
	s_waitcnt vmcnt(5)
	buffer_store_dword v4, v1, s[0:3], 0 offen offset:8
	;; [unrolled: 2-line block ×6, first 2 shown]
	s_waitcnt vmcnt(0)
	buffer_store_dword v51, v0, s[0:3], 0 offen
.LBB20_176:
	v_mov_b32_e32 v0, 0
	global_load_dword v1, v0, s[20:21] offset:4
	s_waitcnt vmcnt(0)
	v_add_nc_u32_e32 v1, -1, v1
	v_cmp_eq_u32_e32 vcc_lo, 1, v1
	s_cbranch_vccnz .LBB20_178
; %bb.177:
	v_lshlrev_b32_e32 v1, 4, v1
	v_mov_b32_e32 v2, s31
	v_add_nc_u32_e32 v1, 16, v1
	s_clause 0x7
	buffer_load_dword v3, v1, s[0:3], 0 offen
	buffer_load_dword v4, v1, s[0:3], 0 offen offset:4
	buffer_load_dword v47, v1, s[0:3], 0 offen offset:8
	;; [unrolled: 1-line block ×6, first 2 shown]
	buffer_load_dword v52, v2, s[0:3], 0 offen
	s_waitcnt vmcnt(7)
	buffer_store_dword v3, v2, s[0:3], 0 offen
	s_waitcnt vmcnt(6)
	buffer_store_dword v4, v2, s[0:3], 0 offen offset:4
	s_waitcnt vmcnt(5)
	buffer_store_dword v47, v2, s[0:3], 0 offen offset:8
	;; [unrolled: 2-line block ×6, first 2 shown]
	s_waitcnt vmcnt(0)
	buffer_store_dword v52, v1, s[0:3], 0 offen
.LBB20_178:
	global_load_dword v0, v0, s[20:21]
	s_waitcnt vmcnt(0)
	v_add_nc_u32_e32 v0, -1, v0
	v_cmp_eq_u32_e32 vcc_lo, 0, v0
	s_cbranch_vccnz .LBB20_180
; %bb.179:
	v_lshlrev_b32_e32 v0, 4, v0
	v_add_nc_u32_e32 v0, 16, v0
	s_clause 0x7
	buffer_load_dword v1, v0, s[0:3], 0 offen
	buffer_load_dword v2, v0, s[0:3], 0 offen offset:4
	buffer_load_dword v3, v0, s[0:3], 0 offen offset:8
	;; [unrolled: 1-line block ×3, first 2 shown]
	buffer_load_dword v47, off, s[0:3], 0 offset:28
	buffer_load_dword v48, off, s[0:3], 0 offset:24
	;; [unrolled: 1-line block ×4, first 2 shown]
	s_waitcnt vmcnt(7)
	buffer_store_dword v1, off, s[0:3], 0 offset:16
	s_waitcnt vmcnt(6)
	buffer_store_dword v2, off, s[0:3], 0 offset:20
	;; [unrolled: 2-line block ×4, first 2 shown]
	s_waitcnt vmcnt(3)
	buffer_store_dword v47, v0, s[0:3], 0 offen offset:12
	s_waitcnt vmcnt(2)
	buffer_store_dword v48, v0, s[0:3], 0 offen offset:8
	s_waitcnt vmcnt(1)
	buffer_store_dword v49, v0, s[0:3], 0 offen offset:4
	s_waitcnt vmcnt(0)
	buffer_store_dword v50, v0, s[0:3], 0 offen
.LBB20_180:
	v_mov_b32_e32 v54, s30
	v_mov_b32_e32 v62, s28
	;; [unrolled: 1-line block ×5, first 2 shown]
	s_clause 0x7
	buffer_load_dword v0, off, s[0:3], 0 offset:16
	buffer_load_dword v1, off, s[0:3], 0 offset:20
	;; [unrolled: 1-line block ×4, first 2 shown]
	buffer_load_dword v47, v4, s[0:3], 0 offen
	buffer_load_dword v48, v4, s[0:3], 0 offen offset:4
	buffer_load_dword v49, v4, s[0:3], 0 offen offset:8
	buffer_load_dword v50, v4, s[0:3], 0 offen offset:12
	v_mov_b32_e32 v4, s29
	v_mov_b32_e32 v86, s22
	s_clause 0x7
	buffer_load_dword v51, v54, s[0:3], 0 offen
	buffer_load_dword v52, v54, s[0:3], 0 offen offset:4
	buffer_load_dword v53, v54, s[0:3], 0 offen offset:8
	buffer_load_dword v54, v54, s[0:3], 0 offen offset:12
	buffer_load_dword v55, v4, s[0:3], 0 offen
	buffer_load_dword v56, v4, s[0:3], 0 offen offset:4
	buffer_load_dword v57, v4, s[0:3], 0 offen offset:8
	buffer_load_dword v58, v4, s[0:3], 0 offen offset:12
	v_mov_b32_e32 v4, s27
	v_mov_b32_e32 v94, s18
	s_clause 0x7
	buffer_load_dword v59, v62, s[0:3], 0 offen
	buffer_load_dword v60, v62, s[0:3], 0 offen offset:4
	buffer_load_dword v61, v62, s[0:3], 0 offen offset:8
	buffer_load_dword v62, v62, s[0:3], 0 offen offset:12
	;; [unrolled: 11-line block ×5, first 2 shown]
	buffer_load_dword v87, v4, s[0:3], 0 offen
	buffer_load_dword v88, v4, s[0:3], 0 offen offset:4
	buffer_load_dword v89, v4, s[0:3], 0 offen offset:8
	buffer_load_dword v90, v4, s[0:3], 0 offen offset:12
	v_mov_b32_e32 v4, s17
	s_clause 0x7
	buffer_load_dword v91, v94, s[0:3], 0 offen
	buffer_load_dword v92, v94, s[0:3], 0 offen offset:4
	buffer_load_dword v93, v94, s[0:3], 0 offen offset:8
	buffer_load_dword v94, v94, s[0:3], 0 offen offset:12
	buffer_load_dword v95, v4, s[0:3], 0 offen
	buffer_load_dword v96, v4, s[0:3], 0 offen offset:4
	buffer_load_dword v97, v4, s[0:3], 0 offen offset:8
	buffer_load_dword v98, v4, s[0:3], 0 offen offset:12
	v_mov_b32_e32 v4, s15
	s_clause 0x7
	buffer_load_dword v99, v102, s[0:3], 0 offen
	buffer_load_dword v100, v102, s[0:3], 0 offen offset:4
	buffer_load_dword v101, v102, s[0:3], 0 offen offset:8
	buffer_load_dword v102, v102, s[0:3], 0 offen offset:12
	buffer_load_dword v103, v4, s[0:3], 0 offen
	buffer_load_dword v104, v4, s[0:3], 0 offen offset:4
	buffer_load_dword v105, v4, s[0:3], 0 offen offset:8
	buffer_load_dword v106, v4, s[0:3], 0 offen offset:12
	v_mov_b32_e32 v4, s13
	s_clause 0x7
	buffer_load_dword v107, v110, s[0:3], 0 offen
	buffer_load_dword v108, v110, s[0:3], 0 offen offset:4
	buffer_load_dword v109, v110, s[0:3], 0 offen offset:8
	buffer_load_dword v110, v110, s[0:3], 0 offen offset:12
	buffer_load_dword v111, v4, s[0:3], 0 offen
	buffer_load_dword v112, v4, s[0:3], 0 offen offset:4
	buffer_load_dword v113, v4, s[0:3], 0 offen offset:8
	;; [unrolled: 1-line block ×3, first 2 shown]
	v_mov_b32_e32 v4, s9
	v_mov_b32_e32 v126, s8
	s_clause 0xb
	buffer_load_dword v115, v118, s[0:3], 0 offen
	buffer_load_dword v116, v118, s[0:3], 0 offen offset:4
	buffer_load_dword v117, v118, s[0:3], 0 offen offset:8
	buffer_load_dword v118, v118, s[0:3], 0 offen offset:12
	buffer_load_dword v119, v4, s[0:3], 0 offen
	buffer_load_dword v120, v4, s[0:3], 0 offen offset:4
	buffer_load_dword v121, v4, s[0:3], 0 offen offset:8
	buffer_load_dword v122, v4, s[0:3], 0 offen offset:12
	buffer_load_dword v123, v126, s[0:3], 0 offen
	buffer_load_dword v124, v126, s[0:3], 0 offen offset:4
	buffer_load_dword v125, v126, s[0:3], 0 offen offset:8
	buffer_load_dword v126, v126, s[0:3], 0 offen offset:12
	s_waitcnt vmcnt(62)
	global_store_dwordx4 v[5:6], v[0:3], off
	global_store_dwordx4 v[7:8], v[47:50], off
	;; [unrolled: 1-line block ×5, first 2 shown]
	s_waitcnt vmcnt(60)
	global_store_dwordx4 v[15:16], v[63:66], off
	s_waitcnt vmcnt(56)
	global_store_dwordx4 v[17:18], v[67:70], off
	;; [unrolled: 2-line block ×16, first 2 shown]
	s_endpgm
	.section	.rodata,"a",@progbits
	.p2align	6, 0x0
	.amdhsa_kernel _ZN9rocsolver6v33100L18getri_kernel_smallILi21E19rocblas_complex_numIdEPS3_EEvT1_iilPiilS6_bb
		.amdhsa_group_segment_fixed_size 680
		.amdhsa_private_segment_fixed_size 368
		.amdhsa_kernarg_size 60
		.amdhsa_user_sgpr_count 6
		.amdhsa_user_sgpr_private_segment_buffer 1
		.amdhsa_user_sgpr_dispatch_ptr 0
		.amdhsa_user_sgpr_queue_ptr 0
		.amdhsa_user_sgpr_kernarg_segment_ptr 1
		.amdhsa_user_sgpr_dispatch_id 0
		.amdhsa_user_sgpr_flat_scratch_init 0
		.amdhsa_user_sgpr_private_segment_size 0
		.amdhsa_wavefront_size32 1
		.amdhsa_uses_dynamic_stack 0
		.amdhsa_system_sgpr_private_segment_wavefront_offset 1
		.amdhsa_system_sgpr_workgroup_id_x 1
		.amdhsa_system_sgpr_workgroup_id_y 0
		.amdhsa_system_sgpr_workgroup_id_z 0
		.amdhsa_system_sgpr_workgroup_info 0
		.amdhsa_system_vgpr_workitem_id 0
		.amdhsa_next_free_vgpr 133
		.amdhsa_next_free_sgpr 42
		.amdhsa_reserve_vcc 1
		.amdhsa_reserve_flat_scratch 0
		.amdhsa_float_round_mode_32 0
		.amdhsa_float_round_mode_16_64 0
		.amdhsa_float_denorm_mode_32 3
		.amdhsa_float_denorm_mode_16_64 3
		.amdhsa_dx10_clamp 1
		.amdhsa_ieee_mode 1
		.amdhsa_fp16_overflow 0
		.amdhsa_workgroup_processor_mode 1
		.amdhsa_memory_ordered 1
		.amdhsa_forward_progress 1
		.amdhsa_shared_vgpr_count 0
		.amdhsa_exception_fp_ieee_invalid_op 0
		.amdhsa_exception_fp_denorm_src 0
		.amdhsa_exception_fp_ieee_div_zero 0
		.amdhsa_exception_fp_ieee_overflow 0
		.amdhsa_exception_fp_ieee_underflow 0
		.amdhsa_exception_fp_ieee_inexact 0
		.amdhsa_exception_int_div_zero 0
	.end_amdhsa_kernel
	.section	.text._ZN9rocsolver6v33100L18getri_kernel_smallILi21E19rocblas_complex_numIdEPS3_EEvT1_iilPiilS6_bb,"axG",@progbits,_ZN9rocsolver6v33100L18getri_kernel_smallILi21E19rocblas_complex_numIdEPS3_EEvT1_iilPiilS6_bb,comdat
.Lfunc_end20:
	.size	_ZN9rocsolver6v33100L18getri_kernel_smallILi21E19rocblas_complex_numIdEPS3_EEvT1_iilPiilS6_bb, .Lfunc_end20-_ZN9rocsolver6v33100L18getri_kernel_smallILi21E19rocblas_complex_numIdEPS3_EEvT1_iilPiilS6_bb
                                        ; -- End function
	.set _ZN9rocsolver6v33100L18getri_kernel_smallILi21E19rocblas_complex_numIdEPS3_EEvT1_iilPiilS6_bb.num_vgpr, 133
	.set _ZN9rocsolver6v33100L18getri_kernel_smallILi21E19rocblas_complex_numIdEPS3_EEvT1_iilPiilS6_bb.num_agpr, 0
	.set _ZN9rocsolver6v33100L18getri_kernel_smallILi21E19rocblas_complex_numIdEPS3_EEvT1_iilPiilS6_bb.numbered_sgpr, 42
	.set _ZN9rocsolver6v33100L18getri_kernel_smallILi21E19rocblas_complex_numIdEPS3_EEvT1_iilPiilS6_bb.num_named_barrier, 0
	.set _ZN9rocsolver6v33100L18getri_kernel_smallILi21E19rocblas_complex_numIdEPS3_EEvT1_iilPiilS6_bb.private_seg_size, 368
	.set _ZN9rocsolver6v33100L18getri_kernel_smallILi21E19rocblas_complex_numIdEPS3_EEvT1_iilPiilS6_bb.uses_vcc, 1
	.set _ZN9rocsolver6v33100L18getri_kernel_smallILi21E19rocblas_complex_numIdEPS3_EEvT1_iilPiilS6_bb.uses_flat_scratch, 0
	.set _ZN9rocsolver6v33100L18getri_kernel_smallILi21E19rocblas_complex_numIdEPS3_EEvT1_iilPiilS6_bb.has_dyn_sized_stack, 0
	.set _ZN9rocsolver6v33100L18getri_kernel_smallILi21E19rocblas_complex_numIdEPS3_EEvT1_iilPiilS6_bb.has_recursion, 0
	.set _ZN9rocsolver6v33100L18getri_kernel_smallILi21E19rocblas_complex_numIdEPS3_EEvT1_iilPiilS6_bb.has_indirect_call, 0
	.section	.AMDGPU.csdata,"",@progbits
; Kernel info:
; codeLenInByte = 40140
; TotalNumSgprs: 44
; NumVgprs: 133
; ScratchSize: 368
; MemoryBound: 0
; FloatMode: 240
; IeeeMode: 1
; LDSByteSize: 680 bytes/workgroup (compile time only)
; SGPRBlocks: 0
; VGPRBlocks: 16
; NumSGPRsForWavesPerEU: 44
; NumVGPRsForWavesPerEU: 133
; Occupancy: 7
; WaveLimiterHint : 1
; COMPUTE_PGM_RSRC2:SCRATCH_EN: 1
; COMPUTE_PGM_RSRC2:USER_SGPR: 6
; COMPUTE_PGM_RSRC2:TRAP_HANDLER: 0
; COMPUTE_PGM_RSRC2:TGID_X_EN: 1
; COMPUTE_PGM_RSRC2:TGID_Y_EN: 0
; COMPUTE_PGM_RSRC2:TGID_Z_EN: 0
; COMPUTE_PGM_RSRC2:TIDIG_COMP_CNT: 0
	.section	.text._ZN9rocsolver6v33100L18getri_kernel_smallILi22E19rocblas_complex_numIdEPS3_EEvT1_iilPiilS6_bb,"axG",@progbits,_ZN9rocsolver6v33100L18getri_kernel_smallILi22E19rocblas_complex_numIdEPS3_EEvT1_iilPiilS6_bb,comdat
	.globl	_ZN9rocsolver6v33100L18getri_kernel_smallILi22E19rocblas_complex_numIdEPS3_EEvT1_iilPiilS6_bb ; -- Begin function _ZN9rocsolver6v33100L18getri_kernel_smallILi22E19rocblas_complex_numIdEPS3_EEvT1_iilPiilS6_bb
	.p2align	8
	.type	_ZN9rocsolver6v33100L18getri_kernel_smallILi22E19rocblas_complex_numIdEPS3_EEvT1_iilPiilS6_bb,@function
_ZN9rocsolver6v33100L18getri_kernel_smallILi22E19rocblas_complex_numIdEPS3_EEvT1_iilPiilS6_bb: ; @_ZN9rocsolver6v33100L18getri_kernel_smallILi22E19rocblas_complex_numIdEPS3_EEvT1_iilPiilS6_bb
; %bb.0:
	s_add_u32 s0, s0, s7
	s_addc_u32 s1, s1, 0
	s_mov_b32 s7, exec_lo
	v_cmpx_gt_u32_e32 22, v0
	s_cbranch_execz .LBB21_102
; %bb.1:
	s_clause 0x2
	s_load_dword s7, s[4:5], 0x38
	s_load_dwordx4 s[16:19], s[4:5], 0x10
	s_load_dwordx4 s[8:11], s[4:5], 0x28
                                        ; implicit-def: $sgpr20_sgpr21
	s_waitcnt lgkmcnt(0)
	s_bitcmp1_b32 s7, 8
	s_cselect_b32 s34, -1, 0
	s_bfe_u32 s12, s7, 0x10008
	s_ashr_i32 s7, s6, 31
	s_cmp_eq_u32 s12, 0
	s_cbranch_scc1 .LBB21_3
; %bb.2:
	s_load_dword s12, s[4:5], 0x20
	s_mul_i32 s13, s8, s7
	s_mul_hi_u32 s14, s8, s6
	s_mul_i32 s9, s9, s6
	s_add_i32 s13, s14, s13
	s_mul_i32 s8, s8, s6
	s_add_i32 s9, s13, s9
	s_lshl_b64 s[8:9], s[8:9], 2
	s_waitcnt lgkmcnt(0)
	s_ashr_i32 s13, s12, 31
	s_add_u32 s14, s18, s8
	s_addc_u32 s15, s19, s9
	s_lshl_b64 s[8:9], s[12:13], 2
	s_add_u32 s20, s14, s8
	s_addc_u32 s21, s15, s9
.LBB21_3:
	s_clause 0x1
	s_load_dwordx4 s[12:15], s[4:5], 0x0
	s_load_dword s35, s[4:5], 0x38
	s_mul_i32 s4, s16, s7
	s_mul_hi_u32 s5, s16, s6
	s_mul_i32 s8, s17, s6
	s_add_i32 s5, s5, s4
	s_mul_i32 s4, s16, s6
	s_add_i32 s5, s5, s8
	v_lshlrev_b32_e32 v55, 4, v0
	s_lshl_b64 s[4:5], s[4:5], 4
	s_movk_i32 s16, 0xc0
	s_movk_i32 s17, 0xd0
	;; [unrolled: 1-line block ×10, first 2 shown]
	s_waitcnt lgkmcnt(0)
	v_add3_u32 v7, s15, s15, v0
	s_ashr_i32 s9, s14, 31
	s_mov_b32 s8, s14
	s_add_u32 s12, s12, s4
	s_addc_u32 s13, s13, s5
	v_add_nc_u32_e32 v11, s15, v7
	s_lshl_b64 s[4:5], s[8:9], 4
	v_ashrrev_i32_e32 v8, 31, v7
	s_add_u32 s4, s12, s4
	s_addc_u32 s5, s13, s5
	v_add_nc_u32_e32 v13, s15, v11
	v_ashrrev_i32_e32 v12, 31, v11
	v_add_co_u32 v5, s12, s4, v55
	s_mov_b32 s8, s15
	v_add_nc_u32_e32 v15, s15, v13
	v_ashrrev_i32_e32 v14, 31, v13
	s_ashr_i32 s9, s15, 31
	v_lshlrev_b64 v[9:10], 4, v[7:8]
	v_add_co_ci_u32_e64 v6, null, s5, 0, s12
	v_add_nc_u32_e32 v17, s15, v15
	v_ashrrev_i32_e32 v16, 31, v15
	s_lshl_b64 s[8:9], s[8:9], 4
	v_lshlrev_b64 v[11:12], 4, v[11:12]
	v_add_co_u32 v7, vcc_lo, v5, s8
	v_add_nc_u32_e32 v19, s15, v17
	v_ashrrev_i32_e32 v18, 31, v17
	v_lshlrev_b64 v[13:14], 4, v[13:14]
	v_add_co_ci_u32_e64 v8, null, s9, v6, vcc_lo
	v_add_nc_u32_e32 v21, s15, v19
	v_ashrrev_i32_e32 v20, 31, v19
	v_add_co_u32 v9, vcc_lo, s4, v9
	v_lshlrev_b64 v[15:16], 4, v[15:16]
	v_add_nc_u32_e32 v24, s15, v21
	v_ashrrev_i32_e32 v22, 31, v21
	v_add_co_ci_u32_e64 v10, null, s5, v10, vcc_lo
	v_add_co_u32 v11, vcc_lo, s4, v11
	v_add_nc_u32_e32 v26, s15, v24
	v_lshlrev_b64 v[17:18], 4, v[17:18]
	v_add_co_ci_u32_e64 v12, null, s5, v12, vcc_lo
	v_add_co_u32 v13, vcc_lo, s4, v13
	v_add_nc_u32_e32 v28, s15, v26
	v_lshlrev_b64 v[19:20], 4, v[19:20]
	;; [unrolled: 4-line block ×3, first 2 shown]
	v_add_co_ci_u32_e64 v16, null, s5, v16, vcc_lo
	v_add_co_u32 v17, vcc_lo, s4, v17
	v_add_nc_u32_e32 v32, s15, v30
	v_ashrrev_i32_e32 v25, 31, v24
	v_add_co_ci_u32_e64 v18, null, s5, v18, vcc_lo
	v_add_co_u32 v19, vcc_lo, s4, v19
	v_add_nc_u32_e32 v34, s15, v32
	v_ashrrev_i32_e32 v27, 31, v26
	;; [unrolled: 4-line block ×3, first 2 shown]
	v_add_co_ci_u32_e64 v22, null, s5, v23, vcc_lo
	v_lshlrev_b64 v[23:24], 4, v[24:25]
	v_add_nc_u32_e32 v38, s15, v36
	v_ashrrev_i32_e32 v31, 31, v30
	v_lshlrev_b64 v[25:26], 4, v[26:27]
	v_ashrrev_i32_e32 v33, 31, v32
	v_lshlrev_b64 v[27:28], 4, v[28:29]
	v_add_nc_u32_e32 v40, s15, v38
	v_ashrrev_i32_e32 v35, 31, v34
	v_add_co_u32 v23, vcc_lo, s4, v23
	v_lshlrev_b64 v[29:30], 4, v[30:31]
	v_add_nc_u32_e32 v42, s15, v40
	v_ashrrev_i32_e32 v37, 31, v36
	v_add_co_ci_u32_e64 v24, null, s5, v24, vcc_lo
	v_add_co_u32 v25, vcc_lo, s4, v25
	v_lshlrev_b64 v[31:32], 4, v[32:33]
	v_ashrrev_i32_e32 v39, 31, v38
	v_add_co_ci_u32_e64 v26, null, s5, v26, vcc_lo
	v_add_co_u32 v27, vcc_lo, s4, v27
	v_lshlrev_b64 v[33:34], 4, v[34:35]
	v_add_nc_u32_e32 v45, s15, v42
	v_ashrrev_i32_e32 v41, 31, v40
	v_add_co_ci_u32_e64 v28, null, s5, v28, vcc_lo
	v_add_co_u32 v29, vcc_lo, s4, v29
	v_lshlrev_b64 v[35:36], 4, v[36:37]
	v_ashrrev_i32_e32 v43, 31, v42
	v_add_co_ci_u32_e64 v30, null, s5, v30, vcc_lo
	v_add_co_u32 v31, vcc_lo, s4, v31
	v_lshlrev_b64 v[37:38], 4, v[38:39]
	v_add_nc_u32_e32 v47, s15, v45
	v_add_co_ci_u32_e64 v32, null, s5, v32, vcc_lo
	v_add_co_u32 v33, vcc_lo, s4, v33
	v_lshlrev_b64 v[39:40], 4, v[40:41]
	v_add_co_ci_u32_e64 v34, null, s5, v34, vcc_lo
	v_add_co_u32 v35, vcc_lo, s4, v35
	v_lshlrev_b64 v[43:44], 4, v[42:43]
	v_add_co_ci_u32_e64 v36, null, s5, v36, vcc_lo
	v_add_co_u32 v37, vcc_lo, s4, v37
	v_add_nc_u32_e32 v53, s15, v47
	v_ashrrev_i32_e32 v46, 31, v45
	v_add_co_ci_u32_e64 v38, null, s5, v38, vcc_lo
	v_add_co_u32 v39, vcc_lo, s4, v39
	v_ashrrev_i32_e32 v48, 31, v47
	v_add_co_ci_u32_e64 v40, null, s5, v40, vcc_lo
	v_add_co_u32 v41, vcc_lo, s4, v43
	v_ashrrev_i32_e32 v54, 31, v53
	v_add_co_ci_u32_e64 v42, null, s5, v44, vcc_lo
	v_lshlrev_b64 v[43:44], 4, v[45:46]
	v_lshlrev_b64 v[45:46], 4, v[47:48]
	;; [unrolled: 1-line block ×3, first 2 shown]
	s_clause 0x4
	global_load_dwordx4 v[1:4], v55, s[4:5]
	global_load_dwordx4 v[49:52], v[7:8], off
	global_load_dwordx4 v[56:59], v[9:10], off
	;; [unrolled: 1-line block ×4, first 2 shown]
	v_add_co_u32 v43, vcc_lo, s4, v43
	v_add_co_ci_u32_e64 v44, null, s5, v44, vcc_lo
	v_add_co_u32 v45, vcc_lo, s4, v45
	v_add_co_ci_u32_e64 v46, null, s5, v46, vcc_lo
	;; [unrolled: 2-line block ×3, first 2 shown]
	s_clause 0x10
	global_load_dwordx4 v[68:71], v[15:16], off
	global_load_dwordx4 v[72:75], v[17:18], off
	;; [unrolled: 1-line block ×17, first 2 shown]
	s_movk_i32 s4, 0x50
	s_movk_i32 s8, 0x60
	;; [unrolled: 1-line block ×7, first 2 shown]
	s_add_i32 s28, s4, 16
	s_add_i32 s27, s8, 16
	;; [unrolled: 1-line block ×17, first 2 shown]
	s_mov_b32 s5, -1
	s_mov_b32 s33, 32
	s_mov_b32 s31, 48
	;; [unrolled: 1-line block ×3, first 2 shown]
	s_movk_i32 s29, 0x50
	s_bitcmp0_b32 s35, 0
	s_waitcnt vmcnt(21)
	buffer_store_dword v4, off, s[0:3], 0 offset:28
	buffer_store_dword v3, off, s[0:3], 0 offset:24
	buffer_store_dword v2, off, s[0:3], 0 offset:20
	buffer_store_dword v1, off, s[0:3], 0 offset:16
	s_waitcnt vmcnt(20)
	buffer_store_dword v52, off, s[0:3], 0 offset:44
	buffer_store_dword v51, off, s[0:3], 0 offset:40
	buffer_store_dword v50, off, s[0:3], 0 offset:36
	buffer_store_dword v49, off, s[0:3], 0 offset:32
	s_waitcnt vmcnt(19)
	buffer_store_dword v59, off, s[0:3], 0 offset:60
	buffer_store_dword v58, off, s[0:3], 0 offset:56
	buffer_store_dword v57, off, s[0:3], 0 offset:52
	buffer_store_dword v56, off, s[0:3], 0 offset:48
	s_waitcnt vmcnt(18)
	buffer_store_dword v63, off, s[0:3], 0 offset:76
	buffer_store_dword v62, off, s[0:3], 0 offset:72
	buffer_store_dword v61, off, s[0:3], 0 offset:68
	buffer_store_dword v60, off, s[0:3], 0 offset:64
	s_waitcnt vmcnt(17)
	buffer_store_dword v67, off, s[0:3], 0 offset:92
	buffer_store_dword v66, off, s[0:3], 0 offset:88
	buffer_store_dword v65, off, s[0:3], 0 offset:84
	buffer_store_dword v64, off, s[0:3], 0 offset:80
	s_waitcnt vmcnt(16)
	buffer_store_dword v71, off, s[0:3], 0 offset:108
	buffer_store_dword v70, off, s[0:3], 0 offset:104
	buffer_store_dword v69, off, s[0:3], 0 offset:100
	buffer_store_dword v68, off, s[0:3], 0 offset:96
	s_waitcnt vmcnt(15)
	buffer_store_dword v75, off, s[0:3], 0 offset:124
	buffer_store_dword v74, off, s[0:3], 0 offset:120
	buffer_store_dword v73, off, s[0:3], 0 offset:116
	buffer_store_dword v72, off, s[0:3], 0 offset:112
	s_waitcnt vmcnt(14)
	buffer_store_dword v79, off, s[0:3], 0 offset:140
	buffer_store_dword v78, off, s[0:3], 0 offset:136
	buffer_store_dword v77, off, s[0:3], 0 offset:132
	buffer_store_dword v76, off, s[0:3], 0 offset:128
	s_waitcnt vmcnt(13)
	buffer_store_dword v83, off, s[0:3], 0 offset:156
	buffer_store_dword v82, off, s[0:3], 0 offset:152
	buffer_store_dword v81, off, s[0:3], 0 offset:148
	buffer_store_dword v80, off, s[0:3], 0 offset:144
	s_waitcnt vmcnt(12)
	buffer_store_dword v84, off, s[0:3], 0 offset:160
	buffer_store_dword v85, off, s[0:3], 0 offset:164
	buffer_store_dword v86, off, s[0:3], 0 offset:168
	buffer_store_dword v87, off, s[0:3], 0 offset:172
	s_waitcnt vmcnt(11)
	buffer_store_dword v88, off, s[0:3], 0 offset:176
	buffer_store_dword v89, off, s[0:3], 0 offset:180
	buffer_store_dword v90, off, s[0:3], 0 offset:184
	buffer_store_dword v91, off, s[0:3], 0 offset:188
	s_waitcnt vmcnt(10)
	buffer_store_dword v92, off, s[0:3], 0 offset:192
	buffer_store_dword v93, off, s[0:3], 0 offset:196
	buffer_store_dword v94, off, s[0:3], 0 offset:200
	buffer_store_dword v95, off, s[0:3], 0 offset:204
	s_waitcnt vmcnt(9)
	buffer_store_dword v99, off, s[0:3], 0 offset:220
	buffer_store_dword v98, off, s[0:3], 0 offset:216
	buffer_store_dword v97, off, s[0:3], 0 offset:212
	buffer_store_dword v96, off, s[0:3], 0 offset:208
	s_waitcnt vmcnt(8)
	buffer_store_dword v103, off, s[0:3], 0 offset:236
	buffer_store_dword v102, off, s[0:3], 0 offset:232
	buffer_store_dword v101, off, s[0:3], 0 offset:228
	buffer_store_dword v100, off, s[0:3], 0 offset:224
	s_waitcnt vmcnt(7)
	buffer_store_dword v107, off, s[0:3], 0 offset:252
	buffer_store_dword v106, off, s[0:3], 0 offset:248
	buffer_store_dword v105, off, s[0:3], 0 offset:244
	buffer_store_dword v104, off, s[0:3], 0 offset:240
	s_waitcnt vmcnt(6)
	buffer_store_dword v111, off, s[0:3], 0 offset:268
	buffer_store_dword v110, off, s[0:3], 0 offset:264
	buffer_store_dword v109, off, s[0:3], 0 offset:260
	buffer_store_dword v108, off, s[0:3], 0 offset:256
	s_waitcnt vmcnt(5)
	buffer_store_dword v115, off, s[0:3], 0 offset:284
	buffer_store_dword v114, off, s[0:3], 0 offset:280
	buffer_store_dword v113, off, s[0:3], 0 offset:276
	buffer_store_dword v112, off, s[0:3], 0 offset:272
	s_waitcnt vmcnt(4)
	buffer_store_dword v119, off, s[0:3], 0 offset:300
	buffer_store_dword v118, off, s[0:3], 0 offset:296
	buffer_store_dword v117, off, s[0:3], 0 offset:292
	buffer_store_dword v116, off, s[0:3], 0 offset:288
	s_waitcnt vmcnt(3)
	buffer_store_dword v123, off, s[0:3], 0 offset:316
	buffer_store_dword v122, off, s[0:3], 0 offset:312
	buffer_store_dword v121, off, s[0:3], 0 offset:308
	buffer_store_dword v120, off, s[0:3], 0 offset:304
	s_waitcnt vmcnt(2)
	buffer_store_dword v127, off, s[0:3], 0 offset:332
	buffer_store_dword v126, off, s[0:3], 0 offset:328
	buffer_store_dword v125, off, s[0:3], 0 offset:324
	buffer_store_dword v124, off, s[0:3], 0 offset:320
	s_waitcnt vmcnt(1)
	buffer_store_dword v131, off, s[0:3], 0 offset:348
	buffer_store_dword v130, off, s[0:3], 0 offset:344
	buffer_store_dword v129, off, s[0:3], 0 offset:340
	buffer_store_dword v128, off, s[0:3], 0 offset:336
	s_waitcnt vmcnt(0)
	buffer_store_dword v135, off, s[0:3], 0 offset:364
	buffer_store_dword v134, off, s[0:3], 0 offset:360
	buffer_store_dword v133, off, s[0:3], 0 offset:356
	buffer_store_dword v132, off, s[0:3], 0 offset:352
	s_cbranch_scc1 .LBB21_100
; %bb.4:
	v_cmp_eq_u32_e64 s4, 0, v0
	s_and_saveexec_b32 s5, s4
; %bb.5:
	v_mov_b32_e32 v1, 0
	ds_write_b32 v1, v1 offset:704
; %bb.6:
	s_or_b32 exec_lo, exec_lo, s5
	v_lshl_add_u32 v56, v0, 4, 16
	s_waitcnt lgkmcnt(0)
	s_waitcnt_vscnt null, 0x0
	s_barrier
	buffer_gl0_inv
	s_clause 0x3
	buffer_load_dword v1, v56, s[0:3], 0 offen
	buffer_load_dword v2, v56, s[0:3], 0 offen offset:4
	buffer_load_dword v3, v56, s[0:3], 0 offen offset:8
	;; [unrolled: 1-line block ×3, first 2 shown]
	s_waitcnt vmcnt(2)
	v_cmp_eq_f64_e32 vcc_lo, 0, v[1:2]
	s_waitcnt vmcnt(0)
	v_cmp_eq_f64_e64 s5, 0, v[3:4]
	s_and_b32 s5, vcc_lo, s5
	s_and_saveexec_b32 s35, s5
	s_cbranch_execz .LBB21_10
; %bb.7:
	v_mov_b32_e32 v1, 0
	s_mov_b32 s36, 0
	ds_read_b32 v2, v1 offset:704
	s_waitcnt lgkmcnt(0)
	v_readfirstlane_b32 s5, v2
	v_add_nc_u32_e32 v2, 1, v0
	s_cmp_eq_u32 s5, 0
	v_cmp_gt_i32_e32 vcc_lo, s5, v2
	s_cselect_b32 s37, -1, 0
	s_or_b32 s37, s37, vcc_lo
	s_and_b32 exec_lo, exec_lo, s37
	s_cbranch_execz .LBB21_10
; %bb.8:
	v_mov_b32_e32 v3, s5
.LBB21_9:                               ; =>This Inner Loop Header: Depth=1
	ds_cmpst_rtn_b32 v3, v1, v3, v2 offset:704
	s_waitcnt lgkmcnt(0)
	v_cmp_ne_u32_e32 vcc_lo, 0, v3
	v_cmp_le_i32_e64 s5, v3, v2
	s_and_b32 s5, vcc_lo, s5
	s_and_b32 s5, exec_lo, s5
	s_or_b32 s36, s5, s36
	s_andn2_b32 exec_lo, exec_lo, s36
	s_cbranch_execnz .LBB21_9
.LBB21_10:
	s_or_b32 exec_lo, exec_lo, s35
	v_mov_b32_e32 v1, 0
	s_barrier
	buffer_gl0_inv
	ds_read_b32 v2, v1 offset:704
	s_and_saveexec_b32 s5, s4
	s_cbranch_execz .LBB21_12
; %bb.11:
	s_lshl_b64 s[36:37], s[6:7], 2
	s_add_u32 s36, s10, s36
	s_addc_u32 s37, s11, s37
	s_waitcnt lgkmcnt(0)
	global_store_dword v1, v2, s[36:37]
.LBB21_12:
	s_or_b32 exec_lo, exec_lo, s5
	s_waitcnt lgkmcnt(0)
	v_cmp_ne_u32_e32 vcc_lo, 0, v2
	s_mov_b32 s5, 0
	s_cbranch_vccnz .LBB21_100
; %bb.13:
	s_clause 0x3
	buffer_load_dword v51, v56, s[0:3], 0 offen
	buffer_load_dword v52, v56, s[0:3], 0 offen offset:4
	buffer_load_dword v53, v56, s[0:3], 0 offen offset:8
	;; [unrolled: 1-line block ×3, first 2 shown]
                                        ; implicit-def: $vgpr49_vgpr50
                                        ; implicit-def: $vgpr3_vgpr4
	s_waitcnt vmcnt(0)
	v_cmp_ngt_f64_e64 s5, |v[51:52]|, |v[53:54]|
	s_and_saveexec_b32 s35, s5
	s_xor_b32 s5, exec_lo, s35
	s_cbranch_execz .LBB21_15
; %bb.14:
	v_div_scale_f64 v[1:2], null, v[53:54], v[53:54], v[51:52]
	v_div_scale_f64 v[57:58], vcc_lo, v[51:52], v[53:54], v[51:52]
	v_rcp_f64_e32 v[3:4], v[1:2]
	v_fma_f64 v[49:50], -v[1:2], v[3:4], 1.0
	v_fma_f64 v[3:4], v[3:4], v[49:50], v[3:4]
	v_fma_f64 v[49:50], -v[1:2], v[3:4], 1.0
	v_fma_f64 v[3:4], v[3:4], v[49:50], v[3:4]
	v_mul_f64 v[49:50], v[57:58], v[3:4]
	v_fma_f64 v[1:2], -v[1:2], v[49:50], v[57:58]
	v_div_fmas_f64 v[1:2], v[1:2], v[3:4], v[49:50]
	v_div_fixup_f64 v[1:2], v[1:2], v[53:54], v[51:52]
	v_fma_f64 v[3:4], v[51:52], v[1:2], v[53:54]
	v_div_scale_f64 v[49:50], null, v[3:4], v[3:4], 1.0
	v_div_scale_f64 v[57:58], vcc_lo, 1.0, v[3:4], 1.0
	v_rcp_f64_e32 v[51:52], v[49:50]
	v_fma_f64 v[53:54], -v[49:50], v[51:52], 1.0
	v_fma_f64 v[51:52], v[51:52], v[53:54], v[51:52]
	v_fma_f64 v[53:54], -v[49:50], v[51:52], 1.0
	v_fma_f64 v[51:52], v[51:52], v[53:54], v[51:52]
	v_mul_f64 v[53:54], v[57:58], v[51:52]
	v_fma_f64 v[49:50], -v[49:50], v[53:54], v[57:58]
	v_div_fmas_f64 v[49:50], v[49:50], v[51:52], v[53:54]
                                        ; implicit-def: $vgpr51_vgpr52
                                        ; implicit-def: $vgpr53_vgpr54
	v_div_fixup_f64 v[3:4], v[49:50], v[3:4], 1.0
	v_mul_f64 v[49:50], v[1:2], v[3:4]
	v_xor_b32_e32 v4, 0x80000000, v4
	v_xor_b32_e32 v2, 0x80000000, v50
	v_mov_b32_e32 v1, v49
.LBB21_15:
	s_andn2_saveexec_b32 s5, s5
	s_cbranch_execz .LBB21_17
; %bb.16:
	v_div_scale_f64 v[1:2], null, v[51:52], v[51:52], v[53:54]
	v_div_scale_f64 v[57:58], vcc_lo, v[53:54], v[51:52], v[53:54]
	v_rcp_f64_e32 v[3:4], v[1:2]
	v_fma_f64 v[49:50], -v[1:2], v[3:4], 1.0
	v_fma_f64 v[3:4], v[3:4], v[49:50], v[3:4]
	v_fma_f64 v[49:50], -v[1:2], v[3:4], 1.0
	v_fma_f64 v[3:4], v[3:4], v[49:50], v[3:4]
	v_mul_f64 v[49:50], v[57:58], v[3:4]
	v_fma_f64 v[1:2], -v[1:2], v[49:50], v[57:58]
	v_div_fmas_f64 v[1:2], v[1:2], v[3:4], v[49:50]
	v_div_fixup_f64 v[1:2], v[1:2], v[51:52], v[53:54]
	v_fma_f64 v[3:4], v[53:54], v[1:2], v[51:52]
	v_div_scale_f64 v[49:50], null, v[3:4], v[3:4], 1.0
	v_rcp_f64_e32 v[51:52], v[49:50]
	v_fma_f64 v[53:54], -v[49:50], v[51:52], 1.0
	v_fma_f64 v[51:52], v[51:52], v[53:54], v[51:52]
	v_fma_f64 v[53:54], -v[49:50], v[51:52], 1.0
	v_fma_f64 v[51:52], v[51:52], v[53:54], v[51:52]
	v_div_scale_f64 v[53:54], vcc_lo, 1.0, v[3:4], 1.0
	v_mul_f64 v[57:58], v[53:54], v[51:52]
	v_fma_f64 v[49:50], -v[49:50], v[57:58], v[53:54]
	v_div_fmas_f64 v[49:50], v[49:50], v[51:52], v[57:58]
	v_div_fixup_f64 v[49:50], v[49:50], v[3:4], 1.0
	v_mul_f64 v[3:4], v[1:2], -v[49:50]
	v_xor_b32_e32 v2, 0x80000000, v50
	v_mov_b32_e32 v1, v49
.LBB21_17:
	s_or_b32 exec_lo, exec_lo, s5
	v_mov_b32_e32 v54, s33
	buffer_store_dword v50, v56, s[0:3], 0 offen offset:4
	buffer_store_dword v49, v56, s[0:3], 0 offen
	buffer_store_dword v4, v56, s[0:3], 0 offen offset:12
	buffer_store_dword v3, v56, s[0:3], 0 offen offset:8
	v_xor_b32_e32 v4, 0x80000000, v4
	v_add_nc_u32_e32 v49, 0x160, v55
	s_clause 0x3
	buffer_load_dword v53, v54, s[0:3], 0 offen offset:12
	buffer_load_dword v52, v54, s[0:3], 0 offen offset:8
	;; [unrolled: 1-line block ×3, first 2 shown]
	buffer_load_dword v50, v54, s[0:3], 0 offen
	ds_write_b128 v55, v[1:4]
	s_waitcnt vmcnt(0)
	ds_write_b128 v55, v[50:53] offset:352
	s_waitcnt lgkmcnt(0)
	s_waitcnt_vscnt null, 0x0
	s_barrier
	buffer_gl0_inv
	s_and_saveexec_b32 s5, s4
	s_cbranch_execz .LBB21_19
; %bb.18:
	s_clause 0x3
	buffer_load_dword v57, v56, s[0:3], 0 offen offset:8
	buffer_load_dword v58, v56, s[0:3], 0 offen offset:12
	buffer_load_dword v59, v56, s[0:3], 0 offen
	buffer_load_dword v60, v56, s[0:3], 0 offen offset:4
	ds_read_b128 v[1:4], v49
	v_mov_b32_e32 v50, 0
	ds_read_b128 v[50:53], v50 offset:16
	s_waitcnt vmcnt(2) lgkmcnt(1)
	v_mul_f64 v[61:62], v[1:2], v[57:58]
	v_mul_f64 v[57:58], v[3:4], v[57:58]
	s_waitcnt vmcnt(0)
	v_fma_f64 v[3:4], v[3:4], v[59:60], v[61:62]
	v_fma_f64 v[1:2], v[1:2], v[59:60], -v[57:58]
	v_add_f64 v[3:4], v[3:4], 0
	v_add_f64 v[1:2], v[1:2], 0
	s_waitcnt lgkmcnt(0)
	v_mul_f64 v[57:58], v[3:4], v[52:53]
	v_mul_f64 v[52:53], v[1:2], v[52:53]
	v_fma_f64 v[1:2], v[1:2], v[50:51], -v[57:58]
	v_fma_f64 v[3:4], v[3:4], v[50:51], v[52:53]
	buffer_store_dword v1, off, s[0:3], 0 offset:32
	buffer_store_dword v2, off, s[0:3], 0 offset:36
	;; [unrolled: 1-line block ×4, first 2 shown]
.LBB21_19:
	s_or_b32 exec_lo, exec_lo, s5
	v_mov_b32_e32 v4, s31
	s_waitcnt_vscnt null, 0x0
	s_barrier
	buffer_gl0_inv
	s_mov_b32 s5, exec_lo
	s_clause 0x3
	buffer_load_dword v1, v4, s[0:3], 0 offen
	buffer_load_dword v2, v4, s[0:3], 0 offen offset:4
	buffer_load_dword v3, v4, s[0:3], 0 offen offset:8
	buffer_load_dword v4, v4, s[0:3], 0 offen offset:12
	s_waitcnt vmcnt(0)
	ds_write_b128 v49, v[1:4]
	s_waitcnt lgkmcnt(0)
	s_barrier
	buffer_gl0_inv
	v_cmpx_gt_u32_e32 2, v0
	s_cbranch_execz .LBB21_23
; %bb.20:
	s_clause 0x3
	buffer_load_dword v50, v56, s[0:3], 0 offen offset:8
	buffer_load_dword v51, v56, s[0:3], 0 offen offset:12
	buffer_load_dword v52, v56, s[0:3], 0 offen
	buffer_load_dword v53, v56, s[0:3], 0 offen offset:4
	ds_read_b128 v[1:4], v49
	s_waitcnt vmcnt(2) lgkmcnt(0)
	v_mul_f64 v[56:57], v[3:4], v[50:51]
	v_mul_f64 v[50:51], v[1:2], v[50:51]
	s_waitcnt vmcnt(0)
	v_fma_f64 v[1:2], v[1:2], v[52:53], -v[56:57]
	v_fma_f64 v[3:4], v[3:4], v[52:53], v[50:51]
	v_add_f64 v[1:2], v[1:2], 0
	v_add_f64 v[3:4], v[3:4], 0
	s_and_saveexec_b32 s35, s4
	s_cbranch_execz .LBB21_22
; %bb.21:
	s_clause 0x3
	buffer_load_dword v56, off, s[0:3], 0 offset:40
	buffer_load_dword v57, off, s[0:3], 0 offset:44
	;; [unrolled: 1-line block ×4, first 2 shown]
	v_mov_b32_e32 v50, 0
	ds_read_b128 v[50:53], v50 offset:368
	s_waitcnt vmcnt(2) lgkmcnt(0)
	v_mul_f64 v[60:61], v[50:51], v[56:57]
	v_mul_f64 v[56:57], v[52:53], v[56:57]
	s_waitcnt vmcnt(0)
	v_fma_f64 v[52:53], v[52:53], v[58:59], v[60:61]
	v_fma_f64 v[50:51], v[50:51], v[58:59], -v[56:57]
	v_add_f64 v[3:4], v[3:4], v[52:53]
	v_add_f64 v[1:2], v[1:2], v[50:51]
.LBB21_22:
	s_or_b32 exec_lo, exec_lo, s35
	v_mov_b32_e32 v50, 0
	ds_read_b128 v[50:53], v50 offset:32
	s_waitcnt lgkmcnt(0)
	v_mul_f64 v[56:57], v[3:4], v[52:53]
	v_mul_f64 v[52:53], v[1:2], v[52:53]
	v_fma_f64 v[1:2], v[1:2], v[50:51], -v[56:57]
	v_fma_f64 v[3:4], v[3:4], v[50:51], v[52:53]
	buffer_store_dword v2, off, s[0:3], 0 offset:52
	buffer_store_dword v1, off, s[0:3], 0 offset:48
	;; [unrolled: 1-line block ×4, first 2 shown]
.LBB21_23:
	s_or_b32 exec_lo, exec_lo, s5
	v_mov_b32_e32 v4, s30
	s_waitcnt_vscnt null, 0x0
	s_barrier
	buffer_gl0_inv
	v_add_nc_u32_e32 v50, -1, v0
	s_clause 0x3
	buffer_load_dword v1, v4, s[0:3], 0 offen
	buffer_load_dword v2, v4, s[0:3], 0 offen offset:4
	buffer_load_dword v3, v4, s[0:3], 0 offen offset:8
	;; [unrolled: 1-line block ×3, first 2 shown]
	s_mov_b32 s4, exec_lo
	s_waitcnt vmcnt(0)
	ds_write_b128 v49, v[1:4]
	s_waitcnt lgkmcnt(0)
	s_barrier
	buffer_gl0_inv
	v_cmpx_gt_u32_e32 3, v0
	s_cbranch_execz .LBB21_27
; %bb.24:
	v_mov_b32_e32 v1, 0
	v_mov_b32_e32 v3, 0
	v_add_nc_u32_e32 v51, -1, v0
	v_add_nc_u32_e32 v52, 0x160, v55
	v_mov_b32_e32 v2, 0
	v_mov_b32_e32 v4, 0
	v_add_nc_u32_e32 v53, 16, v55
	s_mov_b32 s5, 0
	.p2align	6
.LBB21_25:                              ; =>This Inner Loop Header: Depth=1
	s_clause 0x3
	buffer_load_dword v60, v53, s[0:3], 0 offen offset:8
	buffer_load_dword v61, v53, s[0:3], 0 offen offset:12
	buffer_load_dword v62, v53, s[0:3], 0 offen
	buffer_load_dword v63, v53, s[0:3], 0 offen offset:4
	ds_read_b128 v[56:59], v52
	v_add_nc_u32_e32 v51, 1, v51
	v_add_nc_u32_e32 v52, 16, v52
	;; [unrolled: 1-line block ×3, first 2 shown]
	v_cmp_lt_u32_e32 vcc_lo, 1, v51
	s_or_b32 s5, vcc_lo, s5
	s_waitcnt vmcnt(2) lgkmcnt(0)
	v_mul_f64 v[64:65], v[58:59], v[60:61]
	v_mul_f64 v[60:61], v[56:57], v[60:61]
	s_waitcnt vmcnt(0)
	v_fma_f64 v[56:57], v[56:57], v[62:63], -v[64:65]
	v_fma_f64 v[58:59], v[58:59], v[62:63], v[60:61]
	v_add_f64 v[3:4], v[3:4], v[56:57]
	v_add_f64 v[1:2], v[1:2], v[58:59]
	s_andn2_b32 exec_lo, exec_lo, s5
	s_cbranch_execnz .LBB21_25
; %bb.26:
	s_or_b32 exec_lo, exec_lo, s5
	v_mov_b32_e32 v51, 0
	ds_read_b128 v[51:54], v51 offset:48
	s_waitcnt lgkmcnt(0)
	v_mul_f64 v[56:57], v[1:2], v[53:54]
	v_mul_f64 v[53:54], v[3:4], v[53:54]
	v_fma_f64 v[3:4], v[3:4], v[51:52], -v[56:57]
	v_fma_f64 v[1:2], v[1:2], v[51:52], v[53:54]
	buffer_store_dword v4, off, s[0:3], 0 offset:68
	buffer_store_dword v3, off, s[0:3], 0 offset:64
	;; [unrolled: 1-line block ×4, first 2 shown]
.LBB21_27:
	s_or_b32 exec_lo, exec_lo, s4
	v_mov_b32_e32 v4, s29
	s_waitcnt_vscnt null, 0x0
	s_barrier
	buffer_gl0_inv
	s_mov_b32 s4, exec_lo
	s_clause 0x3
	buffer_load_dword v1, v4, s[0:3], 0 offen
	buffer_load_dword v2, v4, s[0:3], 0 offen offset:4
	buffer_load_dword v3, v4, s[0:3], 0 offen offset:8
	;; [unrolled: 1-line block ×3, first 2 shown]
	s_waitcnt vmcnt(0)
	ds_write_b128 v49, v[1:4]
	s_waitcnt lgkmcnt(0)
	s_barrier
	buffer_gl0_inv
	v_cmpx_gt_u32_e32 4, v0
	s_cbranch_execz .LBB21_31
; %bb.28:
	v_mov_b32_e32 v1, 0
	v_mov_b32_e32 v3, 0
	v_add_nc_u32_e32 v51, -1, v0
	v_add_nc_u32_e32 v52, 0x160, v55
	v_mov_b32_e32 v2, 0
	v_mov_b32_e32 v4, 0
	v_add_nc_u32_e32 v53, 16, v55
	s_mov_b32 s5, 0
	.p2align	6
.LBB21_29:                              ; =>This Inner Loop Header: Depth=1
	s_clause 0x3
	buffer_load_dword v60, v53, s[0:3], 0 offen offset:8
	buffer_load_dword v61, v53, s[0:3], 0 offen offset:12
	buffer_load_dword v62, v53, s[0:3], 0 offen
	buffer_load_dword v63, v53, s[0:3], 0 offen offset:4
	ds_read_b128 v[56:59], v52
	v_add_nc_u32_e32 v51, 1, v51
	v_add_nc_u32_e32 v52, 16, v52
	;; [unrolled: 1-line block ×3, first 2 shown]
	v_cmp_lt_u32_e32 vcc_lo, 2, v51
	s_or_b32 s5, vcc_lo, s5
	s_waitcnt vmcnt(2) lgkmcnt(0)
	v_mul_f64 v[64:65], v[58:59], v[60:61]
	v_mul_f64 v[60:61], v[56:57], v[60:61]
	s_waitcnt vmcnt(0)
	v_fma_f64 v[56:57], v[56:57], v[62:63], -v[64:65]
	v_fma_f64 v[58:59], v[58:59], v[62:63], v[60:61]
	v_add_f64 v[3:4], v[3:4], v[56:57]
	v_add_f64 v[1:2], v[1:2], v[58:59]
	s_andn2_b32 exec_lo, exec_lo, s5
	s_cbranch_execnz .LBB21_29
; %bb.30:
	s_or_b32 exec_lo, exec_lo, s5
	v_mov_b32_e32 v51, 0
	ds_read_b128 v[51:54], v51 offset:64
	s_waitcnt lgkmcnt(0)
	v_mul_f64 v[56:57], v[1:2], v[53:54]
	v_mul_f64 v[53:54], v[3:4], v[53:54]
	v_fma_f64 v[3:4], v[3:4], v[51:52], -v[56:57]
	v_fma_f64 v[1:2], v[1:2], v[51:52], v[53:54]
	buffer_store_dword v4, off, s[0:3], 0 offset:84
	buffer_store_dword v3, off, s[0:3], 0 offset:80
	;; [unrolled: 1-line block ×4, first 2 shown]
.LBB21_31:
	s_or_b32 exec_lo, exec_lo, s4
	v_mov_b32_e32 v4, s28
	s_waitcnt_vscnt null, 0x0
	s_barrier
	buffer_gl0_inv
	s_mov_b32 s4, exec_lo
	s_clause 0x3
	buffer_load_dword v1, v4, s[0:3], 0 offen
	buffer_load_dword v2, v4, s[0:3], 0 offen offset:4
	buffer_load_dword v3, v4, s[0:3], 0 offen offset:8
	;; [unrolled: 1-line block ×3, first 2 shown]
	s_waitcnt vmcnt(0)
	ds_write_b128 v49, v[1:4]
	s_waitcnt lgkmcnt(0)
	s_barrier
	buffer_gl0_inv
	v_cmpx_gt_u32_e32 5, v0
	s_cbranch_execz .LBB21_35
; %bb.32:
	v_mov_b32_e32 v1, 0
	v_mov_b32_e32 v3, 0
	v_add_nc_u32_e32 v51, -1, v0
	v_add_nc_u32_e32 v52, 0x160, v55
	v_mov_b32_e32 v2, 0
	v_mov_b32_e32 v4, 0
	v_add_nc_u32_e32 v53, 16, v55
	s_mov_b32 s5, 0
	.p2align	6
.LBB21_33:                              ; =>This Inner Loop Header: Depth=1
	s_clause 0x3
	buffer_load_dword v60, v53, s[0:3], 0 offen offset:8
	buffer_load_dword v61, v53, s[0:3], 0 offen offset:12
	buffer_load_dword v62, v53, s[0:3], 0 offen
	buffer_load_dword v63, v53, s[0:3], 0 offen offset:4
	ds_read_b128 v[56:59], v52
	v_add_nc_u32_e32 v51, 1, v51
	v_add_nc_u32_e32 v52, 16, v52
	;; [unrolled: 1-line block ×3, first 2 shown]
	v_cmp_lt_u32_e32 vcc_lo, 3, v51
	s_or_b32 s5, vcc_lo, s5
	s_waitcnt vmcnt(2) lgkmcnt(0)
	v_mul_f64 v[64:65], v[58:59], v[60:61]
	v_mul_f64 v[60:61], v[56:57], v[60:61]
	s_waitcnt vmcnt(0)
	v_fma_f64 v[56:57], v[56:57], v[62:63], -v[64:65]
	v_fma_f64 v[58:59], v[58:59], v[62:63], v[60:61]
	v_add_f64 v[3:4], v[3:4], v[56:57]
	v_add_f64 v[1:2], v[1:2], v[58:59]
	s_andn2_b32 exec_lo, exec_lo, s5
	s_cbranch_execnz .LBB21_33
; %bb.34:
	s_or_b32 exec_lo, exec_lo, s5
	v_mov_b32_e32 v51, 0
	ds_read_b128 v[51:54], v51 offset:80
	s_waitcnt lgkmcnt(0)
	v_mul_f64 v[56:57], v[1:2], v[53:54]
	v_mul_f64 v[53:54], v[3:4], v[53:54]
	v_fma_f64 v[3:4], v[3:4], v[51:52], -v[56:57]
	v_fma_f64 v[1:2], v[1:2], v[51:52], v[53:54]
	buffer_store_dword v4, off, s[0:3], 0 offset:100
	buffer_store_dword v3, off, s[0:3], 0 offset:96
	;; [unrolled: 1-line block ×4, first 2 shown]
.LBB21_35:
	s_or_b32 exec_lo, exec_lo, s4
	v_mov_b32_e32 v4, s27
	s_waitcnt_vscnt null, 0x0
	s_barrier
	buffer_gl0_inv
	s_mov_b32 s4, exec_lo
	s_clause 0x3
	buffer_load_dword v1, v4, s[0:3], 0 offen
	buffer_load_dword v2, v4, s[0:3], 0 offen offset:4
	buffer_load_dword v3, v4, s[0:3], 0 offen offset:8
	;; [unrolled: 1-line block ×3, first 2 shown]
	s_waitcnt vmcnt(0)
	ds_write_b128 v49, v[1:4]
	s_waitcnt lgkmcnt(0)
	s_barrier
	buffer_gl0_inv
	v_cmpx_gt_u32_e32 6, v0
	s_cbranch_execz .LBB21_39
; %bb.36:
	v_mov_b32_e32 v1, 0
	v_mov_b32_e32 v3, 0
	v_add_nc_u32_e32 v51, -1, v0
	v_add_nc_u32_e32 v52, 0x160, v55
	v_mov_b32_e32 v2, 0
	v_mov_b32_e32 v4, 0
	v_add_nc_u32_e32 v53, 16, v55
	s_mov_b32 s5, 0
	.p2align	6
.LBB21_37:                              ; =>This Inner Loop Header: Depth=1
	s_clause 0x3
	buffer_load_dword v60, v53, s[0:3], 0 offen offset:8
	buffer_load_dword v61, v53, s[0:3], 0 offen offset:12
	buffer_load_dword v62, v53, s[0:3], 0 offen
	buffer_load_dword v63, v53, s[0:3], 0 offen offset:4
	ds_read_b128 v[56:59], v52
	v_add_nc_u32_e32 v51, 1, v51
	v_add_nc_u32_e32 v52, 16, v52
	;; [unrolled: 1-line block ×3, first 2 shown]
	v_cmp_lt_u32_e32 vcc_lo, 4, v51
	s_or_b32 s5, vcc_lo, s5
	s_waitcnt vmcnt(2) lgkmcnt(0)
	v_mul_f64 v[64:65], v[58:59], v[60:61]
	v_mul_f64 v[60:61], v[56:57], v[60:61]
	s_waitcnt vmcnt(0)
	v_fma_f64 v[56:57], v[56:57], v[62:63], -v[64:65]
	v_fma_f64 v[58:59], v[58:59], v[62:63], v[60:61]
	v_add_f64 v[3:4], v[3:4], v[56:57]
	v_add_f64 v[1:2], v[1:2], v[58:59]
	s_andn2_b32 exec_lo, exec_lo, s5
	s_cbranch_execnz .LBB21_37
; %bb.38:
	s_or_b32 exec_lo, exec_lo, s5
	v_mov_b32_e32 v51, 0
	ds_read_b128 v[51:54], v51 offset:96
	s_waitcnt lgkmcnt(0)
	v_mul_f64 v[56:57], v[1:2], v[53:54]
	v_mul_f64 v[53:54], v[3:4], v[53:54]
	v_fma_f64 v[3:4], v[3:4], v[51:52], -v[56:57]
	v_fma_f64 v[1:2], v[1:2], v[51:52], v[53:54]
	buffer_store_dword v4, off, s[0:3], 0 offset:116
	buffer_store_dword v3, off, s[0:3], 0 offset:112
	;; [unrolled: 1-line block ×4, first 2 shown]
.LBB21_39:
	s_or_b32 exec_lo, exec_lo, s4
	v_mov_b32_e32 v4, s26
	s_waitcnt_vscnt null, 0x0
	s_barrier
	buffer_gl0_inv
	s_mov_b32 s4, exec_lo
	s_clause 0x3
	buffer_load_dword v1, v4, s[0:3], 0 offen
	buffer_load_dword v2, v4, s[0:3], 0 offen offset:4
	buffer_load_dword v3, v4, s[0:3], 0 offen offset:8
	;; [unrolled: 1-line block ×3, first 2 shown]
	s_waitcnt vmcnt(0)
	ds_write_b128 v49, v[1:4]
	s_waitcnt lgkmcnt(0)
	s_barrier
	buffer_gl0_inv
	v_cmpx_gt_u32_e32 7, v0
	s_cbranch_execz .LBB21_43
; %bb.40:
	v_mov_b32_e32 v1, 0
	v_mov_b32_e32 v3, 0
	v_add_nc_u32_e32 v51, -1, v0
	v_add_nc_u32_e32 v52, 0x160, v55
	v_mov_b32_e32 v2, 0
	v_mov_b32_e32 v4, 0
	v_add_nc_u32_e32 v53, 16, v55
	s_mov_b32 s5, 0
	.p2align	6
.LBB21_41:                              ; =>This Inner Loop Header: Depth=1
	s_clause 0x3
	buffer_load_dword v60, v53, s[0:3], 0 offen offset:8
	buffer_load_dword v61, v53, s[0:3], 0 offen offset:12
	buffer_load_dword v62, v53, s[0:3], 0 offen
	buffer_load_dword v63, v53, s[0:3], 0 offen offset:4
	ds_read_b128 v[56:59], v52
	v_add_nc_u32_e32 v51, 1, v51
	v_add_nc_u32_e32 v52, 16, v52
	;; [unrolled: 1-line block ×3, first 2 shown]
	v_cmp_lt_u32_e32 vcc_lo, 5, v51
	s_or_b32 s5, vcc_lo, s5
	s_waitcnt vmcnt(2) lgkmcnt(0)
	v_mul_f64 v[64:65], v[58:59], v[60:61]
	v_mul_f64 v[60:61], v[56:57], v[60:61]
	s_waitcnt vmcnt(0)
	v_fma_f64 v[56:57], v[56:57], v[62:63], -v[64:65]
	v_fma_f64 v[58:59], v[58:59], v[62:63], v[60:61]
	v_add_f64 v[3:4], v[3:4], v[56:57]
	v_add_f64 v[1:2], v[1:2], v[58:59]
	s_andn2_b32 exec_lo, exec_lo, s5
	s_cbranch_execnz .LBB21_41
; %bb.42:
	s_or_b32 exec_lo, exec_lo, s5
	v_mov_b32_e32 v51, 0
	ds_read_b128 v[51:54], v51 offset:112
	s_waitcnt lgkmcnt(0)
	v_mul_f64 v[56:57], v[1:2], v[53:54]
	v_mul_f64 v[53:54], v[3:4], v[53:54]
	v_fma_f64 v[3:4], v[3:4], v[51:52], -v[56:57]
	v_fma_f64 v[1:2], v[1:2], v[51:52], v[53:54]
	buffer_store_dword v4, off, s[0:3], 0 offset:132
	buffer_store_dword v3, off, s[0:3], 0 offset:128
	;; [unrolled: 1-line block ×4, first 2 shown]
.LBB21_43:
	s_or_b32 exec_lo, exec_lo, s4
	v_mov_b32_e32 v4, s25
	s_waitcnt_vscnt null, 0x0
	s_barrier
	buffer_gl0_inv
	s_mov_b32 s4, exec_lo
	s_clause 0x3
	buffer_load_dword v1, v4, s[0:3], 0 offen
	buffer_load_dword v2, v4, s[0:3], 0 offen offset:4
	buffer_load_dword v3, v4, s[0:3], 0 offen offset:8
	buffer_load_dword v4, v4, s[0:3], 0 offen offset:12
	s_waitcnt vmcnt(0)
	ds_write_b128 v49, v[1:4]
	s_waitcnt lgkmcnt(0)
	s_barrier
	buffer_gl0_inv
	v_cmpx_gt_u32_e32 8, v0
	s_cbranch_execz .LBB21_47
; %bb.44:
	v_mov_b32_e32 v1, 0
	v_mov_b32_e32 v3, 0
	v_add_nc_u32_e32 v51, -1, v0
	v_add_nc_u32_e32 v52, 0x160, v55
	v_mov_b32_e32 v2, 0
	v_mov_b32_e32 v4, 0
	v_add_nc_u32_e32 v53, 16, v55
	s_mov_b32 s5, 0
	.p2align	6
.LBB21_45:                              ; =>This Inner Loop Header: Depth=1
	s_clause 0x3
	buffer_load_dword v60, v53, s[0:3], 0 offen offset:8
	buffer_load_dword v61, v53, s[0:3], 0 offen offset:12
	buffer_load_dword v62, v53, s[0:3], 0 offen
	buffer_load_dword v63, v53, s[0:3], 0 offen offset:4
	ds_read_b128 v[56:59], v52
	v_add_nc_u32_e32 v51, 1, v51
	v_add_nc_u32_e32 v52, 16, v52
	;; [unrolled: 1-line block ×3, first 2 shown]
	v_cmp_lt_u32_e32 vcc_lo, 6, v51
	s_or_b32 s5, vcc_lo, s5
	s_waitcnt vmcnt(2) lgkmcnt(0)
	v_mul_f64 v[64:65], v[58:59], v[60:61]
	v_mul_f64 v[60:61], v[56:57], v[60:61]
	s_waitcnt vmcnt(0)
	v_fma_f64 v[56:57], v[56:57], v[62:63], -v[64:65]
	v_fma_f64 v[58:59], v[58:59], v[62:63], v[60:61]
	v_add_f64 v[3:4], v[3:4], v[56:57]
	v_add_f64 v[1:2], v[1:2], v[58:59]
	s_andn2_b32 exec_lo, exec_lo, s5
	s_cbranch_execnz .LBB21_45
; %bb.46:
	s_or_b32 exec_lo, exec_lo, s5
	v_mov_b32_e32 v51, 0
	ds_read_b128 v[51:54], v51 offset:128
	s_waitcnt lgkmcnt(0)
	v_mul_f64 v[56:57], v[1:2], v[53:54]
	v_mul_f64 v[53:54], v[3:4], v[53:54]
	v_fma_f64 v[3:4], v[3:4], v[51:52], -v[56:57]
	v_fma_f64 v[1:2], v[1:2], v[51:52], v[53:54]
	buffer_store_dword v4, off, s[0:3], 0 offset:148
	buffer_store_dword v3, off, s[0:3], 0 offset:144
	;; [unrolled: 1-line block ×4, first 2 shown]
.LBB21_47:
	s_or_b32 exec_lo, exec_lo, s4
	v_mov_b32_e32 v4, s24
	s_waitcnt_vscnt null, 0x0
	s_barrier
	buffer_gl0_inv
	s_mov_b32 s4, exec_lo
	s_clause 0x3
	buffer_load_dword v1, v4, s[0:3], 0 offen
	buffer_load_dword v2, v4, s[0:3], 0 offen offset:4
	buffer_load_dword v3, v4, s[0:3], 0 offen offset:8
	;; [unrolled: 1-line block ×3, first 2 shown]
	s_waitcnt vmcnt(0)
	ds_write_b128 v49, v[1:4]
	s_waitcnt lgkmcnt(0)
	s_barrier
	buffer_gl0_inv
	v_cmpx_gt_u32_e32 9, v0
	s_cbranch_execz .LBB21_51
; %bb.48:
	v_mov_b32_e32 v1, 0
	v_mov_b32_e32 v3, 0
	v_add_nc_u32_e32 v51, -1, v0
	v_add_nc_u32_e32 v52, 0x160, v55
	v_mov_b32_e32 v2, 0
	v_mov_b32_e32 v4, 0
	v_add_nc_u32_e32 v53, 16, v55
	s_mov_b32 s5, 0
	.p2align	6
.LBB21_49:                              ; =>This Inner Loop Header: Depth=1
	s_clause 0x3
	buffer_load_dword v60, v53, s[0:3], 0 offen offset:8
	buffer_load_dword v61, v53, s[0:3], 0 offen offset:12
	buffer_load_dword v62, v53, s[0:3], 0 offen
	buffer_load_dword v63, v53, s[0:3], 0 offen offset:4
	ds_read_b128 v[56:59], v52
	v_add_nc_u32_e32 v51, 1, v51
	v_add_nc_u32_e32 v52, 16, v52
	;; [unrolled: 1-line block ×3, first 2 shown]
	v_cmp_lt_u32_e32 vcc_lo, 7, v51
	s_or_b32 s5, vcc_lo, s5
	s_waitcnt vmcnt(2) lgkmcnt(0)
	v_mul_f64 v[64:65], v[58:59], v[60:61]
	v_mul_f64 v[60:61], v[56:57], v[60:61]
	s_waitcnt vmcnt(0)
	v_fma_f64 v[56:57], v[56:57], v[62:63], -v[64:65]
	v_fma_f64 v[58:59], v[58:59], v[62:63], v[60:61]
	v_add_f64 v[3:4], v[3:4], v[56:57]
	v_add_f64 v[1:2], v[1:2], v[58:59]
	s_andn2_b32 exec_lo, exec_lo, s5
	s_cbranch_execnz .LBB21_49
; %bb.50:
	s_or_b32 exec_lo, exec_lo, s5
	v_mov_b32_e32 v51, 0
	ds_read_b128 v[51:54], v51 offset:144
	s_waitcnt lgkmcnt(0)
	v_mul_f64 v[56:57], v[1:2], v[53:54]
	v_mul_f64 v[53:54], v[3:4], v[53:54]
	v_fma_f64 v[3:4], v[3:4], v[51:52], -v[56:57]
	v_fma_f64 v[1:2], v[1:2], v[51:52], v[53:54]
	buffer_store_dword v4, off, s[0:3], 0 offset:164
	buffer_store_dword v3, off, s[0:3], 0 offset:160
	;; [unrolled: 1-line block ×4, first 2 shown]
.LBB21_51:
	s_or_b32 exec_lo, exec_lo, s4
	v_mov_b32_e32 v4, s23
	s_waitcnt_vscnt null, 0x0
	s_barrier
	buffer_gl0_inv
	s_mov_b32 s4, exec_lo
	s_clause 0x3
	buffer_load_dword v1, v4, s[0:3], 0 offen
	buffer_load_dword v2, v4, s[0:3], 0 offen offset:4
	buffer_load_dword v3, v4, s[0:3], 0 offen offset:8
	;; [unrolled: 1-line block ×3, first 2 shown]
	s_waitcnt vmcnt(0)
	ds_write_b128 v49, v[1:4]
	s_waitcnt lgkmcnt(0)
	s_barrier
	buffer_gl0_inv
	v_cmpx_gt_u32_e32 10, v0
	s_cbranch_execz .LBB21_55
; %bb.52:
	v_mov_b32_e32 v1, 0
	v_mov_b32_e32 v3, 0
	v_add_nc_u32_e32 v51, -1, v0
	v_add_nc_u32_e32 v52, 0x160, v55
	v_mov_b32_e32 v2, 0
	v_mov_b32_e32 v4, 0
	v_add_nc_u32_e32 v53, 16, v55
	s_mov_b32 s5, 0
	.p2align	6
.LBB21_53:                              ; =>This Inner Loop Header: Depth=1
	s_clause 0x3
	buffer_load_dword v60, v53, s[0:3], 0 offen offset:8
	buffer_load_dword v61, v53, s[0:3], 0 offen offset:12
	buffer_load_dword v62, v53, s[0:3], 0 offen
	buffer_load_dword v63, v53, s[0:3], 0 offen offset:4
	ds_read_b128 v[56:59], v52
	v_add_nc_u32_e32 v51, 1, v51
	v_add_nc_u32_e32 v52, 16, v52
	;; [unrolled: 1-line block ×3, first 2 shown]
	v_cmp_lt_u32_e32 vcc_lo, 8, v51
	s_or_b32 s5, vcc_lo, s5
	s_waitcnt vmcnt(2) lgkmcnt(0)
	v_mul_f64 v[64:65], v[58:59], v[60:61]
	v_mul_f64 v[60:61], v[56:57], v[60:61]
	s_waitcnt vmcnt(0)
	v_fma_f64 v[56:57], v[56:57], v[62:63], -v[64:65]
	v_fma_f64 v[58:59], v[58:59], v[62:63], v[60:61]
	v_add_f64 v[3:4], v[3:4], v[56:57]
	v_add_f64 v[1:2], v[1:2], v[58:59]
	s_andn2_b32 exec_lo, exec_lo, s5
	s_cbranch_execnz .LBB21_53
; %bb.54:
	s_or_b32 exec_lo, exec_lo, s5
	v_mov_b32_e32 v51, 0
	ds_read_b128 v[51:54], v51 offset:160
	s_waitcnt lgkmcnt(0)
	v_mul_f64 v[56:57], v[1:2], v[53:54]
	v_mul_f64 v[53:54], v[3:4], v[53:54]
	v_fma_f64 v[3:4], v[3:4], v[51:52], -v[56:57]
	v_fma_f64 v[1:2], v[1:2], v[51:52], v[53:54]
	buffer_store_dword v4, off, s[0:3], 0 offset:180
	buffer_store_dword v3, off, s[0:3], 0 offset:176
	;; [unrolled: 1-line block ×4, first 2 shown]
.LBB21_55:
	s_or_b32 exec_lo, exec_lo, s4
	v_mov_b32_e32 v4, s22
	s_waitcnt_vscnt null, 0x0
	s_barrier
	buffer_gl0_inv
	s_mov_b32 s4, exec_lo
	s_clause 0x3
	buffer_load_dword v1, v4, s[0:3], 0 offen
	buffer_load_dword v2, v4, s[0:3], 0 offen offset:4
	buffer_load_dword v3, v4, s[0:3], 0 offen offset:8
	;; [unrolled: 1-line block ×3, first 2 shown]
	s_waitcnt vmcnt(0)
	ds_write_b128 v49, v[1:4]
	s_waitcnt lgkmcnt(0)
	s_barrier
	buffer_gl0_inv
	v_cmpx_gt_u32_e32 11, v0
	s_cbranch_execz .LBB21_59
; %bb.56:
	v_mov_b32_e32 v1, 0
	v_mov_b32_e32 v3, 0
	v_add_nc_u32_e32 v51, -1, v0
	v_add_nc_u32_e32 v52, 0x160, v55
	v_mov_b32_e32 v2, 0
	v_mov_b32_e32 v4, 0
	v_add_nc_u32_e32 v53, 16, v55
	s_mov_b32 s5, 0
	.p2align	6
.LBB21_57:                              ; =>This Inner Loop Header: Depth=1
	s_clause 0x3
	buffer_load_dword v60, v53, s[0:3], 0 offen offset:8
	buffer_load_dword v61, v53, s[0:3], 0 offen offset:12
	buffer_load_dword v62, v53, s[0:3], 0 offen
	buffer_load_dword v63, v53, s[0:3], 0 offen offset:4
	ds_read_b128 v[56:59], v52
	v_add_nc_u32_e32 v51, 1, v51
	v_add_nc_u32_e32 v52, 16, v52
	v_add_nc_u32_e32 v53, 16, v53
	v_cmp_lt_u32_e32 vcc_lo, 9, v51
	s_or_b32 s5, vcc_lo, s5
	s_waitcnt vmcnt(2) lgkmcnt(0)
	v_mul_f64 v[64:65], v[58:59], v[60:61]
	v_mul_f64 v[60:61], v[56:57], v[60:61]
	s_waitcnt vmcnt(0)
	v_fma_f64 v[56:57], v[56:57], v[62:63], -v[64:65]
	v_fma_f64 v[58:59], v[58:59], v[62:63], v[60:61]
	v_add_f64 v[3:4], v[3:4], v[56:57]
	v_add_f64 v[1:2], v[1:2], v[58:59]
	s_andn2_b32 exec_lo, exec_lo, s5
	s_cbranch_execnz .LBB21_57
; %bb.58:
	s_or_b32 exec_lo, exec_lo, s5
	v_mov_b32_e32 v51, 0
	ds_read_b128 v[51:54], v51 offset:176
	s_waitcnt lgkmcnt(0)
	v_mul_f64 v[56:57], v[1:2], v[53:54]
	v_mul_f64 v[53:54], v[3:4], v[53:54]
	v_fma_f64 v[3:4], v[3:4], v[51:52], -v[56:57]
	v_fma_f64 v[1:2], v[1:2], v[51:52], v[53:54]
	buffer_store_dword v4, off, s[0:3], 0 offset:196
	buffer_store_dword v3, off, s[0:3], 0 offset:192
	;; [unrolled: 1-line block ×4, first 2 shown]
.LBB21_59:
	s_or_b32 exec_lo, exec_lo, s4
	v_mov_b32_e32 v4, s19
	s_waitcnt_vscnt null, 0x0
	s_barrier
	buffer_gl0_inv
	s_mov_b32 s4, exec_lo
	s_clause 0x3
	buffer_load_dword v1, v4, s[0:3], 0 offen
	buffer_load_dword v2, v4, s[0:3], 0 offen offset:4
	buffer_load_dword v3, v4, s[0:3], 0 offen offset:8
	;; [unrolled: 1-line block ×3, first 2 shown]
	s_waitcnt vmcnt(0)
	ds_write_b128 v49, v[1:4]
	s_waitcnt lgkmcnt(0)
	s_barrier
	buffer_gl0_inv
	v_cmpx_gt_u32_e32 12, v0
	s_cbranch_execz .LBB21_63
; %bb.60:
	v_mov_b32_e32 v1, 0
	v_mov_b32_e32 v3, 0
	v_add_nc_u32_e32 v51, -1, v0
	v_add_nc_u32_e32 v52, 0x160, v55
	v_mov_b32_e32 v2, 0
	v_mov_b32_e32 v4, 0
	v_add_nc_u32_e32 v53, 16, v55
	s_mov_b32 s5, 0
	.p2align	6
.LBB21_61:                              ; =>This Inner Loop Header: Depth=1
	s_clause 0x3
	buffer_load_dword v60, v53, s[0:3], 0 offen offset:8
	buffer_load_dword v61, v53, s[0:3], 0 offen offset:12
	buffer_load_dword v62, v53, s[0:3], 0 offen
	buffer_load_dword v63, v53, s[0:3], 0 offen offset:4
	ds_read_b128 v[56:59], v52
	v_add_nc_u32_e32 v51, 1, v51
	v_add_nc_u32_e32 v52, 16, v52
	;; [unrolled: 1-line block ×3, first 2 shown]
	v_cmp_lt_u32_e32 vcc_lo, 10, v51
	s_or_b32 s5, vcc_lo, s5
	s_waitcnt vmcnt(2) lgkmcnt(0)
	v_mul_f64 v[64:65], v[58:59], v[60:61]
	v_mul_f64 v[60:61], v[56:57], v[60:61]
	s_waitcnt vmcnt(0)
	v_fma_f64 v[56:57], v[56:57], v[62:63], -v[64:65]
	v_fma_f64 v[58:59], v[58:59], v[62:63], v[60:61]
	v_add_f64 v[3:4], v[3:4], v[56:57]
	v_add_f64 v[1:2], v[1:2], v[58:59]
	s_andn2_b32 exec_lo, exec_lo, s5
	s_cbranch_execnz .LBB21_61
; %bb.62:
	s_or_b32 exec_lo, exec_lo, s5
	v_mov_b32_e32 v51, 0
	ds_read_b128 v[51:54], v51 offset:192
	s_waitcnt lgkmcnt(0)
	v_mul_f64 v[56:57], v[1:2], v[53:54]
	v_mul_f64 v[53:54], v[3:4], v[53:54]
	v_fma_f64 v[3:4], v[3:4], v[51:52], -v[56:57]
	v_fma_f64 v[1:2], v[1:2], v[51:52], v[53:54]
	buffer_store_dword v4, off, s[0:3], 0 offset:212
	buffer_store_dword v3, off, s[0:3], 0 offset:208
	;; [unrolled: 1-line block ×4, first 2 shown]
.LBB21_63:
	s_or_b32 exec_lo, exec_lo, s4
	v_mov_b32_e32 v4, s18
	s_waitcnt_vscnt null, 0x0
	s_barrier
	buffer_gl0_inv
	s_mov_b32 s4, exec_lo
	s_clause 0x3
	buffer_load_dword v1, v4, s[0:3], 0 offen
	buffer_load_dword v2, v4, s[0:3], 0 offen offset:4
	buffer_load_dword v3, v4, s[0:3], 0 offen offset:8
	;; [unrolled: 1-line block ×3, first 2 shown]
	s_waitcnt vmcnt(0)
	ds_write_b128 v49, v[1:4]
	s_waitcnt lgkmcnt(0)
	s_barrier
	buffer_gl0_inv
	v_cmpx_gt_u32_e32 13, v0
	s_cbranch_execz .LBB21_67
; %bb.64:
	v_mov_b32_e32 v1, 0
	v_mov_b32_e32 v3, 0
	v_add_nc_u32_e32 v51, -1, v0
	v_add_nc_u32_e32 v52, 0x160, v55
	v_mov_b32_e32 v2, 0
	v_mov_b32_e32 v4, 0
	v_add_nc_u32_e32 v53, 16, v55
	s_mov_b32 s5, 0
	.p2align	6
.LBB21_65:                              ; =>This Inner Loop Header: Depth=1
	s_clause 0x3
	buffer_load_dword v60, v53, s[0:3], 0 offen offset:8
	buffer_load_dword v61, v53, s[0:3], 0 offen offset:12
	buffer_load_dword v62, v53, s[0:3], 0 offen
	buffer_load_dword v63, v53, s[0:3], 0 offen offset:4
	ds_read_b128 v[56:59], v52
	v_add_nc_u32_e32 v51, 1, v51
	v_add_nc_u32_e32 v52, 16, v52
	v_add_nc_u32_e32 v53, 16, v53
	v_cmp_lt_u32_e32 vcc_lo, 11, v51
	s_or_b32 s5, vcc_lo, s5
	s_waitcnt vmcnt(2) lgkmcnt(0)
	v_mul_f64 v[64:65], v[58:59], v[60:61]
	v_mul_f64 v[60:61], v[56:57], v[60:61]
	s_waitcnt vmcnt(0)
	v_fma_f64 v[56:57], v[56:57], v[62:63], -v[64:65]
	v_fma_f64 v[58:59], v[58:59], v[62:63], v[60:61]
	v_add_f64 v[3:4], v[3:4], v[56:57]
	v_add_f64 v[1:2], v[1:2], v[58:59]
	s_andn2_b32 exec_lo, exec_lo, s5
	s_cbranch_execnz .LBB21_65
; %bb.66:
	s_or_b32 exec_lo, exec_lo, s5
	v_mov_b32_e32 v51, 0
	ds_read_b128 v[51:54], v51 offset:208
	s_waitcnt lgkmcnt(0)
	v_mul_f64 v[56:57], v[1:2], v[53:54]
	v_mul_f64 v[53:54], v[3:4], v[53:54]
	v_fma_f64 v[3:4], v[3:4], v[51:52], -v[56:57]
	v_fma_f64 v[1:2], v[1:2], v[51:52], v[53:54]
	buffer_store_dword v4, off, s[0:3], 0 offset:228
	buffer_store_dword v3, off, s[0:3], 0 offset:224
	;; [unrolled: 1-line block ×4, first 2 shown]
.LBB21_67:
	s_or_b32 exec_lo, exec_lo, s4
	v_mov_b32_e32 v4, s17
	s_waitcnt_vscnt null, 0x0
	s_barrier
	buffer_gl0_inv
	s_mov_b32 s4, exec_lo
	s_clause 0x3
	buffer_load_dword v1, v4, s[0:3], 0 offen
	buffer_load_dword v2, v4, s[0:3], 0 offen offset:4
	buffer_load_dword v3, v4, s[0:3], 0 offen offset:8
	;; [unrolled: 1-line block ×3, first 2 shown]
	s_waitcnt vmcnt(0)
	ds_write_b128 v49, v[1:4]
	s_waitcnt lgkmcnt(0)
	s_barrier
	buffer_gl0_inv
	v_cmpx_gt_u32_e32 14, v0
	s_cbranch_execz .LBB21_71
; %bb.68:
	v_mov_b32_e32 v1, 0
	v_mov_b32_e32 v3, 0
	v_add_nc_u32_e32 v51, -1, v0
	v_add_nc_u32_e32 v52, 0x160, v55
	v_mov_b32_e32 v2, 0
	v_mov_b32_e32 v4, 0
	v_add_nc_u32_e32 v53, 16, v55
	s_mov_b32 s5, 0
	.p2align	6
.LBB21_69:                              ; =>This Inner Loop Header: Depth=1
	s_clause 0x3
	buffer_load_dword v60, v53, s[0:3], 0 offen offset:8
	buffer_load_dword v61, v53, s[0:3], 0 offen offset:12
	buffer_load_dword v62, v53, s[0:3], 0 offen
	buffer_load_dword v63, v53, s[0:3], 0 offen offset:4
	ds_read_b128 v[56:59], v52
	v_add_nc_u32_e32 v51, 1, v51
	v_add_nc_u32_e32 v52, 16, v52
	;; [unrolled: 1-line block ×3, first 2 shown]
	v_cmp_lt_u32_e32 vcc_lo, 12, v51
	s_or_b32 s5, vcc_lo, s5
	s_waitcnt vmcnt(2) lgkmcnt(0)
	v_mul_f64 v[64:65], v[58:59], v[60:61]
	v_mul_f64 v[60:61], v[56:57], v[60:61]
	s_waitcnt vmcnt(0)
	v_fma_f64 v[56:57], v[56:57], v[62:63], -v[64:65]
	v_fma_f64 v[58:59], v[58:59], v[62:63], v[60:61]
	v_add_f64 v[3:4], v[3:4], v[56:57]
	v_add_f64 v[1:2], v[1:2], v[58:59]
	s_andn2_b32 exec_lo, exec_lo, s5
	s_cbranch_execnz .LBB21_69
; %bb.70:
	s_or_b32 exec_lo, exec_lo, s5
	v_mov_b32_e32 v51, 0
	ds_read_b128 v[51:54], v51 offset:224
	s_waitcnt lgkmcnt(0)
	v_mul_f64 v[56:57], v[1:2], v[53:54]
	v_mul_f64 v[53:54], v[3:4], v[53:54]
	v_fma_f64 v[3:4], v[3:4], v[51:52], -v[56:57]
	v_fma_f64 v[1:2], v[1:2], v[51:52], v[53:54]
	buffer_store_dword v4, off, s[0:3], 0 offset:244
	buffer_store_dword v3, off, s[0:3], 0 offset:240
	;; [unrolled: 1-line block ×4, first 2 shown]
.LBB21_71:
	s_or_b32 exec_lo, exec_lo, s4
	v_mov_b32_e32 v4, s16
	s_waitcnt_vscnt null, 0x0
	s_barrier
	buffer_gl0_inv
	s_mov_b32 s4, exec_lo
	s_clause 0x3
	buffer_load_dword v1, v4, s[0:3], 0 offen
	buffer_load_dword v2, v4, s[0:3], 0 offen offset:4
	buffer_load_dword v3, v4, s[0:3], 0 offen offset:8
	;; [unrolled: 1-line block ×3, first 2 shown]
	s_waitcnt vmcnt(0)
	ds_write_b128 v49, v[1:4]
	s_waitcnt lgkmcnt(0)
	s_barrier
	buffer_gl0_inv
	v_cmpx_gt_u32_e32 15, v0
	s_cbranch_execz .LBB21_75
; %bb.72:
	v_mov_b32_e32 v1, 0
	v_mov_b32_e32 v3, 0
	v_add_nc_u32_e32 v51, -1, v0
	v_add_nc_u32_e32 v52, 0x160, v55
	v_mov_b32_e32 v2, 0
	v_mov_b32_e32 v4, 0
	v_add_nc_u32_e32 v53, 16, v55
	s_mov_b32 s5, 0
	.p2align	6
.LBB21_73:                              ; =>This Inner Loop Header: Depth=1
	s_clause 0x3
	buffer_load_dword v60, v53, s[0:3], 0 offen offset:8
	buffer_load_dword v61, v53, s[0:3], 0 offen offset:12
	buffer_load_dword v62, v53, s[0:3], 0 offen
	buffer_load_dword v63, v53, s[0:3], 0 offen offset:4
	ds_read_b128 v[56:59], v52
	v_add_nc_u32_e32 v51, 1, v51
	v_add_nc_u32_e32 v52, 16, v52
	;; [unrolled: 1-line block ×3, first 2 shown]
	v_cmp_lt_u32_e32 vcc_lo, 13, v51
	s_or_b32 s5, vcc_lo, s5
	s_waitcnt vmcnt(2) lgkmcnt(0)
	v_mul_f64 v[64:65], v[58:59], v[60:61]
	v_mul_f64 v[60:61], v[56:57], v[60:61]
	s_waitcnt vmcnt(0)
	v_fma_f64 v[56:57], v[56:57], v[62:63], -v[64:65]
	v_fma_f64 v[58:59], v[58:59], v[62:63], v[60:61]
	v_add_f64 v[3:4], v[3:4], v[56:57]
	v_add_f64 v[1:2], v[1:2], v[58:59]
	s_andn2_b32 exec_lo, exec_lo, s5
	s_cbranch_execnz .LBB21_73
; %bb.74:
	s_or_b32 exec_lo, exec_lo, s5
	v_mov_b32_e32 v51, 0
	ds_read_b128 v[51:54], v51 offset:240
	s_waitcnt lgkmcnt(0)
	v_mul_f64 v[56:57], v[1:2], v[53:54]
	v_mul_f64 v[53:54], v[3:4], v[53:54]
	v_fma_f64 v[3:4], v[3:4], v[51:52], -v[56:57]
	v_fma_f64 v[1:2], v[1:2], v[51:52], v[53:54]
	buffer_store_dword v4, off, s[0:3], 0 offset:260
	buffer_store_dword v3, off, s[0:3], 0 offset:256
	;; [unrolled: 1-line block ×4, first 2 shown]
.LBB21_75:
	s_or_b32 exec_lo, exec_lo, s4
	v_mov_b32_e32 v4, s15
	s_waitcnt_vscnt null, 0x0
	s_barrier
	buffer_gl0_inv
	s_mov_b32 s4, exec_lo
	s_clause 0x3
	buffer_load_dword v1, v4, s[0:3], 0 offen
	buffer_load_dword v2, v4, s[0:3], 0 offen offset:4
	buffer_load_dword v3, v4, s[0:3], 0 offen offset:8
	;; [unrolled: 1-line block ×3, first 2 shown]
	s_waitcnt vmcnt(0)
	ds_write_b128 v49, v[1:4]
	s_waitcnt lgkmcnt(0)
	s_barrier
	buffer_gl0_inv
	v_cmpx_gt_u32_e32 16, v0
	s_cbranch_execz .LBB21_79
; %bb.76:
	v_mov_b32_e32 v1, 0
	v_mov_b32_e32 v3, 0
	v_add_nc_u32_e32 v51, -1, v0
	v_add_nc_u32_e32 v52, 0x160, v55
	v_mov_b32_e32 v2, 0
	v_mov_b32_e32 v4, 0
	v_add_nc_u32_e32 v53, 16, v55
	s_mov_b32 s5, 0
	.p2align	6
.LBB21_77:                              ; =>This Inner Loop Header: Depth=1
	s_clause 0x3
	buffer_load_dword v60, v53, s[0:3], 0 offen offset:8
	buffer_load_dword v61, v53, s[0:3], 0 offen offset:12
	buffer_load_dword v62, v53, s[0:3], 0 offen
	buffer_load_dword v63, v53, s[0:3], 0 offen offset:4
	ds_read_b128 v[56:59], v52
	v_add_nc_u32_e32 v51, 1, v51
	v_add_nc_u32_e32 v52, 16, v52
	;; [unrolled: 1-line block ×3, first 2 shown]
	v_cmp_lt_u32_e32 vcc_lo, 14, v51
	s_or_b32 s5, vcc_lo, s5
	s_waitcnt vmcnt(2) lgkmcnt(0)
	v_mul_f64 v[64:65], v[58:59], v[60:61]
	v_mul_f64 v[60:61], v[56:57], v[60:61]
	s_waitcnt vmcnt(0)
	v_fma_f64 v[56:57], v[56:57], v[62:63], -v[64:65]
	v_fma_f64 v[58:59], v[58:59], v[62:63], v[60:61]
	v_add_f64 v[3:4], v[3:4], v[56:57]
	v_add_f64 v[1:2], v[1:2], v[58:59]
	s_andn2_b32 exec_lo, exec_lo, s5
	s_cbranch_execnz .LBB21_77
; %bb.78:
	s_or_b32 exec_lo, exec_lo, s5
	v_mov_b32_e32 v51, 0
	ds_read_b128 v[51:54], v51 offset:256
	s_waitcnt lgkmcnt(0)
	v_mul_f64 v[56:57], v[1:2], v[53:54]
	v_mul_f64 v[53:54], v[3:4], v[53:54]
	v_fma_f64 v[3:4], v[3:4], v[51:52], -v[56:57]
	v_fma_f64 v[1:2], v[1:2], v[51:52], v[53:54]
	buffer_store_dword v4, off, s[0:3], 0 offset:276
	buffer_store_dword v3, off, s[0:3], 0 offset:272
	;; [unrolled: 1-line block ×4, first 2 shown]
.LBB21_79:
	s_or_b32 exec_lo, exec_lo, s4
	v_mov_b32_e32 v4, s14
	s_waitcnt_vscnt null, 0x0
	s_barrier
	buffer_gl0_inv
	s_mov_b32 s4, exec_lo
	s_clause 0x3
	buffer_load_dword v1, v4, s[0:3], 0 offen
	buffer_load_dword v2, v4, s[0:3], 0 offen offset:4
	buffer_load_dword v3, v4, s[0:3], 0 offen offset:8
	;; [unrolled: 1-line block ×3, first 2 shown]
	s_waitcnt vmcnt(0)
	ds_write_b128 v49, v[1:4]
	s_waitcnt lgkmcnt(0)
	s_barrier
	buffer_gl0_inv
	v_cmpx_gt_u32_e32 17, v0
	s_cbranch_execz .LBB21_83
; %bb.80:
	v_mov_b32_e32 v1, 0
	v_mov_b32_e32 v3, 0
	v_add_nc_u32_e32 v51, -1, v0
	v_add_nc_u32_e32 v52, 0x160, v55
	v_mov_b32_e32 v2, 0
	v_mov_b32_e32 v4, 0
	v_add_nc_u32_e32 v53, 16, v55
	s_mov_b32 s5, 0
	.p2align	6
.LBB21_81:                              ; =>This Inner Loop Header: Depth=1
	s_clause 0x3
	buffer_load_dword v60, v53, s[0:3], 0 offen offset:8
	buffer_load_dword v61, v53, s[0:3], 0 offen offset:12
	buffer_load_dword v62, v53, s[0:3], 0 offen
	buffer_load_dword v63, v53, s[0:3], 0 offen offset:4
	ds_read_b128 v[56:59], v52
	v_add_nc_u32_e32 v51, 1, v51
	v_add_nc_u32_e32 v52, 16, v52
	v_add_nc_u32_e32 v53, 16, v53
	v_cmp_lt_u32_e32 vcc_lo, 15, v51
	s_or_b32 s5, vcc_lo, s5
	s_waitcnt vmcnt(2) lgkmcnt(0)
	v_mul_f64 v[64:65], v[58:59], v[60:61]
	v_mul_f64 v[60:61], v[56:57], v[60:61]
	s_waitcnt vmcnt(0)
	v_fma_f64 v[56:57], v[56:57], v[62:63], -v[64:65]
	v_fma_f64 v[58:59], v[58:59], v[62:63], v[60:61]
	v_add_f64 v[3:4], v[3:4], v[56:57]
	v_add_f64 v[1:2], v[1:2], v[58:59]
	s_andn2_b32 exec_lo, exec_lo, s5
	s_cbranch_execnz .LBB21_81
; %bb.82:
	s_or_b32 exec_lo, exec_lo, s5
	v_mov_b32_e32 v51, 0
	ds_read_b128 v[51:54], v51 offset:272
	s_waitcnt lgkmcnt(0)
	v_mul_f64 v[56:57], v[1:2], v[53:54]
	v_mul_f64 v[53:54], v[3:4], v[53:54]
	v_fma_f64 v[3:4], v[3:4], v[51:52], -v[56:57]
	v_fma_f64 v[1:2], v[1:2], v[51:52], v[53:54]
	buffer_store_dword v4, off, s[0:3], 0 offset:292
	buffer_store_dword v3, off, s[0:3], 0 offset:288
	buffer_store_dword v2, off, s[0:3], 0 offset:300
	buffer_store_dword v1, off, s[0:3], 0 offset:296
.LBB21_83:
	s_or_b32 exec_lo, exec_lo, s4
	v_mov_b32_e32 v4, s13
	s_waitcnt_vscnt null, 0x0
	s_barrier
	buffer_gl0_inv
	s_mov_b32 s4, exec_lo
	s_clause 0x3
	buffer_load_dword v1, v4, s[0:3], 0 offen
	buffer_load_dword v2, v4, s[0:3], 0 offen offset:4
	buffer_load_dword v3, v4, s[0:3], 0 offen offset:8
	;; [unrolled: 1-line block ×3, first 2 shown]
	s_waitcnt vmcnt(0)
	ds_write_b128 v49, v[1:4]
	s_waitcnt lgkmcnt(0)
	s_barrier
	buffer_gl0_inv
	v_cmpx_gt_u32_e32 18, v0
	s_cbranch_execz .LBB21_87
; %bb.84:
	v_mov_b32_e32 v1, 0
	v_mov_b32_e32 v3, 0
	v_add_nc_u32_e32 v51, -1, v0
	v_add_nc_u32_e32 v52, 0x160, v55
	v_mov_b32_e32 v2, 0
	v_mov_b32_e32 v4, 0
	v_add_nc_u32_e32 v53, 16, v55
	s_mov_b32 s5, 0
	.p2align	6
.LBB21_85:                              ; =>This Inner Loop Header: Depth=1
	s_clause 0x3
	buffer_load_dword v60, v53, s[0:3], 0 offen offset:8
	buffer_load_dword v61, v53, s[0:3], 0 offen offset:12
	buffer_load_dword v62, v53, s[0:3], 0 offen
	buffer_load_dword v63, v53, s[0:3], 0 offen offset:4
	ds_read_b128 v[56:59], v52
	v_add_nc_u32_e32 v51, 1, v51
	v_add_nc_u32_e32 v52, 16, v52
	;; [unrolled: 1-line block ×3, first 2 shown]
	v_cmp_lt_u32_e32 vcc_lo, 16, v51
	s_or_b32 s5, vcc_lo, s5
	s_waitcnt vmcnt(2) lgkmcnt(0)
	v_mul_f64 v[64:65], v[58:59], v[60:61]
	v_mul_f64 v[60:61], v[56:57], v[60:61]
	s_waitcnt vmcnt(0)
	v_fma_f64 v[56:57], v[56:57], v[62:63], -v[64:65]
	v_fma_f64 v[58:59], v[58:59], v[62:63], v[60:61]
	v_add_f64 v[3:4], v[3:4], v[56:57]
	v_add_f64 v[1:2], v[1:2], v[58:59]
	s_andn2_b32 exec_lo, exec_lo, s5
	s_cbranch_execnz .LBB21_85
; %bb.86:
	s_or_b32 exec_lo, exec_lo, s5
	v_mov_b32_e32 v51, 0
	ds_read_b128 v[51:54], v51 offset:288
	s_waitcnt lgkmcnt(0)
	v_mul_f64 v[56:57], v[1:2], v[53:54]
	v_mul_f64 v[53:54], v[3:4], v[53:54]
	v_fma_f64 v[3:4], v[3:4], v[51:52], -v[56:57]
	v_fma_f64 v[1:2], v[1:2], v[51:52], v[53:54]
	buffer_store_dword v4, off, s[0:3], 0 offset:308
	buffer_store_dword v3, off, s[0:3], 0 offset:304
	;; [unrolled: 1-line block ×4, first 2 shown]
.LBB21_87:
	s_or_b32 exec_lo, exec_lo, s4
	v_mov_b32_e32 v4, s12
	s_waitcnt_vscnt null, 0x0
	s_barrier
	buffer_gl0_inv
	s_mov_b32 s4, exec_lo
	s_clause 0x3
	buffer_load_dword v1, v4, s[0:3], 0 offen
	buffer_load_dword v2, v4, s[0:3], 0 offen offset:4
	buffer_load_dword v3, v4, s[0:3], 0 offen offset:8
	;; [unrolled: 1-line block ×3, first 2 shown]
	s_waitcnt vmcnt(0)
	ds_write_b128 v49, v[1:4]
	s_waitcnt lgkmcnt(0)
	s_barrier
	buffer_gl0_inv
	v_cmpx_gt_u32_e32 19, v0
	s_cbranch_execz .LBB21_91
; %bb.88:
	v_mov_b32_e32 v1, 0
	v_mov_b32_e32 v3, 0
	v_add_nc_u32_e32 v51, -1, v0
	v_add_nc_u32_e32 v52, 0x160, v55
	v_mov_b32_e32 v2, 0
	v_mov_b32_e32 v4, 0
	v_add_nc_u32_e32 v53, 16, v55
	s_mov_b32 s5, 0
	.p2align	6
.LBB21_89:                              ; =>This Inner Loop Header: Depth=1
	s_clause 0x3
	buffer_load_dword v60, v53, s[0:3], 0 offen offset:8
	buffer_load_dword v61, v53, s[0:3], 0 offen offset:12
	buffer_load_dword v62, v53, s[0:3], 0 offen
	buffer_load_dword v63, v53, s[0:3], 0 offen offset:4
	ds_read_b128 v[56:59], v52
	v_add_nc_u32_e32 v51, 1, v51
	v_add_nc_u32_e32 v52, 16, v52
	;; [unrolled: 1-line block ×3, first 2 shown]
	v_cmp_lt_u32_e32 vcc_lo, 17, v51
	s_or_b32 s5, vcc_lo, s5
	s_waitcnt vmcnt(2) lgkmcnt(0)
	v_mul_f64 v[64:65], v[58:59], v[60:61]
	v_mul_f64 v[60:61], v[56:57], v[60:61]
	s_waitcnt vmcnt(0)
	v_fma_f64 v[56:57], v[56:57], v[62:63], -v[64:65]
	v_fma_f64 v[58:59], v[58:59], v[62:63], v[60:61]
	v_add_f64 v[3:4], v[3:4], v[56:57]
	v_add_f64 v[1:2], v[1:2], v[58:59]
	s_andn2_b32 exec_lo, exec_lo, s5
	s_cbranch_execnz .LBB21_89
; %bb.90:
	s_or_b32 exec_lo, exec_lo, s5
	v_mov_b32_e32 v51, 0
	ds_read_b128 v[51:54], v51 offset:304
	s_waitcnt lgkmcnt(0)
	v_mul_f64 v[56:57], v[1:2], v[53:54]
	v_mul_f64 v[53:54], v[3:4], v[53:54]
	v_fma_f64 v[3:4], v[3:4], v[51:52], -v[56:57]
	v_fma_f64 v[1:2], v[1:2], v[51:52], v[53:54]
	buffer_store_dword v4, off, s[0:3], 0 offset:324
	buffer_store_dword v3, off, s[0:3], 0 offset:320
	;; [unrolled: 1-line block ×4, first 2 shown]
.LBB21_91:
	s_or_b32 exec_lo, exec_lo, s4
	v_mov_b32_e32 v4, s9
	s_waitcnt_vscnt null, 0x0
	s_barrier
	buffer_gl0_inv
	s_mov_b32 s4, exec_lo
	s_clause 0x3
	buffer_load_dword v1, v4, s[0:3], 0 offen
	buffer_load_dword v2, v4, s[0:3], 0 offen offset:4
	buffer_load_dword v3, v4, s[0:3], 0 offen offset:8
	;; [unrolled: 1-line block ×3, first 2 shown]
	s_waitcnt vmcnt(0)
	ds_write_b128 v49, v[1:4]
	s_waitcnt lgkmcnt(0)
	s_barrier
	buffer_gl0_inv
	v_cmpx_gt_u32_e32 20, v0
	s_cbranch_execz .LBB21_95
; %bb.92:
	v_mov_b32_e32 v1, 0
	v_mov_b32_e32 v3, 0
	v_add_nc_u32_e32 v51, -1, v0
	v_add_nc_u32_e32 v52, 0x160, v55
	v_mov_b32_e32 v2, 0
	v_mov_b32_e32 v4, 0
	v_add_nc_u32_e32 v53, 16, v55
	s_mov_b32 s5, 0
	.p2align	6
.LBB21_93:                              ; =>This Inner Loop Header: Depth=1
	s_clause 0x3
	buffer_load_dword v60, v53, s[0:3], 0 offen offset:8
	buffer_load_dword v61, v53, s[0:3], 0 offen offset:12
	buffer_load_dword v62, v53, s[0:3], 0 offen
	buffer_load_dword v63, v53, s[0:3], 0 offen offset:4
	ds_read_b128 v[56:59], v52
	v_add_nc_u32_e32 v51, 1, v51
	v_add_nc_u32_e32 v52, 16, v52
	;; [unrolled: 1-line block ×3, first 2 shown]
	v_cmp_lt_u32_e32 vcc_lo, 18, v51
	s_or_b32 s5, vcc_lo, s5
	s_waitcnt vmcnt(2) lgkmcnt(0)
	v_mul_f64 v[64:65], v[58:59], v[60:61]
	v_mul_f64 v[60:61], v[56:57], v[60:61]
	s_waitcnt vmcnt(0)
	v_fma_f64 v[56:57], v[56:57], v[62:63], -v[64:65]
	v_fma_f64 v[58:59], v[58:59], v[62:63], v[60:61]
	v_add_f64 v[3:4], v[3:4], v[56:57]
	v_add_f64 v[1:2], v[1:2], v[58:59]
	s_andn2_b32 exec_lo, exec_lo, s5
	s_cbranch_execnz .LBB21_93
; %bb.94:
	s_or_b32 exec_lo, exec_lo, s5
	v_mov_b32_e32 v51, 0
	ds_read_b128 v[51:54], v51 offset:320
	s_waitcnt lgkmcnt(0)
	v_mul_f64 v[56:57], v[1:2], v[53:54]
	v_mul_f64 v[53:54], v[3:4], v[53:54]
	v_fma_f64 v[3:4], v[3:4], v[51:52], -v[56:57]
	v_fma_f64 v[1:2], v[1:2], v[51:52], v[53:54]
	buffer_store_dword v4, off, s[0:3], 0 offset:340
	buffer_store_dword v3, off, s[0:3], 0 offset:336
	;; [unrolled: 1-line block ×4, first 2 shown]
.LBB21_95:
	s_or_b32 exec_lo, exec_lo, s4
	v_mov_b32_e32 v4, s8
	s_waitcnt_vscnt null, 0x0
	s_barrier
	buffer_gl0_inv
	s_mov_b32 s4, exec_lo
	s_clause 0x3
	buffer_load_dword v1, v4, s[0:3], 0 offen
	buffer_load_dword v2, v4, s[0:3], 0 offen offset:4
	buffer_load_dword v3, v4, s[0:3], 0 offen offset:8
	;; [unrolled: 1-line block ×3, first 2 shown]
	s_waitcnt vmcnt(0)
	ds_write_b128 v49, v[1:4]
	s_waitcnt lgkmcnt(0)
	s_barrier
	buffer_gl0_inv
	v_cmpx_ne_u32_e32 21, v0
	s_cbranch_execz .LBB21_99
; %bb.96:
	v_mov_b32_e32 v1, 0
	v_mov_b32_e32 v3, 0
	;; [unrolled: 1-line block ×4, first 2 shown]
	v_add_nc_u32_e32 v51, 16, v55
	s_mov_b32 s5, 0
	.p2align	6
.LBB21_97:                              ; =>This Inner Loop Header: Depth=1
	s_clause 0x3
	buffer_load_dword v56, v51, s[0:3], 0 offen offset:8
	buffer_load_dword v57, v51, s[0:3], 0 offen offset:12
	buffer_load_dword v58, v51, s[0:3], 0 offen
	buffer_load_dword v59, v51, s[0:3], 0 offen offset:4
	ds_read_b128 v[52:55], v49
	v_add_nc_u32_e32 v50, 1, v50
	v_add_nc_u32_e32 v49, 16, v49
	;; [unrolled: 1-line block ×3, first 2 shown]
	v_cmp_lt_u32_e32 vcc_lo, 19, v50
	s_or_b32 s5, vcc_lo, s5
	s_waitcnt vmcnt(2) lgkmcnt(0)
	v_mul_f64 v[60:61], v[54:55], v[56:57]
	v_mul_f64 v[56:57], v[52:53], v[56:57]
	s_waitcnt vmcnt(0)
	v_fma_f64 v[52:53], v[52:53], v[58:59], -v[60:61]
	v_fma_f64 v[54:55], v[54:55], v[58:59], v[56:57]
	v_add_f64 v[3:4], v[3:4], v[52:53]
	v_add_f64 v[1:2], v[1:2], v[54:55]
	s_andn2_b32 exec_lo, exec_lo, s5
	s_cbranch_execnz .LBB21_97
; %bb.98:
	s_or_b32 exec_lo, exec_lo, s5
	v_mov_b32_e32 v49, 0
	ds_read_b128 v[49:52], v49 offset:336
	s_waitcnt lgkmcnt(0)
	v_mul_f64 v[53:54], v[1:2], v[51:52]
	v_mul_f64 v[51:52], v[3:4], v[51:52]
	v_fma_f64 v[3:4], v[3:4], v[49:50], -v[53:54]
	v_fma_f64 v[1:2], v[1:2], v[49:50], v[51:52]
	buffer_store_dword v4, off, s[0:3], 0 offset:356
	buffer_store_dword v3, off, s[0:3], 0 offset:352
	;; [unrolled: 1-line block ×4, first 2 shown]
.LBB21_99:
	s_or_b32 exec_lo, exec_lo, s4
	s_mov_b32 s5, -1
	s_waitcnt_vscnt null, 0x0
	s_barrier
	buffer_gl0_inv
.LBB21_100:
	s_and_b32 vcc_lo, exec_lo, s5
	s_cbranch_vccz .LBB21_102
; %bb.101:
	s_lshl_b64 s[4:5], s[6:7], 2
	v_mov_b32_e32 v1, 0
	s_add_u32 s4, s10, s4
	s_addc_u32 s5, s11, s5
	global_load_dword v1, v1, s[4:5]
	s_waitcnt vmcnt(0)
	v_cmp_ne_u32_e32 vcc_lo, 0, v1
	s_cbranch_vccz .LBB21_103
.LBB21_102:
	s_endpgm
.LBB21_103:
	v_lshl_add_u32 v1, v0, 4, 0x160
	s_mov_b32 s4, exec_lo
	v_cmpx_eq_u32_e32 21, v0
	s_cbranch_execz .LBB21_105
; %bb.104:
	v_mov_b32_e32 v2, s9
	s_clause 0x3
	buffer_load_dword v49, v2, s[0:3], 0 offen
	buffer_load_dword v50, v2, s[0:3], 0 offen offset:4
	buffer_load_dword v51, v2, s[0:3], 0 offen offset:8
	;; [unrolled: 1-line block ×3, first 2 shown]
	v_mov_b32_e32 v2, 0
	buffer_store_dword v2, off, s[0:3], 0 offset:336
	buffer_store_dword v2, off, s[0:3], 0 offset:340
	;; [unrolled: 1-line block ×4, first 2 shown]
	s_waitcnt vmcnt(0)
	ds_write_b128 v1, v[49:52]
.LBB21_105:
	s_or_b32 exec_lo, exec_lo, s4
	s_waitcnt lgkmcnt(0)
	s_waitcnt_vscnt null, 0x0
	s_barrier
	buffer_gl0_inv
	s_clause 0x7
	buffer_load_dword v3, off, s[0:3], 0 offset:360
	buffer_load_dword v4, off, s[0:3], 0 offset:364
	;; [unrolled: 1-line block ×8, first 2 shown]
	v_mov_b32_e32 v2, 0
	s_mov_b32 s4, exec_lo
	ds_read_b128 v[49:52], v2 offset:688
	s_waitcnt vmcnt(6) lgkmcnt(0)
	v_mul_f64 v[59:60], v[51:52], v[3:4]
	v_mul_f64 v[3:4], v[49:50], v[3:4]
	s_waitcnt vmcnt(4)
	v_fma_f64 v[49:50], v[49:50], v[53:54], -v[59:60]
	v_fma_f64 v[3:4], v[51:52], v[53:54], v[3:4]
	v_add_f64 v[49:50], v[49:50], 0
	v_add_f64 v[3:4], v[3:4], 0
	s_waitcnt vmcnt(2)
	v_add_f64 v[49:50], v[55:56], -v[49:50]
	s_waitcnt vmcnt(0)
	v_add_f64 v[3:4], v[57:58], -v[3:4]
	buffer_store_dword v49, off, s[0:3], 0 offset:336
	buffer_store_dword v50, off, s[0:3], 0 offset:340
	;; [unrolled: 1-line block ×4, first 2 shown]
	v_cmpx_lt_u32_e32 19, v0
	s_cbranch_execz .LBB21_107
; %bb.106:
	v_mov_b32_e32 v3, s12
	s_clause 0x3
	buffer_load_dword v49, v3, s[0:3], 0 offen
	buffer_load_dword v50, v3, s[0:3], 0 offen offset:4
	buffer_load_dword v51, v3, s[0:3], 0 offen offset:8
	;; [unrolled: 1-line block ×3, first 2 shown]
	buffer_store_dword v2, off, s[0:3], 0 offset:320
	buffer_store_dword v2, off, s[0:3], 0 offset:324
	;; [unrolled: 1-line block ×4, first 2 shown]
	s_waitcnt vmcnt(0)
	ds_write_b128 v1, v[49:52]
.LBB21_107:
	s_or_b32 exec_lo, exec_lo, s4
	s_waitcnt lgkmcnt(0)
	s_waitcnt_vscnt null, 0x0
	s_barrier
	buffer_gl0_inv
	s_clause 0xb
	buffer_load_dword v3, off, s[0:3], 0 offset:344
	buffer_load_dword v4, off, s[0:3], 0 offset:348
	;; [unrolled: 1-line block ×12, first 2 shown]
	ds_read_b128 v[49:52], v2 offset:672
	ds_read_b128 v[53:56], v2 offset:688
	s_mov_b32 s4, exec_lo
	s_waitcnt vmcnt(10) lgkmcnt(1)
	v_mul_f64 v[67:68], v[51:52], v[3:4]
	v_mul_f64 v[2:3], v[49:50], v[3:4]
	s_waitcnt vmcnt(8) lgkmcnt(0)
	v_mul_f64 v[69:70], v[55:56], v[57:58]
	v_mul_f64 v[57:58], v[53:54], v[57:58]
	s_waitcnt vmcnt(6)
	v_fma_f64 v[49:50], v[49:50], v[59:60], -v[67:68]
	v_fma_f64 v[2:3], v[51:52], v[59:60], v[2:3]
	s_waitcnt vmcnt(4)
	v_fma_f64 v[51:52], v[53:54], v[61:62], -v[69:70]
	v_fma_f64 v[53:54], v[55:56], v[61:62], v[57:58]
	v_add_f64 v[49:50], v[49:50], 0
	v_add_f64 v[2:3], v[2:3], 0
	;; [unrolled: 1-line block ×4, first 2 shown]
	s_waitcnt vmcnt(2)
	v_add_f64 v[49:50], v[63:64], -v[49:50]
	s_waitcnt vmcnt(0)
	v_add_f64 v[2:3], v[65:66], -v[2:3]
	buffer_store_dword v49, off, s[0:3], 0 offset:320
	buffer_store_dword v50, off, s[0:3], 0 offset:324
	;; [unrolled: 1-line block ×4, first 2 shown]
	v_cmpx_lt_u32_e32 18, v0
	s_cbranch_execz .LBB21_109
; %bb.108:
	v_mov_b32_e32 v2, s13
	s_clause 0x3
	buffer_load_dword v49, v2, s[0:3], 0 offen
	buffer_load_dword v50, v2, s[0:3], 0 offen offset:4
	buffer_load_dword v51, v2, s[0:3], 0 offen offset:8
	buffer_load_dword v52, v2, s[0:3], 0 offen offset:12
	v_mov_b32_e32 v2, 0
	buffer_store_dword v2, off, s[0:3], 0 offset:304
	buffer_store_dword v2, off, s[0:3], 0 offset:308
	;; [unrolled: 1-line block ×4, first 2 shown]
	s_waitcnt vmcnt(0)
	ds_write_b128 v1, v[49:52]
.LBB21_109:
	s_or_b32 exec_lo, exec_lo, s4
	s_waitcnt lgkmcnt(0)
	s_waitcnt_vscnt null, 0x0
	s_barrier
	buffer_gl0_inv
	s_clause 0xf
	buffer_load_dword v3, off, s[0:3], 0 offset:328
	buffer_load_dword v4, off, s[0:3], 0 offset:332
	buffer_load_dword v61, off, s[0:3], 0 offset:344
	buffer_load_dword v62, off, s[0:3], 0 offset:348
	buffer_load_dword v63, off, s[0:3], 0 offset:320
	buffer_load_dword v64, off, s[0:3], 0 offset:324
	buffer_load_dword v65, off, s[0:3], 0 offset:360
	buffer_load_dword v66, off, s[0:3], 0 offset:364
	buffer_load_dword v67, off, s[0:3], 0 offset:336
	buffer_load_dword v68, off, s[0:3], 0 offset:340
	buffer_load_dword v69, off, s[0:3], 0 offset:352
	buffer_load_dword v70, off, s[0:3], 0 offset:356
	buffer_load_dword v71, off, s[0:3], 0 offset:304
	buffer_load_dword v72, off, s[0:3], 0 offset:308
	buffer_load_dword v73, off, s[0:3], 0 offset:312
	buffer_load_dword v74, off, s[0:3], 0 offset:316
	v_mov_b32_e32 v2, 0
	ds_read_b128 v[49:52], v2 offset:656
	ds_read_b128 v[53:56], v2 offset:672
	;; [unrolled: 1-line block ×3, first 2 shown]
	s_mov_b32 s4, exec_lo
	s_waitcnt vmcnt(14) lgkmcnt(2)
	v_mul_f64 v[75:76], v[51:52], v[3:4]
	v_mul_f64 v[3:4], v[49:50], v[3:4]
	s_waitcnt vmcnt(12) lgkmcnt(1)
	v_mul_f64 v[77:78], v[55:56], v[61:62]
	v_mul_f64 v[61:62], v[53:54], v[61:62]
	s_waitcnt vmcnt(10)
	v_fma_f64 v[49:50], v[49:50], v[63:64], -v[75:76]
	v_fma_f64 v[3:4], v[51:52], v[63:64], v[3:4]
	s_waitcnt vmcnt(8) lgkmcnt(0)
	v_mul_f64 v[63:64], v[59:60], v[65:66]
	s_waitcnt vmcnt(6)
	v_fma_f64 v[53:54], v[53:54], v[67:68], -v[77:78]
	v_mul_f64 v[51:52], v[57:58], v[65:66]
	v_fma_f64 v[55:56], v[55:56], v[67:68], v[61:62]
	v_add_f64 v[49:50], v[49:50], 0
	v_add_f64 v[3:4], v[3:4], 0
	s_waitcnt vmcnt(4)
	v_fma_f64 v[57:58], v[57:58], v[69:70], -v[63:64]
	v_fma_f64 v[51:52], v[59:60], v[69:70], v[51:52]
	v_add_f64 v[49:50], v[49:50], v[53:54]
	v_add_f64 v[3:4], v[3:4], v[55:56]
	;; [unrolled: 1-line block ×4, first 2 shown]
	s_waitcnt vmcnt(2)
	v_add_f64 v[49:50], v[71:72], -v[49:50]
	s_waitcnt vmcnt(0)
	v_add_f64 v[3:4], v[73:74], -v[3:4]
	buffer_store_dword v49, off, s[0:3], 0 offset:304
	buffer_store_dword v50, off, s[0:3], 0 offset:308
	;; [unrolled: 1-line block ×4, first 2 shown]
	v_cmpx_lt_u32_e32 17, v0
	s_cbranch_execz .LBB21_111
; %bb.110:
	v_mov_b32_e32 v3, s14
	s_clause 0x3
	buffer_load_dword v49, v3, s[0:3], 0 offen
	buffer_load_dword v50, v3, s[0:3], 0 offen offset:4
	buffer_load_dword v51, v3, s[0:3], 0 offen offset:8
	;; [unrolled: 1-line block ×3, first 2 shown]
	buffer_store_dword v2, off, s[0:3], 0 offset:288
	buffer_store_dword v2, off, s[0:3], 0 offset:292
	;; [unrolled: 1-line block ×4, first 2 shown]
	s_waitcnt vmcnt(0)
	ds_write_b128 v1, v[49:52]
.LBB21_111:
	s_or_b32 exec_lo, exec_lo, s4
	s_waitcnt lgkmcnt(0)
	s_waitcnt_vscnt null, 0x0
	s_barrier
	buffer_gl0_inv
	s_clause 0x13
	buffer_load_dword v3, off, s[0:3], 0 offset:312
	buffer_load_dword v4, off, s[0:3], 0 offset:316
	;; [unrolled: 1-line block ×20, first 2 shown]
	ds_read_b128 v[49:52], v2 offset:640
	ds_read_b128 v[53:56], v2 offset:656
	;; [unrolled: 1-line block ×3, first 2 shown]
	s_mov_b32 s4, exec_lo
	s_waitcnt vmcnt(18) lgkmcnt(2)
	v_mul_f64 v[79:80], v[51:52], v[3:4]
	v_mul_f64 v[3:4], v[49:50], v[3:4]
	s_waitcnt vmcnt(16) lgkmcnt(1)
	v_mul_f64 v[81:82], v[55:56], v[61:62]
	v_mul_f64 v[61:62], v[53:54], v[61:62]
	s_waitcnt vmcnt(14)
	v_fma_f64 v[79:80], v[49:50], v[63:64], -v[79:80]
	v_fma_f64 v[3:4], v[51:52], v[63:64], v[3:4]
	ds_read_b128 v[49:52], v2 offset:688
	s_waitcnt vmcnt(12) lgkmcnt(1)
	v_mul_f64 v[63:64], v[57:58], v[65:66]
	v_mul_f64 v[65:66], v[59:60], v[65:66]
	s_waitcnt vmcnt(10)
	v_fma_f64 v[53:54], v[53:54], v[67:68], -v[81:82]
	v_fma_f64 v[55:56], v[55:56], v[67:68], v[61:62]
	s_waitcnt vmcnt(8) lgkmcnt(0)
	v_mul_f64 v[67:68], v[51:52], v[69:70]
	v_add_f64 v[79:80], v[79:80], 0
	v_add_f64 v[2:3], v[3:4], 0
	v_mul_f64 v[61:62], v[49:50], v[69:70]
	s_waitcnt vmcnt(6)
	v_fma_f64 v[57:58], v[57:58], v[71:72], -v[65:66]
	v_fma_f64 v[59:60], v[59:60], v[71:72], v[63:64]
	s_waitcnt vmcnt(4)
	v_fma_f64 v[49:50], v[49:50], v[73:74], -v[67:68]
	v_add_f64 v[53:54], v[79:80], v[53:54]
	v_add_f64 v[2:3], v[2:3], v[55:56]
	v_fma_f64 v[51:52], v[51:52], v[73:74], v[61:62]
	v_add_f64 v[53:54], v[53:54], v[57:58]
	v_add_f64 v[2:3], v[2:3], v[59:60]
	v_add_f64 v[49:50], v[53:54], v[49:50]
	v_add_f64 v[2:3], v[2:3], v[51:52]
	s_waitcnt vmcnt(2)
	v_add_f64 v[49:50], v[75:76], -v[49:50]
	s_waitcnt vmcnt(0)
	v_add_f64 v[2:3], v[77:78], -v[2:3]
	buffer_store_dword v49, off, s[0:3], 0 offset:288
	buffer_store_dword v50, off, s[0:3], 0 offset:292
	;; [unrolled: 1-line block ×4, first 2 shown]
	v_cmpx_lt_u32_e32 16, v0
	s_cbranch_execz .LBB21_113
; %bb.112:
	v_mov_b32_e32 v2, s15
	s_clause 0x3
	buffer_load_dword v49, v2, s[0:3], 0 offen
	buffer_load_dword v50, v2, s[0:3], 0 offen offset:4
	buffer_load_dword v51, v2, s[0:3], 0 offen offset:8
	;; [unrolled: 1-line block ×3, first 2 shown]
	v_mov_b32_e32 v2, 0
	buffer_store_dword v2, off, s[0:3], 0 offset:272
	buffer_store_dword v2, off, s[0:3], 0 offset:276
	;; [unrolled: 1-line block ×4, first 2 shown]
	s_waitcnt vmcnt(0)
	ds_write_b128 v1, v[49:52]
.LBB21_113:
	s_or_b32 exec_lo, exec_lo, s4
	s_waitcnt lgkmcnt(0)
	s_waitcnt_vscnt null, 0x0
	s_barrier
	buffer_gl0_inv
	s_clause 0x17
	buffer_load_dword v3, off, s[0:3], 0 offset:296
	buffer_load_dword v4, off, s[0:3], 0 offset:300
	;; [unrolled: 1-line block ×24, first 2 shown]
	v_mov_b32_e32 v2, 0
	ds_read_b128 v[49:52], v2 offset:624
	ds_read_b128 v[53:56], v2 offset:640
	;; [unrolled: 1-line block ×3, first 2 shown]
	s_mov_b32 s4, exec_lo
	s_waitcnt vmcnt(22) lgkmcnt(2)
	v_mul_f64 v[83:84], v[51:52], v[3:4]
	v_mul_f64 v[3:4], v[49:50], v[3:4]
	s_waitcnt vmcnt(20) lgkmcnt(1)
	v_mul_f64 v[85:86], v[55:56], v[61:62]
	v_mul_f64 v[61:62], v[53:54], v[61:62]
	s_waitcnt vmcnt(18)
	v_fma_f64 v[83:84], v[49:50], v[63:64], -v[83:84]
	v_fma_f64 v[3:4], v[51:52], v[63:64], v[3:4]
	ds_read_b128 v[49:52], v2 offset:672
	s_waitcnt vmcnt(16) lgkmcnt(1)
	v_mul_f64 v[63:64], v[57:58], v[65:66]
	v_mul_f64 v[65:66], v[59:60], v[65:66]
	s_waitcnt vmcnt(14)
	v_fma_f64 v[85:86], v[53:54], v[67:68], -v[85:86]
	v_fma_f64 v[61:62], v[55:56], v[67:68], v[61:62]
	ds_read_b128 v[53:56], v2 offset:688
	s_waitcnt vmcnt(10) lgkmcnt(1)
	v_mul_f64 v[67:68], v[49:50], v[69:70]
	v_add_f64 v[83:84], v[83:84], 0
	v_add_f64 v[3:4], v[3:4], 0
	v_mul_f64 v[69:70], v[51:52], v[69:70]
	s_waitcnt vmcnt(8)
	v_fma_f64 v[57:58], v[57:58], v[75:76], -v[65:66]
	v_fma_f64 v[59:60], v[59:60], v[75:76], v[63:64]
	s_waitcnt vmcnt(7) lgkmcnt(0)
	v_mul_f64 v[63:64], v[55:56], v[71:72]
	s_waitcnt vmcnt(5)
	v_fma_f64 v[51:52], v[51:52], v[77:78], v[67:68]
	v_add_f64 v[65:66], v[83:84], v[85:86]
	v_add_f64 v[3:4], v[3:4], v[61:62]
	v_fma_f64 v[49:50], v[49:50], v[77:78], -v[69:70]
	v_mul_f64 v[61:62], v[53:54], v[71:72]
	s_waitcnt vmcnt(4)
	v_fma_f64 v[53:54], v[53:54], v[73:74], -v[63:64]
	v_add_f64 v[57:58], v[65:66], v[57:58]
	v_add_f64 v[3:4], v[3:4], v[59:60]
	v_fma_f64 v[55:56], v[55:56], v[73:74], v[61:62]
	v_add_f64 v[49:50], v[57:58], v[49:50]
	v_add_f64 v[3:4], v[3:4], v[51:52]
	;; [unrolled: 1-line block ×4, first 2 shown]
	s_waitcnt vmcnt(2)
	v_add_f64 v[49:50], v[79:80], -v[49:50]
	s_waitcnt vmcnt(0)
	v_add_f64 v[3:4], v[81:82], -v[3:4]
	buffer_store_dword v50, off, s[0:3], 0 offset:276
	buffer_store_dword v49, off, s[0:3], 0 offset:272
	;; [unrolled: 1-line block ×4, first 2 shown]
	v_cmpx_lt_u32_e32 15, v0
	s_cbranch_execz .LBB21_115
; %bb.114:
	v_mov_b32_e32 v3, s16
	s_clause 0x3
	buffer_load_dword v49, v3, s[0:3], 0 offen
	buffer_load_dword v50, v3, s[0:3], 0 offen offset:4
	buffer_load_dword v51, v3, s[0:3], 0 offen offset:8
	;; [unrolled: 1-line block ×3, first 2 shown]
	buffer_store_dword v2, off, s[0:3], 0 offset:256
	buffer_store_dword v2, off, s[0:3], 0 offset:260
	;; [unrolled: 1-line block ×4, first 2 shown]
	s_waitcnt vmcnt(0)
	ds_write_b128 v1, v[49:52]
.LBB21_115:
	s_or_b32 exec_lo, exec_lo, s4
	s_waitcnt lgkmcnt(0)
	s_waitcnt_vscnt null, 0x0
	s_barrier
	buffer_gl0_inv
	s_clause 0x1b
	buffer_load_dword v3, off, s[0:3], 0 offset:280
	buffer_load_dword v4, off, s[0:3], 0 offset:284
	buffer_load_dword v61, off, s[0:3], 0 offset:296
	buffer_load_dword v62, off, s[0:3], 0 offset:300
	buffer_load_dword v63, off, s[0:3], 0 offset:272
	buffer_load_dword v64, off, s[0:3], 0 offset:276
	buffer_load_dword v65, off, s[0:3], 0 offset:312
	buffer_load_dword v66, off, s[0:3], 0 offset:316
	buffer_load_dword v67, off, s[0:3], 0 offset:288
	buffer_load_dword v68, off, s[0:3], 0 offset:292
	buffer_load_dword v70, off, s[0:3], 0 offset:332
	buffer_load_dword v71, off, s[0:3], 0 offset:344
	buffer_load_dword v73, off, s[0:3], 0 offset:336
	buffer_load_dword v69, off, s[0:3], 0 offset:328
	buffer_load_dword v75, off, s[0:3], 0 offset:304
	buffer_load_dword v76, off, s[0:3], 0 offset:308
	buffer_load_dword v72, off, s[0:3], 0 offset:348
	buffer_load_dword v78, off, s[0:3], 0 offset:324
	buffer_load_dword v77, off, s[0:3], 0 offset:320
	buffer_load_dword v80, off, s[0:3], 0 offset:364
	buffer_load_dword v79, off, s[0:3], 0 offset:360
	buffer_load_dword v74, off, s[0:3], 0 offset:340
	buffer_load_dword v82, off, s[0:3], 0 offset:356
	buffer_load_dword v81, off, s[0:3], 0 offset:352
	buffer_load_dword v83, off, s[0:3], 0 offset:256
	buffer_load_dword v84, off, s[0:3], 0 offset:260
	buffer_load_dword v85, off, s[0:3], 0 offset:264
	buffer_load_dword v86, off, s[0:3], 0 offset:268
	ds_read_b128 v[49:52], v2 offset:608
	ds_read_b128 v[53:56], v2 offset:624
	;; [unrolled: 1-line block ×3, first 2 shown]
	s_mov_b32 s4, exec_lo
	s_waitcnt vmcnt(26) lgkmcnt(2)
	v_mul_f64 v[87:88], v[51:52], v[3:4]
	v_mul_f64 v[3:4], v[49:50], v[3:4]
	s_waitcnt vmcnt(24) lgkmcnt(1)
	v_mul_f64 v[89:90], v[55:56], v[61:62]
	v_mul_f64 v[61:62], v[53:54], v[61:62]
	s_waitcnt vmcnt(22)
	v_fma_f64 v[87:88], v[49:50], v[63:64], -v[87:88]
	v_fma_f64 v[3:4], v[51:52], v[63:64], v[3:4]
	ds_read_b128 v[49:52], v2 offset:656
	s_waitcnt vmcnt(20) lgkmcnt(1)
	v_mul_f64 v[63:64], v[57:58], v[65:66]
	v_mul_f64 v[65:66], v[59:60], v[65:66]
	s_waitcnt vmcnt(18)
	v_fma_f64 v[89:90], v[53:54], v[67:68], -v[89:90]
	v_fma_f64 v[61:62], v[55:56], v[67:68], v[61:62]
	ds_read_b128 v[53:56], v2 offset:672
	s_waitcnt vmcnt(14) lgkmcnt(1)
	v_mul_f64 v[67:68], v[49:50], v[69:70]
	v_add_f64 v[87:88], v[87:88], 0
	v_add_f64 v[3:4], v[3:4], 0
	v_mul_f64 v[69:70], v[51:52], v[69:70]
	s_waitcnt vmcnt(12)
	v_fma_f64 v[65:66], v[57:58], v[75:76], -v[65:66]
	v_fma_f64 v[63:64], v[59:60], v[75:76], v[63:64]
	ds_read_b128 v[57:60], v2 offset:688
	s_waitcnt vmcnt(9)
	v_fma_f64 v[51:52], v[51:52], v[77:78], v[67:68]
	v_add_f64 v[87:88], v[87:88], v[89:90]
	v_add_f64 v[3:4], v[3:4], v[61:62]
	s_waitcnt lgkmcnt(1)
	v_mul_f64 v[61:62], v[53:54], v[71:72]
	v_mul_f64 v[71:72], v[55:56], v[71:72]
	v_fma_f64 v[49:50], v[49:50], v[77:78], -v[69:70]
	s_waitcnt vmcnt(7) lgkmcnt(0)
	v_mul_f64 v[67:68], v[59:60], v[79:80]
	v_add_f64 v[65:66], v[87:88], v[65:66]
	v_add_f64 v[2:3], v[3:4], v[63:64]
	v_mul_f64 v[63:64], v[57:58], v[79:80]
	s_waitcnt vmcnt(6)
	v_fma_f64 v[53:54], v[53:54], v[73:74], -v[71:72]
	v_fma_f64 v[55:56], v[55:56], v[73:74], v[61:62]
	v_add_f64 v[49:50], v[65:66], v[49:50]
	v_add_f64 v[2:3], v[2:3], v[51:52]
	s_waitcnt vmcnt(4)
	v_fma_f64 v[51:52], v[57:58], v[81:82], -v[67:68]
	v_add_f64 v[49:50], v[49:50], v[53:54]
	v_fma_f64 v[53:54], v[59:60], v[81:82], v[63:64]
	v_add_f64 v[2:3], v[2:3], v[55:56]
	v_add_f64 v[49:50], v[49:50], v[51:52]
	;; [unrolled: 1-line block ×3, first 2 shown]
	s_waitcnt vmcnt(2)
	v_add_f64 v[49:50], v[83:84], -v[49:50]
	s_waitcnt vmcnt(0)
	v_add_f64 v[2:3], v[85:86], -v[2:3]
	buffer_store_dword v50, off, s[0:3], 0 offset:260
	buffer_store_dword v49, off, s[0:3], 0 offset:256
	buffer_store_dword v3, off, s[0:3], 0 offset:268
	buffer_store_dword v2, off, s[0:3], 0 offset:264
	v_cmpx_lt_u32_e32 14, v0
	s_cbranch_execz .LBB21_117
; %bb.116:
	v_mov_b32_e32 v2, s17
	s_clause 0x3
	buffer_load_dword v49, v2, s[0:3], 0 offen
	buffer_load_dword v50, v2, s[0:3], 0 offen offset:4
	buffer_load_dword v51, v2, s[0:3], 0 offen offset:8
	buffer_load_dword v52, v2, s[0:3], 0 offen offset:12
	v_mov_b32_e32 v2, 0
	buffer_store_dword v2, off, s[0:3], 0 offset:240
	buffer_store_dword v2, off, s[0:3], 0 offset:244
	;; [unrolled: 1-line block ×4, first 2 shown]
	s_waitcnt vmcnt(0)
	ds_write_b128 v1, v[49:52]
.LBB21_117:
	s_or_b32 exec_lo, exec_lo, s4
	s_waitcnt lgkmcnt(0)
	s_waitcnt_vscnt null, 0x0
	s_barrier
	buffer_gl0_inv
	s_clause 0x1f
	buffer_load_dword v3, off, s[0:3], 0 offset:264
	buffer_load_dword v4, off, s[0:3], 0 offset:268
	;; [unrolled: 1-line block ×32, first 2 shown]
	v_mov_b32_e32 v2, 0
	ds_read_b128 v[49:52], v2 offset:592
	ds_read_b128 v[53:56], v2 offset:608
	;; [unrolled: 1-line block ×3, first 2 shown]
	s_mov_b32 s4, exec_lo
	s_waitcnt vmcnt(30) lgkmcnt(2)
	v_mul_f64 v[91:92], v[51:52], v[3:4]
	v_mul_f64 v[3:4], v[49:50], v[3:4]
	s_waitcnt vmcnt(28) lgkmcnt(1)
	v_mul_f64 v[93:94], v[55:56], v[61:62]
	v_mul_f64 v[61:62], v[53:54], v[61:62]
	s_waitcnt vmcnt(26)
	v_fma_f64 v[91:92], v[49:50], v[63:64], -v[91:92]
	v_fma_f64 v[3:4], v[51:52], v[63:64], v[3:4]
	ds_read_b128 v[49:52], v2 offset:640
	s_waitcnt vmcnt(24) lgkmcnt(1)
	v_mul_f64 v[63:64], v[57:58], v[65:66]
	v_mul_f64 v[65:66], v[59:60], v[65:66]
	s_waitcnt vmcnt(22)
	v_fma_f64 v[93:94], v[53:54], v[67:68], -v[93:94]
	v_fma_f64 v[61:62], v[55:56], v[67:68], v[61:62]
	ds_read_b128 v[53:56], v2 offset:656
	s_waitcnt vmcnt(18) lgkmcnt(1)
	v_mul_f64 v[67:68], v[49:50], v[69:70]
	v_add_f64 v[91:92], v[91:92], 0
	v_add_f64 v[3:4], v[3:4], 0
	v_mul_f64 v[69:70], v[51:52], v[69:70]
	s_waitcnt vmcnt(16)
	v_fma_f64 v[65:66], v[57:58], v[75:76], -v[65:66]
	v_fma_f64 v[63:64], v[59:60], v[75:76], v[63:64]
	ds_read_b128 v[57:60], v2 offset:672
	s_waitcnt vmcnt(13)
	v_fma_f64 v[67:68], v[51:52], v[77:78], v[67:68]
	v_add_f64 v[91:92], v[91:92], v[93:94]
	v_add_f64 v[3:4], v[3:4], v[61:62]
	s_waitcnt lgkmcnt(1)
	v_mul_f64 v[61:62], v[53:54], v[71:72]
	v_mul_f64 v[71:72], v[55:56], v[71:72]
	v_fma_f64 v[69:70], v[49:50], v[77:78], -v[69:70]
	s_waitcnt vmcnt(9) lgkmcnt(0)
	v_mul_f64 v[75:76], v[59:60], v[79:80]
	ds_read_b128 v[49:52], v2 offset:688
	v_add_f64 v[65:66], v[91:92], v[65:66]
	v_add_f64 v[3:4], v[3:4], v[63:64]
	v_mul_f64 v[63:64], v[57:58], v[79:80]
	s_waitcnt vmcnt(8)
	v_fma_f64 v[53:54], v[53:54], v[73:74], -v[71:72]
	v_fma_f64 v[55:56], v[55:56], v[73:74], v[61:62]
	s_waitcnt vmcnt(5)
	v_fma_f64 v[57:58], v[57:58], v[85:86], -v[75:76]
	s_waitcnt lgkmcnt(0)
	v_mul_f64 v[61:62], v[49:50], v[81:82]
	v_add_f64 v[65:66], v[65:66], v[69:70]
	v_add_f64 v[3:4], v[3:4], v[67:68]
	v_mul_f64 v[67:68], v[51:52], v[81:82]
	v_fma_f64 v[59:60], v[59:60], v[85:86], v[63:64]
	s_waitcnt vmcnt(4)
	v_fma_f64 v[51:52], v[51:52], v[83:84], v[61:62]
	v_add_f64 v[53:54], v[65:66], v[53:54]
	v_add_f64 v[3:4], v[3:4], v[55:56]
	v_fma_f64 v[49:50], v[49:50], v[83:84], -v[67:68]
	v_add_f64 v[53:54], v[53:54], v[57:58]
	v_add_f64 v[3:4], v[3:4], v[59:60]
	;; [unrolled: 1-line block ×4, first 2 shown]
	s_waitcnt vmcnt(2)
	v_add_f64 v[49:50], v[87:88], -v[49:50]
	s_waitcnt vmcnt(0)
	v_add_f64 v[3:4], v[89:90], -v[3:4]
	buffer_store_dword v50, off, s[0:3], 0 offset:244
	buffer_store_dword v49, off, s[0:3], 0 offset:240
	;; [unrolled: 1-line block ×4, first 2 shown]
	v_cmpx_lt_u32_e32 13, v0
	s_cbranch_execz .LBB21_119
; %bb.118:
	v_mov_b32_e32 v3, s18
	s_clause 0x3
	buffer_load_dword v49, v3, s[0:3], 0 offen
	buffer_load_dword v50, v3, s[0:3], 0 offen offset:4
	buffer_load_dword v51, v3, s[0:3], 0 offen offset:8
	;; [unrolled: 1-line block ×3, first 2 shown]
	buffer_store_dword v2, off, s[0:3], 0 offset:224
	buffer_store_dword v2, off, s[0:3], 0 offset:228
	;; [unrolled: 1-line block ×4, first 2 shown]
	s_waitcnt vmcnt(0)
	ds_write_b128 v1, v[49:52]
.LBB21_119:
	s_or_b32 exec_lo, exec_lo, s4
	s_waitcnt lgkmcnt(0)
	s_waitcnt_vscnt null, 0x0
	s_barrier
	buffer_gl0_inv
	s_clause 0x23
	buffer_load_dword v3, off, s[0:3], 0 offset:248
	buffer_load_dword v4, off, s[0:3], 0 offset:252
	;; [unrolled: 1-line block ×36, first 2 shown]
	ds_read_b128 v[49:52], v2 offset:576
	ds_read_b128 v[53:56], v2 offset:592
	;; [unrolled: 1-line block ×3, first 2 shown]
	s_mov_b32 s4, exec_lo
	s_waitcnt vmcnt(34) lgkmcnt(2)
	v_mul_f64 v[95:96], v[51:52], v[3:4]
	v_mul_f64 v[3:4], v[49:50], v[3:4]
	s_waitcnt vmcnt(32) lgkmcnt(1)
	v_mul_f64 v[97:98], v[55:56], v[61:62]
	v_mul_f64 v[61:62], v[53:54], v[61:62]
	s_waitcnt vmcnt(30)
	v_fma_f64 v[95:96], v[49:50], v[63:64], -v[95:96]
	v_fma_f64 v[3:4], v[51:52], v[63:64], v[3:4]
	ds_read_b128 v[49:52], v2 offset:624
	s_waitcnt vmcnt(28) lgkmcnt(1)
	v_mul_f64 v[63:64], v[57:58], v[65:66]
	v_mul_f64 v[65:66], v[59:60], v[65:66]
	s_waitcnt vmcnt(26)
	v_fma_f64 v[97:98], v[53:54], v[67:68], -v[97:98]
	v_fma_f64 v[61:62], v[55:56], v[67:68], v[61:62]
	ds_read_b128 v[53:56], v2 offset:640
	s_waitcnt vmcnt(22) lgkmcnt(1)
	v_mul_f64 v[67:68], v[49:50], v[69:70]
	v_add_f64 v[95:96], v[95:96], 0
	v_add_f64 v[3:4], v[3:4], 0
	v_mul_f64 v[69:70], v[51:52], v[69:70]
	s_waitcnt vmcnt(20)
	v_fma_f64 v[65:66], v[57:58], v[75:76], -v[65:66]
	v_fma_f64 v[63:64], v[59:60], v[75:76], v[63:64]
	ds_read_b128 v[57:60], v2 offset:656
	s_waitcnt vmcnt(17)
	v_fma_f64 v[67:68], v[51:52], v[77:78], v[67:68]
	v_add_f64 v[95:96], v[95:96], v[97:98]
	v_add_f64 v[3:4], v[3:4], v[61:62]
	s_waitcnt lgkmcnt(1)
	v_mul_f64 v[61:62], v[53:54], v[71:72]
	v_mul_f64 v[71:72], v[55:56], v[71:72]
	v_fma_f64 v[69:70], v[49:50], v[77:78], -v[69:70]
	s_waitcnt vmcnt(13) lgkmcnt(0)
	v_mul_f64 v[75:76], v[59:60], v[79:80]
	ds_read_b128 v[49:52], v2 offset:672
	v_add_f64 v[65:66], v[95:96], v[65:66]
	v_add_f64 v[3:4], v[3:4], v[63:64]
	v_mul_f64 v[63:64], v[57:58], v[79:80]
	s_waitcnt vmcnt(12)
	v_fma_f64 v[71:72], v[53:54], v[73:74], -v[71:72]
	v_fma_f64 v[61:62], v[55:56], v[73:74], v[61:62]
	ds_read_b128 v[53:56], v2 offset:688
	s_waitcnt vmcnt(9)
	v_fma_f64 v[57:58], v[57:58], v[85:86], -v[75:76]
	v_add_f64 v[65:66], v[65:66], v[69:70]
	v_add_f64 v[3:4], v[3:4], v[67:68]
	s_waitcnt lgkmcnt(1)
	v_mul_f64 v[69:70], v[51:52], v[81:82]
	v_mul_f64 v[67:68], v[49:50], v[81:82]
	v_fma_f64 v[59:60], v[59:60], v[85:86], v[63:64]
	s_waitcnt vmcnt(7) lgkmcnt(0)
	v_mul_f64 v[63:64], v[55:56], v[87:88]
	v_add_f64 v[65:66], v[65:66], v[71:72]
	v_add_f64 v[2:3], v[3:4], v[61:62]
	s_waitcnt vmcnt(6)
	v_fma_f64 v[49:50], v[49:50], v[83:84], -v[69:70]
	v_mul_f64 v[61:62], v[53:54], v[87:88]
	v_fma_f64 v[51:52], v[51:52], v[83:84], v[67:68]
	s_waitcnt vmcnt(4)
	v_fma_f64 v[53:54], v[53:54], v[89:90], -v[63:64]
	v_add_f64 v[57:58], v[65:66], v[57:58]
	v_add_f64 v[2:3], v[2:3], v[59:60]
	v_fma_f64 v[55:56], v[55:56], v[89:90], v[61:62]
	v_add_f64 v[49:50], v[57:58], v[49:50]
	v_add_f64 v[2:3], v[2:3], v[51:52]
	;; [unrolled: 1-line block ×4, first 2 shown]
	s_waitcnt vmcnt(2)
	v_add_f64 v[49:50], v[91:92], -v[49:50]
	s_waitcnt vmcnt(0)
	v_add_f64 v[2:3], v[93:94], -v[2:3]
	buffer_store_dword v50, off, s[0:3], 0 offset:228
	buffer_store_dword v49, off, s[0:3], 0 offset:224
	;; [unrolled: 1-line block ×4, first 2 shown]
	v_cmpx_lt_u32_e32 12, v0
	s_cbranch_execz .LBB21_121
; %bb.120:
	v_mov_b32_e32 v2, s19
	s_clause 0x3
	buffer_load_dword v49, v2, s[0:3], 0 offen
	buffer_load_dword v50, v2, s[0:3], 0 offen offset:4
	buffer_load_dword v51, v2, s[0:3], 0 offen offset:8
	;; [unrolled: 1-line block ×3, first 2 shown]
	v_mov_b32_e32 v2, 0
	buffer_store_dword v2, off, s[0:3], 0 offset:208
	buffer_store_dword v2, off, s[0:3], 0 offset:212
	;; [unrolled: 1-line block ×4, first 2 shown]
	s_waitcnt vmcnt(0)
	ds_write_b128 v1, v[49:52]
.LBB21_121:
	s_or_b32 exec_lo, exec_lo, s4
	s_waitcnt lgkmcnt(0)
	s_waitcnt_vscnt null, 0x0
	s_barrier
	buffer_gl0_inv
	s_clause 0x27
	buffer_load_dword v3, off, s[0:3], 0 offset:232
	buffer_load_dword v4, off, s[0:3], 0 offset:236
	buffer_load_dword v61, off, s[0:3], 0 offset:248
	buffer_load_dword v62, off, s[0:3], 0 offset:252
	buffer_load_dword v63, off, s[0:3], 0 offset:224
	buffer_load_dword v64, off, s[0:3], 0 offset:228
	buffer_load_dword v65, off, s[0:3], 0 offset:264
	buffer_load_dword v66, off, s[0:3], 0 offset:268
	buffer_load_dword v67, off, s[0:3], 0 offset:240
	buffer_load_dword v68, off, s[0:3], 0 offset:244
	buffer_load_dword v70, off, s[0:3], 0 offset:284
	buffer_load_dword v71, off, s[0:3], 0 offset:296
	buffer_load_dword v73, off, s[0:3], 0 offset:288
	buffer_load_dword v69, off, s[0:3], 0 offset:280
	buffer_load_dword v75, off, s[0:3], 0 offset:256
	buffer_load_dword v76, off, s[0:3], 0 offset:260
	buffer_load_dword v72, off, s[0:3], 0 offset:300
	buffer_load_dword v78, off, s[0:3], 0 offset:276
	buffer_load_dword v77, off, s[0:3], 0 offset:272
	buffer_load_dword v80, off, s[0:3], 0 offset:316
	buffer_load_dword v81, off, s[0:3], 0 offset:328
	buffer_load_dword v83, off, s[0:3], 0 offset:320
	buffer_load_dword v79, off, s[0:3], 0 offset:312
	buffer_load_dword v74, off, s[0:3], 0 offset:292
	buffer_load_dword v82, off, s[0:3], 0 offset:332
	buffer_load_dword v86, off, s[0:3], 0 offset:308
	buffer_load_dword v85, off, s[0:3], 0 offset:304
	buffer_load_dword v88, off, s[0:3], 0 offset:348
	buffer_load_dword v89, off, s[0:3], 0 offset:360
	buffer_load_dword v91, off, s[0:3], 0 offset:352
	buffer_load_dword v87, off, s[0:3], 0 offset:344
	buffer_load_dword v84, off, s[0:3], 0 offset:324
	buffer_load_dword v90, off, s[0:3], 0 offset:364
	buffer_load_dword v94, off, s[0:3], 0 offset:340
	buffer_load_dword v93, off, s[0:3], 0 offset:336
	buffer_load_dword v92, off, s[0:3], 0 offset:356
	buffer_load_dword v95, off, s[0:3], 0 offset:208
	buffer_load_dword v96, off, s[0:3], 0 offset:212
	buffer_load_dword v97, off, s[0:3], 0 offset:216
	buffer_load_dword v98, off, s[0:3], 0 offset:220
	v_mov_b32_e32 v2, 0
	ds_read_b128 v[49:52], v2 offset:560
	ds_read_b128 v[53:56], v2 offset:576
	;; [unrolled: 1-line block ×3, first 2 shown]
	s_mov_b32 s4, exec_lo
	s_waitcnt vmcnt(38) lgkmcnt(2)
	v_mul_f64 v[99:100], v[51:52], v[3:4]
	v_mul_f64 v[3:4], v[49:50], v[3:4]
	s_waitcnt vmcnt(36) lgkmcnt(1)
	v_mul_f64 v[101:102], v[55:56], v[61:62]
	v_mul_f64 v[61:62], v[53:54], v[61:62]
	s_waitcnt vmcnt(34)
	v_fma_f64 v[99:100], v[49:50], v[63:64], -v[99:100]
	v_fma_f64 v[3:4], v[51:52], v[63:64], v[3:4]
	ds_read_b128 v[49:52], v2 offset:608
	s_waitcnt vmcnt(32) lgkmcnt(1)
	v_mul_f64 v[63:64], v[57:58], v[65:66]
	v_mul_f64 v[65:66], v[59:60], v[65:66]
	s_waitcnt vmcnt(30)
	v_fma_f64 v[101:102], v[53:54], v[67:68], -v[101:102]
	v_fma_f64 v[61:62], v[55:56], v[67:68], v[61:62]
	ds_read_b128 v[53:56], v2 offset:624
	s_waitcnt vmcnt(26) lgkmcnt(1)
	v_mul_f64 v[67:68], v[49:50], v[69:70]
	v_add_f64 v[99:100], v[99:100], 0
	v_add_f64 v[3:4], v[3:4], 0
	v_mul_f64 v[69:70], v[51:52], v[69:70]
	s_waitcnt vmcnt(24)
	v_fma_f64 v[65:66], v[57:58], v[75:76], -v[65:66]
	v_fma_f64 v[63:64], v[59:60], v[75:76], v[63:64]
	ds_read_b128 v[57:60], v2 offset:640
	s_waitcnt vmcnt(21)
	v_fma_f64 v[67:68], v[51:52], v[77:78], v[67:68]
	v_add_f64 v[99:100], v[99:100], v[101:102]
	v_add_f64 v[3:4], v[3:4], v[61:62]
	s_waitcnt lgkmcnt(1)
	v_mul_f64 v[61:62], v[53:54], v[71:72]
	v_mul_f64 v[71:72], v[55:56], v[71:72]
	v_fma_f64 v[69:70], v[49:50], v[77:78], -v[69:70]
	s_waitcnt vmcnt(17) lgkmcnt(0)
	v_mul_f64 v[75:76], v[59:60], v[79:80]
	ds_read_b128 v[49:52], v2 offset:656
	v_add_f64 v[65:66], v[99:100], v[65:66]
	v_add_f64 v[3:4], v[3:4], v[63:64]
	v_mul_f64 v[63:64], v[57:58], v[79:80]
	s_waitcnt vmcnt(16)
	v_fma_f64 v[71:72], v[53:54], v[73:74], -v[71:72]
	v_fma_f64 v[61:62], v[55:56], v[73:74], v[61:62]
	ds_read_b128 v[53:56], v2 offset:672
	s_waitcnt vmcnt(13)
	v_fma_f64 v[73:74], v[57:58], v[85:86], -v[75:76]
	v_add_f64 v[65:66], v[65:66], v[69:70]
	v_add_f64 v[3:4], v[3:4], v[67:68]
	s_waitcnt lgkmcnt(1)
	v_mul_f64 v[69:70], v[51:52], v[81:82]
	v_mul_f64 v[67:68], v[49:50], v[81:82]
	v_fma_f64 v[63:64], v[59:60], v[85:86], v[63:64]
	ds_read_b128 v[57:60], v2 offset:688
	v_add_f64 v[65:66], v[65:66], v[71:72]
	v_add_f64 v[3:4], v[3:4], v[61:62]
	s_waitcnt vmcnt(9) lgkmcnt(1)
	v_mul_f64 v[71:72], v[55:56], v[87:88]
	s_waitcnt vmcnt(8)
	v_fma_f64 v[49:50], v[49:50], v[83:84], -v[69:70]
	v_mul_f64 v[61:62], v[53:54], v[87:88]
	v_fma_f64 v[51:52], v[51:52], v[83:84], v[67:68]
	s_waitcnt vmcnt(7) lgkmcnt(0)
	v_mul_f64 v[67:68], v[59:60], v[89:90]
	v_add_f64 v[65:66], v[65:66], v[73:74]
	v_add_f64 v[3:4], v[3:4], v[63:64]
	s_waitcnt vmcnt(5)
	v_fma_f64 v[53:54], v[53:54], v[93:94], -v[71:72]
	v_mul_f64 v[63:64], v[57:58], v[89:90]
	v_fma_f64 v[55:56], v[55:56], v[93:94], v[61:62]
	v_add_f64 v[49:50], v[65:66], v[49:50]
	v_add_f64 v[3:4], v[3:4], v[51:52]
	s_waitcnt vmcnt(4)
	v_fma_f64 v[51:52], v[57:58], v[91:92], -v[67:68]
	v_add_f64 v[49:50], v[49:50], v[53:54]
	v_fma_f64 v[53:54], v[59:60], v[91:92], v[63:64]
	v_add_f64 v[3:4], v[3:4], v[55:56]
	v_add_f64 v[49:50], v[49:50], v[51:52]
	;; [unrolled: 1-line block ×3, first 2 shown]
	s_waitcnt vmcnt(2)
	v_add_f64 v[49:50], v[95:96], -v[49:50]
	s_waitcnt vmcnt(0)
	v_add_f64 v[3:4], v[97:98], -v[3:4]
	buffer_store_dword v50, off, s[0:3], 0 offset:212
	buffer_store_dword v49, off, s[0:3], 0 offset:208
	;; [unrolled: 1-line block ×4, first 2 shown]
	v_cmpx_lt_u32_e32 11, v0
	s_cbranch_execz .LBB21_123
; %bb.122:
	v_mov_b32_e32 v3, s22
	s_clause 0x3
	buffer_load_dword v49, v3, s[0:3], 0 offen
	buffer_load_dword v50, v3, s[0:3], 0 offen offset:4
	buffer_load_dword v51, v3, s[0:3], 0 offen offset:8
	;; [unrolled: 1-line block ×3, first 2 shown]
	buffer_store_dword v2, off, s[0:3], 0 offset:192
	buffer_store_dword v2, off, s[0:3], 0 offset:196
	;; [unrolled: 1-line block ×4, first 2 shown]
	s_waitcnt vmcnt(0)
	ds_write_b128 v1, v[49:52]
.LBB21_123:
	s_or_b32 exec_lo, exec_lo, s4
	s_waitcnt lgkmcnt(0)
	s_waitcnt_vscnt null, 0x0
	s_barrier
	buffer_gl0_inv
	s_clause 0x2b
	buffer_load_dword v3, off, s[0:3], 0 offset:216
	buffer_load_dword v4, off, s[0:3], 0 offset:220
	;; [unrolled: 1-line block ×44, first 2 shown]
	ds_read_b128 v[49:52], v2 offset:544
	ds_read_b128 v[53:56], v2 offset:560
	;; [unrolled: 1-line block ×3, first 2 shown]
	s_mov_b32 s4, exec_lo
	s_waitcnt vmcnt(42) lgkmcnt(2)
	v_mul_f64 v[103:104], v[51:52], v[3:4]
	v_mul_f64 v[3:4], v[49:50], v[3:4]
	s_waitcnt vmcnt(40) lgkmcnt(1)
	v_mul_f64 v[105:106], v[55:56], v[61:62]
	v_mul_f64 v[61:62], v[53:54], v[61:62]
	s_waitcnt vmcnt(38)
	v_fma_f64 v[103:104], v[49:50], v[63:64], -v[103:104]
	v_fma_f64 v[3:4], v[51:52], v[63:64], v[3:4]
	ds_read_b128 v[49:52], v2 offset:592
	s_waitcnt vmcnt(36) lgkmcnt(1)
	v_mul_f64 v[63:64], v[57:58], v[65:66]
	v_mul_f64 v[65:66], v[59:60], v[65:66]
	s_waitcnt vmcnt(34)
	v_fma_f64 v[105:106], v[53:54], v[67:68], -v[105:106]
	v_fma_f64 v[61:62], v[55:56], v[67:68], v[61:62]
	ds_read_b128 v[53:56], v2 offset:608
	s_waitcnt vmcnt(30) lgkmcnt(1)
	v_mul_f64 v[67:68], v[49:50], v[69:70]
	v_add_f64 v[103:104], v[103:104], 0
	v_add_f64 v[3:4], v[3:4], 0
	v_mul_f64 v[69:70], v[51:52], v[69:70]
	s_waitcnt vmcnt(28)
	v_fma_f64 v[65:66], v[57:58], v[75:76], -v[65:66]
	v_fma_f64 v[63:64], v[59:60], v[75:76], v[63:64]
	ds_read_b128 v[57:60], v2 offset:624
	s_waitcnt vmcnt(25)
	v_fma_f64 v[67:68], v[51:52], v[77:78], v[67:68]
	v_add_f64 v[103:104], v[103:104], v[105:106]
	v_add_f64 v[3:4], v[3:4], v[61:62]
	s_waitcnt lgkmcnt(1)
	v_mul_f64 v[61:62], v[53:54], v[71:72]
	v_mul_f64 v[71:72], v[55:56], v[71:72]
	v_fma_f64 v[69:70], v[49:50], v[77:78], -v[69:70]
	s_waitcnt vmcnt(21) lgkmcnt(0)
	v_mul_f64 v[75:76], v[59:60], v[79:80]
	ds_read_b128 v[49:52], v2 offset:640
	v_add_f64 v[65:66], v[103:104], v[65:66]
	v_add_f64 v[3:4], v[3:4], v[63:64]
	v_mul_f64 v[63:64], v[57:58], v[79:80]
	s_waitcnt vmcnt(20)
	v_fma_f64 v[71:72], v[53:54], v[73:74], -v[71:72]
	v_fma_f64 v[61:62], v[55:56], v[73:74], v[61:62]
	ds_read_b128 v[53:56], v2 offset:656
	s_waitcnt vmcnt(17)
	v_fma_f64 v[73:74], v[57:58], v[85:86], -v[75:76]
	v_add_f64 v[65:66], v[65:66], v[69:70]
	v_add_f64 v[3:4], v[3:4], v[67:68]
	s_waitcnt lgkmcnt(1)
	v_mul_f64 v[69:70], v[51:52], v[81:82]
	v_mul_f64 v[67:68], v[49:50], v[81:82]
	v_fma_f64 v[63:64], v[59:60], v[85:86], v[63:64]
	ds_read_b128 v[57:60], v2 offset:672
	v_add_f64 v[65:66], v[65:66], v[71:72]
	v_add_f64 v[3:4], v[3:4], v[61:62]
	s_waitcnt vmcnt(13) lgkmcnt(1)
	v_mul_f64 v[71:72], v[55:56], v[87:88]
	s_waitcnt vmcnt(12)
	v_fma_f64 v[69:70], v[49:50], v[83:84], -v[69:70]
	v_mul_f64 v[61:62], v[53:54], v[87:88]
	v_fma_f64 v[67:68], v[51:52], v[83:84], v[67:68]
	ds_read_b128 v[49:52], v2 offset:688
	v_add_f64 v[65:66], v[65:66], v[73:74]
	v_add_f64 v[3:4], v[3:4], v[63:64]
	s_waitcnt vmcnt(11) lgkmcnt(1)
	v_mul_f64 v[73:74], v[59:60], v[89:90]
	s_waitcnt vmcnt(9)
	v_fma_f64 v[53:54], v[53:54], v[93:94], -v[71:72]
	v_mul_f64 v[63:64], v[57:58], v[89:90]
	v_fma_f64 v[55:56], v[55:56], v[93:94], v[61:62]
	s_waitcnt vmcnt(7) lgkmcnt(0)
	v_mul_f64 v[61:62], v[49:50], v[95:96]
	v_add_f64 v[65:66], v[65:66], v[69:70]
	v_add_f64 v[2:3], v[3:4], v[67:68]
	v_mul_f64 v[67:68], v[51:52], v[95:96]
	s_waitcnt vmcnt(6)
	v_fma_f64 v[57:58], v[57:58], v[91:92], -v[73:74]
	v_fma_f64 v[59:60], v[59:60], v[91:92], v[63:64]
	s_waitcnt vmcnt(4)
	v_fma_f64 v[51:52], v[51:52], v[97:98], v[61:62]
	v_add_f64 v[53:54], v[65:66], v[53:54]
	v_add_f64 v[2:3], v[2:3], v[55:56]
	v_fma_f64 v[49:50], v[49:50], v[97:98], -v[67:68]
	v_add_f64 v[53:54], v[53:54], v[57:58]
	v_add_f64 v[2:3], v[2:3], v[59:60]
	;; [unrolled: 1-line block ×4, first 2 shown]
	s_waitcnt vmcnt(2)
	v_add_f64 v[49:50], v[99:100], -v[49:50]
	s_waitcnt vmcnt(0)
	v_add_f64 v[2:3], v[101:102], -v[2:3]
	buffer_store_dword v50, off, s[0:3], 0 offset:196
	buffer_store_dword v49, off, s[0:3], 0 offset:192
	;; [unrolled: 1-line block ×4, first 2 shown]
	v_cmpx_lt_u32_e32 10, v0
	s_cbranch_execz .LBB21_125
; %bb.124:
	v_mov_b32_e32 v2, s23
	s_clause 0x3
	buffer_load_dword v49, v2, s[0:3], 0 offen
	buffer_load_dword v50, v2, s[0:3], 0 offen offset:4
	buffer_load_dword v51, v2, s[0:3], 0 offen offset:8
	;; [unrolled: 1-line block ×3, first 2 shown]
	v_mov_b32_e32 v2, 0
	buffer_store_dword v2, off, s[0:3], 0 offset:176
	buffer_store_dword v2, off, s[0:3], 0 offset:180
	;; [unrolled: 1-line block ×4, first 2 shown]
	s_waitcnt vmcnt(0)
	ds_write_b128 v1, v[49:52]
.LBB21_125:
	s_or_b32 exec_lo, exec_lo, s4
	s_waitcnt lgkmcnt(0)
	s_waitcnt_vscnt null, 0x0
	s_barrier
	buffer_gl0_inv
	s_clause 0x2f
	buffer_load_dword v3, off, s[0:3], 0 offset:200
	buffer_load_dword v4, off, s[0:3], 0 offset:204
	;; [unrolled: 1-line block ×48, first 2 shown]
	v_mov_b32_e32 v2, 0
	ds_read_b128 v[49:52], v2 offset:528
	ds_read_b128 v[53:56], v2 offset:544
	;; [unrolled: 1-line block ×3, first 2 shown]
	s_mov_b32 s4, exec_lo
	s_waitcnt vmcnt(46) lgkmcnt(2)
	v_mul_f64 v[107:108], v[51:52], v[3:4]
	v_mul_f64 v[3:4], v[49:50], v[3:4]
	s_waitcnt vmcnt(44) lgkmcnt(1)
	v_mul_f64 v[109:110], v[55:56], v[61:62]
	v_mul_f64 v[61:62], v[53:54], v[61:62]
	s_waitcnt vmcnt(42)
	v_fma_f64 v[107:108], v[49:50], v[63:64], -v[107:108]
	v_fma_f64 v[3:4], v[51:52], v[63:64], v[3:4]
	ds_read_b128 v[49:52], v2 offset:576
	s_waitcnt vmcnt(40) lgkmcnt(1)
	v_mul_f64 v[63:64], v[57:58], v[65:66]
	v_mul_f64 v[65:66], v[59:60], v[65:66]
	s_waitcnt vmcnt(38)
	v_fma_f64 v[109:110], v[53:54], v[67:68], -v[109:110]
	v_fma_f64 v[61:62], v[55:56], v[67:68], v[61:62]
	ds_read_b128 v[53:56], v2 offset:592
	s_waitcnt vmcnt(34) lgkmcnt(1)
	v_mul_f64 v[67:68], v[49:50], v[69:70]
	v_add_f64 v[107:108], v[107:108], 0
	v_add_f64 v[3:4], v[3:4], 0
	v_mul_f64 v[69:70], v[51:52], v[69:70]
	s_waitcnt vmcnt(32)
	v_fma_f64 v[65:66], v[57:58], v[75:76], -v[65:66]
	v_fma_f64 v[63:64], v[59:60], v[75:76], v[63:64]
	ds_read_b128 v[57:60], v2 offset:608
	s_waitcnt vmcnt(29)
	v_fma_f64 v[67:68], v[51:52], v[77:78], v[67:68]
	v_add_f64 v[107:108], v[107:108], v[109:110]
	v_add_f64 v[3:4], v[3:4], v[61:62]
	s_waitcnt lgkmcnt(1)
	v_mul_f64 v[61:62], v[53:54], v[71:72]
	v_mul_f64 v[71:72], v[55:56], v[71:72]
	v_fma_f64 v[69:70], v[49:50], v[77:78], -v[69:70]
	s_waitcnt vmcnt(25) lgkmcnt(0)
	v_mul_f64 v[75:76], v[59:60], v[79:80]
	ds_read_b128 v[49:52], v2 offset:624
	v_add_f64 v[65:66], v[107:108], v[65:66]
	v_add_f64 v[3:4], v[3:4], v[63:64]
	v_mul_f64 v[63:64], v[57:58], v[79:80]
	s_waitcnt vmcnt(24)
	v_fma_f64 v[71:72], v[53:54], v[73:74], -v[71:72]
	v_fma_f64 v[61:62], v[55:56], v[73:74], v[61:62]
	ds_read_b128 v[53:56], v2 offset:640
	s_waitcnt vmcnt(21)
	v_fma_f64 v[73:74], v[57:58], v[85:86], -v[75:76]
	v_add_f64 v[65:66], v[65:66], v[69:70]
	v_add_f64 v[3:4], v[3:4], v[67:68]
	s_waitcnt lgkmcnt(1)
	v_mul_f64 v[69:70], v[51:52], v[81:82]
	v_mul_f64 v[67:68], v[49:50], v[81:82]
	v_fma_f64 v[63:64], v[59:60], v[85:86], v[63:64]
	ds_read_b128 v[57:60], v2 offset:656
	v_add_f64 v[65:66], v[65:66], v[71:72]
	v_add_f64 v[3:4], v[3:4], v[61:62]
	s_waitcnt vmcnt(17) lgkmcnt(1)
	v_mul_f64 v[71:72], v[55:56], v[87:88]
	s_waitcnt vmcnt(16)
	v_fma_f64 v[69:70], v[49:50], v[83:84], -v[69:70]
	v_mul_f64 v[61:62], v[53:54], v[87:88]
	v_fma_f64 v[67:68], v[51:52], v[83:84], v[67:68]
	ds_read_b128 v[49:52], v2 offset:672
	v_add_f64 v[65:66], v[65:66], v[73:74]
	v_add_f64 v[3:4], v[3:4], v[63:64]
	s_waitcnt vmcnt(15) lgkmcnt(1)
	v_mul_f64 v[73:74], v[59:60], v[89:90]
	s_waitcnt vmcnt(13)
	v_fma_f64 v[71:72], v[53:54], v[93:94], -v[71:72]
	;; [unrolled: 9-line block ×3, first 2 shown]
	v_mul_f64 v[67:68], v[49:50], v[95:96]
	v_fma_f64 v[59:60], v[59:60], v[91:92], v[63:64]
	s_waitcnt vmcnt(7) lgkmcnt(0)
	v_mul_f64 v[63:64], v[55:56], v[97:98]
	v_add_f64 v[65:66], v[65:66], v[71:72]
	v_add_f64 v[3:4], v[3:4], v[61:62]
	s_waitcnt vmcnt(5)
	v_fma_f64 v[49:50], v[49:50], v[101:102], -v[69:70]
	v_mul_f64 v[61:62], v[53:54], v[97:98]
	v_fma_f64 v[51:52], v[51:52], v[101:102], v[67:68]
	s_waitcnt vmcnt(4)
	v_fma_f64 v[53:54], v[53:54], v[99:100], -v[63:64]
	v_add_f64 v[57:58], v[65:66], v[57:58]
	v_add_f64 v[3:4], v[3:4], v[59:60]
	v_fma_f64 v[55:56], v[55:56], v[99:100], v[61:62]
	v_add_f64 v[49:50], v[57:58], v[49:50]
	v_add_f64 v[3:4], v[3:4], v[51:52]
	;; [unrolled: 1-line block ×4, first 2 shown]
	s_waitcnt vmcnt(2)
	v_add_f64 v[49:50], v[103:104], -v[49:50]
	s_waitcnt vmcnt(0)
	v_add_f64 v[3:4], v[105:106], -v[3:4]
	buffer_store_dword v50, off, s[0:3], 0 offset:180
	buffer_store_dword v49, off, s[0:3], 0 offset:176
	;; [unrolled: 1-line block ×4, first 2 shown]
	v_cmpx_lt_u32_e32 9, v0
	s_cbranch_execz .LBB21_127
; %bb.126:
	v_mov_b32_e32 v3, s24
	s_clause 0x3
	buffer_load_dword v49, v3, s[0:3], 0 offen
	buffer_load_dword v50, v3, s[0:3], 0 offen offset:4
	buffer_load_dword v51, v3, s[0:3], 0 offen offset:8
	;; [unrolled: 1-line block ×3, first 2 shown]
	buffer_store_dword v2, off, s[0:3], 0 offset:160
	buffer_store_dword v2, off, s[0:3], 0 offset:164
	;; [unrolled: 1-line block ×4, first 2 shown]
	s_waitcnt vmcnt(0)
	ds_write_b128 v1, v[49:52]
.LBB21_127:
	s_or_b32 exec_lo, exec_lo, s4
	s_waitcnt lgkmcnt(0)
	s_waitcnt_vscnt null, 0x0
	s_barrier
	buffer_gl0_inv
	s_clause 0x2f
	buffer_load_dword v3, off, s[0:3], 0 offset:184
	buffer_load_dword v4, off, s[0:3], 0 offset:188
	;; [unrolled: 1-line block ×48, first 2 shown]
	ds_read_b128 v[49:52], v2 offset:512
	s_clause 0x3
	buffer_load_dword v107, off, s[0:3], 0 offset:160
	buffer_load_dword v108, off, s[0:3], 0 offset:164
	;; [unrolled: 1-line block ×4, first 2 shown]
	ds_read_b128 v[53:56], v2 offset:528
	ds_read_b128 v[57:60], v2 offset:544
	s_mov_b32 s4, exec_lo
	s_waitcnt vmcnt(50) lgkmcnt(2)
	v_mul_f64 v[111:112], v[51:52], v[3:4]
	v_mul_f64 v[3:4], v[49:50], v[3:4]
	s_waitcnt vmcnt(48) lgkmcnt(1)
	v_mul_f64 v[113:114], v[55:56], v[61:62]
	v_mul_f64 v[61:62], v[53:54], v[61:62]
	s_waitcnt vmcnt(46)
	v_fma_f64 v[111:112], v[49:50], v[63:64], -v[111:112]
	v_fma_f64 v[3:4], v[51:52], v[63:64], v[3:4]
	s_waitcnt vmcnt(44) lgkmcnt(0)
	v_mul_f64 v[63:64], v[57:58], v[65:66]
	v_mul_f64 v[65:66], v[59:60], v[65:66]
	s_waitcnt vmcnt(42)
	v_fma_f64 v[113:114], v[53:54], v[67:68], -v[113:114]
	ds_read_b128 v[49:52], v2 offset:560
	v_fma_f64 v[61:62], v[55:56], v[67:68], v[61:62]
	ds_read_b128 v[53:56], v2 offset:576
	v_add_f64 v[111:112], v[111:112], 0
	v_add_f64 v[3:4], v[3:4], 0
	s_waitcnt vmcnt(36)
	v_fma_f64 v[63:64], v[59:60], v[75:76], v[63:64]
	s_waitcnt lgkmcnt(1)
	v_mul_f64 v[67:68], v[49:50], v[69:70]
	v_mul_f64 v[69:70], v[51:52], v[69:70]
	v_fma_f64 v[65:66], v[57:58], v[75:76], -v[65:66]
	ds_read_b128 v[57:60], v2 offset:592
	v_add_f64 v[111:112], v[111:112], v[113:114]
	v_add_f64 v[3:4], v[3:4], v[61:62]
	s_waitcnt vmcnt(35) lgkmcnt(1)
	v_mul_f64 v[61:62], v[53:54], v[71:72]
	v_mul_f64 v[71:72], v[55:56], v[71:72]
	s_waitcnt vmcnt(33)
	v_fma_f64 v[69:70], v[49:50], v[77:78], -v[69:70]
	v_fma_f64 v[67:68], v[51:52], v[77:78], v[67:68]
	ds_read_b128 v[49:52], v2 offset:608
	s_waitcnt vmcnt(29) lgkmcnt(1)
	v_mul_f64 v[75:76], v[59:60], v[79:80]
	v_add_f64 v[65:66], v[111:112], v[65:66]
	v_add_f64 v[3:4], v[3:4], v[63:64]
	v_mul_f64 v[63:64], v[57:58], v[79:80]
	s_waitcnt vmcnt(28)
	v_fma_f64 v[71:72], v[53:54], v[73:74], -v[71:72]
	v_fma_f64 v[61:62], v[55:56], v[73:74], v[61:62]
	ds_read_b128 v[53:56], v2 offset:624
	s_waitcnt vmcnt(25)
	v_fma_f64 v[73:74], v[57:58], v[85:86], -v[75:76]
	v_add_f64 v[65:66], v[65:66], v[69:70]
	v_add_f64 v[3:4], v[3:4], v[67:68]
	s_waitcnt lgkmcnt(1)
	v_mul_f64 v[69:70], v[51:52], v[81:82]
	v_mul_f64 v[67:68], v[49:50], v[81:82]
	v_fma_f64 v[63:64], v[59:60], v[85:86], v[63:64]
	ds_read_b128 v[57:60], v2 offset:640
	v_add_f64 v[65:66], v[65:66], v[71:72]
	v_add_f64 v[3:4], v[3:4], v[61:62]
	s_waitcnt vmcnt(21) lgkmcnt(1)
	v_mul_f64 v[71:72], v[55:56], v[87:88]
	s_waitcnt vmcnt(20)
	v_fma_f64 v[69:70], v[49:50], v[83:84], -v[69:70]
	v_mul_f64 v[61:62], v[53:54], v[87:88]
	v_fma_f64 v[67:68], v[51:52], v[83:84], v[67:68]
	ds_read_b128 v[49:52], v2 offset:656
	v_add_f64 v[65:66], v[65:66], v[73:74]
	v_add_f64 v[3:4], v[3:4], v[63:64]
	s_waitcnt vmcnt(19) lgkmcnt(1)
	v_mul_f64 v[73:74], v[59:60], v[89:90]
	s_waitcnt vmcnt(17)
	v_fma_f64 v[71:72], v[53:54], v[93:94], -v[71:72]
	v_mul_f64 v[63:64], v[57:58], v[89:90]
	v_fma_f64 v[61:62], v[55:56], v[93:94], v[61:62]
	ds_read_b128 v[53:56], v2 offset:672
	v_add_f64 v[65:66], v[65:66], v[69:70]
	v_add_f64 v[3:4], v[3:4], v[67:68]
	s_waitcnt vmcnt(13) lgkmcnt(1)
	v_mul_f64 v[69:70], v[51:52], v[95:96]
	s_waitcnt vmcnt(12)
	v_fma_f64 v[73:74], v[57:58], v[91:92], -v[73:74]
	v_mul_f64 v[67:68], v[49:50], v[95:96]
	v_fma_f64 v[63:64], v[59:60], v[91:92], v[63:64]
	ds_read_b128 v[57:60], v2 offset:688
	v_add_f64 v[65:66], v[65:66], v[71:72]
	v_add_f64 v[3:4], v[3:4], v[61:62]
	s_waitcnt vmcnt(11) lgkmcnt(1)
	v_mul_f64 v[71:72], v[55:56], v[97:98]
	s_waitcnt vmcnt(9)
	v_fma_f64 v[49:50], v[49:50], v[101:102], -v[69:70]
	v_mul_f64 v[61:62], v[53:54], v[97:98]
	v_fma_f64 v[51:52], v[51:52], v[101:102], v[67:68]
	s_waitcnt vmcnt(7) lgkmcnt(0)
	v_mul_f64 v[67:68], v[59:60], v[103:104]
	v_add_f64 v[65:66], v[65:66], v[73:74]
	v_add_f64 v[2:3], v[3:4], v[63:64]
	s_waitcnt vmcnt(6)
	v_fma_f64 v[53:54], v[53:54], v[99:100], -v[71:72]
	v_mul_f64 v[63:64], v[57:58], v[103:104]
	v_fma_f64 v[55:56], v[55:56], v[99:100], v[61:62]
	v_add_f64 v[49:50], v[65:66], v[49:50]
	v_add_f64 v[2:3], v[2:3], v[51:52]
	s_waitcnt vmcnt(4)
	v_fma_f64 v[51:52], v[57:58], v[105:106], -v[67:68]
	v_add_f64 v[49:50], v[49:50], v[53:54]
	v_fma_f64 v[53:54], v[59:60], v[105:106], v[63:64]
	v_add_f64 v[2:3], v[2:3], v[55:56]
	v_add_f64 v[49:50], v[49:50], v[51:52]
	v_add_f64 v[2:3], v[2:3], v[53:54]
	s_waitcnt vmcnt(2)
	v_add_f64 v[49:50], v[107:108], -v[49:50]
	s_waitcnt vmcnt(0)
	v_add_f64 v[2:3], v[109:110], -v[2:3]
	buffer_store_dword v50, off, s[0:3], 0 offset:164
	buffer_store_dword v49, off, s[0:3], 0 offset:160
	;; [unrolled: 1-line block ×4, first 2 shown]
	v_cmpx_lt_u32_e32 8, v0
	s_cbranch_execz .LBB21_129
; %bb.128:
	v_mov_b32_e32 v2, s25
	s_clause 0x3
	buffer_load_dword v49, v2, s[0:3], 0 offen
	buffer_load_dword v50, v2, s[0:3], 0 offen offset:4
	buffer_load_dword v51, v2, s[0:3], 0 offen offset:8
	buffer_load_dword v52, v2, s[0:3], 0 offen offset:12
	v_mov_b32_e32 v2, 0
	buffer_store_dword v2, off, s[0:3], 0 offset:144
	buffer_store_dword v2, off, s[0:3], 0 offset:148
	;; [unrolled: 1-line block ×4, first 2 shown]
	s_waitcnt vmcnt(0)
	ds_write_b128 v1, v[49:52]
.LBB21_129:
	s_or_b32 exec_lo, exec_lo, s4
	s_waitcnt lgkmcnt(0)
	s_waitcnt_vscnt null, 0x0
	s_barrier
	buffer_gl0_inv
	s_clause 0x33
	buffer_load_dword v3, off, s[0:3], 0 offset:168
	buffer_load_dword v4, off, s[0:3], 0 offset:172
	;; [unrolled: 1-line block ×52, first 2 shown]
	v_mov_b32_e32 v2, 0
	ds_read_b128 v[49:52], v2 offset:496
	ds_read_b128 v[53:56], v2 offset:512
	s_clause 0x3
	buffer_load_dword v113, off, s[0:3], 0 offset:144
	buffer_load_dword v114, off, s[0:3], 0 offset:148
	;; [unrolled: 1-line block ×4, first 2 shown]
	ds_read_b128 v[57:60], v2 offset:528
	s_mov_b32 s4, exec_lo
	s_waitcnt vmcnt(54) lgkmcnt(2)
	v_mul_f64 v[111:112], v[51:52], v[3:4]
	v_mul_f64 v[3:4], v[49:50], v[3:4]
	s_waitcnt vmcnt(52) lgkmcnt(1)
	v_mul_f64 v[117:118], v[55:56], v[61:62]
	v_mul_f64 v[61:62], v[53:54], v[61:62]
	s_waitcnt vmcnt(50)
	v_fma_f64 v[111:112], v[49:50], v[63:64], -v[111:112]
	v_fma_f64 v[3:4], v[51:52], v[63:64], v[3:4]
	ds_read_b128 v[49:52], v2 offset:544
	s_waitcnt vmcnt(48) lgkmcnt(1)
	v_mul_f64 v[63:64], v[57:58], v[65:66]
	v_mul_f64 v[65:66], v[59:60], v[65:66]
	s_waitcnt vmcnt(46)
	v_fma_f64 v[117:118], v[53:54], v[67:68], -v[117:118]
	v_fma_f64 v[61:62], v[55:56], v[67:68], v[61:62]
	ds_read_b128 v[53:56], v2 offset:560
	s_waitcnt vmcnt(42) lgkmcnt(1)
	v_mul_f64 v[67:68], v[49:50], v[69:70]
	v_add_f64 v[111:112], v[111:112], 0
	v_add_f64 v[3:4], v[3:4], 0
	v_mul_f64 v[69:70], v[51:52], v[69:70]
	s_waitcnt vmcnt(40)
	v_fma_f64 v[65:66], v[57:58], v[75:76], -v[65:66]
	v_fma_f64 v[63:64], v[59:60], v[75:76], v[63:64]
	ds_read_b128 v[57:60], v2 offset:576
	s_waitcnt vmcnt(37)
	v_fma_f64 v[67:68], v[51:52], v[77:78], v[67:68]
	v_add_f64 v[111:112], v[111:112], v[117:118]
	v_add_f64 v[3:4], v[3:4], v[61:62]
	s_waitcnt lgkmcnt(1)
	v_mul_f64 v[61:62], v[53:54], v[71:72]
	v_mul_f64 v[71:72], v[55:56], v[71:72]
	v_fma_f64 v[69:70], v[49:50], v[77:78], -v[69:70]
	s_waitcnt vmcnt(33) lgkmcnt(0)
	v_mul_f64 v[75:76], v[59:60], v[79:80]
	ds_read_b128 v[49:52], v2 offset:592
	v_add_f64 v[65:66], v[111:112], v[65:66]
	v_add_f64 v[3:4], v[3:4], v[63:64]
	v_mul_f64 v[63:64], v[57:58], v[79:80]
	s_waitcnt vmcnt(32)
	v_fma_f64 v[71:72], v[53:54], v[73:74], -v[71:72]
	v_fma_f64 v[61:62], v[55:56], v[73:74], v[61:62]
	ds_read_b128 v[53:56], v2 offset:608
	s_waitcnt vmcnt(29)
	v_fma_f64 v[73:74], v[57:58], v[85:86], -v[75:76]
	v_add_f64 v[65:66], v[65:66], v[69:70]
	v_add_f64 v[3:4], v[3:4], v[67:68]
	s_waitcnt lgkmcnt(1)
	v_mul_f64 v[69:70], v[51:52], v[81:82]
	v_mul_f64 v[67:68], v[49:50], v[81:82]
	v_fma_f64 v[63:64], v[59:60], v[85:86], v[63:64]
	ds_read_b128 v[57:60], v2 offset:624
	v_add_f64 v[65:66], v[65:66], v[71:72]
	v_add_f64 v[3:4], v[3:4], v[61:62]
	s_waitcnt vmcnt(25) lgkmcnt(1)
	v_mul_f64 v[71:72], v[55:56], v[87:88]
	s_waitcnt vmcnt(24)
	v_fma_f64 v[69:70], v[49:50], v[83:84], -v[69:70]
	v_mul_f64 v[61:62], v[53:54], v[87:88]
	v_fma_f64 v[67:68], v[51:52], v[83:84], v[67:68]
	ds_read_b128 v[49:52], v2 offset:640
	v_add_f64 v[65:66], v[65:66], v[73:74]
	v_add_f64 v[3:4], v[3:4], v[63:64]
	s_waitcnt vmcnt(23) lgkmcnt(1)
	v_mul_f64 v[73:74], v[59:60], v[89:90]
	s_waitcnt vmcnt(21)
	v_fma_f64 v[71:72], v[53:54], v[93:94], -v[71:72]
	;; [unrolled: 9-line block ×5, first 2 shown]
	v_mul_f64 v[63:64], v[57:58], v[103:104]
	v_fma_f64 v[55:56], v[55:56], v[99:100], v[61:62]
	s_waitcnt vmcnt(7) lgkmcnt(0)
	v_mul_f64 v[61:62], v[49:50], v[105:106]
	v_add_f64 v[65:66], v[65:66], v[69:70]
	v_add_f64 v[3:4], v[3:4], v[67:68]
	v_mul_f64 v[67:68], v[51:52], v[105:106]
	s_waitcnt vmcnt(5)
	v_fma_f64 v[57:58], v[57:58], v[109:110], -v[73:74]
	v_fma_f64 v[59:60], v[59:60], v[109:110], v[63:64]
	s_waitcnt vmcnt(4)
	v_fma_f64 v[51:52], v[51:52], v[107:108], v[61:62]
	v_add_f64 v[53:54], v[65:66], v[53:54]
	v_add_f64 v[3:4], v[3:4], v[55:56]
	v_fma_f64 v[49:50], v[49:50], v[107:108], -v[67:68]
	v_add_f64 v[53:54], v[53:54], v[57:58]
	v_add_f64 v[3:4], v[3:4], v[59:60]
	;; [unrolled: 1-line block ×4, first 2 shown]
	s_waitcnt vmcnt(2)
	v_add_f64 v[49:50], v[113:114], -v[49:50]
	s_waitcnt vmcnt(0)
	v_add_f64 v[3:4], v[115:116], -v[3:4]
	buffer_store_dword v50, off, s[0:3], 0 offset:148
	buffer_store_dword v49, off, s[0:3], 0 offset:144
	;; [unrolled: 1-line block ×4, first 2 shown]
	v_cmpx_lt_u32_e32 7, v0
	s_cbranch_execz .LBB21_131
; %bb.130:
	v_mov_b32_e32 v3, s26
	s_clause 0x3
	buffer_load_dword v49, v3, s[0:3], 0 offen
	buffer_load_dword v50, v3, s[0:3], 0 offen offset:4
	buffer_load_dword v51, v3, s[0:3], 0 offen offset:8
	;; [unrolled: 1-line block ×3, first 2 shown]
	buffer_store_dword v2, off, s[0:3], 0 offset:128
	buffer_store_dword v2, off, s[0:3], 0 offset:132
	;; [unrolled: 1-line block ×4, first 2 shown]
	s_waitcnt vmcnt(0)
	ds_write_b128 v1, v[49:52]
.LBB21_131:
	s_or_b32 exec_lo, exec_lo, s4
	s_waitcnt lgkmcnt(0)
	s_waitcnt_vscnt null, 0x0
	s_barrier
	buffer_gl0_inv
	s_clause 0x35
	buffer_load_dword v3, off, s[0:3], 0 offset:152
	buffer_load_dword v4, off, s[0:3], 0 offset:156
	;; [unrolled: 1-line block ×54, first 2 shown]
	ds_read_b128 v[49:52], v2 offset:480
	s_clause 0x1
	buffer_load_dword v114, off, s[0:3], 0 offset:356
	buffer_load_dword v113, off, s[0:3], 0 offset:352
	ds_read_b128 v[53:56], v2 offset:496
	ds_read_b128 v[57:60], v2 offset:512
	s_mov_b32 s4, exec_lo
	s_waitcnt vmcnt(54) lgkmcnt(2)
	v_mul_f64 v[115:116], v[51:52], v[3:4]
	v_mul_f64 v[3:4], v[49:50], v[3:4]
	s_waitcnt vmcnt(52) lgkmcnt(1)
	v_mul_f64 v[117:118], v[55:56], v[61:62]
	v_mul_f64 v[61:62], v[53:54], v[61:62]
	;; [unrolled: 3-line block ×3, first 2 shown]
	v_fma_f64 v[115:116], v[49:50], v[63:64], -v[115:116]
	v_fma_f64 v[3:4], v[51:52], v[63:64], v[3:4]
	s_clause 0x3
	buffer_load_dword v63, off, s[0:3], 0 offset:128
	buffer_load_dword v64, off, s[0:3], 0 offset:132
	buffer_load_dword v119, off, s[0:3], 0 offset:136
	buffer_load_dword v120, off, s[0:3], 0 offset:140
	s_waitcnt vmcnt(50)
	v_fma_f64 v[117:118], v[53:54], v[67:68], -v[117:118]
	ds_read_b128 v[49:52], v2 offset:528
	v_fma_f64 v[61:62], v[55:56], v[67:68], v[61:62]
	ds_read_b128 v[53:56], v2 offset:544
	s_waitcnt vmcnt(44)
	v_fma_f64 v[65:66], v[57:58], v[75:76], -v[65:66]
	v_fma_f64 v[75:76], v[59:60], v[75:76], v[121:122]
	ds_read_b128 v[57:60], v2 offset:560
	v_add_f64 v[115:116], v[115:116], 0
	v_add_f64 v[3:4], v[3:4], 0
	s_waitcnt lgkmcnt(2)
	v_mul_f64 v[67:68], v[49:50], v[69:70]
	v_mul_f64 v[69:70], v[51:52], v[69:70]
	v_add_f64 v[115:116], v[115:116], v[117:118]
	v_add_f64 v[3:4], v[3:4], v[61:62]
	s_waitcnt vmcnt(43) lgkmcnt(1)
	v_mul_f64 v[61:62], v[53:54], v[71:72]
	v_mul_f64 v[71:72], v[55:56], v[71:72]
	s_waitcnt vmcnt(41)
	v_fma_f64 v[69:70], v[49:50], v[77:78], -v[69:70]
	v_fma_f64 v[67:68], v[51:52], v[77:78], v[67:68]
	ds_read_b128 v[49:52], v2 offset:576
	s_waitcnt vmcnt(37) lgkmcnt(1)
	v_mul_f64 v[77:78], v[59:60], v[79:80]
	v_add_f64 v[65:66], v[115:116], v[65:66]
	v_add_f64 v[3:4], v[3:4], v[75:76]
	v_mul_f64 v[75:76], v[57:58], v[79:80]
	s_waitcnt vmcnt(36)
	v_fma_f64 v[71:72], v[53:54], v[73:74], -v[71:72]
	v_fma_f64 v[61:62], v[55:56], v[73:74], v[61:62]
	ds_read_b128 v[53:56], v2 offset:592
	s_waitcnt vmcnt(33)
	v_fma_f64 v[73:74], v[57:58], v[85:86], -v[77:78]
	v_add_f64 v[65:66], v[65:66], v[69:70]
	v_add_f64 v[3:4], v[3:4], v[67:68]
	s_waitcnt lgkmcnt(1)
	v_mul_f64 v[69:70], v[51:52], v[81:82]
	v_mul_f64 v[67:68], v[49:50], v[81:82]
	v_add_f64 v[65:66], v[65:66], v[71:72]
	v_fma_f64 v[71:72], v[59:60], v[85:86], v[75:76]
	v_add_f64 v[3:4], v[3:4], v[61:62]
	ds_read_b128 v[57:60], v2 offset:608
	s_waitcnt vmcnt(29) lgkmcnt(1)
	v_mul_f64 v[75:76], v[55:56], v[87:88]
	s_waitcnt vmcnt(28)
	v_fma_f64 v[69:70], v[49:50], v[83:84], -v[69:70]
	v_mul_f64 v[61:62], v[53:54], v[87:88]
	v_fma_f64 v[67:68], v[51:52], v[83:84], v[67:68]
	ds_read_b128 v[49:52], v2 offset:624
	v_add_f64 v[65:66], v[65:66], v[73:74]
	s_waitcnt vmcnt(27) lgkmcnt(1)
	v_mul_f64 v[73:74], v[59:60], v[89:90]
	v_add_f64 v[3:4], v[3:4], v[71:72]
	v_mul_f64 v[71:72], v[57:58], v[89:90]
	s_waitcnt vmcnt(25)
	v_fma_f64 v[75:76], v[53:54], v[93:94], -v[75:76]
	v_fma_f64 v[61:62], v[55:56], v[93:94], v[61:62]
	ds_read_b128 v[53:56], v2 offset:640
	v_add_f64 v[65:66], v[65:66], v[69:70]
	s_waitcnt vmcnt(21) lgkmcnt(1)
	v_mul_f64 v[69:70], v[51:52], v[95:96]
	v_add_f64 v[3:4], v[3:4], v[67:68]
	s_waitcnt vmcnt(20)
	v_fma_f64 v[73:74], v[57:58], v[91:92], -v[73:74]
	v_mul_f64 v[67:68], v[49:50], v[95:96]
	v_fma_f64 v[71:72], v[59:60], v[91:92], v[71:72]
	ds_read_b128 v[57:60], v2 offset:656
	v_add_f64 v[65:66], v[65:66], v[75:76]
	s_waitcnt vmcnt(19) lgkmcnt(1)
	v_mul_f64 v[75:76], v[55:56], v[97:98]
	v_add_f64 v[3:4], v[3:4], v[61:62]
	s_waitcnt vmcnt(17)
	v_fma_f64 v[69:70], v[49:50], v[101:102], -v[69:70]
	v_mul_f64 v[61:62], v[53:54], v[97:98]
	;; [unrolled: 9-line block ×4, first 2 shown]
	v_fma_f64 v[59:60], v[59:60], v[109:110], v[71:72]
	s_waitcnt vmcnt(7) lgkmcnt(0)
	v_mul_f64 v[71:72], v[55:56], v[111:112]
	v_add_f64 v[65:66], v[65:66], v[75:76]
	s_waitcnt vmcnt(6)
	v_fma_f64 v[49:50], v[49:50], v[107:108], -v[69:70]
	v_add_f64 v[2:3], v[3:4], v[61:62]
	v_mul_f64 v[61:62], v[53:54], v[111:112]
	v_fma_f64 v[51:52], v[51:52], v[107:108], v[67:68]
	s_waitcnt vmcnt(4)
	v_fma_f64 v[53:54], v[53:54], v[113:114], -v[71:72]
	v_add_f64 v[57:58], v[65:66], v[57:58]
	v_add_f64 v[2:3], v[2:3], v[59:60]
	v_fma_f64 v[55:56], v[55:56], v[113:114], v[61:62]
	v_add_f64 v[49:50], v[57:58], v[49:50]
	v_add_f64 v[2:3], v[2:3], v[51:52]
	;; [unrolled: 1-line block ×4, first 2 shown]
	s_waitcnt vmcnt(2)
	v_add_f64 v[49:50], v[63:64], -v[49:50]
	s_waitcnt vmcnt(0)
	v_add_f64 v[2:3], v[119:120], -v[2:3]
	buffer_store_dword v50, off, s[0:3], 0 offset:132
	buffer_store_dword v49, off, s[0:3], 0 offset:128
	;; [unrolled: 1-line block ×4, first 2 shown]
	v_cmpx_lt_u32_e32 6, v0
	s_cbranch_execz .LBB21_133
; %bb.132:
	v_mov_b32_e32 v2, s27
	s_clause 0x3
	buffer_load_dword v49, v2, s[0:3], 0 offen
	buffer_load_dword v50, v2, s[0:3], 0 offen offset:4
	buffer_load_dword v51, v2, s[0:3], 0 offen offset:8
	;; [unrolled: 1-line block ×3, first 2 shown]
	v_mov_b32_e32 v2, 0
	buffer_store_dword v2, off, s[0:3], 0 offset:112
	buffer_store_dword v2, off, s[0:3], 0 offset:116
	;; [unrolled: 1-line block ×4, first 2 shown]
	s_waitcnt vmcnt(0)
	ds_write_b128 v1, v[49:52]
.LBB21_133:
	s_or_b32 exec_lo, exec_lo, s4
	s_waitcnt lgkmcnt(0)
	s_waitcnt_vscnt null, 0x0
	s_barrier
	buffer_gl0_inv
	s_clause 0x35
	buffer_load_dword v3, off, s[0:3], 0 offset:136
	buffer_load_dword v4, off, s[0:3], 0 offset:140
	;; [unrolled: 1-line block ×54, first 2 shown]
	v_mov_b32_e32 v2, 0
	s_mov_b32 s4, exec_lo
	ds_read_b128 v[49:52], v2 offset:464
	s_clause 0x3
	buffer_load_dword v113, off, s[0:3], 0 offset:360
	buffer_load_dword v114, off, s[0:3], 0 offset:364
	;; [unrolled: 1-line block ×4, first 2 shown]
	ds_read_b128 v[53:56], v2 offset:480
	s_clause 0x1
	buffer_load_dword v119, off, s[0:3], 0 offset:352
	buffer_load_dword v120, off, s[0:3], 0 offset:356
	ds_read_b128 v[57:60], v2 offset:496
	s_waitcnt vmcnt(58) lgkmcnt(2)
	v_mul_f64 v[117:118], v[51:52], v[3:4]
	v_mul_f64 v[3:4], v[49:50], v[3:4]
	s_waitcnt vmcnt(56) lgkmcnt(1)
	v_mul_f64 v[121:122], v[55:56], v[61:62]
	v_mul_f64 v[61:62], v[53:54], v[61:62]
	s_waitcnt vmcnt(54)
	v_fma_f64 v[117:118], v[49:50], v[63:64], -v[117:118]
	v_fma_f64 v[3:4], v[51:52], v[63:64], v[3:4]
	ds_read_b128 v[49:52], v2 offset:512
	s_waitcnt vmcnt(52) lgkmcnt(1)
	v_mul_f64 v[63:64], v[57:58], v[65:66]
	v_mul_f64 v[65:66], v[59:60], v[65:66]
	s_waitcnt vmcnt(50)
	v_fma_f64 v[121:122], v[53:54], v[67:68], -v[121:122]
	v_fma_f64 v[61:62], v[55:56], v[67:68], v[61:62]
	s_clause 0x3
	buffer_load_dword v67, off, s[0:3], 0 offset:112
	buffer_load_dword v68, off, s[0:3], 0 offset:116
	;; [unrolled: 1-line block ×4, first 2 shown]
	ds_read_b128 v[53:56], v2 offset:528
	s_waitcnt vmcnt(52) lgkmcnt(1)
	v_mul_f64 v[125:126], v[49:50], v[69:70]
	v_add_f64 v[117:118], v[117:118], 0
	v_add_f64 v[3:4], v[3:4], 0
	v_mul_f64 v[69:70], v[51:52], v[69:70]
	s_waitcnt vmcnt(50)
	v_fma_f64 v[65:66], v[57:58], v[71:72], -v[65:66]
	v_fma_f64 v[63:64], v[59:60], v[71:72], v[63:64]
	ds_read_b128 v[57:60], v2 offset:544
	s_waitcnt vmcnt(48) lgkmcnt(1)
	v_mul_f64 v[71:72], v[55:56], v[73:74]
	v_add_f64 v[117:118], v[117:118], v[121:122]
	v_add_f64 v[3:4], v[3:4], v[61:62]
	s_waitcnt vmcnt(46)
	v_fma_f64 v[69:70], v[49:50], v[75:76], -v[69:70]
	v_mul_f64 v[61:62], v[53:54], v[73:74]
	v_fma_f64 v[73:74], v[51:52], v[75:76], v[125:126]
	s_waitcnt vmcnt(44) lgkmcnt(0)
	v_mul_f64 v[75:76], v[59:60], v[77:78]
	s_waitcnt vmcnt(42)
	v_fma_f64 v[71:72], v[53:54], v[79:80], -v[71:72]
	ds_read_b128 v[49:52], v2 offset:560
	v_add_f64 v[65:66], v[117:118], v[65:66]
	v_add_f64 v[3:4], v[3:4], v[63:64]
	v_mul_f64 v[63:64], v[57:58], v[77:78]
	v_fma_f64 v[61:62], v[55:56], v[79:80], v[61:62]
	ds_read_b128 v[53:56], v2 offset:576
	s_waitcnt vmcnt(38)
	v_fma_f64 v[75:76], v[57:58], v[83:84], -v[75:76]
	v_add_f64 v[65:66], v[65:66], v[69:70]
	v_add_f64 v[3:4], v[3:4], v[73:74]
	s_waitcnt lgkmcnt(1)
	v_mul_f64 v[73:74], v[51:52], v[81:82]
	v_mul_f64 v[69:70], v[49:50], v[81:82]
	v_fma_f64 v[63:64], v[59:60], v[83:84], v[63:64]
	ds_read_b128 v[57:60], v2 offset:592
	v_add_f64 v[65:66], v[65:66], v[71:72]
	v_add_f64 v[3:4], v[3:4], v[61:62]
	s_waitcnt vmcnt(36) lgkmcnt(1)
	v_mul_f64 v[71:72], v[55:56], v[85:86]
	s_waitcnt vmcnt(34)
	v_fma_f64 v[73:74], v[49:50], v[87:88], -v[73:74]
	v_mul_f64 v[61:62], v[53:54], v[85:86]
	v_fma_f64 v[69:70], v[51:52], v[87:88], v[69:70]
	ds_read_b128 v[49:52], v2 offset:608
	v_add_f64 v[65:66], v[65:66], v[75:76]
	v_add_f64 v[3:4], v[3:4], v[63:64]
	s_waitcnt vmcnt(32) lgkmcnt(1)
	v_mul_f64 v[75:76], v[59:60], v[89:90]
	s_waitcnt vmcnt(30)
	v_fma_f64 v[71:72], v[53:54], v[91:92], -v[71:72]
	;; [unrolled: 9-line block ×7, first 2 shown]
	v_mul_f64 v[61:62], v[53:54], v[109:110]
	v_fma_f64 v[51:52], v[51:52], v[111:112], v[69:70]
	s_waitcnt vmcnt(8) lgkmcnt(0)
	v_mul_f64 v[69:70], v[59:60], v[113:114]
	v_add_f64 v[65:66], v[65:66], v[75:76]
	v_add_f64 v[3:4], v[3:4], v[63:64]
	s_waitcnt vmcnt(6)
	v_fma_f64 v[53:54], v[53:54], v[115:116], -v[71:72]
	v_mul_f64 v[63:64], v[57:58], v[113:114]
	v_fma_f64 v[55:56], v[55:56], v[115:116], v[61:62]
	v_add_f64 v[49:50], v[65:66], v[49:50]
	v_add_f64 v[3:4], v[3:4], v[51:52]
	s_waitcnt vmcnt(4)
	v_fma_f64 v[51:52], v[57:58], v[119:120], -v[69:70]
	v_add_f64 v[49:50], v[49:50], v[53:54]
	v_fma_f64 v[53:54], v[59:60], v[119:120], v[63:64]
	v_add_f64 v[3:4], v[3:4], v[55:56]
	v_add_f64 v[49:50], v[49:50], v[51:52]
	v_add_f64 v[3:4], v[3:4], v[53:54]
	s_waitcnt vmcnt(2)
	v_add_f64 v[49:50], v[67:68], -v[49:50]
	s_waitcnt vmcnt(0)
	v_add_f64 v[3:4], v[123:124], -v[3:4]
	buffer_store_dword v50, off, s[0:3], 0 offset:116
	buffer_store_dword v49, off, s[0:3], 0 offset:112
	;; [unrolled: 1-line block ×4, first 2 shown]
	v_cmpx_lt_u32_e32 5, v0
	s_cbranch_execz .LBB21_135
; %bb.134:
	v_mov_b32_e32 v3, s28
	s_clause 0x3
	buffer_load_dword v49, v3, s[0:3], 0 offen
	buffer_load_dword v50, v3, s[0:3], 0 offen offset:4
	buffer_load_dword v51, v3, s[0:3], 0 offen offset:8
	buffer_load_dword v52, v3, s[0:3], 0 offen offset:12
	buffer_store_dword v2, off, s[0:3], 0 offset:96
	buffer_store_dword v2, off, s[0:3], 0 offset:100
	;; [unrolled: 1-line block ×4, first 2 shown]
	s_waitcnt vmcnt(0)
	ds_write_b128 v1, v[49:52]
.LBB21_135:
	s_or_b32 exec_lo, exec_lo, s4
	s_waitcnt lgkmcnt(0)
	s_waitcnt_vscnt null, 0x0
	s_barrier
	buffer_gl0_inv
	s_clause 0x37
	buffer_load_dword v3, off, s[0:3], 0 offset:120
	buffer_load_dword v4, off, s[0:3], 0 offset:124
	;; [unrolled: 1-line block ×56, first 2 shown]
	ds_read_b128 v[49:52], v2 offset:448
	s_clause 0x2
	buffer_load_dword v114, off, s[0:3], 0 offset:348
	buffer_load_dword v118, off, s[0:3], 0 offset:324
	;; [unrolled: 1-line block ×3, first 2 shown]
	ds_read_b128 v[53:56], v2 offset:464
	s_clause 0x2
	buffer_load_dword v122, off, s[0:3], 0 offset:364
	buffer_load_dword v121, off, s[0:3], 0 offset:360
	;; [unrolled: 1-line block ×3, first 2 shown]
	ds_read_b128 v[57:60], v2 offset:480
	s_mov_b32 s4, exec_lo
	s_waitcnt vmcnt(60) lgkmcnt(2)
	v_mul_f64 v[119:120], v[51:52], v[3:4]
	v_mul_f64 v[3:4], v[49:50], v[3:4]
	s_waitcnt vmcnt(58) lgkmcnt(1)
	v_mul_f64 v[123:124], v[55:56], v[61:62]
	v_mul_f64 v[61:62], v[53:54], v[61:62]
	;; [unrolled: 3-line block ×3, first 2 shown]
	v_fma_f64 v[119:120], v[49:50], v[63:64], -v[119:120]
	v_fma_f64 v[3:4], v[51:52], v[63:64], v[3:4]
	s_clause 0x1
	buffer_load_dword v64, off, s[0:3], 0 offset:356
	buffer_load_dword v63, off, s[0:3], 0 offset:352
	s_waitcnt vmcnt(54)
	v_fma_f64 v[123:124], v[53:54], v[67:68], -v[123:124]
	ds_read_b128 v[49:52], v2 offset:496
	v_fma_f64 v[61:62], v[55:56], v[67:68], v[61:62]
	ds_read_b128 v[53:56], v2 offset:512
	s_waitcnt vmcnt(48)
	v_fma_f64 v[65:66], v[57:58], v[75:76], -v[65:66]
	v_fma_f64 v[75:76], v[59:60], v[75:76], v[125:126]
	v_add_f64 v[119:120], v[119:120], 0
	v_add_f64 v[3:4], v[3:4], 0
	s_waitcnt lgkmcnt(1)
	v_mul_f64 v[67:68], v[49:50], v[69:70]
	v_mul_f64 v[69:70], v[51:52], v[69:70]
	s_waitcnt vmcnt(47) lgkmcnt(0)
	v_mul_f64 v[125:126], v[53:54], v[71:72]
	v_mul_f64 v[71:72], v[55:56], v[71:72]
	v_add_f64 v[119:120], v[119:120], v[123:124]
	v_add_f64 v[3:4], v[3:4], v[61:62]
	s_clause 0x3
	buffer_load_dword v61, off, s[0:3], 0 offset:96
	buffer_load_dword v62, off, s[0:3], 0 offset:100
	;; [unrolled: 1-line block ×4, first 2 shown]
	s_waitcnt vmcnt(49)
	v_fma_f64 v[69:70], v[49:50], v[77:78], -v[69:70]
	ds_read_b128 v[57:60], v2 offset:528
	v_fma_f64 v[67:68], v[51:52], v[77:78], v[67:68]
	ds_read_b128 v[49:52], v2 offset:544
	s_waitcnt vmcnt(44)
	v_fma_f64 v[71:72], v[53:54], v[73:74], -v[71:72]
	v_add_f64 v[65:66], v[119:120], v[65:66]
	v_add_f64 v[3:4], v[3:4], v[75:76]
	s_waitcnt lgkmcnt(1)
	v_mul_f64 v[77:78], v[59:60], v[79:80]
	v_mul_f64 v[75:76], v[57:58], v[79:80]
	v_add_f64 v[65:66], v[65:66], v[69:70]
	v_fma_f64 v[69:70], v[55:56], v[73:74], v[125:126]
	v_add_f64 v[3:4], v[3:4], v[67:68]
	s_waitcnt vmcnt(43) lgkmcnt(0)
	v_mul_f64 v[73:74], v[51:52], v[81:82]
	s_waitcnt vmcnt(41)
	v_fma_f64 v[77:78], v[57:58], v[85:86], -v[77:78]
	ds_read_b128 v[53:56], v2 offset:560
	v_mul_f64 v[67:68], v[49:50], v[81:82]
	v_add_f64 v[65:66], v[65:66], v[71:72]
	v_fma_f64 v[71:72], v[59:60], v[85:86], v[75:76]
	v_add_f64 v[3:4], v[3:4], v[69:70]
	ds_read_b128 v[57:60], v2 offset:576
	s_waitcnt vmcnt(37) lgkmcnt(1)
	v_mul_f64 v[75:76], v[55:56], v[87:88]
	s_waitcnt vmcnt(36)
	v_fma_f64 v[73:74], v[49:50], v[83:84], -v[73:74]
	v_mul_f64 v[69:70], v[53:54], v[87:88]
	v_fma_f64 v[67:68], v[51:52], v[83:84], v[67:68]
	ds_read_b128 v[49:52], v2 offset:592
	v_add_f64 v[65:66], v[65:66], v[77:78]
	s_waitcnt vmcnt(35) lgkmcnt(1)
	v_mul_f64 v[77:78], v[59:60], v[89:90]
	v_add_f64 v[3:4], v[3:4], v[71:72]
	v_mul_f64 v[71:72], v[57:58], v[89:90]
	s_waitcnt vmcnt(33)
	v_fma_f64 v[75:76], v[53:54], v[93:94], -v[75:76]
	v_fma_f64 v[69:70], v[55:56], v[93:94], v[69:70]
	ds_read_b128 v[53:56], v2 offset:608
	v_add_f64 v[65:66], v[65:66], v[73:74]
	s_waitcnt vmcnt(29) lgkmcnt(1)
	v_mul_f64 v[73:74], v[51:52], v[95:96]
	v_add_f64 v[3:4], v[3:4], v[67:68]
	s_waitcnt vmcnt(28)
	v_fma_f64 v[77:78], v[57:58], v[91:92], -v[77:78]
	v_mul_f64 v[67:68], v[49:50], v[95:96]
	v_fma_f64 v[71:72], v[59:60], v[91:92], v[71:72]
	ds_read_b128 v[57:60], v2 offset:624
	v_add_f64 v[65:66], v[65:66], v[75:76]
	s_waitcnt vmcnt(27) lgkmcnt(1)
	v_mul_f64 v[75:76], v[55:56], v[97:98]
	v_add_f64 v[3:4], v[3:4], v[69:70]
	s_waitcnt vmcnt(25)
	v_fma_f64 v[73:74], v[49:50], v[101:102], -v[73:74]
	v_mul_f64 v[69:70], v[53:54], v[97:98]
	;; [unrolled: 9-line block ×6, first 2 shown]
	v_fma_f64 v[55:56], v[55:56], v[117:118], v[69:70]
	s_waitcnt vmcnt(7) lgkmcnt(0)
	v_mul_f64 v[69:70], v[51:52], v[121:122]
	v_add_f64 v[65:66], v[65:66], v[73:74]
	s_waitcnt vmcnt(6)
	v_fma_f64 v[57:58], v[57:58], v[115:116], -v[77:78]
	v_add_f64 v[2:3], v[3:4], v[67:68]
	v_mul_f64 v[67:68], v[49:50], v[121:122]
	v_fma_f64 v[59:60], v[59:60], v[115:116], v[71:72]
	v_add_f64 v[53:54], v[65:66], v[53:54]
	v_add_f64 v[2:3], v[2:3], v[55:56]
	s_waitcnt vmcnt(4)
	v_fma_f64 v[49:50], v[49:50], v[63:64], -v[69:70]
	v_fma_f64 v[51:52], v[51:52], v[63:64], v[67:68]
	v_add_f64 v[53:54], v[53:54], v[57:58]
	v_add_f64 v[2:3], v[2:3], v[59:60]
	;; [unrolled: 1-line block ×4, first 2 shown]
	s_waitcnt vmcnt(2)
	v_add_f64 v[49:50], v[61:62], -v[49:50]
	s_waitcnt vmcnt(0)
	v_add_f64 v[2:3], v[123:124], -v[2:3]
	buffer_store_dword v50, off, s[0:3], 0 offset:100
	buffer_store_dword v49, off, s[0:3], 0 offset:96
	;; [unrolled: 1-line block ×4, first 2 shown]
	v_cmpx_lt_u32_e32 4, v0
	s_cbranch_execz .LBB21_137
; %bb.136:
	v_mov_b32_e32 v2, s29
	s_clause 0x3
	buffer_load_dword v49, v2, s[0:3], 0 offen
	buffer_load_dword v50, v2, s[0:3], 0 offen offset:4
	buffer_load_dword v51, v2, s[0:3], 0 offen offset:8
	buffer_load_dword v52, v2, s[0:3], 0 offen offset:12
	v_mov_b32_e32 v2, 0
	buffer_store_dword v2, off, s[0:3], 0 offset:80
	buffer_store_dword v2, off, s[0:3], 0 offset:84
	buffer_store_dword v2, off, s[0:3], 0 offset:88
	buffer_store_dword v2, off, s[0:3], 0 offset:92
	s_waitcnt vmcnt(0)
	ds_write_b128 v1, v[49:52]
.LBB21_137:
	s_or_b32 exec_lo, exec_lo, s4
	s_waitcnt lgkmcnt(0)
	s_waitcnt_vscnt null, 0x0
	s_barrier
	buffer_gl0_inv
	s_clause 0x37
	buffer_load_dword v3, off, s[0:3], 0 offset:104
	buffer_load_dword v4, off, s[0:3], 0 offset:108
	;; [unrolled: 1-line block ×56, first 2 shown]
	v_mov_b32_e32 v2, 0
	s_mov_b32 s4, exec_lo
	ds_read_b128 v[49:52], v2 offset:432
	s_clause 0x2
	buffer_load_dword v114, off, s[0:3], 0 offset:332
	buffer_load_dword v118, off, s[0:3], 0 offset:308
	;; [unrolled: 1-line block ×3, first 2 shown]
	ds_read_b128 v[53:56], v2 offset:448
	s_clause 0x4
	buffer_load_dword v122, off, s[0:3], 0 offset:348
	buffer_load_dword v123, off, s[0:3], 0 offset:360
	;; [unrolled: 1-line block ×5, first 2 shown]
	ds_read_b128 v[57:60], v2 offset:464
	s_waitcnt vmcnt(62) lgkmcnt(2)
	v_mul_f64 v[119:120], v[51:52], v[3:4]
	v_mul_f64 v[3:4], v[49:50], v[3:4]
	s_waitcnt vmcnt(60) lgkmcnt(1)
	v_mul_f64 v[126:127], v[55:56], v[61:62]
	v_mul_f64 v[61:62], v[53:54], v[61:62]
	;; [unrolled: 3-line block ×3, first 2 shown]
	v_fma_f64 v[119:120], v[49:50], v[63:64], -v[119:120]
	v_fma_f64 v[3:4], v[51:52], v[63:64], v[3:4]
	s_clause 0x2
	buffer_load_dword v124, off, s[0:3], 0 offset:364
	buffer_load_dword v64, off, s[0:3], 0 offset:340
	;; [unrolled: 1-line block ×3, first 2 shown]
	s_waitcnt vmcnt(57)
	v_fma_f64 v[130:131], v[53:54], v[67:68], -v[126:127]
	ds_read_b128 v[49:52], v2 offset:480
	v_fma_f64 v[61:62], v[55:56], v[67:68], v[61:62]
	buffer_load_dword v126, off, s[0:3], 0 offset:356
	ds_read_b128 v[53:56], v2 offset:496
	s_waitcnt vmcnt(52)
	v_fma_f64 v[65:66], v[57:58], v[75:76], -v[65:66]
	v_fma_f64 v[75:76], v[59:60], v[75:76], v[128:129]
	ds_read_b128 v[57:60], v2 offset:512
	v_add_f64 v[119:120], v[119:120], 0
	v_add_f64 v[3:4], v[3:4], 0
	s_waitcnt lgkmcnt(2)
	v_mul_f64 v[67:68], v[49:50], v[69:70]
	v_mul_f64 v[69:70], v[51:52], v[69:70]
	v_add_f64 v[119:120], v[119:120], v[130:131]
	v_add_f64 v[3:4], v[3:4], v[61:62]
	s_waitcnt vmcnt(51) lgkmcnt(1)
	v_mul_f64 v[61:62], v[53:54], v[71:72]
	v_mul_f64 v[71:72], v[55:56], v[71:72]
	s_waitcnt vmcnt(49)
	v_fma_f64 v[69:70], v[49:50], v[77:78], -v[69:70]
	v_fma_f64 v[67:68], v[51:52], v[77:78], v[67:68]
	v_add_f64 v[65:66], v[119:120], v[65:66]
	v_add_f64 v[3:4], v[3:4], v[75:76]
	s_clause 0x3
	buffer_load_dword v75, off, s[0:3], 0 offset:80
	buffer_load_dword v76, off, s[0:3], 0 offset:84
	;; [unrolled: 1-line block ×4, first 2 shown]
	s_waitcnt vmcnt(49) lgkmcnt(0)
	v_mul_f64 v[119:120], v[57:58], v[79:80]
	v_mul_f64 v[79:80], v[59:60], v[79:80]
	s_waitcnt vmcnt(48)
	v_fma_f64 v[71:72], v[53:54], v[73:74], -v[71:72]
	ds_read_b128 v[49:52], v2 offset:528
	v_fma_f64 v[61:62], v[55:56], v[73:74], v[61:62]
	ds_read_b128 v[53:56], v2 offset:544
	v_add_f64 v[65:66], v[65:66], v[69:70]
	v_add_f64 v[3:4], v[3:4], v[67:68]
	s_waitcnt vmcnt(47) lgkmcnt(1)
	v_mul_f64 v[69:70], v[51:52], v[81:82]
	s_waitcnt vmcnt(45)
	v_fma_f64 v[73:74], v[57:58], v[85:86], -v[79:80]
	v_mul_f64 v[67:68], v[49:50], v[81:82]
	s_waitcnt vmcnt(41) lgkmcnt(0)
	v_mul_f64 v[79:80], v[55:56], v[87:88]
	v_add_f64 v[65:66], v[65:66], v[71:72]
	v_fma_f64 v[71:72], v[59:60], v[85:86], v[119:120]
	v_add_f64 v[3:4], v[3:4], v[61:62]
	ds_read_b128 v[57:60], v2 offset:560
	s_waitcnt vmcnt(40)
	v_fma_f64 v[69:70], v[49:50], v[83:84], -v[69:70]
	v_mul_f64 v[61:62], v[53:54], v[87:88]
	v_fma_f64 v[67:68], v[51:52], v[83:84], v[67:68]
	ds_read_b128 v[49:52], v2 offset:576
	s_waitcnt vmcnt(37)
	v_fma_f64 v[79:80], v[53:54], v[93:94], -v[79:80]
	v_add_f64 v[65:66], v[65:66], v[73:74]
	s_waitcnt lgkmcnt(1)
	v_mul_f64 v[73:74], v[59:60], v[89:90]
	v_add_f64 v[3:4], v[3:4], v[71:72]
	v_mul_f64 v[71:72], v[57:58], v[89:90]
	v_fma_f64 v[61:62], v[55:56], v[93:94], v[61:62]
	ds_read_b128 v[53:56], v2 offset:592
	v_add_f64 v[65:66], v[65:66], v[69:70]
	s_waitcnt vmcnt(33) lgkmcnt(1)
	v_mul_f64 v[69:70], v[51:52], v[95:96]
	v_add_f64 v[3:4], v[3:4], v[67:68]
	s_waitcnt vmcnt(32)
	v_fma_f64 v[73:74], v[57:58], v[91:92], -v[73:74]
	v_mul_f64 v[67:68], v[49:50], v[95:96]
	v_fma_f64 v[71:72], v[59:60], v[91:92], v[71:72]
	ds_read_b128 v[57:60], v2 offset:608
	v_add_f64 v[65:66], v[65:66], v[79:80]
	s_waitcnt vmcnt(31) lgkmcnt(1)
	v_mul_f64 v[79:80], v[55:56], v[97:98]
	v_add_f64 v[3:4], v[3:4], v[61:62]
	s_waitcnt vmcnt(29)
	v_fma_f64 v[69:70], v[49:50], v[101:102], -v[69:70]
	;; [unrolled: 9-line block ×7, first 2 shown]
	v_mul_f64 v[67:68], v[49:50], v[121:122]
	v_fma_f64 v[59:60], v[59:60], v[115:116], v[71:72]
	v_add_f64 v[65:66], v[65:66], v[79:80]
	v_add_f64 v[3:4], v[3:4], v[61:62]
	s_waitcnt vmcnt(7) lgkmcnt(0)
	v_mul_f64 v[71:72], v[55:56], v[123:124]
	v_mul_f64 v[61:62], v[53:54], v[123:124]
	s_waitcnt vmcnt(5)
	v_fma_f64 v[49:50], v[49:50], v[63:64], -v[69:70]
	v_fma_f64 v[51:52], v[51:52], v[63:64], v[67:68]
	v_add_f64 v[57:58], v[65:66], v[57:58]
	v_add_f64 v[3:4], v[3:4], v[59:60]
	s_waitcnt vmcnt(4)
	v_fma_f64 v[53:54], v[53:54], v[125:126], -v[71:72]
	v_fma_f64 v[55:56], v[55:56], v[125:126], v[61:62]
	v_add_f64 v[49:50], v[57:58], v[49:50]
	v_add_f64 v[3:4], v[3:4], v[51:52]
	v_add_f64 v[49:50], v[49:50], v[53:54]
	v_add_f64 v[3:4], v[3:4], v[55:56]
	s_waitcnt vmcnt(2)
	v_add_f64 v[49:50], v[75:76], -v[49:50]
	s_waitcnt vmcnt(0)
	v_add_f64 v[3:4], v[77:78], -v[3:4]
	buffer_store_dword v50, off, s[0:3], 0 offset:84
	buffer_store_dword v49, off, s[0:3], 0 offset:80
	buffer_store_dword v4, off, s[0:3], 0 offset:92
	buffer_store_dword v3, off, s[0:3], 0 offset:88
	v_cmpx_lt_u32_e32 3, v0
	s_cbranch_execz .LBB21_139
; %bb.138:
	v_mov_b32_e32 v3, s30
	s_clause 0x3
	buffer_load_dword v49, v3, s[0:3], 0 offen
	buffer_load_dword v50, v3, s[0:3], 0 offen offset:4
	buffer_load_dword v51, v3, s[0:3], 0 offen offset:8
	;; [unrolled: 1-line block ×3, first 2 shown]
	buffer_store_dword v2, off, s[0:3], 0 offset:64
	buffer_store_dword v2, off, s[0:3], 0 offset:68
	;; [unrolled: 1-line block ×4, first 2 shown]
	s_waitcnt vmcnt(0)
	ds_write_b128 v1, v[49:52]
.LBB21_139:
	s_or_b32 exec_lo, exec_lo, s4
	s_waitcnt lgkmcnt(0)
	s_waitcnt_vscnt null, 0x0
	s_barrier
	buffer_gl0_inv
	s_clause 0x37
	buffer_load_dword v3, off, s[0:3], 0 offset:88
	buffer_load_dword v4, off, s[0:3], 0 offset:92
	;; [unrolled: 1-line block ×56, first 2 shown]
	ds_read_b128 v[49:52], v2 offset:416
	s_clause 0x2
	buffer_load_dword v114, off, s[0:3], 0 offset:316
	buffer_load_dword v118, off, s[0:3], 0 offset:292
	;; [unrolled: 1-line block ×3, first 2 shown]
	ds_read_b128 v[53:56], v2 offset:432
	s_clause 0x4
	buffer_load_dword v122, off, s[0:3], 0 offset:332
	buffer_load_dword v123, off, s[0:3], 0 offset:344
	;; [unrolled: 1-line block ×5, first 2 shown]
	ds_read_b128 v[57:60], v2 offset:448
	s_mov_b32 s4, exec_lo
	s_waitcnt vmcnt(62) lgkmcnt(2)
	v_mul_f64 v[119:120], v[51:52], v[3:4]
	v_mul_f64 v[3:4], v[49:50], v[3:4]
	s_waitcnt vmcnt(60) lgkmcnt(1)
	v_mul_f64 v[126:127], v[55:56], v[61:62]
	v_mul_f64 v[61:62], v[53:54], v[61:62]
	;; [unrolled: 3-line block ×3, first 2 shown]
	v_fma_f64 v[119:120], v[49:50], v[63:64], -v[119:120]
	v_fma_f64 v[3:4], v[51:52], v[63:64], v[3:4]
	s_clause 0x2
	buffer_load_dword v124, off, s[0:3], 0 offset:348
	buffer_load_dword v64, off, s[0:3], 0 offset:324
	;; [unrolled: 1-line block ×3, first 2 shown]
	s_waitcnt vmcnt(57)
	v_fma_f64 v[130:131], v[53:54], v[67:68], -v[126:127]
	ds_read_b128 v[49:52], v2 offset:464
	v_fma_f64 v[61:62], v[55:56], v[67:68], v[61:62]
	s_clause 0x2
	buffer_load_dword v68, off, s[0:3], 0 offset:364
	buffer_load_dword v67, off, s[0:3], 0 offset:360
	;; [unrolled: 1-line block ×3, first 2 shown]
	s_waitcnt vmcnt(54)
	v_fma_f64 v[65:66], v[57:58], v[75:76], -v[65:66]
	ds_read_b128 v[53:56], v2 offset:480
	v_fma_f64 v[75:76], v[59:60], v[75:76], v[128:129]
	v_add_f64 v[119:120], v[119:120], 0
	v_add_f64 v[3:4], v[3:4], 0
	s_waitcnt lgkmcnt(1)
	v_mul_f64 v[132:133], v[49:50], v[69:70]
	v_mul_f64 v[69:70], v[51:52], v[69:70]
	s_waitcnt vmcnt(53) lgkmcnt(0)
	v_mul_f64 v[127:128], v[53:54], v[71:72]
	v_mul_f64 v[71:72], v[55:56], v[71:72]
	v_add_f64 v[119:120], v[119:120], v[130:131]
	v_add_f64 v[3:4], v[3:4], v[61:62]
	s_clause 0x1
	buffer_load_dword v62, off, s[0:3], 0 offset:356
	buffer_load_dword v61, off, s[0:3], 0 offset:352
	s_waitcnt vmcnt(53)
	v_fma_f64 v[69:70], v[49:50], v[77:78], -v[69:70]
	ds_read_b128 v[57:60], v2 offset:496
	v_fma_f64 v[77:78], v[51:52], v[77:78], v[132:133]
	ds_read_b128 v[49:52], v2 offset:512
	s_waitcnt vmcnt(48)
	v_fma_f64 v[71:72], v[53:54], v[73:74], -v[71:72]
	v_add_f64 v[65:66], v[119:120], v[65:66]
	v_add_f64 v[3:4], v[3:4], v[75:76]
	s_waitcnt lgkmcnt(1)
	v_mul_f64 v[75:76], v[57:58], v[79:80]
	v_mul_f64 v[79:80], v[59:60], v[79:80]
	s_waitcnt vmcnt(47) lgkmcnt(0)
	v_mul_f64 v[119:120], v[49:50], v[81:82]
	v_mul_f64 v[81:82], v[51:52], v[81:82]
	v_add_f64 v[65:66], v[65:66], v[69:70]
	v_fma_f64 v[69:70], v[55:56], v[73:74], v[127:128]
	v_add_f64 v[3:4], v[3:4], v[77:78]
	s_clause 0x3
	buffer_load_dword v73, off, s[0:3], 0 offset:64
	buffer_load_dword v74, off, s[0:3], 0 offset:68
	;; [unrolled: 1-line block ×4, first 2 shown]
	s_waitcnt vmcnt(49)
	v_fma_f64 v[79:80], v[57:58], v[85:86], -v[79:80]
	ds_read_b128 v[53:56], v2 offset:528
	s_waitcnt vmcnt(44)
	v_fma_f64 v[81:82], v[49:50], v[83:84], -v[81:82]
	v_add_f64 v[65:66], v[65:66], v[71:72]
	v_fma_f64 v[71:72], v[59:60], v[85:86], v[75:76]
	v_add_f64 v[3:4], v[3:4], v[69:70]
	ds_read_b128 v[57:60], v2 offset:544
	s_waitcnt lgkmcnt(1)
	v_mul_f64 v[75:76], v[55:56], v[87:88]
	v_mul_f64 v[69:70], v[53:54], v[87:88]
	v_add_f64 v[65:66], v[65:66], v[79:80]
	v_fma_f64 v[79:80], v[51:52], v[83:84], v[119:120]
	v_add_f64 v[3:4], v[3:4], v[71:72]
	s_waitcnt vmcnt(43) lgkmcnt(0)
	v_mul_f64 v[83:84], v[59:60], v[89:90]
	s_waitcnt vmcnt(41)
	v_fma_f64 v[75:76], v[53:54], v[93:94], -v[75:76]
	ds_read_b128 v[49:52], v2 offset:560
	v_mul_f64 v[71:72], v[57:58], v[89:90]
	v_fma_f64 v[69:70], v[55:56], v[93:94], v[69:70]
	ds_read_b128 v[53:56], v2 offset:576
	v_add_f64 v[65:66], v[65:66], v[81:82]
	v_add_f64 v[3:4], v[3:4], v[79:80]
	s_waitcnt vmcnt(37) lgkmcnt(1)
	v_mul_f64 v[81:82], v[51:52], v[95:96]
	s_waitcnt vmcnt(36)
	v_fma_f64 v[83:84], v[57:58], v[91:92], -v[83:84]
	v_mul_f64 v[79:80], v[49:50], v[95:96]
	v_fma_f64 v[71:72], v[59:60], v[91:92], v[71:72]
	ds_read_b128 v[57:60], v2 offset:592
	v_add_f64 v[65:66], v[65:66], v[75:76]
	s_waitcnt vmcnt(35) lgkmcnt(1)
	v_mul_f64 v[75:76], v[55:56], v[97:98]
	v_add_f64 v[3:4], v[3:4], v[69:70]
	s_waitcnt vmcnt(33)
	v_fma_f64 v[81:82], v[49:50], v[101:102], -v[81:82]
	v_mul_f64 v[69:70], v[53:54], v[97:98]
	v_fma_f64 v[79:80], v[51:52], v[101:102], v[79:80]
	ds_read_b128 v[49:52], v2 offset:608
	v_add_f64 v[65:66], v[65:66], v[83:84]
	s_waitcnt vmcnt(29) lgkmcnt(1)
	v_mul_f64 v[83:84], v[59:60], v[103:104]
	v_add_f64 v[3:4], v[3:4], v[71:72]
	;; [unrolled: 9-line block ×6, first 2 shown]
	s_waitcnt vmcnt(12)
	v_fma_f64 v[83:84], v[57:58], v[115:116], -v[83:84]
	v_mul_f64 v[79:80], v[49:50], v[121:122]
	v_fma_f64 v[71:72], v[59:60], v[115:116], v[71:72]
	ds_read_b128 v[57:60], v2 offset:688
	v_add_f64 v[65:66], v[65:66], v[75:76]
	v_add_f64 v[3:4], v[3:4], v[69:70]
	s_waitcnt vmcnt(11) lgkmcnt(1)
	v_mul_f64 v[75:76], v[55:56], v[123:124]
	v_mul_f64 v[69:70], v[53:54], v[123:124]
	s_waitcnt vmcnt(9)
	v_fma_f64 v[49:50], v[49:50], v[63:64], -v[81:82]
	v_fma_f64 v[51:52], v[51:52], v[63:64], v[79:80]
	s_waitcnt vmcnt(7) lgkmcnt(0)
	v_mul_f64 v[63:64], v[57:58], v[67:68]
	v_mul_f64 v[67:68], v[59:60], v[67:68]
	v_add_f64 v[65:66], v[65:66], v[83:84]
	v_add_f64 v[2:3], v[3:4], v[71:72]
	s_waitcnt vmcnt(6)
	v_fma_f64 v[53:54], v[53:54], v[125:126], -v[75:76]
	v_fma_f64 v[55:56], v[55:56], v[125:126], v[69:70]
	v_add_f64 v[49:50], v[65:66], v[49:50]
	v_add_f64 v[2:3], v[2:3], v[51:52]
	s_waitcnt vmcnt(4)
	v_fma_f64 v[51:52], v[57:58], v[61:62], -v[67:68]
	v_add_f64 v[49:50], v[49:50], v[53:54]
	v_fma_f64 v[53:54], v[59:60], v[61:62], v[63:64]
	v_add_f64 v[2:3], v[2:3], v[55:56]
	v_add_f64 v[49:50], v[49:50], v[51:52]
	;; [unrolled: 1-line block ×3, first 2 shown]
	s_waitcnt vmcnt(2)
	v_add_f64 v[49:50], v[73:74], -v[49:50]
	s_waitcnt vmcnt(0)
	v_add_f64 v[2:3], v[77:78], -v[2:3]
	buffer_store_dword v50, off, s[0:3], 0 offset:68
	buffer_store_dword v49, off, s[0:3], 0 offset:64
	;; [unrolled: 1-line block ×4, first 2 shown]
	v_cmpx_lt_u32_e32 2, v0
	s_cbranch_execz .LBB21_141
; %bb.140:
	v_mov_b32_e32 v2, s31
	s_clause 0x3
	buffer_load_dword v49, v2, s[0:3], 0 offen
	buffer_load_dword v50, v2, s[0:3], 0 offen offset:4
	buffer_load_dword v51, v2, s[0:3], 0 offen offset:8
	buffer_load_dword v52, v2, s[0:3], 0 offen offset:12
	v_mov_b32_e32 v2, 0
	buffer_store_dword v2, off, s[0:3], 0 offset:48
	buffer_store_dword v2, off, s[0:3], 0 offset:52
	;; [unrolled: 1-line block ×4, first 2 shown]
	s_waitcnt vmcnt(0)
	ds_write_b128 v1, v[49:52]
.LBB21_141:
	s_or_b32 exec_lo, exec_lo, s4
	s_waitcnt lgkmcnt(0)
	s_waitcnt_vscnt null, 0x0
	s_barrier
	buffer_gl0_inv
	s_clause 0x37
	buffer_load_dword v3, off, s[0:3], 0 offset:72
	buffer_load_dword v4, off, s[0:3], 0 offset:76
	;; [unrolled: 1-line block ×56, first 2 shown]
	v_mov_b32_e32 v2, 0
	s_mov_b32 s4, exec_lo
	ds_read_b128 v[49:52], v2 offset:400
	s_clause 0x2
	buffer_load_dword v114, off, s[0:3], 0 offset:300
	buffer_load_dword v118, off, s[0:3], 0 offset:276
	buffer_load_dword v117, off, s[0:3], 0 offset:272
	ds_read_b128 v[53:56], v2 offset:416
	s_clause 0x4
	buffer_load_dword v122, off, s[0:3], 0 offset:316
	buffer_load_dword v123, off, s[0:3], 0 offset:328
	;; [unrolled: 1-line block ×5, first 2 shown]
	ds_read_b128 v[57:60], v2 offset:432
	s_waitcnt vmcnt(62) lgkmcnt(2)
	v_mul_f64 v[119:120], v[51:52], v[3:4]
	v_mul_f64 v[3:4], v[49:50], v[3:4]
	s_waitcnt vmcnt(60) lgkmcnt(1)
	v_mul_f64 v[126:127], v[55:56], v[61:62]
	v_mul_f64 v[61:62], v[53:54], v[61:62]
	;; [unrolled: 3-line block ×3, first 2 shown]
	v_fma_f64 v[119:120], v[49:50], v[63:64], -v[119:120]
	v_fma_f64 v[3:4], v[51:52], v[63:64], v[3:4]
	s_clause 0x2
	buffer_load_dword v124, off, s[0:3], 0 offset:332
	buffer_load_dword v64, off, s[0:3], 0 offset:308
	;; [unrolled: 1-line block ×3, first 2 shown]
	s_waitcnt vmcnt(57)
	v_fma_f64 v[130:131], v[53:54], v[67:68], -v[126:127]
	ds_read_b128 v[49:52], v2 offset:448
	v_fma_f64 v[61:62], v[55:56], v[67:68], v[61:62]
	s_clause 0x4
	buffer_load_dword v68, off, s[0:3], 0 offset:348
	buffer_load_dword v127, off, s[0:3], 0 offset:360
	;; [unrolled: 1-line block ×5, first 2 shown]
	s_waitcnt vmcnt(56)
	v_fma_f64 v[65:66], v[57:58], v[75:76], -v[65:66]
	ds_read_b128 v[53:56], v2 offset:464
	v_fma_f64 v[75:76], v[59:60], v[75:76], v[128:129]
	v_add_f64 v[119:120], v[119:120], 0
	v_add_f64 v[3:4], v[3:4], 0
	s_waitcnt lgkmcnt(1)
	v_mul_f64 v[133:134], v[49:50], v[69:70]
	v_mul_f64 v[69:70], v[51:52], v[69:70]
	v_add_f64 v[119:120], v[119:120], v[130:131]
	v_add_f64 v[3:4], v[3:4], v[61:62]
	s_clause 0x2
	buffer_load_dword v128, off, s[0:3], 0 offset:364
	buffer_load_dword v62, off, s[0:3], 0 offset:340
	;; [unrolled: 1-line block ×3, first 2 shown]
	s_waitcnt vmcnt(58) lgkmcnt(0)
	v_mul_f64 v[129:130], v[53:54], v[71:72]
	v_mul_f64 v[71:72], v[55:56], v[71:72]
	s_waitcnt vmcnt(56)
	v_fma_f64 v[69:70], v[49:50], v[77:78], -v[69:70]
	ds_read_b128 v[57:60], v2 offset:480
	v_fma_f64 v[77:78], v[51:52], v[77:78], v[133:134]
	buffer_load_dword v133, off, s[0:3], 0 offset:356
	ds_read_b128 v[49:52], v2 offset:496
	v_add_f64 v[65:66], v[119:120], v[65:66]
	v_add_f64 v[3:4], v[3:4], v[75:76]
	s_waitcnt vmcnt(53) lgkmcnt(1)
	v_mul_f64 v[75:76], v[57:58], v[79:80]
	v_mul_f64 v[79:80], v[59:60], v[79:80]
	s_waitcnt vmcnt(52)
	v_fma_f64 v[71:72], v[53:54], v[73:74], -v[71:72]
	v_add_f64 v[65:66], v[65:66], v[69:70]
	v_fma_f64 v[69:70], v[55:56], v[73:74], v[129:130]
	v_add_f64 v[3:4], v[3:4], v[77:78]
	s_waitcnt vmcnt(51) lgkmcnt(0)
	v_mul_f64 v[77:78], v[51:52], v[81:82]
	ds_read_b128 v[53:56], v2 offset:512
	s_waitcnt vmcnt(49)
	v_fma_f64 v[79:80], v[57:58], v[85:86], -v[79:80]
	v_mul_f64 v[73:74], v[49:50], v[81:82]
	v_add_f64 v[65:66], v[65:66], v[71:72]
	v_fma_f64 v[71:72], v[59:60], v[85:86], v[75:76]
	v_add_f64 v[3:4], v[3:4], v[69:70]
	s_clause 0x3
	buffer_load_dword v69, off, s[0:3], 0 offset:48
	buffer_load_dword v70, off, s[0:3], 0 offset:52
	;; [unrolled: 1-line block ×4, first 2 shown]
	s_waitcnt vmcnt(49) lgkmcnt(0)
	v_mul_f64 v[85:86], v[55:56], v[87:88]
	s_waitcnt vmcnt(48)
	v_fma_f64 v[77:78], v[49:50], v[83:84], -v[77:78]
	ds_read_b128 v[57:60], v2 offset:528
	v_mul_f64 v[81:82], v[53:54], v[87:88]
	v_fma_f64 v[73:74], v[51:52], v[83:84], v[73:74]
	ds_read_b128 v[49:52], v2 offset:544
	v_add_f64 v[65:66], v[65:66], v[79:80]
	v_add_f64 v[3:4], v[3:4], v[71:72]
	s_waitcnt vmcnt(47) lgkmcnt(1)
	v_mul_f64 v[79:80], v[59:60], v[89:90]
	s_waitcnt vmcnt(45)
	v_fma_f64 v[83:84], v[53:54], v[93:94], -v[85:86]
	v_mul_f64 v[71:72], v[57:58], v[89:90]
	v_add_f64 v[65:66], v[65:66], v[77:78]
	v_fma_f64 v[77:78], v[55:56], v[93:94], v[81:82]
	v_add_f64 v[3:4], v[3:4], v[73:74]
	s_waitcnt vmcnt(41) lgkmcnt(0)
	v_mul_f64 v[81:82], v[51:52], v[95:96]
	s_waitcnt vmcnt(40)
	v_fma_f64 v[79:80], v[57:58], v[91:92], -v[79:80]
	ds_read_b128 v[53:56], v2 offset:560
	v_mul_f64 v[73:74], v[49:50], v[95:96]
	v_fma_f64 v[71:72], v[59:60], v[91:92], v[71:72]
	ds_read_b128 v[57:60], v2 offset:576
	v_add_f64 v[65:66], v[65:66], v[83:84]
	v_add_f64 v[3:4], v[3:4], v[77:78]
	s_waitcnt vmcnt(39) lgkmcnt(1)
	v_mul_f64 v[83:84], v[55:56], v[97:98]
	s_waitcnt vmcnt(37)
	v_fma_f64 v[81:82], v[49:50], v[101:102], -v[81:82]
	v_mul_f64 v[77:78], v[53:54], v[97:98]
	v_fma_f64 v[73:74], v[51:52], v[101:102], v[73:74]
	ds_read_b128 v[49:52], v2 offset:592
	v_add_f64 v[65:66], v[65:66], v[79:80]
	s_waitcnt vmcnt(33) lgkmcnt(1)
	v_mul_f64 v[79:80], v[59:60], v[103:104]
	v_add_f64 v[3:4], v[3:4], v[71:72]
	s_waitcnt vmcnt(32)
	v_fma_f64 v[83:84], v[53:54], v[99:100], -v[83:84]
	v_mul_f64 v[71:72], v[57:58], v[103:104]
	v_fma_f64 v[77:78], v[55:56], v[99:100], v[77:78]
	ds_read_b128 v[53:56], v2 offset:608
	v_add_f64 v[65:66], v[65:66], v[81:82]
	s_waitcnt vmcnt(31) lgkmcnt(1)
	v_mul_f64 v[81:82], v[51:52], v[105:106]
	v_add_f64 v[3:4], v[3:4], v[73:74]
	;; [unrolled: 9-line block ×5, first 2 shown]
	s_waitcnt vmcnt(16)
	v_fma_f64 v[79:80], v[57:58], v[115:116], -v[79:80]
	v_mul_f64 v[73:74], v[49:50], v[121:122]
	v_fma_f64 v[71:72], v[59:60], v[115:116], v[71:72]
	ds_read_b128 v[57:60], v2 offset:672
	v_add_f64 v[65:66], v[65:66], v[83:84]
	v_add_f64 v[3:4], v[3:4], v[77:78]
	s_waitcnt vmcnt(15) lgkmcnt(1)
	v_mul_f64 v[83:84], v[55:56], v[123:124]
	v_mul_f64 v[77:78], v[53:54], v[123:124]
	s_waitcnt vmcnt(13)
	v_fma_f64 v[81:82], v[49:50], v[63:64], -v[81:82]
	v_fma_f64 v[63:64], v[51:52], v[63:64], v[73:74]
	ds_read_b128 v[49:52], v2 offset:688
	v_add_f64 v[65:66], v[65:66], v[79:80]
	v_add_f64 v[3:4], v[3:4], v[71:72]
	s_waitcnt vmcnt(9) lgkmcnt(1)
	v_mul_f64 v[71:72], v[57:58], v[67:68]
	v_mul_f64 v[67:68], v[59:60], v[67:68]
	s_waitcnt vmcnt(8)
	v_fma_f64 v[53:54], v[53:54], v[125:126], -v[83:84]
	v_fma_f64 v[55:56], v[55:56], v[125:126], v[77:78]
	v_add_f64 v[65:66], v[65:66], v[81:82]
	v_add_f64 v[3:4], v[3:4], v[63:64]
	s_waitcnt vmcnt(7) lgkmcnt(0)
	v_mul_f64 v[73:74], v[51:52], v[127:128]
	v_mul_f64 v[63:64], v[49:50], v[127:128]
	s_waitcnt vmcnt(5)
	v_fma_f64 v[57:58], v[57:58], v[61:62], -v[67:68]
	v_fma_f64 v[59:60], v[59:60], v[61:62], v[71:72]
	v_add_f64 v[53:54], v[65:66], v[53:54]
	v_add_f64 v[3:4], v[3:4], v[55:56]
	s_waitcnt vmcnt(4)
	v_fma_f64 v[49:50], v[49:50], v[132:133], -v[73:74]
	v_fma_f64 v[51:52], v[51:52], v[132:133], v[63:64]
	v_add_f64 v[53:54], v[53:54], v[57:58]
	v_add_f64 v[3:4], v[3:4], v[59:60]
	;; [unrolled: 1-line block ×4, first 2 shown]
	s_waitcnt vmcnt(2)
	v_add_f64 v[49:50], v[69:70], -v[49:50]
	s_waitcnt vmcnt(0)
	v_add_f64 v[3:4], v[75:76], -v[3:4]
	buffer_store_dword v50, off, s[0:3], 0 offset:52
	buffer_store_dword v49, off, s[0:3], 0 offset:48
	;; [unrolled: 1-line block ×4, first 2 shown]
	v_cmpx_lt_u32_e32 1, v0
	s_cbranch_execz .LBB21_143
; %bb.142:
	v_mov_b32_e32 v3, s33
	s_clause 0x3
	buffer_load_dword v49, v3, s[0:3], 0 offen
	buffer_load_dword v50, v3, s[0:3], 0 offen offset:4
	buffer_load_dword v51, v3, s[0:3], 0 offen offset:8
	;; [unrolled: 1-line block ×3, first 2 shown]
	buffer_store_dword v2, off, s[0:3], 0 offset:32
	buffer_store_dword v2, off, s[0:3], 0 offset:36
	buffer_store_dword v2, off, s[0:3], 0 offset:40
	buffer_store_dword v2, off, s[0:3], 0 offset:44
	s_waitcnt vmcnt(0)
	ds_write_b128 v1, v[49:52]
.LBB21_143:
	s_or_b32 exec_lo, exec_lo, s4
	s_waitcnt lgkmcnt(0)
	s_waitcnt_vscnt null, 0x0
	s_barrier
	buffer_gl0_inv
	s_clause 0x37
	buffer_load_dword v3, off, s[0:3], 0 offset:56
	buffer_load_dword v4, off, s[0:3], 0 offset:60
	;; [unrolled: 1-line block ×56, first 2 shown]
	ds_read_b128 v[49:52], v2 offset:384
	s_clause 0x2
	buffer_load_dword v114, off, s[0:3], 0 offset:284
	buffer_load_dword v118, off, s[0:3], 0 offset:260
	;; [unrolled: 1-line block ×3, first 2 shown]
	ds_read_b128 v[53:56], v2 offset:400
	s_clause 0x4
	buffer_load_dword v122, off, s[0:3], 0 offset:300
	buffer_load_dword v123, off, s[0:3], 0 offset:312
	;; [unrolled: 1-line block ×5, first 2 shown]
	ds_read_b128 v[57:60], v2 offset:416
	s_mov_b32 s4, exec_lo
	s_waitcnt vmcnt(62) lgkmcnt(2)
	v_mul_f64 v[119:120], v[51:52], v[3:4]
	v_mul_f64 v[3:4], v[49:50], v[3:4]
	s_waitcnt vmcnt(60) lgkmcnt(1)
	v_mul_f64 v[126:127], v[55:56], v[61:62]
	v_mul_f64 v[61:62], v[53:54], v[61:62]
	;; [unrolled: 3-line block ×3, first 2 shown]
	v_fma_f64 v[119:120], v[49:50], v[63:64], -v[119:120]
	v_fma_f64 v[3:4], v[51:52], v[63:64], v[3:4]
	s_clause 0x2
	buffer_load_dword v124, off, s[0:3], 0 offset:316
	buffer_load_dword v64, off, s[0:3], 0 offset:292
	buffer_load_dword v63, off, s[0:3], 0 offset:288
	s_waitcnt vmcnt(57)
	v_fma_f64 v[130:131], v[53:54], v[67:68], -v[126:127]
	ds_read_b128 v[49:52], v2 offset:432
	v_fma_f64 v[61:62], v[55:56], v[67:68], v[61:62]
	s_clause 0x4
	buffer_load_dword v68, off, s[0:3], 0 offset:332
	buffer_load_dword v127, off, s[0:3], 0 offset:344
	buffer_load_dword v132, off, s[0:3], 0 offset:336
	buffer_load_dword v67, off, s[0:3], 0 offset:328
	buffer_load_dword v126, off, s[0:3], 0 offset:308
	s_waitcnt vmcnt(56)
	v_fma_f64 v[65:66], v[57:58], v[75:76], -v[65:66]
	ds_read_b128 v[53:56], v2 offset:448
	v_fma_f64 v[75:76], v[59:60], v[75:76], v[128:129]
	v_add_f64 v[119:120], v[119:120], 0
	v_add_f64 v[3:4], v[3:4], 0
	s_waitcnt lgkmcnt(1)
	v_mul_f64 v[133:134], v[49:50], v[69:70]
	v_mul_f64 v[69:70], v[51:52], v[69:70]
	v_add_f64 v[119:120], v[119:120], v[130:131]
	v_add_f64 v[3:4], v[3:4], v[61:62]
	s_clause 0x2
	buffer_load_dword v128, off, s[0:3], 0 offset:348
	buffer_load_dword v62, off, s[0:3], 0 offset:324
	;; [unrolled: 1-line block ×3, first 2 shown]
	s_waitcnt vmcnt(58) lgkmcnt(0)
	v_mul_f64 v[129:130], v[53:54], v[71:72]
	v_mul_f64 v[71:72], v[55:56], v[71:72]
	s_waitcnt vmcnt(56)
	v_fma_f64 v[69:70], v[49:50], v[77:78], -v[69:70]
	ds_read_b128 v[57:60], v2 offset:464
	v_fma_f64 v[77:78], v[51:52], v[77:78], v[133:134]
	v_add_f64 v[65:66], v[119:120], v[65:66]
	v_add_f64 v[3:4], v[3:4], v[75:76]
	s_clause 0x2
	buffer_load_dword v76, off, s[0:3], 0 offset:364
	buffer_load_dword v75, off, s[0:3], 0 offset:360
	;; [unrolled: 1-line block ×3, first 2 shown]
	ds_read_b128 v[49:52], v2 offset:480
	s_waitcnt vmcnt(55) lgkmcnt(1)
	v_mul_f64 v[119:120], v[57:58], v[79:80]
	v_mul_f64 v[79:80], v[59:60], v[79:80]
	s_waitcnt vmcnt(54)
	v_fma_f64 v[71:72], v[53:54], v[73:74], -v[71:72]
	v_add_f64 v[65:66], v[65:66], v[69:70]
	v_fma_f64 v[69:70], v[55:56], v[73:74], v[129:130]
	v_add_f64 v[3:4], v[3:4], v[77:78]
	s_clause 0x1
	buffer_load_dword v74, off, s[0:3], 0 offset:356
	buffer_load_dword v73, off, s[0:3], 0 offset:352
	s_waitcnt vmcnt(55) lgkmcnt(0)
	v_mul_f64 v[77:78], v[49:50], v[81:82]
	v_mul_f64 v[81:82], v[51:52], v[81:82]
	s_waitcnt vmcnt(53)
	v_fma_f64 v[79:80], v[57:58], v[85:86], -v[79:80]
	ds_read_b128 v[53:56], v2 offset:496
	v_add_f64 v[65:66], v[65:66], v[71:72]
	v_fma_f64 v[71:72], v[59:60], v[85:86], v[119:120]
	v_add_f64 v[3:4], v[3:4], v[69:70]
	ds_read_b128 v[57:60], v2 offset:512
	s_waitcnt vmcnt(48)
	v_fma_f64 v[77:78], v[51:52], v[83:84], v[77:78]
	s_waitcnt lgkmcnt(1)
	v_mul_f64 v[85:86], v[55:56], v[87:88]
	v_fma_f64 v[81:82], v[49:50], v[83:84], -v[81:82]
	v_mul_f64 v[69:70], v[53:54], v[87:88]
	v_add_f64 v[65:66], v[65:66], v[79:80]
	s_waitcnt vmcnt(47) lgkmcnt(0)
	v_mul_f64 v[87:88], v[59:60], v[89:90]
	v_add_f64 v[3:4], v[3:4], v[71:72]
	s_clause 0x3
	buffer_load_dword v71, off, s[0:3], 0 offset:32
	buffer_load_dword v72, off, s[0:3], 0 offset:36
	;; [unrolled: 1-line block ×4, first 2 shown]
	ds_read_b128 v[49:52], v2 offset:528
	s_waitcnt vmcnt(49)
	v_fma_f64 v[85:86], v[53:54], v[93:94], -v[85:86]
	v_mul_f64 v[83:84], v[57:58], v[89:90]
	v_fma_f64 v[69:70], v[55:56], v[93:94], v[69:70]
	ds_read_b128 v[53:56], v2 offset:544
	v_add_f64 v[65:66], v[65:66], v[81:82]
	s_waitcnt vmcnt(44)
	v_fma_f64 v[87:88], v[57:58], v[91:92], -v[87:88]
	v_add_f64 v[3:4], v[3:4], v[77:78]
	s_waitcnt lgkmcnt(1)
	v_mul_f64 v[81:82], v[51:52], v[95:96]
	v_mul_f64 v[77:78], v[49:50], v[95:96]
	v_fma_f64 v[83:84], v[59:60], v[91:92], v[83:84]
	ds_read_b128 v[57:60], v2 offset:560
	v_add_f64 v[65:66], v[65:66], v[85:86]
	s_waitcnt vmcnt(43) lgkmcnt(1)
	v_mul_f64 v[85:86], v[55:56], v[97:98]
	v_add_f64 v[3:4], v[3:4], v[69:70]
	s_waitcnt vmcnt(41)
	v_fma_f64 v[81:82], v[49:50], v[101:102], -v[81:82]
	v_mul_f64 v[69:70], v[53:54], v[97:98]
	v_fma_f64 v[77:78], v[51:52], v[101:102], v[77:78]
	ds_read_b128 v[49:52], v2 offset:576
	v_add_f64 v[65:66], v[65:66], v[87:88]
	s_waitcnt vmcnt(37) lgkmcnt(1)
	v_mul_f64 v[87:88], v[59:60], v[103:104]
	v_add_f64 v[3:4], v[3:4], v[83:84]
	s_waitcnt vmcnt(36)
	v_fma_f64 v[85:86], v[53:54], v[99:100], -v[85:86]
	;; [unrolled: 9-line block ×6, first 2 shown]
	v_mul_f64 v[77:78], v[49:50], v[121:122]
	v_fma_f64 v[83:84], v[59:60], v[115:116], v[83:84]
	ds_read_b128 v[57:60], v2 offset:656
	v_add_f64 v[65:66], v[65:66], v[85:86]
	v_add_f64 v[3:4], v[3:4], v[69:70]
	s_waitcnt vmcnt(19) lgkmcnt(1)
	v_mul_f64 v[85:86], v[55:56], v[123:124]
	v_mul_f64 v[69:70], v[53:54], v[123:124]
	s_waitcnt vmcnt(17)
	v_fma_f64 v[81:82], v[49:50], v[63:64], -v[81:82]
	v_fma_f64 v[63:64], v[51:52], v[63:64], v[77:78]
	ds_read_b128 v[49:52], v2 offset:672
	s_waitcnt vmcnt(13) lgkmcnt(1)
	v_mul_f64 v[77:78], v[57:58], v[67:68]
	v_mul_f64 v[67:68], v[59:60], v[67:68]
	v_add_f64 v[65:66], v[65:66], v[87:88]
	v_add_f64 v[3:4], v[3:4], v[83:84]
	s_waitcnt vmcnt(12)
	v_fma_f64 v[83:84], v[53:54], v[125:126], -v[85:86]
	v_fma_f64 v[69:70], v[55:56], v[125:126], v[69:70]
	ds_read_b128 v[53:56], v2 offset:688
	v_add_f64 v[65:66], v[65:66], v[81:82]
	v_add_f64 v[3:4], v[3:4], v[63:64]
	s_waitcnt vmcnt(11) lgkmcnt(1)
	v_mul_f64 v[81:82], v[51:52], v[127:128]
	v_mul_f64 v[63:64], v[49:50], v[127:128]
	s_waitcnt vmcnt(9)
	v_fma_f64 v[57:58], v[57:58], v[61:62], -v[67:68]
	v_fma_f64 v[59:60], v[59:60], v[61:62], v[77:78]
	v_add_f64 v[65:66], v[65:66], v[83:84]
	v_add_f64 v[2:3], v[3:4], v[69:70]
	s_waitcnt vmcnt(7) lgkmcnt(0)
	v_mul_f64 v[67:68], v[55:56], v[75:76]
	s_waitcnt vmcnt(6)
	v_fma_f64 v[49:50], v[49:50], v[132:133], -v[81:82]
	v_mul_f64 v[61:62], v[53:54], v[75:76]
	v_fma_f64 v[51:52], v[51:52], v[132:133], v[63:64]
	v_add_f64 v[57:58], v[65:66], v[57:58]
	v_add_f64 v[2:3], v[2:3], v[59:60]
	s_waitcnt vmcnt(4)
	v_fma_f64 v[53:54], v[53:54], v[73:74], -v[67:68]
	v_fma_f64 v[55:56], v[55:56], v[73:74], v[61:62]
	v_add_f64 v[49:50], v[57:58], v[49:50]
	v_add_f64 v[2:3], v[2:3], v[51:52]
	;; [unrolled: 1-line block ×4, first 2 shown]
	s_waitcnt vmcnt(2)
	v_add_f64 v[49:50], v[71:72], -v[49:50]
	s_waitcnt vmcnt(0)
	v_add_f64 v[2:3], v[79:80], -v[2:3]
	buffer_store_dword v50, off, s[0:3], 0 offset:36
	buffer_store_dword v49, off, s[0:3], 0 offset:32
	;; [unrolled: 1-line block ×4, first 2 shown]
	v_cmpx_ne_u32_e32 0, v0
	s_cbranch_execz .LBB21_145
; %bb.144:
	s_clause 0x3
	buffer_load_dword v49, off, s[0:3], 0 offset:16
	buffer_load_dword v50, off, s[0:3], 0 offset:20
	;; [unrolled: 1-line block ×4, first 2 shown]
	v_mov_b32_e32 v0, 0
	buffer_store_dword v0, off, s[0:3], 0 offset:16
	buffer_store_dword v0, off, s[0:3], 0 offset:20
	;; [unrolled: 1-line block ×4, first 2 shown]
	s_waitcnt vmcnt(0)
	ds_write_b128 v1, v[49:52]
.LBB21_145:
	s_or_b32 exec_lo, exec_lo, s4
	s_waitcnt lgkmcnt(0)
	s_waitcnt_vscnt null, 0x0
	s_barrier
	buffer_gl0_inv
	s_clause 0x37
	buffer_load_dword v53, off, s[0:3], 0 offset:40
	buffer_load_dword v54, off, s[0:3], 0 offset:44
	;; [unrolled: 1-line block ×56, first 2 shown]
	v_mov_b32_e32 v0, 0
	s_and_b32 vcc_lo, exec_lo, s34
	ds_read_b128 v[1:4], v0 offset:368
	s_clause 0x2
	buffer_load_dword v110, off, s[0:3], 0 offset:268
	buffer_load_dword v114, off, s[0:3], 0 offset:244
	;; [unrolled: 1-line block ×3, first 2 shown]
	ds_read_b128 v[49:52], v0 offset:384
	s_clause 0x4
	buffer_load_dword v120, off, s[0:3], 0 offset:284
	buffer_load_dword v121, off, s[0:3], 0 offset:296
	;; [unrolled: 1-line block ×5, first 2 shown]
	s_waitcnt vmcnt(62) lgkmcnt(1)
	v_mul_f64 v[115:116], v[3:4], v[53:54]
	v_mul_f64 v[117:118], v[1:2], v[53:54]
	s_waitcnt vmcnt(60) lgkmcnt(0)
	v_mul_f64 v[124:125], v[51:52], v[57:58]
	ds_read_b128 v[53:56], v0 offset:400
	v_mul_f64 v[57:58], v[49:50], v[57:58]
	s_waitcnt vmcnt(58)
	v_fma_f64 v[115:116], v[1:2], v[59:60], -v[115:116]
	v_fma_f64 v[59:60], v[3:4], v[59:60], v[117:118]
	s_clause 0x2
	buffer_load_dword v122, off, s[0:3], 0 offset:300
	buffer_load_dword v118, off, s[0:3], 0 offset:276
	;; [unrolled: 1-line block ×3, first 2 shown]
	s_waitcnt vmcnt(59) lgkmcnt(0)
	v_mul_f64 v[126:127], v[53:54], v[61:62]
	v_mul_f64 v[61:62], v[55:56], v[61:62]
	s_waitcnt vmcnt(57)
	v_fma_f64 v[128:129], v[49:50], v[63:64], -v[124:125]
	ds_read_b128 v[1:4], v0 offset:416
	v_fma_f64 v[57:58], v[51:52], v[63:64], v[57:58]
	s_clause 0x4
	buffer_load_dword v64, off, s[0:3], 0 offset:316
	buffer_load_dword v125, off, s[0:3], 0 offset:328
	;; [unrolled: 1-line block ×5, first 2 shown]
	ds_read_b128 v[49:52], v0 offset:432
	v_add_f64 v[115:116], v[115:116], 0
	v_add_f64 v[59:60], v[59:60], 0
	s_waitcnt vmcnt(58) lgkmcnt(1)
	v_mul_f64 v[131:132], v[1:2], v[65:66]
	v_mul_f64 v[65:66], v[3:4], v[65:66]
	s_waitcnt vmcnt(56)
	v_fma_f64 v[61:62], v[53:54], v[71:72], -v[61:62]
	v_fma_f64 v[71:72], v[55:56], v[71:72], v[126:127]
	v_add_f64 v[115:116], v[115:116], v[128:129]
	v_add_f64 v[57:58], v[59:60], v[57:58]
	s_clause 0x2
	buffer_load_dword v126, off, s[0:3], 0 offset:332
	buffer_load_dword v60, off, s[0:3], 0 offset:308
	;; [unrolled: 1-line block ×3, first 2 shown]
	s_waitcnt vmcnt(58) lgkmcnt(0)
	v_mul_f64 v[127:128], v[49:50], v[67:68]
	v_mul_f64 v[67:68], v[51:52], v[67:68]
	s_waitcnt vmcnt(56)
	v_fma_f64 v[65:66], v[1:2], v[73:74], -v[65:66]
	ds_read_b128 v[53:56], v0 offset:448
	v_fma_f64 v[73:74], v[3:4], v[73:74], v[131:132]
	v_add_f64 v[61:62], v[115:116], v[61:62]
	v_add_f64 v[57:58], v[57:58], v[71:72]
	s_clause 0x4
	buffer_load_dword v72, off, s[0:3], 0 offset:348
	buffer_load_dword v115, off, s[0:3], 0 offset:360
	;; [unrolled: 1-line block ×5, first 2 shown]
	ds_read_b128 v[1:4], v0 offset:464
	s_waitcnt vmcnt(57) lgkmcnt(1)
	v_mul_f64 v[133:134], v[53:54], v[75:76]
	v_mul_f64 v[75:76], v[55:56], v[75:76]
	s_waitcnt vmcnt(56)
	v_fma_f64 v[67:68], v[49:50], v[69:70], -v[67:68]
	v_add_f64 v[61:62], v[61:62], v[65:66]
	v_fma_f64 v[65:66], v[51:52], v[69:70], v[127:128]
	v_add_f64 v[57:58], v[57:58], v[73:74]
	s_clause 0x2
	buffer_load_dword v116, off, s[0:3], 0 offset:364
	buffer_load_dword v70, off, s[0:3], 0 offset:340
	;; [unrolled: 1-line block ×3, first 2 shown]
	s_waitcnt vmcnt(58) lgkmcnt(0)
	v_mul_f64 v[73:74], v[1:2], v[77:78]
	v_mul_f64 v[77:78], v[3:4], v[77:78]
	s_waitcnt vmcnt(56)
	v_fma_f64 v[75:76], v[53:54], v[81:82], -v[75:76]
	ds_read_b128 v[49:52], v0 offset:480
	v_add_f64 v[61:62], v[61:62], v[67:68]
	v_fma_f64 v[67:68], v[55:56], v[81:82], v[133:134]
	v_add_f64 v[57:58], v[57:58], v[65:66]
	buffer_load_dword v133, off, s[0:3], 0 offset:356
	ds_read_b128 v[53:56], v0 offset:496
	s_waitcnt vmcnt(53) lgkmcnt(1)
	v_mul_f64 v[81:82], v[51:52], v[83:84]
	s_waitcnt vmcnt(52)
	v_fma_f64 v[77:78], v[1:2], v[79:80], -v[77:78]
	v_mul_f64 v[65:66], v[49:50], v[83:84]
	v_fma_f64 v[73:74], v[3:4], v[79:80], v[73:74]
	ds_read_b128 v[1:4], v0 offset:512
	v_add_f64 v[61:62], v[61:62], v[75:76]
	v_add_f64 v[57:58], v[57:58], v[67:68]
	s_waitcnt vmcnt(51) lgkmcnt(1)
	v_mul_f64 v[75:76], v[55:56], v[85:86]
	v_mul_f64 v[67:68], v[53:54], v[85:86]
	s_waitcnt vmcnt(49)
	v_fma_f64 v[79:80], v[49:50], v[89:90], -v[81:82]
	v_fma_f64 v[65:66], v[51:52], v[89:90], v[65:66]
	s_waitcnt vmcnt(45) lgkmcnt(0)
	v_mul_f64 v[83:84], v[3:4], v[91:92]
	v_mul_f64 v[81:82], v[1:2], v[91:92]
	v_add_f64 v[61:62], v[61:62], v[77:78]
	v_add_f64 v[57:58], v[57:58], v[73:74]
	s_clause 0x3
	buffer_load_dword v73, off, s[0:3], 0 offset:16
	buffer_load_dword v74, off, s[0:3], 0 offset:20
	buffer_load_dword v77, off, s[0:3], 0 offset:24
	buffer_load_dword v78, off, s[0:3], 0 offset:28
	s_waitcnt vmcnt(48)
	v_fma_f64 v[75:76], v[53:54], v[87:88], -v[75:76]
	ds_read_b128 v[49:52], v0 offset:528
	v_fma_f64 v[67:68], v[55:56], v[87:88], v[67:68]
	ds_read_b128 v[53:56], v0 offset:544
	s_waitcnt vmcnt(45)
	v_fma_f64 v[83:84], v[1:2], v[97:98], -v[83:84]
	v_add_f64 v[61:62], v[61:62], v[79:80]
	v_add_f64 v[57:58], v[57:58], v[65:66]
	s_waitcnt lgkmcnt(1)
	v_mul_f64 v[79:80], v[51:52], v[93:94]
	v_mul_f64 v[65:66], v[49:50], v[93:94]
	v_add_f64 v[61:62], v[61:62], v[75:76]
	v_fma_f64 v[75:76], v[3:4], v[97:98], v[81:82]
	v_add_f64 v[57:58], v[57:58], v[67:68]
	s_waitcnt vmcnt(41) lgkmcnt(0)
	v_mul_f64 v[81:82], v[55:56], v[99:100]
	s_waitcnt vmcnt(40)
	v_fma_f64 v[79:80], v[49:50], v[95:96], -v[79:80]
	ds_read_b128 v[1:4], v0 offset:560
	v_mul_f64 v[67:68], v[53:54], v[99:100]
	v_fma_f64 v[65:66], v[51:52], v[95:96], v[65:66]
	ds_read_b128 v[49:52], v0 offset:576
	v_add_f64 v[61:62], v[61:62], v[83:84]
	v_add_f64 v[57:58], v[57:58], v[75:76]
	s_waitcnt vmcnt(39) lgkmcnt(1)
	v_mul_f64 v[83:84], v[3:4], v[101:102]
	s_waitcnt vmcnt(37)
	v_fma_f64 v[81:82], v[53:54], v[105:106], -v[81:82]
	v_mul_f64 v[75:76], v[1:2], v[101:102]
	v_fma_f64 v[67:68], v[55:56], v[105:106], v[67:68]
	ds_read_b128 v[53:56], v0 offset:592
	v_add_f64 v[61:62], v[61:62], v[79:80]
	s_waitcnt vmcnt(33) lgkmcnt(1)
	v_mul_f64 v[79:80], v[51:52], v[107:108]
	v_add_f64 v[57:58], v[57:58], v[65:66]
	s_waitcnt vmcnt(32)
	v_fma_f64 v[83:84], v[1:2], v[103:104], -v[83:84]
	v_mul_f64 v[65:66], v[49:50], v[107:108]
	v_fma_f64 v[75:76], v[3:4], v[103:104], v[75:76]
	ds_read_b128 v[1:4], v0 offset:608
	v_add_f64 v[61:62], v[61:62], v[81:82]
	s_waitcnt vmcnt(31) lgkmcnt(1)
	v_mul_f64 v[81:82], v[55:56], v[109:110]
	v_add_f64 v[57:58], v[57:58], v[67:68]
	;; [unrolled: 9-line block ×3, first 2 shown]
	s_waitcnt vmcnt(24)
	v_fma_f64 v[81:82], v[53:54], v[111:112], -v[81:82]
	v_mul_f64 v[75:76], v[1:2], v[119:120]
	v_fma_f64 v[67:68], v[55:56], v[111:112], v[67:68]
	ds_read_b128 v[53:56], v0 offset:640
	v_add_f64 v[61:62], v[61:62], v[79:80]
	v_add_f64 v[57:58], v[57:58], v[65:66]
	s_waitcnt vmcnt(23) lgkmcnt(1)
	v_mul_f64 v[79:80], v[51:52], v[121:122]
	v_mul_f64 v[65:66], v[49:50], v[121:122]
	s_waitcnt vmcnt(21)
	v_fma_f64 v[83:84], v[1:2], v[117:118], -v[83:84]
	v_fma_f64 v[75:76], v[3:4], v[117:118], v[75:76]
	ds_read_b128 v[1:4], v0 offset:656
	v_add_f64 v[61:62], v[61:62], v[81:82]
	v_add_f64 v[57:58], v[57:58], v[67:68]
	s_waitcnt vmcnt(17) lgkmcnt(1)
	v_mul_f64 v[67:68], v[53:54], v[63:64]
	v_mul_f64 v[63:64], v[55:56], v[63:64]
	s_waitcnt vmcnt(16)
	v_fma_f64 v[79:80], v[49:50], v[123:124], -v[79:80]
	;; [unrolled: 9-line block ×3, first 2 shown]
	v_fma_f64 v[59:60], v[55:56], v[59:60], v[67:68]
	ds_read_b128 v[53:56], v0 offset:688
	v_add_f64 v[61:62], v[61:62], v[79:80]
	v_add_f64 v[57:58], v[57:58], v[65:66]
	s_waitcnt vmcnt(9) lgkmcnt(1)
	v_mul_f64 v[67:68], v[51:52], v[71:72]
	s_waitcnt vmcnt(8)
	v_fma_f64 v[1:2], v[1:2], v[130:131], -v[81:82]
	v_mul_f64 v[65:66], v[49:50], v[71:72]
	v_fma_f64 v[3:4], v[3:4], v[130:131], v[75:76]
	v_add_f64 v[61:62], v[61:62], v[63:64]
	v_add_f64 v[57:58], v[57:58], v[59:60]
	s_waitcnt vmcnt(7) lgkmcnt(0)
	v_mul_f64 v[63:64], v[55:56], v[115:116]
	v_mul_f64 v[59:60], v[53:54], v[115:116]
	s_waitcnt vmcnt(5)
	v_fma_f64 v[49:50], v[49:50], v[69:70], -v[67:68]
	v_fma_f64 v[51:52], v[51:52], v[69:70], v[65:66]
	v_add_f64 v[1:2], v[61:62], v[1:2]
	v_add_f64 v[3:4], v[57:58], v[3:4]
	s_waitcnt vmcnt(4)
	v_fma_f64 v[53:54], v[53:54], v[132:133], -v[63:64]
	v_add_f64 v[1:2], v[1:2], v[49:50]
	v_fma_f64 v[49:50], v[55:56], v[132:133], v[59:60]
	v_add_f64 v[3:4], v[3:4], v[51:52]
	v_add_f64 v[1:2], v[1:2], v[53:54]
	;; [unrolled: 1-line block ×3, first 2 shown]
	s_waitcnt vmcnt(2)
	v_add_f64 v[1:2], v[73:74], -v[1:2]
	s_waitcnt vmcnt(0)
	v_add_f64 v[3:4], v[77:78], -v[3:4]
	buffer_store_dword v2, off, s[0:3], 0 offset:20
	buffer_store_dword v1, off, s[0:3], 0 offset:16
	;; [unrolled: 1-line block ×4, first 2 shown]
	s_cbranch_vccz .LBB21_188
; %bb.146:
	global_load_dword v0, v0, s[20:21] offset:80
	s_waitcnt vmcnt(0)
	v_add_nc_u32_e32 v0, -1, v0
	v_cmp_ne_u32_e32 vcc_lo, 20, v0
	s_cbranch_vccz .LBB21_148
; %bb.147:
	v_lshlrev_b32_e32 v0, 4, v0
	v_mov_b32_e32 v1, s9
	v_add_nc_u32_e32 v0, 16, v0
	s_clause 0x7
	buffer_load_dword v2, v0, s[0:3], 0 offen
	buffer_load_dword v3, v0, s[0:3], 0 offen offset:4
	buffer_load_dword v4, v0, s[0:3], 0 offen offset:8
	buffer_load_dword v49, v0, s[0:3], 0 offen offset:12
	buffer_load_dword v50, v1, s[0:3], 0 offen offset:12
	buffer_load_dword v51, v1, s[0:3], 0 offen offset:8
	buffer_load_dword v52, v1, s[0:3], 0 offen offset:4
	buffer_load_dword v53, v1, s[0:3], 0 offen
	s_waitcnt vmcnt(7)
	buffer_store_dword v2, v1, s[0:3], 0 offen
	s_waitcnt vmcnt(6)
	buffer_store_dword v3, v1, s[0:3], 0 offen offset:4
	s_waitcnt vmcnt(5)
	buffer_store_dword v4, v1, s[0:3], 0 offen offset:8
	;; [unrolled: 2-line block ×6, first 2 shown]
	s_waitcnt vmcnt(0)
	buffer_store_dword v53, v0, s[0:3], 0 offen
.LBB21_148:
	v_mov_b32_e32 v0, 0
	global_load_dword v1, v0, s[20:21] offset:76
	s_waitcnt vmcnt(0)
	v_add_nc_u32_e32 v1, -1, v1
	v_cmp_eq_u32_e32 vcc_lo, 19, v1
	s_cbranch_vccnz .LBB21_150
; %bb.149:
	v_lshlrev_b32_e32 v1, 4, v1
	v_mov_b32_e32 v2, s12
	v_add_nc_u32_e32 v1, 16, v1
	s_clause 0x7
	buffer_load_dword v3, v1, s[0:3], 0 offen
	buffer_load_dword v4, v1, s[0:3], 0 offen offset:4
	buffer_load_dword v49, v1, s[0:3], 0 offen offset:8
	buffer_load_dword v50, v1, s[0:3], 0 offen offset:12
	buffer_load_dword v51, v2, s[0:3], 0 offen offset:12
	buffer_load_dword v52, v2, s[0:3], 0 offen offset:8
	buffer_load_dword v53, v2, s[0:3], 0 offen offset:4
	buffer_load_dword v54, v2, s[0:3], 0 offen
	s_waitcnt vmcnt(7)
	buffer_store_dword v3, v2, s[0:3], 0 offen
	s_waitcnt vmcnt(6)
	buffer_store_dword v4, v2, s[0:3], 0 offen offset:4
	s_waitcnt vmcnt(5)
	buffer_store_dword v49, v2, s[0:3], 0 offen offset:8
	;; [unrolled: 2-line block ×6, first 2 shown]
	s_waitcnt vmcnt(0)
	buffer_store_dword v54, v1, s[0:3], 0 offen
.LBB21_150:
	global_load_dword v0, v0, s[20:21] offset:72
	s_waitcnt vmcnt(0)
	v_add_nc_u32_e32 v0, -1, v0
	v_cmp_eq_u32_e32 vcc_lo, 18, v0
	s_cbranch_vccnz .LBB21_152
; %bb.151:
	v_lshlrev_b32_e32 v0, 4, v0
	v_mov_b32_e32 v1, s13
	v_add_nc_u32_e32 v0, 16, v0
	s_clause 0x7
	buffer_load_dword v2, v0, s[0:3], 0 offen
	buffer_load_dword v3, v0, s[0:3], 0 offen offset:4
	buffer_load_dword v4, v0, s[0:3], 0 offen offset:8
	buffer_load_dword v49, v0, s[0:3], 0 offen offset:12
	buffer_load_dword v50, v1, s[0:3], 0 offen offset:12
	buffer_load_dword v51, v1, s[0:3], 0 offen offset:8
	buffer_load_dword v52, v1, s[0:3], 0 offen offset:4
	buffer_load_dword v53, v1, s[0:3], 0 offen
	s_waitcnt vmcnt(7)
	buffer_store_dword v2, v1, s[0:3], 0 offen
	s_waitcnt vmcnt(6)
	buffer_store_dword v3, v1, s[0:3], 0 offen offset:4
	s_waitcnt vmcnt(5)
	buffer_store_dword v4, v1, s[0:3], 0 offen offset:8
	s_waitcnt vmcnt(4)
	buffer_store_dword v49, v1, s[0:3], 0 offen offset:12
	s_waitcnt vmcnt(3)
	buffer_store_dword v50, v0, s[0:3], 0 offen offset:12
	s_waitcnt vmcnt(2)
	buffer_store_dword v51, v0, s[0:3], 0 offen offset:8
	s_waitcnt vmcnt(1)
	buffer_store_dword v52, v0, s[0:3], 0 offen offset:4
	s_waitcnt vmcnt(0)
	buffer_store_dword v53, v0, s[0:3], 0 offen
.LBB21_152:
	v_mov_b32_e32 v0, 0
	global_load_dword v1, v0, s[20:21] offset:68
	s_waitcnt vmcnt(0)
	v_add_nc_u32_e32 v1, -1, v1
	v_cmp_eq_u32_e32 vcc_lo, 17, v1
	s_cbranch_vccnz .LBB21_154
; %bb.153:
	v_lshlrev_b32_e32 v1, 4, v1
	v_mov_b32_e32 v2, s14
	v_add_nc_u32_e32 v1, 16, v1
	s_clause 0x7
	buffer_load_dword v3, v1, s[0:3], 0 offen
	buffer_load_dword v4, v1, s[0:3], 0 offen offset:4
	buffer_load_dword v49, v1, s[0:3], 0 offen offset:8
	;; [unrolled: 1-line block ×6, first 2 shown]
	buffer_load_dword v54, v2, s[0:3], 0 offen
	s_waitcnt vmcnt(7)
	buffer_store_dword v3, v2, s[0:3], 0 offen
	s_waitcnt vmcnt(6)
	buffer_store_dword v4, v2, s[0:3], 0 offen offset:4
	s_waitcnt vmcnt(5)
	buffer_store_dword v49, v2, s[0:3], 0 offen offset:8
	;; [unrolled: 2-line block ×6, first 2 shown]
	s_waitcnt vmcnt(0)
	buffer_store_dword v54, v1, s[0:3], 0 offen
.LBB21_154:
	global_load_dword v0, v0, s[20:21] offset:64
	s_waitcnt vmcnt(0)
	v_add_nc_u32_e32 v0, -1, v0
	v_cmp_eq_u32_e32 vcc_lo, 16, v0
	s_cbranch_vccnz .LBB21_156
; %bb.155:
	v_lshlrev_b32_e32 v0, 4, v0
	v_mov_b32_e32 v1, s15
	v_add_nc_u32_e32 v0, 16, v0
	s_clause 0x7
	buffer_load_dword v2, v0, s[0:3], 0 offen
	buffer_load_dword v3, v0, s[0:3], 0 offen offset:4
	buffer_load_dword v4, v0, s[0:3], 0 offen offset:8
	;; [unrolled: 1-line block ×6, first 2 shown]
	buffer_load_dword v53, v1, s[0:3], 0 offen
	s_waitcnt vmcnt(7)
	buffer_store_dword v2, v1, s[0:3], 0 offen
	s_waitcnt vmcnt(6)
	buffer_store_dword v3, v1, s[0:3], 0 offen offset:4
	s_waitcnt vmcnt(5)
	buffer_store_dword v4, v1, s[0:3], 0 offen offset:8
	;; [unrolled: 2-line block ×6, first 2 shown]
	s_waitcnt vmcnt(0)
	buffer_store_dword v53, v0, s[0:3], 0 offen
.LBB21_156:
	v_mov_b32_e32 v0, 0
	global_load_dword v1, v0, s[20:21] offset:60
	s_waitcnt vmcnt(0)
	v_add_nc_u32_e32 v1, -1, v1
	v_cmp_eq_u32_e32 vcc_lo, 15, v1
	s_cbranch_vccnz .LBB21_158
; %bb.157:
	v_lshlrev_b32_e32 v1, 4, v1
	v_mov_b32_e32 v2, s16
	v_add_nc_u32_e32 v1, 16, v1
	s_clause 0x7
	buffer_load_dword v3, v1, s[0:3], 0 offen
	buffer_load_dword v4, v1, s[0:3], 0 offen offset:4
	buffer_load_dword v49, v1, s[0:3], 0 offen offset:8
	;; [unrolled: 1-line block ×6, first 2 shown]
	buffer_load_dword v54, v2, s[0:3], 0 offen
	s_waitcnt vmcnt(7)
	buffer_store_dword v3, v2, s[0:3], 0 offen
	s_waitcnt vmcnt(6)
	buffer_store_dword v4, v2, s[0:3], 0 offen offset:4
	s_waitcnt vmcnt(5)
	buffer_store_dword v49, v2, s[0:3], 0 offen offset:8
	;; [unrolled: 2-line block ×6, first 2 shown]
	s_waitcnt vmcnt(0)
	buffer_store_dword v54, v1, s[0:3], 0 offen
.LBB21_158:
	global_load_dword v0, v0, s[20:21] offset:56
	s_waitcnt vmcnt(0)
	v_add_nc_u32_e32 v0, -1, v0
	v_cmp_eq_u32_e32 vcc_lo, 14, v0
	s_cbranch_vccnz .LBB21_160
; %bb.159:
	v_lshlrev_b32_e32 v0, 4, v0
	v_mov_b32_e32 v1, s17
	v_add_nc_u32_e32 v0, 16, v0
	s_clause 0x7
	buffer_load_dword v2, v0, s[0:3], 0 offen
	buffer_load_dword v3, v0, s[0:3], 0 offen offset:4
	buffer_load_dword v4, v0, s[0:3], 0 offen offset:8
	;; [unrolled: 1-line block ×6, first 2 shown]
	buffer_load_dword v53, v1, s[0:3], 0 offen
	s_waitcnt vmcnt(7)
	buffer_store_dword v2, v1, s[0:3], 0 offen
	s_waitcnt vmcnt(6)
	buffer_store_dword v3, v1, s[0:3], 0 offen offset:4
	s_waitcnt vmcnt(5)
	buffer_store_dword v4, v1, s[0:3], 0 offen offset:8
	;; [unrolled: 2-line block ×6, first 2 shown]
	s_waitcnt vmcnt(0)
	buffer_store_dword v53, v0, s[0:3], 0 offen
.LBB21_160:
	v_mov_b32_e32 v0, 0
	global_load_dword v1, v0, s[20:21] offset:52
	s_waitcnt vmcnt(0)
	v_add_nc_u32_e32 v1, -1, v1
	v_cmp_eq_u32_e32 vcc_lo, 13, v1
	s_cbranch_vccnz .LBB21_162
; %bb.161:
	v_lshlrev_b32_e32 v1, 4, v1
	v_mov_b32_e32 v2, s18
	v_add_nc_u32_e32 v1, 16, v1
	s_clause 0x7
	buffer_load_dword v3, v1, s[0:3], 0 offen
	buffer_load_dword v4, v1, s[0:3], 0 offen offset:4
	buffer_load_dword v49, v1, s[0:3], 0 offen offset:8
	;; [unrolled: 1-line block ×6, first 2 shown]
	buffer_load_dword v54, v2, s[0:3], 0 offen
	s_waitcnt vmcnt(7)
	buffer_store_dword v3, v2, s[0:3], 0 offen
	s_waitcnt vmcnt(6)
	buffer_store_dword v4, v2, s[0:3], 0 offen offset:4
	s_waitcnt vmcnt(5)
	buffer_store_dword v49, v2, s[0:3], 0 offen offset:8
	;; [unrolled: 2-line block ×6, first 2 shown]
	s_waitcnt vmcnt(0)
	buffer_store_dword v54, v1, s[0:3], 0 offen
.LBB21_162:
	global_load_dword v0, v0, s[20:21] offset:48
	s_waitcnt vmcnt(0)
	v_add_nc_u32_e32 v0, -1, v0
	v_cmp_eq_u32_e32 vcc_lo, 12, v0
	s_cbranch_vccnz .LBB21_164
; %bb.163:
	v_lshlrev_b32_e32 v0, 4, v0
	v_mov_b32_e32 v1, s19
	v_add_nc_u32_e32 v0, 16, v0
	s_clause 0x7
	buffer_load_dword v2, v0, s[0:3], 0 offen
	buffer_load_dword v3, v0, s[0:3], 0 offen offset:4
	buffer_load_dword v4, v0, s[0:3], 0 offen offset:8
	;; [unrolled: 1-line block ×6, first 2 shown]
	buffer_load_dword v53, v1, s[0:3], 0 offen
	s_waitcnt vmcnt(7)
	buffer_store_dword v2, v1, s[0:3], 0 offen
	s_waitcnt vmcnt(6)
	buffer_store_dword v3, v1, s[0:3], 0 offen offset:4
	s_waitcnt vmcnt(5)
	buffer_store_dword v4, v1, s[0:3], 0 offen offset:8
	;; [unrolled: 2-line block ×6, first 2 shown]
	s_waitcnt vmcnt(0)
	buffer_store_dword v53, v0, s[0:3], 0 offen
.LBB21_164:
	v_mov_b32_e32 v0, 0
	global_load_dword v1, v0, s[20:21] offset:44
	s_waitcnt vmcnt(0)
	v_add_nc_u32_e32 v1, -1, v1
	v_cmp_eq_u32_e32 vcc_lo, 11, v1
	s_cbranch_vccnz .LBB21_166
; %bb.165:
	v_lshlrev_b32_e32 v1, 4, v1
	v_mov_b32_e32 v2, s22
	v_add_nc_u32_e32 v1, 16, v1
	s_clause 0x7
	buffer_load_dword v3, v1, s[0:3], 0 offen
	buffer_load_dword v4, v1, s[0:3], 0 offen offset:4
	buffer_load_dword v49, v1, s[0:3], 0 offen offset:8
	;; [unrolled: 1-line block ×6, first 2 shown]
	buffer_load_dword v54, v2, s[0:3], 0 offen
	s_waitcnt vmcnt(7)
	buffer_store_dword v3, v2, s[0:3], 0 offen
	s_waitcnt vmcnt(6)
	buffer_store_dword v4, v2, s[0:3], 0 offen offset:4
	s_waitcnt vmcnt(5)
	buffer_store_dword v49, v2, s[0:3], 0 offen offset:8
	s_waitcnt vmcnt(4)
	buffer_store_dword v50, v2, s[0:3], 0 offen offset:12
	s_waitcnt vmcnt(3)
	buffer_store_dword v51, v1, s[0:3], 0 offen offset:12
	s_waitcnt vmcnt(2)
	buffer_store_dword v52, v1, s[0:3], 0 offen offset:8
	s_waitcnt vmcnt(1)
	buffer_store_dword v53, v1, s[0:3], 0 offen offset:4
	s_waitcnt vmcnt(0)
	buffer_store_dword v54, v1, s[0:3], 0 offen
.LBB21_166:
	global_load_dword v0, v0, s[20:21] offset:40
	s_waitcnt vmcnt(0)
	v_add_nc_u32_e32 v0, -1, v0
	v_cmp_eq_u32_e32 vcc_lo, 10, v0
	s_cbranch_vccnz .LBB21_168
; %bb.167:
	v_lshlrev_b32_e32 v0, 4, v0
	v_mov_b32_e32 v1, s23
	v_add_nc_u32_e32 v0, 16, v0
	s_clause 0x7
	buffer_load_dword v2, v0, s[0:3], 0 offen
	buffer_load_dword v3, v0, s[0:3], 0 offen offset:4
	buffer_load_dword v4, v0, s[0:3], 0 offen offset:8
	;; [unrolled: 1-line block ×6, first 2 shown]
	buffer_load_dword v53, v1, s[0:3], 0 offen
	s_waitcnt vmcnt(7)
	buffer_store_dword v2, v1, s[0:3], 0 offen
	s_waitcnt vmcnt(6)
	buffer_store_dword v3, v1, s[0:3], 0 offen offset:4
	s_waitcnt vmcnt(5)
	buffer_store_dword v4, v1, s[0:3], 0 offen offset:8
	;; [unrolled: 2-line block ×6, first 2 shown]
	s_waitcnt vmcnt(0)
	buffer_store_dword v53, v0, s[0:3], 0 offen
.LBB21_168:
	v_mov_b32_e32 v0, 0
	global_load_dword v1, v0, s[20:21] offset:36
	s_waitcnt vmcnt(0)
	v_add_nc_u32_e32 v1, -1, v1
	v_cmp_eq_u32_e32 vcc_lo, 9, v1
	s_cbranch_vccnz .LBB21_170
; %bb.169:
	v_lshlrev_b32_e32 v1, 4, v1
	v_mov_b32_e32 v2, s24
	v_add_nc_u32_e32 v1, 16, v1
	s_clause 0x7
	buffer_load_dword v3, v1, s[0:3], 0 offen
	buffer_load_dword v4, v1, s[0:3], 0 offen offset:4
	buffer_load_dword v49, v1, s[0:3], 0 offen offset:8
	buffer_load_dword v50, v1, s[0:3], 0 offen offset:12
	buffer_load_dword v51, v2, s[0:3], 0 offen offset:12
	buffer_load_dword v52, v2, s[0:3], 0 offen offset:8
	buffer_load_dword v53, v2, s[0:3], 0 offen offset:4
	buffer_load_dword v54, v2, s[0:3], 0 offen
	s_waitcnt vmcnt(7)
	buffer_store_dword v3, v2, s[0:3], 0 offen
	s_waitcnt vmcnt(6)
	buffer_store_dword v4, v2, s[0:3], 0 offen offset:4
	s_waitcnt vmcnt(5)
	buffer_store_dword v49, v2, s[0:3], 0 offen offset:8
	;; [unrolled: 2-line block ×6, first 2 shown]
	s_waitcnt vmcnt(0)
	buffer_store_dword v54, v1, s[0:3], 0 offen
.LBB21_170:
	global_load_dword v0, v0, s[20:21] offset:32
	s_waitcnt vmcnt(0)
	v_add_nc_u32_e32 v0, -1, v0
	v_cmp_eq_u32_e32 vcc_lo, 8, v0
	s_cbranch_vccnz .LBB21_172
; %bb.171:
	v_lshlrev_b32_e32 v0, 4, v0
	v_mov_b32_e32 v1, s25
	v_add_nc_u32_e32 v0, 16, v0
	s_clause 0x7
	buffer_load_dword v2, v0, s[0:3], 0 offen
	buffer_load_dword v3, v0, s[0:3], 0 offen offset:4
	buffer_load_dword v4, v0, s[0:3], 0 offen offset:8
	;; [unrolled: 1-line block ×6, first 2 shown]
	buffer_load_dword v53, v1, s[0:3], 0 offen
	s_waitcnt vmcnt(7)
	buffer_store_dword v2, v1, s[0:3], 0 offen
	s_waitcnt vmcnt(6)
	buffer_store_dword v3, v1, s[0:3], 0 offen offset:4
	s_waitcnt vmcnt(5)
	buffer_store_dword v4, v1, s[0:3], 0 offen offset:8
	s_waitcnt vmcnt(4)
	buffer_store_dword v49, v1, s[0:3], 0 offen offset:12
	s_waitcnt vmcnt(3)
	buffer_store_dword v50, v0, s[0:3], 0 offen offset:12
	s_waitcnt vmcnt(2)
	buffer_store_dword v51, v0, s[0:3], 0 offen offset:8
	s_waitcnt vmcnt(1)
	buffer_store_dword v52, v0, s[0:3], 0 offen offset:4
	s_waitcnt vmcnt(0)
	buffer_store_dword v53, v0, s[0:3], 0 offen
.LBB21_172:
	v_mov_b32_e32 v0, 0
	global_load_dword v1, v0, s[20:21] offset:28
	s_waitcnt vmcnt(0)
	v_add_nc_u32_e32 v1, -1, v1
	v_cmp_eq_u32_e32 vcc_lo, 7, v1
	s_cbranch_vccnz .LBB21_174
; %bb.173:
	v_lshlrev_b32_e32 v1, 4, v1
	v_mov_b32_e32 v2, s26
	v_add_nc_u32_e32 v1, 16, v1
	s_clause 0x7
	buffer_load_dword v3, v1, s[0:3], 0 offen
	buffer_load_dword v4, v1, s[0:3], 0 offen offset:4
	buffer_load_dword v49, v1, s[0:3], 0 offen offset:8
	;; [unrolled: 1-line block ×6, first 2 shown]
	buffer_load_dword v54, v2, s[0:3], 0 offen
	s_waitcnt vmcnt(7)
	buffer_store_dword v3, v2, s[0:3], 0 offen
	s_waitcnt vmcnt(6)
	buffer_store_dword v4, v2, s[0:3], 0 offen offset:4
	s_waitcnt vmcnt(5)
	buffer_store_dword v49, v2, s[0:3], 0 offen offset:8
	s_waitcnt vmcnt(4)
	buffer_store_dword v50, v2, s[0:3], 0 offen offset:12
	s_waitcnt vmcnt(3)
	buffer_store_dword v51, v1, s[0:3], 0 offen offset:12
	s_waitcnt vmcnt(2)
	buffer_store_dword v52, v1, s[0:3], 0 offen offset:8
	s_waitcnt vmcnt(1)
	buffer_store_dword v53, v1, s[0:3], 0 offen offset:4
	s_waitcnt vmcnt(0)
	buffer_store_dword v54, v1, s[0:3], 0 offen
.LBB21_174:
	global_load_dword v0, v0, s[20:21] offset:24
	s_waitcnt vmcnt(0)
	v_add_nc_u32_e32 v0, -1, v0
	v_cmp_eq_u32_e32 vcc_lo, 6, v0
	s_cbranch_vccnz .LBB21_176
; %bb.175:
	v_lshlrev_b32_e32 v0, 4, v0
	v_mov_b32_e32 v1, s27
	v_add_nc_u32_e32 v0, 16, v0
	s_clause 0x7
	buffer_load_dword v2, v0, s[0:3], 0 offen
	buffer_load_dword v3, v0, s[0:3], 0 offen offset:4
	buffer_load_dword v4, v0, s[0:3], 0 offen offset:8
	;; [unrolled: 1-line block ×6, first 2 shown]
	buffer_load_dword v53, v1, s[0:3], 0 offen
	s_waitcnt vmcnt(7)
	buffer_store_dword v2, v1, s[0:3], 0 offen
	s_waitcnt vmcnt(6)
	buffer_store_dword v3, v1, s[0:3], 0 offen offset:4
	s_waitcnt vmcnt(5)
	buffer_store_dword v4, v1, s[0:3], 0 offen offset:8
	;; [unrolled: 2-line block ×6, first 2 shown]
	s_waitcnt vmcnt(0)
	buffer_store_dword v53, v0, s[0:3], 0 offen
.LBB21_176:
	v_mov_b32_e32 v0, 0
	global_load_dword v1, v0, s[20:21] offset:20
	s_waitcnt vmcnt(0)
	v_add_nc_u32_e32 v1, -1, v1
	v_cmp_eq_u32_e32 vcc_lo, 5, v1
	s_cbranch_vccnz .LBB21_178
; %bb.177:
	v_lshlrev_b32_e32 v1, 4, v1
	v_mov_b32_e32 v2, s28
	v_add_nc_u32_e32 v1, 16, v1
	s_clause 0x7
	buffer_load_dword v3, v1, s[0:3], 0 offen
	buffer_load_dword v4, v1, s[0:3], 0 offen offset:4
	buffer_load_dword v49, v1, s[0:3], 0 offen offset:8
	;; [unrolled: 1-line block ×6, first 2 shown]
	buffer_load_dword v54, v2, s[0:3], 0 offen
	s_waitcnt vmcnt(7)
	buffer_store_dword v3, v2, s[0:3], 0 offen
	s_waitcnt vmcnt(6)
	buffer_store_dword v4, v2, s[0:3], 0 offen offset:4
	s_waitcnt vmcnt(5)
	buffer_store_dword v49, v2, s[0:3], 0 offen offset:8
	;; [unrolled: 2-line block ×6, first 2 shown]
	s_waitcnt vmcnt(0)
	buffer_store_dword v54, v1, s[0:3], 0 offen
.LBB21_178:
	global_load_dword v0, v0, s[20:21] offset:16
	s_waitcnt vmcnt(0)
	v_add_nc_u32_e32 v0, -1, v0
	v_cmp_eq_u32_e32 vcc_lo, 4, v0
	s_cbranch_vccnz .LBB21_180
; %bb.179:
	v_lshlrev_b32_e32 v0, 4, v0
	v_mov_b32_e32 v1, s29
	v_add_nc_u32_e32 v0, 16, v0
	s_clause 0x7
	buffer_load_dword v2, v0, s[0:3], 0 offen
	buffer_load_dword v3, v0, s[0:3], 0 offen offset:4
	buffer_load_dword v4, v0, s[0:3], 0 offen offset:8
	;; [unrolled: 1-line block ×6, first 2 shown]
	buffer_load_dword v53, v1, s[0:3], 0 offen
	s_waitcnt vmcnt(7)
	buffer_store_dword v2, v1, s[0:3], 0 offen
	s_waitcnt vmcnt(6)
	buffer_store_dword v3, v1, s[0:3], 0 offen offset:4
	s_waitcnt vmcnt(5)
	buffer_store_dword v4, v1, s[0:3], 0 offen offset:8
	;; [unrolled: 2-line block ×6, first 2 shown]
	s_waitcnt vmcnt(0)
	buffer_store_dword v53, v0, s[0:3], 0 offen
.LBB21_180:
	v_mov_b32_e32 v0, 0
	global_load_dword v1, v0, s[20:21] offset:12
	s_waitcnt vmcnt(0)
	v_add_nc_u32_e32 v1, -1, v1
	v_cmp_eq_u32_e32 vcc_lo, 3, v1
	s_cbranch_vccnz .LBB21_182
; %bb.181:
	v_lshlrev_b32_e32 v1, 4, v1
	v_mov_b32_e32 v2, s30
	v_add_nc_u32_e32 v1, 16, v1
	s_clause 0x7
	buffer_load_dword v3, v1, s[0:3], 0 offen
	buffer_load_dword v4, v1, s[0:3], 0 offen offset:4
	buffer_load_dword v49, v1, s[0:3], 0 offen offset:8
	;; [unrolled: 1-line block ×6, first 2 shown]
	buffer_load_dword v54, v2, s[0:3], 0 offen
	s_waitcnt vmcnt(7)
	buffer_store_dword v3, v2, s[0:3], 0 offen
	s_waitcnt vmcnt(6)
	buffer_store_dword v4, v2, s[0:3], 0 offen offset:4
	s_waitcnt vmcnt(5)
	buffer_store_dword v49, v2, s[0:3], 0 offen offset:8
	;; [unrolled: 2-line block ×6, first 2 shown]
	s_waitcnt vmcnt(0)
	buffer_store_dword v54, v1, s[0:3], 0 offen
.LBB21_182:
	global_load_dword v0, v0, s[20:21] offset:8
	s_waitcnt vmcnt(0)
	v_add_nc_u32_e32 v0, -1, v0
	v_cmp_eq_u32_e32 vcc_lo, 2, v0
	s_cbranch_vccnz .LBB21_184
; %bb.183:
	v_lshlrev_b32_e32 v0, 4, v0
	v_mov_b32_e32 v1, s31
	v_add_nc_u32_e32 v0, 16, v0
	s_clause 0x7
	buffer_load_dword v2, v0, s[0:3], 0 offen
	buffer_load_dword v3, v0, s[0:3], 0 offen offset:4
	buffer_load_dword v4, v0, s[0:3], 0 offen offset:8
	;; [unrolled: 1-line block ×6, first 2 shown]
	buffer_load_dword v53, v1, s[0:3], 0 offen
	s_waitcnt vmcnt(7)
	buffer_store_dword v2, v1, s[0:3], 0 offen
	s_waitcnt vmcnt(6)
	buffer_store_dword v3, v1, s[0:3], 0 offen offset:4
	s_waitcnt vmcnt(5)
	buffer_store_dword v4, v1, s[0:3], 0 offen offset:8
	;; [unrolled: 2-line block ×6, first 2 shown]
	s_waitcnt vmcnt(0)
	buffer_store_dword v53, v0, s[0:3], 0 offen
.LBB21_184:
	v_mov_b32_e32 v0, 0
	global_load_dword v1, v0, s[20:21] offset:4
	s_waitcnt vmcnt(0)
	v_add_nc_u32_e32 v1, -1, v1
	v_cmp_eq_u32_e32 vcc_lo, 1, v1
	s_cbranch_vccnz .LBB21_186
; %bb.185:
	v_lshlrev_b32_e32 v1, 4, v1
	v_mov_b32_e32 v2, s33
	v_add_nc_u32_e32 v1, 16, v1
	s_clause 0x7
	buffer_load_dword v3, v1, s[0:3], 0 offen
	buffer_load_dword v4, v1, s[0:3], 0 offen offset:4
	buffer_load_dword v49, v1, s[0:3], 0 offen offset:8
	buffer_load_dword v50, v1, s[0:3], 0 offen offset:12
	buffer_load_dword v51, v2, s[0:3], 0 offen offset:12
	buffer_load_dword v52, v2, s[0:3], 0 offen offset:8
	buffer_load_dword v53, v2, s[0:3], 0 offen offset:4
	buffer_load_dword v54, v2, s[0:3], 0 offen
	s_waitcnt vmcnt(7)
	buffer_store_dword v3, v2, s[0:3], 0 offen
	s_waitcnt vmcnt(6)
	buffer_store_dword v4, v2, s[0:3], 0 offen offset:4
	s_waitcnt vmcnt(5)
	buffer_store_dword v49, v2, s[0:3], 0 offen offset:8
	;; [unrolled: 2-line block ×6, first 2 shown]
	s_waitcnt vmcnt(0)
	buffer_store_dword v54, v1, s[0:3], 0 offen
.LBB21_186:
	global_load_dword v0, v0, s[20:21]
	s_waitcnt vmcnt(0)
	v_add_nc_u32_e32 v0, -1, v0
	v_cmp_eq_u32_e32 vcc_lo, 0, v0
	s_cbranch_vccnz .LBB21_188
; %bb.187:
	v_lshlrev_b32_e32 v0, 4, v0
	v_add_nc_u32_e32 v0, 16, v0
	s_clause 0x7
	buffer_load_dword v1, v0, s[0:3], 0 offen
	buffer_load_dword v2, v0, s[0:3], 0 offen offset:4
	buffer_load_dword v3, v0, s[0:3], 0 offen offset:8
	;; [unrolled: 1-line block ×3, first 2 shown]
	buffer_load_dword v49, off, s[0:3], 0 offset:28
	buffer_load_dword v50, off, s[0:3], 0 offset:24
	;; [unrolled: 1-line block ×4, first 2 shown]
	s_waitcnt vmcnt(7)
	buffer_store_dword v1, off, s[0:3], 0 offset:16
	s_waitcnt vmcnt(6)
	buffer_store_dword v2, off, s[0:3], 0 offset:20
	;; [unrolled: 2-line block ×4, first 2 shown]
	s_waitcnt vmcnt(3)
	buffer_store_dword v49, v0, s[0:3], 0 offen offset:12
	s_waitcnt vmcnt(2)
	buffer_store_dword v50, v0, s[0:3], 0 offen offset:8
	;; [unrolled: 2-line block ×3, first 2 shown]
	s_waitcnt vmcnt(0)
	buffer_store_dword v52, v0, s[0:3], 0 offen
.LBB21_188:
	v_mov_b32_e32 v56, s31
	v_mov_b32_e32 v64, s29
	;; [unrolled: 1-line block ×5, first 2 shown]
	s_clause 0x7
	buffer_load_dword v0, off, s[0:3], 0 offset:16
	buffer_load_dword v1, off, s[0:3], 0 offset:20
	;; [unrolled: 1-line block ×4, first 2 shown]
	buffer_load_dword v49, v4, s[0:3], 0 offen
	buffer_load_dword v50, v4, s[0:3], 0 offen offset:4
	buffer_load_dword v51, v4, s[0:3], 0 offen offset:8
	buffer_load_dword v52, v4, s[0:3], 0 offen offset:12
	v_mov_b32_e32 v4, s30
	v_mov_b32_e32 v88, s23
	s_clause 0x7
	buffer_load_dword v53, v56, s[0:3], 0 offen
	buffer_load_dword v54, v56, s[0:3], 0 offen offset:4
	buffer_load_dword v55, v56, s[0:3], 0 offen offset:8
	buffer_load_dword v56, v56, s[0:3], 0 offen offset:12
	buffer_load_dword v57, v4, s[0:3], 0 offen
	buffer_load_dword v58, v4, s[0:3], 0 offen offset:4
	buffer_load_dword v59, v4, s[0:3], 0 offen offset:8
	buffer_load_dword v60, v4, s[0:3], 0 offen offset:12
	v_mov_b32_e32 v4, s28
	v_mov_b32_e32 v96, s19
	s_clause 0x7
	buffer_load_dword v61, v64, s[0:3], 0 offen
	buffer_load_dword v62, v64, s[0:3], 0 offen offset:4
	buffer_load_dword v63, v64, s[0:3], 0 offen offset:8
	buffer_load_dword v64, v64, s[0:3], 0 offen offset:12
	buffer_load_dword v65, v4, s[0:3], 0 offen
	buffer_load_dword v66, v4, s[0:3], 0 offen offset:4
	buffer_load_dword v67, v4, s[0:3], 0 offen offset:8
	buffer_load_dword v68, v4, s[0:3], 0 offen offset:12
	v_mov_b32_e32 v4, s26
	v_mov_b32_e32 v104, s17
	s_clause 0x7
	buffer_load_dword v69, v72, s[0:3], 0 offen
	buffer_load_dword v70, v72, s[0:3], 0 offen offset:4
	buffer_load_dword v71, v72, s[0:3], 0 offen offset:8
	buffer_load_dword v72, v72, s[0:3], 0 offen offset:12
	buffer_load_dword v73, v4, s[0:3], 0 offen
	buffer_load_dword v74, v4, s[0:3], 0 offen offset:4
	buffer_load_dword v75, v4, s[0:3], 0 offen offset:8
	buffer_load_dword v76, v4, s[0:3], 0 offen offset:12
	v_mov_b32_e32 v4, s24
	v_mov_b32_e32 v112, s15
	s_clause 0x7
	buffer_load_dword v77, v80, s[0:3], 0 offen
	buffer_load_dword v78, v80, s[0:3], 0 offen offset:4
	buffer_load_dword v79, v80, s[0:3], 0 offen offset:8
	buffer_load_dword v80, v80, s[0:3], 0 offen offset:12
	buffer_load_dword v81, v4, s[0:3], 0 offen
	buffer_load_dword v82, v4, s[0:3], 0 offen offset:4
	buffer_load_dword v83, v4, s[0:3], 0 offen offset:8
	buffer_load_dword v84, v4, s[0:3], 0 offen offset:12
	v_mov_b32_e32 v4, s22
	v_mov_b32_e32 v120, s13
	s_clause 0x7
	buffer_load_dword v85, v88, s[0:3], 0 offen
	buffer_load_dword v86, v88, s[0:3], 0 offen offset:4
	buffer_load_dword v87, v88, s[0:3], 0 offen offset:8
	buffer_load_dword v88, v88, s[0:3], 0 offen offset:12
	buffer_load_dword v89, v4, s[0:3], 0 offen
	buffer_load_dword v90, v4, s[0:3], 0 offen offset:4
	buffer_load_dword v91, v4, s[0:3], 0 offen offset:8
	buffer_load_dword v92, v4, s[0:3], 0 offen offset:12
	v_mov_b32_e32 v4, s18
	v_mov_b32_e32 v128, s9
	s_clause 0x7
	buffer_load_dword v93, v96, s[0:3], 0 offen
	buffer_load_dword v94, v96, s[0:3], 0 offen offset:4
	buffer_load_dword v95, v96, s[0:3], 0 offen offset:8
	buffer_load_dword v96, v96, s[0:3], 0 offen offset:12
	buffer_load_dword v97, v4, s[0:3], 0 offen
	buffer_load_dword v98, v4, s[0:3], 0 offen offset:4
	buffer_load_dword v99, v4, s[0:3], 0 offen offset:8
	buffer_load_dword v100, v4, s[0:3], 0 offen offset:12
	v_mov_b32_e32 v4, s16
	s_clause 0x7
	buffer_load_dword v101, v104, s[0:3], 0 offen
	buffer_load_dword v102, v104, s[0:3], 0 offen offset:4
	buffer_load_dword v103, v104, s[0:3], 0 offen offset:8
	buffer_load_dword v104, v104, s[0:3], 0 offen offset:12
	buffer_load_dword v105, v4, s[0:3], 0 offen
	buffer_load_dword v106, v4, s[0:3], 0 offen offset:4
	buffer_load_dword v107, v4, s[0:3], 0 offen offset:8
	buffer_load_dword v108, v4, s[0:3], 0 offen offset:12
	v_mov_b32_e32 v4, s14
	s_clause 0x7
	buffer_load_dword v109, v112, s[0:3], 0 offen
	buffer_load_dword v110, v112, s[0:3], 0 offen offset:4
	buffer_load_dword v111, v112, s[0:3], 0 offen offset:8
	buffer_load_dword v112, v112, s[0:3], 0 offen offset:12
	;; [unrolled: 10-line block ×4, first 2 shown]
	buffer_load_dword v129, v4, s[0:3], 0 offen
	buffer_load_dword v130, v4, s[0:3], 0 offen offset:4
	buffer_load_dword v131, v4, s[0:3], 0 offen offset:8
	buffer_load_dword v132, v4, s[0:3], 0 offen offset:12
	s_waitcnt vmcnt(62)
	global_store_dwordx4 v[5:6], v[0:3], off
	global_store_dwordx4 v[7:8], v[49:52], off
	;; [unrolled: 1-line block ×6, first 2 shown]
	s_waitcnt vmcnt(60)
	global_store_dwordx4 v[17:18], v[69:72], off
	s_waitcnt vmcnt(56)
	global_store_dwordx4 v[19:20], v[73:76], off
	;; [unrolled: 2-line block ×16, first 2 shown]
	s_endpgm
	.section	.rodata,"a",@progbits
	.p2align	6, 0x0
	.amdhsa_kernel _ZN9rocsolver6v33100L18getri_kernel_smallILi22E19rocblas_complex_numIdEPS3_EEvT1_iilPiilS6_bb
		.amdhsa_group_segment_fixed_size 712
		.amdhsa_private_segment_fixed_size 384
		.amdhsa_kernarg_size 60
		.amdhsa_user_sgpr_count 6
		.amdhsa_user_sgpr_private_segment_buffer 1
		.amdhsa_user_sgpr_dispatch_ptr 0
		.amdhsa_user_sgpr_queue_ptr 0
		.amdhsa_user_sgpr_kernarg_segment_ptr 1
		.amdhsa_user_sgpr_dispatch_id 0
		.amdhsa_user_sgpr_flat_scratch_init 0
		.amdhsa_user_sgpr_private_segment_size 0
		.amdhsa_wavefront_size32 1
		.amdhsa_uses_dynamic_stack 0
		.amdhsa_system_sgpr_private_segment_wavefront_offset 1
		.amdhsa_system_sgpr_workgroup_id_x 1
		.amdhsa_system_sgpr_workgroup_id_y 0
		.amdhsa_system_sgpr_workgroup_id_z 0
		.amdhsa_system_sgpr_workgroup_info 0
		.amdhsa_system_vgpr_workitem_id 0
		.amdhsa_next_free_vgpr 136
		.amdhsa_next_free_sgpr 44
		.amdhsa_reserve_vcc 1
		.amdhsa_reserve_flat_scratch 0
		.amdhsa_float_round_mode_32 0
		.amdhsa_float_round_mode_16_64 0
		.amdhsa_float_denorm_mode_32 3
		.amdhsa_float_denorm_mode_16_64 3
		.amdhsa_dx10_clamp 1
		.amdhsa_ieee_mode 1
		.amdhsa_fp16_overflow 0
		.amdhsa_workgroup_processor_mode 1
		.amdhsa_memory_ordered 1
		.amdhsa_forward_progress 1
		.amdhsa_shared_vgpr_count 0
		.amdhsa_exception_fp_ieee_invalid_op 0
		.amdhsa_exception_fp_denorm_src 0
		.amdhsa_exception_fp_ieee_div_zero 0
		.amdhsa_exception_fp_ieee_overflow 0
		.amdhsa_exception_fp_ieee_underflow 0
		.amdhsa_exception_fp_ieee_inexact 0
		.amdhsa_exception_int_div_zero 0
	.end_amdhsa_kernel
	.section	.text._ZN9rocsolver6v33100L18getri_kernel_smallILi22E19rocblas_complex_numIdEPS3_EEvT1_iilPiilS6_bb,"axG",@progbits,_ZN9rocsolver6v33100L18getri_kernel_smallILi22E19rocblas_complex_numIdEPS3_EEvT1_iilPiilS6_bb,comdat
.Lfunc_end21:
	.size	_ZN9rocsolver6v33100L18getri_kernel_smallILi22E19rocblas_complex_numIdEPS3_EEvT1_iilPiilS6_bb, .Lfunc_end21-_ZN9rocsolver6v33100L18getri_kernel_smallILi22E19rocblas_complex_numIdEPS3_EEvT1_iilPiilS6_bb
                                        ; -- End function
	.set _ZN9rocsolver6v33100L18getri_kernel_smallILi22E19rocblas_complex_numIdEPS3_EEvT1_iilPiilS6_bb.num_vgpr, 136
	.set _ZN9rocsolver6v33100L18getri_kernel_smallILi22E19rocblas_complex_numIdEPS3_EEvT1_iilPiilS6_bb.num_agpr, 0
	.set _ZN9rocsolver6v33100L18getri_kernel_smallILi22E19rocblas_complex_numIdEPS3_EEvT1_iilPiilS6_bb.numbered_sgpr, 44
	.set _ZN9rocsolver6v33100L18getri_kernel_smallILi22E19rocblas_complex_numIdEPS3_EEvT1_iilPiilS6_bb.num_named_barrier, 0
	.set _ZN9rocsolver6v33100L18getri_kernel_smallILi22E19rocblas_complex_numIdEPS3_EEvT1_iilPiilS6_bb.private_seg_size, 384
	.set _ZN9rocsolver6v33100L18getri_kernel_smallILi22E19rocblas_complex_numIdEPS3_EEvT1_iilPiilS6_bb.uses_vcc, 1
	.set _ZN9rocsolver6v33100L18getri_kernel_smallILi22E19rocblas_complex_numIdEPS3_EEvT1_iilPiilS6_bb.uses_flat_scratch, 0
	.set _ZN9rocsolver6v33100L18getri_kernel_smallILi22E19rocblas_complex_numIdEPS3_EEvT1_iilPiilS6_bb.has_dyn_sized_stack, 0
	.set _ZN9rocsolver6v33100L18getri_kernel_smallILi22E19rocblas_complex_numIdEPS3_EEvT1_iilPiilS6_bb.has_recursion, 0
	.set _ZN9rocsolver6v33100L18getri_kernel_smallILi22E19rocblas_complex_numIdEPS3_EEvT1_iilPiilS6_bb.has_indirect_call, 0
	.section	.AMDGPU.csdata,"",@progbits
; Kernel info:
; codeLenInByte = 43104
; TotalNumSgprs: 46
; NumVgprs: 136
; ScratchSize: 384
; MemoryBound: 0
; FloatMode: 240
; IeeeMode: 1
; LDSByteSize: 712 bytes/workgroup (compile time only)
; SGPRBlocks: 0
; VGPRBlocks: 16
; NumSGPRsForWavesPerEU: 46
; NumVGPRsForWavesPerEU: 136
; Occupancy: 7
; WaveLimiterHint : 1
; COMPUTE_PGM_RSRC2:SCRATCH_EN: 1
; COMPUTE_PGM_RSRC2:USER_SGPR: 6
; COMPUTE_PGM_RSRC2:TRAP_HANDLER: 0
; COMPUTE_PGM_RSRC2:TGID_X_EN: 1
; COMPUTE_PGM_RSRC2:TGID_Y_EN: 0
; COMPUTE_PGM_RSRC2:TGID_Z_EN: 0
; COMPUTE_PGM_RSRC2:TIDIG_COMP_CNT: 0
	.section	.text._ZN9rocsolver6v33100L18getri_kernel_smallILi23E19rocblas_complex_numIdEPS3_EEvT1_iilPiilS6_bb,"axG",@progbits,_ZN9rocsolver6v33100L18getri_kernel_smallILi23E19rocblas_complex_numIdEPS3_EEvT1_iilPiilS6_bb,comdat
	.globl	_ZN9rocsolver6v33100L18getri_kernel_smallILi23E19rocblas_complex_numIdEPS3_EEvT1_iilPiilS6_bb ; -- Begin function _ZN9rocsolver6v33100L18getri_kernel_smallILi23E19rocblas_complex_numIdEPS3_EEvT1_iilPiilS6_bb
	.p2align	8
	.type	_ZN9rocsolver6v33100L18getri_kernel_smallILi23E19rocblas_complex_numIdEPS3_EEvT1_iilPiilS6_bb,@function
_ZN9rocsolver6v33100L18getri_kernel_smallILi23E19rocblas_complex_numIdEPS3_EEvT1_iilPiilS6_bb: ; @_ZN9rocsolver6v33100L18getri_kernel_smallILi23E19rocblas_complex_numIdEPS3_EEvT1_iilPiilS6_bb
; %bb.0:
	s_add_u32 s0, s0, s7
	s_addc_u32 s1, s1, 0
	s_mov_b32 s7, exec_lo
	v_cmpx_gt_u32_e32 23, v0
	s_cbranch_execz .LBB22_106
; %bb.1:
	s_clause 0x2
	s_load_dword s7, s[4:5], 0x38
	s_load_dwordx4 s[16:19], s[4:5], 0x10
	s_load_dwordx4 s[8:11], s[4:5], 0x28
                                        ; implicit-def: $sgpr20_sgpr21
	s_waitcnt lgkmcnt(0)
	s_bitcmp1_b32 s7, 8
	s_cselect_b32 s35, -1, 0
	s_bfe_u32 s12, s7, 0x10008
	s_ashr_i32 s7, s6, 31
	s_cmp_eq_u32 s12, 0
	s_cbranch_scc1 .LBB22_3
; %bb.2:
	s_load_dword s12, s[4:5], 0x20
	s_mul_i32 s13, s8, s7
	s_mul_hi_u32 s14, s8, s6
	s_mul_i32 s9, s9, s6
	s_add_i32 s13, s14, s13
	s_mul_i32 s8, s8, s6
	s_add_i32 s9, s13, s9
	s_lshl_b64 s[8:9], s[8:9], 2
	s_waitcnt lgkmcnt(0)
	s_ashr_i32 s13, s12, 31
	s_add_u32 s14, s18, s8
	s_addc_u32 s15, s19, s9
	s_lshl_b64 s[8:9], s[12:13], 2
	s_add_u32 s20, s14, s8
	s_addc_u32 s21, s15, s9
.LBB22_3:
	s_clause 0x1
	s_load_dwordx4 s[12:15], s[4:5], 0x0
	s_load_dword s36, s[4:5], 0x38
	s_mul_i32 s4, s16, s7
	s_mul_hi_u32 s5, s16, s6
	s_mul_i32 s8, s17, s6
	s_add_i32 s5, s5, s4
	s_mul_i32 s4, s16, s6
	s_add_i32 s5, s5, s8
	v_lshlrev_b32_e32 v57, 4, v0
	s_lshl_b64 s[4:5], s[4:5], 4
	s_movk_i32 s16, 0xc0
	s_movk_i32 s17, 0xd0
	;; [unrolled: 1-line block ×10, first 2 shown]
	s_waitcnt lgkmcnt(0)
	v_add3_u32 v5, s15, s15, v0
	s_ashr_i32 s9, s14, 31
	s_mov_b32 s8, s14
	s_add_u32 s12, s12, s4
	s_addc_u32 s13, s13, s5
	v_add_nc_u32_e32 v7, s15, v5
	s_lshl_b64 s[4:5], s[8:9], 4
	v_ashrrev_i32_e32 v6, 31, v5
	s_add_u32 s4, s12, s4
	s_addc_u32 s5, s13, s5
	v_add_nc_u32_e32 v15, s15, v7
	v_ashrrev_i32_e32 v8, 31, v7
	v_add_co_u32 v9, s12, s4, v57
	s_mov_b32 s8, s15
	v_add_nc_u32_e32 v19, s15, v15
	v_ashrrev_i32_e32 v16, 31, v15
	s_ashr_i32 s9, s15, 31
	v_lshlrev_b64 v[13:14], 4, v[5:6]
	v_add_co_ci_u32_e64 v10, null, s5, 0, s12
	s_lshl_b64 s[8:9], s[8:9], 4
	v_lshlrev_b64 v[17:18], 4, v[7:8]
	v_add_nc_u32_e32 v23, s15, v19
	v_add_co_u32 v11, vcc_lo, v9, s8
	v_lshlrev_b64 v[21:22], 4, v[15:16]
	v_add_co_ci_u32_e64 v12, null, s9, v10, vcc_lo
	v_add_co_u32 v13, vcc_lo, s4, v13
	v_ashrrev_i32_e32 v24, 31, v23
	v_add_nc_u32_e32 v25, s15, v23
	v_add_co_ci_u32_e64 v14, null, s5, v14, vcc_lo
	v_add_co_u32 v15, vcc_lo, s4, v17
	v_add_co_ci_u32_e64 v16, null, s5, v18, vcc_lo
	v_add_co_u32 v17, vcc_lo, s4, v21
	v_add_co_ci_u32_e64 v18, null, s5, v22, vcc_lo
	v_lshlrev_b64 v[21:22], 4, v[23:24]
	v_add_nc_u32_e32 v23, s15, v25
	v_ashrrev_i32_e32 v20, 31, v19
	v_ashrrev_i32_e32 v26, 31, v25
	s_clause 0x1
	global_load_dwordx4 v[1:4], v57, s[4:5]
	global_load_dwordx4 v[5:8], v[11:12], off
	v_add_nc_u32_e32 v27, s15, v23
	v_lshlrev_b64 v[19:20], 4, v[19:20]
	v_ashrrev_i32_e32 v24, 31, v23
	v_lshlrev_b64 v[25:26], 4, v[25:26]
	global_load_dwordx4 v[58:61], v[13:14], off
	v_add_nc_u32_e32 v31, s15, v27
	v_ashrrev_i32_e32 v28, 31, v27
	v_add_co_u32 v19, vcc_lo, s4, v19
	v_lshlrev_b64 v[29:30], 4, v[23:24]
	v_add_co_ci_u32_e64 v20, null, s5, v20, vcc_lo
	v_add_co_u32 v21, vcc_lo, s4, v21
	v_ashrrev_i32_e32 v32, 31, v31
	v_add_nc_u32_e32 v33, s15, v31
	v_add_co_ci_u32_e64 v22, null, s5, v22, vcc_lo
	v_add_co_u32 v23, vcc_lo, s4, v25
	v_add_co_ci_u32_e64 v24, null, s5, v26, vcc_lo
	v_add_co_u32 v25, vcc_lo, s4, v29
	v_add_co_ci_u32_e64 v26, null, s5, v30, vcc_lo
	v_lshlrev_b64 v[29:30], 4, v[31:32]
	v_add_nc_u32_e32 v31, s15, v33
	v_ashrrev_i32_e32 v34, 31, v33
	v_lshlrev_b64 v[27:28], 4, v[27:28]
	s_clause 0x3
	global_load_dwordx4 v[62:65], v[15:16], off
	global_load_dwordx4 v[66:69], v[17:18], off
	;; [unrolled: 1-line block ×4, first 2 shown]
	v_add_nc_u32_e32 v35, s15, v31
	v_ashrrev_i32_e32 v32, 31, v31
	v_lshlrev_b64 v[33:34], 4, v[33:34]
	v_add_co_u32 v27, vcc_lo, s4, v27
	v_add_nc_u32_e32 v39, s15, v35
	v_lshlrev_b64 v[37:38], 4, v[31:32]
	v_add_co_ci_u32_e64 v28, null, s5, v28, vcc_lo
	v_add_co_u32 v29, vcc_lo, s4, v29
	v_ashrrev_i32_e32 v40, 31, v39
	v_add_nc_u32_e32 v41, s15, v39
	v_add_co_ci_u32_e64 v30, null, s5, v30, vcc_lo
	v_add_co_u32 v31, vcc_lo, s4, v33
	v_add_co_ci_u32_e64 v32, null, s5, v34, vcc_lo
	v_add_co_u32 v33, vcc_lo, s4, v37
	v_add_co_ci_u32_e64 v34, null, s5, v38, vcc_lo
	v_lshlrev_b64 v[37:38], 4, v[39:40]
	v_add_nc_u32_e32 v39, s15, v41
	v_ashrrev_i32_e32 v36, 31, v35
	v_ashrrev_i32_e32 v42, 31, v41
	s_clause 0x1
	global_load_dwordx4 v[78:81], v[23:24], off
	global_load_dwordx4 v[82:85], v[25:26], off
	v_add_nc_u32_e32 v43, s15, v39
	v_lshlrev_b64 v[35:36], 4, v[35:36]
	v_ashrrev_i32_e32 v40, 31, v39
	v_lshlrev_b64 v[41:42], 4, v[41:42]
	global_load_dwordx4 v[86:89], v[27:28], off
	v_add_nc_u32_e32 v47, s15, v43
	v_ashrrev_i32_e32 v44, 31, v43
	v_add_co_u32 v35, vcc_lo, s4, v35
	v_lshlrev_b64 v[45:46], 4, v[39:40]
	v_add_co_ci_u32_e64 v36, null, s5, v36, vcc_lo
	v_add_co_u32 v37, vcc_lo, s4, v37
	v_ashrrev_i32_e32 v48, 31, v47
	v_add_nc_u32_e32 v49, s15, v47
	v_add_co_ci_u32_e64 v38, null, s5, v38, vcc_lo
	v_add_co_u32 v39, vcc_lo, s4, v41
	v_add_co_ci_u32_e64 v40, null, s5, v42, vcc_lo
	v_add_co_u32 v41, vcc_lo, s4, v45
	v_add_co_ci_u32_e64 v42, null, s5, v46, vcc_lo
	v_lshlrev_b64 v[45:46], 4, v[47:48]
	v_add_nc_u32_e32 v47, s15, v49
	v_ashrrev_i32_e32 v50, 31, v49
	v_lshlrev_b64 v[43:44], 4, v[43:44]
	s_clause 0x3
	global_load_dwordx4 v[90:93], v[29:30], off
	global_load_dwordx4 v[94:97], v[31:32], off
	;; [unrolled: 1-line block ×4, first 2 shown]
	v_add_nc_u32_e32 v51, s15, v47
	v_ashrrev_i32_e32 v48, 31, v47
	v_lshlrev_b64 v[49:50], 4, v[49:50]
	v_add_co_u32 v43, vcc_lo, s4, v43
	v_add_nc_u32_e32 v55, s15, v51
	v_lshlrev_b64 v[53:54], 4, v[47:48]
	v_ashrrev_i32_e32 v52, 31, v51
	v_add_co_ci_u32_e64 v44, null, s5, v44, vcc_lo
	v_add_co_u32 v45, vcc_lo, s4, v45
	v_ashrrev_i32_e32 v56, 31, v55
	v_add_co_ci_u32_e64 v46, null, s5, v46, vcc_lo
	v_add_co_u32 v47, vcc_lo, s4, v49
	v_add_co_ci_u32_e64 v48, null, s5, v50, vcc_lo
	v_lshlrev_b64 v[51:52], 4, v[51:52]
	v_add_co_u32 v49, vcc_lo, s4, v53
	v_add_co_ci_u32_e64 v50, null, s5, v54, vcc_lo
	v_lshlrev_b64 v[53:54], 4, v[55:56]
	v_add_co_u32 v51, vcc_lo, s4, v51
	v_add_co_ci_u32_e64 v52, null, s5, v52, vcc_lo
	s_clause 0x1
	global_load_dwordx4 v[106:109], v[37:38], off
	global_load_dwordx4 v[110:113], v[39:40], off
	v_add_co_u32 v53, vcc_lo, s4, v53
	v_add_co_ci_u32_e64 v54, null, s5, v54, vcc_lo
	s_clause 0x6
	global_load_dwordx4 v[114:117], v[41:42], off
	global_load_dwordx4 v[118:121], v[43:44], off
	;; [unrolled: 1-line block ×7, first 2 shown]
	s_movk_i32 s4, 0x50
	s_movk_i32 s8, 0x60
	;; [unrolled: 1-line block ×8, first 2 shown]
	s_add_i32 s29, s4, 16
	s_add_i32 s28, s8, 16
	;; [unrolled: 1-line block ×18, first 2 shown]
	s_mov_b32 s5, -1
	s_mov_b32 s34, 32
	s_mov_b32 s33, 48
	;; [unrolled: 1-line block ×3, first 2 shown]
	s_movk_i32 s30, 0x50
	s_bitcmp0_b32 s36, 0
	s_waitcnt vmcnt(22)
	buffer_store_dword v4, off, s[0:3], 0 offset:28
	buffer_store_dword v3, off, s[0:3], 0 offset:24
	buffer_store_dword v2, off, s[0:3], 0 offset:20
	buffer_store_dword v1, off, s[0:3], 0 offset:16
	s_waitcnt vmcnt(21)
	buffer_store_dword v8, off, s[0:3], 0 offset:44
	buffer_store_dword v7, off, s[0:3], 0 offset:40
	buffer_store_dword v6, off, s[0:3], 0 offset:36
	buffer_store_dword v5, off, s[0:3], 0 offset:32
	;; [unrolled: 5-line block ×23, first 2 shown]
	s_cbranch_scc1 .LBB22_104
; %bb.4:
	v_cmp_eq_u32_e64 s4, 0, v0
	s_and_saveexec_b32 s5, s4
; %bb.5:
	v_mov_b32_e32 v1, 0
	ds_write_b32 v1, v1 offset:736
; %bb.6:
	s_or_b32 exec_lo, exec_lo, s5
	v_lshl_add_u32 v58, v0, 4, 16
	s_waitcnt lgkmcnt(0)
	s_waitcnt_vscnt null, 0x0
	s_barrier
	buffer_gl0_inv
	s_clause 0x3
	buffer_load_dword v1, v58, s[0:3], 0 offen
	buffer_load_dword v2, v58, s[0:3], 0 offen offset:4
	buffer_load_dword v3, v58, s[0:3], 0 offen offset:8
	;; [unrolled: 1-line block ×3, first 2 shown]
	s_waitcnt vmcnt(2)
	v_cmp_eq_f64_e32 vcc_lo, 0, v[1:2]
	s_waitcnt vmcnt(0)
	v_cmp_eq_f64_e64 s5, 0, v[3:4]
	s_and_b32 s5, vcc_lo, s5
	s_and_saveexec_b32 s36, s5
	s_cbranch_execz .LBB22_10
; %bb.7:
	v_mov_b32_e32 v1, 0
	s_mov_b32 s37, 0
	ds_read_b32 v2, v1 offset:736
	s_waitcnt lgkmcnt(0)
	v_readfirstlane_b32 s5, v2
	v_add_nc_u32_e32 v2, 1, v0
	s_cmp_eq_u32 s5, 0
	v_cmp_gt_i32_e32 vcc_lo, s5, v2
	s_cselect_b32 s38, -1, 0
	s_or_b32 s38, s38, vcc_lo
	s_and_b32 exec_lo, exec_lo, s38
	s_cbranch_execz .LBB22_10
; %bb.8:
	v_mov_b32_e32 v3, s5
.LBB22_9:                               ; =>This Inner Loop Header: Depth=1
	ds_cmpst_rtn_b32 v3, v1, v3, v2 offset:736
	s_waitcnt lgkmcnt(0)
	v_cmp_ne_u32_e32 vcc_lo, 0, v3
	v_cmp_le_i32_e64 s5, v3, v2
	s_and_b32 s5, vcc_lo, s5
	s_and_b32 s5, exec_lo, s5
	s_or_b32 s37, s5, s37
	s_andn2_b32 exec_lo, exec_lo, s37
	s_cbranch_execnz .LBB22_9
.LBB22_10:
	s_or_b32 exec_lo, exec_lo, s36
	v_mov_b32_e32 v1, 0
	s_barrier
	buffer_gl0_inv
	ds_read_b32 v2, v1 offset:736
	s_and_saveexec_b32 s5, s4
	s_cbranch_execz .LBB22_12
; %bb.11:
	s_lshl_b64 s[36:37], s[6:7], 2
	s_add_u32 s36, s10, s36
	s_addc_u32 s37, s11, s37
	s_waitcnt lgkmcnt(0)
	global_store_dword v1, v2, s[36:37]
.LBB22_12:
	s_or_b32 exec_lo, exec_lo, s5
	s_waitcnt lgkmcnt(0)
	v_cmp_ne_u32_e32 vcc_lo, 0, v2
	s_mov_b32 s5, 0
	s_cbranch_vccnz .LBB22_104
; %bb.13:
	s_clause 0x3
	buffer_load_dword v7, v58, s[0:3], 0 offen
	buffer_load_dword v8, v58, s[0:3], 0 offen offset:4
	buffer_load_dword v55, v58, s[0:3], 0 offen offset:8
	;; [unrolled: 1-line block ×3, first 2 shown]
                                        ; implicit-def: $vgpr5_vgpr6
                                        ; implicit-def: $vgpr3_vgpr4
	s_waitcnt vmcnt(0)
	v_cmp_ngt_f64_e64 s5, |v[7:8]|, |v[55:56]|
	s_and_saveexec_b32 s36, s5
	s_xor_b32 s5, exec_lo, s36
	s_cbranch_execz .LBB22_15
; %bb.14:
	v_div_scale_f64 v[1:2], null, v[55:56], v[55:56], v[7:8]
	v_div_scale_f64 v[59:60], vcc_lo, v[7:8], v[55:56], v[7:8]
	v_rcp_f64_e32 v[3:4], v[1:2]
	v_fma_f64 v[5:6], -v[1:2], v[3:4], 1.0
	v_fma_f64 v[3:4], v[3:4], v[5:6], v[3:4]
	v_fma_f64 v[5:6], -v[1:2], v[3:4], 1.0
	v_fma_f64 v[3:4], v[3:4], v[5:6], v[3:4]
	v_mul_f64 v[5:6], v[59:60], v[3:4]
	v_fma_f64 v[1:2], -v[1:2], v[5:6], v[59:60]
	v_div_fmas_f64 v[1:2], v[1:2], v[3:4], v[5:6]
	v_div_fixup_f64 v[1:2], v[1:2], v[55:56], v[7:8]
	v_fma_f64 v[3:4], v[7:8], v[1:2], v[55:56]
	v_div_scale_f64 v[5:6], null, v[3:4], v[3:4], 1.0
	v_div_scale_f64 v[59:60], vcc_lo, 1.0, v[3:4], 1.0
	v_rcp_f64_e32 v[7:8], v[5:6]
	v_fma_f64 v[55:56], -v[5:6], v[7:8], 1.0
	v_fma_f64 v[7:8], v[7:8], v[55:56], v[7:8]
	v_fma_f64 v[55:56], -v[5:6], v[7:8], 1.0
	v_fma_f64 v[7:8], v[7:8], v[55:56], v[7:8]
	v_mul_f64 v[55:56], v[59:60], v[7:8]
	v_fma_f64 v[5:6], -v[5:6], v[55:56], v[59:60]
	v_div_fmas_f64 v[5:6], v[5:6], v[7:8], v[55:56]
                                        ; implicit-def: $vgpr7_vgpr8
                                        ; implicit-def: $vgpr55_vgpr56
	v_div_fixup_f64 v[3:4], v[5:6], v[3:4], 1.0
	v_mul_f64 v[5:6], v[1:2], v[3:4]
	v_xor_b32_e32 v4, 0x80000000, v4
	v_xor_b32_e32 v2, 0x80000000, v6
	v_mov_b32_e32 v1, v5
.LBB22_15:
	s_andn2_saveexec_b32 s5, s5
	s_cbranch_execz .LBB22_17
; %bb.16:
	v_div_scale_f64 v[1:2], null, v[7:8], v[7:8], v[55:56]
	v_div_scale_f64 v[59:60], vcc_lo, v[55:56], v[7:8], v[55:56]
	v_rcp_f64_e32 v[3:4], v[1:2]
	v_fma_f64 v[5:6], -v[1:2], v[3:4], 1.0
	v_fma_f64 v[3:4], v[3:4], v[5:6], v[3:4]
	v_fma_f64 v[5:6], -v[1:2], v[3:4], 1.0
	v_fma_f64 v[3:4], v[3:4], v[5:6], v[3:4]
	v_mul_f64 v[5:6], v[59:60], v[3:4]
	v_fma_f64 v[1:2], -v[1:2], v[5:6], v[59:60]
	v_div_fmas_f64 v[1:2], v[1:2], v[3:4], v[5:6]
	v_div_fixup_f64 v[1:2], v[1:2], v[7:8], v[55:56]
	v_fma_f64 v[3:4], v[55:56], v[1:2], v[7:8]
	v_div_scale_f64 v[5:6], null, v[3:4], v[3:4], 1.0
	v_rcp_f64_e32 v[7:8], v[5:6]
	v_fma_f64 v[55:56], -v[5:6], v[7:8], 1.0
	v_fma_f64 v[7:8], v[7:8], v[55:56], v[7:8]
	v_fma_f64 v[55:56], -v[5:6], v[7:8], 1.0
	v_fma_f64 v[7:8], v[7:8], v[55:56], v[7:8]
	v_div_scale_f64 v[55:56], vcc_lo, 1.0, v[3:4], 1.0
	v_mul_f64 v[59:60], v[55:56], v[7:8]
	v_fma_f64 v[5:6], -v[5:6], v[59:60], v[55:56]
	v_div_fmas_f64 v[5:6], v[5:6], v[7:8], v[59:60]
	v_div_fixup_f64 v[5:6], v[5:6], v[3:4], 1.0
	v_mul_f64 v[3:4], v[1:2], -v[5:6]
	v_xor_b32_e32 v2, 0x80000000, v6
	v_mov_b32_e32 v1, v5
.LBB22_17:
	s_or_b32 exec_lo, exec_lo, s5
	v_mov_b32_e32 v7, s34
	buffer_store_dword v6, v58, s[0:3], 0 offen offset:4
	buffer_store_dword v5, v58, s[0:3], 0 offen
	buffer_store_dword v4, v58, s[0:3], 0 offen offset:12
	buffer_store_dword v3, v58, s[0:3], 0 offen offset:8
	v_xor_b32_e32 v4, 0x80000000, v4
	v_add_nc_u32_e32 v5, 0x170, v57
	s_clause 0x3
	buffer_load_dword v62, v7, s[0:3], 0 offen offset:12
	buffer_load_dword v61, v7, s[0:3], 0 offen offset:8
	;; [unrolled: 1-line block ×3, first 2 shown]
	buffer_load_dword v59, v7, s[0:3], 0 offen
	ds_write_b128 v57, v[1:4]
	s_waitcnt vmcnt(0)
	ds_write_b128 v57, v[59:62] offset:368
	s_waitcnt lgkmcnt(0)
	s_waitcnt_vscnt null, 0x0
	s_barrier
	buffer_gl0_inv
	s_and_saveexec_b32 s5, s4
	s_cbranch_execz .LBB22_19
; %bb.18:
	s_clause 0x3
	buffer_load_dword v6, v58, s[0:3], 0 offen offset:8
	buffer_load_dword v7, v58, s[0:3], 0 offen offset:12
	buffer_load_dword v55, v58, s[0:3], 0 offen
	buffer_load_dword v56, v58, s[0:3], 0 offen offset:4
	ds_read_b128 v[1:4], v5
	v_mov_b32_e32 v8, 0
	ds_read_b128 v[59:62], v8 offset:16
	s_waitcnt vmcnt(2) lgkmcnt(1)
	v_mul_f64 v[63:64], v[1:2], v[6:7]
	v_mul_f64 v[6:7], v[3:4], v[6:7]
	s_waitcnt vmcnt(0)
	v_fma_f64 v[3:4], v[3:4], v[55:56], v[63:64]
	v_fma_f64 v[1:2], v[1:2], v[55:56], -v[6:7]
	v_add_f64 v[3:4], v[3:4], 0
	v_add_f64 v[1:2], v[1:2], 0
	s_waitcnt lgkmcnt(0)
	v_mul_f64 v[6:7], v[3:4], v[61:62]
	v_mul_f64 v[55:56], v[1:2], v[61:62]
	v_fma_f64 v[1:2], v[1:2], v[59:60], -v[6:7]
	v_fma_f64 v[3:4], v[3:4], v[59:60], v[55:56]
	buffer_store_dword v1, off, s[0:3], 0 offset:32
	buffer_store_dword v2, off, s[0:3], 0 offset:36
	;; [unrolled: 1-line block ×4, first 2 shown]
.LBB22_19:
	s_or_b32 exec_lo, exec_lo, s5
	v_mov_b32_e32 v4, s33
	s_waitcnt_vscnt null, 0x0
	s_barrier
	buffer_gl0_inv
	s_mov_b32 s5, exec_lo
	s_clause 0x3
	buffer_load_dword v1, v4, s[0:3], 0 offen
	buffer_load_dword v2, v4, s[0:3], 0 offen offset:4
	buffer_load_dword v3, v4, s[0:3], 0 offen offset:8
	;; [unrolled: 1-line block ×3, first 2 shown]
	s_waitcnt vmcnt(0)
	ds_write_b128 v5, v[1:4]
	s_waitcnt lgkmcnt(0)
	s_barrier
	buffer_gl0_inv
	v_cmpx_gt_u32_e32 2, v0
	s_cbranch_execz .LBB22_23
; %bb.20:
	s_clause 0x3
	buffer_load_dword v6, v58, s[0:3], 0 offen offset:8
	buffer_load_dword v7, v58, s[0:3], 0 offen offset:12
	buffer_load_dword v55, v58, s[0:3], 0 offen
	buffer_load_dword v56, v58, s[0:3], 0 offen offset:4
	ds_read_b128 v[1:4], v5
	s_waitcnt vmcnt(2) lgkmcnt(0)
	v_mul_f64 v[58:59], v[3:4], v[6:7]
	v_mul_f64 v[6:7], v[1:2], v[6:7]
	s_waitcnt vmcnt(0)
	v_fma_f64 v[1:2], v[1:2], v[55:56], -v[58:59]
	v_fma_f64 v[3:4], v[3:4], v[55:56], v[6:7]
	v_add_f64 v[1:2], v[1:2], 0
	v_add_f64 v[3:4], v[3:4], 0
	s_and_saveexec_b32 s36, s4
	s_cbranch_execz .LBB22_22
; %bb.21:
	s_clause 0x3
	buffer_load_dword v6, off, s[0:3], 0 offset:40
	buffer_load_dword v7, off, s[0:3], 0 offset:44
	;; [unrolled: 1-line block ×4, first 2 shown]
	v_mov_b32_e32 v8, 0
	ds_read_b128 v[58:61], v8 offset:384
	s_waitcnt vmcnt(2) lgkmcnt(0)
	v_mul_f64 v[62:63], v[58:59], v[6:7]
	v_mul_f64 v[6:7], v[60:61], v[6:7]
	s_waitcnt vmcnt(0)
	v_fma_f64 v[60:61], v[60:61], v[55:56], v[62:63]
	v_fma_f64 v[6:7], v[58:59], v[55:56], -v[6:7]
	v_add_f64 v[3:4], v[3:4], v[60:61]
	v_add_f64 v[1:2], v[1:2], v[6:7]
.LBB22_22:
	s_or_b32 exec_lo, exec_lo, s36
	v_mov_b32_e32 v6, 0
	ds_read_b128 v[58:61], v6 offset:32
	s_waitcnt lgkmcnt(0)
	v_mul_f64 v[6:7], v[3:4], v[60:61]
	v_mul_f64 v[55:56], v[1:2], v[60:61]
	v_fma_f64 v[1:2], v[1:2], v[58:59], -v[6:7]
	v_fma_f64 v[3:4], v[3:4], v[58:59], v[55:56]
	buffer_store_dword v2, off, s[0:3], 0 offset:52
	buffer_store_dword v1, off, s[0:3], 0 offset:48
	;; [unrolled: 1-line block ×4, first 2 shown]
.LBB22_23:
	s_or_b32 exec_lo, exec_lo, s5
	v_mov_b32_e32 v4, s31
	s_waitcnt_vscnt null, 0x0
	s_barrier
	buffer_gl0_inv
	v_add_nc_u32_e32 v6, -1, v0
	s_clause 0x3
	buffer_load_dword v1, v4, s[0:3], 0 offen
	buffer_load_dword v2, v4, s[0:3], 0 offen offset:4
	buffer_load_dword v3, v4, s[0:3], 0 offen offset:8
	;; [unrolled: 1-line block ×3, first 2 shown]
	s_mov_b32 s4, exec_lo
	s_waitcnt vmcnt(0)
	ds_write_b128 v5, v[1:4]
	s_waitcnt lgkmcnt(0)
	s_barrier
	buffer_gl0_inv
	v_cmpx_gt_u32_e32 3, v0
	s_cbranch_execz .LBB22_27
; %bb.24:
	v_mov_b32_e32 v1, 0
	v_mov_b32_e32 v3, 0
	v_add_nc_u32_e32 v7, -1, v0
	v_add_nc_u32_e32 v8, 0x170, v57
	v_mov_b32_e32 v2, 0
	v_mov_b32_e32 v4, 0
	v_add_nc_u32_e32 v55, 16, v57
	s_mov_b32 s5, 0
	.p2align	6
.LBB22_25:                              ; =>This Inner Loop Header: Depth=1
	s_clause 0x3
	buffer_load_dword v62, v55, s[0:3], 0 offen offset:8
	buffer_load_dword v63, v55, s[0:3], 0 offen offset:12
	buffer_load_dword v64, v55, s[0:3], 0 offen
	buffer_load_dword v65, v55, s[0:3], 0 offen offset:4
	ds_read_b128 v[58:61], v8
	v_add_nc_u32_e32 v7, 1, v7
	v_add_nc_u32_e32 v8, 16, v8
	;; [unrolled: 1-line block ×3, first 2 shown]
	v_cmp_lt_u32_e32 vcc_lo, 1, v7
	s_or_b32 s5, vcc_lo, s5
	s_waitcnt vmcnt(2) lgkmcnt(0)
	v_mul_f64 v[66:67], v[60:61], v[62:63]
	v_mul_f64 v[62:63], v[58:59], v[62:63]
	s_waitcnt vmcnt(0)
	v_fma_f64 v[58:59], v[58:59], v[64:65], -v[66:67]
	v_fma_f64 v[60:61], v[60:61], v[64:65], v[62:63]
	v_add_f64 v[3:4], v[3:4], v[58:59]
	v_add_f64 v[1:2], v[1:2], v[60:61]
	s_andn2_b32 exec_lo, exec_lo, s5
	s_cbranch_execnz .LBB22_25
; %bb.26:
	s_or_b32 exec_lo, exec_lo, s5
	v_mov_b32_e32 v7, 0
	ds_read_b128 v[58:61], v7 offset:48
	s_waitcnt lgkmcnt(0)
	v_mul_f64 v[7:8], v[1:2], v[60:61]
	v_mul_f64 v[55:56], v[3:4], v[60:61]
	v_fma_f64 v[3:4], v[3:4], v[58:59], -v[7:8]
	v_fma_f64 v[1:2], v[1:2], v[58:59], v[55:56]
	buffer_store_dword v4, off, s[0:3], 0 offset:68
	buffer_store_dword v3, off, s[0:3], 0 offset:64
	buffer_store_dword v2, off, s[0:3], 0 offset:76
	buffer_store_dword v1, off, s[0:3], 0 offset:72
.LBB22_27:
	s_or_b32 exec_lo, exec_lo, s4
	v_mov_b32_e32 v4, s30
	s_waitcnt_vscnt null, 0x0
	s_barrier
	buffer_gl0_inv
	s_mov_b32 s4, exec_lo
	s_clause 0x3
	buffer_load_dword v1, v4, s[0:3], 0 offen
	buffer_load_dword v2, v4, s[0:3], 0 offen offset:4
	buffer_load_dword v3, v4, s[0:3], 0 offen offset:8
	;; [unrolled: 1-line block ×3, first 2 shown]
	s_waitcnt vmcnt(0)
	ds_write_b128 v5, v[1:4]
	s_waitcnt lgkmcnt(0)
	s_barrier
	buffer_gl0_inv
	v_cmpx_gt_u32_e32 4, v0
	s_cbranch_execz .LBB22_31
; %bb.28:
	v_mov_b32_e32 v1, 0
	v_mov_b32_e32 v3, 0
	v_add_nc_u32_e32 v7, -1, v0
	v_add_nc_u32_e32 v8, 0x170, v57
	v_mov_b32_e32 v2, 0
	v_mov_b32_e32 v4, 0
	v_add_nc_u32_e32 v55, 16, v57
	s_mov_b32 s5, 0
	.p2align	6
.LBB22_29:                              ; =>This Inner Loop Header: Depth=1
	s_clause 0x3
	buffer_load_dword v62, v55, s[0:3], 0 offen offset:8
	buffer_load_dword v63, v55, s[0:3], 0 offen offset:12
	buffer_load_dword v64, v55, s[0:3], 0 offen
	buffer_load_dword v65, v55, s[0:3], 0 offen offset:4
	ds_read_b128 v[58:61], v8
	v_add_nc_u32_e32 v7, 1, v7
	v_add_nc_u32_e32 v8, 16, v8
	;; [unrolled: 1-line block ×3, first 2 shown]
	v_cmp_lt_u32_e32 vcc_lo, 2, v7
	s_or_b32 s5, vcc_lo, s5
	s_waitcnt vmcnt(2) lgkmcnt(0)
	v_mul_f64 v[66:67], v[60:61], v[62:63]
	v_mul_f64 v[62:63], v[58:59], v[62:63]
	s_waitcnt vmcnt(0)
	v_fma_f64 v[58:59], v[58:59], v[64:65], -v[66:67]
	v_fma_f64 v[60:61], v[60:61], v[64:65], v[62:63]
	v_add_f64 v[3:4], v[3:4], v[58:59]
	v_add_f64 v[1:2], v[1:2], v[60:61]
	s_andn2_b32 exec_lo, exec_lo, s5
	s_cbranch_execnz .LBB22_29
; %bb.30:
	s_or_b32 exec_lo, exec_lo, s5
	v_mov_b32_e32 v7, 0
	ds_read_b128 v[58:61], v7 offset:64
	s_waitcnt lgkmcnt(0)
	v_mul_f64 v[7:8], v[1:2], v[60:61]
	v_mul_f64 v[55:56], v[3:4], v[60:61]
	v_fma_f64 v[3:4], v[3:4], v[58:59], -v[7:8]
	v_fma_f64 v[1:2], v[1:2], v[58:59], v[55:56]
	buffer_store_dword v4, off, s[0:3], 0 offset:84
	buffer_store_dword v3, off, s[0:3], 0 offset:80
	;; [unrolled: 1-line block ×4, first 2 shown]
.LBB22_31:
	s_or_b32 exec_lo, exec_lo, s4
	v_mov_b32_e32 v4, s29
	s_waitcnt_vscnt null, 0x0
	s_barrier
	buffer_gl0_inv
	s_mov_b32 s4, exec_lo
	s_clause 0x3
	buffer_load_dword v1, v4, s[0:3], 0 offen
	buffer_load_dword v2, v4, s[0:3], 0 offen offset:4
	buffer_load_dword v3, v4, s[0:3], 0 offen offset:8
	;; [unrolled: 1-line block ×3, first 2 shown]
	s_waitcnt vmcnt(0)
	ds_write_b128 v5, v[1:4]
	s_waitcnt lgkmcnt(0)
	s_barrier
	buffer_gl0_inv
	v_cmpx_gt_u32_e32 5, v0
	s_cbranch_execz .LBB22_35
; %bb.32:
	v_mov_b32_e32 v1, 0
	v_mov_b32_e32 v3, 0
	v_add_nc_u32_e32 v7, -1, v0
	v_add_nc_u32_e32 v8, 0x170, v57
	v_mov_b32_e32 v2, 0
	v_mov_b32_e32 v4, 0
	v_add_nc_u32_e32 v55, 16, v57
	s_mov_b32 s5, 0
	.p2align	6
.LBB22_33:                              ; =>This Inner Loop Header: Depth=1
	s_clause 0x3
	buffer_load_dword v62, v55, s[0:3], 0 offen offset:8
	buffer_load_dword v63, v55, s[0:3], 0 offen offset:12
	buffer_load_dword v64, v55, s[0:3], 0 offen
	buffer_load_dword v65, v55, s[0:3], 0 offen offset:4
	ds_read_b128 v[58:61], v8
	v_add_nc_u32_e32 v7, 1, v7
	v_add_nc_u32_e32 v8, 16, v8
	;; [unrolled: 1-line block ×3, first 2 shown]
	v_cmp_lt_u32_e32 vcc_lo, 3, v7
	s_or_b32 s5, vcc_lo, s5
	s_waitcnt vmcnt(2) lgkmcnt(0)
	v_mul_f64 v[66:67], v[60:61], v[62:63]
	v_mul_f64 v[62:63], v[58:59], v[62:63]
	s_waitcnt vmcnt(0)
	v_fma_f64 v[58:59], v[58:59], v[64:65], -v[66:67]
	v_fma_f64 v[60:61], v[60:61], v[64:65], v[62:63]
	v_add_f64 v[3:4], v[3:4], v[58:59]
	v_add_f64 v[1:2], v[1:2], v[60:61]
	s_andn2_b32 exec_lo, exec_lo, s5
	s_cbranch_execnz .LBB22_33
; %bb.34:
	s_or_b32 exec_lo, exec_lo, s5
	v_mov_b32_e32 v7, 0
	ds_read_b128 v[58:61], v7 offset:80
	s_waitcnt lgkmcnt(0)
	v_mul_f64 v[7:8], v[1:2], v[60:61]
	v_mul_f64 v[55:56], v[3:4], v[60:61]
	v_fma_f64 v[3:4], v[3:4], v[58:59], -v[7:8]
	v_fma_f64 v[1:2], v[1:2], v[58:59], v[55:56]
	buffer_store_dword v4, off, s[0:3], 0 offset:100
	buffer_store_dword v3, off, s[0:3], 0 offset:96
	;; [unrolled: 1-line block ×4, first 2 shown]
.LBB22_35:
	s_or_b32 exec_lo, exec_lo, s4
	v_mov_b32_e32 v4, s28
	s_waitcnt_vscnt null, 0x0
	s_barrier
	buffer_gl0_inv
	s_mov_b32 s4, exec_lo
	s_clause 0x3
	buffer_load_dword v1, v4, s[0:3], 0 offen
	buffer_load_dword v2, v4, s[0:3], 0 offen offset:4
	buffer_load_dword v3, v4, s[0:3], 0 offen offset:8
	;; [unrolled: 1-line block ×3, first 2 shown]
	s_waitcnt vmcnt(0)
	ds_write_b128 v5, v[1:4]
	s_waitcnt lgkmcnt(0)
	s_barrier
	buffer_gl0_inv
	v_cmpx_gt_u32_e32 6, v0
	s_cbranch_execz .LBB22_39
; %bb.36:
	v_mov_b32_e32 v1, 0
	v_mov_b32_e32 v3, 0
	v_add_nc_u32_e32 v7, -1, v0
	v_add_nc_u32_e32 v8, 0x170, v57
	v_mov_b32_e32 v2, 0
	v_mov_b32_e32 v4, 0
	v_add_nc_u32_e32 v55, 16, v57
	s_mov_b32 s5, 0
	.p2align	6
.LBB22_37:                              ; =>This Inner Loop Header: Depth=1
	s_clause 0x3
	buffer_load_dword v62, v55, s[0:3], 0 offen offset:8
	buffer_load_dword v63, v55, s[0:3], 0 offen offset:12
	buffer_load_dword v64, v55, s[0:3], 0 offen
	buffer_load_dword v65, v55, s[0:3], 0 offen offset:4
	ds_read_b128 v[58:61], v8
	v_add_nc_u32_e32 v7, 1, v7
	v_add_nc_u32_e32 v8, 16, v8
	v_add_nc_u32_e32 v55, 16, v55
	v_cmp_lt_u32_e32 vcc_lo, 4, v7
	s_or_b32 s5, vcc_lo, s5
	s_waitcnt vmcnt(2) lgkmcnt(0)
	v_mul_f64 v[66:67], v[60:61], v[62:63]
	v_mul_f64 v[62:63], v[58:59], v[62:63]
	s_waitcnt vmcnt(0)
	v_fma_f64 v[58:59], v[58:59], v[64:65], -v[66:67]
	v_fma_f64 v[60:61], v[60:61], v[64:65], v[62:63]
	v_add_f64 v[3:4], v[3:4], v[58:59]
	v_add_f64 v[1:2], v[1:2], v[60:61]
	s_andn2_b32 exec_lo, exec_lo, s5
	s_cbranch_execnz .LBB22_37
; %bb.38:
	s_or_b32 exec_lo, exec_lo, s5
	v_mov_b32_e32 v7, 0
	ds_read_b128 v[58:61], v7 offset:96
	s_waitcnt lgkmcnt(0)
	v_mul_f64 v[7:8], v[1:2], v[60:61]
	v_mul_f64 v[55:56], v[3:4], v[60:61]
	v_fma_f64 v[3:4], v[3:4], v[58:59], -v[7:8]
	v_fma_f64 v[1:2], v[1:2], v[58:59], v[55:56]
	buffer_store_dword v4, off, s[0:3], 0 offset:116
	buffer_store_dword v3, off, s[0:3], 0 offset:112
	;; [unrolled: 1-line block ×4, first 2 shown]
.LBB22_39:
	s_or_b32 exec_lo, exec_lo, s4
	v_mov_b32_e32 v4, s27
	s_waitcnt_vscnt null, 0x0
	s_barrier
	buffer_gl0_inv
	s_mov_b32 s4, exec_lo
	s_clause 0x3
	buffer_load_dword v1, v4, s[0:3], 0 offen
	buffer_load_dword v2, v4, s[0:3], 0 offen offset:4
	buffer_load_dword v3, v4, s[0:3], 0 offen offset:8
	;; [unrolled: 1-line block ×3, first 2 shown]
	s_waitcnt vmcnt(0)
	ds_write_b128 v5, v[1:4]
	s_waitcnt lgkmcnt(0)
	s_barrier
	buffer_gl0_inv
	v_cmpx_gt_u32_e32 7, v0
	s_cbranch_execz .LBB22_43
; %bb.40:
	v_mov_b32_e32 v1, 0
	v_mov_b32_e32 v3, 0
	v_add_nc_u32_e32 v7, -1, v0
	v_add_nc_u32_e32 v8, 0x170, v57
	v_mov_b32_e32 v2, 0
	v_mov_b32_e32 v4, 0
	v_add_nc_u32_e32 v55, 16, v57
	s_mov_b32 s5, 0
	.p2align	6
.LBB22_41:                              ; =>This Inner Loop Header: Depth=1
	s_clause 0x3
	buffer_load_dword v62, v55, s[0:3], 0 offen offset:8
	buffer_load_dword v63, v55, s[0:3], 0 offen offset:12
	buffer_load_dword v64, v55, s[0:3], 0 offen
	buffer_load_dword v65, v55, s[0:3], 0 offen offset:4
	ds_read_b128 v[58:61], v8
	v_add_nc_u32_e32 v7, 1, v7
	v_add_nc_u32_e32 v8, 16, v8
	;; [unrolled: 1-line block ×3, first 2 shown]
	v_cmp_lt_u32_e32 vcc_lo, 5, v7
	s_or_b32 s5, vcc_lo, s5
	s_waitcnt vmcnt(2) lgkmcnt(0)
	v_mul_f64 v[66:67], v[60:61], v[62:63]
	v_mul_f64 v[62:63], v[58:59], v[62:63]
	s_waitcnt vmcnt(0)
	v_fma_f64 v[58:59], v[58:59], v[64:65], -v[66:67]
	v_fma_f64 v[60:61], v[60:61], v[64:65], v[62:63]
	v_add_f64 v[3:4], v[3:4], v[58:59]
	v_add_f64 v[1:2], v[1:2], v[60:61]
	s_andn2_b32 exec_lo, exec_lo, s5
	s_cbranch_execnz .LBB22_41
; %bb.42:
	s_or_b32 exec_lo, exec_lo, s5
	v_mov_b32_e32 v7, 0
	ds_read_b128 v[58:61], v7 offset:112
	s_waitcnt lgkmcnt(0)
	v_mul_f64 v[7:8], v[1:2], v[60:61]
	v_mul_f64 v[55:56], v[3:4], v[60:61]
	v_fma_f64 v[3:4], v[3:4], v[58:59], -v[7:8]
	v_fma_f64 v[1:2], v[1:2], v[58:59], v[55:56]
	buffer_store_dword v4, off, s[0:3], 0 offset:132
	buffer_store_dword v3, off, s[0:3], 0 offset:128
	buffer_store_dword v2, off, s[0:3], 0 offset:140
	buffer_store_dword v1, off, s[0:3], 0 offset:136
.LBB22_43:
	s_or_b32 exec_lo, exec_lo, s4
	v_mov_b32_e32 v4, s26
	s_waitcnt_vscnt null, 0x0
	s_barrier
	buffer_gl0_inv
	s_mov_b32 s4, exec_lo
	s_clause 0x3
	buffer_load_dword v1, v4, s[0:3], 0 offen
	buffer_load_dword v2, v4, s[0:3], 0 offen offset:4
	buffer_load_dword v3, v4, s[0:3], 0 offen offset:8
	;; [unrolled: 1-line block ×3, first 2 shown]
	s_waitcnt vmcnt(0)
	ds_write_b128 v5, v[1:4]
	s_waitcnt lgkmcnt(0)
	s_barrier
	buffer_gl0_inv
	v_cmpx_gt_u32_e32 8, v0
	s_cbranch_execz .LBB22_47
; %bb.44:
	v_mov_b32_e32 v1, 0
	v_mov_b32_e32 v3, 0
	v_add_nc_u32_e32 v7, -1, v0
	v_add_nc_u32_e32 v8, 0x170, v57
	v_mov_b32_e32 v2, 0
	v_mov_b32_e32 v4, 0
	v_add_nc_u32_e32 v55, 16, v57
	s_mov_b32 s5, 0
	.p2align	6
.LBB22_45:                              ; =>This Inner Loop Header: Depth=1
	s_clause 0x3
	buffer_load_dword v62, v55, s[0:3], 0 offen offset:8
	buffer_load_dword v63, v55, s[0:3], 0 offen offset:12
	buffer_load_dword v64, v55, s[0:3], 0 offen
	buffer_load_dword v65, v55, s[0:3], 0 offen offset:4
	ds_read_b128 v[58:61], v8
	v_add_nc_u32_e32 v7, 1, v7
	v_add_nc_u32_e32 v8, 16, v8
	;; [unrolled: 1-line block ×3, first 2 shown]
	v_cmp_lt_u32_e32 vcc_lo, 6, v7
	s_or_b32 s5, vcc_lo, s5
	s_waitcnt vmcnt(2) lgkmcnt(0)
	v_mul_f64 v[66:67], v[60:61], v[62:63]
	v_mul_f64 v[62:63], v[58:59], v[62:63]
	s_waitcnt vmcnt(0)
	v_fma_f64 v[58:59], v[58:59], v[64:65], -v[66:67]
	v_fma_f64 v[60:61], v[60:61], v[64:65], v[62:63]
	v_add_f64 v[3:4], v[3:4], v[58:59]
	v_add_f64 v[1:2], v[1:2], v[60:61]
	s_andn2_b32 exec_lo, exec_lo, s5
	s_cbranch_execnz .LBB22_45
; %bb.46:
	s_or_b32 exec_lo, exec_lo, s5
	v_mov_b32_e32 v7, 0
	ds_read_b128 v[58:61], v7 offset:128
	s_waitcnt lgkmcnt(0)
	v_mul_f64 v[7:8], v[1:2], v[60:61]
	v_mul_f64 v[55:56], v[3:4], v[60:61]
	v_fma_f64 v[3:4], v[3:4], v[58:59], -v[7:8]
	v_fma_f64 v[1:2], v[1:2], v[58:59], v[55:56]
	buffer_store_dword v4, off, s[0:3], 0 offset:148
	buffer_store_dword v3, off, s[0:3], 0 offset:144
	;; [unrolled: 1-line block ×4, first 2 shown]
.LBB22_47:
	s_or_b32 exec_lo, exec_lo, s4
	v_mov_b32_e32 v4, s25
	s_waitcnt_vscnt null, 0x0
	s_barrier
	buffer_gl0_inv
	s_mov_b32 s4, exec_lo
	s_clause 0x3
	buffer_load_dword v1, v4, s[0:3], 0 offen
	buffer_load_dword v2, v4, s[0:3], 0 offen offset:4
	buffer_load_dword v3, v4, s[0:3], 0 offen offset:8
	;; [unrolled: 1-line block ×3, first 2 shown]
	s_waitcnt vmcnt(0)
	ds_write_b128 v5, v[1:4]
	s_waitcnt lgkmcnt(0)
	s_barrier
	buffer_gl0_inv
	v_cmpx_gt_u32_e32 9, v0
	s_cbranch_execz .LBB22_51
; %bb.48:
	v_mov_b32_e32 v1, 0
	v_mov_b32_e32 v3, 0
	v_add_nc_u32_e32 v7, -1, v0
	v_add_nc_u32_e32 v8, 0x170, v57
	v_mov_b32_e32 v2, 0
	v_mov_b32_e32 v4, 0
	v_add_nc_u32_e32 v55, 16, v57
	s_mov_b32 s5, 0
	.p2align	6
.LBB22_49:                              ; =>This Inner Loop Header: Depth=1
	s_clause 0x3
	buffer_load_dword v62, v55, s[0:3], 0 offen offset:8
	buffer_load_dword v63, v55, s[0:3], 0 offen offset:12
	buffer_load_dword v64, v55, s[0:3], 0 offen
	buffer_load_dword v65, v55, s[0:3], 0 offen offset:4
	ds_read_b128 v[58:61], v8
	v_add_nc_u32_e32 v7, 1, v7
	v_add_nc_u32_e32 v8, 16, v8
	;; [unrolled: 1-line block ×3, first 2 shown]
	v_cmp_lt_u32_e32 vcc_lo, 7, v7
	s_or_b32 s5, vcc_lo, s5
	s_waitcnt vmcnt(2) lgkmcnt(0)
	v_mul_f64 v[66:67], v[60:61], v[62:63]
	v_mul_f64 v[62:63], v[58:59], v[62:63]
	s_waitcnt vmcnt(0)
	v_fma_f64 v[58:59], v[58:59], v[64:65], -v[66:67]
	v_fma_f64 v[60:61], v[60:61], v[64:65], v[62:63]
	v_add_f64 v[3:4], v[3:4], v[58:59]
	v_add_f64 v[1:2], v[1:2], v[60:61]
	s_andn2_b32 exec_lo, exec_lo, s5
	s_cbranch_execnz .LBB22_49
; %bb.50:
	s_or_b32 exec_lo, exec_lo, s5
	v_mov_b32_e32 v7, 0
	ds_read_b128 v[58:61], v7 offset:144
	s_waitcnt lgkmcnt(0)
	v_mul_f64 v[7:8], v[1:2], v[60:61]
	v_mul_f64 v[55:56], v[3:4], v[60:61]
	v_fma_f64 v[3:4], v[3:4], v[58:59], -v[7:8]
	v_fma_f64 v[1:2], v[1:2], v[58:59], v[55:56]
	buffer_store_dword v4, off, s[0:3], 0 offset:164
	buffer_store_dword v3, off, s[0:3], 0 offset:160
	;; [unrolled: 1-line block ×4, first 2 shown]
.LBB22_51:
	s_or_b32 exec_lo, exec_lo, s4
	v_mov_b32_e32 v4, s24
	s_waitcnt_vscnt null, 0x0
	s_barrier
	buffer_gl0_inv
	s_mov_b32 s4, exec_lo
	s_clause 0x3
	buffer_load_dword v1, v4, s[0:3], 0 offen
	buffer_load_dword v2, v4, s[0:3], 0 offen offset:4
	buffer_load_dword v3, v4, s[0:3], 0 offen offset:8
	buffer_load_dword v4, v4, s[0:3], 0 offen offset:12
	s_waitcnt vmcnt(0)
	ds_write_b128 v5, v[1:4]
	s_waitcnt lgkmcnt(0)
	s_barrier
	buffer_gl0_inv
	v_cmpx_gt_u32_e32 10, v0
	s_cbranch_execz .LBB22_55
; %bb.52:
	v_mov_b32_e32 v1, 0
	v_mov_b32_e32 v3, 0
	v_add_nc_u32_e32 v7, -1, v0
	v_add_nc_u32_e32 v8, 0x170, v57
	v_mov_b32_e32 v2, 0
	v_mov_b32_e32 v4, 0
	v_add_nc_u32_e32 v55, 16, v57
	s_mov_b32 s5, 0
	.p2align	6
.LBB22_53:                              ; =>This Inner Loop Header: Depth=1
	s_clause 0x3
	buffer_load_dword v62, v55, s[0:3], 0 offen offset:8
	buffer_load_dword v63, v55, s[0:3], 0 offen offset:12
	buffer_load_dword v64, v55, s[0:3], 0 offen
	buffer_load_dword v65, v55, s[0:3], 0 offen offset:4
	ds_read_b128 v[58:61], v8
	v_add_nc_u32_e32 v7, 1, v7
	v_add_nc_u32_e32 v8, 16, v8
	v_add_nc_u32_e32 v55, 16, v55
	v_cmp_lt_u32_e32 vcc_lo, 8, v7
	s_or_b32 s5, vcc_lo, s5
	s_waitcnt vmcnt(2) lgkmcnt(0)
	v_mul_f64 v[66:67], v[60:61], v[62:63]
	v_mul_f64 v[62:63], v[58:59], v[62:63]
	s_waitcnt vmcnt(0)
	v_fma_f64 v[58:59], v[58:59], v[64:65], -v[66:67]
	v_fma_f64 v[60:61], v[60:61], v[64:65], v[62:63]
	v_add_f64 v[3:4], v[3:4], v[58:59]
	v_add_f64 v[1:2], v[1:2], v[60:61]
	s_andn2_b32 exec_lo, exec_lo, s5
	s_cbranch_execnz .LBB22_53
; %bb.54:
	s_or_b32 exec_lo, exec_lo, s5
	v_mov_b32_e32 v7, 0
	ds_read_b128 v[58:61], v7 offset:160
	s_waitcnt lgkmcnt(0)
	v_mul_f64 v[7:8], v[1:2], v[60:61]
	v_mul_f64 v[55:56], v[3:4], v[60:61]
	v_fma_f64 v[3:4], v[3:4], v[58:59], -v[7:8]
	v_fma_f64 v[1:2], v[1:2], v[58:59], v[55:56]
	buffer_store_dword v4, off, s[0:3], 0 offset:180
	buffer_store_dword v3, off, s[0:3], 0 offset:176
	buffer_store_dword v2, off, s[0:3], 0 offset:188
	buffer_store_dword v1, off, s[0:3], 0 offset:184
.LBB22_55:
	s_or_b32 exec_lo, exec_lo, s4
	v_mov_b32_e32 v4, s23
	s_waitcnt_vscnt null, 0x0
	s_barrier
	buffer_gl0_inv
	s_mov_b32 s4, exec_lo
	s_clause 0x3
	buffer_load_dword v1, v4, s[0:3], 0 offen
	buffer_load_dword v2, v4, s[0:3], 0 offen offset:4
	buffer_load_dword v3, v4, s[0:3], 0 offen offset:8
	;; [unrolled: 1-line block ×3, first 2 shown]
	s_waitcnt vmcnt(0)
	ds_write_b128 v5, v[1:4]
	s_waitcnt lgkmcnt(0)
	s_barrier
	buffer_gl0_inv
	v_cmpx_gt_u32_e32 11, v0
	s_cbranch_execz .LBB22_59
; %bb.56:
	v_mov_b32_e32 v1, 0
	v_mov_b32_e32 v3, 0
	v_add_nc_u32_e32 v7, -1, v0
	v_add_nc_u32_e32 v8, 0x170, v57
	v_mov_b32_e32 v2, 0
	v_mov_b32_e32 v4, 0
	v_add_nc_u32_e32 v55, 16, v57
	s_mov_b32 s5, 0
	.p2align	6
.LBB22_57:                              ; =>This Inner Loop Header: Depth=1
	s_clause 0x3
	buffer_load_dword v62, v55, s[0:3], 0 offen offset:8
	buffer_load_dword v63, v55, s[0:3], 0 offen offset:12
	buffer_load_dword v64, v55, s[0:3], 0 offen
	buffer_load_dword v65, v55, s[0:3], 0 offen offset:4
	ds_read_b128 v[58:61], v8
	v_add_nc_u32_e32 v7, 1, v7
	v_add_nc_u32_e32 v8, 16, v8
	v_add_nc_u32_e32 v55, 16, v55
	v_cmp_lt_u32_e32 vcc_lo, 9, v7
	s_or_b32 s5, vcc_lo, s5
	s_waitcnt vmcnt(2) lgkmcnt(0)
	v_mul_f64 v[66:67], v[60:61], v[62:63]
	v_mul_f64 v[62:63], v[58:59], v[62:63]
	s_waitcnt vmcnt(0)
	v_fma_f64 v[58:59], v[58:59], v[64:65], -v[66:67]
	v_fma_f64 v[60:61], v[60:61], v[64:65], v[62:63]
	v_add_f64 v[3:4], v[3:4], v[58:59]
	v_add_f64 v[1:2], v[1:2], v[60:61]
	s_andn2_b32 exec_lo, exec_lo, s5
	s_cbranch_execnz .LBB22_57
; %bb.58:
	s_or_b32 exec_lo, exec_lo, s5
	v_mov_b32_e32 v7, 0
	ds_read_b128 v[58:61], v7 offset:176
	s_waitcnt lgkmcnt(0)
	v_mul_f64 v[7:8], v[1:2], v[60:61]
	v_mul_f64 v[55:56], v[3:4], v[60:61]
	v_fma_f64 v[3:4], v[3:4], v[58:59], -v[7:8]
	v_fma_f64 v[1:2], v[1:2], v[58:59], v[55:56]
	buffer_store_dword v4, off, s[0:3], 0 offset:196
	buffer_store_dword v3, off, s[0:3], 0 offset:192
	;; [unrolled: 1-line block ×4, first 2 shown]
.LBB22_59:
	s_or_b32 exec_lo, exec_lo, s4
	v_mov_b32_e32 v4, s22
	s_waitcnt_vscnt null, 0x0
	s_barrier
	buffer_gl0_inv
	s_mov_b32 s4, exec_lo
	s_clause 0x3
	buffer_load_dword v1, v4, s[0:3], 0 offen
	buffer_load_dword v2, v4, s[0:3], 0 offen offset:4
	buffer_load_dword v3, v4, s[0:3], 0 offen offset:8
	buffer_load_dword v4, v4, s[0:3], 0 offen offset:12
	s_waitcnt vmcnt(0)
	ds_write_b128 v5, v[1:4]
	s_waitcnt lgkmcnt(0)
	s_barrier
	buffer_gl0_inv
	v_cmpx_gt_u32_e32 12, v0
	s_cbranch_execz .LBB22_63
; %bb.60:
	v_mov_b32_e32 v1, 0
	v_mov_b32_e32 v3, 0
	v_add_nc_u32_e32 v7, -1, v0
	v_add_nc_u32_e32 v8, 0x170, v57
	v_mov_b32_e32 v2, 0
	v_mov_b32_e32 v4, 0
	v_add_nc_u32_e32 v55, 16, v57
	s_mov_b32 s5, 0
	.p2align	6
.LBB22_61:                              ; =>This Inner Loop Header: Depth=1
	s_clause 0x3
	buffer_load_dword v62, v55, s[0:3], 0 offen offset:8
	buffer_load_dword v63, v55, s[0:3], 0 offen offset:12
	buffer_load_dword v64, v55, s[0:3], 0 offen
	buffer_load_dword v65, v55, s[0:3], 0 offen offset:4
	ds_read_b128 v[58:61], v8
	v_add_nc_u32_e32 v7, 1, v7
	v_add_nc_u32_e32 v8, 16, v8
	;; [unrolled: 1-line block ×3, first 2 shown]
	v_cmp_lt_u32_e32 vcc_lo, 10, v7
	s_or_b32 s5, vcc_lo, s5
	s_waitcnt vmcnt(2) lgkmcnt(0)
	v_mul_f64 v[66:67], v[60:61], v[62:63]
	v_mul_f64 v[62:63], v[58:59], v[62:63]
	s_waitcnt vmcnt(0)
	v_fma_f64 v[58:59], v[58:59], v[64:65], -v[66:67]
	v_fma_f64 v[60:61], v[60:61], v[64:65], v[62:63]
	v_add_f64 v[3:4], v[3:4], v[58:59]
	v_add_f64 v[1:2], v[1:2], v[60:61]
	s_andn2_b32 exec_lo, exec_lo, s5
	s_cbranch_execnz .LBB22_61
; %bb.62:
	s_or_b32 exec_lo, exec_lo, s5
	v_mov_b32_e32 v7, 0
	ds_read_b128 v[58:61], v7 offset:192
	s_waitcnt lgkmcnt(0)
	v_mul_f64 v[7:8], v[1:2], v[60:61]
	v_mul_f64 v[55:56], v[3:4], v[60:61]
	v_fma_f64 v[3:4], v[3:4], v[58:59], -v[7:8]
	v_fma_f64 v[1:2], v[1:2], v[58:59], v[55:56]
	buffer_store_dword v4, off, s[0:3], 0 offset:212
	buffer_store_dword v3, off, s[0:3], 0 offset:208
	;; [unrolled: 1-line block ×4, first 2 shown]
.LBB22_63:
	s_or_b32 exec_lo, exec_lo, s4
	v_mov_b32_e32 v4, s19
	s_waitcnt_vscnt null, 0x0
	s_barrier
	buffer_gl0_inv
	s_mov_b32 s4, exec_lo
	s_clause 0x3
	buffer_load_dword v1, v4, s[0:3], 0 offen
	buffer_load_dword v2, v4, s[0:3], 0 offen offset:4
	buffer_load_dword v3, v4, s[0:3], 0 offen offset:8
	;; [unrolled: 1-line block ×3, first 2 shown]
	s_waitcnt vmcnt(0)
	ds_write_b128 v5, v[1:4]
	s_waitcnt lgkmcnt(0)
	s_barrier
	buffer_gl0_inv
	v_cmpx_gt_u32_e32 13, v0
	s_cbranch_execz .LBB22_67
; %bb.64:
	v_mov_b32_e32 v1, 0
	v_mov_b32_e32 v3, 0
	v_add_nc_u32_e32 v7, -1, v0
	v_add_nc_u32_e32 v8, 0x170, v57
	v_mov_b32_e32 v2, 0
	v_mov_b32_e32 v4, 0
	v_add_nc_u32_e32 v55, 16, v57
	s_mov_b32 s5, 0
	.p2align	6
.LBB22_65:                              ; =>This Inner Loop Header: Depth=1
	s_clause 0x3
	buffer_load_dword v62, v55, s[0:3], 0 offen offset:8
	buffer_load_dword v63, v55, s[0:3], 0 offen offset:12
	buffer_load_dword v64, v55, s[0:3], 0 offen
	buffer_load_dword v65, v55, s[0:3], 0 offen offset:4
	ds_read_b128 v[58:61], v8
	v_add_nc_u32_e32 v7, 1, v7
	v_add_nc_u32_e32 v8, 16, v8
	v_add_nc_u32_e32 v55, 16, v55
	v_cmp_lt_u32_e32 vcc_lo, 11, v7
	s_or_b32 s5, vcc_lo, s5
	s_waitcnt vmcnt(2) lgkmcnt(0)
	v_mul_f64 v[66:67], v[60:61], v[62:63]
	v_mul_f64 v[62:63], v[58:59], v[62:63]
	s_waitcnt vmcnt(0)
	v_fma_f64 v[58:59], v[58:59], v[64:65], -v[66:67]
	v_fma_f64 v[60:61], v[60:61], v[64:65], v[62:63]
	v_add_f64 v[3:4], v[3:4], v[58:59]
	v_add_f64 v[1:2], v[1:2], v[60:61]
	s_andn2_b32 exec_lo, exec_lo, s5
	s_cbranch_execnz .LBB22_65
; %bb.66:
	s_or_b32 exec_lo, exec_lo, s5
	v_mov_b32_e32 v7, 0
	ds_read_b128 v[58:61], v7 offset:208
	s_waitcnt lgkmcnt(0)
	v_mul_f64 v[7:8], v[1:2], v[60:61]
	v_mul_f64 v[55:56], v[3:4], v[60:61]
	v_fma_f64 v[3:4], v[3:4], v[58:59], -v[7:8]
	v_fma_f64 v[1:2], v[1:2], v[58:59], v[55:56]
	buffer_store_dword v4, off, s[0:3], 0 offset:228
	buffer_store_dword v3, off, s[0:3], 0 offset:224
	;; [unrolled: 1-line block ×4, first 2 shown]
.LBB22_67:
	s_or_b32 exec_lo, exec_lo, s4
	v_mov_b32_e32 v4, s18
	s_waitcnt_vscnt null, 0x0
	s_barrier
	buffer_gl0_inv
	s_mov_b32 s4, exec_lo
	s_clause 0x3
	buffer_load_dword v1, v4, s[0:3], 0 offen
	buffer_load_dword v2, v4, s[0:3], 0 offen offset:4
	buffer_load_dword v3, v4, s[0:3], 0 offen offset:8
	;; [unrolled: 1-line block ×3, first 2 shown]
	s_waitcnt vmcnt(0)
	ds_write_b128 v5, v[1:4]
	s_waitcnt lgkmcnt(0)
	s_barrier
	buffer_gl0_inv
	v_cmpx_gt_u32_e32 14, v0
	s_cbranch_execz .LBB22_71
; %bb.68:
	v_mov_b32_e32 v1, 0
	v_mov_b32_e32 v3, 0
	v_add_nc_u32_e32 v7, -1, v0
	v_add_nc_u32_e32 v8, 0x170, v57
	v_mov_b32_e32 v2, 0
	v_mov_b32_e32 v4, 0
	v_add_nc_u32_e32 v55, 16, v57
	s_mov_b32 s5, 0
	.p2align	6
.LBB22_69:                              ; =>This Inner Loop Header: Depth=1
	s_clause 0x3
	buffer_load_dword v62, v55, s[0:3], 0 offen offset:8
	buffer_load_dword v63, v55, s[0:3], 0 offen offset:12
	buffer_load_dword v64, v55, s[0:3], 0 offen
	buffer_load_dword v65, v55, s[0:3], 0 offen offset:4
	ds_read_b128 v[58:61], v8
	v_add_nc_u32_e32 v7, 1, v7
	v_add_nc_u32_e32 v8, 16, v8
	;; [unrolled: 1-line block ×3, first 2 shown]
	v_cmp_lt_u32_e32 vcc_lo, 12, v7
	s_or_b32 s5, vcc_lo, s5
	s_waitcnt vmcnt(2) lgkmcnt(0)
	v_mul_f64 v[66:67], v[60:61], v[62:63]
	v_mul_f64 v[62:63], v[58:59], v[62:63]
	s_waitcnt vmcnt(0)
	v_fma_f64 v[58:59], v[58:59], v[64:65], -v[66:67]
	v_fma_f64 v[60:61], v[60:61], v[64:65], v[62:63]
	v_add_f64 v[3:4], v[3:4], v[58:59]
	v_add_f64 v[1:2], v[1:2], v[60:61]
	s_andn2_b32 exec_lo, exec_lo, s5
	s_cbranch_execnz .LBB22_69
; %bb.70:
	s_or_b32 exec_lo, exec_lo, s5
	v_mov_b32_e32 v7, 0
	ds_read_b128 v[58:61], v7 offset:224
	s_waitcnt lgkmcnt(0)
	v_mul_f64 v[7:8], v[1:2], v[60:61]
	v_mul_f64 v[55:56], v[3:4], v[60:61]
	v_fma_f64 v[3:4], v[3:4], v[58:59], -v[7:8]
	v_fma_f64 v[1:2], v[1:2], v[58:59], v[55:56]
	buffer_store_dword v4, off, s[0:3], 0 offset:244
	buffer_store_dword v3, off, s[0:3], 0 offset:240
	;; [unrolled: 1-line block ×4, first 2 shown]
.LBB22_71:
	s_or_b32 exec_lo, exec_lo, s4
	v_mov_b32_e32 v4, s17
	s_waitcnt_vscnt null, 0x0
	s_barrier
	buffer_gl0_inv
	s_mov_b32 s4, exec_lo
	s_clause 0x3
	buffer_load_dword v1, v4, s[0:3], 0 offen
	buffer_load_dword v2, v4, s[0:3], 0 offen offset:4
	buffer_load_dword v3, v4, s[0:3], 0 offen offset:8
	buffer_load_dword v4, v4, s[0:3], 0 offen offset:12
	s_waitcnt vmcnt(0)
	ds_write_b128 v5, v[1:4]
	s_waitcnt lgkmcnt(0)
	s_barrier
	buffer_gl0_inv
	v_cmpx_gt_u32_e32 15, v0
	s_cbranch_execz .LBB22_75
; %bb.72:
	v_mov_b32_e32 v1, 0
	v_mov_b32_e32 v3, 0
	v_add_nc_u32_e32 v7, -1, v0
	v_add_nc_u32_e32 v8, 0x170, v57
	v_mov_b32_e32 v2, 0
	v_mov_b32_e32 v4, 0
	v_add_nc_u32_e32 v55, 16, v57
	s_mov_b32 s5, 0
	.p2align	6
.LBB22_73:                              ; =>This Inner Loop Header: Depth=1
	s_clause 0x3
	buffer_load_dword v62, v55, s[0:3], 0 offen offset:8
	buffer_load_dword v63, v55, s[0:3], 0 offen offset:12
	buffer_load_dword v64, v55, s[0:3], 0 offen
	buffer_load_dword v65, v55, s[0:3], 0 offen offset:4
	ds_read_b128 v[58:61], v8
	v_add_nc_u32_e32 v7, 1, v7
	v_add_nc_u32_e32 v8, 16, v8
	;; [unrolled: 1-line block ×3, first 2 shown]
	v_cmp_lt_u32_e32 vcc_lo, 13, v7
	s_or_b32 s5, vcc_lo, s5
	s_waitcnt vmcnt(2) lgkmcnt(0)
	v_mul_f64 v[66:67], v[60:61], v[62:63]
	v_mul_f64 v[62:63], v[58:59], v[62:63]
	s_waitcnt vmcnt(0)
	v_fma_f64 v[58:59], v[58:59], v[64:65], -v[66:67]
	v_fma_f64 v[60:61], v[60:61], v[64:65], v[62:63]
	v_add_f64 v[3:4], v[3:4], v[58:59]
	v_add_f64 v[1:2], v[1:2], v[60:61]
	s_andn2_b32 exec_lo, exec_lo, s5
	s_cbranch_execnz .LBB22_73
; %bb.74:
	s_or_b32 exec_lo, exec_lo, s5
	v_mov_b32_e32 v7, 0
	ds_read_b128 v[58:61], v7 offset:240
	s_waitcnt lgkmcnt(0)
	v_mul_f64 v[7:8], v[1:2], v[60:61]
	v_mul_f64 v[55:56], v[3:4], v[60:61]
	v_fma_f64 v[3:4], v[3:4], v[58:59], -v[7:8]
	v_fma_f64 v[1:2], v[1:2], v[58:59], v[55:56]
	buffer_store_dword v4, off, s[0:3], 0 offset:260
	buffer_store_dword v3, off, s[0:3], 0 offset:256
	;; [unrolled: 1-line block ×4, first 2 shown]
.LBB22_75:
	s_or_b32 exec_lo, exec_lo, s4
	v_mov_b32_e32 v4, s16
	s_waitcnt_vscnt null, 0x0
	s_barrier
	buffer_gl0_inv
	s_mov_b32 s4, exec_lo
	s_clause 0x3
	buffer_load_dword v1, v4, s[0:3], 0 offen
	buffer_load_dword v2, v4, s[0:3], 0 offen offset:4
	buffer_load_dword v3, v4, s[0:3], 0 offen offset:8
	buffer_load_dword v4, v4, s[0:3], 0 offen offset:12
	s_waitcnt vmcnt(0)
	ds_write_b128 v5, v[1:4]
	s_waitcnt lgkmcnt(0)
	s_barrier
	buffer_gl0_inv
	v_cmpx_gt_u32_e32 16, v0
	s_cbranch_execz .LBB22_79
; %bb.76:
	v_mov_b32_e32 v1, 0
	v_mov_b32_e32 v3, 0
	v_add_nc_u32_e32 v7, -1, v0
	v_add_nc_u32_e32 v8, 0x170, v57
	v_mov_b32_e32 v2, 0
	v_mov_b32_e32 v4, 0
	v_add_nc_u32_e32 v55, 16, v57
	s_mov_b32 s5, 0
	.p2align	6
.LBB22_77:                              ; =>This Inner Loop Header: Depth=1
	s_clause 0x3
	buffer_load_dword v62, v55, s[0:3], 0 offen offset:8
	buffer_load_dword v63, v55, s[0:3], 0 offen offset:12
	buffer_load_dword v64, v55, s[0:3], 0 offen
	buffer_load_dword v65, v55, s[0:3], 0 offen offset:4
	ds_read_b128 v[58:61], v8
	v_add_nc_u32_e32 v7, 1, v7
	v_add_nc_u32_e32 v8, 16, v8
	;; [unrolled: 1-line block ×3, first 2 shown]
	v_cmp_lt_u32_e32 vcc_lo, 14, v7
	s_or_b32 s5, vcc_lo, s5
	s_waitcnt vmcnt(2) lgkmcnt(0)
	v_mul_f64 v[66:67], v[60:61], v[62:63]
	v_mul_f64 v[62:63], v[58:59], v[62:63]
	s_waitcnt vmcnt(0)
	v_fma_f64 v[58:59], v[58:59], v[64:65], -v[66:67]
	v_fma_f64 v[60:61], v[60:61], v[64:65], v[62:63]
	v_add_f64 v[3:4], v[3:4], v[58:59]
	v_add_f64 v[1:2], v[1:2], v[60:61]
	s_andn2_b32 exec_lo, exec_lo, s5
	s_cbranch_execnz .LBB22_77
; %bb.78:
	s_or_b32 exec_lo, exec_lo, s5
	v_mov_b32_e32 v7, 0
	ds_read_b128 v[58:61], v7 offset:256
	s_waitcnt lgkmcnt(0)
	v_mul_f64 v[7:8], v[1:2], v[60:61]
	v_mul_f64 v[55:56], v[3:4], v[60:61]
	v_fma_f64 v[3:4], v[3:4], v[58:59], -v[7:8]
	v_fma_f64 v[1:2], v[1:2], v[58:59], v[55:56]
	buffer_store_dword v4, off, s[0:3], 0 offset:276
	buffer_store_dword v3, off, s[0:3], 0 offset:272
	;; [unrolled: 1-line block ×4, first 2 shown]
.LBB22_79:
	s_or_b32 exec_lo, exec_lo, s4
	v_mov_b32_e32 v4, s15
	s_waitcnt_vscnt null, 0x0
	s_barrier
	buffer_gl0_inv
	s_mov_b32 s4, exec_lo
	s_clause 0x3
	buffer_load_dword v1, v4, s[0:3], 0 offen
	buffer_load_dword v2, v4, s[0:3], 0 offen offset:4
	buffer_load_dword v3, v4, s[0:3], 0 offen offset:8
	;; [unrolled: 1-line block ×3, first 2 shown]
	s_waitcnt vmcnt(0)
	ds_write_b128 v5, v[1:4]
	s_waitcnt lgkmcnt(0)
	s_barrier
	buffer_gl0_inv
	v_cmpx_gt_u32_e32 17, v0
	s_cbranch_execz .LBB22_83
; %bb.80:
	v_mov_b32_e32 v1, 0
	v_mov_b32_e32 v3, 0
	v_add_nc_u32_e32 v7, -1, v0
	v_add_nc_u32_e32 v8, 0x170, v57
	v_mov_b32_e32 v2, 0
	v_mov_b32_e32 v4, 0
	v_add_nc_u32_e32 v55, 16, v57
	s_mov_b32 s5, 0
	.p2align	6
.LBB22_81:                              ; =>This Inner Loop Header: Depth=1
	s_clause 0x3
	buffer_load_dword v62, v55, s[0:3], 0 offen offset:8
	buffer_load_dword v63, v55, s[0:3], 0 offen offset:12
	buffer_load_dword v64, v55, s[0:3], 0 offen
	buffer_load_dword v65, v55, s[0:3], 0 offen offset:4
	ds_read_b128 v[58:61], v8
	v_add_nc_u32_e32 v7, 1, v7
	v_add_nc_u32_e32 v8, 16, v8
	;; [unrolled: 1-line block ×3, first 2 shown]
	v_cmp_lt_u32_e32 vcc_lo, 15, v7
	s_or_b32 s5, vcc_lo, s5
	s_waitcnt vmcnt(2) lgkmcnt(0)
	v_mul_f64 v[66:67], v[60:61], v[62:63]
	v_mul_f64 v[62:63], v[58:59], v[62:63]
	s_waitcnt vmcnt(0)
	v_fma_f64 v[58:59], v[58:59], v[64:65], -v[66:67]
	v_fma_f64 v[60:61], v[60:61], v[64:65], v[62:63]
	v_add_f64 v[3:4], v[3:4], v[58:59]
	v_add_f64 v[1:2], v[1:2], v[60:61]
	s_andn2_b32 exec_lo, exec_lo, s5
	s_cbranch_execnz .LBB22_81
; %bb.82:
	s_or_b32 exec_lo, exec_lo, s5
	v_mov_b32_e32 v7, 0
	ds_read_b128 v[58:61], v7 offset:272
	s_waitcnt lgkmcnt(0)
	v_mul_f64 v[7:8], v[1:2], v[60:61]
	v_mul_f64 v[55:56], v[3:4], v[60:61]
	v_fma_f64 v[3:4], v[3:4], v[58:59], -v[7:8]
	v_fma_f64 v[1:2], v[1:2], v[58:59], v[55:56]
	buffer_store_dword v4, off, s[0:3], 0 offset:292
	buffer_store_dword v3, off, s[0:3], 0 offset:288
	;; [unrolled: 1-line block ×4, first 2 shown]
.LBB22_83:
	s_or_b32 exec_lo, exec_lo, s4
	v_mov_b32_e32 v4, s14
	s_waitcnt_vscnt null, 0x0
	s_barrier
	buffer_gl0_inv
	s_mov_b32 s4, exec_lo
	s_clause 0x3
	buffer_load_dword v1, v4, s[0:3], 0 offen
	buffer_load_dword v2, v4, s[0:3], 0 offen offset:4
	buffer_load_dword v3, v4, s[0:3], 0 offen offset:8
	;; [unrolled: 1-line block ×3, first 2 shown]
	s_waitcnt vmcnt(0)
	ds_write_b128 v5, v[1:4]
	s_waitcnt lgkmcnt(0)
	s_barrier
	buffer_gl0_inv
	v_cmpx_gt_u32_e32 18, v0
	s_cbranch_execz .LBB22_87
; %bb.84:
	v_mov_b32_e32 v1, 0
	v_mov_b32_e32 v3, 0
	v_add_nc_u32_e32 v7, -1, v0
	v_add_nc_u32_e32 v8, 0x170, v57
	v_mov_b32_e32 v2, 0
	v_mov_b32_e32 v4, 0
	v_add_nc_u32_e32 v55, 16, v57
	s_mov_b32 s5, 0
	.p2align	6
.LBB22_85:                              ; =>This Inner Loop Header: Depth=1
	s_clause 0x3
	buffer_load_dword v62, v55, s[0:3], 0 offen offset:8
	buffer_load_dword v63, v55, s[0:3], 0 offen offset:12
	buffer_load_dword v64, v55, s[0:3], 0 offen
	buffer_load_dword v65, v55, s[0:3], 0 offen offset:4
	ds_read_b128 v[58:61], v8
	v_add_nc_u32_e32 v7, 1, v7
	v_add_nc_u32_e32 v8, 16, v8
	;; [unrolled: 1-line block ×3, first 2 shown]
	v_cmp_lt_u32_e32 vcc_lo, 16, v7
	s_or_b32 s5, vcc_lo, s5
	s_waitcnt vmcnt(2) lgkmcnt(0)
	v_mul_f64 v[66:67], v[60:61], v[62:63]
	v_mul_f64 v[62:63], v[58:59], v[62:63]
	s_waitcnt vmcnt(0)
	v_fma_f64 v[58:59], v[58:59], v[64:65], -v[66:67]
	v_fma_f64 v[60:61], v[60:61], v[64:65], v[62:63]
	v_add_f64 v[3:4], v[3:4], v[58:59]
	v_add_f64 v[1:2], v[1:2], v[60:61]
	s_andn2_b32 exec_lo, exec_lo, s5
	s_cbranch_execnz .LBB22_85
; %bb.86:
	s_or_b32 exec_lo, exec_lo, s5
	v_mov_b32_e32 v7, 0
	ds_read_b128 v[58:61], v7 offset:288
	s_waitcnt lgkmcnt(0)
	v_mul_f64 v[7:8], v[1:2], v[60:61]
	v_mul_f64 v[55:56], v[3:4], v[60:61]
	v_fma_f64 v[3:4], v[3:4], v[58:59], -v[7:8]
	v_fma_f64 v[1:2], v[1:2], v[58:59], v[55:56]
	buffer_store_dword v4, off, s[0:3], 0 offset:308
	buffer_store_dword v3, off, s[0:3], 0 offset:304
	;; [unrolled: 1-line block ×4, first 2 shown]
.LBB22_87:
	s_or_b32 exec_lo, exec_lo, s4
	v_mov_b32_e32 v4, s13
	s_waitcnt_vscnt null, 0x0
	s_barrier
	buffer_gl0_inv
	s_mov_b32 s4, exec_lo
	s_clause 0x3
	buffer_load_dword v1, v4, s[0:3], 0 offen
	buffer_load_dword v2, v4, s[0:3], 0 offen offset:4
	buffer_load_dword v3, v4, s[0:3], 0 offen offset:8
	buffer_load_dword v4, v4, s[0:3], 0 offen offset:12
	s_waitcnt vmcnt(0)
	ds_write_b128 v5, v[1:4]
	s_waitcnt lgkmcnt(0)
	s_barrier
	buffer_gl0_inv
	v_cmpx_gt_u32_e32 19, v0
	s_cbranch_execz .LBB22_91
; %bb.88:
	v_mov_b32_e32 v1, 0
	v_mov_b32_e32 v3, 0
	v_add_nc_u32_e32 v7, -1, v0
	v_add_nc_u32_e32 v8, 0x170, v57
	v_mov_b32_e32 v2, 0
	v_mov_b32_e32 v4, 0
	v_add_nc_u32_e32 v55, 16, v57
	s_mov_b32 s5, 0
	.p2align	6
.LBB22_89:                              ; =>This Inner Loop Header: Depth=1
	s_clause 0x3
	buffer_load_dword v62, v55, s[0:3], 0 offen offset:8
	buffer_load_dword v63, v55, s[0:3], 0 offen offset:12
	buffer_load_dword v64, v55, s[0:3], 0 offen
	buffer_load_dword v65, v55, s[0:3], 0 offen offset:4
	ds_read_b128 v[58:61], v8
	v_add_nc_u32_e32 v7, 1, v7
	v_add_nc_u32_e32 v8, 16, v8
	;; [unrolled: 1-line block ×3, first 2 shown]
	v_cmp_lt_u32_e32 vcc_lo, 17, v7
	s_or_b32 s5, vcc_lo, s5
	s_waitcnt vmcnt(2) lgkmcnt(0)
	v_mul_f64 v[66:67], v[60:61], v[62:63]
	v_mul_f64 v[62:63], v[58:59], v[62:63]
	s_waitcnt vmcnt(0)
	v_fma_f64 v[58:59], v[58:59], v[64:65], -v[66:67]
	v_fma_f64 v[60:61], v[60:61], v[64:65], v[62:63]
	v_add_f64 v[3:4], v[3:4], v[58:59]
	v_add_f64 v[1:2], v[1:2], v[60:61]
	s_andn2_b32 exec_lo, exec_lo, s5
	s_cbranch_execnz .LBB22_89
; %bb.90:
	s_or_b32 exec_lo, exec_lo, s5
	v_mov_b32_e32 v7, 0
	ds_read_b128 v[58:61], v7 offset:304
	s_waitcnt lgkmcnt(0)
	v_mul_f64 v[7:8], v[1:2], v[60:61]
	v_mul_f64 v[55:56], v[3:4], v[60:61]
	v_fma_f64 v[3:4], v[3:4], v[58:59], -v[7:8]
	v_fma_f64 v[1:2], v[1:2], v[58:59], v[55:56]
	buffer_store_dword v4, off, s[0:3], 0 offset:324
	buffer_store_dword v3, off, s[0:3], 0 offset:320
	;; [unrolled: 1-line block ×4, first 2 shown]
.LBB22_91:
	s_or_b32 exec_lo, exec_lo, s4
	v_mov_b32_e32 v4, s12
	s_waitcnt_vscnt null, 0x0
	s_barrier
	buffer_gl0_inv
	s_mov_b32 s4, exec_lo
	s_clause 0x3
	buffer_load_dword v1, v4, s[0:3], 0 offen
	buffer_load_dword v2, v4, s[0:3], 0 offen offset:4
	buffer_load_dword v3, v4, s[0:3], 0 offen offset:8
	;; [unrolled: 1-line block ×3, first 2 shown]
	s_waitcnt vmcnt(0)
	ds_write_b128 v5, v[1:4]
	s_waitcnt lgkmcnt(0)
	s_barrier
	buffer_gl0_inv
	v_cmpx_gt_u32_e32 20, v0
	s_cbranch_execz .LBB22_95
; %bb.92:
	v_mov_b32_e32 v1, 0
	v_mov_b32_e32 v3, 0
	v_add_nc_u32_e32 v7, -1, v0
	v_add_nc_u32_e32 v8, 0x170, v57
	v_mov_b32_e32 v2, 0
	v_mov_b32_e32 v4, 0
	v_add_nc_u32_e32 v55, 16, v57
	s_mov_b32 s5, 0
	.p2align	6
.LBB22_93:                              ; =>This Inner Loop Header: Depth=1
	s_clause 0x3
	buffer_load_dword v62, v55, s[0:3], 0 offen offset:8
	buffer_load_dword v63, v55, s[0:3], 0 offen offset:12
	buffer_load_dword v64, v55, s[0:3], 0 offen
	buffer_load_dword v65, v55, s[0:3], 0 offen offset:4
	ds_read_b128 v[58:61], v8
	v_add_nc_u32_e32 v7, 1, v7
	v_add_nc_u32_e32 v8, 16, v8
	;; [unrolled: 1-line block ×3, first 2 shown]
	v_cmp_lt_u32_e32 vcc_lo, 18, v7
	s_or_b32 s5, vcc_lo, s5
	s_waitcnt vmcnt(2) lgkmcnt(0)
	v_mul_f64 v[66:67], v[60:61], v[62:63]
	v_mul_f64 v[62:63], v[58:59], v[62:63]
	s_waitcnt vmcnt(0)
	v_fma_f64 v[58:59], v[58:59], v[64:65], -v[66:67]
	v_fma_f64 v[60:61], v[60:61], v[64:65], v[62:63]
	v_add_f64 v[3:4], v[3:4], v[58:59]
	v_add_f64 v[1:2], v[1:2], v[60:61]
	s_andn2_b32 exec_lo, exec_lo, s5
	s_cbranch_execnz .LBB22_93
; %bb.94:
	s_or_b32 exec_lo, exec_lo, s5
	v_mov_b32_e32 v7, 0
	ds_read_b128 v[58:61], v7 offset:320
	s_waitcnt lgkmcnt(0)
	v_mul_f64 v[7:8], v[1:2], v[60:61]
	v_mul_f64 v[55:56], v[3:4], v[60:61]
	v_fma_f64 v[3:4], v[3:4], v[58:59], -v[7:8]
	v_fma_f64 v[1:2], v[1:2], v[58:59], v[55:56]
	buffer_store_dword v4, off, s[0:3], 0 offset:340
	buffer_store_dword v3, off, s[0:3], 0 offset:336
	;; [unrolled: 1-line block ×4, first 2 shown]
.LBB22_95:
	s_or_b32 exec_lo, exec_lo, s4
	v_mov_b32_e32 v4, s9
	s_waitcnt_vscnt null, 0x0
	s_barrier
	buffer_gl0_inv
	s_mov_b32 s4, exec_lo
	s_clause 0x3
	buffer_load_dword v1, v4, s[0:3], 0 offen
	buffer_load_dword v2, v4, s[0:3], 0 offen offset:4
	buffer_load_dword v3, v4, s[0:3], 0 offen offset:8
	;; [unrolled: 1-line block ×3, first 2 shown]
	s_waitcnt vmcnt(0)
	ds_write_b128 v5, v[1:4]
	s_waitcnt lgkmcnt(0)
	s_barrier
	buffer_gl0_inv
	v_cmpx_gt_u32_e32 21, v0
	s_cbranch_execz .LBB22_99
; %bb.96:
	v_mov_b32_e32 v1, 0
	v_mov_b32_e32 v3, 0
	v_add_nc_u32_e32 v7, -1, v0
	v_add_nc_u32_e32 v8, 0x170, v57
	v_mov_b32_e32 v2, 0
	v_mov_b32_e32 v4, 0
	v_add_nc_u32_e32 v55, 16, v57
	s_mov_b32 s5, 0
	.p2align	6
.LBB22_97:                              ; =>This Inner Loop Header: Depth=1
	s_clause 0x3
	buffer_load_dword v62, v55, s[0:3], 0 offen offset:8
	buffer_load_dword v63, v55, s[0:3], 0 offen offset:12
	buffer_load_dword v64, v55, s[0:3], 0 offen
	buffer_load_dword v65, v55, s[0:3], 0 offen offset:4
	ds_read_b128 v[58:61], v8
	v_add_nc_u32_e32 v7, 1, v7
	v_add_nc_u32_e32 v8, 16, v8
	;; [unrolled: 1-line block ×3, first 2 shown]
	v_cmp_lt_u32_e32 vcc_lo, 19, v7
	s_or_b32 s5, vcc_lo, s5
	s_waitcnt vmcnt(2) lgkmcnt(0)
	v_mul_f64 v[66:67], v[60:61], v[62:63]
	v_mul_f64 v[62:63], v[58:59], v[62:63]
	s_waitcnt vmcnt(0)
	v_fma_f64 v[58:59], v[58:59], v[64:65], -v[66:67]
	v_fma_f64 v[60:61], v[60:61], v[64:65], v[62:63]
	v_add_f64 v[3:4], v[3:4], v[58:59]
	v_add_f64 v[1:2], v[1:2], v[60:61]
	s_andn2_b32 exec_lo, exec_lo, s5
	s_cbranch_execnz .LBB22_97
; %bb.98:
	s_or_b32 exec_lo, exec_lo, s5
	v_mov_b32_e32 v7, 0
	ds_read_b128 v[58:61], v7 offset:336
	s_waitcnt lgkmcnt(0)
	v_mul_f64 v[7:8], v[1:2], v[60:61]
	v_mul_f64 v[55:56], v[3:4], v[60:61]
	v_fma_f64 v[3:4], v[3:4], v[58:59], -v[7:8]
	v_fma_f64 v[1:2], v[1:2], v[58:59], v[55:56]
	buffer_store_dword v4, off, s[0:3], 0 offset:356
	buffer_store_dword v3, off, s[0:3], 0 offset:352
	;; [unrolled: 1-line block ×4, first 2 shown]
.LBB22_99:
	s_or_b32 exec_lo, exec_lo, s4
	v_mov_b32_e32 v4, s8
	s_waitcnt_vscnt null, 0x0
	s_barrier
	buffer_gl0_inv
	s_mov_b32 s4, exec_lo
	s_clause 0x3
	buffer_load_dword v1, v4, s[0:3], 0 offen
	buffer_load_dword v2, v4, s[0:3], 0 offen offset:4
	buffer_load_dword v3, v4, s[0:3], 0 offen offset:8
	;; [unrolled: 1-line block ×3, first 2 shown]
	s_waitcnt vmcnt(0)
	ds_write_b128 v5, v[1:4]
	s_waitcnt lgkmcnt(0)
	s_barrier
	buffer_gl0_inv
	v_cmpx_ne_u32_e32 22, v0
	s_cbranch_execz .LBB22_103
; %bb.100:
	v_mov_b32_e32 v1, 0
	v_mov_b32_e32 v3, 0
	;; [unrolled: 1-line block ×4, first 2 shown]
	v_add_nc_u32_e32 v7, 16, v57
	s_mov_b32 s5, 0
	.p2align	6
.LBB22_101:                             ; =>This Inner Loop Header: Depth=1
	s_clause 0x3
	buffer_load_dword v59, v7, s[0:3], 0 offen offset:8
	buffer_load_dword v60, v7, s[0:3], 0 offen offset:12
	buffer_load_dword v61, v7, s[0:3], 0 offen
	buffer_load_dword v62, v7, s[0:3], 0 offen offset:4
	ds_read_b128 v[55:58], v5
	v_add_nc_u32_e32 v6, 1, v6
	v_add_nc_u32_e32 v5, 16, v5
	;; [unrolled: 1-line block ×3, first 2 shown]
	v_cmp_lt_u32_e32 vcc_lo, 20, v6
	s_or_b32 s5, vcc_lo, s5
	s_waitcnt vmcnt(2) lgkmcnt(0)
	v_mul_f64 v[63:64], v[57:58], v[59:60]
	v_mul_f64 v[59:60], v[55:56], v[59:60]
	s_waitcnt vmcnt(0)
	v_fma_f64 v[55:56], v[55:56], v[61:62], -v[63:64]
	v_fma_f64 v[57:58], v[57:58], v[61:62], v[59:60]
	v_add_f64 v[3:4], v[3:4], v[55:56]
	v_add_f64 v[1:2], v[1:2], v[57:58]
	s_andn2_b32 exec_lo, exec_lo, s5
	s_cbranch_execnz .LBB22_101
; %bb.102:
	s_or_b32 exec_lo, exec_lo, s5
	v_mov_b32_e32 v5, 0
	ds_read_b128 v[5:8], v5 offset:352
	s_waitcnt lgkmcnt(0)
	v_mul_f64 v[55:56], v[1:2], v[7:8]
	v_mul_f64 v[7:8], v[3:4], v[7:8]
	v_fma_f64 v[3:4], v[3:4], v[5:6], -v[55:56]
	v_fma_f64 v[1:2], v[1:2], v[5:6], v[7:8]
	buffer_store_dword v4, off, s[0:3], 0 offset:372
	buffer_store_dword v3, off, s[0:3], 0 offset:368
	buffer_store_dword v2, off, s[0:3], 0 offset:380
	buffer_store_dword v1, off, s[0:3], 0 offset:376
.LBB22_103:
	s_or_b32 exec_lo, exec_lo, s4
	s_mov_b32 s5, -1
	s_waitcnt_vscnt null, 0x0
	s_barrier
	buffer_gl0_inv
.LBB22_104:
	s_and_b32 vcc_lo, exec_lo, s5
	s_cbranch_vccz .LBB22_106
; %bb.105:
	s_lshl_b64 s[4:5], s[6:7], 2
	v_mov_b32_e32 v1, 0
	s_add_u32 s4, s10, s4
	s_addc_u32 s5, s11, s5
	global_load_dword v1, v1, s[4:5]
	s_waitcnt vmcnt(0)
	v_cmp_ne_u32_e32 vcc_lo, 0, v1
	s_cbranch_vccz .LBB22_107
.LBB22_106:
	s_endpgm
.LBB22_107:
	v_lshl_add_u32 v1, v0, 4, 0x170
	s_mov_b32 s4, exec_lo
	v_cmpx_eq_u32_e32 22, v0
	s_cbranch_execz .LBB22_109
; %bb.108:
	v_mov_b32_e32 v5, s9
	v_mov_b32_e32 v6, 0
	s_clause 0x3
	buffer_load_dword v2, v5, s[0:3], 0 offen
	buffer_load_dword v3, v5, s[0:3], 0 offen offset:4
	buffer_load_dword v4, v5, s[0:3], 0 offen offset:8
	;; [unrolled: 1-line block ×3, first 2 shown]
	buffer_store_dword v6, off, s[0:3], 0 offset:352
	buffer_store_dword v6, off, s[0:3], 0 offset:356
	;; [unrolled: 1-line block ×4, first 2 shown]
	s_waitcnt vmcnt(0)
	ds_write_b128 v1, v[2:5]
.LBB22_109:
	s_or_b32 exec_lo, exec_lo, s4
	s_waitcnt lgkmcnt(0)
	s_waitcnt_vscnt null, 0x0
	s_barrier
	buffer_gl0_inv
	s_clause 0x7
	buffer_load_dword v7, off, s[0:3], 0 offset:376
	buffer_load_dword v8, off, s[0:3], 0 offset:380
	;; [unrolled: 1-line block ×8, first 2 shown]
	v_mov_b32_e32 v2, 0
	s_mov_b32 s4, exec_lo
	ds_read_b128 v[3:6], v2 offset:720
	s_waitcnt vmcnt(6) lgkmcnt(0)
	v_mul_f64 v[61:62], v[5:6], v[7:8]
	v_mul_f64 v[7:8], v[3:4], v[7:8]
	s_waitcnt vmcnt(4)
	v_fma_f64 v[3:4], v[3:4], v[55:56], -v[61:62]
	v_fma_f64 v[5:6], v[5:6], v[55:56], v[7:8]
	v_add_f64 v[3:4], v[3:4], 0
	v_add_f64 v[5:6], v[5:6], 0
	s_waitcnt vmcnt(2)
	v_add_f64 v[3:4], v[57:58], -v[3:4]
	s_waitcnt vmcnt(0)
	v_add_f64 v[5:6], v[59:60], -v[5:6]
	buffer_store_dword v3, off, s[0:3], 0 offset:352
	buffer_store_dword v4, off, s[0:3], 0 offset:356
	;; [unrolled: 1-line block ×4, first 2 shown]
	v_cmpx_lt_u32_e32 20, v0
	s_cbranch_execz .LBB22_111
; %bb.110:
	v_mov_b32_e32 v6, s12
	s_clause 0x3
	buffer_load_dword v3, v6, s[0:3], 0 offen
	buffer_load_dword v4, v6, s[0:3], 0 offen offset:4
	buffer_load_dword v5, v6, s[0:3], 0 offen offset:8
	;; [unrolled: 1-line block ×3, first 2 shown]
	buffer_store_dword v2, off, s[0:3], 0 offset:336
	buffer_store_dword v2, off, s[0:3], 0 offset:340
	;; [unrolled: 1-line block ×4, first 2 shown]
	s_waitcnt vmcnt(0)
	ds_write_b128 v1, v[3:6]
.LBB22_111:
	s_or_b32 exec_lo, exec_lo, s4
	s_waitcnt lgkmcnt(0)
	s_waitcnt_vscnt null, 0x0
	s_barrier
	buffer_gl0_inv
	s_clause 0xb
	buffer_load_dword v7, off, s[0:3], 0 offset:360
	buffer_load_dword v8, off, s[0:3], 0 offset:364
	;; [unrolled: 1-line block ×12, first 2 shown]
	ds_read_b128 v[3:6], v2 offset:704
	ds_read_b128 v[55:58], v2 offset:720
	s_mov_b32 s4, exec_lo
	s_waitcnt vmcnt(10) lgkmcnt(1)
	v_mul_f64 v[69:70], v[5:6], v[7:8]
	v_mul_f64 v[7:8], v[3:4], v[7:8]
	s_waitcnt vmcnt(8) lgkmcnt(0)
	v_mul_f64 v[71:72], v[57:58], v[59:60]
	v_mul_f64 v[59:60], v[55:56], v[59:60]
	s_waitcnt vmcnt(6)
	v_fma_f64 v[2:3], v[3:4], v[61:62], -v[69:70]
	v_fma_f64 v[4:5], v[5:6], v[61:62], v[7:8]
	s_waitcnt vmcnt(4)
	v_fma_f64 v[6:7], v[55:56], v[63:64], -v[71:72]
	v_fma_f64 v[55:56], v[57:58], v[63:64], v[59:60]
	v_add_f64 v[2:3], v[2:3], 0
	v_add_f64 v[4:5], v[4:5], 0
	v_add_f64 v[2:3], v[2:3], v[6:7]
	v_add_f64 v[4:5], v[4:5], v[55:56]
	s_waitcnt vmcnt(2)
	v_add_f64 v[2:3], v[65:66], -v[2:3]
	s_waitcnt vmcnt(0)
	v_add_f64 v[4:5], v[67:68], -v[4:5]
	buffer_store_dword v2, off, s[0:3], 0 offset:336
	buffer_store_dword v3, off, s[0:3], 0 offset:340
	;; [unrolled: 1-line block ×4, first 2 shown]
	v_cmpx_lt_u32_e32 19, v0
	s_cbranch_execz .LBB22_113
; %bb.112:
	v_mov_b32_e32 v5, s13
	v_mov_b32_e32 v6, 0
	s_clause 0x3
	buffer_load_dword v2, v5, s[0:3], 0 offen
	buffer_load_dword v3, v5, s[0:3], 0 offen offset:4
	buffer_load_dword v4, v5, s[0:3], 0 offen offset:8
	buffer_load_dword v5, v5, s[0:3], 0 offen offset:12
	buffer_store_dword v6, off, s[0:3], 0 offset:320
	buffer_store_dword v6, off, s[0:3], 0 offset:324
	buffer_store_dword v6, off, s[0:3], 0 offset:328
	buffer_store_dword v6, off, s[0:3], 0 offset:332
	s_waitcnt vmcnt(0)
	ds_write_b128 v1, v[2:5]
.LBB22_113:
	s_or_b32 exec_lo, exec_lo, s4
	s_waitcnt lgkmcnt(0)
	s_waitcnt_vscnt null, 0x0
	s_barrier
	buffer_gl0_inv
	s_clause 0xf
	buffer_load_dword v7, off, s[0:3], 0 offset:344
	buffer_load_dword v8, off, s[0:3], 0 offset:348
	;; [unrolled: 1-line block ×16, first 2 shown]
	v_mov_b32_e32 v2, 0
	ds_read_b128 v[3:6], v2 offset:688
	ds_read_b128 v[55:58], v2 offset:704
	;; [unrolled: 1-line block ×3, first 2 shown]
	s_mov_b32 s4, exec_lo
	s_waitcnt vmcnt(14) lgkmcnt(2)
	v_mul_f64 v[77:78], v[5:6], v[7:8]
	v_mul_f64 v[7:8], v[3:4], v[7:8]
	s_waitcnt vmcnt(12) lgkmcnt(1)
	v_mul_f64 v[79:80], v[57:58], v[63:64]
	v_mul_f64 v[63:64], v[55:56], v[63:64]
	s_waitcnt vmcnt(10)
	v_fma_f64 v[3:4], v[3:4], v[65:66], -v[77:78]
	v_fma_f64 v[5:6], v[5:6], v[65:66], v[7:8]
	s_waitcnt vmcnt(8) lgkmcnt(0)
	v_mul_f64 v[65:66], v[61:62], v[67:68]
	s_waitcnt vmcnt(6)
	v_fma_f64 v[55:56], v[55:56], v[69:70], -v[79:80]
	v_mul_f64 v[7:8], v[59:60], v[67:68]
	v_fma_f64 v[57:58], v[57:58], v[69:70], v[63:64]
	v_add_f64 v[3:4], v[3:4], 0
	v_add_f64 v[5:6], v[5:6], 0
	s_waitcnt vmcnt(4)
	v_fma_f64 v[59:60], v[59:60], v[71:72], -v[65:66]
	v_fma_f64 v[7:8], v[61:62], v[71:72], v[7:8]
	v_add_f64 v[3:4], v[3:4], v[55:56]
	v_add_f64 v[5:6], v[5:6], v[57:58]
	v_add_f64 v[3:4], v[3:4], v[59:60]
	v_add_f64 v[5:6], v[5:6], v[7:8]
	s_waitcnt vmcnt(2)
	v_add_f64 v[3:4], v[73:74], -v[3:4]
	s_waitcnt vmcnt(0)
	v_add_f64 v[5:6], v[75:76], -v[5:6]
	buffer_store_dword v3, off, s[0:3], 0 offset:320
	buffer_store_dword v4, off, s[0:3], 0 offset:324
	;; [unrolled: 1-line block ×4, first 2 shown]
	v_cmpx_lt_u32_e32 18, v0
	s_cbranch_execz .LBB22_115
; %bb.114:
	v_mov_b32_e32 v6, s14
	s_clause 0x3
	buffer_load_dword v3, v6, s[0:3], 0 offen
	buffer_load_dword v4, v6, s[0:3], 0 offen offset:4
	buffer_load_dword v5, v6, s[0:3], 0 offen offset:8
	;; [unrolled: 1-line block ×3, first 2 shown]
	buffer_store_dword v2, off, s[0:3], 0 offset:304
	buffer_store_dword v2, off, s[0:3], 0 offset:308
	;; [unrolled: 1-line block ×4, first 2 shown]
	s_waitcnt vmcnt(0)
	ds_write_b128 v1, v[3:6]
.LBB22_115:
	s_or_b32 exec_lo, exec_lo, s4
	s_waitcnt lgkmcnt(0)
	s_waitcnt_vscnt null, 0x0
	s_barrier
	buffer_gl0_inv
	s_clause 0x13
	buffer_load_dword v7, off, s[0:3], 0 offset:328
	buffer_load_dword v8, off, s[0:3], 0 offset:332
	;; [unrolled: 1-line block ×20, first 2 shown]
	ds_read_b128 v[3:6], v2 offset:672
	ds_read_b128 v[55:58], v2 offset:688
	;; [unrolled: 1-line block ×3, first 2 shown]
	s_mov_b32 s4, exec_lo
	s_waitcnt vmcnt(18) lgkmcnt(2)
	v_mul_f64 v[81:82], v[5:6], v[7:8]
	v_mul_f64 v[7:8], v[3:4], v[7:8]
	s_waitcnt vmcnt(16) lgkmcnt(1)
	v_mul_f64 v[83:84], v[57:58], v[63:64]
	v_mul_f64 v[63:64], v[55:56], v[63:64]
	s_waitcnt vmcnt(14)
	v_fma_f64 v[81:82], v[3:4], v[65:66], -v[81:82]
	v_fma_f64 v[6:7], v[5:6], v[65:66], v[7:8]
	s_waitcnt vmcnt(12) lgkmcnt(0)
	v_mul_f64 v[65:66], v[59:60], v[67:68]
	v_mul_f64 v[67:68], v[61:62], v[67:68]
	s_waitcnt vmcnt(10)
	v_fma_f64 v[55:56], v[55:56], v[69:70], -v[83:84]
	ds_read_b128 v[2:5], v2 offset:720
	v_fma_f64 v[57:58], v[57:58], v[69:70], v[63:64]
	v_add_f64 v[81:82], v[81:82], 0
	v_add_f64 v[6:7], v[6:7], 0
	s_waitcnt vmcnt(6)
	v_fma_f64 v[61:62], v[61:62], v[73:74], v[65:66]
	s_waitcnt lgkmcnt(0)
	v_mul_f64 v[69:70], v[4:5], v[71:72]
	v_fma_f64 v[59:60], v[59:60], v[73:74], -v[67:68]
	v_mul_f64 v[63:64], v[2:3], v[71:72]
	v_add_f64 v[55:56], v[81:82], v[55:56]
	v_add_f64 v[6:7], v[6:7], v[57:58]
	s_waitcnt vmcnt(4)
	v_fma_f64 v[2:3], v[2:3], v[75:76], -v[69:70]
	v_fma_f64 v[4:5], v[4:5], v[75:76], v[63:64]
	v_add_f64 v[55:56], v[55:56], v[59:60]
	v_add_f64 v[6:7], v[6:7], v[61:62]
	;; [unrolled: 1-line block ×4, first 2 shown]
	s_waitcnt vmcnt(2)
	v_add_f64 v[2:3], v[77:78], -v[2:3]
	s_waitcnt vmcnt(0)
	v_add_f64 v[4:5], v[79:80], -v[4:5]
	buffer_store_dword v2, off, s[0:3], 0 offset:304
	buffer_store_dword v3, off, s[0:3], 0 offset:308
	;; [unrolled: 1-line block ×4, first 2 shown]
	v_cmpx_lt_u32_e32 17, v0
	s_cbranch_execz .LBB22_117
; %bb.116:
	v_mov_b32_e32 v5, s15
	v_mov_b32_e32 v6, 0
	s_clause 0x3
	buffer_load_dword v2, v5, s[0:3], 0 offen
	buffer_load_dword v3, v5, s[0:3], 0 offen offset:4
	buffer_load_dword v4, v5, s[0:3], 0 offen offset:8
	;; [unrolled: 1-line block ×3, first 2 shown]
	buffer_store_dword v6, off, s[0:3], 0 offset:288
	buffer_store_dword v6, off, s[0:3], 0 offset:292
	;; [unrolled: 1-line block ×4, first 2 shown]
	s_waitcnt vmcnt(0)
	ds_write_b128 v1, v[2:5]
.LBB22_117:
	s_or_b32 exec_lo, exec_lo, s4
	s_waitcnt lgkmcnt(0)
	s_waitcnt_vscnt null, 0x0
	s_barrier
	buffer_gl0_inv
	s_clause 0x17
	buffer_load_dword v7, off, s[0:3], 0 offset:312
	buffer_load_dword v8, off, s[0:3], 0 offset:316
	;; [unrolled: 1-line block ×24, first 2 shown]
	v_mov_b32_e32 v2, 0
	ds_read_b128 v[3:6], v2 offset:656
	ds_read_b128 v[55:58], v2 offset:672
	;; [unrolled: 1-line block ×3, first 2 shown]
	s_mov_b32 s4, exec_lo
	s_waitcnt vmcnt(22) lgkmcnt(2)
	v_mul_f64 v[85:86], v[5:6], v[7:8]
	v_mul_f64 v[7:8], v[3:4], v[7:8]
	s_waitcnt vmcnt(20) lgkmcnt(1)
	v_mul_f64 v[87:88], v[57:58], v[63:64]
	v_mul_f64 v[63:64], v[55:56], v[63:64]
	s_waitcnt vmcnt(18)
	v_fma_f64 v[85:86], v[3:4], v[65:66], -v[85:86]
	v_fma_f64 v[7:8], v[5:6], v[65:66], v[7:8]
	ds_read_b128 v[3:6], v2 offset:704
	s_waitcnt vmcnt(16) lgkmcnt(1)
	v_mul_f64 v[65:66], v[59:60], v[67:68]
	v_mul_f64 v[67:68], v[61:62], v[67:68]
	s_waitcnt vmcnt(14)
	v_fma_f64 v[87:88], v[55:56], v[69:70], -v[87:88]
	v_fma_f64 v[63:64], v[57:58], v[69:70], v[63:64]
	ds_read_b128 v[55:58], v2 offset:720
	s_waitcnt vmcnt(10) lgkmcnt(1)
	v_mul_f64 v[69:70], v[3:4], v[71:72]
	v_add_f64 v[85:86], v[85:86], 0
	v_add_f64 v[7:8], v[7:8], 0
	v_mul_f64 v[71:72], v[5:6], v[71:72]
	s_waitcnt vmcnt(8)
	v_fma_f64 v[59:60], v[59:60], v[77:78], -v[67:68]
	v_fma_f64 v[61:62], v[61:62], v[77:78], v[65:66]
	s_waitcnt vmcnt(7) lgkmcnt(0)
	v_mul_f64 v[65:66], v[57:58], v[73:74]
	s_waitcnt vmcnt(5)
	v_fma_f64 v[5:6], v[5:6], v[79:80], v[69:70]
	v_add_f64 v[67:68], v[85:86], v[87:88]
	v_add_f64 v[7:8], v[7:8], v[63:64]
	v_fma_f64 v[3:4], v[3:4], v[79:80], -v[71:72]
	v_mul_f64 v[63:64], v[55:56], v[73:74]
	s_waitcnt vmcnt(4)
	v_fma_f64 v[55:56], v[55:56], v[75:76], -v[65:66]
	v_add_f64 v[59:60], v[67:68], v[59:60]
	v_add_f64 v[7:8], v[7:8], v[61:62]
	v_fma_f64 v[57:58], v[57:58], v[75:76], v[63:64]
	v_add_f64 v[3:4], v[59:60], v[3:4]
	v_add_f64 v[5:6], v[7:8], v[5:6]
	;; [unrolled: 1-line block ×4, first 2 shown]
	s_waitcnt vmcnt(2)
	v_add_f64 v[3:4], v[81:82], -v[3:4]
	s_waitcnt vmcnt(0)
	v_add_f64 v[5:6], v[83:84], -v[5:6]
	buffer_store_dword v4, off, s[0:3], 0 offset:292
	buffer_store_dword v3, off, s[0:3], 0 offset:288
	;; [unrolled: 1-line block ×4, first 2 shown]
	v_cmpx_lt_u32_e32 16, v0
	s_cbranch_execz .LBB22_119
; %bb.118:
	v_mov_b32_e32 v6, s16
	s_clause 0x3
	buffer_load_dword v3, v6, s[0:3], 0 offen
	buffer_load_dword v4, v6, s[0:3], 0 offen offset:4
	buffer_load_dword v5, v6, s[0:3], 0 offen offset:8
	buffer_load_dword v6, v6, s[0:3], 0 offen offset:12
	buffer_store_dword v2, off, s[0:3], 0 offset:272
	buffer_store_dword v2, off, s[0:3], 0 offset:276
	;; [unrolled: 1-line block ×4, first 2 shown]
	s_waitcnt vmcnt(0)
	ds_write_b128 v1, v[3:6]
.LBB22_119:
	s_or_b32 exec_lo, exec_lo, s4
	s_waitcnt lgkmcnt(0)
	s_waitcnt_vscnt null, 0x0
	s_barrier
	buffer_gl0_inv
	s_clause 0x1b
	buffer_load_dword v7, off, s[0:3], 0 offset:296
	buffer_load_dword v8, off, s[0:3], 0 offset:300
	;; [unrolled: 1-line block ×28, first 2 shown]
	ds_read_b128 v[3:6], v2 offset:640
	ds_read_b128 v[55:58], v2 offset:656
	;; [unrolled: 1-line block ×3, first 2 shown]
	s_mov_b32 s4, exec_lo
	s_waitcnt vmcnt(26) lgkmcnt(2)
	v_mul_f64 v[89:90], v[5:6], v[7:8]
	v_mul_f64 v[7:8], v[3:4], v[7:8]
	s_waitcnt vmcnt(24) lgkmcnt(1)
	v_mul_f64 v[91:92], v[57:58], v[63:64]
	v_mul_f64 v[63:64], v[55:56], v[63:64]
	s_waitcnt vmcnt(22)
	v_fma_f64 v[89:90], v[3:4], v[65:66], -v[89:90]
	v_fma_f64 v[7:8], v[5:6], v[65:66], v[7:8]
	ds_read_b128 v[3:6], v2 offset:688
	s_waitcnt vmcnt(20) lgkmcnt(1)
	v_mul_f64 v[65:66], v[59:60], v[67:68]
	v_mul_f64 v[67:68], v[61:62], v[67:68]
	s_waitcnt vmcnt(18)
	v_fma_f64 v[91:92], v[55:56], v[69:70], -v[91:92]
	v_fma_f64 v[63:64], v[57:58], v[69:70], v[63:64]
	ds_read_b128 v[55:58], v2 offset:704
	s_waitcnt vmcnt(14) lgkmcnt(1)
	v_mul_f64 v[69:70], v[3:4], v[71:72]
	v_add_f64 v[89:90], v[89:90], 0
	v_add_f64 v[7:8], v[7:8], 0
	v_mul_f64 v[71:72], v[5:6], v[71:72]
	s_waitcnt vmcnt(12)
	v_fma_f64 v[67:68], v[59:60], v[77:78], -v[67:68]
	v_fma_f64 v[65:66], v[61:62], v[77:78], v[65:66]
	ds_read_b128 v[59:62], v2 offset:720
	v_add_f64 v[89:90], v[89:90], v[91:92]
	v_add_f64 v[7:8], v[7:8], v[63:64]
	s_waitcnt vmcnt(11) lgkmcnt(1)
	v_mul_f64 v[63:64], v[55:56], v[73:74]
	v_mul_f64 v[73:74], v[57:58], v[73:74]
	s_waitcnt vmcnt(9)
	v_fma_f64 v[2:3], v[3:4], v[79:80], -v[71:72]
	v_fma_f64 v[4:5], v[5:6], v[79:80], v[69:70]
	s_waitcnt vmcnt(7) lgkmcnt(0)
	v_mul_f64 v[69:70], v[61:62], v[81:82]
	v_add_f64 v[67:68], v[89:90], v[67:68]
	v_add_f64 v[6:7], v[7:8], v[65:66]
	v_mul_f64 v[65:66], v[59:60], v[81:82]
	s_waitcnt vmcnt(6)
	v_fma_f64 v[55:56], v[55:56], v[75:76], -v[73:74]
	v_fma_f64 v[57:58], v[57:58], v[75:76], v[63:64]
	v_add_f64 v[2:3], v[67:68], v[2:3]
	v_add_f64 v[4:5], v[6:7], v[4:5]
	s_waitcnt vmcnt(4)
	v_fma_f64 v[6:7], v[59:60], v[83:84], -v[69:70]
	v_add_f64 v[2:3], v[2:3], v[55:56]
	v_fma_f64 v[55:56], v[61:62], v[83:84], v[65:66]
	v_add_f64 v[4:5], v[4:5], v[57:58]
	v_add_f64 v[2:3], v[2:3], v[6:7]
	;; [unrolled: 1-line block ×3, first 2 shown]
	s_waitcnt vmcnt(2)
	v_add_f64 v[2:3], v[85:86], -v[2:3]
	s_waitcnt vmcnt(0)
	v_add_f64 v[4:5], v[87:88], -v[4:5]
	buffer_store_dword v3, off, s[0:3], 0 offset:276
	buffer_store_dword v2, off, s[0:3], 0 offset:272
	;; [unrolled: 1-line block ×4, first 2 shown]
	v_cmpx_lt_u32_e32 15, v0
	s_cbranch_execz .LBB22_121
; %bb.120:
	v_mov_b32_e32 v5, s17
	v_mov_b32_e32 v6, 0
	s_clause 0x3
	buffer_load_dword v2, v5, s[0:3], 0 offen
	buffer_load_dword v3, v5, s[0:3], 0 offen offset:4
	buffer_load_dword v4, v5, s[0:3], 0 offen offset:8
	buffer_load_dword v5, v5, s[0:3], 0 offen offset:12
	buffer_store_dword v6, off, s[0:3], 0 offset:256
	buffer_store_dword v6, off, s[0:3], 0 offset:260
	;; [unrolled: 1-line block ×4, first 2 shown]
	s_waitcnt vmcnt(0)
	ds_write_b128 v1, v[2:5]
.LBB22_121:
	s_or_b32 exec_lo, exec_lo, s4
	s_waitcnt lgkmcnt(0)
	s_waitcnt_vscnt null, 0x0
	s_barrier
	buffer_gl0_inv
	s_clause 0x1f
	buffer_load_dword v7, off, s[0:3], 0 offset:280
	buffer_load_dword v8, off, s[0:3], 0 offset:284
	;; [unrolled: 1-line block ×32, first 2 shown]
	v_mov_b32_e32 v2, 0
	ds_read_b128 v[3:6], v2 offset:624
	ds_read_b128 v[55:58], v2 offset:640
	;; [unrolled: 1-line block ×3, first 2 shown]
	s_mov_b32 s4, exec_lo
	s_waitcnt vmcnt(30) lgkmcnt(2)
	v_mul_f64 v[93:94], v[5:6], v[7:8]
	v_mul_f64 v[7:8], v[3:4], v[7:8]
	s_waitcnt vmcnt(28) lgkmcnt(1)
	v_mul_f64 v[95:96], v[57:58], v[63:64]
	v_mul_f64 v[63:64], v[55:56], v[63:64]
	s_waitcnt vmcnt(26)
	v_fma_f64 v[93:94], v[3:4], v[65:66], -v[93:94]
	v_fma_f64 v[7:8], v[5:6], v[65:66], v[7:8]
	ds_read_b128 v[3:6], v2 offset:672
	s_waitcnt vmcnt(24) lgkmcnt(1)
	v_mul_f64 v[65:66], v[59:60], v[67:68]
	v_mul_f64 v[67:68], v[61:62], v[67:68]
	s_waitcnt vmcnt(22)
	v_fma_f64 v[95:96], v[55:56], v[69:70], -v[95:96]
	v_fma_f64 v[63:64], v[57:58], v[69:70], v[63:64]
	ds_read_b128 v[55:58], v2 offset:688
	s_waitcnt vmcnt(18) lgkmcnt(1)
	v_mul_f64 v[69:70], v[3:4], v[71:72]
	v_add_f64 v[93:94], v[93:94], 0
	v_add_f64 v[7:8], v[7:8], 0
	v_mul_f64 v[71:72], v[5:6], v[71:72]
	s_waitcnt vmcnt(16)
	v_fma_f64 v[67:68], v[59:60], v[77:78], -v[67:68]
	v_fma_f64 v[65:66], v[61:62], v[77:78], v[65:66]
	ds_read_b128 v[59:62], v2 offset:704
	s_waitcnt vmcnt(13)
	v_fma_f64 v[69:70], v[5:6], v[79:80], v[69:70]
	v_add_f64 v[93:94], v[93:94], v[95:96]
	v_add_f64 v[7:8], v[7:8], v[63:64]
	s_waitcnt lgkmcnt(1)
	v_mul_f64 v[63:64], v[55:56], v[73:74]
	v_mul_f64 v[73:74], v[57:58], v[73:74]
	v_fma_f64 v[71:72], v[3:4], v[79:80], -v[71:72]
	s_waitcnt vmcnt(9) lgkmcnt(0)
	v_mul_f64 v[77:78], v[61:62], v[81:82]
	ds_read_b128 v[3:6], v2 offset:720
	v_add_f64 v[67:68], v[93:94], v[67:68]
	v_add_f64 v[7:8], v[7:8], v[65:66]
	v_mul_f64 v[65:66], v[59:60], v[81:82]
	s_waitcnt vmcnt(8)
	v_fma_f64 v[55:56], v[55:56], v[75:76], -v[73:74]
	v_fma_f64 v[57:58], v[57:58], v[75:76], v[63:64]
	s_waitcnt vmcnt(5)
	v_fma_f64 v[59:60], v[59:60], v[87:88], -v[77:78]
	s_waitcnt lgkmcnt(0)
	v_mul_f64 v[63:64], v[3:4], v[83:84]
	v_add_f64 v[67:68], v[67:68], v[71:72]
	v_add_f64 v[7:8], v[7:8], v[69:70]
	v_mul_f64 v[69:70], v[5:6], v[83:84]
	v_fma_f64 v[61:62], v[61:62], v[87:88], v[65:66]
	s_waitcnt vmcnt(4)
	v_fma_f64 v[5:6], v[5:6], v[85:86], v[63:64]
	v_add_f64 v[55:56], v[67:68], v[55:56]
	v_add_f64 v[7:8], v[7:8], v[57:58]
	v_fma_f64 v[3:4], v[3:4], v[85:86], -v[69:70]
	v_add_f64 v[55:56], v[55:56], v[59:60]
	v_add_f64 v[7:8], v[7:8], v[61:62]
	v_add_f64 v[3:4], v[55:56], v[3:4]
	v_add_f64 v[5:6], v[7:8], v[5:6]
	s_waitcnt vmcnt(2)
	v_add_f64 v[3:4], v[89:90], -v[3:4]
	s_waitcnt vmcnt(0)
	v_add_f64 v[5:6], v[91:92], -v[5:6]
	buffer_store_dword v4, off, s[0:3], 0 offset:260
	buffer_store_dword v3, off, s[0:3], 0 offset:256
	;; [unrolled: 1-line block ×4, first 2 shown]
	v_cmpx_lt_u32_e32 14, v0
	s_cbranch_execz .LBB22_123
; %bb.122:
	v_mov_b32_e32 v6, s18
	s_clause 0x3
	buffer_load_dword v3, v6, s[0:3], 0 offen
	buffer_load_dword v4, v6, s[0:3], 0 offen offset:4
	buffer_load_dword v5, v6, s[0:3], 0 offen offset:8
	;; [unrolled: 1-line block ×3, first 2 shown]
	buffer_store_dword v2, off, s[0:3], 0 offset:240
	buffer_store_dword v2, off, s[0:3], 0 offset:244
	;; [unrolled: 1-line block ×4, first 2 shown]
	s_waitcnt vmcnt(0)
	ds_write_b128 v1, v[3:6]
.LBB22_123:
	s_or_b32 exec_lo, exec_lo, s4
	s_waitcnt lgkmcnt(0)
	s_waitcnt_vscnt null, 0x0
	s_barrier
	buffer_gl0_inv
	s_clause 0x23
	buffer_load_dword v7, off, s[0:3], 0 offset:264
	buffer_load_dword v8, off, s[0:3], 0 offset:268
	;; [unrolled: 1-line block ×36, first 2 shown]
	ds_read_b128 v[3:6], v2 offset:608
	ds_read_b128 v[55:58], v2 offset:624
	;; [unrolled: 1-line block ×3, first 2 shown]
	s_mov_b32 s4, exec_lo
	s_waitcnt vmcnt(34) lgkmcnt(2)
	v_mul_f64 v[97:98], v[5:6], v[7:8]
	v_mul_f64 v[7:8], v[3:4], v[7:8]
	s_waitcnt vmcnt(32) lgkmcnt(1)
	v_mul_f64 v[99:100], v[57:58], v[63:64]
	v_mul_f64 v[63:64], v[55:56], v[63:64]
	s_waitcnt vmcnt(30)
	v_fma_f64 v[97:98], v[3:4], v[65:66], -v[97:98]
	v_fma_f64 v[7:8], v[5:6], v[65:66], v[7:8]
	ds_read_b128 v[3:6], v2 offset:656
	s_waitcnt vmcnt(28) lgkmcnt(1)
	v_mul_f64 v[65:66], v[59:60], v[67:68]
	v_mul_f64 v[67:68], v[61:62], v[67:68]
	s_waitcnt vmcnt(26)
	v_fma_f64 v[99:100], v[55:56], v[69:70], -v[99:100]
	v_fma_f64 v[63:64], v[57:58], v[69:70], v[63:64]
	ds_read_b128 v[55:58], v2 offset:672
	s_waitcnt vmcnt(22) lgkmcnt(1)
	v_mul_f64 v[69:70], v[3:4], v[71:72]
	v_add_f64 v[97:98], v[97:98], 0
	v_add_f64 v[7:8], v[7:8], 0
	v_mul_f64 v[71:72], v[5:6], v[71:72]
	s_waitcnt vmcnt(20)
	v_fma_f64 v[67:68], v[59:60], v[77:78], -v[67:68]
	v_fma_f64 v[65:66], v[61:62], v[77:78], v[65:66]
	ds_read_b128 v[59:62], v2 offset:688
	s_waitcnt vmcnt(17)
	v_fma_f64 v[69:70], v[5:6], v[79:80], v[69:70]
	v_add_f64 v[97:98], v[97:98], v[99:100]
	v_add_f64 v[7:8], v[7:8], v[63:64]
	s_waitcnt lgkmcnt(1)
	v_mul_f64 v[63:64], v[55:56], v[73:74]
	v_mul_f64 v[73:74], v[57:58], v[73:74]
	v_fma_f64 v[71:72], v[3:4], v[79:80], -v[71:72]
	s_waitcnt vmcnt(13) lgkmcnt(0)
	v_mul_f64 v[77:78], v[61:62], v[81:82]
	ds_read_b128 v[3:6], v2 offset:704
	v_add_f64 v[67:68], v[97:98], v[67:68]
	v_add_f64 v[7:8], v[7:8], v[65:66]
	v_mul_f64 v[65:66], v[59:60], v[81:82]
	s_waitcnt vmcnt(12)
	v_fma_f64 v[73:74], v[55:56], v[75:76], -v[73:74]
	v_fma_f64 v[63:64], v[57:58], v[75:76], v[63:64]
	ds_read_b128 v[55:58], v2 offset:720
	s_waitcnt vmcnt(9)
	v_fma_f64 v[59:60], v[59:60], v[87:88], -v[77:78]
	v_add_f64 v[67:68], v[67:68], v[71:72]
	v_add_f64 v[7:8], v[7:8], v[69:70]
	s_waitcnt lgkmcnt(1)
	v_mul_f64 v[71:72], v[5:6], v[83:84]
	v_mul_f64 v[69:70], v[3:4], v[83:84]
	v_fma_f64 v[61:62], v[61:62], v[87:88], v[65:66]
	s_waitcnt vmcnt(7) lgkmcnt(0)
	v_mul_f64 v[65:66], v[57:58], v[89:90]
	v_add_f64 v[67:68], v[67:68], v[73:74]
	v_add_f64 v[7:8], v[7:8], v[63:64]
	s_waitcnt vmcnt(6)
	v_fma_f64 v[2:3], v[3:4], v[85:86], -v[71:72]
	v_mul_f64 v[63:64], v[55:56], v[89:90]
	v_fma_f64 v[4:5], v[5:6], v[85:86], v[69:70]
	s_waitcnt vmcnt(4)
	v_fma_f64 v[55:56], v[55:56], v[91:92], -v[65:66]
	v_add_f64 v[59:60], v[67:68], v[59:60]
	v_add_f64 v[6:7], v[7:8], v[61:62]
	v_fma_f64 v[57:58], v[57:58], v[91:92], v[63:64]
	v_add_f64 v[2:3], v[59:60], v[2:3]
	v_add_f64 v[4:5], v[6:7], v[4:5]
	;; [unrolled: 1-line block ×4, first 2 shown]
	s_waitcnt vmcnt(2)
	v_add_f64 v[2:3], v[93:94], -v[2:3]
	s_waitcnt vmcnt(0)
	v_add_f64 v[4:5], v[95:96], -v[4:5]
	buffer_store_dword v3, off, s[0:3], 0 offset:244
	buffer_store_dword v2, off, s[0:3], 0 offset:240
	;; [unrolled: 1-line block ×4, first 2 shown]
	v_cmpx_lt_u32_e32 13, v0
	s_cbranch_execz .LBB22_125
; %bb.124:
	v_mov_b32_e32 v5, s19
	v_mov_b32_e32 v6, 0
	s_clause 0x3
	buffer_load_dword v2, v5, s[0:3], 0 offen
	buffer_load_dword v3, v5, s[0:3], 0 offen offset:4
	buffer_load_dword v4, v5, s[0:3], 0 offen offset:8
	;; [unrolled: 1-line block ×3, first 2 shown]
	buffer_store_dword v6, off, s[0:3], 0 offset:224
	buffer_store_dword v6, off, s[0:3], 0 offset:228
	;; [unrolled: 1-line block ×4, first 2 shown]
	s_waitcnt vmcnt(0)
	ds_write_b128 v1, v[2:5]
.LBB22_125:
	s_or_b32 exec_lo, exec_lo, s4
	s_waitcnt lgkmcnt(0)
	s_waitcnt_vscnt null, 0x0
	s_barrier
	buffer_gl0_inv
	s_clause 0x27
	buffer_load_dword v7, off, s[0:3], 0 offset:248
	buffer_load_dword v8, off, s[0:3], 0 offset:252
	;; [unrolled: 1-line block ×40, first 2 shown]
	v_mov_b32_e32 v2, 0
	ds_read_b128 v[3:6], v2 offset:592
	ds_read_b128 v[55:58], v2 offset:608
	;; [unrolled: 1-line block ×3, first 2 shown]
	s_mov_b32 s4, exec_lo
	s_waitcnt vmcnt(38) lgkmcnt(2)
	v_mul_f64 v[101:102], v[5:6], v[7:8]
	v_mul_f64 v[7:8], v[3:4], v[7:8]
	s_waitcnt vmcnt(36) lgkmcnt(1)
	v_mul_f64 v[103:104], v[57:58], v[63:64]
	v_mul_f64 v[63:64], v[55:56], v[63:64]
	s_waitcnt vmcnt(34)
	v_fma_f64 v[101:102], v[3:4], v[65:66], -v[101:102]
	v_fma_f64 v[7:8], v[5:6], v[65:66], v[7:8]
	ds_read_b128 v[3:6], v2 offset:640
	s_waitcnt vmcnt(32) lgkmcnt(1)
	v_mul_f64 v[65:66], v[59:60], v[67:68]
	v_mul_f64 v[67:68], v[61:62], v[67:68]
	s_waitcnt vmcnt(30)
	v_fma_f64 v[103:104], v[55:56], v[69:70], -v[103:104]
	v_fma_f64 v[63:64], v[57:58], v[69:70], v[63:64]
	ds_read_b128 v[55:58], v2 offset:656
	s_waitcnt vmcnt(26) lgkmcnt(1)
	v_mul_f64 v[69:70], v[3:4], v[71:72]
	v_add_f64 v[101:102], v[101:102], 0
	v_add_f64 v[7:8], v[7:8], 0
	v_mul_f64 v[71:72], v[5:6], v[71:72]
	s_waitcnt vmcnt(24)
	v_fma_f64 v[67:68], v[59:60], v[77:78], -v[67:68]
	v_fma_f64 v[65:66], v[61:62], v[77:78], v[65:66]
	ds_read_b128 v[59:62], v2 offset:672
	s_waitcnt vmcnt(21)
	v_fma_f64 v[69:70], v[5:6], v[79:80], v[69:70]
	v_add_f64 v[101:102], v[101:102], v[103:104]
	v_add_f64 v[7:8], v[7:8], v[63:64]
	s_waitcnt lgkmcnt(1)
	v_mul_f64 v[63:64], v[55:56], v[73:74]
	v_mul_f64 v[73:74], v[57:58], v[73:74]
	v_fma_f64 v[71:72], v[3:4], v[79:80], -v[71:72]
	s_waitcnt vmcnt(17) lgkmcnt(0)
	v_mul_f64 v[77:78], v[61:62], v[81:82]
	ds_read_b128 v[3:6], v2 offset:688
	v_add_f64 v[67:68], v[101:102], v[67:68]
	v_add_f64 v[7:8], v[7:8], v[65:66]
	v_mul_f64 v[65:66], v[59:60], v[81:82]
	s_waitcnt vmcnt(16)
	v_fma_f64 v[73:74], v[55:56], v[75:76], -v[73:74]
	v_fma_f64 v[63:64], v[57:58], v[75:76], v[63:64]
	ds_read_b128 v[55:58], v2 offset:704
	s_waitcnt vmcnt(13)
	v_fma_f64 v[75:76], v[59:60], v[87:88], -v[77:78]
	v_add_f64 v[67:68], v[67:68], v[71:72]
	v_add_f64 v[7:8], v[7:8], v[69:70]
	s_waitcnt lgkmcnt(1)
	v_mul_f64 v[71:72], v[5:6], v[83:84]
	v_mul_f64 v[69:70], v[3:4], v[83:84]
	v_fma_f64 v[65:66], v[61:62], v[87:88], v[65:66]
	ds_read_b128 v[59:62], v2 offset:720
	v_add_f64 v[67:68], v[67:68], v[73:74]
	v_add_f64 v[7:8], v[7:8], v[63:64]
	s_waitcnt vmcnt(9) lgkmcnt(1)
	v_mul_f64 v[73:74], v[57:58], v[89:90]
	s_waitcnt vmcnt(8)
	v_fma_f64 v[3:4], v[3:4], v[85:86], -v[71:72]
	v_mul_f64 v[63:64], v[55:56], v[89:90]
	v_fma_f64 v[5:6], v[5:6], v[85:86], v[69:70]
	s_waitcnt vmcnt(7) lgkmcnt(0)
	v_mul_f64 v[69:70], v[61:62], v[91:92]
	v_add_f64 v[67:68], v[67:68], v[75:76]
	v_add_f64 v[7:8], v[7:8], v[65:66]
	s_waitcnt vmcnt(5)
	v_fma_f64 v[55:56], v[55:56], v[95:96], -v[73:74]
	v_mul_f64 v[65:66], v[59:60], v[91:92]
	v_fma_f64 v[57:58], v[57:58], v[95:96], v[63:64]
	v_add_f64 v[3:4], v[67:68], v[3:4]
	v_add_f64 v[5:6], v[7:8], v[5:6]
	s_waitcnt vmcnt(4)
	v_fma_f64 v[7:8], v[59:60], v[93:94], -v[69:70]
	v_add_f64 v[3:4], v[3:4], v[55:56]
	v_fma_f64 v[55:56], v[61:62], v[93:94], v[65:66]
	v_add_f64 v[5:6], v[5:6], v[57:58]
	v_add_f64 v[3:4], v[3:4], v[7:8]
	;; [unrolled: 1-line block ×3, first 2 shown]
	s_waitcnt vmcnt(2)
	v_add_f64 v[3:4], v[97:98], -v[3:4]
	s_waitcnt vmcnt(0)
	v_add_f64 v[5:6], v[99:100], -v[5:6]
	buffer_store_dword v4, off, s[0:3], 0 offset:228
	buffer_store_dword v3, off, s[0:3], 0 offset:224
	;; [unrolled: 1-line block ×4, first 2 shown]
	v_cmpx_lt_u32_e32 12, v0
	s_cbranch_execz .LBB22_127
; %bb.126:
	v_mov_b32_e32 v6, s22
	s_clause 0x3
	buffer_load_dword v3, v6, s[0:3], 0 offen
	buffer_load_dword v4, v6, s[0:3], 0 offen offset:4
	buffer_load_dword v5, v6, s[0:3], 0 offen offset:8
	;; [unrolled: 1-line block ×3, first 2 shown]
	buffer_store_dword v2, off, s[0:3], 0 offset:208
	buffer_store_dword v2, off, s[0:3], 0 offset:212
	;; [unrolled: 1-line block ×4, first 2 shown]
	s_waitcnt vmcnt(0)
	ds_write_b128 v1, v[3:6]
.LBB22_127:
	s_or_b32 exec_lo, exec_lo, s4
	s_waitcnt lgkmcnt(0)
	s_waitcnt_vscnt null, 0x0
	s_barrier
	buffer_gl0_inv
	s_clause 0x2b
	buffer_load_dword v7, off, s[0:3], 0 offset:232
	buffer_load_dword v8, off, s[0:3], 0 offset:236
	;; [unrolled: 1-line block ×44, first 2 shown]
	ds_read_b128 v[3:6], v2 offset:576
	ds_read_b128 v[55:58], v2 offset:592
	;; [unrolled: 1-line block ×3, first 2 shown]
	s_mov_b32 s4, exec_lo
	s_waitcnt vmcnt(42) lgkmcnt(2)
	v_mul_f64 v[105:106], v[5:6], v[7:8]
	v_mul_f64 v[7:8], v[3:4], v[7:8]
	s_waitcnt vmcnt(40) lgkmcnt(1)
	v_mul_f64 v[107:108], v[57:58], v[63:64]
	v_mul_f64 v[63:64], v[55:56], v[63:64]
	s_waitcnt vmcnt(38)
	v_fma_f64 v[105:106], v[3:4], v[65:66], -v[105:106]
	v_fma_f64 v[7:8], v[5:6], v[65:66], v[7:8]
	ds_read_b128 v[3:6], v2 offset:624
	s_waitcnt vmcnt(36) lgkmcnt(1)
	v_mul_f64 v[65:66], v[59:60], v[67:68]
	v_mul_f64 v[67:68], v[61:62], v[67:68]
	s_waitcnt vmcnt(34)
	v_fma_f64 v[107:108], v[55:56], v[69:70], -v[107:108]
	v_fma_f64 v[63:64], v[57:58], v[69:70], v[63:64]
	ds_read_b128 v[55:58], v2 offset:640
	s_waitcnt vmcnt(30) lgkmcnt(1)
	v_mul_f64 v[69:70], v[3:4], v[71:72]
	v_add_f64 v[105:106], v[105:106], 0
	v_add_f64 v[7:8], v[7:8], 0
	v_mul_f64 v[71:72], v[5:6], v[71:72]
	s_waitcnt vmcnt(28)
	v_fma_f64 v[67:68], v[59:60], v[77:78], -v[67:68]
	v_fma_f64 v[65:66], v[61:62], v[77:78], v[65:66]
	ds_read_b128 v[59:62], v2 offset:656
	s_waitcnt vmcnt(25)
	v_fma_f64 v[69:70], v[5:6], v[79:80], v[69:70]
	v_add_f64 v[105:106], v[105:106], v[107:108]
	v_add_f64 v[7:8], v[7:8], v[63:64]
	s_waitcnt lgkmcnt(1)
	v_mul_f64 v[63:64], v[55:56], v[73:74]
	v_mul_f64 v[73:74], v[57:58], v[73:74]
	v_fma_f64 v[71:72], v[3:4], v[79:80], -v[71:72]
	s_waitcnt vmcnt(21) lgkmcnt(0)
	v_mul_f64 v[77:78], v[61:62], v[81:82]
	ds_read_b128 v[3:6], v2 offset:672
	v_add_f64 v[67:68], v[105:106], v[67:68]
	v_add_f64 v[7:8], v[7:8], v[65:66]
	v_mul_f64 v[65:66], v[59:60], v[81:82]
	s_waitcnt vmcnt(20)
	v_fma_f64 v[73:74], v[55:56], v[75:76], -v[73:74]
	v_fma_f64 v[63:64], v[57:58], v[75:76], v[63:64]
	ds_read_b128 v[55:58], v2 offset:688
	s_waitcnt vmcnt(17)
	v_fma_f64 v[75:76], v[59:60], v[87:88], -v[77:78]
	v_add_f64 v[67:68], v[67:68], v[71:72]
	v_add_f64 v[7:8], v[7:8], v[69:70]
	s_waitcnt lgkmcnt(1)
	v_mul_f64 v[71:72], v[5:6], v[83:84]
	v_mul_f64 v[69:70], v[3:4], v[83:84]
	v_fma_f64 v[65:66], v[61:62], v[87:88], v[65:66]
	ds_read_b128 v[59:62], v2 offset:704
	v_add_f64 v[67:68], v[67:68], v[73:74]
	v_add_f64 v[7:8], v[7:8], v[63:64]
	s_waitcnt vmcnt(13) lgkmcnt(1)
	v_mul_f64 v[73:74], v[57:58], v[89:90]
	s_waitcnt vmcnt(12)
	v_fma_f64 v[71:72], v[3:4], v[85:86], -v[71:72]
	v_mul_f64 v[63:64], v[55:56], v[89:90]
	v_fma_f64 v[69:70], v[5:6], v[85:86], v[69:70]
	ds_read_b128 v[2:5], v2 offset:720
	v_add_f64 v[67:68], v[67:68], v[75:76]
	v_add_f64 v[6:7], v[7:8], v[65:66]
	s_waitcnt vmcnt(11) lgkmcnt(1)
	v_mul_f64 v[75:76], v[61:62], v[91:92]
	s_waitcnt vmcnt(9)
	v_fma_f64 v[55:56], v[55:56], v[95:96], -v[73:74]
	v_mul_f64 v[65:66], v[59:60], v[91:92]
	v_fma_f64 v[57:58], v[57:58], v[95:96], v[63:64]
	s_waitcnt vmcnt(7) lgkmcnt(0)
	v_mul_f64 v[63:64], v[2:3], v[97:98]
	v_add_f64 v[67:68], v[67:68], v[71:72]
	v_add_f64 v[6:7], v[6:7], v[69:70]
	v_mul_f64 v[69:70], v[4:5], v[97:98]
	s_waitcnt vmcnt(6)
	v_fma_f64 v[59:60], v[59:60], v[93:94], -v[75:76]
	v_fma_f64 v[61:62], v[61:62], v[93:94], v[65:66]
	s_waitcnt vmcnt(4)
	v_fma_f64 v[4:5], v[4:5], v[99:100], v[63:64]
	v_add_f64 v[55:56], v[67:68], v[55:56]
	v_add_f64 v[6:7], v[6:7], v[57:58]
	v_fma_f64 v[2:3], v[2:3], v[99:100], -v[69:70]
	v_add_f64 v[55:56], v[55:56], v[59:60]
	v_add_f64 v[6:7], v[6:7], v[61:62]
	;; [unrolled: 1-line block ×4, first 2 shown]
	s_waitcnt vmcnt(2)
	v_add_f64 v[2:3], v[101:102], -v[2:3]
	s_waitcnt vmcnt(0)
	v_add_f64 v[4:5], v[103:104], -v[4:5]
	buffer_store_dword v3, off, s[0:3], 0 offset:212
	buffer_store_dword v2, off, s[0:3], 0 offset:208
	;; [unrolled: 1-line block ×4, first 2 shown]
	v_cmpx_lt_u32_e32 11, v0
	s_cbranch_execz .LBB22_129
; %bb.128:
	v_mov_b32_e32 v5, s23
	v_mov_b32_e32 v6, 0
	s_clause 0x3
	buffer_load_dword v2, v5, s[0:3], 0 offen
	buffer_load_dword v3, v5, s[0:3], 0 offen offset:4
	buffer_load_dword v4, v5, s[0:3], 0 offen offset:8
	buffer_load_dword v5, v5, s[0:3], 0 offen offset:12
	buffer_store_dword v6, off, s[0:3], 0 offset:192
	buffer_store_dword v6, off, s[0:3], 0 offset:196
	;; [unrolled: 1-line block ×4, first 2 shown]
	s_waitcnt vmcnt(0)
	ds_write_b128 v1, v[2:5]
.LBB22_129:
	s_or_b32 exec_lo, exec_lo, s4
	s_waitcnt lgkmcnt(0)
	s_waitcnt_vscnt null, 0x0
	s_barrier
	buffer_gl0_inv
	s_clause 0x2f
	buffer_load_dword v7, off, s[0:3], 0 offset:216
	buffer_load_dword v8, off, s[0:3], 0 offset:220
	buffer_load_dword v63, off, s[0:3], 0 offset:232
	buffer_load_dword v64, off, s[0:3], 0 offset:236
	buffer_load_dword v65, off, s[0:3], 0 offset:208
	buffer_load_dword v66, off, s[0:3], 0 offset:212
	buffer_load_dword v67, off, s[0:3], 0 offset:248
	buffer_load_dword v68, off, s[0:3], 0 offset:252
	buffer_load_dword v69, off, s[0:3], 0 offset:224
	buffer_load_dword v70, off, s[0:3], 0 offset:228
	buffer_load_dword v72, off, s[0:3], 0 offset:268
	buffer_load_dword v73, off, s[0:3], 0 offset:280
	buffer_load_dword v75, off, s[0:3], 0 offset:272
	buffer_load_dword v71, off, s[0:3], 0 offset:264
	buffer_load_dword v77, off, s[0:3], 0 offset:240
	buffer_load_dword v78, off, s[0:3], 0 offset:244
	buffer_load_dword v74, off, s[0:3], 0 offset:284
	buffer_load_dword v80, off, s[0:3], 0 offset:260
	buffer_load_dword v79, off, s[0:3], 0 offset:256
	buffer_load_dword v82, off, s[0:3], 0 offset:300
	buffer_load_dword v83, off, s[0:3], 0 offset:312
	buffer_load_dword v85, off, s[0:3], 0 offset:304
	buffer_load_dword v81, off, s[0:3], 0 offset:296
	buffer_load_dword v76, off, s[0:3], 0 offset:276
	buffer_load_dword v84, off, s[0:3], 0 offset:316
	buffer_load_dword v88, off, s[0:3], 0 offset:292
	buffer_load_dword v87, off, s[0:3], 0 offset:288
	buffer_load_dword v90, off, s[0:3], 0 offset:332
	buffer_load_dword v91, off, s[0:3], 0 offset:344
	buffer_load_dword v93, off, s[0:3], 0 offset:336
	buffer_load_dword v89, off, s[0:3], 0 offset:328
	buffer_load_dword v86, off, s[0:3], 0 offset:308
	buffer_load_dword v92, off, s[0:3], 0 offset:348
	buffer_load_dword v96, off, s[0:3], 0 offset:324
	buffer_load_dword v95, off, s[0:3], 0 offset:320
	buffer_load_dword v98, off, s[0:3], 0 offset:364
	buffer_load_dword v99, off, s[0:3], 0 offset:376
	buffer_load_dword v101, off, s[0:3], 0 offset:368
	buffer_load_dword v97, off, s[0:3], 0 offset:360
	buffer_load_dword v94, off, s[0:3], 0 offset:340
	buffer_load_dword v100, off, s[0:3], 0 offset:380
	buffer_load_dword v104, off, s[0:3], 0 offset:356
	buffer_load_dword v103, off, s[0:3], 0 offset:352
	buffer_load_dword v102, off, s[0:3], 0 offset:372
	buffer_load_dword v105, off, s[0:3], 0 offset:192
	buffer_load_dword v106, off, s[0:3], 0 offset:196
	buffer_load_dword v107, off, s[0:3], 0 offset:200
	buffer_load_dword v108, off, s[0:3], 0 offset:204
	v_mov_b32_e32 v2, 0
	ds_read_b128 v[3:6], v2 offset:560
	ds_read_b128 v[55:58], v2 offset:576
	;; [unrolled: 1-line block ×3, first 2 shown]
	s_mov_b32 s4, exec_lo
	s_waitcnt vmcnt(46) lgkmcnt(2)
	v_mul_f64 v[109:110], v[5:6], v[7:8]
	v_mul_f64 v[7:8], v[3:4], v[7:8]
	s_waitcnt vmcnt(44) lgkmcnt(1)
	v_mul_f64 v[111:112], v[57:58], v[63:64]
	v_mul_f64 v[63:64], v[55:56], v[63:64]
	s_waitcnt vmcnt(42)
	v_fma_f64 v[109:110], v[3:4], v[65:66], -v[109:110]
	v_fma_f64 v[7:8], v[5:6], v[65:66], v[7:8]
	ds_read_b128 v[3:6], v2 offset:608
	s_waitcnt vmcnt(40) lgkmcnt(1)
	v_mul_f64 v[65:66], v[59:60], v[67:68]
	v_mul_f64 v[67:68], v[61:62], v[67:68]
	s_waitcnt vmcnt(38)
	v_fma_f64 v[111:112], v[55:56], v[69:70], -v[111:112]
	v_fma_f64 v[63:64], v[57:58], v[69:70], v[63:64]
	ds_read_b128 v[55:58], v2 offset:624
	s_waitcnt vmcnt(34) lgkmcnt(1)
	v_mul_f64 v[69:70], v[3:4], v[71:72]
	v_add_f64 v[109:110], v[109:110], 0
	v_add_f64 v[7:8], v[7:8], 0
	v_mul_f64 v[71:72], v[5:6], v[71:72]
	s_waitcnt vmcnt(32)
	v_fma_f64 v[67:68], v[59:60], v[77:78], -v[67:68]
	v_fma_f64 v[65:66], v[61:62], v[77:78], v[65:66]
	ds_read_b128 v[59:62], v2 offset:640
	s_waitcnt vmcnt(29)
	v_fma_f64 v[69:70], v[5:6], v[79:80], v[69:70]
	v_add_f64 v[109:110], v[109:110], v[111:112]
	v_add_f64 v[7:8], v[7:8], v[63:64]
	s_waitcnt lgkmcnt(1)
	v_mul_f64 v[63:64], v[55:56], v[73:74]
	v_mul_f64 v[73:74], v[57:58], v[73:74]
	v_fma_f64 v[71:72], v[3:4], v[79:80], -v[71:72]
	s_waitcnt vmcnt(25) lgkmcnt(0)
	v_mul_f64 v[77:78], v[61:62], v[81:82]
	ds_read_b128 v[3:6], v2 offset:656
	v_add_f64 v[67:68], v[109:110], v[67:68]
	v_add_f64 v[7:8], v[7:8], v[65:66]
	v_mul_f64 v[65:66], v[59:60], v[81:82]
	s_waitcnt vmcnt(24)
	v_fma_f64 v[73:74], v[55:56], v[75:76], -v[73:74]
	v_fma_f64 v[63:64], v[57:58], v[75:76], v[63:64]
	ds_read_b128 v[55:58], v2 offset:672
	s_waitcnt vmcnt(21)
	v_fma_f64 v[75:76], v[59:60], v[87:88], -v[77:78]
	v_add_f64 v[67:68], v[67:68], v[71:72]
	v_add_f64 v[7:8], v[7:8], v[69:70]
	s_waitcnt lgkmcnt(1)
	v_mul_f64 v[71:72], v[5:6], v[83:84]
	v_mul_f64 v[69:70], v[3:4], v[83:84]
	v_fma_f64 v[65:66], v[61:62], v[87:88], v[65:66]
	ds_read_b128 v[59:62], v2 offset:688
	v_add_f64 v[67:68], v[67:68], v[73:74]
	v_add_f64 v[7:8], v[7:8], v[63:64]
	s_waitcnt vmcnt(17) lgkmcnt(1)
	v_mul_f64 v[73:74], v[57:58], v[89:90]
	s_waitcnt vmcnt(16)
	v_fma_f64 v[71:72], v[3:4], v[85:86], -v[71:72]
	v_mul_f64 v[63:64], v[55:56], v[89:90]
	v_fma_f64 v[69:70], v[5:6], v[85:86], v[69:70]
	ds_read_b128 v[3:6], v2 offset:704
	v_add_f64 v[67:68], v[67:68], v[75:76]
	v_add_f64 v[7:8], v[7:8], v[65:66]
	s_waitcnt vmcnt(15) lgkmcnt(1)
	v_mul_f64 v[75:76], v[61:62], v[91:92]
	s_waitcnt vmcnt(13)
	v_fma_f64 v[73:74], v[55:56], v[95:96], -v[73:74]
	;; [unrolled: 9-line block ×3, first 2 shown]
	v_mul_f64 v[69:70], v[3:4], v[97:98]
	v_fma_f64 v[61:62], v[61:62], v[93:94], v[65:66]
	s_waitcnt vmcnt(7) lgkmcnt(0)
	v_mul_f64 v[65:66], v[57:58], v[99:100]
	v_add_f64 v[67:68], v[67:68], v[73:74]
	v_add_f64 v[7:8], v[7:8], v[63:64]
	s_waitcnt vmcnt(5)
	v_fma_f64 v[3:4], v[3:4], v[103:104], -v[71:72]
	v_mul_f64 v[63:64], v[55:56], v[99:100]
	v_fma_f64 v[5:6], v[5:6], v[103:104], v[69:70]
	s_waitcnt vmcnt(4)
	v_fma_f64 v[55:56], v[55:56], v[101:102], -v[65:66]
	v_add_f64 v[59:60], v[67:68], v[59:60]
	v_add_f64 v[7:8], v[7:8], v[61:62]
	v_fma_f64 v[57:58], v[57:58], v[101:102], v[63:64]
	v_add_f64 v[3:4], v[59:60], v[3:4]
	v_add_f64 v[5:6], v[7:8], v[5:6]
	;; [unrolled: 1-line block ×4, first 2 shown]
	s_waitcnt vmcnt(2)
	v_add_f64 v[3:4], v[105:106], -v[3:4]
	s_waitcnt vmcnt(0)
	v_add_f64 v[5:6], v[107:108], -v[5:6]
	buffer_store_dword v4, off, s[0:3], 0 offset:196
	buffer_store_dword v3, off, s[0:3], 0 offset:192
	;; [unrolled: 1-line block ×4, first 2 shown]
	v_cmpx_lt_u32_e32 10, v0
	s_cbranch_execz .LBB22_131
; %bb.130:
	v_mov_b32_e32 v6, s24
	s_clause 0x3
	buffer_load_dword v3, v6, s[0:3], 0 offen
	buffer_load_dword v4, v6, s[0:3], 0 offen offset:4
	buffer_load_dword v5, v6, s[0:3], 0 offen offset:8
	;; [unrolled: 1-line block ×3, first 2 shown]
	buffer_store_dword v2, off, s[0:3], 0 offset:176
	buffer_store_dword v2, off, s[0:3], 0 offset:180
	;; [unrolled: 1-line block ×4, first 2 shown]
	s_waitcnt vmcnt(0)
	ds_write_b128 v1, v[3:6]
.LBB22_131:
	s_or_b32 exec_lo, exec_lo, s4
	s_waitcnt lgkmcnt(0)
	s_waitcnt_vscnt null, 0x0
	s_barrier
	buffer_gl0_inv
	s_clause 0x2f
	buffer_load_dword v7, off, s[0:3], 0 offset:200
	buffer_load_dword v8, off, s[0:3], 0 offset:204
	buffer_load_dword v63, off, s[0:3], 0 offset:216
	buffer_load_dword v64, off, s[0:3], 0 offset:220
	buffer_load_dword v65, off, s[0:3], 0 offset:192
	buffer_load_dword v66, off, s[0:3], 0 offset:196
	buffer_load_dword v67, off, s[0:3], 0 offset:232
	buffer_load_dword v68, off, s[0:3], 0 offset:236
	buffer_load_dword v69, off, s[0:3], 0 offset:208
	buffer_load_dword v70, off, s[0:3], 0 offset:212
	buffer_load_dword v72, off, s[0:3], 0 offset:252
	buffer_load_dword v73, off, s[0:3], 0 offset:264
	buffer_load_dword v75, off, s[0:3], 0 offset:256
	buffer_load_dword v71, off, s[0:3], 0 offset:248
	buffer_load_dword v77, off, s[0:3], 0 offset:224
	buffer_load_dword v78, off, s[0:3], 0 offset:228
	buffer_load_dword v74, off, s[0:3], 0 offset:268
	buffer_load_dword v80, off, s[0:3], 0 offset:244
	buffer_load_dword v79, off, s[0:3], 0 offset:240
	buffer_load_dword v82, off, s[0:3], 0 offset:284
	buffer_load_dword v83, off, s[0:3], 0 offset:296
	buffer_load_dword v85, off, s[0:3], 0 offset:288
	buffer_load_dword v81, off, s[0:3], 0 offset:280
	buffer_load_dword v76, off, s[0:3], 0 offset:260
	buffer_load_dword v84, off, s[0:3], 0 offset:300
	buffer_load_dword v88, off, s[0:3], 0 offset:276
	buffer_load_dword v87, off, s[0:3], 0 offset:272
	buffer_load_dword v90, off, s[0:3], 0 offset:316
	buffer_load_dword v91, off, s[0:3], 0 offset:328
	buffer_load_dword v93, off, s[0:3], 0 offset:320
	buffer_load_dword v89, off, s[0:3], 0 offset:312
	buffer_load_dword v86, off, s[0:3], 0 offset:292
	buffer_load_dword v92, off, s[0:3], 0 offset:332
	buffer_load_dword v96, off, s[0:3], 0 offset:308
	buffer_load_dword v95, off, s[0:3], 0 offset:304
	buffer_load_dword v98, off, s[0:3], 0 offset:348
	buffer_load_dword v99, off, s[0:3], 0 offset:360
	buffer_load_dword v101, off, s[0:3], 0 offset:352
	buffer_load_dword v97, off, s[0:3], 0 offset:344
	buffer_load_dword v94, off, s[0:3], 0 offset:324
	buffer_load_dword v100, off, s[0:3], 0 offset:364
	buffer_load_dword v104, off, s[0:3], 0 offset:340
	buffer_load_dword v103, off, s[0:3], 0 offset:336
	buffer_load_dword v106, off, s[0:3], 0 offset:380
	buffer_load_dword v105, off, s[0:3], 0 offset:376
	buffer_load_dword v102, off, s[0:3], 0 offset:356
	buffer_load_dword v108, off, s[0:3], 0 offset:372
	buffer_load_dword v107, off, s[0:3], 0 offset:368
	ds_read_b128 v[3:6], v2 offset:544
	s_clause 0x3
	buffer_load_dword v109, off, s[0:3], 0 offset:176
	buffer_load_dword v110, off, s[0:3], 0 offset:180
	;; [unrolled: 1-line block ×4, first 2 shown]
	ds_read_b128 v[55:58], v2 offset:560
	ds_read_b128 v[59:62], v2 offset:576
	s_mov_b32 s4, exec_lo
	s_waitcnt vmcnt(50) lgkmcnt(2)
	v_mul_f64 v[113:114], v[5:6], v[7:8]
	v_mul_f64 v[7:8], v[3:4], v[7:8]
	s_waitcnt vmcnt(48) lgkmcnt(1)
	v_mul_f64 v[115:116], v[57:58], v[63:64]
	v_mul_f64 v[63:64], v[55:56], v[63:64]
	s_waitcnt vmcnt(46)
	v_fma_f64 v[113:114], v[3:4], v[65:66], -v[113:114]
	v_fma_f64 v[7:8], v[5:6], v[65:66], v[7:8]
	s_waitcnt vmcnt(44) lgkmcnt(0)
	v_mul_f64 v[65:66], v[59:60], v[67:68]
	v_mul_f64 v[67:68], v[61:62], v[67:68]
	s_waitcnt vmcnt(42)
	v_fma_f64 v[115:116], v[55:56], v[69:70], -v[115:116]
	ds_read_b128 v[3:6], v2 offset:592
	v_fma_f64 v[63:64], v[57:58], v[69:70], v[63:64]
	ds_read_b128 v[55:58], v2 offset:608
	v_add_f64 v[113:114], v[113:114], 0
	v_add_f64 v[7:8], v[7:8], 0
	s_waitcnt vmcnt(36)
	v_fma_f64 v[65:66], v[61:62], v[77:78], v[65:66]
	s_waitcnt lgkmcnt(1)
	v_mul_f64 v[69:70], v[3:4], v[71:72]
	v_mul_f64 v[71:72], v[5:6], v[71:72]
	v_fma_f64 v[67:68], v[59:60], v[77:78], -v[67:68]
	ds_read_b128 v[59:62], v2 offset:624
	v_add_f64 v[113:114], v[113:114], v[115:116]
	v_add_f64 v[7:8], v[7:8], v[63:64]
	s_waitcnt vmcnt(35) lgkmcnt(1)
	v_mul_f64 v[63:64], v[55:56], v[73:74]
	v_mul_f64 v[73:74], v[57:58], v[73:74]
	s_waitcnt vmcnt(33)
	v_fma_f64 v[71:72], v[3:4], v[79:80], -v[71:72]
	v_fma_f64 v[69:70], v[5:6], v[79:80], v[69:70]
	ds_read_b128 v[3:6], v2 offset:640
	s_waitcnt vmcnt(29) lgkmcnt(1)
	v_mul_f64 v[77:78], v[61:62], v[81:82]
	v_add_f64 v[67:68], v[113:114], v[67:68]
	v_add_f64 v[7:8], v[7:8], v[65:66]
	v_mul_f64 v[65:66], v[59:60], v[81:82]
	s_waitcnt vmcnt(28)
	v_fma_f64 v[73:74], v[55:56], v[75:76], -v[73:74]
	v_fma_f64 v[63:64], v[57:58], v[75:76], v[63:64]
	ds_read_b128 v[55:58], v2 offset:656
	s_waitcnt vmcnt(25)
	v_fma_f64 v[75:76], v[59:60], v[87:88], -v[77:78]
	v_add_f64 v[67:68], v[67:68], v[71:72]
	v_add_f64 v[7:8], v[7:8], v[69:70]
	s_waitcnt lgkmcnt(1)
	v_mul_f64 v[71:72], v[5:6], v[83:84]
	v_mul_f64 v[69:70], v[3:4], v[83:84]
	v_fma_f64 v[65:66], v[61:62], v[87:88], v[65:66]
	ds_read_b128 v[59:62], v2 offset:672
	v_add_f64 v[67:68], v[67:68], v[73:74]
	v_add_f64 v[7:8], v[7:8], v[63:64]
	s_waitcnt vmcnt(21) lgkmcnt(1)
	v_mul_f64 v[73:74], v[57:58], v[89:90]
	s_waitcnt vmcnt(20)
	v_fma_f64 v[71:72], v[3:4], v[85:86], -v[71:72]
	v_mul_f64 v[63:64], v[55:56], v[89:90]
	v_fma_f64 v[69:70], v[5:6], v[85:86], v[69:70]
	ds_read_b128 v[3:6], v2 offset:688
	v_add_f64 v[67:68], v[67:68], v[75:76]
	v_add_f64 v[7:8], v[7:8], v[65:66]
	s_waitcnt vmcnt(19) lgkmcnt(1)
	v_mul_f64 v[75:76], v[61:62], v[91:92]
	s_waitcnt vmcnt(17)
	v_fma_f64 v[73:74], v[55:56], v[95:96], -v[73:74]
	;; [unrolled: 9-line block ×4, first 2 shown]
	v_mul_f64 v[63:64], v[55:56], v[99:100]
	v_fma_f64 v[4:5], v[5:6], v[103:104], v[69:70]
	s_waitcnt vmcnt(7) lgkmcnt(0)
	v_mul_f64 v[69:70], v[61:62], v[105:106]
	v_add_f64 v[67:68], v[67:68], v[75:76]
	v_add_f64 v[6:7], v[7:8], v[65:66]
	s_waitcnt vmcnt(6)
	v_fma_f64 v[55:56], v[55:56], v[101:102], -v[73:74]
	v_mul_f64 v[65:66], v[59:60], v[105:106]
	v_fma_f64 v[57:58], v[57:58], v[101:102], v[63:64]
	v_add_f64 v[2:3], v[67:68], v[2:3]
	v_add_f64 v[4:5], v[6:7], v[4:5]
	s_waitcnt vmcnt(4)
	v_fma_f64 v[6:7], v[59:60], v[107:108], -v[69:70]
	v_add_f64 v[2:3], v[2:3], v[55:56]
	v_fma_f64 v[55:56], v[61:62], v[107:108], v[65:66]
	v_add_f64 v[4:5], v[4:5], v[57:58]
	v_add_f64 v[2:3], v[2:3], v[6:7]
	;; [unrolled: 1-line block ×3, first 2 shown]
	s_waitcnt vmcnt(2)
	v_add_f64 v[2:3], v[109:110], -v[2:3]
	s_waitcnt vmcnt(0)
	v_add_f64 v[4:5], v[111:112], -v[4:5]
	buffer_store_dword v3, off, s[0:3], 0 offset:180
	buffer_store_dword v2, off, s[0:3], 0 offset:176
	buffer_store_dword v5, off, s[0:3], 0 offset:188
	buffer_store_dword v4, off, s[0:3], 0 offset:184
	v_cmpx_lt_u32_e32 9, v0
	s_cbranch_execz .LBB22_133
; %bb.132:
	v_mov_b32_e32 v5, s25
	v_mov_b32_e32 v6, 0
	s_clause 0x3
	buffer_load_dword v2, v5, s[0:3], 0 offen
	buffer_load_dword v3, v5, s[0:3], 0 offen offset:4
	buffer_load_dword v4, v5, s[0:3], 0 offen offset:8
	;; [unrolled: 1-line block ×3, first 2 shown]
	buffer_store_dword v6, off, s[0:3], 0 offset:160
	buffer_store_dword v6, off, s[0:3], 0 offset:164
	buffer_store_dword v6, off, s[0:3], 0 offset:168
	buffer_store_dword v6, off, s[0:3], 0 offset:172
	s_waitcnt vmcnt(0)
	ds_write_b128 v1, v[2:5]
.LBB22_133:
	s_or_b32 exec_lo, exec_lo, s4
	s_waitcnt lgkmcnt(0)
	s_waitcnt_vscnt null, 0x0
	s_barrier
	buffer_gl0_inv
	s_clause 0x33
	buffer_load_dword v7, off, s[0:3], 0 offset:184
	buffer_load_dword v8, off, s[0:3], 0 offset:188
	buffer_load_dword v63, off, s[0:3], 0 offset:200
	buffer_load_dword v64, off, s[0:3], 0 offset:204
	buffer_load_dword v65, off, s[0:3], 0 offset:176
	buffer_load_dword v66, off, s[0:3], 0 offset:180
	buffer_load_dword v67, off, s[0:3], 0 offset:216
	buffer_load_dword v68, off, s[0:3], 0 offset:220
	buffer_load_dword v69, off, s[0:3], 0 offset:192
	buffer_load_dword v70, off, s[0:3], 0 offset:196
	buffer_load_dword v72, off, s[0:3], 0 offset:236
	buffer_load_dword v73, off, s[0:3], 0 offset:248
	buffer_load_dword v75, off, s[0:3], 0 offset:240
	buffer_load_dword v71, off, s[0:3], 0 offset:232
	buffer_load_dword v77, off, s[0:3], 0 offset:208
	buffer_load_dword v78, off, s[0:3], 0 offset:212
	buffer_load_dword v74, off, s[0:3], 0 offset:252
	buffer_load_dword v80, off, s[0:3], 0 offset:228
	buffer_load_dword v79, off, s[0:3], 0 offset:224
	buffer_load_dword v82, off, s[0:3], 0 offset:268
	buffer_load_dword v83, off, s[0:3], 0 offset:280
	buffer_load_dword v85, off, s[0:3], 0 offset:272
	buffer_load_dword v81, off, s[0:3], 0 offset:264
	buffer_load_dword v76, off, s[0:3], 0 offset:244
	buffer_load_dword v84, off, s[0:3], 0 offset:284
	buffer_load_dword v88, off, s[0:3], 0 offset:260
	buffer_load_dword v87, off, s[0:3], 0 offset:256
	buffer_load_dword v90, off, s[0:3], 0 offset:300
	buffer_load_dword v91, off, s[0:3], 0 offset:312
	buffer_load_dword v93, off, s[0:3], 0 offset:304
	buffer_load_dword v89, off, s[0:3], 0 offset:296
	buffer_load_dword v86, off, s[0:3], 0 offset:276
	buffer_load_dword v92, off, s[0:3], 0 offset:316
	buffer_load_dword v96, off, s[0:3], 0 offset:292
	buffer_load_dword v95, off, s[0:3], 0 offset:288
	buffer_load_dword v98, off, s[0:3], 0 offset:332
	buffer_load_dword v99, off, s[0:3], 0 offset:344
	buffer_load_dword v101, off, s[0:3], 0 offset:336
	buffer_load_dword v97, off, s[0:3], 0 offset:328
	buffer_load_dword v94, off, s[0:3], 0 offset:308
	buffer_load_dword v100, off, s[0:3], 0 offset:348
	buffer_load_dword v104, off, s[0:3], 0 offset:324
	buffer_load_dword v103, off, s[0:3], 0 offset:320
	buffer_load_dword v106, off, s[0:3], 0 offset:364
	buffer_load_dword v107, off, s[0:3], 0 offset:376
	buffer_load_dword v109, off, s[0:3], 0 offset:368
	buffer_load_dword v105, off, s[0:3], 0 offset:360
	buffer_load_dword v102, off, s[0:3], 0 offset:340
	buffer_load_dword v108, off, s[0:3], 0 offset:380
	buffer_load_dword v112, off, s[0:3], 0 offset:356
	buffer_load_dword v111, off, s[0:3], 0 offset:352
	buffer_load_dword v110, off, s[0:3], 0 offset:372
	v_mov_b32_e32 v2, 0
	ds_read_b128 v[3:6], v2 offset:528
	ds_read_b128 v[55:58], v2 offset:544
	s_clause 0x3
	buffer_load_dword v115, off, s[0:3], 0 offset:160
	buffer_load_dword v116, off, s[0:3], 0 offset:164
	buffer_load_dword v117, off, s[0:3], 0 offset:168
	buffer_load_dword v118, off, s[0:3], 0 offset:172
	ds_read_b128 v[59:62], v2 offset:560
	s_mov_b32 s4, exec_lo
	s_waitcnt vmcnt(54) lgkmcnt(2)
	v_mul_f64 v[113:114], v[5:6], v[7:8]
	v_mul_f64 v[7:8], v[3:4], v[7:8]
	s_waitcnt vmcnt(52) lgkmcnt(1)
	v_mul_f64 v[119:120], v[57:58], v[63:64]
	v_mul_f64 v[63:64], v[55:56], v[63:64]
	s_waitcnt vmcnt(50)
	v_fma_f64 v[113:114], v[3:4], v[65:66], -v[113:114]
	v_fma_f64 v[7:8], v[5:6], v[65:66], v[7:8]
	ds_read_b128 v[3:6], v2 offset:576
	s_waitcnt vmcnt(48) lgkmcnt(1)
	v_mul_f64 v[65:66], v[59:60], v[67:68]
	v_mul_f64 v[67:68], v[61:62], v[67:68]
	s_waitcnt vmcnt(46)
	v_fma_f64 v[119:120], v[55:56], v[69:70], -v[119:120]
	v_fma_f64 v[63:64], v[57:58], v[69:70], v[63:64]
	ds_read_b128 v[55:58], v2 offset:592
	s_waitcnt vmcnt(42) lgkmcnt(1)
	v_mul_f64 v[69:70], v[3:4], v[71:72]
	v_add_f64 v[113:114], v[113:114], 0
	v_add_f64 v[7:8], v[7:8], 0
	v_mul_f64 v[71:72], v[5:6], v[71:72]
	s_waitcnt vmcnt(40)
	v_fma_f64 v[67:68], v[59:60], v[77:78], -v[67:68]
	v_fma_f64 v[65:66], v[61:62], v[77:78], v[65:66]
	ds_read_b128 v[59:62], v2 offset:608
	s_waitcnt vmcnt(37)
	v_fma_f64 v[69:70], v[5:6], v[79:80], v[69:70]
	v_add_f64 v[113:114], v[113:114], v[119:120]
	v_add_f64 v[7:8], v[7:8], v[63:64]
	s_waitcnt lgkmcnt(1)
	v_mul_f64 v[63:64], v[55:56], v[73:74]
	v_mul_f64 v[73:74], v[57:58], v[73:74]
	v_fma_f64 v[71:72], v[3:4], v[79:80], -v[71:72]
	s_waitcnt vmcnt(33) lgkmcnt(0)
	v_mul_f64 v[77:78], v[61:62], v[81:82]
	ds_read_b128 v[3:6], v2 offset:624
	v_add_f64 v[67:68], v[113:114], v[67:68]
	v_add_f64 v[7:8], v[7:8], v[65:66]
	v_mul_f64 v[65:66], v[59:60], v[81:82]
	s_waitcnt vmcnt(32)
	v_fma_f64 v[73:74], v[55:56], v[75:76], -v[73:74]
	v_fma_f64 v[63:64], v[57:58], v[75:76], v[63:64]
	ds_read_b128 v[55:58], v2 offset:640
	s_waitcnt vmcnt(29)
	v_fma_f64 v[75:76], v[59:60], v[87:88], -v[77:78]
	v_add_f64 v[67:68], v[67:68], v[71:72]
	v_add_f64 v[7:8], v[7:8], v[69:70]
	s_waitcnt lgkmcnt(1)
	v_mul_f64 v[71:72], v[5:6], v[83:84]
	v_mul_f64 v[69:70], v[3:4], v[83:84]
	v_fma_f64 v[65:66], v[61:62], v[87:88], v[65:66]
	ds_read_b128 v[59:62], v2 offset:656
	v_add_f64 v[67:68], v[67:68], v[73:74]
	v_add_f64 v[7:8], v[7:8], v[63:64]
	s_waitcnt vmcnt(25) lgkmcnt(1)
	v_mul_f64 v[73:74], v[57:58], v[89:90]
	s_waitcnt vmcnt(24)
	v_fma_f64 v[71:72], v[3:4], v[85:86], -v[71:72]
	v_mul_f64 v[63:64], v[55:56], v[89:90]
	v_fma_f64 v[69:70], v[5:6], v[85:86], v[69:70]
	ds_read_b128 v[3:6], v2 offset:672
	v_add_f64 v[67:68], v[67:68], v[75:76]
	v_add_f64 v[7:8], v[7:8], v[65:66]
	s_waitcnt vmcnt(23) lgkmcnt(1)
	v_mul_f64 v[75:76], v[61:62], v[91:92]
	s_waitcnt vmcnt(21)
	v_fma_f64 v[73:74], v[55:56], v[95:96], -v[73:74]
	;; [unrolled: 9-line block ×5, first 2 shown]
	v_mul_f64 v[65:66], v[59:60], v[105:106]
	v_fma_f64 v[57:58], v[57:58], v[101:102], v[63:64]
	s_waitcnt vmcnt(7) lgkmcnt(0)
	v_mul_f64 v[63:64], v[3:4], v[107:108]
	v_add_f64 v[67:68], v[67:68], v[71:72]
	v_add_f64 v[7:8], v[7:8], v[69:70]
	v_mul_f64 v[69:70], v[5:6], v[107:108]
	s_waitcnt vmcnt(5)
	v_fma_f64 v[59:60], v[59:60], v[111:112], -v[75:76]
	v_fma_f64 v[61:62], v[61:62], v[111:112], v[65:66]
	s_waitcnt vmcnt(4)
	v_fma_f64 v[5:6], v[5:6], v[109:110], v[63:64]
	v_add_f64 v[55:56], v[67:68], v[55:56]
	v_add_f64 v[7:8], v[7:8], v[57:58]
	v_fma_f64 v[3:4], v[3:4], v[109:110], -v[69:70]
	v_add_f64 v[55:56], v[55:56], v[59:60]
	v_add_f64 v[7:8], v[7:8], v[61:62]
	;; [unrolled: 1-line block ×4, first 2 shown]
	s_waitcnt vmcnt(2)
	v_add_f64 v[3:4], v[115:116], -v[3:4]
	s_waitcnt vmcnt(0)
	v_add_f64 v[5:6], v[117:118], -v[5:6]
	buffer_store_dword v4, off, s[0:3], 0 offset:164
	buffer_store_dword v3, off, s[0:3], 0 offset:160
	;; [unrolled: 1-line block ×4, first 2 shown]
	v_cmpx_lt_u32_e32 8, v0
	s_cbranch_execz .LBB22_135
; %bb.134:
	v_mov_b32_e32 v6, s26
	s_clause 0x3
	buffer_load_dword v3, v6, s[0:3], 0 offen
	buffer_load_dword v4, v6, s[0:3], 0 offen offset:4
	buffer_load_dword v5, v6, s[0:3], 0 offen offset:8
	;; [unrolled: 1-line block ×3, first 2 shown]
	buffer_store_dword v2, off, s[0:3], 0 offset:144
	buffer_store_dword v2, off, s[0:3], 0 offset:148
	;; [unrolled: 1-line block ×4, first 2 shown]
	s_waitcnt vmcnt(0)
	ds_write_b128 v1, v[3:6]
.LBB22_135:
	s_or_b32 exec_lo, exec_lo, s4
	s_waitcnt lgkmcnt(0)
	s_waitcnt_vscnt null, 0x0
	s_barrier
	buffer_gl0_inv
	s_clause 0x35
	buffer_load_dword v7, off, s[0:3], 0 offset:168
	buffer_load_dword v8, off, s[0:3], 0 offset:172
	;; [unrolled: 1-line block ×54, first 2 shown]
	ds_read_b128 v[3:6], v2 offset:512
	s_clause 0x1
	buffer_load_dword v116, off, s[0:3], 0 offset:372
	buffer_load_dword v115, off, s[0:3], 0 offset:368
	ds_read_b128 v[55:58], v2 offset:528
	ds_read_b128 v[59:62], v2 offset:544
	s_mov_b32 s4, exec_lo
	s_waitcnt vmcnt(54) lgkmcnt(2)
	v_mul_f64 v[117:118], v[5:6], v[7:8]
	v_mul_f64 v[7:8], v[3:4], v[7:8]
	s_waitcnt vmcnt(52) lgkmcnt(1)
	v_mul_f64 v[119:120], v[57:58], v[63:64]
	v_mul_f64 v[63:64], v[55:56], v[63:64]
	;; [unrolled: 3-line block ×3, first 2 shown]
	v_fma_f64 v[117:118], v[3:4], v[65:66], -v[117:118]
	v_fma_f64 v[7:8], v[5:6], v[65:66], v[7:8]
	s_clause 0x3
	buffer_load_dword v65, off, s[0:3], 0 offset:144
	buffer_load_dword v66, off, s[0:3], 0 offset:148
	;; [unrolled: 1-line block ×4, first 2 shown]
	s_waitcnt vmcnt(50)
	v_fma_f64 v[119:120], v[55:56], v[69:70], -v[119:120]
	ds_read_b128 v[3:6], v2 offset:560
	v_fma_f64 v[63:64], v[57:58], v[69:70], v[63:64]
	ds_read_b128 v[55:58], v2 offset:576
	s_waitcnt vmcnt(44)
	v_fma_f64 v[67:68], v[59:60], v[77:78], -v[67:68]
	v_fma_f64 v[77:78], v[61:62], v[77:78], v[123:124]
	ds_read_b128 v[59:62], v2 offset:592
	v_add_f64 v[117:118], v[117:118], 0
	v_add_f64 v[7:8], v[7:8], 0
	s_waitcnt lgkmcnt(2)
	v_mul_f64 v[69:70], v[3:4], v[71:72]
	v_mul_f64 v[71:72], v[5:6], v[71:72]
	v_add_f64 v[117:118], v[117:118], v[119:120]
	v_add_f64 v[7:8], v[7:8], v[63:64]
	s_waitcnt vmcnt(43) lgkmcnt(1)
	v_mul_f64 v[63:64], v[55:56], v[73:74]
	v_mul_f64 v[73:74], v[57:58], v[73:74]
	s_waitcnt vmcnt(41)
	v_fma_f64 v[71:72], v[3:4], v[79:80], -v[71:72]
	v_fma_f64 v[69:70], v[5:6], v[79:80], v[69:70]
	ds_read_b128 v[3:6], v2 offset:608
	s_waitcnt vmcnt(37) lgkmcnt(1)
	v_mul_f64 v[79:80], v[61:62], v[81:82]
	v_add_f64 v[67:68], v[117:118], v[67:68]
	v_add_f64 v[7:8], v[7:8], v[77:78]
	v_mul_f64 v[77:78], v[59:60], v[81:82]
	s_waitcnt vmcnt(36)
	v_fma_f64 v[73:74], v[55:56], v[75:76], -v[73:74]
	v_fma_f64 v[63:64], v[57:58], v[75:76], v[63:64]
	ds_read_b128 v[55:58], v2 offset:624
	s_waitcnt vmcnt(33)
	v_fma_f64 v[75:76], v[59:60], v[87:88], -v[79:80]
	v_add_f64 v[67:68], v[67:68], v[71:72]
	v_add_f64 v[7:8], v[7:8], v[69:70]
	s_waitcnt lgkmcnt(1)
	v_mul_f64 v[71:72], v[5:6], v[83:84]
	v_mul_f64 v[69:70], v[3:4], v[83:84]
	v_add_f64 v[67:68], v[67:68], v[73:74]
	v_fma_f64 v[73:74], v[61:62], v[87:88], v[77:78]
	v_add_f64 v[7:8], v[7:8], v[63:64]
	ds_read_b128 v[59:62], v2 offset:640
	s_waitcnt vmcnt(29) lgkmcnt(1)
	v_mul_f64 v[77:78], v[57:58], v[89:90]
	s_waitcnt vmcnt(28)
	v_fma_f64 v[71:72], v[3:4], v[85:86], -v[71:72]
	v_mul_f64 v[63:64], v[55:56], v[89:90]
	v_fma_f64 v[69:70], v[5:6], v[85:86], v[69:70]
	ds_read_b128 v[3:6], v2 offset:656
	v_add_f64 v[67:68], v[67:68], v[75:76]
	s_waitcnt vmcnt(27) lgkmcnt(1)
	v_mul_f64 v[75:76], v[61:62], v[91:92]
	v_add_f64 v[7:8], v[7:8], v[73:74]
	v_mul_f64 v[73:74], v[59:60], v[91:92]
	s_waitcnt vmcnt(25)
	v_fma_f64 v[77:78], v[55:56], v[95:96], -v[77:78]
	v_fma_f64 v[63:64], v[57:58], v[95:96], v[63:64]
	ds_read_b128 v[55:58], v2 offset:672
	v_add_f64 v[67:68], v[67:68], v[71:72]
	s_waitcnt vmcnt(21) lgkmcnt(1)
	v_mul_f64 v[71:72], v[5:6], v[97:98]
	v_add_f64 v[7:8], v[7:8], v[69:70]
	s_waitcnt vmcnt(20)
	v_fma_f64 v[75:76], v[59:60], v[93:94], -v[75:76]
	v_mul_f64 v[69:70], v[3:4], v[97:98]
	v_fma_f64 v[73:74], v[61:62], v[93:94], v[73:74]
	ds_read_b128 v[59:62], v2 offset:688
	v_add_f64 v[67:68], v[67:68], v[77:78]
	s_waitcnt vmcnt(19) lgkmcnt(1)
	v_mul_f64 v[77:78], v[57:58], v[99:100]
	v_add_f64 v[7:8], v[7:8], v[63:64]
	s_waitcnt vmcnt(17)
	v_fma_f64 v[71:72], v[3:4], v[103:104], -v[71:72]
	v_mul_f64 v[63:64], v[55:56], v[99:100]
	;; [unrolled: 9-line block ×4, first 2 shown]
	v_fma_f64 v[61:62], v[61:62], v[111:112], v[73:74]
	s_waitcnt vmcnt(7) lgkmcnt(0)
	v_mul_f64 v[73:74], v[57:58], v[113:114]
	v_add_f64 v[67:68], v[67:68], v[77:78]
	s_waitcnt vmcnt(6)
	v_fma_f64 v[2:3], v[3:4], v[109:110], -v[71:72]
	v_add_f64 v[7:8], v[7:8], v[63:64]
	v_mul_f64 v[63:64], v[55:56], v[113:114]
	v_fma_f64 v[4:5], v[5:6], v[109:110], v[69:70]
	s_waitcnt vmcnt(4)
	v_fma_f64 v[55:56], v[55:56], v[115:116], -v[73:74]
	v_add_f64 v[59:60], v[67:68], v[59:60]
	v_add_f64 v[6:7], v[7:8], v[61:62]
	v_fma_f64 v[57:58], v[57:58], v[115:116], v[63:64]
	v_add_f64 v[2:3], v[59:60], v[2:3]
	v_add_f64 v[4:5], v[6:7], v[4:5]
	v_add_f64 v[2:3], v[2:3], v[55:56]
	v_add_f64 v[4:5], v[4:5], v[57:58]
	s_waitcnt vmcnt(2)
	v_add_f64 v[2:3], v[65:66], -v[2:3]
	s_waitcnt vmcnt(0)
	v_add_f64 v[4:5], v[121:122], -v[4:5]
	buffer_store_dword v3, off, s[0:3], 0 offset:148
	buffer_store_dword v2, off, s[0:3], 0 offset:144
	;; [unrolled: 1-line block ×4, first 2 shown]
	v_cmpx_lt_u32_e32 7, v0
	s_cbranch_execz .LBB22_137
; %bb.136:
	v_mov_b32_e32 v5, s27
	v_mov_b32_e32 v6, 0
	s_clause 0x3
	buffer_load_dword v2, v5, s[0:3], 0 offen
	buffer_load_dword v3, v5, s[0:3], 0 offen offset:4
	buffer_load_dword v4, v5, s[0:3], 0 offen offset:8
	;; [unrolled: 1-line block ×3, first 2 shown]
	buffer_store_dword v6, off, s[0:3], 0 offset:128
	buffer_store_dword v6, off, s[0:3], 0 offset:132
	;; [unrolled: 1-line block ×4, first 2 shown]
	s_waitcnt vmcnt(0)
	ds_write_b128 v1, v[2:5]
.LBB22_137:
	s_or_b32 exec_lo, exec_lo, s4
	s_waitcnt lgkmcnt(0)
	s_waitcnt_vscnt null, 0x0
	s_barrier
	buffer_gl0_inv
	s_clause 0x35
	buffer_load_dword v7, off, s[0:3], 0 offset:152
	buffer_load_dword v8, off, s[0:3], 0 offset:156
	buffer_load_dword v63, off, s[0:3], 0 offset:168
	buffer_load_dword v64, off, s[0:3], 0 offset:172
	buffer_load_dword v65, off, s[0:3], 0 offset:144
	buffer_load_dword v66, off, s[0:3], 0 offset:148
	buffer_load_dword v67, off, s[0:3], 0 offset:184
	buffer_load_dword v68, off, s[0:3], 0 offset:188
	buffer_load_dword v69, off, s[0:3], 0 offset:160
	buffer_load_dword v70, off, s[0:3], 0 offset:164
	buffer_load_dword v72, off, s[0:3], 0 offset:204
	buffer_load_dword v71, off, s[0:3], 0 offset:200
	buffer_load_dword v73, off, s[0:3], 0 offset:176
	buffer_load_dword v74, off, s[0:3], 0 offset:180
	buffer_load_dword v75, off, s[0:3], 0 offset:216
	buffer_load_dword v76, off, s[0:3], 0 offset:220
	buffer_load_dword v78, off, s[0:3], 0 offset:196
	buffer_load_dword v77, off, s[0:3], 0 offset:192
	buffer_load_dword v80, off, s[0:3], 0 offset:236
	buffer_load_dword v79, off, s[0:3], 0 offset:232
	buffer_load_dword v81, off, s[0:3], 0 offset:208
	buffer_load_dword v82, off, s[0:3], 0 offset:212
	buffer_load_dword v83, off, s[0:3], 0 offset:248
	buffer_load_dword v84, off, s[0:3], 0 offset:252
	buffer_load_dword v86, off, s[0:3], 0 offset:228
	buffer_load_dword v85, off, s[0:3], 0 offset:224
	buffer_load_dword v88, off, s[0:3], 0 offset:268
	buffer_load_dword v87, off, s[0:3], 0 offset:264
	buffer_load_dword v89, off, s[0:3], 0 offset:240
	buffer_load_dword v90, off, s[0:3], 0 offset:244
	buffer_load_dword v91, off, s[0:3], 0 offset:280
	buffer_load_dword v92, off, s[0:3], 0 offset:284
	buffer_load_dword v94, off, s[0:3], 0 offset:260
	buffer_load_dword v93, off, s[0:3], 0 offset:256
	buffer_load_dword v96, off, s[0:3], 0 offset:300
	buffer_load_dword v95, off, s[0:3], 0 offset:296
	buffer_load_dword v97, off, s[0:3], 0 offset:272
	buffer_load_dword v98, off, s[0:3], 0 offset:276
	buffer_load_dword v99, off, s[0:3], 0 offset:312
	buffer_load_dword v100, off, s[0:3], 0 offset:316
	buffer_load_dword v102, off, s[0:3], 0 offset:292
	buffer_load_dword v101, off, s[0:3], 0 offset:288
	buffer_load_dword v104, off, s[0:3], 0 offset:332
	buffer_load_dword v103, off, s[0:3], 0 offset:328
	buffer_load_dword v105, off, s[0:3], 0 offset:304
	buffer_load_dword v106, off, s[0:3], 0 offset:308
	buffer_load_dword v107, off, s[0:3], 0 offset:344
	buffer_load_dword v108, off, s[0:3], 0 offset:348
	buffer_load_dword v110, off, s[0:3], 0 offset:324
	buffer_load_dword v109, off, s[0:3], 0 offset:320
	buffer_load_dword v112, off, s[0:3], 0 offset:364
	buffer_load_dword v111, off, s[0:3], 0 offset:360
	buffer_load_dword v113, off, s[0:3], 0 offset:336
	buffer_load_dword v114, off, s[0:3], 0 offset:340
	v_mov_b32_e32 v2, 0
	s_mov_b32 s4, exec_lo
	ds_read_b128 v[3:6], v2 offset:496
	s_clause 0x3
	buffer_load_dword v115, off, s[0:3], 0 offset:376
	buffer_load_dword v116, off, s[0:3], 0 offset:380
	;; [unrolled: 1-line block ×4, first 2 shown]
	ds_read_b128 v[55:58], v2 offset:512
	s_clause 0x1
	buffer_load_dword v121, off, s[0:3], 0 offset:368
	buffer_load_dword v122, off, s[0:3], 0 offset:372
	ds_read_b128 v[59:62], v2 offset:528
	s_waitcnt vmcnt(58) lgkmcnt(2)
	v_mul_f64 v[119:120], v[5:6], v[7:8]
	v_mul_f64 v[7:8], v[3:4], v[7:8]
	s_waitcnt vmcnt(56) lgkmcnt(1)
	v_mul_f64 v[123:124], v[57:58], v[63:64]
	v_mul_f64 v[63:64], v[55:56], v[63:64]
	s_waitcnt vmcnt(54)
	v_fma_f64 v[119:120], v[3:4], v[65:66], -v[119:120]
	v_fma_f64 v[7:8], v[5:6], v[65:66], v[7:8]
	ds_read_b128 v[3:6], v2 offset:544
	s_waitcnt vmcnt(52) lgkmcnt(1)
	v_mul_f64 v[65:66], v[59:60], v[67:68]
	v_mul_f64 v[67:68], v[61:62], v[67:68]
	s_waitcnt vmcnt(50)
	v_fma_f64 v[123:124], v[55:56], v[69:70], -v[123:124]
	v_fma_f64 v[63:64], v[57:58], v[69:70], v[63:64]
	s_clause 0x3
	buffer_load_dword v69, off, s[0:3], 0 offset:128
	buffer_load_dword v70, off, s[0:3], 0 offset:132
	;; [unrolled: 1-line block ×4, first 2 shown]
	ds_read_b128 v[55:58], v2 offset:560
	s_waitcnt vmcnt(52) lgkmcnt(1)
	v_mul_f64 v[127:128], v[3:4], v[71:72]
	v_add_f64 v[119:120], v[119:120], 0
	v_add_f64 v[7:8], v[7:8], 0
	v_mul_f64 v[71:72], v[5:6], v[71:72]
	s_waitcnt vmcnt(50)
	v_fma_f64 v[67:68], v[59:60], v[73:74], -v[67:68]
	v_fma_f64 v[65:66], v[61:62], v[73:74], v[65:66]
	ds_read_b128 v[59:62], v2 offset:576
	s_waitcnt vmcnt(48) lgkmcnt(1)
	v_mul_f64 v[73:74], v[57:58], v[75:76]
	v_add_f64 v[119:120], v[119:120], v[123:124]
	v_add_f64 v[7:8], v[7:8], v[63:64]
	s_waitcnt vmcnt(46)
	v_fma_f64 v[71:72], v[3:4], v[77:78], -v[71:72]
	v_mul_f64 v[63:64], v[55:56], v[75:76]
	v_fma_f64 v[75:76], v[5:6], v[77:78], v[127:128]
	s_waitcnt vmcnt(44) lgkmcnt(0)
	v_mul_f64 v[77:78], v[61:62], v[79:80]
	s_waitcnt vmcnt(42)
	v_fma_f64 v[73:74], v[55:56], v[81:82], -v[73:74]
	ds_read_b128 v[3:6], v2 offset:592
	v_add_f64 v[67:68], v[119:120], v[67:68]
	v_add_f64 v[7:8], v[7:8], v[65:66]
	v_mul_f64 v[65:66], v[59:60], v[79:80]
	v_fma_f64 v[63:64], v[57:58], v[81:82], v[63:64]
	ds_read_b128 v[55:58], v2 offset:608
	s_waitcnt vmcnt(38)
	v_fma_f64 v[77:78], v[59:60], v[85:86], -v[77:78]
	v_add_f64 v[67:68], v[67:68], v[71:72]
	v_add_f64 v[7:8], v[7:8], v[75:76]
	s_waitcnt lgkmcnt(1)
	v_mul_f64 v[75:76], v[5:6], v[83:84]
	v_mul_f64 v[71:72], v[3:4], v[83:84]
	v_fma_f64 v[65:66], v[61:62], v[85:86], v[65:66]
	ds_read_b128 v[59:62], v2 offset:624
	v_add_f64 v[67:68], v[67:68], v[73:74]
	v_add_f64 v[7:8], v[7:8], v[63:64]
	s_waitcnt vmcnt(36) lgkmcnt(1)
	v_mul_f64 v[73:74], v[57:58], v[87:88]
	s_waitcnt vmcnt(34)
	v_fma_f64 v[75:76], v[3:4], v[89:90], -v[75:76]
	v_mul_f64 v[63:64], v[55:56], v[87:88]
	v_fma_f64 v[71:72], v[5:6], v[89:90], v[71:72]
	ds_read_b128 v[3:6], v2 offset:640
	v_add_f64 v[67:68], v[67:68], v[77:78]
	v_add_f64 v[7:8], v[7:8], v[65:66]
	s_waitcnt vmcnt(32) lgkmcnt(1)
	v_mul_f64 v[77:78], v[61:62], v[91:92]
	s_waitcnt vmcnt(30)
	v_fma_f64 v[73:74], v[55:56], v[93:94], -v[73:74]
	;; [unrolled: 9-line block ×7, first 2 shown]
	v_mul_f64 v[63:64], v[55:56], v[111:112]
	v_fma_f64 v[5:6], v[5:6], v[113:114], v[71:72]
	s_waitcnt vmcnt(8) lgkmcnt(0)
	v_mul_f64 v[71:72], v[61:62], v[115:116]
	v_add_f64 v[67:68], v[67:68], v[77:78]
	v_add_f64 v[7:8], v[7:8], v[65:66]
	s_waitcnt vmcnt(6)
	v_fma_f64 v[55:56], v[55:56], v[117:118], -v[73:74]
	v_mul_f64 v[65:66], v[59:60], v[115:116]
	v_fma_f64 v[57:58], v[57:58], v[117:118], v[63:64]
	v_add_f64 v[3:4], v[67:68], v[3:4]
	v_add_f64 v[5:6], v[7:8], v[5:6]
	s_waitcnt vmcnt(4)
	v_fma_f64 v[7:8], v[59:60], v[121:122], -v[71:72]
	v_add_f64 v[3:4], v[3:4], v[55:56]
	v_fma_f64 v[55:56], v[61:62], v[121:122], v[65:66]
	v_add_f64 v[5:6], v[5:6], v[57:58]
	v_add_f64 v[3:4], v[3:4], v[7:8]
	;; [unrolled: 1-line block ×3, first 2 shown]
	s_waitcnt vmcnt(2)
	v_add_f64 v[3:4], v[69:70], -v[3:4]
	s_waitcnt vmcnt(0)
	v_add_f64 v[5:6], v[125:126], -v[5:6]
	buffer_store_dword v4, off, s[0:3], 0 offset:132
	buffer_store_dword v3, off, s[0:3], 0 offset:128
	;; [unrolled: 1-line block ×4, first 2 shown]
	v_cmpx_lt_u32_e32 6, v0
	s_cbranch_execz .LBB22_139
; %bb.138:
	v_mov_b32_e32 v6, s28
	s_clause 0x3
	buffer_load_dword v3, v6, s[0:3], 0 offen
	buffer_load_dword v4, v6, s[0:3], 0 offen offset:4
	buffer_load_dword v5, v6, s[0:3], 0 offen offset:8
	;; [unrolled: 1-line block ×3, first 2 shown]
	buffer_store_dword v2, off, s[0:3], 0 offset:112
	buffer_store_dword v2, off, s[0:3], 0 offset:116
	;; [unrolled: 1-line block ×4, first 2 shown]
	s_waitcnt vmcnt(0)
	ds_write_b128 v1, v[3:6]
.LBB22_139:
	s_or_b32 exec_lo, exec_lo, s4
	s_waitcnt lgkmcnt(0)
	s_waitcnt_vscnt null, 0x0
	s_barrier
	buffer_gl0_inv
	s_clause 0x37
	buffer_load_dword v7, off, s[0:3], 0 offset:136
	buffer_load_dword v8, off, s[0:3], 0 offset:140
	;; [unrolled: 1-line block ×56, first 2 shown]
	ds_read_b128 v[3:6], v2 offset:480
	s_clause 0x2
	buffer_load_dword v116, off, s[0:3], 0 offset:364
	buffer_load_dword v120, off, s[0:3], 0 offset:340
	;; [unrolled: 1-line block ×3, first 2 shown]
	ds_read_b128 v[55:58], v2 offset:496
	s_clause 0x2
	buffer_load_dword v124, off, s[0:3], 0 offset:380
	buffer_load_dword v123, off, s[0:3], 0 offset:376
	;; [unrolled: 1-line block ×3, first 2 shown]
	ds_read_b128 v[59:62], v2 offset:512
	s_mov_b32 s4, exec_lo
	s_waitcnt vmcnt(60) lgkmcnt(2)
	v_mul_f64 v[121:122], v[5:6], v[7:8]
	v_mul_f64 v[7:8], v[3:4], v[7:8]
	s_waitcnt vmcnt(58) lgkmcnt(1)
	v_mul_f64 v[125:126], v[57:58], v[63:64]
	v_mul_f64 v[63:64], v[55:56], v[63:64]
	;; [unrolled: 3-line block ×3, first 2 shown]
	v_fma_f64 v[121:122], v[3:4], v[65:66], -v[121:122]
	v_fma_f64 v[7:8], v[5:6], v[65:66], v[7:8]
	s_clause 0x1
	buffer_load_dword v66, off, s[0:3], 0 offset:372
	buffer_load_dword v65, off, s[0:3], 0 offset:368
	s_waitcnt vmcnt(54)
	v_fma_f64 v[125:126], v[55:56], v[69:70], -v[125:126]
	ds_read_b128 v[3:6], v2 offset:528
	v_fma_f64 v[63:64], v[57:58], v[69:70], v[63:64]
	ds_read_b128 v[55:58], v2 offset:544
	s_waitcnt vmcnt(48)
	v_fma_f64 v[67:68], v[59:60], v[77:78], -v[67:68]
	v_fma_f64 v[77:78], v[61:62], v[77:78], v[127:128]
	v_add_f64 v[121:122], v[121:122], 0
	v_add_f64 v[7:8], v[7:8], 0
	s_waitcnt lgkmcnt(1)
	v_mul_f64 v[69:70], v[3:4], v[71:72]
	v_mul_f64 v[71:72], v[5:6], v[71:72]
	s_waitcnt vmcnt(47) lgkmcnt(0)
	v_mul_f64 v[127:128], v[55:56], v[73:74]
	v_mul_f64 v[73:74], v[57:58], v[73:74]
	v_add_f64 v[121:122], v[121:122], v[125:126]
	v_add_f64 v[7:8], v[7:8], v[63:64]
	s_clause 0x3
	buffer_load_dword v63, off, s[0:3], 0 offset:112
	buffer_load_dword v64, off, s[0:3], 0 offset:116
	;; [unrolled: 1-line block ×4, first 2 shown]
	s_waitcnt vmcnt(49)
	v_fma_f64 v[71:72], v[3:4], v[79:80], -v[71:72]
	ds_read_b128 v[59:62], v2 offset:560
	v_fma_f64 v[69:70], v[5:6], v[79:80], v[69:70]
	ds_read_b128 v[3:6], v2 offset:576
	s_waitcnt vmcnt(44)
	v_fma_f64 v[73:74], v[55:56], v[75:76], -v[73:74]
	v_add_f64 v[67:68], v[121:122], v[67:68]
	v_add_f64 v[7:8], v[7:8], v[77:78]
	s_waitcnt lgkmcnt(1)
	v_mul_f64 v[79:80], v[61:62], v[81:82]
	v_mul_f64 v[77:78], v[59:60], v[81:82]
	v_add_f64 v[67:68], v[67:68], v[71:72]
	v_fma_f64 v[71:72], v[57:58], v[75:76], v[127:128]
	v_add_f64 v[7:8], v[7:8], v[69:70]
	s_waitcnt vmcnt(43) lgkmcnt(0)
	v_mul_f64 v[75:76], v[5:6], v[83:84]
	s_waitcnt vmcnt(41)
	v_fma_f64 v[79:80], v[59:60], v[87:88], -v[79:80]
	ds_read_b128 v[55:58], v2 offset:592
	v_mul_f64 v[69:70], v[3:4], v[83:84]
	v_add_f64 v[67:68], v[67:68], v[73:74]
	v_fma_f64 v[73:74], v[61:62], v[87:88], v[77:78]
	v_add_f64 v[7:8], v[7:8], v[71:72]
	ds_read_b128 v[59:62], v2 offset:608
	s_waitcnt vmcnt(37) lgkmcnt(1)
	v_mul_f64 v[77:78], v[57:58], v[89:90]
	s_waitcnt vmcnt(36)
	v_fma_f64 v[75:76], v[3:4], v[85:86], -v[75:76]
	v_mul_f64 v[71:72], v[55:56], v[89:90]
	v_fma_f64 v[69:70], v[5:6], v[85:86], v[69:70]
	ds_read_b128 v[3:6], v2 offset:624
	v_add_f64 v[67:68], v[67:68], v[79:80]
	s_waitcnt vmcnt(35) lgkmcnt(1)
	v_mul_f64 v[79:80], v[61:62], v[91:92]
	v_add_f64 v[7:8], v[7:8], v[73:74]
	v_mul_f64 v[73:74], v[59:60], v[91:92]
	s_waitcnt vmcnt(33)
	v_fma_f64 v[77:78], v[55:56], v[95:96], -v[77:78]
	v_fma_f64 v[71:72], v[57:58], v[95:96], v[71:72]
	ds_read_b128 v[55:58], v2 offset:640
	v_add_f64 v[67:68], v[67:68], v[75:76]
	s_waitcnt vmcnt(29) lgkmcnt(1)
	v_mul_f64 v[75:76], v[5:6], v[97:98]
	v_add_f64 v[7:8], v[7:8], v[69:70]
	s_waitcnt vmcnt(28)
	v_fma_f64 v[79:80], v[59:60], v[93:94], -v[79:80]
	v_mul_f64 v[69:70], v[3:4], v[97:98]
	v_fma_f64 v[73:74], v[61:62], v[93:94], v[73:74]
	ds_read_b128 v[59:62], v2 offset:656
	v_add_f64 v[67:68], v[67:68], v[77:78]
	s_waitcnt vmcnt(27) lgkmcnt(1)
	v_mul_f64 v[77:78], v[57:58], v[99:100]
	v_add_f64 v[7:8], v[7:8], v[71:72]
	s_waitcnt vmcnt(25)
	v_fma_f64 v[75:76], v[3:4], v[103:104], -v[75:76]
	v_mul_f64 v[71:72], v[55:56], v[99:100]
	;; [unrolled: 9-line block ×6, first 2 shown]
	v_fma_f64 v[57:58], v[57:58], v[119:120], v[71:72]
	s_waitcnt vmcnt(7) lgkmcnt(0)
	v_mul_f64 v[71:72], v[4:5], v[123:124]
	v_add_f64 v[67:68], v[67:68], v[75:76]
	s_waitcnt vmcnt(6)
	v_fma_f64 v[59:60], v[59:60], v[117:118], -v[79:80]
	v_add_f64 v[6:7], v[6:7], v[69:70]
	v_mul_f64 v[69:70], v[2:3], v[123:124]
	v_fma_f64 v[61:62], v[61:62], v[117:118], v[73:74]
	v_add_f64 v[55:56], v[67:68], v[55:56]
	v_add_f64 v[6:7], v[6:7], v[57:58]
	s_waitcnt vmcnt(4)
	v_fma_f64 v[2:3], v[2:3], v[65:66], -v[71:72]
	v_fma_f64 v[4:5], v[4:5], v[65:66], v[69:70]
	v_add_f64 v[55:56], v[55:56], v[59:60]
	v_add_f64 v[6:7], v[6:7], v[61:62]
	v_add_f64 v[2:3], v[55:56], v[2:3]
	v_add_f64 v[4:5], v[6:7], v[4:5]
	s_waitcnt vmcnt(2)
	v_add_f64 v[2:3], v[63:64], -v[2:3]
	s_waitcnt vmcnt(0)
	v_add_f64 v[4:5], v[125:126], -v[4:5]
	buffer_store_dword v3, off, s[0:3], 0 offset:116
	buffer_store_dword v2, off, s[0:3], 0 offset:112
	;; [unrolled: 1-line block ×4, first 2 shown]
	v_cmpx_lt_u32_e32 5, v0
	s_cbranch_execz .LBB22_141
; %bb.140:
	v_mov_b32_e32 v5, s29
	v_mov_b32_e32 v6, 0
	s_clause 0x3
	buffer_load_dword v2, v5, s[0:3], 0 offen
	buffer_load_dword v3, v5, s[0:3], 0 offen offset:4
	buffer_load_dword v4, v5, s[0:3], 0 offen offset:8
	;; [unrolled: 1-line block ×3, first 2 shown]
	buffer_store_dword v6, off, s[0:3], 0 offset:96
	buffer_store_dword v6, off, s[0:3], 0 offset:100
	;; [unrolled: 1-line block ×4, first 2 shown]
	s_waitcnt vmcnt(0)
	ds_write_b128 v1, v[2:5]
.LBB22_141:
	s_or_b32 exec_lo, exec_lo, s4
	s_waitcnt lgkmcnt(0)
	s_waitcnt_vscnt null, 0x0
	s_barrier
	buffer_gl0_inv
	s_clause 0x37
	buffer_load_dword v7, off, s[0:3], 0 offset:120
	buffer_load_dword v8, off, s[0:3], 0 offset:124
	buffer_load_dword v63, off, s[0:3], 0 offset:136
	buffer_load_dword v64, off, s[0:3], 0 offset:140
	buffer_load_dword v65, off, s[0:3], 0 offset:112
	buffer_load_dword v66, off, s[0:3], 0 offset:116
	buffer_load_dword v67, off, s[0:3], 0 offset:152
	buffer_load_dword v68, off, s[0:3], 0 offset:156
	buffer_load_dword v69, off, s[0:3], 0 offset:128
	buffer_load_dword v70, off, s[0:3], 0 offset:132
	buffer_load_dword v72, off, s[0:3], 0 offset:172
	buffer_load_dword v73, off, s[0:3], 0 offset:184
	buffer_load_dword v75, off, s[0:3], 0 offset:176
	buffer_load_dword v71, off, s[0:3], 0 offset:168
	buffer_load_dword v77, off, s[0:3], 0 offset:144
	buffer_load_dword v78, off, s[0:3], 0 offset:148
	buffer_load_dword v74, off, s[0:3], 0 offset:188
	buffer_load_dword v80, off, s[0:3], 0 offset:164
	buffer_load_dword v79, off, s[0:3], 0 offset:160
	buffer_load_dword v82, off, s[0:3], 0 offset:204
	buffer_load_dword v83, off, s[0:3], 0 offset:216
	buffer_load_dword v85, off, s[0:3], 0 offset:208
	buffer_load_dword v81, off, s[0:3], 0 offset:200
	buffer_load_dword v76, off, s[0:3], 0 offset:180
	buffer_load_dword v84, off, s[0:3], 0 offset:220
	buffer_load_dword v88, off, s[0:3], 0 offset:196
	buffer_load_dword v87, off, s[0:3], 0 offset:192
	buffer_load_dword v90, off, s[0:3], 0 offset:236
	buffer_load_dword v91, off, s[0:3], 0 offset:248
	buffer_load_dword v93, off, s[0:3], 0 offset:240
	buffer_load_dword v89, off, s[0:3], 0 offset:232
	buffer_load_dword v86, off, s[0:3], 0 offset:212
	buffer_load_dword v92, off, s[0:3], 0 offset:252
	buffer_load_dword v96, off, s[0:3], 0 offset:228
	buffer_load_dword v95, off, s[0:3], 0 offset:224
	buffer_load_dword v98, off, s[0:3], 0 offset:268
	buffer_load_dword v99, off, s[0:3], 0 offset:280
	buffer_load_dword v101, off, s[0:3], 0 offset:272
	buffer_load_dword v97, off, s[0:3], 0 offset:264
	buffer_load_dword v94, off, s[0:3], 0 offset:244
	buffer_load_dword v100, off, s[0:3], 0 offset:284
	buffer_load_dword v104, off, s[0:3], 0 offset:260
	buffer_load_dword v103, off, s[0:3], 0 offset:256
	buffer_load_dword v106, off, s[0:3], 0 offset:300
	buffer_load_dword v107, off, s[0:3], 0 offset:312
	buffer_load_dword v109, off, s[0:3], 0 offset:304
	buffer_load_dword v105, off, s[0:3], 0 offset:296
	buffer_load_dword v102, off, s[0:3], 0 offset:276
	buffer_load_dword v108, off, s[0:3], 0 offset:316
	buffer_load_dword v112, off, s[0:3], 0 offset:292
	buffer_load_dword v111, off, s[0:3], 0 offset:288
	buffer_load_dword v114, off, s[0:3], 0 offset:332
	buffer_load_dword v115, off, s[0:3], 0 offset:344
	buffer_load_dword v117, off, s[0:3], 0 offset:336
	buffer_load_dword v113, off, s[0:3], 0 offset:328
	buffer_load_dword v110, off, s[0:3], 0 offset:308
	v_mov_b32_e32 v2, 0
	s_mov_b32 s4, exec_lo
	ds_read_b128 v[3:6], v2 offset:464
	s_clause 0x2
	buffer_load_dword v116, off, s[0:3], 0 offset:348
	buffer_load_dword v120, off, s[0:3], 0 offset:324
	;; [unrolled: 1-line block ×3, first 2 shown]
	ds_read_b128 v[55:58], v2 offset:480
	s_clause 0x4
	buffer_load_dword v124, off, s[0:3], 0 offset:364
	buffer_load_dword v125, off, s[0:3], 0 offset:376
	;; [unrolled: 1-line block ×5, first 2 shown]
	ds_read_b128 v[59:62], v2 offset:496
	s_waitcnt vmcnt(62) lgkmcnt(2)
	v_mul_f64 v[121:122], v[5:6], v[7:8]
	v_mul_f64 v[7:8], v[3:4], v[7:8]
	s_waitcnt vmcnt(60) lgkmcnt(1)
	v_mul_f64 v[128:129], v[57:58], v[63:64]
	v_mul_f64 v[63:64], v[55:56], v[63:64]
	;; [unrolled: 3-line block ×3, first 2 shown]
	v_fma_f64 v[121:122], v[3:4], v[65:66], -v[121:122]
	v_fma_f64 v[7:8], v[5:6], v[65:66], v[7:8]
	s_clause 0x2
	buffer_load_dword v126, off, s[0:3], 0 offset:380
	buffer_load_dword v66, off, s[0:3], 0 offset:356
	;; [unrolled: 1-line block ×3, first 2 shown]
	s_waitcnt vmcnt(57)
	v_fma_f64 v[132:133], v[55:56], v[69:70], -v[128:129]
	ds_read_b128 v[3:6], v2 offset:512
	v_fma_f64 v[63:64], v[57:58], v[69:70], v[63:64]
	buffer_load_dword v128, off, s[0:3], 0 offset:372
	ds_read_b128 v[55:58], v2 offset:528
	s_waitcnt vmcnt(52)
	v_fma_f64 v[67:68], v[59:60], v[77:78], -v[67:68]
	v_fma_f64 v[77:78], v[61:62], v[77:78], v[130:131]
	ds_read_b128 v[59:62], v2 offset:544
	v_add_f64 v[121:122], v[121:122], 0
	v_add_f64 v[7:8], v[7:8], 0
	s_waitcnt lgkmcnt(2)
	v_mul_f64 v[69:70], v[3:4], v[71:72]
	v_mul_f64 v[71:72], v[5:6], v[71:72]
	v_add_f64 v[121:122], v[121:122], v[132:133]
	v_add_f64 v[7:8], v[7:8], v[63:64]
	s_waitcnt vmcnt(51) lgkmcnt(1)
	v_mul_f64 v[63:64], v[55:56], v[73:74]
	v_mul_f64 v[73:74], v[57:58], v[73:74]
	s_waitcnt vmcnt(49)
	v_fma_f64 v[71:72], v[3:4], v[79:80], -v[71:72]
	v_fma_f64 v[69:70], v[5:6], v[79:80], v[69:70]
	v_add_f64 v[67:68], v[121:122], v[67:68]
	v_add_f64 v[7:8], v[7:8], v[77:78]
	s_clause 0x3
	buffer_load_dword v77, off, s[0:3], 0 offset:96
	buffer_load_dword v78, off, s[0:3], 0 offset:100
	;; [unrolled: 1-line block ×4, first 2 shown]
	s_waitcnt vmcnt(49) lgkmcnt(0)
	v_mul_f64 v[121:122], v[59:60], v[81:82]
	v_mul_f64 v[81:82], v[61:62], v[81:82]
	s_waitcnt vmcnt(48)
	v_fma_f64 v[73:74], v[55:56], v[75:76], -v[73:74]
	ds_read_b128 v[3:6], v2 offset:560
	v_fma_f64 v[63:64], v[57:58], v[75:76], v[63:64]
	ds_read_b128 v[55:58], v2 offset:576
	v_add_f64 v[67:68], v[67:68], v[71:72]
	v_add_f64 v[7:8], v[7:8], v[69:70]
	s_waitcnt vmcnt(47) lgkmcnt(1)
	v_mul_f64 v[71:72], v[5:6], v[83:84]
	s_waitcnt vmcnt(45)
	v_fma_f64 v[75:76], v[59:60], v[87:88], -v[81:82]
	v_mul_f64 v[69:70], v[3:4], v[83:84]
	s_waitcnt vmcnt(41) lgkmcnt(0)
	v_mul_f64 v[81:82], v[57:58], v[89:90]
	v_add_f64 v[67:68], v[67:68], v[73:74]
	v_fma_f64 v[73:74], v[61:62], v[87:88], v[121:122]
	v_add_f64 v[7:8], v[7:8], v[63:64]
	ds_read_b128 v[59:62], v2 offset:592
	s_waitcnt vmcnt(40)
	v_fma_f64 v[71:72], v[3:4], v[85:86], -v[71:72]
	v_mul_f64 v[63:64], v[55:56], v[89:90]
	v_fma_f64 v[69:70], v[5:6], v[85:86], v[69:70]
	ds_read_b128 v[3:6], v2 offset:608
	s_waitcnt vmcnt(37)
	v_fma_f64 v[81:82], v[55:56], v[95:96], -v[81:82]
	v_add_f64 v[67:68], v[67:68], v[75:76]
	s_waitcnt lgkmcnt(1)
	v_mul_f64 v[75:76], v[61:62], v[91:92]
	v_add_f64 v[7:8], v[7:8], v[73:74]
	v_mul_f64 v[73:74], v[59:60], v[91:92]
	v_fma_f64 v[63:64], v[57:58], v[95:96], v[63:64]
	ds_read_b128 v[55:58], v2 offset:624
	v_add_f64 v[67:68], v[67:68], v[71:72]
	s_waitcnt vmcnt(33) lgkmcnt(1)
	v_mul_f64 v[71:72], v[5:6], v[97:98]
	v_add_f64 v[7:8], v[7:8], v[69:70]
	s_waitcnt vmcnt(32)
	v_fma_f64 v[75:76], v[59:60], v[93:94], -v[75:76]
	v_mul_f64 v[69:70], v[3:4], v[97:98]
	v_fma_f64 v[73:74], v[61:62], v[93:94], v[73:74]
	ds_read_b128 v[59:62], v2 offset:640
	v_add_f64 v[67:68], v[67:68], v[81:82]
	s_waitcnt vmcnt(31) lgkmcnt(1)
	v_mul_f64 v[81:82], v[57:58], v[99:100]
	v_add_f64 v[7:8], v[7:8], v[63:64]
	s_waitcnt vmcnt(29)
	v_fma_f64 v[71:72], v[3:4], v[103:104], -v[71:72]
	;; [unrolled: 9-line block ×7, first 2 shown]
	v_mul_f64 v[69:70], v[3:4], v[123:124]
	v_fma_f64 v[61:62], v[61:62], v[117:118], v[73:74]
	v_add_f64 v[67:68], v[67:68], v[81:82]
	v_add_f64 v[7:8], v[7:8], v[63:64]
	s_waitcnt vmcnt(7) lgkmcnt(0)
	v_mul_f64 v[73:74], v[57:58], v[125:126]
	v_mul_f64 v[63:64], v[55:56], v[125:126]
	s_waitcnt vmcnt(5)
	v_fma_f64 v[3:4], v[3:4], v[65:66], -v[71:72]
	v_fma_f64 v[5:6], v[5:6], v[65:66], v[69:70]
	v_add_f64 v[59:60], v[67:68], v[59:60]
	v_add_f64 v[7:8], v[7:8], v[61:62]
	s_waitcnt vmcnt(4)
	v_fma_f64 v[55:56], v[55:56], v[127:128], -v[73:74]
	v_fma_f64 v[57:58], v[57:58], v[127:128], v[63:64]
	v_add_f64 v[3:4], v[59:60], v[3:4]
	v_add_f64 v[5:6], v[7:8], v[5:6]
	;; [unrolled: 1-line block ×4, first 2 shown]
	s_waitcnt vmcnt(2)
	v_add_f64 v[3:4], v[77:78], -v[3:4]
	s_waitcnt vmcnt(0)
	v_add_f64 v[5:6], v[79:80], -v[5:6]
	buffer_store_dword v4, off, s[0:3], 0 offset:100
	buffer_store_dword v3, off, s[0:3], 0 offset:96
	;; [unrolled: 1-line block ×4, first 2 shown]
	v_cmpx_lt_u32_e32 4, v0
	s_cbranch_execz .LBB22_143
; %bb.142:
	v_mov_b32_e32 v6, s30
	s_clause 0x3
	buffer_load_dword v3, v6, s[0:3], 0 offen
	buffer_load_dword v4, v6, s[0:3], 0 offen offset:4
	buffer_load_dword v5, v6, s[0:3], 0 offen offset:8
	;; [unrolled: 1-line block ×3, first 2 shown]
	buffer_store_dword v2, off, s[0:3], 0 offset:80
	buffer_store_dword v2, off, s[0:3], 0 offset:84
	;; [unrolled: 1-line block ×4, first 2 shown]
	s_waitcnt vmcnt(0)
	ds_write_b128 v1, v[3:6]
.LBB22_143:
	s_or_b32 exec_lo, exec_lo, s4
	s_waitcnt lgkmcnt(0)
	s_waitcnt_vscnt null, 0x0
	s_barrier
	buffer_gl0_inv
	s_clause 0x37
	buffer_load_dword v7, off, s[0:3], 0 offset:104
	buffer_load_dword v8, off, s[0:3], 0 offset:108
	;; [unrolled: 1-line block ×56, first 2 shown]
	ds_read_b128 v[3:6], v2 offset:448
	s_clause 0x2
	buffer_load_dword v116, off, s[0:3], 0 offset:332
	buffer_load_dword v120, off, s[0:3], 0 offset:308
	;; [unrolled: 1-line block ×3, first 2 shown]
	ds_read_b128 v[55:58], v2 offset:464
	s_clause 0x4
	buffer_load_dword v124, off, s[0:3], 0 offset:348
	buffer_load_dword v125, off, s[0:3], 0 offset:360
	;; [unrolled: 1-line block ×5, first 2 shown]
	ds_read_b128 v[59:62], v2 offset:480
	s_mov_b32 s4, exec_lo
	s_waitcnt vmcnt(62) lgkmcnt(2)
	v_mul_f64 v[121:122], v[5:6], v[7:8]
	v_mul_f64 v[7:8], v[3:4], v[7:8]
	s_waitcnt vmcnt(60) lgkmcnt(1)
	v_mul_f64 v[128:129], v[57:58], v[63:64]
	v_mul_f64 v[63:64], v[55:56], v[63:64]
	;; [unrolled: 3-line block ×3, first 2 shown]
	v_fma_f64 v[121:122], v[3:4], v[65:66], -v[121:122]
	v_fma_f64 v[7:8], v[5:6], v[65:66], v[7:8]
	s_clause 0x2
	buffer_load_dword v126, off, s[0:3], 0 offset:364
	buffer_load_dword v66, off, s[0:3], 0 offset:340
	;; [unrolled: 1-line block ×3, first 2 shown]
	s_waitcnt vmcnt(57)
	v_fma_f64 v[132:133], v[55:56], v[69:70], -v[128:129]
	ds_read_b128 v[3:6], v2 offset:496
	v_fma_f64 v[63:64], v[57:58], v[69:70], v[63:64]
	s_clause 0x2
	buffer_load_dword v70, off, s[0:3], 0 offset:380
	buffer_load_dword v69, off, s[0:3], 0 offset:376
	;; [unrolled: 1-line block ×3, first 2 shown]
	s_waitcnt vmcnt(54)
	v_fma_f64 v[67:68], v[59:60], v[77:78], -v[67:68]
	ds_read_b128 v[55:58], v2 offset:512
	v_fma_f64 v[77:78], v[61:62], v[77:78], v[130:131]
	v_add_f64 v[121:122], v[121:122], 0
	v_add_f64 v[7:8], v[7:8], 0
	s_waitcnt lgkmcnt(1)
	v_mul_f64 v[134:135], v[3:4], v[71:72]
	v_mul_f64 v[71:72], v[5:6], v[71:72]
	s_waitcnt vmcnt(53) lgkmcnt(0)
	v_mul_f64 v[129:130], v[55:56], v[73:74]
	v_mul_f64 v[73:74], v[57:58], v[73:74]
	v_add_f64 v[121:122], v[121:122], v[132:133]
	v_add_f64 v[7:8], v[7:8], v[63:64]
	s_clause 0x1
	buffer_load_dword v64, off, s[0:3], 0 offset:372
	buffer_load_dword v63, off, s[0:3], 0 offset:368
	s_waitcnt vmcnt(53)
	v_fma_f64 v[71:72], v[3:4], v[79:80], -v[71:72]
	ds_read_b128 v[59:62], v2 offset:528
	v_fma_f64 v[79:80], v[5:6], v[79:80], v[134:135]
	ds_read_b128 v[3:6], v2 offset:544
	s_waitcnt vmcnt(48)
	v_fma_f64 v[73:74], v[55:56], v[75:76], -v[73:74]
	v_add_f64 v[67:68], v[121:122], v[67:68]
	v_add_f64 v[7:8], v[7:8], v[77:78]
	s_waitcnt lgkmcnt(1)
	v_mul_f64 v[77:78], v[59:60], v[81:82]
	v_mul_f64 v[81:82], v[61:62], v[81:82]
	s_waitcnt vmcnt(47) lgkmcnt(0)
	v_mul_f64 v[121:122], v[3:4], v[83:84]
	v_mul_f64 v[83:84], v[5:6], v[83:84]
	v_add_f64 v[67:68], v[67:68], v[71:72]
	v_fma_f64 v[71:72], v[57:58], v[75:76], v[129:130]
	v_add_f64 v[7:8], v[7:8], v[79:80]
	s_clause 0x3
	buffer_load_dword v75, off, s[0:3], 0 offset:80
	buffer_load_dword v76, off, s[0:3], 0 offset:84
	;; [unrolled: 1-line block ×4, first 2 shown]
	s_waitcnt vmcnt(49)
	v_fma_f64 v[81:82], v[59:60], v[87:88], -v[81:82]
	ds_read_b128 v[55:58], v2 offset:560
	s_waitcnt vmcnt(44)
	v_fma_f64 v[83:84], v[3:4], v[85:86], -v[83:84]
	v_add_f64 v[67:68], v[67:68], v[73:74]
	v_fma_f64 v[73:74], v[61:62], v[87:88], v[77:78]
	v_add_f64 v[7:8], v[7:8], v[71:72]
	ds_read_b128 v[59:62], v2 offset:576
	s_waitcnt lgkmcnt(1)
	v_mul_f64 v[77:78], v[57:58], v[89:90]
	v_mul_f64 v[71:72], v[55:56], v[89:90]
	v_add_f64 v[67:68], v[67:68], v[81:82]
	v_fma_f64 v[81:82], v[5:6], v[85:86], v[121:122]
	v_add_f64 v[7:8], v[7:8], v[73:74]
	s_waitcnt vmcnt(43) lgkmcnt(0)
	v_mul_f64 v[85:86], v[61:62], v[91:92]
	s_waitcnt vmcnt(41)
	v_fma_f64 v[77:78], v[55:56], v[95:96], -v[77:78]
	ds_read_b128 v[3:6], v2 offset:592
	v_mul_f64 v[73:74], v[59:60], v[91:92]
	v_fma_f64 v[71:72], v[57:58], v[95:96], v[71:72]
	ds_read_b128 v[55:58], v2 offset:608
	v_add_f64 v[67:68], v[67:68], v[83:84]
	v_add_f64 v[7:8], v[7:8], v[81:82]
	s_waitcnt vmcnt(37) lgkmcnt(1)
	v_mul_f64 v[83:84], v[5:6], v[97:98]
	s_waitcnt vmcnt(36)
	v_fma_f64 v[85:86], v[59:60], v[93:94], -v[85:86]
	v_mul_f64 v[81:82], v[3:4], v[97:98]
	v_fma_f64 v[73:74], v[61:62], v[93:94], v[73:74]
	ds_read_b128 v[59:62], v2 offset:624
	v_add_f64 v[67:68], v[67:68], v[77:78]
	s_waitcnt vmcnt(35) lgkmcnt(1)
	v_mul_f64 v[77:78], v[57:58], v[99:100]
	v_add_f64 v[7:8], v[7:8], v[71:72]
	s_waitcnt vmcnt(33)
	v_fma_f64 v[83:84], v[3:4], v[103:104], -v[83:84]
	v_mul_f64 v[71:72], v[55:56], v[99:100]
	v_fma_f64 v[81:82], v[5:6], v[103:104], v[81:82]
	ds_read_b128 v[3:6], v2 offset:640
	v_add_f64 v[67:68], v[67:68], v[85:86]
	s_waitcnt vmcnt(29) lgkmcnt(1)
	v_mul_f64 v[85:86], v[61:62], v[105:106]
	v_add_f64 v[7:8], v[7:8], v[73:74]
	;; [unrolled: 9-line block ×6, first 2 shown]
	s_waitcnt vmcnt(12)
	v_fma_f64 v[85:86], v[59:60], v[117:118], -v[85:86]
	v_mul_f64 v[81:82], v[3:4], v[123:124]
	v_fma_f64 v[73:74], v[61:62], v[117:118], v[73:74]
	ds_read_b128 v[59:62], v2 offset:720
	v_add_f64 v[67:68], v[67:68], v[77:78]
	v_add_f64 v[7:8], v[7:8], v[71:72]
	s_waitcnt vmcnt(11) lgkmcnt(1)
	v_mul_f64 v[77:78], v[57:58], v[125:126]
	v_mul_f64 v[71:72], v[55:56], v[125:126]
	s_waitcnt vmcnt(9)
	v_fma_f64 v[2:3], v[3:4], v[65:66], -v[83:84]
	v_fma_f64 v[4:5], v[5:6], v[65:66], v[81:82]
	s_waitcnt vmcnt(7) lgkmcnt(0)
	v_mul_f64 v[65:66], v[59:60], v[69:70]
	v_mul_f64 v[69:70], v[61:62], v[69:70]
	v_add_f64 v[67:68], v[67:68], v[85:86]
	v_add_f64 v[6:7], v[7:8], v[73:74]
	s_waitcnt vmcnt(6)
	v_fma_f64 v[55:56], v[55:56], v[127:128], -v[77:78]
	v_fma_f64 v[57:58], v[57:58], v[127:128], v[71:72]
	v_add_f64 v[2:3], v[67:68], v[2:3]
	v_add_f64 v[4:5], v[6:7], v[4:5]
	s_waitcnt vmcnt(4)
	v_fma_f64 v[6:7], v[59:60], v[63:64], -v[69:70]
	v_add_f64 v[2:3], v[2:3], v[55:56]
	v_fma_f64 v[55:56], v[61:62], v[63:64], v[65:66]
	v_add_f64 v[4:5], v[4:5], v[57:58]
	v_add_f64 v[2:3], v[2:3], v[6:7]
	;; [unrolled: 1-line block ×3, first 2 shown]
	s_waitcnt vmcnt(2)
	v_add_f64 v[2:3], v[75:76], -v[2:3]
	s_waitcnt vmcnt(0)
	v_add_f64 v[4:5], v[79:80], -v[4:5]
	buffer_store_dword v3, off, s[0:3], 0 offset:84
	buffer_store_dword v2, off, s[0:3], 0 offset:80
	;; [unrolled: 1-line block ×4, first 2 shown]
	v_cmpx_lt_u32_e32 3, v0
	s_cbranch_execz .LBB22_145
; %bb.144:
	v_mov_b32_e32 v5, s31
	v_mov_b32_e32 v6, 0
	s_clause 0x3
	buffer_load_dword v2, v5, s[0:3], 0 offen
	buffer_load_dword v3, v5, s[0:3], 0 offen offset:4
	buffer_load_dword v4, v5, s[0:3], 0 offen offset:8
	;; [unrolled: 1-line block ×3, first 2 shown]
	buffer_store_dword v6, off, s[0:3], 0 offset:64
	buffer_store_dword v6, off, s[0:3], 0 offset:68
	;; [unrolled: 1-line block ×4, first 2 shown]
	s_waitcnt vmcnt(0)
	ds_write_b128 v1, v[2:5]
.LBB22_145:
	s_or_b32 exec_lo, exec_lo, s4
	s_waitcnt lgkmcnt(0)
	s_waitcnt_vscnt null, 0x0
	s_barrier
	buffer_gl0_inv
	s_clause 0x37
	buffer_load_dword v7, off, s[0:3], 0 offset:88
	buffer_load_dword v8, off, s[0:3], 0 offset:92
	;; [unrolled: 1-line block ×56, first 2 shown]
	v_mov_b32_e32 v2, 0
	s_mov_b32 s4, exec_lo
	ds_read_b128 v[3:6], v2 offset:432
	s_clause 0x2
	buffer_load_dword v116, off, s[0:3], 0 offset:316
	buffer_load_dword v120, off, s[0:3], 0 offset:292
	;; [unrolled: 1-line block ×3, first 2 shown]
	ds_read_b128 v[55:58], v2 offset:448
	s_clause 0x4
	buffer_load_dword v124, off, s[0:3], 0 offset:332
	buffer_load_dword v125, off, s[0:3], 0 offset:344
	;; [unrolled: 1-line block ×5, first 2 shown]
	ds_read_b128 v[59:62], v2 offset:464
	s_waitcnt vmcnt(62) lgkmcnt(2)
	v_mul_f64 v[121:122], v[5:6], v[7:8]
	v_mul_f64 v[7:8], v[3:4], v[7:8]
	s_waitcnt vmcnt(60) lgkmcnt(1)
	v_mul_f64 v[128:129], v[57:58], v[63:64]
	v_mul_f64 v[63:64], v[55:56], v[63:64]
	;; [unrolled: 3-line block ×3, first 2 shown]
	v_fma_f64 v[121:122], v[3:4], v[65:66], -v[121:122]
	v_fma_f64 v[7:8], v[5:6], v[65:66], v[7:8]
	s_clause 0x2
	buffer_load_dword v126, off, s[0:3], 0 offset:348
	buffer_load_dword v66, off, s[0:3], 0 offset:324
	;; [unrolled: 1-line block ×3, first 2 shown]
	s_waitcnt vmcnt(57)
	v_fma_f64 v[132:133], v[55:56], v[69:70], -v[128:129]
	ds_read_b128 v[3:6], v2 offset:480
	v_fma_f64 v[63:64], v[57:58], v[69:70], v[63:64]
	s_clause 0x4
	buffer_load_dword v70, off, s[0:3], 0 offset:364
	buffer_load_dword v129, off, s[0:3], 0 offset:376
	buffer_load_dword v134, off, s[0:3], 0 offset:368
	buffer_load_dword v69, off, s[0:3], 0 offset:360
	buffer_load_dword v128, off, s[0:3], 0 offset:340
	s_waitcnt vmcnt(56)
	v_fma_f64 v[67:68], v[59:60], v[77:78], -v[67:68]
	ds_read_b128 v[55:58], v2 offset:496
	v_fma_f64 v[77:78], v[61:62], v[77:78], v[130:131]
	v_add_f64 v[121:122], v[121:122], 0
	v_add_f64 v[7:8], v[7:8], 0
	s_waitcnt lgkmcnt(1)
	v_mul_f64 v[135:136], v[3:4], v[71:72]
	v_mul_f64 v[71:72], v[5:6], v[71:72]
	v_add_f64 v[121:122], v[121:122], v[132:133]
	v_add_f64 v[7:8], v[7:8], v[63:64]
	s_clause 0x2
	buffer_load_dword v130, off, s[0:3], 0 offset:380
	buffer_load_dword v64, off, s[0:3], 0 offset:356
	;; [unrolled: 1-line block ×3, first 2 shown]
	s_waitcnt vmcnt(58) lgkmcnt(0)
	v_mul_f64 v[131:132], v[55:56], v[73:74]
	v_mul_f64 v[73:74], v[57:58], v[73:74]
	s_waitcnt vmcnt(56)
	v_fma_f64 v[71:72], v[3:4], v[79:80], -v[71:72]
	ds_read_b128 v[59:62], v2 offset:512
	v_fma_f64 v[79:80], v[5:6], v[79:80], v[135:136]
	buffer_load_dword v135, off, s[0:3], 0 offset:372
	ds_read_b128 v[3:6], v2 offset:528
	v_add_f64 v[67:68], v[121:122], v[67:68]
	v_add_f64 v[7:8], v[7:8], v[77:78]
	s_waitcnt vmcnt(53) lgkmcnt(1)
	v_mul_f64 v[77:78], v[59:60], v[81:82]
	v_mul_f64 v[81:82], v[61:62], v[81:82]
	s_waitcnt vmcnt(52)
	v_fma_f64 v[73:74], v[55:56], v[75:76], -v[73:74]
	v_add_f64 v[67:68], v[67:68], v[71:72]
	v_fma_f64 v[71:72], v[57:58], v[75:76], v[131:132]
	v_add_f64 v[7:8], v[7:8], v[79:80]
	s_waitcnt vmcnt(51) lgkmcnt(0)
	v_mul_f64 v[79:80], v[5:6], v[83:84]
	ds_read_b128 v[55:58], v2 offset:544
	s_waitcnt vmcnt(49)
	v_fma_f64 v[81:82], v[59:60], v[87:88], -v[81:82]
	v_mul_f64 v[75:76], v[3:4], v[83:84]
	v_add_f64 v[67:68], v[67:68], v[73:74]
	v_fma_f64 v[73:74], v[61:62], v[87:88], v[77:78]
	v_add_f64 v[7:8], v[7:8], v[71:72]
	s_clause 0x3
	buffer_load_dword v71, off, s[0:3], 0 offset:64
	buffer_load_dword v72, off, s[0:3], 0 offset:68
	;; [unrolled: 1-line block ×4, first 2 shown]
	s_waitcnt vmcnt(49) lgkmcnt(0)
	v_mul_f64 v[87:88], v[57:58], v[89:90]
	s_waitcnt vmcnt(48)
	v_fma_f64 v[79:80], v[3:4], v[85:86], -v[79:80]
	ds_read_b128 v[59:62], v2 offset:560
	v_mul_f64 v[83:84], v[55:56], v[89:90]
	v_fma_f64 v[75:76], v[5:6], v[85:86], v[75:76]
	ds_read_b128 v[3:6], v2 offset:576
	v_add_f64 v[67:68], v[67:68], v[81:82]
	v_add_f64 v[7:8], v[7:8], v[73:74]
	s_waitcnt vmcnt(47) lgkmcnt(1)
	v_mul_f64 v[81:82], v[61:62], v[91:92]
	s_waitcnt vmcnt(45)
	v_fma_f64 v[85:86], v[55:56], v[95:96], -v[87:88]
	v_mul_f64 v[73:74], v[59:60], v[91:92]
	v_add_f64 v[67:68], v[67:68], v[79:80]
	v_fma_f64 v[79:80], v[57:58], v[95:96], v[83:84]
	v_add_f64 v[7:8], v[7:8], v[75:76]
	s_waitcnt vmcnt(41) lgkmcnt(0)
	v_mul_f64 v[83:84], v[5:6], v[97:98]
	s_waitcnt vmcnt(40)
	v_fma_f64 v[81:82], v[59:60], v[93:94], -v[81:82]
	ds_read_b128 v[55:58], v2 offset:592
	v_mul_f64 v[75:76], v[3:4], v[97:98]
	v_fma_f64 v[73:74], v[61:62], v[93:94], v[73:74]
	ds_read_b128 v[59:62], v2 offset:608
	v_add_f64 v[67:68], v[67:68], v[85:86]
	v_add_f64 v[7:8], v[7:8], v[79:80]
	s_waitcnt vmcnt(39) lgkmcnt(1)
	v_mul_f64 v[85:86], v[57:58], v[99:100]
	s_waitcnt vmcnt(37)
	v_fma_f64 v[83:84], v[3:4], v[103:104], -v[83:84]
	v_mul_f64 v[79:80], v[55:56], v[99:100]
	v_fma_f64 v[75:76], v[5:6], v[103:104], v[75:76]
	ds_read_b128 v[3:6], v2 offset:624
	v_add_f64 v[67:68], v[67:68], v[81:82]
	s_waitcnt vmcnt(33) lgkmcnt(1)
	v_mul_f64 v[81:82], v[61:62], v[105:106]
	v_add_f64 v[7:8], v[7:8], v[73:74]
	s_waitcnt vmcnt(32)
	v_fma_f64 v[85:86], v[55:56], v[101:102], -v[85:86]
	v_mul_f64 v[73:74], v[59:60], v[105:106]
	v_fma_f64 v[79:80], v[57:58], v[101:102], v[79:80]
	ds_read_b128 v[55:58], v2 offset:640
	v_add_f64 v[67:68], v[67:68], v[83:84]
	s_waitcnt vmcnt(31) lgkmcnt(1)
	v_mul_f64 v[83:84], v[5:6], v[107:108]
	v_add_f64 v[7:8], v[7:8], v[75:76]
	;; [unrolled: 9-line block ×5, first 2 shown]
	s_waitcnt vmcnt(16)
	v_fma_f64 v[81:82], v[59:60], v[117:118], -v[81:82]
	v_mul_f64 v[75:76], v[3:4], v[123:124]
	v_fma_f64 v[73:74], v[61:62], v[117:118], v[73:74]
	ds_read_b128 v[59:62], v2 offset:704
	v_add_f64 v[67:68], v[67:68], v[85:86]
	v_add_f64 v[7:8], v[7:8], v[79:80]
	s_waitcnt vmcnt(15) lgkmcnt(1)
	v_mul_f64 v[85:86], v[57:58], v[125:126]
	v_mul_f64 v[79:80], v[55:56], v[125:126]
	s_waitcnt vmcnt(13)
	v_fma_f64 v[83:84], v[3:4], v[65:66], -v[83:84]
	v_fma_f64 v[65:66], v[5:6], v[65:66], v[75:76]
	ds_read_b128 v[3:6], v2 offset:720
	v_add_f64 v[67:68], v[67:68], v[81:82]
	v_add_f64 v[7:8], v[7:8], v[73:74]
	s_waitcnt vmcnt(9) lgkmcnt(1)
	v_mul_f64 v[73:74], v[59:60], v[69:70]
	v_mul_f64 v[69:70], v[61:62], v[69:70]
	s_waitcnt vmcnt(8)
	v_fma_f64 v[55:56], v[55:56], v[127:128], -v[85:86]
	v_fma_f64 v[57:58], v[57:58], v[127:128], v[79:80]
	v_add_f64 v[67:68], v[67:68], v[83:84]
	v_add_f64 v[7:8], v[7:8], v[65:66]
	s_waitcnt vmcnt(7) lgkmcnt(0)
	v_mul_f64 v[75:76], v[5:6], v[129:130]
	v_mul_f64 v[65:66], v[3:4], v[129:130]
	s_waitcnt vmcnt(5)
	v_fma_f64 v[59:60], v[59:60], v[63:64], -v[69:70]
	v_fma_f64 v[61:62], v[61:62], v[63:64], v[73:74]
	v_add_f64 v[55:56], v[67:68], v[55:56]
	v_add_f64 v[7:8], v[7:8], v[57:58]
	s_waitcnt vmcnt(4)
	v_fma_f64 v[3:4], v[3:4], v[134:135], -v[75:76]
	v_fma_f64 v[5:6], v[5:6], v[134:135], v[65:66]
	v_add_f64 v[55:56], v[55:56], v[59:60]
	v_add_f64 v[7:8], v[7:8], v[61:62]
	;; [unrolled: 1-line block ×4, first 2 shown]
	s_waitcnt vmcnt(2)
	v_add_f64 v[3:4], v[71:72], -v[3:4]
	s_waitcnt vmcnt(0)
	v_add_f64 v[5:6], v[77:78], -v[5:6]
	buffer_store_dword v4, off, s[0:3], 0 offset:68
	buffer_store_dword v3, off, s[0:3], 0 offset:64
	;; [unrolled: 1-line block ×4, first 2 shown]
	v_cmpx_lt_u32_e32 2, v0
	s_cbranch_execz .LBB22_147
; %bb.146:
	v_mov_b32_e32 v6, s33
	s_clause 0x3
	buffer_load_dword v3, v6, s[0:3], 0 offen
	buffer_load_dword v4, v6, s[0:3], 0 offen offset:4
	buffer_load_dword v5, v6, s[0:3], 0 offen offset:8
	buffer_load_dword v6, v6, s[0:3], 0 offen offset:12
	buffer_store_dword v2, off, s[0:3], 0 offset:48
	buffer_store_dword v2, off, s[0:3], 0 offset:52
	;; [unrolled: 1-line block ×4, first 2 shown]
	s_waitcnt vmcnt(0)
	ds_write_b128 v1, v[3:6]
.LBB22_147:
	s_or_b32 exec_lo, exec_lo, s4
	s_waitcnt lgkmcnt(0)
	s_waitcnt_vscnt null, 0x0
	s_barrier
	buffer_gl0_inv
	s_clause 0x37
	buffer_load_dword v7, off, s[0:3], 0 offset:72
	buffer_load_dword v8, off, s[0:3], 0 offset:76
	;; [unrolled: 1-line block ×56, first 2 shown]
	ds_read_b128 v[3:6], v2 offset:416
	s_clause 0x2
	buffer_load_dword v116, off, s[0:3], 0 offset:300
	buffer_load_dword v120, off, s[0:3], 0 offset:276
	;; [unrolled: 1-line block ×3, first 2 shown]
	ds_read_b128 v[55:58], v2 offset:432
	s_clause 0x4
	buffer_load_dword v124, off, s[0:3], 0 offset:316
	buffer_load_dword v125, off, s[0:3], 0 offset:328
	buffer_load_dword v127, off, s[0:3], 0 offset:320
	buffer_load_dword v123, off, s[0:3], 0 offset:312
	buffer_load_dword v118, off, s[0:3], 0 offset:292
	ds_read_b128 v[59:62], v2 offset:448
	s_mov_b32 s4, exec_lo
	s_waitcnt vmcnt(62) lgkmcnt(2)
	v_mul_f64 v[121:122], v[5:6], v[7:8]
	v_mul_f64 v[7:8], v[3:4], v[7:8]
	s_waitcnt vmcnt(60) lgkmcnt(1)
	v_mul_f64 v[128:129], v[57:58], v[63:64]
	v_mul_f64 v[63:64], v[55:56], v[63:64]
	;; [unrolled: 3-line block ×3, first 2 shown]
	v_fma_f64 v[121:122], v[3:4], v[65:66], -v[121:122]
	v_fma_f64 v[7:8], v[5:6], v[65:66], v[7:8]
	s_clause 0x2
	buffer_load_dword v126, off, s[0:3], 0 offset:332
	buffer_load_dword v66, off, s[0:3], 0 offset:308
	;; [unrolled: 1-line block ×3, first 2 shown]
	s_waitcnt vmcnt(57)
	v_fma_f64 v[132:133], v[55:56], v[69:70], -v[128:129]
	ds_read_b128 v[3:6], v2 offset:464
	v_fma_f64 v[63:64], v[57:58], v[69:70], v[63:64]
	s_clause 0x4
	buffer_load_dword v70, off, s[0:3], 0 offset:348
	buffer_load_dword v129, off, s[0:3], 0 offset:360
	;; [unrolled: 1-line block ×5, first 2 shown]
	s_waitcnt vmcnt(56)
	v_fma_f64 v[67:68], v[59:60], v[77:78], -v[67:68]
	ds_read_b128 v[55:58], v2 offset:480
	v_fma_f64 v[77:78], v[61:62], v[77:78], v[130:131]
	v_add_f64 v[121:122], v[121:122], 0
	v_add_f64 v[7:8], v[7:8], 0
	s_waitcnt lgkmcnt(1)
	v_mul_f64 v[135:136], v[3:4], v[71:72]
	v_mul_f64 v[71:72], v[5:6], v[71:72]
	v_add_f64 v[121:122], v[121:122], v[132:133]
	v_add_f64 v[7:8], v[7:8], v[63:64]
	s_clause 0x2
	buffer_load_dword v130, off, s[0:3], 0 offset:364
	buffer_load_dword v64, off, s[0:3], 0 offset:340
	;; [unrolled: 1-line block ×3, first 2 shown]
	s_waitcnt vmcnt(58) lgkmcnt(0)
	v_mul_f64 v[131:132], v[55:56], v[73:74]
	v_mul_f64 v[73:74], v[57:58], v[73:74]
	s_waitcnt vmcnt(56)
	v_fma_f64 v[71:72], v[3:4], v[79:80], -v[71:72]
	ds_read_b128 v[59:62], v2 offset:496
	v_fma_f64 v[79:80], v[5:6], v[79:80], v[135:136]
	v_add_f64 v[67:68], v[121:122], v[67:68]
	v_add_f64 v[7:8], v[7:8], v[77:78]
	s_clause 0x2
	buffer_load_dword v78, off, s[0:3], 0 offset:380
	buffer_load_dword v77, off, s[0:3], 0 offset:376
	;; [unrolled: 1-line block ×3, first 2 shown]
	ds_read_b128 v[3:6], v2 offset:512
	s_waitcnt vmcnt(55) lgkmcnt(1)
	v_mul_f64 v[121:122], v[59:60], v[81:82]
	v_mul_f64 v[81:82], v[61:62], v[81:82]
	s_waitcnt vmcnt(54)
	v_fma_f64 v[73:74], v[55:56], v[75:76], -v[73:74]
	v_add_f64 v[67:68], v[67:68], v[71:72]
	v_fma_f64 v[71:72], v[57:58], v[75:76], v[131:132]
	v_add_f64 v[7:8], v[7:8], v[79:80]
	s_clause 0x1
	buffer_load_dword v76, off, s[0:3], 0 offset:372
	buffer_load_dword v75, off, s[0:3], 0 offset:368
	s_waitcnt vmcnt(55) lgkmcnt(0)
	v_mul_f64 v[79:80], v[3:4], v[83:84]
	v_mul_f64 v[83:84], v[5:6], v[83:84]
	s_waitcnt vmcnt(53)
	v_fma_f64 v[81:82], v[59:60], v[87:88], -v[81:82]
	ds_read_b128 v[55:58], v2 offset:528
	v_add_f64 v[67:68], v[67:68], v[73:74]
	v_fma_f64 v[73:74], v[61:62], v[87:88], v[121:122]
	v_add_f64 v[7:8], v[7:8], v[71:72]
	ds_read_b128 v[59:62], v2 offset:544
	s_waitcnt vmcnt(48)
	v_fma_f64 v[79:80], v[5:6], v[85:86], v[79:80]
	s_waitcnt lgkmcnt(1)
	v_mul_f64 v[87:88], v[57:58], v[89:90]
	v_fma_f64 v[83:84], v[3:4], v[85:86], -v[83:84]
	v_mul_f64 v[71:72], v[55:56], v[89:90]
	v_add_f64 v[67:68], v[67:68], v[81:82]
	s_waitcnt vmcnt(47) lgkmcnt(0)
	v_mul_f64 v[89:90], v[61:62], v[91:92]
	v_add_f64 v[7:8], v[7:8], v[73:74]
	s_clause 0x3
	buffer_load_dword v73, off, s[0:3], 0 offset:48
	buffer_load_dword v74, off, s[0:3], 0 offset:52
	;; [unrolled: 1-line block ×4, first 2 shown]
	ds_read_b128 v[3:6], v2 offset:560
	s_waitcnt vmcnt(49)
	v_fma_f64 v[87:88], v[55:56], v[95:96], -v[87:88]
	v_mul_f64 v[85:86], v[59:60], v[91:92]
	v_fma_f64 v[71:72], v[57:58], v[95:96], v[71:72]
	ds_read_b128 v[55:58], v2 offset:576
	v_add_f64 v[67:68], v[67:68], v[83:84]
	s_waitcnt vmcnt(44)
	v_fma_f64 v[89:90], v[59:60], v[93:94], -v[89:90]
	v_add_f64 v[7:8], v[7:8], v[79:80]
	s_waitcnt lgkmcnt(1)
	v_mul_f64 v[83:84], v[5:6], v[97:98]
	v_mul_f64 v[79:80], v[3:4], v[97:98]
	v_fma_f64 v[85:86], v[61:62], v[93:94], v[85:86]
	ds_read_b128 v[59:62], v2 offset:592
	v_add_f64 v[67:68], v[67:68], v[87:88]
	s_waitcnt vmcnt(43) lgkmcnt(1)
	v_mul_f64 v[87:88], v[57:58], v[99:100]
	v_add_f64 v[7:8], v[7:8], v[71:72]
	s_waitcnt vmcnt(41)
	v_fma_f64 v[83:84], v[3:4], v[103:104], -v[83:84]
	v_mul_f64 v[71:72], v[55:56], v[99:100]
	v_fma_f64 v[79:80], v[5:6], v[103:104], v[79:80]
	ds_read_b128 v[3:6], v2 offset:608
	v_add_f64 v[67:68], v[67:68], v[89:90]
	s_waitcnt vmcnt(37) lgkmcnt(1)
	v_mul_f64 v[89:90], v[61:62], v[105:106]
	v_add_f64 v[7:8], v[7:8], v[85:86]
	s_waitcnt vmcnt(36)
	v_fma_f64 v[87:88], v[55:56], v[101:102], -v[87:88]
	;; [unrolled: 9-line block ×6, first 2 shown]
	v_mul_f64 v[79:80], v[3:4], v[123:124]
	v_fma_f64 v[85:86], v[61:62], v[117:118], v[85:86]
	ds_read_b128 v[59:62], v2 offset:688
	v_add_f64 v[67:68], v[67:68], v[87:88]
	v_add_f64 v[7:8], v[7:8], v[71:72]
	s_waitcnt vmcnt(19) lgkmcnt(1)
	v_mul_f64 v[87:88], v[57:58], v[125:126]
	v_mul_f64 v[71:72], v[55:56], v[125:126]
	s_waitcnt vmcnt(17)
	v_fma_f64 v[83:84], v[3:4], v[65:66], -v[83:84]
	v_fma_f64 v[65:66], v[5:6], v[65:66], v[79:80]
	ds_read_b128 v[3:6], v2 offset:704
	s_waitcnt vmcnt(13) lgkmcnt(1)
	v_mul_f64 v[79:80], v[59:60], v[69:70]
	v_mul_f64 v[69:70], v[61:62], v[69:70]
	v_add_f64 v[67:68], v[67:68], v[89:90]
	v_add_f64 v[7:8], v[7:8], v[85:86]
	s_waitcnt vmcnt(12)
	v_fma_f64 v[85:86], v[55:56], v[127:128], -v[87:88]
	v_fma_f64 v[71:72], v[57:58], v[127:128], v[71:72]
	ds_read_b128 v[55:58], v2 offset:720
	v_add_f64 v[67:68], v[67:68], v[83:84]
	v_add_f64 v[7:8], v[7:8], v[65:66]
	s_waitcnt vmcnt(11) lgkmcnt(1)
	v_mul_f64 v[83:84], v[5:6], v[129:130]
	v_mul_f64 v[65:66], v[3:4], v[129:130]
	s_waitcnt vmcnt(9)
	v_fma_f64 v[59:60], v[59:60], v[63:64], -v[69:70]
	v_fma_f64 v[61:62], v[61:62], v[63:64], v[79:80]
	v_add_f64 v[67:68], v[67:68], v[85:86]
	v_add_f64 v[7:8], v[7:8], v[71:72]
	s_waitcnt vmcnt(7) lgkmcnt(0)
	v_mul_f64 v[69:70], v[57:58], v[77:78]
	s_waitcnt vmcnt(6)
	v_fma_f64 v[2:3], v[3:4], v[134:135], -v[83:84]
	v_mul_f64 v[63:64], v[55:56], v[77:78]
	v_fma_f64 v[4:5], v[5:6], v[134:135], v[65:66]
	v_add_f64 v[59:60], v[67:68], v[59:60]
	v_add_f64 v[6:7], v[7:8], v[61:62]
	s_waitcnt vmcnt(4)
	v_fma_f64 v[55:56], v[55:56], v[75:76], -v[69:70]
	v_fma_f64 v[57:58], v[57:58], v[75:76], v[63:64]
	v_add_f64 v[2:3], v[59:60], v[2:3]
	v_add_f64 v[4:5], v[6:7], v[4:5]
	;; [unrolled: 1-line block ×4, first 2 shown]
	s_waitcnt vmcnt(2)
	v_add_f64 v[2:3], v[73:74], -v[2:3]
	s_waitcnt vmcnt(0)
	v_add_f64 v[4:5], v[81:82], -v[4:5]
	buffer_store_dword v3, off, s[0:3], 0 offset:52
	buffer_store_dword v2, off, s[0:3], 0 offset:48
	;; [unrolled: 1-line block ×4, first 2 shown]
	v_cmpx_lt_u32_e32 1, v0
	s_cbranch_execz .LBB22_149
; %bb.148:
	v_mov_b32_e32 v5, s34
	v_mov_b32_e32 v6, 0
	s_clause 0x3
	buffer_load_dword v2, v5, s[0:3], 0 offen
	buffer_load_dword v3, v5, s[0:3], 0 offen offset:4
	buffer_load_dword v4, v5, s[0:3], 0 offen offset:8
	;; [unrolled: 1-line block ×3, first 2 shown]
	buffer_store_dword v6, off, s[0:3], 0 offset:32
	buffer_store_dword v6, off, s[0:3], 0 offset:36
	;; [unrolled: 1-line block ×4, first 2 shown]
	s_waitcnt vmcnt(0)
	ds_write_b128 v1, v[2:5]
.LBB22_149:
	s_or_b32 exec_lo, exec_lo, s4
	s_waitcnt lgkmcnt(0)
	s_waitcnt_vscnt null, 0x0
	s_barrier
	buffer_gl0_inv
	s_clause 0x37
	buffer_load_dword v7, off, s[0:3], 0 offset:56
	buffer_load_dword v8, off, s[0:3], 0 offset:60
	buffer_load_dword v63, off, s[0:3], 0 offset:72
	buffer_load_dword v64, off, s[0:3], 0 offset:76
	buffer_load_dword v65, off, s[0:3], 0 offset:48
	buffer_load_dword v66, off, s[0:3], 0 offset:52
	buffer_load_dword v67, off, s[0:3], 0 offset:88
	buffer_load_dword v68, off, s[0:3], 0 offset:92
	buffer_load_dword v69, off, s[0:3], 0 offset:64
	buffer_load_dword v70, off, s[0:3], 0 offset:68
	buffer_load_dword v72, off, s[0:3], 0 offset:108
	buffer_load_dword v73, off, s[0:3], 0 offset:120
	buffer_load_dword v75, off, s[0:3], 0 offset:112
	buffer_load_dword v71, off, s[0:3], 0 offset:104
	buffer_load_dword v77, off, s[0:3], 0 offset:80
	buffer_load_dword v78, off, s[0:3], 0 offset:84
	buffer_load_dword v74, off, s[0:3], 0 offset:124
	buffer_load_dword v80, off, s[0:3], 0 offset:100
	buffer_load_dword v79, off, s[0:3], 0 offset:96
	buffer_load_dword v82, off, s[0:3], 0 offset:140
	buffer_load_dword v83, off, s[0:3], 0 offset:152
	buffer_load_dword v85, off, s[0:3], 0 offset:144
	buffer_load_dword v81, off, s[0:3], 0 offset:136
	buffer_load_dword v76, off, s[0:3], 0 offset:116
	buffer_load_dword v84, off, s[0:3], 0 offset:156
	buffer_load_dword v88, off, s[0:3], 0 offset:132
	buffer_load_dword v87, off, s[0:3], 0 offset:128
	buffer_load_dword v90, off, s[0:3], 0 offset:172
	buffer_load_dword v91, off, s[0:3], 0 offset:184
	buffer_load_dword v93, off, s[0:3], 0 offset:176
	buffer_load_dword v89, off, s[0:3], 0 offset:168
	buffer_load_dword v86, off, s[0:3], 0 offset:148
	buffer_load_dword v92, off, s[0:3], 0 offset:188
	buffer_load_dword v96, off, s[0:3], 0 offset:164
	buffer_load_dword v95, off, s[0:3], 0 offset:160
	buffer_load_dword v98, off, s[0:3], 0 offset:204
	buffer_load_dword v99, off, s[0:3], 0 offset:216
	buffer_load_dword v101, off, s[0:3], 0 offset:208
	buffer_load_dword v97, off, s[0:3], 0 offset:200
	buffer_load_dword v94, off, s[0:3], 0 offset:180
	buffer_load_dword v100, off, s[0:3], 0 offset:220
	buffer_load_dword v104, off, s[0:3], 0 offset:196
	buffer_load_dword v103, off, s[0:3], 0 offset:192
	buffer_load_dword v106, off, s[0:3], 0 offset:236
	buffer_load_dword v107, off, s[0:3], 0 offset:248
	buffer_load_dword v109, off, s[0:3], 0 offset:240
	buffer_load_dword v105, off, s[0:3], 0 offset:232
	buffer_load_dword v102, off, s[0:3], 0 offset:212
	buffer_load_dword v108, off, s[0:3], 0 offset:252
	buffer_load_dword v112, off, s[0:3], 0 offset:228
	buffer_load_dword v111, off, s[0:3], 0 offset:224
	buffer_load_dword v114, off, s[0:3], 0 offset:268
	buffer_load_dword v115, off, s[0:3], 0 offset:280
	buffer_load_dword v117, off, s[0:3], 0 offset:272
	buffer_load_dword v113, off, s[0:3], 0 offset:264
	buffer_load_dword v110, off, s[0:3], 0 offset:244
	v_mov_b32_e32 v2, 0
	s_mov_b32 s4, exec_lo
	ds_read_b128 v[3:6], v2 offset:400
	s_clause 0x2
	buffer_load_dword v116, off, s[0:3], 0 offset:284
	buffer_load_dword v120, off, s[0:3], 0 offset:260
	;; [unrolled: 1-line block ×3, first 2 shown]
	ds_read_b128 v[55:58], v2 offset:416
	s_clause 0x4
	buffer_load_dword v124, off, s[0:3], 0 offset:300
	buffer_load_dword v125, off, s[0:3], 0 offset:312
	;; [unrolled: 1-line block ×5, first 2 shown]
	ds_read_b128 v[59:62], v2 offset:432
	s_waitcnt vmcnt(62) lgkmcnt(2)
	v_mul_f64 v[121:122], v[5:6], v[7:8]
	v_mul_f64 v[7:8], v[3:4], v[7:8]
	s_waitcnt vmcnt(60) lgkmcnt(1)
	v_mul_f64 v[128:129], v[57:58], v[63:64]
	v_mul_f64 v[63:64], v[55:56], v[63:64]
	;; [unrolled: 3-line block ×3, first 2 shown]
	v_fma_f64 v[121:122], v[3:4], v[65:66], -v[121:122]
	v_fma_f64 v[7:8], v[5:6], v[65:66], v[7:8]
	s_clause 0x2
	buffer_load_dword v126, off, s[0:3], 0 offset:316
	buffer_load_dword v66, off, s[0:3], 0 offset:292
	;; [unrolled: 1-line block ×3, first 2 shown]
	s_waitcnt vmcnt(57)
	v_fma_f64 v[132:133], v[55:56], v[69:70], -v[128:129]
	ds_read_b128 v[3:6], v2 offset:448
	v_fma_f64 v[63:64], v[57:58], v[69:70], v[63:64]
	s_clause 0x4
	buffer_load_dword v70, off, s[0:3], 0 offset:332
	buffer_load_dword v129, off, s[0:3], 0 offset:344
	buffer_load_dword v134, off, s[0:3], 0 offset:336
	buffer_load_dword v69, off, s[0:3], 0 offset:328
	buffer_load_dword v128, off, s[0:3], 0 offset:308
	s_waitcnt vmcnt(56)
	v_fma_f64 v[67:68], v[59:60], v[77:78], -v[67:68]
	ds_read_b128 v[55:58], v2 offset:464
	v_fma_f64 v[77:78], v[61:62], v[77:78], v[130:131]
	v_add_f64 v[121:122], v[121:122], 0
	v_add_f64 v[7:8], v[7:8], 0
	s_waitcnt lgkmcnt(1)
	v_mul_f64 v[135:136], v[3:4], v[71:72]
	v_mul_f64 v[71:72], v[5:6], v[71:72]
	v_add_f64 v[121:122], v[121:122], v[132:133]
	v_add_f64 v[7:8], v[7:8], v[63:64]
	s_clause 0x2
	buffer_load_dword v130, off, s[0:3], 0 offset:348
	buffer_load_dword v64, off, s[0:3], 0 offset:324
	;; [unrolled: 1-line block ×3, first 2 shown]
	s_waitcnt vmcnt(58) lgkmcnt(0)
	v_mul_f64 v[131:132], v[55:56], v[73:74]
	v_mul_f64 v[73:74], v[57:58], v[73:74]
	s_waitcnt vmcnt(56)
	v_fma_f64 v[71:72], v[3:4], v[79:80], -v[71:72]
	ds_read_b128 v[59:62], v2 offset:480
	v_fma_f64 v[79:80], v[5:6], v[79:80], v[135:136]
	v_add_f64 v[67:68], v[121:122], v[67:68]
	v_add_f64 v[7:8], v[7:8], v[77:78]
	s_clause 0x4
	buffer_load_dword v78, off, s[0:3], 0 offset:364
	buffer_load_dword v121, off, s[0:3], 0 offset:376
	;; [unrolled: 1-line block ×5, first 2 shown]
	ds_read_b128 v[3:6], v2 offset:496
	s_waitcnt vmcnt(57) lgkmcnt(1)
	v_mul_f64 v[137:138], v[59:60], v[81:82]
	v_mul_f64 v[81:82], v[61:62], v[81:82]
	s_waitcnt vmcnt(56)
	v_fma_f64 v[73:74], v[55:56], v[75:76], -v[73:74]
	v_add_f64 v[67:68], v[67:68], v[71:72]
	v_fma_f64 v[71:72], v[57:58], v[75:76], v[131:132]
	v_add_f64 v[7:8], v[7:8], v[79:80]
	s_clause 0x2
	buffer_load_dword v122, off, s[0:3], 0 offset:380
	buffer_load_dword v76, off, s[0:3], 0 offset:356
	;; [unrolled: 1-line block ×3, first 2 shown]
	s_waitcnt vmcnt(58) lgkmcnt(0)
	v_mul_f64 v[79:80], v[3:4], v[83:84]
	v_mul_f64 v[83:84], v[5:6], v[83:84]
	s_waitcnt vmcnt(56)
	v_fma_f64 v[81:82], v[59:60], v[87:88], -v[81:82]
	ds_read_b128 v[55:58], v2 offset:512
	v_add_f64 v[67:68], v[67:68], v[73:74]
	v_fma_f64 v[73:74], v[61:62], v[87:88], v[137:138]
	v_add_f64 v[7:8], v[7:8], v[71:72]
	buffer_load_dword v137, off, s[0:3], 0 offset:372
	ds_read_b128 v[59:62], v2 offset:528
	s_waitcnt vmcnt(53) lgkmcnt(1)
	v_mul_f64 v[87:88], v[57:58], v[89:90]
	s_waitcnt vmcnt(52)
	v_fma_f64 v[83:84], v[3:4], v[85:86], -v[83:84]
	v_mul_f64 v[71:72], v[55:56], v[89:90]
	v_fma_f64 v[79:80], v[5:6], v[85:86], v[79:80]
	ds_read_b128 v[3:6], v2 offset:544
	v_add_f64 v[67:68], v[67:68], v[81:82]
	v_add_f64 v[7:8], v[7:8], v[73:74]
	s_waitcnt vmcnt(51) lgkmcnt(1)
	v_mul_f64 v[81:82], v[61:62], v[91:92]
	v_mul_f64 v[73:74], v[59:60], v[91:92]
	s_waitcnt vmcnt(49)
	v_fma_f64 v[85:86], v[55:56], v[95:96], -v[87:88]
	v_fma_f64 v[71:72], v[57:58], v[95:96], v[71:72]
	s_waitcnt vmcnt(45) lgkmcnt(0)
	v_mul_f64 v[89:90], v[5:6], v[97:98]
	v_mul_f64 v[87:88], v[3:4], v[97:98]
	v_add_f64 v[67:68], v[67:68], v[83:84]
	v_add_f64 v[7:8], v[7:8], v[79:80]
	s_clause 0x3
	buffer_load_dword v79, off, s[0:3], 0 offset:32
	buffer_load_dword v80, off, s[0:3], 0 offset:36
	;; [unrolled: 1-line block ×4, first 2 shown]
	s_waitcnt vmcnt(48)
	v_fma_f64 v[81:82], v[59:60], v[93:94], -v[81:82]
	ds_read_b128 v[55:58], v2 offset:560
	v_fma_f64 v[73:74], v[61:62], v[93:94], v[73:74]
	ds_read_b128 v[59:62], v2 offset:576
	s_waitcnt vmcnt(45)
	v_fma_f64 v[89:90], v[3:4], v[103:104], -v[89:90]
	v_add_f64 v[67:68], v[67:68], v[85:86]
	v_add_f64 v[7:8], v[7:8], v[71:72]
	s_waitcnt lgkmcnt(1)
	v_mul_f64 v[85:86], v[57:58], v[99:100]
	v_mul_f64 v[71:72], v[55:56], v[99:100]
	v_add_f64 v[67:68], v[67:68], v[81:82]
	v_fma_f64 v[81:82], v[5:6], v[103:104], v[87:88]
	v_add_f64 v[7:8], v[7:8], v[73:74]
	s_waitcnt vmcnt(41) lgkmcnt(0)
	v_mul_f64 v[87:88], v[61:62], v[105:106]
	s_waitcnt vmcnt(40)
	v_fma_f64 v[85:86], v[55:56], v[101:102], -v[85:86]
	ds_read_b128 v[3:6], v2 offset:592
	v_mul_f64 v[73:74], v[59:60], v[105:106]
	v_fma_f64 v[71:72], v[57:58], v[101:102], v[71:72]
	ds_read_b128 v[55:58], v2 offset:608
	v_add_f64 v[67:68], v[67:68], v[89:90]
	v_add_f64 v[7:8], v[7:8], v[81:82]
	s_waitcnt vmcnt(39) lgkmcnt(1)
	v_mul_f64 v[89:90], v[5:6], v[107:108]
	s_waitcnt vmcnt(37)
	v_fma_f64 v[87:88], v[59:60], v[111:112], -v[87:88]
	v_mul_f64 v[81:82], v[3:4], v[107:108]
	v_fma_f64 v[73:74], v[61:62], v[111:112], v[73:74]
	ds_read_b128 v[59:62], v2 offset:624
	v_add_f64 v[67:68], v[67:68], v[85:86]
	s_waitcnt vmcnt(33) lgkmcnt(1)
	v_mul_f64 v[85:86], v[57:58], v[113:114]
	v_add_f64 v[7:8], v[7:8], v[71:72]
	s_waitcnt vmcnt(32)
	v_fma_f64 v[89:90], v[3:4], v[109:110], -v[89:90]
	v_mul_f64 v[71:72], v[55:56], v[113:114]
	v_fma_f64 v[81:82], v[5:6], v[109:110], v[81:82]
	ds_read_b128 v[3:6], v2 offset:640
	v_add_f64 v[67:68], v[67:68], v[87:88]
	s_waitcnt vmcnt(31) lgkmcnt(1)
	v_mul_f64 v[87:88], v[61:62], v[115:116]
	v_add_f64 v[7:8], v[7:8], v[73:74]
	;; [unrolled: 9-line block ×3, first 2 shown]
	s_waitcnt vmcnt(24)
	v_fma_f64 v[87:88], v[59:60], v[117:118], -v[87:88]
	v_mul_f64 v[81:82], v[3:4], v[123:124]
	v_fma_f64 v[73:74], v[61:62], v[117:118], v[73:74]
	ds_read_b128 v[59:62], v2 offset:672
	v_add_f64 v[67:68], v[67:68], v[85:86]
	v_add_f64 v[7:8], v[7:8], v[71:72]
	s_waitcnt vmcnt(23) lgkmcnt(1)
	v_mul_f64 v[85:86], v[57:58], v[125:126]
	v_mul_f64 v[71:72], v[55:56], v[125:126]
	s_waitcnt vmcnt(21)
	v_fma_f64 v[89:90], v[3:4], v[65:66], -v[89:90]
	v_fma_f64 v[65:66], v[5:6], v[65:66], v[81:82]
	ds_read_b128 v[3:6], v2 offset:688
	v_add_f64 v[67:68], v[67:68], v[87:88]
	v_add_f64 v[7:8], v[7:8], v[73:74]
	s_waitcnt vmcnt(17) lgkmcnt(1)
	v_mul_f64 v[73:74], v[59:60], v[69:70]
	v_mul_f64 v[69:70], v[61:62], v[69:70]
	s_waitcnt vmcnt(16)
	v_fma_f64 v[81:82], v[55:56], v[127:128], -v[85:86]
	v_fma_f64 v[71:72], v[57:58], v[127:128], v[71:72]
	ds_read_b128 v[55:58], v2 offset:704
	v_add_f64 v[67:68], v[67:68], v[89:90]
	v_add_f64 v[7:8], v[7:8], v[65:66]
	s_waitcnt vmcnt(15) lgkmcnt(1)
	v_mul_f64 v[85:86], v[5:6], v[129:130]
	v_mul_f64 v[65:66], v[3:4], v[129:130]
	s_waitcnt vmcnt(13)
	v_fma_f64 v[69:70], v[59:60], v[63:64], -v[69:70]
	v_fma_f64 v[63:64], v[61:62], v[63:64], v[73:74]
	ds_read_b128 v[59:62], v2 offset:720
	v_add_f64 v[67:68], v[67:68], v[81:82]
	v_add_f64 v[7:8], v[7:8], v[71:72]
	s_waitcnt vmcnt(9) lgkmcnt(1)
	v_mul_f64 v[73:74], v[57:58], v[77:78]
	s_waitcnt vmcnt(8)
	v_fma_f64 v[3:4], v[3:4], v[134:135], -v[85:86]
	v_mul_f64 v[71:72], v[55:56], v[77:78]
	v_fma_f64 v[5:6], v[5:6], v[134:135], v[65:66]
	v_add_f64 v[67:68], v[67:68], v[69:70]
	v_add_f64 v[7:8], v[7:8], v[63:64]
	s_waitcnt vmcnt(7) lgkmcnt(0)
	v_mul_f64 v[65:66], v[61:62], v[121:122]
	v_mul_f64 v[63:64], v[59:60], v[121:122]
	s_waitcnt vmcnt(5)
	v_fma_f64 v[55:56], v[55:56], v[75:76], -v[73:74]
	v_fma_f64 v[57:58], v[57:58], v[75:76], v[71:72]
	v_add_f64 v[3:4], v[67:68], v[3:4]
	v_add_f64 v[5:6], v[7:8], v[5:6]
	s_waitcnt vmcnt(4)
	v_fma_f64 v[7:8], v[59:60], v[136:137], -v[65:66]
	v_add_f64 v[3:4], v[3:4], v[55:56]
	v_fma_f64 v[55:56], v[61:62], v[136:137], v[63:64]
	v_add_f64 v[5:6], v[5:6], v[57:58]
	v_add_f64 v[3:4], v[3:4], v[7:8]
	;; [unrolled: 1-line block ×3, first 2 shown]
	s_waitcnt vmcnt(2)
	v_add_f64 v[3:4], v[79:80], -v[3:4]
	s_waitcnt vmcnt(0)
	v_add_f64 v[5:6], v[83:84], -v[5:6]
	buffer_store_dword v4, off, s[0:3], 0 offset:36
	buffer_store_dword v3, off, s[0:3], 0 offset:32
	buffer_store_dword v6, off, s[0:3], 0 offset:44
	buffer_store_dword v5, off, s[0:3], 0 offset:40
	v_cmpx_ne_u32_e32 0, v0
	s_cbranch_execz .LBB22_151
; %bb.150:
	s_clause 0x3
	buffer_load_dword v3, off, s[0:3], 0 offset:16
	buffer_load_dword v4, off, s[0:3], 0 offset:20
	;; [unrolled: 1-line block ×4, first 2 shown]
	buffer_store_dword v2, off, s[0:3], 0 offset:16
	buffer_store_dword v2, off, s[0:3], 0 offset:20
	;; [unrolled: 1-line block ×4, first 2 shown]
	s_waitcnt vmcnt(0)
	ds_write_b128 v1, v[3:6]
.LBB22_151:
	s_or_b32 exec_lo, exec_lo, s4
	s_waitcnt lgkmcnt(0)
	s_waitcnt_vscnt null, 0x0
	s_barrier
	buffer_gl0_inv
	s_clause 0x37
	buffer_load_dword v0, off, s[0:3], 0 offset:40
	buffer_load_dword v1, off, s[0:3], 0 offset:44
	;; [unrolled: 1-line block ×56, first 2 shown]
	ds_read_b128 v[3:6], v2 offset:384
	s_clause 0x2
	buffer_load_dword v114, off, s[0:3], 0 offset:268
	buffer_load_dword v118, off, s[0:3], 0 offset:244
	;; [unrolled: 1-line block ×3, first 2 shown]
	ds_read_b128 v[55:58], v2 offset:400
	s_clause 0x4
	buffer_load_dword v122, off, s[0:3], 0 offset:284
	buffer_load_dword v123, off, s[0:3], 0 offset:296
	;; [unrolled: 1-line block ×5, first 2 shown]
	ds_read_b128 v[59:62], v2 offset:416
	s_and_b32 vcc_lo, exec_lo, s35
	s_waitcnt vmcnt(62) lgkmcnt(2)
	v_mul_f64 v[119:120], v[5:6], v[0:1]
	v_mul_f64 v[0:1], v[3:4], v[0:1]
	s_waitcnt vmcnt(60) lgkmcnt(1)
	v_mul_f64 v[126:127], v[57:58], v[7:8]
	v_mul_f64 v[7:8], v[55:56], v[7:8]
	;; [unrolled: 3-line block ×3, first 2 shown]
	v_fma_f64 v[119:120], v[3:4], v[63:64], -v[119:120]
	v_fma_f64 v[0:1], v[5:6], v[63:64], v[0:1]
	s_clause 0x2
	buffer_load_dword v124, off, s[0:3], 0 offset:300
	buffer_load_dword v64, off, s[0:3], 0 offset:276
	;; [unrolled: 1-line block ×3, first 2 shown]
	s_waitcnt vmcnt(57)
	v_fma_f64 v[130:131], v[55:56], v[67:68], -v[126:127]
	ds_read_b128 v[3:6], v2 offset:432
	v_fma_f64 v[7:8], v[57:58], v[67:68], v[7:8]
	s_clause 0x4
	buffer_load_dword v68, off, s[0:3], 0 offset:316
	buffer_load_dword v127, off, s[0:3], 0 offset:328
	;; [unrolled: 1-line block ×5, first 2 shown]
	s_waitcnt vmcnt(56)
	v_fma_f64 v[65:66], v[59:60], v[75:76], -v[65:66]
	ds_read_b128 v[55:58], v2 offset:448
	v_fma_f64 v[75:76], v[61:62], v[75:76], v[128:129]
	v_add_f64 v[119:120], v[119:120], 0
	v_add_f64 v[0:1], v[0:1], 0
	s_waitcnt lgkmcnt(1)
	v_mul_f64 v[133:134], v[3:4], v[69:70]
	v_mul_f64 v[69:70], v[5:6], v[69:70]
	v_add_f64 v[119:120], v[119:120], v[130:131]
	v_add_f64 v[0:1], v[0:1], v[7:8]
	s_clause 0x2
	buffer_load_dword v128, off, s[0:3], 0 offset:332
	buffer_load_dword v8, off, s[0:3], 0 offset:308
	;; [unrolled: 1-line block ×3, first 2 shown]
	s_waitcnt vmcnt(58) lgkmcnt(0)
	v_mul_f64 v[129:130], v[55:56], v[71:72]
	v_mul_f64 v[71:72], v[57:58], v[71:72]
	s_waitcnt vmcnt(56)
	v_fma_f64 v[69:70], v[3:4], v[77:78], -v[69:70]
	ds_read_b128 v[59:62], v2 offset:464
	v_fma_f64 v[77:78], v[5:6], v[77:78], v[133:134]
	v_add_f64 v[65:66], v[119:120], v[65:66]
	v_add_f64 v[0:1], v[0:1], v[75:76]
	s_clause 0x4
	buffer_load_dword v76, off, s[0:3], 0 offset:348
	buffer_load_dword v119, off, s[0:3], 0 offset:360
	;; [unrolled: 1-line block ×5, first 2 shown]
	ds_read_b128 v[3:6], v2 offset:480
	s_waitcnt vmcnt(57) lgkmcnt(1)
	v_mul_f64 v[135:136], v[59:60], v[79:80]
	v_mul_f64 v[79:80], v[61:62], v[79:80]
	s_waitcnt vmcnt(56)
	v_fma_f64 v[71:72], v[55:56], v[73:74], -v[71:72]
	v_add_f64 v[65:66], v[65:66], v[69:70]
	v_fma_f64 v[69:70], v[57:58], v[73:74], v[129:130]
	v_add_f64 v[0:1], v[0:1], v[77:78]
	s_clause 0x2
	buffer_load_dword v120, off, s[0:3], 0 offset:364
	buffer_load_dword v74, off, s[0:3], 0 offset:340
	;; [unrolled: 1-line block ×3, first 2 shown]
	s_waitcnt vmcnt(58) lgkmcnt(0)
	v_mul_f64 v[77:78], v[3:4], v[81:82]
	v_mul_f64 v[81:82], v[5:6], v[81:82]
	s_waitcnt vmcnt(56)
	v_fma_f64 v[79:80], v[59:60], v[85:86], -v[79:80]
	ds_read_b128 v[55:58], v2 offset:496
	v_add_f64 v[65:66], v[65:66], v[71:72]
	v_fma_f64 v[71:72], v[61:62], v[85:86], v[135:136]
	v_add_f64 v[0:1], v[0:1], v[69:70]
	s_clause 0x2
	buffer_load_dword v70, off, s[0:3], 0 offset:380
	buffer_load_dword v69, off, s[0:3], 0 offset:376
	;; [unrolled: 1-line block ×3, first 2 shown]
	ds_read_b128 v[59:62], v2 offset:512
	s_waitcnt vmcnt(55) lgkmcnt(1)
	v_mul_f64 v[85:86], v[55:56], v[87:88]
	v_mul_f64 v[87:88], v[57:58], v[87:88]
	s_waitcnt vmcnt(54)
	v_fma_f64 v[81:82], v[3:4], v[83:84], -v[81:82]
	v_fma_f64 v[77:78], v[5:6], v[83:84], v[77:78]
	v_add_f64 v[65:66], v[65:66], v[79:80]
	v_add_f64 v[0:1], v[0:1], v[71:72]
	s_clause 0x1
	buffer_load_dword v72, off, s[0:3], 0 offset:372
	buffer_load_dword v71, off, s[0:3], 0 offset:368
	s_waitcnt vmcnt(55) lgkmcnt(0)
	v_mul_f64 v[83:84], v[61:62], v[89:90]
	ds_read_b128 v[3:6], v2 offset:528
	s_waitcnt vmcnt(53)
	v_fma_f64 v[87:88], v[55:56], v[93:94], -v[87:88]
	v_mul_f64 v[79:80], v[59:60], v[89:90]
	v_add_f64 v[65:66], v[65:66], v[81:82]
	v_fma_f64 v[81:82], v[57:58], v[93:94], v[85:86]
	v_add_f64 v[0:1], v[0:1], v[77:78]
	ds_read_b128 v[55:58], v2 offset:544
	s_waitcnt vmcnt(49) lgkmcnt(1)
	v_mul_f64 v[85:86], v[5:6], v[95:96]
	s_waitcnt vmcnt(48)
	v_fma_f64 v[83:84], v[59:60], v[91:92], -v[83:84]
	v_mul_f64 v[77:78], v[3:4], v[95:96]
	v_fma_f64 v[79:80], v[61:62], v[91:92], v[79:80]
	v_add_f64 v[65:66], v[65:66], v[87:88]
	s_waitcnt vmcnt(47) lgkmcnt(0)
	v_mul_f64 v[91:92], v[57:58], v[97:98]
	v_add_f64 v[0:1], v[0:1], v[81:82]
	s_clause 0x3
	buffer_load_dword v81, off, s[0:3], 0 offset:16
	buffer_load_dword v82, off, s[0:3], 0 offset:20
	;; [unrolled: 1-line block ×4, first 2 shown]
	s_waitcnt vmcnt(49)
	v_fma_f64 v[85:86], v[3:4], v[101:102], -v[85:86]
	ds_read_b128 v[59:62], v2 offset:560
	v_mul_f64 v[89:90], v[55:56], v[97:98]
	v_fma_f64 v[77:78], v[5:6], v[101:102], v[77:78]
	ds_read_b128 v[3:6], v2 offset:576
	v_add_f64 v[65:66], v[65:66], v[83:84]
	s_waitcnt vmcnt(44)
	v_fma_f64 v[91:92], v[55:56], v[99:100], -v[91:92]
	v_add_f64 v[0:1], v[0:1], v[79:80]
	s_waitcnt lgkmcnt(1)
	v_mul_f64 v[83:84], v[61:62], v[103:104]
	v_mul_f64 v[79:80], v[59:60], v[103:104]
	v_add_f64 v[65:66], v[65:66], v[85:86]
	v_fma_f64 v[85:86], v[57:58], v[99:100], v[89:90]
	v_add_f64 v[0:1], v[0:1], v[77:78]
	s_waitcnt vmcnt(43) lgkmcnt(0)
	v_mul_f64 v[89:90], v[5:6], v[105:106]
	s_waitcnt vmcnt(41)
	v_fma_f64 v[83:84], v[59:60], v[109:110], -v[83:84]
	ds_read_b128 v[55:58], v2 offset:592
	v_mul_f64 v[77:78], v[3:4], v[105:106]
	v_fma_f64 v[79:80], v[61:62], v[109:110], v[79:80]
	ds_read_b128 v[59:62], v2 offset:608
	v_add_f64 v[65:66], v[65:66], v[91:92]
	v_add_f64 v[0:1], v[0:1], v[85:86]
	s_waitcnt vmcnt(37) lgkmcnt(1)
	v_mul_f64 v[91:92], v[57:58], v[111:112]
	s_waitcnt vmcnt(36)
	v_fma_f64 v[89:90], v[3:4], v[107:108], -v[89:90]
	v_mul_f64 v[85:86], v[55:56], v[111:112]
	v_fma_f64 v[77:78], v[5:6], v[107:108], v[77:78]
	ds_read_b128 v[3:6], v2 offset:624
	v_add_f64 v[65:66], v[65:66], v[83:84]
	s_waitcnt vmcnt(35) lgkmcnt(1)
	v_mul_f64 v[83:84], v[61:62], v[113:114]
	v_add_f64 v[0:1], v[0:1], v[79:80]
	s_waitcnt vmcnt(33)
	v_fma_f64 v[91:92], v[55:56], v[117:118], -v[91:92]
	v_mul_f64 v[79:80], v[59:60], v[113:114]
	v_fma_f64 v[85:86], v[57:58], v[117:118], v[85:86]
	ds_read_b128 v[55:58], v2 offset:640
	v_add_f64 v[65:66], v[65:66], v[89:90]
	s_waitcnt vmcnt(29) lgkmcnt(1)
	v_mul_f64 v[89:90], v[5:6], v[121:122]
	v_add_f64 v[0:1], v[0:1], v[77:78]
	s_waitcnt vmcnt(28)
	v_fma_f64 v[83:84], v[59:60], v[115:116], -v[83:84]
	v_mul_f64 v[77:78], v[3:4], v[121:122]
	v_fma_f64 v[79:80], v[61:62], v[115:116], v[79:80]
	ds_read_b128 v[59:62], v2 offset:656
	v_add_f64 v[65:66], v[65:66], v[91:92]
	v_add_f64 v[0:1], v[0:1], v[85:86]
	s_waitcnt vmcnt(27) lgkmcnt(1)
	v_mul_f64 v[91:92], v[57:58], v[123:124]
	v_mul_f64 v[85:86], v[55:56], v[123:124]
	s_waitcnt vmcnt(25)
	v_fma_f64 v[89:90], v[3:4], v[63:64], -v[89:90]
	v_fma_f64 v[63:64], v[5:6], v[63:64], v[77:78]
	ds_read_b128 v[3:6], v2 offset:672
	s_waitcnt vmcnt(21) lgkmcnt(1)
	v_mul_f64 v[77:78], v[59:60], v[67:68]
	v_mul_f64 v[67:68], v[61:62], v[67:68]
	v_add_f64 v[65:66], v[65:66], v[83:84]
	v_add_f64 v[0:1], v[0:1], v[79:80]
	s_waitcnt vmcnt(20)
	v_fma_f64 v[79:80], v[55:56], v[125:126], -v[91:92]
	v_fma_f64 v[83:84], v[57:58], v[125:126], v[85:86]
	ds_read_b128 v[55:58], v2 offset:688
	v_add_f64 v[65:66], v[65:66], v[89:90]
	v_add_f64 v[0:1], v[0:1], v[63:64]
	s_waitcnt vmcnt(19) lgkmcnt(1)
	v_mul_f64 v[85:86], v[5:6], v[127:128]
	v_mul_f64 v[63:64], v[3:4], v[127:128]
	s_waitcnt vmcnt(17)
	v_fma_f64 v[67:68], v[59:60], v[7:8], -v[67:68]
	v_fma_f64 v[7:8], v[61:62], v[7:8], v[77:78]
	ds_read_b128 v[59:62], v2 offset:704
	v_add_f64 v[65:66], v[65:66], v[79:80]
	v_add_f64 v[0:1], v[0:1], v[83:84]
	s_waitcnt vmcnt(13) lgkmcnt(1)
	v_mul_f64 v[77:78], v[55:56], v[75:76]
	v_mul_f64 v[75:76], v[57:58], v[75:76]
	s_waitcnt vmcnt(12)
	v_fma_f64 v[79:80], v[3:4], v[132:133], -v[85:86]
	v_fma_f64 v[4:5], v[5:6], v[132:133], v[63:64]
	v_add_f64 v[65:66], v[65:66], v[67:68]
	v_add_f64 v[6:7], v[0:1], v[7:8]
	ds_read_b128 v[0:3], v2 offset:720
	s_waitcnt vmcnt(11) lgkmcnt(1)
	v_mul_f64 v[67:68], v[61:62], v[119:120]
	v_mul_f64 v[63:64], v[59:60], v[119:120]
	s_waitcnt vmcnt(9)
	v_fma_f64 v[55:56], v[55:56], v[73:74], -v[75:76]
	v_fma_f64 v[57:58], v[57:58], v[73:74], v[77:78]
	v_add_f64 v[65:66], v[65:66], v[79:80]
	v_add_f64 v[4:5], v[6:7], v[4:5]
	s_waitcnt vmcnt(7) lgkmcnt(0)
	v_mul_f64 v[6:7], v[0:1], v[69:70]
	v_mul_f64 v[69:70], v[2:3], v[69:70]
	s_waitcnt vmcnt(6)
	v_fma_f64 v[59:60], v[59:60], v[134:135], -v[67:68]
	v_fma_f64 v[61:62], v[61:62], v[134:135], v[63:64]
	v_add_f64 v[55:56], v[65:66], v[55:56]
	v_add_f64 v[4:5], v[4:5], v[57:58]
	s_waitcnt vmcnt(4)
	v_fma_f64 v[0:1], v[0:1], v[71:72], -v[69:70]
	v_fma_f64 v[2:3], v[2:3], v[71:72], v[6:7]
	v_add_f64 v[55:56], v[55:56], v[59:60]
	v_add_f64 v[4:5], v[4:5], v[61:62]
	v_add_f64 v[0:1], v[55:56], v[0:1]
	v_add_f64 v[2:3], v[4:5], v[2:3]
	s_waitcnt vmcnt(2)
	v_add_f64 v[0:1], v[81:82], -v[0:1]
	s_waitcnt vmcnt(0)
	v_add_f64 v[2:3], v[87:88], -v[2:3]
	buffer_store_dword v1, off, s[0:3], 0 offset:20
	buffer_store_dword v0, off, s[0:3], 0 offset:16
	;; [unrolled: 1-line block ×4, first 2 shown]
	s_cbranch_vccz .LBB22_196
; %bb.152:
	v_mov_b32_e32 v0, 0
	global_load_dword v1, v0, s[20:21] offset:84
	s_waitcnt vmcnt(0)
	v_add_nc_u32_e32 v1, -1, v1
	v_cmp_ne_u32_e32 vcc_lo, 21, v1
	s_cbranch_vccz .LBB22_154
; %bb.153:
	v_lshlrev_b32_e32 v1, 4, v1
	v_mov_b32_e32 v2, s9
	v_add_nc_u32_e32 v1, 16, v1
	s_clause 0x7
	buffer_load_dword v3, v1, s[0:3], 0 offen
	buffer_load_dword v4, v1, s[0:3], 0 offen offset:4
	buffer_load_dword v5, v1, s[0:3], 0 offen offset:8
	;; [unrolled: 1-line block ×6, first 2 shown]
	buffer_load_dword v56, v2, s[0:3], 0 offen
	s_waitcnt vmcnt(7)
	buffer_store_dword v3, v2, s[0:3], 0 offen
	s_waitcnt vmcnt(6)
	buffer_store_dword v4, v2, s[0:3], 0 offen offset:4
	s_waitcnt vmcnt(5)
	buffer_store_dword v5, v2, s[0:3], 0 offen offset:8
	;; [unrolled: 2-line block ×6, first 2 shown]
	s_waitcnt vmcnt(0)
	buffer_store_dword v56, v1, s[0:3], 0 offen
.LBB22_154:
	global_load_dword v0, v0, s[20:21] offset:80
	s_waitcnt vmcnt(0)
	v_add_nc_u32_e32 v0, -1, v0
	v_cmp_eq_u32_e32 vcc_lo, 20, v0
	s_cbranch_vccnz .LBB22_156
; %bb.155:
	v_lshlrev_b32_e32 v0, 4, v0
	v_mov_b32_e32 v1, s12
	v_add_nc_u32_e32 v0, 16, v0
	s_clause 0x7
	buffer_load_dword v2, v0, s[0:3], 0 offen
	buffer_load_dword v3, v0, s[0:3], 0 offen offset:4
	buffer_load_dword v4, v0, s[0:3], 0 offen offset:8
	;; [unrolled: 1-line block ×6, first 2 shown]
	buffer_load_dword v55, v1, s[0:3], 0 offen
	s_waitcnt vmcnt(7)
	buffer_store_dword v2, v1, s[0:3], 0 offen
	s_waitcnt vmcnt(6)
	buffer_store_dword v3, v1, s[0:3], 0 offen offset:4
	s_waitcnt vmcnt(5)
	buffer_store_dword v4, v1, s[0:3], 0 offen offset:8
	;; [unrolled: 2-line block ×6, first 2 shown]
	s_waitcnt vmcnt(0)
	buffer_store_dword v55, v0, s[0:3], 0 offen
.LBB22_156:
	v_mov_b32_e32 v0, 0
	global_load_dword v1, v0, s[20:21] offset:76
	s_waitcnt vmcnt(0)
	v_add_nc_u32_e32 v1, -1, v1
	v_cmp_eq_u32_e32 vcc_lo, 19, v1
	s_cbranch_vccnz .LBB22_158
; %bb.157:
	v_lshlrev_b32_e32 v1, 4, v1
	v_mov_b32_e32 v2, s13
	v_add_nc_u32_e32 v1, 16, v1
	s_clause 0x7
	buffer_load_dword v3, v1, s[0:3], 0 offen
	buffer_load_dword v4, v1, s[0:3], 0 offen offset:4
	buffer_load_dword v5, v1, s[0:3], 0 offen offset:8
	;; [unrolled: 1-line block ×6, first 2 shown]
	buffer_load_dword v56, v2, s[0:3], 0 offen
	s_waitcnt vmcnt(7)
	buffer_store_dword v3, v2, s[0:3], 0 offen
	s_waitcnt vmcnt(6)
	buffer_store_dword v4, v2, s[0:3], 0 offen offset:4
	s_waitcnt vmcnt(5)
	buffer_store_dword v5, v2, s[0:3], 0 offen offset:8
	;; [unrolled: 2-line block ×6, first 2 shown]
	s_waitcnt vmcnt(0)
	buffer_store_dword v56, v1, s[0:3], 0 offen
.LBB22_158:
	global_load_dword v0, v0, s[20:21] offset:72
	s_waitcnt vmcnt(0)
	v_add_nc_u32_e32 v0, -1, v0
	v_cmp_eq_u32_e32 vcc_lo, 18, v0
	s_cbranch_vccnz .LBB22_160
; %bb.159:
	v_lshlrev_b32_e32 v0, 4, v0
	v_mov_b32_e32 v1, s14
	v_add_nc_u32_e32 v0, 16, v0
	s_clause 0x7
	buffer_load_dword v2, v0, s[0:3], 0 offen
	buffer_load_dword v3, v0, s[0:3], 0 offen offset:4
	buffer_load_dword v4, v0, s[0:3], 0 offen offset:8
	;; [unrolled: 1-line block ×6, first 2 shown]
	buffer_load_dword v55, v1, s[0:3], 0 offen
	s_waitcnt vmcnt(7)
	buffer_store_dword v2, v1, s[0:3], 0 offen
	s_waitcnt vmcnt(6)
	buffer_store_dword v3, v1, s[0:3], 0 offen offset:4
	s_waitcnt vmcnt(5)
	buffer_store_dword v4, v1, s[0:3], 0 offen offset:8
	;; [unrolled: 2-line block ×6, first 2 shown]
	s_waitcnt vmcnt(0)
	buffer_store_dword v55, v0, s[0:3], 0 offen
.LBB22_160:
	v_mov_b32_e32 v0, 0
	global_load_dword v1, v0, s[20:21] offset:68
	s_waitcnt vmcnt(0)
	v_add_nc_u32_e32 v1, -1, v1
	v_cmp_eq_u32_e32 vcc_lo, 17, v1
	s_cbranch_vccnz .LBB22_162
; %bb.161:
	v_lshlrev_b32_e32 v1, 4, v1
	v_mov_b32_e32 v2, s15
	v_add_nc_u32_e32 v1, 16, v1
	s_clause 0x7
	buffer_load_dword v3, v1, s[0:3], 0 offen
	buffer_load_dword v4, v1, s[0:3], 0 offen offset:4
	buffer_load_dword v5, v1, s[0:3], 0 offen offset:8
	;; [unrolled: 1-line block ×6, first 2 shown]
	buffer_load_dword v56, v2, s[0:3], 0 offen
	s_waitcnt vmcnt(7)
	buffer_store_dword v3, v2, s[0:3], 0 offen
	s_waitcnt vmcnt(6)
	buffer_store_dword v4, v2, s[0:3], 0 offen offset:4
	s_waitcnt vmcnt(5)
	buffer_store_dword v5, v2, s[0:3], 0 offen offset:8
	;; [unrolled: 2-line block ×6, first 2 shown]
	s_waitcnt vmcnt(0)
	buffer_store_dword v56, v1, s[0:3], 0 offen
.LBB22_162:
	global_load_dword v0, v0, s[20:21] offset:64
	s_waitcnt vmcnt(0)
	v_add_nc_u32_e32 v0, -1, v0
	v_cmp_eq_u32_e32 vcc_lo, 16, v0
	s_cbranch_vccnz .LBB22_164
; %bb.163:
	v_lshlrev_b32_e32 v0, 4, v0
	v_mov_b32_e32 v1, s16
	v_add_nc_u32_e32 v0, 16, v0
	s_clause 0x7
	buffer_load_dword v2, v0, s[0:3], 0 offen
	buffer_load_dword v3, v0, s[0:3], 0 offen offset:4
	buffer_load_dword v4, v0, s[0:3], 0 offen offset:8
	;; [unrolled: 1-line block ×6, first 2 shown]
	buffer_load_dword v55, v1, s[0:3], 0 offen
	s_waitcnt vmcnt(7)
	buffer_store_dword v2, v1, s[0:3], 0 offen
	s_waitcnt vmcnt(6)
	buffer_store_dword v3, v1, s[0:3], 0 offen offset:4
	s_waitcnt vmcnt(5)
	buffer_store_dword v4, v1, s[0:3], 0 offen offset:8
	;; [unrolled: 2-line block ×6, first 2 shown]
	s_waitcnt vmcnt(0)
	buffer_store_dword v55, v0, s[0:3], 0 offen
.LBB22_164:
	v_mov_b32_e32 v0, 0
	global_load_dword v1, v0, s[20:21] offset:60
	s_waitcnt vmcnt(0)
	v_add_nc_u32_e32 v1, -1, v1
	v_cmp_eq_u32_e32 vcc_lo, 15, v1
	s_cbranch_vccnz .LBB22_166
; %bb.165:
	v_lshlrev_b32_e32 v1, 4, v1
	v_mov_b32_e32 v2, s17
	v_add_nc_u32_e32 v1, 16, v1
	s_clause 0x7
	buffer_load_dword v3, v1, s[0:3], 0 offen
	buffer_load_dword v4, v1, s[0:3], 0 offen offset:4
	buffer_load_dword v5, v1, s[0:3], 0 offen offset:8
	;; [unrolled: 1-line block ×6, first 2 shown]
	buffer_load_dword v56, v2, s[0:3], 0 offen
	s_waitcnt vmcnt(7)
	buffer_store_dword v3, v2, s[0:3], 0 offen
	s_waitcnt vmcnt(6)
	buffer_store_dword v4, v2, s[0:3], 0 offen offset:4
	s_waitcnt vmcnt(5)
	buffer_store_dword v5, v2, s[0:3], 0 offen offset:8
	;; [unrolled: 2-line block ×6, first 2 shown]
	s_waitcnt vmcnt(0)
	buffer_store_dword v56, v1, s[0:3], 0 offen
.LBB22_166:
	global_load_dword v0, v0, s[20:21] offset:56
	s_waitcnt vmcnt(0)
	v_add_nc_u32_e32 v0, -1, v0
	v_cmp_eq_u32_e32 vcc_lo, 14, v0
	s_cbranch_vccnz .LBB22_168
; %bb.167:
	v_lshlrev_b32_e32 v0, 4, v0
	v_mov_b32_e32 v1, s18
	v_add_nc_u32_e32 v0, 16, v0
	s_clause 0x7
	buffer_load_dword v2, v0, s[0:3], 0 offen
	buffer_load_dword v3, v0, s[0:3], 0 offen offset:4
	buffer_load_dword v4, v0, s[0:3], 0 offen offset:8
	;; [unrolled: 1-line block ×6, first 2 shown]
	buffer_load_dword v55, v1, s[0:3], 0 offen
	s_waitcnt vmcnt(7)
	buffer_store_dword v2, v1, s[0:3], 0 offen
	s_waitcnt vmcnt(6)
	buffer_store_dword v3, v1, s[0:3], 0 offen offset:4
	s_waitcnt vmcnt(5)
	buffer_store_dword v4, v1, s[0:3], 0 offen offset:8
	;; [unrolled: 2-line block ×6, first 2 shown]
	s_waitcnt vmcnt(0)
	buffer_store_dword v55, v0, s[0:3], 0 offen
.LBB22_168:
	v_mov_b32_e32 v0, 0
	global_load_dword v1, v0, s[20:21] offset:52
	s_waitcnt vmcnt(0)
	v_add_nc_u32_e32 v1, -1, v1
	v_cmp_eq_u32_e32 vcc_lo, 13, v1
	s_cbranch_vccnz .LBB22_170
; %bb.169:
	v_lshlrev_b32_e32 v1, 4, v1
	v_mov_b32_e32 v2, s19
	v_add_nc_u32_e32 v1, 16, v1
	s_clause 0x7
	buffer_load_dword v3, v1, s[0:3], 0 offen
	buffer_load_dword v4, v1, s[0:3], 0 offen offset:4
	buffer_load_dword v5, v1, s[0:3], 0 offen offset:8
	;; [unrolled: 1-line block ×6, first 2 shown]
	buffer_load_dword v56, v2, s[0:3], 0 offen
	s_waitcnt vmcnt(7)
	buffer_store_dword v3, v2, s[0:3], 0 offen
	s_waitcnt vmcnt(6)
	buffer_store_dword v4, v2, s[0:3], 0 offen offset:4
	s_waitcnt vmcnt(5)
	buffer_store_dword v5, v2, s[0:3], 0 offen offset:8
	;; [unrolled: 2-line block ×6, first 2 shown]
	s_waitcnt vmcnt(0)
	buffer_store_dword v56, v1, s[0:3], 0 offen
.LBB22_170:
	global_load_dword v0, v0, s[20:21] offset:48
	s_waitcnt vmcnt(0)
	v_add_nc_u32_e32 v0, -1, v0
	v_cmp_eq_u32_e32 vcc_lo, 12, v0
	s_cbranch_vccnz .LBB22_172
; %bb.171:
	v_lshlrev_b32_e32 v0, 4, v0
	v_mov_b32_e32 v1, s22
	v_add_nc_u32_e32 v0, 16, v0
	s_clause 0x7
	buffer_load_dword v2, v0, s[0:3], 0 offen
	buffer_load_dword v3, v0, s[0:3], 0 offen offset:4
	buffer_load_dword v4, v0, s[0:3], 0 offen offset:8
	;; [unrolled: 1-line block ×6, first 2 shown]
	buffer_load_dword v55, v1, s[0:3], 0 offen
	s_waitcnt vmcnt(7)
	buffer_store_dword v2, v1, s[0:3], 0 offen
	s_waitcnt vmcnt(6)
	buffer_store_dword v3, v1, s[0:3], 0 offen offset:4
	s_waitcnt vmcnt(5)
	buffer_store_dword v4, v1, s[0:3], 0 offen offset:8
	;; [unrolled: 2-line block ×6, first 2 shown]
	s_waitcnt vmcnt(0)
	buffer_store_dword v55, v0, s[0:3], 0 offen
.LBB22_172:
	v_mov_b32_e32 v0, 0
	global_load_dword v1, v0, s[20:21] offset:44
	s_waitcnt vmcnt(0)
	v_add_nc_u32_e32 v1, -1, v1
	v_cmp_eq_u32_e32 vcc_lo, 11, v1
	s_cbranch_vccnz .LBB22_174
; %bb.173:
	v_lshlrev_b32_e32 v1, 4, v1
	v_mov_b32_e32 v2, s23
	v_add_nc_u32_e32 v1, 16, v1
	s_clause 0x7
	buffer_load_dword v3, v1, s[0:3], 0 offen
	buffer_load_dword v4, v1, s[0:3], 0 offen offset:4
	buffer_load_dword v5, v1, s[0:3], 0 offen offset:8
	;; [unrolled: 1-line block ×6, first 2 shown]
	buffer_load_dword v56, v2, s[0:3], 0 offen
	s_waitcnt vmcnt(7)
	buffer_store_dword v3, v2, s[0:3], 0 offen
	s_waitcnt vmcnt(6)
	buffer_store_dword v4, v2, s[0:3], 0 offen offset:4
	s_waitcnt vmcnt(5)
	buffer_store_dword v5, v2, s[0:3], 0 offen offset:8
	;; [unrolled: 2-line block ×6, first 2 shown]
	s_waitcnt vmcnt(0)
	buffer_store_dword v56, v1, s[0:3], 0 offen
.LBB22_174:
	global_load_dword v0, v0, s[20:21] offset:40
	s_waitcnt vmcnt(0)
	v_add_nc_u32_e32 v0, -1, v0
	v_cmp_eq_u32_e32 vcc_lo, 10, v0
	s_cbranch_vccnz .LBB22_176
; %bb.175:
	v_lshlrev_b32_e32 v0, 4, v0
	v_mov_b32_e32 v1, s24
	v_add_nc_u32_e32 v0, 16, v0
	s_clause 0x7
	buffer_load_dword v2, v0, s[0:3], 0 offen
	buffer_load_dword v3, v0, s[0:3], 0 offen offset:4
	buffer_load_dword v4, v0, s[0:3], 0 offen offset:8
	;; [unrolled: 1-line block ×6, first 2 shown]
	buffer_load_dword v55, v1, s[0:3], 0 offen
	s_waitcnt vmcnt(7)
	buffer_store_dword v2, v1, s[0:3], 0 offen
	s_waitcnt vmcnt(6)
	buffer_store_dword v3, v1, s[0:3], 0 offen offset:4
	s_waitcnt vmcnt(5)
	buffer_store_dword v4, v1, s[0:3], 0 offen offset:8
	;; [unrolled: 2-line block ×6, first 2 shown]
	s_waitcnt vmcnt(0)
	buffer_store_dword v55, v0, s[0:3], 0 offen
.LBB22_176:
	v_mov_b32_e32 v0, 0
	global_load_dword v1, v0, s[20:21] offset:36
	s_waitcnt vmcnt(0)
	v_add_nc_u32_e32 v1, -1, v1
	v_cmp_eq_u32_e32 vcc_lo, 9, v1
	s_cbranch_vccnz .LBB22_178
; %bb.177:
	v_lshlrev_b32_e32 v1, 4, v1
	v_mov_b32_e32 v2, s25
	v_add_nc_u32_e32 v1, 16, v1
	s_clause 0x7
	buffer_load_dword v3, v1, s[0:3], 0 offen
	buffer_load_dword v4, v1, s[0:3], 0 offen offset:4
	buffer_load_dword v5, v1, s[0:3], 0 offen offset:8
	buffer_load_dword v6, v1, s[0:3], 0 offen offset:12
	buffer_load_dword v7, v2, s[0:3], 0 offen offset:12
	buffer_load_dword v8, v2, s[0:3], 0 offen offset:8
	buffer_load_dword v55, v2, s[0:3], 0 offen offset:4
	buffer_load_dword v56, v2, s[0:3], 0 offen
	s_waitcnt vmcnt(7)
	buffer_store_dword v3, v2, s[0:3], 0 offen
	s_waitcnt vmcnt(6)
	buffer_store_dword v4, v2, s[0:3], 0 offen offset:4
	s_waitcnt vmcnt(5)
	buffer_store_dword v5, v2, s[0:3], 0 offen offset:8
	;; [unrolled: 2-line block ×6, first 2 shown]
	s_waitcnt vmcnt(0)
	buffer_store_dword v56, v1, s[0:3], 0 offen
.LBB22_178:
	global_load_dword v0, v0, s[20:21] offset:32
	s_waitcnt vmcnt(0)
	v_add_nc_u32_e32 v0, -1, v0
	v_cmp_eq_u32_e32 vcc_lo, 8, v0
	s_cbranch_vccnz .LBB22_180
; %bb.179:
	v_lshlrev_b32_e32 v0, 4, v0
	v_mov_b32_e32 v1, s26
	v_add_nc_u32_e32 v0, 16, v0
	s_clause 0x7
	buffer_load_dword v2, v0, s[0:3], 0 offen
	buffer_load_dword v3, v0, s[0:3], 0 offen offset:4
	buffer_load_dword v4, v0, s[0:3], 0 offen offset:8
	buffer_load_dword v5, v0, s[0:3], 0 offen offset:12
	buffer_load_dword v6, v1, s[0:3], 0 offen offset:12
	buffer_load_dword v7, v1, s[0:3], 0 offen offset:8
	buffer_load_dword v8, v1, s[0:3], 0 offen offset:4
	buffer_load_dword v55, v1, s[0:3], 0 offen
	s_waitcnt vmcnt(7)
	buffer_store_dword v2, v1, s[0:3], 0 offen
	s_waitcnt vmcnt(6)
	buffer_store_dword v3, v1, s[0:3], 0 offen offset:4
	s_waitcnt vmcnt(5)
	buffer_store_dword v4, v1, s[0:3], 0 offen offset:8
	;; [unrolled: 2-line block ×6, first 2 shown]
	s_waitcnt vmcnt(0)
	buffer_store_dword v55, v0, s[0:3], 0 offen
.LBB22_180:
	v_mov_b32_e32 v0, 0
	global_load_dword v1, v0, s[20:21] offset:28
	s_waitcnt vmcnt(0)
	v_add_nc_u32_e32 v1, -1, v1
	v_cmp_eq_u32_e32 vcc_lo, 7, v1
	s_cbranch_vccnz .LBB22_182
; %bb.181:
	v_lshlrev_b32_e32 v1, 4, v1
	v_mov_b32_e32 v2, s27
	v_add_nc_u32_e32 v1, 16, v1
	s_clause 0x7
	buffer_load_dword v3, v1, s[0:3], 0 offen
	buffer_load_dword v4, v1, s[0:3], 0 offen offset:4
	buffer_load_dword v5, v1, s[0:3], 0 offen offset:8
	;; [unrolled: 1-line block ×6, first 2 shown]
	buffer_load_dword v56, v2, s[0:3], 0 offen
	s_waitcnt vmcnt(7)
	buffer_store_dword v3, v2, s[0:3], 0 offen
	s_waitcnt vmcnt(6)
	buffer_store_dword v4, v2, s[0:3], 0 offen offset:4
	s_waitcnt vmcnt(5)
	buffer_store_dword v5, v2, s[0:3], 0 offen offset:8
	;; [unrolled: 2-line block ×6, first 2 shown]
	s_waitcnt vmcnt(0)
	buffer_store_dword v56, v1, s[0:3], 0 offen
.LBB22_182:
	global_load_dword v0, v0, s[20:21] offset:24
	s_waitcnt vmcnt(0)
	v_add_nc_u32_e32 v0, -1, v0
	v_cmp_eq_u32_e32 vcc_lo, 6, v0
	s_cbranch_vccnz .LBB22_184
; %bb.183:
	v_lshlrev_b32_e32 v0, 4, v0
	v_mov_b32_e32 v1, s28
	v_add_nc_u32_e32 v0, 16, v0
	s_clause 0x7
	buffer_load_dword v2, v0, s[0:3], 0 offen
	buffer_load_dword v3, v0, s[0:3], 0 offen offset:4
	buffer_load_dword v4, v0, s[0:3], 0 offen offset:8
	;; [unrolled: 1-line block ×6, first 2 shown]
	buffer_load_dword v55, v1, s[0:3], 0 offen
	s_waitcnt vmcnt(7)
	buffer_store_dword v2, v1, s[0:3], 0 offen
	s_waitcnt vmcnt(6)
	buffer_store_dword v3, v1, s[0:3], 0 offen offset:4
	s_waitcnt vmcnt(5)
	buffer_store_dword v4, v1, s[0:3], 0 offen offset:8
	;; [unrolled: 2-line block ×6, first 2 shown]
	s_waitcnt vmcnt(0)
	buffer_store_dword v55, v0, s[0:3], 0 offen
.LBB22_184:
	v_mov_b32_e32 v0, 0
	global_load_dword v1, v0, s[20:21] offset:20
	s_waitcnt vmcnt(0)
	v_add_nc_u32_e32 v1, -1, v1
	v_cmp_eq_u32_e32 vcc_lo, 5, v1
	s_cbranch_vccnz .LBB22_186
; %bb.185:
	v_lshlrev_b32_e32 v1, 4, v1
	v_mov_b32_e32 v2, s29
	v_add_nc_u32_e32 v1, 16, v1
	s_clause 0x7
	buffer_load_dword v3, v1, s[0:3], 0 offen
	buffer_load_dword v4, v1, s[0:3], 0 offen offset:4
	buffer_load_dword v5, v1, s[0:3], 0 offen offset:8
	;; [unrolled: 1-line block ×6, first 2 shown]
	buffer_load_dword v56, v2, s[0:3], 0 offen
	s_waitcnt vmcnt(7)
	buffer_store_dword v3, v2, s[0:3], 0 offen
	s_waitcnt vmcnt(6)
	buffer_store_dword v4, v2, s[0:3], 0 offen offset:4
	s_waitcnt vmcnt(5)
	buffer_store_dword v5, v2, s[0:3], 0 offen offset:8
	;; [unrolled: 2-line block ×6, first 2 shown]
	s_waitcnt vmcnt(0)
	buffer_store_dword v56, v1, s[0:3], 0 offen
.LBB22_186:
	global_load_dword v0, v0, s[20:21] offset:16
	s_waitcnt vmcnt(0)
	v_add_nc_u32_e32 v0, -1, v0
	v_cmp_eq_u32_e32 vcc_lo, 4, v0
	s_cbranch_vccnz .LBB22_188
; %bb.187:
	v_lshlrev_b32_e32 v0, 4, v0
	v_mov_b32_e32 v1, s30
	v_add_nc_u32_e32 v0, 16, v0
	s_clause 0x7
	buffer_load_dword v2, v0, s[0:3], 0 offen
	buffer_load_dword v3, v0, s[0:3], 0 offen offset:4
	buffer_load_dword v4, v0, s[0:3], 0 offen offset:8
	;; [unrolled: 1-line block ×6, first 2 shown]
	buffer_load_dword v55, v1, s[0:3], 0 offen
	s_waitcnt vmcnt(7)
	buffer_store_dword v2, v1, s[0:3], 0 offen
	s_waitcnt vmcnt(6)
	buffer_store_dword v3, v1, s[0:3], 0 offen offset:4
	s_waitcnt vmcnt(5)
	buffer_store_dword v4, v1, s[0:3], 0 offen offset:8
	;; [unrolled: 2-line block ×6, first 2 shown]
	s_waitcnt vmcnt(0)
	buffer_store_dword v55, v0, s[0:3], 0 offen
.LBB22_188:
	v_mov_b32_e32 v0, 0
	global_load_dword v1, v0, s[20:21] offset:12
	s_waitcnt vmcnt(0)
	v_add_nc_u32_e32 v1, -1, v1
	v_cmp_eq_u32_e32 vcc_lo, 3, v1
	s_cbranch_vccnz .LBB22_190
; %bb.189:
	v_lshlrev_b32_e32 v1, 4, v1
	v_mov_b32_e32 v2, s31
	v_add_nc_u32_e32 v1, 16, v1
	s_clause 0x7
	buffer_load_dword v3, v1, s[0:3], 0 offen
	buffer_load_dword v4, v1, s[0:3], 0 offen offset:4
	buffer_load_dword v5, v1, s[0:3], 0 offen offset:8
	;; [unrolled: 1-line block ×6, first 2 shown]
	buffer_load_dword v56, v2, s[0:3], 0 offen
	s_waitcnt vmcnt(7)
	buffer_store_dword v3, v2, s[0:3], 0 offen
	s_waitcnt vmcnt(6)
	buffer_store_dword v4, v2, s[0:3], 0 offen offset:4
	s_waitcnt vmcnt(5)
	buffer_store_dword v5, v2, s[0:3], 0 offen offset:8
	;; [unrolled: 2-line block ×6, first 2 shown]
	s_waitcnt vmcnt(0)
	buffer_store_dword v56, v1, s[0:3], 0 offen
.LBB22_190:
	global_load_dword v0, v0, s[20:21] offset:8
	s_waitcnt vmcnt(0)
	v_add_nc_u32_e32 v0, -1, v0
	v_cmp_eq_u32_e32 vcc_lo, 2, v0
	s_cbranch_vccnz .LBB22_192
; %bb.191:
	v_lshlrev_b32_e32 v0, 4, v0
	v_mov_b32_e32 v1, s33
	v_add_nc_u32_e32 v0, 16, v0
	s_clause 0x7
	buffer_load_dword v2, v0, s[0:3], 0 offen
	buffer_load_dword v3, v0, s[0:3], 0 offen offset:4
	buffer_load_dword v4, v0, s[0:3], 0 offen offset:8
	;; [unrolled: 1-line block ×6, first 2 shown]
	buffer_load_dword v55, v1, s[0:3], 0 offen
	s_waitcnt vmcnt(7)
	buffer_store_dword v2, v1, s[0:3], 0 offen
	s_waitcnt vmcnt(6)
	buffer_store_dword v3, v1, s[0:3], 0 offen offset:4
	s_waitcnt vmcnt(5)
	buffer_store_dword v4, v1, s[0:3], 0 offen offset:8
	;; [unrolled: 2-line block ×6, first 2 shown]
	s_waitcnt vmcnt(0)
	buffer_store_dword v55, v0, s[0:3], 0 offen
.LBB22_192:
	v_mov_b32_e32 v0, 0
	global_load_dword v1, v0, s[20:21] offset:4
	s_waitcnt vmcnt(0)
	v_add_nc_u32_e32 v1, -1, v1
	v_cmp_eq_u32_e32 vcc_lo, 1, v1
	s_cbranch_vccnz .LBB22_194
; %bb.193:
	v_lshlrev_b32_e32 v1, 4, v1
	v_mov_b32_e32 v2, s34
	v_add_nc_u32_e32 v1, 16, v1
	s_clause 0x7
	buffer_load_dword v3, v1, s[0:3], 0 offen
	buffer_load_dword v4, v1, s[0:3], 0 offen offset:4
	buffer_load_dword v5, v1, s[0:3], 0 offen offset:8
	;; [unrolled: 1-line block ×6, first 2 shown]
	buffer_load_dword v56, v2, s[0:3], 0 offen
	s_waitcnt vmcnt(7)
	buffer_store_dword v3, v2, s[0:3], 0 offen
	s_waitcnt vmcnt(6)
	buffer_store_dword v4, v2, s[0:3], 0 offen offset:4
	s_waitcnt vmcnt(5)
	buffer_store_dword v5, v2, s[0:3], 0 offen offset:8
	;; [unrolled: 2-line block ×6, first 2 shown]
	s_waitcnt vmcnt(0)
	buffer_store_dword v56, v1, s[0:3], 0 offen
.LBB22_194:
	global_load_dword v0, v0, s[20:21]
	s_waitcnt vmcnt(0)
	v_add_nc_u32_e32 v0, -1, v0
	v_cmp_eq_u32_e32 vcc_lo, 0, v0
	s_cbranch_vccnz .LBB22_196
; %bb.195:
	v_lshlrev_b32_e32 v0, 4, v0
	v_add_nc_u32_e32 v0, 16, v0
	s_clause 0x7
	buffer_load_dword v1, v0, s[0:3], 0 offen
	buffer_load_dword v2, v0, s[0:3], 0 offen offset:4
	buffer_load_dword v3, v0, s[0:3], 0 offen offset:8
	;; [unrolled: 1-line block ×3, first 2 shown]
	buffer_load_dword v5, off, s[0:3], 0 offset:28
	buffer_load_dword v6, off, s[0:3], 0 offset:24
	;; [unrolled: 1-line block ×4, first 2 shown]
	s_waitcnt vmcnt(7)
	buffer_store_dword v1, off, s[0:3], 0 offset:16
	s_waitcnt vmcnt(6)
	buffer_store_dword v2, off, s[0:3], 0 offset:20
	;; [unrolled: 2-line block ×4, first 2 shown]
	s_waitcnt vmcnt(3)
	buffer_store_dword v5, v0, s[0:3], 0 offen offset:12
	s_waitcnt vmcnt(2)
	buffer_store_dword v6, v0, s[0:3], 0 offen offset:8
	;; [unrolled: 2-line block ×3, first 2 shown]
	s_waitcnt vmcnt(0)
	buffer_store_dword v8, v0, s[0:3], 0 offen
.LBB22_196:
	v_mov_b32_e32 v8, s33
	v_mov_b32_e32 v66, s30
	;; [unrolled: 1-line block ×7, first 2 shown]
	s_clause 0xf
	buffer_load_dword v0, off, s[0:3], 0 offset:16
	buffer_load_dword v1, off, s[0:3], 0 offset:20
	;; [unrolled: 1-line block ×4, first 2 shown]
	buffer_load_dword v4, v7, s[0:3], 0 offen
	buffer_load_dword v5, v7, s[0:3], 0 offen offset:4
	buffer_load_dword v6, v7, s[0:3], 0 offen offset:8
	buffer_load_dword v7, v7, s[0:3], 0 offen offset:12
	buffer_load_dword v55, v8, s[0:3], 0 offen
	buffer_load_dword v56, v8, s[0:3], 0 offen offset:4
	buffer_load_dword v57, v8, s[0:3], 0 offen offset:8
	buffer_load_dword v58, v8, s[0:3], 0 offen offset:12
	;; [unrolled: 4-line block ×3, first 2 shown]
	v_mov_b32_e32 v8, s29
	v_mov_b32_e32 v98, s22
	s_clause 0x7
	buffer_load_dword v63, v66, s[0:3], 0 offen
	buffer_load_dword v64, v66, s[0:3], 0 offen offset:4
	buffer_load_dword v65, v66, s[0:3], 0 offen offset:8
	buffer_load_dword v66, v66, s[0:3], 0 offen offset:12
	buffer_load_dword v67, v8, s[0:3], 0 offen
	buffer_load_dword v68, v8, s[0:3], 0 offen offset:4
	buffer_load_dword v69, v8, s[0:3], 0 offen offset:8
	buffer_load_dword v70, v8, s[0:3], 0 offen offset:12
	v_mov_b32_e32 v8, s27
	v_mov_b32_e32 v106, s18
	s_clause 0x7
	buffer_load_dword v71, v74, s[0:3], 0 offen
	buffer_load_dword v72, v74, s[0:3], 0 offen offset:4
	buffer_load_dword v73, v74, s[0:3], 0 offen offset:8
	buffer_load_dword v74, v74, s[0:3], 0 offen offset:12
	buffer_load_dword v75, v8, s[0:3], 0 offen
	buffer_load_dword v76, v8, s[0:3], 0 offen offset:4
	buffer_load_dword v77, v8, s[0:3], 0 offen offset:8
	buffer_load_dword v78, v8, s[0:3], 0 offen offset:12
	;; [unrolled: 11-line block ×5, first 2 shown]
	v_mov_b32_e32 v8, s17
	s_clause 0x7
	buffer_load_dword v103, v106, s[0:3], 0 offen
	buffer_load_dword v104, v106, s[0:3], 0 offen offset:4
	buffer_load_dword v105, v106, s[0:3], 0 offen offset:8
	buffer_load_dword v106, v106, s[0:3], 0 offen offset:12
	buffer_load_dword v107, v8, s[0:3], 0 offen
	buffer_load_dword v108, v8, s[0:3], 0 offen offset:4
	buffer_load_dword v109, v8, s[0:3], 0 offen offset:8
	buffer_load_dword v110, v8, s[0:3], 0 offen offset:12
	v_mov_b32_e32 v8, s15
	s_clause 0x7
	buffer_load_dword v111, v114, s[0:3], 0 offen
	buffer_load_dword v112, v114, s[0:3], 0 offen offset:4
	buffer_load_dword v113, v114, s[0:3], 0 offen offset:8
	buffer_load_dword v114, v114, s[0:3], 0 offen offset:12
	buffer_load_dword v115, v8, s[0:3], 0 offen
	buffer_load_dword v116, v8, s[0:3], 0 offen offset:4
	buffer_load_dword v117, v8, s[0:3], 0 offen offset:8
	buffer_load_dword v118, v8, s[0:3], 0 offen offset:12
	;; [unrolled: 10-line block ×3, first 2 shown]
	v_mov_b32_e32 v8, s9
	v_mov_b32_e32 v138, s8
	s_clause 0xb
	buffer_load_dword v127, v130, s[0:3], 0 offen
	buffer_load_dword v128, v130, s[0:3], 0 offen offset:4
	buffer_load_dword v129, v130, s[0:3], 0 offen offset:8
	buffer_load_dword v130, v130, s[0:3], 0 offen offset:12
	buffer_load_dword v131, v8, s[0:3], 0 offen
	buffer_load_dword v132, v8, s[0:3], 0 offen offset:4
	buffer_load_dword v133, v8, s[0:3], 0 offen offset:8
	buffer_load_dword v134, v8, s[0:3], 0 offen offset:12
	;; [unrolled: 4-line block ×3, first 2 shown]
	s_waitcnt vmcnt(62)
	global_store_dwordx4 v[9:10], v[0:3], off
	global_store_dwordx4 v[11:12], v[4:7], off
	;; [unrolled: 1-line block ×7, first 2 shown]
	s_waitcnt vmcnt(60)
	global_store_dwordx4 v[23:24], v[75:78], off
	s_waitcnt vmcnt(56)
	global_store_dwordx4 v[25:26], v[79:82], off
	;; [unrolled: 2-line block ×16, first 2 shown]
	s_endpgm
	.section	.rodata,"a",@progbits
	.p2align	6, 0x0
	.amdhsa_kernel _ZN9rocsolver6v33100L18getri_kernel_smallILi23E19rocblas_complex_numIdEPS3_EEvT1_iilPiilS6_bb
		.amdhsa_group_segment_fixed_size 744
		.amdhsa_private_segment_fixed_size 400
		.amdhsa_kernarg_size 60
		.amdhsa_user_sgpr_count 6
		.amdhsa_user_sgpr_private_segment_buffer 1
		.amdhsa_user_sgpr_dispatch_ptr 0
		.amdhsa_user_sgpr_queue_ptr 0
		.amdhsa_user_sgpr_kernarg_segment_ptr 1
		.amdhsa_user_sgpr_dispatch_id 0
		.amdhsa_user_sgpr_flat_scratch_init 0
		.amdhsa_user_sgpr_private_segment_size 0
		.amdhsa_wavefront_size32 1
		.amdhsa_uses_dynamic_stack 0
		.amdhsa_system_sgpr_private_segment_wavefront_offset 1
		.amdhsa_system_sgpr_workgroup_id_x 1
		.amdhsa_system_sgpr_workgroup_id_y 0
		.amdhsa_system_sgpr_workgroup_id_z 0
		.amdhsa_system_sgpr_workgroup_info 0
		.amdhsa_system_vgpr_workitem_id 0
		.amdhsa_next_free_vgpr 142
		.amdhsa_next_free_sgpr 45
		.amdhsa_reserve_vcc 1
		.amdhsa_reserve_flat_scratch 0
		.amdhsa_float_round_mode_32 0
		.amdhsa_float_round_mode_16_64 0
		.amdhsa_float_denorm_mode_32 3
		.amdhsa_float_denorm_mode_16_64 3
		.amdhsa_dx10_clamp 1
		.amdhsa_ieee_mode 1
		.amdhsa_fp16_overflow 0
		.amdhsa_workgroup_processor_mode 1
		.amdhsa_memory_ordered 1
		.amdhsa_forward_progress 1
		.amdhsa_shared_vgpr_count 0
		.amdhsa_exception_fp_ieee_invalid_op 0
		.amdhsa_exception_fp_denorm_src 0
		.amdhsa_exception_fp_ieee_div_zero 0
		.amdhsa_exception_fp_ieee_overflow 0
		.amdhsa_exception_fp_ieee_underflow 0
		.amdhsa_exception_fp_ieee_inexact 0
		.amdhsa_exception_int_div_zero 0
	.end_amdhsa_kernel
	.section	.text._ZN9rocsolver6v33100L18getri_kernel_smallILi23E19rocblas_complex_numIdEPS3_EEvT1_iilPiilS6_bb,"axG",@progbits,_ZN9rocsolver6v33100L18getri_kernel_smallILi23E19rocblas_complex_numIdEPS3_EEvT1_iilPiilS6_bb,comdat
.Lfunc_end22:
	.size	_ZN9rocsolver6v33100L18getri_kernel_smallILi23E19rocblas_complex_numIdEPS3_EEvT1_iilPiilS6_bb, .Lfunc_end22-_ZN9rocsolver6v33100L18getri_kernel_smallILi23E19rocblas_complex_numIdEPS3_EEvT1_iilPiilS6_bb
                                        ; -- End function
	.set _ZN9rocsolver6v33100L18getri_kernel_smallILi23E19rocblas_complex_numIdEPS3_EEvT1_iilPiilS6_bb.num_vgpr, 142
	.set _ZN9rocsolver6v33100L18getri_kernel_smallILi23E19rocblas_complex_numIdEPS3_EEvT1_iilPiilS6_bb.num_agpr, 0
	.set _ZN9rocsolver6v33100L18getri_kernel_smallILi23E19rocblas_complex_numIdEPS3_EEvT1_iilPiilS6_bb.numbered_sgpr, 45
	.set _ZN9rocsolver6v33100L18getri_kernel_smallILi23E19rocblas_complex_numIdEPS3_EEvT1_iilPiilS6_bb.num_named_barrier, 0
	.set _ZN9rocsolver6v33100L18getri_kernel_smallILi23E19rocblas_complex_numIdEPS3_EEvT1_iilPiilS6_bb.private_seg_size, 400
	.set _ZN9rocsolver6v33100L18getri_kernel_smallILi23E19rocblas_complex_numIdEPS3_EEvT1_iilPiilS6_bb.uses_vcc, 1
	.set _ZN9rocsolver6v33100L18getri_kernel_smallILi23E19rocblas_complex_numIdEPS3_EEvT1_iilPiilS6_bb.uses_flat_scratch, 0
	.set _ZN9rocsolver6v33100L18getri_kernel_smallILi23E19rocblas_complex_numIdEPS3_EEvT1_iilPiilS6_bb.has_dyn_sized_stack, 0
	.set _ZN9rocsolver6v33100L18getri_kernel_smallILi23E19rocblas_complex_numIdEPS3_EEvT1_iilPiilS6_bb.has_recursion, 0
	.set _ZN9rocsolver6v33100L18getri_kernel_smallILi23E19rocblas_complex_numIdEPS3_EEvT1_iilPiilS6_bb.has_indirect_call, 0
	.section	.AMDGPU.csdata,"",@progbits
; Kernel info:
; codeLenInByte = 46216
; TotalNumSgprs: 47
; NumVgprs: 142
; ScratchSize: 400
; MemoryBound: 0
; FloatMode: 240
; IeeeMode: 1
; LDSByteSize: 744 bytes/workgroup (compile time only)
; SGPRBlocks: 0
; VGPRBlocks: 17
; NumSGPRsForWavesPerEU: 47
; NumVGPRsForWavesPerEU: 142
; Occupancy: 7
; WaveLimiterHint : 1
; COMPUTE_PGM_RSRC2:SCRATCH_EN: 1
; COMPUTE_PGM_RSRC2:USER_SGPR: 6
; COMPUTE_PGM_RSRC2:TRAP_HANDLER: 0
; COMPUTE_PGM_RSRC2:TGID_X_EN: 1
; COMPUTE_PGM_RSRC2:TGID_Y_EN: 0
; COMPUTE_PGM_RSRC2:TGID_Z_EN: 0
; COMPUTE_PGM_RSRC2:TIDIG_COMP_CNT: 0
	.section	.text._ZN9rocsolver6v33100L18getri_kernel_smallILi24E19rocblas_complex_numIdEPS3_EEvT1_iilPiilS6_bb,"axG",@progbits,_ZN9rocsolver6v33100L18getri_kernel_smallILi24E19rocblas_complex_numIdEPS3_EEvT1_iilPiilS6_bb,comdat
	.globl	_ZN9rocsolver6v33100L18getri_kernel_smallILi24E19rocblas_complex_numIdEPS3_EEvT1_iilPiilS6_bb ; -- Begin function _ZN9rocsolver6v33100L18getri_kernel_smallILi24E19rocblas_complex_numIdEPS3_EEvT1_iilPiilS6_bb
	.p2align	8
	.type	_ZN9rocsolver6v33100L18getri_kernel_smallILi24E19rocblas_complex_numIdEPS3_EEvT1_iilPiilS6_bb,@function
_ZN9rocsolver6v33100L18getri_kernel_smallILi24E19rocblas_complex_numIdEPS3_EEvT1_iilPiilS6_bb: ; @_ZN9rocsolver6v33100L18getri_kernel_smallILi24E19rocblas_complex_numIdEPS3_EEvT1_iilPiilS6_bb
; %bb.0:
	s_add_u32 s0, s0, s7
	s_addc_u32 s1, s1, 0
	s_mov_b32 s7, exec_lo
	v_cmpx_gt_u32_e32 24, v0
	s_cbranch_execz .LBB23_110
; %bb.1:
	s_clause 0x2
	s_load_dword s7, s[4:5], 0x38
	s_load_dwordx4 s[16:19], s[4:5], 0x10
	s_load_dwordx4 s[8:11], s[4:5], 0x28
                                        ; implicit-def: $sgpr20_sgpr21
	s_waitcnt lgkmcnt(0)
	s_bitcmp1_b32 s7, 8
	s_cselect_b32 s34, -1, 0
	s_bfe_u32 s12, s7, 0x10008
	s_ashr_i32 s7, s6, 31
	s_cmp_eq_u32 s12, 0
	s_cbranch_scc1 .LBB23_3
; %bb.2:
	s_load_dword s12, s[4:5], 0x20
	s_mul_i32 s13, s8, s7
	s_mul_hi_u32 s14, s8, s6
	s_mul_i32 s9, s9, s6
	s_add_i32 s13, s14, s13
	s_mul_i32 s8, s8, s6
	s_add_i32 s9, s13, s9
	s_lshl_b64 s[8:9], s[8:9], 2
	s_waitcnt lgkmcnt(0)
	s_ashr_i32 s13, s12, 31
	s_add_u32 s14, s18, s8
	s_addc_u32 s15, s19, s9
	s_lshl_b64 s[8:9], s[12:13], 2
	s_add_u32 s20, s14, s8
	s_addc_u32 s21, s15, s9
.LBB23_3:
	s_clause 0x1
	s_load_dwordx4 s[12:15], s[4:5], 0x0
	s_load_dword s37, s[4:5], 0x38
	s_mul_i32 s4, s16, s7
	s_mul_hi_u32 s5, s16, s6
	s_mul_i32 s8, s17, s6
	s_add_i32 s5, s5, s4
	s_mul_i32 s4, s16, s6
	s_add_i32 s5, s5, s8
	v_lshlrev_b32_e32 v59, 4, v0
	s_lshl_b64 s[4:5], s[4:5], 4
	s_movk_i32 s16, 0xc0
	s_movk_i32 s17, 0xd0
	;; [unrolled: 1-line block ×10, first 2 shown]
	s_waitcnt lgkmcnt(0)
	s_ashr_i32 s9, s14, 31
	s_mov_b32 s8, s14
	s_add_u32 s12, s12, s4
	s_addc_u32 s13, s13, s5
	s_lshl_b64 s[4:5], s[8:9], 4
	s_mov_b32 s8, s15
	s_add_u32 s4, s12, s4
	s_addc_u32 s5, s13, s5
	v_add_co_u32 v9, s12, s4, v59
	global_load_dwordx4 v[1:4], v59, s[4:5]
	s_ashr_i32 s9, s15, 31
	v_add_co_ci_u32_e64 v10, null, s5, 0, s12
	s_lshl_b64 s[8:9], s[8:9], 4
	v_add3_u32 v13, s15, s15, v0
	v_add_co_u32 v11, vcc_lo, v9, s8
	v_add_co_ci_u32_e64 v12, null, s9, v10, vcc_lo
	v_add_nc_u32_e32 v15, s15, v13
	v_ashrrev_i32_e32 v14, 31, v13
	s_movk_i32 s8, 0x60
	global_load_dwordx4 v[5:8], v[11:12], off
	s_movk_i32 s9, 0x70
	v_add_nc_u32_e32 v17, s15, v15
	v_ashrrev_i32_e32 v16, 31, v15
	v_lshlrev_b64 v[13:14], 4, v[13:14]
	s_movk_i32 s12, 0x80
	s_movk_i32 s13, 0x90
	v_add_nc_u32_e32 v19, s15, v17
	v_ashrrev_i32_e32 v18, 31, v17
	v_lshlrev_b64 v[15:16], 4, v[15:16]
	v_add_co_u32 v13, vcc_lo, s4, v13
	v_add_nc_u32_e32 v21, s15, v19
	v_ashrrev_i32_e32 v20, 31, v19
	v_lshlrev_b64 v[17:18], 4, v[17:18]
	v_add_co_ci_u32_e64 v14, null, s5, v14, vcc_lo
	v_add_nc_u32_e32 v23, s15, v21
	v_ashrrev_i32_e32 v22, 31, v21
	v_lshlrev_b64 v[19:20], 4, v[19:20]
	v_add_co_u32 v15, vcc_lo, s4, v15
	v_add_nc_u32_e32 v25, s15, v23
	v_ashrrev_i32_e32 v24, 31, v23
	v_lshlrev_b64 v[21:22], 4, v[21:22]
	v_add_co_ci_u32_e64 v16, null, s5, v16, vcc_lo
	v_add_nc_u32_e32 v27, s15, v25
	v_ashrrev_i32_e32 v26, 31, v25
	v_add_co_u32 v17, vcc_lo, s4, v17
	v_lshlrev_b64 v[23:24], 4, v[23:24]
	v_add_nc_u32_e32 v29, s15, v27
	v_ashrrev_i32_e32 v28, 31, v27
	v_add_co_ci_u32_e64 v18, null, s5, v18, vcc_lo
	v_add_co_u32 v19, vcc_lo, s4, v19
	v_add_nc_u32_e32 v31, s15, v29
	v_ashrrev_i32_e32 v30, 31, v29
	v_lshlrev_b64 v[25:26], 4, v[25:26]
	v_add_co_ci_u32_e64 v20, null, s5, v20, vcc_lo
	v_add_nc_u32_e32 v33, s15, v31
	v_ashrrev_i32_e32 v32, 31, v31
	v_add_co_u32 v21, vcc_lo, s4, v21
	v_lshlrev_b64 v[27:28], 4, v[27:28]
	v_add_nc_u32_e32 v35, s15, v33
	v_ashrrev_i32_e32 v34, 31, v33
	v_add_co_ci_u32_e64 v22, null, s5, v22, vcc_lo
	v_add_co_u32 v23, vcc_lo, s4, v23
	v_add_nc_u32_e32 v37, s15, v35
	v_lshlrev_b64 v[29:30], 4, v[29:30]
	v_ashrrev_i32_e32 v36, 31, v35
	v_add_co_ci_u32_e64 v24, null, s5, v24, vcc_lo
	v_add_nc_u32_e32 v39, s15, v37
	v_add_co_u32 v25, vcc_lo, s4, v25
	v_lshlrev_b64 v[31:32], 4, v[31:32]
	v_ashrrev_i32_e32 v38, 31, v37
	v_add_nc_u32_e32 v41, s15, v39
	v_add_co_ci_u32_e64 v26, null, s5, v26, vcc_lo
	v_add_co_u32 v27, vcc_lo, s4, v27
	v_add_nc_u32_e32 v43, s15, v41
	v_lshlrev_b64 v[33:34], 4, v[33:34]
	v_ashrrev_i32_e32 v40, 31, v39
	v_add_co_ci_u32_e64 v28, null, s5, v28, vcc_lo
	v_add_nc_u32_e32 v45, s15, v43
	v_add_co_u32 v29, vcc_lo, s4, v29
	v_lshlrev_b64 v[35:36], 4, v[35:36]
	v_ashrrev_i32_e32 v42, 31, v41
	v_add_nc_u32_e32 v47, s15, v45
	v_add_co_ci_u32_e64 v30, null, s5, v30, vcc_lo
	v_add_co_u32 v31, vcc_lo, s4, v31
	v_add_nc_u32_e32 v49, s15, v47
	v_lshlrev_b64 v[37:38], 4, v[37:38]
	v_ashrrev_i32_e32 v44, 31, v43
	v_add_co_ci_u32_e64 v32, null, s5, v32, vcc_lo
	v_add_nc_u32_e32 v51, s15, v49
	v_add_co_u32 v33, vcc_lo, s4, v33
	v_lshlrev_b64 v[39:40], 4, v[39:40]
	v_ashrrev_i32_e32 v46, 31, v45
	v_add_co_ci_u32_e64 v34, null, s5, v34, vcc_lo
	v_add_co_u32 v35, vcc_lo, s4, v35
	v_lshlrev_b64 v[41:42], 4, v[41:42]
	v_ashrrev_i32_e32 v48, 31, v47
	v_add_co_ci_u32_e64 v36, null, s5, v36, vcc_lo
	v_add_co_u32 v37, vcc_lo, s4, v37
	v_lshlrev_b64 v[43:44], 4, v[43:44]
	v_add_nc_u32_e32 v53, s15, v51
	v_ashrrev_i32_e32 v50, 31, v49
	v_add_co_ci_u32_e64 v38, null, s5, v38, vcc_lo
	v_add_co_u32 v39, vcc_lo, s4, v39
	v_lshlrev_b64 v[45:46], 4, v[45:46]
	v_ashrrev_i32_e32 v52, 31, v51
	v_add_co_ci_u32_e64 v40, null, s5, v40, vcc_lo
	v_add_co_u32 v41, vcc_lo, s4, v41
	v_lshlrev_b64 v[47:48], 4, v[47:48]
	;; [unrolled: 4-line block ×3, first 2 shown]
	v_add_co_ci_u32_e64 v44, null, s5, v44, vcc_lo
	v_add_co_u32 v45, vcc_lo, s4, v45
	v_lshlrev_b64 v[51:52], 4, v[51:52]
	v_add_co_ci_u32_e64 v46, null, s5, v46, vcc_lo
	v_add_co_u32 v47, vcc_lo, s4, v47
	v_add_nc_u32_e32 v55, s15, v53
	v_lshlrev_b64 v[53:54], 4, v[53:54]
	v_add_co_ci_u32_e64 v48, null, s5, v48, vcc_lo
	v_add_co_u32 v49, vcc_lo, s4, v49
	v_add_co_ci_u32_e64 v50, null, s5, v50, vcc_lo
	v_add_co_u32 v51, vcc_lo, s4, v51
	;; [unrolled: 2-line block ×3, first 2 shown]
	v_add_co_ci_u32_e64 v54, null, s5, v54, vcc_lo
	s_clause 0x12
	global_load_dwordx4 v[60:63], v[13:14], off
	global_load_dwordx4 v[64:67], v[15:16], off
	;; [unrolled: 1-line block ×19, first 2 shown]
	v_ashrrev_i32_e32 v56, 31, v55
	s_movk_i32 s14, 0xa0
	s_movk_i32 s15, 0xb0
	;; [unrolled: 1-line block ×4, first 2 shown]
	v_lshlrev_b64 v[55:56], 4, v[55:56]
	s_add_i32 s29, s8, 16
	s_add_i32 s28, s9, 16
	;; [unrolled: 1-line block ×5, first 2 shown]
	v_add_co_u32 v55, vcc_lo, s4, v55
	v_add_co_ci_u32_e64 v56, null, s5, v56, vcc_lo
	s_movk_i32 s4, 0x50
	s_add_i32 s24, s15, 16
	s_add_i32 s30, s4, 16
	;; [unrolled: 1-line block ×14, first 2 shown]
	s_mov_b32 s5, -1
	s_mov_b32 s36, 32
	s_mov_b32 s35, 48
	;; [unrolled: 1-line block ×3, first 2 shown]
	s_movk_i32 s31, 0x50
	s_bitcmp0_b32 s37, 0
	s_waitcnt vmcnt(20)
	buffer_store_dword v4, off, s[0:3], 0 offset:28
	buffer_store_dword v3, off, s[0:3], 0 offset:24
	;; [unrolled: 1-line block ×4, first 2 shown]
	s_clause 0x1
	global_load_dwordx4 v[1:4], v[51:52], off
	global_load_dwordx4 v[136:139], v[53:54], off
	s_waitcnt vmcnt(21)
	buffer_store_dword v8, off, s[0:3], 0 offset:44
	buffer_store_dword v7, off, s[0:3], 0 offset:40
	;; [unrolled: 1-line block ×4, first 2 shown]
	global_load_dwordx4 v[5:8], v[55:56], off
	s_waitcnt vmcnt(21)
	buffer_store_dword v63, off, s[0:3], 0 offset:60
	buffer_store_dword v62, off, s[0:3], 0 offset:56
	buffer_store_dword v61, off, s[0:3], 0 offset:52
	buffer_store_dword v60, off, s[0:3], 0 offset:48
	s_waitcnt vmcnt(20)
	buffer_store_dword v67, off, s[0:3], 0 offset:76
	buffer_store_dword v66, off, s[0:3], 0 offset:72
	buffer_store_dword v65, off, s[0:3], 0 offset:68
	buffer_store_dword v64, off, s[0:3], 0 offset:64
	;; [unrolled: 5-line block ×22, first 2 shown]
	s_cbranch_scc1 .LBB23_108
; %bb.4:
	v_cmp_eq_u32_e64 s4, 0, v0
	s_and_saveexec_b32 s5, s4
; %bb.5:
	v_mov_b32_e32 v1, 0
	ds_write_b32 v1, v1 offset:768
; %bb.6:
	s_or_b32 exec_lo, exec_lo, s5
	v_lshl_add_u32 v60, v0, 4, 16
	s_waitcnt lgkmcnt(0)
	s_waitcnt_vscnt null, 0x0
	s_barrier
	buffer_gl0_inv
	s_clause 0x3
	buffer_load_dword v1, v60, s[0:3], 0 offen
	buffer_load_dword v2, v60, s[0:3], 0 offen offset:4
	buffer_load_dword v3, v60, s[0:3], 0 offen offset:8
	;; [unrolled: 1-line block ×3, first 2 shown]
	s_waitcnt vmcnt(2)
	v_cmp_eq_f64_e32 vcc_lo, 0, v[1:2]
	s_waitcnt vmcnt(0)
	v_cmp_eq_f64_e64 s5, 0, v[3:4]
	s_and_b32 s5, vcc_lo, s5
	s_and_saveexec_b32 s37, s5
	s_cbranch_execz .LBB23_10
; %bb.7:
	v_mov_b32_e32 v1, 0
	s_mov_b32 s38, 0
	ds_read_b32 v2, v1 offset:768
	s_waitcnt lgkmcnt(0)
	v_readfirstlane_b32 s5, v2
	v_add_nc_u32_e32 v2, 1, v0
	s_cmp_eq_u32 s5, 0
	v_cmp_gt_i32_e32 vcc_lo, s5, v2
	s_cselect_b32 s39, -1, 0
	s_or_b32 s39, s39, vcc_lo
	s_and_b32 exec_lo, exec_lo, s39
	s_cbranch_execz .LBB23_10
; %bb.8:
	v_mov_b32_e32 v3, s5
.LBB23_9:                               ; =>This Inner Loop Header: Depth=1
	ds_cmpst_rtn_b32 v3, v1, v3, v2 offset:768
	s_waitcnt lgkmcnt(0)
	v_cmp_ne_u32_e32 vcc_lo, 0, v3
	v_cmp_le_i32_e64 s5, v3, v2
	s_and_b32 s5, vcc_lo, s5
	s_and_b32 s5, exec_lo, s5
	s_or_b32 s38, s5, s38
	s_andn2_b32 exec_lo, exec_lo, s38
	s_cbranch_execnz .LBB23_9
.LBB23_10:
	s_or_b32 exec_lo, exec_lo, s37
	v_mov_b32_e32 v1, 0
	s_barrier
	buffer_gl0_inv
	ds_read_b32 v2, v1 offset:768
	s_and_saveexec_b32 s5, s4
	s_cbranch_execz .LBB23_12
; %bb.11:
	s_lshl_b64 s[38:39], s[6:7], 2
	s_add_u32 s38, s10, s38
	s_addc_u32 s39, s11, s39
	s_waitcnt lgkmcnt(0)
	global_store_dword v1, v2, s[38:39]
.LBB23_12:
	s_or_b32 exec_lo, exec_lo, s5
	s_waitcnt lgkmcnt(0)
	v_cmp_ne_u32_e32 vcc_lo, 0, v2
	s_mov_b32 s5, 0
	s_cbranch_vccnz .LBB23_108
; %bb.13:
	s_clause 0x3
	buffer_load_dword v7, v60, s[0:3], 0 offen
	buffer_load_dword v8, v60, s[0:3], 0 offen offset:4
	buffer_load_dword v57, v60, s[0:3], 0 offen offset:8
	;; [unrolled: 1-line block ×3, first 2 shown]
                                        ; implicit-def: $vgpr5_vgpr6
                                        ; implicit-def: $vgpr3_vgpr4
	s_waitcnt vmcnt(0)
	v_cmp_ngt_f64_e64 s5, |v[7:8]|, |v[57:58]|
	s_and_saveexec_b32 s37, s5
	s_xor_b32 s5, exec_lo, s37
	s_cbranch_execz .LBB23_15
; %bb.14:
	v_div_scale_f64 v[1:2], null, v[57:58], v[57:58], v[7:8]
	v_div_scale_f64 v[61:62], vcc_lo, v[7:8], v[57:58], v[7:8]
	v_rcp_f64_e32 v[3:4], v[1:2]
	v_fma_f64 v[5:6], -v[1:2], v[3:4], 1.0
	v_fma_f64 v[3:4], v[3:4], v[5:6], v[3:4]
	v_fma_f64 v[5:6], -v[1:2], v[3:4], 1.0
	v_fma_f64 v[3:4], v[3:4], v[5:6], v[3:4]
	v_mul_f64 v[5:6], v[61:62], v[3:4]
	v_fma_f64 v[1:2], -v[1:2], v[5:6], v[61:62]
	v_div_fmas_f64 v[1:2], v[1:2], v[3:4], v[5:6]
	v_div_fixup_f64 v[1:2], v[1:2], v[57:58], v[7:8]
	v_fma_f64 v[3:4], v[7:8], v[1:2], v[57:58]
	v_div_scale_f64 v[5:6], null, v[3:4], v[3:4], 1.0
	v_div_scale_f64 v[61:62], vcc_lo, 1.0, v[3:4], 1.0
	v_rcp_f64_e32 v[7:8], v[5:6]
	v_fma_f64 v[57:58], -v[5:6], v[7:8], 1.0
	v_fma_f64 v[7:8], v[7:8], v[57:58], v[7:8]
	v_fma_f64 v[57:58], -v[5:6], v[7:8], 1.0
	v_fma_f64 v[7:8], v[7:8], v[57:58], v[7:8]
	v_mul_f64 v[57:58], v[61:62], v[7:8]
	v_fma_f64 v[5:6], -v[5:6], v[57:58], v[61:62]
	v_div_fmas_f64 v[5:6], v[5:6], v[7:8], v[57:58]
                                        ; implicit-def: $vgpr7_vgpr8
                                        ; implicit-def: $vgpr57_vgpr58
	v_div_fixup_f64 v[3:4], v[5:6], v[3:4], 1.0
	v_mul_f64 v[5:6], v[1:2], v[3:4]
	v_xor_b32_e32 v4, 0x80000000, v4
	v_xor_b32_e32 v2, 0x80000000, v6
	v_mov_b32_e32 v1, v5
.LBB23_15:
	s_andn2_saveexec_b32 s5, s5
	s_cbranch_execz .LBB23_17
; %bb.16:
	v_div_scale_f64 v[1:2], null, v[7:8], v[7:8], v[57:58]
	v_div_scale_f64 v[61:62], vcc_lo, v[57:58], v[7:8], v[57:58]
	v_rcp_f64_e32 v[3:4], v[1:2]
	v_fma_f64 v[5:6], -v[1:2], v[3:4], 1.0
	v_fma_f64 v[3:4], v[3:4], v[5:6], v[3:4]
	v_fma_f64 v[5:6], -v[1:2], v[3:4], 1.0
	v_fma_f64 v[3:4], v[3:4], v[5:6], v[3:4]
	v_mul_f64 v[5:6], v[61:62], v[3:4]
	v_fma_f64 v[1:2], -v[1:2], v[5:6], v[61:62]
	v_div_fmas_f64 v[1:2], v[1:2], v[3:4], v[5:6]
	v_div_fixup_f64 v[1:2], v[1:2], v[7:8], v[57:58]
	v_fma_f64 v[3:4], v[57:58], v[1:2], v[7:8]
	v_div_scale_f64 v[5:6], null, v[3:4], v[3:4], 1.0
	v_rcp_f64_e32 v[7:8], v[5:6]
	v_fma_f64 v[57:58], -v[5:6], v[7:8], 1.0
	v_fma_f64 v[7:8], v[7:8], v[57:58], v[7:8]
	v_fma_f64 v[57:58], -v[5:6], v[7:8], 1.0
	v_fma_f64 v[7:8], v[7:8], v[57:58], v[7:8]
	v_div_scale_f64 v[57:58], vcc_lo, 1.0, v[3:4], 1.0
	v_mul_f64 v[61:62], v[57:58], v[7:8]
	v_fma_f64 v[5:6], -v[5:6], v[61:62], v[57:58]
	v_div_fmas_f64 v[5:6], v[5:6], v[7:8], v[61:62]
	v_div_fixup_f64 v[5:6], v[5:6], v[3:4], 1.0
	v_mul_f64 v[3:4], v[1:2], -v[5:6]
	v_xor_b32_e32 v2, 0x80000000, v6
	v_mov_b32_e32 v1, v5
.LBB23_17:
	s_or_b32 exec_lo, exec_lo, s5
	v_mov_b32_e32 v7, s36
	buffer_store_dword v6, v60, s[0:3], 0 offen offset:4
	buffer_store_dword v5, v60, s[0:3], 0 offen
	buffer_store_dword v4, v60, s[0:3], 0 offen offset:12
	buffer_store_dword v3, v60, s[0:3], 0 offen offset:8
	v_xor_b32_e32 v4, 0x80000000, v4
	v_add_nc_u32_e32 v5, 0x180, v59
	s_clause 0x3
	buffer_load_dword v64, v7, s[0:3], 0 offen offset:12
	buffer_load_dword v63, v7, s[0:3], 0 offen offset:8
	;; [unrolled: 1-line block ×3, first 2 shown]
	buffer_load_dword v61, v7, s[0:3], 0 offen
	ds_write_b128 v59, v[1:4]
	s_waitcnt vmcnt(0)
	ds_write_b128 v59, v[61:64] offset:384
	s_waitcnt lgkmcnt(0)
	s_waitcnt_vscnt null, 0x0
	s_barrier
	buffer_gl0_inv
	s_and_saveexec_b32 s5, s4
	s_cbranch_execz .LBB23_19
; %bb.18:
	s_clause 0x3
	buffer_load_dword v6, v60, s[0:3], 0 offen offset:8
	buffer_load_dword v7, v60, s[0:3], 0 offen offset:12
	buffer_load_dword v57, v60, s[0:3], 0 offen
	buffer_load_dword v58, v60, s[0:3], 0 offen offset:4
	ds_read_b128 v[1:4], v5
	v_mov_b32_e32 v8, 0
	ds_read_b128 v[61:64], v8 offset:16
	s_waitcnt vmcnt(2) lgkmcnt(1)
	v_mul_f64 v[65:66], v[1:2], v[6:7]
	v_mul_f64 v[6:7], v[3:4], v[6:7]
	s_waitcnt vmcnt(0)
	v_fma_f64 v[3:4], v[3:4], v[57:58], v[65:66]
	v_fma_f64 v[1:2], v[1:2], v[57:58], -v[6:7]
	v_add_f64 v[3:4], v[3:4], 0
	v_add_f64 v[1:2], v[1:2], 0
	s_waitcnt lgkmcnt(0)
	v_mul_f64 v[6:7], v[3:4], v[63:64]
	v_mul_f64 v[57:58], v[1:2], v[63:64]
	v_fma_f64 v[1:2], v[1:2], v[61:62], -v[6:7]
	v_fma_f64 v[3:4], v[3:4], v[61:62], v[57:58]
	buffer_store_dword v1, off, s[0:3], 0 offset:32
	buffer_store_dword v2, off, s[0:3], 0 offset:36
	;; [unrolled: 1-line block ×4, first 2 shown]
.LBB23_19:
	s_or_b32 exec_lo, exec_lo, s5
	v_mov_b32_e32 v4, s35
	s_waitcnt_vscnt null, 0x0
	s_barrier
	buffer_gl0_inv
	s_mov_b32 s5, exec_lo
	s_clause 0x3
	buffer_load_dword v1, v4, s[0:3], 0 offen
	buffer_load_dword v2, v4, s[0:3], 0 offen offset:4
	buffer_load_dword v3, v4, s[0:3], 0 offen offset:8
	;; [unrolled: 1-line block ×3, first 2 shown]
	s_waitcnt vmcnt(0)
	ds_write_b128 v5, v[1:4]
	s_waitcnt lgkmcnt(0)
	s_barrier
	buffer_gl0_inv
	v_cmpx_gt_u32_e32 2, v0
	s_cbranch_execz .LBB23_23
; %bb.20:
	s_clause 0x3
	buffer_load_dword v6, v60, s[0:3], 0 offen offset:8
	buffer_load_dword v7, v60, s[0:3], 0 offen offset:12
	buffer_load_dword v57, v60, s[0:3], 0 offen
	buffer_load_dword v58, v60, s[0:3], 0 offen offset:4
	ds_read_b128 v[1:4], v5
	s_waitcnt vmcnt(2) lgkmcnt(0)
	v_mul_f64 v[60:61], v[3:4], v[6:7]
	v_mul_f64 v[6:7], v[1:2], v[6:7]
	s_waitcnt vmcnt(0)
	v_fma_f64 v[1:2], v[1:2], v[57:58], -v[60:61]
	v_fma_f64 v[3:4], v[3:4], v[57:58], v[6:7]
	v_add_f64 v[1:2], v[1:2], 0
	v_add_f64 v[3:4], v[3:4], 0
	s_and_saveexec_b32 s37, s4
	s_cbranch_execz .LBB23_22
; %bb.21:
	s_clause 0x3
	buffer_load_dword v6, off, s[0:3], 0 offset:40
	buffer_load_dword v7, off, s[0:3], 0 offset:44
	buffer_load_dword v57, off, s[0:3], 0 offset:32
	buffer_load_dword v58, off, s[0:3], 0 offset:36
	v_mov_b32_e32 v8, 0
	ds_read_b128 v[60:63], v8 offset:400
	s_waitcnt vmcnt(2) lgkmcnt(0)
	v_mul_f64 v[64:65], v[60:61], v[6:7]
	v_mul_f64 v[6:7], v[62:63], v[6:7]
	s_waitcnt vmcnt(0)
	v_fma_f64 v[62:63], v[62:63], v[57:58], v[64:65]
	v_fma_f64 v[6:7], v[60:61], v[57:58], -v[6:7]
	v_add_f64 v[3:4], v[3:4], v[62:63]
	v_add_f64 v[1:2], v[1:2], v[6:7]
.LBB23_22:
	s_or_b32 exec_lo, exec_lo, s37
	v_mov_b32_e32 v6, 0
	ds_read_b128 v[60:63], v6 offset:32
	s_waitcnt lgkmcnt(0)
	v_mul_f64 v[6:7], v[3:4], v[62:63]
	v_mul_f64 v[57:58], v[1:2], v[62:63]
	v_fma_f64 v[1:2], v[1:2], v[60:61], -v[6:7]
	v_fma_f64 v[3:4], v[3:4], v[60:61], v[57:58]
	buffer_store_dword v2, off, s[0:3], 0 offset:52
	buffer_store_dword v1, off, s[0:3], 0 offset:48
	;; [unrolled: 1-line block ×4, first 2 shown]
.LBB23_23:
	s_or_b32 exec_lo, exec_lo, s5
	v_mov_b32_e32 v4, s33
	s_waitcnt_vscnt null, 0x0
	s_barrier
	buffer_gl0_inv
	v_add_nc_u32_e32 v6, -1, v0
	s_clause 0x3
	buffer_load_dword v1, v4, s[0:3], 0 offen
	buffer_load_dword v2, v4, s[0:3], 0 offen offset:4
	buffer_load_dword v3, v4, s[0:3], 0 offen offset:8
	buffer_load_dword v4, v4, s[0:3], 0 offen offset:12
	s_mov_b32 s4, exec_lo
	s_waitcnt vmcnt(0)
	ds_write_b128 v5, v[1:4]
	s_waitcnt lgkmcnt(0)
	s_barrier
	buffer_gl0_inv
	v_cmpx_gt_u32_e32 3, v0
	s_cbranch_execz .LBB23_27
; %bb.24:
	v_mov_b32_e32 v1, 0
	v_mov_b32_e32 v3, 0
	v_add_nc_u32_e32 v7, -1, v0
	v_add_nc_u32_e32 v8, 0x180, v59
	v_mov_b32_e32 v2, 0
	v_mov_b32_e32 v4, 0
	v_add_nc_u32_e32 v57, 16, v59
	s_mov_b32 s5, 0
	.p2align	6
.LBB23_25:                              ; =>This Inner Loop Header: Depth=1
	s_clause 0x3
	buffer_load_dword v64, v57, s[0:3], 0 offen offset:8
	buffer_load_dword v65, v57, s[0:3], 0 offen offset:12
	buffer_load_dword v66, v57, s[0:3], 0 offen
	buffer_load_dword v67, v57, s[0:3], 0 offen offset:4
	ds_read_b128 v[60:63], v8
	v_add_nc_u32_e32 v7, 1, v7
	v_add_nc_u32_e32 v8, 16, v8
	;; [unrolled: 1-line block ×3, first 2 shown]
	v_cmp_lt_u32_e32 vcc_lo, 1, v7
	s_or_b32 s5, vcc_lo, s5
	s_waitcnt vmcnt(2) lgkmcnt(0)
	v_mul_f64 v[68:69], v[62:63], v[64:65]
	v_mul_f64 v[64:65], v[60:61], v[64:65]
	s_waitcnt vmcnt(0)
	v_fma_f64 v[60:61], v[60:61], v[66:67], -v[68:69]
	v_fma_f64 v[62:63], v[62:63], v[66:67], v[64:65]
	v_add_f64 v[3:4], v[3:4], v[60:61]
	v_add_f64 v[1:2], v[1:2], v[62:63]
	s_andn2_b32 exec_lo, exec_lo, s5
	s_cbranch_execnz .LBB23_25
; %bb.26:
	s_or_b32 exec_lo, exec_lo, s5
	v_mov_b32_e32 v7, 0
	ds_read_b128 v[60:63], v7 offset:48
	s_waitcnt lgkmcnt(0)
	v_mul_f64 v[7:8], v[1:2], v[62:63]
	v_mul_f64 v[57:58], v[3:4], v[62:63]
	v_fma_f64 v[3:4], v[3:4], v[60:61], -v[7:8]
	v_fma_f64 v[1:2], v[1:2], v[60:61], v[57:58]
	buffer_store_dword v4, off, s[0:3], 0 offset:68
	buffer_store_dword v3, off, s[0:3], 0 offset:64
	;; [unrolled: 1-line block ×4, first 2 shown]
.LBB23_27:
	s_or_b32 exec_lo, exec_lo, s4
	v_mov_b32_e32 v4, s31
	s_waitcnt_vscnt null, 0x0
	s_barrier
	buffer_gl0_inv
	s_mov_b32 s4, exec_lo
	s_clause 0x3
	buffer_load_dword v1, v4, s[0:3], 0 offen
	buffer_load_dword v2, v4, s[0:3], 0 offen offset:4
	buffer_load_dword v3, v4, s[0:3], 0 offen offset:8
	;; [unrolled: 1-line block ×3, first 2 shown]
	s_waitcnt vmcnt(0)
	ds_write_b128 v5, v[1:4]
	s_waitcnt lgkmcnt(0)
	s_barrier
	buffer_gl0_inv
	v_cmpx_gt_u32_e32 4, v0
	s_cbranch_execz .LBB23_31
; %bb.28:
	v_mov_b32_e32 v1, 0
	v_mov_b32_e32 v3, 0
	v_add_nc_u32_e32 v7, -1, v0
	v_add_nc_u32_e32 v8, 0x180, v59
	v_mov_b32_e32 v2, 0
	v_mov_b32_e32 v4, 0
	v_add_nc_u32_e32 v57, 16, v59
	s_mov_b32 s5, 0
	.p2align	6
.LBB23_29:                              ; =>This Inner Loop Header: Depth=1
	s_clause 0x3
	buffer_load_dword v64, v57, s[0:3], 0 offen offset:8
	buffer_load_dword v65, v57, s[0:3], 0 offen offset:12
	buffer_load_dword v66, v57, s[0:3], 0 offen
	buffer_load_dword v67, v57, s[0:3], 0 offen offset:4
	ds_read_b128 v[60:63], v8
	v_add_nc_u32_e32 v7, 1, v7
	v_add_nc_u32_e32 v8, 16, v8
	;; [unrolled: 1-line block ×3, first 2 shown]
	v_cmp_lt_u32_e32 vcc_lo, 2, v7
	s_or_b32 s5, vcc_lo, s5
	s_waitcnt vmcnt(2) lgkmcnt(0)
	v_mul_f64 v[68:69], v[62:63], v[64:65]
	v_mul_f64 v[64:65], v[60:61], v[64:65]
	s_waitcnt vmcnt(0)
	v_fma_f64 v[60:61], v[60:61], v[66:67], -v[68:69]
	v_fma_f64 v[62:63], v[62:63], v[66:67], v[64:65]
	v_add_f64 v[3:4], v[3:4], v[60:61]
	v_add_f64 v[1:2], v[1:2], v[62:63]
	s_andn2_b32 exec_lo, exec_lo, s5
	s_cbranch_execnz .LBB23_29
; %bb.30:
	s_or_b32 exec_lo, exec_lo, s5
	v_mov_b32_e32 v7, 0
	ds_read_b128 v[60:63], v7 offset:64
	s_waitcnt lgkmcnt(0)
	v_mul_f64 v[7:8], v[1:2], v[62:63]
	v_mul_f64 v[57:58], v[3:4], v[62:63]
	v_fma_f64 v[3:4], v[3:4], v[60:61], -v[7:8]
	v_fma_f64 v[1:2], v[1:2], v[60:61], v[57:58]
	buffer_store_dword v4, off, s[0:3], 0 offset:84
	buffer_store_dword v3, off, s[0:3], 0 offset:80
	buffer_store_dword v2, off, s[0:3], 0 offset:92
	buffer_store_dword v1, off, s[0:3], 0 offset:88
.LBB23_31:
	s_or_b32 exec_lo, exec_lo, s4
	v_mov_b32_e32 v4, s30
	s_waitcnt_vscnt null, 0x0
	s_barrier
	buffer_gl0_inv
	s_mov_b32 s4, exec_lo
	s_clause 0x3
	buffer_load_dword v1, v4, s[0:3], 0 offen
	buffer_load_dword v2, v4, s[0:3], 0 offen offset:4
	buffer_load_dword v3, v4, s[0:3], 0 offen offset:8
	;; [unrolled: 1-line block ×3, first 2 shown]
	s_waitcnt vmcnt(0)
	ds_write_b128 v5, v[1:4]
	s_waitcnt lgkmcnt(0)
	s_barrier
	buffer_gl0_inv
	v_cmpx_gt_u32_e32 5, v0
	s_cbranch_execz .LBB23_35
; %bb.32:
	v_mov_b32_e32 v1, 0
	v_mov_b32_e32 v3, 0
	v_add_nc_u32_e32 v7, -1, v0
	v_add_nc_u32_e32 v8, 0x180, v59
	v_mov_b32_e32 v2, 0
	v_mov_b32_e32 v4, 0
	v_add_nc_u32_e32 v57, 16, v59
	s_mov_b32 s5, 0
	.p2align	6
.LBB23_33:                              ; =>This Inner Loop Header: Depth=1
	s_clause 0x3
	buffer_load_dword v64, v57, s[0:3], 0 offen offset:8
	buffer_load_dword v65, v57, s[0:3], 0 offen offset:12
	buffer_load_dword v66, v57, s[0:3], 0 offen
	buffer_load_dword v67, v57, s[0:3], 0 offen offset:4
	ds_read_b128 v[60:63], v8
	v_add_nc_u32_e32 v7, 1, v7
	v_add_nc_u32_e32 v8, 16, v8
	;; [unrolled: 1-line block ×3, first 2 shown]
	v_cmp_lt_u32_e32 vcc_lo, 3, v7
	s_or_b32 s5, vcc_lo, s5
	s_waitcnt vmcnt(2) lgkmcnt(0)
	v_mul_f64 v[68:69], v[62:63], v[64:65]
	v_mul_f64 v[64:65], v[60:61], v[64:65]
	s_waitcnt vmcnt(0)
	v_fma_f64 v[60:61], v[60:61], v[66:67], -v[68:69]
	v_fma_f64 v[62:63], v[62:63], v[66:67], v[64:65]
	v_add_f64 v[3:4], v[3:4], v[60:61]
	v_add_f64 v[1:2], v[1:2], v[62:63]
	s_andn2_b32 exec_lo, exec_lo, s5
	s_cbranch_execnz .LBB23_33
; %bb.34:
	s_or_b32 exec_lo, exec_lo, s5
	v_mov_b32_e32 v7, 0
	ds_read_b128 v[60:63], v7 offset:80
	s_waitcnt lgkmcnt(0)
	v_mul_f64 v[7:8], v[1:2], v[62:63]
	v_mul_f64 v[57:58], v[3:4], v[62:63]
	v_fma_f64 v[3:4], v[3:4], v[60:61], -v[7:8]
	v_fma_f64 v[1:2], v[1:2], v[60:61], v[57:58]
	buffer_store_dword v4, off, s[0:3], 0 offset:100
	buffer_store_dword v3, off, s[0:3], 0 offset:96
	;; [unrolled: 1-line block ×4, first 2 shown]
.LBB23_35:
	s_or_b32 exec_lo, exec_lo, s4
	v_mov_b32_e32 v4, s29
	s_waitcnt_vscnt null, 0x0
	s_barrier
	buffer_gl0_inv
	s_mov_b32 s4, exec_lo
	s_clause 0x3
	buffer_load_dword v1, v4, s[0:3], 0 offen
	buffer_load_dword v2, v4, s[0:3], 0 offen offset:4
	buffer_load_dword v3, v4, s[0:3], 0 offen offset:8
	;; [unrolled: 1-line block ×3, first 2 shown]
	s_waitcnt vmcnt(0)
	ds_write_b128 v5, v[1:4]
	s_waitcnt lgkmcnt(0)
	s_barrier
	buffer_gl0_inv
	v_cmpx_gt_u32_e32 6, v0
	s_cbranch_execz .LBB23_39
; %bb.36:
	v_mov_b32_e32 v1, 0
	v_mov_b32_e32 v3, 0
	v_add_nc_u32_e32 v7, -1, v0
	v_add_nc_u32_e32 v8, 0x180, v59
	v_mov_b32_e32 v2, 0
	v_mov_b32_e32 v4, 0
	v_add_nc_u32_e32 v57, 16, v59
	s_mov_b32 s5, 0
	.p2align	6
.LBB23_37:                              ; =>This Inner Loop Header: Depth=1
	s_clause 0x3
	buffer_load_dword v64, v57, s[0:3], 0 offen offset:8
	buffer_load_dword v65, v57, s[0:3], 0 offen offset:12
	buffer_load_dword v66, v57, s[0:3], 0 offen
	buffer_load_dword v67, v57, s[0:3], 0 offen offset:4
	ds_read_b128 v[60:63], v8
	v_add_nc_u32_e32 v7, 1, v7
	v_add_nc_u32_e32 v8, 16, v8
	;; [unrolled: 1-line block ×3, first 2 shown]
	v_cmp_lt_u32_e32 vcc_lo, 4, v7
	s_or_b32 s5, vcc_lo, s5
	s_waitcnt vmcnt(2) lgkmcnt(0)
	v_mul_f64 v[68:69], v[62:63], v[64:65]
	v_mul_f64 v[64:65], v[60:61], v[64:65]
	s_waitcnt vmcnt(0)
	v_fma_f64 v[60:61], v[60:61], v[66:67], -v[68:69]
	v_fma_f64 v[62:63], v[62:63], v[66:67], v[64:65]
	v_add_f64 v[3:4], v[3:4], v[60:61]
	v_add_f64 v[1:2], v[1:2], v[62:63]
	s_andn2_b32 exec_lo, exec_lo, s5
	s_cbranch_execnz .LBB23_37
; %bb.38:
	s_or_b32 exec_lo, exec_lo, s5
	v_mov_b32_e32 v7, 0
	ds_read_b128 v[60:63], v7 offset:96
	s_waitcnt lgkmcnt(0)
	v_mul_f64 v[7:8], v[1:2], v[62:63]
	v_mul_f64 v[57:58], v[3:4], v[62:63]
	v_fma_f64 v[3:4], v[3:4], v[60:61], -v[7:8]
	v_fma_f64 v[1:2], v[1:2], v[60:61], v[57:58]
	buffer_store_dword v4, off, s[0:3], 0 offset:116
	buffer_store_dword v3, off, s[0:3], 0 offset:112
	;; [unrolled: 1-line block ×4, first 2 shown]
.LBB23_39:
	s_or_b32 exec_lo, exec_lo, s4
	v_mov_b32_e32 v4, s28
	s_waitcnt_vscnt null, 0x0
	s_barrier
	buffer_gl0_inv
	s_mov_b32 s4, exec_lo
	s_clause 0x3
	buffer_load_dword v1, v4, s[0:3], 0 offen
	buffer_load_dword v2, v4, s[0:3], 0 offen offset:4
	buffer_load_dword v3, v4, s[0:3], 0 offen offset:8
	;; [unrolled: 1-line block ×3, first 2 shown]
	s_waitcnt vmcnt(0)
	ds_write_b128 v5, v[1:4]
	s_waitcnt lgkmcnt(0)
	s_barrier
	buffer_gl0_inv
	v_cmpx_gt_u32_e32 7, v0
	s_cbranch_execz .LBB23_43
; %bb.40:
	v_mov_b32_e32 v1, 0
	v_mov_b32_e32 v3, 0
	v_add_nc_u32_e32 v7, -1, v0
	v_add_nc_u32_e32 v8, 0x180, v59
	v_mov_b32_e32 v2, 0
	v_mov_b32_e32 v4, 0
	v_add_nc_u32_e32 v57, 16, v59
	s_mov_b32 s5, 0
	.p2align	6
.LBB23_41:                              ; =>This Inner Loop Header: Depth=1
	s_clause 0x3
	buffer_load_dword v64, v57, s[0:3], 0 offen offset:8
	buffer_load_dword v65, v57, s[0:3], 0 offen offset:12
	buffer_load_dword v66, v57, s[0:3], 0 offen
	buffer_load_dword v67, v57, s[0:3], 0 offen offset:4
	ds_read_b128 v[60:63], v8
	v_add_nc_u32_e32 v7, 1, v7
	v_add_nc_u32_e32 v8, 16, v8
	;; [unrolled: 1-line block ×3, first 2 shown]
	v_cmp_lt_u32_e32 vcc_lo, 5, v7
	s_or_b32 s5, vcc_lo, s5
	s_waitcnt vmcnt(2) lgkmcnt(0)
	v_mul_f64 v[68:69], v[62:63], v[64:65]
	v_mul_f64 v[64:65], v[60:61], v[64:65]
	s_waitcnt vmcnt(0)
	v_fma_f64 v[60:61], v[60:61], v[66:67], -v[68:69]
	v_fma_f64 v[62:63], v[62:63], v[66:67], v[64:65]
	v_add_f64 v[3:4], v[3:4], v[60:61]
	v_add_f64 v[1:2], v[1:2], v[62:63]
	s_andn2_b32 exec_lo, exec_lo, s5
	s_cbranch_execnz .LBB23_41
; %bb.42:
	s_or_b32 exec_lo, exec_lo, s5
	v_mov_b32_e32 v7, 0
	ds_read_b128 v[60:63], v7 offset:112
	s_waitcnt lgkmcnt(0)
	v_mul_f64 v[7:8], v[1:2], v[62:63]
	v_mul_f64 v[57:58], v[3:4], v[62:63]
	v_fma_f64 v[3:4], v[3:4], v[60:61], -v[7:8]
	v_fma_f64 v[1:2], v[1:2], v[60:61], v[57:58]
	buffer_store_dword v4, off, s[0:3], 0 offset:132
	buffer_store_dword v3, off, s[0:3], 0 offset:128
	;; [unrolled: 1-line block ×4, first 2 shown]
.LBB23_43:
	s_or_b32 exec_lo, exec_lo, s4
	v_mov_b32_e32 v4, s27
	s_waitcnt_vscnt null, 0x0
	s_barrier
	buffer_gl0_inv
	s_mov_b32 s4, exec_lo
	s_clause 0x3
	buffer_load_dword v1, v4, s[0:3], 0 offen
	buffer_load_dword v2, v4, s[0:3], 0 offen offset:4
	buffer_load_dword v3, v4, s[0:3], 0 offen offset:8
	;; [unrolled: 1-line block ×3, first 2 shown]
	s_waitcnt vmcnt(0)
	ds_write_b128 v5, v[1:4]
	s_waitcnt lgkmcnt(0)
	s_barrier
	buffer_gl0_inv
	v_cmpx_gt_u32_e32 8, v0
	s_cbranch_execz .LBB23_47
; %bb.44:
	v_mov_b32_e32 v1, 0
	v_mov_b32_e32 v3, 0
	v_add_nc_u32_e32 v7, -1, v0
	v_add_nc_u32_e32 v8, 0x180, v59
	v_mov_b32_e32 v2, 0
	v_mov_b32_e32 v4, 0
	v_add_nc_u32_e32 v57, 16, v59
	s_mov_b32 s5, 0
	.p2align	6
.LBB23_45:                              ; =>This Inner Loop Header: Depth=1
	s_clause 0x3
	buffer_load_dword v64, v57, s[0:3], 0 offen offset:8
	buffer_load_dword v65, v57, s[0:3], 0 offen offset:12
	buffer_load_dword v66, v57, s[0:3], 0 offen
	buffer_load_dword v67, v57, s[0:3], 0 offen offset:4
	ds_read_b128 v[60:63], v8
	v_add_nc_u32_e32 v7, 1, v7
	v_add_nc_u32_e32 v8, 16, v8
	;; [unrolled: 1-line block ×3, first 2 shown]
	v_cmp_lt_u32_e32 vcc_lo, 6, v7
	s_or_b32 s5, vcc_lo, s5
	s_waitcnt vmcnt(2) lgkmcnt(0)
	v_mul_f64 v[68:69], v[62:63], v[64:65]
	v_mul_f64 v[64:65], v[60:61], v[64:65]
	s_waitcnt vmcnt(0)
	v_fma_f64 v[60:61], v[60:61], v[66:67], -v[68:69]
	v_fma_f64 v[62:63], v[62:63], v[66:67], v[64:65]
	v_add_f64 v[3:4], v[3:4], v[60:61]
	v_add_f64 v[1:2], v[1:2], v[62:63]
	s_andn2_b32 exec_lo, exec_lo, s5
	s_cbranch_execnz .LBB23_45
; %bb.46:
	s_or_b32 exec_lo, exec_lo, s5
	v_mov_b32_e32 v7, 0
	ds_read_b128 v[60:63], v7 offset:128
	s_waitcnt lgkmcnt(0)
	v_mul_f64 v[7:8], v[1:2], v[62:63]
	v_mul_f64 v[57:58], v[3:4], v[62:63]
	v_fma_f64 v[3:4], v[3:4], v[60:61], -v[7:8]
	v_fma_f64 v[1:2], v[1:2], v[60:61], v[57:58]
	buffer_store_dword v4, off, s[0:3], 0 offset:148
	buffer_store_dword v3, off, s[0:3], 0 offset:144
	;; [unrolled: 1-line block ×4, first 2 shown]
.LBB23_47:
	s_or_b32 exec_lo, exec_lo, s4
	v_mov_b32_e32 v4, s26
	s_waitcnt_vscnt null, 0x0
	s_barrier
	buffer_gl0_inv
	s_mov_b32 s4, exec_lo
	s_clause 0x3
	buffer_load_dword v1, v4, s[0:3], 0 offen
	buffer_load_dword v2, v4, s[0:3], 0 offen offset:4
	buffer_load_dword v3, v4, s[0:3], 0 offen offset:8
	;; [unrolled: 1-line block ×3, first 2 shown]
	s_waitcnt vmcnt(0)
	ds_write_b128 v5, v[1:4]
	s_waitcnt lgkmcnt(0)
	s_barrier
	buffer_gl0_inv
	v_cmpx_gt_u32_e32 9, v0
	s_cbranch_execz .LBB23_51
; %bb.48:
	v_mov_b32_e32 v1, 0
	v_mov_b32_e32 v3, 0
	v_add_nc_u32_e32 v7, -1, v0
	v_add_nc_u32_e32 v8, 0x180, v59
	v_mov_b32_e32 v2, 0
	v_mov_b32_e32 v4, 0
	v_add_nc_u32_e32 v57, 16, v59
	s_mov_b32 s5, 0
	.p2align	6
.LBB23_49:                              ; =>This Inner Loop Header: Depth=1
	s_clause 0x3
	buffer_load_dword v64, v57, s[0:3], 0 offen offset:8
	buffer_load_dword v65, v57, s[0:3], 0 offen offset:12
	buffer_load_dword v66, v57, s[0:3], 0 offen
	buffer_load_dword v67, v57, s[0:3], 0 offen offset:4
	ds_read_b128 v[60:63], v8
	v_add_nc_u32_e32 v7, 1, v7
	v_add_nc_u32_e32 v8, 16, v8
	v_add_nc_u32_e32 v57, 16, v57
	v_cmp_lt_u32_e32 vcc_lo, 7, v7
	s_or_b32 s5, vcc_lo, s5
	s_waitcnt vmcnt(2) lgkmcnt(0)
	v_mul_f64 v[68:69], v[62:63], v[64:65]
	v_mul_f64 v[64:65], v[60:61], v[64:65]
	s_waitcnt vmcnt(0)
	v_fma_f64 v[60:61], v[60:61], v[66:67], -v[68:69]
	v_fma_f64 v[62:63], v[62:63], v[66:67], v[64:65]
	v_add_f64 v[3:4], v[3:4], v[60:61]
	v_add_f64 v[1:2], v[1:2], v[62:63]
	s_andn2_b32 exec_lo, exec_lo, s5
	s_cbranch_execnz .LBB23_49
; %bb.50:
	s_or_b32 exec_lo, exec_lo, s5
	v_mov_b32_e32 v7, 0
	ds_read_b128 v[60:63], v7 offset:144
	s_waitcnt lgkmcnt(0)
	v_mul_f64 v[7:8], v[1:2], v[62:63]
	v_mul_f64 v[57:58], v[3:4], v[62:63]
	v_fma_f64 v[3:4], v[3:4], v[60:61], -v[7:8]
	v_fma_f64 v[1:2], v[1:2], v[60:61], v[57:58]
	buffer_store_dword v4, off, s[0:3], 0 offset:164
	buffer_store_dword v3, off, s[0:3], 0 offset:160
	buffer_store_dword v2, off, s[0:3], 0 offset:172
	buffer_store_dword v1, off, s[0:3], 0 offset:168
.LBB23_51:
	s_or_b32 exec_lo, exec_lo, s4
	v_mov_b32_e32 v4, s25
	s_waitcnt_vscnt null, 0x0
	s_barrier
	buffer_gl0_inv
	s_mov_b32 s4, exec_lo
	s_clause 0x3
	buffer_load_dword v1, v4, s[0:3], 0 offen
	buffer_load_dword v2, v4, s[0:3], 0 offen offset:4
	buffer_load_dword v3, v4, s[0:3], 0 offen offset:8
	;; [unrolled: 1-line block ×3, first 2 shown]
	s_waitcnt vmcnt(0)
	ds_write_b128 v5, v[1:4]
	s_waitcnt lgkmcnt(0)
	s_barrier
	buffer_gl0_inv
	v_cmpx_gt_u32_e32 10, v0
	s_cbranch_execz .LBB23_55
; %bb.52:
	v_mov_b32_e32 v1, 0
	v_mov_b32_e32 v3, 0
	v_add_nc_u32_e32 v7, -1, v0
	v_add_nc_u32_e32 v8, 0x180, v59
	v_mov_b32_e32 v2, 0
	v_mov_b32_e32 v4, 0
	v_add_nc_u32_e32 v57, 16, v59
	s_mov_b32 s5, 0
	.p2align	6
.LBB23_53:                              ; =>This Inner Loop Header: Depth=1
	s_clause 0x3
	buffer_load_dword v64, v57, s[0:3], 0 offen offset:8
	buffer_load_dword v65, v57, s[0:3], 0 offen offset:12
	buffer_load_dword v66, v57, s[0:3], 0 offen
	buffer_load_dword v67, v57, s[0:3], 0 offen offset:4
	ds_read_b128 v[60:63], v8
	v_add_nc_u32_e32 v7, 1, v7
	v_add_nc_u32_e32 v8, 16, v8
	;; [unrolled: 1-line block ×3, first 2 shown]
	v_cmp_lt_u32_e32 vcc_lo, 8, v7
	s_or_b32 s5, vcc_lo, s5
	s_waitcnt vmcnt(2) lgkmcnt(0)
	v_mul_f64 v[68:69], v[62:63], v[64:65]
	v_mul_f64 v[64:65], v[60:61], v[64:65]
	s_waitcnt vmcnt(0)
	v_fma_f64 v[60:61], v[60:61], v[66:67], -v[68:69]
	v_fma_f64 v[62:63], v[62:63], v[66:67], v[64:65]
	v_add_f64 v[3:4], v[3:4], v[60:61]
	v_add_f64 v[1:2], v[1:2], v[62:63]
	s_andn2_b32 exec_lo, exec_lo, s5
	s_cbranch_execnz .LBB23_53
; %bb.54:
	s_or_b32 exec_lo, exec_lo, s5
	v_mov_b32_e32 v7, 0
	ds_read_b128 v[60:63], v7 offset:160
	s_waitcnt lgkmcnt(0)
	v_mul_f64 v[7:8], v[1:2], v[62:63]
	v_mul_f64 v[57:58], v[3:4], v[62:63]
	v_fma_f64 v[3:4], v[3:4], v[60:61], -v[7:8]
	v_fma_f64 v[1:2], v[1:2], v[60:61], v[57:58]
	buffer_store_dword v4, off, s[0:3], 0 offset:180
	buffer_store_dword v3, off, s[0:3], 0 offset:176
	;; [unrolled: 1-line block ×4, first 2 shown]
.LBB23_55:
	s_or_b32 exec_lo, exec_lo, s4
	v_mov_b32_e32 v4, s24
	s_waitcnt_vscnt null, 0x0
	s_barrier
	buffer_gl0_inv
	s_mov_b32 s4, exec_lo
	s_clause 0x3
	buffer_load_dword v1, v4, s[0:3], 0 offen
	buffer_load_dword v2, v4, s[0:3], 0 offen offset:4
	buffer_load_dword v3, v4, s[0:3], 0 offen offset:8
	;; [unrolled: 1-line block ×3, first 2 shown]
	s_waitcnt vmcnt(0)
	ds_write_b128 v5, v[1:4]
	s_waitcnt lgkmcnt(0)
	s_barrier
	buffer_gl0_inv
	v_cmpx_gt_u32_e32 11, v0
	s_cbranch_execz .LBB23_59
; %bb.56:
	v_mov_b32_e32 v1, 0
	v_mov_b32_e32 v3, 0
	v_add_nc_u32_e32 v7, -1, v0
	v_add_nc_u32_e32 v8, 0x180, v59
	v_mov_b32_e32 v2, 0
	v_mov_b32_e32 v4, 0
	v_add_nc_u32_e32 v57, 16, v59
	s_mov_b32 s5, 0
	.p2align	6
.LBB23_57:                              ; =>This Inner Loop Header: Depth=1
	s_clause 0x3
	buffer_load_dword v64, v57, s[0:3], 0 offen offset:8
	buffer_load_dword v65, v57, s[0:3], 0 offen offset:12
	buffer_load_dword v66, v57, s[0:3], 0 offen
	buffer_load_dword v67, v57, s[0:3], 0 offen offset:4
	ds_read_b128 v[60:63], v8
	v_add_nc_u32_e32 v7, 1, v7
	v_add_nc_u32_e32 v8, 16, v8
	;; [unrolled: 1-line block ×3, first 2 shown]
	v_cmp_lt_u32_e32 vcc_lo, 9, v7
	s_or_b32 s5, vcc_lo, s5
	s_waitcnt vmcnt(2) lgkmcnt(0)
	v_mul_f64 v[68:69], v[62:63], v[64:65]
	v_mul_f64 v[64:65], v[60:61], v[64:65]
	s_waitcnt vmcnt(0)
	v_fma_f64 v[60:61], v[60:61], v[66:67], -v[68:69]
	v_fma_f64 v[62:63], v[62:63], v[66:67], v[64:65]
	v_add_f64 v[3:4], v[3:4], v[60:61]
	v_add_f64 v[1:2], v[1:2], v[62:63]
	s_andn2_b32 exec_lo, exec_lo, s5
	s_cbranch_execnz .LBB23_57
; %bb.58:
	s_or_b32 exec_lo, exec_lo, s5
	v_mov_b32_e32 v7, 0
	ds_read_b128 v[60:63], v7 offset:176
	s_waitcnt lgkmcnt(0)
	v_mul_f64 v[7:8], v[1:2], v[62:63]
	v_mul_f64 v[57:58], v[3:4], v[62:63]
	v_fma_f64 v[3:4], v[3:4], v[60:61], -v[7:8]
	v_fma_f64 v[1:2], v[1:2], v[60:61], v[57:58]
	buffer_store_dword v4, off, s[0:3], 0 offset:196
	buffer_store_dword v3, off, s[0:3], 0 offset:192
	buffer_store_dword v2, off, s[0:3], 0 offset:204
	buffer_store_dword v1, off, s[0:3], 0 offset:200
.LBB23_59:
	s_or_b32 exec_lo, exec_lo, s4
	v_mov_b32_e32 v4, s23
	s_waitcnt_vscnt null, 0x0
	s_barrier
	buffer_gl0_inv
	s_mov_b32 s4, exec_lo
	s_clause 0x3
	buffer_load_dword v1, v4, s[0:3], 0 offen
	buffer_load_dword v2, v4, s[0:3], 0 offen offset:4
	buffer_load_dword v3, v4, s[0:3], 0 offen offset:8
	;; [unrolled: 1-line block ×3, first 2 shown]
	s_waitcnt vmcnt(0)
	ds_write_b128 v5, v[1:4]
	s_waitcnt lgkmcnt(0)
	s_barrier
	buffer_gl0_inv
	v_cmpx_gt_u32_e32 12, v0
	s_cbranch_execz .LBB23_63
; %bb.60:
	v_mov_b32_e32 v1, 0
	v_mov_b32_e32 v3, 0
	v_add_nc_u32_e32 v7, -1, v0
	v_add_nc_u32_e32 v8, 0x180, v59
	v_mov_b32_e32 v2, 0
	v_mov_b32_e32 v4, 0
	v_add_nc_u32_e32 v57, 16, v59
	s_mov_b32 s5, 0
	.p2align	6
.LBB23_61:                              ; =>This Inner Loop Header: Depth=1
	s_clause 0x3
	buffer_load_dword v64, v57, s[0:3], 0 offen offset:8
	buffer_load_dword v65, v57, s[0:3], 0 offen offset:12
	buffer_load_dword v66, v57, s[0:3], 0 offen
	buffer_load_dword v67, v57, s[0:3], 0 offen offset:4
	ds_read_b128 v[60:63], v8
	v_add_nc_u32_e32 v7, 1, v7
	v_add_nc_u32_e32 v8, 16, v8
	;; [unrolled: 1-line block ×3, first 2 shown]
	v_cmp_lt_u32_e32 vcc_lo, 10, v7
	s_or_b32 s5, vcc_lo, s5
	s_waitcnt vmcnt(2) lgkmcnt(0)
	v_mul_f64 v[68:69], v[62:63], v[64:65]
	v_mul_f64 v[64:65], v[60:61], v[64:65]
	s_waitcnt vmcnt(0)
	v_fma_f64 v[60:61], v[60:61], v[66:67], -v[68:69]
	v_fma_f64 v[62:63], v[62:63], v[66:67], v[64:65]
	v_add_f64 v[3:4], v[3:4], v[60:61]
	v_add_f64 v[1:2], v[1:2], v[62:63]
	s_andn2_b32 exec_lo, exec_lo, s5
	s_cbranch_execnz .LBB23_61
; %bb.62:
	s_or_b32 exec_lo, exec_lo, s5
	v_mov_b32_e32 v7, 0
	ds_read_b128 v[60:63], v7 offset:192
	s_waitcnt lgkmcnt(0)
	v_mul_f64 v[7:8], v[1:2], v[62:63]
	v_mul_f64 v[57:58], v[3:4], v[62:63]
	v_fma_f64 v[3:4], v[3:4], v[60:61], -v[7:8]
	v_fma_f64 v[1:2], v[1:2], v[60:61], v[57:58]
	buffer_store_dword v4, off, s[0:3], 0 offset:212
	buffer_store_dword v3, off, s[0:3], 0 offset:208
	;; [unrolled: 1-line block ×4, first 2 shown]
.LBB23_63:
	s_or_b32 exec_lo, exec_lo, s4
	v_mov_b32_e32 v4, s22
	s_waitcnt_vscnt null, 0x0
	s_barrier
	buffer_gl0_inv
	s_mov_b32 s4, exec_lo
	s_clause 0x3
	buffer_load_dword v1, v4, s[0:3], 0 offen
	buffer_load_dword v2, v4, s[0:3], 0 offen offset:4
	buffer_load_dword v3, v4, s[0:3], 0 offen offset:8
	;; [unrolled: 1-line block ×3, first 2 shown]
	s_waitcnt vmcnt(0)
	ds_write_b128 v5, v[1:4]
	s_waitcnt lgkmcnt(0)
	s_barrier
	buffer_gl0_inv
	v_cmpx_gt_u32_e32 13, v0
	s_cbranch_execz .LBB23_67
; %bb.64:
	v_mov_b32_e32 v1, 0
	v_mov_b32_e32 v3, 0
	v_add_nc_u32_e32 v7, -1, v0
	v_add_nc_u32_e32 v8, 0x180, v59
	v_mov_b32_e32 v2, 0
	v_mov_b32_e32 v4, 0
	v_add_nc_u32_e32 v57, 16, v59
	s_mov_b32 s5, 0
	.p2align	6
.LBB23_65:                              ; =>This Inner Loop Header: Depth=1
	s_clause 0x3
	buffer_load_dword v64, v57, s[0:3], 0 offen offset:8
	buffer_load_dword v65, v57, s[0:3], 0 offen offset:12
	buffer_load_dword v66, v57, s[0:3], 0 offen
	buffer_load_dword v67, v57, s[0:3], 0 offen offset:4
	ds_read_b128 v[60:63], v8
	v_add_nc_u32_e32 v7, 1, v7
	v_add_nc_u32_e32 v8, 16, v8
	;; [unrolled: 1-line block ×3, first 2 shown]
	v_cmp_lt_u32_e32 vcc_lo, 11, v7
	s_or_b32 s5, vcc_lo, s5
	s_waitcnt vmcnt(2) lgkmcnt(0)
	v_mul_f64 v[68:69], v[62:63], v[64:65]
	v_mul_f64 v[64:65], v[60:61], v[64:65]
	s_waitcnt vmcnt(0)
	v_fma_f64 v[60:61], v[60:61], v[66:67], -v[68:69]
	v_fma_f64 v[62:63], v[62:63], v[66:67], v[64:65]
	v_add_f64 v[3:4], v[3:4], v[60:61]
	v_add_f64 v[1:2], v[1:2], v[62:63]
	s_andn2_b32 exec_lo, exec_lo, s5
	s_cbranch_execnz .LBB23_65
; %bb.66:
	s_or_b32 exec_lo, exec_lo, s5
	v_mov_b32_e32 v7, 0
	ds_read_b128 v[60:63], v7 offset:208
	s_waitcnt lgkmcnt(0)
	v_mul_f64 v[7:8], v[1:2], v[62:63]
	v_mul_f64 v[57:58], v[3:4], v[62:63]
	v_fma_f64 v[3:4], v[3:4], v[60:61], -v[7:8]
	v_fma_f64 v[1:2], v[1:2], v[60:61], v[57:58]
	buffer_store_dword v4, off, s[0:3], 0 offset:228
	buffer_store_dword v3, off, s[0:3], 0 offset:224
	;; [unrolled: 1-line block ×4, first 2 shown]
.LBB23_67:
	s_or_b32 exec_lo, exec_lo, s4
	v_mov_b32_e32 v4, s19
	s_waitcnt_vscnt null, 0x0
	s_barrier
	buffer_gl0_inv
	s_mov_b32 s4, exec_lo
	s_clause 0x3
	buffer_load_dword v1, v4, s[0:3], 0 offen
	buffer_load_dword v2, v4, s[0:3], 0 offen offset:4
	buffer_load_dword v3, v4, s[0:3], 0 offen offset:8
	;; [unrolled: 1-line block ×3, first 2 shown]
	s_waitcnt vmcnt(0)
	ds_write_b128 v5, v[1:4]
	s_waitcnt lgkmcnt(0)
	s_barrier
	buffer_gl0_inv
	v_cmpx_gt_u32_e32 14, v0
	s_cbranch_execz .LBB23_71
; %bb.68:
	v_mov_b32_e32 v1, 0
	v_mov_b32_e32 v3, 0
	v_add_nc_u32_e32 v7, -1, v0
	v_add_nc_u32_e32 v8, 0x180, v59
	v_mov_b32_e32 v2, 0
	v_mov_b32_e32 v4, 0
	v_add_nc_u32_e32 v57, 16, v59
	s_mov_b32 s5, 0
	.p2align	6
.LBB23_69:                              ; =>This Inner Loop Header: Depth=1
	s_clause 0x3
	buffer_load_dword v64, v57, s[0:3], 0 offen offset:8
	buffer_load_dword v65, v57, s[0:3], 0 offen offset:12
	buffer_load_dword v66, v57, s[0:3], 0 offen
	buffer_load_dword v67, v57, s[0:3], 0 offen offset:4
	ds_read_b128 v[60:63], v8
	v_add_nc_u32_e32 v7, 1, v7
	v_add_nc_u32_e32 v8, 16, v8
	;; [unrolled: 1-line block ×3, first 2 shown]
	v_cmp_lt_u32_e32 vcc_lo, 12, v7
	s_or_b32 s5, vcc_lo, s5
	s_waitcnt vmcnt(2) lgkmcnt(0)
	v_mul_f64 v[68:69], v[62:63], v[64:65]
	v_mul_f64 v[64:65], v[60:61], v[64:65]
	s_waitcnt vmcnt(0)
	v_fma_f64 v[60:61], v[60:61], v[66:67], -v[68:69]
	v_fma_f64 v[62:63], v[62:63], v[66:67], v[64:65]
	v_add_f64 v[3:4], v[3:4], v[60:61]
	v_add_f64 v[1:2], v[1:2], v[62:63]
	s_andn2_b32 exec_lo, exec_lo, s5
	s_cbranch_execnz .LBB23_69
; %bb.70:
	s_or_b32 exec_lo, exec_lo, s5
	v_mov_b32_e32 v7, 0
	ds_read_b128 v[60:63], v7 offset:224
	s_waitcnt lgkmcnt(0)
	v_mul_f64 v[7:8], v[1:2], v[62:63]
	v_mul_f64 v[57:58], v[3:4], v[62:63]
	v_fma_f64 v[3:4], v[3:4], v[60:61], -v[7:8]
	v_fma_f64 v[1:2], v[1:2], v[60:61], v[57:58]
	buffer_store_dword v4, off, s[0:3], 0 offset:244
	buffer_store_dword v3, off, s[0:3], 0 offset:240
	;; [unrolled: 1-line block ×4, first 2 shown]
.LBB23_71:
	s_or_b32 exec_lo, exec_lo, s4
	v_mov_b32_e32 v4, s18
	s_waitcnt_vscnt null, 0x0
	s_barrier
	buffer_gl0_inv
	s_mov_b32 s4, exec_lo
	s_clause 0x3
	buffer_load_dword v1, v4, s[0:3], 0 offen
	buffer_load_dword v2, v4, s[0:3], 0 offen offset:4
	buffer_load_dword v3, v4, s[0:3], 0 offen offset:8
	buffer_load_dword v4, v4, s[0:3], 0 offen offset:12
	s_waitcnt vmcnt(0)
	ds_write_b128 v5, v[1:4]
	s_waitcnt lgkmcnt(0)
	s_barrier
	buffer_gl0_inv
	v_cmpx_gt_u32_e32 15, v0
	s_cbranch_execz .LBB23_75
; %bb.72:
	v_mov_b32_e32 v1, 0
	v_mov_b32_e32 v3, 0
	v_add_nc_u32_e32 v7, -1, v0
	v_add_nc_u32_e32 v8, 0x180, v59
	v_mov_b32_e32 v2, 0
	v_mov_b32_e32 v4, 0
	v_add_nc_u32_e32 v57, 16, v59
	s_mov_b32 s5, 0
	.p2align	6
.LBB23_73:                              ; =>This Inner Loop Header: Depth=1
	s_clause 0x3
	buffer_load_dword v64, v57, s[0:3], 0 offen offset:8
	buffer_load_dword v65, v57, s[0:3], 0 offen offset:12
	buffer_load_dword v66, v57, s[0:3], 0 offen
	buffer_load_dword v67, v57, s[0:3], 0 offen offset:4
	ds_read_b128 v[60:63], v8
	v_add_nc_u32_e32 v7, 1, v7
	v_add_nc_u32_e32 v8, 16, v8
	;; [unrolled: 1-line block ×3, first 2 shown]
	v_cmp_lt_u32_e32 vcc_lo, 13, v7
	s_or_b32 s5, vcc_lo, s5
	s_waitcnt vmcnt(2) lgkmcnt(0)
	v_mul_f64 v[68:69], v[62:63], v[64:65]
	v_mul_f64 v[64:65], v[60:61], v[64:65]
	s_waitcnt vmcnt(0)
	v_fma_f64 v[60:61], v[60:61], v[66:67], -v[68:69]
	v_fma_f64 v[62:63], v[62:63], v[66:67], v[64:65]
	v_add_f64 v[3:4], v[3:4], v[60:61]
	v_add_f64 v[1:2], v[1:2], v[62:63]
	s_andn2_b32 exec_lo, exec_lo, s5
	s_cbranch_execnz .LBB23_73
; %bb.74:
	s_or_b32 exec_lo, exec_lo, s5
	v_mov_b32_e32 v7, 0
	ds_read_b128 v[60:63], v7 offset:240
	s_waitcnt lgkmcnt(0)
	v_mul_f64 v[7:8], v[1:2], v[62:63]
	v_mul_f64 v[57:58], v[3:4], v[62:63]
	v_fma_f64 v[3:4], v[3:4], v[60:61], -v[7:8]
	v_fma_f64 v[1:2], v[1:2], v[60:61], v[57:58]
	buffer_store_dword v4, off, s[0:3], 0 offset:260
	buffer_store_dword v3, off, s[0:3], 0 offset:256
	;; [unrolled: 1-line block ×4, first 2 shown]
.LBB23_75:
	s_or_b32 exec_lo, exec_lo, s4
	v_mov_b32_e32 v4, s17
	s_waitcnt_vscnt null, 0x0
	s_barrier
	buffer_gl0_inv
	s_mov_b32 s4, exec_lo
	s_clause 0x3
	buffer_load_dword v1, v4, s[0:3], 0 offen
	buffer_load_dword v2, v4, s[0:3], 0 offen offset:4
	buffer_load_dword v3, v4, s[0:3], 0 offen offset:8
	;; [unrolled: 1-line block ×3, first 2 shown]
	s_waitcnt vmcnt(0)
	ds_write_b128 v5, v[1:4]
	s_waitcnt lgkmcnt(0)
	s_barrier
	buffer_gl0_inv
	v_cmpx_gt_u32_e32 16, v0
	s_cbranch_execz .LBB23_79
; %bb.76:
	v_mov_b32_e32 v1, 0
	v_mov_b32_e32 v3, 0
	v_add_nc_u32_e32 v7, -1, v0
	v_add_nc_u32_e32 v8, 0x180, v59
	v_mov_b32_e32 v2, 0
	v_mov_b32_e32 v4, 0
	v_add_nc_u32_e32 v57, 16, v59
	s_mov_b32 s5, 0
	.p2align	6
.LBB23_77:                              ; =>This Inner Loop Header: Depth=1
	s_clause 0x3
	buffer_load_dword v64, v57, s[0:3], 0 offen offset:8
	buffer_load_dword v65, v57, s[0:3], 0 offen offset:12
	buffer_load_dword v66, v57, s[0:3], 0 offen
	buffer_load_dword v67, v57, s[0:3], 0 offen offset:4
	ds_read_b128 v[60:63], v8
	v_add_nc_u32_e32 v7, 1, v7
	v_add_nc_u32_e32 v8, 16, v8
	;; [unrolled: 1-line block ×3, first 2 shown]
	v_cmp_lt_u32_e32 vcc_lo, 14, v7
	s_or_b32 s5, vcc_lo, s5
	s_waitcnt vmcnt(2) lgkmcnt(0)
	v_mul_f64 v[68:69], v[62:63], v[64:65]
	v_mul_f64 v[64:65], v[60:61], v[64:65]
	s_waitcnt vmcnt(0)
	v_fma_f64 v[60:61], v[60:61], v[66:67], -v[68:69]
	v_fma_f64 v[62:63], v[62:63], v[66:67], v[64:65]
	v_add_f64 v[3:4], v[3:4], v[60:61]
	v_add_f64 v[1:2], v[1:2], v[62:63]
	s_andn2_b32 exec_lo, exec_lo, s5
	s_cbranch_execnz .LBB23_77
; %bb.78:
	s_or_b32 exec_lo, exec_lo, s5
	v_mov_b32_e32 v7, 0
	ds_read_b128 v[60:63], v7 offset:256
	s_waitcnt lgkmcnt(0)
	v_mul_f64 v[7:8], v[1:2], v[62:63]
	v_mul_f64 v[57:58], v[3:4], v[62:63]
	v_fma_f64 v[3:4], v[3:4], v[60:61], -v[7:8]
	v_fma_f64 v[1:2], v[1:2], v[60:61], v[57:58]
	buffer_store_dword v4, off, s[0:3], 0 offset:276
	buffer_store_dword v3, off, s[0:3], 0 offset:272
	;; [unrolled: 1-line block ×4, first 2 shown]
.LBB23_79:
	s_or_b32 exec_lo, exec_lo, s4
	v_mov_b32_e32 v4, s16
	s_waitcnt_vscnt null, 0x0
	s_barrier
	buffer_gl0_inv
	s_mov_b32 s4, exec_lo
	s_clause 0x3
	buffer_load_dword v1, v4, s[0:3], 0 offen
	buffer_load_dword v2, v4, s[0:3], 0 offen offset:4
	buffer_load_dword v3, v4, s[0:3], 0 offen offset:8
	;; [unrolled: 1-line block ×3, first 2 shown]
	s_waitcnt vmcnt(0)
	ds_write_b128 v5, v[1:4]
	s_waitcnt lgkmcnt(0)
	s_barrier
	buffer_gl0_inv
	v_cmpx_gt_u32_e32 17, v0
	s_cbranch_execz .LBB23_83
; %bb.80:
	v_mov_b32_e32 v1, 0
	v_mov_b32_e32 v3, 0
	v_add_nc_u32_e32 v7, -1, v0
	v_add_nc_u32_e32 v8, 0x180, v59
	v_mov_b32_e32 v2, 0
	v_mov_b32_e32 v4, 0
	v_add_nc_u32_e32 v57, 16, v59
	s_mov_b32 s5, 0
	.p2align	6
.LBB23_81:                              ; =>This Inner Loop Header: Depth=1
	s_clause 0x3
	buffer_load_dword v64, v57, s[0:3], 0 offen offset:8
	buffer_load_dword v65, v57, s[0:3], 0 offen offset:12
	buffer_load_dword v66, v57, s[0:3], 0 offen
	buffer_load_dword v67, v57, s[0:3], 0 offen offset:4
	ds_read_b128 v[60:63], v8
	v_add_nc_u32_e32 v7, 1, v7
	v_add_nc_u32_e32 v8, 16, v8
	;; [unrolled: 1-line block ×3, first 2 shown]
	v_cmp_lt_u32_e32 vcc_lo, 15, v7
	s_or_b32 s5, vcc_lo, s5
	s_waitcnt vmcnt(2) lgkmcnt(0)
	v_mul_f64 v[68:69], v[62:63], v[64:65]
	v_mul_f64 v[64:65], v[60:61], v[64:65]
	s_waitcnt vmcnt(0)
	v_fma_f64 v[60:61], v[60:61], v[66:67], -v[68:69]
	v_fma_f64 v[62:63], v[62:63], v[66:67], v[64:65]
	v_add_f64 v[3:4], v[3:4], v[60:61]
	v_add_f64 v[1:2], v[1:2], v[62:63]
	s_andn2_b32 exec_lo, exec_lo, s5
	s_cbranch_execnz .LBB23_81
; %bb.82:
	s_or_b32 exec_lo, exec_lo, s5
	v_mov_b32_e32 v7, 0
	ds_read_b128 v[60:63], v7 offset:272
	s_waitcnt lgkmcnt(0)
	v_mul_f64 v[7:8], v[1:2], v[62:63]
	v_mul_f64 v[57:58], v[3:4], v[62:63]
	v_fma_f64 v[3:4], v[3:4], v[60:61], -v[7:8]
	v_fma_f64 v[1:2], v[1:2], v[60:61], v[57:58]
	buffer_store_dword v4, off, s[0:3], 0 offset:292
	buffer_store_dword v3, off, s[0:3], 0 offset:288
	;; [unrolled: 1-line block ×4, first 2 shown]
.LBB23_83:
	s_or_b32 exec_lo, exec_lo, s4
	v_mov_b32_e32 v4, s15
	s_waitcnt_vscnt null, 0x0
	s_barrier
	buffer_gl0_inv
	s_mov_b32 s4, exec_lo
	s_clause 0x3
	buffer_load_dword v1, v4, s[0:3], 0 offen
	buffer_load_dword v2, v4, s[0:3], 0 offen offset:4
	buffer_load_dword v3, v4, s[0:3], 0 offen offset:8
	;; [unrolled: 1-line block ×3, first 2 shown]
	s_waitcnt vmcnt(0)
	ds_write_b128 v5, v[1:4]
	s_waitcnt lgkmcnt(0)
	s_barrier
	buffer_gl0_inv
	v_cmpx_gt_u32_e32 18, v0
	s_cbranch_execz .LBB23_87
; %bb.84:
	v_mov_b32_e32 v1, 0
	v_mov_b32_e32 v3, 0
	v_add_nc_u32_e32 v7, -1, v0
	v_add_nc_u32_e32 v8, 0x180, v59
	v_mov_b32_e32 v2, 0
	v_mov_b32_e32 v4, 0
	v_add_nc_u32_e32 v57, 16, v59
	s_mov_b32 s5, 0
	.p2align	6
.LBB23_85:                              ; =>This Inner Loop Header: Depth=1
	s_clause 0x3
	buffer_load_dword v64, v57, s[0:3], 0 offen offset:8
	buffer_load_dword v65, v57, s[0:3], 0 offen offset:12
	buffer_load_dword v66, v57, s[0:3], 0 offen
	buffer_load_dword v67, v57, s[0:3], 0 offen offset:4
	ds_read_b128 v[60:63], v8
	v_add_nc_u32_e32 v7, 1, v7
	v_add_nc_u32_e32 v8, 16, v8
	;; [unrolled: 1-line block ×3, first 2 shown]
	v_cmp_lt_u32_e32 vcc_lo, 16, v7
	s_or_b32 s5, vcc_lo, s5
	s_waitcnt vmcnt(2) lgkmcnt(0)
	v_mul_f64 v[68:69], v[62:63], v[64:65]
	v_mul_f64 v[64:65], v[60:61], v[64:65]
	s_waitcnt vmcnt(0)
	v_fma_f64 v[60:61], v[60:61], v[66:67], -v[68:69]
	v_fma_f64 v[62:63], v[62:63], v[66:67], v[64:65]
	v_add_f64 v[3:4], v[3:4], v[60:61]
	v_add_f64 v[1:2], v[1:2], v[62:63]
	s_andn2_b32 exec_lo, exec_lo, s5
	s_cbranch_execnz .LBB23_85
; %bb.86:
	s_or_b32 exec_lo, exec_lo, s5
	v_mov_b32_e32 v7, 0
	ds_read_b128 v[60:63], v7 offset:288
	s_waitcnt lgkmcnt(0)
	v_mul_f64 v[7:8], v[1:2], v[62:63]
	v_mul_f64 v[57:58], v[3:4], v[62:63]
	v_fma_f64 v[3:4], v[3:4], v[60:61], -v[7:8]
	v_fma_f64 v[1:2], v[1:2], v[60:61], v[57:58]
	buffer_store_dword v4, off, s[0:3], 0 offset:308
	buffer_store_dword v3, off, s[0:3], 0 offset:304
	;; [unrolled: 1-line block ×4, first 2 shown]
.LBB23_87:
	s_or_b32 exec_lo, exec_lo, s4
	v_mov_b32_e32 v4, s14
	s_waitcnt_vscnt null, 0x0
	s_barrier
	buffer_gl0_inv
	s_mov_b32 s4, exec_lo
	s_clause 0x3
	buffer_load_dword v1, v4, s[0:3], 0 offen
	buffer_load_dword v2, v4, s[0:3], 0 offen offset:4
	buffer_load_dword v3, v4, s[0:3], 0 offen offset:8
	;; [unrolled: 1-line block ×3, first 2 shown]
	s_waitcnt vmcnt(0)
	ds_write_b128 v5, v[1:4]
	s_waitcnt lgkmcnt(0)
	s_barrier
	buffer_gl0_inv
	v_cmpx_gt_u32_e32 19, v0
	s_cbranch_execz .LBB23_91
; %bb.88:
	v_mov_b32_e32 v1, 0
	v_mov_b32_e32 v3, 0
	v_add_nc_u32_e32 v7, -1, v0
	v_add_nc_u32_e32 v8, 0x180, v59
	v_mov_b32_e32 v2, 0
	v_mov_b32_e32 v4, 0
	v_add_nc_u32_e32 v57, 16, v59
	s_mov_b32 s5, 0
	.p2align	6
.LBB23_89:                              ; =>This Inner Loop Header: Depth=1
	s_clause 0x3
	buffer_load_dword v64, v57, s[0:3], 0 offen offset:8
	buffer_load_dword v65, v57, s[0:3], 0 offen offset:12
	buffer_load_dword v66, v57, s[0:3], 0 offen
	buffer_load_dword v67, v57, s[0:3], 0 offen offset:4
	ds_read_b128 v[60:63], v8
	v_add_nc_u32_e32 v7, 1, v7
	v_add_nc_u32_e32 v8, 16, v8
	;; [unrolled: 1-line block ×3, first 2 shown]
	v_cmp_lt_u32_e32 vcc_lo, 17, v7
	s_or_b32 s5, vcc_lo, s5
	s_waitcnt vmcnt(2) lgkmcnt(0)
	v_mul_f64 v[68:69], v[62:63], v[64:65]
	v_mul_f64 v[64:65], v[60:61], v[64:65]
	s_waitcnt vmcnt(0)
	v_fma_f64 v[60:61], v[60:61], v[66:67], -v[68:69]
	v_fma_f64 v[62:63], v[62:63], v[66:67], v[64:65]
	v_add_f64 v[3:4], v[3:4], v[60:61]
	v_add_f64 v[1:2], v[1:2], v[62:63]
	s_andn2_b32 exec_lo, exec_lo, s5
	s_cbranch_execnz .LBB23_89
; %bb.90:
	s_or_b32 exec_lo, exec_lo, s5
	v_mov_b32_e32 v7, 0
	ds_read_b128 v[60:63], v7 offset:304
	s_waitcnt lgkmcnt(0)
	v_mul_f64 v[7:8], v[1:2], v[62:63]
	v_mul_f64 v[57:58], v[3:4], v[62:63]
	v_fma_f64 v[3:4], v[3:4], v[60:61], -v[7:8]
	v_fma_f64 v[1:2], v[1:2], v[60:61], v[57:58]
	buffer_store_dword v4, off, s[0:3], 0 offset:324
	buffer_store_dword v3, off, s[0:3], 0 offset:320
	;; [unrolled: 1-line block ×4, first 2 shown]
.LBB23_91:
	s_or_b32 exec_lo, exec_lo, s4
	v_mov_b32_e32 v4, s13
	s_waitcnt_vscnt null, 0x0
	s_barrier
	buffer_gl0_inv
	s_mov_b32 s4, exec_lo
	s_clause 0x3
	buffer_load_dword v1, v4, s[0:3], 0 offen
	buffer_load_dword v2, v4, s[0:3], 0 offen offset:4
	buffer_load_dword v3, v4, s[0:3], 0 offen offset:8
	;; [unrolled: 1-line block ×3, first 2 shown]
	s_waitcnt vmcnt(0)
	ds_write_b128 v5, v[1:4]
	s_waitcnt lgkmcnt(0)
	s_barrier
	buffer_gl0_inv
	v_cmpx_gt_u32_e32 20, v0
	s_cbranch_execz .LBB23_95
; %bb.92:
	v_mov_b32_e32 v1, 0
	v_mov_b32_e32 v3, 0
	v_add_nc_u32_e32 v7, -1, v0
	v_add_nc_u32_e32 v8, 0x180, v59
	v_mov_b32_e32 v2, 0
	v_mov_b32_e32 v4, 0
	v_add_nc_u32_e32 v57, 16, v59
	s_mov_b32 s5, 0
	.p2align	6
.LBB23_93:                              ; =>This Inner Loop Header: Depth=1
	s_clause 0x3
	buffer_load_dword v64, v57, s[0:3], 0 offen offset:8
	buffer_load_dword v65, v57, s[0:3], 0 offen offset:12
	buffer_load_dword v66, v57, s[0:3], 0 offen
	buffer_load_dword v67, v57, s[0:3], 0 offen offset:4
	ds_read_b128 v[60:63], v8
	v_add_nc_u32_e32 v7, 1, v7
	v_add_nc_u32_e32 v8, 16, v8
	;; [unrolled: 1-line block ×3, first 2 shown]
	v_cmp_lt_u32_e32 vcc_lo, 18, v7
	s_or_b32 s5, vcc_lo, s5
	s_waitcnt vmcnt(2) lgkmcnt(0)
	v_mul_f64 v[68:69], v[62:63], v[64:65]
	v_mul_f64 v[64:65], v[60:61], v[64:65]
	s_waitcnt vmcnt(0)
	v_fma_f64 v[60:61], v[60:61], v[66:67], -v[68:69]
	v_fma_f64 v[62:63], v[62:63], v[66:67], v[64:65]
	v_add_f64 v[3:4], v[3:4], v[60:61]
	v_add_f64 v[1:2], v[1:2], v[62:63]
	s_andn2_b32 exec_lo, exec_lo, s5
	s_cbranch_execnz .LBB23_93
; %bb.94:
	s_or_b32 exec_lo, exec_lo, s5
	v_mov_b32_e32 v7, 0
	ds_read_b128 v[60:63], v7 offset:320
	s_waitcnt lgkmcnt(0)
	v_mul_f64 v[7:8], v[1:2], v[62:63]
	v_mul_f64 v[57:58], v[3:4], v[62:63]
	v_fma_f64 v[3:4], v[3:4], v[60:61], -v[7:8]
	v_fma_f64 v[1:2], v[1:2], v[60:61], v[57:58]
	buffer_store_dword v4, off, s[0:3], 0 offset:340
	buffer_store_dword v3, off, s[0:3], 0 offset:336
	;; [unrolled: 1-line block ×4, first 2 shown]
.LBB23_95:
	s_or_b32 exec_lo, exec_lo, s4
	v_mov_b32_e32 v4, s12
	s_waitcnt_vscnt null, 0x0
	s_barrier
	buffer_gl0_inv
	s_mov_b32 s4, exec_lo
	s_clause 0x3
	buffer_load_dword v1, v4, s[0:3], 0 offen
	buffer_load_dword v2, v4, s[0:3], 0 offen offset:4
	buffer_load_dword v3, v4, s[0:3], 0 offen offset:8
	buffer_load_dword v4, v4, s[0:3], 0 offen offset:12
	s_waitcnt vmcnt(0)
	ds_write_b128 v5, v[1:4]
	s_waitcnt lgkmcnt(0)
	s_barrier
	buffer_gl0_inv
	v_cmpx_gt_u32_e32 21, v0
	s_cbranch_execz .LBB23_99
; %bb.96:
	v_mov_b32_e32 v1, 0
	v_mov_b32_e32 v3, 0
	v_add_nc_u32_e32 v7, -1, v0
	v_add_nc_u32_e32 v8, 0x180, v59
	v_mov_b32_e32 v2, 0
	v_mov_b32_e32 v4, 0
	v_add_nc_u32_e32 v57, 16, v59
	s_mov_b32 s5, 0
	.p2align	6
.LBB23_97:                              ; =>This Inner Loop Header: Depth=1
	s_clause 0x3
	buffer_load_dword v64, v57, s[0:3], 0 offen offset:8
	buffer_load_dword v65, v57, s[0:3], 0 offen offset:12
	buffer_load_dword v66, v57, s[0:3], 0 offen
	buffer_load_dword v67, v57, s[0:3], 0 offen offset:4
	ds_read_b128 v[60:63], v8
	v_add_nc_u32_e32 v7, 1, v7
	v_add_nc_u32_e32 v8, 16, v8
	;; [unrolled: 1-line block ×3, first 2 shown]
	v_cmp_lt_u32_e32 vcc_lo, 19, v7
	s_or_b32 s5, vcc_lo, s5
	s_waitcnt vmcnt(2) lgkmcnt(0)
	v_mul_f64 v[68:69], v[62:63], v[64:65]
	v_mul_f64 v[64:65], v[60:61], v[64:65]
	s_waitcnt vmcnt(0)
	v_fma_f64 v[60:61], v[60:61], v[66:67], -v[68:69]
	v_fma_f64 v[62:63], v[62:63], v[66:67], v[64:65]
	v_add_f64 v[3:4], v[3:4], v[60:61]
	v_add_f64 v[1:2], v[1:2], v[62:63]
	s_andn2_b32 exec_lo, exec_lo, s5
	s_cbranch_execnz .LBB23_97
; %bb.98:
	s_or_b32 exec_lo, exec_lo, s5
	v_mov_b32_e32 v7, 0
	ds_read_b128 v[60:63], v7 offset:336
	s_waitcnt lgkmcnt(0)
	v_mul_f64 v[7:8], v[1:2], v[62:63]
	v_mul_f64 v[57:58], v[3:4], v[62:63]
	v_fma_f64 v[3:4], v[3:4], v[60:61], -v[7:8]
	v_fma_f64 v[1:2], v[1:2], v[60:61], v[57:58]
	buffer_store_dword v4, off, s[0:3], 0 offset:356
	buffer_store_dword v3, off, s[0:3], 0 offset:352
	;; [unrolled: 1-line block ×4, first 2 shown]
.LBB23_99:
	s_or_b32 exec_lo, exec_lo, s4
	v_mov_b32_e32 v4, s9
	s_waitcnt_vscnt null, 0x0
	s_barrier
	buffer_gl0_inv
	s_mov_b32 s4, exec_lo
	s_clause 0x3
	buffer_load_dword v1, v4, s[0:3], 0 offen
	buffer_load_dword v2, v4, s[0:3], 0 offen offset:4
	buffer_load_dword v3, v4, s[0:3], 0 offen offset:8
	buffer_load_dword v4, v4, s[0:3], 0 offen offset:12
	s_waitcnt vmcnt(0)
	ds_write_b128 v5, v[1:4]
	s_waitcnt lgkmcnt(0)
	s_barrier
	buffer_gl0_inv
	v_cmpx_gt_u32_e32 22, v0
	s_cbranch_execz .LBB23_103
; %bb.100:
	v_mov_b32_e32 v1, 0
	v_mov_b32_e32 v3, 0
	v_add_nc_u32_e32 v7, -1, v0
	v_add_nc_u32_e32 v8, 0x180, v59
	v_mov_b32_e32 v2, 0
	v_mov_b32_e32 v4, 0
	v_add_nc_u32_e32 v57, 16, v59
	s_mov_b32 s5, 0
	.p2align	6
.LBB23_101:                             ; =>This Inner Loop Header: Depth=1
	s_clause 0x3
	buffer_load_dword v64, v57, s[0:3], 0 offen offset:8
	buffer_load_dword v65, v57, s[0:3], 0 offen offset:12
	buffer_load_dword v66, v57, s[0:3], 0 offen
	buffer_load_dword v67, v57, s[0:3], 0 offen offset:4
	ds_read_b128 v[60:63], v8
	v_add_nc_u32_e32 v7, 1, v7
	v_add_nc_u32_e32 v8, 16, v8
	;; [unrolled: 1-line block ×3, first 2 shown]
	v_cmp_lt_u32_e32 vcc_lo, 20, v7
	s_or_b32 s5, vcc_lo, s5
	s_waitcnt vmcnt(2) lgkmcnt(0)
	v_mul_f64 v[68:69], v[62:63], v[64:65]
	v_mul_f64 v[64:65], v[60:61], v[64:65]
	s_waitcnt vmcnt(0)
	v_fma_f64 v[60:61], v[60:61], v[66:67], -v[68:69]
	v_fma_f64 v[62:63], v[62:63], v[66:67], v[64:65]
	v_add_f64 v[3:4], v[3:4], v[60:61]
	v_add_f64 v[1:2], v[1:2], v[62:63]
	s_andn2_b32 exec_lo, exec_lo, s5
	s_cbranch_execnz .LBB23_101
; %bb.102:
	s_or_b32 exec_lo, exec_lo, s5
	v_mov_b32_e32 v7, 0
	ds_read_b128 v[60:63], v7 offset:352
	s_waitcnt lgkmcnt(0)
	v_mul_f64 v[7:8], v[1:2], v[62:63]
	v_mul_f64 v[57:58], v[3:4], v[62:63]
	v_fma_f64 v[3:4], v[3:4], v[60:61], -v[7:8]
	v_fma_f64 v[1:2], v[1:2], v[60:61], v[57:58]
	buffer_store_dword v4, off, s[0:3], 0 offset:372
	buffer_store_dword v3, off, s[0:3], 0 offset:368
	;; [unrolled: 1-line block ×4, first 2 shown]
.LBB23_103:
	s_or_b32 exec_lo, exec_lo, s4
	v_mov_b32_e32 v4, s8
	s_waitcnt_vscnt null, 0x0
	s_barrier
	buffer_gl0_inv
	s_mov_b32 s4, exec_lo
	s_clause 0x3
	buffer_load_dword v1, v4, s[0:3], 0 offen
	buffer_load_dword v2, v4, s[0:3], 0 offen offset:4
	buffer_load_dword v3, v4, s[0:3], 0 offen offset:8
	;; [unrolled: 1-line block ×3, first 2 shown]
	s_waitcnt vmcnt(0)
	ds_write_b128 v5, v[1:4]
	s_waitcnt lgkmcnt(0)
	s_barrier
	buffer_gl0_inv
	v_cmpx_ne_u32_e32 23, v0
	s_cbranch_execz .LBB23_107
; %bb.104:
	v_mov_b32_e32 v1, 0
	v_mov_b32_e32 v3, 0
	;; [unrolled: 1-line block ×4, first 2 shown]
	v_add_nc_u32_e32 v7, 16, v59
	s_mov_b32 s5, 0
	.p2align	6
.LBB23_105:                             ; =>This Inner Loop Header: Depth=1
	s_clause 0x3
	buffer_load_dword v61, v7, s[0:3], 0 offen offset:8
	buffer_load_dword v62, v7, s[0:3], 0 offen offset:12
	buffer_load_dword v63, v7, s[0:3], 0 offen
	buffer_load_dword v64, v7, s[0:3], 0 offen offset:4
	ds_read_b128 v[57:60], v5
	v_add_nc_u32_e32 v6, 1, v6
	v_add_nc_u32_e32 v5, 16, v5
	;; [unrolled: 1-line block ×3, first 2 shown]
	v_cmp_lt_u32_e32 vcc_lo, 21, v6
	s_or_b32 s5, vcc_lo, s5
	s_waitcnt vmcnt(2) lgkmcnt(0)
	v_mul_f64 v[65:66], v[59:60], v[61:62]
	v_mul_f64 v[61:62], v[57:58], v[61:62]
	s_waitcnt vmcnt(0)
	v_fma_f64 v[57:58], v[57:58], v[63:64], -v[65:66]
	v_fma_f64 v[59:60], v[59:60], v[63:64], v[61:62]
	v_add_f64 v[3:4], v[3:4], v[57:58]
	v_add_f64 v[1:2], v[1:2], v[59:60]
	s_andn2_b32 exec_lo, exec_lo, s5
	s_cbranch_execnz .LBB23_105
; %bb.106:
	s_or_b32 exec_lo, exec_lo, s5
	v_mov_b32_e32 v5, 0
	ds_read_b128 v[5:8], v5 offset:368
	s_waitcnt lgkmcnt(0)
	v_mul_f64 v[57:58], v[1:2], v[7:8]
	v_mul_f64 v[7:8], v[3:4], v[7:8]
	v_fma_f64 v[3:4], v[3:4], v[5:6], -v[57:58]
	v_fma_f64 v[1:2], v[1:2], v[5:6], v[7:8]
	buffer_store_dword v4, off, s[0:3], 0 offset:388
	buffer_store_dword v3, off, s[0:3], 0 offset:384
	;; [unrolled: 1-line block ×4, first 2 shown]
.LBB23_107:
	s_or_b32 exec_lo, exec_lo, s4
	s_mov_b32 s5, -1
	s_waitcnt_vscnt null, 0x0
	s_barrier
	buffer_gl0_inv
.LBB23_108:
	s_and_b32 vcc_lo, exec_lo, s5
	s_cbranch_vccz .LBB23_110
; %bb.109:
	s_lshl_b64 s[4:5], s[6:7], 2
	v_mov_b32_e32 v1, 0
	s_add_u32 s4, s10, s4
	s_addc_u32 s5, s11, s5
	global_load_dword v1, v1, s[4:5]
	s_waitcnt vmcnt(0)
	v_cmp_ne_u32_e32 vcc_lo, 0, v1
	s_cbranch_vccz .LBB23_111
.LBB23_110:
	s_endpgm
.LBB23_111:
	v_lshl_add_u32 v1, v0, 4, 0x180
	s_mov_b32 s4, exec_lo
	v_cmpx_eq_u32_e32 23, v0
	s_cbranch_execz .LBB23_113
; %bb.112:
	v_mov_b32_e32 v5, s9
	v_mov_b32_e32 v6, 0
	s_clause 0x3
	buffer_load_dword v2, v5, s[0:3], 0 offen
	buffer_load_dword v3, v5, s[0:3], 0 offen offset:4
	buffer_load_dword v4, v5, s[0:3], 0 offen offset:8
	;; [unrolled: 1-line block ×3, first 2 shown]
	buffer_store_dword v6, off, s[0:3], 0 offset:368
	buffer_store_dword v6, off, s[0:3], 0 offset:372
	;; [unrolled: 1-line block ×4, first 2 shown]
	s_waitcnt vmcnt(0)
	ds_write_b128 v1, v[2:5]
.LBB23_113:
	s_or_b32 exec_lo, exec_lo, s4
	s_waitcnt lgkmcnt(0)
	s_waitcnt_vscnt null, 0x0
	s_barrier
	buffer_gl0_inv
	s_clause 0x7
	buffer_load_dword v7, off, s[0:3], 0 offset:392
	buffer_load_dword v8, off, s[0:3], 0 offset:396
	;; [unrolled: 1-line block ×8, first 2 shown]
	v_mov_b32_e32 v2, 0
	s_mov_b32 s4, exec_lo
	ds_read_b128 v[3:6], v2 offset:752
	s_waitcnt vmcnt(6) lgkmcnt(0)
	v_mul_f64 v[63:64], v[5:6], v[7:8]
	v_mul_f64 v[7:8], v[3:4], v[7:8]
	s_waitcnt vmcnt(4)
	v_fma_f64 v[3:4], v[3:4], v[57:58], -v[63:64]
	v_fma_f64 v[5:6], v[5:6], v[57:58], v[7:8]
	v_add_f64 v[3:4], v[3:4], 0
	v_add_f64 v[5:6], v[5:6], 0
	s_waitcnt vmcnt(2)
	v_add_f64 v[3:4], v[59:60], -v[3:4]
	s_waitcnt vmcnt(0)
	v_add_f64 v[5:6], v[61:62], -v[5:6]
	buffer_store_dword v3, off, s[0:3], 0 offset:368
	buffer_store_dword v4, off, s[0:3], 0 offset:372
	;; [unrolled: 1-line block ×4, first 2 shown]
	v_cmpx_lt_u32_e32 21, v0
	s_cbranch_execz .LBB23_115
; %bb.114:
	v_mov_b32_e32 v6, s12
	s_clause 0x3
	buffer_load_dword v3, v6, s[0:3], 0 offen
	buffer_load_dword v4, v6, s[0:3], 0 offen offset:4
	buffer_load_dword v5, v6, s[0:3], 0 offen offset:8
	;; [unrolled: 1-line block ×3, first 2 shown]
	buffer_store_dword v2, off, s[0:3], 0 offset:352
	buffer_store_dword v2, off, s[0:3], 0 offset:356
	;; [unrolled: 1-line block ×4, first 2 shown]
	s_waitcnt vmcnt(0)
	ds_write_b128 v1, v[3:6]
.LBB23_115:
	s_or_b32 exec_lo, exec_lo, s4
	s_waitcnt lgkmcnt(0)
	s_waitcnt_vscnt null, 0x0
	s_barrier
	buffer_gl0_inv
	s_clause 0xb
	buffer_load_dword v7, off, s[0:3], 0 offset:376
	buffer_load_dword v8, off, s[0:3], 0 offset:380
	;; [unrolled: 1-line block ×12, first 2 shown]
	ds_read_b128 v[3:6], v2 offset:736
	ds_read_b128 v[57:60], v2 offset:752
	s_mov_b32 s4, exec_lo
	s_waitcnt vmcnt(10) lgkmcnt(1)
	v_mul_f64 v[71:72], v[5:6], v[7:8]
	v_mul_f64 v[7:8], v[3:4], v[7:8]
	s_waitcnt vmcnt(8) lgkmcnt(0)
	v_mul_f64 v[73:74], v[59:60], v[61:62]
	v_mul_f64 v[61:62], v[57:58], v[61:62]
	s_waitcnt vmcnt(6)
	v_fma_f64 v[2:3], v[3:4], v[63:64], -v[71:72]
	v_fma_f64 v[4:5], v[5:6], v[63:64], v[7:8]
	s_waitcnt vmcnt(4)
	v_fma_f64 v[6:7], v[57:58], v[65:66], -v[73:74]
	v_fma_f64 v[57:58], v[59:60], v[65:66], v[61:62]
	v_add_f64 v[2:3], v[2:3], 0
	v_add_f64 v[4:5], v[4:5], 0
	;; [unrolled: 1-line block ×4, first 2 shown]
	s_waitcnt vmcnt(2)
	v_add_f64 v[2:3], v[67:68], -v[2:3]
	s_waitcnt vmcnt(0)
	v_add_f64 v[4:5], v[69:70], -v[4:5]
	buffer_store_dword v2, off, s[0:3], 0 offset:352
	buffer_store_dword v3, off, s[0:3], 0 offset:356
	;; [unrolled: 1-line block ×4, first 2 shown]
	v_cmpx_lt_u32_e32 20, v0
	s_cbranch_execz .LBB23_117
; %bb.116:
	v_mov_b32_e32 v5, s13
	v_mov_b32_e32 v6, 0
	s_clause 0x3
	buffer_load_dword v2, v5, s[0:3], 0 offen
	buffer_load_dword v3, v5, s[0:3], 0 offen offset:4
	buffer_load_dword v4, v5, s[0:3], 0 offen offset:8
	buffer_load_dword v5, v5, s[0:3], 0 offen offset:12
	buffer_store_dword v6, off, s[0:3], 0 offset:336
	buffer_store_dword v6, off, s[0:3], 0 offset:340
	;; [unrolled: 1-line block ×4, first 2 shown]
	s_waitcnt vmcnt(0)
	ds_write_b128 v1, v[2:5]
.LBB23_117:
	s_or_b32 exec_lo, exec_lo, s4
	s_waitcnt lgkmcnt(0)
	s_waitcnt_vscnt null, 0x0
	s_barrier
	buffer_gl0_inv
	s_clause 0xf
	buffer_load_dword v7, off, s[0:3], 0 offset:360
	buffer_load_dword v8, off, s[0:3], 0 offset:364
	;; [unrolled: 1-line block ×16, first 2 shown]
	v_mov_b32_e32 v2, 0
	ds_read_b128 v[3:6], v2 offset:720
	ds_read_b128 v[57:60], v2 offset:736
	;; [unrolled: 1-line block ×3, first 2 shown]
	s_mov_b32 s4, exec_lo
	s_waitcnt vmcnt(14) lgkmcnt(2)
	v_mul_f64 v[79:80], v[5:6], v[7:8]
	v_mul_f64 v[7:8], v[3:4], v[7:8]
	s_waitcnt vmcnt(12) lgkmcnt(1)
	v_mul_f64 v[81:82], v[59:60], v[65:66]
	v_mul_f64 v[65:66], v[57:58], v[65:66]
	s_waitcnt vmcnt(10)
	v_fma_f64 v[3:4], v[3:4], v[67:68], -v[79:80]
	v_fma_f64 v[5:6], v[5:6], v[67:68], v[7:8]
	s_waitcnt vmcnt(8) lgkmcnt(0)
	v_mul_f64 v[67:68], v[63:64], v[69:70]
	s_waitcnt vmcnt(6)
	v_fma_f64 v[57:58], v[57:58], v[71:72], -v[81:82]
	v_mul_f64 v[7:8], v[61:62], v[69:70]
	v_fma_f64 v[59:60], v[59:60], v[71:72], v[65:66]
	v_add_f64 v[3:4], v[3:4], 0
	v_add_f64 v[5:6], v[5:6], 0
	s_waitcnt vmcnt(4)
	v_fma_f64 v[61:62], v[61:62], v[73:74], -v[67:68]
	v_fma_f64 v[7:8], v[63:64], v[73:74], v[7:8]
	v_add_f64 v[3:4], v[3:4], v[57:58]
	v_add_f64 v[5:6], v[5:6], v[59:60]
	;; [unrolled: 1-line block ×4, first 2 shown]
	s_waitcnt vmcnt(2)
	v_add_f64 v[3:4], v[75:76], -v[3:4]
	s_waitcnt vmcnt(0)
	v_add_f64 v[5:6], v[77:78], -v[5:6]
	buffer_store_dword v3, off, s[0:3], 0 offset:336
	buffer_store_dword v4, off, s[0:3], 0 offset:340
	;; [unrolled: 1-line block ×4, first 2 shown]
	v_cmpx_lt_u32_e32 19, v0
	s_cbranch_execz .LBB23_119
; %bb.118:
	v_mov_b32_e32 v6, s14
	s_clause 0x3
	buffer_load_dword v3, v6, s[0:3], 0 offen
	buffer_load_dword v4, v6, s[0:3], 0 offen offset:4
	buffer_load_dword v5, v6, s[0:3], 0 offen offset:8
	;; [unrolled: 1-line block ×3, first 2 shown]
	buffer_store_dword v2, off, s[0:3], 0 offset:320
	buffer_store_dword v2, off, s[0:3], 0 offset:324
	;; [unrolled: 1-line block ×4, first 2 shown]
	s_waitcnt vmcnt(0)
	ds_write_b128 v1, v[3:6]
.LBB23_119:
	s_or_b32 exec_lo, exec_lo, s4
	s_waitcnt lgkmcnt(0)
	s_waitcnt_vscnt null, 0x0
	s_barrier
	buffer_gl0_inv
	s_clause 0x13
	buffer_load_dword v7, off, s[0:3], 0 offset:344
	buffer_load_dword v8, off, s[0:3], 0 offset:348
	;; [unrolled: 1-line block ×20, first 2 shown]
	ds_read_b128 v[3:6], v2 offset:704
	ds_read_b128 v[57:60], v2 offset:720
	;; [unrolled: 1-line block ×3, first 2 shown]
	s_mov_b32 s4, exec_lo
	s_waitcnt vmcnt(18) lgkmcnt(2)
	v_mul_f64 v[83:84], v[5:6], v[7:8]
	v_mul_f64 v[7:8], v[3:4], v[7:8]
	s_waitcnt vmcnt(16) lgkmcnt(1)
	v_mul_f64 v[85:86], v[59:60], v[65:66]
	v_mul_f64 v[65:66], v[57:58], v[65:66]
	s_waitcnt vmcnt(14)
	v_fma_f64 v[83:84], v[3:4], v[67:68], -v[83:84]
	v_fma_f64 v[6:7], v[5:6], v[67:68], v[7:8]
	s_waitcnt vmcnt(12) lgkmcnt(0)
	v_mul_f64 v[67:68], v[61:62], v[69:70]
	v_mul_f64 v[69:70], v[63:64], v[69:70]
	s_waitcnt vmcnt(10)
	v_fma_f64 v[57:58], v[57:58], v[71:72], -v[85:86]
	ds_read_b128 v[2:5], v2 offset:752
	v_fma_f64 v[59:60], v[59:60], v[71:72], v[65:66]
	v_add_f64 v[83:84], v[83:84], 0
	v_add_f64 v[6:7], v[6:7], 0
	s_waitcnt vmcnt(6)
	v_fma_f64 v[63:64], v[63:64], v[75:76], v[67:68]
	s_waitcnt lgkmcnt(0)
	v_mul_f64 v[71:72], v[4:5], v[73:74]
	v_fma_f64 v[61:62], v[61:62], v[75:76], -v[69:70]
	v_mul_f64 v[65:66], v[2:3], v[73:74]
	v_add_f64 v[57:58], v[83:84], v[57:58]
	v_add_f64 v[6:7], v[6:7], v[59:60]
	s_waitcnt vmcnt(4)
	v_fma_f64 v[2:3], v[2:3], v[77:78], -v[71:72]
	v_fma_f64 v[4:5], v[4:5], v[77:78], v[65:66]
	v_add_f64 v[57:58], v[57:58], v[61:62]
	v_add_f64 v[6:7], v[6:7], v[63:64]
	;; [unrolled: 1-line block ×4, first 2 shown]
	s_waitcnt vmcnt(2)
	v_add_f64 v[2:3], v[79:80], -v[2:3]
	s_waitcnt vmcnt(0)
	v_add_f64 v[4:5], v[81:82], -v[4:5]
	buffer_store_dword v2, off, s[0:3], 0 offset:320
	buffer_store_dword v3, off, s[0:3], 0 offset:324
	;; [unrolled: 1-line block ×4, first 2 shown]
	v_cmpx_lt_u32_e32 18, v0
	s_cbranch_execz .LBB23_121
; %bb.120:
	v_mov_b32_e32 v5, s15
	v_mov_b32_e32 v6, 0
	s_clause 0x3
	buffer_load_dword v2, v5, s[0:3], 0 offen
	buffer_load_dword v3, v5, s[0:3], 0 offen offset:4
	buffer_load_dword v4, v5, s[0:3], 0 offen offset:8
	;; [unrolled: 1-line block ×3, first 2 shown]
	buffer_store_dword v6, off, s[0:3], 0 offset:304
	buffer_store_dword v6, off, s[0:3], 0 offset:308
	;; [unrolled: 1-line block ×4, first 2 shown]
	s_waitcnt vmcnt(0)
	ds_write_b128 v1, v[2:5]
.LBB23_121:
	s_or_b32 exec_lo, exec_lo, s4
	s_waitcnt lgkmcnt(0)
	s_waitcnt_vscnt null, 0x0
	s_barrier
	buffer_gl0_inv
	s_clause 0x17
	buffer_load_dword v7, off, s[0:3], 0 offset:328
	buffer_load_dword v8, off, s[0:3], 0 offset:332
	;; [unrolled: 1-line block ×24, first 2 shown]
	v_mov_b32_e32 v2, 0
	ds_read_b128 v[3:6], v2 offset:688
	ds_read_b128 v[57:60], v2 offset:704
	;; [unrolled: 1-line block ×3, first 2 shown]
	s_mov_b32 s4, exec_lo
	s_waitcnt vmcnt(22) lgkmcnt(2)
	v_mul_f64 v[87:88], v[5:6], v[7:8]
	v_mul_f64 v[7:8], v[3:4], v[7:8]
	s_waitcnt vmcnt(20) lgkmcnt(1)
	v_mul_f64 v[89:90], v[59:60], v[65:66]
	v_mul_f64 v[65:66], v[57:58], v[65:66]
	s_waitcnt vmcnt(18)
	v_fma_f64 v[87:88], v[3:4], v[67:68], -v[87:88]
	v_fma_f64 v[7:8], v[5:6], v[67:68], v[7:8]
	ds_read_b128 v[3:6], v2 offset:736
	s_waitcnt vmcnt(16) lgkmcnt(1)
	v_mul_f64 v[67:68], v[61:62], v[69:70]
	v_mul_f64 v[69:70], v[63:64], v[69:70]
	s_waitcnt vmcnt(14)
	v_fma_f64 v[89:90], v[57:58], v[71:72], -v[89:90]
	v_fma_f64 v[65:66], v[59:60], v[71:72], v[65:66]
	ds_read_b128 v[57:60], v2 offset:752
	s_waitcnt vmcnt(10) lgkmcnt(1)
	v_mul_f64 v[71:72], v[3:4], v[73:74]
	v_add_f64 v[87:88], v[87:88], 0
	v_add_f64 v[7:8], v[7:8], 0
	v_mul_f64 v[73:74], v[5:6], v[73:74]
	s_waitcnt vmcnt(8)
	v_fma_f64 v[61:62], v[61:62], v[79:80], -v[69:70]
	v_fma_f64 v[63:64], v[63:64], v[79:80], v[67:68]
	s_waitcnt vmcnt(7) lgkmcnt(0)
	v_mul_f64 v[67:68], v[59:60], v[75:76]
	s_waitcnt vmcnt(5)
	v_fma_f64 v[5:6], v[5:6], v[81:82], v[71:72]
	v_add_f64 v[69:70], v[87:88], v[89:90]
	v_add_f64 v[7:8], v[7:8], v[65:66]
	v_fma_f64 v[3:4], v[3:4], v[81:82], -v[73:74]
	v_mul_f64 v[65:66], v[57:58], v[75:76]
	s_waitcnt vmcnt(4)
	v_fma_f64 v[57:58], v[57:58], v[77:78], -v[67:68]
	v_add_f64 v[61:62], v[69:70], v[61:62]
	v_add_f64 v[7:8], v[7:8], v[63:64]
	v_fma_f64 v[59:60], v[59:60], v[77:78], v[65:66]
	v_add_f64 v[3:4], v[61:62], v[3:4]
	v_add_f64 v[5:6], v[7:8], v[5:6]
	;; [unrolled: 1-line block ×4, first 2 shown]
	s_waitcnt vmcnt(2)
	v_add_f64 v[3:4], v[83:84], -v[3:4]
	s_waitcnt vmcnt(0)
	v_add_f64 v[5:6], v[85:86], -v[5:6]
	buffer_store_dword v4, off, s[0:3], 0 offset:308
	buffer_store_dword v3, off, s[0:3], 0 offset:304
	;; [unrolled: 1-line block ×4, first 2 shown]
	v_cmpx_lt_u32_e32 17, v0
	s_cbranch_execz .LBB23_123
; %bb.122:
	v_mov_b32_e32 v6, s16
	s_clause 0x3
	buffer_load_dword v3, v6, s[0:3], 0 offen
	buffer_load_dword v4, v6, s[0:3], 0 offen offset:4
	buffer_load_dword v5, v6, s[0:3], 0 offen offset:8
	;; [unrolled: 1-line block ×3, first 2 shown]
	buffer_store_dword v2, off, s[0:3], 0 offset:288
	buffer_store_dword v2, off, s[0:3], 0 offset:292
	;; [unrolled: 1-line block ×4, first 2 shown]
	s_waitcnt vmcnt(0)
	ds_write_b128 v1, v[3:6]
.LBB23_123:
	s_or_b32 exec_lo, exec_lo, s4
	s_waitcnt lgkmcnt(0)
	s_waitcnt_vscnt null, 0x0
	s_barrier
	buffer_gl0_inv
	s_clause 0x1b
	buffer_load_dword v7, off, s[0:3], 0 offset:312
	buffer_load_dword v8, off, s[0:3], 0 offset:316
	;; [unrolled: 1-line block ×28, first 2 shown]
	ds_read_b128 v[3:6], v2 offset:672
	ds_read_b128 v[57:60], v2 offset:688
	;; [unrolled: 1-line block ×3, first 2 shown]
	s_mov_b32 s4, exec_lo
	s_waitcnt vmcnt(26) lgkmcnt(2)
	v_mul_f64 v[91:92], v[5:6], v[7:8]
	v_mul_f64 v[7:8], v[3:4], v[7:8]
	s_waitcnt vmcnt(24) lgkmcnt(1)
	v_mul_f64 v[93:94], v[59:60], v[65:66]
	v_mul_f64 v[65:66], v[57:58], v[65:66]
	s_waitcnt vmcnt(22)
	v_fma_f64 v[91:92], v[3:4], v[67:68], -v[91:92]
	v_fma_f64 v[7:8], v[5:6], v[67:68], v[7:8]
	ds_read_b128 v[3:6], v2 offset:720
	s_waitcnt vmcnt(20) lgkmcnt(1)
	v_mul_f64 v[67:68], v[61:62], v[69:70]
	v_mul_f64 v[69:70], v[63:64], v[69:70]
	s_waitcnt vmcnt(18)
	v_fma_f64 v[93:94], v[57:58], v[71:72], -v[93:94]
	v_fma_f64 v[65:66], v[59:60], v[71:72], v[65:66]
	ds_read_b128 v[57:60], v2 offset:736
	s_waitcnt vmcnt(14) lgkmcnt(1)
	v_mul_f64 v[71:72], v[3:4], v[73:74]
	v_add_f64 v[91:92], v[91:92], 0
	v_add_f64 v[7:8], v[7:8], 0
	v_mul_f64 v[73:74], v[5:6], v[73:74]
	s_waitcnt vmcnt(12)
	v_fma_f64 v[69:70], v[61:62], v[79:80], -v[69:70]
	v_fma_f64 v[67:68], v[63:64], v[79:80], v[67:68]
	ds_read_b128 v[61:64], v2 offset:752
	v_add_f64 v[91:92], v[91:92], v[93:94]
	v_add_f64 v[7:8], v[7:8], v[65:66]
	s_waitcnt vmcnt(11) lgkmcnt(1)
	v_mul_f64 v[65:66], v[57:58], v[75:76]
	v_mul_f64 v[75:76], v[59:60], v[75:76]
	s_waitcnt vmcnt(9)
	v_fma_f64 v[2:3], v[3:4], v[81:82], -v[73:74]
	v_fma_f64 v[4:5], v[5:6], v[81:82], v[71:72]
	s_waitcnt vmcnt(7) lgkmcnt(0)
	v_mul_f64 v[71:72], v[63:64], v[83:84]
	v_add_f64 v[69:70], v[91:92], v[69:70]
	v_add_f64 v[6:7], v[7:8], v[67:68]
	v_mul_f64 v[67:68], v[61:62], v[83:84]
	s_waitcnt vmcnt(6)
	v_fma_f64 v[57:58], v[57:58], v[77:78], -v[75:76]
	v_fma_f64 v[59:60], v[59:60], v[77:78], v[65:66]
	v_add_f64 v[2:3], v[69:70], v[2:3]
	v_add_f64 v[4:5], v[6:7], v[4:5]
	s_waitcnt vmcnt(4)
	v_fma_f64 v[6:7], v[61:62], v[85:86], -v[71:72]
	v_add_f64 v[2:3], v[2:3], v[57:58]
	v_fma_f64 v[57:58], v[63:64], v[85:86], v[67:68]
	v_add_f64 v[4:5], v[4:5], v[59:60]
	v_add_f64 v[2:3], v[2:3], v[6:7]
	;; [unrolled: 1-line block ×3, first 2 shown]
	s_waitcnt vmcnt(2)
	v_add_f64 v[2:3], v[87:88], -v[2:3]
	s_waitcnt vmcnt(0)
	v_add_f64 v[4:5], v[89:90], -v[4:5]
	buffer_store_dword v3, off, s[0:3], 0 offset:292
	buffer_store_dword v2, off, s[0:3], 0 offset:288
	;; [unrolled: 1-line block ×4, first 2 shown]
	v_cmpx_lt_u32_e32 16, v0
	s_cbranch_execz .LBB23_125
; %bb.124:
	v_mov_b32_e32 v5, s17
	v_mov_b32_e32 v6, 0
	s_clause 0x3
	buffer_load_dword v2, v5, s[0:3], 0 offen
	buffer_load_dword v3, v5, s[0:3], 0 offen offset:4
	buffer_load_dword v4, v5, s[0:3], 0 offen offset:8
	;; [unrolled: 1-line block ×3, first 2 shown]
	buffer_store_dword v6, off, s[0:3], 0 offset:272
	buffer_store_dword v6, off, s[0:3], 0 offset:276
	;; [unrolled: 1-line block ×4, first 2 shown]
	s_waitcnt vmcnt(0)
	ds_write_b128 v1, v[2:5]
.LBB23_125:
	s_or_b32 exec_lo, exec_lo, s4
	s_waitcnt lgkmcnt(0)
	s_waitcnt_vscnt null, 0x0
	s_barrier
	buffer_gl0_inv
	s_clause 0x1f
	buffer_load_dword v7, off, s[0:3], 0 offset:296
	buffer_load_dword v8, off, s[0:3], 0 offset:300
	;; [unrolled: 1-line block ×32, first 2 shown]
	v_mov_b32_e32 v2, 0
	ds_read_b128 v[3:6], v2 offset:656
	ds_read_b128 v[57:60], v2 offset:672
	;; [unrolled: 1-line block ×3, first 2 shown]
	s_mov_b32 s4, exec_lo
	s_waitcnt vmcnt(30) lgkmcnt(2)
	v_mul_f64 v[95:96], v[5:6], v[7:8]
	v_mul_f64 v[7:8], v[3:4], v[7:8]
	s_waitcnt vmcnt(28) lgkmcnt(1)
	v_mul_f64 v[97:98], v[59:60], v[65:66]
	v_mul_f64 v[65:66], v[57:58], v[65:66]
	s_waitcnt vmcnt(26)
	v_fma_f64 v[95:96], v[3:4], v[67:68], -v[95:96]
	v_fma_f64 v[7:8], v[5:6], v[67:68], v[7:8]
	ds_read_b128 v[3:6], v2 offset:704
	s_waitcnt vmcnt(24) lgkmcnt(1)
	v_mul_f64 v[67:68], v[61:62], v[69:70]
	v_mul_f64 v[69:70], v[63:64], v[69:70]
	s_waitcnt vmcnt(22)
	v_fma_f64 v[97:98], v[57:58], v[71:72], -v[97:98]
	v_fma_f64 v[65:66], v[59:60], v[71:72], v[65:66]
	ds_read_b128 v[57:60], v2 offset:720
	s_waitcnt vmcnt(18) lgkmcnt(1)
	v_mul_f64 v[71:72], v[3:4], v[73:74]
	v_add_f64 v[95:96], v[95:96], 0
	v_add_f64 v[7:8], v[7:8], 0
	v_mul_f64 v[73:74], v[5:6], v[73:74]
	s_waitcnt vmcnt(16)
	v_fma_f64 v[69:70], v[61:62], v[79:80], -v[69:70]
	v_fma_f64 v[67:68], v[63:64], v[79:80], v[67:68]
	ds_read_b128 v[61:64], v2 offset:736
	s_waitcnt vmcnt(13)
	v_fma_f64 v[71:72], v[5:6], v[81:82], v[71:72]
	v_add_f64 v[95:96], v[95:96], v[97:98]
	v_add_f64 v[7:8], v[7:8], v[65:66]
	s_waitcnt lgkmcnt(1)
	v_mul_f64 v[65:66], v[57:58], v[75:76]
	v_mul_f64 v[75:76], v[59:60], v[75:76]
	v_fma_f64 v[73:74], v[3:4], v[81:82], -v[73:74]
	s_waitcnt vmcnt(9) lgkmcnt(0)
	v_mul_f64 v[79:80], v[63:64], v[83:84]
	ds_read_b128 v[3:6], v2 offset:752
	v_add_f64 v[69:70], v[95:96], v[69:70]
	v_add_f64 v[7:8], v[7:8], v[67:68]
	v_mul_f64 v[67:68], v[61:62], v[83:84]
	s_waitcnt vmcnt(8)
	v_fma_f64 v[57:58], v[57:58], v[77:78], -v[75:76]
	v_fma_f64 v[59:60], v[59:60], v[77:78], v[65:66]
	s_waitcnt vmcnt(5)
	v_fma_f64 v[61:62], v[61:62], v[89:90], -v[79:80]
	s_waitcnt lgkmcnt(0)
	v_mul_f64 v[65:66], v[3:4], v[85:86]
	v_add_f64 v[69:70], v[69:70], v[73:74]
	v_add_f64 v[7:8], v[7:8], v[71:72]
	v_mul_f64 v[71:72], v[5:6], v[85:86]
	v_fma_f64 v[63:64], v[63:64], v[89:90], v[67:68]
	s_waitcnt vmcnt(4)
	v_fma_f64 v[5:6], v[5:6], v[87:88], v[65:66]
	v_add_f64 v[57:58], v[69:70], v[57:58]
	v_add_f64 v[7:8], v[7:8], v[59:60]
	v_fma_f64 v[3:4], v[3:4], v[87:88], -v[71:72]
	v_add_f64 v[57:58], v[57:58], v[61:62]
	v_add_f64 v[7:8], v[7:8], v[63:64]
	;; [unrolled: 1-line block ×4, first 2 shown]
	s_waitcnt vmcnt(2)
	v_add_f64 v[3:4], v[91:92], -v[3:4]
	s_waitcnt vmcnt(0)
	v_add_f64 v[5:6], v[93:94], -v[5:6]
	buffer_store_dword v4, off, s[0:3], 0 offset:276
	buffer_store_dword v3, off, s[0:3], 0 offset:272
	;; [unrolled: 1-line block ×4, first 2 shown]
	v_cmpx_lt_u32_e32 15, v0
	s_cbranch_execz .LBB23_127
; %bb.126:
	v_mov_b32_e32 v6, s18
	s_clause 0x3
	buffer_load_dword v3, v6, s[0:3], 0 offen
	buffer_load_dword v4, v6, s[0:3], 0 offen offset:4
	buffer_load_dword v5, v6, s[0:3], 0 offen offset:8
	;; [unrolled: 1-line block ×3, first 2 shown]
	buffer_store_dword v2, off, s[0:3], 0 offset:256
	buffer_store_dword v2, off, s[0:3], 0 offset:260
	;; [unrolled: 1-line block ×4, first 2 shown]
	s_waitcnt vmcnt(0)
	ds_write_b128 v1, v[3:6]
.LBB23_127:
	s_or_b32 exec_lo, exec_lo, s4
	s_waitcnt lgkmcnt(0)
	s_waitcnt_vscnt null, 0x0
	s_barrier
	buffer_gl0_inv
	s_clause 0x23
	buffer_load_dword v7, off, s[0:3], 0 offset:280
	buffer_load_dword v8, off, s[0:3], 0 offset:284
	;; [unrolled: 1-line block ×36, first 2 shown]
	ds_read_b128 v[3:6], v2 offset:640
	ds_read_b128 v[57:60], v2 offset:656
	;; [unrolled: 1-line block ×3, first 2 shown]
	s_mov_b32 s4, exec_lo
	s_waitcnt vmcnt(34) lgkmcnt(2)
	v_mul_f64 v[99:100], v[5:6], v[7:8]
	v_mul_f64 v[7:8], v[3:4], v[7:8]
	s_waitcnt vmcnt(32) lgkmcnt(1)
	v_mul_f64 v[101:102], v[59:60], v[65:66]
	v_mul_f64 v[65:66], v[57:58], v[65:66]
	s_waitcnt vmcnt(30)
	v_fma_f64 v[99:100], v[3:4], v[67:68], -v[99:100]
	v_fma_f64 v[7:8], v[5:6], v[67:68], v[7:8]
	ds_read_b128 v[3:6], v2 offset:688
	s_waitcnt vmcnt(28) lgkmcnt(1)
	v_mul_f64 v[67:68], v[61:62], v[69:70]
	v_mul_f64 v[69:70], v[63:64], v[69:70]
	s_waitcnt vmcnt(26)
	v_fma_f64 v[101:102], v[57:58], v[71:72], -v[101:102]
	v_fma_f64 v[65:66], v[59:60], v[71:72], v[65:66]
	ds_read_b128 v[57:60], v2 offset:704
	s_waitcnt vmcnt(22) lgkmcnt(1)
	v_mul_f64 v[71:72], v[3:4], v[73:74]
	v_add_f64 v[99:100], v[99:100], 0
	v_add_f64 v[7:8], v[7:8], 0
	v_mul_f64 v[73:74], v[5:6], v[73:74]
	s_waitcnt vmcnt(20)
	v_fma_f64 v[69:70], v[61:62], v[79:80], -v[69:70]
	v_fma_f64 v[67:68], v[63:64], v[79:80], v[67:68]
	ds_read_b128 v[61:64], v2 offset:720
	s_waitcnt vmcnt(17)
	v_fma_f64 v[71:72], v[5:6], v[81:82], v[71:72]
	v_add_f64 v[99:100], v[99:100], v[101:102]
	v_add_f64 v[7:8], v[7:8], v[65:66]
	s_waitcnt lgkmcnt(1)
	v_mul_f64 v[65:66], v[57:58], v[75:76]
	v_mul_f64 v[75:76], v[59:60], v[75:76]
	v_fma_f64 v[73:74], v[3:4], v[81:82], -v[73:74]
	s_waitcnt vmcnt(13) lgkmcnt(0)
	v_mul_f64 v[79:80], v[63:64], v[83:84]
	ds_read_b128 v[3:6], v2 offset:736
	v_add_f64 v[69:70], v[99:100], v[69:70]
	v_add_f64 v[7:8], v[7:8], v[67:68]
	v_mul_f64 v[67:68], v[61:62], v[83:84]
	s_waitcnt vmcnt(12)
	v_fma_f64 v[75:76], v[57:58], v[77:78], -v[75:76]
	v_fma_f64 v[65:66], v[59:60], v[77:78], v[65:66]
	ds_read_b128 v[57:60], v2 offset:752
	s_waitcnt vmcnt(9)
	v_fma_f64 v[61:62], v[61:62], v[89:90], -v[79:80]
	v_add_f64 v[69:70], v[69:70], v[73:74]
	v_add_f64 v[7:8], v[7:8], v[71:72]
	s_waitcnt lgkmcnt(1)
	v_mul_f64 v[73:74], v[5:6], v[85:86]
	v_mul_f64 v[71:72], v[3:4], v[85:86]
	v_fma_f64 v[63:64], v[63:64], v[89:90], v[67:68]
	s_waitcnt vmcnt(7) lgkmcnt(0)
	v_mul_f64 v[67:68], v[59:60], v[91:92]
	v_add_f64 v[69:70], v[69:70], v[75:76]
	v_add_f64 v[7:8], v[7:8], v[65:66]
	s_waitcnt vmcnt(6)
	v_fma_f64 v[2:3], v[3:4], v[87:88], -v[73:74]
	v_mul_f64 v[65:66], v[57:58], v[91:92]
	v_fma_f64 v[4:5], v[5:6], v[87:88], v[71:72]
	s_waitcnt vmcnt(4)
	v_fma_f64 v[57:58], v[57:58], v[93:94], -v[67:68]
	v_add_f64 v[61:62], v[69:70], v[61:62]
	v_add_f64 v[6:7], v[7:8], v[63:64]
	v_fma_f64 v[59:60], v[59:60], v[93:94], v[65:66]
	v_add_f64 v[2:3], v[61:62], v[2:3]
	v_add_f64 v[4:5], v[6:7], v[4:5]
	;; [unrolled: 1-line block ×4, first 2 shown]
	s_waitcnt vmcnt(2)
	v_add_f64 v[2:3], v[95:96], -v[2:3]
	s_waitcnt vmcnt(0)
	v_add_f64 v[4:5], v[97:98], -v[4:5]
	buffer_store_dword v3, off, s[0:3], 0 offset:260
	buffer_store_dword v2, off, s[0:3], 0 offset:256
	buffer_store_dword v5, off, s[0:3], 0 offset:268
	buffer_store_dword v4, off, s[0:3], 0 offset:264
	v_cmpx_lt_u32_e32 14, v0
	s_cbranch_execz .LBB23_129
; %bb.128:
	v_mov_b32_e32 v5, s19
	v_mov_b32_e32 v6, 0
	s_clause 0x3
	buffer_load_dword v2, v5, s[0:3], 0 offen
	buffer_load_dword v3, v5, s[0:3], 0 offen offset:4
	buffer_load_dword v4, v5, s[0:3], 0 offen offset:8
	buffer_load_dword v5, v5, s[0:3], 0 offen offset:12
	buffer_store_dword v6, off, s[0:3], 0 offset:240
	buffer_store_dword v6, off, s[0:3], 0 offset:244
	;; [unrolled: 1-line block ×4, first 2 shown]
	s_waitcnt vmcnt(0)
	ds_write_b128 v1, v[2:5]
.LBB23_129:
	s_or_b32 exec_lo, exec_lo, s4
	s_waitcnt lgkmcnt(0)
	s_waitcnt_vscnt null, 0x0
	s_barrier
	buffer_gl0_inv
	s_clause 0x27
	buffer_load_dword v7, off, s[0:3], 0 offset:264
	buffer_load_dword v8, off, s[0:3], 0 offset:268
	;; [unrolled: 1-line block ×40, first 2 shown]
	v_mov_b32_e32 v2, 0
	ds_read_b128 v[3:6], v2 offset:624
	ds_read_b128 v[57:60], v2 offset:640
	;; [unrolled: 1-line block ×3, first 2 shown]
	s_mov_b32 s4, exec_lo
	s_waitcnt vmcnt(38) lgkmcnt(2)
	v_mul_f64 v[103:104], v[5:6], v[7:8]
	v_mul_f64 v[7:8], v[3:4], v[7:8]
	s_waitcnt vmcnt(36) lgkmcnt(1)
	v_mul_f64 v[105:106], v[59:60], v[65:66]
	v_mul_f64 v[65:66], v[57:58], v[65:66]
	s_waitcnt vmcnt(34)
	v_fma_f64 v[103:104], v[3:4], v[67:68], -v[103:104]
	v_fma_f64 v[7:8], v[5:6], v[67:68], v[7:8]
	ds_read_b128 v[3:6], v2 offset:672
	s_waitcnt vmcnt(32) lgkmcnt(1)
	v_mul_f64 v[67:68], v[61:62], v[69:70]
	v_mul_f64 v[69:70], v[63:64], v[69:70]
	s_waitcnt vmcnt(30)
	v_fma_f64 v[105:106], v[57:58], v[71:72], -v[105:106]
	v_fma_f64 v[65:66], v[59:60], v[71:72], v[65:66]
	ds_read_b128 v[57:60], v2 offset:688
	s_waitcnt vmcnt(26) lgkmcnt(1)
	v_mul_f64 v[71:72], v[3:4], v[73:74]
	v_add_f64 v[103:104], v[103:104], 0
	v_add_f64 v[7:8], v[7:8], 0
	v_mul_f64 v[73:74], v[5:6], v[73:74]
	s_waitcnt vmcnt(24)
	v_fma_f64 v[69:70], v[61:62], v[79:80], -v[69:70]
	v_fma_f64 v[67:68], v[63:64], v[79:80], v[67:68]
	ds_read_b128 v[61:64], v2 offset:704
	s_waitcnt vmcnt(21)
	v_fma_f64 v[71:72], v[5:6], v[81:82], v[71:72]
	v_add_f64 v[103:104], v[103:104], v[105:106]
	v_add_f64 v[7:8], v[7:8], v[65:66]
	s_waitcnt lgkmcnt(1)
	v_mul_f64 v[65:66], v[57:58], v[75:76]
	v_mul_f64 v[75:76], v[59:60], v[75:76]
	v_fma_f64 v[73:74], v[3:4], v[81:82], -v[73:74]
	s_waitcnt vmcnt(17) lgkmcnt(0)
	v_mul_f64 v[79:80], v[63:64], v[83:84]
	ds_read_b128 v[3:6], v2 offset:720
	v_add_f64 v[69:70], v[103:104], v[69:70]
	v_add_f64 v[7:8], v[7:8], v[67:68]
	v_mul_f64 v[67:68], v[61:62], v[83:84]
	s_waitcnt vmcnt(16)
	v_fma_f64 v[75:76], v[57:58], v[77:78], -v[75:76]
	v_fma_f64 v[65:66], v[59:60], v[77:78], v[65:66]
	ds_read_b128 v[57:60], v2 offset:736
	s_waitcnt vmcnt(13)
	v_fma_f64 v[77:78], v[61:62], v[89:90], -v[79:80]
	v_add_f64 v[69:70], v[69:70], v[73:74]
	v_add_f64 v[7:8], v[7:8], v[71:72]
	s_waitcnt lgkmcnt(1)
	v_mul_f64 v[73:74], v[5:6], v[85:86]
	v_mul_f64 v[71:72], v[3:4], v[85:86]
	v_fma_f64 v[67:68], v[63:64], v[89:90], v[67:68]
	ds_read_b128 v[61:64], v2 offset:752
	v_add_f64 v[69:70], v[69:70], v[75:76]
	v_add_f64 v[7:8], v[7:8], v[65:66]
	s_waitcnt vmcnt(9) lgkmcnt(1)
	v_mul_f64 v[75:76], v[59:60], v[91:92]
	s_waitcnt vmcnt(8)
	v_fma_f64 v[3:4], v[3:4], v[87:88], -v[73:74]
	v_mul_f64 v[65:66], v[57:58], v[91:92]
	v_fma_f64 v[5:6], v[5:6], v[87:88], v[71:72]
	s_waitcnt vmcnt(7) lgkmcnt(0)
	v_mul_f64 v[71:72], v[63:64], v[93:94]
	v_add_f64 v[69:70], v[69:70], v[77:78]
	v_add_f64 v[7:8], v[7:8], v[67:68]
	s_waitcnt vmcnt(5)
	v_fma_f64 v[57:58], v[57:58], v[97:98], -v[75:76]
	v_mul_f64 v[67:68], v[61:62], v[93:94]
	v_fma_f64 v[59:60], v[59:60], v[97:98], v[65:66]
	v_add_f64 v[3:4], v[69:70], v[3:4]
	v_add_f64 v[5:6], v[7:8], v[5:6]
	s_waitcnt vmcnt(4)
	v_fma_f64 v[7:8], v[61:62], v[95:96], -v[71:72]
	v_add_f64 v[3:4], v[3:4], v[57:58]
	v_fma_f64 v[57:58], v[63:64], v[95:96], v[67:68]
	v_add_f64 v[5:6], v[5:6], v[59:60]
	v_add_f64 v[3:4], v[3:4], v[7:8]
	;; [unrolled: 1-line block ×3, first 2 shown]
	s_waitcnt vmcnt(2)
	v_add_f64 v[3:4], v[99:100], -v[3:4]
	s_waitcnt vmcnt(0)
	v_add_f64 v[5:6], v[101:102], -v[5:6]
	buffer_store_dword v4, off, s[0:3], 0 offset:244
	buffer_store_dword v3, off, s[0:3], 0 offset:240
	buffer_store_dword v6, off, s[0:3], 0 offset:252
	buffer_store_dword v5, off, s[0:3], 0 offset:248
	v_cmpx_lt_u32_e32 13, v0
	s_cbranch_execz .LBB23_131
; %bb.130:
	v_mov_b32_e32 v6, s22
	s_clause 0x3
	buffer_load_dword v3, v6, s[0:3], 0 offen
	buffer_load_dword v4, v6, s[0:3], 0 offen offset:4
	buffer_load_dword v5, v6, s[0:3], 0 offen offset:8
	;; [unrolled: 1-line block ×3, first 2 shown]
	buffer_store_dword v2, off, s[0:3], 0 offset:224
	buffer_store_dword v2, off, s[0:3], 0 offset:228
	;; [unrolled: 1-line block ×4, first 2 shown]
	s_waitcnt vmcnt(0)
	ds_write_b128 v1, v[3:6]
.LBB23_131:
	s_or_b32 exec_lo, exec_lo, s4
	s_waitcnt lgkmcnt(0)
	s_waitcnt_vscnt null, 0x0
	s_barrier
	buffer_gl0_inv
	s_clause 0x2b
	buffer_load_dword v7, off, s[0:3], 0 offset:248
	buffer_load_dword v8, off, s[0:3], 0 offset:252
	;; [unrolled: 1-line block ×44, first 2 shown]
	ds_read_b128 v[3:6], v2 offset:608
	ds_read_b128 v[57:60], v2 offset:624
	;; [unrolled: 1-line block ×3, first 2 shown]
	s_mov_b32 s4, exec_lo
	s_waitcnt vmcnt(42) lgkmcnt(2)
	v_mul_f64 v[107:108], v[5:6], v[7:8]
	v_mul_f64 v[7:8], v[3:4], v[7:8]
	s_waitcnt vmcnt(40) lgkmcnt(1)
	v_mul_f64 v[109:110], v[59:60], v[65:66]
	v_mul_f64 v[65:66], v[57:58], v[65:66]
	s_waitcnt vmcnt(38)
	v_fma_f64 v[107:108], v[3:4], v[67:68], -v[107:108]
	v_fma_f64 v[7:8], v[5:6], v[67:68], v[7:8]
	ds_read_b128 v[3:6], v2 offset:656
	s_waitcnt vmcnt(36) lgkmcnt(1)
	v_mul_f64 v[67:68], v[61:62], v[69:70]
	v_mul_f64 v[69:70], v[63:64], v[69:70]
	s_waitcnt vmcnt(34)
	v_fma_f64 v[109:110], v[57:58], v[71:72], -v[109:110]
	v_fma_f64 v[65:66], v[59:60], v[71:72], v[65:66]
	ds_read_b128 v[57:60], v2 offset:672
	s_waitcnt vmcnt(30) lgkmcnt(1)
	v_mul_f64 v[71:72], v[3:4], v[73:74]
	v_add_f64 v[107:108], v[107:108], 0
	v_add_f64 v[7:8], v[7:8], 0
	v_mul_f64 v[73:74], v[5:6], v[73:74]
	s_waitcnt vmcnt(28)
	v_fma_f64 v[69:70], v[61:62], v[79:80], -v[69:70]
	v_fma_f64 v[67:68], v[63:64], v[79:80], v[67:68]
	ds_read_b128 v[61:64], v2 offset:688
	s_waitcnt vmcnt(25)
	v_fma_f64 v[71:72], v[5:6], v[81:82], v[71:72]
	v_add_f64 v[107:108], v[107:108], v[109:110]
	v_add_f64 v[7:8], v[7:8], v[65:66]
	s_waitcnt lgkmcnt(1)
	v_mul_f64 v[65:66], v[57:58], v[75:76]
	v_mul_f64 v[75:76], v[59:60], v[75:76]
	v_fma_f64 v[73:74], v[3:4], v[81:82], -v[73:74]
	s_waitcnt vmcnt(21) lgkmcnt(0)
	v_mul_f64 v[79:80], v[63:64], v[83:84]
	ds_read_b128 v[3:6], v2 offset:704
	v_add_f64 v[69:70], v[107:108], v[69:70]
	v_add_f64 v[7:8], v[7:8], v[67:68]
	v_mul_f64 v[67:68], v[61:62], v[83:84]
	s_waitcnt vmcnt(20)
	v_fma_f64 v[75:76], v[57:58], v[77:78], -v[75:76]
	v_fma_f64 v[65:66], v[59:60], v[77:78], v[65:66]
	ds_read_b128 v[57:60], v2 offset:720
	s_waitcnt vmcnt(17)
	v_fma_f64 v[77:78], v[61:62], v[89:90], -v[79:80]
	v_add_f64 v[69:70], v[69:70], v[73:74]
	v_add_f64 v[7:8], v[7:8], v[71:72]
	s_waitcnt lgkmcnt(1)
	v_mul_f64 v[73:74], v[5:6], v[85:86]
	v_mul_f64 v[71:72], v[3:4], v[85:86]
	v_fma_f64 v[67:68], v[63:64], v[89:90], v[67:68]
	ds_read_b128 v[61:64], v2 offset:736
	v_add_f64 v[69:70], v[69:70], v[75:76]
	v_add_f64 v[7:8], v[7:8], v[65:66]
	s_waitcnt vmcnt(13) lgkmcnt(1)
	v_mul_f64 v[75:76], v[59:60], v[91:92]
	s_waitcnt vmcnt(12)
	v_fma_f64 v[73:74], v[3:4], v[87:88], -v[73:74]
	v_mul_f64 v[65:66], v[57:58], v[91:92]
	v_fma_f64 v[71:72], v[5:6], v[87:88], v[71:72]
	ds_read_b128 v[2:5], v2 offset:752
	v_add_f64 v[69:70], v[69:70], v[77:78]
	v_add_f64 v[6:7], v[7:8], v[67:68]
	s_waitcnt vmcnt(11) lgkmcnt(1)
	v_mul_f64 v[77:78], v[63:64], v[93:94]
	s_waitcnt vmcnt(9)
	v_fma_f64 v[57:58], v[57:58], v[97:98], -v[75:76]
	v_mul_f64 v[67:68], v[61:62], v[93:94]
	v_fma_f64 v[59:60], v[59:60], v[97:98], v[65:66]
	s_waitcnt vmcnt(7) lgkmcnt(0)
	v_mul_f64 v[65:66], v[2:3], v[99:100]
	v_add_f64 v[69:70], v[69:70], v[73:74]
	v_add_f64 v[6:7], v[6:7], v[71:72]
	v_mul_f64 v[71:72], v[4:5], v[99:100]
	s_waitcnt vmcnt(6)
	v_fma_f64 v[61:62], v[61:62], v[95:96], -v[77:78]
	v_fma_f64 v[63:64], v[63:64], v[95:96], v[67:68]
	s_waitcnt vmcnt(4)
	v_fma_f64 v[4:5], v[4:5], v[101:102], v[65:66]
	v_add_f64 v[57:58], v[69:70], v[57:58]
	v_add_f64 v[6:7], v[6:7], v[59:60]
	v_fma_f64 v[2:3], v[2:3], v[101:102], -v[71:72]
	v_add_f64 v[57:58], v[57:58], v[61:62]
	v_add_f64 v[6:7], v[6:7], v[63:64]
	;; [unrolled: 1-line block ×4, first 2 shown]
	s_waitcnt vmcnt(2)
	v_add_f64 v[2:3], v[103:104], -v[2:3]
	s_waitcnt vmcnt(0)
	v_add_f64 v[4:5], v[105:106], -v[4:5]
	buffer_store_dword v3, off, s[0:3], 0 offset:228
	buffer_store_dword v2, off, s[0:3], 0 offset:224
	;; [unrolled: 1-line block ×4, first 2 shown]
	v_cmpx_lt_u32_e32 12, v0
	s_cbranch_execz .LBB23_133
; %bb.132:
	v_mov_b32_e32 v5, s23
	v_mov_b32_e32 v6, 0
	s_clause 0x3
	buffer_load_dword v2, v5, s[0:3], 0 offen
	buffer_load_dword v3, v5, s[0:3], 0 offen offset:4
	buffer_load_dword v4, v5, s[0:3], 0 offen offset:8
	;; [unrolled: 1-line block ×3, first 2 shown]
	buffer_store_dword v6, off, s[0:3], 0 offset:208
	buffer_store_dword v6, off, s[0:3], 0 offset:212
	;; [unrolled: 1-line block ×4, first 2 shown]
	s_waitcnt vmcnt(0)
	ds_write_b128 v1, v[2:5]
.LBB23_133:
	s_or_b32 exec_lo, exec_lo, s4
	s_waitcnt lgkmcnt(0)
	s_waitcnt_vscnt null, 0x0
	s_barrier
	buffer_gl0_inv
	s_clause 0x2f
	buffer_load_dword v7, off, s[0:3], 0 offset:232
	buffer_load_dword v8, off, s[0:3], 0 offset:236
	;; [unrolled: 1-line block ×48, first 2 shown]
	v_mov_b32_e32 v2, 0
	ds_read_b128 v[3:6], v2 offset:592
	ds_read_b128 v[57:60], v2 offset:608
	;; [unrolled: 1-line block ×3, first 2 shown]
	s_mov_b32 s4, exec_lo
	s_waitcnt vmcnt(46) lgkmcnt(2)
	v_mul_f64 v[111:112], v[5:6], v[7:8]
	v_mul_f64 v[7:8], v[3:4], v[7:8]
	s_waitcnt vmcnt(44) lgkmcnt(1)
	v_mul_f64 v[113:114], v[59:60], v[65:66]
	v_mul_f64 v[65:66], v[57:58], v[65:66]
	s_waitcnt vmcnt(42)
	v_fma_f64 v[111:112], v[3:4], v[67:68], -v[111:112]
	v_fma_f64 v[7:8], v[5:6], v[67:68], v[7:8]
	ds_read_b128 v[3:6], v2 offset:640
	s_waitcnt vmcnt(40) lgkmcnt(1)
	v_mul_f64 v[67:68], v[61:62], v[69:70]
	v_mul_f64 v[69:70], v[63:64], v[69:70]
	s_waitcnt vmcnt(38)
	v_fma_f64 v[113:114], v[57:58], v[71:72], -v[113:114]
	v_fma_f64 v[65:66], v[59:60], v[71:72], v[65:66]
	ds_read_b128 v[57:60], v2 offset:656
	s_waitcnt vmcnt(34) lgkmcnt(1)
	v_mul_f64 v[71:72], v[3:4], v[73:74]
	v_add_f64 v[111:112], v[111:112], 0
	v_add_f64 v[7:8], v[7:8], 0
	v_mul_f64 v[73:74], v[5:6], v[73:74]
	s_waitcnt vmcnt(32)
	v_fma_f64 v[69:70], v[61:62], v[79:80], -v[69:70]
	v_fma_f64 v[67:68], v[63:64], v[79:80], v[67:68]
	ds_read_b128 v[61:64], v2 offset:672
	s_waitcnt vmcnt(29)
	v_fma_f64 v[71:72], v[5:6], v[81:82], v[71:72]
	v_add_f64 v[111:112], v[111:112], v[113:114]
	v_add_f64 v[7:8], v[7:8], v[65:66]
	s_waitcnt lgkmcnt(1)
	v_mul_f64 v[65:66], v[57:58], v[75:76]
	v_mul_f64 v[75:76], v[59:60], v[75:76]
	v_fma_f64 v[73:74], v[3:4], v[81:82], -v[73:74]
	s_waitcnt vmcnt(25) lgkmcnt(0)
	v_mul_f64 v[79:80], v[63:64], v[83:84]
	ds_read_b128 v[3:6], v2 offset:688
	v_add_f64 v[69:70], v[111:112], v[69:70]
	v_add_f64 v[7:8], v[7:8], v[67:68]
	v_mul_f64 v[67:68], v[61:62], v[83:84]
	s_waitcnt vmcnt(24)
	v_fma_f64 v[75:76], v[57:58], v[77:78], -v[75:76]
	v_fma_f64 v[65:66], v[59:60], v[77:78], v[65:66]
	ds_read_b128 v[57:60], v2 offset:704
	s_waitcnt vmcnt(21)
	v_fma_f64 v[77:78], v[61:62], v[89:90], -v[79:80]
	v_add_f64 v[69:70], v[69:70], v[73:74]
	v_add_f64 v[7:8], v[7:8], v[71:72]
	s_waitcnt lgkmcnt(1)
	v_mul_f64 v[73:74], v[5:6], v[85:86]
	v_mul_f64 v[71:72], v[3:4], v[85:86]
	v_fma_f64 v[67:68], v[63:64], v[89:90], v[67:68]
	ds_read_b128 v[61:64], v2 offset:720
	v_add_f64 v[69:70], v[69:70], v[75:76]
	v_add_f64 v[7:8], v[7:8], v[65:66]
	s_waitcnt vmcnt(17) lgkmcnt(1)
	v_mul_f64 v[75:76], v[59:60], v[91:92]
	s_waitcnt vmcnt(16)
	v_fma_f64 v[73:74], v[3:4], v[87:88], -v[73:74]
	v_mul_f64 v[65:66], v[57:58], v[91:92]
	v_fma_f64 v[71:72], v[5:6], v[87:88], v[71:72]
	ds_read_b128 v[3:6], v2 offset:736
	v_add_f64 v[69:70], v[69:70], v[77:78]
	v_add_f64 v[7:8], v[7:8], v[67:68]
	s_waitcnt vmcnt(15) lgkmcnt(1)
	v_mul_f64 v[77:78], v[63:64], v[93:94]
	s_waitcnt vmcnt(13)
	v_fma_f64 v[75:76], v[57:58], v[97:98], -v[75:76]
	;; [unrolled: 9-line block ×3, first 2 shown]
	v_mul_f64 v[71:72], v[3:4], v[99:100]
	v_fma_f64 v[63:64], v[63:64], v[95:96], v[67:68]
	s_waitcnt vmcnt(7) lgkmcnt(0)
	v_mul_f64 v[67:68], v[59:60], v[101:102]
	v_add_f64 v[69:70], v[69:70], v[75:76]
	v_add_f64 v[7:8], v[7:8], v[65:66]
	s_waitcnt vmcnt(5)
	v_fma_f64 v[3:4], v[3:4], v[105:106], -v[73:74]
	v_mul_f64 v[65:66], v[57:58], v[101:102]
	v_fma_f64 v[5:6], v[5:6], v[105:106], v[71:72]
	s_waitcnt vmcnt(4)
	v_fma_f64 v[57:58], v[57:58], v[103:104], -v[67:68]
	v_add_f64 v[61:62], v[69:70], v[61:62]
	v_add_f64 v[7:8], v[7:8], v[63:64]
	v_fma_f64 v[59:60], v[59:60], v[103:104], v[65:66]
	v_add_f64 v[3:4], v[61:62], v[3:4]
	v_add_f64 v[5:6], v[7:8], v[5:6]
	v_add_f64 v[3:4], v[3:4], v[57:58]
	v_add_f64 v[5:6], v[5:6], v[59:60]
	s_waitcnt vmcnt(2)
	v_add_f64 v[3:4], v[107:108], -v[3:4]
	s_waitcnt vmcnt(0)
	v_add_f64 v[5:6], v[109:110], -v[5:6]
	buffer_store_dword v4, off, s[0:3], 0 offset:212
	buffer_store_dword v3, off, s[0:3], 0 offset:208
	;; [unrolled: 1-line block ×4, first 2 shown]
	v_cmpx_lt_u32_e32 11, v0
	s_cbranch_execz .LBB23_135
; %bb.134:
	v_mov_b32_e32 v6, s24
	s_clause 0x3
	buffer_load_dword v3, v6, s[0:3], 0 offen
	buffer_load_dword v4, v6, s[0:3], 0 offen offset:4
	buffer_load_dword v5, v6, s[0:3], 0 offen offset:8
	;; [unrolled: 1-line block ×3, first 2 shown]
	buffer_store_dword v2, off, s[0:3], 0 offset:192
	buffer_store_dword v2, off, s[0:3], 0 offset:196
	;; [unrolled: 1-line block ×4, first 2 shown]
	s_waitcnt vmcnt(0)
	ds_write_b128 v1, v[3:6]
.LBB23_135:
	s_or_b32 exec_lo, exec_lo, s4
	s_waitcnt lgkmcnt(0)
	s_waitcnt_vscnt null, 0x0
	s_barrier
	buffer_gl0_inv
	s_clause 0x2f
	buffer_load_dword v7, off, s[0:3], 0 offset:216
	buffer_load_dword v8, off, s[0:3], 0 offset:220
	;; [unrolled: 1-line block ×48, first 2 shown]
	ds_read_b128 v[3:6], v2 offset:576
	s_clause 0x3
	buffer_load_dword v111, off, s[0:3], 0 offset:192
	buffer_load_dword v112, off, s[0:3], 0 offset:196
	;; [unrolled: 1-line block ×4, first 2 shown]
	ds_read_b128 v[57:60], v2 offset:592
	ds_read_b128 v[61:64], v2 offset:608
	s_mov_b32 s4, exec_lo
	s_waitcnt vmcnt(50) lgkmcnt(2)
	v_mul_f64 v[115:116], v[5:6], v[7:8]
	v_mul_f64 v[7:8], v[3:4], v[7:8]
	s_waitcnt vmcnt(48) lgkmcnt(1)
	v_mul_f64 v[117:118], v[59:60], v[65:66]
	v_mul_f64 v[65:66], v[57:58], v[65:66]
	s_waitcnt vmcnt(46)
	v_fma_f64 v[115:116], v[3:4], v[67:68], -v[115:116]
	v_fma_f64 v[7:8], v[5:6], v[67:68], v[7:8]
	s_waitcnt vmcnt(44) lgkmcnt(0)
	v_mul_f64 v[67:68], v[61:62], v[69:70]
	v_mul_f64 v[69:70], v[63:64], v[69:70]
	s_waitcnt vmcnt(42)
	v_fma_f64 v[117:118], v[57:58], v[71:72], -v[117:118]
	ds_read_b128 v[3:6], v2 offset:624
	v_fma_f64 v[65:66], v[59:60], v[71:72], v[65:66]
	ds_read_b128 v[57:60], v2 offset:640
	v_add_f64 v[115:116], v[115:116], 0
	v_add_f64 v[7:8], v[7:8], 0
	s_waitcnt vmcnt(36)
	v_fma_f64 v[67:68], v[63:64], v[79:80], v[67:68]
	s_waitcnt lgkmcnt(1)
	v_mul_f64 v[71:72], v[3:4], v[73:74]
	v_mul_f64 v[73:74], v[5:6], v[73:74]
	v_fma_f64 v[69:70], v[61:62], v[79:80], -v[69:70]
	ds_read_b128 v[61:64], v2 offset:656
	v_add_f64 v[115:116], v[115:116], v[117:118]
	v_add_f64 v[7:8], v[7:8], v[65:66]
	s_waitcnt vmcnt(35) lgkmcnt(1)
	v_mul_f64 v[65:66], v[57:58], v[75:76]
	v_mul_f64 v[75:76], v[59:60], v[75:76]
	s_waitcnt vmcnt(33)
	v_fma_f64 v[73:74], v[3:4], v[81:82], -v[73:74]
	v_fma_f64 v[71:72], v[5:6], v[81:82], v[71:72]
	ds_read_b128 v[3:6], v2 offset:672
	s_waitcnt vmcnt(29) lgkmcnt(1)
	v_mul_f64 v[79:80], v[63:64], v[83:84]
	v_add_f64 v[69:70], v[115:116], v[69:70]
	v_add_f64 v[7:8], v[7:8], v[67:68]
	v_mul_f64 v[67:68], v[61:62], v[83:84]
	s_waitcnt vmcnt(28)
	v_fma_f64 v[75:76], v[57:58], v[77:78], -v[75:76]
	v_fma_f64 v[65:66], v[59:60], v[77:78], v[65:66]
	ds_read_b128 v[57:60], v2 offset:688
	s_waitcnt vmcnt(25)
	v_fma_f64 v[77:78], v[61:62], v[89:90], -v[79:80]
	v_add_f64 v[69:70], v[69:70], v[73:74]
	v_add_f64 v[7:8], v[7:8], v[71:72]
	s_waitcnt lgkmcnt(1)
	v_mul_f64 v[73:74], v[5:6], v[85:86]
	v_mul_f64 v[71:72], v[3:4], v[85:86]
	v_fma_f64 v[67:68], v[63:64], v[89:90], v[67:68]
	ds_read_b128 v[61:64], v2 offset:704
	v_add_f64 v[69:70], v[69:70], v[75:76]
	v_add_f64 v[7:8], v[7:8], v[65:66]
	s_waitcnt vmcnt(21) lgkmcnt(1)
	v_mul_f64 v[75:76], v[59:60], v[91:92]
	s_waitcnt vmcnt(20)
	v_fma_f64 v[73:74], v[3:4], v[87:88], -v[73:74]
	v_mul_f64 v[65:66], v[57:58], v[91:92]
	v_fma_f64 v[71:72], v[5:6], v[87:88], v[71:72]
	ds_read_b128 v[3:6], v2 offset:720
	v_add_f64 v[69:70], v[69:70], v[77:78]
	v_add_f64 v[7:8], v[7:8], v[67:68]
	s_waitcnt vmcnt(19) lgkmcnt(1)
	v_mul_f64 v[77:78], v[63:64], v[93:94]
	s_waitcnt vmcnt(17)
	v_fma_f64 v[75:76], v[57:58], v[97:98], -v[75:76]
	;; [unrolled: 9-line block ×4, first 2 shown]
	v_mul_f64 v[65:66], v[57:58], v[101:102]
	v_fma_f64 v[4:5], v[5:6], v[105:106], v[71:72]
	s_waitcnt vmcnt(7) lgkmcnt(0)
	v_mul_f64 v[71:72], v[63:64], v[107:108]
	v_add_f64 v[69:70], v[69:70], v[77:78]
	v_add_f64 v[6:7], v[7:8], v[67:68]
	s_waitcnt vmcnt(6)
	v_fma_f64 v[57:58], v[57:58], v[103:104], -v[75:76]
	v_mul_f64 v[67:68], v[61:62], v[107:108]
	v_fma_f64 v[59:60], v[59:60], v[103:104], v[65:66]
	v_add_f64 v[2:3], v[69:70], v[2:3]
	v_add_f64 v[4:5], v[6:7], v[4:5]
	s_waitcnt vmcnt(4)
	v_fma_f64 v[6:7], v[61:62], v[109:110], -v[71:72]
	v_add_f64 v[2:3], v[2:3], v[57:58]
	v_fma_f64 v[57:58], v[63:64], v[109:110], v[67:68]
	v_add_f64 v[4:5], v[4:5], v[59:60]
	v_add_f64 v[2:3], v[2:3], v[6:7]
	;; [unrolled: 1-line block ×3, first 2 shown]
	s_waitcnt vmcnt(2)
	v_add_f64 v[2:3], v[111:112], -v[2:3]
	s_waitcnt vmcnt(0)
	v_add_f64 v[4:5], v[113:114], -v[4:5]
	buffer_store_dword v3, off, s[0:3], 0 offset:196
	buffer_store_dword v2, off, s[0:3], 0 offset:192
	;; [unrolled: 1-line block ×4, first 2 shown]
	v_cmpx_lt_u32_e32 10, v0
	s_cbranch_execz .LBB23_137
; %bb.136:
	v_mov_b32_e32 v5, s25
	v_mov_b32_e32 v6, 0
	s_clause 0x3
	buffer_load_dword v2, v5, s[0:3], 0 offen
	buffer_load_dword v3, v5, s[0:3], 0 offen offset:4
	buffer_load_dword v4, v5, s[0:3], 0 offen offset:8
	;; [unrolled: 1-line block ×3, first 2 shown]
	buffer_store_dword v6, off, s[0:3], 0 offset:176
	buffer_store_dword v6, off, s[0:3], 0 offset:180
	buffer_store_dword v6, off, s[0:3], 0 offset:184
	buffer_store_dword v6, off, s[0:3], 0 offset:188
	s_waitcnt vmcnt(0)
	ds_write_b128 v1, v[2:5]
.LBB23_137:
	s_or_b32 exec_lo, exec_lo, s4
	s_waitcnt lgkmcnt(0)
	s_waitcnt_vscnt null, 0x0
	s_barrier
	buffer_gl0_inv
	s_clause 0x33
	buffer_load_dword v7, off, s[0:3], 0 offset:200
	buffer_load_dword v8, off, s[0:3], 0 offset:204
	;; [unrolled: 1-line block ×52, first 2 shown]
	v_mov_b32_e32 v2, 0
	ds_read_b128 v[3:6], v2 offset:560
	ds_read_b128 v[57:60], v2 offset:576
	s_clause 0x3
	buffer_load_dword v117, off, s[0:3], 0 offset:176
	buffer_load_dword v118, off, s[0:3], 0 offset:180
	;; [unrolled: 1-line block ×4, first 2 shown]
	ds_read_b128 v[61:64], v2 offset:592
	s_mov_b32 s4, exec_lo
	s_waitcnt vmcnt(54) lgkmcnt(2)
	v_mul_f64 v[115:116], v[5:6], v[7:8]
	v_mul_f64 v[7:8], v[3:4], v[7:8]
	s_waitcnt vmcnt(52) lgkmcnt(1)
	v_mul_f64 v[121:122], v[59:60], v[65:66]
	v_mul_f64 v[65:66], v[57:58], v[65:66]
	s_waitcnt vmcnt(50)
	v_fma_f64 v[115:116], v[3:4], v[67:68], -v[115:116]
	v_fma_f64 v[7:8], v[5:6], v[67:68], v[7:8]
	ds_read_b128 v[3:6], v2 offset:608
	s_waitcnt vmcnt(48) lgkmcnt(1)
	v_mul_f64 v[67:68], v[61:62], v[69:70]
	v_mul_f64 v[69:70], v[63:64], v[69:70]
	s_waitcnt vmcnt(46)
	v_fma_f64 v[121:122], v[57:58], v[71:72], -v[121:122]
	v_fma_f64 v[65:66], v[59:60], v[71:72], v[65:66]
	ds_read_b128 v[57:60], v2 offset:624
	s_waitcnt vmcnt(42) lgkmcnt(1)
	v_mul_f64 v[71:72], v[3:4], v[73:74]
	v_add_f64 v[115:116], v[115:116], 0
	v_add_f64 v[7:8], v[7:8], 0
	v_mul_f64 v[73:74], v[5:6], v[73:74]
	s_waitcnt vmcnt(40)
	v_fma_f64 v[69:70], v[61:62], v[79:80], -v[69:70]
	v_fma_f64 v[67:68], v[63:64], v[79:80], v[67:68]
	ds_read_b128 v[61:64], v2 offset:640
	s_waitcnt vmcnt(37)
	v_fma_f64 v[71:72], v[5:6], v[81:82], v[71:72]
	v_add_f64 v[115:116], v[115:116], v[121:122]
	v_add_f64 v[7:8], v[7:8], v[65:66]
	s_waitcnt lgkmcnt(1)
	v_mul_f64 v[65:66], v[57:58], v[75:76]
	v_mul_f64 v[75:76], v[59:60], v[75:76]
	v_fma_f64 v[73:74], v[3:4], v[81:82], -v[73:74]
	s_waitcnt vmcnt(33) lgkmcnt(0)
	v_mul_f64 v[79:80], v[63:64], v[83:84]
	ds_read_b128 v[3:6], v2 offset:656
	v_add_f64 v[69:70], v[115:116], v[69:70]
	v_add_f64 v[7:8], v[7:8], v[67:68]
	v_mul_f64 v[67:68], v[61:62], v[83:84]
	s_waitcnt vmcnt(32)
	v_fma_f64 v[75:76], v[57:58], v[77:78], -v[75:76]
	v_fma_f64 v[65:66], v[59:60], v[77:78], v[65:66]
	ds_read_b128 v[57:60], v2 offset:672
	s_waitcnt vmcnt(29)
	v_fma_f64 v[77:78], v[61:62], v[89:90], -v[79:80]
	v_add_f64 v[69:70], v[69:70], v[73:74]
	v_add_f64 v[7:8], v[7:8], v[71:72]
	s_waitcnt lgkmcnt(1)
	v_mul_f64 v[73:74], v[5:6], v[85:86]
	v_mul_f64 v[71:72], v[3:4], v[85:86]
	v_fma_f64 v[67:68], v[63:64], v[89:90], v[67:68]
	ds_read_b128 v[61:64], v2 offset:688
	v_add_f64 v[69:70], v[69:70], v[75:76]
	v_add_f64 v[7:8], v[7:8], v[65:66]
	s_waitcnt vmcnt(25) lgkmcnt(1)
	v_mul_f64 v[75:76], v[59:60], v[91:92]
	s_waitcnt vmcnt(24)
	v_fma_f64 v[73:74], v[3:4], v[87:88], -v[73:74]
	v_mul_f64 v[65:66], v[57:58], v[91:92]
	v_fma_f64 v[71:72], v[5:6], v[87:88], v[71:72]
	ds_read_b128 v[3:6], v2 offset:704
	v_add_f64 v[69:70], v[69:70], v[77:78]
	v_add_f64 v[7:8], v[7:8], v[67:68]
	s_waitcnt vmcnt(23) lgkmcnt(1)
	v_mul_f64 v[77:78], v[63:64], v[93:94]
	s_waitcnt vmcnt(21)
	v_fma_f64 v[75:76], v[57:58], v[97:98], -v[75:76]
	;; [unrolled: 9-line block ×5, first 2 shown]
	v_mul_f64 v[67:68], v[61:62], v[107:108]
	v_fma_f64 v[59:60], v[59:60], v[103:104], v[65:66]
	s_waitcnt vmcnt(7) lgkmcnt(0)
	v_mul_f64 v[65:66], v[3:4], v[109:110]
	v_add_f64 v[69:70], v[69:70], v[73:74]
	v_add_f64 v[7:8], v[7:8], v[71:72]
	v_mul_f64 v[71:72], v[5:6], v[109:110]
	s_waitcnt vmcnt(5)
	v_fma_f64 v[61:62], v[61:62], v[113:114], -v[77:78]
	v_fma_f64 v[63:64], v[63:64], v[113:114], v[67:68]
	s_waitcnt vmcnt(4)
	v_fma_f64 v[5:6], v[5:6], v[111:112], v[65:66]
	v_add_f64 v[57:58], v[69:70], v[57:58]
	v_add_f64 v[7:8], v[7:8], v[59:60]
	v_fma_f64 v[3:4], v[3:4], v[111:112], -v[71:72]
	v_add_f64 v[57:58], v[57:58], v[61:62]
	v_add_f64 v[7:8], v[7:8], v[63:64]
	;; [unrolled: 1-line block ×4, first 2 shown]
	s_waitcnt vmcnt(2)
	v_add_f64 v[3:4], v[117:118], -v[3:4]
	s_waitcnt vmcnt(0)
	v_add_f64 v[5:6], v[119:120], -v[5:6]
	buffer_store_dword v4, off, s[0:3], 0 offset:180
	buffer_store_dword v3, off, s[0:3], 0 offset:176
	;; [unrolled: 1-line block ×4, first 2 shown]
	v_cmpx_lt_u32_e32 9, v0
	s_cbranch_execz .LBB23_139
; %bb.138:
	v_mov_b32_e32 v6, s26
	s_clause 0x3
	buffer_load_dword v3, v6, s[0:3], 0 offen
	buffer_load_dword v4, v6, s[0:3], 0 offen offset:4
	buffer_load_dword v5, v6, s[0:3], 0 offen offset:8
	;; [unrolled: 1-line block ×3, first 2 shown]
	buffer_store_dword v2, off, s[0:3], 0 offset:160
	buffer_store_dword v2, off, s[0:3], 0 offset:164
	;; [unrolled: 1-line block ×4, first 2 shown]
	s_waitcnt vmcnt(0)
	ds_write_b128 v1, v[3:6]
.LBB23_139:
	s_or_b32 exec_lo, exec_lo, s4
	s_waitcnt lgkmcnt(0)
	s_waitcnt_vscnt null, 0x0
	s_barrier
	buffer_gl0_inv
	s_clause 0x35
	buffer_load_dword v7, off, s[0:3], 0 offset:184
	buffer_load_dword v8, off, s[0:3], 0 offset:188
	buffer_load_dword v65, off, s[0:3], 0 offset:200
	buffer_load_dword v66, off, s[0:3], 0 offset:204
	buffer_load_dword v67, off, s[0:3], 0 offset:176
	buffer_load_dword v68, off, s[0:3], 0 offset:180
	buffer_load_dword v69, off, s[0:3], 0 offset:216
	buffer_load_dword v70, off, s[0:3], 0 offset:220
	buffer_load_dword v71, off, s[0:3], 0 offset:192
	buffer_load_dword v72, off, s[0:3], 0 offset:196
	buffer_load_dword v74, off, s[0:3], 0 offset:236
	buffer_load_dword v73, off, s[0:3], 0 offset:232
	buffer_load_dword v75, off, s[0:3], 0 offset:208
	buffer_load_dword v76, off, s[0:3], 0 offset:212
	buffer_load_dword v77, off, s[0:3], 0 offset:248
	buffer_load_dword v78, off, s[0:3], 0 offset:252
	buffer_load_dword v80, off, s[0:3], 0 offset:228
	buffer_load_dword v79, off, s[0:3], 0 offset:224
	buffer_load_dword v82, off, s[0:3], 0 offset:268
	buffer_load_dword v81, off, s[0:3], 0 offset:264
	buffer_load_dword v83, off, s[0:3], 0 offset:240
	buffer_load_dword v84, off, s[0:3], 0 offset:244
	buffer_load_dword v85, off, s[0:3], 0 offset:280
	buffer_load_dword v86, off, s[0:3], 0 offset:284
	buffer_load_dword v88, off, s[0:3], 0 offset:260
	buffer_load_dword v87, off, s[0:3], 0 offset:256
	buffer_load_dword v90, off, s[0:3], 0 offset:300
	buffer_load_dword v89, off, s[0:3], 0 offset:296
	buffer_load_dword v91, off, s[0:3], 0 offset:272
	buffer_load_dword v92, off, s[0:3], 0 offset:276
	buffer_load_dword v93, off, s[0:3], 0 offset:312
	buffer_load_dword v94, off, s[0:3], 0 offset:316
	buffer_load_dword v96, off, s[0:3], 0 offset:292
	buffer_load_dword v95, off, s[0:3], 0 offset:288
	buffer_load_dword v98, off, s[0:3], 0 offset:332
	buffer_load_dword v97, off, s[0:3], 0 offset:328
	buffer_load_dword v99, off, s[0:3], 0 offset:304
	buffer_load_dword v100, off, s[0:3], 0 offset:308
	buffer_load_dword v101, off, s[0:3], 0 offset:344
	buffer_load_dword v102, off, s[0:3], 0 offset:348
	buffer_load_dword v104, off, s[0:3], 0 offset:324
	buffer_load_dword v103, off, s[0:3], 0 offset:320
	buffer_load_dword v106, off, s[0:3], 0 offset:364
	buffer_load_dword v105, off, s[0:3], 0 offset:360
	buffer_load_dword v107, off, s[0:3], 0 offset:336
	buffer_load_dword v108, off, s[0:3], 0 offset:340
	buffer_load_dword v109, off, s[0:3], 0 offset:376
	buffer_load_dword v110, off, s[0:3], 0 offset:380
	buffer_load_dword v112, off, s[0:3], 0 offset:356
	buffer_load_dword v111, off, s[0:3], 0 offset:352
	buffer_load_dword v114, off, s[0:3], 0 offset:396
	buffer_load_dword v113, off, s[0:3], 0 offset:392
	buffer_load_dword v115, off, s[0:3], 0 offset:368
	buffer_load_dword v116, off, s[0:3], 0 offset:372
	ds_read_b128 v[3:6], v2 offset:544
	s_clause 0x1
	buffer_load_dword v118, off, s[0:3], 0 offset:388
	buffer_load_dword v117, off, s[0:3], 0 offset:384
	ds_read_b128 v[57:60], v2 offset:560
	ds_read_b128 v[61:64], v2 offset:576
	s_mov_b32 s4, exec_lo
	s_waitcnt vmcnt(54) lgkmcnt(2)
	v_mul_f64 v[119:120], v[5:6], v[7:8]
	v_mul_f64 v[7:8], v[3:4], v[7:8]
	s_waitcnt vmcnt(52) lgkmcnt(1)
	v_mul_f64 v[121:122], v[59:60], v[65:66]
	v_mul_f64 v[65:66], v[57:58], v[65:66]
	;; [unrolled: 3-line block ×3, first 2 shown]
	v_fma_f64 v[119:120], v[3:4], v[67:68], -v[119:120]
	v_fma_f64 v[7:8], v[5:6], v[67:68], v[7:8]
	s_clause 0x3
	buffer_load_dword v67, off, s[0:3], 0 offset:160
	buffer_load_dword v68, off, s[0:3], 0 offset:164
	;; [unrolled: 1-line block ×4, first 2 shown]
	s_waitcnt vmcnt(50)
	v_fma_f64 v[121:122], v[57:58], v[71:72], -v[121:122]
	ds_read_b128 v[3:6], v2 offset:592
	v_fma_f64 v[65:66], v[59:60], v[71:72], v[65:66]
	ds_read_b128 v[57:60], v2 offset:608
	s_waitcnt vmcnt(46)
	v_fma_f64 v[69:70], v[61:62], v[75:76], -v[69:70]
	v_fma_f64 v[75:76], v[63:64], v[75:76], v[125:126]
	ds_read_b128 v[61:64], v2 offset:624
	v_add_f64 v[119:120], v[119:120], 0
	v_add_f64 v[7:8], v[7:8], 0
	s_waitcnt lgkmcnt(2)
	v_mul_f64 v[71:72], v[3:4], v[73:74]
	v_mul_f64 v[73:74], v[5:6], v[73:74]
	v_add_f64 v[119:120], v[119:120], v[121:122]
	v_add_f64 v[7:8], v[7:8], v[65:66]
	s_waitcnt vmcnt(44) lgkmcnt(1)
	v_mul_f64 v[65:66], v[57:58], v[77:78]
	v_mul_f64 v[77:78], v[59:60], v[77:78]
	s_waitcnt vmcnt(42)
	v_fma_f64 v[73:74], v[3:4], v[79:80], -v[73:74]
	v_fma_f64 v[71:72], v[5:6], v[79:80], v[71:72]
	ds_read_b128 v[3:6], v2 offset:640
	s_waitcnt vmcnt(40) lgkmcnt(1)
	v_mul_f64 v[79:80], v[63:64], v[81:82]
	v_add_f64 v[69:70], v[119:120], v[69:70]
	v_add_f64 v[7:8], v[7:8], v[75:76]
	v_mul_f64 v[75:76], v[61:62], v[81:82]
	s_waitcnt vmcnt(38)
	v_fma_f64 v[77:78], v[57:58], v[83:84], -v[77:78]
	v_fma_f64 v[65:66], v[59:60], v[83:84], v[65:66]
	ds_read_b128 v[57:60], v2 offset:656
	s_waitcnt vmcnt(34)
	v_fma_f64 v[79:80], v[61:62], v[87:88], -v[79:80]
	v_add_f64 v[69:70], v[69:70], v[73:74]
	v_add_f64 v[7:8], v[7:8], v[71:72]
	s_waitcnt lgkmcnt(1)
	v_mul_f64 v[73:74], v[5:6], v[85:86]
	v_mul_f64 v[71:72], v[3:4], v[85:86]
	v_fma_f64 v[75:76], v[63:64], v[87:88], v[75:76]
	ds_read_b128 v[61:64], v2 offset:672
	v_add_f64 v[69:70], v[69:70], v[77:78]
	v_add_f64 v[7:8], v[7:8], v[65:66]
	s_waitcnt vmcnt(32) lgkmcnt(1)
	v_mul_f64 v[77:78], v[59:60], v[89:90]
	s_waitcnt vmcnt(30)
	v_fma_f64 v[73:74], v[3:4], v[91:92], -v[73:74]
	v_mul_f64 v[65:66], v[57:58], v[89:90]
	v_fma_f64 v[71:72], v[5:6], v[91:92], v[71:72]
	ds_read_b128 v[3:6], v2 offset:688
	v_add_f64 v[69:70], v[69:70], v[79:80]
	v_add_f64 v[7:8], v[7:8], v[75:76]
	s_waitcnt vmcnt(28) lgkmcnt(1)
	v_mul_f64 v[79:80], v[63:64], v[93:94]
	s_waitcnt vmcnt(26)
	v_fma_f64 v[77:78], v[57:58], v[95:96], -v[77:78]
	;; [unrolled: 9-line block ×6, first 2 shown]
	v_mul_f64 v[71:72], v[3:4], v[109:110]
	v_fma_f64 v[63:64], v[63:64], v[111:112], v[75:76]
	s_waitcnt vmcnt(8) lgkmcnt(0)
	v_mul_f64 v[75:76], v[59:60], v[113:114]
	v_add_f64 v[69:70], v[69:70], v[77:78]
	v_add_f64 v[7:8], v[7:8], v[65:66]
	s_waitcnt vmcnt(6)
	v_fma_f64 v[2:3], v[3:4], v[115:116], -v[73:74]
	v_mul_f64 v[65:66], v[57:58], v[113:114]
	v_fma_f64 v[4:5], v[5:6], v[115:116], v[71:72]
	s_waitcnt vmcnt(4)
	v_fma_f64 v[57:58], v[57:58], v[117:118], -v[75:76]
	v_add_f64 v[61:62], v[69:70], v[61:62]
	v_add_f64 v[6:7], v[7:8], v[63:64]
	v_fma_f64 v[59:60], v[59:60], v[117:118], v[65:66]
	v_add_f64 v[2:3], v[61:62], v[2:3]
	v_add_f64 v[4:5], v[6:7], v[4:5]
	;; [unrolled: 1-line block ×4, first 2 shown]
	s_waitcnt vmcnt(2)
	v_add_f64 v[2:3], v[67:68], -v[2:3]
	s_waitcnt vmcnt(0)
	v_add_f64 v[4:5], v[123:124], -v[4:5]
	buffer_store_dword v3, off, s[0:3], 0 offset:164
	buffer_store_dword v2, off, s[0:3], 0 offset:160
	buffer_store_dword v5, off, s[0:3], 0 offset:172
	buffer_store_dword v4, off, s[0:3], 0 offset:168
	v_cmpx_lt_u32_e32 8, v0
	s_cbranch_execz .LBB23_141
; %bb.140:
	v_mov_b32_e32 v5, s27
	v_mov_b32_e32 v6, 0
	s_clause 0x3
	buffer_load_dword v2, v5, s[0:3], 0 offen
	buffer_load_dword v3, v5, s[0:3], 0 offen offset:4
	buffer_load_dword v4, v5, s[0:3], 0 offen offset:8
	;; [unrolled: 1-line block ×3, first 2 shown]
	buffer_store_dword v6, off, s[0:3], 0 offset:144
	buffer_store_dword v6, off, s[0:3], 0 offset:148
	;; [unrolled: 1-line block ×4, first 2 shown]
	s_waitcnt vmcnt(0)
	ds_write_b128 v1, v[2:5]
.LBB23_141:
	s_or_b32 exec_lo, exec_lo, s4
	s_waitcnt lgkmcnt(0)
	s_waitcnt_vscnt null, 0x0
	s_barrier
	buffer_gl0_inv
	s_clause 0x37
	buffer_load_dword v7, off, s[0:3], 0 offset:168
	buffer_load_dword v8, off, s[0:3], 0 offset:172
	;; [unrolled: 1-line block ×56, first 2 shown]
	v_mov_b32_e32 v2, 0
	s_mov_b32 s4, exec_lo
	ds_read_b128 v[3:6], v2 offset:528
	s_clause 0x2
	buffer_load_dword v118, off, s[0:3], 0 offset:396
	buffer_load_dword v122, off, s[0:3], 0 offset:372
	;; [unrolled: 1-line block ×3, first 2 shown]
	ds_read_b128 v[57:60], v2 offset:544
	ds_read_b128 v[61:64], v2 offset:560
	buffer_load_dword v120, off, s[0:3], 0 offset:388
	s_waitcnt vmcnt(58) lgkmcnt(2)
	v_mul_f64 v[123:124], v[5:6], v[7:8]
	v_mul_f64 v[7:8], v[3:4], v[7:8]
	s_waitcnt vmcnt(56) lgkmcnt(1)
	v_mul_f64 v[125:126], v[59:60], v[65:66]
	v_mul_f64 v[65:66], v[57:58], v[65:66]
	s_waitcnt vmcnt(54)
	v_fma_f64 v[123:124], v[3:4], v[67:68], -v[123:124]
	v_fma_f64 v[7:8], v[5:6], v[67:68], v[7:8]
	s_waitcnt vmcnt(52) lgkmcnt(0)
	v_mul_f64 v[67:68], v[61:62], v[69:70]
	v_mul_f64 v[69:70], v[63:64], v[69:70]
	s_waitcnt vmcnt(50)
	v_fma_f64 v[125:126], v[57:58], v[71:72], -v[125:126]
	ds_read_b128 v[3:6], v2 offset:576
	v_fma_f64 v[65:66], v[59:60], v[71:72], v[65:66]
	s_clause 0x3
	buffer_load_dword v71, off, s[0:3], 0 offset:144
	buffer_load_dword v72, off, s[0:3], 0 offset:148
	;; [unrolled: 1-line block ×4, first 2 shown]
	ds_read_b128 v[57:60], v2 offset:592
	v_add_f64 v[123:124], v[123:124], 0
	v_add_f64 v[7:8], v[7:8], 0
	s_waitcnt vmcnt(48)
	v_fma_f64 v[67:68], v[63:64], v[79:80], v[67:68]
	s_waitcnt lgkmcnt(1)
	v_mul_f64 v[129:130], v[3:4], v[73:74]
	v_mul_f64 v[73:74], v[5:6], v[73:74]
	v_fma_f64 v[69:70], v[61:62], v[79:80], -v[69:70]
	ds_read_b128 v[61:64], v2 offset:608
	v_add_f64 v[123:124], v[123:124], v[125:126]
	v_add_f64 v[7:8], v[7:8], v[65:66]
	s_waitcnt vmcnt(47) lgkmcnt(1)
	v_mul_f64 v[65:66], v[57:58], v[75:76]
	v_mul_f64 v[75:76], v[59:60], v[75:76]
	s_waitcnt vmcnt(45)
	v_fma_f64 v[73:74], v[3:4], v[81:82], -v[73:74]
	v_fma_f64 v[79:80], v[5:6], v[81:82], v[129:130]
	s_waitcnt vmcnt(41) lgkmcnt(0)
	v_mul_f64 v[81:82], v[63:64], v[83:84]
	ds_read_b128 v[3:6], v2 offset:624
	v_add_f64 v[69:70], v[123:124], v[69:70]
	v_add_f64 v[7:8], v[7:8], v[67:68]
	v_mul_f64 v[67:68], v[61:62], v[83:84]
	s_waitcnt vmcnt(40)
	v_fma_f64 v[75:76], v[57:58], v[77:78], -v[75:76]
	v_fma_f64 v[65:66], v[59:60], v[77:78], v[65:66]
	ds_read_b128 v[57:60], v2 offset:640
	s_waitcnt vmcnt(39) lgkmcnt(1)
	v_mul_f64 v[77:78], v[5:6], v[85:86]
	v_add_f64 v[69:70], v[69:70], v[73:74]
	v_add_f64 v[7:8], v[7:8], v[79:80]
	s_waitcnt vmcnt(37)
	v_fma_f64 v[79:80], v[61:62], v[89:90], -v[81:82]
	v_mul_f64 v[73:74], v[3:4], v[85:86]
	v_fma_f64 v[67:68], v[63:64], v[89:90], v[67:68]
	ds_read_b128 v[61:64], v2 offset:656
	s_waitcnt vmcnt(32)
	v_fma_f64 v[77:78], v[3:4], v[87:88], -v[77:78]
	v_add_f64 v[69:70], v[69:70], v[75:76]
	v_add_f64 v[7:8], v[7:8], v[65:66]
	s_waitcnt lgkmcnt(1)
	v_mul_f64 v[75:76], v[59:60], v[91:92]
	v_mul_f64 v[65:66], v[57:58], v[91:92]
	v_fma_f64 v[73:74], v[5:6], v[87:88], v[73:74]
	ds_read_b128 v[3:6], v2 offset:672
	v_add_f64 v[69:70], v[69:70], v[79:80]
	v_add_f64 v[7:8], v[7:8], v[67:68]
	s_waitcnt vmcnt(31) lgkmcnt(1)
	v_mul_f64 v[79:80], v[63:64], v[93:94]
	s_waitcnt vmcnt(29)
	v_fma_f64 v[75:76], v[57:58], v[97:98], -v[75:76]
	v_mul_f64 v[67:68], v[61:62], v[93:94]
	v_fma_f64 v[65:66], v[59:60], v[97:98], v[65:66]
	ds_read_b128 v[57:60], v2 offset:688
	v_add_f64 v[69:70], v[69:70], v[77:78]
	v_add_f64 v[7:8], v[7:8], v[73:74]
	s_waitcnt vmcnt(25) lgkmcnt(1)
	v_mul_f64 v[77:78], v[5:6], v[99:100]
	s_waitcnt vmcnt(24)
	v_fma_f64 v[79:80], v[61:62], v[95:96], -v[79:80]
	v_mul_f64 v[73:74], v[3:4], v[99:100]
	v_fma_f64 v[67:68], v[63:64], v[95:96], v[67:68]
	ds_read_b128 v[61:64], v2 offset:704
	v_add_f64 v[69:70], v[69:70], v[75:76]
	v_add_f64 v[7:8], v[7:8], v[65:66]
	s_waitcnt vmcnt(23) lgkmcnt(1)
	v_mul_f64 v[75:76], v[59:60], v[101:102]
	s_waitcnt vmcnt(21)
	v_fma_f64 v[77:78], v[3:4], v[105:106], -v[77:78]
	v_mul_f64 v[65:66], v[57:58], v[101:102]
	v_fma_f64 v[73:74], v[5:6], v[105:106], v[73:74]
	ds_read_b128 v[3:6], v2 offset:720
	v_add_f64 v[69:70], v[69:70], v[79:80]
	v_add_f64 v[7:8], v[7:8], v[67:68]
	s_waitcnt vmcnt(17) lgkmcnt(1)
	v_mul_f64 v[79:80], v[63:64], v[107:108]
	s_waitcnt vmcnt(16)
	v_fma_f64 v[75:76], v[57:58], v[103:104], -v[75:76]
	v_mul_f64 v[67:68], v[61:62], v[107:108]
	v_fma_f64 v[65:66], v[59:60], v[103:104], v[65:66]
	ds_read_b128 v[57:60], v2 offset:736
	v_add_f64 v[69:70], v[69:70], v[77:78]
	v_add_f64 v[7:8], v[7:8], v[73:74]
	s_waitcnt vmcnt(15) lgkmcnt(1)
	v_mul_f64 v[77:78], v[5:6], v[109:110]
	s_waitcnt vmcnt(13)
	v_fma_f64 v[79:80], v[61:62], v[113:114], -v[79:80]
	v_mul_f64 v[73:74], v[3:4], v[109:110]
	v_fma_f64 v[67:68], v[63:64], v[113:114], v[67:68]
	ds_read_b128 v[61:64], v2 offset:752
	v_add_f64 v[69:70], v[69:70], v[75:76]
	v_add_f64 v[7:8], v[7:8], v[65:66]
	s_waitcnt vmcnt(9) lgkmcnt(1)
	v_mul_f64 v[75:76], v[59:60], v[115:116]
	s_waitcnt vmcnt(8)
	v_fma_f64 v[3:4], v[3:4], v[111:112], -v[77:78]
	v_mul_f64 v[65:66], v[57:58], v[115:116]
	v_fma_f64 v[5:6], v[5:6], v[111:112], v[73:74]
	s_waitcnt vmcnt(7) lgkmcnt(0)
	v_mul_f64 v[73:74], v[63:64], v[117:118]
	v_add_f64 v[69:70], v[69:70], v[79:80]
	v_add_f64 v[7:8], v[7:8], v[67:68]
	s_waitcnt vmcnt(5)
	v_fma_f64 v[57:58], v[57:58], v[121:122], -v[75:76]
	v_mul_f64 v[67:68], v[61:62], v[117:118]
	v_fma_f64 v[59:60], v[59:60], v[121:122], v[65:66]
	v_add_f64 v[3:4], v[69:70], v[3:4]
	v_add_f64 v[5:6], v[7:8], v[5:6]
	s_waitcnt vmcnt(4)
	v_fma_f64 v[7:8], v[61:62], v[119:120], -v[73:74]
	v_add_f64 v[3:4], v[3:4], v[57:58]
	v_fma_f64 v[57:58], v[63:64], v[119:120], v[67:68]
	v_add_f64 v[5:6], v[5:6], v[59:60]
	v_add_f64 v[3:4], v[3:4], v[7:8]
	;; [unrolled: 1-line block ×3, first 2 shown]
	s_waitcnt vmcnt(2)
	v_add_f64 v[3:4], v[71:72], -v[3:4]
	s_waitcnt vmcnt(0)
	v_add_f64 v[5:6], v[127:128], -v[5:6]
	buffer_store_dword v4, off, s[0:3], 0 offset:148
	buffer_store_dword v3, off, s[0:3], 0 offset:144
	buffer_store_dword v6, off, s[0:3], 0 offset:156
	buffer_store_dword v5, off, s[0:3], 0 offset:152
	v_cmpx_lt_u32_e32 7, v0
	s_cbranch_execz .LBB23_143
; %bb.142:
	v_mov_b32_e32 v6, s28
	s_clause 0x3
	buffer_load_dword v3, v6, s[0:3], 0 offen
	buffer_load_dword v4, v6, s[0:3], 0 offen offset:4
	buffer_load_dword v5, v6, s[0:3], 0 offen offset:8
	;; [unrolled: 1-line block ×3, first 2 shown]
	buffer_store_dword v2, off, s[0:3], 0 offset:128
	buffer_store_dword v2, off, s[0:3], 0 offset:132
	buffer_store_dword v2, off, s[0:3], 0 offset:136
	buffer_store_dword v2, off, s[0:3], 0 offset:140
	s_waitcnt vmcnt(0)
	ds_write_b128 v1, v[3:6]
.LBB23_143:
	s_or_b32 exec_lo, exec_lo, s4
	s_waitcnt lgkmcnt(0)
	s_waitcnt_vscnt null, 0x0
	s_barrier
	buffer_gl0_inv
	s_clause 0x37
	buffer_load_dword v7, off, s[0:3], 0 offset:152
	buffer_load_dword v8, off, s[0:3], 0 offset:156
	;; [unrolled: 1-line block ×56, first 2 shown]
	ds_read_b128 v[3:6], v2 offset:512
	s_clause 0x2
	buffer_load_dword v118, off, s[0:3], 0 offset:380
	buffer_load_dword v122, off, s[0:3], 0 offset:356
	;; [unrolled: 1-line block ×3, first 2 shown]
	ds_read_b128 v[57:60], v2 offset:528
	s_clause 0x2
	buffer_load_dword v126, off, s[0:3], 0 offset:396
	buffer_load_dword v125, off, s[0:3], 0 offset:392
	buffer_load_dword v120, off, s[0:3], 0 offset:372
	ds_read_b128 v[61:64], v2 offset:544
	s_mov_b32 s4, exec_lo
	s_waitcnt vmcnt(60) lgkmcnt(2)
	v_mul_f64 v[123:124], v[5:6], v[7:8]
	v_mul_f64 v[7:8], v[3:4], v[7:8]
	s_waitcnt vmcnt(58) lgkmcnt(1)
	v_mul_f64 v[127:128], v[59:60], v[65:66]
	v_mul_f64 v[65:66], v[57:58], v[65:66]
	;; [unrolled: 3-line block ×3, first 2 shown]
	v_fma_f64 v[123:124], v[3:4], v[67:68], -v[123:124]
	v_fma_f64 v[7:8], v[5:6], v[67:68], v[7:8]
	s_clause 0x1
	buffer_load_dword v68, off, s[0:3], 0 offset:388
	buffer_load_dword v67, off, s[0:3], 0 offset:384
	s_waitcnt vmcnt(54)
	v_fma_f64 v[127:128], v[57:58], v[71:72], -v[127:128]
	ds_read_b128 v[3:6], v2 offset:560
	v_fma_f64 v[65:66], v[59:60], v[71:72], v[65:66]
	ds_read_b128 v[57:60], v2 offset:576
	s_waitcnt vmcnt(48)
	v_fma_f64 v[69:70], v[61:62], v[79:80], -v[69:70]
	v_fma_f64 v[79:80], v[63:64], v[79:80], v[129:130]
	v_add_f64 v[123:124], v[123:124], 0
	v_add_f64 v[7:8], v[7:8], 0
	s_waitcnt lgkmcnt(1)
	v_mul_f64 v[71:72], v[3:4], v[73:74]
	v_mul_f64 v[73:74], v[5:6], v[73:74]
	s_waitcnt vmcnt(47) lgkmcnt(0)
	v_mul_f64 v[129:130], v[57:58], v[75:76]
	v_mul_f64 v[75:76], v[59:60], v[75:76]
	v_add_f64 v[123:124], v[123:124], v[127:128]
	v_add_f64 v[7:8], v[7:8], v[65:66]
	s_clause 0x3
	buffer_load_dword v65, off, s[0:3], 0 offset:128
	buffer_load_dword v66, off, s[0:3], 0 offset:132
	;; [unrolled: 1-line block ×4, first 2 shown]
	s_waitcnt vmcnt(49)
	v_fma_f64 v[73:74], v[3:4], v[81:82], -v[73:74]
	ds_read_b128 v[61:64], v2 offset:592
	v_fma_f64 v[71:72], v[5:6], v[81:82], v[71:72]
	ds_read_b128 v[3:6], v2 offset:608
	s_waitcnt vmcnt(44)
	v_fma_f64 v[75:76], v[57:58], v[77:78], -v[75:76]
	v_add_f64 v[69:70], v[123:124], v[69:70]
	v_add_f64 v[7:8], v[7:8], v[79:80]
	s_waitcnt lgkmcnt(1)
	v_mul_f64 v[81:82], v[63:64], v[83:84]
	v_mul_f64 v[79:80], v[61:62], v[83:84]
	v_add_f64 v[69:70], v[69:70], v[73:74]
	v_fma_f64 v[73:74], v[59:60], v[77:78], v[129:130]
	v_add_f64 v[7:8], v[7:8], v[71:72]
	s_waitcnt vmcnt(43) lgkmcnt(0)
	v_mul_f64 v[77:78], v[5:6], v[85:86]
	s_waitcnt vmcnt(41)
	v_fma_f64 v[81:82], v[61:62], v[89:90], -v[81:82]
	ds_read_b128 v[57:60], v2 offset:624
	v_mul_f64 v[71:72], v[3:4], v[85:86]
	v_add_f64 v[69:70], v[69:70], v[75:76]
	v_fma_f64 v[75:76], v[63:64], v[89:90], v[79:80]
	v_add_f64 v[7:8], v[7:8], v[73:74]
	ds_read_b128 v[61:64], v2 offset:640
	s_waitcnt vmcnt(37) lgkmcnt(1)
	v_mul_f64 v[79:80], v[59:60], v[91:92]
	s_waitcnt vmcnt(36)
	v_fma_f64 v[77:78], v[3:4], v[87:88], -v[77:78]
	v_mul_f64 v[73:74], v[57:58], v[91:92]
	v_fma_f64 v[71:72], v[5:6], v[87:88], v[71:72]
	ds_read_b128 v[3:6], v2 offset:656
	v_add_f64 v[69:70], v[69:70], v[81:82]
	s_waitcnt vmcnt(35) lgkmcnt(1)
	v_mul_f64 v[81:82], v[63:64], v[93:94]
	v_add_f64 v[7:8], v[7:8], v[75:76]
	v_mul_f64 v[75:76], v[61:62], v[93:94]
	s_waitcnt vmcnt(33)
	v_fma_f64 v[79:80], v[57:58], v[97:98], -v[79:80]
	v_fma_f64 v[73:74], v[59:60], v[97:98], v[73:74]
	ds_read_b128 v[57:60], v2 offset:672
	v_add_f64 v[69:70], v[69:70], v[77:78]
	s_waitcnt vmcnt(29) lgkmcnt(1)
	v_mul_f64 v[77:78], v[5:6], v[99:100]
	v_add_f64 v[7:8], v[7:8], v[71:72]
	s_waitcnt vmcnt(28)
	v_fma_f64 v[81:82], v[61:62], v[95:96], -v[81:82]
	v_mul_f64 v[71:72], v[3:4], v[99:100]
	v_fma_f64 v[75:76], v[63:64], v[95:96], v[75:76]
	ds_read_b128 v[61:64], v2 offset:688
	v_add_f64 v[69:70], v[69:70], v[79:80]
	s_waitcnt vmcnt(27) lgkmcnt(1)
	v_mul_f64 v[79:80], v[59:60], v[101:102]
	v_add_f64 v[7:8], v[7:8], v[73:74]
	s_waitcnt vmcnt(25)
	v_fma_f64 v[77:78], v[3:4], v[105:106], -v[77:78]
	v_mul_f64 v[73:74], v[57:58], v[101:102]
	;; [unrolled: 9-line block ×6, first 2 shown]
	v_fma_f64 v[59:60], v[59:60], v[121:122], v[73:74]
	s_waitcnt vmcnt(7) lgkmcnt(0)
	v_mul_f64 v[73:74], v[4:5], v[125:126]
	v_add_f64 v[69:70], v[69:70], v[77:78]
	s_waitcnt vmcnt(6)
	v_fma_f64 v[61:62], v[61:62], v[119:120], -v[81:82]
	v_add_f64 v[6:7], v[6:7], v[71:72]
	v_mul_f64 v[71:72], v[2:3], v[125:126]
	v_fma_f64 v[63:64], v[63:64], v[119:120], v[75:76]
	v_add_f64 v[57:58], v[69:70], v[57:58]
	v_add_f64 v[6:7], v[6:7], v[59:60]
	s_waitcnt vmcnt(4)
	v_fma_f64 v[2:3], v[2:3], v[67:68], -v[73:74]
	v_fma_f64 v[4:5], v[4:5], v[67:68], v[71:72]
	v_add_f64 v[57:58], v[57:58], v[61:62]
	v_add_f64 v[6:7], v[6:7], v[63:64]
	;; [unrolled: 1-line block ×4, first 2 shown]
	s_waitcnt vmcnt(2)
	v_add_f64 v[2:3], v[65:66], -v[2:3]
	s_waitcnt vmcnt(0)
	v_add_f64 v[4:5], v[127:128], -v[4:5]
	buffer_store_dword v3, off, s[0:3], 0 offset:132
	buffer_store_dword v2, off, s[0:3], 0 offset:128
	;; [unrolled: 1-line block ×4, first 2 shown]
	v_cmpx_lt_u32_e32 6, v0
	s_cbranch_execz .LBB23_145
; %bb.144:
	v_mov_b32_e32 v5, s29
	v_mov_b32_e32 v6, 0
	s_clause 0x3
	buffer_load_dword v2, v5, s[0:3], 0 offen
	buffer_load_dword v3, v5, s[0:3], 0 offen offset:4
	buffer_load_dword v4, v5, s[0:3], 0 offen offset:8
	;; [unrolled: 1-line block ×3, first 2 shown]
	buffer_store_dword v6, off, s[0:3], 0 offset:112
	buffer_store_dword v6, off, s[0:3], 0 offset:116
	;; [unrolled: 1-line block ×4, first 2 shown]
	s_waitcnt vmcnt(0)
	ds_write_b128 v1, v[2:5]
.LBB23_145:
	s_or_b32 exec_lo, exec_lo, s4
	s_waitcnt lgkmcnt(0)
	s_waitcnt_vscnt null, 0x0
	s_barrier
	buffer_gl0_inv
	s_clause 0x37
	buffer_load_dword v7, off, s[0:3], 0 offset:136
	buffer_load_dword v8, off, s[0:3], 0 offset:140
	;; [unrolled: 1-line block ×56, first 2 shown]
	v_mov_b32_e32 v2, 0
	s_mov_b32 s4, exec_lo
	ds_read_b128 v[3:6], v2 offset:496
	s_clause 0x2
	buffer_load_dword v118, off, s[0:3], 0 offset:364
	buffer_load_dword v122, off, s[0:3], 0 offset:340
	;; [unrolled: 1-line block ×3, first 2 shown]
	ds_read_b128 v[57:60], v2 offset:512
	s_clause 0x4
	buffer_load_dword v126, off, s[0:3], 0 offset:380
	buffer_load_dword v127, off, s[0:3], 0 offset:392
	;; [unrolled: 1-line block ×5, first 2 shown]
	ds_read_b128 v[61:64], v2 offset:528
	s_waitcnt vmcnt(62) lgkmcnt(2)
	v_mul_f64 v[123:124], v[5:6], v[7:8]
	v_mul_f64 v[7:8], v[3:4], v[7:8]
	s_waitcnt vmcnt(60) lgkmcnt(1)
	v_mul_f64 v[130:131], v[59:60], v[65:66]
	v_mul_f64 v[65:66], v[57:58], v[65:66]
	;; [unrolled: 3-line block ×3, first 2 shown]
	v_fma_f64 v[123:124], v[3:4], v[67:68], -v[123:124]
	v_fma_f64 v[7:8], v[5:6], v[67:68], v[7:8]
	s_clause 0x2
	buffer_load_dword v128, off, s[0:3], 0 offset:396
	buffer_load_dword v68, off, s[0:3], 0 offset:372
	buffer_load_dword v67, off, s[0:3], 0 offset:368
	s_waitcnt vmcnt(57)
	v_fma_f64 v[134:135], v[57:58], v[71:72], -v[130:131]
	ds_read_b128 v[3:6], v2 offset:544
	v_fma_f64 v[65:66], v[59:60], v[71:72], v[65:66]
	buffer_load_dword v130, off, s[0:3], 0 offset:388
	ds_read_b128 v[57:60], v2 offset:560
	s_waitcnt vmcnt(52)
	v_fma_f64 v[69:70], v[61:62], v[79:80], -v[69:70]
	v_fma_f64 v[79:80], v[63:64], v[79:80], v[132:133]
	ds_read_b128 v[61:64], v2 offset:576
	v_add_f64 v[123:124], v[123:124], 0
	v_add_f64 v[7:8], v[7:8], 0
	s_waitcnt lgkmcnt(2)
	v_mul_f64 v[71:72], v[3:4], v[73:74]
	v_mul_f64 v[73:74], v[5:6], v[73:74]
	v_add_f64 v[123:124], v[123:124], v[134:135]
	v_add_f64 v[7:8], v[7:8], v[65:66]
	s_waitcnt vmcnt(51) lgkmcnt(1)
	v_mul_f64 v[65:66], v[57:58], v[75:76]
	v_mul_f64 v[75:76], v[59:60], v[75:76]
	s_waitcnt vmcnt(49)
	v_fma_f64 v[73:74], v[3:4], v[81:82], -v[73:74]
	v_fma_f64 v[71:72], v[5:6], v[81:82], v[71:72]
	v_add_f64 v[69:70], v[123:124], v[69:70]
	v_add_f64 v[7:8], v[7:8], v[79:80]
	s_clause 0x3
	buffer_load_dword v79, off, s[0:3], 0 offset:112
	buffer_load_dword v80, off, s[0:3], 0 offset:116
	;; [unrolled: 1-line block ×4, first 2 shown]
	s_waitcnt vmcnt(49) lgkmcnt(0)
	v_mul_f64 v[123:124], v[61:62], v[83:84]
	v_mul_f64 v[83:84], v[63:64], v[83:84]
	s_waitcnt vmcnt(48)
	v_fma_f64 v[75:76], v[57:58], v[77:78], -v[75:76]
	ds_read_b128 v[3:6], v2 offset:592
	v_fma_f64 v[65:66], v[59:60], v[77:78], v[65:66]
	ds_read_b128 v[57:60], v2 offset:608
	v_add_f64 v[69:70], v[69:70], v[73:74]
	v_add_f64 v[7:8], v[7:8], v[71:72]
	s_waitcnt vmcnt(47) lgkmcnt(1)
	v_mul_f64 v[73:74], v[5:6], v[85:86]
	s_waitcnt vmcnt(45)
	v_fma_f64 v[77:78], v[61:62], v[89:90], -v[83:84]
	v_mul_f64 v[71:72], v[3:4], v[85:86]
	s_waitcnt vmcnt(41) lgkmcnt(0)
	v_mul_f64 v[83:84], v[59:60], v[91:92]
	v_add_f64 v[69:70], v[69:70], v[75:76]
	v_fma_f64 v[75:76], v[63:64], v[89:90], v[123:124]
	v_add_f64 v[7:8], v[7:8], v[65:66]
	ds_read_b128 v[61:64], v2 offset:624
	s_waitcnt vmcnt(40)
	v_fma_f64 v[73:74], v[3:4], v[87:88], -v[73:74]
	v_mul_f64 v[65:66], v[57:58], v[91:92]
	v_fma_f64 v[71:72], v[5:6], v[87:88], v[71:72]
	ds_read_b128 v[3:6], v2 offset:640
	s_waitcnt vmcnt(37)
	v_fma_f64 v[83:84], v[57:58], v[97:98], -v[83:84]
	v_add_f64 v[69:70], v[69:70], v[77:78]
	s_waitcnt lgkmcnt(1)
	v_mul_f64 v[77:78], v[63:64], v[93:94]
	v_add_f64 v[7:8], v[7:8], v[75:76]
	v_mul_f64 v[75:76], v[61:62], v[93:94]
	v_fma_f64 v[65:66], v[59:60], v[97:98], v[65:66]
	ds_read_b128 v[57:60], v2 offset:656
	v_add_f64 v[69:70], v[69:70], v[73:74]
	s_waitcnt vmcnt(33) lgkmcnt(1)
	v_mul_f64 v[73:74], v[5:6], v[99:100]
	v_add_f64 v[7:8], v[7:8], v[71:72]
	s_waitcnt vmcnt(32)
	v_fma_f64 v[77:78], v[61:62], v[95:96], -v[77:78]
	v_mul_f64 v[71:72], v[3:4], v[99:100]
	v_fma_f64 v[75:76], v[63:64], v[95:96], v[75:76]
	ds_read_b128 v[61:64], v2 offset:672
	v_add_f64 v[69:70], v[69:70], v[83:84]
	s_waitcnt vmcnt(31) lgkmcnt(1)
	v_mul_f64 v[83:84], v[59:60], v[101:102]
	v_add_f64 v[7:8], v[7:8], v[65:66]
	s_waitcnt vmcnt(29)
	v_fma_f64 v[73:74], v[3:4], v[105:106], -v[73:74]
	;; [unrolled: 9-line block ×7, first 2 shown]
	v_mul_f64 v[71:72], v[3:4], v[125:126]
	v_fma_f64 v[63:64], v[63:64], v[119:120], v[75:76]
	v_add_f64 v[69:70], v[69:70], v[83:84]
	v_add_f64 v[7:8], v[7:8], v[65:66]
	s_waitcnt vmcnt(7) lgkmcnt(0)
	v_mul_f64 v[75:76], v[59:60], v[127:128]
	v_mul_f64 v[65:66], v[57:58], v[127:128]
	s_waitcnt vmcnt(5)
	v_fma_f64 v[3:4], v[3:4], v[67:68], -v[73:74]
	v_fma_f64 v[5:6], v[5:6], v[67:68], v[71:72]
	v_add_f64 v[61:62], v[69:70], v[61:62]
	v_add_f64 v[7:8], v[7:8], v[63:64]
	s_waitcnt vmcnt(4)
	v_fma_f64 v[57:58], v[57:58], v[129:130], -v[75:76]
	v_fma_f64 v[59:60], v[59:60], v[129:130], v[65:66]
	v_add_f64 v[3:4], v[61:62], v[3:4]
	v_add_f64 v[5:6], v[7:8], v[5:6]
	;; [unrolled: 1-line block ×4, first 2 shown]
	s_waitcnt vmcnt(2)
	v_add_f64 v[3:4], v[79:80], -v[3:4]
	s_waitcnt vmcnt(0)
	v_add_f64 v[5:6], v[81:82], -v[5:6]
	buffer_store_dword v4, off, s[0:3], 0 offset:116
	buffer_store_dword v3, off, s[0:3], 0 offset:112
	;; [unrolled: 1-line block ×4, first 2 shown]
	v_cmpx_lt_u32_e32 5, v0
	s_cbranch_execz .LBB23_147
; %bb.146:
	v_mov_b32_e32 v6, s30
	s_clause 0x3
	buffer_load_dword v3, v6, s[0:3], 0 offen
	buffer_load_dword v4, v6, s[0:3], 0 offen offset:4
	buffer_load_dword v5, v6, s[0:3], 0 offen offset:8
	;; [unrolled: 1-line block ×3, first 2 shown]
	buffer_store_dword v2, off, s[0:3], 0 offset:96
	buffer_store_dword v2, off, s[0:3], 0 offset:100
	;; [unrolled: 1-line block ×4, first 2 shown]
	s_waitcnt vmcnt(0)
	ds_write_b128 v1, v[3:6]
.LBB23_147:
	s_or_b32 exec_lo, exec_lo, s4
	s_waitcnt lgkmcnt(0)
	s_waitcnt_vscnt null, 0x0
	s_barrier
	buffer_gl0_inv
	s_clause 0x37
	buffer_load_dword v7, off, s[0:3], 0 offset:120
	buffer_load_dword v8, off, s[0:3], 0 offset:124
	;; [unrolled: 1-line block ×56, first 2 shown]
	ds_read_b128 v[3:6], v2 offset:480
	s_clause 0x2
	buffer_load_dword v118, off, s[0:3], 0 offset:348
	buffer_load_dword v122, off, s[0:3], 0 offset:324
	;; [unrolled: 1-line block ×3, first 2 shown]
	ds_read_b128 v[57:60], v2 offset:496
	s_clause 0x4
	buffer_load_dword v126, off, s[0:3], 0 offset:364
	buffer_load_dword v127, off, s[0:3], 0 offset:376
	;; [unrolled: 1-line block ×5, first 2 shown]
	ds_read_b128 v[61:64], v2 offset:512
	s_mov_b32 s4, exec_lo
	s_waitcnt vmcnt(62) lgkmcnt(2)
	v_mul_f64 v[123:124], v[5:6], v[7:8]
	v_mul_f64 v[7:8], v[3:4], v[7:8]
	s_waitcnt vmcnt(60) lgkmcnt(1)
	v_mul_f64 v[130:131], v[59:60], v[65:66]
	v_mul_f64 v[65:66], v[57:58], v[65:66]
	;; [unrolled: 3-line block ×3, first 2 shown]
	v_fma_f64 v[123:124], v[3:4], v[67:68], -v[123:124]
	v_fma_f64 v[7:8], v[5:6], v[67:68], v[7:8]
	s_clause 0x2
	buffer_load_dword v128, off, s[0:3], 0 offset:380
	buffer_load_dword v68, off, s[0:3], 0 offset:356
	;; [unrolled: 1-line block ×3, first 2 shown]
	s_waitcnt vmcnt(57)
	v_fma_f64 v[134:135], v[57:58], v[71:72], -v[130:131]
	ds_read_b128 v[3:6], v2 offset:528
	v_fma_f64 v[65:66], v[59:60], v[71:72], v[65:66]
	s_clause 0x2
	buffer_load_dword v72, off, s[0:3], 0 offset:396
	buffer_load_dword v71, off, s[0:3], 0 offset:392
	;; [unrolled: 1-line block ×3, first 2 shown]
	s_waitcnt vmcnt(54)
	v_fma_f64 v[69:70], v[61:62], v[79:80], -v[69:70]
	ds_read_b128 v[57:60], v2 offset:544
	v_fma_f64 v[79:80], v[63:64], v[79:80], v[132:133]
	v_add_f64 v[123:124], v[123:124], 0
	v_add_f64 v[7:8], v[7:8], 0
	s_waitcnt lgkmcnt(1)
	v_mul_f64 v[136:137], v[3:4], v[73:74]
	v_mul_f64 v[73:74], v[5:6], v[73:74]
	s_waitcnt vmcnt(53) lgkmcnt(0)
	v_mul_f64 v[131:132], v[57:58], v[75:76]
	v_mul_f64 v[75:76], v[59:60], v[75:76]
	v_add_f64 v[123:124], v[123:124], v[134:135]
	v_add_f64 v[7:8], v[7:8], v[65:66]
	s_clause 0x1
	buffer_load_dword v66, off, s[0:3], 0 offset:388
	buffer_load_dword v65, off, s[0:3], 0 offset:384
	s_waitcnt vmcnt(53)
	v_fma_f64 v[73:74], v[3:4], v[81:82], -v[73:74]
	ds_read_b128 v[61:64], v2 offset:560
	v_fma_f64 v[81:82], v[5:6], v[81:82], v[136:137]
	ds_read_b128 v[3:6], v2 offset:576
	s_waitcnt vmcnt(48)
	v_fma_f64 v[75:76], v[57:58], v[77:78], -v[75:76]
	v_add_f64 v[69:70], v[123:124], v[69:70]
	v_add_f64 v[7:8], v[7:8], v[79:80]
	s_waitcnt lgkmcnt(1)
	v_mul_f64 v[79:80], v[61:62], v[83:84]
	v_mul_f64 v[83:84], v[63:64], v[83:84]
	s_waitcnt vmcnt(47) lgkmcnt(0)
	v_mul_f64 v[123:124], v[3:4], v[85:86]
	v_mul_f64 v[85:86], v[5:6], v[85:86]
	v_add_f64 v[69:70], v[69:70], v[73:74]
	v_fma_f64 v[73:74], v[59:60], v[77:78], v[131:132]
	v_add_f64 v[7:8], v[7:8], v[81:82]
	s_clause 0x3
	buffer_load_dword v77, off, s[0:3], 0 offset:96
	buffer_load_dword v78, off, s[0:3], 0 offset:100
	;; [unrolled: 1-line block ×4, first 2 shown]
	s_waitcnt vmcnt(49)
	v_fma_f64 v[83:84], v[61:62], v[89:90], -v[83:84]
	ds_read_b128 v[57:60], v2 offset:592
	s_waitcnt vmcnt(44)
	v_fma_f64 v[85:86], v[3:4], v[87:88], -v[85:86]
	v_add_f64 v[69:70], v[69:70], v[75:76]
	v_fma_f64 v[75:76], v[63:64], v[89:90], v[79:80]
	v_add_f64 v[7:8], v[7:8], v[73:74]
	ds_read_b128 v[61:64], v2 offset:608
	s_waitcnt lgkmcnt(1)
	v_mul_f64 v[79:80], v[59:60], v[91:92]
	v_mul_f64 v[73:74], v[57:58], v[91:92]
	v_add_f64 v[69:70], v[69:70], v[83:84]
	v_fma_f64 v[83:84], v[5:6], v[87:88], v[123:124]
	v_add_f64 v[7:8], v[7:8], v[75:76]
	s_waitcnt vmcnt(43) lgkmcnt(0)
	v_mul_f64 v[87:88], v[63:64], v[93:94]
	s_waitcnt vmcnt(41)
	v_fma_f64 v[79:80], v[57:58], v[97:98], -v[79:80]
	ds_read_b128 v[3:6], v2 offset:624
	v_mul_f64 v[75:76], v[61:62], v[93:94]
	v_fma_f64 v[73:74], v[59:60], v[97:98], v[73:74]
	ds_read_b128 v[57:60], v2 offset:640
	v_add_f64 v[69:70], v[69:70], v[85:86]
	v_add_f64 v[7:8], v[7:8], v[83:84]
	s_waitcnt vmcnt(37) lgkmcnt(1)
	v_mul_f64 v[85:86], v[5:6], v[99:100]
	s_waitcnt vmcnt(36)
	v_fma_f64 v[87:88], v[61:62], v[95:96], -v[87:88]
	v_mul_f64 v[83:84], v[3:4], v[99:100]
	v_fma_f64 v[75:76], v[63:64], v[95:96], v[75:76]
	ds_read_b128 v[61:64], v2 offset:656
	v_add_f64 v[69:70], v[69:70], v[79:80]
	s_waitcnt vmcnt(35) lgkmcnt(1)
	v_mul_f64 v[79:80], v[59:60], v[101:102]
	v_add_f64 v[7:8], v[7:8], v[73:74]
	s_waitcnt vmcnt(33)
	v_fma_f64 v[85:86], v[3:4], v[105:106], -v[85:86]
	v_mul_f64 v[73:74], v[57:58], v[101:102]
	v_fma_f64 v[83:84], v[5:6], v[105:106], v[83:84]
	ds_read_b128 v[3:6], v2 offset:672
	v_add_f64 v[69:70], v[69:70], v[87:88]
	s_waitcnt vmcnt(29) lgkmcnt(1)
	v_mul_f64 v[87:88], v[63:64], v[107:108]
	v_add_f64 v[7:8], v[7:8], v[75:76]
	;; [unrolled: 9-line block ×6, first 2 shown]
	s_waitcnt vmcnt(12)
	v_fma_f64 v[87:88], v[61:62], v[119:120], -v[87:88]
	v_mul_f64 v[83:84], v[3:4], v[125:126]
	v_fma_f64 v[75:76], v[63:64], v[119:120], v[75:76]
	ds_read_b128 v[61:64], v2 offset:752
	v_add_f64 v[69:70], v[69:70], v[79:80]
	v_add_f64 v[7:8], v[7:8], v[73:74]
	s_waitcnt vmcnt(11) lgkmcnt(1)
	v_mul_f64 v[79:80], v[59:60], v[127:128]
	v_mul_f64 v[73:74], v[57:58], v[127:128]
	s_waitcnt vmcnt(9)
	v_fma_f64 v[2:3], v[3:4], v[67:68], -v[85:86]
	v_fma_f64 v[4:5], v[5:6], v[67:68], v[83:84]
	s_waitcnt vmcnt(7) lgkmcnt(0)
	v_mul_f64 v[67:68], v[61:62], v[71:72]
	v_mul_f64 v[71:72], v[63:64], v[71:72]
	v_add_f64 v[69:70], v[69:70], v[87:88]
	v_add_f64 v[6:7], v[7:8], v[75:76]
	s_waitcnt vmcnt(6)
	v_fma_f64 v[57:58], v[57:58], v[129:130], -v[79:80]
	v_fma_f64 v[59:60], v[59:60], v[129:130], v[73:74]
	v_add_f64 v[2:3], v[69:70], v[2:3]
	v_add_f64 v[4:5], v[6:7], v[4:5]
	s_waitcnt vmcnt(4)
	v_fma_f64 v[6:7], v[61:62], v[65:66], -v[71:72]
	v_add_f64 v[2:3], v[2:3], v[57:58]
	v_fma_f64 v[57:58], v[63:64], v[65:66], v[67:68]
	v_add_f64 v[4:5], v[4:5], v[59:60]
	v_add_f64 v[2:3], v[2:3], v[6:7]
	;; [unrolled: 1-line block ×3, first 2 shown]
	s_waitcnt vmcnt(2)
	v_add_f64 v[2:3], v[77:78], -v[2:3]
	s_waitcnt vmcnt(0)
	v_add_f64 v[4:5], v[81:82], -v[4:5]
	buffer_store_dword v3, off, s[0:3], 0 offset:100
	buffer_store_dword v2, off, s[0:3], 0 offset:96
	;; [unrolled: 1-line block ×4, first 2 shown]
	v_cmpx_lt_u32_e32 4, v0
	s_cbranch_execz .LBB23_149
; %bb.148:
	v_mov_b32_e32 v5, s31
	v_mov_b32_e32 v6, 0
	s_clause 0x3
	buffer_load_dword v2, v5, s[0:3], 0 offen
	buffer_load_dword v3, v5, s[0:3], 0 offen offset:4
	buffer_load_dword v4, v5, s[0:3], 0 offen offset:8
	;; [unrolled: 1-line block ×3, first 2 shown]
	buffer_store_dword v6, off, s[0:3], 0 offset:80
	buffer_store_dword v6, off, s[0:3], 0 offset:84
	buffer_store_dword v6, off, s[0:3], 0 offset:88
	buffer_store_dword v6, off, s[0:3], 0 offset:92
	s_waitcnt vmcnt(0)
	ds_write_b128 v1, v[2:5]
.LBB23_149:
	s_or_b32 exec_lo, exec_lo, s4
	s_waitcnt lgkmcnt(0)
	s_waitcnt_vscnt null, 0x0
	s_barrier
	buffer_gl0_inv
	s_clause 0x37
	buffer_load_dword v7, off, s[0:3], 0 offset:104
	buffer_load_dword v8, off, s[0:3], 0 offset:108
	;; [unrolled: 1-line block ×56, first 2 shown]
	v_mov_b32_e32 v2, 0
	s_mov_b32 s4, exec_lo
	ds_read_b128 v[3:6], v2 offset:464
	s_clause 0x2
	buffer_load_dword v118, off, s[0:3], 0 offset:332
	buffer_load_dword v122, off, s[0:3], 0 offset:308
	;; [unrolled: 1-line block ×3, first 2 shown]
	ds_read_b128 v[57:60], v2 offset:480
	s_clause 0x4
	buffer_load_dword v126, off, s[0:3], 0 offset:348
	buffer_load_dword v127, off, s[0:3], 0 offset:360
	;; [unrolled: 1-line block ×5, first 2 shown]
	ds_read_b128 v[61:64], v2 offset:496
	s_waitcnt vmcnt(62) lgkmcnt(2)
	v_mul_f64 v[123:124], v[5:6], v[7:8]
	v_mul_f64 v[7:8], v[3:4], v[7:8]
	s_waitcnt vmcnt(60) lgkmcnt(1)
	v_mul_f64 v[130:131], v[59:60], v[65:66]
	v_mul_f64 v[65:66], v[57:58], v[65:66]
	;; [unrolled: 3-line block ×3, first 2 shown]
	v_fma_f64 v[123:124], v[3:4], v[67:68], -v[123:124]
	v_fma_f64 v[7:8], v[5:6], v[67:68], v[7:8]
	s_clause 0x2
	buffer_load_dword v128, off, s[0:3], 0 offset:364
	buffer_load_dword v68, off, s[0:3], 0 offset:340
	;; [unrolled: 1-line block ×3, first 2 shown]
	s_waitcnt vmcnt(57)
	v_fma_f64 v[134:135], v[57:58], v[71:72], -v[130:131]
	ds_read_b128 v[3:6], v2 offset:512
	v_fma_f64 v[65:66], v[59:60], v[71:72], v[65:66]
	s_clause 0x4
	buffer_load_dword v72, off, s[0:3], 0 offset:380
	buffer_load_dword v131, off, s[0:3], 0 offset:392
	;; [unrolled: 1-line block ×5, first 2 shown]
	s_waitcnt vmcnt(56)
	v_fma_f64 v[69:70], v[61:62], v[79:80], -v[69:70]
	ds_read_b128 v[57:60], v2 offset:528
	v_fma_f64 v[79:80], v[63:64], v[79:80], v[132:133]
	v_add_f64 v[123:124], v[123:124], 0
	v_add_f64 v[7:8], v[7:8], 0
	s_waitcnt lgkmcnt(1)
	v_mul_f64 v[137:138], v[3:4], v[73:74]
	v_mul_f64 v[73:74], v[5:6], v[73:74]
	v_add_f64 v[123:124], v[123:124], v[134:135]
	v_add_f64 v[7:8], v[7:8], v[65:66]
	s_clause 0x2
	buffer_load_dword v132, off, s[0:3], 0 offset:396
	buffer_load_dword v66, off, s[0:3], 0 offset:372
	;; [unrolled: 1-line block ×3, first 2 shown]
	s_waitcnt vmcnt(58) lgkmcnt(0)
	v_mul_f64 v[133:134], v[57:58], v[75:76]
	v_mul_f64 v[75:76], v[59:60], v[75:76]
	s_waitcnt vmcnt(56)
	v_fma_f64 v[73:74], v[3:4], v[81:82], -v[73:74]
	ds_read_b128 v[61:64], v2 offset:544
	v_fma_f64 v[81:82], v[5:6], v[81:82], v[137:138]
	buffer_load_dword v137, off, s[0:3], 0 offset:388
	ds_read_b128 v[3:6], v2 offset:560
	v_add_f64 v[69:70], v[123:124], v[69:70]
	v_add_f64 v[7:8], v[7:8], v[79:80]
	s_waitcnt vmcnt(53) lgkmcnt(1)
	v_mul_f64 v[79:80], v[61:62], v[83:84]
	v_mul_f64 v[83:84], v[63:64], v[83:84]
	s_waitcnt vmcnt(52)
	v_fma_f64 v[75:76], v[57:58], v[77:78], -v[75:76]
	v_add_f64 v[69:70], v[69:70], v[73:74]
	v_fma_f64 v[73:74], v[59:60], v[77:78], v[133:134]
	v_add_f64 v[7:8], v[7:8], v[81:82]
	s_waitcnt vmcnt(51) lgkmcnt(0)
	v_mul_f64 v[81:82], v[5:6], v[85:86]
	ds_read_b128 v[57:60], v2 offset:576
	s_waitcnt vmcnt(49)
	v_fma_f64 v[83:84], v[61:62], v[89:90], -v[83:84]
	v_mul_f64 v[77:78], v[3:4], v[85:86]
	v_add_f64 v[69:70], v[69:70], v[75:76]
	v_fma_f64 v[75:76], v[63:64], v[89:90], v[79:80]
	v_add_f64 v[7:8], v[7:8], v[73:74]
	s_clause 0x3
	buffer_load_dword v73, off, s[0:3], 0 offset:80
	buffer_load_dword v74, off, s[0:3], 0 offset:84
	;; [unrolled: 1-line block ×4, first 2 shown]
	s_waitcnt vmcnt(49) lgkmcnt(0)
	v_mul_f64 v[89:90], v[59:60], v[91:92]
	s_waitcnt vmcnt(48)
	v_fma_f64 v[81:82], v[3:4], v[87:88], -v[81:82]
	ds_read_b128 v[61:64], v2 offset:592
	v_mul_f64 v[85:86], v[57:58], v[91:92]
	v_fma_f64 v[77:78], v[5:6], v[87:88], v[77:78]
	ds_read_b128 v[3:6], v2 offset:608
	v_add_f64 v[69:70], v[69:70], v[83:84]
	v_add_f64 v[7:8], v[7:8], v[75:76]
	s_waitcnt vmcnt(47) lgkmcnt(1)
	v_mul_f64 v[83:84], v[63:64], v[93:94]
	s_waitcnt vmcnt(45)
	v_fma_f64 v[87:88], v[57:58], v[97:98], -v[89:90]
	v_mul_f64 v[75:76], v[61:62], v[93:94]
	v_add_f64 v[69:70], v[69:70], v[81:82]
	v_fma_f64 v[81:82], v[59:60], v[97:98], v[85:86]
	v_add_f64 v[7:8], v[7:8], v[77:78]
	s_waitcnt vmcnt(41) lgkmcnt(0)
	v_mul_f64 v[85:86], v[5:6], v[99:100]
	s_waitcnt vmcnt(40)
	v_fma_f64 v[83:84], v[61:62], v[95:96], -v[83:84]
	ds_read_b128 v[57:60], v2 offset:624
	v_mul_f64 v[77:78], v[3:4], v[99:100]
	v_fma_f64 v[75:76], v[63:64], v[95:96], v[75:76]
	ds_read_b128 v[61:64], v2 offset:640
	v_add_f64 v[69:70], v[69:70], v[87:88]
	v_add_f64 v[7:8], v[7:8], v[81:82]
	s_waitcnt vmcnt(39) lgkmcnt(1)
	v_mul_f64 v[87:88], v[59:60], v[101:102]
	s_waitcnt vmcnt(37)
	v_fma_f64 v[85:86], v[3:4], v[105:106], -v[85:86]
	v_mul_f64 v[81:82], v[57:58], v[101:102]
	v_fma_f64 v[77:78], v[5:6], v[105:106], v[77:78]
	ds_read_b128 v[3:6], v2 offset:656
	v_add_f64 v[69:70], v[69:70], v[83:84]
	s_waitcnt vmcnt(33) lgkmcnt(1)
	v_mul_f64 v[83:84], v[63:64], v[107:108]
	v_add_f64 v[7:8], v[7:8], v[75:76]
	s_waitcnt vmcnt(32)
	v_fma_f64 v[87:88], v[57:58], v[103:104], -v[87:88]
	v_mul_f64 v[75:76], v[61:62], v[107:108]
	v_fma_f64 v[81:82], v[59:60], v[103:104], v[81:82]
	ds_read_b128 v[57:60], v2 offset:672
	v_add_f64 v[69:70], v[69:70], v[85:86]
	s_waitcnt vmcnt(31) lgkmcnt(1)
	v_mul_f64 v[85:86], v[5:6], v[109:110]
	v_add_f64 v[7:8], v[7:8], v[77:78]
	;; [unrolled: 9-line block ×5, first 2 shown]
	s_waitcnt vmcnt(16)
	v_fma_f64 v[83:84], v[61:62], v[119:120], -v[83:84]
	v_mul_f64 v[77:78], v[3:4], v[125:126]
	v_fma_f64 v[75:76], v[63:64], v[119:120], v[75:76]
	ds_read_b128 v[61:64], v2 offset:736
	v_add_f64 v[69:70], v[69:70], v[87:88]
	v_add_f64 v[7:8], v[7:8], v[81:82]
	s_waitcnt vmcnt(15) lgkmcnt(1)
	v_mul_f64 v[87:88], v[59:60], v[127:128]
	v_mul_f64 v[81:82], v[57:58], v[127:128]
	s_waitcnt vmcnt(13)
	v_fma_f64 v[85:86], v[3:4], v[67:68], -v[85:86]
	v_fma_f64 v[67:68], v[5:6], v[67:68], v[77:78]
	ds_read_b128 v[3:6], v2 offset:752
	v_add_f64 v[69:70], v[69:70], v[83:84]
	v_add_f64 v[7:8], v[7:8], v[75:76]
	s_waitcnt vmcnt(9) lgkmcnt(1)
	v_mul_f64 v[75:76], v[61:62], v[71:72]
	v_mul_f64 v[71:72], v[63:64], v[71:72]
	s_waitcnt vmcnt(8)
	v_fma_f64 v[57:58], v[57:58], v[129:130], -v[87:88]
	v_fma_f64 v[59:60], v[59:60], v[129:130], v[81:82]
	v_add_f64 v[69:70], v[69:70], v[85:86]
	v_add_f64 v[7:8], v[7:8], v[67:68]
	s_waitcnt vmcnt(7) lgkmcnt(0)
	v_mul_f64 v[77:78], v[5:6], v[131:132]
	v_mul_f64 v[67:68], v[3:4], v[131:132]
	s_waitcnt vmcnt(5)
	v_fma_f64 v[61:62], v[61:62], v[65:66], -v[71:72]
	v_fma_f64 v[63:64], v[63:64], v[65:66], v[75:76]
	v_add_f64 v[57:58], v[69:70], v[57:58]
	v_add_f64 v[7:8], v[7:8], v[59:60]
	s_waitcnt vmcnt(4)
	v_fma_f64 v[3:4], v[3:4], v[136:137], -v[77:78]
	v_fma_f64 v[5:6], v[5:6], v[136:137], v[67:68]
	v_add_f64 v[57:58], v[57:58], v[61:62]
	v_add_f64 v[7:8], v[7:8], v[63:64]
	v_add_f64 v[3:4], v[57:58], v[3:4]
	v_add_f64 v[5:6], v[7:8], v[5:6]
	s_waitcnt vmcnt(2)
	v_add_f64 v[3:4], v[73:74], -v[3:4]
	s_waitcnt vmcnt(0)
	v_add_f64 v[5:6], v[79:80], -v[5:6]
	buffer_store_dword v4, off, s[0:3], 0 offset:84
	buffer_store_dword v3, off, s[0:3], 0 offset:80
	;; [unrolled: 1-line block ×4, first 2 shown]
	v_cmpx_lt_u32_e32 3, v0
	s_cbranch_execz .LBB23_151
; %bb.150:
	v_mov_b32_e32 v6, s33
	s_clause 0x3
	buffer_load_dword v3, v6, s[0:3], 0 offen
	buffer_load_dword v4, v6, s[0:3], 0 offen offset:4
	buffer_load_dword v5, v6, s[0:3], 0 offen offset:8
	buffer_load_dword v6, v6, s[0:3], 0 offen offset:12
	buffer_store_dword v2, off, s[0:3], 0 offset:64
	buffer_store_dword v2, off, s[0:3], 0 offset:68
	;; [unrolled: 1-line block ×4, first 2 shown]
	s_waitcnt vmcnt(0)
	ds_write_b128 v1, v[3:6]
.LBB23_151:
	s_or_b32 exec_lo, exec_lo, s4
	s_waitcnt lgkmcnt(0)
	s_waitcnt_vscnt null, 0x0
	s_barrier
	buffer_gl0_inv
	s_clause 0x37
	buffer_load_dword v7, off, s[0:3], 0 offset:88
	buffer_load_dword v8, off, s[0:3], 0 offset:92
	;; [unrolled: 1-line block ×56, first 2 shown]
	ds_read_b128 v[3:6], v2 offset:448
	s_clause 0x2
	buffer_load_dword v118, off, s[0:3], 0 offset:316
	buffer_load_dword v122, off, s[0:3], 0 offset:292
	;; [unrolled: 1-line block ×3, first 2 shown]
	ds_read_b128 v[57:60], v2 offset:464
	s_clause 0x4
	buffer_load_dword v126, off, s[0:3], 0 offset:332
	buffer_load_dword v127, off, s[0:3], 0 offset:344
	;; [unrolled: 1-line block ×5, first 2 shown]
	ds_read_b128 v[61:64], v2 offset:480
	s_mov_b32 s4, exec_lo
	s_waitcnt vmcnt(62) lgkmcnt(2)
	v_mul_f64 v[123:124], v[5:6], v[7:8]
	v_mul_f64 v[7:8], v[3:4], v[7:8]
	s_waitcnt vmcnt(60) lgkmcnt(1)
	v_mul_f64 v[130:131], v[59:60], v[65:66]
	v_mul_f64 v[65:66], v[57:58], v[65:66]
	;; [unrolled: 3-line block ×3, first 2 shown]
	v_fma_f64 v[123:124], v[3:4], v[67:68], -v[123:124]
	v_fma_f64 v[7:8], v[5:6], v[67:68], v[7:8]
	s_clause 0x2
	buffer_load_dword v128, off, s[0:3], 0 offset:348
	buffer_load_dword v68, off, s[0:3], 0 offset:324
	buffer_load_dword v67, off, s[0:3], 0 offset:320
	s_waitcnt vmcnt(57)
	v_fma_f64 v[134:135], v[57:58], v[71:72], -v[130:131]
	ds_read_b128 v[3:6], v2 offset:496
	v_fma_f64 v[65:66], v[59:60], v[71:72], v[65:66]
	s_clause 0x4
	buffer_load_dword v72, off, s[0:3], 0 offset:364
	buffer_load_dword v131, off, s[0:3], 0 offset:376
	;; [unrolled: 1-line block ×5, first 2 shown]
	s_waitcnt vmcnt(56)
	v_fma_f64 v[69:70], v[61:62], v[79:80], -v[69:70]
	ds_read_b128 v[57:60], v2 offset:512
	v_fma_f64 v[79:80], v[63:64], v[79:80], v[132:133]
	v_add_f64 v[123:124], v[123:124], 0
	v_add_f64 v[7:8], v[7:8], 0
	s_waitcnt lgkmcnt(1)
	v_mul_f64 v[137:138], v[3:4], v[73:74]
	v_mul_f64 v[73:74], v[5:6], v[73:74]
	v_add_f64 v[123:124], v[123:124], v[134:135]
	v_add_f64 v[7:8], v[7:8], v[65:66]
	s_clause 0x2
	buffer_load_dword v132, off, s[0:3], 0 offset:380
	buffer_load_dword v66, off, s[0:3], 0 offset:356
	;; [unrolled: 1-line block ×3, first 2 shown]
	s_waitcnt vmcnt(58) lgkmcnt(0)
	v_mul_f64 v[133:134], v[57:58], v[75:76]
	v_mul_f64 v[75:76], v[59:60], v[75:76]
	s_waitcnt vmcnt(56)
	v_fma_f64 v[73:74], v[3:4], v[81:82], -v[73:74]
	ds_read_b128 v[61:64], v2 offset:528
	v_fma_f64 v[81:82], v[5:6], v[81:82], v[137:138]
	v_add_f64 v[69:70], v[123:124], v[69:70]
	v_add_f64 v[7:8], v[7:8], v[79:80]
	s_clause 0x2
	buffer_load_dword v80, off, s[0:3], 0 offset:396
	buffer_load_dword v79, off, s[0:3], 0 offset:392
	;; [unrolled: 1-line block ×3, first 2 shown]
	ds_read_b128 v[3:6], v2 offset:544
	s_waitcnt vmcnt(55) lgkmcnt(1)
	v_mul_f64 v[123:124], v[61:62], v[83:84]
	v_mul_f64 v[83:84], v[63:64], v[83:84]
	s_waitcnt vmcnt(54)
	v_fma_f64 v[75:76], v[57:58], v[77:78], -v[75:76]
	v_add_f64 v[69:70], v[69:70], v[73:74]
	v_fma_f64 v[73:74], v[59:60], v[77:78], v[133:134]
	v_add_f64 v[7:8], v[7:8], v[81:82]
	s_clause 0x1
	buffer_load_dword v78, off, s[0:3], 0 offset:388
	buffer_load_dword v77, off, s[0:3], 0 offset:384
	s_waitcnt vmcnt(55) lgkmcnt(0)
	v_mul_f64 v[81:82], v[3:4], v[85:86]
	v_mul_f64 v[85:86], v[5:6], v[85:86]
	s_waitcnt vmcnt(53)
	v_fma_f64 v[83:84], v[61:62], v[89:90], -v[83:84]
	ds_read_b128 v[57:60], v2 offset:560
	v_add_f64 v[69:70], v[69:70], v[75:76]
	v_fma_f64 v[75:76], v[63:64], v[89:90], v[123:124]
	v_add_f64 v[7:8], v[7:8], v[73:74]
	ds_read_b128 v[61:64], v2 offset:576
	s_waitcnt vmcnt(48)
	v_fma_f64 v[81:82], v[5:6], v[87:88], v[81:82]
	s_waitcnt lgkmcnt(1)
	v_mul_f64 v[89:90], v[59:60], v[91:92]
	v_fma_f64 v[85:86], v[3:4], v[87:88], -v[85:86]
	v_mul_f64 v[73:74], v[57:58], v[91:92]
	v_add_f64 v[69:70], v[69:70], v[83:84]
	s_waitcnt vmcnt(47) lgkmcnt(0)
	v_mul_f64 v[91:92], v[63:64], v[93:94]
	v_add_f64 v[7:8], v[7:8], v[75:76]
	s_clause 0x3
	buffer_load_dword v75, off, s[0:3], 0 offset:64
	buffer_load_dword v76, off, s[0:3], 0 offset:68
	;; [unrolled: 1-line block ×4, first 2 shown]
	ds_read_b128 v[3:6], v2 offset:592
	s_waitcnt vmcnt(49)
	v_fma_f64 v[89:90], v[57:58], v[97:98], -v[89:90]
	v_mul_f64 v[87:88], v[61:62], v[93:94]
	v_fma_f64 v[73:74], v[59:60], v[97:98], v[73:74]
	ds_read_b128 v[57:60], v2 offset:608
	v_add_f64 v[69:70], v[69:70], v[85:86]
	s_waitcnt vmcnt(44)
	v_fma_f64 v[91:92], v[61:62], v[95:96], -v[91:92]
	v_add_f64 v[7:8], v[7:8], v[81:82]
	s_waitcnt lgkmcnt(1)
	v_mul_f64 v[85:86], v[5:6], v[99:100]
	v_mul_f64 v[81:82], v[3:4], v[99:100]
	v_fma_f64 v[87:88], v[63:64], v[95:96], v[87:88]
	ds_read_b128 v[61:64], v2 offset:624
	v_add_f64 v[69:70], v[69:70], v[89:90]
	s_waitcnt vmcnt(43) lgkmcnt(1)
	v_mul_f64 v[89:90], v[59:60], v[101:102]
	v_add_f64 v[7:8], v[7:8], v[73:74]
	s_waitcnt vmcnt(41)
	v_fma_f64 v[85:86], v[3:4], v[105:106], -v[85:86]
	v_mul_f64 v[73:74], v[57:58], v[101:102]
	v_fma_f64 v[81:82], v[5:6], v[105:106], v[81:82]
	ds_read_b128 v[3:6], v2 offset:640
	v_add_f64 v[69:70], v[69:70], v[91:92]
	s_waitcnt vmcnt(37) lgkmcnt(1)
	v_mul_f64 v[91:92], v[63:64], v[107:108]
	v_add_f64 v[7:8], v[7:8], v[87:88]
	s_waitcnt vmcnt(36)
	v_fma_f64 v[89:90], v[57:58], v[103:104], -v[89:90]
	;; [unrolled: 9-line block ×6, first 2 shown]
	v_mul_f64 v[81:82], v[3:4], v[125:126]
	v_fma_f64 v[87:88], v[63:64], v[119:120], v[87:88]
	ds_read_b128 v[61:64], v2 offset:720
	v_add_f64 v[69:70], v[69:70], v[89:90]
	v_add_f64 v[7:8], v[7:8], v[73:74]
	s_waitcnt vmcnt(19) lgkmcnt(1)
	v_mul_f64 v[89:90], v[59:60], v[127:128]
	v_mul_f64 v[73:74], v[57:58], v[127:128]
	s_waitcnt vmcnt(17)
	v_fma_f64 v[85:86], v[3:4], v[67:68], -v[85:86]
	v_fma_f64 v[67:68], v[5:6], v[67:68], v[81:82]
	ds_read_b128 v[3:6], v2 offset:736
	s_waitcnt vmcnt(13) lgkmcnt(1)
	v_mul_f64 v[81:82], v[61:62], v[71:72]
	v_mul_f64 v[71:72], v[63:64], v[71:72]
	v_add_f64 v[69:70], v[69:70], v[91:92]
	v_add_f64 v[7:8], v[7:8], v[87:88]
	s_waitcnt vmcnt(12)
	v_fma_f64 v[87:88], v[57:58], v[129:130], -v[89:90]
	v_fma_f64 v[73:74], v[59:60], v[129:130], v[73:74]
	ds_read_b128 v[57:60], v2 offset:752
	v_add_f64 v[69:70], v[69:70], v[85:86]
	v_add_f64 v[7:8], v[7:8], v[67:68]
	s_waitcnt vmcnt(11) lgkmcnt(1)
	v_mul_f64 v[85:86], v[5:6], v[131:132]
	v_mul_f64 v[67:68], v[3:4], v[131:132]
	s_waitcnt vmcnt(9)
	v_fma_f64 v[61:62], v[61:62], v[65:66], -v[71:72]
	v_fma_f64 v[63:64], v[63:64], v[65:66], v[81:82]
	v_add_f64 v[69:70], v[69:70], v[87:88]
	v_add_f64 v[7:8], v[7:8], v[73:74]
	s_waitcnt vmcnt(7) lgkmcnt(0)
	v_mul_f64 v[71:72], v[59:60], v[79:80]
	s_waitcnt vmcnt(6)
	v_fma_f64 v[2:3], v[3:4], v[136:137], -v[85:86]
	v_mul_f64 v[65:66], v[57:58], v[79:80]
	v_fma_f64 v[4:5], v[5:6], v[136:137], v[67:68]
	v_add_f64 v[61:62], v[69:70], v[61:62]
	v_add_f64 v[6:7], v[7:8], v[63:64]
	s_waitcnt vmcnt(4)
	v_fma_f64 v[57:58], v[57:58], v[77:78], -v[71:72]
	v_fma_f64 v[59:60], v[59:60], v[77:78], v[65:66]
	v_add_f64 v[2:3], v[61:62], v[2:3]
	v_add_f64 v[4:5], v[6:7], v[4:5]
	;; [unrolled: 1-line block ×4, first 2 shown]
	s_waitcnt vmcnt(2)
	v_add_f64 v[2:3], v[75:76], -v[2:3]
	s_waitcnt vmcnt(0)
	v_add_f64 v[4:5], v[83:84], -v[4:5]
	buffer_store_dword v3, off, s[0:3], 0 offset:68
	buffer_store_dword v2, off, s[0:3], 0 offset:64
	;; [unrolled: 1-line block ×4, first 2 shown]
	v_cmpx_lt_u32_e32 2, v0
	s_cbranch_execz .LBB23_153
; %bb.152:
	v_mov_b32_e32 v5, s35
	v_mov_b32_e32 v6, 0
	s_clause 0x3
	buffer_load_dword v2, v5, s[0:3], 0 offen
	buffer_load_dword v3, v5, s[0:3], 0 offen offset:4
	buffer_load_dword v4, v5, s[0:3], 0 offen offset:8
	;; [unrolled: 1-line block ×3, first 2 shown]
	buffer_store_dword v6, off, s[0:3], 0 offset:48
	buffer_store_dword v6, off, s[0:3], 0 offset:52
	;; [unrolled: 1-line block ×4, first 2 shown]
	s_waitcnt vmcnt(0)
	ds_write_b128 v1, v[2:5]
.LBB23_153:
	s_or_b32 exec_lo, exec_lo, s4
	s_waitcnt lgkmcnt(0)
	s_waitcnt_vscnt null, 0x0
	s_barrier
	buffer_gl0_inv
	s_clause 0x37
	buffer_load_dword v7, off, s[0:3], 0 offset:72
	buffer_load_dword v8, off, s[0:3], 0 offset:76
	;; [unrolled: 1-line block ×56, first 2 shown]
	v_mov_b32_e32 v2, 0
	s_mov_b32 s4, exec_lo
	ds_read_b128 v[3:6], v2 offset:432
	s_clause 0x2
	buffer_load_dword v118, off, s[0:3], 0 offset:300
	buffer_load_dword v122, off, s[0:3], 0 offset:276
	;; [unrolled: 1-line block ×3, first 2 shown]
	ds_read_b128 v[57:60], v2 offset:448
	s_clause 0x4
	buffer_load_dword v126, off, s[0:3], 0 offset:316
	buffer_load_dword v127, off, s[0:3], 0 offset:328
	;; [unrolled: 1-line block ×5, first 2 shown]
	ds_read_b128 v[61:64], v2 offset:464
	s_waitcnt vmcnt(62) lgkmcnt(2)
	v_mul_f64 v[123:124], v[5:6], v[7:8]
	v_mul_f64 v[7:8], v[3:4], v[7:8]
	s_waitcnt vmcnt(60) lgkmcnt(1)
	v_mul_f64 v[130:131], v[59:60], v[65:66]
	v_mul_f64 v[65:66], v[57:58], v[65:66]
	s_waitcnt vmcnt(56) lgkmcnt(0)
	v_mul_f64 v[132:133], v[61:62], v[69:70]
	v_mul_f64 v[69:70], v[63:64], v[69:70]
	v_fma_f64 v[123:124], v[3:4], v[67:68], -v[123:124]
	v_fma_f64 v[7:8], v[5:6], v[67:68], v[7:8]
	s_clause 0x2
	buffer_load_dword v128, off, s[0:3], 0 offset:332
	buffer_load_dword v68, off, s[0:3], 0 offset:308
	;; [unrolled: 1-line block ×3, first 2 shown]
	s_waitcnt vmcnt(57)
	v_fma_f64 v[134:135], v[57:58], v[71:72], -v[130:131]
	ds_read_b128 v[3:6], v2 offset:480
	v_fma_f64 v[65:66], v[59:60], v[71:72], v[65:66]
	s_clause 0x4
	buffer_load_dword v72, off, s[0:3], 0 offset:348
	buffer_load_dword v131, off, s[0:3], 0 offset:360
	;; [unrolled: 1-line block ×5, first 2 shown]
	s_waitcnt vmcnt(56)
	v_fma_f64 v[69:70], v[61:62], v[79:80], -v[69:70]
	ds_read_b128 v[57:60], v2 offset:496
	v_fma_f64 v[79:80], v[63:64], v[79:80], v[132:133]
	v_add_f64 v[123:124], v[123:124], 0
	v_add_f64 v[7:8], v[7:8], 0
	s_waitcnt lgkmcnt(1)
	v_mul_f64 v[137:138], v[3:4], v[73:74]
	v_mul_f64 v[73:74], v[5:6], v[73:74]
	v_add_f64 v[123:124], v[123:124], v[134:135]
	v_add_f64 v[7:8], v[7:8], v[65:66]
	s_clause 0x2
	buffer_load_dword v132, off, s[0:3], 0 offset:364
	buffer_load_dword v66, off, s[0:3], 0 offset:340
	;; [unrolled: 1-line block ×3, first 2 shown]
	s_waitcnt vmcnt(58) lgkmcnt(0)
	v_mul_f64 v[133:134], v[57:58], v[75:76]
	v_mul_f64 v[75:76], v[59:60], v[75:76]
	s_waitcnt vmcnt(56)
	v_fma_f64 v[73:74], v[3:4], v[81:82], -v[73:74]
	ds_read_b128 v[61:64], v2 offset:512
	v_fma_f64 v[81:82], v[5:6], v[81:82], v[137:138]
	v_add_f64 v[69:70], v[123:124], v[69:70]
	v_add_f64 v[7:8], v[7:8], v[79:80]
	s_clause 0x4
	buffer_load_dword v80, off, s[0:3], 0 offset:380
	buffer_load_dword v123, off, s[0:3], 0 offset:392
	;; [unrolled: 1-line block ×5, first 2 shown]
	ds_read_b128 v[3:6], v2 offset:528
	s_waitcnt vmcnt(57) lgkmcnt(1)
	v_mul_f64 v[139:140], v[61:62], v[83:84]
	v_mul_f64 v[83:84], v[63:64], v[83:84]
	s_waitcnt vmcnt(56)
	v_fma_f64 v[75:76], v[57:58], v[77:78], -v[75:76]
	v_add_f64 v[69:70], v[69:70], v[73:74]
	v_fma_f64 v[73:74], v[59:60], v[77:78], v[133:134]
	v_add_f64 v[7:8], v[7:8], v[81:82]
	s_clause 0x2
	buffer_load_dword v124, off, s[0:3], 0 offset:396
	buffer_load_dword v78, off, s[0:3], 0 offset:372
	;; [unrolled: 1-line block ×3, first 2 shown]
	s_waitcnt vmcnt(58) lgkmcnt(0)
	v_mul_f64 v[81:82], v[3:4], v[85:86]
	v_mul_f64 v[85:86], v[5:6], v[85:86]
	s_waitcnt vmcnt(56)
	v_fma_f64 v[83:84], v[61:62], v[89:90], -v[83:84]
	ds_read_b128 v[57:60], v2 offset:544
	v_add_f64 v[69:70], v[69:70], v[75:76]
	v_fma_f64 v[75:76], v[63:64], v[89:90], v[139:140]
	v_add_f64 v[7:8], v[7:8], v[73:74]
	buffer_load_dword v139, off, s[0:3], 0 offset:388
	ds_read_b128 v[61:64], v2 offset:560
	s_waitcnt vmcnt(53) lgkmcnt(1)
	v_mul_f64 v[89:90], v[59:60], v[91:92]
	s_waitcnt vmcnt(52)
	v_fma_f64 v[85:86], v[3:4], v[87:88], -v[85:86]
	v_mul_f64 v[73:74], v[57:58], v[91:92]
	v_fma_f64 v[81:82], v[5:6], v[87:88], v[81:82]
	ds_read_b128 v[3:6], v2 offset:576
	v_add_f64 v[69:70], v[69:70], v[83:84]
	v_add_f64 v[7:8], v[7:8], v[75:76]
	s_waitcnt vmcnt(51) lgkmcnt(1)
	v_mul_f64 v[83:84], v[63:64], v[93:94]
	v_mul_f64 v[75:76], v[61:62], v[93:94]
	s_waitcnt vmcnt(49)
	v_fma_f64 v[87:88], v[57:58], v[97:98], -v[89:90]
	v_fma_f64 v[73:74], v[59:60], v[97:98], v[73:74]
	s_waitcnt vmcnt(45) lgkmcnt(0)
	v_mul_f64 v[91:92], v[5:6], v[99:100]
	v_mul_f64 v[89:90], v[3:4], v[99:100]
	v_add_f64 v[69:70], v[69:70], v[85:86]
	v_add_f64 v[7:8], v[7:8], v[81:82]
	s_clause 0x3
	buffer_load_dword v81, off, s[0:3], 0 offset:48
	buffer_load_dword v82, off, s[0:3], 0 offset:52
	buffer_load_dword v85, off, s[0:3], 0 offset:56
	buffer_load_dword v86, off, s[0:3], 0 offset:60
	s_waitcnt vmcnt(48)
	v_fma_f64 v[83:84], v[61:62], v[95:96], -v[83:84]
	ds_read_b128 v[57:60], v2 offset:592
	v_fma_f64 v[75:76], v[63:64], v[95:96], v[75:76]
	ds_read_b128 v[61:64], v2 offset:608
	s_waitcnt vmcnt(45)
	v_fma_f64 v[91:92], v[3:4], v[105:106], -v[91:92]
	v_add_f64 v[69:70], v[69:70], v[87:88]
	v_add_f64 v[7:8], v[7:8], v[73:74]
	s_waitcnt lgkmcnt(1)
	v_mul_f64 v[87:88], v[59:60], v[101:102]
	v_mul_f64 v[73:74], v[57:58], v[101:102]
	v_add_f64 v[69:70], v[69:70], v[83:84]
	v_fma_f64 v[83:84], v[5:6], v[105:106], v[89:90]
	v_add_f64 v[7:8], v[7:8], v[75:76]
	s_waitcnt vmcnt(41) lgkmcnt(0)
	v_mul_f64 v[89:90], v[63:64], v[107:108]
	s_waitcnt vmcnt(40)
	v_fma_f64 v[87:88], v[57:58], v[103:104], -v[87:88]
	ds_read_b128 v[3:6], v2 offset:624
	v_mul_f64 v[75:76], v[61:62], v[107:108]
	v_fma_f64 v[73:74], v[59:60], v[103:104], v[73:74]
	ds_read_b128 v[57:60], v2 offset:640
	v_add_f64 v[69:70], v[69:70], v[91:92]
	v_add_f64 v[7:8], v[7:8], v[83:84]
	s_waitcnt vmcnt(39) lgkmcnt(1)
	v_mul_f64 v[91:92], v[5:6], v[109:110]
	s_waitcnt vmcnt(37)
	v_fma_f64 v[89:90], v[61:62], v[113:114], -v[89:90]
	v_mul_f64 v[83:84], v[3:4], v[109:110]
	v_fma_f64 v[75:76], v[63:64], v[113:114], v[75:76]
	ds_read_b128 v[61:64], v2 offset:656
	v_add_f64 v[69:70], v[69:70], v[87:88]
	s_waitcnt vmcnt(33) lgkmcnt(1)
	v_mul_f64 v[87:88], v[59:60], v[115:116]
	v_add_f64 v[7:8], v[7:8], v[73:74]
	s_waitcnt vmcnt(32)
	v_fma_f64 v[91:92], v[3:4], v[111:112], -v[91:92]
	v_mul_f64 v[73:74], v[57:58], v[115:116]
	v_fma_f64 v[83:84], v[5:6], v[111:112], v[83:84]
	ds_read_b128 v[3:6], v2 offset:672
	v_add_f64 v[69:70], v[69:70], v[89:90]
	s_waitcnt vmcnt(31) lgkmcnt(1)
	v_mul_f64 v[89:90], v[63:64], v[117:118]
	v_add_f64 v[7:8], v[7:8], v[75:76]
	;; [unrolled: 9-line block ×3, first 2 shown]
	s_waitcnt vmcnt(24)
	v_fma_f64 v[89:90], v[61:62], v[119:120], -v[89:90]
	v_mul_f64 v[83:84], v[3:4], v[125:126]
	v_fma_f64 v[75:76], v[63:64], v[119:120], v[75:76]
	ds_read_b128 v[61:64], v2 offset:704
	v_add_f64 v[69:70], v[69:70], v[87:88]
	v_add_f64 v[7:8], v[7:8], v[73:74]
	s_waitcnt vmcnt(23) lgkmcnt(1)
	v_mul_f64 v[87:88], v[59:60], v[127:128]
	v_mul_f64 v[73:74], v[57:58], v[127:128]
	s_waitcnt vmcnt(21)
	v_fma_f64 v[91:92], v[3:4], v[67:68], -v[91:92]
	v_fma_f64 v[67:68], v[5:6], v[67:68], v[83:84]
	ds_read_b128 v[3:6], v2 offset:720
	v_add_f64 v[69:70], v[69:70], v[89:90]
	v_add_f64 v[7:8], v[7:8], v[75:76]
	s_waitcnt vmcnt(17) lgkmcnt(1)
	v_mul_f64 v[75:76], v[61:62], v[71:72]
	v_mul_f64 v[71:72], v[63:64], v[71:72]
	s_waitcnt vmcnt(16)
	v_fma_f64 v[83:84], v[57:58], v[129:130], -v[87:88]
	;; [unrolled: 9-line block ×3, first 2 shown]
	v_fma_f64 v[65:66], v[63:64], v[65:66], v[75:76]
	ds_read_b128 v[61:64], v2 offset:752
	v_add_f64 v[69:70], v[69:70], v[83:84]
	v_add_f64 v[7:8], v[7:8], v[73:74]
	s_waitcnt vmcnt(9) lgkmcnt(1)
	v_mul_f64 v[75:76], v[59:60], v[79:80]
	s_waitcnt vmcnt(8)
	v_fma_f64 v[3:4], v[3:4], v[136:137], -v[87:88]
	v_mul_f64 v[73:74], v[57:58], v[79:80]
	v_fma_f64 v[5:6], v[5:6], v[136:137], v[67:68]
	v_add_f64 v[69:70], v[69:70], v[71:72]
	v_add_f64 v[7:8], v[7:8], v[65:66]
	s_waitcnt vmcnt(7) lgkmcnt(0)
	v_mul_f64 v[67:68], v[63:64], v[123:124]
	v_mul_f64 v[65:66], v[61:62], v[123:124]
	s_waitcnt vmcnt(5)
	v_fma_f64 v[57:58], v[57:58], v[77:78], -v[75:76]
	v_fma_f64 v[59:60], v[59:60], v[77:78], v[73:74]
	v_add_f64 v[3:4], v[69:70], v[3:4]
	v_add_f64 v[5:6], v[7:8], v[5:6]
	s_waitcnt vmcnt(4)
	v_fma_f64 v[7:8], v[61:62], v[138:139], -v[67:68]
	v_add_f64 v[3:4], v[3:4], v[57:58]
	v_fma_f64 v[57:58], v[63:64], v[138:139], v[65:66]
	v_add_f64 v[5:6], v[5:6], v[59:60]
	v_add_f64 v[3:4], v[3:4], v[7:8]
	;; [unrolled: 1-line block ×3, first 2 shown]
	s_waitcnt vmcnt(2)
	v_add_f64 v[3:4], v[81:82], -v[3:4]
	s_waitcnt vmcnt(0)
	v_add_f64 v[5:6], v[85:86], -v[5:6]
	buffer_store_dword v4, off, s[0:3], 0 offset:52
	buffer_store_dword v3, off, s[0:3], 0 offset:48
	;; [unrolled: 1-line block ×4, first 2 shown]
	v_cmpx_lt_u32_e32 1, v0
	s_cbranch_execz .LBB23_155
; %bb.154:
	v_mov_b32_e32 v6, s36
	s_clause 0x3
	buffer_load_dword v3, v6, s[0:3], 0 offen
	buffer_load_dword v4, v6, s[0:3], 0 offen offset:4
	buffer_load_dword v5, v6, s[0:3], 0 offen offset:8
	;; [unrolled: 1-line block ×3, first 2 shown]
	buffer_store_dword v2, off, s[0:3], 0 offset:32
	buffer_store_dword v2, off, s[0:3], 0 offset:36
	buffer_store_dword v2, off, s[0:3], 0 offset:40
	buffer_store_dword v2, off, s[0:3], 0 offset:44
	s_waitcnt vmcnt(0)
	ds_write_b128 v1, v[3:6]
.LBB23_155:
	s_or_b32 exec_lo, exec_lo, s4
	s_waitcnt lgkmcnt(0)
	s_waitcnt_vscnt null, 0x0
	s_barrier
	buffer_gl0_inv
	s_clause 0x37
	buffer_load_dword v7, off, s[0:3], 0 offset:56
	buffer_load_dword v8, off, s[0:3], 0 offset:60
	;; [unrolled: 1-line block ×56, first 2 shown]
	ds_read_b128 v[3:6], v2 offset:416
	s_clause 0x2
	buffer_load_dword v118, off, s[0:3], 0 offset:284
	buffer_load_dword v122, off, s[0:3], 0 offset:260
	;; [unrolled: 1-line block ×3, first 2 shown]
	ds_read_b128 v[57:60], v2 offset:432
	s_clause 0x4
	buffer_load_dword v126, off, s[0:3], 0 offset:300
	buffer_load_dword v127, off, s[0:3], 0 offset:312
	;; [unrolled: 1-line block ×5, first 2 shown]
	ds_read_b128 v[61:64], v2 offset:448
	s_mov_b32 s4, exec_lo
	s_waitcnt vmcnt(62) lgkmcnt(2)
	v_mul_f64 v[123:124], v[5:6], v[7:8]
	v_mul_f64 v[7:8], v[3:4], v[7:8]
	s_waitcnt vmcnt(60) lgkmcnt(1)
	v_mul_f64 v[130:131], v[59:60], v[65:66]
	v_mul_f64 v[65:66], v[57:58], v[65:66]
	;; [unrolled: 3-line block ×3, first 2 shown]
	v_fma_f64 v[123:124], v[3:4], v[67:68], -v[123:124]
	v_fma_f64 v[7:8], v[5:6], v[67:68], v[7:8]
	s_clause 0x2
	buffer_load_dword v128, off, s[0:3], 0 offset:316
	buffer_load_dword v68, off, s[0:3], 0 offset:292
	;; [unrolled: 1-line block ×3, first 2 shown]
	s_waitcnt vmcnt(57)
	v_fma_f64 v[134:135], v[57:58], v[71:72], -v[130:131]
	ds_read_b128 v[3:6], v2 offset:464
	v_fma_f64 v[65:66], v[59:60], v[71:72], v[65:66]
	s_clause 0x4
	buffer_load_dword v72, off, s[0:3], 0 offset:332
	buffer_load_dword v131, off, s[0:3], 0 offset:344
	;; [unrolled: 1-line block ×5, first 2 shown]
	s_waitcnt vmcnt(56)
	v_fma_f64 v[69:70], v[61:62], v[79:80], -v[69:70]
	ds_read_b128 v[57:60], v2 offset:480
	v_fma_f64 v[79:80], v[63:64], v[79:80], v[132:133]
	v_add_f64 v[123:124], v[123:124], 0
	v_add_f64 v[7:8], v[7:8], 0
	s_waitcnt lgkmcnt(1)
	v_mul_f64 v[137:138], v[3:4], v[73:74]
	v_mul_f64 v[73:74], v[5:6], v[73:74]
	v_add_f64 v[123:124], v[123:124], v[134:135]
	v_add_f64 v[7:8], v[7:8], v[65:66]
	s_clause 0x2
	buffer_load_dword v132, off, s[0:3], 0 offset:348
	buffer_load_dword v66, off, s[0:3], 0 offset:324
	;; [unrolled: 1-line block ×3, first 2 shown]
	s_waitcnt vmcnt(58) lgkmcnt(0)
	v_mul_f64 v[133:134], v[57:58], v[75:76]
	v_mul_f64 v[75:76], v[59:60], v[75:76]
	s_waitcnt vmcnt(56)
	v_fma_f64 v[73:74], v[3:4], v[81:82], -v[73:74]
	ds_read_b128 v[61:64], v2 offset:496
	v_fma_f64 v[81:82], v[5:6], v[81:82], v[137:138]
	v_add_f64 v[69:70], v[123:124], v[69:70]
	v_add_f64 v[7:8], v[7:8], v[79:80]
	s_clause 0x4
	buffer_load_dword v80, off, s[0:3], 0 offset:364
	buffer_load_dword v123, off, s[0:3], 0 offset:376
	;; [unrolled: 1-line block ×5, first 2 shown]
	ds_read_b128 v[3:6], v2 offset:512
	s_waitcnt vmcnt(57) lgkmcnt(1)
	v_mul_f64 v[139:140], v[61:62], v[83:84]
	v_mul_f64 v[83:84], v[63:64], v[83:84]
	s_waitcnt vmcnt(56)
	v_fma_f64 v[75:76], v[57:58], v[77:78], -v[75:76]
	v_add_f64 v[69:70], v[69:70], v[73:74]
	v_fma_f64 v[73:74], v[59:60], v[77:78], v[133:134]
	v_add_f64 v[7:8], v[7:8], v[81:82]
	s_clause 0x2
	buffer_load_dword v124, off, s[0:3], 0 offset:380
	buffer_load_dword v78, off, s[0:3], 0 offset:356
	;; [unrolled: 1-line block ×3, first 2 shown]
	s_waitcnt vmcnt(58) lgkmcnt(0)
	v_mul_f64 v[81:82], v[3:4], v[85:86]
	v_mul_f64 v[85:86], v[5:6], v[85:86]
	s_waitcnt vmcnt(56)
	v_fma_f64 v[83:84], v[61:62], v[89:90], -v[83:84]
	ds_read_b128 v[57:60], v2 offset:528
	v_add_f64 v[69:70], v[69:70], v[75:76]
	v_fma_f64 v[75:76], v[63:64], v[89:90], v[139:140]
	v_add_f64 v[7:8], v[7:8], v[73:74]
	s_clause 0x2
	buffer_load_dword v74, off, s[0:3], 0 offset:396
	buffer_load_dword v73, off, s[0:3], 0 offset:392
	;; [unrolled: 1-line block ×3, first 2 shown]
	ds_read_b128 v[61:64], v2 offset:544
	s_waitcnt vmcnt(55) lgkmcnt(1)
	v_mul_f64 v[89:90], v[57:58], v[91:92]
	v_mul_f64 v[91:92], v[59:60], v[91:92]
	s_waitcnt vmcnt(54)
	v_fma_f64 v[85:86], v[3:4], v[87:88], -v[85:86]
	v_fma_f64 v[81:82], v[5:6], v[87:88], v[81:82]
	v_add_f64 v[69:70], v[69:70], v[83:84]
	v_add_f64 v[7:8], v[7:8], v[75:76]
	s_clause 0x1
	buffer_load_dword v76, off, s[0:3], 0 offset:388
	buffer_load_dword v75, off, s[0:3], 0 offset:384
	s_waitcnt vmcnt(55) lgkmcnt(0)
	v_mul_f64 v[87:88], v[63:64], v[93:94]
	ds_read_b128 v[3:6], v2 offset:560
	s_waitcnt vmcnt(53)
	v_fma_f64 v[91:92], v[57:58], v[97:98], -v[91:92]
	v_mul_f64 v[83:84], v[61:62], v[93:94]
	v_add_f64 v[69:70], v[69:70], v[85:86]
	v_fma_f64 v[85:86], v[59:60], v[97:98], v[89:90]
	v_add_f64 v[7:8], v[7:8], v[81:82]
	ds_read_b128 v[57:60], v2 offset:576
	s_waitcnt vmcnt(49) lgkmcnt(1)
	v_mul_f64 v[89:90], v[5:6], v[99:100]
	s_waitcnt vmcnt(48)
	v_fma_f64 v[87:88], v[61:62], v[95:96], -v[87:88]
	v_mul_f64 v[81:82], v[3:4], v[99:100]
	v_fma_f64 v[83:84], v[63:64], v[95:96], v[83:84]
	v_add_f64 v[69:70], v[69:70], v[91:92]
	s_waitcnt vmcnt(47) lgkmcnt(0)
	v_mul_f64 v[95:96], v[59:60], v[101:102]
	v_add_f64 v[7:8], v[7:8], v[85:86]
	s_clause 0x3
	buffer_load_dword v85, off, s[0:3], 0 offset:32
	buffer_load_dword v86, off, s[0:3], 0 offset:36
	;; [unrolled: 1-line block ×4, first 2 shown]
	s_waitcnt vmcnt(49)
	v_fma_f64 v[89:90], v[3:4], v[105:106], -v[89:90]
	ds_read_b128 v[61:64], v2 offset:592
	v_mul_f64 v[93:94], v[57:58], v[101:102]
	v_fma_f64 v[81:82], v[5:6], v[105:106], v[81:82]
	ds_read_b128 v[3:6], v2 offset:608
	v_add_f64 v[69:70], v[69:70], v[87:88]
	s_waitcnt vmcnt(44)
	v_fma_f64 v[95:96], v[57:58], v[103:104], -v[95:96]
	v_add_f64 v[7:8], v[7:8], v[83:84]
	s_waitcnt lgkmcnt(1)
	v_mul_f64 v[87:88], v[63:64], v[107:108]
	v_mul_f64 v[83:84], v[61:62], v[107:108]
	v_add_f64 v[69:70], v[69:70], v[89:90]
	v_fma_f64 v[89:90], v[59:60], v[103:104], v[93:94]
	v_add_f64 v[7:8], v[7:8], v[81:82]
	s_waitcnt vmcnt(43) lgkmcnt(0)
	v_mul_f64 v[93:94], v[5:6], v[109:110]
	s_waitcnt vmcnt(41)
	v_fma_f64 v[87:88], v[61:62], v[113:114], -v[87:88]
	ds_read_b128 v[57:60], v2 offset:624
	v_mul_f64 v[81:82], v[3:4], v[109:110]
	v_fma_f64 v[83:84], v[63:64], v[113:114], v[83:84]
	ds_read_b128 v[61:64], v2 offset:640
	v_add_f64 v[69:70], v[69:70], v[95:96]
	v_add_f64 v[7:8], v[7:8], v[89:90]
	s_waitcnt vmcnt(37) lgkmcnt(1)
	v_mul_f64 v[95:96], v[59:60], v[115:116]
	s_waitcnt vmcnt(36)
	v_fma_f64 v[93:94], v[3:4], v[111:112], -v[93:94]
	v_mul_f64 v[89:90], v[57:58], v[115:116]
	v_fma_f64 v[81:82], v[5:6], v[111:112], v[81:82]
	ds_read_b128 v[3:6], v2 offset:656
	v_add_f64 v[69:70], v[69:70], v[87:88]
	s_waitcnt vmcnt(35) lgkmcnt(1)
	v_mul_f64 v[87:88], v[63:64], v[117:118]
	v_add_f64 v[7:8], v[7:8], v[83:84]
	s_waitcnt vmcnt(33)
	v_fma_f64 v[95:96], v[57:58], v[121:122], -v[95:96]
	v_mul_f64 v[83:84], v[61:62], v[117:118]
	v_fma_f64 v[89:90], v[59:60], v[121:122], v[89:90]
	ds_read_b128 v[57:60], v2 offset:672
	v_add_f64 v[69:70], v[69:70], v[93:94]
	s_waitcnt vmcnt(29) lgkmcnt(1)
	v_mul_f64 v[93:94], v[5:6], v[125:126]
	v_add_f64 v[7:8], v[7:8], v[81:82]
	s_waitcnt vmcnt(28)
	v_fma_f64 v[87:88], v[61:62], v[119:120], -v[87:88]
	v_mul_f64 v[81:82], v[3:4], v[125:126]
	v_fma_f64 v[83:84], v[63:64], v[119:120], v[83:84]
	ds_read_b128 v[61:64], v2 offset:688
	v_add_f64 v[69:70], v[69:70], v[95:96]
	v_add_f64 v[7:8], v[7:8], v[89:90]
	s_waitcnt vmcnt(27) lgkmcnt(1)
	v_mul_f64 v[95:96], v[59:60], v[127:128]
	v_mul_f64 v[89:90], v[57:58], v[127:128]
	s_waitcnt vmcnt(25)
	v_fma_f64 v[93:94], v[3:4], v[67:68], -v[93:94]
	v_fma_f64 v[67:68], v[5:6], v[67:68], v[81:82]
	ds_read_b128 v[3:6], v2 offset:704
	s_waitcnt vmcnt(21) lgkmcnt(1)
	v_mul_f64 v[81:82], v[61:62], v[71:72]
	v_mul_f64 v[71:72], v[63:64], v[71:72]
	v_add_f64 v[69:70], v[69:70], v[87:88]
	v_add_f64 v[7:8], v[7:8], v[83:84]
	s_waitcnt vmcnt(20)
	v_fma_f64 v[83:84], v[57:58], v[129:130], -v[95:96]
	v_fma_f64 v[87:88], v[59:60], v[129:130], v[89:90]
	ds_read_b128 v[57:60], v2 offset:720
	v_add_f64 v[69:70], v[69:70], v[93:94]
	v_add_f64 v[7:8], v[7:8], v[67:68]
	s_waitcnt vmcnt(19) lgkmcnt(1)
	v_mul_f64 v[89:90], v[5:6], v[131:132]
	v_mul_f64 v[67:68], v[3:4], v[131:132]
	s_waitcnt vmcnt(17)
	v_fma_f64 v[71:72], v[61:62], v[65:66], -v[71:72]
	v_fma_f64 v[65:66], v[63:64], v[65:66], v[81:82]
	ds_read_b128 v[61:64], v2 offset:736
	v_add_f64 v[69:70], v[69:70], v[83:84]
	v_add_f64 v[7:8], v[7:8], v[87:88]
	s_waitcnt vmcnt(13) lgkmcnt(1)
	v_mul_f64 v[81:82], v[57:58], v[79:80]
	v_mul_f64 v[79:80], v[59:60], v[79:80]
	;; [unrolled: 9-line block ×3, first 2 shown]
	s_waitcnt vmcnt(9)
	v_fma_f64 v[57:58], v[57:58], v[77:78], -v[79:80]
	v_fma_f64 v[59:60], v[59:60], v[77:78], v[81:82]
	v_add_f64 v[69:70], v[69:70], v[83:84]
	v_add_f64 v[6:7], v[6:7], v[67:68]
	s_waitcnt vmcnt(7) lgkmcnt(0)
	v_mul_f64 v[67:68], v[2:3], v[73:74]
	v_mul_f64 v[73:74], v[4:5], v[73:74]
	s_waitcnt vmcnt(6)
	v_fma_f64 v[61:62], v[61:62], v[138:139], -v[71:72]
	v_fma_f64 v[63:64], v[63:64], v[138:139], v[65:66]
	v_add_f64 v[57:58], v[69:70], v[57:58]
	v_add_f64 v[6:7], v[6:7], v[59:60]
	s_waitcnt vmcnt(4)
	v_fma_f64 v[2:3], v[2:3], v[75:76], -v[73:74]
	v_fma_f64 v[4:5], v[4:5], v[75:76], v[67:68]
	v_add_f64 v[57:58], v[57:58], v[61:62]
	v_add_f64 v[6:7], v[6:7], v[63:64]
	v_add_f64 v[2:3], v[57:58], v[2:3]
	v_add_f64 v[4:5], v[6:7], v[4:5]
	s_waitcnt vmcnt(2)
	v_add_f64 v[2:3], v[85:86], -v[2:3]
	s_waitcnt vmcnt(0)
	v_add_f64 v[4:5], v[91:92], -v[4:5]
	buffer_store_dword v3, off, s[0:3], 0 offset:36
	buffer_store_dword v2, off, s[0:3], 0 offset:32
	;; [unrolled: 1-line block ×4, first 2 shown]
	v_cmpx_ne_u32_e32 0, v0
	s_cbranch_execz .LBB23_157
; %bb.156:
	s_clause 0x3
	buffer_load_dword v2, off, s[0:3], 0 offset:16
	buffer_load_dword v3, off, s[0:3], 0 offset:20
	;; [unrolled: 1-line block ×4, first 2 shown]
	v_mov_b32_e32 v0, 0
	buffer_store_dword v0, off, s[0:3], 0 offset:16
	buffer_store_dword v0, off, s[0:3], 0 offset:20
	;; [unrolled: 1-line block ×4, first 2 shown]
	s_waitcnt vmcnt(0)
	ds_write_b128 v1, v[2:5]
.LBB23_157:
	s_or_b32 exec_lo, exec_lo, s4
	s_waitcnt lgkmcnt(0)
	s_waitcnt_vscnt null, 0x0
	s_barrier
	buffer_gl0_inv
	s_clause 0x37
	buffer_load_dword v57, off, s[0:3], 0 offset:40
	buffer_load_dword v58, off, s[0:3], 0 offset:44
	;; [unrolled: 1-line block ×56, first 2 shown]
	v_mov_b32_e32 v0, 0
	s_and_b32 vcc_lo, exec_lo, s34
	ds_read_b128 v[1:4], v0 offset:400
	s_clause 0x2
	buffer_load_dword v114, off, s[0:3], 0 offset:268
	buffer_load_dword v118, off, s[0:3], 0 offset:244
	;; [unrolled: 1-line block ×3, first 2 shown]
	ds_read_b128 v[5:8], v0 offset:416
	s_clause 0x4
	buffer_load_dword v124, off, s[0:3], 0 offset:284
	buffer_load_dword v125, off, s[0:3], 0 offset:296
	;; [unrolled: 1-line block ×5, first 2 shown]
	s_waitcnt vmcnt(62) lgkmcnt(1)
	v_mul_f64 v[119:120], v[3:4], v[57:58]
	v_mul_f64 v[121:122], v[1:2], v[57:58]
	s_waitcnt vmcnt(60) lgkmcnt(0)
	v_mul_f64 v[128:129], v[7:8], v[61:62]
	ds_read_b128 v[57:60], v0 offset:432
	v_mul_f64 v[61:62], v[5:6], v[61:62]
	s_waitcnt vmcnt(58)
	v_fma_f64 v[119:120], v[1:2], v[63:64], -v[119:120]
	v_fma_f64 v[63:64], v[3:4], v[63:64], v[121:122]
	s_clause 0x2
	buffer_load_dword v126, off, s[0:3], 0 offset:300
	buffer_load_dword v122, off, s[0:3], 0 offset:276
	;; [unrolled: 1-line block ×3, first 2 shown]
	s_waitcnt vmcnt(59) lgkmcnt(0)
	v_mul_f64 v[130:131], v[57:58], v[65:66]
	v_mul_f64 v[65:66], v[59:60], v[65:66]
	s_waitcnt vmcnt(57)
	v_fma_f64 v[132:133], v[5:6], v[67:68], -v[128:129]
	ds_read_b128 v[1:4], v0 offset:448
	v_fma_f64 v[61:62], v[7:8], v[67:68], v[61:62]
	s_clause 0x4
	buffer_load_dword v68, off, s[0:3], 0 offset:316
	buffer_load_dword v129, off, s[0:3], 0 offset:328
	;; [unrolled: 1-line block ×5, first 2 shown]
	ds_read_b128 v[5:8], v0 offset:464
	v_add_f64 v[119:120], v[119:120], 0
	v_add_f64 v[63:64], v[63:64], 0
	s_waitcnt vmcnt(58) lgkmcnt(1)
	v_mul_f64 v[135:136], v[1:2], v[69:70]
	v_mul_f64 v[69:70], v[3:4], v[69:70]
	s_waitcnt vmcnt(56)
	v_fma_f64 v[65:66], v[57:58], v[75:76], -v[65:66]
	v_fma_f64 v[75:76], v[59:60], v[75:76], v[130:131]
	v_add_f64 v[119:120], v[119:120], v[132:133]
	v_add_f64 v[61:62], v[63:64], v[61:62]
	s_clause 0x2
	buffer_load_dword v130, off, s[0:3], 0 offset:332
	buffer_load_dword v64, off, s[0:3], 0 offset:308
	;; [unrolled: 1-line block ×3, first 2 shown]
	s_waitcnt vmcnt(58) lgkmcnt(0)
	v_mul_f64 v[131:132], v[5:6], v[71:72]
	v_mul_f64 v[71:72], v[7:8], v[71:72]
	s_waitcnt vmcnt(56)
	v_fma_f64 v[69:70], v[1:2], v[77:78], -v[69:70]
	ds_read_b128 v[57:60], v0 offset:480
	v_fma_f64 v[77:78], v[3:4], v[77:78], v[135:136]
	v_add_f64 v[65:66], v[119:120], v[65:66]
	v_add_f64 v[61:62], v[61:62], v[75:76]
	s_clause 0x4
	buffer_load_dword v76, off, s[0:3], 0 offset:348
	buffer_load_dword v119, off, s[0:3], 0 offset:360
	;; [unrolled: 1-line block ×5, first 2 shown]
	ds_read_b128 v[1:4], v0 offset:496
	s_waitcnt vmcnt(57) lgkmcnt(1)
	v_mul_f64 v[137:138], v[57:58], v[79:80]
	v_mul_f64 v[79:80], v[59:60], v[79:80]
	s_waitcnt vmcnt(56)
	v_fma_f64 v[71:72], v[5:6], v[73:74], -v[71:72]
	v_add_f64 v[65:66], v[65:66], v[69:70]
	v_fma_f64 v[69:70], v[7:8], v[73:74], v[131:132]
	v_add_f64 v[61:62], v[61:62], v[77:78]
	s_clause 0x2
	buffer_load_dword v120, off, s[0:3], 0 offset:364
	buffer_load_dword v74, off, s[0:3], 0 offset:340
	;; [unrolled: 1-line block ×3, first 2 shown]
	s_waitcnt vmcnt(58) lgkmcnt(0)
	v_mul_f64 v[77:78], v[1:2], v[81:82]
	v_mul_f64 v[81:82], v[3:4], v[81:82]
	s_waitcnt vmcnt(56)
	v_fma_f64 v[79:80], v[57:58], v[85:86], -v[79:80]
	ds_read_b128 v[5:8], v0 offset:512
	v_add_f64 v[65:66], v[65:66], v[71:72]
	v_fma_f64 v[71:72], v[59:60], v[85:86], v[137:138]
	v_add_f64 v[61:62], v[61:62], v[69:70]
	s_clause 0x4
	buffer_load_dword v70, off, s[0:3], 0 offset:380
	buffer_load_dword v85, off, s[0:3], 0 offset:392
	;; [unrolled: 1-line block ×5, first 2 shown]
	ds_read_b128 v[57:60], v0 offset:528
	s_waitcnt vmcnt(57) lgkmcnt(1)
	v_mul_f64 v[132:133], v[5:6], v[87:88]
	v_mul_f64 v[87:88], v[7:8], v[87:88]
	s_waitcnt vmcnt(56)
	v_fma_f64 v[81:82], v[1:2], v[83:84], -v[81:82]
	v_fma_f64 v[77:78], v[3:4], v[83:84], v[77:78]
	v_add_f64 v[65:66], v[65:66], v[79:80]
	v_add_f64 v[61:62], v[61:62], v[71:72]
	s_clause 0x2
	buffer_load_dword v86, off, s[0:3], 0 offset:396
	buffer_load_dword v72, off, s[0:3], 0 offset:372
	;; [unrolled: 1-line block ×3, first 2 shown]
	s_waitcnt vmcnt(58) lgkmcnt(0)
	v_mul_f64 v[83:84], v[59:60], v[89:90]
	ds_read_b128 v[1:4], v0 offset:544
	s_waitcnt vmcnt(56)
	v_fma_f64 v[87:88], v[5:6], v[93:94], -v[87:88]
	v_mul_f64 v[79:80], v[57:58], v[89:90]
	v_add_f64 v[65:66], v[65:66], v[81:82]
	v_fma_f64 v[81:82], v[7:8], v[93:94], v[132:133]
	v_add_f64 v[61:62], v[61:62], v[77:78]
	buffer_load_dword v132, off, s[0:3], 0 offset:388
	ds_read_b128 v[5:8], v0 offset:560
	s_waitcnt vmcnt(53) lgkmcnt(1)
	v_mul_f64 v[89:90], v[3:4], v[95:96]
	s_waitcnt vmcnt(52)
	v_fma_f64 v[83:84], v[57:58], v[91:92], -v[83:84]
	v_mul_f64 v[77:78], v[1:2], v[95:96]
	v_fma_f64 v[79:80], v[59:60], v[91:92], v[79:80]
	ds_read_b128 v[57:60], v0 offset:576
	v_add_f64 v[65:66], v[65:66], v[87:88]
	v_add_f64 v[61:62], v[61:62], v[81:82]
	s_waitcnt vmcnt(51) lgkmcnt(1)
	v_mul_f64 v[87:88], v[7:8], v[97:98]
	v_mul_f64 v[81:82], v[5:6], v[97:98]
	s_waitcnt vmcnt(49)
	v_fma_f64 v[89:90], v[1:2], v[101:102], -v[89:90]
	v_fma_f64 v[77:78], v[3:4], v[101:102], v[77:78]
	s_waitcnt vmcnt(45) lgkmcnt(0)
	v_mul_f64 v[93:94], v[59:60], v[103:104]
	v_mul_f64 v[91:92], v[57:58], v[103:104]
	v_add_f64 v[65:66], v[65:66], v[83:84]
	v_add_f64 v[61:62], v[61:62], v[79:80]
	s_clause 0x3
	buffer_load_dword v79, off, s[0:3], 0 offset:16
	buffer_load_dword v80, off, s[0:3], 0 offset:20
	;; [unrolled: 1-line block ×4, first 2 shown]
	s_waitcnt vmcnt(48)
	v_fma_f64 v[87:88], v[5:6], v[99:100], -v[87:88]
	ds_read_b128 v[1:4], v0 offset:592
	v_fma_f64 v[81:82], v[7:8], v[99:100], v[81:82]
	ds_read_b128 v[5:8], v0 offset:608
	s_waitcnt vmcnt(45)
	v_fma_f64 v[93:94], v[57:58], v[109:110], -v[93:94]
	v_add_f64 v[65:66], v[65:66], v[89:90]
	v_add_f64 v[61:62], v[61:62], v[77:78]
	s_waitcnt lgkmcnt(1)
	v_mul_f64 v[89:90], v[3:4], v[105:106]
	v_mul_f64 v[77:78], v[1:2], v[105:106]
	v_add_f64 v[65:66], v[65:66], v[87:88]
	v_fma_f64 v[87:88], v[59:60], v[109:110], v[91:92]
	v_add_f64 v[61:62], v[61:62], v[81:82]
	s_waitcnt vmcnt(41) lgkmcnt(0)
	v_mul_f64 v[91:92], v[7:8], v[111:112]
	s_waitcnt vmcnt(40)
	v_fma_f64 v[89:90], v[1:2], v[107:108], -v[89:90]
	ds_read_b128 v[57:60], v0 offset:624
	v_mul_f64 v[81:82], v[5:6], v[111:112]
	v_fma_f64 v[77:78], v[3:4], v[107:108], v[77:78]
	ds_read_b128 v[1:4], v0 offset:640
	v_add_f64 v[65:66], v[65:66], v[93:94]
	v_add_f64 v[61:62], v[61:62], v[87:88]
	s_waitcnt vmcnt(39) lgkmcnt(1)
	v_mul_f64 v[93:94], v[59:60], v[113:114]
	s_waitcnt vmcnt(37)
	v_fma_f64 v[91:92], v[5:6], v[117:118], -v[91:92]
	v_mul_f64 v[87:88], v[57:58], v[113:114]
	v_fma_f64 v[81:82], v[7:8], v[117:118], v[81:82]
	ds_read_b128 v[5:8], v0 offset:656
	v_add_f64 v[65:66], v[65:66], v[89:90]
	s_waitcnt vmcnt(33) lgkmcnt(1)
	v_mul_f64 v[89:90], v[3:4], v[123:124]
	v_add_f64 v[61:62], v[61:62], v[77:78]
	s_waitcnt vmcnt(32)
	v_fma_f64 v[93:94], v[57:58], v[115:116], -v[93:94]
	v_mul_f64 v[77:78], v[1:2], v[123:124]
	v_fma_f64 v[87:88], v[59:60], v[115:116], v[87:88]
	ds_read_b128 v[57:60], v0 offset:672
	v_add_f64 v[65:66], v[65:66], v[91:92]
	v_add_f64 v[61:62], v[61:62], v[81:82]
	s_waitcnt vmcnt(31) lgkmcnt(1)
	v_mul_f64 v[91:92], v[7:8], v[125:126]
	v_mul_f64 v[81:82], v[5:6], v[125:126]
	s_waitcnt vmcnt(29)
	v_fma_f64 v[89:90], v[1:2], v[121:122], -v[89:90]
	v_fma_f64 v[77:78], v[3:4], v[121:122], v[77:78]
	ds_read_b128 v[1:4], v0 offset:688
	v_add_f64 v[65:66], v[65:66], v[93:94]
	v_add_f64 v[61:62], v[61:62], v[87:88]
	s_waitcnt vmcnt(25) lgkmcnt(1)
	v_mul_f64 v[87:88], v[57:58], v[67:68]
	v_mul_f64 v[67:68], v[59:60], v[67:68]
	s_waitcnt vmcnt(24)
	v_fma_f64 v[91:92], v[5:6], v[127:128], -v[91:92]
	;; [unrolled: 9-line block ×4, first 2 shown]
	v_add_f64 v[65:66], v[65:66], v[67:68]
	v_fma_f64 v[67:68], v[3:4], v[134:135], v[77:78]
	v_add_f64 v[61:62], v[61:62], v[63:64]
	ds_read_b128 v[1:4], v0 offset:736
	s_waitcnt vmcnt(15) lgkmcnt(1)
	v_mul_f64 v[77:78], v[59:60], v[119:120]
	v_mul_f64 v[63:64], v[57:58], v[119:120]
	s_waitcnt vmcnt(13)
	v_fma_f64 v[75:76], v[5:6], v[73:74], -v[75:76]
	v_fma_f64 v[73:74], v[7:8], v[73:74], v[81:82]
	ds_read_b128 v[5:8], v0 offset:752
	v_add_f64 v[65:66], v[65:66], v[87:88]
	v_add_f64 v[61:62], v[61:62], v[67:68]
	s_waitcnt vmcnt(9) lgkmcnt(1)
	v_mul_f64 v[67:68], v[1:2], v[69:70]
	v_mul_f64 v[69:70], v[3:4], v[69:70]
	s_waitcnt vmcnt(8)
	v_fma_f64 v[57:58], v[57:58], v[136:137], -v[77:78]
	v_fma_f64 v[59:60], v[59:60], v[136:137], v[63:64]
	v_add_f64 v[65:66], v[65:66], v[75:76]
	v_add_f64 v[61:62], v[61:62], v[73:74]
	s_waitcnt vmcnt(7) lgkmcnt(0)
	v_mul_f64 v[73:74], v[7:8], v[85:86]
	v_mul_f64 v[63:64], v[5:6], v[85:86]
	s_waitcnt vmcnt(5)
	v_fma_f64 v[1:2], v[1:2], v[71:72], -v[69:70]
	v_fma_f64 v[3:4], v[3:4], v[71:72], v[67:68]
	v_add_f64 v[57:58], v[65:66], v[57:58]
	v_add_f64 v[59:60], v[61:62], v[59:60]
	s_waitcnt vmcnt(4)
	v_fma_f64 v[5:6], v[5:6], v[131:132], -v[73:74]
	v_fma_f64 v[7:8], v[7:8], v[131:132], v[63:64]
	v_add_f64 v[1:2], v[57:58], v[1:2]
	v_add_f64 v[3:4], v[59:60], v[3:4]
	;; [unrolled: 1-line block ×4, first 2 shown]
	s_waitcnt vmcnt(2)
	v_add_f64 v[1:2], v[79:80], -v[1:2]
	s_waitcnt vmcnt(0)
	v_add_f64 v[3:4], v[83:84], -v[3:4]
	buffer_store_dword v2, off, s[0:3], 0 offset:20
	buffer_store_dword v1, off, s[0:3], 0 offset:16
	;; [unrolled: 1-line block ×4, first 2 shown]
	s_cbranch_vccz .LBB23_204
; %bb.158:
	global_load_dword v0, v0, s[20:21] offset:88
	s_waitcnt vmcnt(0)
	v_add_nc_u32_e32 v0, -1, v0
	v_cmp_ne_u32_e32 vcc_lo, 22, v0
	s_cbranch_vccz .LBB23_160
; %bb.159:
	v_lshlrev_b32_e32 v0, 4, v0
	v_mov_b32_e32 v1, s9
	v_add_nc_u32_e32 v0, 16, v0
	s_clause 0x7
	buffer_load_dword v2, v0, s[0:3], 0 offen
	buffer_load_dword v3, v0, s[0:3], 0 offen offset:4
	buffer_load_dword v4, v0, s[0:3], 0 offen offset:8
	;; [unrolled: 1-line block ×6, first 2 shown]
	buffer_load_dword v57, v1, s[0:3], 0 offen
	s_waitcnt vmcnt(7)
	buffer_store_dword v2, v1, s[0:3], 0 offen
	s_waitcnt vmcnt(6)
	buffer_store_dword v3, v1, s[0:3], 0 offen offset:4
	s_waitcnt vmcnt(5)
	buffer_store_dword v4, v1, s[0:3], 0 offen offset:8
	;; [unrolled: 2-line block ×6, first 2 shown]
	s_waitcnt vmcnt(0)
	buffer_store_dword v57, v0, s[0:3], 0 offen
.LBB23_160:
	v_mov_b32_e32 v0, 0
	global_load_dword v1, v0, s[20:21] offset:84
	s_waitcnt vmcnt(0)
	v_add_nc_u32_e32 v1, -1, v1
	v_cmp_eq_u32_e32 vcc_lo, 21, v1
	s_cbranch_vccnz .LBB23_162
; %bb.161:
	v_lshlrev_b32_e32 v1, 4, v1
	v_mov_b32_e32 v2, s12
	v_add_nc_u32_e32 v1, 16, v1
	s_clause 0x7
	buffer_load_dword v3, v1, s[0:3], 0 offen
	buffer_load_dword v4, v1, s[0:3], 0 offen offset:4
	buffer_load_dword v5, v1, s[0:3], 0 offen offset:8
	;; [unrolled: 1-line block ×6, first 2 shown]
	buffer_load_dword v58, v2, s[0:3], 0 offen
	s_waitcnt vmcnt(7)
	buffer_store_dword v3, v2, s[0:3], 0 offen
	s_waitcnt vmcnt(6)
	buffer_store_dword v4, v2, s[0:3], 0 offen offset:4
	s_waitcnt vmcnt(5)
	buffer_store_dword v5, v2, s[0:3], 0 offen offset:8
	;; [unrolled: 2-line block ×6, first 2 shown]
	s_waitcnt vmcnt(0)
	buffer_store_dword v58, v1, s[0:3], 0 offen
.LBB23_162:
	global_load_dword v0, v0, s[20:21] offset:80
	s_waitcnt vmcnt(0)
	v_add_nc_u32_e32 v0, -1, v0
	v_cmp_eq_u32_e32 vcc_lo, 20, v0
	s_cbranch_vccnz .LBB23_164
; %bb.163:
	v_lshlrev_b32_e32 v0, 4, v0
	v_mov_b32_e32 v1, s13
	v_add_nc_u32_e32 v0, 16, v0
	s_clause 0x7
	buffer_load_dword v2, v0, s[0:3], 0 offen
	buffer_load_dword v3, v0, s[0:3], 0 offen offset:4
	buffer_load_dword v4, v0, s[0:3], 0 offen offset:8
	;; [unrolled: 1-line block ×6, first 2 shown]
	buffer_load_dword v57, v1, s[0:3], 0 offen
	s_waitcnt vmcnt(7)
	buffer_store_dword v2, v1, s[0:3], 0 offen
	s_waitcnt vmcnt(6)
	buffer_store_dword v3, v1, s[0:3], 0 offen offset:4
	s_waitcnt vmcnt(5)
	buffer_store_dword v4, v1, s[0:3], 0 offen offset:8
	;; [unrolled: 2-line block ×6, first 2 shown]
	s_waitcnt vmcnt(0)
	buffer_store_dword v57, v0, s[0:3], 0 offen
.LBB23_164:
	v_mov_b32_e32 v0, 0
	global_load_dword v1, v0, s[20:21] offset:76
	s_waitcnt vmcnt(0)
	v_add_nc_u32_e32 v1, -1, v1
	v_cmp_eq_u32_e32 vcc_lo, 19, v1
	s_cbranch_vccnz .LBB23_166
; %bb.165:
	v_lshlrev_b32_e32 v1, 4, v1
	v_mov_b32_e32 v2, s14
	v_add_nc_u32_e32 v1, 16, v1
	s_clause 0x7
	buffer_load_dword v3, v1, s[0:3], 0 offen
	buffer_load_dword v4, v1, s[0:3], 0 offen offset:4
	buffer_load_dword v5, v1, s[0:3], 0 offen offset:8
	buffer_load_dword v6, v1, s[0:3], 0 offen offset:12
	buffer_load_dword v7, v2, s[0:3], 0 offen offset:12
	buffer_load_dword v8, v2, s[0:3], 0 offen offset:8
	buffer_load_dword v57, v2, s[0:3], 0 offen offset:4
	buffer_load_dword v58, v2, s[0:3], 0 offen
	s_waitcnt vmcnt(7)
	buffer_store_dword v3, v2, s[0:3], 0 offen
	s_waitcnt vmcnt(6)
	buffer_store_dword v4, v2, s[0:3], 0 offen offset:4
	s_waitcnt vmcnt(5)
	buffer_store_dword v5, v2, s[0:3], 0 offen offset:8
	;; [unrolled: 2-line block ×6, first 2 shown]
	s_waitcnt vmcnt(0)
	buffer_store_dword v58, v1, s[0:3], 0 offen
.LBB23_166:
	global_load_dword v0, v0, s[20:21] offset:72
	s_waitcnt vmcnt(0)
	v_add_nc_u32_e32 v0, -1, v0
	v_cmp_eq_u32_e32 vcc_lo, 18, v0
	s_cbranch_vccnz .LBB23_168
; %bb.167:
	v_lshlrev_b32_e32 v0, 4, v0
	v_mov_b32_e32 v1, s15
	v_add_nc_u32_e32 v0, 16, v0
	s_clause 0x7
	buffer_load_dword v2, v0, s[0:3], 0 offen
	buffer_load_dword v3, v0, s[0:3], 0 offen offset:4
	buffer_load_dword v4, v0, s[0:3], 0 offen offset:8
	;; [unrolled: 1-line block ×6, first 2 shown]
	buffer_load_dword v57, v1, s[0:3], 0 offen
	s_waitcnt vmcnt(7)
	buffer_store_dword v2, v1, s[0:3], 0 offen
	s_waitcnt vmcnt(6)
	buffer_store_dword v3, v1, s[0:3], 0 offen offset:4
	s_waitcnt vmcnt(5)
	buffer_store_dword v4, v1, s[0:3], 0 offen offset:8
	;; [unrolled: 2-line block ×6, first 2 shown]
	s_waitcnt vmcnt(0)
	buffer_store_dword v57, v0, s[0:3], 0 offen
.LBB23_168:
	v_mov_b32_e32 v0, 0
	global_load_dword v1, v0, s[20:21] offset:68
	s_waitcnt vmcnt(0)
	v_add_nc_u32_e32 v1, -1, v1
	v_cmp_eq_u32_e32 vcc_lo, 17, v1
	s_cbranch_vccnz .LBB23_170
; %bb.169:
	v_lshlrev_b32_e32 v1, 4, v1
	v_mov_b32_e32 v2, s16
	v_add_nc_u32_e32 v1, 16, v1
	s_clause 0x7
	buffer_load_dword v3, v1, s[0:3], 0 offen
	buffer_load_dword v4, v1, s[0:3], 0 offen offset:4
	buffer_load_dword v5, v1, s[0:3], 0 offen offset:8
	buffer_load_dword v6, v1, s[0:3], 0 offen offset:12
	buffer_load_dword v7, v2, s[0:3], 0 offen offset:12
	buffer_load_dword v8, v2, s[0:3], 0 offen offset:8
	buffer_load_dword v57, v2, s[0:3], 0 offen offset:4
	buffer_load_dword v58, v2, s[0:3], 0 offen
	s_waitcnt vmcnt(7)
	buffer_store_dword v3, v2, s[0:3], 0 offen
	s_waitcnt vmcnt(6)
	buffer_store_dword v4, v2, s[0:3], 0 offen offset:4
	s_waitcnt vmcnt(5)
	buffer_store_dword v5, v2, s[0:3], 0 offen offset:8
	;; [unrolled: 2-line block ×6, first 2 shown]
	s_waitcnt vmcnt(0)
	buffer_store_dword v58, v1, s[0:3], 0 offen
.LBB23_170:
	global_load_dword v0, v0, s[20:21] offset:64
	s_waitcnt vmcnt(0)
	v_add_nc_u32_e32 v0, -1, v0
	v_cmp_eq_u32_e32 vcc_lo, 16, v0
	s_cbranch_vccnz .LBB23_172
; %bb.171:
	v_lshlrev_b32_e32 v0, 4, v0
	v_mov_b32_e32 v1, s17
	v_add_nc_u32_e32 v0, 16, v0
	s_clause 0x7
	buffer_load_dword v2, v0, s[0:3], 0 offen
	buffer_load_dword v3, v0, s[0:3], 0 offen offset:4
	buffer_load_dword v4, v0, s[0:3], 0 offen offset:8
	buffer_load_dword v5, v0, s[0:3], 0 offen offset:12
	buffer_load_dword v6, v1, s[0:3], 0 offen offset:12
	buffer_load_dword v7, v1, s[0:3], 0 offen offset:8
	buffer_load_dword v8, v1, s[0:3], 0 offen offset:4
	buffer_load_dword v57, v1, s[0:3], 0 offen
	s_waitcnt vmcnt(7)
	buffer_store_dword v2, v1, s[0:3], 0 offen
	s_waitcnt vmcnt(6)
	buffer_store_dword v3, v1, s[0:3], 0 offen offset:4
	s_waitcnt vmcnt(5)
	buffer_store_dword v4, v1, s[0:3], 0 offen offset:8
	;; [unrolled: 2-line block ×6, first 2 shown]
	s_waitcnt vmcnt(0)
	buffer_store_dword v57, v0, s[0:3], 0 offen
.LBB23_172:
	v_mov_b32_e32 v0, 0
	global_load_dword v1, v0, s[20:21] offset:60
	s_waitcnt vmcnt(0)
	v_add_nc_u32_e32 v1, -1, v1
	v_cmp_eq_u32_e32 vcc_lo, 15, v1
	s_cbranch_vccnz .LBB23_174
; %bb.173:
	v_lshlrev_b32_e32 v1, 4, v1
	v_mov_b32_e32 v2, s18
	v_add_nc_u32_e32 v1, 16, v1
	s_clause 0x7
	buffer_load_dword v3, v1, s[0:3], 0 offen
	buffer_load_dword v4, v1, s[0:3], 0 offen offset:4
	buffer_load_dword v5, v1, s[0:3], 0 offen offset:8
	;; [unrolled: 1-line block ×6, first 2 shown]
	buffer_load_dword v58, v2, s[0:3], 0 offen
	s_waitcnt vmcnt(7)
	buffer_store_dword v3, v2, s[0:3], 0 offen
	s_waitcnt vmcnt(6)
	buffer_store_dword v4, v2, s[0:3], 0 offen offset:4
	s_waitcnt vmcnt(5)
	buffer_store_dword v5, v2, s[0:3], 0 offen offset:8
	;; [unrolled: 2-line block ×6, first 2 shown]
	s_waitcnt vmcnt(0)
	buffer_store_dword v58, v1, s[0:3], 0 offen
.LBB23_174:
	global_load_dword v0, v0, s[20:21] offset:56
	s_waitcnt vmcnt(0)
	v_add_nc_u32_e32 v0, -1, v0
	v_cmp_eq_u32_e32 vcc_lo, 14, v0
	s_cbranch_vccnz .LBB23_176
; %bb.175:
	v_lshlrev_b32_e32 v0, 4, v0
	v_mov_b32_e32 v1, s19
	v_add_nc_u32_e32 v0, 16, v0
	s_clause 0x7
	buffer_load_dword v2, v0, s[0:3], 0 offen
	buffer_load_dword v3, v0, s[0:3], 0 offen offset:4
	buffer_load_dword v4, v0, s[0:3], 0 offen offset:8
	;; [unrolled: 1-line block ×6, first 2 shown]
	buffer_load_dword v57, v1, s[0:3], 0 offen
	s_waitcnt vmcnt(7)
	buffer_store_dword v2, v1, s[0:3], 0 offen
	s_waitcnt vmcnt(6)
	buffer_store_dword v3, v1, s[0:3], 0 offen offset:4
	s_waitcnt vmcnt(5)
	buffer_store_dword v4, v1, s[0:3], 0 offen offset:8
	;; [unrolled: 2-line block ×6, first 2 shown]
	s_waitcnt vmcnt(0)
	buffer_store_dword v57, v0, s[0:3], 0 offen
.LBB23_176:
	v_mov_b32_e32 v0, 0
	global_load_dword v1, v0, s[20:21] offset:52
	s_waitcnt vmcnt(0)
	v_add_nc_u32_e32 v1, -1, v1
	v_cmp_eq_u32_e32 vcc_lo, 13, v1
	s_cbranch_vccnz .LBB23_178
; %bb.177:
	v_lshlrev_b32_e32 v1, 4, v1
	v_mov_b32_e32 v2, s22
	v_add_nc_u32_e32 v1, 16, v1
	s_clause 0x7
	buffer_load_dword v3, v1, s[0:3], 0 offen
	buffer_load_dword v4, v1, s[0:3], 0 offen offset:4
	buffer_load_dword v5, v1, s[0:3], 0 offen offset:8
	;; [unrolled: 1-line block ×6, first 2 shown]
	buffer_load_dword v58, v2, s[0:3], 0 offen
	s_waitcnt vmcnt(7)
	buffer_store_dword v3, v2, s[0:3], 0 offen
	s_waitcnt vmcnt(6)
	buffer_store_dword v4, v2, s[0:3], 0 offen offset:4
	s_waitcnt vmcnt(5)
	buffer_store_dword v5, v2, s[0:3], 0 offen offset:8
	s_waitcnt vmcnt(4)
	buffer_store_dword v6, v2, s[0:3], 0 offen offset:12
	s_waitcnt vmcnt(3)
	buffer_store_dword v7, v1, s[0:3], 0 offen offset:12
	s_waitcnt vmcnt(2)
	buffer_store_dword v8, v1, s[0:3], 0 offen offset:8
	s_waitcnt vmcnt(1)
	buffer_store_dword v57, v1, s[0:3], 0 offen offset:4
	s_waitcnt vmcnt(0)
	buffer_store_dword v58, v1, s[0:3], 0 offen
.LBB23_178:
	global_load_dword v0, v0, s[20:21] offset:48
	s_waitcnt vmcnt(0)
	v_add_nc_u32_e32 v0, -1, v0
	v_cmp_eq_u32_e32 vcc_lo, 12, v0
	s_cbranch_vccnz .LBB23_180
; %bb.179:
	v_lshlrev_b32_e32 v0, 4, v0
	v_mov_b32_e32 v1, s23
	v_add_nc_u32_e32 v0, 16, v0
	s_clause 0x7
	buffer_load_dword v2, v0, s[0:3], 0 offen
	buffer_load_dword v3, v0, s[0:3], 0 offen offset:4
	buffer_load_dword v4, v0, s[0:3], 0 offen offset:8
	;; [unrolled: 1-line block ×6, first 2 shown]
	buffer_load_dword v57, v1, s[0:3], 0 offen
	s_waitcnt vmcnt(7)
	buffer_store_dword v2, v1, s[0:3], 0 offen
	s_waitcnt vmcnt(6)
	buffer_store_dword v3, v1, s[0:3], 0 offen offset:4
	s_waitcnt vmcnt(5)
	buffer_store_dword v4, v1, s[0:3], 0 offen offset:8
	;; [unrolled: 2-line block ×6, first 2 shown]
	s_waitcnt vmcnt(0)
	buffer_store_dword v57, v0, s[0:3], 0 offen
.LBB23_180:
	v_mov_b32_e32 v0, 0
	global_load_dword v1, v0, s[20:21] offset:44
	s_waitcnt vmcnt(0)
	v_add_nc_u32_e32 v1, -1, v1
	v_cmp_eq_u32_e32 vcc_lo, 11, v1
	s_cbranch_vccnz .LBB23_182
; %bb.181:
	v_lshlrev_b32_e32 v1, 4, v1
	v_mov_b32_e32 v2, s24
	v_add_nc_u32_e32 v1, 16, v1
	s_clause 0x7
	buffer_load_dword v3, v1, s[0:3], 0 offen
	buffer_load_dword v4, v1, s[0:3], 0 offen offset:4
	buffer_load_dword v5, v1, s[0:3], 0 offen offset:8
	;; [unrolled: 1-line block ×6, first 2 shown]
	buffer_load_dword v58, v2, s[0:3], 0 offen
	s_waitcnt vmcnt(7)
	buffer_store_dword v3, v2, s[0:3], 0 offen
	s_waitcnt vmcnt(6)
	buffer_store_dword v4, v2, s[0:3], 0 offen offset:4
	s_waitcnt vmcnt(5)
	buffer_store_dword v5, v2, s[0:3], 0 offen offset:8
	;; [unrolled: 2-line block ×6, first 2 shown]
	s_waitcnt vmcnt(0)
	buffer_store_dword v58, v1, s[0:3], 0 offen
.LBB23_182:
	global_load_dword v0, v0, s[20:21] offset:40
	s_waitcnt vmcnt(0)
	v_add_nc_u32_e32 v0, -1, v0
	v_cmp_eq_u32_e32 vcc_lo, 10, v0
	s_cbranch_vccnz .LBB23_184
; %bb.183:
	v_lshlrev_b32_e32 v0, 4, v0
	v_mov_b32_e32 v1, s25
	v_add_nc_u32_e32 v0, 16, v0
	s_clause 0x7
	buffer_load_dword v2, v0, s[0:3], 0 offen
	buffer_load_dword v3, v0, s[0:3], 0 offen offset:4
	buffer_load_dword v4, v0, s[0:3], 0 offen offset:8
	;; [unrolled: 1-line block ×6, first 2 shown]
	buffer_load_dword v57, v1, s[0:3], 0 offen
	s_waitcnt vmcnt(7)
	buffer_store_dword v2, v1, s[0:3], 0 offen
	s_waitcnt vmcnt(6)
	buffer_store_dword v3, v1, s[0:3], 0 offen offset:4
	s_waitcnt vmcnt(5)
	buffer_store_dword v4, v1, s[0:3], 0 offen offset:8
	;; [unrolled: 2-line block ×6, first 2 shown]
	s_waitcnt vmcnt(0)
	buffer_store_dword v57, v0, s[0:3], 0 offen
.LBB23_184:
	v_mov_b32_e32 v0, 0
	global_load_dword v1, v0, s[20:21] offset:36
	s_waitcnt vmcnt(0)
	v_add_nc_u32_e32 v1, -1, v1
	v_cmp_eq_u32_e32 vcc_lo, 9, v1
	s_cbranch_vccnz .LBB23_186
; %bb.185:
	v_lshlrev_b32_e32 v1, 4, v1
	v_mov_b32_e32 v2, s26
	v_add_nc_u32_e32 v1, 16, v1
	s_clause 0x7
	buffer_load_dword v3, v1, s[0:3], 0 offen
	buffer_load_dword v4, v1, s[0:3], 0 offen offset:4
	buffer_load_dword v5, v1, s[0:3], 0 offen offset:8
	buffer_load_dword v6, v1, s[0:3], 0 offen offset:12
	buffer_load_dword v7, v2, s[0:3], 0 offen offset:12
	buffer_load_dword v8, v2, s[0:3], 0 offen offset:8
	buffer_load_dword v57, v2, s[0:3], 0 offen offset:4
	buffer_load_dword v58, v2, s[0:3], 0 offen
	s_waitcnt vmcnt(7)
	buffer_store_dword v3, v2, s[0:3], 0 offen
	s_waitcnt vmcnt(6)
	buffer_store_dword v4, v2, s[0:3], 0 offen offset:4
	s_waitcnt vmcnt(5)
	buffer_store_dword v5, v2, s[0:3], 0 offen offset:8
	s_waitcnt vmcnt(4)
	buffer_store_dword v6, v2, s[0:3], 0 offen offset:12
	s_waitcnt vmcnt(3)
	buffer_store_dword v7, v1, s[0:3], 0 offen offset:12
	s_waitcnt vmcnt(2)
	buffer_store_dword v8, v1, s[0:3], 0 offen offset:8
	s_waitcnt vmcnt(1)
	buffer_store_dword v57, v1, s[0:3], 0 offen offset:4
	s_waitcnt vmcnt(0)
	buffer_store_dword v58, v1, s[0:3], 0 offen
.LBB23_186:
	global_load_dword v0, v0, s[20:21] offset:32
	s_waitcnt vmcnt(0)
	v_add_nc_u32_e32 v0, -1, v0
	v_cmp_eq_u32_e32 vcc_lo, 8, v0
	s_cbranch_vccnz .LBB23_188
; %bb.187:
	v_lshlrev_b32_e32 v0, 4, v0
	v_mov_b32_e32 v1, s27
	v_add_nc_u32_e32 v0, 16, v0
	s_clause 0x7
	buffer_load_dword v2, v0, s[0:3], 0 offen
	buffer_load_dword v3, v0, s[0:3], 0 offen offset:4
	buffer_load_dword v4, v0, s[0:3], 0 offen offset:8
	buffer_load_dword v5, v0, s[0:3], 0 offen offset:12
	buffer_load_dword v6, v1, s[0:3], 0 offen offset:12
	buffer_load_dword v7, v1, s[0:3], 0 offen offset:8
	buffer_load_dword v8, v1, s[0:3], 0 offen offset:4
	buffer_load_dword v57, v1, s[0:3], 0 offen
	s_waitcnt vmcnt(7)
	buffer_store_dword v2, v1, s[0:3], 0 offen
	s_waitcnt vmcnt(6)
	buffer_store_dword v3, v1, s[0:3], 0 offen offset:4
	s_waitcnt vmcnt(5)
	buffer_store_dword v4, v1, s[0:3], 0 offen offset:8
	;; [unrolled: 2-line block ×6, first 2 shown]
	s_waitcnt vmcnt(0)
	buffer_store_dword v57, v0, s[0:3], 0 offen
.LBB23_188:
	v_mov_b32_e32 v0, 0
	global_load_dword v1, v0, s[20:21] offset:28
	s_waitcnt vmcnt(0)
	v_add_nc_u32_e32 v1, -1, v1
	v_cmp_eq_u32_e32 vcc_lo, 7, v1
	s_cbranch_vccnz .LBB23_190
; %bb.189:
	v_lshlrev_b32_e32 v1, 4, v1
	v_mov_b32_e32 v2, s28
	v_add_nc_u32_e32 v1, 16, v1
	s_clause 0x7
	buffer_load_dword v3, v1, s[0:3], 0 offen
	buffer_load_dword v4, v1, s[0:3], 0 offen offset:4
	buffer_load_dword v5, v1, s[0:3], 0 offen offset:8
	;; [unrolled: 1-line block ×6, first 2 shown]
	buffer_load_dword v58, v2, s[0:3], 0 offen
	s_waitcnt vmcnt(7)
	buffer_store_dword v3, v2, s[0:3], 0 offen
	s_waitcnt vmcnt(6)
	buffer_store_dword v4, v2, s[0:3], 0 offen offset:4
	s_waitcnt vmcnt(5)
	buffer_store_dword v5, v2, s[0:3], 0 offen offset:8
	;; [unrolled: 2-line block ×6, first 2 shown]
	s_waitcnt vmcnt(0)
	buffer_store_dword v58, v1, s[0:3], 0 offen
.LBB23_190:
	global_load_dword v0, v0, s[20:21] offset:24
	s_waitcnt vmcnt(0)
	v_add_nc_u32_e32 v0, -1, v0
	v_cmp_eq_u32_e32 vcc_lo, 6, v0
	s_cbranch_vccnz .LBB23_192
; %bb.191:
	v_lshlrev_b32_e32 v0, 4, v0
	v_mov_b32_e32 v1, s29
	v_add_nc_u32_e32 v0, 16, v0
	s_clause 0x7
	buffer_load_dword v2, v0, s[0:3], 0 offen
	buffer_load_dword v3, v0, s[0:3], 0 offen offset:4
	buffer_load_dword v4, v0, s[0:3], 0 offen offset:8
	buffer_load_dword v5, v0, s[0:3], 0 offen offset:12
	buffer_load_dword v6, v1, s[0:3], 0 offen offset:12
	buffer_load_dword v7, v1, s[0:3], 0 offen offset:8
	buffer_load_dword v8, v1, s[0:3], 0 offen offset:4
	buffer_load_dword v57, v1, s[0:3], 0 offen
	s_waitcnt vmcnt(7)
	buffer_store_dword v2, v1, s[0:3], 0 offen
	s_waitcnt vmcnt(6)
	buffer_store_dword v3, v1, s[0:3], 0 offen offset:4
	s_waitcnt vmcnt(5)
	buffer_store_dword v4, v1, s[0:3], 0 offen offset:8
	;; [unrolled: 2-line block ×6, first 2 shown]
	s_waitcnt vmcnt(0)
	buffer_store_dword v57, v0, s[0:3], 0 offen
.LBB23_192:
	v_mov_b32_e32 v0, 0
	global_load_dword v1, v0, s[20:21] offset:20
	s_waitcnt vmcnt(0)
	v_add_nc_u32_e32 v1, -1, v1
	v_cmp_eq_u32_e32 vcc_lo, 5, v1
	s_cbranch_vccnz .LBB23_194
; %bb.193:
	v_lshlrev_b32_e32 v1, 4, v1
	v_mov_b32_e32 v2, s30
	v_add_nc_u32_e32 v1, 16, v1
	s_clause 0x7
	buffer_load_dword v3, v1, s[0:3], 0 offen
	buffer_load_dword v4, v1, s[0:3], 0 offen offset:4
	buffer_load_dword v5, v1, s[0:3], 0 offen offset:8
	buffer_load_dword v6, v1, s[0:3], 0 offen offset:12
	buffer_load_dword v7, v2, s[0:3], 0 offen offset:12
	buffer_load_dword v8, v2, s[0:3], 0 offen offset:8
	buffer_load_dword v57, v2, s[0:3], 0 offen offset:4
	buffer_load_dword v58, v2, s[0:3], 0 offen
	s_waitcnt vmcnt(7)
	buffer_store_dword v3, v2, s[0:3], 0 offen
	s_waitcnt vmcnt(6)
	buffer_store_dword v4, v2, s[0:3], 0 offen offset:4
	s_waitcnt vmcnt(5)
	buffer_store_dword v5, v2, s[0:3], 0 offen offset:8
	;; [unrolled: 2-line block ×6, first 2 shown]
	s_waitcnt vmcnt(0)
	buffer_store_dword v58, v1, s[0:3], 0 offen
.LBB23_194:
	global_load_dword v0, v0, s[20:21] offset:16
	s_waitcnt vmcnt(0)
	v_add_nc_u32_e32 v0, -1, v0
	v_cmp_eq_u32_e32 vcc_lo, 4, v0
	s_cbranch_vccnz .LBB23_196
; %bb.195:
	v_lshlrev_b32_e32 v0, 4, v0
	v_mov_b32_e32 v1, s31
	v_add_nc_u32_e32 v0, 16, v0
	s_clause 0x7
	buffer_load_dword v2, v0, s[0:3], 0 offen
	buffer_load_dword v3, v0, s[0:3], 0 offen offset:4
	buffer_load_dword v4, v0, s[0:3], 0 offen offset:8
	;; [unrolled: 1-line block ×6, first 2 shown]
	buffer_load_dword v57, v1, s[0:3], 0 offen
	s_waitcnt vmcnt(7)
	buffer_store_dword v2, v1, s[0:3], 0 offen
	s_waitcnt vmcnt(6)
	buffer_store_dword v3, v1, s[0:3], 0 offen offset:4
	s_waitcnt vmcnt(5)
	buffer_store_dword v4, v1, s[0:3], 0 offen offset:8
	;; [unrolled: 2-line block ×6, first 2 shown]
	s_waitcnt vmcnt(0)
	buffer_store_dword v57, v0, s[0:3], 0 offen
.LBB23_196:
	v_mov_b32_e32 v0, 0
	global_load_dword v1, v0, s[20:21] offset:12
	s_waitcnt vmcnt(0)
	v_add_nc_u32_e32 v1, -1, v1
	v_cmp_eq_u32_e32 vcc_lo, 3, v1
	s_cbranch_vccnz .LBB23_198
; %bb.197:
	v_lshlrev_b32_e32 v1, 4, v1
	v_mov_b32_e32 v2, s33
	v_add_nc_u32_e32 v1, 16, v1
	s_clause 0x7
	buffer_load_dword v3, v1, s[0:3], 0 offen
	buffer_load_dword v4, v1, s[0:3], 0 offen offset:4
	buffer_load_dword v5, v1, s[0:3], 0 offen offset:8
	;; [unrolled: 1-line block ×6, first 2 shown]
	buffer_load_dword v58, v2, s[0:3], 0 offen
	s_waitcnt vmcnt(7)
	buffer_store_dword v3, v2, s[0:3], 0 offen
	s_waitcnt vmcnt(6)
	buffer_store_dword v4, v2, s[0:3], 0 offen offset:4
	s_waitcnt vmcnt(5)
	buffer_store_dword v5, v2, s[0:3], 0 offen offset:8
	;; [unrolled: 2-line block ×6, first 2 shown]
	s_waitcnt vmcnt(0)
	buffer_store_dword v58, v1, s[0:3], 0 offen
.LBB23_198:
	global_load_dword v0, v0, s[20:21] offset:8
	s_waitcnt vmcnt(0)
	v_add_nc_u32_e32 v0, -1, v0
	v_cmp_eq_u32_e32 vcc_lo, 2, v0
	s_cbranch_vccnz .LBB23_200
; %bb.199:
	v_lshlrev_b32_e32 v0, 4, v0
	v_mov_b32_e32 v1, s35
	v_add_nc_u32_e32 v0, 16, v0
	s_clause 0x7
	buffer_load_dword v2, v0, s[0:3], 0 offen
	buffer_load_dword v3, v0, s[0:3], 0 offen offset:4
	buffer_load_dword v4, v0, s[0:3], 0 offen offset:8
	;; [unrolled: 1-line block ×6, first 2 shown]
	buffer_load_dword v57, v1, s[0:3], 0 offen
	s_waitcnt vmcnt(7)
	buffer_store_dword v2, v1, s[0:3], 0 offen
	s_waitcnt vmcnt(6)
	buffer_store_dword v3, v1, s[0:3], 0 offen offset:4
	s_waitcnt vmcnt(5)
	buffer_store_dword v4, v1, s[0:3], 0 offen offset:8
	;; [unrolled: 2-line block ×6, first 2 shown]
	s_waitcnt vmcnt(0)
	buffer_store_dword v57, v0, s[0:3], 0 offen
.LBB23_200:
	v_mov_b32_e32 v0, 0
	global_load_dword v1, v0, s[20:21] offset:4
	s_waitcnt vmcnt(0)
	v_add_nc_u32_e32 v1, -1, v1
	v_cmp_eq_u32_e32 vcc_lo, 1, v1
	s_cbranch_vccnz .LBB23_202
; %bb.201:
	v_lshlrev_b32_e32 v1, 4, v1
	v_mov_b32_e32 v2, s36
	v_add_nc_u32_e32 v1, 16, v1
	s_clause 0x7
	buffer_load_dword v3, v1, s[0:3], 0 offen
	buffer_load_dword v4, v1, s[0:3], 0 offen offset:4
	buffer_load_dword v5, v1, s[0:3], 0 offen offset:8
	;; [unrolled: 1-line block ×6, first 2 shown]
	buffer_load_dword v58, v2, s[0:3], 0 offen
	s_waitcnt vmcnt(7)
	buffer_store_dword v3, v2, s[0:3], 0 offen
	s_waitcnt vmcnt(6)
	buffer_store_dword v4, v2, s[0:3], 0 offen offset:4
	s_waitcnt vmcnt(5)
	buffer_store_dword v5, v2, s[0:3], 0 offen offset:8
	;; [unrolled: 2-line block ×6, first 2 shown]
	s_waitcnt vmcnt(0)
	buffer_store_dword v58, v1, s[0:3], 0 offen
.LBB23_202:
	global_load_dword v0, v0, s[20:21]
	s_waitcnt vmcnt(0)
	v_add_nc_u32_e32 v0, -1, v0
	v_cmp_eq_u32_e32 vcc_lo, 0, v0
	s_cbranch_vccnz .LBB23_204
; %bb.203:
	v_lshlrev_b32_e32 v0, 4, v0
	v_add_nc_u32_e32 v0, 16, v0
	s_clause 0x7
	buffer_load_dword v1, v0, s[0:3], 0 offen
	buffer_load_dword v2, v0, s[0:3], 0 offen offset:4
	buffer_load_dword v3, v0, s[0:3], 0 offen offset:8
	buffer_load_dword v4, v0, s[0:3], 0 offen offset:12
	buffer_load_dword v5, off, s[0:3], 0 offset:28
	buffer_load_dword v6, off, s[0:3], 0 offset:24
	;; [unrolled: 1-line block ×4, first 2 shown]
	s_waitcnt vmcnt(7)
	buffer_store_dword v1, off, s[0:3], 0 offset:16
	s_waitcnt vmcnt(6)
	buffer_store_dword v2, off, s[0:3], 0 offset:20
	;; [unrolled: 2-line block ×4, first 2 shown]
	s_waitcnt vmcnt(3)
	buffer_store_dword v5, v0, s[0:3], 0 offen offset:12
	s_waitcnt vmcnt(2)
	buffer_store_dword v6, v0, s[0:3], 0 offen offset:8
	;; [unrolled: 2-line block ×3, first 2 shown]
	s_waitcnt vmcnt(0)
	buffer_store_dword v8, v0, s[0:3], 0 offen
.LBB23_204:
	s_clause 0x3
	buffer_load_dword v0, off, s[0:3], 0 offset:16
	buffer_load_dword v1, off, s[0:3], 0 offset:20
	;; [unrolled: 1-line block ×4, first 2 shown]
	v_mov_b32_e32 v7, s36
	v_mov_b32_e32 v137, s9
	;; [unrolled: 1-line block ×23, first 2 shown]
	s_clause 0x3e
	buffer_load_dword v4, v7, s[0:3], 0 offen
	buffer_load_dword v5, v7, s[0:3], 0 offen offset:4
	buffer_load_dword v6, v7, s[0:3], 0 offen offset:8
	buffer_load_dword v7, v7, s[0:3], 0 offen offset:12
	buffer_load_dword v57, v8, s[0:3], 0 offen
	buffer_load_dword v58, v8, s[0:3], 0 offen offset:4
	buffer_load_dword v59, v8, s[0:3], 0 offen offset:8
	buffer_load_dword v60, v8, s[0:3], 0 offen offset:12
	;; [unrolled: 4-line block ×15, first 2 shown]
	buffer_load_dword v113, v116, s[0:3], 0 offen
	buffer_load_dword v114, v116, s[0:3], 0 offen offset:4
	buffer_load_dword v115, v116, s[0:3], 0 offen offset:8
	s_clause 0x14
	buffer_load_dword v116, v116, s[0:3], 0 offen offset:12
	buffer_load_dword v117, v120, s[0:3], 0 offen
	buffer_load_dword v118, v120, s[0:3], 0 offen offset:4
	buffer_load_dword v119, v120, s[0:3], 0 offen offset:8
	buffer_load_dword v120, v120, s[0:3], 0 offen offset:12
	buffer_load_dword v121, v124, s[0:3], 0 offen
	buffer_load_dword v122, v124, s[0:3], 0 offen offset:4
	buffer_load_dword v123, v124, s[0:3], 0 offen offset:8
	;; [unrolled: 4-line block ×5, first 2 shown]
	buffer_load_dword v136, v136, s[0:3], 0 offen offset:12
	s_waitcnt vmcnt(62)
	global_store_dwordx4 v[9:10], v[0:3], off
	s_clause 0x7
	buffer_load_dword v0, v137, s[0:3], 0 offen
	buffer_load_dword v1, v137, s[0:3], 0 offen offset:4
	buffer_load_dword v2, v137, s[0:3], 0 offen offset:8
	;; [unrolled: 1-line block ×3, first 2 shown]
	buffer_load_dword v137, v140, s[0:3], 0 offen
	buffer_load_dword v138, v140, s[0:3], 0 offen offset:4
	buffer_load_dword v139, v140, s[0:3], 0 offen offset:8
	;; [unrolled: 1-line block ×3, first 2 shown]
	global_store_dwordx4 v[11:12], v[4:7], off
	global_store_dwordx4 v[13:14], v[57:60], off
	;; [unrolled: 1-line block ×5, first 2 shown]
	s_waitcnt vmcnt(62)
	global_store_dwordx4 v[21:22], v[73:76], off
	global_store_dwordx4 v[23:24], v[77:80], off
	s_waitcnt vmcnt(60)
	global_store_dwordx4 v[25:26], v[81:84], off
	s_waitcnt vmcnt(56)
	;; [unrolled: 2-line block ×16, first 2 shown]
	global_store_dwordx4 v[55:56], v[137:140], off
	s_endpgm
	.section	.rodata,"a",@progbits
	.p2align	6, 0x0
	.amdhsa_kernel _ZN9rocsolver6v33100L18getri_kernel_smallILi24E19rocblas_complex_numIdEPS3_EEvT1_iilPiilS6_bb
		.amdhsa_group_segment_fixed_size 776
		.amdhsa_private_segment_fixed_size 416
		.amdhsa_kernarg_size 60
		.amdhsa_user_sgpr_count 6
		.amdhsa_user_sgpr_private_segment_buffer 1
		.amdhsa_user_sgpr_dispatch_ptr 0
		.amdhsa_user_sgpr_queue_ptr 0
		.amdhsa_user_sgpr_kernarg_segment_ptr 1
		.amdhsa_user_sgpr_dispatch_id 0
		.amdhsa_user_sgpr_flat_scratch_init 0
		.amdhsa_user_sgpr_private_segment_size 0
		.amdhsa_wavefront_size32 1
		.amdhsa_uses_dynamic_stack 0
		.amdhsa_system_sgpr_private_segment_wavefront_offset 1
		.amdhsa_system_sgpr_workgroup_id_x 1
		.amdhsa_system_sgpr_workgroup_id_y 0
		.amdhsa_system_sgpr_workgroup_id_z 0
		.amdhsa_system_sgpr_workgroup_info 0
		.amdhsa_system_vgpr_workitem_id 0
		.amdhsa_next_free_vgpr 141
		.amdhsa_next_free_sgpr 47
		.amdhsa_reserve_vcc 1
		.amdhsa_reserve_flat_scratch 0
		.amdhsa_float_round_mode_32 0
		.amdhsa_float_round_mode_16_64 0
		.amdhsa_float_denorm_mode_32 3
		.amdhsa_float_denorm_mode_16_64 3
		.amdhsa_dx10_clamp 1
		.amdhsa_ieee_mode 1
		.amdhsa_fp16_overflow 0
		.amdhsa_workgroup_processor_mode 1
		.amdhsa_memory_ordered 1
		.amdhsa_forward_progress 1
		.amdhsa_shared_vgpr_count 0
		.amdhsa_exception_fp_ieee_invalid_op 0
		.amdhsa_exception_fp_denorm_src 0
		.amdhsa_exception_fp_ieee_div_zero 0
		.amdhsa_exception_fp_ieee_overflow 0
		.amdhsa_exception_fp_ieee_underflow 0
		.amdhsa_exception_fp_ieee_inexact 0
		.amdhsa_exception_int_div_zero 0
	.end_amdhsa_kernel
	.section	.text._ZN9rocsolver6v33100L18getri_kernel_smallILi24E19rocblas_complex_numIdEPS3_EEvT1_iilPiilS6_bb,"axG",@progbits,_ZN9rocsolver6v33100L18getri_kernel_smallILi24E19rocblas_complex_numIdEPS3_EEvT1_iilPiilS6_bb,comdat
.Lfunc_end23:
	.size	_ZN9rocsolver6v33100L18getri_kernel_smallILi24E19rocblas_complex_numIdEPS3_EEvT1_iilPiilS6_bb, .Lfunc_end23-_ZN9rocsolver6v33100L18getri_kernel_smallILi24E19rocblas_complex_numIdEPS3_EEvT1_iilPiilS6_bb
                                        ; -- End function
	.set _ZN9rocsolver6v33100L18getri_kernel_smallILi24E19rocblas_complex_numIdEPS3_EEvT1_iilPiilS6_bb.num_vgpr, 141
	.set _ZN9rocsolver6v33100L18getri_kernel_smallILi24E19rocblas_complex_numIdEPS3_EEvT1_iilPiilS6_bb.num_agpr, 0
	.set _ZN9rocsolver6v33100L18getri_kernel_smallILi24E19rocblas_complex_numIdEPS3_EEvT1_iilPiilS6_bb.numbered_sgpr, 47
	.set _ZN9rocsolver6v33100L18getri_kernel_smallILi24E19rocblas_complex_numIdEPS3_EEvT1_iilPiilS6_bb.num_named_barrier, 0
	.set _ZN9rocsolver6v33100L18getri_kernel_smallILi24E19rocblas_complex_numIdEPS3_EEvT1_iilPiilS6_bb.private_seg_size, 416
	.set _ZN9rocsolver6v33100L18getri_kernel_smallILi24E19rocblas_complex_numIdEPS3_EEvT1_iilPiilS6_bb.uses_vcc, 1
	.set _ZN9rocsolver6v33100L18getri_kernel_smallILi24E19rocblas_complex_numIdEPS3_EEvT1_iilPiilS6_bb.uses_flat_scratch, 0
	.set _ZN9rocsolver6v33100L18getri_kernel_smallILi24E19rocblas_complex_numIdEPS3_EEvT1_iilPiilS6_bb.has_dyn_sized_stack, 0
	.set _ZN9rocsolver6v33100L18getri_kernel_smallILi24E19rocblas_complex_numIdEPS3_EEvT1_iilPiilS6_bb.has_recursion, 0
	.set _ZN9rocsolver6v33100L18getri_kernel_smallILi24E19rocblas_complex_numIdEPS3_EEvT1_iilPiilS6_bb.has_indirect_call, 0
	.section	.AMDGPU.csdata,"",@progbits
; Kernel info:
; codeLenInByte = 49352
; TotalNumSgprs: 49
; NumVgprs: 141
; ScratchSize: 416
; MemoryBound: 0
; FloatMode: 240
; IeeeMode: 1
; LDSByteSize: 776 bytes/workgroup (compile time only)
; SGPRBlocks: 0
; VGPRBlocks: 17
; NumSGPRsForWavesPerEU: 49
; NumVGPRsForWavesPerEU: 141
; Occupancy: 7
; WaveLimiterHint : 1
; COMPUTE_PGM_RSRC2:SCRATCH_EN: 1
; COMPUTE_PGM_RSRC2:USER_SGPR: 6
; COMPUTE_PGM_RSRC2:TRAP_HANDLER: 0
; COMPUTE_PGM_RSRC2:TGID_X_EN: 1
; COMPUTE_PGM_RSRC2:TGID_Y_EN: 0
; COMPUTE_PGM_RSRC2:TGID_Z_EN: 0
; COMPUTE_PGM_RSRC2:TIDIG_COMP_CNT: 0
	.section	.text._ZN9rocsolver6v33100L18getri_kernel_smallILi25E19rocblas_complex_numIdEPS3_EEvT1_iilPiilS6_bb,"axG",@progbits,_ZN9rocsolver6v33100L18getri_kernel_smallILi25E19rocblas_complex_numIdEPS3_EEvT1_iilPiilS6_bb,comdat
	.globl	_ZN9rocsolver6v33100L18getri_kernel_smallILi25E19rocblas_complex_numIdEPS3_EEvT1_iilPiilS6_bb ; -- Begin function _ZN9rocsolver6v33100L18getri_kernel_smallILi25E19rocblas_complex_numIdEPS3_EEvT1_iilPiilS6_bb
	.p2align	8
	.type	_ZN9rocsolver6v33100L18getri_kernel_smallILi25E19rocblas_complex_numIdEPS3_EEvT1_iilPiilS6_bb,@function
_ZN9rocsolver6v33100L18getri_kernel_smallILi25E19rocblas_complex_numIdEPS3_EEvT1_iilPiilS6_bb: ; @_ZN9rocsolver6v33100L18getri_kernel_smallILi25E19rocblas_complex_numIdEPS3_EEvT1_iilPiilS6_bb
; %bb.0:
	s_add_u32 s0, s0, s7
	s_addc_u32 s1, s1, 0
	s_mov_b32 s7, exec_lo
	v_cmpx_gt_u32_e32 25, v0
	s_cbranch_execz .LBB24_114
; %bb.1:
	s_clause 0x2
	s_load_dword s7, s[4:5], 0x38
	s_load_dwordx4 s[16:19], s[4:5], 0x10
	s_load_dwordx4 s[8:11], s[4:5], 0x28
                                        ; implicit-def: $sgpr20_sgpr21
	s_waitcnt lgkmcnt(0)
	s_bitcmp1_b32 s7, 8
	s_cselect_b32 s34, -1, 0
	s_bfe_u32 s12, s7, 0x10008
	s_ashr_i32 s7, s6, 31
	s_cmp_eq_u32 s12, 0
	s_cbranch_scc1 .LBB24_3
; %bb.2:
	s_load_dword s12, s[4:5], 0x20
	s_mul_i32 s13, s8, s7
	s_mul_hi_u32 s14, s8, s6
	s_mul_i32 s9, s9, s6
	s_add_i32 s13, s14, s13
	s_mul_i32 s8, s8, s6
	s_add_i32 s9, s13, s9
	s_lshl_b64 s[8:9], s[8:9], 2
	s_waitcnt lgkmcnt(0)
	s_ashr_i32 s13, s12, 31
	s_add_u32 s14, s18, s8
	s_addc_u32 s15, s19, s9
	s_lshl_b64 s[8:9], s[12:13], 2
	s_add_u32 s20, s14, s8
	s_addc_u32 s21, s15, s9
.LBB24_3:
	s_clause 0x1
	s_load_dwordx4 s[12:15], s[4:5], 0x0
	s_load_dword s38, s[4:5], 0x38
	s_mul_i32 s4, s16, s7
	s_mul_hi_u32 s5, s16, s6
	s_mul_i32 s8, s17, s6
	s_add_i32 s5, s5, s4
	s_mul_i32 s4, s16, s6
	s_add_i32 s5, s5, s8
	v_lshlrev_b32_e32 v61, 4, v0
	s_lshl_b64 s[4:5], s[4:5], 4
	s_movk_i32 s16, 0xc0
	s_movk_i32 s17, 0xd0
	;; [unrolled: 1-line block ×10, first 2 shown]
	s_waitcnt lgkmcnt(0)
	v_add3_u32 v11, s15, s15, v0
	s_ashr_i32 s9, s14, 31
	s_mov_b32 s8, s14
	s_add_u32 s12, s12, s4
	s_addc_u32 s13, s13, s5
	s_lshl_b64 s[4:5], s[8:9], 4
	v_ashrrev_i32_e32 v12, 31, v11
	s_add_u32 s4, s12, s4
	s_addc_u32 s5, s13, s5
	v_add_co_u32 v5, s12, s4, v61
	s_mov_b32 s8, s15
	s_ashr_i32 s9, s15, 31
	v_lshlrev_b64 v[9:10], 4, v[11:12]
	v_add_co_ci_u32_e64 v6, null, s5, 0, s12
	s_lshl_b64 s[8:9], s[8:9], 4
	global_load_dwordx4 v[1:4], v61, s[4:5]
	v_add_co_u32 v7, vcc_lo, v5, s8
	v_add_co_ci_u32_e64 v8, null, s9, v6, vcc_lo
	v_add_co_u32 v9, vcc_lo, s4, v9
	v_add_co_ci_u32_e64 v10, null, s5, v10, vcc_lo
	s_clause 0x1
	global_load_dwordx4 v[55:58], v[7:8], off
	global_load_dwordx4 v[62:65], v[9:10], off
	v_add_nc_u32_e32 v11, s15, v11
	s_movk_i32 s8, 0x60
	s_movk_i32 s9, 0x70
	;; [unrolled: 1-line block ×4, first 2 shown]
	v_add_nc_u32_e32 v13, s15, v11
	v_ashrrev_i32_e32 v12, 31, v11
	s_movk_i32 s14, 0xa0
	s_movk_i32 s45, 0x160
	s_movk_i32 s46, 0x170
	v_add_nc_u32_e32 v15, s15, v13
	v_ashrrev_i32_e32 v14, 31, v13
	v_lshlrev_b64 v[11:12], 4, v[11:12]
	s_movk_i32 s47, 0x180
	s_add_i32 s30, s8, 16
	v_add_nc_u32_e32 v17, s15, v15
	v_ashrrev_i32_e32 v16, 31, v15
	v_lshlrev_b64 v[13:14], 4, v[13:14]
	v_add_co_u32 v11, vcc_lo, s4, v11
	v_add_nc_u32_e32 v19, s15, v17
	v_ashrrev_i32_e32 v18, 31, v17
	v_lshlrev_b64 v[15:16], 4, v[15:16]
	v_add_co_ci_u32_e64 v12, null, s5, v12, vcc_lo
	v_add_nc_u32_e32 v21, s15, v19
	v_ashrrev_i32_e32 v20, 31, v19
	v_lshlrev_b64 v[17:18], 4, v[17:18]
	v_add_co_u32 v13, vcc_lo, s4, v13
	v_add_nc_u32_e32 v23, s15, v21
	v_ashrrev_i32_e32 v22, 31, v21
	v_lshlrev_b64 v[19:20], 4, v[19:20]
	v_add_co_ci_u32_e64 v14, null, s5, v14, vcc_lo
	v_add_nc_u32_e32 v25, s15, v23
	v_ashrrev_i32_e32 v24, 31, v23
	v_add_co_u32 v15, vcc_lo, s4, v15
	v_lshlrev_b64 v[21:22], 4, v[21:22]
	v_add_nc_u32_e32 v27, s15, v25
	v_ashrrev_i32_e32 v26, 31, v25
	v_add_co_ci_u32_e64 v16, null, s5, v16, vcc_lo
	v_add_co_u32 v17, vcc_lo, s4, v17
	v_add_nc_u32_e32 v29, s15, v27
	v_ashrrev_i32_e32 v28, 31, v27
	v_lshlrev_b64 v[23:24], 4, v[23:24]
	v_add_co_ci_u32_e64 v18, null, s5, v18, vcc_lo
	v_add_nc_u32_e32 v31, s15, v29
	v_ashrrev_i32_e32 v30, 31, v29
	v_add_co_u32 v19, vcc_lo, s4, v19
	v_lshlrev_b64 v[25:26], 4, v[25:26]
	v_add_nc_u32_e32 v33, s15, v31
	v_ashrrev_i32_e32 v32, 31, v31
	v_add_co_ci_u32_e64 v20, null, s5, v20, vcc_lo
	v_add_co_u32 v21, vcc_lo, s4, v21
	v_add_nc_u32_e32 v35, s15, v33
	v_lshlrev_b64 v[27:28], 4, v[27:28]
	v_ashrrev_i32_e32 v34, 31, v33
	v_add_co_ci_u32_e64 v22, null, s5, v22, vcc_lo
	v_add_nc_u32_e32 v37, s15, v35
	v_add_co_u32 v23, vcc_lo, s4, v23
	v_lshlrev_b64 v[29:30], 4, v[29:30]
	v_ashrrev_i32_e32 v36, 31, v35
	v_add_nc_u32_e32 v39, s15, v37
	v_add_co_ci_u32_e64 v24, null, s5, v24, vcc_lo
	v_add_co_u32 v25, vcc_lo, s4, v25
	v_add_nc_u32_e32 v41, s15, v39
	v_lshlrev_b64 v[31:32], 4, v[31:32]
	v_ashrrev_i32_e32 v38, 31, v37
	v_add_co_ci_u32_e64 v26, null, s5, v26, vcc_lo
	v_add_nc_u32_e32 v43, s15, v41
	v_add_co_u32 v27, vcc_lo, s4, v27
	v_lshlrev_b64 v[33:34], 4, v[33:34]
	v_ashrrev_i32_e32 v40, 31, v39
	v_add_co_ci_u32_e64 v28, null, s5, v28, vcc_lo
	v_add_co_u32 v29, vcc_lo, s4, v29
	v_lshlrev_b64 v[35:36], 4, v[35:36]
	v_add_nc_u32_e32 v45, s15, v43
	v_ashrrev_i32_e32 v42, 31, v41
	v_add_co_ci_u32_e64 v30, null, s5, v30, vcc_lo
	v_add_co_u32 v31, vcc_lo, s4, v31
	v_lshlrev_b64 v[37:38], 4, v[37:38]
	v_ashrrev_i32_e32 v44, 31, v43
	v_add_co_ci_u32_e64 v32, null, s5, v32, vcc_lo
	v_add_co_u32 v33, vcc_lo, s4, v33
	v_lshlrev_b64 v[39:40], 4, v[39:40]
	;; [unrolled: 4-line block ×3, first 2 shown]
	v_add_co_ci_u32_e64 v36, null, s5, v36, vcc_lo
	v_add_co_u32 v37, vcc_lo, s4, v37
	v_lshlrev_b64 v[43:44], 4, v[43:44]
	v_add_co_ci_u32_e64 v38, null, s5, v38, vcc_lo
	v_add_co_u32 v39, vcc_lo, s4, v39
	v_add_nc_u32_e32 v47, s15, v45
	v_lshlrev_b64 v[45:46], 4, v[45:46]
	v_add_co_ci_u32_e64 v40, null, s5, v40, vcc_lo
	v_add_co_u32 v41, vcc_lo, s4, v41
	v_add_co_ci_u32_e64 v42, null, s5, v42, vcc_lo
	v_add_co_u32 v43, vcc_lo, s4, v43
	;; [unrolled: 2-line block ×3, first 2 shown]
	v_add_co_ci_u32_e64 v46, null, s5, v46, vcc_lo
	s_clause 0x11
	global_load_dwordx4 v[66:69], v[11:12], off
	global_load_dwordx4 v[70:73], v[13:14], off
	;; [unrolled: 1-line block ×18, first 2 shown]
	v_add_nc_u32_e32 v49, s15, v47
	v_ashrrev_i32_e32 v48, 31, v47
	s_add_i32 s29, s9, 16
	s_add_i32 s28, s12, 16
	;; [unrolled: 1-line block ×3, first 2 shown]
	v_add_nc_u32_e32 v51, s15, v49
	v_ashrrev_i32_e32 v50, 31, v49
	v_lshlrev_b64 v[47:48], 4, v[47:48]
	s_add_i32 s26, s14, 16
	s_add_i32 s24, s16, 16
	v_add_nc_u32_e32 v53, s15, v51
	v_ashrrev_i32_e32 v52, 31, v51
	v_lshlrev_b64 v[49:50], 4, v[49:50]
	v_add_co_u32 v47, vcc_lo, s4, v47
	v_ashrrev_i32_e32 v54, 31, v53
	v_add_co_ci_u32_e64 v48, null, s5, v48, vcc_lo
	v_lshlrev_b64 v[59:60], 4, v[51:52]
	v_add_co_u32 v51, vcc_lo, s4, v49
	v_add_co_ci_u32_e64 v52, null, s5, v50, vcc_lo
	v_lshlrev_b64 v[49:50], 4, v[53:54]
	global_load_dwordx4 v[138:141], v[47:48], off
	v_add_co_u32 v53, vcc_lo, s4, v59
	v_add_co_ci_u32_e64 v54, null, s5, v60, vcc_lo
	v_add_co_u32 v49, vcc_lo, s4, v49
	v_add_co_ci_u32_e64 v50, null, s5, v50, vcc_lo
	s_movk_i32 s4, 0x50
	s_movk_i32 s15, 0xb0
	s_add_i32 s31, s4, 16
	s_add_i32 s25, s15, 16
	;; [unrolled: 1-line block ×14, first 2 shown]
	s_mov_b32 s5, -1
	s_mov_b32 s37, 32
	s_mov_b32 s36, 48
	;; [unrolled: 1-line block ×3, first 2 shown]
	s_movk_i32 s33, 0x50
	s_bitcmp0_b32 s38, 0
	s_waitcnt vmcnt(21)
	buffer_store_dword v4, off, s[0:3], 0 offset:28
	buffer_store_dword v3, off, s[0:3], 0 offset:24
	buffer_store_dword v2, off, s[0:3], 0 offset:20
	buffer_store_dword v1, off, s[0:3], 0 offset:16
	global_load_dwordx4 v[1:4], v[51:52], off
	s_waitcnt vmcnt(21)
	buffer_store_dword v58, off, s[0:3], 0 offset:44
	buffer_store_dword v57, off, s[0:3], 0 offset:40
	buffer_store_dword v56, off, s[0:3], 0 offset:36
	buffer_store_dword v55, off, s[0:3], 0 offset:32
	global_load_dwordx4 v[55:58], v[53:54], off
	;; [unrolled: 6-line block ×3, first 2 shown]
	s_waitcnt vmcnt(21)
	buffer_store_dword v69, off, s[0:3], 0 offset:76
	buffer_store_dword v68, off, s[0:3], 0 offset:72
	buffer_store_dword v67, off, s[0:3], 0 offset:68
	buffer_store_dword v66, off, s[0:3], 0 offset:64
	s_waitcnt vmcnt(20)
	buffer_store_dword v73, off, s[0:3], 0 offset:92
	buffer_store_dword v72, off, s[0:3], 0 offset:88
	buffer_store_dword v71, off, s[0:3], 0 offset:84
	buffer_store_dword v70, off, s[0:3], 0 offset:80
	;; [unrolled: 5-line block ×22, first 2 shown]
	s_cbranch_scc1 .LBB24_112
; %bb.4:
	v_cmp_eq_u32_e64 s4, 0, v0
	s_and_saveexec_b32 s5, s4
; %bb.5:
	v_mov_b32_e32 v1, 0
	ds_write_b32 v1, v1 offset:800
; %bb.6:
	s_or_b32 exec_lo, exec_lo, s5
	v_lshl_add_u32 v62, v0, 4, 16
	s_waitcnt lgkmcnt(0)
	s_waitcnt_vscnt null, 0x0
	s_barrier
	buffer_gl0_inv
	s_clause 0x3
	buffer_load_dword v1, v62, s[0:3], 0 offen
	buffer_load_dword v2, v62, s[0:3], 0 offen offset:4
	buffer_load_dword v3, v62, s[0:3], 0 offen offset:8
	;; [unrolled: 1-line block ×3, first 2 shown]
	s_waitcnt vmcnt(2)
	v_cmp_eq_f64_e32 vcc_lo, 0, v[1:2]
	s_waitcnt vmcnt(0)
	v_cmp_eq_f64_e64 s5, 0, v[3:4]
	s_and_b32 s5, vcc_lo, s5
	s_and_saveexec_b32 s38, s5
	s_cbranch_execz .LBB24_10
; %bb.7:
	v_mov_b32_e32 v1, 0
	s_mov_b32 s39, 0
	ds_read_b32 v2, v1 offset:800
	s_waitcnt lgkmcnt(0)
	v_readfirstlane_b32 s5, v2
	v_add_nc_u32_e32 v2, 1, v0
	s_cmp_eq_u32 s5, 0
	v_cmp_gt_i32_e32 vcc_lo, s5, v2
	s_cselect_b32 s40, -1, 0
	s_or_b32 s40, s40, vcc_lo
	s_and_b32 exec_lo, exec_lo, s40
	s_cbranch_execz .LBB24_10
; %bb.8:
	v_mov_b32_e32 v3, s5
.LBB24_9:                               ; =>This Inner Loop Header: Depth=1
	ds_cmpst_rtn_b32 v3, v1, v3, v2 offset:800
	s_waitcnt lgkmcnt(0)
	v_cmp_ne_u32_e32 vcc_lo, 0, v3
	v_cmp_le_i32_e64 s5, v3, v2
	s_and_b32 s5, vcc_lo, s5
	s_and_b32 s5, exec_lo, s5
	s_or_b32 s39, s5, s39
	s_andn2_b32 exec_lo, exec_lo, s39
	s_cbranch_execnz .LBB24_9
.LBB24_10:
	s_or_b32 exec_lo, exec_lo, s38
	v_mov_b32_e32 v1, 0
	s_barrier
	buffer_gl0_inv
	ds_read_b32 v2, v1 offset:800
	s_and_saveexec_b32 s5, s4
	s_cbranch_execz .LBB24_12
; %bb.11:
	s_lshl_b64 s[38:39], s[6:7], 2
	s_add_u32 s38, s10, s38
	s_addc_u32 s39, s11, s39
	s_waitcnt lgkmcnt(0)
	global_store_dword v1, v2, s[38:39]
.LBB24_12:
	s_or_b32 exec_lo, exec_lo, s5
	s_waitcnt lgkmcnt(0)
	v_cmp_ne_u32_e32 vcc_lo, 0, v2
	s_mov_b32 s5, 0
	s_cbranch_vccnz .LBB24_112
; %bb.13:
	s_clause 0x3
	buffer_load_dword v57, v62, s[0:3], 0 offen
	buffer_load_dword v58, v62, s[0:3], 0 offen offset:4
	buffer_load_dword v59, v62, s[0:3], 0 offen offset:8
	;; [unrolled: 1-line block ×3, first 2 shown]
                                        ; implicit-def: $vgpr55_vgpr56
                                        ; implicit-def: $vgpr3_vgpr4
	s_waitcnt vmcnt(0)
	v_cmp_ngt_f64_e64 s5, |v[57:58]|, |v[59:60]|
	s_and_saveexec_b32 s38, s5
	s_xor_b32 s5, exec_lo, s38
	s_cbranch_execz .LBB24_15
; %bb.14:
	v_div_scale_f64 v[1:2], null, v[59:60], v[59:60], v[57:58]
	v_div_scale_f64 v[63:64], vcc_lo, v[57:58], v[59:60], v[57:58]
	v_rcp_f64_e32 v[3:4], v[1:2]
	v_fma_f64 v[55:56], -v[1:2], v[3:4], 1.0
	v_fma_f64 v[3:4], v[3:4], v[55:56], v[3:4]
	v_fma_f64 v[55:56], -v[1:2], v[3:4], 1.0
	v_fma_f64 v[3:4], v[3:4], v[55:56], v[3:4]
	v_mul_f64 v[55:56], v[63:64], v[3:4]
	v_fma_f64 v[1:2], -v[1:2], v[55:56], v[63:64]
	v_div_fmas_f64 v[1:2], v[1:2], v[3:4], v[55:56]
	v_div_fixup_f64 v[1:2], v[1:2], v[59:60], v[57:58]
	v_fma_f64 v[3:4], v[57:58], v[1:2], v[59:60]
	v_div_scale_f64 v[55:56], null, v[3:4], v[3:4], 1.0
	v_div_scale_f64 v[63:64], vcc_lo, 1.0, v[3:4], 1.0
	v_rcp_f64_e32 v[57:58], v[55:56]
	v_fma_f64 v[59:60], -v[55:56], v[57:58], 1.0
	v_fma_f64 v[57:58], v[57:58], v[59:60], v[57:58]
	v_fma_f64 v[59:60], -v[55:56], v[57:58], 1.0
	v_fma_f64 v[57:58], v[57:58], v[59:60], v[57:58]
	v_mul_f64 v[59:60], v[63:64], v[57:58]
	v_fma_f64 v[55:56], -v[55:56], v[59:60], v[63:64]
	v_div_fmas_f64 v[55:56], v[55:56], v[57:58], v[59:60]
                                        ; implicit-def: $vgpr57_vgpr58
                                        ; implicit-def: $vgpr59_vgpr60
	v_div_fixup_f64 v[3:4], v[55:56], v[3:4], 1.0
	v_mul_f64 v[55:56], v[1:2], v[3:4]
	v_xor_b32_e32 v4, 0x80000000, v4
	v_xor_b32_e32 v2, 0x80000000, v56
	v_mov_b32_e32 v1, v55
.LBB24_15:
	s_andn2_saveexec_b32 s5, s5
	s_cbranch_execz .LBB24_17
; %bb.16:
	v_div_scale_f64 v[1:2], null, v[57:58], v[57:58], v[59:60]
	v_div_scale_f64 v[63:64], vcc_lo, v[59:60], v[57:58], v[59:60]
	v_rcp_f64_e32 v[3:4], v[1:2]
	v_fma_f64 v[55:56], -v[1:2], v[3:4], 1.0
	v_fma_f64 v[3:4], v[3:4], v[55:56], v[3:4]
	v_fma_f64 v[55:56], -v[1:2], v[3:4], 1.0
	v_fma_f64 v[3:4], v[3:4], v[55:56], v[3:4]
	v_mul_f64 v[55:56], v[63:64], v[3:4]
	v_fma_f64 v[1:2], -v[1:2], v[55:56], v[63:64]
	v_div_fmas_f64 v[1:2], v[1:2], v[3:4], v[55:56]
	v_div_fixup_f64 v[1:2], v[1:2], v[57:58], v[59:60]
	v_fma_f64 v[3:4], v[59:60], v[1:2], v[57:58]
	v_div_scale_f64 v[55:56], null, v[3:4], v[3:4], 1.0
	v_rcp_f64_e32 v[57:58], v[55:56]
	v_fma_f64 v[59:60], -v[55:56], v[57:58], 1.0
	v_fma_f64 v[57:58], v[57:58], v[59:60], v[57:58]
	v_fma_f64 v[59:60], -v[55:56], v[57:58], 1.0
	v_fma_f64 v[57:58], v[57:58], v[59:60], v[57:58]
	v_div_scale_f64 v[59:60], vcc_lo, 1.0, v[3:4], 1.0
	v_mul_f64 v[63:64], v[59:60], v[57:58]
	v_fma_f64 v[55:56], -v[55:56], v[63:64], v[59:60]
	v_div_fmas_f64 v[55:56], v[55:56], v[57:58], v[63:64]
	v_div_fixup_f64 v[55:56], v[55:56], v[3:4], 1.0
	v_mul_f64 v[3:4], v[1:2], -v[55:56]
	v_xor_b32_e32 v2, 0x80000000, v56
	v_mov_b32_e32 v1, v55
.LBB24_17:
	s_or_b32 exec_lo, exec_lo, s5
	v_mov_b32_e32 v60, s37
	buffer_store_dword v56, v62, s[0:3], 0 offen offset:4
	buffer_store_dword v55, v62, s[0:3], 0 offen
	buffer_store_dword v4, v62, s[0:3], 0 offen offset:12
	buffer_store_dword v3, v62, s[0:3], 0 offen offset:8
	v_xor_b32_e32 v4, 0x80000000, v4
	v_add_nc_u32_e32 v55, 0x190, v61
	s_clause 0x3
	buffer_load_dword v59, v60, s[0:3], 0 offen offset:12
	buffer_load_dword v58, v60, s[0:3], 0 offen offset:8
	buffer_load_dword v57, v60, s[0:3], 0 offen offset:4
	buffer_load_dword v56, v60, s[0:3], 0 offen
	ds_write_b128 v61, v[1:4]
	s_waitcnt vmcnt(0)
	ds_write_b128 v61, v[56:59] offset:400
	s_waitcnt lgkmcnt(0)
	s_waitcnt_vscnt null, 0x0
	s_barrier
	buffer_gl0_inv
	s_and_saveexec_b32 s5, s4
	s_cbranch_execz .LBB24_19
; %bb.18:
	s_clause 0x3
	buffer_load_dword v63, v62, s[0:3], 0 offen offset:8
	buffer_load_dword v64, v62, s[0:3], 0 offen offset:12
	buffer_load_dword v65, v62, s[0:3], 0 offen
	buffer_load_dword v66, v62, s[0:3], 0 offen offset:4
	ds_read_b128 v[1:4], v55
	v_mov_b32_e32 v56, 0
	ds_read_b128 v[56:59], v56 offset:16
	s_waitcnt vmcnt(2) lgkmcnt(1)
	v_mul_f64 v[67:68], v[1:2], v[63:64]
	v_mul_f64 v[63:64], v[3:4], v[63:64]
	s_waitcnt vmcnt(0)
	v_fma_f64 v[3:4], v[3:4], v[65:66], v[67:68]
	v_fma_f64 v[1:2], v[1:2], v[65:66], -v[63:64]
	v_add_f64 v[3:4], v[3:4], 0
	v_add_f64 v[1:2], v[1:2], 0
	s_waitcnt lgkmcnt(0)
	v_mul_f64 v[63:64], v[3:4], v[58:59]
	v_mul_f64 v[58:59], v[1:2], v[58:59]
	v_fma_f64 v[1:2], v[1:2], v[56:57], -v[63:64]
	v_fma_f64 v[3:4], v[3:4], v[56:57], v[58:59]
	buffer_store_dword v1, off, s[0:3], 0 offset:32
	buffer_store_dword v2, off, s[0:3], 0 offset:36
	;; [unrolled: 1-line block ×4, first 2 shown]
.LBB24_19:
	s_or_b32 exec_lo, exec_lo, s5
	v_mov_b32_e32 v4, s36
	s_waitcnt_vscnt null, 0x0
	s_barrier
	buffer_gl0_inv
	s_mov_b32 s5, exec_lo
	s_clause 0x3
	buffer_load_dword v1, v4, s[0:3], 0 offen
	buffer_load_dword v2, v4, s[0:3], 0 offen offset:4
	buffer_load_dword v3, v4, s[0:3], 0 offen offset:8
	;; [unrolled: 1-line block ×3, first 2 shown]
	s_waitcnt vmcnt(0)
	ds_write_b128 v55, v[1:4]
	s_waitcnt lgkmcnt(0)
	s_barrier
	buffer_gl0_inv
	v_cmpx_gt_u32_e32 2, v0
	s_cbranch_execz .LBB24_23
; %bb.20:
	s_clause 0x3
	buffer_load_dword v56, v62, s[0:3], 0 offen offset:8
	buffer_load_dword v57, v62, s[0:3], 0 offen offset:12
	buffer_load_dword v58, v62, s[0:3], 0 offen
	buffer_load_dword v59, v62, s[0:3], 0 offen offset:4
	ds_read_b128 v[1:4], v55
	s_waitcnt vmcnt(2) lgkmcnt(0)
	v_mul_f64 v[62:63], v[3:4], v[56:57]
	v_mul_f64 v[56:57], v[1:2], v[56:57]
	s_waitcnt vmcnt(0)
	v_fma_f64 v[1:2], v[1:2], v[58:59], -v[62:63]
	v_fma_f64 v[3:4], v[3:4], v[58:59], v[56:57]
	v_add_f64 v[1:2], v[1:2], 0
	v_add_f64 v[3:4], v[3:4], 0
	s_and_saveexec_b32 s38, s4
	s_cbranch_execz .LBB24_22
; %bb.21:
	s_clause 0x3
	buffer_load_dword v62, off, s[0:3], 0 offset:40
	buffer_load_dword v63, off, s[0:3], 0 offset:44
	;; [unrolled: 1-line block ×4, first 2 shown]
	v_mov_b32_e32 v56, 0
	ds_read_b128 v[56:59], v56 offset:416
	s_waitcnt vmcnt(2) lgkmcnt(0)
	v_mul_f64 v[66:67], v[56:57], v[62:63]
	v_mul_f64 v[62:63], v[58:59], v[62:63]
	s_waitcnt vmcnt(0)
	v_fma_f64 v[58:59], v[58:59], v[64:65], v[66:67]
	v_fma_f64 v[56:57], v[56:57], v[64:65], -v[62:63]
	v_add_f64 v[3:4], v[3:4], v[58:59]
	v_add_f64 v[1:2], v[1:2], v[56:57]
.LBB24_22:
	s_or_b32 exec_lo, exec_lo, s38
	v_mov_b32_e32 v56, 0
	ds_read_b128 v[56:59], v56 offset:32
	s_waitcnt lgkmcnt(0)
	v_mul_f64 v[62:63], v[3:4], v[58:59]
	v_mul_f64 v[58:59], v[1:2], v[58:59]
	v_fma_f64 v[1:2], v[1:2], v[56:57], -v[62:63]
	v_fma_f64 v[3:4], v[3:4], v[56:57], v[58:59]
	buffer_store_dword v2, off, s[0:3], 0 offset:52
	buffer_store_dword v1, off, s[0:3], 0 offset:48
	;; [unrolled: 1-line block ×4, first 2 shown]
.LBB24_23:
	s_or_b32 exec_lo, exec_lo, s5
	v_mov_b32_e32 v4, s35
	s_waitcnt_vscnt null, 0x0
	s_barrier
	buffer_gl0_inv
	v_add_nc_u32_e32 v56, -1, v0
	s_clause 0x3
	buffer_load_dword v1, v4, s[0:3], 0 offen
	buffer_load_dword v2, v4, s[0:3], 0 offen offset:4
	buffer_load_dword v3, v4, s[0:3], 0 offen offset:8
	;; [unrolled: 1-line block ×3, first 2 shown]
	s_mov_b32 s4, exec_lo
	s_waitcnt vmcnt(0)
	ds_write_b128 v55, v[1:4]
	s_waitcnt lgkmcnt(0)
	s_barrier
	buffer_gl0_inv
	v_cmpx_gt_u32_e32 3, v0
	s_cbranch_execz .LBB24_27
; %bb.24:
	v_mov_b32_e32 v1, 0
	v_mov_b32_e32 v3, 0
	v_add_nc_u32_e32 v57, -1, v0
	v_add_nc_u32_e32 v58, 0x190, v61
	v_mov_b32_e32 v2, 0
	v_mov_b32_e32 v4, 0
	v_add_nc_u32_e32 v59, 16, v61
	s_mov_b32 s5, 0
	.p2align	6
.LBB24_25:                              ; =>This Inner Loop Header: Depth=1
	s_clause 0x3
	buffer_load_dword v66, v59, s[0:3], 0 offen offset:8
	buffer_load_dword v67, v59, s[0:3], 0 offen offset:12
	buffer_load_dword v68, v59, s[0:3], 0 offen
	buffer_load_dword v69, v59, s[0:3], 0 offen offset:4
	ds_read_b128 v[62:65], v58
	v_add_nc_u32_e32 v57, 1, v57
	v_add_nc_u32_e32 v58, 16, v58
	;; [unrolled: 1-line block ×3, first 2 shown]
	v_cmp_lt_u32_e32 vcc_lo, 1, v57
	s_or_b32 s5, vcc_lo, s5
	s_waitcnt vmcnt(2) lgkmcnt(0)
	v_mul_f64 v[70:71], v[64:65], v[66:67]
	v_mul_f64 v[66:67], v[62:63], v[66:67]
	s_waitcnt vmcnt(0)
	v_fma_f64 v[62:63], v[62:63], v[68:69], -v[70:71]
	v_fma_f64 v[64:65], v[64:65], v[68:69], v[66:67]
	v_add_f64 v[3:4], v[3:4], v[62:63]
	v_add_f64 v[1:2], v[1:2], v[64:65]
	s_andn2_b32 exec_lo, exec_lo, s5
	s_cbranch_execnz .LBB24_25
; %bb.26:
	s_or_b32 exec_lo, exec_lo, s5
	v_mov_b32_e32 v57, 0
	ds_read_b128 v[57:60], v57 offset:48
	s_waitcnt lgkmcnt(0)
	v_mul_f64 v[62:63], v[1:2], v[59:60]
	v_mul_f64 v[59:60], v[3:4], v[59:60]
	v_fma_f64 v[3:4], v[3:4], v[57:58], -v[62:63]
	v_fma_f64 v[1:2], v[1:2], v[57:58], v[59:60]
	buffer_store_dword v4, off, s[0:3], 0 offset:68
	buffer_store_dword v3, off, s[0:3], 0 offset:64
	;; [unrolled: 1-line block ×4, first 2 shown]
.LBB24_27:
	s_or_b32 exec_lo, exec_lo, s4
	v_mov_b32_e32 v4, s33
	s_waitcnt_vscnt null, 0x0
	s_barrier
	buffer_gl0_inv
	s_mov_b32 s4, exec_lo
	s_clause 0x3
	buffer_load_dword v1, v4, s[0:3], 0 offen
	buffer_load_dword v2, v4, s[0:3], 0 offen offset:4
	buffer_load_dword v3, v4, s[0:3], 0 offen offset:8
	;; [unrolled: 1-line block ×3, first 2 shown]
	s_waitcnt vmcnt(0)
	ds_write_b128 v55, v[1:4]
	s_waitcnt lgkmcnt(0)
	s_barrier
	buffer_gl0_inv
	v_cmpx_gt_u32_e32 4, v0
	s_cbranch_execz .LBB24_31
; %bb.28:
	v_mov_b32_e32 v1, 0
	v_mov_b32_e32 v3, 0
	v_add_nc_u32_e32 v57, -1, v0
	v_add_nc_u32_e32 v58, 0x190, v61
	v_mov_b32_e32 v2, 0
	v_mov_b32_e32 v4, 0
	v_add_nc_u32_e32 v59, 16, v61
	s_mov_b32 s5, 0
	.p2align	6
.LBB24_29:                              ; =>This Inner Loop Header: Depth=1
	s_clause 0x3
	buffer_load_dword v66, v59, s[0:3], 0 offen offset:8
	buffer_load_dword v67, v59, s[0:3], 0 offen offset:12
	buffer_load_dword v68, v59, s[0:3], 0 offen
	buffer_load_dword v69, v59, s[0:3], 0 offen offset:4
	ds_read_b128 v[62:65], v58
	v_add_nc_u32_e32 v57, 1, v57
	v_add_nc_u32_e32 v58, 16, v58
	;; [unrolled: 1-line block ×3, first 2 shown]
	v_cmp_lt_u32_e32 vcc_lo, 2, v57
	s_or_b32 s5, vcc_lo, s5
	s_waitcnt vmcnt(2) lgkmcnt(0)
	v_mul_f64 v[70:71], v[64:65], v[66:67]
	v_mul_f64 v[66:67], v[62:63], v[66:67]
	s_waitcnt vmcnt(0)
	v_fma_f64 v[62:63], v[62:63], v[68:69], -v[70:71]
	v_fma_f64 v[64:65], v[64:65], v[68:69], v[66:67]
	v_add_f64 v[3:4], v[3:4], v[62:63]
	v_add_f64 v[1:2], v[1:2], v[64:65]
	s_andn2_b32 exec_lo, exec_lo, s5
	s_cbranch_execnz .LBB24_29
; %bb.30:
	s_or_b32 exec_lo, exec_lo, s5
	v_mov_b32_e32 v57, 0
	ds_read_b128 v[57:60], v57 offset:64
	s_waitcnt lgkmcnt(0)
	v_mul_f64 v[62:63], v[1:2], v[59:60]
	v_mul_f64 v[59:60], v[3:4], v[59:60]
	v_fma_f64 v[3:4], v[3:4], v[57:58], -v[62:63]
	v_fma_f64 v[1:2], v[1:2], v[57:58], v[59:60]
	buffer_store_dword v4, off, s[0:3], 0 offset:84
	buffer_store_dword v3, off, s[0:3], 0 offset:80
	buffer_store_dword v2, off, s[0:3], 0 offset:92
	buffer_store_dword v1, off, s[0:3], 0 offset:88
.LBB24_31:
	s_or_b32 exec_lo, exec_lo, s4
	v_mov_b32_e32 v4, s31
	s_waitcnt_vscnt null, 0x0
	s_barrier
	buffer_gl0_inv
	s_mov_b32 s4, exec_lo
	s_clause 0x3
	buffer_load_dword v1, v4, s[0:3], 0 offen
	buffer_load_dword v2, v4, s[0:3], 0 offen offset:4
	buffer_load_dword v3, v4, s[0:3], 0 offen offset:8
	;; [unrolled: 1-line block ×3, first 2 shown]
	s_waitcnt vmcnt(0)
	ds_write_b128 v55, v[1:4]
	s_waitcnt lgkmcnt(0)
	s_barrier
	buffer_gl0_inv
	v_cmpx_gt_u32_e32 5, v0
	s_cbranch_execz .LBB24_35
; %bb.32:
	v_mov_b32_e32 v1, 0
	v_mov_b32_e32 v3, 0
	v_add_nc_u32_e32 v57, -1, v0
	v_add_nc_u32_e32 v58, 0x190, v61
	v_mov_b32_e32 v2, 0
	v_mov_b32_e32 v4, 0
	v_add_nc_u32_e32 v59, 16, v61
	s_mov_b32 s5, 0
	.p2align	6
.LBB24_33:                              ; =>This Inner Loop Header: Depth=1
	s_clause 0x3
	buffer_load_dword v66, v59, s[0:3], 0 offen offset:8
	buffer_load_dword v67, v59, s[0:3], 0 offen offset:12
	buffer_load_dword v68, v59, s[0:3], 0 offen
	buffer_load_dword v69, v59, s[0:3], 0 offen offset:4
	ds_read_b128 v[62:65], v58
	v_add_nc_u32_e32 v57, 1, v57
	v_add_nc_u32_e32 v58, 16, v58
	;; [unrolled: 1-line block ×3, first 2 shown]
	v_cmp_lt_u32_e32 vcc_lo, 3, v57
	s_or_b32 s5, vcc_lo, s5
	s_waitcnt vmcnt(2) lgkmcnt(0)
	v_mul_f64 v[70:71], v[64:65], v[66:67]
	v_mul_f64 v[66:67], v[62:63], v[66:67]
	s_waitcnt vmcnt(0)
	v_fma_f64 v[62:63], v[62:63], v[68:69], -v[70:71]
	v_fma_f64 v[64:65], v[64:65], v[68:69], v[66:67]
	v_add_f64 v[3:4], v[3:4], v[62:63]
	v_add_f64 v[1:2], v[1:2], v[64:65]
	s_andn2_b32 exec_lo, exec_lo, s5
	s_cbranch_execnz .LBB24_33
; %bb.34:
	s_or_b32 exec_lo, exec_lo, s5
	v_mov_b32_e32 v57, 0
	ds_read_b128 v[57:60], v57 offset:80
	s_waitcnt lgkmcnt(0)
	v_mul_f64 v[62:63], v[1:2], v[59:60]
	v_mul_f64 v[59:60], v[3:4], v[59:60]
	v_fma_f64 v[3:4], v[3:4], v[57:58], -v[62:63]
	v_fma_f64 v[1:2], v[1:2], v[57:58], v[59:60]
	buffer_store_dword v4, off, s[0:3], 0 offset:100
	buffer_store_dword v3, off, s[0:3], 0 offset:96
	;; [unrolled: 1-line block ×4, first 2 shown]
.LBB24_35:
	s_or_b32 exec_lo, exec_lo, s4
	v_mov_b32_e32 v4, s30
	s_waitcnt_vscnt null, 0x0
	s_barrier
	buffer_gl0_inv
	s_mov_b32 s4, exec_lo
	s_clause 0x3
	buffer_load_dword v1, v4, s[0:3], 0 offen
	buffer_load_dword v2, v4, s[0:3], 0 offen offset:4
	buffer_load_dword v3, v4, s[0:3], 0 offen offset:8
	;; [unrolled: 1-line block ×3, first 2 shown]
	s_waitcnt vmcnt(0)
	ds_write_b128 v55, v[1:4]
	s_waitcnt lgkmcnt(0)
	s_barrier
	buffer_gl0_inv
	v_cmpx_gt_u32_e32 6, v0
	s_cbranch_execz .LBB24_39
; %bb.36:
	v_mov_b32_e32 v1, 0
	v_mov_b32_e32 v3, 0
	v_add_nc_u32_e32 v57, -1, v0
	v_add_nc_u32_e32 v58, 0x190, v61
	v_mov_b32_e32 v2, 0
	v_mov_b32_e32 v4, 0
	v_add_nc_u32_e32 v59, 16, v61
	s_mov_b32 s5, 0
	.p2align	6
.LBB24_37:                              ; =>This Inner Loop Header: Depth=1
	s_clause 0x3
	buffer_load_dword v66, v59, s[0:3], 0 offen offset:8
	buffer_load_dword v67, v59, s[0:3], 0 offen offset:12
	buffer_load_dword v68, v59, s[0:3], 0 offen
	buffer_load_dword v69, v59, s[0:3], 0 offen offset:4
	ds_read_b128 v[62:65], v58
	v_add_nc_u32_e32 v57, 1, v57
	v_add_nc_u32_e32 v58, 16, v58
	;; [unrolled: 1-line block ×3, first 2 shown]
	v_cmp_lt_u32_e32 vcc_lo, 4, v57
	s_or_b32 s5, vcc_lo, s5
	s_waitcnt vmcnt(2) lgkmcnt(0)
	v_mul_f64 v[70:71], v[64:65], v[66:67]
	v_mul_f64 v[66:67], v[62:63], v[66:67]
	s_waitcnt vmcnt(0)
	v_fma_f64 v[62:63], v[62:63], v[68:69], -v[70:71]
	v_fma_f64 v[64:65], v[64:65], v[68:69], v[66:67]
	v_add_f64 v[3:4], v[3:4], v[62:63]
	v_add_f64 v[1:2], v[1:2], v[64:65]
	s_andn2_b32 exec_lo, exec_lo, s5
	s_cbranch_execnz .LBB24_37
; %bb.38:
	s_or_b32 exec_lo, exec_lo, s5
	v_mov_b32_e32 v57, 0
	ds_read_b128 v[57:60], v57 offset:96
	s_waitcnt lgkmcnt(0)
	v_mul_f64 v[62:63], v[1:2], v[59:60]
	v_mul_f64 v[59:60], v[3:4], v[59:60]
	v_fma_f64 v[3:4], v[3:4], v[57:58], -v[62:63]
	v_fma_f64 v[1:2], v[1:2], v[57:58], v[59:60]
	buffer_store_dword v4, off, s[0:3], 0 offset:116
	buffer_store_dword v3, off, s[0:3], 0 offset:112
	;; [unrolled: 1-line block ×4, first 2 shown]
.LBB24_39:
	s_or_b32 exec_lo, exec_lo, s4
	v_mov_b32_e32 v4, s29
	s_waitcnt_vscnt null, 0x0
	s_barrier
	buffer_gl0_inv
	s_mov_b32 s4, exec_lo
	s_clause 0x3
	buffer_load_dword v1, v4, s[0:3], 0 offen
	buffer_load_dword v2, v4, s[0:3], 0 offen offset:4
	buffer_load_dword v3, v4, s[0:3], 0 offen offset:8
	;; [unrolled: 1-line block ×3, first 2 shown]
	s_waitcnt vmcnt(0)
	ds_write_b128 v55, v[1:4]
	s_waitcnt lgkmcnt(0)
	s_barrier
	buffer_gl0_inv
	v_cmpx_gt_u32_e32 7, v0
	s_cbranch_execz .LBB24_43
; %bb.40:
	v_mov_b32_e32 v1, 0
	v_mov_b32_e32 v3, 0
	v_add_nc_u32_e32 v57, -1, v0
	v_add_nc_u32_e32 v58, 0x190, v61
	v_mov_b32_e32 v2, 0
	v_mov_b32_e32 v4, 0
	v_add_nc_u32_e32 v59, 16, v61
	s_mov_b32 s5, 0
	.p2align	6
.LBB24_41:                              ; =>This Inner Loop Header: Depth=1
	s_clause 0x3
	buffer_load_dword v66, v59, s[0:3], 0 offen offset:8
	buffer_load_dword v67, v59, s[0:3], 0 offen offset:12
	buffer_load_dword v68, v59, s[0:3], 0 offen
	buffer_load_dword v69, v59, s[0:3], 0 offen offset:4
	ds_read_b128 v[62:65], v58
	v_add_nc_u32_e32 v57, 1, v57
	v_add_nc_u32_e32 v58, 16, v58
	v_add_nc_u32_e32 v59, 16, v59
	v_cmp_lt_u32_e32 vcc_lo, 5, v57
	s_or_b32 s5, vcc_lo, s5
	s_waitcnt vmcnt(2) lgkmcnt(0)
	v_mul_f64 v[70:71], v[64:65], v[66:67]
	v_mul_f64 v[66:67], v[62:63], v[66:67]
	s_waitcnt vmcnt(0)
	v_fma_f64 v[62:63], v[62:63], v[68:69], -v[70:71]
	v_fma_f64 v[64:65], v[64:65], v[68:69], v[66:67]
	v_add_f64 v[3:4], v[3:4], v[62:63]
	v_add_f64 v[1:2], v[1:2], v[64:65]
	s_andn2_b32 exec_lo, exec_lo, s5
	s_cbranch_execnz .LBB24_41
; %bb.42:
	s_or_b32 exec_lo, exec_lo, s5
	v_mov_b32_e32 v57, 0
	ds_read_b128 v[57:60], v57 offset:112
	s_waitcnt lgkmcnt(0)
	v_mul_f64 v[62:63], v[1:2], v[59:60]
	v_mul_f64 v[59:60], v[3:4], v[59:60]
	v_fma_f64 v[3:4], v[3:4], v[57:58], -v[62:63]
	v_fma_f64 v[1:2], v[1:2], v[57:58], v[59:60]
	buffer_store_dword v4, off, s[0:3], 0 offset:132
	buffer_store_dword v3, off, s[0:3], 0 offset:128
	;; [unrolled: 1-line block ×4, first 2 shown]
.LBB24_43:
	s_or_b32 exec_lo, exec_lo, s4
	v_mov_b32_e32 v4, s28
	s_waitcnt_vscnt null, 0x0
	s_barrier
	buffer_gl0_inv
	s_mov_b32 s4, exec_lo
	s_clause 0x3
	buffer_load_dword v1, v4, s[0:3], 0 offen
	buffer_load_dword v2, v4, s[0:3], 0 offen offset:4
	buffer_load_dword v3, v4, s[0:3], 0 offen offset:8
	;; [unrolled: 1-line block ×3, first 2 shown]
	s_waitcnt vmcnt(0)
	ds_write_b128 v55, v[1:4]
	s_waitcnt lgkmcnt(0)
	s_barrier
	buffer_gl0_inv
	v_cmpx_gt_u32_e32 8, v0
	s_cbranch_execz .LBB24_47
; %bb.44:
	v_mov_b32_e32 v1, 0
	v_mov_b32_e32 v3, 0
	v_add_nc_u32_e32 v57, -1, v0
	v_add_nc_u32_e32 v58, 0x190, v61
	v_mov_b32_e32 v2, 0
	v_mov_b32_e32 v4, 0
	v_add_nc_u32_e32 v59, 16, v61
	s_mov_b32 s5, 0
	.p2align	6
.LBB24_45:                              ; =>This Inner Loop Header: Depth=1
	s_clause 0x3
	buffer_load_dword v66, v59, s[0:3], 0 offen offset:8
	buffer_load_dword v67, v59, s[0:3], 0 offen offset:12
	buffer_load_dword v68, v59, s[0:3], 0 offen
	buffer_load_dword v69, v59, s[0:3], 0 offen offset:4
	ds_read_b128 v[62:65], v58
	v_add_nc_u32_e32 v57, 1, v57
	v_add_nc_u32_e32 v58, 16, v58
	;; [unrolled: 1-line block ×3, first 2 shown]
	v_cmp_lt_u32_e32 vcc_lo, 6, v57
	s_or_b32 s5, vcc_lo, s5
	s_waitcnt vmcnt(2) lgkmcnt(0)
	v_mul_f64 v[70:71], v[64:65], v[66:67]
	v_mul_f64 v[66:67], v[62:63], v[66:67]
	s_waitcnt vmcnt(0)
	v_fma_f64 v[62:63], v[62:63], v[68:69], -v[70:71]
	v_fma_f64 v[64:65], v[64:65], v[68:69], v[66:67]
	v_add_f64 v[3:4], v[3:4], v[62:63]
	v_add_f64 v[1:2], v[1:2], v[64:65]
	s_andn2_b32 exec_lo, exec_lo, s5
	s_cbranch_execnz .LBB24_45
; %bb.46:
	s_or_b32 exec_lo, exec_lo, s5
	v_mov_b32_e32 v57, 0
	ds_read_b128 v[57:60], v57 offset:128
	s_waitcnt lgkmcnt(0)
	v_mul_f64 v[62:63], v[1:2], v[59:60]
	v_mul_f64 v[59:60], v[3:4], v[59:60]
	v_fma_f64 v[3:4], v[3:4], v[57:58], -v[62:63]
	v_fma_f64 v[1:2], v[1:2], v[57:58], v[59:60]
	buffer_store_dword v4, off, s[0:3], 0 offset:148
	buffer_store_dword v3, off, s[0:3], 0 offset:144
	;; [unrolled: 1-line block ×4, first 2 shown]
.LBB24_47:
	s_or_b32 exec_lo, exec_lo, s4
	v_mov_b32_e32 v4, s27
	s_waitcnt_vscnt null, 0x0
	s_barrier
	buffer_gl0_inv
	s_mov_b32 s4, exec_lo
	s_clause 0x3
	buffer_load_dword v1, v4, s[0:3], 0 offen
	buffer_load_dword v2, v4, s[0:3], 0 offen offset:4
	buffer_load_dword v3, v4, s[0:3], 0 offen offset:8
	;; [unrolled: 1-line block ×3, first 2 shown]
	s_waitcnt vmcnt(0)
	ds_write_b128 v55, v[1:4]
	s_waitcnt lgkmcnt(0)
	s_barrier
	buffer_gl0_inv
	v_cmpx_gt_u32_e32 9, v0
	s_cbranch_execz .LBB24_51
; %bb.48:
	v_mov_b32_e32 v1, 0
	v_mov_b32_e32 v3, 0
	v_add_nc_u32_e32 v57, -1, v0
	v_add_nc_u32_e32 v58, 0x190, v61
	v_mov_b32_e32 v2, 0
	v_mov_b32_e32 v4, 0
	v_add_nc_u32_e32 v59, 16, v61
	s_mov_b32 s5, 0
	.p2align	6
.LBB24_49:                              ; =>This Inner Loop Header: Depth=1
	s_clause 0x3
	buffer_load_dword v66, v59, s[0:3], 0 offen offset:8
	buffer_load_dword v67, v59, s[0:3], 0 offen offset:12
	buffer_load_dword v68, v59, s[0:3], 0 offen
	buffer_load_dword v69, v59, s[0:3], 0 offen offset:4
	ds_read_b128 v[62:65], v58
	v_add_nc_u32_e32 v57, 1, v57
	v_add_nc_u32_e32 v58, 16, v58
	;; [unrolled: 1-line block ×3, first 2 shown]
	v_cmp_lt_u32_e32 vcc_lo, 7, v57
	s_or_b32 s5, vcc_lo, s5
	s_waitcnt vmcnt(2) lgkmcnt(0)
	v_mul_f64 v[70:71], v[64:65], v[66:67]
	v_mul_f64 v[66:67], v[62:63], v[66:67]
	s_waitcnt vmcnt(0)
	v_fma_f64 v[62:63], v[62:63], v[68:69], -v[70:71]
	v_fma_f64 v[64:65], v[64:65], v[68:69], v[66:67]
	v_add_f64 v[3:4], v[3:4], v[62:63]
	v_add_f64 v[1:2], v[1:2], v[64:65]
	s_andn2_b32 exec_lo, exec_lo, s5
	s_cbranch_execnz .LBB24_49
; %bb.50:
	s_or_b32 exec_lo, exec_lo, s5
	v_mov_b32_e32 v57, 0
	ds_read_b128 v[57:60], v57 offset:144
	s_waitcnt lgkmcnt(0)
	v_mul_f64 v[62:63], v[1:2], v[59:60]
	v_mul_f64 v[59:60], v[3:4], v[59:60]
	v_fma_f64 v[3:4], v[3:4], v[57:58], -v[62:63]
	v_fma_f64 v[1:2], v[1:2], v[57:58], v[59:60]
	buffer_store_dword v4, off, s[0:3], 0 offset:164
	buffer_store_dword v3, off, s[0:3], 0 offset:160
	;; [unrolled: 1-line block ×4, first 2 shown]
.LBB24_51:
	s_or_b32 exec_lo, exec_lo, s4
	v_mov_b32_e32 v4, s26
	s_waitcnt_vscnt null, 0x0
	s_barrier
	buffer_gl0_inv
	s_mov_b32 s4, exec_lo
	s_clause 0x3
	buffer_load_dword v1, v4, s[0:3], 0 offen
	buffer_load_dword v2, v4, s[0:3], 0 offen offset:4
	buffer_load_dword v3, v4, s[0:3], 0 offen offset:8
	;; [unrolled: 1-line block ×3, first 2 shown]
	s_waitcnt vmcnt(0)
	ds_write_b128 v55, v[1:4]
	s_waitcnt lgkmcnt(0)
	s_barrier
	buffer_gl0_inv
	v_cmpx_gt_u32_e32 10, v0
	s_cbranch_execz .LBB24_55
; %bb.52:
	v_mov_b32_e32 v1, 0
	v_mov_b32_e32 v3, 0
	v_add_nc_u32_e32 v57, -1, v0
	v_add_nc_u32_e32 v58, 0x190, v61
	v_mov_b32_e32 v2, 0
	v_mov_b32_e32 v4, 0
	v_add_nc_u32_e32 v59, 16, v61
	s_mov_b32 s5, 0
	.p2align	6
.LBB24_53:                              ; =>This Inner Loop Header: Depth=1
	s_clause 0x3
	buffer_load_dword v66, v59, s[0:3], 0 offen offset:8
	buffer_load_dword v67, v59, s[0:3], 0 offen offset:12
	buffer_load_dword v68, v59, s[0:3], 0 offen
	buffer_load_dword v69, v59, s[0:3], 0 offen offset:4
	ds_read_b128 v[62:65], v58
	v_add_nc_u32_e32 v57, 1, v57
	v_add_nc_u32_e32 v58, 16, v58
	;; [unrolled: 1-line block ×3, first 2 shown]
	v_cmp_lt_u32_e32 vcc_lo, 8, v57
	s_or_b32 s5, vcc_lo, s5
	s_waitcnt vmcnt(2) lgkmcnt(0)
	v_mul_f64 v[70:71], v[64:65], v[66:67]
	v_mul_f64 v[66:67], v[62:63], v[66:67]
	s_waitcnt vmcnt(0)
	v_fma_f64 v[62:63], v[62:63], v[68:69], -v[70:71]
	v_fma_f64 v[64:65], v[64:65], v[68:69], v[66:67]
	v_add_f64 v[3:4], v[3:4], v[62:63]
	v_add_f64 v[1:2], v[1:2], v[64:65]
	s_andn2_b32 exec_lo, exec_lo, s5
	s_cbranch_execnz .LBB24_53
; %bb.54:
	s_or_b32 exec_lo, exec_lo, s5
	v_mov_b32_e32 v57, 0
	ds_read_b128 v[57:60], v57 offset:160
	s_waitcnt lgkmcnt(0)
	v_mul_f64 v[62:63], v[1:2], v[59:60]
	v_mul_f64 v[59:60], v[3:4], v[59:60]
	v_fma_f64 v[3:4], v[3:4], v[57:58], -v[62:63]
	v_fma_f64 v[1:2], v[1:2], v[57:58], v[59:60]
	buffer_store_dword v4, off, s[0:3], 0 offset:180
	buffer_store_dword v3, off, s[0:3], 0 offset:176
	;; [unrolled: 1-line block ×4, first 2 shown]
.LBB24_55:
	s_or_b32 exec_lo, exec_lo, s4
	v_mov_b32_e32 v4, s25
	s_waitcnt_vscnt null, 0x0
	s_barrier
	buffer_gl0_inv
	s_mov_b32 s4, exec_lo
	s_clause 0x3
	buffer_load_dword v1, v4, s[0:3], 0 offen
	buffer_load_dword v2, v4, s[0:3], 0 offen offset:4
	buffer_load_dword v3, v4, s[0:3], 0 offen offset:8
	;; [unrolled: 1-line block ×3, first 2 shown]
	s_waitcnt vmcnt(0)
	ds_write_b128 v55, v[1:4]
	s_waitcnt lgkmcnt(0)
	s_barrier
	buffer_gl0_inv
	v_cmpx_gt_u32_e32 11, v0
	s_cbranch_execz .LBB24_59
; %bb.56:
	v_mov_b32_e32 v1, 0
	v_mov_b32_e32 v3, 0
	v_add_nc_u32_e32 v57, -1, v0
	v_add_nc_u32_e32 v58, 0x190, v61
	v_mov_b32_e32 v2, 0
	v_mov_b32_e32 v4, 0
	v_add_nc_u32_e32 v59, 16, v61
	s_mov_b32 s5, 0
	.p2align	6
.LBB24_57:                              ; =>This Inner Loop Header: Depth=1
	s_clause 0x3
	buffer_load_dword v66, v59, s[0:3], 0 offen offset:8
	buffer_load_dword v67, v59, s[0:3], 0 offen offset:12
	buffer_load_dword v68, v59, s[0:3], 0 offen
	buffer_load_dword v69, v59, s[0:3], 0 offen offset:4
	ds_read_b128 v[62:65], v58
	v_add_nc_u32_e32 v57, 1, v57
	v_add_nc_u32_e32 v58, 16, v58
	;; [unrolled: 1-line block ×3, first 2 shown]
	v_cmp_lt_u32_e32 vcc_lo, 9, v57
	s_or_b32 s5, vcc_lo, s5
	s_waitcnt vmcnt(2) lgkmcnt(0)
	v_mul_f64 v[70:71], v[64:65], v[66:67]
	v_mul_f64 v[66:67], v[62:63], v[66:67]
	s_waitcnt vmcnt(0)
	v_fma_f64 v[62:63], v[62:63], v[68:69], -v[70:71]
	v_fma_f64 v[64:65], v[64:65], v[68:69], v[66:67]
	v_add_f64 v[3:4], v[3:4], v[62:63]
	v_add_f64 v[1:2], v[1:2], v[64:65]
	s_andn2_b32 exec_lo, exec_lo, s5
	s_cbranch_execnz .LBB24_57
; %bb.58:
	s_or_b32 exec_lo, exec_lo, s5
	v_mov_b32_e32 v57, 0
	ds_read_b128 v[57:60], v57 offset:176
	s_waitcnt lgkmcnt(0)
	v_mul_f64 v[62:63], v[1:2], v[59:60]
	v_mul_f64 v[59:60], v[3:4], v[59:60]
	v_fma_f64 v[3:4], v[3:4], v[57:58], -v[62:63]
	v_fma_f64 v[1:2], v[1:2], v[57:58], v[59:60]
	buffer_store_dword v4, off, s[0:3], 0 offset:196
	buffer_store_dword v3, off, s[0:3], 0 offset:192
	;; [unrolled: 1-line block ×4, first 2 shown]
.LBB24_59:
	s_or_b32 exec_lo, exec_lo, s4
	v_mov_b32_e32 v4, s24
	s_waitcnt_vscnt null, 0x0
	s_barrier
	buffer_gl0_inv
	s_mov_b32 s4, exec_lo
	s_clause 0x3
	buffer_load_dword v1, v4, s[0:3], 0 offen
	buffer_load_dword v2, v4, s[0:3], 0 offen offset:4
	buffer_load_dword v3, v4, s[0:3], 0 offen offset:8
	;; [unrolled: 1-line block ×3, first 2 shown]
	s_waitcnt vmcnt(0)
	ds_write_b128 v55, v[1:4]
	s_waitcnt lgkmcnt(0)
	s_barrier
	buffer_gl0_inv
	v_cmpx_gt_u32_e32 12, v0
	s_cbranch_execz .LBB24_63
; %bb.60:
	v_mov_b32_e32 v1, 0
	v_mov_b32_e32 v3, 0
	v_add_nc_u32_e32 v57, -1, v0
	v_add_nc_u32_e32 v58, 0x190, v61
	v_mov_b32_e32 v2, 0
	v_mov_b32_e32 v4, 0
	v_add_nc_u32_e32 v59, 16, v61
	s_mov_b32 s5, 0
	.p2align	6
.LBB24_61:                              ; =>This Inner Loop Header: Depth=1
	s_clause 0x3
	buffer_load_dword v66, v59, s[0:3], 0 offen offset:8
	buffer_load_dword v67, v59, s[0:3], 0 offen offset:12
	buffer_load_dword v68, v59, s[0:3], 0 offen
	buffer_load_dword v69, v59, s[0:3], 0 offen offset:4
	ds_read_b128 v[62:65], v58
	v_add_nc_u32_e32 v57, 1, v57
	v_add_nc_u32_e32 v58, 16, v58
	;; [unrolled: 1-line block ×3, first 2 shown]
	v_cmp_lt_u32_e32 vcc_lo, 10, v57
	s_or_b32 s5, vcc_lo, s5
	s_waitcnt vmcnt(2) lgkmcnt(0)
	v_mul_f64 v[70:71], v[64:65], v[66:67]
	v_mul_f64 v[66:67], v[62:63], v[66:67]
	s_waitcnt vmcnt(0)
	v_fma_f64 v[62:63], v[62:63], v[68:69], -v[70:71]
	v_fma_f64 v[64:65], v[64:65], v[68:69], v[66:67]
	v_add_f64 v[3:4], v[3:4], v[62:63]
	v_add_f64 v[1:2], v[1:2], v[64:65]
	s_andn2_b32 exec_lo, exec_lo, s5
	s_cbranch_execnz .LBB24_61
; %bb.62:
	s_or_b32 exec_lo, exec_lo, s5
	v_mov_b32_e32 v57, 0
	ds_read_b128 v[57:60], v57 offset:192
	s_waitcnt lgkmcnt(0)
	v_mul_f64 v[62:63], v[1:2], v[59:60]
	v_mul_f64 v[59:60], v[3:4], v[59:60]
	v_fma_f64 v[3:4], v[3:4], v[57:58], -v[62:63]
	v_fma_f64 v[1:2], v[1:2], v[57:58], v[59:60]
	buffer_store_dword v4, off, s[0:3], 0 offset:212
	buffer_store_dword v3, off, s[0:3], 0 offset:208
	;; [unrolled: 1-line block ×4, first 2 shown]
.LBB24_63:
	s_or_b32 exec_lo, exec_lo, s4
	v_mov_b32_e32 v4, s23
	s_waitcnt_vscnt null, 0x0
	s_barrier
	buffer_gl0_inv
	s_mov_b32 s4, exec_lo
	s_clause 0x3
	buffer_load_dword v1, v4, s[0:3], 0 offen
	buffer_load_dword v2, v4, s[0:3], 0 offen offset:4
	buffer_load_dword v3, v4, s[0:3], 0 offen offset:8
	buffer_load_dword v4, v4, s[0:3], 0 offen offset:12
	s_waitcnt vmcnt(0)
	ds_write_b128 v55, v[1:4]
	s_waitcnt lgkmcnt(0)
	s_barrier
	buffer_gl0_inv
	v_cmpx_gt_u32_e32 13, v0
	s_cbranch_execz .LBB24_67
; %bb.64:
	v_mov_b32_e32 v1, 0
	v_mov_b32_e32 v3, 0
	v_add_nc_u32_e32 v57, -1, v0
	v_add_nc_u32_e32 v58, 0x190, v61
	v_mov_b32_e32 v2, 0
	v_mov_b32_e32 v4, 0
	v_add_nc_u32_e32 v59, 16, v61
	s_mov_b32 s5, 0
	.p2align	6
.LBB24_65:                              ; =>This Inner Loop Header: Depth=1
	s_clause 0x3
	buffer_load_dword v66, v59, s[0:3], 0 offen offset:8
	buffer_load_dword v67, v59, s[0:3], 0 offen offset:12
	buffer_load_dword v68, v59, s[0:3], 0 offen
	buffer_load_dword v69, v59, s[0:3], 0 offen offset:4
	ds_read_b128 v[62:65], v58
	v_add_nc_u32_e32 v57, 1, v57
	v_add_nc_u32_e32 v58, 16, v58
	;; [unrolled: 1-line block ×3, first 2 shown]
	v_cmp_lt_u32_e32 vcc_lo, 11, v57
	s_or_b32 s5, vcc_lo, s5
	s_waitcnt vmcnt(2) lgkmcnt(0)
	v_mul_f64 v[70:71], v[64:65], v[66:67]
	v_mul_f64 v[66:67], v[62:63], v[66:67]
	s_waitcnt vmcnt(0)
	v_fma_f64 v[62:63], v[62:63], v[68:69], -v[70:71]
	v_fma_f64 v[64:65], v[64:65], v[68:69], v[66:67]
	v_add_f64 v[3:4], v[3:4], v[62:63]
	v_add_f64 v[1:2], v[1:2], v[64:65]
	s_andn2_b32 exec_lo, exec_lo, s5
	s_cbranch_execnz .LBB24_65
; %bb.66:
	s_or_b32 exec_lo, exec_lo, s5
	v_mov_b32_e32 v57, 0
	ds_read_b128 v[57:60], v57 offset:208
	s_waitcnt lgkmcnt(0)
	v_mul_f64 v[62:63], v[1:2], v[59:60]
	v_mul_f64 v[59:60], v[3:4], v[59:60]
	v_fma_f64 v[3:4], v[3:4], v[57:58], -v[62:63]
	v_fma_f64 v[1:2], v[1:2], v[57:58], v[59:60]
	buffer_store_dword v4, off, s[0:3], 0 offset:228
	buffer_store_dword v3, off, s[0:3], 0 offset:224
	;; [unrolled: 1-line block ×4, first 2 shown]
.LBB24_67:
	s_or_b32 exec_lo, exec_lo, s4
	v_mov_b32_e32 v4, s22
	s_waitcnt_vscnt null, 0x0
	s_barrier
	buffer_gl0_inv
	s_mov_b32 s4, exec_lo
	s_clause 0x3
	buffer_load_dword v1, v4, s[0:3], 0 offen
	buffer_load_dword v2, v4, s[0:3], 0 offen offset:4
	buffer_load_dword v3, v4, s[0:3], 0 offen offset:8
	;; [unrolled: 1-line block ×3, first 2 shown]
	s_waitcnt vmcnt(0)
	ds_write_b128 v55, v[1:4]
	s_waitcnt lgkmcnt(0)
	s_barrier
	buffer_gl0_inv
	v_cmpx_gt_u32_e32 14, v0
	s_cbranch_execz .LBB24_71
; %bb.68:
	v_mov_b32_e32 v1, 0
	v_mov_b32_e32 v3, 0
	v_add_nc_u32_e32 v57, -1, v0
	v_add_nc_u32_e32 v58, 0x190, v61
	v_mov_b32_e32 v2, 0
	v_mov_b32_e32 v4, 0
	v_add_nc_u32_e32 v59, 16, v61
	s_mov_b32 s5, 0
	.p2align	6
.LBB24_69:                              ; =>This Inner Loop Header: Depth=1
	s_clause 0x3
	buffer_load_dword v66, v59, s[0:3], 0 offen offset:8
	buffer_load_dword v67, v59, s[0:3], 0 offen offset:12
	buffer_load_dword v68, v59, s[0:3], 0 offen
	buffer_load_dword v69, v59, s[0:3], 0 offen offset:4
	ds_read_b128 v[62:65], v58
	v_add_nc_u32_e32 v57, 1, v57
	v_add_nc_u32_e32 v58, 16, v58
	;; [unrolled: 1-line block ×3, first 2 shown]
	v_cmp_lt_u32_e32 vcc_lo, 12, v57
	s_or_b32 s5, vcc_lo, s5
	s_waitcnt vmcnt(2) lgkmcnt(0)
	v_mul_f64 v[70:71], v[64:65], v[66:67]
	v_mul_f64 v[66:67], v[62:63], v[66:67]
	s_waitcnt vmcnt(0)
	v_fma_f64 v[62:63], v[62:63], v[68:69], -v[70:71]
	v_fma_f64 v[64:65], v[64:65], v[68:69], v[66:67]
	v_add_f64 v[3:4], v[3:4], v[62:63]
	v_add_f64 v[1:2], v[1:2], v[64:65]
	s_andn2_b32 exec_lo, exec_lo, s5
	s_cbranch_execnz .LBB24_69
; %bb.70:
	s_or_b32 exec_lo, exec_lo, s5
	v_mov_b32_e32 v57, 0
	ds_read_b128 v[57:60], v57 offset:224
	s_waitcnt lgkmcnt(0)
	v_mul_f64 v[62:63], v[1:2], v[59:60]
	v_mul_f64 v[59:60], v[3:4], v[59:60]
	v_fma_f64 v[3:4], v[3:4], v[57:58], -v[62:63]
	v_fma_f64 v[1:2], v[1:2], v[57:58], v[59:60]
	buffer_store_dword v4, off, s[0:3], 0 offset:244
	buffer_store_dword v3, off, s[0:3], 0 offset:240
	;; [unrolled: 1-line block ×4, first 2 shown]
.LBB24_71:
	s_or_b32 exec_lo, exec_lo, s4
	v_mov_b32_e32 v4, s19
	s_waitcnt_vscnt null, 0x0
	s_barrier
	buffer_gl0_inv
	s_mov_b32 s4, exec_lo
	s_clause 0x3
	buffer_load_dword v1, v4, s[0:3], 0 offen
	buffer_load_dword v2, v4, s[0:3], 0 offen offset:4
	buffer_load_dword v3, v4, s[0:3], 0 offen offset:8
	;; [unrolled: 1-line block ×3, first 2 shown]
	s_waitcnt vmcnt(0)
	ds_write_b128 v55, v[1:4]
	s_waitcnt lgkmcnt(0)
	s_barrier
	buffer_gl0_inv
	v_cmpx_gt_u32_e32 15, v0
	s_cbranch_execz .LBB24_75
; %bb.72:
	v_mov_b32_e32 v1, 0
	v_mov_b32_e32 v3, 0
	v_add_nc_u32_e32 v57, -1, v0
	v_add_nc_u32_e32 v58, 0x190, v61
	v_mov_b32_e32 v2, 0
	v_mov_b32_e32 v4, 0
	v_add_nc_u32_e32 v59, 16, v61
	s_mov_b32 s5, 0
	.p2align	6
.LBB24_73:                              ; =>This Inner Loop Header: Depth=1
	s_clause 0x3
	buffer_load_dword v66, v59, s[0:3], 0 offen offset:8
	buffer_load_dword v67, v59, s[0:3], 0 offen offset:12
	buffer_load_dword v68, v59, s[0:3], 0 offen
	buffer_load_dword v69, v59, s[0:3], 0 offen offset:4
	ds_read_b128 v[62:65], v58
	v_add_nc_u32_e32 v57, 1, v57
	v_add_nc_u32_e32 v58, 16, v58
	;; [unrolled: 1-line block ×3, first 2 shown]
	v_cmp_lt_u32_e32 vcc_lo, 13, v57
	s_or_b32 s5, vcc_lo, s5
	s_waitcnt vmcnt(2) lgkmcnt(0)
	v_mul_f64 v[70:71], v[64:65], v[66:67]
	v_mul_f64 v[66:67], v[62:63], v[66:67]
	s_waitcnt vmcnt(0)
	v_fma_f64 v[62:63], v[62:63], v[68:69], -v[70:71]
	v_fma_f64 v[64:65], v[64:65], v[68:69], v[66:67]
	v_add_f64 v[3:4], v[3:4], v[62:63]
	v_add_f64 v[1:2], v[1:2], v[64:65]
	s_andn2_b32 exec_lo, exec_lo, s5
	s_cbranch_execnz .LBB24_73
; %bb.74:
	s_or_b32 exec_lo, exec_lo, s5
	v_mov_b32_e32 v57, 0
	ds_read_b128 v[57:60], v57 offset:240
	s_waitcnt lgkmcnt(0)
	v_mul_f64 v[62:63], v[1:2], v[59:60]
	v_mul_f64 v[59:60], v[3:4], v[59:60]
	v_fma_f64 v[3:4], v[3:4], v[57:58], -v[62:63]
	v_fma_f64 v[1:2], v[1:2], v[57:58], v[59:60]
	buffer_store_dword v4, off, s[0:3], 0 offset:260
	buffer_store_dword v3, off, s[0:3], 0 offset:256
	;; [unrolled: 1-line block ×4, first 2 shown]
.LBB24_75:
	s_or_b32 exec_lo, exec_lo, s4
	v_mov_b32_e32 v4, s18
	s_waitcnt_vscnt null, 0x0
	s_barrier
	buffer_gl0_inv
	s_mov_b32 s4, exec_lo
	s_clause 0x3
	buffer_load_dword v1, v4, s[0:3], 0 offen
	buffer_load_dword v2, v4, s[0:3], 0 offen offset:4
	buffer_load_dword v3, v4, s[0:3], 0 offen offset:8
	;; [unrolled: 1-line block ×3, first 2 shown]
	s_waitcnt vmcnt(0)
	ds_write_b128 v55, v[1:4]
	s_waitcnt lgkmcnt(0)
	s_barrier
	buffer_gl0_inv
	v_cmpx_gt_u32_e32 16, v0
	s_cbranch_execz .LBB24_79
; %bb.76:
	v_mov_b32_e32 v1, 0
	v_mov_b32_e32 v3, 0
	v_add_nc_u32_e32 v57, -1, v0
	v_add_nc_u32_e32 v58, 0x190, v61
	v_mov_b32_e32 v2, 0
	v_mov_b32_e32 v4, 0
	v_add_nc_u32_e32 v59, 16, v61
	s_mov_b32 s5, 0
	.p2align	6
.LBB24_77:                              ; =>This Inner Loop Header: Depth=1
	s_clause 0x3
	buffer_load_dword v66, v59, s[0:3], 0 offen offset:8
	buffer_load_dword v67, v59, s[0:3], 0 offen offset:12
	buffer_load_dword v68, v59, s[0:3], 0 offen
	buffer_load_dword v69, v59, s[0:3], 0 offen offset:4
	ds_read_b128 v[62:65], v58
	v_add_nc_u32_e32 v57, 1, v57
	v_add_nc_u32_e32 v58, 16, v58
	;; [unrolled: 1-line block ×3, first 2 shown]
	v_cmp_lt_u32_e32 vcc_lo, 14, v57
	s_or_b32 s5, vcc_lo, s5
	s_waitcnt vmcnt(2) lgkmcnt(0)
	v_mul_f64 v[70:71], v[64:65], v[66:67]
	v_mul_f64 v[66:67], v[62:63], v[66:67]
	s_waitcnt vmcnt(0)
	v_fma_f64 v[62:63], v[62:63], v[68:69], -v[70:71]
	v_fma_f64 v[64:65], v[64:65], v[68:69], v[66:67]
	v_add_f64 v[3:4], v[3:4], v[62:63]
	v_add_f64 v[1:2], v[1:2], v[64:65]
	s_andn2_b32 exec_lo, exec_lo, s5
	s_cbranch_execnz .LBB24_77
; %bb.78:
	s_or_b32 exec_lo, exec_lo, s5
	v_mov_b32_e32 v57, 0
	ds_read_b128 v[57:60], v57 offset:256
	s_waitcnt lgkmcnt(0)
	v_mul_f64 v[62:63], v[1:2], v[59:60]
	v_mul_f64 v[59:60], v[3:4], v[59:60]
	v_fma_f64 v[3:4], v[3:4], v[57:58], -v[62:63]
	v_fma_f64 v[1:2], v[1:2], v[57:58], v[59:60]
	buffer_store_dword v4, off, s[0:3], 0 offset:276
	buffer_store_dword v3, off, s[0:3], 0 offset:272
	buffer_store_dword v2, off, s[0:3], 0 offset:284
	buffer_store_dword v1, off, s[0:3], 0 offset:280
.LBB24_79:
	s_or_b32 exec_lo, exec_lo, s4
	v_mov_b32_e32 v4, s17
	s_waitcnt_vscnt null, 0x0
	s_barrier
	buffer_gl0_inv
	s_mov_b32 s4, exec_lo
	s_clause 0x3
	buffer_load_dword v1, v4, s[0:3], 0 offen
	buffer_load_dword v2, v4, s[0:3], 0 offen offset:4
	buffer_load_dword v3, v4, s[0:3], 0 offen offset:8
	;; [unrolled: 1-line block ×3, first 2 shown]
	s_waitcnt vmcnt(0)
	ds_write_b128 v55, v[1:4]
	s_waitcnt lgkmcnt(0)
	s_barrier
	buffer_gl0_inv
	v_cmpx_gt_u32_e32 17, v0
	s_cbranch_execz .LBB24_83
; %bb.80:
	v_mov_b32_e32 v1, 0
	v_mov_b32_e32 v3, 0
	v_add_nc_u32_e32 v57, -1, v0
	v_add_nc_u32_e32 v58, 0x190, v61
	v_mov_b32_e32 v2, 0
	v_mov_b32_e32 v4, 0
	v_add_nc_u32_e32 v59, 16, v61
	s_mov_b32 s5, 0
	.p2align	6
.LBB24_81:                              ; =>This Inner Loop Header: Depth=1
	s_clause 0x3
	buffer_load_dword v66, v59, s[0:3], 0 offen offset:8
	buffer_load_dword v67, v59, s[0:3], 0 offen offset:12
	buffer_load_dword v68, v59, s[0:3], 0 offen
	buffer_load_dword v69, v59, s[0:3], 0 offen offset:4
	ds_read_b128 v[62:65], v58
	v_add_nc_u32_e32 v57, 1, v57
	v_add_nc_u32_e32 v58, 16, v58
	v_add_nc_u32_e32 v59, 16, v59
	v_cmp_lt_u32_e32 vcc_lo, 15, v57
	s_or_b32 s5, vcc_lo, s5
	s_waitcnt vmcnt(2) lgkmcnt(0)
	v_mul_f64 v[70:71], v[64:65], v[66:67]
	v_mul_f64 v[66:67], v[62:63], v[66:67]
	s_waitcnt vmcnt(0)
	v_fma_f64 v[62:63], v[62:63], v[68:69], -v[70:71]
	v_fma_f64 v[64:65], v[64:65], v[68:69], v[66:67]
	v_add_f64 v[3:4], v[3:4], v[62:63]
	v_add_f64 v[1:2], v[1:2], v[64:65]
	s_andn2_b32 exec_lo, exec_lo, s5
	s_cbranch_execnz .LBB24_81
; %bb.82:
	s_or_b32 exec_lo, exec_lo, s5
	v_mov_b32_e32 v57, 0
	ds_read_b128 v[57:60], v57 offset:272
	s_waitcnt lgkmcnt(0)
	v_mul_f64 v[62:63], v[1:2], v[59:60]
	v_mul_f64 v[59:60], v[3:4], v[59:60]
	v_fma_f64 v[3:4], v[3:4], v[57:58], -v[62:63]
	v_fma_f64 v[1:2], v[1:2], v[57:58], v[59:60]
	buffer_store_dword v4, off, s[0:3], 0 offset:292
	buffer_store_dword v3, off, s[0:3], 0 offset:288
	buffer_store_dword v2, off, s[0:3], 0 offset:300
	buffer_store_dword v1, off, s[0:3], 0 offset:296
.LBB24_83:
	s_or_b32 exec_lo, exec_lo, s4
	v_mov_b32_e32 v4, s16
	s_waitcnt_vscnt null, 0x0
	s_barrier
	buffer_gl0_inv
	s_mov_b32 s4, exec_lo
	s_clause 0x3
	buffer_load_dword v1, v4, s[0:3], 0 offen
	buffer_load_dword v2, v4, s[0:3], 0 offen offset:4
	buffer_load_dword v3, v4, s[0:3], 0 offen offset:8
	;; [unrolled: 1-line block ×3, first 2 shown]
	s_waitcnt vmcnt(0)
	ds_write_b128 v55, v[1:4]
	s_waitcnt lgkmcnt(0)
	s_barrier
	buffer_gl0_inv
	v_cmpx_gt_u32_e32 18, v0
	s_cbranch_execz .LBB24_87
; %bb.84:
	v_mov_b32_e32 v1, 0
	v_mov_b32_e32 v3, 0
	v_add_nc_u32_e32 v57, -1, v0
	v_add_nc_u32_e32 v58, 0x190, v61
	v_mov_b32_e32 v2, 0
	v_mov_b32_e32 v4, 0
	v_add_nc_u32_e32 v59, 16, v61
	s_mov_b32 s5, 0
	.p2align	6
.LBB24_85:                              ; =>This Inner Loop Header: Depth=1
	s_clause 0x3
	buffer_load_dword v66, v59, s[0:3], 0 offen offset:8
	buffer_load_dword v67, v59, s[0:3], 0 offen offset:12
	buffer_load_dword v68, v59, s[0:3], 0 offen
	buffer_load_dword v69, v59, s[0:3], 0 offen offset:4
	ds_read_b128 v[62:65], v58
	v_add_nc_u32_e32 v57, 1, v57
	v_add_nc_u32_e32 v58, 16, v58
	;; [unrolled: 1-line block ×3, first 2 shown]
	v_cmp_lt_u32_e32 vcc_lo, 16, v57
	s_or_b32 s5, vcc_lo, s5
	s_waitcnt vmcnt(2) lgkmcnt(0)
	v_mul_f64 v[70:71], v[64:65], v[66:67]
	v_mul_f64 v[66:67], v[62:63], v[66:67]
	s_waitcnt vmcnt(0)
	v_fma_f64 v[62:63], v[62:63], v[68:69], -v[70:71]
	v_fma_f64 v[64:65], v[64:65], v[68:69], v[66:67]
	v_add_f64 v[3:4], v[3:4], v[62:63]
	v_add_f64 v[1:2], v[1:2], v[64:65]
	s_andn2_b32 exec_lo, exec_lo, s5
	s_cbranch_execnz .LBB24_85
; %bb.86:
	s_or_b32 exec_lo, exec_lo, s5
	v_mov_b32_e32 v57, 0
	ds_read_b128 v[57:60], v57 offset:288
	s_waitcnt lgkmcnt(0)
	v_mul_f64 v[62:63], v[1:2], v[59:60]
	v_mul_f64 v[59:60], v[3:4], v[59:60]
	v_fma_f64 v[3:4], v[3:4], v[57:58], -v[62:63]
	v_fma_f64 v[1:2], v[1:2], v[57:58], v[59:60]
	buffer_store_dword v4, off, s[0:3], 0 offset:308
	buffer_store_dword v3, off, s[0:3], 0 offset:304
	;; [unrolled: 1-line block ×4, first 2 shown]
.LBB24_87:
	s_or_b32 exec_lo, exec_lo, s4
	v_mov_b32_e32 v4, s15
	s_waitcnt_vscnt null, 0x0
	s_barrier
	buffer_gl0_inv
	s_mov_b32 s4, exec_lo
	s_clause 0x3
	buffer_load_dword v1, v4, s[0:3], 0 offen
	buffer_load_dword v2, v4, s[0:3], 0 offen offset:4
	buffer_load_dword v3, v4, s[0:3], 0 offen offset:8
	;; [unrolled: 1-line block ×3, first 2 shown]
	s_waitcnt vmcnt(0)
	ds_write_b128 v55, v[1:4]
	s_waitcnt lgkmcnt(0)
	s_barrier
	buffer_gl0_inv
	v_cmpx_gt_u32_e32 19, v0
	s_cbranch_execz .LBB24_91
; %bb.88:
	v_mov_b32_e32 v1, 0
	v_mov_b32_e32 v3, 0
	v_add_nc_u32_e32 v57, -1, v0
	v_add_nc_u32_e32 v58, 0x190, v61
	v_mov_b32_e32 v2, 0
	v_mov_b32_e32 v4, 0
	v_add_nc_u32_e32 v59, 16, v61
	s_mov_b32 s5, 0
	.p2align	6
.LBB24_89:                              ; =>This Inner Loop Header: Depth=1
	s_clause 0x3
	buffer_load_dword v66, v59, s[0:3], 0 offen offset:8
	buffer_load_dword v67, v59, s[0:3], 0 offen offset:12
	buffer_load_dword v68, v59, s[0:3], 0 offen
	buffer_load_dword v69, v59, s[0:3], 0 offen offset:4
	ds_read_b128 v[62:65], v58
	v_add_nc_u32_e32 v57, 1, v57
	v_add_nc_u32_e32 v58, 16, v58
	;; [unrolled: 1-line block ×3, first 2 shown]
	v_cmp_lt_u32_e32 vcc_lo, 17, v57
	s_or_b32 s5, vcc_lo, s5
	s_waitcnt vmcnt(2) lgkmcnt(0)
	v_mul_f64 v[70:71], v[64:65], v[66:67]
	v_mul_f64 v[66:67], v[62:63], v[66:67]
	s_waitcnt vmcnt(0)
	v_fma_f64 v[62:63], v[62:63], v[68:69], -v[70:71]
	v_fma_f64 v[64:65], v[64:65], v[68:69], v[66:67]
	v_add_f64 v[3:4], v[3:4], v[62:63]
	v_add_f64 v[1:2], v[1:2], v[64:65]
	s_andn2_b32 exec_lo, exec_lo, s5
	s_cbranch_execnz .LBB24_89
; %bb.90:
	s_or_b32 exec_lo, exec_lo, s5
	v_mov_b32_e32 v57, 0
	ds_read_b128 v[57:60], v57 offset:304
	s_waitcnt lgkmcnt(0)
	v_mul_f64 v[62:63], v[1:2], v[59:60]
	v_mul_f64 v[59:60], v[3:4], v[59:60]
	v_fma_f64 v[3:4], v[3:4], v[57:58], -v[62:63]
	v_fma_f64 v[1:2], v[1:2], v[57:58], v[59:60]
	buffer_store_dword v4, off, s[0:3], 0 offset:324
	buffer_store_dword v3, off, s[0:3], 0 offset:320
	;; [unrolled: 1-line block ×4, first 2 shown]
.LBB24_91:
	s_or_b32 exec_lo, exec_lo, s4
	v_mov_b32_e32 v4, s14
	s_waitcnt_vscnt null, 0x0
	s_barrier
	buffer_gl0_inv
	s_mov_b32 s4, exec_lo
	s_clause 0x3
	buffer_load_dword v1, v4, s[0:3], 0 offen
	buffer_load_dword v2, v4, s[0:3], 0 offen offset:4
	buffer_load_dword v3, v4, s[0:3], 0 offen offset:8
	;; [unrolled: 1-line block ×3, first 2 shown]
	s_waitcnt vmcnt(0)
	ds_write_b128 v55, v[1:4]
	s_waitcnt lgkmcnt(0)
	s_barrier
	buffer_gl0_inv
	v_cmpx_gt_u32_e32 20, v0
	s_cbranch_execz .LBB24_95
; %bb.92:
	v_mov_b32_e32 v1, 0
	v_mov_b32_e32 v3, 0
	v_add_nc_u32_e32 v57, -1, v0
	v_add_nc_u32_e32 v58, 0x190, v61
	v_mov_b32_e32 v2, 0
	v_mov_b32_e32 v4, 0
	v_add_nc_u32_e32 v59, 16, v61
	s_mov_b32 s5, 0
	.p2align	6
.LBB24_93:                              ; =>This Inner Loop Header: Depth=1
	s_clause 0x3
	buffer_load_dword v66, v59, s[0:3], 0 offen offset:8
	buffer_load_dword v67, v59, s[0:3], 0 offen offset:12
	buffer_load_dword v68, v59, s[0:3], 0 offen
	buffer_load_dword v69, v59, s[0:3], 0 offen offset:4
	ds_read_b128 v[62:65], v58
	v_add_nc_u32_e32 v57, 1, v57
	v_add_nc_u32_e32 v58, 16, v58
	v_add_nc_u32_e32 v59, 16, v59
	v_cmp_lt_u32_e32 vcc_lo, 18, v57
	s_or_b32 s5, vcc_lo, s5
	s_waitcnt vmcnt(2) lgkmcnt(0)
	v_mul_f64 v[70:71], v[64:65], v[66:67]
	v_mul_f64 v[66:67], v[62:63], v[66:67]
	s_waitcnt vmcnt(0)
	v_fma_f64 v[62:63], v[62:63], v[68:69], -v[70:71]
	v_fma_f64 v[64:65], v[64:65], v[68:69], v[66:67]
	v_add_f64 v[3:4], v[3:4], v[62:63]
	v_add_f64 v[1:2], v[1:2], v[64:65]
	s_andn2_b32 exec_lo, exec_lo, s5
	s_cbranch_execnz .LBB24_93
; %bb.94:
	s_or_b32 exec_lo, exec_lo, s5
	v_mov_b32_e32 v57, 0
	ds_read_b128 v[57:60], v57 offset:320
	s_waitcnt lgkmcnt(0)
	v_mul_f64 v[62:63], v[1:2], v[59:60]
	v_mul_f64 v[59:60], v[3:4], v[59:60]
	v_fma_f64 v[3:4], v[3:4], v[57:58], -v[62:63]
	v_fma_f64 v[1:2], v[1:2], v[57:58], v[59:60]
	buffer_store_dword v4, off, s[0:3], 0 offset:340
	buffer_store_dword v3, off, s[0:3], 0 offset:336
	;; [unrolled: 1-line block ×4, first 2 shown]
.LBB24_95:
	s_or_b32 exec_lo, exec_lo, s4
	v_mov_b32_e32 v4, s13
	s_waitcnt_vscnt null, 0x0
	s_barrier
	buffer_gl0_inv
	s_mov_b32 s4, exec_lo
	s_clause 0x3
	buffer_load_dword v1, v4, s[0:3], 0 offen
	buffer_load_dword v2, v4, s[0:3], 0 offen offset:4
	buffer_load_dword v3, v4, s[0:3], 0 offen offset:8
	;; [unrolled: 1-line block ×3, first 2 shown]
	s_waitcnt vmcnt(0)
	ds_write_b128 v55, v[1:4]
	s_waitcnt lgkmcnt(0)
	s_barrier
	buffer_gl0_inv
	v_cmpx_gt_u32_e32 21, v0
	s_cbranch_execz .LBB24_99
; %bb.96:
	v_mov_b32_e32 v1, 0
	v_mov_b32_e32 v3, 0
	v_add_nc_u32_e32 v57, -1, v0
	v_add_nc_u32_e32 v58, 0x190, v61
	v_mov_b32_e32 v2, 0
	v_mov_b32_e32 v4, 0
	v_add_nc_u32_e32 v59, 16, v61
	s_mov_b32 s5, 0
	.p2align	6
.LBB24_97:                              ; =>This Inner Loop Header: Depth=1
	s_clause 0x3
	buffer_load_dword v66, v59, s[0:3], 0 offen offset:8
	buffer_load_dword v67, v59, s[0:3], 0 offen offset:12
	buffer_load_dword v68, v59, s[0:3], 0 offen
	buffer_load_dword v69, v59, s[0:3], 0 offen offset:4
	ds_read_b128 v[62:65], v58
	v_add_nc_u32_e32 v57, 1, v57
	v_add_nc_u32_e32 v58, 16, v58
	;; [unrolled: 1-line block ×3, first 2 shown]
	v_cmp_lt_u32_e32 vcc_lo, 19, v57
	s_or_b32 s5, vcc_lo, s5
	s_waitcnt vmcnt(2) lgkmcnt(0)
	v_mul_f64 v[70:71], v[64:65], v[66:67]
	v_mul_f64 v[66:67], v[62:63], v[66:67]
	s_waitcnt vmcnt(0)
	v_fma_f64 v[62:63], v[62:63], v[68:69], -v[70:71]
	v_fma_f64 v[64:65], v[64:65], v[68:69], v[66:67]
	v_add_f64 v[3:4], v[3:4], v[62:63]
	v_add_f64 v[1:2], v[1:2], v[64:65]
	s_andn2_b32 exec_lo, exec_lo, s5
	s_cbranch_execnz .LBB24_97
; %bb.98:
	s_or_b32 exec_lo, exec_lo, s5
	v_mov_b32_e32 v57, 0
	ds_read_b128 v[57:60], v57 offset:336
	s_waitcnt lgkmcnt(0)
	v_mul_f64 v[62:63], v[1:2], v[59:60]
	v_mul_f64 v[59:60], v[3:4], v[59:60]
	v_fma_f64 v[3:4], v[3:4], v[57:58], -v[62:63]
	v_fma_f64 v[1:2], v[1:2], v[57:58], v[59:60]
	buffer_store_dword v4, off, s[0:3], 0 offset:356
	buffer_store_dword v3, off, s[0:3], 0 offset:352
	buffer_store_dword v2, off, s[0:3], 0 offset:364
	buffer_store_dword v1, off, s[0:3], 0 offset:360
.LBB24_99:
	s_or_b32 exec_lo, exec_lo, s4
	v_mov_b32_e32 v4, s12
	s_waitcnt_vscnt null, 0x0
	s_barrier
	buffer_gl0_inv
	s_mov_b32 s4, exec_lo
	s_clause 0x3
	buffer_load_dword v1, v4, s[0:3], 0 offen
	buffer_load_dword v2, v4, s[0:3], 0 offen offset:4
	buffer_load_dword v3, v4, s[0:3], 0 offen offset:8
	;; [unrolled: 1-line block ×3, first 2 shown]
	s_waitcnt vmcnt(0)
	ds_write_b128 v55, v[1:4]
	s_waitcnt lgkmcnt(0)
	s_barrier
	buffer_gl0_inv
	v_cmpx_gt_u32_e32 22, v0
	s_cbranch_execz .LBB24_103
; %bb.100:
	v_mov_b32_e32 v1, 0
	v_mov_b32_e32 v3, 0
	v_add_nc_u32_e32 v57, -1, v0
	v_add_nc_u32_e32 v58, 0x190, v61
	v_mov_b32_e32 v2, 0
	v_mov_b32_e32 v4, 0
	v_add_nc_u32_e32 v59, 16, v61
	s_mov_b32 s5, 0
	.p2align	6
.LBB24_101:                             ; =>This Inner Loop Header: Depth=1
	s_clause 0x3
	buffer_load_dword v66, v59, s[0:3], 0 offen offset:8
	buffer_load_dword v67, v59, s[0:3], 0 offen offset:12
	buffer_load_dword v68, v59, s[0:3], 0 offen
	buffer_load_dword v69, v59, s[0:3], 0 offen offset:4
	ds_read_b128 v[62:65], v58
	v_add_nc_u32_e32 v57, 1, v57
	v_add_nc_u32_e32 v58, 16, v58
	;; [unrolled: 1-line block ×3, first 2 shown]
	v_cmp_lt_u32_e32 vcc_lo, 20, v57
	s_or_b32 s5, vcc_lo, s5
	s_waitcnt vmcnt(2) lgkmcnt(0)
	v_mul_f64 v[70:71], v[64:65], v[66:67]
	v_mul_f64 v[66:67], v[62:63], v[66:67]
	s_waitcnt vmcnt(0)
	v_fma_f64 v[62:63], v[62:63], v[68:69], -v[70:71]
	v_fma_f64 v[64:65], v[64:65], v[68:69], v[66:67]
	v_add_f64 v[3:4], v[3:4], v[62:63]
	v_add_f64 v[1:2], v[1:2], v[64:65]
	s_andn2_b32 exec_lo, exec_lo, s5
	s_cbranch_execnz .LBB24_101
; %bb.102:
	s_or_b32 exec_lo, exec_lo, s5
	v_mov_b32_e32 v57, 0
	ds_read_b128 v[57:60], v57 offset:352
	s_waitcnt lgkmcnt(0)
	v_mul_f64 v[62:63], v[1:2], v[59:60]
	v_mul_f64 v[59:60], v[3:4], v[59:60]
	v_fma_f64 v[3:4], v[3:4], v[57:58], -v[62:63]
	v_fma_f64 v[1:2], v[1:2], v[57:58], v[59:60]
	buffer_store_dword v4, off, s[0:3], 0 offset:372
	buffer_store_dword v3, off, s[0:3], 0 offset:368
	;; [unrolled: 1-line block ×4, first 2 shown]
.LBB24_103:
	s_or_b32 exec_lo, exec_lo, s4
	v_mov_b32_e32 v4, s9
	s_waitcnt_vscnt null, 0x0
	s_barrier
	buffer_gl0_inv
	s_mov_b32 s4, exec_lo
	s_clause 0x3
	buffer_load_dword v1, v4, s[0:3], 0 offen
	buffer_load_dword v2, v4, s[0:3], 0 offen offset:4
	buffer_load_dword v3, v4, s[0:3], 0 offen offset:8
	;; [unrolled: 1-line block ×3, first 2 shown]
	s_waitcnt vmcnt(0)
	ds_write_b128 v55, v[1:4]
	s_waitcnt lgkmcnt(0)
	s_barrier
	buffer_gl0_inv
	v_cmpx_gt_u32_e32 23, v0
	s_cbranch_execz .LBB24_107
; %bb.104:
	v_mov_b32_e32 v1, 0
	v_mov_b32_e32 v3, 0
	v_add_nc_u32_e32 v57, -1, v0
	v_add_nc_u32_e32 v58, 0x190, v61
	v_mov_b32_e32 v2, 0
	v_mov_b32_e32 v4, 0
	v_add_nc_u32_e32 v59, 16, v61
	s_mov_b32 s5, 0
	.p2align	6
.LBB24_105:                             ; =>This Inner Loop Header: Depth=1
	s_clause 0x3
	buffer_load_dword v66, v59, s[0:3], 0 offen offset:8
	buffer_load_dword v67, v59, s[0:3], 0 offen offset:12
	buffer_load_dword v68, v59, s[0:3], 0 offen
	buffer_load_dword v69, v59, s[0:3], 0 offen offset:4
	ds_read_b128 v[62:65], v58
	v_add_nc_u32_e32 v57, 1, v57
	v_add_nc_u32_e32 v58, 16, v58
	v_add_nc_u32_e32 v59, 16, v59
	v_cmp_lt_u32_e32 vcc_lo, 21, v57
	s_or_b32 s5, vcc_lo, s5
	s_waitcnt vmcnt(2) lgkmcnt(0)
	v_mul_f64 v[70:71], v[64:65], v[66:67]
	v_mul_f64 v[66:67], v[62:63], v[66:67]
	s_waitcnt vmcnt(0)
	v_fma_f64 v[62:63], v[62:63], v[68:69], -v[70:71]
	v_fma_f64 v[64:65], v[64:65], v[68:69], v[66:67]
	v_add_f64 v[3:4], v[3:4], v[62:63]
	v_add_f64 v[1:2], v[1:2], v[64:65]
	s_andn2_b32 exec_lo, exec_lo, s5
	s_cbranch_execnz .LBB24_105
; %bb.106:
	s_or_b32 exec_lo, exec_lo, s5
	v_mov_b32_e32 v57, 0
	ds_read_b128 v[57:60], v57 offset:368
	s_waitcnt lgkmcnt(0)
	v_mul_f64 v[62:63], v[1:2], v[59:60]
	v_mul_f64 v[59:60], v[3:4], v[59:60]
	v_fma_f64 v[3:4], v[3:4], v[57:58], -v[62:63]
	v_fma_f64 v[1:2], v[1:2], v[57:58], v[59:60]
	buffer_store_dword v4, off, s[0:3], 0 offset:388
	buffer_store_dword v3, off, s[0:3], 0 offset:384
	;; [unrolled: 1-line block ×4, first 2 shown]
.LBB24_107:
	s_or_b32 exec_lo, exec_lo, s4
	v_mov_b32_e32 v4, s8
	s_waitcnt_vscnt null, 0x0
	s_barrier
	buffer_gl0_inv
	s_mov_b32 s4, exec_lo
	s_clause 0x3
	buffer_load_dword v1, v4, s[0:3], 0 offen
	buffer_load_dword v2, v4, s[0:3], 0 offen offset:4
	buffer_load_dword v3, v4, s[0:3], 0 offen offset:8
	;; [unrolled: 1-line block ×3, first 2 shown]
	s_waitcnt vmcnt(0)
	ds_write_b128 v55, v[1:4]
	s_waitcnt lgkmcnt(0)
	s_barrier
	buffer_gl0_inv
	v_cmpx_ne_u32_e32 24, v0
	s_cbranch_execz .LBB24_111
; %bb.108:
	v_mov_b32_e32 v1, 0
	v_mov_b32_e32 v3, 0
	;; [unrolled: 1-line block ×4, first 2 shown]
	v_add_nc_u32_e32 v57, 16, v61
	s_mov_b32 s5, 0
	.p2align	6
.LBB24_109:                             ; =>This Inner Loop Header: Depth=1
	s_clause 0x3
	buffer_load_dword v62, v57, s[0:3], 0 offen offset:8
	buffer_load_dword v63, v57, s[0:3], 0 offen offset:12
	buffer_load_dword v64, v57, s[0:3], 0 offen
	buffer_load_dword v65, v57, s[0:3], 0 offen offset:4
	ds_read_b128 v[58:61], v55
	v_add_nc_u32_e32 v56, 1, v56
	v_add_nc_u32_e32 v55, 16, v55
	;; [unrolled: 1-line block ×3, first 2 shown]
	v_cmp_lt_u32_e32 vcc_lo, 22, v56
	s_or_b32 s5, vcc_lo, s5
	s_waitcnt vmcnt(2) lgkmcnt(0)
	v_mul_f64 v[66:67], v[60:61], v[62:63]
	v_mul_f64 v[62:63], v[58:59], v[62:63]
	s_waitcnt vmcnt(0)
	v_fma_f64 v[58:59], v[58:59], v[64:65], -v[66:67]
	v_fma_f64 v[60:61], v[60:61], v[64:65], v[62:63]
	v_add_f64 v[3:4], v[3:4], v[58:59]
	v_add_f64 v[1:2], v[1:2], v[60:61]
	s_andn2_b32 exec_lo, exec_lo, s5
	s_cbranch_execnz .LBB24_109
; %bb.110:
	s_or_b32 exec_lo, exec_lo, s5
	v_mov_b32_e32 v55, 0
	ds_read_b128 v[55:58], v55 offset:384
	s_waitcnt lgkmcnt(0)
	v_mul_f64 v[59:60], v[1:2], v[57:58]
	v_mul_f64 v[57:58], v[3:4], v[57:58]
	v_fma_f64 v[3:4], v[3:4], v[55:56], -v[59:60]
	v_fma_f64 v[1:2], v[1:2], v[55:56], v[57:58]
	buffer_store_dword v4, off, s[0:3], 0 offset:404
	buffer_store_dword v3, off, s[0:3], 0 offset:400
	;; [unrolled: 1-line block ×4, first 2 shown]
.LBB24_111:
	s_or_b32 exec_lo, exec_lo, s4
	s_mov_b32 s5, -1
	s_waitcnt_vscnt null, 0x0
	s_barrier
	buffer_gl0_inv
.LBB24_112:
	s_and_b32 vcc_lo, exec_lo, s5
	s_cbranch_vccz .LBB24_114
; %bb.113:
	s_lshl_b64 s[4:5], s[6:7], 2
	v_mov_b32_e32 v1, 0
	s_add_u32 s4, s10, s4
	s_addc_u32 s5, s11, s5
	global_load_dword v1, v1, s[4:5]
	s_waitcnt vmcnt(0)
	v_cmp_ne_u32_e32 vcc_lo, 0, v1
	s_cbranch_vccz .LBB24_115
.LBB24_114:
	s_endpgm
.LBB24_115:
	v_lshl_add_u32 v1, v0, 4, 0x190
	s_mov_b32 s4, exec_lo
	v_cmpx_eq_u32_e32 24, v0
	s_cbranch_execz .LBB24_117
; %bb.116:
	v_mov_b32_e32 v2, s9
	s_clause 0x3
	buffer_load_dword v55, v2, s[0:3], 0 offen
	buffer_load_dword v56, v2, s[0:3], 0 offen offset:4
	buffer_load_dword v57, v2, s[0:3], 0 offen offset:8
	;; [unrolled: 1-line block ×3, first 2 shown]
	v_mov_b32_e32 v2, 0
	buffer_store_dword v2, off, s[0:3], 0 offset:384
	buffer_store_dword v2, off, s[0:3], 0 offset:388
	;; [unrolled: 1-line block ×4, first 2 shown]
	s_waitcnt vmcnt(0)
	ds_write_b128 v1, v[55:58]
.LBB24_117:
	s_or_b32 exec_lo, exec_lo, s4
	s_waitcnt lgkmcnt(0)
	s_waitcnt_vscnt null, 0x0
	s_barrier
	buffer_gl0_inv
	s_clause 0x7
	buffer_load_dword v3, off, s[0:3], 0 offset:408
	buffer_load_dword v4, off, s[0:3], 0 offset:412
	;; [unrolled: 1-line block ×8, first 2 shown]
	v_mov_b32_e32 v2, 0
	s_mov_b32 s4, exec_lo
	ds_read_b128 v[55:58], v2 offset:784
	s_waitcnt vmcnt(6) lgkmcnt(0)
	v_mul_f64 v[65:66], v[57:58], v[3:4]
	v_mul_f64 v[3:4], v[55:56], v[3:4]
	s_waitcnt vmcnt(4)
	v_fma_f64 v[55:56], v[55:56], v[59:60], -v[65:66]
	v_fma_f64 v[3:4], v[57:58], v[59:60], v[3:4]
	v_add_f64 v[55:56], v[55:56], 0
	v_add_f64 v[3:4], v[3:4], 0
	s_waitcnt vmcnt(2)
	v_add_f64 v[55:56], v[61:62], -v[55:56]
	s_waitcnt vmcnt(0)
	v_add_f64 v[3:4], v[63:64], -v[3:4]
	buffer_store_dword v55, off, s[0:3], 0 offset:384
	buffer_store_dword v56, off, s[0:3], 0 offset:388
	;; [unrolled: 1-line block ×4, first 2 shown]
	v_cmpx_lt_u32_e32 22, v0
	s_cbranch_execz .LBB24_119
; %bb.118:
	v_mov_b32_e32 v3, s12
	s_clause 0x3
	buffer_load_dword v55, v3, s[0:3], 0 offen
	buffer_load_dword v56, v3, s[0:3], 0 offen offset:4
	buffer_load_dword v57, v3, s[0:3], 0 offen offset:8
	;; [unrolled: 1-line block ×3, first 2 shown]
	buffer_store_dword v2, off, s[0:3], 0 offset:368
	buffer_store_dword v2, off, s[0:3], 0 offset:372
	;; [unrolled: 1-line block ×4, first 2 shown]
	s_waitcnt vmcnt(0)
	ds_write_b128 v1, v[55:58]
.LBB24_119:
	s_or_b32 exec_lo, exec_lo, s4
	s_waitcnt lgkmcnt(0)
	s_waitcnt_vscnt null, 0x0
	s_barrier
	buffer_gl0_inv
	s_clause 0xb
	buffer_load_dword v3, off, s[0:3], 0 offset:392
	buffer_load_dword v4, off, s[0:3], 0 offset:396
	;; [unrolled: 1-line block ×12, first 2 shown]
	ds_read_b128 v[55:58], v2 offset:768
	ds_read_b128 v[59:62], v2 offset:784
	s_mov_b32 s4, exec_lo
	s_waitcnt vmcnt(10) lgkmcnt(1)
	v_mul_f64 v[73:74], v[57:58], v[3:4]
	v_mul_f64 v[2:3], v[55:56], v[3:4]
	s_waitcnt vmcnt(8) lgkmcnt(0)
	v_mul_f64 v[75:76], v[61:62], v[63:64]
	v_mul_f64 v[63:64], v[59:60], v[63:64]
	s_waitcnt vmcnt(6)
	v_fma_f64 v[55:56], v[55:56], v[65:66], -v[73:74]
	v_fma_f64 v[2:3], v[57:58], v[65:66], v[2:3]
	s_waitcnt vmcnt(4)
	v_fma_f64 v[57:58], v[59:60], v[67:68], -v[75:76]
	v_fma_f64 v[59:60], v[61:62], v[67:68], v[63:64]
	v_add_f64 v[55:56], v[55:56], 0
	v_add_f64 v[2:3], v[2:3], 0
	;; [unrolled: 1-line block ×4, first 2 shown]
	s_waitcnt vmcnt(2)
	v_add_f64 v[55:56], v[69:70], -v[55:56]
	s_waitcnt vmcnt(0)
	v_add_f64 v[2:3], v[71:72], -v[2:3]
	buffer_store_dword v55, off, s[0:3], 0 offset:368
	buffer_store_dword v56, off, s[0:3], 0 offset:372
	;; [unrolled: 1-line block ×4, first 2 shown]
	v_cmpx_lt_u32_e32 21, v0
	s_cbranch_execz .LBB24_121
; %bb.120:
	v_mov_b32_e32 v2, s13
	s_clause 0x3
	buffer_load_dword v55, v2, s[0:3], 0 offen
	buffer_load_dword v56, v2, s[0:3], 0 offen offset:4
	buffer_load_dword v57, v2, s[0:3], 0 offen offset:8
	;; [unrolled: 1-line block ×3, first 2 shown]
	v_mov_b32_e32 v2, 0
	buffer_store_dword v2, off, s[0:3], 0 offset:352
	buffer_store_dword v2, off, s[0:3], 0 offset:356
	;; [unrolled: 1-line block ×4, first 2 shown]
	s_waitcnt vmcnt(0)
	ds_write_b128 v1, v[55:58]
.LBB24_121:
	s_or_b32 exec_lo, exec_lo, s4
	s_waitcnt lgkmcnt(0)
	s_waitcnt_vscnt null, 0x0
	s_barrier
	buffer_gl0_inv
	s_clause 0xf
	buffer_load_dword v3, off, s[0:3], 0 offset:376
	buffer_load_dword v4, off, s[0:3], 0 offset:380
	;; [unrolled: 1-line block ×16, first 2 shown]
	v_mov_b32_e32 v2, 0
	ds_read_b128 v[55:58], v2 offset:752
	ds_read_b128 v[59:62], v2 offset:768
	;; [unrolled: 1-line block ×3, first 2 shown]
	s_mov_b32 s4, exec_lo
	s_waitcnt vmcnt(14) lgkmcnt(2)
	v_mul_f64 v[81:82], v[57:58], v[3:4]
	v_mul_f64 v[3:4], v[55:56], v[3:4]
	s_waitcnt vmcnt(12) lgkmcnt(1)
	v_mul_f64 v[83:84], v[61:62], v[67:68]
	v_mul_f64 v[67:68], v[59:60], v[67:68]
	s_waitcnt vmcnt(10)
	v_fma_f64 v[55:56], v[55:56], v[69:70], -v[81:82]
	v_fma_f64 v[3:4], v[57:58], v[69:70], v[3:4]
	s_waitcnt vmcnt(8) lgkmcnt(0)
	v_mul_f64 v[69:70], v[65:66], v[71:72]
	s_waitcnt vmcnt(6)
	v_fma_f64 v[59:60], v[59:60], v[73:74], -v[83:84]
	v_mul_f64 v[57:58], v[63:64], v[71:72]
	v_fma_f64 v[61:62], v[61:62], v[73:74], v[67:68]
	v_add_f64 v[55:56], v[55:56], 0
	v_add_f64 v[3:4], v[3:4], 0
	s_waitcnt vmcnt(4)
	v_fma_f64 v[63:64], v[63:64], v[75:76], -v[69:70]
	v_fma_f64 v[57:58], v[65:66], v[75:76], v[57:58]
	v_add_f64 v[55:56], v[55:56], v[59:60]
	v_add_f64 v[3:4], v[3:4], v[61:62]
	;; [unrolled: 1-line block ×4, first 2 shown]
	s_waitcnt vmcnt(2)
	v_add_f64 v[55:56], v[77:78], -v[55:56]
	s_waitcnt vmcnt(0)
	v_add_f64 v[3:4], v[79:80], -v[3:4]
	buffer_store_dword v55, off, s[0:3], 0 offset:352
	buffer_store_dword v56, off, s[0:3], 0 offset:356
	;; [unrolled: 1-line block ×4, first 2 shown]
	v_cmpx_lt_u32_e32 20, v0
	s_cbranch_execz .LBB24_123
; %bb.122:
	v_mov_b32_e32 v3, s14
	s_clause 0x3
	buffer_load_dword v55, v3, s[0:3], 0 offen
	buffer_load_dword v56, v3, s[0:3], 0 offen offset:4
	buffer_load_dword v57, v3, s[0:3], 0 offen offset:8
	buffer_load_dword v58, v3, s[0:3], 0 offen offset:12
	buffer_store_dword v2, off, s[0:3], 0 offset:336
	buffer_store_dword v2, off, s[0:3], 0 offset:340
	;; [unrolled: 1-line block ×4, first 2 shown]
	s_waitcnt vmcnt(0)
	ds_write_b128 v1, v[55:58]
.LBB24_123:
	s_or_b32 exec_lo, exec_lo, s4
	s_waitcnt lgkmcnt(0)
	s_waitcnt_vscnt null, 0x0
	s_barrier
	buffer_gl0_inv
	s_clause 0x13
	buffer_load_dword v3, off, s[0:3], 0 offset:360
	buffer_load_dword v4, off, s[0:3], 0 offset:364
	;; [unrolled: 1-line block ×20, first 2 shown]
	ds_read_b128 v[55:58], v2 offset:736
	ds_read_b128 v[59:62], v2 offset:752
	;; [unrolled: 1-line block ×3, first 2 shown]
	s_mov_b32 s4, exec_lo
	s_waitcnt vmcnt(18) lgkmcnt(2)
	v_mul_f64 v[85:86], v[57:58], v[3:4]
	v_mul_f64 v[3:4], v[55:56], v[3:4]
	s_waitcnt vmcnt(16) lgkmcnt(1)
	v_mul_f64 v[87:88], v[61:62], v[67:68]
	v_mul_f64 v[67:68], v[59:60], v[67:68]
	s_waitcnt vmcnt(14)
	v_fma_f64 v[85:86], v[55:56], v[69:70], -v[85:86]
	v_fma_f64 v[3:4], v[57:58], v[69:70], v[3:4]
	ds_read_b128 v[55:58], v2 offset:784
	s_waitcnt vmcnt(12) lgkmcnt(1)
	v_mul_f64 v[69:70], v[63:64], v[71:72]
	v_mul_f64 v[71:72], v[65:66], v[71:72]
	s_waitcnt vmcnt(10)
	v_fma_f64 v[59:60], v[59:60], v[73:74], -v[87:88]
	v_fma_f64 v[61:62], v[61:62], v[73:74], v[67:68]
	s_waitcnt vmcnt(8) lgkmcnt(0)
	v_mul_f64 v[73:74], v[57:58], v[75:76]
	v_add_f64 v[85:86], v[85:86], 0
	v_add_f64 v[2:3], v[3:4], 0
	v_mul_f64 v[67:68], v[55:56], v[75:76]
	s_waitcnt vmcnt(6)
	v_fma_f64 v[63:64], v[63:64], v[77:78], -v[71:72]
	v_fma_f64 v[65:66], v[65:66], v[77:78], v[69:70]
	s_waitcnt vmcnt(4)
	v_fma_f64 v[55:56], v[55:56], v[79:80], -v[73:74]
	v_add_f64 v[59:60], v[85:86], v[59:60]
	v_add_f64 v[2:3], v[2:3], v[61:62]
	v_fma_f64 v[57:58], v[57:58], v[79:80], v[67:68]
	v_add_f64 v[59:60], v[59:60], v[63:64]
	v_add_f64 v[2:3], v[2:3], v[65:66]
	;; [unrolled: 1-line block ×4, first 2 shown]
	s_waitcnt vmcnt(2)
	v_add_f64 v[55:56], v[81:82], -v[55:56]
	s_waitcnt vmcnt(0)
	v_add_f64 v[2:3], v[83:84], -v[2:3]
	buffer_store_dword v55, off, s[0:3], 0 offset:336
	buffer_store_dword v56, off, s[0:3], 0 offset:340
	buffer_store_dword v2, off, s[0:3], 0 offset:344
	buffer_store_dword v3, off, s[0:3], 0 offset:348
	v_cmpx_lt_u32_e32 19, v0
	s_cbranch_execz .LBB24_125
; %bb.124:
	v_mov_b32_e32 v2, s15
	s_clause 0x3
	buffer_load_dword v55, v2, s[0:3], 0 offen
	buffer_load_dword v56, v2, s[0:3], 0 offen offset:4
	buffer_load_dword v57, v2, s[0:3], 0 offen offset:8
	buffer_load_dword v58, v2, s[0:3], 0 offen offset:12
	v_mov_b32_e32 v2, 0
	buffer_store_dword v2, off, s[0:3], 0 offset:320
	buffer_store_dword v2, off, s[0:3], 0 offset:324
	;; [unrolled: 1-line block ×4, first 2 shown]
	s_waitcnt vmcnt(0)
	ds_write_b128 v1, v[55:58]
.LBB24_125:
	s_or_b32 exec_lo, exec_lo, s4
	s_waitcnt lgkmcnt(0)
	s_waitcnt_vscnt null, 0x0
	s_barrier
	buffer_gl0_inv
	s_clause 0x17
	buffer_load_dword v3, off, s[0:3], 0 offset:344
	buffer_load_dword v4, off, s[0:3], 0 offset:348
	;; [unrolled: 1-line block ×24, first 2 shown]
	v_mov_b32_e32 v2, 0
	ds_read_b128 v[55:58], v2 offset:720
	ds_read_b128 v[59:62], v2 offset:736
	;; [unrolled: 1-line block ×3, first 2 shown]
	s_mov_b32 s4, exec_lo
	s_waitcnt vmcnt(22) lgkmcnt(2)
	v_mul_f64 v[89:90], v[57:58], v[3:4]
	v_mul_f64 v[3:4], v[55:56], v[3:4]
	s_waitcnt vmcnt(20) lgkmcnt(1)
	v_mul_f64 v[91:92], v[61:62], v[67:68]
	v_mul_f64 v[67:68], v[59:60], v[67:68]
	s_waitcnt vmcnt(18)
	v_fma_f64 v[89:90], v[55:56], v[69:70], -v[89:90]
	v_fma_f64 v[3:4], v[57:58], v[69:70], v[3:4]
	ds_read_b128 v[55:58], v2 offset:768
	s_waitcnt vmcnt(16) lgkmcnt(1)
	v_mul_f64 v[69:70], v[63:64], v[71:72]
	v_mul_f64 v[71:72], v[65:66], v[71:72]
	s_waitcnt vmcnt(14)
	v_fma_f64 v[91:92], v[59:60], v[73:74], -v[91:92]
	v_fma_f64 v[67:68], v[61:62], v[73:74], v[67:68]
	ds_read_b128 v[59:62], v2 offset:784
	s_waitcnt vmcnt(10) lgkmcnt(1)
	v_mul_f64 v[73:74], v[55:56], v[75:76]
	v_add_f64 v[89:90], v[89:90], 0
	v_add_f64 v[3:4], v[3:4], 0
	v_mul_f64 v[75:76], v[57:58], v[75:76]
	s_waitcnt vmcnt(8)
	v_fma_f64 v[63:64], v[63:64], v[81:82], -v[71:72]
	v_fma_f64 v[65:66], v[65:66], v[81:82], v[69:70]
	s_waitcnt vmcnt(7) lgkmcnt(0)
	v_mul_f64 v[69:70], v[61:62], v[77:78]
	s_waitcnt vmcnt(5)
	v_fma_f64 v[57:58], v[57:58], v[83:84], v[73:74]
	v_add_f64 v[71:72], v[89:90], v[91:92]
	v_add_f64 v[3:4], v[3:4], v[67:68]
	v_fma_f64 v[55:56], v[55:56], v[83:84], -v[75:76]
	v_mul_f64 v[67:68], v[59:60], v[77:78]
	s_waitcnt vmcnt(4)
	v_fma_f64 v[59:60], v[59:60], v[79:80], -v[69:70]
	v_add_f64 v[63:64], v[71:72], v[63:64]
	v_add_f64 v[3:4], v[3:4], v[65:66]
	v_fma_f64 v[61:62], v[61:62], v[79:80], v[67:68]
	v_add_f64 v[55:56], v[63:64], v[55:56]
	v_add_f64 v[3:4], v[3:4], v[57:58]
	;; [unrolled: 1-line block ×4, first 2 shown]
	s_waitcnt vmcnt(2)
	v_add_f64 v[55:56], v[85:86], -v[55:56]
	s_waitcnt vmcnt(0)
	v_add_f64 v[3:4], v[87:88], -v[3:4]
	buffer_store_dword v56, off, s[0:3], 0 offset:324
	buffer_store_dword v55, off, s[0:3], 0 offset:320
	;; [unrolled: 1-line block ×4, first 2 shown]
	v_cmpx_lt_u32_e32 18, v0
	s_cbranch_execz .LBB24_127
; %bb.126:
	v_mov_b32_e32 v3, s16
	s_clause 0x3
	buffer_load_dword v55, v3, s[0:3], 0 offen
	buffer_load_dword v56, v3, s[0:3], 0 offen offset:4
	buffer_load_dword v57, v3, s[0:3], 0 offen offset:8
	;; [unrolled: 1-line block ×3, first 2 shown]
	buffer_store_dword v2, off, s[0:3], 0 offset:304
	buffer_store_dword v2, off, s[0:3], 0 offset:308
	;; [unrolled: 1-line block ×4, first 2 shown]
	s_waitcnt vmcnt(0)
	ds_write_b128 v1, v[55:58]
.LBB24_127:
	s_or_b32 exec_lo, exec_lo, s4
	s_waitcnt lgkmcnt(0)
	s_waitcnt_vscnt null, 0x0
	s_barrier
	buffer_gl0_inv
	s_clause 0x1b
	buffer_load_dword v3, off, s[0:3], 0 offset:328
	buffer_load_dword v4, off, s[0:3], 0 offset:332
	;; [unrolled: 1-line block ×28, first 2 shown]
	ds_read_b128 v[55:58], v2 offset:704
	ds_read_b128 v[59:62], v2 offset:720
	;; [unrolled: 1-line block ×3, first 2 shown]
	s_mov_b32 s4, exec_lo
	s_waitcnt vmcnt(26) lgkmcnt(2)
	v_mul_f64 v[93:94], v[57:58], v[3:4]
	v_mul_f64 v[3:4], v[55:56], v[3:4]
	s_waitcnt vmcnt(24) lgkmcnt(1)
	v_mul_f64 v[95:96], v[61:62], v[67:68]
	v_mul_f64 v[67:68], v[59:60], v[67:68]
	s_waitcnt vmcnt(22)
	v_fma_f64 v[93:94], v[55:56], v[69:70], -v[93:94]
	v_fma_f64 v[3:4], v[57:58], v[69:70], v[3:4]
	ds_read_b128 v[55:58], v2 offset:752
	s_waitcnt vmcnt(20) lgkmcnt(1)
	v_mul_f64 v[69:70], v[63:64], v[71:72]
	v_mul_f64 v[71:72], v[65:66], v[71:72]
	s_waitcnt vmcnt(18)
	v_fma_f64 v[95:96], v[59:60], v[73:74], -v[95:96]
	v_fma_f64 v[67:68], v[61:62], v[73:74], v[67:68]
	ds_read_b128 v[59:62], v2 offset:768
	s_waitcnt vmcnt(14) lgkmcnt(1)
	v_mul_f64 v[73:74], v[55:56], v[75:76]
	v_add_f64 v[93:94], v[93:94], 0
	v_add_f64 v[3:4], v[3:4], 0
	v_mul_f64 v[75:76], v[57:58], v[75:76]
	s_waitcnt vmcnt(12)
	v_fma_f64 v[71:72], v[63:64], v[81:82], -v[71:72]
	v_fma_f64 v[69:70], v[65:66], v[81:82], v[69:70]
	ds_read_b128 v[63:66], v2 offset:784
	s_waitcnt vmcnt(9)
	v_fma_f64 v[57:58], v[57:58], v[83:84], v[73:74]
	v_add_f64 v[93:94], v[93:94], v[95:96]
	v_add_f64 v[3:4], v[3:4], v[67:68]
	s_waitcnt lgkmcnt(1)
	v_mul_f64 v[67:68], v[59:60], v[77:78]
	v_mul_f64 v[77:78], v[61:62], v[77:78]
	v_fma_f64 v[55:56], v[55:56], v[83:84], -v[75:76]
	s_waitcnt vmcnt(7) lgkmcnt(0)
	v_mul_f64 v[73:74], v[65:66], v[85:86]
	v_add_f64 v[71:72], v[93:94], v[71:72]
	v_add_f64 v[2:3], v[3:4], v[69:70]
	v_mul_f64 v[69:70], v[63:64], v[85:86]
	s_waitcnt vmcnt(6)
	v_fma_f64 v[59:60], v[59:60], v[79:80], -v[77:78]
	v_fma_f64 v[61:62], v[61:62], v[79:80], v[67:68]
	v_add_f64 v[55:56], v[71:72], v[55:56]
	v_add_f64 v[2:3], v[2:3], v[57:58]
	s_waitcnt vmcnt(4)
	v_fma_f64 v[57:58], v[63:64], v[87:88], -v[73:74]
	v_add_f64 v[55:56], v[55:56], v[59:60]
	v_fma_f64 v[59:60], v[65:66], v[87:88], v[69:70]
	v_add_f64 v[2:3], v[2:3], v[61:62]
	v_add_f64 v[55:56], v[55:56], v[57:58]
	;; [unrolled: 1-line block ×3, first 2 shown]
	s_waitcnt vmcnt(2)
	v_add_f64 v[55:56], v[89:90], -v[55:56]
	s_waitcnt vmcnt(0)
	v_add_f64 v[2:3], v[91:92], -v[2:3]
	buffer_store_dword v56, off, s[0:3], 0 offset:308
	buffer_store_dword v55, off, s[0:3], 0 offset:304
	;; [unrolled: 1-line block ×4, first 2 shown]
	v_cmpx_lt_u32_e32 17, v0
	s_cbranch_execz .LBB24_129
; %bb.128:
	v_mov_b32_e32 v2, s17
	s_clause 0x3
	buffer_load_dword v55, v2, s[0:3], 0 offen
	buffer_load_dword v56, v2, s[0:3], 0 offen offset:4
	buffer_load_dword v57, v2, s[0:3], 0 offen offset:8
	;; [unrolled: 1-line block ×3, first 2 shown]
	v_mov_b32_e32 v2, 0
	buffer_store_dword v2, off, s[0:3], 0 offset:288
	buffer_store_dword v2, off, s[0:3], 0 offset:292
	;; [unrolled: 1-line block ×4, first 2 shown]
	s_waitcnt vmcnt(0)
	ds_write_b128 v1, v[55:58]
.LBB24_129:
	s_or_b32 exec_lo, exec_lo, s4
	s_waitcnt lgkmcnt(0)
	s_waitcnt_vscnt null, 0x0
	s_barrier
	buffer_gl0_inv
	s_clause 0x1f
	buffer_load_dword v3, off, s[0:3], 0 offset:312
	buffer_load_dword v4, off, s[0:3], 0 offset:316
	;; [unrolled: 1-line block ×32, first 2 shown]
	v_mov_b32_e32 v2, 0
	ds_read_b128 v[55:58], v2 offset:688
	ds_read_b128 v[59:62], v2 offset:704
	;; [unrolled: 1-line block ×3, first 2 shown]
	s_mov_b32 s4, exec_lo
	s_waitcnt vmcnt(30) lgkmcnt(2)
	v_mul_f64 v[97:98], v[57:58], v[3:4]
	v_mul_f64 v[3:4], v[55:56], v[3:4]
	s_waitcnt vmcnt(28) lgkmcnt(1)
	v_mul_f64 v[99:100], v[61:62], v[67:68]
	v_mul_f64 v[67:68], v[59:60], v[67:68]
	s_waitcnt vmcnt(26)
	v_fma_f64 v[97:98], v[55:56], v[69:70], -v[97:98]
	v_fma_f64 v[3:4], v[57:58], v[69:70], v[3:4]
	ds_read_b128 v[55:58], v2 offset:736
	s_waitcnt vmcnt(24) lgkmcnt(1)
	v_mul_f64 v[69:70], v[63:64], v[71:72]
	v_mul_f64 v[71:72], v[65:66], v[71:72]
	s_waitcnt vmcnt(22)
	v_fma_f64 v[99:100], v[59:60], v[73:74], -v[99:100]
	v_fma_f64 v[67:68], v[61:62], v[73:74], v[67:68]
	ds_read_b128 v[59:62], v2 offset:752
	s_waitcnt vmcnt(18) lgkmcnt(1)
	v_mul_f64 v[73:74], v[55:56], v[75:76]
	v_add_f64 v[97:98], v[97:98], 0
	v_add_f64 v[3:4], v[3:4], 0
	v_mul_f64 v[75:76], v[57:58], v[75:76]
	s_waitcnt vmcnt(16)
	v_fma_f64 v[71:72], v[63:64], v[81:82], -v[71:72]
	v_fma_f64 v[69:70], v[65:66], v[81:82], v[69:70]
	ds_read_b128 v[63:66], v2 offset:768
	s_waitcnt vmcnt(13)
	v_fma_f64 v[73:74], v[57:58], v[83:84], v[73:74]
	v_add_f64 v[97:98], v[97:98], v[99:100]
	v_add_f64 v[3:4], v[3:4], v[67:68]
	s_waitcnt lgkmcnt(1)
	v_mul_f64 v[67:68], v[59:60], v[77:78]
	v_mul_f64 v[77:78], v[61:62], v[77:78]
	v_fma_f64 v[75:76], v[55:56], v[83:84], -v[75:76]
	s_waitcnt vmcnt(9) lgkmcnt(0)
	v_mul_f64 v[81:82], v[65:66], v[85:86]
	ds_read_b128 v[55:58], v2 offset:784
	v_add_f64 v[71:72], v[97:98], v[71:72]
	v_add_f64 v[3:4], v[3:4], v[69:70]
	v_mul_f64 v[69:70], v[63:64], v[85:86]
	s_waitcnt vmcnt(8)
	v_fma_f64 v[59:60], v[59:60], v[79:80], -v[77:78]
	v_fma_f64 v[61:62], v[61:62], v[79:80], v[67:68]
	s_waitcnt vmcnt(5)
	v_fma_f64 v[63:64], v[63:64], v[91:92], -v[81:82]
	s_waitcnt lgkmcnt(0)
	v_mul_f64 v[67:68], v[55:56], v[87:88]
	v_add_f64 v[71:72], v[71:72], v[75:76]
	v_add_f64 v[3:4], v[3:4], v[73:74]
	v_mul_f64 v[73:74], v[57:58], v[87:88]
	v_fma_f64 v[65:66], v[65:66], v[91:92], v[69:70]
	s_waitcnt vmcnt(4)
	v_fma_f64 v[57:58], v[57:58], v[89:90], v[67:68]
	v_add_f64 v[59:60], v[71:72], v[59:60]
	v_add_f64 v[3:4], v[3:4], v[61:62]
	v_fma_f64 v[55:56], v[55:56], v[89:90], -v[73:74]
	v_add_f64 v[59:60], v[59:60], v[63:64]
	v_add_f64 v[3:4], v[3:4], v[65:66]
	;; [unrolled: 1-line block ×4, first 2 shown]
	s_waitcnt vmcnt(2)
	v_add_f64 v[55:56], v[93:94], -v[55:56]
	s_waitcnt vmcnt(0)
	v_add_f64 v[3:4], v[95:96], -v[3:4]
	buffer_store_dword v56, off, s[0:3], 0 offset:292
	buffer_store_dword v55, off, s[0:3], 0 offset:288
	;; [unrolled: 1-line block ×4, first 2 shown]
	v_cmpx_lt_u32_e32 16, v0
	s_cbranch_execz .LBB24_131
; %bb.130:
	v_mov_b32_e32 v3, s18
	s_clause 0x3
	buffer_load_dword v55, v3, s[0:3], 0 offen
	buffer_load_dword v56, v3, s[0:3], 0 offen offset:4
	buffer_load_dword v57, v3, s[0:3], 0 offen offset:8
	;; [unrolled: 1-line block ×3, first 2 shown]
	buffer_store_dword v2, off, s[0:3], 0 offset:272
	buffer_store_dword v2, off, s[0:3], 0 offset:276
	;; [unrolled: 1-line block ×4, first 2 shown]
	s_waitcnt vmcnt(0)
	ds_write_b128 v1, v[55:58]
.LBB24_131:
	s_or_b32 exec_lo, exec_lo, s4
	s_waitcnt lgkmcnt(0)
	s_waitcnt_vscnt null, 0x0
	s_barrier
	buffer_gl0_inv
	s_clause 0x23
	buffer_load_dword v3, off, s[0:3], 0 offset:296
	buffer_load_dword v4, off, s[0:3], 0 offset:300
	;; [unrolled: 1-line block ×36, first 2 shown]
	ds_read_b128 v[55:58], v2 offset:672
	ds_read_b128 v[59:62], v2 offset:688
	;; [unrolled: 1-line block ×3, first 2 shown]
	s_mov_b32 s4, exec_lo
	s_waitcnt vmcnt(34) lgkmcnt(2)
	v_mul_f64 v[101:102], v[57:58], v[3:4]
	v_mul_f64 v[3:4], v[55:56], v[3:4]
	s_waitcnt vmcnt(32) lgkmcnt(1)
	v_mul_f64 v[103:104], v[61:62], v[67:68]
	v_mul_f64 v[67:68], v[59:60], v[67:68]
	s_waitcnt vmcnt(30)
	v_fma_f64 v[101:102], v[55:56], v[69:70], -v[101:102]
	v_fma_f64 v[3:4], v[57:58], v[69:70], v[3:4]
	ds_read_b128 v[55:58], v2 offset:720
	s_waitcnt vmcnt(28) lgkmcnt(1)
	v_mul_f64 v[69:70], v[63:64], v[71:72]
	v_mul_f64 v[71:72], v[65:66], v[71:72]
	s_waitcnt vmcnt(26)
	v_fma_f64 v[103:104], v[59:60], v[73:74], -v[103:104]
	v_fma_f64 v[67:68], v[61:62], v[73:74], v[67:68]
	ds_read_b128 v[59:62], v2 offset:736
	s_waitcnt vmcnt(22) lgkmcnt(1)
	v_mul_f64 v[73:74], v[55:56], v[75:76]
	v_add_f64 v[101:102], v[101:102], 0
	v_add_f64 v[3:4], v[3:4], 0
	v_mul_f64 v[75:76], v[57:58], v[75:76]
	s_waitcnt vmcnt(20)
	v_fma_f64 v[71:72], v[63:64], v[81:82], -v[71:72]
	v_fma_f64 v[69:70], v[65:66], v[81:82], v[69:70]
	ds_read_b128 v[63:66], v2 offset:752
	s_waitcnt vmcnt(17)
	v_fma_f64 v[73:74], v[57:58], v[83:84], v[73:74]
	v_add_f64 v[101:102], v[101:102], v[103:104]
	v_add_f64 v[3:4], v[3:4], v[67:68]
	s_waitcnt lgkmcnt(1)
	v_mul_f64 v[67:68], v[59:60], v[77:78]
	v_mul_f64 v[77:78], v[61:62], v[77:78]
	v_fma_f64 v[75:76], v[55:56], v[83:84], -v[75:76]
	s_waitcnt vmcnt(13) lgkmcnt(0)
	v_mul_f64 v[81:82], v[65:66], v[85:86]
	ds_read_b128 v[55:58], v2 offset:768
	v_add_f64 v[71:72], v[101:102], v[71:72]
	v_add_f64 v[3:4], v[3:4], v[69:70]
	v_mul_f64 v[69:70], v[63:64], v[85:86]
	s_waitcnt vmcnt(12)
	v_fma_f64 v[77:78], v[59:60], v[79:80], -v[77:78]
	v_fma_f64 v[67:68], v[61:62], v[79:80], v[67:68]
	ds_read_b128 v[59:62], v2 offset:784
	s_waitcnt vmcnt(9)
	v_fma_f64 v[63:64], v[63:64], v[91:92], -v[81:82]
	v_add_f64 v[71:72], v[71:72], v[75:76]
	v_add_f64 v[3:4], v[3:4], v[73:74]
	s_waitcnt lgkmcnt(1)
	v_mul_f64 v[75:76], v[57:58], v[87:88]
	v_mul_f64 v[73:74], v[55:56], v[87:88]
	v_fma_f64 v[65:66], v[65:66], v[91:92], v[69:70]
	s_waitcnt vmcnt(7) lgkmcnt(0)
	v_mul_f64 v[69:70], v[61:62], v[93:94]
	v_add_f64 v[71:72], v[71:72], v[77:78]
	v_add_f64 v[2:3], v[3:4], v[67:68]
	s_waitcnt vmcnt(6)
	v_fma_f64 v[55:56], v[55:56], v[89:90], -v[75:76]
	v_mul_f64 v[67:68], v[59:60], v[93:94]
	v_fma_f64 v[57:58], v[57:58], v[89:90], v[73:74]
	s_waitcnt vmcnt(4)
	v_fma_f64 v[59:60], v[59:60], v[95:96], -v[69:70]
	v_add_f64 v[63:64], v[71:72], v[63:64]
	v_add_f64 v[2:3], v[2:3], v[65:66]
	v_fma_f64 v[61:62], v[61:62], v[95:96], v[67:68]
	v_add_f64 v[55:56], v[63:64], v[55:56]
	v_add_f64 v[2:3], v[2:3], v[57:58]
	v_add_f64 v[55:56], v[55:56], v[59:60]
	v_add_f64 v[2:3], v[2:3], v[61:62]
	s_waitcnt vmcnt(2)
	v_add_f64 v[55:56], v[97:98], -v[55:56]
	s_waitcnt vmcnt(0)
	v_add_f64 v[2:3], v[99:100], -v[2:3]
	buffer_store_dword v56, off, s[0:3], 0 offset:276
	buffer_store_dword v55, off, s[0:3], 0 offset:272
	buffer_store_dword v3, off, s[0:3], 0 offset:284
	buffer_store_dword v2, off, s[0:3], 0 offset:280
	v_cmpx_lt_u32_e32 15, v0
	s_cbranch_execz .LBB24_133
; %bb.132:
	v_mov_b32_e32 v2, s19
	s_clause 0x3
	buffer_load_dword v55, v2, s[0:3], 0 offen
	buffer_load_dword v56, v2, s[0:3], 0 offen offset:4
	buffer_load_dword v57, v2, s[0:3], 0 offen offset:8
	;; [unrolled: 1-line block ×3, first 2 shown]
	v_mov_b32_e32 v2, 0
	buffer_store_dword v2, off, s[0:3], 0 offset:256
	buffer_store_dword v2, off, s[0:3], 0 offset:260
	;; [unrolled: 1-line block ×4, first 2 shown]
	s_waitcnt vmcnt(0)
	ds_write_b128 v1, v[55:58]
.LBB24_133:
	s_or_b32 exec_lo, exec_lo, s4
	s_waitcnt lgkmcnt(0)
	s_waitcnt_vscnt null, 0x0
	s_barrier
	buffer_gl0_inv
	s_clause 0x27
	buffer_load_dword v3, off, s[0:3], 0 offset:280
	buffer_load_dword v4, off, s[0:3], 0 offset:284
	;; [unrolled: 1-line block ×40, first 2 shown]
	v_mov_b32_e32 v2, 0
	ds_read_b128 v[55:58], v2 offset:656
	ds_read_b128 v[59:62], v2 offset:672
	;; [unrolled: 1-line block ×3, first 2 shown]
	s_mov_b32 s4, exec_lo
	s_waitcnt vmcnt(38) lgkmcnt(2)
	v_mul_f64 v[105:106], v[57:58], v[3:4]
	v_mul_f64 v[3:4], v[55:56], v[3:4]
	s_waitcnt vmcnt(36) lgkmcnt(1)
	v_mul_f64 v[107:108], v[61:62], v[67:68]
	v_mul_f64 v[67:68], v[59:60], v[67:68]
	s_waitcnt vmcnt(34)
	v_fma_f64 v[105:106], v[55:56], v[69:70], -v[105:106]
	v_fma_f64 v[3:4], v[57:58], v[69:70], v[3:4]
	ds_read_b128 v[55:58], v2 offset:704
	s_waitcnt vmcnt(32) lgkmcnt(1)
	v_mul_f64 v[69:70], v[63:64], v[71:72]
	v_mul_f64 v[71:72], v[65:66], v[71:72]
	s_waitcnt vmcnt(30)
	v_fma_f64 v[107:108], v[59:60], v[73:74], -v[107:108]
	v_fma_f64 v[67:68], v[61:62], v[73:74], v[67:68]
	ds_read_b128 v[59:62], v2 offset:720
	s_waitcnt vmcnt(26) lgkmcnt(1)
	v_mul_f64 v[73:74], v[55:56], v[75:76]
	v_add_f64 v[105:106], v[105:106], 0
	v_add_f64 v[3:4], v[3:4], 0
	v_mul_f64 v[75:76], v[57:58], v[75:76]
	s_waitcnt vmcnt(24)
	v_fma_f64 v[71:72], v[63:64], v[81:82], -v[71:72]
	v_fma_f64 v[69:70], v[65:66], v[81:82], v[69:70]
	ds_read_b128 v[63:66], v2 offset:736
	s_waitcnt vmcnt(21)
	v_fma_f64 v[73:74], v[57:58], v[83:84], v[73:74]
	v_add_f64 v[105:106], v[105:106], v[107:108]
	v_add_f64 v[3:4], v[3:4], v[67:68]
	s_waitcnt lgkmcnt(1)
	v_mul_f64 v[67:68], v[59:60], v[77:78]
	v_mul_f64 v[77:78], v[61:62], v[77:78]
	v_fma_f64 v[75:76], v[55:56], v[83:84], -v[75:76]
	s_waitcnt vmcnt(17) lgkmcnt(0)
	v_mul_f64 v[81:82], v[65:66], v[85:86]
	ds_read_b128 v[55:58], v2 offset:752
	v_add_f64 v[71:72], v[105:106], v[71:72]
	v_add_f64 v[3:4], v[3:4], v[69:70]
	v_mul_f64 v[69:70], v[63:64], v[85:86]
	s_waitcnt vmcnt(16)
	v_fma_f64 v[77:78], v[59:60], v[79:80], -v[77:78]
	v_fma_f64 v[67:68], v[61:62], v[79:80], v[67:68]
	ds_read_b128 v[59:62], v2 offset:768
	s_waitcnt vmcnt(13)
	v_fma_f64 v[79:80], v[63:64], v[91:92], -v[81:82]
	v_add_f64 v[71:72], v[71:72], v[75:76]
	v_add_f64 v[3:4], v[3:4], v[73:74]
	s_waitcnt lgkmcnt(1)
	v_mul_f64 v[75:76], v[57:58], v[87:88]
	v_mul_f64 v[73:74], v[55:56], v[87:88]
	v_fma_f64 v[69:70], v[65:66], v[91:92], v[69:70]
	ds_read_b128 v[63:66], v2 offset:784
	v_add_f64 v[71:72], v[71:72], v[77:78]
	v_add_f64 v[3:4], v[3:4], v[67:68]
	s_waitcnt vmcnt(9) lgkmcnt(1)
	v_mul_f64 v[77:78], v[61:62], v[93:94]
	s_waitcnt vmcnt(8)
	v_fma_f64 v[55:56], v[55:56], v[89:90], -v[75:76]
	v_mul_f64 v[67:68], v[59:60], v[93:94]
	v_fma_f64 v[57:58], v[57:58], v[89:90], v[73:74]
	s_waitcnt vmcnt(7) lgkmcnt(0)
	v_mul_f64 v[73:74], v[65:66], v[95:96]
	v_add_f64 v[71:72], v[71:72], v[79:80]
	v_add_f64 v[3:4], v[3:4], v[69:70]
	s_waitcnt vmcnt(5)
	v_fma_f64 v[59:60], v[59:60], v[99:100], -v[77:78]
	v_mul_f64 v[69:70], v[63:64], v[95:96]
	v_fma_f64 v[61:62], v[61:62], v[99:100], v[67:68]
	v_add_f64 v[55:56], v[71:72], v[55:56]
	v_add_f64 v[3:4], v[3:4], v[57:58]
	s_waitcnt vmcnt(4)
	v_fma_f64 v[57:58], v[63:64], v[97:98], -v[73:74]
	v_add_f64 v[55:56], v[55:56], v[59:60]
	v_fma_f64 v[59:60], v[65:66], v[97:98], v[69:70]
	v_add_f64 v[3:4], v[3:4], v[61:62]
	v_add_f64 v[55:56], v[55:56], v[57:58]
	;; [unrolled: 1-line block ×3, first 2 shown]
	s_waitcnt vmcnt(2)
	v_add_f64 v[55:56], v[101:102], -v[55:56]
	s_waitcnt vmcnt(0)
	v_add_f64 v[3:4], v[103:104], -v[3:4]
	buffer_store_dword v56, off, s[0:3], 0 offset:260
	buffer_store_dword v55, off, s[0:3], 0 offset:256
	;; [unrolled: 1-line block ×4, first 2 shown]
	v_cmpx_lt_u32_e32 14, v0
	s_cbranch_execz .LBB24_135
; %bb.134:
	v_mov_b32_e32 v3, s22
	s_clause 0x3
	buffer_load_dword v55, v3, s[0:3], 0 offen
	buffer_load_dword v56, v3, s[0:3], 0 offen offset:4
	buffer_load_dword v57, v3, s[0:3], 0 offen offset:8
	;; [unrolled: 1-line block ×3, first 2 shown]
	buffer_store_dword v2, off, s[0:3], 0 offset:240
	buffer_store_dword v2, off, s[0:3], 0 offset:244
	;; [unrolled: 1-line block ×4, first 2 shown]
	s_waitcnt vmcnt(0)
	ds_write_b128 v1, v[55:58]
.LBB24_135:
	s_or_b32 exec_lo, exec_lo, s4
	s_waitcnt lgkmcnt(0)
	s_waitcnt_vscnt null, 0x0
	s_barrier
	buffer_gl0_inv
	s_clause 0x2b
	buffer_load_dword v3, off, s[0:3], 0 offset:264
	buffer_load_dword v4, off, s[0:3], 0 offset:268
	;; [unrolled: 1-line block ×44, first 2 shown]
	ds_read_b128 v[55:58], v2 offset:640
	ds_read_b128 v[59:62], v2 offset:656
	;; [unrolled: 1-line block ×3, first 2 shown]
	s_mov_b32 s4, exec_lo
	s_waitcnt vmcnt(42) lgkmcnt(2)
	v_mul_f64 v[109:110], v[57:58], v[3:4]
	v_mul_f64 v[3:4], v[55:56], v[3:4]
	s_waitcnt vmcnt(40) lgkmcnt(1)
	v_mul_f64 v[111:112], v[61:62], v[67:68]
	v_mul_f64 v[67:68], v[59:60], v[67:68]
	s_waitcnt vmcnt(38)
	v_fma_f64 v[109:110], v[55:56], v[69:70], -v[109:110]
	v_fma_f64 v[3:4], v[57:58], v[69:70], v[3:4]
	ds_read_b128 v[55:58], v2 offset:688
	s_waitcnt vmcnt(36) lgkmcnt(1)
	v_mul_f64 v[69:70], v[63:64], v[71:72]
	v_mul_f64 v[71:72], v[65:66], v[71:72]
	s_waitcnt vmcnt(34)
	v_fma_f64 v[111:112], v[59:60], v[73:74], -v[111:112]
	v_fma_f64 v[67:68], v[61:62], v[73:74], v[67:68]
	ds_read_b128 v[59:62], v2 offset:704
	s_waitcnt vmcnt(30) lgkmcnt(1)
	v_mul_f64 v[73:74], v[55:56], v[75:76]
	v_add_f64 v[109:110], v[109:110], 0
	v_add_f64 v[3:4], v[3:4], 0
	v_mul_f64 v[75:76], v[57:58], v[75:76]
	s_waitcnt vmcnt(28)
	v_fma_f64 v[71:72], v[63:64], v[81:82], -v[71:72]
	v_fma_f64 v[69:70], v[65:66], v[81:82], v[69:70]
	ds_read_b128 v[63:66], v2 offset:720
	s_waitcnt vmcnt(25)
	v_fma_f64 v[73:74], v[57:58], v[83:84], v[73:74]
	v_add_f64 v[109:110], v[109:110], v[111:112]
	v_add_f64 v[3:4], v[3:4], v[67:68]
	s_waitcnt lgkmcnt(1)
	v_mul_f64 v[67:68], v[59:60], v[77:78]
	v_mul_f64 v[77:78], v[61:62], v[77:78]
	v_fma_f64 v[75:76], v[55:56], v[83:84], -v[75:76]
	s_waitcnt vmcnt(21) lgkmcnt(0)
	v_mul_f64 v[81:82], v[65:66], v[85:86]
	ds_read_b128 v[55:58], v2 offset:736
	v_add_f64 v[71:72], v[109:110], v[71:72]
	v_add_f64 v[3:4], v[3:4], v[69:70]
	v_mul_f64 v[69:70], v[63:64], v[85:86]
	s_waitcnt vmcnt(20)
	v_fma_f64 v[77:78], v[59:60], v[79:80], -v[77:78]
	v_fma_f64 v[67:68], v[61:62], v[79:80], v[67:68]
	ds_read_b128 v[59:62], v2 offset:752
	s_waitcnt vmcnt(17)
	v_fma_f64 v[79:80], v[63:64], v[91:92], -v[81:82]
	v_add_f64 v[71:72], v[71:72], v[75:76]
	v_add_f64 v[3:4], v[3:4], v[73:74]
	s_waitcnt lgkmcnt(1)
	v_mul_f64 v[75:76], v[57:58], v[87:88]
	v_mul_f64 v[73:74], v[55:56], v[87:88]
	v_fma_f64 v[69:70], v[65:66], v[91:92], v[69:70]
	ds_read_b128 v[63:66], v2 offset:768
	v_add_f64 v[71:72], v[71:72], v[77:78]
	v_add_f64 v[3:4], v[3:4], v[67:68]
	s_waitcnt vmcnt(13) lgkmcnt(1)
	v_mul_f64 v[77:78], v[61:62], v[93:94]
	s_waitcnt vmcnt(12)
	v_fma_f64 v[75:76], v[55:56], v[89:90], -v[75:76]
	v_mul_f64 v[67:68], v[59:60], v[93:94]
	v_fma_f64 v[73:74], v[57:58], v[89:90], v[73:74]
	ds_read_b128 v[55:58], v2 offset:784
	v_add_f64 v[71:72], v[71:72], v[79:80]
	v_add_f64 v[3:4], v[3:4], v[69:70]
	s_waitcnt vmcnt(11) lgkmcnt(1)
	v_mul_f64 v[79:80], v[65:66], v[95:96]
	s_waitcnt vmcnt(9)
	v_fma_f64 v[59:60], v[59:60], v[99:100], -v[77:78]
	v_mul_f64 v[69:70], v[63:64], v[95:96]
	v_fma_f64 v[61:62], v[61:62], v[99:100], v[67:68]
	s_waitcnt vmcnt(7) lgkmcnt(0)
	v_mul_f64 v[67:68], v[55:56], v[101:102]
	v_add_f64 v[71:72], v[71:72], v[75:76]
	v_add_f64 v[2:3], v[3:4], v[73:74]
	v_mul_f64 v[73:74], v[57:58], v[101:102]
	s_waitcnt vmcnt(6)
	v_fma_f64 v[63:64], v[63:64], v[97:98], -v[79:80]
	v_fma_f64 v[65:66], v[65:66], v[97:98], v[69:70]
	s_waitcnt vmcnt(4)
	v_fma_f64 v[57:58], v[57:58], v[103:104], v[67:68]
	v_add_f64 v[59:60], v[71:72], v[59:60]
	v_add_f64 v[2:3], v[2:3], v[61:62]
	v_fma_f64 v[55:56], v[55:56], v[103:104], -v[73:74]
	v_add_f64 v[59:60], v[59:60], v[63:64]
	v_add_f64 v[2:3], v[2:3], v[65:66]
	;; [unrolled: 1-line block ×4, first 2 shown]
	s_waitcnt vmcnt(2)
	v_add_f64 v[55:56], v[105:106], -v[55:56]
	s_waitcnt vmcnt(0)
	v_add_f64 v[2:3], v[107:108], -v[2:3]
	buffer_store_dword v56, off, s[0:3], 0 offset:244
	buffer_store_dword v55, off, s[0:3], 0 offset:240
	;; [unrolled: 1-line block ×4, first 2 shown]
	v_cmpx_lt_u32_e32 13, v0
	s_cbranch_execz .LBB24_137
; %bb.136:
	v_mov_b32_e32 v2, s23
	s_clause 0x3
	buffer_load_dword v55, v2, s[0:3], 0 offen
	buffer_load_dword v56, v2, s[0:3], 0 offen offset:4
	buffer_load_dword v57, v2, s[0:3], 0 offen offset:8
	;; [unrolled: 1-line block ×3, first 2 shown]
	v_mov_b32_e32 v2, 0
	buffer_store_dword v2, off, s[0:3], 0 offset:224
	buffer_store_dword v2, off, s[0:3], 0 offset:228
	;; [unrolled: 1-line block ×4, first 2 shown]
	s_waitcnt vmcnt(0)
	ds_write_b128 v1, v[55:58]
.LBB24_137:
	s_or_b32 exec_lo, exec_lo, s4
	s_waitcnt lgkmcnt(0)
	s_waitcnt_vscnt null, 0x0
	s_barrier
	buffer_gl0_inv
	s_clause 0x2f
	buffer_load_dword v3, off, s[0:3], 0 offset:248
	buffer_load_dword v4, off, s[0:3], 0 offset:252
	;; [unrolled: 1-line block ×48, first 2 shown]
	v_mov_b32_e32 v2, 0
	ds_read_b128 v[55:58], v2 offset:624
	ds_read_b128 v[59:62], v2 offset:640
	;; [unrolled: 1-line block ×3, first 2 shown]
	s_mov_b32 s4, exec_lo
	s_waitcnt vmcnt(46) lgkmcnt(2)
	v_mul_f64 v[113:114], v[57:58], v[3:4]
	v_mul_f64 v[3:4], v[55:56], v[3:4]
	s_waitcnt vmcnt(44) lgkmcnt(1)
	v_mul_f64 v[115:116], v[61:62], v[67:68]
	v_mul_f64 v[67:68], v[59:60], v[67:68]
	s_waitcnt vmcnt(42)
	v_fma_f64 v[113:114], v[55:56], v[69:70], -v[113:114]
	v_fma_f64 v[3:4], v[57:58], v[69:70], v[3:4]
	ds_read_b128 v[55:58], v2 offset:672
	s_waitcnt vmcnt(40) lgkmcnt(1)
	v_mul_f64 v[69:70], v[63:64], v[71:72]
	v_mul_f64 v[71:72], v[65:66], v[71:72]
	s_waitcnt vmcnt(38)
	v_fma_f64 v[115:116], v[59:60], v[73:74], -v[115:116]
	v_fma_f64 v[67:68], v[61:62], v[73:74], v[67:68]
	ds_read_b128 v[59:62], v2 offset:688
	s_waitcnt vmcnt(34) lgkmcnt(1)
	v_mul_f64 v[73:74], v[55:56], v[75:76]
	v_add_f64 v[113:114], v[113:114], 0
	v_add_f64 v[3:4], v[3:4], 0
	v_mul_f64 v[75:76], v[57:58], v[75:76]
	s_waitcnt vmcnt(32)
	v_fma_f64 v[71:72], v[63:64], v[81:82], -v[71:72]
	v_fma_f64 v[69:70], v[65:66], v[81:82], v[69:70]
	ds_read_b128 v[63:66], v2 offset:704
	s_waitcnt vmcnt(29)
	v_fma_f64 v[73:74], v[57:58], v[83:84], v[73:74]
	v_add_f64 v[113:114], v[113:114], v[115:116]
	v_add_f64 v[3:4], v[3:4], v[67:68]
	s_waitcnt lgkmcnt(1)
	v_mul_f64 v[67:68], v[59:60], v[77:78]
	v_mul_f64 v[77:78], v[61:62], v[77:78]
	v_fma_f64 v[75:76], v[55:56], v[83:84], -v[75:76]
	s_waitcnt vmcnt(25) lgkmcnt(0)
	v_mul_f64 v[81:82], v[65:66], v[85:86]
	ds_read_b128 v[55:58], v2 offset:720
	v_add_f64 v[71:72], v[113:114], v[71:72]
	v_add_f64 v[3:4], v[3:4], v[69:70]
	v_mul_f64 v[69:70], v[63:64], v[85:86]
	s_waitcnt vmcnt(24)
	v_fma_f64 v[77:78], v[59:60], v[79:80], -v[77:78]
	v_fma_f64 v[67:68], v[61:62], v[79:80], v[67:68]
	ds_read_b128 v[59:62], v2 offset:736
	s_waitcnt vmcnt(21)
	v_fma_f64 v[79:80], v[63:64], v[91:92], -v[81:82]
	v_add_f64 v[71:72], v[71:72], v[75:76]
	v_add_f64 v[3:4], v[3:4], v[73:74]
	s_waitcnt lgkmcnt(1)
	v_mul_f64 v[75:76], v[57:58], v[87:88]
	v_mul_f64 v[73:74], v[55:56], v[87:88]
	v_fma_f64 v[69:70], v[65:66], v[91:92], v[69:70]
	ds_read_b128 v[63:66], v2 offset:752
	v_add_f64 v[71:72], v[71:72], v[77:78]
	v_add_f64 v[3:4], v[3:4], v[67:68]
	s_waitcnt vmcnt(17) lgkmcnt(1)
	v_mul_f64 v[77:78], v[61:62], v[93:94]
	s_waitcnt vmcnt(16)
	v_fma_f64 v[75:76], v[55:56], v[89:90], -v[75:76]
	v_mul_f64 v[67:68], v[59:60], v[93:94]
	v_fma_f64 v[73:74], v[57:58], v[89:90], v[73:74]
	ds_read_b128 v[55:58], v2 offset:768
	v_add_f64 v[71:72], v[71:72], v[79:80]
	v_add_f64 v[3:4], v[3:4], v[69:70]
	s_waitcnt vmcnt(15) lgkmcnt(1)
	v_mul_f64 v[79:80], v[65:66], v[95:96]
	s_waitcnt vmcnt(13)
	v_fma_f64 v[77:78], v[59:60], v[99:100], -v[77:78]
	;; [unrolled: 9-line block ×3, first 2 shown]
	v_mul_f64 v[73:74], v[55:56], v[101:102]
	v_fma_f64 v[65:66], v[65:66], v[97:98], v[69:70]
	s_waitcnt vmcnt(7) lgkmcnt(0)
	v_mul_f64 v[69:70], v[61:62], v[103:104]
	v_add_f64 v[71:72], v[71:72], v[77:78]
	v_add_f64 v[3:4], v[3:4], v[67:68]
	s_waitcnt vmcnt(5)
	v_fma_f64 v[55:56], v[55:56], v[107:108], -v[75:76]
	v_mul_f64 v[67:68], v[59:60], v[103:104]
	v_fma_f64 v[57:58], v[57:58], v[107:108], v[73:74]
	s_waitcnt vmcnt(4)
	v_fma_f64 v[59:60], v[59:60], v[105:106], -v[69:70]
	v_add_f64 v[63:64], v[71:72], v[63:64]
	v_add_f64 v[3:4], v[3:4], v[65:66]
	v_fma_f64 v[61:62], v[61:62], v[105:106], v[67:68]
	v_add_f64 v[55:56], v[63:64], v[55:56]
	v_add_f64 v[3:4], v[3:4], v[57:58]
	;; [unrolled: 1-line block ×4, first 2 shown]
	s_waitcnt vmcnt(2)
	v_add_f64 v[55:56], v[109:110], -v[55:56]
	s_waitcnt vmcnt(0)
	v_add_f64 v[3:4], v[111:112], -v[3:4]
	buffer_store_dword v56, off, s[0:3], 0 offset:228
	buffer_store_dword v55, off, s[0:3], 0 offset:224
	;; [unrolled: 1-line block ×4, first 2 shown]
	v_cmpx_lt_u32_e32 12, v0
	s_cbranch_execz .LBB24_139
; %bb.138:
	v_mov_b32_e32 v3, s24
	s_clause 0x3
	buffer_load_dword v55, v3, s[0:3], 0 offen
	buffer_load_dword v56, v3, s[0:3], 0 offen offset:4
	buffer_load_dword v57, v3, s[0:3], 0 offen offset:8
	;; [unrolled: 1-line block ×3, first 2 shown]
	buffer_store_dword v2, off, s[0:3], 0 offset:208
	buffer_store_dword v2, off, s[0:3], 0 offset:212
	;; [unrolled: 1-line block ×4, first 2 shown]
	s_waitcnt vmcnt(0)
	ds_write_b128 v1, v[55:58]
.LBB24_139:
	s_or_b32 exec_lo, exec_lo, s4
	s_waitcnt lgkmcnt(0)
	s_waitcnt_vscnt null, 0x0
	s_barrier
	buffer_gl0_inv
	s_clause 0x2f
	buffer_load_dword v3, off, s[0:3], 0 offset:232
	buffer_load_dword v4, off, s[0:3], 0 offset:236
	;; [unrolled: 1-line block ×48, first 2 shown]
	ds_read_b128 v[55:58], v2 offset:608
	s_clause 0x3
	buffer_load_dword v113, off, s[0:3], 0 offset:208
	buffer_load_dword v114, off, s[0:3], 0 offset:212
	;; [unrolled: 1-line block ×4, first 2 shown]
	ds_read_b128 v[59:62], v2 offset:624
	ds_read_b128 v[63:66], v2 offset:640
	s_mov_b32 s4, exec_lo
	s_waitcnt vmcnt(50) lgkmcnt(2)
	v_mul_f64 v[117:118], v[57:58], v[3:4]
	v_mul_f64 v[3:4], v[55:56], v[3:4]
	s_waitcnt vmcnt(48) lgkmcnt(1)
	v_mul_f64 v[119:120], v[61:62], v[67:68]
	v_mul_f64 v[67:68], v[59:60], v[67:68]
	s_waitcnt vmcnt(46)
	v_fma_f64 v[117:118], v[55:56], v[69:70], -v[117:118]
	v_fma_f64 v[3:4], v[57:58], v[69:70], v[3:4]
	s_waitcnt vmcnt(44) lgkmcnt(0)
	v_mul_f64 v[69:70], v[63:64], v[71:72]
	v_mul_f64 v[71:72], v[65:66], v[71:72]
	s_waitcnt vmcnt(42)
	v_fma_f64 v[119:120], v[59:60], v[73:74], -v[119:120]
	ds_read_b128 v[55:58], v2 offset:656
	v_fma_f64 v[67:68], v[61:62], v[73:74], v[67:68]
	ds_read_b128 v[59:62], v2 offset:672
	v_add_f64 v[117:118], v[117:118], 0
	v_add_f64 v[3:4], v[3:4], 0
	s_waitcnt vmcnt(36)
	v_fma_f64 v[69:70], v[65:66], v[81:82], v[69:70]
	s_waitcnt lgkmcnt(1)
	v_mul_f64 v[73:74], v[55:56], v[75:76]
	v_mul_f64 v[75:76], v[57:58], v[75:76]
	v_fma_f64 v[71:72], v[63:64], v[81:82], -v[71:72]
	ds_read_b128 v[63:66], v2 offset:688
	v_add_f64 v[117:118], v[117:118], v[119:120]
	v_add_f64 v[3:4], v[3:4], v[67:68]
	s_waitcnt vmcnt(35) lgkmcnt(1)
	v_mul_f64 v[67:68], v[59:60], v[77:78]
	v_mul_f64 v[77:78], v[61:62], v[77:78]
	s_waitcnt vmcnt(33)
	v_fma_f64 v[75:76], v[55:56], v[83:84], -v[75:76]
	v_fma_f64 v[73:74], v[57:58], v[83:84], v[73:74]
	ds_read_b128 v[55:58], v2 offset:704
	s_waitcnt vmcnt(29) lgkmcnt(1)
	v_mul_f64 v[81:82], v[65:66], v[85:86]
	v_add_f64 v[71:72], v[117:118], v[71:72]
	v_add_f64 v[3:4], v[3:4], v[69:70]
	v_mul_f64 v[69:70], v[63:64], v[85:86]
	s_waitcnt vmcnt(28)
	v_fma_f64 v[77:78], v[59:60], v[79:80], -v[77:78]
	v_fma_f64 v[67:68], v[61:62], v[79:80], v[67:68]
	ds_read_b128 v[59:62], v2 offset:720
	s_waitcnt vmcnt(25)
	v_fma_f64 v[79:80], v[63:64], v[91:92], -v[81:82]
	v_add_f64 v[71:72], v[71:72], v[75:76]
	v_add_f64 v[3:4], v[3:4], v[73:74]
	s_waitcnt lgkmcnt(1)
	v_mul_f64 v[75:76], v[57:58], v[87:88]
	v_mul_f64 v[73:74], v[55:56], v[87:88]
	v_fma_f64 v[69:70], v[65:66], v[91:92], v[69:70]
	ds_read_b128 v[63:66], v2 offset:736
	v_add_f64 v[71:72], v[71:72], v[77:78]
	v_add_f64 v[3:4], v[3:4], v[67:68]
	s_waitcnt vmcnt(21) lgkmcnt(1)
	v_mul_f64 v[77:78], v[61:62], v[93:94]
	s_waitcnt vmcnt(20)
	v_fma_f64 v[75:76], v[55:56], v[89:90], -v[75:76]
	v_mul_f64 v[67:68], v[59:60], v[93:94]
	v_fma_f64 v[73:74], v[57:58], v[89:90], v[73:74]
	ds_read_b128 v[55:58], v2 offset:752
	v_add_f64 v[71:72], v[71:72], v[79:80]
	v_add_f64 v[3:4], v[3:4], v[69:70]
	s_waitcnt vmcnt(19) lgkmcnt(1)
	v_mul_f64 v[79:80], v[65:66], v[95:96]
	s_waitcnt vmcnt(17)
	v_fma_f64 v[77:78], v[59:60], v[99:100], -v[77:78]
	;; [unrolled: 9-line block ×4, first 2 shown]
	v_mul_f64 v[67:68], v[59:60], v[103:104]
	v_fma_f64 v[57:58], v[57:58], v[107:108], v[73:74]
	s_waitcnt vmcnt(7) lgkmcnt(0)
	v_mul_f64 v[73:74], v[65:66], v[109:110]
	v_add_f64 v[71:72], v[71:72], v[79:80]
	v_add_f64 v[2:3], v[3:4], v[69:70]
	s_waitcnt vmcnt(6)
	v_fma_f64 v[59:60], v[59:60], v[105:106], -v[77:78]
	v_mul_f64 v[69:70], v[63:64], v[109:110]
	v_fma_f64 v[61:62], v[61:62], v[105:106], v[67:68]
	v_add_f64 v[55:56], v[71:72], v[55:56]
	v_add_f64 v[2:3], v[2:3], v[57:58]
	s_waitcnt vmcnt(4)
	v_fma_f64 v[57:58], v[63:64], v[111:112], -v[73:74]
	v_add_f64 v[55:56], v[55:56], v[59:60]
	v_fma_f64 v[59:60], v[65:66], v[111:112], v[69:70]
	v_add_f64 v[2:3], v[2:3], v[61:62]
	v_add_f64 v[55:56], v[55:56], v[57:58]
	;; [unrolled: 1-line block ×3, first 2 shown]
	s_waitcnt vmcnt(2)
	v_add_f64 v[55:56], v[113:114], -v[55:56]
	s_waitcnt vmcnt(0)
	v_add_f64 v[2:3], v[115:116], -v[2:3]
	buffer_store_dword v56, off, s[0:3], 0 offset:212
	buffer_store_dword v55, off, s[0:3], 0 offset:208
	;; [unrolled: 1-line block ×4, first 2 shown]
	v_cmpx_lt_u32_e32 11, v0
	s_cbranch_execz .LBB24_141
; %bb.140:
	v_mov_b32_e32 v2, s25
	s_clause 0x3
	buffer_load_dword v55, v2, s[0:3], 0 offen
	buffer_load_dword v56, v2, s[0:3], 0 offen offset:4
	buffer_load_dword v57, v2, s[0:3], 0 offen offset:8
	;; [unrolled: 1-line block ×3, first 2 shown]
	v_mov_b32_e32 v2, 0
	buffer_store_dword v2, off, s[0:3], 0 offset:192
	buffer_store_dword v2, off, s[0:3], 0 offset:196
	;; [unrolled: 1-line block ×4, first 2 shown]
	s_waitcnt vmcnt(0)
	ds_write_b128 v1, v[55:58]
.LBB24_141:
	s_or_b32 exec_lo, exec_lo, s4
	s_waitcnt lgkmcnt(0)
	s_waitcnt_vscnt null, 0x0
	s_barrier
	buffer_gl0_inv
	s_clause 0x33
	buffer_load_dword v3, off, s[0:3], 0 offset:216
	buffer_load_dword v4, off, s[0:3], 0 offset:220
	;; [unrolled: 1-line block ×52, first 2 shown]
	v_mov_b32_e32 v2, 0
	ds_read_b128 v[55:58], v2 offset:592
	ds_read_b128 v[59:62], v2 offset:608
	s_clause 0x3
	buffer_load_dword v119, off, s[0:3], 0 offset:192
	buffer_load_dword v120, off, s[0:3], 0 offset:196
	;; [unrolled: 1-line block ×4, first 2 shown]
	ds_read_b128 v[63:66], v2 offset:624
	s_mov_b32 s4, exec_lo
	s_waitcnt vmcnt(54) lgkmcnt(2)
	v_mul_f64 v[117:118], v[57:58], v[3:4]
	v_mul_f64 v[3:4], v[55:56], v[3:4]
	s_waitcnt vmcnt(52) lgkmcnt(1)
	v_mul_f64 v[123:124], v[61:62], v[67:68]
	v_mul_f64 v[67:68], v[59:60], v[67:68]
	s_waitcnt vmcnt(50)
	v_fma_f64 v[117:118], v[55:56], v[69:70], -v[117:118]
	v_fma_f64 v[3:4], v[57:58], v[69:70], v[3:4]
	ds_read_b128 v[55:58], v2 offset:640
	s_waitcnt vmcnt(48) lgkmcnt(1)
	v_mul_f64 v[69:70], v[63:64], v[71:72]
	v_mul_f64 v[71:72], v[65:66], v[71:72]
	s_waitcnt vmcnt(46)
	v_fma_f64 v[123:124], v[59:60], v[73:74], -v[123:124]
	v_fma_f64 v[67:68], v[61:62], v[73:74], v[67:68]
	ds_read_b128 v[59:62], v2 offset:656
	s_waitcnt vmcnt(42) lgkmcnt(1)
	v_mul_f64 v[73:74], v[55:56], v[75:76]
	v_add_f64 v[117:118], v[117:118], 0
	v_add_f64 v[3:4], v[3:4], 0
	v_mul_f64 v[75:76], v[57:58], v[75:76]
	s_waitcnt vmcnt(40)
	v_fma_f64 v[71:72], v[63:64], v[81:82], -v[71:72]
	v_fma_f64 v[69:70], v[65:66], v[81:82], v[69:70]
	ds_read_b128 v[63:66], v2 offset:672
	s_waitcnt vmcnt(37)
	v_fma_f64 v[73:74], v[57:58], v[83:84], v[73:74]
	v_add_f64 v[117:118], v[117:118], v[123:124]
	v_add_f64 v[3:4], v[3:4], v[67:68]
	s_waitcnt lgkmcnt(1)
	v_mul_f64 v[67:68], v[59:60], v[77:78]
	v_mul_f64 v[77:78], v[61:62], v[77:78]
	v_fma_f64 v[75:76], v[55:56], v[83:84], -v[75:76]
	s_waitcnt vmcnt(33) lgkmcnt(0)
	v_mul_f64 v[81:82], v[65:66], v[85:86]
	ds_read_b128 v[55:58], v2 offset:688
	v_add_f64 v[71:72], v[117:118], v[71:72]
	v_add_f64 v[3:4], v[3:4], v[69:70]
	v_mul_f64 v[69:70], v[63:64], v[85:86]
	s_waitcnt vmcnt(32)
	v_fma_f64 v[77:78], v[59:60], v[79:80], -v[77:78]
	v_fma_f64 v[67:68], v[61:62], v[79:80], v[67:68]
	ds_read_b128 v[59:62], v2 offset:704
	s_waitcnt vmcnt(29)
	v_fma_f64 v[79:80], v[63:64], v[91:92], -v[81:82]
	v_add_f64 v[71:72], v[71:72], v[75:76]
	v_add_f64 v[3:4], v[3:4], v[73:74]
	s_waitcnt lgkmcnt(1)
	v_mul_f64 v[75:76], v[57:58], v[87:88]
	v_mul_f64 v[73:74], v[55:56], v[87:88]
	v_fma_f64 v[69:70], v[65:66], v[91:92], v[69:70]
	ds_read_b128 v[63:66], v2 offset:720
	v_add_f64 v[71:72], v[71:72], v[77:78]
	v_add_f64 v[3:4], v[3:4], v[67:68]
	s_waitcnt vmcnt(25) lgkmcnt(1)
	v_mul_f64 v[77:78], v[61:62], v[93:94]
	s_waitcnt vmcnt(24)
	v_fma_f64 v[75:76], v[55:56], v[89:90], -v[75:76]
	v_mul_f64 v[67:68], v[59:60], v[93:94]
	v_fma_f64 v[73:74], v[57:58], v[89:90], v[73:74]
	ds_read_b128 v[55:58], v2 offset:736
	v_add_f64 v[71:72], v[71:72], v[79:80]
	v_add_f64 v[3:4], v[3:4], v[69:70]
	s_waitcnt vmcnt(23) lgkmcnt(1)
	v_mul_f64 v[79:80], v[65:66], v[95:96]
	s_waitcnt vmcnt(21)
	v_fma_f64 v[77:78], v[59:60], v[99:100], -v[77:78]
	;; [unrolled: 9-line block ×5, first 2 shown]
	v_mul_f64 v[69:70], v[63:64], v[109:110]
	v_fma_f64 v[61:62], v[61:62], v[105:106], v[67:68]
	s_waitcnt vmcnt(7) lgkmcnt(0)
	v_mul_f64 v[67:68], v[55:56], v[111:112]
	v_add_f64 v[71:72], v[71:72], v[75:76]
	v_add_f64 v[3:4], v[3:4], v[73:74]
	v_mul_f64 v[73:74], v[57:58], v[111:112]
	s_waitcnt vmcnt(5)
	v_fma_f64 v[63:64], v[63:64], v[115:116], -v[79:80]
	v_fma_f64 v[65:66], v[65:66], v[115:116], v[69:70]
	s_waitcnt vmcnt(4)
	v_fma_f64 v[57:58], v[57:58], v[113:114], v[67:68]
	v_add_f64 v[59:60], v[71:72], v[59:60]
	v_add_f64 v[3:4], v[3:4], v[61:62]
	v_fma_f64 v[55:56], v[55:56], v[113:114], -v[73:74]
	v_add_f64 v[59:60], v[59:60], v[63:64]
	v_add_f64 v[3:4], v[3:4], v[65:66]
	;; [unrolled: 1-line block ×4, first 2 shown]
	s_waitcnt vmcnt(2)
	v_add_f64 v[55:56], v[119:120], -v[55:56]
	s_waitcnt vmcnt(0)
	v_add_f64 v[3:4], v[121:122], -v[3:4]
	buffer_store_dword v56, off, s[0:3], 0 offset:196
	buffer_store_dword v55, off, s[0:3], 0 offset:192
	;; [unrolled: 1-line block ×4, first 2 shown]
	v_cmpx_lt_u32_e32 10, v0
	s_cbranch_execz .LBB24_143
; %bb.142:
	v_mov_b32_e32 v3, s26
	s_clause 0x3
	buffer_load_dword v55, v3, s[0:3], 0 offen
	buffer_load_dword v56, v3, s[0:3], 0 offen offset:4
	buffer_load_dword v57, v3, s[0:3], 0 offen offset:8
	;; [unrolled: 1-line block ×3, first 2 shown]
	buffer_store_dword v2, off, s[0:3], 0 offset:176
	buffer_store_dword v2, off, s[0:3], 0 offset:180
	;; [unrolled: 1-line block ×4, first 2 shown]
	s_waitcnt vmcnt(0)
	ds_write_b128 v1, v[55:58]
.LBB24_143:
	s_or_b32 exec_lo, exec_lo, s4
	s_waitcnt lgkmcnt(0)
	s_waitcnt_vscnt null, 0x0
	s_barrier
	buffer_gl0_inv
	s_clause 0x35
	buffer_load_dword v3, off, s[0:3], 0 offset:200
	buffer_load_dword v4, off, s[0:3], 0 offset:204
	;; [unrolled: 1-line block ×54, first 2 shown]
	ds_read_b128 v[55:58], v2 offset:576
	s_clause 0x1
	buffer_load_dword v120, off, s[0:3], 0 offset:404
	buffer_load_dword v119, off, s[0:3], 0 offset:400
	ds_read_b128 v[59:62], v2 offset:592
	ds_read_b128 v[63:66], v2 offset:608
	s_mov_b32 s4, exec_lo
	s_waitcnt vmcnt(54) lgkmcnt(2)
	v_mul_f64 v[121:122], v[57:58], v[3:4]
	v_mul_f64 v[3:4], v[55:56], v[3:4]
	s_waitcnt vmcnt(52) lgkmcnt(1)
	v_mul_f64 v[123:124], v[61:62], v[67:68]
	v_mul_f64 v[67:68], v[59:60], v[67:68]
	;; [unrolled: 3-line block ×3, first 2 shown]
	v_fma_f64 v[121:122], v[55:56], v[69:70], -v[121:122]
	v_fma_f64 v[3:4], v[57:58], v[69:70], v[3:4]
	s_clause 0x3
	buffer_load_dword v69, off, s[0:3], 0 offset:176
	buffer_load_dword v70, off, s[0:3], 0 offset:180
	;; [unrolled: 1-line block ×4, first 2 shown]
	s_waitcnt vmcnt(50)
	v_fma_f64 v[123:124], v[59:60], v[73:74], -v[123:124]
	ds_read_b128 v[55:58], v2 offset:624
	v_fma_f64 v[67:68], v[61:62], v[73:74], v[67:68]
	ds_read_b128 v[59:62], v2 offset:640
	s_waitcnt vmcnt(46)
	v_fma_f64 v[71:72], v[63:64], v[77:78], -v[71:72]
	v_fma_f64 v[77:78], v[65:66], v[77:78], v[127:128]
	ds_read_b128 v[63:66], v2 offset:656
	v_add_f64 v[121:122], v[121:122], 0
	v_add_f64 v[3:4], v[3:4], 0
	s_waitcnt lgkmcnt(2)
	v_mul_f64 v[73:74], v[55:56], v[75:76]
	v_mul_f64 v[75:76], v[57:58], v[75:76]
	v_add_f64 v[121:122], v[121:122], v[123:124]
	v_add_f64 v[3:4], v[3:4], v[67:68]
	s_waitcnt vmcnt(44) lgkmcnt(1)
	v_mul_f64 v[67:68], v[59:60], v[79:80]
	v_mul_f64 v[79:80], v[61:62], v[79:80]
	s_waitcnt vmcnt(42)
	v_fma_f64 v[75:76], v[55:56], v[81:82], -v[75:76]
	v_fma_f64 v[73:74], v[57:58], v[81:82], v[73:74]
	ds_read_b128 v[55:58], v2 offset:672
	s_waitcnt vmcnt(40) lgkmcnt(1)
	v_mul_f64 v[81:82], v[65:66], v[83:84]
	v_add_f64 v[71:72], v[121:122], v[71:72]
	v_add_f64 v[3:4], v[3:4], v[77:78]
	v_mul_f64 v[77:78], v[63:64], v[83:84]
	s_waitcnt vmcnt(38)
	v_fma_f64 v[79:80], v[59:60], v[85:86], -v[79:80]
	v_fma_f64 v[67:68], v[61:62], v[85:86], v[67:68]
	ds_read_b128 v[59:62], v2 offset:688
	s_waitcnt vmcnt(34)
	v_fma_f64 v[81:82], v[63:64], v[89:90], -v[81:82]
	v_add_f64 v[71:72], v[71:72], v[75:76]
	v_add_f64 v[3:4], v[3:4], v[73:74]
	s_waitcnt lgkmcnt(1)
	v_mul_f64 v[75:76], v[57:58], v[87:88]
	v_mul_f64 v[73:74], v[55:56], v[87:88]
	v_fma_f64 v[77:78], v[65:66], v[89:90], v[77:78]
	ds_read_b128 v[63:66], v2 offset:704
	v_add_f64 v[71:72], v[71:72], v[79:80]
	v_add_f64 v[3:4], v[3:4], v[67:68]
	s_waitcnt vmcnt(32) lgkmcnt(1)
	v_mul_f64 v[79:80], v[61:62], v[91:92]
	s_waitcnt vmcnt(30)
	v_fma_f64 v[75:76], v[55:56], v[93:94], -v[75:76]
	v_mul_f64 v[67:68], v[59:60], v[91:92]
	v_fma_f64 v[73:74], v[57:58], v[93:94], v[73:74]
	ds_read_b128 v[55:58], v2 offset:720
	v_add_f64 v[71:72], v[71:72], v[81:82]
	v_add_f64 v[3:4], v[3:4], v[77:78]
	s_waitcnt vmcnt(28) lgkmcnt(1)
	v_mul_f64 v[81:82], v[65:66], v[95:96]
	s_waitcnt vmcnt(26)
	v_fma_f64 v[79:80], v[59:60], v[97:98], -v[79:80]
	;; [unrolled: 9-line block ×6, first 2 shown]
	v_mul_f64 v[73:74], v[55:56], v[111:112]
	v_fma_f64 v[65:66], v[65:66], v[113:114], v[77:78]
	s_waitcnt vmcnt(8) lgkmcnt(0)
	v_mul_f64 v[77:78], v[61:62], v[115:116]
	v_add_f64 v[71:72], v[71:72], v[79:80]
	v_add_f64 v[2:3], v[3:4], v[67:68]
	s_waitcnt vmcnt(6)
	v_fma_f64 v[55:56], v[55:56], v[117:118], -v[75:76]
	v_mul_f64 v[67:68], v[59:60], v[115:116]
	v_fma_f64 v[57:58], v[57:58], v[117:118], v[73:74]
	s_waitcnt vmcnt(4)
	v_fma_f64 v[59:60], v[59:60], v[119:120], -v[77:78]
	v_add_f64 v[63:64], v[71:72], v[63:64]
	v_add_f64 v[2:3], v[2:3], v[65:66]
	v_fma_f64 v[61:62], v[61:62], v[119:120], v[67:68]
	v_add_f64 v[55:56], v[63:64], v[55:56]
	v_add_f64 v[2:3], v[2:3], v[57:58]
	v_add_f64 v[55:56], v[55:56], v[59:60]
	v_add_f64 v[2:3], v[2:3], v[61:62]
	s_waitcnt vmcnt(2)
	v_add_f64 v[55:56], v[69:70], -v[55:56]
	s_waitcnt vmcnt(0)
	v_add_f64 v[2:3], v[125:126], -v[2:3]
	buffer_store_dword v56, off, s[0:3], 0 offset:180
	buffer_store_dword v55, off, s[0:3], 0 offset:176
	;; [unrolled: 1-line block ×4, first 2 shown]
	v_cmpx_lt_u32_e32 9, v0
	s_cbranch_execz .LBB24_145
; %bb.144:
	v_mov_b32_e32 v2, s27
	s_clause 0x3
	buffer_load_dword v55, v2, s[0:3], 0 offen
	buffer_load_dword v56, v2, s[0:3], 0 offen offset:4
	buffer_load_dword v57, v2, s[0:3], 0 offen offset:8
	;; [unrolled: 1-line block ×3, first 2 shown]
	v_mov_b32_e32 v2, 0
	buffer_store_dword v2, off, s[0:3], 0 offset:160
	buffer_store_dword v2, off, s[0:3], 0 offset:164
	;; [unrolled: 1-line block ×4, first 2 shown]
	s_waitcnt vmcnt(0)
	ds_write_b128 v1, v[55:58]
.LBB24_145:
	s_or_b32 exec_lo, exec_lo, s4
	s_waitcnt lgkmcnt(0)
	s_waitcnt_vscnt null, 0x0
	s_barrier
	buffer_gl0_inv
	s_clause 0x37
	buffer_load_dword v3, off, s[0:3], 0 offset:184
	buffer_load_dword v4, off, s[0:3], 0 offset:188
	;; [unrolled: 1-line block ×56, first 2 shown]
	v_mov_b32_e32 v2, 0
	s_mov_b32 s4, exec_lo
	ds_read_b128 v[55:58], v2 offset:560
	s_clause 0x2
	buffer_load_dword v120, off, s[0:3], 0 offset:412
	buffer_load_dword v124, off, s[0:3], 0 offset:388
	;; [unrolled: 1-line block ×3, first 2 shown]
	ds_read_b128 v[59:62], v2 offset:576
	ds_read_b128 v[63:66], v2 offset:592
	buffer_load_dword v122, off, s[0:3], 0 offset:404
	s_waitcnt vmcnt(58) lgkmcnt(2)
	v_mul_f64 v[125:126], v[57:58], v[3:4]
	v_mul_f64 v[3:4], v[55:56], v[3:4]
	s_waitcnt vmcnt(56) lgkmcnt(1)
	v_mul_f64 v[127:128], v[61:62], v[67:68]
	v_mul_f64 v[67:68], v[59:60], v[67:68]
	s_waitcnt vmcnt(54)
	v_fma_f64 v[125:126], v[55:56], v[69:70], -v[125:126]
	v_fma_f64 v[3:4], v[57:58], v[69:70], v[3:4]
	s_waitcnt vmcnt(52) lgkmcnt(0)
	v_mul_f64 v[69:70], v[63:64], v[71:72]
	v_mul_f64 v[71:72], v[65:66], v[71:72]
	s_waitcnt vmcnt(50)
	v_fma_f64 v[127:128], v[59:60], v[73:74], -v[127:128]
	ds_read_b128 v[55:58], v2 offset:608
	v_fma_f64 v[67:68], v[61:62], v[73:74], v[67:68]
	s_clause 0x3
	buffer_load_dword v73, off, s[0:3], 0 offset:160
	buffer_load_dword v74, off, s[0:3], 0 offset:164
	;; [unrolled: 1-line block ×4, first 2 shown]
	ds_read_b128 v[59:62], v2 offset:624
	v_add_f64 v[125:126], v[125:126], 0
	v_add_f64 v[3:4], v[3:4], 0
	s_waitcnt vmcnt(48)
	v_fma_f64 v[69:70], v[65:66], v[81:82], v[69:70]
	s_waitcnt lgkmcnt(1)
	v_mul_f64 v[131:132], v[55:56], v[75:76]
	v_mul_f64 v[75:76], v[57:58], v[75:76]
	v_fma_f64 v[71:72], v[63:64], v[81:82], -v[71:72]
	ds_read_b128 v[63:66], v2 offset:640
	v_add_f64 v[125:126], v[125:126], v[127:128]
	v_add_f64 v[3:4], v[3:4], v[67:68]
	s_waitcnt vmcnt(47) lgkmcnt(1)
	v_mul_f64 v[67:68], v[59:60], v[77:78]
	v_mul_f64 v[77:78], v[61:62], v[77:78]
	s_waitcnt vmcnt(45)
	v_fma_f64 v[75:76], v[55:56], v[83:84], -v[75:76]
	v_fma_f64 v[81:82], v[57:58], v[83:84], v[131:132]
	s_waitcnt vmcnt(41) lgkmcnt(0)
	v_mul_f64 v[83:84], v[65:66], v[85:86]
	ds_read_b128 v[55:58], v2 offset:656
	v_add_f64 v[71:72], v[125:126], v[71:72]
	v_add_f64 v[3:4], v[3:4], v[69:70]
	v_mul_f64 v[69:70], v[63:64], v[85:86]
	s_waitcnt vmcnt(40)
	v_fma_f64 v[77:78], v[59:60], v[79:80], -v[77:78]
	v_fma_f64 v[67:68], v[61:62], v[79:80], v[67:68]
	ds_read_b128 v[59:62], v2 offset:672
	s_waitcnt vmcnt(39) lgkmcnt(1)
	v_mul_f64 v[79:80], v[57:58], v[87:88]
	v_add_f64 v[71:72], v[71:72], v[75:76]
	v_add_f64 v[3:4], v[3:4], v[81:82]
	s_waitcnt vmcnt(37)
	v_fma_f64 v[81:82], v[63:64], v[91:92], -v[83:84]
	v_mul_f64 v[75:76], v[55:56], v[87:88]
	v_fma_f64 v[69:70], v[65:66], v[91:92], v[69:70]
	ds_read_b128 v[63:66], v2 offset:688
	s_waitcnt vmcnt(32)
	v_fma_f64 v[79:80], v[55:56], v[89:90], -v[79:80]
	v_add_f64 v[71:72], v[71:72], v[77:78]
	v_add_f64 v[3:4], v[3:4], v[67:68]
	s_waitcnt lgkmcnt(1)
	v_mul_f64 v[77:78], v[61:62], v[93:94]
	v_mul_f64 v[67:68], v[59:60], v[93:94]
	v_fma_f64 v[75:76], v[57:58], v[89:90], v[75:76]
	ds_read_b128 v[55:58], v2 offset:704
	v_add_f64 v[71:72], v[71:72], v[81:82]
	v_add_f64 v[3:4], v[3:4], v[69:70]
	s_waitcnt vmcnt(31) lgkmcnt(1)
	v_mul_f64 v[81:82], v[65:66], v[95:96]
	s_waitcnt vmcnt(29)
	v_fma_f64 v[77:78], v[59:60], v[99:100], -v[77:78]
	v_mul_f64 v[69:70], v[63:64], v[95:96]
	v_fma_f64 v[67:68], v[61:62], v[99:100], v[67:68]
	ds_read_b128 v[59:62], v2 offset:720
	v_add_f64 v[71:72], v[71:72], v[79:80]
	v_add_f64 v[3:4], v[3:4], v[75:76]
	s_waitcnt vmcnt(25) lgkmcnt(1)
	v_mul_f64 v[79:80], v[57:58], v[101:102]
	s_waitcnt vmcnt(24)
	v_fma_f64 v[81:82], v[63:64], v[97:98], -v[81:82]
	;; [unrolled: 9-line block ×6, first 2 shown]
	v_mul_f64 v[67:68], v[59:60], v[117:118]
	v_fma_f64 v[57:58], v[57:58], v[113:114], v[75:76]
	s_waitcnt vmcnt(7) lgkmcnt(0)
	v_mul_f64 v[75:76], v[65:66], v[119:120]
	v_add_f64 v[71:72], v[71:72], v[81:82]
	v_add_f64 v[3:4], v[3:4], v[69:70]
	s_waitcnt vmcnt(5)
	v_fma_f64 v[59:60], v[59:60], v[123:124], -v[77:78]
	v_mul_f64 v[69:70], v[63:64], v[119:120]
	v_fma_f64 v[61:62], v[61:62], v[123:124], v[67:68]
	v_add_f64 v[55:56], v[71:72], v[55:56]
	v_add_f64 v[3:4], v[3:4], v[57:58]
	s_waitcnt vmcnt(4)
	v_fma_f64 v[57:58], v[63:64], v[121:122], -v[75:76]
	v_add_f64 v[55:56], v[55:56], v[59:60]
	v_fma_f64 v[59:60], v[65:66], v[121:122], v[69:70]
	v_add_f64 v[3:4], v[3:4], v[61:62]
	v_add_f64 v[55:56], v[55:56], v[57:58]
	;; [unrolled: 1-line block ×3, first 2 shown]
	s_waitcnt vmcnt(2)
	v_add_f64 v[55:56], v[73:74], -v[55:56]
	s_waitcnt vmcnt(0)
	v_add_f64 v[3:4], v[129:130], -v[3:4]
	buffer_store_dword v56, off, s[0:3], 0 offset:164
	buffer_store_dword v55, off, s[0:3], 0 offset:160
	;; [unrolled: 1-line block ×4, first 2 shown]
	v_cmpx_lt_u32_e32 8, v0
	s_cbranch_execz .LBB24_147
; %bb.146:
	v_mov_b32_e32 v3, s28
	s_clause 0x3
	buffer_load_dword v55, v3, s[0:3], 0 offen
	buffer_load_dword v56, v3, s[0:3], 0 offen offset:4
	buffer_load_dword v57, v3, s[0:3], 0 offen offset:8
	;; [unrolled: 1-line block ×3, first 2 shown]
	buffer_store_dword v2, off, s[0:3], 0 offset:144
	buffer_store_dword v2, off, s[0:3], 0 offset:148
	;; [unrolled: 1-line block ×4, first 2 shown]
	s_waitcnt vmcnt(0)
	ds_write_b128 v1, v[55:58]
.LBB24_147:
	s_or_b32 exec_lo, exec_lo, s4
	s_waitcnt lgkmcnt(0)
	s_waitcnt_vscnt null, 0x0
	s_barrier
	buffer_gl0_inv
	s_clause 0x37
	buffer_load_dword v3, off, s[0:3], 0 offset:168
	buffer_load_dword v4, off, s[0:3], 0 offset:172
	;; [unrolled: 1-line block ×56, first 2 shown]
	ds_read_b128 v[55:58], v2 offset:544
	s_clause 0x2
	buffer_load_dword v120, off, s[0:3], 0 offset:396
	buffer_load_dword v124, off, s[0:3], 0 offset:372
	;; [unrolled: 1-line block ×3, first 2 shown]
	ds_read_b128 v[59:62], v2 offset:560
	s_clause 0x2
	buffer_load_dword v128, off, s[0:3], 0 offset:412
	buffer_load_dword v127, off, s[0:3], 0 offset:408
	;; [unrolled: 1-line block ×3, first 2 shown]
	ds_read_b128 v[63:66], v2 offset:576
	s_mov_b32 s4, exec_lo
	s_waitcnt vmcnt(60) lgkmcnt(2)
	v_mul_f64 v[125:126], v[57:58], v[3:4]
	v_mul_f64 v[3:4], v[55:56], v[3:4]
	s_waitcnt vmcnt(58) lgkmcnt(1)
	v_mul_f64 v[129:130], v[61:62], v[67:68]
	v_mul_f64 v[67:68], v[59:60], v[67:68]
	;; [unrolled: 3-line block ×3, first 2 shown]
	v_fma_f64 v[125:126], v[55:56], v[69:70], -v[125:126]
	v_fma_f64 v[3:4], v[57:58], v[69:70], v[3:4]
	s_clause 0x1
	buffer_load_dword v70, off, s[0:3], 0 offset:404
	buffer_load_dword v69, off, s[0:3], 0 offset:400
	s_waitcnt vmcnt(54)
	v_fma_f64 v[129:130], v[59:60], v[73:74], -v[129:130]
	ds_read_b128 v[55:58], v2 offset:592
	v_fma_f64 v[67:68], v[61:62], v[73:74], v[67:68]
	ds_read_b128 v[59:62], v2 offset:608
	s_waitcnt vmcnt(48)
	v_fma_f64 v[71:72], v[63:64], v[81:82], -v[71:72]
	v_fma_f64 v[81:82], v[65:66], v[81:82], v[131:132]
	v_add_f64 v[125:126], v[125:126], 0
	v_add_f64 v[3:4], v[3:4], 0
	s_waitcnt lgkmcnt(1)
	v_mul_f64 v[73:74], v[55:56], v[75:76]
	v_mul_f64 v[75:76], v[57:58], v[75:76]
	s_waitcnt vmcnt(47) lgkmcnt(0)
	v_mul_f64 v[131:132], v[59:60], v[77:78]
	v_mul_f64 v[77:78], v[61:62], v[77:78]
	v_add_f64 v[125:126], v[125:126], v[129:130]
	v_add_f64 v[3:4], v[3:4], v[67:68]
	s_clause 0x3
	buffer_load_dword v67, off, s[0:3], 0 offset:144
	buffer_load_dword v68, off, s[0:3], 0 offset:148
	;; [unrolled: 1-line block ×4, first 2 shown]
	s_waitcnt vmcnt(49)
	v_fma_f64 v[75:76], v[55:56], v[83:84], -v[75:76]
	ds_read_b128 v[63:66], v2 offset:624
	v_fma_f64 v[73:74], v[57:58], v[83:84], v[73:74]
	ds_read_b128 v[55:58], v2 offset:640
	s_waitcnt vmcnt(44)
	v_fma_f64 v[77:78], v[59:60], v[79:80], -v[77:78]
	v_add_f64 v[71:72], v[125:126], v[71:72]
	v_add_f64 v[3:4], v[3:4], v[81:82]
	s_waitcnt lgkmcnt(1)
	v_mul_f64 v[83:84], v[65:66], v[85:86]
	v_mul_f64 v[81:82], v[63:64], v[85:86]
	v_add_f64 v[71:72], v[71:72], v[75:76]
	v_fma_f64 v[75:76], v[61:62], v[79:80], v[131:132]
	v_add_f64 v[3:4], v[3:4], v[73:74]
	s_waitcnt vmcnt(43) lgkmcnt(0)
	v_mul_f64 v[79:80], v[57:58], v[87:88]
	s_waitcnt vmcnt(41)
	v_fma_f64 v[83:84], v[63:64], v[91:92], -v[83:84]
	ds_read_b128 v[59:62], v2 offset:656
	v_mul_f64 v[73:74], v[55:56], v[87:88]
	v_add_f64 v[71:72], v[71:72], v[77:78]
	v_fma_f64 v[77:78], v[65:66], v[91:92], v[81:82]
	v_add_f64 v[3:4], v[3:4], v[75:76]
	ds_read_b128 v[63:66], v2 offset:672
	s_waitcnt vmcnt(37) lgkmcnt(1)
	v_mul_f64 v[81:82], v[61:62], v[93:94]
	s_waitcnt vmcnt(36)
	v_fma_f64 v[79:80], v[55:56], v[89:90], -v[79:80]
	v_mul_f64 v[75:76], v[59:60], v[93:94]
	v_fma_f64 v[73:74], v[57:58], v[89:90], v[73:74]
	ds_read_b128 v[55:58], v2 offset:688
	v_add_f64 v[71:72], v[71:72], v[83:84]
	s_waitcnt vmcnt(35) lgkmcnt(1)
	v_mul_f64 v[83:84], v[65:66], v[95:96]
	v_add_f64 v[3:4], v[3:4], v[77:78]
	v_mul_f64 v[77:78], v[63:64], v[95:96]
	s_waitcnt vmcnt(33)
	v_fma_f64 v[81:82], v[59:60], v[99:100], -v[81:82]
	v_fma_f64 v[75:76], v[61:62], v[99:100], v[75:76]
	ds_read_b128 v[59:62], v2 offset:704
	v_add_f64 v[71:72], v[71:72], v[79:80]
	s_waitcnt vmcnt(29) lgkmcnt(1)
	v_mul_f64 v[79:80], v[57:58], v[101:102]
	v_add_f64 v[3:4], v[3:4], v[73:74]
	s_waitcnt vmcnt(28)
	v_fma_f64 v[83:84], v[63:64], v[97:98], -v[83:84]
	v_mul_f64 v[73:74], v[55:56], v[101:102]
	v_fma_f64 v[77:78], v[65:66], v[97:98], v[77:78]
	ds_read_b128 v[63:66], v2 offset:720
	v_add_f64 v[71:72], v[71:72], v[81:82]
	s_waitcnt vmcnt(27) lgkmcnt(1)
	v_mul_f64 v[81:82], v[61:62], v[103:104]
	v_add_f64 v[3:4], v[3:4], v[75:76]
	s_waitcnt vmcnt(25)
	v_fma_f64 v[79:80], v[55:56], v[107:108], -v[79:80]
	v_mul_f64 v[75:76], v[59:60], v[103:104]
	;; [unrolled: 9-line block ×6, first 2 shown]
	v_fma_f64 v[61:62], v[61:62], v[123:124], v[75:76]
	s_waitcnt vmcnt(7) lgkmcnt(0)
	v_mul_f64 v[75:76], v[57:58], v[127:128]
	v_add_f64 v[71:72], v[71:72], v[79:80]
	s_waitcnt vmcnt(6)
	v_fma_f64 v[63:64], v[63:64], v[121:122], -v[83:84]
	v_add_f64 v[2:3], v[3:4], v[73:74]
	v_mul_f64 v[73:74], v[55:56], v[127:128]
	v_fma_f64 v[65:66], v[65:66], v[121:122], v[77:78]
	v_add_f64 v[59:60], v[71:72], v[59:60]
	v_add_f64 v[2:3], v[2:3], v[61:62]
	s_waitcnt vmcnt(4)
	v_fma_f64 v[55:56], v[55:56], v[69:70], -v[75:76]
	v_fma_f64 v[57:58], v[57:58], v[69:70], v[73:74]
	v_add_f64 v[59:60], v[59:60], v[63:64]
	v_add_f64 v[2:3], v[2:3], v[65:66]
	;; [unrolled: 1-line block ×4, first 2 shown]
	s_waitcnt vmcnt(2)
	v_add_f64 v[55:56], v[67:68], -v[55:56]
	s_waitcnt vmcnt(0)
	v_add_f64 v[2:3], v[129:130], -v[2:3]
	buffer_store_dword v56, off, s[0:3], 0 offset:148
	buffer_store_dword v55, off, s[0:3], 0 offset:144
	;; [unrolled: 1-line block ×4, first 2 shown]
	v_cmpx_lt_u32_e32 7, v0
	s_cbranch_execz .LBB24_149
; %bb.148:
	v_mov_b32_e32 v2, s29
	s_clause 0x3
	buffer_load_dword v55, v2, s[0:3], 0 offen
	buffer_load_dword v56, v2, s[0:3], 0 offen offset:4
	buffer_load_dword v57, v2, s[0:3], 0 offen offset:8
	;; [unrolled: 1-line block ×3, first 2 shown]
	v_mov_b32_e32 v2, 0
	buffer_store_dword v2, off, s[0:3], 0 offset:128
	buffer_store_dword v2, off, s[0:3], 0 offset:132
	;; [unrolled: 1-line block ×4, first 2 shown]
	s_waitcnt vmcnt(0)
	ds_write_b128 v1, v[55:58]
.LBB24_149:
	s_or_b32 exec_lo, exec_lo, s4
	s_waitcnt lgkmcnt(0)
	s_waitcnt_vscnt null, 0x0
	s_barrier
	buffer_gl0_inv
	s_clause 0x37
	buffer_load_dword v3, off, s[0:3], 0 offset:152
	buffer_load_dword v4, off, s[0:3], 0 offset:156
	;; [unrolled: 1-line block ×56, first 2 shown]
	v_mov_b32_e32 v2, 0
	s_mov_b32 s4, exec_lo
	ds_read_b128 v[55:58], v2 offset:528
	s_clause 0x2
	buffer_load_dword v120, off, s[0:3], 0 offset:380
	buffer_load_dword v124, off, s[0:3], 0 offset:356
	;; [unrolled: 1-line block ×3, first 2 shown]
	ds_read_b128 v[59:62], v2 offset:544
	s_clause 0x4
	buffer_load_dword v128, off, s[0:3], 0 offset:396
	buffer_load_dword v129, off, s[0:3], 0 offset:408
	;; [unrolled: 1-line block ×5, first 2 shown]
	ds_read_b128 v[63:66], v2 offset:560
	s_waitcnt vmcnt(62) lgkmcnt(2)
	v_mul_f64 v[125:126], v[57:58], v[3:4]
	v_mul_f64 v[3:4], v[55:56], v[3:4]
	s_waitcnt vmcnt(60) lgkmcnt(1)
	v_mul_f64 v[132:133], v[61:62], v[67:68]
	v_mul_f64 v[67:68], v[59:60], v[67:68]
	;; [unrolled: 3-line block ×3, first 2 shown]
	v_fma_f64 v[125:126], v[55:56], v[69:70], -v[125:126]
	v_fma_f64 v[3:4], v[57:58], v[69:70], v[3:4]
	s_clause 0x2
	buffer_load_dword v130, off, s[0:3], 0 offset:412
	buffer_load_dword v70, off, s[0:3], 0 offset:388
	;; [unrolled: 1-line block ×3, first 2 shown]
	s_waitcnt vmcnt(57)
	v_fma_f64 v[136:137], v[59:60], v[73:74], -v[132:133]
	ds_read_b128 v[55:58], v2 offset:576
	v_fma_f64 v[67:68], v[61:62], v[73:74], v[67:68]
	buffer_load_dword v132, off, s[0:3], 0 offset:404
	ds_read_b128 v[59:62], v2 offset:592
	s_waitcnt vmcnt(52)
	v_fma_f64 v[71:72], v[63:64], v[81:82], -v[71:72]
	v_fma_f64 v[81:82], v[65:66], v[81:82], v[134:135]
	ds_read_b128 v[63:66], v2 offset:608
	v_add_f64 v[125:126], v[125:126], 0
	v_add_f64 v[3:4], v[3:4], 0
	s_waitcnt lgkmcnt(2)
	v_mul_f64 v[73:74], v[55:56], v[75:76]
	v_mul_f64 v[75:76], v[57:58], v[75:76]
	v_add_f64 v[125:126], v[125:126], v[136:137]
	v_add_f64 v[3:4], v[3:4], v[67:68]
	s_waitcnt vmcnt(51) lgkmcnt(1)
	v_mul_f64 v[67:68], v[59:60], v[77:78]
	v_mul_f64 v[77:78], v[61:62], v[77:78]
	s_waitcnt vmcnt(49)
	v_fma_f64 v[75:76], v[55:56], v[83:84], -v[75:76]
	v_fma_f64 v[73:74], v[57:58], v[83:84], v[73:74]
	v_add_f64 v[71:72], v[125:126], v[71:72]
	v_add_f64 v[3:4], v[3:4], v[81:82]
	s_clause 0x3
	buffer_load_dword v81, off, s[0:3], 0 offset:128
	buffer_load_dword v82, off, s[0:3], 0 offset:132
	;; [unrolled: 1-line block ×4, first 2 shown]
	s_waitcnt vmcnt(49) lgkmcnt(0)
	v_mul_f64 v[125:126], v[63:64], v[85:86]
	v_mul_f64 v[85:86], v[65:66], v[85:86]
	s_waitcnt vmcnt(48)
	v_fma_f64 v[77:78], v[59:60], v[79:80], -v[77:78]
	ds_read_b128 v[55:58], v2 offset:624
	v_fma_f64 v[67:68], v[61:62], v[79:80], v[67:68]
	ds_read_b128 v[59:62], v2 offset:640
	v_add_f64 v[71:72], v[71:72], v[75:76]
	v_add_f64 v[3:4], v[3:4], v[73:74]
	s_waitcnt vmcnt(47) lgkmcnt(1)
	v_mul_f64 v[75:76], v[57:58], v[87:88]
	s_waitcnt vmcnt(45)
	v_fma_f64 v[79:80], v[63:64], v[91:92], -v[85:86]
	v_mul_f64 v[73:74], v[55:56], v[87:88]
	s_waitcnt vmcnt(41) lgkmcnt(0)
	v_mul_f64 v[85:86], v[61:62], v[93:94]
	v_add_f64 v[71:72], v[71:72], v[77:78]
	v_fma_f64 v[77:78], v[65:66], v[91:92], v[125:126]
	v_add_f64 v[3:4], v[3:4], v[67:68]
	ds_read_b128 v[63:66], v2 offset:656
	s_waitcnt vmcnt(40)
	v_fma_f64 v[75:76], v[55:56], v[89:90], -v[75:76]
	v_mul_f64 v[67:68], v[59:60], v[93:94]
	v_fma_f64 v[73:74], v[57:58], v[89:90], v[73:74]
	ds_read_b128 v[55:58], v2 offset:672
	s_waitcnt vmcnt(37)
	v_fma_f64 v[85:86], v[59:60], v[99:100], -v[85:86]
	v_add_f64 v[71:72], v[71:72], v[79:80]
	s_waitcnt lgkmcnt(1)
	v_mul_f64 v[79:80], v[65:66], v[95:96]
	v_add_f64 v[3:4], v[3:4], v[77:78]
	v_mul_f64 v[77:78], v[63:64], v[95:96]
	v_fma_f64 v[67:68], v[61:62], v[99:100], v[67:68]
	ds_read_b128 v[59:62], v2 offset:688
	v_add_f64 v[71:72], v[71:72], v[75:76]
	s_waitcnt vmcnt(33) lgkmcnt(1)
	v_mul_f64 v[75:76], v[57:58], v[101:102]
	v_add_f64 v[3:4], v[3:4], v[73:74]
	s_waitcnt vmcnt(32)
	v_fma_f64 v[79:80], v[63:64], v[97:98], -v[79:80]
	v_mul_f64 v[73:74], v[55:56], v[101:102]
	v_fma_f64 v[77:78], v[65:66], v[97:98], v[77:78]
	ds_read_b128 v[63:66], v2 offset:704
	v_add_f64 v[71:72], v[71:72], v[85:86]
	s_waitcnt vmcnt(31) lgkmcnt(1)
	v_mul_f64 v[85:86], v[61:62], v[103:104]
	v_add_f64 v[3:4], v[3:4], v[67:68]
	s_waitcnt vmcnt(29)
	v_fma_f64 v[75:76], v[55:56], v[107:108], -v[75:76]
	;; [unrolled: 9-line block ×7, first 2 shown]
	v_mul_f64 v[73:74], v[55:56], v[127:128]
	v_fma_f64 v[65:66], v[65:66], v[121:122], v[77:78]
	v_add_f64 v[71:72], v[71:72], v[85:86]
	v_add_f64 v[3:4], v[3:4], v[67:68]
	s_waitcnt vmcnt(7) lgkmcnt(0)
	v_mul_f64 v[77:78], v[61:62], v[129:130]
	v_mul_f64 v[67:68], v[59:60], v[129:130]
	s_waitcnt vmcnt(5)
	v_fma_f64 v[55:56], v[55:56], v[69:70], -v[75:76]
	v_fma_f64 v[57:58], v[57:58], v[69:70], v[73:74]
	v_add_f64 v[63:64], v[71:72], v[63:64]
	v_add_f64 v[3:4], v[3:4], v[65:66]
	s_waitcnt vmcnt(4)
	v_fma_f64 v[59:60], v[59:60], v[131:132], -v[77:78]
	v_fma_f64 v[61:62], v[61:62], v[131:132], v[67:68]
	v_add_f64 v[55:56], v[63:64], v[55:56]
	v_add_f64 v[3:4], v[3:4], v[57:58]
	v_add_f64 v[55:56], v[55:56], v[59:60]
	v_add_f64 v[3:4], v[3:4], v[61:62]
	s_waitcnt vmcnt(2)
	v_add_f64 v[55:56], v[81:82], -v[55:56]
	s_waitcnt vmcnt(0)
	v_add_f64 v[3:4], v[83:84], -v[3:4]
	buffer_store_dword v56, off, s[0:3], 0 offset:132
	buffer_store_dword v55, off, s[0:3], 0 offset:128
	;; [unrolled: 1-line block ×4, first 2 shown]
	v_cmpx_lt_u32_e32 6, v0
	s_cbranch_execz .LBB24_151
; %bb.150:
	v_mov_b32_e32 v3, s30
	s_clause 0x3
	buffer_load_dword v55, v3, s[0:3], 0 offen
	buffer_load_dword v56, v3, s[0:3], 0 offen offset:4
	buffer_load_dword v57, v3, s[0:3], 0 offen offset:8
	;; [unrolled: 1-line block ×3, first 2 shown]
	buffer_store_dword v2, off, s[0:3], 0 offset:112
	buffer_store_dword v2, off, s[0:3], 0 offset:116
	;; [unrolled: 1-line block ×4, first 2 shown]
	s_waitcnt vmcnt(0)
	ds_write_b128 v1, v[55:58]
.LBB24_151:
	s_or_b32 exec_lo, exec_lo, s4
	s_waitcnt lgkmcnt(0)
	s_waitcnt_vscnt null, 0x0
	s_barrier
	buffer_gl0_inv
	s_clause 0x37
	buffer_load_dword v3, off, s[0:3], 0 offset:136
	buffer_load_dword v4, off, s[0:3], 0 offset:140
	;; [unrolled: 1-line block ×56, first 2 shown]
	ds_read_b128 v[55:58], v2 offset:512
	s_clause 0x2
	buffer_load_dword v120, off, s[0:3], 0 offset:364
	buffer_load_dword v124, off, s[0:3], 0 offset:340
	;; [unrolled: 1-line block ×3, first 2 shown]
	ds_read_b128 v[59:62], v2 offset:528
	s_clause 0x4
	buffer_load_dword v128, off, s[0:3], 0 offset:380
	buffer_load_dword v129, off, s[0:3], 0 offset:392
	;; [unrolled: 1-line block ×5, first 2 shown]
	ds_read_b128 v[63:66], v2 offset:544
	s_mov_b32 s4, exec_lo
	s_waitcnt vmcnt(62) lgkmcnt(2)
	v_mul_f64 v[125:126], v[57:58], v[3:4]
	v_mul_f64 v[3:4], v[55:56], v[3:4]
	s_waitcnt vmcnt(60) lgkmcnt(1)
	v_mul_f64 v[132:133], v[61:62], v[67:68]
	v_mul_f64 v[67:68], v[59:60], v[67:68]
	;; [unrolled: 3-line block ×3, first 2 shown]
	v_fma_f64 v[125:126], v[55:56], v[69:70], -v[125:126]
	v_fma_f64 v[3:4], v[57:58], v[69:70], v[3:4]
	s_clause 0x2
	buffer_load_dword v130, off, s[0:3], 0 offset:396
	buffer_load_dword v70, off, s[0:3], 0 offset:372
	buffer_load_dword v69, off, s[0:3], 0 offset:368
	s_waitcnt vmcnt(57)
	v_fma_f64 v[136:137], v[59:60], v[73:74], -v[132:133]
	ds_read_b128 v[55:58], v2 offset:560
	v_fma_f64 v[67:68], v[61:62], v[73:74], v[67:68]
	s_clause 0x2
	buffer_load_dword v74, off, s[0:3], 0 offset:412
	buffer_load_dword v73, off, s[0:3], 0 offset:408
	;; [unrolled: 1-line block ×3, first 2 shown]
	s_waitcnt vmcnt(54)
	v_fma_f64 v[71:72], v[63:64], v[81:82], -v[71:72]
	ds_read_b128 v[59:62], v2 offset:576
	v_fma_f64 v[81:82], v[65:66], v[81:82], v[134:135]
	v_add_f64 v[125:126], v[125:126], 0
	v_add_f64 v[3:4], v[3:4], 0
	s_waitcnt lgkmcnt(1)
	v_mul_f64 v[138:139], v[55:56], v[75:76]
	v_mul_f64 v[75:76], v[57:58], v[75:76]
	s_waitcnt vmcnt(53) lgkmcnt(0)
	v_mul_f64 v[133:134], v[59:60], v[77:78]
	v_mul_f64 v[77:78], v[61:62], v[77:78]
	v_add_f64 v[125:126], v[125:126], v[136:137]
	v_add_f64 v[3:4], v[3:4], v[67:68]
	s_clause 0x1
	buffer_load_dword v68, off, s[0:3], 0 offset:404
	buffer_load_dword v67, off, s[0:3], 0 offset:400
	s_waitcnt vmcnt(53)
	v_fma_f64 v[75:76], v[55:56], v[83:84], -v[75:76]
	ds_read_b128 v[63:66], v2 offset:592
	v_fma_f64 v[83:84], v[57:58], v[83:84], v[138:139]
	ds_read_b128 v[55:58], v2 offset:608
	s_waitcnt vmcnt(48)
	v_fma_f64 v[77:78], v[59:60], v[79:80], -v[77:78]
	v_add_f64 v[71:72], v[125:126], v[71:72]
	v_add_f64 v[3:4], v[3:4], v[81:82]
	s_waitcnt lgkmcnt(1)
	v_mul_f64 v[81:82], v[63:64], v[85:86]
	v_mul_f64 v[85:86], v[65:66], v[85:86]
	s_waitcnt vmcnt(47) lgkmcnt(0)
	v_mul_f64 v[125:126], v[55:56], v[87:88]
	v_mul_f64 v[87:88], v[57:58], v[87:88]
	v_add_f64 v[71:72], v[71:72], v[75:76]
	v_fma_f64 v[75:76], v[61:62], v[79:80], v[133:134]
	v_add_f64 v[3:4], v[3:4], v[83:84]
	s_clause 0x3
	buffer_load_dword v79, off, s[0:3], 0 offset:112
	buffer_load_dword v80, off, s[0:3], 0 offset:116
	;; [unrolled: 1-line block ×4, first 2 shown]
	s_waitcnt vmcnt(49)
	v_fma_f64 v[85:86], v[63:64], v[91:92], -v[85:86]
	ds_read_b128 v[59:62], v2 offset:624
	s_waitcnt vmcnt(44)
	v_fma_f64 v[87:88], v[55:56], v[89:90], -v[87:88]
	v_add_f64 v[71:72], v[71:72], v[77:78]
	v_fma_f64 v[77:78], v[65:66], v[91:92], v[81:82]
	v_add_f64 v[3:4], v[3:4], v[75:76]
	ds_read_b128 v[63:66], v2 offset:640
	s_waitcnt lgkmcnt(1)
	v_mul_f64 v[81:82], v[61:62], v[93:94]
	v_mul_f64 v[75:76], v[59:60], v[93:94]
	v_add_f64 v[71:72], v[71:72], v[85:86]
	v_fma_f64 v[85:86], v[57:58], v[89:90], v[125:126]
	v_add_f64 v[3:4], v[3:4], v[77:78]
	s_waitcnt vmcnt(43) lgkmcnt(0)
	v_mul_f64 v[89:90], v[65:66], v[95:96]
	s_waitcnt vmcnt(41)
	v_fma_f64 v[81:82], v[59:60], v[99:100], -v[81:82]
	ds_read_b128 v[55:58], v2 offset:656
	v_mul_f64 v[77:78], v[63:64], v[95:96]
	v_fma_f64 v[75:76], v[61:62], v[99:100], v[75:76]
	ds_read_b128 v[59:62], v2 offset:672
	v_add_f64 v[71:72], v[71:72], v[87:88]
	v_add_f64 v[3:4], v[3:4], v[85:86]
	s_waitcnt vmcnt(37) lgkmcnt(1)
	v_mul_f64 v[87:88], v[57:58], v[101:102]
	s_waitcnt vmcnt(36)
	v_fma_f64 v[89:90], v[63:64], v[97:98], -v[89:90]
	v_mul_f64 v[85:86], v[55:56], v[101:102]
	v_fma_f64 v[77:78], v[65:66], v[97:98], v[77:78]
	ds_read_b128 v[63:66], v2 offset:688
	v_add_f64 v[71:72], v[71:72], v[81:82]
	s_waitcnt vmcnt(35) lgkmcnt(1)
	v_mul_f64 v[81:82], v[61:62], v[103:104]
	v_add_f64 v[3:4], v[3:4], v[75:76]
	s_waitcnt vmcnt(33)
	v_fma_f64 v[87:88], v[55:56], v[107:108], -v[87:88]
	v_mul_f64 v[75:76], v[59:60], v[103:104]
	v_fma_f64 v[85:86], v[57:58], v[107:108], v[85:86]
	ds_read_b128 v[55:58], v2 offset:704
	v_add_f64 v[71:72], v[71:72], v[89:90]
	s_waitcnt vmcnt(29) lgkmcnt(1)
	v_mul_f64 v[89:90], v[65:66], v[109:110]
	v_add_f64 v[3:4], v[3:4], v[77:78]
	;; [unrolled: 9-line block ×6, first 2 shown]
	s_waitcnt vmcnt(12)
	v_fma_f64 v[89:90], v[63:64], v[121:122], -v[89:90]
	v_mul_f64 v[85:86], v[55:56], v[127:128]
	v_fma_f64 v[77:78], v[65:66], v[121:122], v[77:78]
	ds_read_b128 v[63:66], v2 offset:784
	v_add_f64 v[71:72], v[71:72], v[81:82]
	v_add_f64 v[3:4], v[3:4], v[75:76]
	s_waitcnt vmcnt(11) lgkmcnt(1)
	v_mul_f64 v[81:82], v[61:62], v[129:130]
	v_mul_f64 v[75:76], v[59:60], v[129:130]
	s_waitcnt vmcnt(9)
	v_fma_f64 v[55:56], v[55:56], v[69:70], -v[87:88]
	v_fma_f64 v[57:58], v[57:58], v[69:70], v[85:86]
	s_waitcnt vmcnt(7) lgkmcnt(0)
	v_mul_f64 v[69:70], v[63:64], v[73:74]
	v_mul_f64 v[73:74], v[65:66], v[73:74]
	v_add_f64 v[71:72], v[71:72], v[89:90]
	v_add_f64 v[2:3], v[3:4], v[77:78]
	s_waitcnt vmcnt(6)
	v_fma_f64 v[59:60], v[59:60], v[131:132], -v[81:82]
	v_fma_f64 v[61:62], v[61:62], v[131:132], v[75:76]
	v_add_f64 v[55:56], v[71:72], v[55:56]
	v_add_f64 v[2:3], v[2:3], v[57:58]
	s_waitcnt vmcnt(4)
	v_fma_f64 v[57:58], v[63:64], v[67:68], -v[73:74]
	v_add_f64 v[55:56], v[55:56], v[59:60]
	v_fma_f64 v[59:60], v[65:66], v[67:68], v[69:70]
	v_add_f64 v[2:3], v[2:3], v[61:62]
	v_add_f64 v[55:56], v[55:56], v[57:58]
	;; [unrolled: 1-line block ×3, first 2 shown]
	s_waitcnt vmcnt(2)
	v_add_f64 v[55:56], v[79:80], -v[55:56]
	s_waitcnt vmcnt(0)
	v_add_f64 v[2:3], v[83:84], -v[2:3]
	buffer_store_dword v56, off, s[0:3], 0 offset:116
	buffer_store_dword v55, off, s[0:3], 0 offset:112
	;; [unrolled: 1-line block ×4, first 2 shown]
	v_cmpx_lt_u32_e32 5, v0
	s_cbranch_execz .LBB24_153
; %bb.152:
	v_mov_b32_e32 v2, s31
	s_clause 0x3
	buffer_load_dword v55, v2, s[0:3], 0 offen
	buffer_load_dword v56, v2, s[0:3], 0 offen offset:4
	buffer_load_dword v57, v2, s[0:3], 0 offen offset:8
	;; [unrolled: 1-line block ×3, first 2 shown]
	v_mov_b32_e32 v2, 0
	buffer_store_dword v2, off, s[0:3], 0 offset:96
	buffer_store_dword v2, off, s[0:3], 0 offset:100
	;; [unrolled: 1-line block ×4, first 2 shown]
	s_waitcnt vmcnt(0)
	ds_write_b128 v1, v[55:58]
.LBB24_153:
	s_or_b32 exec_lo, exec_lo, s4
	s_waitcnt lgkmcnt(0)
	s_waitcnt_vscnt null, 0x0
	s_barrier
	buffer_gl0_inv
	s_clause 0x37
	buffer_load_dword v3, off, s[0:3], 0 offset:120
	buffer_load_dword v4, off, s[0:3], 0 offset:124
	;; [unrolled: 1-line block ×56, first 2 shown]
	v_mov_b32_e32 v2, 0
	s_mov_b32 s4, exec_lo
	ds_read_b128 v[55:58], v2 offset:496
	s_clause 0x2
	buffer_load_dword v120, off, s[0:3], 0 offset:348
	buffer_load_dword v124, off, s[0:3], 0 offset:324
	;; [unrolled: 1-line block ×3, first 2 shown]
	ds_read_b128 v[59:62], v2 offset:512
	s_clause 0x4
	buffer_load_dword v128, off, s[0:3], 0 offset:364
	buffer_load_dword v129, off, s[0:3], 0 offset:376
	;; [unrolled: 1-line block ×5, first 2 shown]
	ds_read_b128 v[63:66], v2 offset:528
	s_waitcnt vmcnt(62) lgkmcnt(2)
	v_mul_f64 v[125:126], v[57:58], v[3:4]
	v_mul_f64 v[3:4], v[55:56], v[3:4]
	s_waitcnt vmcnt(60) lgkmcnt(1)
	v_mul_f64 v[132:133], v[61:62], v[67:68]
	v_mul_f64 v[67:68], v[59:60], v[67:68]
	;; [unrolled: 3-line block ×3, first 2 shown]
	v_fma_f64 v[125:126], v[55:56], v[69:70], -v[125:126]
	v_fma_f64 v[3:4], v[57:58], v[69:70], v[3:4]
	s_clause 0x2
	buffer_load_dword v130, off, s[0:3], 0 offset:380
	buffer_load_dword v70, off, s[0:3], 0 offset:356
	;; [unrolled: 1-line block ×3, first 2 shown]
	s_waitcnt vmcnt(57)
	v_fma_f64 v[136:137], v[59:60], v[73:74], -v[132:133]
	ds_read_b128 v[55:58], v2 offset:544
	v_fma_f64 v[67:68], v[61:62], v[73:74], v[67:68]
	s_clause 0x4
	buffer_load_dword v74, off, s[0:3], 0 offset:396
	buffer_load_dword v133, off, s[0:3], 0 offset:408
	;; [unrolled: 1-line block ×5, first 2 shown]
	s_waitcnt vmcnt(56)
	v_fma_f64 v[71:72], v[63:64], v[81:82], -v[71:72]
	ds_read_b128 v[59:62], v2 offset:560
	v_fma_f64 v[81:82], v[65:66], v[81:82], v[134:135]
	v_add_f64 v[125:126], v[125:126], 0
	v_add_f64 v[3:4], v[3:4], 0
	s_waitcnt lgkmcnt(1)
	v_mul_f64 v[139:140], v[55:56], v[75:76]
	v_mul_f64 v[75:76], v[57:58], v[75:76]
	v_add_f64 v[125:126], v[125:126], v[136:137]
	v_add_f64 v[3:4], v[3:4], v[67:68]
	s_clause 0x2
	buffer_load_dword v134, off, s[0:3], 0 offset:412
	buffer_load_dword v68, off, s[0:3], 0 offset:388
	;; [unrolled: 1-line block ×3, first 2 shown]
	s_waitcnt vmcnt(58) lgkmcnt(0)
	v_mul_f64 v[135:136], v[59:60], v[77:78]
	v_mul_f64 v[77:78], v[61:62], v[77:78]
	s_waitcnt vmcnt(56)
	v_fma_f64 v[75:76], v[55:56], v[83:84], -v[75:76]
	ds_read_b128 v[63:66], v2 offset:576
	v_fma_f64 v[83:84], v[57:58], v[83:84], v[139:140]
	buffer_load_dword v139, off, s[0:3], 0 offset:404
	ds_read_b128 v[55:58], v2 offset:592
	v_add_f64 v[71:72], v[125:126], v[71:72]
	v_add_f64 v[3:4], v[3:4], v[81:82]
	s_waitcnt vmcnt(53) lgkmcnt(1)
	v_mul_f64 v[81:82], v[63:64], v[85:86]
	v_mul_f64 v[85:86], v[65:66], v[85:86]
	s_waitcnt vmcnt(52)
	v_fma_f64 v[77:78], v[59:60], v[79:80], -v[77:78]
	v_add_f64 v[71:72], v[71:72], v[75:76]
	v_fma_f64 v[75:76], v[61:62], v[79:80], v[135:136]
	v_add_f64 v[3:4], v[3:4], v[83:84]
	s_waitcnt vmcnt(51) lgkmcnt(0)
	v_mul_f64 v[83:84], v[57:58], v[87:88]
	ds_read_b128 v[59:62], v2 offset:608
	s_waitcnt vmcnt(49)
	v_fma_f64 v[85:86], v[63:64], v[91:92], -v[85:86]
	v_mul_f64 v[79:80], v[55:56], v[87:88]
	v_add_f64 v[71:72], v[71:72], v[77:78]
	v_fma_f64 v[77:78], v[65:66], v[91:92], v[81:82]
	v_add_f64 v[3:4], v[3:4], v[75:76]
	s_clause 0x3
	buffer_load_dword v75, off, s[0:3], 0 offset:96
	buffer_load_dword v76, off, s[0:3], 0 offset:100
	;; [unrolled: 1-line block ×4, first 2 shown]
	s_waitcnt vmcnt(49) lgkmcnt(0)
	v_mul_f64 v[91:92], v[61:62], v[93:94]
	s_waitcnt vmcnt(48)
	v_fma_f64 v[83:84], v[55:56], v[89:90], -v[83:84]
	ds_read_b128 v[63:66], v2 offset:624
	v_mul_f64 v[87:88], v[59:60], v[93:94]
	v_fma_f64 v[79:80], v[57:58], v[89:90], v[79:80]
	ds_read_b128 v[55:58], v2 offset:640
	v_add_f64 v[71:72], v[71:72], v[85:86]
	v_add_f64 v[3:4], v[3:4], v[77:78]
	s_waitcnt vmcnt(47) lgkmcnt(1)
	v_mul_f64 v[85:86], v[65:66], v[95:96]
	s_waitcnt vmcnt(45)
	v_fma_f64 v[89:90], v[59:60], v[99:100], -v[91:92]
	v_mul_f64 v[77:78], v[63:64], v[95:96]
	v_add_f64 v[71:72], v[71:72], v[83:84]
	v_fma_f64 v[83:84], v[61:62], v[99:100], v[87:88]
	v_add_f64 v[3:4], v[3:4], v[79:80]
	s_waitcnt vmcnt(41) lgkmcnt(0)
	v_mul_f64 v[87:88], v[57:58], v[101:102]
	s_waitcnt vmcnt(40)
	v_fma_f64 v[85:86], v[63:64], v[97:98], -v[85:86]
	ds_read_b128 v[59:62], v2 offset:656
	v_mul_f64 v[79:80], v[55:56], v[101:102]
	v_fma_f64 v[77:78], v[65:66], v[97:98], v[77:78]
	ds_read_b128 v[63:66], v2 offset:672
	v_add_f64 v[71:72], v[71:72], v[89:90]
	v_add_f64 v[3:4], v[3:4], v[83:84]
	s_waitcnt vmcnt(39) lgkmcnt(1)
	v_mul_f64 v[89:90], v[61:62], v[103:104]
	s_waitcnt vmcnt(37)
	v_fma_f64 v[87:88], v[55:56], v[107:108], -v[87:88]
	v_mul_f64 v[83:84], v[59:60], v[103:104]
	v_fma_f64 v[79:80], v[57:58], v[107:108], v[79:80]
	ds_read_b128 v[55:58], v2 offset:688
	v_add_f64 v[71:72], v[71:72], v[85:86]
	s_waitcnt vmcnt(33) lgkmcnt(1)
	v_mul_f64 v[85:86], v[65:66], v[109:110]
	v_add_f64 v[3:4], v[3:4], v[77:78]
	s_waitcnt vmcnt(32)
	v_fma_f64 v[89:90], v[59:60], v[105:106], -v[89:90]
	v_mul_f64 v[77:78], v[63:64], v[109:110]
	v_fma_f64 v[83:84], v[61:62], v[105:106], v[83:84]
	ds_read_b128 v[59:62], v2 offset:704
	v_add_f64 v[71:72], v[71:72], v[87:88]
	s_waitcnt vmcnt(31) lgkmcnt(1)
	v_mul_f64 v[87:88], v[57:58], v[111:112]
	v_add_f64 v[3:4], v[3:4], v[79:80]
	s_waitcnt vmcnt(29)
	v_fma_f64 v[85:86], v[63:64], v[115:116], -v[85:86]
	v_mul_f64 v[79:80], v[55:56], v[111:112]
	v_fma_f64 v[77:78], v[65:66], v[115:116], v[77:78]
	ds_read_b128 v[63:66], v2 offset:720
	v_add_f64 v[71:72], v[71:72], v[89:90]
	s_waitcnt vmcnt(25) lgkmcnt(1)
	v_mul_f64 v[89:90], v[61:62], v[117:118]
	v_add_f64 v[3:4], v[3:4], v[83:84]
	s_waitcnt vmcnt(24)
	v_fma_f64 v[87:88], v[55:56], v[113:114], -v[87:88]
	v_mul_f64 v[83:84], v[59:60], v[117:118]
	v_fma_f64 v[79:80], v[57:58], v[113:114], v[79:80]
	ds_read_b128 v[55:58], v2 offset:736
	v_add_f64 v[71:72], v[71:72], v[85:86]
	s_waitcnt vmcnt(23) lgkmcnt(1)
	v_mul_f64 v[85:86], v[65:66], v[119:120]
	v_add_f64 v[3:4], v[3:4], v[77:78]
	s_waitcnt vmcnt(21)
	v_fma_f64 v[89:90], v[59:60], v[123:124], -v[89:90]
	v_mul_f64 v[77:78], v[63:64], v[119:120]
	v_fma_f64 v[83:84], v[61:62], v[123:124], v[83:84]
	ds_read_b128 v[59:62], v2 offset:752
	v_add_f64 v[71:72], v[71:72], v[87:88]
	s_waitcnt vmcnt(17) lgkmcnt(1)
	v_mul_f64 v[87:88], v[57:58], v[127:128]
	v_add_f64 v[3:4], v[3:4], v[79:80]
	s_waitcnt vmcnt(16)
	v_fma_f64 v[85:86], v[63:64], v[121:122], -v[85:86]
	v_mul_f64 v[79:80], v[55:56], v[127:128]
	v_fma_f64 v[77:78], v[65:66], v[121:122], v[77:78]
	ds_read_b128 v[63:66], v2 offset:768
	v_add_f64 v[71:72], v[71:72], v[89:90]
	v_add_f64 v[3:4], v[3:4], v[83:84]
	s_waitcnt vmcnt(15) lgkmcnt(1)
	v_mul_f64 v[89:90], v[61:62], v[129:130]
	v_mul_f64 v[83:84], v[59:60], v[129:130]
	s_waitcnt vmcnt(13)
	v_fma_f64 v[87:88], v[55:56], v[69:70], -v[87:88]
	v_fma_f64 v[69:70], v[57:58], v[69:70], v[79:80]
	ds_read_b128 v[55:58], v2 offset:784
	v_add_f64 v[71:72], v[71:72], v[85:86]
	v_add_f64 v[3:4], v[3:4], v[77:78]
	s_waitcnt vmcnt(9) lgkmcnt(1)
	v_mul_f64 v[77:78], v[63:64], v[73:74]
	v_mul_f64 v[73:74], v[65:66], v[73:74]
	s_waitcnt vmcnt(8)
	v_fma_f64 v[59:60], v[59:60], v[131:132], -v[89:90]
	v_fma_f64 v[61:62], v[61:62], v[131:132], v[83:84]
	v_add_f64 v[71:72], v[71:72], v[87:88]
	v_add_f64 v[3:4], v[3:4], v[69:70]
	s_waitcnt vmcnt(7) lgkmcnt(0)
	v_mul_f64 v[79:80], v[57:58], v[133:134]
	v_mul_f64 v[69:70], v[55:56], v[133:134]
	s_waitcnt vmcnt(5)
	v_fma_f64 v[63:64], v[63:64], v[67:68], -v[73:74]
	v_fma_f64 v[65:66], v[65:66], v[67:68], v[77:78]
	v_add_f64 v[59:60], v[71:72], v[59:60]
	v_add_f64 v[3:4], v[3:4], v[61:62]
	s_waitcnt vmcnt(4)
	v_fma_f64 v[55:56], v[55:56], v[138:139], -v[79:80]
	v_fma_f64 v[57:58], v[57:58], v[138:139], v[69:70]
	v_add_f64 v[59:60], v[59:60], v[63:64]
	v_add_f64 v[3:4], v[3:4], v[65:66]
	;; [unrolled: 1-line block ×4, first 2 shown]
	s_waitcnt vmcnt(2)
	v_add_f64 v[55:56], v[75:76], -v[55:56]
	s_waitcnt vmcnt(0)
	v_add_f64 v[3:4], v[81:82], -v[3:4]
	buffer_store_dword v56, off, s[0:3], 0 offset:100
	buffer_store_dword v55, off, s[0:3], 0 offset:96
	;; [unrolled: 1-line block ×4, first 2 shown]
	v_cmpx_lt_u32_e32 4, v0
	s_cbranch_execz .LBB24_155
; %bb.154:
	v_mov_b32_e32 v3, s33
	s_clause 0x3
	buffer_load_dword v55, v3, s[0:3], 0 offen
	buffer_load_dword v56, v3, s[0:3], 0 offen offset:4
	buffer_load_dword v57, v3, s[0:3], 0 offen offset:8
	;; [unrolled: 1-line block ×3, first 2 shown]
	buffer_store_dword v2, off, s[0:3], 0 offset:80
	buffer_store_dword v2, off, s[0:3], 0 offset:84
	;; [unrolled: 1-line block ×4, first 2 shown]
	s_waitcnt vmcnt(0)
	ds_write_b128 v1, v[55:58]
.LBB24_155:
	s_or_b32 exec_lo, exec_lo, s4
	s_waitcnt lgkmcnt(0)
	s_waitcnt_vscnt null, 0x0
	s_barrier
	buffer_gl0_inv
	s_clause 0x37
	buffer_load_dword v3, off, s[0:3], 0 offset:104
	buffer_load_dword v4, off, s[0:3], 0 offset:108
	;; [unrolled: 1-line block ×56, first 2 shown]
	ds_read_b128 v[55:58], v2 offset:480
	s_clause 0x2
	buffer_load_dword v120, off, s[0:3], 0 offset:332
	buffer_load_dword v124, off, s[0:3], 0 offset:308
	;; [unrolled: 1-line block ×3, first 2 shown]
	ds_read_b128 v[59:62], v2 offset:496
	s_clause 0x4
	buffer_load_dword v128, off, s[0:3], 0 offset:348
	buffer_load_dword v129, off, s[0:3], 0 offset:360
	;; [unrolled: 1-line block ×5, first 2 shown]
	ds_read_b128 v[63:66], v2 offset:512
	s_mov_b32 s4, exec_lo
	s_waitcnt vmcnt(62) lgkmcnt(2)
	v_mul_f64 v[125:126], v[57:58], v[3:4]
	v_mul_f64 v[3:4], v[55:56], v[3:4]
	s_waitcnt vmcnt(60) lgkmcnt(1)
	v_mul_f64 v[132:133], v[61:62], v[67:68]
	v_mul_f64 v[67:68], v[59:60], v[67:68]
	;; [unrolled: 3-line block ×3, first 2 shown]
	v_fma_f64 v[125:126], v[55:56], v[69:70], -v[125:126]
	v_fma_f64 v[3:4], v[57:58], v[69:70], v[3:4]
	s_clause 0x2
	buffer_load_dword v130, off, s[0:3], 0 offset:364
	buffer_load_dword v70, off, s[0:3], 0 offset:340
	buffer_load_dword v69, off, s[0:3], 0 offset:336
	s_waitcnt vmcnt(57)
	v_fma_f64 v[136:137], v[59:60], v[73:74], -v[132:133]
	ds_read_b128 v[55:58], v2 offset:528
	v_fma_f64 v[67:68], v[61:62], v[73:74], v[67:68]
	s_clause 0x4
	buffer_load_dword v74, off, s[0:3], 0 offset:380
	buffer_load_dword v133, off, s[0:3], 0 offset:392
	;; [unrolled: 1-line block ×5, first 2 shown]
	s_waitcnt vmcnt(56)
	v_fma_f64 v[71:72], v[63:64], v[81:82], -v[71:72]
	ds_read_b128 v[59:62], v2 offset:544
	v_fma_f64 v[81:82], v[65:66], v[81:82], v[134:135]
	v_add_f64 v[125:126], v[125:126], 0
	v_add_f64 v[3:4], v[3:4], 0
	s_waitcnt lgkmcnt(1)
	v_mul_f64 v[139:140], v[55:56], v[75:76]
	v_mul_f64 v[75:76], v[57:58], v[75:76]
	v_add_f64 v[125:126], v[125:126], v[136:137]
	v_add_f64 v[3:4], v[3:4], v[67:68]
	s_clause 0x2
	buffer_load_dword v134, off, s[0:3], 0 offset:396
	buffer_load_dword v68, off, s[0:3], 0 offset:372
	;; [unrolled: 1-line block ×3, first 2 shown]
	s_waitcnt vmcnt(58) lgkmcnt(0)
	v_mul_f64 v[135:136], v[59:60], v[77:78]
	v_mul_f64 v[77:78], v[61:62], v[77:78]
	s_waitcnt vmcnt(56)
	v_fma_f64 v[75:76], v[55:56], v[83:84], -v[75:76]
	ds_read_b128 v[63:66], v2 offset:560
	v_fma_f64 v[83:84], v[57:58], v[83:84], v[139:140]
	v_add_f64 v[71:72], v[125:126], v[71:72]
	v_add_f64 v[3:4], v[3:4], v[81:82]
	s_clause 0x2
	buffer_load_dword v82, off, s[0:3], 0 offset:412
	buffer_load_dword v81, off, s[0:3], 0 offset:408
	;; [unrolled: 1-line block ×3, first 2 shown]
	ds_read_b128 v[55:58], v2 offset:576
	s_waitcnt vmcnt(55) lgkmcnt(1)
	v_mul_f64 v[125:126], v[63:64], v[85:86]
	v_mul_f64 v[85:86], v[65:66], v[85:86]
	s_waitcnt vmcnt(54)
	v_fma_f64 v[77:78], v[59:60], v[79:80], -v[77:78]
	v_add_f64 v[71:72], v[71:72], v[75:76]
	v_fma_f64 v[75:76], v[61:62], v[79:80], v[135:136]
	v_add_f64 v[3:4], v[3:4], v[83:84]
	s_clause 0x1
	buffer_load_dword v80, off, s[0:3], 0 offset:404
	buffer_load_dword v79, off, s[0:3], 0 offset:400
	s_waitcnt vmcnt(55) lgkmcnt(0)
	v_mul_f64 v[83:84], v[55:56], v[87:88]
	v_mul_f64 v[87:88], v[57:58], v[87:88]
	s_waitcnt vmcnt(53)
	v_fma_f64 v[85:86], v[63:64], v[91:92], -v[85:86]
	ds_read_b128 v[59:62], v2 offset:592
	v_add_f64 v[71:72], v[71:72], v[77:78]
	v_fma_f64 v[77:78], v[65:66], v[91:92], v[125:126]
	v_add_f64 v[3:4], v[3:4], v[75:76]
	ds_read_b128 v[63:66], v2 offset:608
	s_waitcnt vmcnt(48)
	v_fma_f64 v[83:84], v[57:58], v[89:90], v[83:84]
	s_waitcnt lgkmcnt(1)
	v_mul_f64 v[91:92], v[61:62], v[93:94]
	v_fma_f64 v[87:88], v[55:56], v[89:90], -v[87:88]
	v_mul_f64 v[75:76], v[59:60], v[93:94]
	v_add_f64 v[71:72], v[71:72], v[85:86]
	s_waitcnt vmcnt(47) lgkmcnt(0)
	v_mul_f64 v[93:94], v[65:66], v[95:96]
	v_add_f64 v[3:4], v[3:4], v[77:78]
	s_clause 0x3
	buffer_load_dword v77, off, s[0:3], 0 offset:80
	buffer_load_dword v78, off, s[0:3], 0 offset:84
	;; [unrolled: 1-line block ×4, first 2 shown]
	ds_read_b128 v[55:58], v2 offset:624
	s_waitcnt vmcnt(49)
	v_fma_f64 v[91:92], v[59:60], v[99:100], -v[91:92]
	v_mul_f64 v[89:90], v[63:64], v[95:96]
	v_fma_f64 v[75:76], v[61:62], v[99:100], v[75:76]
	ds_read_b128 v[59:62], v2 offset:640
	v_add_f64 v[71:72], v[71:72], v[87:88]
	s_waitcnt vmcnt(44)
	v_fma_f64 v[93:94], v[63:64], v[97:98], -v[93:94]
	v_add_f64 v[3:4], v[3:4], v[83:84]
	s_waitcnt lgkmcnt(1)
	v_mul_f64 v[87:88], v[57:58], v[101:102]
	v_mul_f64 v[83:84], v[55:56], v[101:102]
	v_fma_f64 v[89:90], v[65:66], v[97:98], v[89:90]
	ds_read_b128 v[63:66], v2 offset:656
	v_add_f64 v[71:72], v[71:72], v[91:92]
	s_waitcnt vmcnt(43) lgkmcnt(1)
	v_mul_f64 v[91:92], v[61:62], v[103:104]
	v_add_f64 v[3:4], v[3:4], v[75:76]
	s_waitcnt vmcnt(41)
	v_fma_f64 v[87:88], v[55:56], v[107:108], -v[87:88]
	v_mul_f64 v[75:76], v[59:60], v[103:104]
	v_fma_f64 v[83:84], v[57:58], v[107:108], v[83:84]
	ds_read_b128 v[55:58], v2 offset:672
	v_add_f64 v[71:72], v[71:72], v[93:94]
	s_waitcnt vmcnt(37) lgkmcnt(1)
	v_mul_f64 v[93:94], v[65:66], v[109:110]
	v_add_f64 v[3:4], v[3:4], v[89:90]
	s_waitcnt vmcnt(36)
	v_fma_f64 v[91:92], v[59:60], v[105:106], -v[91:92]
	;; [unrolled: 9-line block ×6, first 2 shown]
	v_mul_f64 v[83:84], v[55:56], v[127:128]
	v_fma_f64 v[89:90], v[65:66], v[121:122], v[89:90]
	ds_read_b128 v[63:66], v2 offset:752
	v_add_f64 v[71:72], v[71:72], v[91:92]
	v_add_f64 v[3:4], v[3:4], v[75:76]
	s_waitcnt vmcnt(19) lgkmcnt(1)
	v_mul_f64 v[91:92], v[61:62], v[129:130]
	v_mul_f64 v[75:76], v[59:60], v[129:130]
	s_waitcnt vmcnt(17)
	v_fma_f64 v[87:88], v[55:56], v[69:70], -v[87:88]
	v_fma_f64 v[69:70], v[57:58], v[69:70], v[83:84]
	ds_read_b128 v[55:58], v2 offset:768
	s_waitcnt vmcnt(13) lgkmcnt(1)
	v_mul_f64 v[83:84], v[63:64], v[73:74]
	v_mul_f64 v[73:74], v[65:66], v[73:74]
	v_add_f64 v[71:72], v[71:72], v[93:94]
	v_add_f64 v[3:4], v[3:4], v[89:90]
	s_waitcnt vmcnt(12)
	v_fma_f64 v[89:90], v[59:60], v[131:132], -v[91:92]
	v_fma_f64 v[75:76], v[61:62], v[131:132], v[75:76]
	ds_read_b128 v[59:62], v2 offset:784
	v_add_f64 v[71:72], v[71:72], v[87:88]
	v_add_f64 v[3:4], v[3:4], v[69:70]
	s_waitcnt vmcnt(11) lgkmcnt(1)
	v_mul_f64 v[87:88], v[57:58], v[133:134]
	v_mul_f64 v[69:70], v[55:56], v[133:134]
	s_waitcnt vmcnt(9)
	v_fma_f64 v[63:64], v[63:64], v[67:68], -v[73:74]
	v_fma_f64 v[65:66], v[65:66], v[67:68], v[83:84]
	v_add_f64 v[71:72], v[71:72], v[89:90]
	v_add_f64 v[2:3], v[3:4], v[75:76]
	s_waitcnt vmcnt(7) lgkmcnt(0)
	v_mul_f64 v[73:74], v[61:62], v[81:82]
	s_waitcnt vmcnt(6)
	v_fma_f64 v[55:56], v[55:56], v[138:139], -v[87:88]
	v_mul_f64 v[67:68], v[59:60], v[81:82]
	v_fma_f64 v[57:58], v[57:58], v[138:139], v[69:70]
	v_add_f64 v[63:64], v[71:72], v[63:64]
	v_add_f64 v[2:3], v[2:3], v[65:66]
	s_waitcnt vmcnt(4)
	v_fma_f64 v[59:60], v[59:60], v[79:80], -v[73:74]
	v_fma_f64 v[61:62], v[61:62], v[79:80], v[67:68]
	v_add_f64 v[55:56], v[63:64], v[55:56]
	v_add_f64 v[2:3], v[2:3], v[57:58]
	;; [unrolled: 1-line block ×4, first 2 shown]
	s_waitcnt vmcnt(2)
	v_add_f64 v[55:56], v[77:78], -v[55:56]
	s_waitcnt vmcnt(0)
	v_add_f64 v[2:3], v[85:86], -v[2:3]
	buffer_store_dword v56, off, s[0:3], 0 offset:84
	buffer_store_dword v55, off, s[0:3], 0 offset:80
	;; [unrolled: 1-line block ×4, first 2 shown]
	v_cmpx_lt_u32_e32 3, v0
	s_cbranch_execz .LBB24_157
; %bb.156:
	v_mov_b32_e32 v2, s35
	s_clause 0x3
	buffer_load_dword v55, v2, s[0:3], 0 offen
	buffer_load_dword v56, v2, s[0:3], 0 offen offset:4
	buffer_load_dword v57, v2, s[0:3], 0 offen offset:8
	;; [unrolled: 1-line block ×3, first 2 shown]
	v_mov_b32_e32 v2, 0
	buffer_store_dword v2, off, s[0:3], 0 offset:64
	buffer_store_dword v2, off, s[0:3], 0 offset:68
	;; [unrolled: 1-line block ×4, first 2 shown]
	s_waitcnt vmcnt(0)
	ds_write_b128 v1, v[55:58]
.LBB24_157:
	s_or_b32 exec_lo, exec_lo, s4
	s_waitcnt lgkmcnt(0)
	s_waitcnt_vscnt null, 0x0
	s_barrier
	buffer_gl0_inv
	s_clause 0x37
	buffer_load_dword v3, off, s[0:3], 0 offset:88
	buffer_load_dword v4, off, s[0:3], 0 offset:92
	;; [unrolled: 1-line block ×56, first 2 shown]
	v_mov_b32_e32 v2, 0
	s_mov_b32 s4, exec_lo
	ds_read_b128 v[55:58], v2 offset:464
	s_clause 0x2
	buffer_load_dword v120, off, s[0:3], 0 offset:316
	buffer_load_dword v124, off, s[0:3], 0 offset:292
	buffer_load_dword v123, off, s[0:3], 0 offset:288
	ds_read_b128 v[59:62], v2 offset:480
	s_clause 0x4
	buffer_load_dword v128, off, s[0:3], 0 offset:332
	buffer_load_dword v129, off, s[0:3], 0 offset:344
	;; [unrolled: 1-line block ×5, first 2 shown]
	ds_read_b128 v[63:66], v2 offset:496
	s_waitcnt vmcnt(62) lgkmcnt(2)
	v_mul_f64 v[125:126], v[57:58], v[3:4]
	v_mul_f64 v[3:4], v[55:56], v[3:4]
	s_waitcnt vmcnt(60) lgkmcnt(1)
	v_mul_f64 v[132:133], v[61:62], v[67:68]
	v_mul_f64 v[67:68], v[59:60], v[67:68]
	;; [unrolled: 3-line block ×3, first 2 shown]
	v_fma_f64 v[125:126], v[55:56], v[69:70], -v[125:126]
	v_fma_f64 v[3:4], v[57:58], v[69:70], v[3:4]
	s_clause 0x2
	buffer_load_dword v130, off, s[0:3], 0 offset:348
	buffer_load_dword v70, off, s[0:3], 0 offset:324
	buffer_load_dword v69, off, s[0:3], 0 offset:320
	s_waitcnt vmcnt(57)
	v_fma_f64 v[136:137], v[59:60], v[73:74], -v[132:133]
	ds_read_b128 v[55:58], v2 offset:512
	v_fma_f64 v[67:68], v[61:62], v[73:74], v[67:68]
	s_clause 0x4
	buffer_load_dword v74, off, s[0:3], 0 offset:364
	buffer_load_dword v133, off, s[0:3], 0 offset:376
	;; [unrolled: 1-line block ×5, first 2 shown]
	s_waitcnt vmcnt(56)
	v_fma_f64 v[71:72], v[63:64], v[81:82], -v[71:72]
	ds_read_b128 v[59:62], v2 offset:528
	v_fma_f64 v[81:82], v[65:66], v[81:82], v[134:135]
	v_add_f64 v[125:126], v[125:126], 0
	v_add_f64 v[3:4], v[3:4], 0
	s_waitcnt lgkmcnt(1)
	v_mul_f64 v[139:140], v[55:56], v[75:76]
	v_mul_f64 v[75:76], v[57:58], v[75:76]
	v_add_f64 v[125:126], v[125:126], v[136:137]
	v_add_f64 v[3:4], v[3:4], v[67:68]
	s_clause 0x2
	buffer_load_dword v134, off, s[0:3], 0 offset:380
	buffer_load_dword v68, off, s[0:3], 0 offset:356
	;; [unrolled: 1-line block ×3, first 2 shown]
	s_waitcnt vmcnt(58) lgkmcnt(0)
	v_mul_f64 v[135:136], v[59:60], v[77:78]
	v_mul_f64 v[77:78], v[61:62], v[77:78]
	s_waitcnt vmcnt(56)
	v_fma_f64 v[75:76], v[55:56], v[83:84], -v[75:76]
	ds_read_b128 v[63:66], v2 offset:544
	v_fma_f64 v[83:84], v[57:58], v[83:84], v[139:140]
	v_add_f64 v[71:72], v[125:126], v[71:72]
	v_add_f64 v[3:4], v[3:4], v[81:82]
	s_clause 0x4
	buffer_load_dword v82, off, s[0:3], 0 offset:396
	buffer_load_dword v125, off, s[0:3], 0 offset:408
	;; [unrolled: 1-line block ×5, first 2 shown]
	ds_read_b128 v[55:58], v2 offset:560
	s_waitcnt vmcnt(57) lgkmcnt(1)
	v_mul_f64 v[141:142], v[63:64], v[85:86]
	v_mul_f64 v[85:86], v[65:66], v[85:86]
	s_waitcnt vmcnt(56)
	v_fma_f64 v[77:78], v[59:60], v[79:80], -v[77:78]
	v_add_f64 v[71:72], v[71:72], v[75:76]
	v_fma_f64 v[75:76], v[61:62], v[79:80], v[135:136]
	v_add_f64 v[3:4], v[3:4], v[83:84]
	s_clause 0x2
	buffer_load_dword v126, off, s[0:3], 0 offset:412
	buffer_load_dword v80, off, s[0:3], 0 offset:388
	;; [unrolled: 1-line block ×3, first 2 shown]
	s_waitcnt vmcnt(58) lgkmcnt(0)
	v_mul_f64 v[83:84], v[55:56], v[87:88]
	v_mul_f64 v[87:88], v[57:58], v[87:88]
	s_waitcnt vmcnt(56)
	v_fma_f64 v[85:86], v[63:64], v[91:92], -v[85:86]
	ds_read_b128 v[59:62], v2 offset:576
	v_add_f64 v[71:72], v[71:72], v[77:78]
	v_fma_f64 v[77:78], v[65:66], v[91:92], v[141:142]
	v_add_f64 v[3:4], v[3:4], v[75:76]
	buffer_load_dword v141, off, s[0:3], 0 offset:404
	ds_read_b128 v[63:66], v2 offset:592
	s_waitcnt vmcnt(53) lgkmcnt(1)
	v_mul_f64 v[91:92], v[61:62], v[93:94]
	s_waitcnt vmcnt(52)
	v_fma_f64 v[87:88], v[55:56], v[89:90], -v[87:88]
	v_mul_f64 v[75:76], v[59:60], v[93:94]
	v_fma_f64 v[83:84], v[57:58], v[89:90], v[83:84]
	ds_read_b128 v[55:58], v2 offset:608
	v_add_f64 v[71:72], v[71:72], v[85:86]
	v_add_f64 v[3:4], v[3:4], v[77:78]
	s_waitcnt vmcnt(51) lgkmcnt(1)
	v_mul_f64 v[85:86], v[65:66], v[95:96]
	v_mul_f64 v[77:78], v[63:64], v[95:96]
	s_waitcnt vmcnt(49)
	v_fma_f64 v[89:90], v[59:60], v[99:100], -v[91:92]
	v_fma_f64 v[75:76], v[61:62], v[99:100], v[75:76]
	s_waitcnt vmcnt(45) lgkmcnt(0)
	v_mul_f64 v[93:94], v[57:58], v[101:102]
	v_mul_f64 v[91:92], v[55:56], v[101:102]
	v_add_f64 v[71:72], v[71:72], v[87:88]
	v_add_f64 v[3:4], v[3:4], v[83:84]
	s_clause 0x3
	buffer_load_dword v83, off, s[0:3], 0 offset:64
	buffer_load_dword v84, off, s[0:3], 0 offset:68
	;; [unrolled: 1-line block ×4, first 2 shown]
	s_waitcnt vmcnt(48)
	v_fma_f64 v[85:86], v[63:64], v[97:98], -v[85:86]
	ds_read_b128 v[59:62], v2 offset:624
	v_fma_f64 v[77:78], v[65:66], v[97:98], v[77:78]
	ds_read_b128 v[63:66], v2 offset:640
	s_waitcnt vmcnt(45)
	v_fma_f64 v[93:94], v[55:56], v[107:108], -v[93:94]
	v_add_f64 v[71:72], v[71:72], v[89:90]
	v_add_f64 v[3:4], v[3:4], v[75:76]
	s_waitcnt lgkmcnt(1)
	v_mul_f64 v[89:90], v[61:62], v[103:104]
	v_mul_f64 v[75:76], v[59:60], v[103:104]
	v_add_f64 v[71:72], v[71:72], v[85:86]
	v_fma_f64 v[85:86], v[57:58], v[107:108], v[91:92]
	v_add_f64 v[3:4], v[3:4], v[77:78]
	s_waitcnt vmcnt(41) lgkmcnt(0)
	v_mul_f64 v[91:92], v[65:66], v[109:110]
	s_waitcnt vmcnt(40)
	v_fma_f64 v[89:90], v[59:60], v[105:106], -v[89:90]
	ds_read_b128 v[55:58], v2 offset:656
	v_mul_f64 v[77:78], v[63:64], v[109:110]
	v_fma_f64 v[75:76], v[61:62], v[105:106], v[75:76]
	ds_read_b128 v[59:62], v2 offset:672
	v_add_f64 v[71:72], v[71:72], v[93:94]
	v_add_f64 v[3:4], v[3:4], v[85:86]
	s_waitcnt vmcnt(39) lgkmcnt(1)
	v_mul_f64 v[93:94], v[57:58], v[111:112]
	s_waitcnt vmcnt(37)
	v_fma_f64 v[91:92], v[63:64], v[115:116], -v[91:92]
	v_mul_f64 v[85:86], v[55:56], v[111:112]
	v_fma_f64 v[77:78], v[65:66], v[115:116], v[77:78]
	ds_read_b128 v[63:66], v2 offset:688
	v_add_f64 v[71:72], v[71:72], v[89:90]
	s_waitcnt vmcnt(33) lgkmcnt(1)
	v_mul_f64 v[89:90], v[61:62], v[117:118]
	v_add_f64 v[3:4], v[3:4], v[75:76]
	s_waitcnt vmcnt(32)
	v_fma_f64 v[93:94], v[55:56], v[113:114], -v[93:94]
	v_mul_f64 v[75:76], v[59:60], v[117:118]
	v_fma_f64 v[85:86], v[57:58], v[113:114], v[85:86]
	ds_read_b128 v[55:58], v2 offset:704
	v_add_f64 v[71:72], v[71:72], v[91:92]
	s_waitcnt vmcnt(31) lgkmcnt(1)
	v_mul_f64 v[91:92], v[65:66], v[119:120]
	v_add_f64 v[3:4], v[3:4], v[77:78]
	;; [unrolled: 9-line block ×3, first 2 shown]
	s_waitcnt vmcnt(24)
	v_fma_f64 v[91:92], v[63:64], v[121:122], -v[91:92]
	v_mul_f64 v[85:86], v[55:56], v[127:128]
	v_fma_f64 v[77:78], v[65:66], v[121:122], v[77:78]
	ds_read_b128 v[63:66], v2 offset:736
	v_add_f64 v[71:72], v[71:72], v[89:90]
	v_add_f64 v[3:4], v[3:4], v[75:76]
	s_waitcnt vmcnt(23) lgkmcnt(1)
	v_mul_f64 v[89:90], v[61:62], v[129:130]
	v_mul_f64 v[75:76], v[59:60], v[129:130]
	s_waitcnt vmcnt(21)
	v_fma_f64 v[93:94], v[55:56], v[69:70], -v[93:94]
	v_fma_f64 v[69:70], v[57:58], v[69:70], v[85:86]
	ds_read_b128 v[55:58], v2 offset:752
	v_add_f64 v[71:72], v[71:72], v[91:92]
	v_add_f64 v[3:4], v[3:4], v[77:78]
	s_waitcnt vmcnt(17) lgkmcnt(1)
	v_mul_f64 v[77:78], v[63:64], v[73:74]
	v_mul_f64 v[73:74], v[65:66], v[73:74]
	s_waitcnt vmcnt(16)
	v_fma_f64 v[85:86], v[59:60], v[131:132], -v[89:90]
	;; [unrolled: 9-line block ×3, first 2 shown]
	v_fma_f64 v[67:68], v[65:66], v[67:68], v[77:78]
	ds_read_b128 v[63:66], v2 offset:784
	v_add_f64 v[71:72], v[71:72], v[85:86]
	v_add_f64 v[3:4], v[3:4], v[75:76]
	s_waitcnt vmcnt(9) lgkmcnt(1)
	v_mul_f64 v[77:78], v[61:62], v[81:82]
	s_waitcnt vmcnt(8)
	v_fma_f64 v[55:56], v[55:56], v[138:139], -v[89:90]
	v_mul_f64 v[75:76], v[59:60], v[81:82]
	v_fma_f64 v[57:58], v[57:58], v[138:139], v[69:70]
	v_add_f64 v[71:72], v[71:72], v[73:74]
	v_add_f64 v[3:4], v[3:4], v[67:68]
	s_waitcnt vmcnt(7) lgkmcnt(0)
	v_mul_f64 v[69:70], v[65:66], v[125:126]
	v_mul_f64 v[67:68], v[63:64], v[125:126]
	s_waitcnt vmcnt(5)
	v_fma_f64 v[59:60], v[59:60], v[79:80], -v[77:78]
	v_fma_f64 v[61:62], v[61:62], v[79:80], v[75:76]
	v_add_f64 v[55:56], v[71:72], v[55:56]
	v_add_f64 v[3:4], v[3:4], v[57:58]
	s_waitcnt vmcnt(4)
	v_fma_f64 v[57:58], v[63:64], v[140:141], -v[69:70]
	v_add_f64 v[55:56], v[55:56], v[59:60]
	v_fma_f64 v[59:60], v[65:66], v[140:141], v[67:68]
	v_add_f64 v[3:4], v[3:4], v[61:62]
	v_add_f64 v[55:56], v[55:56], v[57:58]
	;; [unrolled: 1-line block ×3, first 2 shown]
	s_waitcnt vmcnt(2)
	v_add_f64 v[55:56], v[83:84], -v[55:56]
	s_waitcnt vmcnt(0)
	v_add_f64 v[3:4], v[87:88], -v[3:4]
	buffer_store_dword v56, off, s[0:3], 0 offset:68
	buffer_store_dword v55, off, s[0:3], 0 offset:64
	;; [unrolled: 1-line block ×4, first 2 shown]
	v_cmpx_lt_u32_e32 2, v0
	s_cbranch_execz .LBB24_159
; %bb.158:
	v_mov_b32_e32 v3, s36
	s_clause 0x3
	buffer_load_dword v55, v3, s[0:3], 0 offen
	buffer_load_dword v56, v3, s[0:3], 0 offen offset:4
	buffer_load_dword v57, v3, s[0:3], 0 offen offset:8
	;; [unrolled: 1-line block ×3, first 2 shown]
	buffer_store_dword v2, off, s[0:3], 0 offset:48
	buffer_store_dword v2, off, s[0:3], 0 offset:52
	;; [unrolled: 1-line block ×4, first 2 shown]
	s_waitcnt vmcnt(0)
	ds_write_b128 v1, v[55:58]
.LBB24_159:
	s_or_b32 exec_lo, exec_lo, s4
	s_waitcnt lgkmcnt(0)
	s_waitcnt_vscnt null, 0x0
	s_barrier
	buffer_gl0_inv
	s_clause 0x37
	buffer_load_dword v3, off, s[0:3], 0 offset:72
	buffer_load_dword v4, off, s[0:3], 0 offset:76
	;; [unrolled: 1-line block ×56, first 2 shown]
	ds_read_b128 v[55:58], v2 offset:448
	s_clause 0x2
	buffer_load_dword v120, off, s[0:3], 0 offset:300
	buffer_load_dword v124, off, s[0:3], 0 offset:276
	;; [unrolled: 1-line block ×3, first 2 shown]
	ds_read_b128 v[59:62], v2 offset:464
	s_clause 0x4
	buffer_load_dword v128, off, s[0:3], 0 offset:316
	buffer_load_dword v129, off, s[0:3], 0 offset:328
	;; [unrolled: 1-line block ×5, first 2 shown]
	ds_read_b128 v[63:66], v2 offset:480
	s_mov_b32 s4, exec_lo
	s_waitcnt vmcnt(62) lgkmcnt(2)
	v_mul_f64 v[125:126], v[57:58], v[3:4]
	v_mul_f64 v[3:4], v[55:56], v[3:4]
	s_waitcnt vmcnt(60) lgkmcnt(1)
	v_mul_f64 v[132:133], v[61:62], v[67:68]
	v_mul_f64 v[67:68], v[59:60], v[67:68]
	;; [unrolled: 3-line block ×3, first 2 shown]
	v_fma_f64 v[125:126], v[55:56], v[69:70], -v[125:126]
	v_fma_f64 v[3:4], v[57:58], v[69:70], v[3:4]
	s_clause 0x2
	buffer_load_dword v130, off, s[0:3], 0 offset:332
	buffer_load_dword v70, off, s[0:3], 0 offset:308
	;; [unrolled: 1-line block ×3, first 2 shown]
	s_waitcnt vmcnt(57)
	v_fma_f64 v[136:137], v[59:60], v[73:74], -v[132:133]
	ds_read_b128 v[55:58], v2 offset:496
	v_fma_f64 v[67:68], v[61:62], v[73:74], v[67:68]
	s_clause 0x4
	buffer_load_dword v74, off, s[0:3], 0 offset:348
	buffer_load_dword v133, off, s[0:3], 0 offset:360
	;; [unrolled: 1-line block ×5, first 2 shown]
	s_waitcnt vmcnt(56)
	v_fma_f64 v[71:72], v[63:64], v[81:82], -v[71:72]
	ds_read_b128 v[59:62], v2 offset:512
	v_fma_f64 v[81:82], v[65:66], v[81:82], v[134:135]
	v_add_f64 v[125:126], v[125:126], 0
	v_add_f64 v[3:4], v[3:4], 0
	s_waitcnt lgkmcnt(1)
	v_mul_f64 v[139:140], v[55:56], v[75:76]
	v_mul_f64 v[75:76], v[57:58], v[75:76]
	v_add_f64 v[125:126], v[125:126], v[136:137]
	v_add_f64 v[3:4], v[3:4], v[67:68]
	s_clause 0x2
	buffer_load_dword v134, off, s[0:3], 0 offset:364
	buffer_load_dword v68, off, s[0:3], 0 offset:340
	;; [unrolled: 1-line block ×3, first 2 shown]
	s_waitcnt vmcnt(58) lgkmcnt(0)
	v_mul_f64 v[135:136], v[59:60], v[77:78]
	v_mul_f64 v[77:78], v[61:62], v[77:78]
	s_waitcnt vmcnt(56)
	v_fma_f64 v[75:76], v[55:56], v[83:84], -v[75:76]
	ds_read_b128 v[63:66], v2 offset:528
	v_fma_f64 v[83:84], v[57:58], v[83:84], v[139:140]
	v_add_f64 v[71:72], v[125:126], v[71:72]
	v_add_f64 v[3:4], v[3:4], v[81:82]
	s_clause 0x4
	buffer_load_dword v82, off, s[0:3], 0 offset:380
	buffer_load_dword v125, off, s[0:3], 0 offset:392
	;; [unrolled: 1-line block ×5, first 2 shown]
	ds_read_b128 v[55:58], v2 offset:544
	s_waitcnt vmcnt(57) lgkmcnt(1)
	v_mul_f64 v[141:142], v[63:64], v[85:86]
	v_mul_f64 v[85:86], v[65:66], v[85:86]
	s_waitcnt vmcnt(56)
	v_fma_f64 v[77:78], v[59:60], v[79:80], -v[77:78]
	v_add_f64 v[71:72], v[71:72], v[75:76]
	v_fma_f64 v[75:76], v[61:62], v[79:80], v[135:136]
	v_add_f64 v[3:4], v[3:4], v[83:84]
	s_clause 0x2
	buffer_load_dword v126, off, s[0:3], 0 offset:396
	buffer_load_dword v80, off, s[0:3], 0 offset:372
	;; [unrolled: 1-line block ×3, first 2 shown]
	s_waitcnt vmcnt(58) lgkmcnt(0)
	v_mul_f64 v[83:84], v[55:56], v[87:88]
	v_mul_f64 v[87:88], v[57:58], v[87:88]
	s_waitcnt vmcnt(56)
	v_fma_f64 v[85:86], v[63:64], v[91:92], -v[85:86]
	ds_read_b128 v[59:62], v2 offset:560
	v_add_f64 v[71:72], v[71:72], v[77:78]
	v_fma_f64 v[77:78], v[65:66], v[91:92], v[141:142]
	v_add_f64 v[3:4], v[3:4], v[75:76]
	s_clause 0x2
	buffer_load_dword v76, off, s[0:3], 0 offset:412
	buffer_load_dword v75, off, s[0:3], 0 offset:408
	;; [unrolled: 1-line block ×3, first 2 shown]
	ds_read_b128 v[63:66], v2 offset:576
	s_waitcnt vmcnt(55) lgkmcnt(1)
	v_mul_f64 v[91:92], v[59:60], v[93:94]
	v_mul_f64 v[93:94], v[61:62], v[93:94]
	s_waitcnt vmcnt(54)
	v_fma_f64 v[87:88], v[55:56], v[89:90], -v[87:88]
	v_fma_f64 v[83:84], v[57:58], v[89:90], v[83:84]
	v_add_f64 v[71:72], v[71:72], v[85:86]
	v_add_f64 v[3:4], v[3:4], v[77:78]
	s_clause 0x1
	buffer_load_dword v78, off, s[0:3], 0 offset:404
	buffer_load_dword v77, off, s[0:3], 0 offset:400
	s_waitcnt vmcnt(55) lgkmcnt(0)
	v_mul_f64 v[89:90], v[65:66], v[95:96]
	ds_read_b128 v[55:58], v2 offset:592
	s_waitcnt vmcnt(53)
	v_fma_f64 v[93:94], v[59:60], v[99:100], -v[93:94]
	v_mul_f64 v[85:86], v[63:64], v[95:96]
	v_add_f64 v[71:72], v[71:72], v[87:88]
	v_fma_f64 v[87:88], v[61:62], v[99:100], v[91:92]
	v_add_f64 v[3:4], v[3:4], v[83:84]
	ds_read_b128 v[59:62], v2 offset:608
	s_waitcnt vmcnt(49) lgkmcnt(1)
	v_mul_f64 v[91:92], v[57:58], v[101:102]
	s_waitcnt vmcnt(48)
	v_fma_f64 v[89:90], v[63:64], v[97:98], -v[89:90]
	v_mul_f64 v[83:84], v[55:56], v[101:102]
	v_fma_f64 v[85:86], v[65:66], v[97:98], v[85:86]
	v_add_f64 v[71:72], v[71:72], v[93:94]
	s_waitcnt vmcnt(47) lgkmcnt(0)
	v_mul_f64 v[97:98], v[61:62], v[103:104]
	v_add_f64 v[3:4], v[3:4], v[87:88]
	s_clause 0x3
	buffer_load_dword v87, off, s[0:3], 0 offset:48
	buffer_load_dword v88, off, s[0:3], 0 offset:52
	;; [unrolled: 1-line block ×4, first 2 shown]
	s_waitcnt vmcnt(49)
	v_fma_f64 v[91:92], v[55:56], v[107:108], -v[91:92]
	ds_read_b128 v[63:66], v2 offset:624
	v_mul_f64 v[95:96], v[59:60], v[103:104]
	v_fma_f64 v[83:84], v[57:58], v[107:108], v[83:84]
	ds_read_b128 v[55:58], v2 offset:640
	v_add_f64 v[71:72], v[71:72], v[89:90]
	s_waitcnt vmcnt(44)
	v_fma_f64 v[97:98], v[59:60], v[105:106], -v[97:98]
	v_add_f64 v[3:4], v[3:4], v[85:86]
	s_waitcnt lgkmcnt(1)
	v_mul_f64 v[89:90], v[65:66], v[109:110]
	v_mul_f64 v[85:86], v[63:64], v[109:110]
	v_add_f64 v[71:72], v[71:72], v[91:92]
	v_fma_f64 v[91:92], v[61:62], v[105:106], v[95:96]
	v_add_f64 v[3:4], v[3:4], v[83:84]
	s_waitcnt vmcnt(43) lgkmcnt(0)
	v_mul_f64 v[95:96], v[57:58], v[111:112]
	s_waitcnt vmcnt(41)
	v_fma_f64 v[89:90], v[63:64], v[115:116], -v[89:90]
	ds_read_b128 v[59:62], v2 offset:656
	v_mul_f64 v[83:84], v[55:56], v[111:112]
	v_fma_f64 v[85:86], v[65:66], v[115:116], v[85:86]
	ds_read_b128 v[63:66], v2 offset:672
	v_add_f64 v[71:72], v[71:72], v[97:98]
	v_add_f64 v[3:4], v[3:4], v[91:92]
	s_waitcnt vmcnt(37) lgkmcnt(1)
	v_mul_f64 v[97:98], v[61:62], v[117:118]
	s_waitcnt vmcnt(36)
	v_fma_f64 v[95:96], v[55:56], v[113:114], -v[95:96]
	v_mul_f64 v[91:92], v[59:60], v[117:118]
	v_fma_f64 v[83:84], v[57:58], v[113:114], v[83:84]
	ds_read_b128 v[55:58], v2 offset:688
	v_add_f64 v[71:72], v[71:72], v[89:90]
	s_waitcnt vmcnt(35) lgkmcnt(1)
	v_mul_f64 v[89:90], v[65:66], v[119:120]
	v_add_f64 v[3:4], v[3:4], v[85:86]
	s_waitcnt vmcnt(33)
	v_fma_f64 v[97:98], v[59:60], v[123:124], -v[97:98]
	v_mul_f64 v[85:86], v[63:64], v[119:120]
	v_fma_f64 v[91:92], v[61:62], v[123:124], v[91:92]
	ds_read_b128 v[59:62], v2 offset:704
	v_add_f64 v[71:72], v[71:72], v[95:96]
	s_waitcnt vmcnt(29) lgkmcnt(1)
	v_mul_f64 v[95:96], v[57:58], v[127:128]
	v_add_f64 v[3:4], v[3:4], v[83:84]
	s_waitcnt vmcnt(28)
	v_fma_f64 v[89:90], v[63:64], v[121:122], -v[89:90]
	v_mul_f64 v[83:84], v[55:56], v[127:128]
	v_fma_f64 v[85:86], v[65:66], v[121:122], v[85:86]
	ds_read_b128 v[63:66], v2 offset:720
	v_add_f64 v[71:72], v[71:72], v[97:98]
	v_add_f64 v[3:4], v[3:4], v[91:92]
	s_waitcnt vmcnt(27) lgkmcnt(1)
	v_mul_f64 v[97:98], v[61:62], v[129:130]
	v_mul_f64 v[91:92], v[59:60], v[129:130]
	s_waitcnt vmcnt(25)
	v_fma_f64 v[95:96], v[55:56], v[69:70], -v[95:96]
	v_fma_f64 v[69:70], v[57:58], v[69:70], v[83:84]
	ds_read_b128 v[55:58], v2 offset:736
	s_waitcnt vmcnt(21) lgkmcnt(1)
	v_mul_f64 v[83:84], v[63:64], v[73:74]
	v_mul_f64 v[73:74], v[65:66], v[73:74]
	v_add_f64 v[71:72], v[71:72], v[89:90]
	v_add_f64 v[3:4], v[3:4], v[85:86]
	s_waitcnt vmcnt(20)
	v_fma_f64 v[85:86], v[59:60], v[131:132], -v[97:98]
	v_fma_f64 v[89:90], v[61:62], v[131:132], v[91:92]
	ds_read_b128 v[59:62], v2 offset:752
	v_add_f64 v[71:72], v[71:72], v[95:96]
	v_add_f64 v[3:4], v[3:4], v[69:70]
	s_waitcnt vmcnt(19) lgkmcnt(1)
	v_mul_f64 v[91:92], v[57:58], v[133:134]
	v_mul_f64 v[69:70], v[55:56], v[133:134]
	s_waitcnt vmcnt(17)
	v_fma_f64 v[73:74], v[63:64], v[67:68], -v[73:74]
	v_fma_f64 v[67:68], v[65:66], v[67:68], v[83:84]
	ds_read_b128 v[63:66], v2 offset:768
	v_add_f64 v[71:72], v[71:72], v[85:86]
	v_add_f64 v[3:4], v[3:4], v[89:90]
	s_waitcnt vmcnt(13) lgkmcnt(1)
	v_mul_f64 v[83:84], v[59:60], v[81:82]
	v_mul_f64 v[81:82], v[61:62], v[81:82]
	;; [unrolled: 9-line block ×3, first 2 shown]
	s_waitcnt vmcnt(9)
	v_fma_f64 v[59:60], v[59:60], v[79:80], -v[81:82]
	v_fma_f64 v[61:62], v[61:62], v[79:80], v[83:84]
	v_add_f64 v[71:72], v[71:72], v[85:86]
	v_add_f64 v[2:3], v[3:4], v[69:70]
	s_waitcnt vmcnt(7) lgkmcnt(0)
	v_mul_f64 v[69:70], v[55:56], v[75:76]
	v_mul_f64 v[75:76], v[57:58], v[75:76]
	s_waitcnt vmcnt(6)
	v_fma_f64 v[63:64], v[63:64], v[140:141], -v[73:74]
	v_fma_f64 v[65:66], v[65:66], v[140:141], v[67:68]
	v_add_f64 v[59:60], v[71:72], v[59:60]
	v_add_f64 v[2:3], v[2:3], v[61:62]
	s_waitcnt vmcnt(4)
	v_fma_f64 v[55:56], v[55:56], v[77:78], -v[75:76]
	v_fma_f64 v[57:58], v[57:58], v[77:78], v[69:70]
	v_add_f64 v[59:60], v[59:60], v[63:64]
	v_add_f64 v[2:3], v[2:3], v[65:66]
	;; [unrolled: 1-line block ×4, first 2 shown]
	s_waitcnt vmcnt(2)
	v_add_f64 v[55:56], v[87:88], -v[55:56]
	s_waitcnt vmcnt(0)
	v_add_f64 v[2:3], v[93:94], -v[2:3]
	buffer_store_dword v56, off, s[0:3], 0 offset:52
	buffer_store_dword v55, off, s[0:3], 0 offset:48
	;; [unrolled: 1-line block ×4, first 2 shown]
	v_cmpx_lt_u32_e32 1, v0
	s_cbranch_execz .LBB24_161
; %bb.160:
	v_mov_b32_e32 v2, s37
	s_clause 0x3
	buffer_load_dword v55, v2, s[0:3], 0 offen
	buffer_load_dword v56, v2, s[0:3], 0 offen offset:4
	buffer_load_dword v57, v2, s[0:3], 0 offen offset:8
	buffer_load_dword v58, v2, s[0:3], 0 offen offset:12
	v_mov_b32_e32 v2, 0
	buffer_store_dword v2, off, s[0:3], 0 offset:32
	buffer_store_dword v2, off, s[0:3], 0 offset:36
	buffer_store_dword v2, off, s[0:3], 0 offset:40
	buffer_store_dword v2, off, s[0:3], 0 offset:44
	s_waitcnt vmcnt(0)
	ds_write_b128 v1, v[55:58]
.LBB24_161:
	s_or_b32 exec_lo, exec_lo, s4
	s_waitcnt lgkmcnt(0)
	s_waitcnt_vscnt null, 0x0
	s_barrier
	buffer_gl0_inv
	s_clause 0x37
	buffer_load_dword v3, off, s[0:3], 0 offset:56
	buffer_load_dword v4, off, s[0:3], 0 offset:60
	;; [unrolled: 1-line block ×56, first 2 shown]
	v_mov_b32_e32 v2, 0
	s_mov_b32 s4, exec_lo
	ds_read_b128 v[55:58], v2 offset:432
	s_clause 0x2
	buffer_load_dword v120, off, s[0:3], 0 offset:284
	buffer_load_dword v124, off, s[0:3], 0 offset:260
	;; [unrolled: 1-line block ×3, first 2 shown]
	ds_read_b128 v[59:62], v2 offset:448
	s_clause 0x4
	buffer_load_dword v128, off, s[0:3], 0 offset:300
	buffer_load_dword v129, off, s[0:3], 0 offset:312
	;; [unrolled: 1-line block ×5, first 2 shown]
	ds_read_b128 v[63:66], v2 offset:464
	s_waitcnt vmcnt(62) lgkmcnt(2)
	v_mul_f64 v[125:126], v[57:58], v[3:4]
	v_mul_f64 v[3:4], v[55:56], v[3:4]
	s_waitcnt vmcnt(60) lgkmcnt(1)
	v_mul_f64 v[132:133], v[61:62], v[67:68]
	v_mul_f64 v[67:68], v[59:60], v[67:68]
	;; [unrolled: 3-line block ×3, first 2 shown]
	v_fma_f64 v[125:126], v[55:56], v[69:70], -v[125:126]
	v_fma_f64 v[3:4], v[57:58], v[69:70], v[3:4]
	s_clause 0x2
	buffer_load_dword v130, off, s[0:3], 0 offset:316
	buffer_load_dword v70, off, s[0:3], 0 offset:292
	;; [unrolled: 1-line block ×3, first 2 shown]
	s_waitcnt vmcnt(57)
	v_fma_f64 v[136:137], v[59:60], v[73:74], -v[132:133]
	ds_read_b128 v[55:58], v2 offset:480
	v_fma_f64 v[67:68], v[61:62], v[73:74], v[67:68]
	s_clause 0x4
	buffer_load_dword v74, off, s[0:3], 0 offset:332
	buffer_load_dword v133, off, s[0:3], 0 offset:344
	;; [unrolled: 1-line block ×5, first 2 shown]
	s_waitcnt vmcnt(56)
	v_fma_f64 v[71:72], v[63:64], v[81:82], -v[71:72]
	ds_read_b128 v[59:62], v2 offset:496
	v_fma_f64 v[81:82], v[65:66], v[81:82], v[134:135]
	v_add_f64 v[125:126], v[125:126], 0
	v_add_f64 v[3:4], v[3:4], 0
	s_waitcnt lgkmcnt(1)
	v_mul_f64 v[139:140], v[55:56], v[75:76]
	v_mul_f64 v[75:76], v[57:58], v[75:76]
	v_add_f64 v[125:126], v[125:126], v[136:137]
	v_add_f64 v[3:4], v[3:4], v[67:68]
	s_clause 0x2
	buffer_load_dword v134, off, s[0:3], 0 offset:348
	buffer_load_dword v68, off, s[0:3], 0 offset:324
	;; [unrolled: 1-line block ×3, first 2 shown]
	s_waitcnt vmcnt(58) lgkmcnt(0)
	v_mul_f64 v[135:136], v[59:60], v[77:78]
	v_mul_f64 v[77:78], v[61:62], v[77:78]
	s_waitcnt vmcnt(56)
	v_fma_f64 v[75:76], v[55:56], v[83:84], -v[75:76]
	ds_read_b128 v[63:66], v2 offset:512
	v_fma_f64 v[83:84], v[57:58], v[83:84], v[139:140]
	v_add_f64 v[71:72], v[125:126], v[71:72]
	v_add_f64 v[3:4], v[3:4], v[81:82]
	s_clause 0x4
	buffer_load_dword v82, off, s[0:3], 0 offset:364
	buffer_load_dword v125, off, s[0:3], 0 offset:376
	;; [unrolled: 1-line block ×5, first 2 shown]
	ds_read_b128 v[55:58], v2 offset:528
	s_waitcnt vmcnt(57) lgkmcnt(1)
	v_mul_f64 v[141:142], v[63:64], v[85:86]
	v_mul_f64 v[85:86], v[65:66], v[85:86]
	s_waitcnt vmcnt(56)
	v_fma_f64 v[77:78], v[59:60], v[79:80], -v[77:78]
	v_add_f64 v[71:72], v[71:72], v[75:76]
	v_fma_f64 v[75:76], v[61:62], v[79:80], v[135:136]
	v_add_f64 v[3:4], v[3:4], v[83:84]
	s_clause 0x2
	buffer_load_dword v126, off, s[0:3], 0 offset:380
	buffer_load_dword v80, off, s[0:3], 0 offset:356
	;; [unrolled: 1-line block ×3, first 2 shown]
	s_waitcnt vmcnt(58) lgkmcnt(0)
	v_mul_f64 v[83:84], v[55:56], v[87:88]
	v_mul_f64 v[87:88], v[57:58], v[87:88]
	s_waitcnt vmcnt(56)
	v_fma_f64 v[85:86], v[63:64], v[91:92], -v[85:86]
	ds_read_b128 v[59:62], v2 offset:544
	v_add_f64 v[71:72], v[71:72], v[77:78]
	v_fma_f64 v[77:78], v[65:66], v[91:92], v[141:142]
	v_add_f64 v[3:4], v[3:4], v[75:76]
	s_clause 0x4
	buffer_load_dword v76, off, s[0:3], 0 offset:396
	buffer_load_dword v91, off, s[0:3], 0 offset:408
	;; [unrolled: 1-line block ×5, first 2 shown]
	ds_read_b128 v[63:66], v2 offset:560
	s_waitcnt vmcnt(57) lgkmcnt(1)
	v_mul_f64 v[136:137], v[59:60], v[93:94]
	v_mul_f64 v[93:94], v[61:62], v[93:94]
	s_waitcnt vmcnt(56)
	v_fma_f64 v[87:88], v[55:56], v[89:90], -v[87:88]
	v_fma_f64 v[83:84], v[57:58], v[89:90], v[83:84]
	v_add_f64 v[71:72], v[71:72], v[85:86]
	v_add_f64 v[3:4], v[3:4], v[77:78]
	s_clause 0x2
	buffer_load_dword v92, off, s[0:3], 0 offset:412
	buffer_load_dword v78, off, s[0:3], 0 offset:388
	;; [unrolled: 1-line block ×3, first 2 shown]
	s_waitcnt vmcnt(58) lgkmcnt(0)
	v_mul_f64 v[89:90], v[65:66], v[95:96]
	ds_read_b128 v[55:58], v2 offset:576
	s_waitcnt vmcnt(56)
	v_fma_f64 v[93:94], v[59:60], v[99:100], -v[93:94]
	v_mul_f64 v[85:86], v[63:64], v[95:96]
	v_add_f64 v[71:72], v[71:72], v[87:88]
	v_fma_f64 v[87:88], v[61:62], v[99:100], v[136:137]
	v_add_f64 v[3:4], v[3:4], v[83:84]
	buffer_load_dword v136, off, s[0:3], 0 offset:404
	ds_read_b128 v[59:62], v2 offset:592
	s_waitcnt vmcnt(53) lgkmcnt(1)
	v_mul_f64 v[95:96], v[57:58], v[101:102]
	s_waitcnt vmcnt(52)
	v_fma_f64 v[89:90], v[63:64], v[97:98], -v[89:90]
	v_mul_f64 v[83:84], v[55:56], v[101:102]
	v_fma_f64 v[85:86], v[65:66], v[97:98], v[85:86]
	ds_read_b128 v[63:66], v2 offset:608
	v_add_f64 v[71:72], v[71:72], v[93:94]
	v_add_f64 v[3:4], v[3:4], v[87:88]
	s_waitcnt vmcnt(51) lgkmcnt(1)
	v_mul_f64 v[93:94], v[61:62], v[103:104]
	v_mul_f64 v[87:88], v[59:60], v[103:104]
	s_waitcnt vmcnt(49)
	v_fma_f64 v[95:96], v[55:56], v[107:108], -v[95:96]
	v_fma_f64 v[83:84], v[57:58], v[107:108], v[83:84]
	s_waitcnt vmcnt(45) lgkmcnt(0)
	v_mul_f64 v[99:100], v[65:66], v[109:110]
	v_mul_f64 v[97:98], v[63:64], v[109:110]
	v_add_f64 v[71:72], v[71:72], v[89:90]
	v_add_f64 v[3:4], v[3:4], v[85:86]
	s_clause 0x3
	buffer_load_dword v85, off, s[0:3], 0 offset:32
	buffer_load_dword v86, off, s[0:3], 0 offset:36
	buffer_load_dword v89, off, s[0:3], 0 offset:40
	buffer_load_dword v90, off, s[0:3], 0 offset:44
	s_waitcnt vmcnt(48)
	v_fma_f64 v[93:94], v[59:60], v[105:106], -v[93:94]
	ds_read_b128 v[55:58], v2 offset:624
	v_fma_f64 v[87:88], v[61:62], v[105:106], v[87:88]
	ds_read_b128 v[59:62], v2 offset:640
	s_waitcnt vmcnt(45)
	v_fma_f64 v[99:100], v[63:64], v[115:116], -v[99:100]
	v_add_f64 v[71:72], v[71:72], v[95:96]
	v_add_f64 v[3:4], v[3:4], v[83:84]
	s_waitcnt lgkmcnt(1)
	v_mul_f64 v[95:96], v[57:58], v[111:112]
	v_mul_f64 v[83:84], v[55:56], v[111:112]
	v_add_f64 v[71:72], v[71:72], v[93:94]
	v_fma_f64 v[93:94], v[65:66], v[115:116], v[97:98]
	v_add_f64 v[3:4], v[3:4], v[87:88]
	s_waitcnt vmcnt(41) lgkmcnt(0)
	v_mul_f64 v[97:98], v[61:62], v[117:118]
	s_waitcnt vmcnt(40)
	v_fma_f64 v[95:96], v[55:56], v[113:114], -v[95:96]
	ds_read_b128 v[63:66], v2 offset:656
	v_mul_f64 v[87:88], v[59:60], v[117:118]
	v_fma_f64 v[83:84], v[57:58], v[113:114], v[83:84]
	ds_read_b128 v[55:58], v2 offset:672
	v_add_f64 v[71:72], v[71:72], v[99:100]
	v_add_f64 v[3:4], v[3:4], v[93:94]
	s_waitcnt vmcnt(39) lgkmcnt(1)
	v_mul_f64 v[99:100], v[65:66], v[119:120]
	s_waitcnt vmcnt(37)
	v_fma_f64 v[97:98], v[59:60], v[123:124], -v[97:98]
	v_mul_f64 v[93:94], v[63:64], v[119:120]
	v_fma_f64 v[87:88], v[61:62], v[123:124], v[87:88]
	ds_read_b128 v[59:62], v2 offset:688
	v_add_f64 v[71:72], v[71:72], v[95:96]
	s_waitcnt vmcnt(33) lgkmcnt(1)
	v_mul_f64 v[95:96], v[57:58], v[127:128]
	v_add_f64 v[3:4], v[3:4], v[83:84]
	s_waitcnt vmcnt(32)
	v_fma_f64 v[99:100], v[63:64], v[121:122], -v[99:100]
	v_mul_f64 v[83:84], v[55:56], v[127:128]
	v_fma_f64 v[93:94], v[65:66], v[121:122], v[93:94]
	ds_read_b128 v[63:66], v2 offset:704
	v_add_f64 v[71:72], v[71:72], v[97:98]
	v_add_f64 v[3:4], v[3:4], v[87:88]
	s_waitcnt vmcnt(31) lgkmcnt(1)
	v_mul_f64 v[97:98], v[61:62], v[129:130]
	v_mul_f64 v[87:88], v[59:60], v[129:130]
	s_waitcnt vmcnt(29)
	v_fma_f64 v[95:96], v[55:56], v[69:70], -v[95:96]
	v_fma_f64 v[69:70], v[57:58], v[69:70], v[83:84]
	ds_read_b128 v[55:58], v2 offset:720
	s_waitcnt vmcnt(25) lgkmcnt(1)
	v_mul_f64 v[83:84], v[63:64], v[73:74]
	v_mul_f64 v[73:74], v[65:66], v[73:74]
	v_add_f64 v[71:72], v[71:72], v[99:100]
	v_add_f64 v[3:4], v[3:4], v[93:94]
	s_waitcnt vmcnt(24)
	v_fma_f64 v[93:94], v[59:60], v[131:132], -v[97:98]
	v_fma_f64 v[87:88], v[61:62], v[131:132], v[87:88]
	ds_read_b128 v[59:62], v2 offset:736
	v_add_f64 v[71:72], v[71:72], v[95:96]
	v_add_f64 v[3:4], v[3:4], v[69:70]
	s_waitcnt vmcnt(23) lgkmcnt(1)
	v_mul_f64 v[95:96], v[57:58], v[133:134]
	v_mul_f64 v[69:70], v[55:56], v[133:134]
	s_waitcnt vmcnt(21)
	v_fma_f64 v[73:74], v[63:64], v[67:68], -v[73:74]
	v_fma_f64 v[67:68], v[65:66], v[67:68], v[83:84]
	ds_read_b128 v[63:66], v2 offset:752
	v_add_f64 v[71:72], v[71:72], v[93:94]
	v_add_f64 v[3:4], v[3:4], v[87:88]
	s_waitcnt vmcnt(17) lgkmcnt(1)
	v_mul_f64 v[83:84], v[59:60], v[81:82]
	v_mul_f64 v[81:82], v[61:62], v[81:82]
	;; [unrolled: 9-line block ×4, first 2 shown]
	s_waitcnt vmcnt(8)
	v_fma_f64 v[63:64], v[63:64], v[140:141], -v[73:74]
	v_fma_f64 v[65:66], v[65:66], v[140:141], v[67:68]
	v_add_f64 v[71:72], v[71:72], v[81:82]
	v_add_f64 v[3:4], v[3:4], v[79:80]
	s_waitcnt vmcnt(7) lgkmcnt(0)
	v_mul_f64 v[73:74], v[61:62], v[91:92]
	v_mul_f64 v[67:68], v[59:60], v[91:92]
	s_waitcnt vmcnt(5)
	v_fma_f64 v[55:56], v[55:56], v[77:78], -v[75:76]
	v_fma_f64 v[57:58], v[57:58], v[77:78], v[69:70]
	v_add_f64 v[63:64], v[71:72], v[63:64]
	v_add_f64 v[3:4], v[3:4], v[65:66]
	s_waitcnt vmcnt(4)
	v_fma_f64 v[59:60], v[59:60], v[135:136], -v[73:74]
	v_fma_f64 v[61:62], v[61:62], v[135:136], v[67:68]
	v_add_f64 v[55:56], v[63:64], v[55:56]
	v_add_f64 v[3:4], v[3:4], v[57:58]
	;; [unrolled: 1-line block ×4, first 2 shown]
	s_waitcnt vmcnt(2)
	v_add_f64 v[55:56], v[85:86], -v[55:56]
	s_waitcnt vmcnt(0)
	v_add_f64 v[3:4], v[89:90], -v[3:4]
	buffer_store_dword v56, off, s[0:3], 0 offset:36
	buffer_store_dword v55, off, s[0:3], 0 offset:32
	;; [unrolled: 1-line block ×4, first 2 shown]
	v_cmpx_ne_u32_e32 0, v0
	s_cbranch_execz .LBB24_163
; %bb.162:
	s_clause 0x3
	buffer_load_dword v55, off, s[0:3], 0 offset:16
	buffer_load_dword v56, off, s[0:3], 0 offset:20
	;; [unrolled: 1-line block ×4, first 2 shown]
	buffer_store_dword v2, off, s[0:3], 0 offset:16
	buffer_store_dword v2, off, s[0:3], 0 offset:20
	;; [unrolled: 1-line block ×4, first 2 shown]
	s_waitcnt vmcnt(0)
	ds_write_b128 v1, v[55:58]
.LBB24_163:
	s_or_b32 exec_lo, exec_lo, s4
	s_waitcnt lgkmcnt(0)
	s_waitcnt_vscnt null, 0x0
	s_barrier
	buffer_gl0_inv
	s_clause 0x37
	buffer_load_dword v0, off, s[0:3], 0 offset:40
	buffer_load_dword v1, off, s[0:3], 0 offset:44
	;; [unrolled: 1-line block ×56, first 2 shown]
	ds_read_b128 v[55:58], v2 offset:416
	s_clause 0x2
	buffer_load_dword v118, off, s[0:3], 0 offset:268
	buffer_load_dword v122, off, s[0:3], 0 offset:244
	;; [unrolled: 1-line block ×3, first 2 shown]
	ds_read_b128 v[59:62], v2 offset:432
	s_clause 0x4
	buffer_load_dword v126, off, s[0:3], 0 offset:284
	buffer_load_dword v127, off, s[0:3], 0 offset:296
	;; [unrolled: 1-line block ×5, first 2 shown]
	ds_read_b128 v[63:66], v2 offset:448
	s_and_b32 vcc_lo, exec_lo, s34
	s_waitcnt vmcnt(62) lgkmcnt(2)
	v_mul_f64 v[123:124], v[57:58], v[0:1]
	v_mul_f64 v[0:1], v[55:56], v[0:1]
	s_waitcnt vmcnt(60) lgkmcnt(1)
	v_mul_f64 v[130:131], v[61:62], v[3:4]
	v_mul_f64 v[3:4], v[59:60], v[3:4]
	;; [unrolled: 3-line block ×3, first 2 shown]
	v_fma_f64 v[123:124], v[55:56], v[67:68], -v[123:124]
	v_fma_f64 v[0:1], v[57:58], v[67:68], v[0:1]
	s_clause 0x2
	buffer_load_dword v128, off, s[0:3], 0 offset:300
	buffer_load_dword v68, off, s[0:3], 0 offset:276
	;; [unrolled: 1-line block ×3, first 2 shown]
	s_waitcnt vmcnt(57)
	v_fma_f64 v[134:135], v[59:60], v[71:72], -v[130:131]
	ds_read_b128 v[55:58], v2 offset:464
	v_fma_f64 v[3:4], v[61:62], v[71:72], v[3:4]
	s_clause 0x4
	buffer_load_dword v72, off, s[0:3], 0 offset:316
	buffer_load_dword v131, off, s[0:3], 0 offset:328
	;; [unrolled: 1-line block ×5, first 2 shown]
	s_waitcnt vmcnt(56)
	v_fma_f64 v[69:70], v[63:64], v[79:80], -v[69:70]
	ds_read_b128 v[59:62], v2 offset:480
	v_fma_f64 v[79:80], v[65:66], v[79:80], v[132:133]
	v_add_f64 v[123:124], v[123:124], 0
	v_add_f64 v[0:1], v[0:1], 0
	s_waitcnt lgkmcnt(1)
	v_mul_f64 v[137:138], v[55:56], v[73:74]
	v_mul_f64 v[73:74], v[57:58], v[73:74]
	v_add_f64 v[123:124], v[123:124], v[134:135]
	v_add_f64 v[0:1], v[0:1], v[3:4]
	s_clause 0x2
	buffer_load_dword v132, off, s[0:3], 0 offset:332
	buffer_load_dword v4, off, s[0:3], 0 offset:308
	;; [unrolled: 1-line block ×3, first 2 shown]
	s_waitcnt vmcnt(58) lgkmcnt(0)
	v_mul_f64 v[133:134], v[59:60], v[75:76]
	v_mul_f64 v[75:76], v[61:62], v[75:76]
	s_waitcnt vmcnt(56)
	v_fma_f64 v[73:74], v[55:56], v[81:82], -v[73:74]
	ds_read_b128 v[63:66], v2 offset:496
	v_fma_f64 v[81:82], v[57:58], v[81:82], v[137:138]
	v_add_f64 v[69:70], v[123:124], v[69:70]
	v_add_f64 v[0:1], v[0:1], v[79:80]
	s_clause 0x4
	buffer_load_dword v80, off, s[0:3], 0 offset:348
	buffer_load_dword v123, off, s[0:3], 0 offset:360
	;; [unrolled: 1-line block ×5, first 2 shown]
	ds_read_b128 v[55:58], v2 offset:512
	s_waitcnt vmcnt(57) lgkmcnt(1)
	v_mul_f64 v[139:140], v[63:64], v[83:84]
	v_mul_f64 v[83:84], v[65:66], v[83:84]
	s_waitcnt vmcnt(56)
	v_fma_f64 v[75:76], v[59:60], v[77:78], -v[75:76]
	v_add_f64 v[69:70], v[69:70], v[73:74]
	v_fma_f64 v[73:74], v[61:62], v[77:78], v[133:134]
	v_add_f64 v[0:1], v[0:1], v[81:82]
	s_clause 0x2
	buffer_load_dword v124, off, s[0:3], 0 offset:364
	buffer_load_dword v78, off, s[0:3], 0 offset:340
	;; [unrolled: 1-line block ×3, first 2 shown]
	s_waitcnt vmcnt(58) lgkmcnt(0)
	v_mul_f64 v[81:82], v[55:56], v[85:86]
	v_mul_f64 v[85:86], v[57:58], v[85:86]
	s_waitcnt vmcnt(56)
	v_fma_f64 v[83:84], v[63:64], v[89:90], -v[83:84]
	ds_read_b128 v[59:62], v2 offset:528
	v_add_f64 v[69:70], v[69:70], v[75:76]
	v_fma_f64 v[75:76], v[65:66], v[89:90], v[139:140]
	v_add_f64 v[0:1], v[0:1], v[73:74]
	s_clause 0x4
	buffer_load_dword v74, off, s[0:3], 0 offset:380
	buffer_load_dword v89, off, s[0:3], 0 offset:392
	;; [unrolled: 1-line block ×5, first 2 shown]
	ds_read_b128 v[63:66], v2 offset:544
	s_waitcnt vmcnt(57) lgkmcnt(1)
	v_mul_f64 v[134:135], v[59:60], v[91:92]
	v_mul_f64 v[91:92], v[61:62], v[91:92]
	s_waitcnt vmcnt(56)
	v_fma_f64 v[85:86], v[55:56], v[87:88], -v[85:86]
	v_fma_f64 v[81:82], v[57:58], v[87:88], v[81:82]
	v_add_f64 v[69:70], v[69:70], v[83:84]
	v_add_f64 v[0:1], v[0:1], v[75:76]
	s_clause 0x2
	buffer_load_dword v90, off, s[0:3], 0 offset:396
	buffer_load_dword v76, off, s[0:3], 0 offset:372
	;; [unrolled: 1-line block ×3, first 2 shown]
	s_waitcnt vmcnt(58) lgkmcnt(0)
	v_mul_f64 v[87:88], v[65:66], v[93:94]
	ds_read_b128 v[55:58], v2 offset:560
	s_waitcnt vmcnt(56)
	v_fma_f64 v[91:92], v[59:60], v[97:98], -v[91:92]
	v_mul_f64 v[83:84], v[63:64], v[93:94]
	v_add_f64 v[69:70], v[69:70], v[85:86]
	v_fma_f64 v[85:86], v[61:62], v[97:98], v[134:135]
	v_add_f64 v[0:1], v[0:1], v[81:82]
	s_clause 0x2
	buffer_load_dword v82, off, s[0:3], 0 offset:412
	buffer_load_dword v81, off, s[0:3], 0 offset:408
	;; [unrolled: 1-line block ×3, first 2 shown]
	s_waitcnt vmcnt(55) lgkmcnt(0)
	v_mul_f64 v[97:98], v[57:58], v[99:100]
	s_waitcnt vmcnt(54)
	v_fma_f64 v[87:88], v[63:64], v[95:96], -v[87:88]
	ds_read_b128 v[59:62], v2 offset:576
	v_mul_f64 v[93:94], v[55:56], v[99:100]
	v_fma_f64 v[83:84], v[65:66], v[95:96], v[83:84]
	v_add_f64 v[69:70], v[69:70], v[91:92]
	v_add_f64 v[0:1], v[0:1], v[85:86]
	s_clause 0x1
	buffer_load_dword v86, off, s[0:3], 0 offset:404
	buffer_load_dword v85, off, s[0:3], 0 offset:400
	s_waitcnt vmcnt(55) lgkmcnt(0)
	v_mul_f64 v[95:96], v[61:62], v[101:102]
	s_waitcnt vmcnt(53)
	v_fma_f64 v[97:98], v[55:56], v[105:106], -v[97:98]
	ds_read_b128 v[63:66], v2 offset:592
	v_mul_f64 v[91:92], v[59:60], v[101:102]
	v_add_f64 v[69:70], v[69:70], v[87:88]
	v_fma_f64 v[87:88], v[57:58], v[105:106], v[93:94]
	v_add_f64 v[0:1], v[0:1], v[83:84]
	ds_read_b128 v[55:58], v2 offset:608
	s_waitcnt vmcnt(49) lgkmcnt(1)
	v_mul_f64 v[93:94], v[65:66], v[107:108]
	s_waitcnt vmcnt(48)
	v_fma_f64 v[95:96], v[59:60], v[103:104], -v[95:96]
	v_mul_f64 v[83:84], v[63:64], v[107:108]
	v_fma_f64 v[91:92], v[61:62], v[103:104], v[91:92]
	v_add_f64 v[69:70], v[69:70], v[97:98]
	s_waitcnt vmcnt(47) lgkmcnt(0)
	v_mul_f64 v[101:102], v[57:58], v[109:110]
	v_add_f64 v[0:1], v[0:1], v[87:88]
	s_clause 0x3
	buffer_load_dword v87, off, s[0:3], 0 offset:16
	buffer_load_dword v88, off, s[0:3], 0 offset:20
	;; [unrolled: 1-line block ×4, first 2 shown]
	s_waitcnt vmcnt(49)
	v_fma_f64 v[93:94], v[63:64], v[113:114], -v[93:94]
	ds_read_b128 v[59:62], v2 offset:624
	v_mul_f64 v[99:100], v[55:56], v[109:110]
	v_fma_f64 v[83:84], v[65:66], v[113:114], v[83:84]
	ds_read_b128 v[63:66], v2 offset:640
	v_add_f64 v[69:70], v[69:70], v[95:96]
	s_waitcnt vmcnt(44)
	v_fma_f64 v[101:102], v[55:56], v[111:112], -v[101:102]
	v_add_f64 v[0:1], v[0:1], v[91:92]
	s_waitcnt lgkmcnt(1)
	v_mul_f64 v[95:96], v[61:62], v[115:116]
	v_mul_f64 v[91:92], v[59:60], v[115:116]
	v_add_f64 v[69:70], v[69:70], v[93:94]
	v_fma_f64 v[93:94], v[57:58], v[111:112], v[99:100]
	v_add_f64 v[0:1], v[0:1], v[83:84]
	s_waitcnt vmcnt(43) lgkmcnt(0)
	v_mul_f64 v[99:100], v[65:66], v[117:118]
	s_waitcnt vmcnt(41)
	v_fma_f64 v[95:96], v[59:60], v[121:122], -v[95:96]
	ds_read_b128 v[55:58], v2 offset:656
	v_mul_f64 v[83:84], v[63:64], v[117:118]
	v_fma_f64 v[91:92], v[61:62], v[121:122], v[91:92]
	ds_read_b128 v[59:62], v2 offset:672
	v_add_f64 v[69:70], v[69:70], v[101:102]
	v_add_f64 v[0:1], v[0:1], v[93:94]
	s_waitcnt vmcnt(37) lgkmcnt(1)
	v_mul_f64 v[101:102], v[57:58], v[125:126]
	s_waitcnt vmcnt(36)
	v_fma_f64 v[99:100], v[63:64], v[119:120], -v[99:100]
	v_mul_f64 v[93:94], v[55:56], v[125:126]
	v_fma_f64 v[83:84], v[65:66], v[119:120], v[83:84]
	ds_read_b128 v[63:66], v2 offset:688
	v_add_f64 v[69:70], v[69:70], v[95:96]
	v_add_f64 v[0:1], v[0:1], v[91:92]
	s_waitcnt vmcnt(35) lgkmcnt(1)
	v_mul_f64 v[95:96], v[61:62], v[127:128]
	v_mul_f64 v[91:92], v[59:60], v[127:128]
	s_waitcnt vmcnt(33)
	v_fma_f64 v[101:102], v[55:56], v[67:68], -v[101:102]
	v_fma_f64 v[67:68], v[57:58], v[67:68], v[93:94]
	ds_read_b128 v[55:58], v2 offset:704
	v_add_f64 v[69:70], v[69:70], v[99:100]
	v_add_f64 v[0:1], v[0:1], v[83:84]
	s_waitcnt vmcnt(29) lgkmcnt(1)
	v_mul_f64 v[83:84], v[63:64], v[71:72]
	v_mul_f64 v[71:72], v[65:66], v[71:72]
	s_waitcnt vmcnt(28)
	v_fma_f64 v[93:94], v[59:60], v[129:130], -v[95:96]
	;; [unrolled: 9-line block ×6, first 2 shown]
	v_fma_f64 v[65:66], v[65:66], v[138:139], v[3:4]
	v_add_f64 v[69:70], v[69:70], v[79:80]
	v_add_f64 v[71:72], v[0:1], v[77:78]
	ds_read_b128 v[0:3], v2 offset:784
	s_waitcnt vmcnt(11) lgkmcnt(1)
	v_mul_f64 v[79:80], v[61:62], v[89:90]
	v_mul_f64 v[77:78], v[59:60], v[89:90]
	s_waitcnt vmcnt(9)
	v_fma_f64 v[55:56], v[55:56], v[75:76], -v[73:74]
	v_fma_f64 v[57:58], v[57:58], v[75:76], v[67:68]
	v_add_f64 v[63:64], v[69:70], v[63:64]
	v_add_f64 v[65:66], v[71:72], v[65:66]
	s_waitcnt vmcnt(7) lgkmcnt(0)
	v_mul_f64 v[69:70], v[2:3], v[81:82]
	s_waitcnt vmcnt(6)
	v_fma_f64 v[59:60], v[59:60], v[133:134], -v[79:80]
	v_mul_f64 v[67:68], v[0:1], v[81:82]
	v_fma_f64 v[61:62], v[61:62], v[133:134], v[77:78]
	v_add_f64 v[55:56], v[63:64], v[55:56]
	v_add_f64 v[57:58], v[65:66], v[57:58]
	s_waitcnt vmcnt(4)
	v_fma_f64 v[0:1], v[0:1], v[85:86], -v[69:70]
	v_fma_f64 v[2:3], v[2:3], v[85:86], v[67:68]
	v_add_f64 v[55:56], v[55:56], v[59:60]
	v_add_f64 v[57:58], v[57:58], v[61:62]
	v_add_f64 v[0:1], v[55:56], v[0:1]
	v_add_f64 v[2:3], v[57:58], v[2:3]
	s_waitcnt vmcnt(2)
	v_add_f64 v[0:1], v[87:88], -v[0:1]
	s_waitcnt vmcnt(0)
	v_add_f64 v[2:3], v[97:98], -v[2:3]
	buffer_store_dword v1, off, s[0:3], 0 offset:20
	buffer_store_dword v0, off, s[0:3], 0 offset:16
	;; [unrolled: 1-line block ×4, first 2 shown]
	s_cbranch_vccz .LBB24_212
; %bb.164:
	v_mov_b32_e32 v0, 0
	global_load_dword v1, v0, s[20:21] offset:92
	s_waitcnt vmcnt(0)
	v_add_nc_u32_e32 v1, -1, v1
	v_cmp_ne_u32_e32 vcc_lo, 23, v1
	s_cbranch_vccz .LBB24_166
; %bb.165:
	v_lshlrev_b32_e32 v1, 4, v1
	v_mov_b32_e32 v2, s9
	v_add_nc_u32_e32 v1, 16, v1
	s_clause 0x7
	buffer_load_dword v3, v1, s[0:3], 0 offen
	buffer_load_dword v4, v1, s[0:3], 0 offen offset:4
	buffer_load_dword v55, v1, s[0:3], 0 offen offset:8
	;; [unrolled: 1-line block ×6, first 2 shown]
	buffer_load_dword v60, v2, s[0:3], 0 offen
	s_waitcnt vmcnt(7)
	buffer_store_dword v3, v2, s[0:3], 0 offen
	s_waitcnt vmcnt(6)
	buffer_store_dword v4, v2, s[0:3], 0 offen offset:4
	s_waitcnt vmcnt(5)
	buffer_store_dword v55, v2, s[0:3], 0 offen offset:8
	;; [unrolled: 2-line block ×6, first 2 shown]
	s_waitcnt vmcnt(0)
	buffer_store_dword v60, v1, s[0:3], 0 offen
.LBB24_166:
	global_load_dword v0, v0, s[20:21] offset:88
	s_waitcnt vmcnt(0)
	v_add_nc_u32_e32 v0, -1, v0
	v_cmp_eq_u32_e32 vcc_lo, 22, v0
	s_cbranch_vccnz .LBB24_168
; %bb.167:
	v_lshlrev_b32_e32 v0, 4, v0
	v_mov_b32_e32 v1, s12
	v_add_nc_u32_e32 v0, 16, v0
	s_clause 0x7
	buffer_load_dword v2, v0, s[0:3], 0 offen
	buffer_load_dword v3, v0, s[0:3], 0 offen offset:4
	buffer_load_dword v4, v0, s[0:3], 0 offen offset:8
	buffer_load_dword v55, v0, s[0:3], 0 offen offset:12
	buffer_load_dword v56, v1, s[0:3], 0 offen offset:12
	buffer_load_dword v57, v1, s[0:3], 0 offen offset:8
	buffer_load_dword v58, v1, s[0:3], 0 offen offset:4
	buffer_load_dword v59, v1, s[0:3], 0 offen
	s_waitcnt vmcnt(7)
	buffer_store_dword v2, v1, s[0:3], 0 offen
	s_waitcnt vmcnt(6)
	buffer_store_dword v3, v1, s[0:3], 0 offen offset:4
	s_waitcnt vmcnt(5)
	buffer_store_dword v4, v1, s[0:3], 0 offen offset:8
	;; [unrolled: 2-line block ×6, first 2 shown]
	s_waitcnt vmcnt(0)
	buffer_store_dword v59, v0, s[0:3], 0 offen
.LBB24_168:
	v_mov_b32_e32 v0, 0
	global_load_dword v1, v0, s[20:21] offset:84
	s_waitcnt vmcnt(0)
	v_add_nc_u32_e32 v1, -1, v1
	v_cmp_eq_u32_e32 vcc_lo, 21, v1
	s_cbranch_vccnz .LBB24_170
; %bb.169:
	v_lshlrev_b32_e32 v1, 4, v1
	v_mov_b32_e32 v2, s13
	v_add_nc_u32_e32 v1, 16, v1
	s_clause 0x7
	buffer_load_dword v3, v1, s[0:3], 0 offen
	buffer_load_dword v4, v1, s[0:3], 0 offen offset:4
	buffer_load_dword v55, v1, s[0:3], 0 offen offset:8
	;; [unrolled: 1-line block ×6, first 2 shown]
	buffer_load_dword v60, v2, s[0:3], 0 offen
	s_waitcnt vmcnt(7)
	buffer_store_dword v3, v2, s[0:3], 0 offen
	s_waitcnt vmcnt(6)
	buffer_store_dword v4, v2, s[0:3], 0 offen offset:4
	s_waitcnt vmcnt(5)
	buffer_store_dword v55, v2, s[0:3], 0 offen offset:8
	;; [unrolled: 2-line block ×6, first 2 shown]
	s_waitcnt vmcnt(0)
	buffer_store_dword v60, v1, s[0:3], 0 offen
.LBB24_170:
	global_load_dword v0, v0, s[20:21] offset:80
	s_waitcnt vmcnt(0)
	v_add_nc_u32_e32 v0, -1, v0
	v_cmp_eq_u32_e32 vcc_lo, 20, v0
	s_cbranch_vccnz .LBB24_172
; %bb.171:
	v_lshlrev_b32_e32 v0, 4, v0
	v_mov_b32_e32 v1, s14
	v_add_nc_u32_e32 v0, 16, v0
	s_clause 0x7
	buffer_load_dword v2, v0, s[0:3], 0 offen
	buffer_load_dword v3, v0, s[0:3], 0 offen offset:4
	buffer_load_dword v4, v0, s[0:3], 0 offen offset:8
	;; [unrolled: 1-line block ×6, first 2 shown]
	buffer_load_dword v59, v1, s[0:3], 0 offen
	s_waitcnt vmcnt(7)
	buffer_store_dword v2, v1, s[0:3], 0 offen
	s_waitcnt vmcnt(6)
	buffer_store_dword v3, v1, s[0:3], 0 offen offset:4
	s_waitcnt vmcnt(5)
	buffer_store_dword v4, v1, s[0:3], 0 offen offset:8
	;; [unrolled: 2-line block ×6, first 2 shown]
	s_waitcnt vmcnt(0)
	buffer_store_dword v59, v0, s[0:3], 0 offen
.LBB24_172:
	v_mov_b32_e32 v0, 0
	global_load_dword v1, v0, s[20:21] offset:76
	s_waitcnt vmcnt(0)
	v_add_nc_u32_e32 v1, -1, v1
	v_cmp_eq_u32_e32 vcc_lo, 19, v1
	s_cbranch_vccnz .LBB24_174
; %bb.173:
	v_lshlrev_b32_e32 v1, 4, v1
	v_mov_b32_e32 v2, s15
	v_add_nc_u32_e32 v1, 16, v1
	s_clause 0x7
	buffer_load_dword v3, v1, s[0:3], 0 offen
	buffer_load_dword v4, v1, s[0:3], 0 offen offset:4
	buffer_load_dword v55, v1, s[0:3], 0 offen offset:8
	;; [unrolled: 1-line block ×6, first 2 shown]
	buffer_load_dword v60, v2, s[0:3], 0 offen
	s_waitcnt vmcnt(7)
	buffer_store_dword v3, v2, s[0:3], 0 offen
	s_waitcnt vmcnt(6)
	buffer_store_dword v4, v2, s[0:3], 0 offen offset:4
	s_waitcnt vmcnt(5)
	buffer_store_dword v55, v2, s[0:3], 0 offen offset:8
	;; [unrolled: 2-line block ×6, first 2 shown]
	s_waitcnt vmcnt(0)
	buffer_store_dword v60, v1, s[0:3], 0 offen
.LBB24_174:
	global_load_dword v0, v0, s[20:21] offset:72
	s_waitcnt vmcnt(0)
	v_add_nc_u32_e32 v0, -1, v0
	v_cmp_eq_u32_e32 vcc_lo, 18, v0
	s_cbranch_vccnz .LBB24_176
; %bb.175:
	v_lshlrev_b32_e32 v0, 4, v0
	v_mov_b32_e32 v1, s16
	v_add_nc_u32_e32 v0, 16, v0
	s_clause 0x7
	buffer_load_dword v2, v0, s[0:3], 0 offen
	buffer_load_dword v3, v0, s[0:3], 0 offen offset:4
	buffer_load_dword v4, v0, s[0:3], 0 offen offset:8
	;; [unrolled: 1-line block ×6, first 2 shown]
	buffer_load_dword v59, v1, s[0:3], 0 offen
	s_waitcnt vmcnt(7)
	buffer_store_dword v2, v1, s[0:3], 0 offen
	s_waitcnt vmcnt(6)
	buffer_store_dword v3, v1, s[0:3], 0 offen offset:4
	s_waitcnt vmcnt(5)
	buffer_store_dword v4, v1, s[0:3], 0 offen offset:8
	;; [unrolled: 2-line block ×6, first 2 shown]
	s_waitcnt vmcnt(0)
	buffer_store_dword v59, v0, s[0:3], 0 offen
.LBB24_176:
	v_mov_b32_e32 v0, 0
	global_load_dword v1, v0, s[20:21] offset:68
	s_waitcnt vmcnt(0)
	v_add_nc_u32_e32 v1, -1, v1
	v_cmp_eq_u32_e32 vcc_lo, 17, v1
	s_cbranch_vccnz .LBB24_178
; %bb.177:
	v_lshlrev_b32_e32 v1, 4, v1
	v_mov_b32_e32 v2, s17
	v_add_nc_u32_e32 v1, 16, v1
	s_clause 0x7
	buffer_load_dword v3, v1, s[0:3], 0 offen
	buffer_load_dword v4, v1, s[0:3], 0 offen offset:4
	buffer_load_dword v55, v1, s[0:3], 0 offen offset:8
	;; [unrolled: 1-line block ×6, first 2 shown]
	buffer_load_dword v60, v2, s[0:3], 0 offen
	s_waitcnt vmcnt(7)
	buffer_store_dword v3, v2, s[0:3], 0 offen
	s_waitcnt vmcnt(6)
	buffer_store_dword v4, v2, s[0:3], 0 offen offset:4
	s_waitcnt vmcnt(5)
	buffer_store_dword v55, v2, s[0:3], 0 offen offset:8
	;; [unrolled: 2-line block ×6, first 2 shown]
	s_waitcnt vmcnt(0)
	buffer_store_dword v60, v1, s[0:3], 0 offen
.LBB24_178:
	global_load_dword v0, v0, s[20:21] offset:64
	s_waitcnt vmcnt(0)
	v_add_nc_u32_e32 v0, -1, v0
	v_cmp_eq_u32_e32 vcc_lo, 16, v0
	s_cbranch_vccnz .LBB24_180
; %bb.179:
	v_lshlrev_b32_e32 v0, 4, v0
	v_mov_b32_e32 v1, s18
	v_add_nc_u32_e32 v0, 16, v0
	s_clause 0x7
	buffer_load_dword v2, v0, s[0:3], 0 offen
	buffer_load_dword v3, v0, s[0:3], 0 offen offset:4
	buffer_load_dword v4, v0, s[0:3], 0 offen offset:8
	;; [unrolled: 1-line block ×6, first 2 shown]
	buffer_load_dword v59, v1, s[0:3], 0 offen
	s_waitcnt vmcnt(7)
	buffer_store_dword v2, v1, s[0:3], 0 offen
	s_waitcnt vmcnt(6)
	buffer_store_dword v3, v1, s[0:3], 0 offen offset:4
	s_waitcnt vmcnt(5)
	buffer_store_dword v4, v1, s[0:3], 0 offen offset:8
	;; [unrolled: 2-line block ×6, first 2 shown]
	s_waitcnt vmcnt(0)
	buffer_store_dword v59, v0, s[0:3], 0 offen
.LBB24_180:
	v_mov_b32_e32 v0, 0
	global_load_dword v1, v0, s[20:21] offset:60
	s_waitcnt vmcnt(0)
	v_add_nc_u32_e32 v1, -1, v1
	v_cmp_eq_u32_e32 vcc_lo, 15, v1
	s_cbranch_vccnz .LBB24_182
; %bb.181:
	v_lshlrev_b32_e32 v1, 4, v1
	v_mov_b32_e32 v2, s19
	v_add_nc_u32_e32 v1, 16, v1
	s_clause 0x7
	buffer_load_dword v3, v1, s[0:3], 0 offen
	buffer_load_dword v4, v1, s[0:3], 0 offen offset:4
	buffer_load_dword v55, v1, s[0:3], 0 offen offset:8
	;; [unrolled: 1-line block ×6, first 2 shown]
	buffer_load_dword v60, v2, s[0:3], 0 offen
	s_waitcnt vmcnt(7)
	buffer_store_dword v3, v2, s[0:3], 0 offen
	s_waitcnt vmcnt(6)
	buffer_store_dword v4, v2, s[0:3], 0 offen offset:4
	s_waitcnt vmcnt(5)
	buffer_store_dword v55, v2, s[0:3], 0 offen offset:8
	;; [unrolled: 2-line block ×6, first 2 shown]
	s_waitcnt vmcnt(0)
	buffer_store_dword v60, v1, s[0:3], 0 offen
.LBB24_182:
	global_load_dword v0, v0, s[20:21] offset:56
	s_waitcnt vmcnt(0)
	v_add_nc_u32_e32 v0, -1, v0
	v_cmp_eq_u32_e32 vcc_lo, 14, v0
	s_cbranch_vccnz .LBB24_184
; %bb.183:
	v_lshlrev_b32_e32 v0, 4, v0
	v_mov_b32_e32 v1, s22
	v_add_nc_u32_e32 v0, 16, v0
	s_clause 0x7
	buffer_load_dword v2, v0, s[0:3], 0 offen
	buffer_load_dword v3, v0, s[0:3], 0 offen offset:4
	buffer_load_dword v4, v0, s[0:3], 0 offen offset:8
	;; [unrolled: 1-line block ×6, first 2 shown]
	buffer_load_dword v59, v1, s[0:3], 0 offen
	s_waitcnt vmcnt(7)
	buffer_store_dword v2, v1, s[0:3], 0 offen
	s_waitcnt vmcnt(6)
	buffer_store_dword v3, v1, s[0:3], 0 offen offset:4
	s_waitcnt vmcnt(5)
	buffer_store_dword v4, v1, s[0:3], 0 offen offset:8
	;; [unrolled: 2-line block ×6, first 2 shown]
	s_waitcnt vmcnt(0)
	buffer_store_dword v59, v0, s[0:3], 0 offen
.LBB24_184:
	v_mov_b32_e32 v0, 0
	global_load_dword v1, v0, s[20:21] offset:52
	s_waitcnt vmcnt(0)
	v_add_nc_u32_e32 v1, -1, v1
	v_cmp_eq_u32_e32 vcc_lo, 13, v1
	s_cbranch_vccnz .LBB24_186
; %bb.185:
	v_lshlrev_b32_e32 v1, 4, v1
	v_mov_b32_e32 v2, s23
	v_add_nc_u32_e32 v1, 16, v1
	s_clause 0x7
	buffer_load_dword v3, v1, s[0:3], 0 offen
	buffer_load_dword v4, v1, s[0:3], 0 offen offset:4
	buffer_load_dword v55, v1, s[0:3], 0 offen offset:8
	buffer_load_dword v56, v1, s[0:3], 0 offen offset:12
	buffer_load_dword v57, v2, s[0:3], 0 offen offset:12
	buffer_load_dword v58, v2, s[0:3], 0 offen offset:8
	buffer_load_dword v59, v2, s[0:3], 0 offen offset:4
	buffer_load_dword v60, v2, s[0:3], 0 offen
	s_waitcnt vmcnt(7)
	buffer_store_dword v3, v2, s[0:3], 0 offen
	s_waitcnt vmcnt(6)
	buffer_store_dword v4, v2, s[0:3], 0 offen offset:4
	s_waitcnt vmcnt(5)
	buffer_store_dword v55, v2, s[0:3], 0 offen offset:8
	;; [unrolled: 2-line block ×6, first 2 shown]
	s_waitcnt vmcnt(0)
	buffer_store_dword v60, v1, s[0:3], 0 offen
.LBB24_186:
	global_load_dword v0, v0, s[20:21] offset:48
	s_waitcnt vmcnt(0)
	v_add_nc_u32_e32 v0, -1, v0
	v_cmp_eq_u32_e32 vcc_lo, 12, v0
	s_cbranch_vccnz .LBB24_188
; %bb.187:
	v_lshlrev_b32_e32 v0, 4, v0
	v_mov_b32_e32 v1, s24
	v_add_nc_u32_e32 v0, 16, v0
	s_clause 0x7
	buffer_load_dword v2, v0, s[0:3], 0 offen
	buffer_load_dword v3, v0, s[0:3], 0 offen offset:4
	buffer_load_dword v4, v0, s[0:3], 0 offen offset:8
	;; [unrolled: 1-line block ×6, first 2 shown]
	buffer_load_dword v59, v1, s[0:3], 0 offen
	s_waitcnt vmcnt(7)
	buffer_store_dword v2, v1, s[0:3], 0 offen
	s_waitcnt vmcnt(6)
	buffer_store_dword v3, v1, s[0:3], 0 offen offset:4
	s_waitcnt vmcnt(5)
	buffer_store_dword v4, v1, s[0:3], 0 offen offset:8
	;; [unrolled: 2-line block ×6, first 2 shown]
	s_waitcnt vmcnt(0)
	buffer_store_dword v59, v0, s[0:3], 0 offen
.LBB24_188:
	v_mov_b32_e32 v0, 0
	global_load_dword v1, v0, s[20:21] offset:44
	s_waitcnt vmcnt(0)
	v_add_nc_u32_e32 v1, -1, v1
	v_cmp_eq_u32_e32 vcc_lo, 11, v1
	s_cbranch_vccnz .LBB24_190
; %bb.189:
	v_lshlrev_b32_e32 v1, 4, v1
	v_mov_b32_e32 v2, s25
	v_add_nc_u32_e32 v1, 16, v1
	s_clause 0x7
	buffer_load_dword v3, v1, s[0:3], 0 offen
	buffer_load_dword v4, v1, s[0:3], 0 offen offset:4
	buffer_load_dword v55, v1, s[0:3], 0 offen offset:8
	;; [unrolled: 1-line block ×6, first 2 shown]
	buffer_load_dword v60, v2, s[0:3], 0 offen
	s_waitcnt vmcnt(7)
	buffer_store_dword v3, v2, s[0:3], 0 offen
	s_waitcnt vmcnt(6)
	buffer_store_dword v4, v2, s[0:3], 0 offen offset:4
	s_waitcnt vmcnt(5)
	buffer_store_dword v55, v2, s[0:3], 0 offen offset:8
	;; [unrolled: 2-line block ×6, first 2 shown]
	s_waitcnt vmcnt(0)
	buffer_store_dword v60, v1, s[0:3], 0 offen
.LBB24_190:
	global_load_dword v0, v0, s[20:21] offset:40
	s_waitcnt vmcnt(0)
	v_add_nc_u32_e32 v0, -1, v0
	v_cmp_eq_u32_e32 vcc_lo, 10, v0
	s_cbranch_vccnz .LBB24_192
; %bb.191:
	v_lshlrev_b32_e32 v0, 4, v0
	v_mov_b32_e32 v1, s26
	v_add_nc_u32_e32 v0, 16, v0
	s_clause 0x7
	buffer_load_dword v2, v0, s[0:3], 0 offen
	buffer_load_dword v3, v0, s[0:3], 0 offen offset:4
	buffer_load_dword v4, v0, s[0:3], 0 offen offset:8
	;; [unrolled: 1-line block ×6, first 2 shown]
	buffer_load_dword v59, v1, s[0:3], 0 offen
	s_waitcnt vmcnt(7)
	buffer_store_dword v2, v1, s[0:3], 0 offen
	s_waitcnt vmcnt(6)
	buffer_store_dword v3, v1, s[0:3], 0 offen offset:4
	s_waitcnt vmcnt(5)
	buffer_store_dword v4, v1, s[0:3], 0 offen offset:8
	;; [unrolled: 2-line block ×6, first 2 shown]
	s_waitcnt vmcnt(0)
	buffer_store_dword v59, v0, s[0:3], 0 offen
.LBB24_192:
	v_mov_b32_e32 v0, 0
	global_load_dword v1, v0, s[20:21] offset:36
	s_waitcnt vmcnt(0)
	v_add_nc_u32_e32 v1, -1, v1
	v_cmp_eq_u32_e32 vcc_lo, 9, v1
	s_cbranch_vccnz .LBB24_194
; %bb.193:
	v_lshlrev_b32_e32 v1, 4, v1
	v_mov_b32_e32 v2, s27
	v_add_nc_u32_e32 v1, 16, v1
	s_clause 0x7
	buffer_load_dword v3, v1, s[0:3], 0 offen
	buffer_load_dword v4, v1, s[0:3], 0 offen offset:4
	buffer_load_dword v55, v1, s[0:3], 0 offen offset:8
	;; [unrolled: 1-line block ×6, first 2 shown]
	buffer_load_dword v60, v2, s[0:3], 0 offen
	s_waitcnt vmcnt(7)
	buffer_store_dword v3, v2, s[0:3], 0 offen
	s_waitcnt vmcnt(6)
	buffer_store_dword v4, v2, s[0:3], 0 offen offset:4
	s_waitcnt vmcnt(5)
	buffer_store_dword v55, v2, s[0:3], 0 offen offset:8
	;; [unrolled: 2-line block ×6, first 2 shown]
	s_waitcnt vmcnt(0)
	buffer_store_dword v60, v1, s[0:3], 0 offen
.LBB24_194:
	global_load_dword v0, v0, s[20:21] offset:32
	s_waitcnt vmcnt(0)
	v_add_nc_u32_e32 v0, -1, v0
	v_cmp_eq_u32_e32 vcc_lo, 8, v0
	s_cbranch_vccnz .LBB24_196
; %bb.195:
	v_lshlrev_b32_e32 v0, 4, v0
	v_mov_b32_e32 v1, s28
	v_add_nc_u32_e32 v0, 16, v0
	s_clause 0x7
	buffer_load_dword v2, v0, s[0:3], 0 offen
	buffer_load_dword v3, v0, s[0:3], 0 offen offset:4
	buffer_load_dword v4, v0, s[0:3], 0 offen offset:8
	;; [unrolled: 1-line block ×6, first 2 shown]
	buffer_load_dword v59, v1, s[0:3], 0 offen
	s_waitcnt vmcnt(7)
	buffer_store_dword v2, v1, s[0:3], 0 offen
	s_waitcnt vmcnt(6)
	buffer_store_dword v3, v1, s[0:3], 0 offen offset:4
	s_waitcnt vmcnt(5)
	buffer_store_dword v4, v1, s[0:3], 0 offen offset:8
	;; [unrolled: 2-line block ×6, first 2 shown]
	s_waitcnt vmcnt(0)
	buffer_store_dword v59, v0, s[0:3], 0 offen
.LBB24_196:
	v_mov_b32_e32 v0, 0
	global_load_dword v1, v0, s[20:21] offset:28
	s_waitcnt vmcnt(0)
	v_add_nc_u32_e32 v1, -1, v1
	v_cmp_eq_u32_e32 vcc_lo, 7, v1
	s_cbranch_vccnz .LBB24_198
; %bb.197:
	v_lshlrev_b32_e32 v1, 4, v1
	v_mov_b32_e32 v2, s29
	v_add_nc_u32_e32 v1, 16, v1
	s_clause 0x7
	buffer_load_dword v3, v1, s[0:3], 0 offen
	buffer_load_dword v4, v1, s[0:3], 0 offen offset:4
	buffer_load_dword v55, v1, s[0:3], 0 offen offset:8
	;; [unrolled: 1-line block ×6, first 2 shown]
	buffer_load_dword v60, v2, s[0:3], 0 offen
	s_waitcnt vmcnt(7)
	buffer_store_dword v3, v2, s[0:3], 0 offen
	s_waitcnt vmcnt(6)
	buffer_store_dword v4, v2, s[0:3], 0 offen offset:4
	s_waitcnt vmcnt(5)
	buffer_store_dword v55, v2, s[0:3], 0 offen offset:8
	;; [unrolled: 2-line block ×6, first 2 shown]
	s_waitcnt vmcnt(0)
	buffer_store_dword v60, v1, s[0:3], 0 offen
.LBB24_198:
	global_load_dword v0, v0, s[20:21] offset:24
	s_waitcnt vmcnt(0)
	v_add_nc_u32_e32 v0, -1, v0
	v_cmp_eq_u32_e32 vcc_lo, 6, v0
	s_cbranch_vccnz .LBB24_200
; %bb.199:
	v_lshlrev_b32_e32 v0, 4, v0
	v_mov_b32_e32 v1, s30
	v_add_nc_u32_e32 v0, 16, v0
	s_clause 0x7
	buffer_load_dword v2, v0, s[0:3], 0 offen
	buffer_load_dword v3, v0, s[0:3], 0 offen offset:4
	buffer_load_dword v4, v0, s[0:3], 0 offen offset:8
	buffer_load_dword v55, v0, s[0:3], 0 offen offset:12
	buffer_load_dword v56, v1, s[0:3], 0 offen offset:12
	buffer_load_dword v57, v1, s[0:3], 0 offen offset:8
	buffer_load_dword v58, v1, s[0:3], 0 offen offset:4
	buffer_load_dword v59, v1, s[0:3], 0 offen
	s_waitcnt vmcnt(7)
	buffer_store_dword v2, v1, s[0:3], 0 offen
	s_waitcnt vmcnt(6)
	buffer_store_dword v3, v1, s[0:3], 0 offen offset:4
	s_waitcnt vmcnt(5)
	buffer_store_dword v4, v1, s[0:3], 0 offen offset:8
	;; [unrolled: 2-line block ×6, first 2 shown]
	s_waitcnt vmcnt(0)
	buffer_store_dword v59, v0, s[0:3], 0 offen
.LBB24_200:
	v_mov_b32_e32 v0, 0
	global_load_dword v1, v0, s[20:21] offset:20
	s_waitcnt vmcnt(0)
	v_add_nc_u32_e32 v1, -1, v1
	v_cmp_eq_u32_e32 vcc_lo, 5, v1
	s_cbranch_vccnz .LBB24_202
; %bb.201:
	v_lshlrev_b32_e32 v1, 4, v1
	v_mov_b32_e32 v2, s31
	v_add_nc_u32_e32 v1, 16, v1
	s_clause 0x7
	buffer_load_dword v3, v1, s[0:3], 0 offen
	buffer_load_dword v4, v1, s[0:3], 0 offen offset:4
	buffer_load_dword v55, v1, s[0:3], 0 offen offset:8
	;; [unrolled: 1-line block ×6, first 2 shown]
	buffer_load_dword v60, v2, s[0:3], 0 offen
	s_waitcnt vmcnt(7)
	buffer_store_dword v3, v2, s[0:3], 0 offen
	s_waitcnt vmcnt(6)
	buffer_store_dword v4, v2, s[0:3], 0 offen offset:4
	s_waitcnt vmcnt(5)
	buffer_store_dword v55, v2, s[0:3], 0 offen offset:8
	;; [unrolled: 2-line block ×6, first 2 shown]
	s_waitcnt vmcnt(0)
	buffer_store_dword v60, v1, s[0:3], 0 offen
.LBB24_202:
	global_load_dword v0, v0, s[20:21] offset:16
	s_waitcnt vmcnt(0)
	v_add_nc_u32_e32 v0, -1, v0
	v_cmp_eq_u32_e32 vcc_lo, 4, v0
	s_cbranch_vccnz .LBB24_204
; %bb.203:
	v_lshlrev_b32_e32 v0, 4, v0
	v_mov_b32_e32 v1, s33
	v_add_nc_u32_e32 v0, 16, v0
	s_clause 0x7
	buffer_load_dword v2, v0, s[0:3], 0 offen
	buffer_load_dword v3, v0, s[0:3], 0 offen offset:4
	buffer_load_dword v4, v0, s[0:3], 0 offen offset:8
	;; [unrolled: 1-line block ×6, first 2 shown]
	buffer_load_dword v59, v1, s[0:3], 0 offen
	s_waitcnt vmcnt(7)
	buffer_store_dword v2, v1, s[0:3], 0 offen
	s_waitcnt vmcnt(6)
	buffer_store_dword v3, v1, s[0:3], 0 offen offset:4
	s_waitcnt vmcnt(5)
	buffer_store_dword v4, v1, s[0:3], 0 offen offset:8
	;; [unrolled: 2-line block ×6, first 2 shown]
	s_waitcnt vmcnt(0)
	buffer_store_dword v59, v0, s[0:3], 0 offen
.LBB24_204:
	v_mov_b32_e32 v0, 0
	global_load_dword v1, v0, s[20:21] offset:12
	s_waitcnt vmcnt(0)
	v_add_nc_u32_e32 v1, -1, v1
	v_cmp_eq_u32_e32 vcc_lo, 3, v1
	s_cbranch_vccnz .LBB24_206
; %bb.205:
	v_lshlrev_b32_e32 v1, 4, v1
	v_mov_b32_e32 v2, s35
	v_add_nc_u32_e32 v1, 16, v1
	s_clause 0x7
	buffer_load_dword v3, v1, s[0:3], 0 offen
	buffer_load_dword v4, v1, s[0:3], 0 offen offset:4
	buffer_load_dword v55, v1, s[0:3], 0 offen offset:8
	;; [unrolled: 1-line block ×6, first 2 shown]
	buffer_load_dword v60, v2, s[0:3], 0 offen
	s_waitcnt vmcnt(7)
	buffer_store_dword v3, v2, s[0:3], 0 offen
	s_waitcnt vmcnt(6)
	buffer_store_dword v4, v2, s[0:3], 0 offen offset:4
	s_waitcnt vmcnt(5)
	buffer_store_dword v55, v2, s[0:3], 0 offen offset:8
	;; [unrolled: 2-line block ×6, first 2 shown]
	s_waitcnt vmcnt(0)
	buffer_store_dword v60, v1, s[0:3], 0 offen
.LBB24_206:
	global_load_dword v0, v0, s[20:21] offset:8
	s_waitcnt vmcnt(0)
	v_add_nc_u32_e32 v0, -1, v0
	v_cmp_eq_u32_e32 vcc_lo, 2, v0
	s_cbranch_vccnz .LBB24_208
; %bb.207:
	v_lshlrev_b32_e32 v0, 4, v0
	v_mov_b32_e32 v1, s36
	v_add_nc_u32_e32 v0, 16, v0
	s_clause 0x7
	buffer_load_dword v2, v0, s[0:3], 0 offen
	buffer_load_dword v3, v0, s[0:3], 0 offen offset:4
	buffer_load_dword v4, v0, s[0:3], 0 offen offset:8
	buffer_load_dword v55, v0, s[0:3], 0 offen offset:12
	buffer_load_dword v56, v1, s[0:3], 0 offen offset:12
	buffer_load_dword v57, v1, s[0:3], 0 offen offset:8
	buffer_load_dword v58, v1, s[0:3], 0 offen offset:4
	buffer_load_dword v59, v1, s[0:3], 0 offen
	s_waitcnt vmcnt(7)
	buffer_store_dword v2, v1, s[0:3], 0 offen
	s_waitcnt vmcnt(6)
	buffer_store_dword v3, v1, s[0:3], 0 offen offset:4
	s_waitcnt vmcnt(5)
	buffer_store_dword v4, v1, s[0:3], 0 offen offset:8
	;; [unrolled: 2-line block ×6, first 2 shown]
	s_waitcnt vmcnt(0)
	buffer_store_dword v59, v0, s[0:3], 0 offen
.LBB24_208:
	v_mov_b32_e32 v0, 0
	global_load_dword v1, v0, s[20:21] offset:4
	s_waitcnt vmcnt(0)
	v_add_nc_u32_e32 v1, -1, v1
	v_cmp_eq_u32_e32 vcc_lo, 1, v1
	s_cbranch_vccnz .LBB24_210
; %bb.209:
	v_lshlrev_b32_e32 v1, 4, v1
	v_mov_b32_e32 v2, s37
	v_add_nc_u32_e32 v1, 16, v1
	s_clause 0x7
	buffer_load_dword v3, v1, s[0:3], 0 offen
	buffer_load_dword v4, v1, s[0:3], 0 offen offset:4
	buffer_load_dword v55, v1, s[0:3], 0 offen offset:8
	;; [unrolled: 1-line block ×6, first 2 shown]
	buffer_load_dword v60, v2, s[0:3], 0 offen
	s_waitcnt vmcnt(7)
	buffer_store_dword v3, v2, s[0:3], 0 offen
	s_waitcnt vmcnt(6)
	buffer_store_dword v4, v2, s[0:3], 0 offen offset:4
	s_waitcnt vmcnt(5)
	buffer_store_dword v55, v2, s[0:3], 0 offen offset:8
	;; [unrolled: 2-line block ×6, first 2 shown]
	s_waitcnt vmcnt(0)
	buffer_store_dword v60, v1, s[0:3], 0 offen
.LBB24_210:
	global_load_dword v0, v0, s[20:21]
	s_waitcnt vmcnt(0)
	v_add_nc_u32_e32 v0, -1, v0
	v_cmp_eq_u32_e32 vcc_lo, 0, v0
	s_cbranch_vccnz .LBB24_212
; %bb.211:
	v_lshlrev_b32_e32 v0, 4, v0
	v_add_nc_u32_e32 v0, 16, v0
	s_clause 0x7
	buffer_load_dword v1, v0, s[0:3], 0 offen
	buffer_load_dword v2, v0, s[0:3], 0 offen offset:4
	buffer_load_dword v3, v0, s[0:3], 0 offen offset:8
	;; [unrolled: 1-line block ×3, first 2 shown]
	buffer_load_dword v55, off, s[0:3], 0 offset:28
	buffer_load_dword v56, off, s[0:3], 0 offset:24
	;; [unrolled: 1-line block ×4, first 2 shown]
	s_waitcnt vmcnt(7)
	buffer_store_dword v1, off, s[0:3], 0 offset:16
	s_waitcnt vmcnt(6)
	buffer_store_dword v2, off, s[0:3], 0 offset:20
	;; [unrolled: 2-line block ×4, first 2 shown]
	s_waitcnt vmcnt(3)
	buffer_store_dword v55, v0, s[0:3], 0 offen offset:12
	s_waitcnt vmcnt(2)
	buffer_store_dword v56, v0, s[0:3], 0 offen offset:8
	;; [unrolled: 2-line block ×3, first 2 shown]
	s_waitcnt vmcnt(0)
	buffer_store_dword v58, v0, s[0:3], 0 offen
.LBB24_212:
	v_mov_b32_e32 v4, s37
	s_clause 0x3
	buffer_load_dword v0, off, s[0:3], 0 offset:16
	buffer_load_dword v1, off, s[0:3], 0 offset:20
	;; [unrolled: 1-line block ×4, first 2 shown]
	v_mov_b32_e32 v131, s14
	v_mov_b32_e32 v135, s12
	;; [unrolled: 1-line block ×3, first 2 shown]
	s_clause 0x3
	buffer_load_dword v55, v4, s[0:3], 0 offen
	buffer_load_dword v56, v4, s[0:3], 0 offen offset:4
	buffer_load_dword v57, v4, s[0:3], 0 offen offset:8
	;; [unrolled: 1-line block ×3, first 2 shown]
	v_mov_b32_e32 v4, s36
	v_mov_b32_e32 v70, s33
	v_mov_b32_e32 v74, s31
	v_mov_b32_e32 v78, s30
	v_mov_b32_e32 v82, s29
	v_mov_b32_e32 v86, s28
	v_mov_b32_e32 v90, s27
	v_mov_b32_e32 v94, s26
	v_mov_b32_e32 v98, s25
	v_mov_b32_e32 v102, s24
	v_mov_b32_e32 v106, s23
	v_mov_b32_e32 v110, s22
	v_mov_b32_e32 v114, s19
	v_mov_b32_e32 v118, s18
	v_mov_b32_e32 v122, s17
	v_mov_b32_e32 v126, s16
	v_mov_b32_e32 v130, s15
	v_mov_b32_e32 v134, s13
	s_clause 0x3e
	buffer_load_dword v59, v4, s[0:3], 0 offen
	buffer_load_dword v60, v4, s[0:3], 0 offen offset:4
	buffer_load_dword v61, v4, s[0:3], 0 offen offset:8
	buffer_load_dword v62, v4, s[0:3], 0 offen offset:12
	buffer_load_dword v63, v66, s[0:3], 0 offen
	buffer_load_dword v64, v66, s[0:3], 0 offen offset:4
	buffer_load_dword v65, v66, s[0:3], 0 offen offset:8
	buffer_load_dword v66, v66, s[0:3], 0 offen offset:12
	buffer_load_dword v67, v70, s[0:3], 0 offen
	buffer_load_dword v68, v70, s[0:3], 0 offen offset:4
	buffer_load_dword v69, v70, s[0:3], 0 offen offset:8
	buffer_load_dword v70, v70, s[0:3], 0 offen offset:12
	buffer_load_dword v71, v74, s[0:3], 0 offen
	buffer_load_dword v72, v74, s[0:3], 0 offen offset:4
	buffer_load_dword v73, v74, s[0:3], 0 offen offset:8
	buffer_load_dword v74, v74, s[0:3], 0 offen offset:12
	buffer_load_dword v75, v78, s[0:3], 0 offen
	buffer_load_dword v76, v78, s[0:3], 0 offen offset:4
	buffer_load_dword v77, v78, s[0:3], 0 offen offset:8
	buffer_load_dword v78, v78, s[0:3], 0 offen offset:12
	buffer_load_dword v79, v82, s[0:3], 0 offen
	buffer_load_dword v80, v82, s[0:3], 0 offen offset:4
	buffer_load_dword v81, v82, s[0:3], 0 offen offset:8
	buffer_load_dword v82, v82, s[0:3], 0 offen offset:12
	buffer_load_dword v83, v86, s[0:3], 0 offen
	buffer_load_dword v84, v86, s[0:3], 0 offen offset:4
	buffer_load_dword v85, v86, s[0:3], 0 offen offset:8
	buffer_load_dword v86, v86, s[0:3], 0 offen offset:12
	buffer_load_dword v87, v90, s[0:3], 0 offen
	buffer_load_dword v88, v90, s[0:3], 0 offen offset:4
	buffer_load_dword v89, v90, s[0:3], 0 offen offset:8
	buffer_load_dword v90, v90, s[0:3], 0 offen offset:12
	buffer_load_dword v91, v94, s[0:3], 0 offen
	buffer_load_dword v92, v94, s[0:3], 0 offen offset:4
	buffer_load_dword v93, v94, s[0:3], 0 offen offset:8
	buffer_load_dword v94, v94, s[0:3], 0 offen offset:12
	buffer_load_dword v95, v98, s[0:3], 0 offen
	buffer_load_dword v96, v98, s[0:3], 0 offen offset:4
	buffer_load_dword v97, v98, s[0:3], 0 offen offset:8
	buffer_load_dword v98, v98, s[0:3], 0 offen offset:12
	buffer_load_dword v99, v102, s[0:3], 0 offen
	buffer_load_dword v100, v102, s[0:3], 0 offen offset:4
	buffer_load_dword v101, v102, s[0:3], 0 offen offset:8
	buffer_load_dword v102, v102, s[0:3], 0 offen offset:12
	buffer_load_dword v103, v106, s[0:3], 0 offen
	buffer_load_dword v104, v106, s[0:3], 0 offen offset:4
	buffer_load_dword v105, v106, s[0:3], 0 offen offset:8
	buffer_load_dword v106, v106, s[0:3], 0 offen offset:12
	buffer_load_dword v107, v110, s[0:3], 0 offen
	buffer_load_dword v108, v110, s[0:3], 0 offen offset:4
	buffer_load_dword v109, v110, s[0:3], 0 offen offset:8
	buffer_load_dword v110, v110, s[0:3], 0 offen offset:12
	buffer_load_dword v111, v114, s[0:3], 0 offen
	buffer_load_dword v112, v114, s[0:3], 0 offen offset:4
	buffer_load_dword v113, v114, s[0:3], 0 offen offset:8
	buffer_load_dword v114, v114, s[0:3], 0 offen offset:12
	buffer_load_dword v115, v118, s[0:3], 0 offen
	buffer_load_dword v116, v118, s[0:3], 0 offen offset:4
	buffer_load_dword v117, v118, s[0:3], 0 offen offset:8
	buffer_load_dword v118, v118, s[0:3], 0 offen offset:12
	buffer_load_dword v119, v122, s[0:3], 0 offen
	buffer_load_dword v120, v122, s[0:3], 0 offen offset:4
	buffer_load_dword v121, v122, s[0:3], 0 offen offset:8
	s_clause 0x8
	buffer_load_dword v122, v122, s[0:3], 0 offen offset:12
	buffer_load_dword v123, v126, s[0:3], 0 offen
	buffer_load_dword v124, v126, s[0:3], 0 offen offset:4
	buffer_load_dword v125, v126, s[0:3], 0 offen offset:8
	;; [unrolled: 1-line block ×3, first 2 shown]
	buffer_load_dword v127, v130, s[0:3], 0 offen
	buffer_load_dword v128, v130, s[0:3], 0 offen offset:4
	buffer_load_dword v129, v130, s[0:3], 0 offen offset:8
	;; [unrolled: 1-line block ×3, first 2 shown]
	v_mov_b32_e32 v136, s9
	v_mov_b32_e32 v138, s8
	s_waitcnt vmcnt(62)
	global_store_dwordx4 v[5:6], v[0:3], off
	s_clause 0x7
	buffer_load_dword v0, v131, s[0:3], 0 offen
	buffer_load_dword v1, v131, s[0:3], 0 offen offset:4
	buffer_load_dword v2, v131, s[0:3], 0 offen offset:8
	buffer_load_dword v3, v131, s[0:3], 0 offen offset:12
	buffer_load_dword v131, v134, s[0:3], 0 offen
	buffer_load_dword v132, v134, s[0:3], 0 offen offset:4
	buffer_load_dword v133, v134, s[0:3], 0 offen offset:8
	;; [unrolled: 1-line block ×3, first 2 shown]
	global_store_dwordx4 v[7:8], v[55:58], off
	s_clause 0xb
	buffer_load_dword v4, v135, s[0:3], 0 offen
	buffer_load_dword v5, v135, s[0:3], 0 offen offset:4
	buffer_load_dword v6, v135, s[0:3], 0 offen offset:8
	buffer_load_dword v7, v135, s[0:3], 0 offen offset:12
	buffer_load_dword v55, v136, s[0:3], 0 offen
	buffer_load_dword v56, v136, s[0:3], 0 offen offset:4
	buffer_load_dword v57, v136, s[0:3], 0 offen offset:8
	buffer_load_dword v58, v136, s[0:3], 0 offen offset:12
	;; [unrolled: 4-line block ×3, first 2 shown]
	global_store_dwordx4 v[9:10], v[59:62], off
	global_store_dwordx4 v[11:12], v[63:66], off
	s_waitcnt vmcnt(62)
	global_store_dwordx4 v[13:14], v[67:70], off
	global_store_dwordx4 v[15:16], v[71:74], off
	;; [unrolled: 1-line block ×5, first 2 shown]
	s_waitcnt vmcnt(60)
	global_store_dwordx4 v[23:24], v[87:90], off
	s_waitcnt vmcnt(56)
	global_store_dwordx4 v[25:26], v[91:94], off
	s_waitcnt vmcnt(52)
	global_store_dwordx4 v[27:28], v[95:98], off
	s_waitcnt vmcnt(48)
	global_store_dwordx4 v[29:30], v[99:102], off
	s_waitcnt vmcnt(44)
	global_store_dwordx4 v[31:32], v[103:106], off
	s_waitcnt vmcnt(40)
	global_store_dwordx4 v[33:34], v[107:110], off
	s_waitcnt vmcnt(36)
	global_store_dwordx4 v[35:36], v[111:114], off
	s_waitcnt vmcnt(32)
	global_store_dwordx4 v[37:38], v[115:118], off
	s_waitcnt vmcnt(28)
	global_store_dwordx4 v[39:40], v[119:122], off
	s_waitcnt vmcnt(24)
	global_store_dwordx4 v[41:42], v[123:126], off
	s_waitcnt vmcnt(20)
	global_store_dwordx4 v[43:44], v[127:130], off
	s_waitcnt vmcnt(16)
	global_store_dwordx4 v[45:46], v[0:3], off
	s_waitcnt vmcnt(12)
	global_store_dwordx4 v[47:48], v[131:134], off
	s_waitcnt vmcnt(8)
	global_store_dwordx4 v[51:52], v[4:7], off
	s_waitcnt vmcnt(4)
	global_store_dwordx4 v[53:54], v[55:58], off
	s_waitcnt vmcnt(0)
	global_store_dwordx4 v[49:50], v[135:138], off
	s_endpgm
	.section	.rodata,"a",@progbits
	.p2align	6, 0x0
	.amdhsa_kernel _ZN9rocsolver6v33100L18getri_kernel_smallILi25E19rocblas_complex_numIdEPS3_EEvT1_iilPiilS6_bb
		.amdhsa_group_segment_fixed_size 808
		.amdhsa_private_segment_fixed_size 432
		.amdhsa_kernarg_size 60
		.amdhsa_user_sgpr_count 6
		.amdhsa_user_sgpr_private_segment_buffer 1
		.amdhsa_user_sgpr_dispatch_ptr 0
		.amdhsa_user_sgpr_queue_ptr 0
		.amdhsa_user_sgpr_kernarg_segment_ptr 1
		.amdhsa_user_sgpr_dispatch_id 0
		.amdhsa_user_sgpr_flat_scratch_init 0
		.amdhsa_user_sgpr_private_segment_size 0
		.amdhsa_wavefront_size32 1
		.amdhsa_uses_dynamic_stack 0
		.amdhsa_system_sgpr_private_segment_wavefront_offset 1
		.amdhsa_system_sgpr_workgroup_id_x 1
		.amdhsa_system_sgpr_workgroup_id_y 0
		.amdhsa_system_sgpr_workgroup_id_z 0
		.amdhsa_system_sgpr_workgroup_info 0
		.amdhsa_system_vgpr_workitem_id 0
		.amdhsa_next_free_vgpr 143
		.amdhsa_next_free_sgpr 48
		.amdhsa_reserve_vcc 1
		.amdhsa_reserve_flat_scratch 0
		.amdhsa_float_round_mode_32 0
		.amdhsa_float_round_mode_16_64 0
		.amdhsa_float_denorm_mode_32 3
		.amdhsa_float_denorm_mode_16_64 3
		.amdhsa_dx10_clamp 1
		.amdhsa_ieee_mode 1
		.amdhsa_fp16_overflow 0
		.amdhsa_workgroup_processor_mode 1
		.amdhsa_memory_ordered 1
		.amdhsa_forward_progress 1
		.amdhsa_shared_vgpr_count 0
		.amdhsa_exception_fp_ieee_invalid_op 0
		.amdhsa_exception_fp_denorm_src 0
		.amdhsa_exception_fp_ieee_div_zero 0
		.amdhsa_exception_fp_ieee_overflow 0
		.amdhsa_exception_fp_ieee_underflow 0
		.amdhsa_exception_fp_ieee_inexact 0
		.amdhsa_exception_int_div_zero 0
	.end_amdhsa_kernel
	.section	.text._ZN9rocsolver6v33100L18getri_kernel_smallILi25E19rocblas_complex_numIdEPS3_EEvT1_iilPiilS6_bb,"axG",@progbits,_ZN9rocsolver6v33100L18getri_kernel_smallILi25E19rocblas_complex_numIdEPS3_EEvT1_iilPiilS6_bb,comdat
.Lfunc_end24:
	.size	_ZN9rocsolver6v33100L18getri_kernel_smallILi25E19rocblas_complex_numIdEPS3_EEvT1_iilPiilS6_bb, .Lfunc_end24-_ZN9rocsolver6v33100L18getri_kernel_smallILi25E19rocblas_complex_numIdEPS3_EEvT1_iilPiilS6_bb
                                        ; -- End function
	.set _ZN9rocsolver6v33100L18getri_kernel_smallILi25E19rocblas_complex_numIdEPS3_EEvT1_iilPiilS6_bb.num_vgpr, 143
	.set _ZN9rocsolver6v33100L18getri_kernel_smallILi25E19rocblas_complex_numIdEPS3_EEvT1_iilPiilS6_bb.num_agpr, 0
	.set _ZN9rocsolver6v33100L18getri_kernel_smallILi25E19rocblas_complex_numIdEPS3_EEvT1_iilPiilS6_bb.numbered_sgpr, 48
	.set _ZN9rocsolver6v33100L18getri_kernel_smallILi25E19rocblas_complex_numIdEPS3_EEvT1_iilPiilS6_bb.num_named_barrier, 0
	.set _ZN9rocsolver6v33100L18getri_kernel_smallILi25E19rocblas_complex_numIdEPS3_EEvT1_iilPiilS6_bb.private_seg_size, 432
	.set _ZN9rocsolver6v33100L18getri_kernel_smallILi25E19rocblas_complex_numIdEPS3_EEvT1_iilPiilS6_bb.uses_vcc, 1
	.set _ZN9rocsolver6v33100L18getri_kernel_smallILi25E19rocblas_complex_numIdEPS3_EEvT1_iilPiilS6_bb.uses_flat_scratch, 0
	.set _ZN9rocsolver6v33100L18getri_kernel_smallILi25E19rocblas_complex_numIdEPS3_EEvT1_iilPiilS6_bb.has_dyn_sized_stack, 0
	.set _ZN9rocsolver6v33100L18getri_kernel_smallILi25E19rocblas_complex_numIdEPS3_EEvT1_iilPiilS6_bb.has_recursion, 0
	.set _ZN9rocsolver6v33100L18getri_kernel_smallILi25E19rocblas_complex_numIdEPS3_EEvT1_iilPiilS6_bb.has_indirect_call, 0
	.section	.AMDGPU.csdata,"",@progbits
; Kernel info:
; codeLenInByte = 52612
; TotalNumSgprs: 50
; NumVgprs: 143
; ScratchSize: 432
; MemoryBound: 0
; FloatMode: 240
; IeeeMode: 1
; LDSByteSize: 808 bytes/workgroup (compile time only)
; SGPRBlocks: 0
; VGPRBlocks: 17
; NumSGPRsForWavesPerEU: 50
; NumVGPRsForWavesPerEU: 143
; Occupancy: 7
; WaveLimiterHint : 1
; COMPUTE_PGM_RSRC2:SCRATCH_EN: 1
; COMPUTE_PGM_RSRC2:USER_SGPR: 6
; COMPUTE_PGM_RSRC2:TRAP_HANDLER: 0
; COMPUTE_PGM_RSRC2:TGID_X_EN: 1
; COMPUTE_PGM_RSRC2:TGID_Y_EN: 0
; COMPUTE_PGM_RSRC2:TGID_Z_EN: 0
; COMPUTE_PGM_RSRC2:TIDIG_COMP_CNT: 0
	.section	.text._ZN9rocsolver6v33100L18getri_kernel_smallILi26E19rocblas_complex_numIdEPS3_EEvT1_iilPiilS6_bb,"axG",@progbits,_ZN9rocsolver6v33100L18getri_kernel_smallILi26E19rocblas_complex_numIdEPS3_EEvT1_iilPiilS6_bb,comdat
	.globl	_ZN9rocsolver6v33100L18getri_kernel_smallILi26E19rocblas_complex_numIdEPS3_EEvT1_iilPiilS6_bb ; -- Begin function _ZN9rocsolver6v33100L18getri_kernel_smallILi26E19rocblas_complex_numIdEPS3_EEvT1_iilPiilS6_bb
	.p2align	8
	.type	_ZN9rocsolver6v33100L18getri_kernel_smallILi26E19rocblas_complex_numIdEPS3_EEvT1_iilPiilS6_bb,@function
_ZN9rocsolver6v33100L18getri_kernel_smallILi26E19rocblas_complex_numIdEPS3_EEvT1_iilPiilS6_bb: ; @_ZN9rocsolver6v33100L18getri_kernel_smallILi26E19rocblas_complex_numIdEPS3_EEvT1_iilPiilS6_bb
; %bb.0:
	s_add_u32 s0, s0, s7
	s_addc_u32 s1, s1, 0
	s_mov_b32 s7, exec_lo
	v_cmpx_gt_u32_e32 26, v0
	s_cbranch_execz .LBB25_118
; %bb.1:
	s_clause 0x2
	s_load_dword s7, s[4:5], 0x38
	s_load_dwordx4 s[16:19], s[4:5], 0x10
	s_load_dwordx4 s[8:11], s[4:5], 0x28
                                        ; implicit-def: $sgpr20_sgpr21
	s_waitcnt lgkmcnt(0)
	s_bitcmp1_b32 s7, 8
	s_cselect_b32 s38, -1, 0
	s_bfe_u32 s12, s7, 0x10008
	s_ashr_i32 s7, s6, 31
	s_cmp_eq_u32 s12, 0
	s_cbranch_scc1 .LBB25_3
; %bb.2:
	s_load_dword s12, s[4:5], 0x20
	s_mul_i32 s13, s8, s7
	s_mul_hi_u32 s14, s8, s6
	s_mul_i32 s9, s9, s6
	s_add_i32 s13, s14, s13
	s_mul_i32 s8, s8, s6
	s_add_i32 s9, s13, s9
	s_lshl_b64 s[8:9], s[8:9], 2
	s_waitcnt lgkmcnt(0)
	s_ashr_i32 s13, s12, 31
	s_add_u32 s14, s18, s8
	s_addc_u32 s15, s19, s9
	s_lshl_b64 s[8:9], s[12:13], 2
	s_add_u32 s20, s14, s8
	s_addc_u32 s21, s15, s9
.LBB25_3:
	s_clause 0x1
	s_load_dwordx4 s[12:15], s[4:5], 0x0
	s_load_dword s39, s[4:5], 0x38
	s_mul_i32 s4, s16, s7
	s_mul_hi_u32 s5, s16, s6
	s_mul_i32 s8, s17, s6
	s_add_i32 s5, s5, s4
	s_mul_i32 s4, s16, s6
	s_add_i32 s5, s5, s8
	v_lshlrev_b32_e32 v63, 4, v0
	s_lshl_b64 s[4:5], s[4:5], 4
	s_movk_i32 s16, 0xa0
	s_movk_i32 s17, 0xb0
	;; [unrolled: 1-line block ×10, first 2 shown]
	s_waitcnt lgkmcnt(0)
	v_add3_u32 v9, s15, s15, v0
	s_ashr_i32 s9, s14, 31
	s_mov_b32 s8, s14
	s_add_u32 s12, s12, s4
	s_addc_u32 s13, s13, s5
	v_add_nc_u32_e32 v11, s15, v9
	s_lshl_b64 s[4:5], s[8:9], 4
	v_ashrrev_i32_e32 v10, 31, v9
	s_add_u32 s4, s12, s4
	s_addc_u32 s5, s13, s5
	v_add_co_u32 v5, s12, s4, v63
	v_ashrrev_i32_e32 v12, 31, v11
	s_mov_b32 s8, s15
	s_ashr_i32 s9, s15, 31
	v_lshlrev_b64 v[9:10], 4, v[9:10]
	v_add_co_ci_u32_e64 v6, null, s5, 0, s12
	s_lshl_b64 s[8:9], s[8:9], 4
	v_lshlrev_b64 v[13:14], 4, v[11:12]
	v_add_co_u32 v7, vcc_lo, v5, s8
	v_add_co_ci_u32_e64 v8, null, s9, v6, vcc_lo
	v_add_nc_u32_e32 v15, s15, v11
	v_add_co_u32 v11, vcc_lo, s4, v9
	s_clause 0x1
	global_load_dwordx4 v[1:4], v63, s[4:5]
	global_load_dwordx4 v[53:56], v[7:8], off
	v_add_co_ci_u32_e64 v12, null, s5, v10, vcc_lo
	v_add_co_u32 v9, vcc_lo, s4, v13
	v_add_co_ci_u32_e64 v10, null, s5, v14, vcc_lo
	global_load_dwordx4 v[57:60], v[11:12], off
	v_ashrrev_i32_e32 v16, 31, v15
	s_movk_i32 s12, 0x60
	global_load_dwordx4 v[64:67], v[9:10], off
	s_movk_i32 s13, 0x70
	s_movk_i32 s14, 0x80
	v_lshlrev_b64 v[13:14], 4, v[15:16]
	v_add_nc_u32_e32 v15, s15, v15
	s_movk_i32 s28, 0x140
	s_movk_i32 s29, 0x150
	;; [unrolled: 1-line block ×4, first 2 shown]
	v_add_co_u32 v13, vcc_lo, s4, v13
	v_add_co_ci_u32_e64 v14, null, s5, v14, vcc_lo
	v_add_nc_u32_e32 v17, s15, v15
	v_ashrrev_i32_e32 v16, 31, v15
	s_movk_i32 s33, 0x180
	global_load_dwordx4 v[68:71], v[13:14], off
	s_movk_i32 s34, 0x190
	v_add_nc_u32_e32 v19, s15, v17
	v_ashrrev_i32_e32 v18, 31, v17
	v_lshlrev_b64 v[15:16], 4, v[15:16]
	s_add_i32 s12, s12, 16
	s_add_i32 s13, s13, 16
	v_add_nc_u32_e32 v21, s15, v19
	v_ashrrev_i32_e32 v20, 31, v19
	v_lshlrev_b64 v[17:18], 4, v[17:18]
	v_add_co_u32 v15, vcc_lo, s4, v15
	v_add_nc_u32_e32 v23, s15, v21
	v_ashrrev_i32_e32 v22, 31, v21
	v_lshlrev_b64 v[19:20], 4, v[19:20]
	v_add_co_ci_u32_e64 v16, null, s5, v16, vcc_lo
	v_add_nc_u32_e32 v25, s15, v23
	v_ashrrev_i32_e32 v24, 31, v23
	v_lshlrev_b64 v[21:22], 4, v[21:22]
	v_add_co_u32 v17, vcc_lo, s4, v17
	v_add_nc_u32_e32 v27, s15, v25
	v_ashrrev_i32_e32 v26, 31, v25
	v_lshlrev_b64 v[23:24], 4, v[23:24]
	v_add_co_ci_u32_e64 v18, null, s5, v18, vcc_lo
	v_add_nc_u32_e32 v29, s15, v27
	v_ashrrev_i32_e32 v28, 31, v27
	v_add_co_u32 v19, vcc_lo, s4, v19
	v_lshlrev_b64 v[25:26], 4, v[25:26]
	v_add_nc_u32_e32 v31, s15, v29
	v_ashrrev_i32_e32 v30, 31, v29
	v_add_co_ci_u32_e64 v20, null, s5, v20, vcc_lo
	v_add_co_u32 v21, vcc_lo, s4, v21
	v_add_nc_u32_e32 v33, s15, v31
	v_ashrrev_i32_e32 v32, 31, v31
	v_lshlrev_b64 v[27:28], 4, v[27:28]
	v_add_co_ci_u32_e64 v22, null, s5, v22, vcc_lo
	v_add_nc_u32_e32 v35, s15, v33
	v_ashrrev_i32_e32 v34, 31, v33
	v_add_co_u32 v23, vcc_lo, s4, v23
	v_lshlrev_b64 v[29:30], 4, v[29:30]
	v_add_nc_u32_e32 v37, s15, v35
	v_ashrrev_i32_e32 v36, 31, v35
	v_add_co_ci_u32_e64 v24, null, s5, v24, vcc_lo
	v_add_co_u32 v25, vcc_lo, s4, v25
	v_add_nc_u32_e32 v39, s15, v37
	v_lshlrev_b64 v[31:32], 4, v[31:32]
	v_ashrrev_i32_e32 v38, 31, v37
	v_add_co_ci_u32_e64 v26, null, s5, v26, vcc_lo
	v_add_nc_u32_e32 v41, s15, v39
	v_add_co_u32 v27, vcc_lo, s4, v27
	v_lshlrev_b64 v[33:34], 4, v[33:34]
	v_ashrrev_i32_e32 v40, 31, v39
	v_add_nc_u32_e32 v43, s15, v41
	v_add_co_ci_u32_e64 v28, null, s5, v28, vcc_lo
	v_add_co_u32 v29, vcc_lo, s4, v29
	v_add_nc_u32_e32 v45, s15, v43
	v_lshlrev_b64 v[35:36], 4, v[35:36]
	v_ashrrev_i32_e32 v42, 31, v41
	v_add_co_ci_u32_e64 v30, null, s5, v30, vcc_lo
	v_add_nc_u32_e32 v47, s15, v45
	v_add_co_u32 v31, vcc_lo, s4, v31
	v_lshlrev_b64 v[37:38], 4, v[37:38]
	v_ashrrev_i32_e32 v44, 31, v43
	v_add_nc_u32_e32 v49, s15, v47
	v_add_co_ci_u32_e64 v32, null, s5, v32, vcc_lo
	v_add_co_u32 v33, vcc_lo, s4, v33
	v_add_nc_u32_e32 v51, s15, v49
	v_lshlrev_b64 v[39:40], 4, v[39:40]
	v_ashrrev_i32_e32 v46, 31, v45
	v_add_co_ci_u32_e64 v34, null, s5, v34, vcc_lo
	v_add_co_u32 v35, vcc_lo, s4, v35
	v_lshlrev_b64 v[41:42], 4, v[41:42]
	v_ashrrev_i32_e32 v48, 31, v47
	v_add_co_ci_u32_e64 v36, null, s5, v36, vcc_lo
	v_add_co_u32 v37, vcc_lo, s4, v37
	v_lshlrev_b64 v[43:44], 4, v[43:44]
	v_add_nc_u32_e32 v61, s15, v51
	v_ashrrev_i32_e32 v50, 31, v49
	v_add_co_ci_u32_e64 v38, null, s5, v38, vcc_lo
	v_add_co_u32 v39, vcc_lo, s4, v39
	v_lshlrev_b64 v[45:46], 4, v[45:46]
	v_ashrrev_i32_e32 v52, 31, v51
	v_add_co_ci_u32_e64 v40, null, s5, v40, vcc_lo
	v_add_co_u32 v41, vcc_lo, s4, v41
	v_lshlrev_b64 v[47:48], 4, v[47:48]
	;; [unrolled: 4-line block ×3, first 2 shown]
	v_add_co_ci_u32_e64 v44, null, s5, v44, vcc_lo
	v_add_co_u32 v45, vcc_lo, s4, v45
	v_lshlrev_b64 v[51:52], 4, v[51:52]
	v_add_co_ci_u32_e64 v46, null, s5, v46, vcc_lo
	v_add_co_u32 v47, vcc_lo, s4, v47
	v_add_nc_u32_e32 v140, s15, v61
	v_lshlrev_b64 v[61:62], 4, v[61:62]
	v_add_co_ci_u32_e64 v48, null, s5, v48, vcc_lo
	v_add_co_u32 v49, vcc_lo, s4, v49
	v_add_co_ci_u32_e64 v50, null, s5, v50, vcc_lo
	v_add_co_u32 v51, vcc_lo, s4, v51
	s_clause 0xf
	global_load_dwordx4 v[72:75], v[15:16], off
	global_load_dwordx4 v[76:79], v[17:18], off
	;; [unrolled: 1-line block ×16, first 2 shown]
	v_add_co_ci_u32_e64 v52, null, s5, v52, vcc_lo
	v_ashrrev_i32_e32 v141, 31, v140
	s_movk_i32 s15, 0x90
	s_add_i32 s14, s14, 16
	s_add_i32 s15, s15, 16
	;; [unrolled: 1-line block ×18, first 2 shown]
	s_mov_b32 s37, 32
	s_mov_b32 s36, 48
	;; [unrolled: 1-line block ×3, first 2 shown]
	s_movk_i32 s8, 0x50
	s_waitcnt vmcnt(20)
	buffer_store_dword v4, off, s[0:3], 0 offset:28
	buffer_store_dword v3, off, s[0:3], 0 offset:24
	;; [unrolled: 1-line block ×4, first 2 shown]
	s_waitcnt vmcnt(19)
	buffer_store_dword v56, off, s[0:3], 0 offset:44
	buffer_store_dword v55, off, s[0:3], 0 offset:40
	;; [unrolled: 1-line block ×4, first 2 shown]
	v_add_co_u32 v53, vcc_lo, s4, v61
	v_add_co_ci_u32_e64 v54, null, s5, v62, vcc_lo
	s_clause 0x1
	global_load_dwordx4 v[1:4], v[47:48], off
	global_load_dwordx4 v[136:139], v[49:50], off
	s_waitcnt vmcnt(20)
	buffer_store_dword v60, off, s[0:3], 0 offset:60
	buffer_store_dword v59, off, s[0:3], 0 offset:56
	;; [unrolled: 1-line block ×4, first 2 shown]
	s_waitcnt vmcnt(19)
	buffer_store_dword v67, off, s[0:3], 0 offset:76
	buffer_store_dword v66, off, s[0:3], 0 offset:72
	;; [unrolled: 1-line block ×4, first 2 shown]
	s_clause 0x1
	global_load_dwordx4 v[57:60], v[51:52], off
	global_load_dwordx4 v[64:67], v[53:54], off
	v_lshlrev_b64 v[55:56], 4, v[140:141]
	s_waitcnt vmcnt(20)
	buffer_store_dword v71, off, s[0:3], 0 offset:92
	buffer_store_dword v70, off, s[0:3], 0 offset:88
	;; [unrolled: 1-line block ×4, first 2 shown]
	v_add_co_u32 v55, vcc_lo, s4, v55
	v_add_co_ci_u32_e64 v56, null, s5, v56, vcc_lo
	s_movk_i32 s4, 0x50
	s_mov_b32 s5, -1
	s_add_i32 s9, s4, 16
	global_load_dwordx4 v[68:71], v[55:56], off
	s_bitcmp0_b32 s39, 0
	s_waitcnt vmcnt(20)
	buffer_store_dword v75, off, s[0:3], 0 offset:108
	buffer_store_dword v74, off, s[0:3], 0 offset:104
	buffer_store_dword v73, off, s[0:3], 0 offset:100
	buffer_store_dword v72, off, s[0:3], 0 offset:96
	s_waitcnt vmcnt(19)
	buffer_store_dword v79, off, s[0:3], 0 offset:124
	buffer_store_dword v78, off, s[0:3], 0 offset:120
	buffer_store_dword v77, off, s[0:3], 0 offset:116
	buffer_store_dword v76, off, s[0:3], 0 offset:112
	;; [unrolled: 5-line block ×21, first 2 shown]
	s_cbranch_scc1 .LBB25_116
; %bb.4:
	v_cmp_eq_u32_e64 s4, 0, v0
	s_and_saveexec_b32 s5, s4
; %bb.5:
	v_mov_b32_e32 v1, 0
	ds_write_b32 v1, v1 offset:832
; %bb.6:
	s_or_b32 exec_lo, exec_lo, s5
	v_lshl_add_u32 v64, v0, 4, 16
	s_waitcnt lgkmcnt(0)
	s_waitcnt_vscnt null, 0x0
	s_barrier
	buffer_gl0_inv
	s_clause 0x3
	buffer_load_dword v1, v64, s[0:3], 0 offen
	buffer_load_dword v2, v64, s[0:3], 0 offen offset:4
	buffer_load_dword v3, v64, s[0:3], 0 offen offset:8
	;; [unrolled: 1-line block ×3, first 2 shown]
	s_waitcnt vmcnt(2)
	v_cmp_eq_f64_e32 vcc_lo, 0, v[1:2]
	s_waitcnt vmcnt(0)
	v_cmp_eq_f64_e64 s5, 0, v[3:4]
	s_and_b32 s5, vcc_lo, s5
	s_and_saveexec_b32 s39, s5
	s_cbranch_execz .LBB25_10
; %bb.7:
	v_mov_b32_e32 v1, 0
	s_mov_b32 s40, 0
	ds_read_b32 v2, v1 offset:832
	s_waitcnt lgkmcnt(0)
	v_readfirstlane_b32 s5, v2
	v_add_nc_u32_e32 v2, 1, v0
	s_cmp_eq_u32 s5, 0
	v_cmp_gt_i32_e32 vcc_lo, s5, v2
	s_cselect_b32 s41, -1, 0
	s_or_b32 s41, s41, vcc_lo
	s_and_b32 exec_lo, exec_lo, s41
	s_cbranch_execz .LBB25_10
; %bb.8:
	v_mov_b32_e32 v3, s5
.LBB25_9:                               ; =>This Inner Loop Header: Depth=1
	ds_cmpst_rtn_b32 v3, v1, v3, v2 offset:832
	s_waitcnt lgkmcnt(0)
	v_cmp_ne_u32_e32 vcc_lo, 0, v3
	v_cmp_le_i32_e64 s5, v3, v2
	s_and_b32 s5, vcc_lo, s5
	s_and_b32 s5, exec_lo, s5
	s_or_b32 s40, s5, s40
	s_andn2_b32 exec_lo, exec_lo, s40
	s_cbranch_execnz .LBB25_9
.LBB25_10:
	s_or_b32 exec_lo, exec_lo, s39
	v_mov_b32_e32 v1, 0
	s_barrier
	buffer_gl0_inv
	ds_read_b32 v2, v1 offset:832
	s_and_saveexec_b32 s5, s4
	s_cbranch_execz .LBB25_12
; %bb.11:
	s_lshl_b64 s[40:41], s[6:7], 2
	s_add_u32 s40, s10, s40
	s_addc_u32 s41, s11, s41
	s_waitcnt lgkmcnt(0)
	global_store_dword v1, v2, s[40:41]
.LBB25_12:
	s_or_b32 exec_lo, exec_lo, s5
	s_waitcnt lgkmcnt(0)
	v_cmp_ne_u32_e32 vcc_lo, 0, v2
	s_mov_b32 s5, 0
	s_cbranch_vccnz .LBB25_116
; %bb.13:
	s_clause 0x3
	buffer_load_dword v59, v64, s[0:3], 0 offen
	buffer_load_dword v60, v64, s[0:3], 0 offen offset:4
	buffer_load_dword v61, v64, s[0:3], 0 offen offset:8
	;; [unrolled: 1-line block ×3, first 2 shown]
                                        ; implicit-def: $vgpr57_vgpr58
                                        ; implicit-def: $vgpr3_vgpr4
	s_waitcnt vmcnt(0)
	v_cmp_ngt_f64_e64 s5, |v[59:60]|, |v[61:62]|
	s_and_saveexec_b32 s39, s5
	s_xor_b32 s5, exec_lo, s39
	s_cbranch_execz .LBB25_15
; %bb.14:
	v_div_scale_f64 v[1:2], null, v[61:62], v[61:62], v[59:60]
	v_div_scale_f64 v[65:66], vcc_lo, v[59:60], v[61:62], v[59:60]
	v_rcp_f64_e32 v[3:4], v[1:2]
	v_fma_f64 v[57:58], -v[1:2], v[3:4], 1.0
	v_fma_f64 v[3:4], v[3:4], v[57:58], v[3:4]
	v_fma_f64 v[57:58], -v[1:2], v[3:4], 1.0
	v_fma_f64 v[3:4], v[3:4], v[57:58], v[3:4]
	v_mul_f64 v[57:58], v[65:66], v[3:4]
	v_fma_f64 v[1:2], -v[1:2], v[57:58], v[65:66]
	v_div_fmas_f64 v[1:2], v[1:2], v[3:4], v[57:58]
	v_div_fixup_f64 v[1:2], v[1:2], v[61:62], v[59:60]
	v_fma_f64 v[3:4], v[59:60], v[1:2], v[61:62]
	v_div_scale_f64 v[57:58], null, v[3:4], v[3:4], 1.0
	v_div_scale_f64 v[65:66], vcc_lo, 1.0, v[3:4], 1.0
	v_rcp_f64_e32 v[59:60], v[57:58]
	v_fma_f64 v[61:62], -v[57:58], v[59:60], 1.0
	v_fma_f64 v[59:60], v[59:60], v[61:62], v[59:60]
	v_fma_f64 v[61:62], -v[57:58], v[59:60], 1.0
	v_fma_f64 v[59:60], v[59:60], v[61:62], v[59:60]
	v_mul_f64 v[61:62], v[65:66], v[59:60]
	v_fma_f64 v[57:58], -v[57:58], v[61:62], v[65:66]
	v_div_fmas_f64 v[57:58], v[57:58], v[59:60], v[61:62]
                                        ; implicit-def: $vgpr59_vgpr60
                                        ; implicit-def: $vgpr61_vgpr62
	v_div_fixup_f64 v[3:4], v[57:58], v[3:4], 1.0
	v_mul_f64 v[57:58], v[1:2], v[3:4]
	v_xor_b32_e32 v4, 0x80000000, v4
	v_xor_b32_e32 v2, 0x80000000, v58
	v_mov_b32_e32 v1, v57
.LBB25_15:
	s_andn2_saveexec_b32 s5, s5
	s_cbranch_execz .LBB25_17
; %bb.16:
	v_div_scale_f64 v[1:2], null, v[59:60], v[59:60], v[61:62]
	v_div_scale_f64 v[65:66], vcc_lo, v[61:62], v[59:60], v[61:62]
	v_rcp_f64_e32 v[3:4], v[1:2]
	v_fma_f64 v[57:58], -v[1:2], v[3:4], 1.0
	v_fma_f64 v[3:4], v[3:4], v[57:58], v[3:4]
	v_fma_f64 v[57:58], -v[1:2], v[3:4], 1.0
	v_fma_f64 v[3:4], v[3:4], v[57:58], v[3:4]
	v_mul_f64 v[57:58], v[65:66], v[3:4]
	v_fma_f64 v[1:2], -v[1:2], v[57:58], v[65:66]
	v_div_fmas_f64 v[1:2], v[1:2], v[3:4], v[57:58]
	v_div_fixup_f64 v[1:2], v[1:2], v[59:60], v[61:62]
	v_fma_f64 v[3:4], v[61:62], v[1:2], v[59:60]
	v_div_scale_f64 v[57:58], null, v[3:4], v[3:4], 1.0
	v_rcp_f64_e32 v[59:60], v[57:58]
	v_fma_f64 v[61:62], -v[57:58], v[59:60], 1.0
	v_fma_f64 v[59:60], v[59:60], v[61:62], v[59:60]
	v_fma_f64 v[61:62], -v[57:58], v[59:60], 1.0
	v_fma_f64 v[59:60], v[59:60], v[61:62], v[59:60]
	v_div_scale_f64 v[61:62], vcc_lo, 1.0, v[3:4], 1.0
	v_mul_f64 v[65:66], v[61:62], v[59:60]
	v_fma_f64 v[57:58], -v[57:58], v[65:66], v[61:62]
	v_div_fmas_f64 v[57:58], v[57:58], v[59:60], v[65:66]
	v_div_fixup_f64 v[57:58], v[57:58], v[3:4], 1.0
	v_mul_f64 v[3:4], v[1:2], -v[57:58]
	v_xor_b32_e32 v2, 0x80000000, v58
	v_mov_b32_e32 v1, v57
.LBB25_17:
	s_or_b32 exec_lo, exec_lo, s5
	v_mov_b32_e32 v62, s37
	buffer_store_dword v58, v64, s[0:3], 0 offen offset:4
	buffer_store_dword v57, v64, s[0:3], 0 offen
	buffer_store_dword v4, v64, s[0:3], 0 offen offset:12
	buffer_store_dword v3, v64, s[0:3], 0 offen offset:8
	v_xor_b32_e32 v4, 0x80000000, v4
	v_add_nc_u32_e32 v57, 0x1a0, v63
	s_clause 0x3
	buffer_load_dword v61, v62, s[0:3], 0 offen offset:12
	buffer_load_dword v60, v62, s[0:3], 0 offen offset:8
	;; [unrolled: 1-line block ×3, first 2 shown]
	buffer_load_dword v58, v62, s[0:3], 0 offen
	ds_write_b128 v63, v[1:4]
	s_waitcnt vmcnt(0)
	ds_write_b128 v63, v[58:61] offset:416
	s_waitcnt lgkmcnt(0)
	s_waitcnt_vscnt null, 0x0
	s_barrier
	buffer_gl0_inv
	s_and_saveexec_b32 s5, s4
	s_cbranch_execz .LBB25_19
; %bb.18:
	s_clause 0x3
	buffer_load_dword v65, v64, s[0:3], 0 offen offset:8
	buffer_load_dword v66, v64, s[0:3], 0 offen offset:12
	buffer_load_dword v67, v64, s[0:3], 0 offen
	buffer_load_dword v68, v64, s[0:3], 0 offen offset:4
	ds_read_b128 v[1:4], v57
	v_mov_b32_e32 v58, 0
	ds_read_b128 v[58:61], v58 offset:16
	s_waitcnt vmcnt(2) lgkmcnt(1)
	v_mul_f64 v[69:70], v[1:2], v[65:66]
	v_mul_f64 v[65:66], v[3:4], v[65:66]
	s_waitcnt vmcnt(0)
	v_fma_f64 v[3:4], v[3:4], v[67:68], v[69:70]
	v_fma_f64 v[1:2], v[1:2], v[67:68], -v[65:66]
	v_add_f64 v[3:4], v[3:4], 0
	v_add_f64 v[1:2], v[1:2], 0
	s_waitcnt lgkmcnt(0)
	v_mul_f64 v[65:66], v[3:4], v[60:61]
	v_mul_f64 v[60:61], v[1:2], v[60:61]
	v_fma_f64 v[1:2], v[1:2], v[58:59], -v[65:66]
	v_fma_f64 v[3:4], v[3:4], v[58:59], v[60:61]
	buffer_store_dword v1, off, s[0:3], 0 offset:32
	buffer_store_dword v2, off, s[0:3], 0 offset:36
	;; [unrolled: 1-line block ×4, first 2 shown]
.LBB25_19:
	s_or_b32 exec_lo, exec_lo, s5
	v_mov_b32_e32 v4, s36
	s_waitcnt_vscnt null, 0x0
	s_barrier
	buffer_gl0_inv
	s_mov_b32 s5, exec_lo
	s_clause 0x3
	buffer_load_dword v1, v4, s[0:3], 0 offen
	buffer_load_dword v2, v4, s[0:3], 0 offen offset:4
	buffer_load_dword v3, v4, s[0:3], 0 offen offset:8
	buffer_load_dword v4, v4, s[0:3], 0 offen offset:12
	s_waitcnt vmcnt(0)
	ds_write_b128 v57, v[1:4]
	s_waitcnt lgkmcnt(0)
	s_barrier
	buffer_gl0_inv
	v_cmpx_gt_u32_e32 2, v0
	s_cbranch_execz .LBB25_23
; %bb.20:
	s_clause 0x3
	buffer_load_dword v58, v64, s[0:3], 0 offen offset:8
	buffer_load_dword v59, v64, s[0:3], 0 offen offset:12
	buffer_load_dword v60, v64, s[0:3], 0 offen
	buffer_load_dword v61, v64, s[0:3], 0 offen offset:4
	ds_read_b128 v[1:4], v57
	s_waitcnt vmcnt(2) lgkmcnt(0)
	v_mul_f64 v[64:65], v[3:4], v[58:59]
	v_mul_f64 v[58:59], v[1:2], v[58:59]
	s_waitcnt vmcnt(0)
	v_fma_f64 v[1:2], v[1:2], v[60:61], -v[64:65]
	v_fma_f64 v[3:4], v[3:4], v[60:61], v[58:59]
	v_add_f64 v[1:2], v[1:2], 0
	v_add_f64 v[3:4], v[3:4], 0
	s_and_saveexec_b32 s39, s4
	s_cbranch_execz .LBB25_22
; %bb.21:
	s_clause 0x3
	buffer_load_dword v64, off, s[0:3], 0 offset:40
	buffer_load_dword v65, off, s[0:3], 0 offset:44
	;; [unrolled: 1-line block ×4, first 2 shown]
	v_mov_b32_e32 v58, 0
	ds_read_b128 v[58:61], v58 offset:432
	s_waitcnt vmcnt(2) lgkmcnt(0)
	v_mul_f64 v[68:69], v[58:59], v[64:65]
	v_mul_f64 v[64:65], v[60:61], v[64:65]
	s_waitcnt vmcnt(0)
	v_fma_f64 v[60:61], v[60:61], v[66:67], v[68:69]
	v_fma_f64 v[58:59], v[58:59], v[66:67], -v[64:65]
	v_add_f64 v[3:4], v[3:4], v[60:61]
	v_add_f64 v[1:2], v[1:2], v[58:59]
.LBB25_22:
	s_or_b32 exec_lo, exec_lo, s39
	v_mov_b32_e32 v58, 0
	ds_read_b128 v[58:61], v58 offset:32
	s_waitcnt lgkmcnt(0)
	v_mul_f64 v[64:65], v[3:4], v[60:61]
	v_mul_f64 v[60:61], v[1:2], v[60:61]
	v_fma_f64 v[1:2], v[1:2], v[58:59], -v[64:65]
	v_fma_f64 v[3:4], v[3:4], v[58:59], v[60:61]
	buffer_store_dword v2, off, s[0:3], 0 offset:52
	buffer_store_dword v1, off, s[0:3], 0 offset:48
	;; [unrolled: 1-line block ×4, first 2 shown]
.LBB25_23:
	s_or_b32 exec_lo, exec_lo, s5
	v_mov_b32_e32 v4, s35
	s_waitcnt_vscnt null, 0x0
	s_barrier
	buffer_gl0_inv
	v_add_nc_u32_e32 v58, -1, v0
	s_clause 0x3
	buffer_load_dword v1, v4, s[0:3], 0 offen
	buffer_load_dword v2, v4, s[0:3], 0 offen offset:4
	buffer_load_dword v3, v4, s[0:3], 0 offen offset:8
	;; [unrolled: 1-line block ×3, first 2 shown]
	s_mov_b32 s4, exec_lo
	s_waitcnt vmcnt(0)
	ds_write_b128 v57, v[1:4]
	s_waitcnt lgkmcnt(0)
	s_barrier
	buffer_gl0_inv
	v_cmpx_gt_u32_e32 3, v0
	s_cbranch_execz .LBB25_27
; %bb.24:
	v_mov_b32_e32 v1, 0
	v_mov_b32_e32 v3, 0
	v_add_nc_u32_e32 v59, -1, v0
	v_add_nc_u32_e32 v60, 0x1a0, v63
	v_mov_b32_e32 v2, 0
	v_mov_b32_e32 v4, 0
	v_add_nc_u32_e32 v61, 16, v63
	s_mov_b32 s5, 0
	.p2align	6
.LBB25_25:                              ; =>This Inner Loop Header: Depth=1
	s_clause 0x3
	buffer_load_dword v68, v61, s[0:3], 0 offen offset:8
	buffer_load_dword v69, v61, s[0:3], 0 offen offset:12
	buffer_load_dword v70, v61, s[0:3], 0 offen
	buffer_load_dword v71, v61, s[0:3], 0 offen offset:4
	ds_read_b128 v[64:67], v60
	v_add_nc_u32_e32 v59, 1, v59
	v_add_nc_u32_e32 v60, 16, v60
	;; [unrolled: 1-line block ×3, first 2 shown]
	v_cmp_lt_u32_e32 vcc_lo, 1, v59
	s_or_b32 s5, vcc_lo, s5
	s_waitcnt vmcnt(2) lgkmcnt(0)
	v_mul_f64 v[72:73], v[66:67], v[68:69]
	v_mul_f64 v[68:69], v[64:65], v[68:69]
	s_waitcnt vmcnt(0)
	v_fma_f64 v[64:65], v[64:65], v[70:71], -v[72:73]
	v_fma_f64 v[66:67], v[66:67], v[70:71], v[68:69]
	v_add_f64 v[3:4], v[3:4], v[64:65]
	v_add_f64 v[1:2], v[1:2], v[66:67]
	s_andn2_b32 exec_lo, exec_lo, s5
	s_cbranch_execnz .LBB25_25
; %bb.26:
	s_or_b32 exec_lo, exec_lo, s5
	v_mov_b32_e32 v59, 0
	ds_read_b128 v[59:62], v59 offset:48
	s_waitcnt lgkmcnt(0)
	v_mul_f64 v[64:65], v[1:2], v[61:62]
	v_mul_f64 v[61:62], v[3:4], v[61:62]
	v_fma_f64 v[3:4], v[3:4], v[59:60], -v[64:65]
	v_fma_f64 v[1:2], v[1:2], v[59:60], v[61:62]
	buffer_store_dword v4, off, s[0:3], 0 offset:68
	buffer_store_dword v3, off, s[0:3], 0 offset:64
	;; [unrolled: 1-line block ×4, first 2 shown]
.LBB25_27:
	s_or_b32 exec_lo, exec_lo, s4
	v_mov_b32_e32 v4, s8
	s_waitcnt_vscnt null, 0x0
	s_barrier
	buffer_gl0_inv
	s_mov_b32 s4, exec_lo
	s_clause 0x3
	buffer_load_dword v1, v4, s[0:3], 0 offen
	buffer_load_dword v2, v4, s[0:3], 0 offen offset:4
	buffer_load_dword v3, v4, s[0:3], 0 offen offset:8
	;; [unrolled: 1-line block ×3, first 2 shown]
	s_waitcnt vmcnt(0)
	ds_write_b128 v57, v[1:4]
	s_waitcnt lgkmcnt(0)
	s_barrier
	buffer_gl0_inv
	v_cmpx_gt_u32_e32 4, v0
	s_cbranch_execz .LBB25_31
; %bb.28:
	v_mov_b32_e32 v1, 0
	v_mov_b32_e32 v3, 0
	v_add_nc_u32_e32 v59, -1, v0
	v_add_nc_u32_e32 v60, 0x1a0, v63
	v_mov_b32_e32 v2, 0
	v_mov_b32_e32 v4, 0
	v_add_nc_u32_e32 v61, 16, v63
	s_mov_b32 s5, 0
	.p2align	6
.LBB25_29:                              ; =>This Inner Loop Header: Depth=1
	s_clause 0x3
	buffer_load_dword v68, v61, s[0:3], 0 offen offset:8
	buffer_load_dword v69, v61, s[0:3], 0 offen offset:12
	buffer_load_dword v70, v61, s[0:3], 0 offen
	buffer_load_dword v71, v61, s[0:3], 0 offen offset:4
	ds_read_b128 v[64:67], v60
	v_add_nc_u32_e32 v59, 1, v59
	v_add_nc_u32_e32 v60, 16, v60
	;; [unrolled: 1-line block ×3, first 2 shown]
	v_cmp_lt_u32_e32 vcc_lo, 2, v59
	s_or_b32 s5, vcc_lo, s5
	s_waitcnt vmcnt(2) lgkmcnt(0)
	v_mul_f64 v[72:73], v[66:67], v[68:69]
	v_mul_f64 v[68:69], v[64:65], v[68:69]
	s_waitcnt vmcnt(0)
	v_fma_f64 v[64:65], v[64:65], v[70:71], -v[72:73]
	v_fma_f64 v[66:67], v[66:67], v[70:71], v[68:69]
	v_add_f64 v[3:4], v[3:4], v[64:65]
	v_add_f64 v[1:2], v[1:2], v[66:67]
	s_andn2_b32 exec_lo, exec_lo, s5
	s_cbranch_execnz .LBB25_29
; %bb.30:
	s_or_b32 exec_lo, exec_lo, s5
	v_mov_b32_e32 v59, 0
	ds_read_b128 v[59:62], v59 offset:64
	s_waitcnt lgkmcnt(0)
	v_mul_f64 v[64:65], v[1:2], v[61:62]
	v_mul_f64 v[61:62], v[3:4], v[61:62]
	v_fma_f64 v[3:4], v[3:4], v[59:60], -v[64:65]
	v_fma_f64 v[1:2], v[1:2], v[59:60], v[61:62]
	buffer_store_dword v4, off, s[0:3], 0 offset:84
	buffer_store_dword v3, off, s[0:3], 0 offset:80
	;; [unrolled: 1-line block ×4, first 2 shown]
.LBB25_31:
	s_or_b32 exec_lo, exec_lo, s4
	v_mov_b32_e32 v4, s9
	s_waitcnt_vscnt null, 0x0
	s_barrier
	buffer_gl0_inv
	s_mov_b32 s4, exec_lo
	s_clause 0x3
	buffer_load_dword v1, v4, s[0:3], 0 offen
	buffer_load_dword v2, v4, s[0:3], 0 offen offset:4
	buffer_load_dword v3, v4, s[0:3], 0 offen offset:8
	;; [unrolled: 1-line block ×3, first 2 shown]
	s_waitcnt vmcnt(0)
	ds_write_b128 v57, v[1:4]
	s_waitcnt lgkmcnt(0)
	s_barrier
	buffer_gl0_inv
	v_cmpx_gt_u32_e32 5, v0
	s_cbranch_execz .LBB25_35
; %bb.32:
	v_mov_b32_e32 v1, 0
	v_mov_b32_e32 v3, 0
	v_add_nc_u32_e32 v59, -1, v0
	v_add_nc_u32_e32 v60, 0x1a0, v63
	v_mov_b32_e32 v2, 0
	v_mov_b32_e32 v4, 0
	v_add_nc_u32_e32 v61, 16, v63
	s_mov_b32 s5, 0
	.p2align	6
.LBB25_33:                              ; =>This Inner Loop Header: Depth=1
	s_clause 0x3
	buffer_load_dword v68, v61, s[0:3], 0 offen offset:8
	buffer_load_dword v69, v61, s[0:3], 0 offen offset:12
	buffer_load_dword v70, v61, s[0:3], 0 offen
	buffer_load_dword v71, v61, s[0:3], 0 offen offset:4
	ds_read_b128 v[64:67], v60
	v_add_nc_u32_e32 v59, 1, v59
	v_add_nc_u32_e32 v60, 16, v60
	;; [unrolled: 1-line block ×3, first 2 shown]
	v_cmp_lt_u32_e32 vcc_lo, 3, v59
	s_or_b32 s5, vcc_lo, s5
	s_waitcnt vmcnt(2) lgkmcnt(0)
	v_mul_f64 v[72:73], v[66:67], v[68:69]
	v_mul_f64 v[68:69], v[64:65], v[68:69]
	s_waitcnt vmcnt(0)
	v_fma_f64 v[64:65], v[64:65], v[70:71], -v[72:73]
	v_fma_f64 v[66:67], v[66:67], v[70:71], v[68:69]
	v_add_f64 v[3:4], v[3:4], v[64:65]
	v_add_f64 v[1:2], v[1:2], v[66:67]
	s_andn2_b32 exec_lo, exec_lo, s5
	s_cbranch_execnz .LBB25_33
; %bb.34:
	s_or_b32 exec_lo, exec_lo, s5
	v_mov_b32_e32 v59, 0
	ds_read_b128 v[59:62], v59 offset:80
	s_waitcnt lgkmcnt(0)
	v_mul_f64 v[64:65], v[1:2], v[61:62]
	v_mul_f64 v[61:62], v[3:4], v[61:62]
	v_fma_f64 v[3:4], v[3:4], v[59:60], -v[64:65]
	v_fma_f64 v[1:2], v[1:2], v[59:60], v[61:62]
	buffer_store_dword v4, off, s[0:3], 0 offset:100
	buffer_store_dword v3, off, s[0:3], 0 offset:96
	;; [unrolled: 1-line block ×4, first 2 shown]
.LBB25_35:
	s_or_b32 exec_lo, exec_lo, s4
	v_mov_b32_e32 v4, s12
	s_waitcnt_vscnt null, 0x0
	s_barrier
	buffer_gl0_inv
	s_mov_b32 s4, exec_lo
	s_clause 0x3
	buffer_load_dword v1, v4, s[0:3], 0 offen
	buffer_load_dword v2, v4, s[0:3], 0 offen offset:4
	buffer_load_dword v3, v4, s[0:3], 0 offen offset:8
	;; [unrolled: 1-line block ×3, first 2 shown]
	s_waitcnt vmcnt(0)
	ds_write_b128 v57, v[1:4]
	s_waitcnt lgkmcnt(0)
	s_barrier
	buffer_gl0_inv
	v_cmpx_gt_u32_e32 6, v0
	s_cbranch_execz .LBB25_39
; %bb.36:
	v_mov_b32_e32 v1, 0
	v_mov_b32_e32 v3, 0
	v_add_nc_u32_e32 v59, -1, v0
	v_add_nc_u32_e32 v60, 0x1a0, v63
	v_mov_b32_e32 v2, 0
	v_mov_b32_e32 v4, 0
	v_add_nc_u32_e32 v61, 16, v63
	s_mov_b32 s5, 0
	.p2align	6
.LBB25_37:                              ; =>This Inner Loop Header: Depth=1
	s_clause 0x3
	buffer_load_dword v68, v61, s[0:3], 0 offen offset:8
	buffer_load_dword v69, v61, s[0:3], 0 offen offset:12
	buffer_load_dword v70, v61, s[0:3], 0 offen
	buffer_load_dword v71, v61, s[0:3], 0 offen offset:4
	ds_read_b128 v[64:67], v60
	v_add_nc_u32_e32 v59, 1, v59
	v_add_nc_u32_e32 v60, 16, v60
	;; [unrolled: 1-line block ×3, first 2 shown]
	v_cmp_lt_u32_e32 vcc_lo, 4, v59
	s_or_b32 s5, vcc_lo, s5
	s_waitcnt vmcnt(2) lgkmcnt(0)
	v_mul_f64 v[72:73], v[66:67], v[68:69]
	v_mul_f64 v[68:69], v[64:65], v[68:69]
	s_waitcnt vmcnt(0)
	v_fma_f64 v[64:65], v[64:65], v[70:71], -v[72:73]
	v_fma_f64 v[66:67], v[66:67], v[70:71], v[68:69]
	v_add_f64 v[3:4], v[3:4], v[64:65]
	v_add_f64 v[1:2], v[1:2], v[66:67]
	s_andn2_b32 exec_lo, exec_lo, s5
	s_cbranch_execnz .LBB25_37
; %bb.38:
	s_or_b32 exec_lo, exec_lo, s5
	v_mov_b32_e32 v59, 0
	ds_read_b128 v[59:62], v59 offset:96
	s_waitcnt lgkmcnt(0)
	v_mul_f64 v[64:65], v[1:2], v[61:62]
	v_mul_f64 v[61:62], v[3:4], v[61:62]
	v_fma_f64 v[3:4], v[3:4], v[59:60], -v[64:65]
	v_fma_f64 v[1:2], v[1:2], v[59:60], v[61:62]
	buffer_store_dword v4, off, s[0:3], 0 offset:116
	buffer_store_dword v3, off, s[0:3], 0 offset:112
	;; [unrolled: 1-line block ×4, first 2 shown]
.LBB25_39:
	s_or_b32 exec_lo, exec_lo, s4
	v_mov_b32_e32 v4, s13
	s_waitcnt_vscnt null, 0x0
	s_barrier
	buffer_gl0_inv
	s_mov_b32 s4, exec_lo
	s_clause 0x3
	buffer_load_dword v1, v4, s[0:3], 0 offen
	buffer_load_dword v2, v4, s[0:3], 0 offen offset:4
	buffer_load_dword v3, v4, s[0:3], 0 offen offset:8
	;; [unrolled: 1-line block ×3, first 2 shown]
	s_waitcnt vmcnt(0)
	ds_write_b128 v57, v[1:4]
	s_waitcnt lgkmcnt(0)
	s_barrier
	buffer_gl0_inv
	v_cmpx_gt_u32_e32 7, v0
	s_cbranch_execz .LBB25_43
; %bb.40:
	v_mov_b32_e32 v1, 0
	v_mov_b32_e32 v3, 0
	v_add_nc_u32_e32 v59, -1, v0
	v_add_nc_u32_e32 v60, 0x1a0, v63
	v_mov_b32_e32 v2, 0
	v_mov_b32_e32 v4, 0
	v_add_nc_u32_e32 v61, 16, v63
	s_mov_b32 s5, 0
	.p2align	6
.LBB25_41:                              ; =>This Inner Loop Header: Depth=1
	s_clause 0x3
	buffer_load_dword v68, v61, s[0:3], 0 offen offset:8
	buffer_load_dword v69, v61, s[0:3], 0 offen offset:12
	buffer_load_dword v70, v61, s[0:3], 0 offen
	buffer_load_dword v71, v61, s[0:3], 0 offen offset:4
	ds_read_b128 v[64:67], v60
	v_add_nc_u32_e32 v59, 1, v59
	v_add_nc_u32_e32 v60, 16, v60
	;; [unrolled: 1-line block ×3, first 2 shown]
	v_cmp_lt_u32_e32 vcc_lo, 5, v59
	s_or_b32 s5, vcc_lo, s5
	s_waitcnt vmcnt(2) lgkmcnt(0)
	v_mul_f64 v[72:73], v[66:67], v[68:69]
	v_mul_f64 v[68:69], v[64:65], v[68:69]
	s_waitcnt vmcnt(0)
	v_fma_f64 v[64:65], v[64:65], v[70:71], -v[72:73]
	v_fma_f64 v[66:67], v[66:67], v[70:71], v[68:69]
	v_add_f64 v[3:4], v[3:4], v[64:65]
	v_add_f64 v[1:2], v[1:2], v[66:67]
	s_andn2_b32 exec_lo, exec_lo, s5
	s_cbranch_execnz .LBB25_41
; %bb.42:
	s_or_b32 exec_lo, exec_lo, s5
	v_mov_b32_e32 v59, 0
	ds_read_b128 v[59:62], v59 offset:112
	s_waitcnt lgkmcnt(0)
	v_mul_f64 v[64:65], v[1:2], v[61:62]
	v_mul_f64 v[61:62], v[3:4], v[61:62]
	v_fma_f64 v[3:4], v[3:4], v[59:60], -v[64:65]
	v_fma_f64 v[1:2], v[1:2], v[59:60], v[61:62]
	buffer_store_dword v4, off, s[0:3], 0 offset:132
	buffer_store_dword v3, off, s[0:3], 0 offset:128
	;; [unrolled: 1-line block ×4, first 2 shown]
.LBB25_43:
	s_or_b32 exec_lo, exec_lo, s4
	v_mov_b32_e32 v4, s14
	s_waitcnt_vscnt null, 0x0
	s_barrier
	buffer_gl0_inv
	s_mov_b32 s4, exec_lo
	s_clause 0x3
	buffer_load_dword v1, v4, s[0:3], 0 offen
	buffer_load_dword v2, v4, s[0:3], 0 offen offset:4
	buffer_load_dword v3, v4, s[0:3], 0 offen offset:8
	;; [unrolled: 1-line block ×3, first 2 shown]
	s_waitcnt vmcnt(0)
	ds_write_b128 v57, v[1:4]
	s_waitcnt lgkmcnt(0)
	s_barrier
	buffer_gl0_inv
	v_cmpx_gt_u32_e32 8, v0
	s_cbranch_execz .LBB25_47
; %bb.44:
	v_mov_b32_e32 v1, 0
	v_mov_b32_e32 v3, 0
	v_add_nc_u32_e32 v59, -1, v0
	v_add_nc_u32_e32 v60, 0x1a0, v63
	v_mov_b32_e32 v2, 0
	v_mov_b32_e32 v4, 0
	v_add_nc_u32_e32 v61, 16, v63
	s_mov_b32 s5, 0
	.p2align	6
.LBB25_45:                              ; =>This Inner Loop Header: Depth=1
	s_clause 0x3
	buffer_load_dword v68, v61, s[0:3], 0 offen offset:8
	buffer_load_dword v69, v61, s[0:3], 0 offen offset:12
	buffer_load_dword v70, v61, s[0:3], 0 offen
	buffer_load_dword v71, v61, s[0:3], 0 offen offset:4
	ds_read_b128 v[64:67], v60
	v_add_nc_u32_e32 v59, 1, v59
	v_add_nc_u32_e32 v60, 16, v60
	;; [unrolled: 1-line block ×3, first 2 shown]
	v_cmp_lt_u32_e32 vcc_lo, 6, v59
	s_or_b32 s5, vcc_lo, s5
	s_waitcnt vmcnt(2) lgkmcnt(0)
	v_mul_f64 v[72:73], v[66:67], v[68:69]
	v_mul_f64 v[68:69], v[64:65], v[68:69]
	s_waitcnt vmcnt(0)
	v_fma_f64 v[64:65], v[64:65], v[70:71], -v[72:73]
	v_fma_f64 v[66:67], v[66:67], v[70:71], v[68:69]
	v_add_f64 v[3:4], v[3:4], v[64:65]
	v_add_f64 v[1:2], v[1:2], v[66:67]
	s_andn2_b32 exec_lo, exec_lo, s5
	s_cbranch_execnz .LBB25_45
; %bb.46:
	s_or_b32 exec_lo, exec_lo, s5
	v_mov_b32_e32 v59, 0
	ds_read_b128 v[59:62], v59 offset:128
	s_waitcnt lgkmcnt(0)
	v_mul_f64 v[64:65], v[1:2], v[61:62]
	v_mul_f64 v[61:62], v[3:4], v[61:62]
	v_fma_f64 v[3:4], v[3:4], v[59:60], -v[64:65]
	v_fma_f64 v[1:2], v[1:2], v[59:60], v[61:62]
	buffer_store_dword v4, off, s[0:3], 0 offset:148
	buffer_store_dword v3, off, s[0:3], 0 offset:144
	;; [unrolled: 1-line block ×4, first 2 shown]
.LBB25_47:
	s_or_b32 exec_lo, exec_lo, s4
	v_mov_b32_e32 v4, s15
	s_waitcnt_vscnt null, 0x0
	s_barrier
	buffer_gl0_inv
	s_mov_b32 s4, exec_lo
	s_clause 0x3
	buffer_load_dword v1, v4, s[0:3], 0 offen
	buffer_load_dword v2, v4, s[0:3], 0 offen offset:4
	buffer_load_dword v3, v4, s[0:3], 0 offen offset:8
	;; [unrolled: 1-line block ×3, first 2 shown]
	s_waitcnt vmcnt(0)
	ds_write_b128 v57, v[1:4]
	s_waitcnt lgkmcnt(0)
	s_barrier
	buffer_gl0_inv
	v_cmpx_gt_u32_e32 9, v0
	s_cbranch_execz .LBB25_51
; %bb.48:
	v_mov_b32_e32 v1, 0
	v_mov_b32_e32 v3, 0
	v_add_nc_u32_e32 v59, -1, v0
	v_add_nc_u32_e32 v60, 0x1a0, v63
	v_mov_b32_e32 v2, 0
	v_mov_b32_e32 v4, 0
	v_add_nc_u32_e32 v61, 16, v63
	s_mov_b32 s5, 0
	.p2align	6
.LBB25_49:                              ; =>This Inner Loop Header: Depth=1
	s_clause 0x3
	buffer_load_dword v68, v61, s[0:3], 0 offen offset:8
	buffer_load_dword v69, v61, s[0:3], 0 offen offset:12
	buffer_load_dword v70, v61, s[0:3], 0 offen
	buffer_load_dword v71, v61, s[0:3], 0 offen offset:4
	ds_read_b128 v[64:67], v60
	v_add_nc_u32_e32 v59, 1, v59
	v_add_nc_u32_e32 v60, 16, v60
	;; [unrolled: 1-line block ×3, first 2 shown]
	v_cmp_lt_u32_e32 vcc_lo, 7, v59
	s_or_b32 s5, vcc_lo, s5
	s_waitcnt vmcnt(2) lgkmcnt(0)
	v_mul_f64 v[72:73], v[66:67], v[68:69]
	v_mul_f64 v[68:69], v[64:65], v[68:69]
	s_waitcnt vmcnt(0)
	v_fma_f64 v[64:65], v[64:65], v[70:71], -v[72:73]
	v_fma_f64 v[66:67], v[66:67], v[70:71], v[68:69]
	v_add_f64 v[3:4], v[3:4], v[64:65]
	v_add_f64 v[1:2], v[1:2], v[66:67]
	s_andn2_b32 exec_lo, exec_lo, s5
	s_cbranch_execnz .LBB25_49
; %bb.50:
	s_or_b32 exec_lo, exec_lo, s5
	v_mov_b32_e32 v59, 0
	ds_read_b128 v[59:62], v59 offset:144
	s_waitcnt lgkmcnt(0)
	v_mul_f64 v[64:65], v[1:2], v[61:62]
	v_mul_f64 v[61:62], v[3:4], v[61:62]
	v_fma_f64 v[3:4], v[3:4], v[59:60], -v[64:65]
	v_fma_f64 v[1:2], v[1:2], v[59:60], v[61:62]
	buffer_store_dword v4, off, s[0:3], 0 offset:164
	buffer_store_dword v3, off, s[0:3], 0 offset:160
	;; [unrolled: 1-line block ×4, first 2 shown]
.LBB25_51:
	s_or_b32 exec_lo, exec_lo, s4
	v_mov_b32_e32 v4, s16
	s_waitcnt_vscnt null, 0x0
	s_barrier
	buffer_gl0_inv
	s_mov_b32 s4, exec_lo
	s_clause 0x3
	buffer_load_dword v1, v4, s[0:3], 0 offen
	buffer_load_dword v2, v4, s[0:3], 0 offen offset:4
	buffer_load_dword v3, v4, s[0:3], 0 offen offset:8
	;; [unrolled: 1-line block ×3, first 2 shown]
	s_waitcnt vmcnt(0)
	ds_write_b128 v57, v[1:4]
	s_waitcnt lgkmcnt(0)
	s_barrier
	buffer_gl0_inv
	v_cmpx_gt_u32_e32 10, v0
	s_cbranch_execz .LBB25_55
; %bb.52:
	v_mov_b32_e32 v1, 0
	v_mov_b32_e32 v3, 0
	v_add_nc_u32_e32 v59, -1, v0
	v_add_nc_u32_e32 v60, 0x1a0, v63
	v_mov_b32_e32 v2, 0
	v_mov_b32_e32 v4, 0
	v_add_nc_u32_e32 v61, 16, v63
	s_mov_b32 s5, 0
	.p2align	6
.LBB25_53:                              ; =>This Inner Loop Header: Depth=1
	s_clause 0x3
	buffer_load_dword v68, v61, s[0:3], 0 offen offset:8
	buffer_load_dword v69, v61, s[0:3], 0 offen offset:12
	buffer_load_dword v70, v61, s[0:3], 0 offen
	buffer_load_dword v71, v61, s[0:3], 0 offen offset:4
	ds_read_b128 v[64:67], v60
	v_add_nc_u32_e32 v59, 1, v59
	v_add_nc_u32_e32 v60, 16, v60
	;; [unrolled: 1-line block ×3, first 2 shown]
	v_cmp_lt_u32_e32 vcc_lo, 8, v59
	s_or_b32 s5, vcc_lo, s5
	s_waitcnt vmcnt(2) lgkmcnt(0)
	v_mul_f64 v[72:73], v[66:67], v[68:69]
	v_mul_f64 v[68:69], v[64:65], v[68:69]
	s_waitcnt vmcnt(0)
	v_fma_f64 v[64:65], v[64:65], v[70:71], -v[72:73]
	v_fma_f64 v[66:67], v[66:67], v[70:71], v[68:69]
	v_add_f64 v[3:4], v[3:4], v[64:65]
	v_add_f64 v[1:2], v[1:2], v[66:67]
	s_andn2_b32 exec_lo, exec_lo, s5
	s_cbranch_execnz .LBB25_53
; %bb.54:
	s_or_b32 exec_lo, exec_lo, s5
	v_mov_b32_e32 v59, 0
	ds_read_b128 v[59:62], v59 offset:160
	s_waitcnt lgkmcnt(0)
	v_mul_f64 v[64:65], v[1:2], v[61:62]
	v_mul_f64 v[61:62], v[3:4], v[61:62]
	v_fma_f64 v[3:4], v[3:4], v[59:60], -v[64:65]
	v_fma_f64 v[1:2], v[1:2], v[59:60], v[61:62]
	buffer_store_dword v4, off, s[0:3], 0 offset:180
	buffer_store_dword v3, off, s[0:3], 0 offset:176
	;; [unrolled: 1-line block ×4, first 2 shown]
.LBB25_55:
	s_or_b32 exec_lo, exec_lo, s4
	v_mov_b32_e32 v4, s17
	s_waitcnt_vscnt null, 0x0
	s_barrier
	buffer_gl0_inv
	s_mov_b32 s4, exec_lo
	s_clause 0x3
	buffer_load_dword v1, v4, s[0:3], 0 offen
	buffer_load_dword v2, v4, s[0:3], 0 offen offset:4
	buffer_load_dword v3, v4, s[0:3], 0 offen offset:8
	;; [unrolled: 1-line block ×3, first 2 shown]
	s_waitcnt vmcnt(0)
	ds_write_b128 v57, v[1:4]
	s_waitcnt lgkmcnt(0)
	s_barrier
	buffer_gl0_inv
	v_cmpx_gt_u32_e32 11, v0
	s_cbranch_execz .LBB25_59
; %bb.56:
	v_mov_b32_e32 v1, 0
	v_mov_b32_e32 v3, 0
	v_add_nc_u32_e32 v59, -1, v0
	v_add_nc_u32_e32 v60, 0x1a0, v63
	v_mov_b32_e32 v2, 0
	v_mov_b32_e32 v4, 0
	v_add_nc_u32_e32 v61, 16, v63
	s_mov_b32 s5, 0
	.p2align	6
.LBB25_57:                              ; =>This Inner Loop Header: Depth=1
	s_clause 0x3
	buffer_load_dword v68, v61, s[0:3], 0 offen offset:8
	buffer_load_dword v69, v61, s[0:3], 0 offen offset:12
	buffer_load_dword v70, v61, s[0:3], 0 offen
	buffer_load_dword v71, v61, s[0:3], 0 offen offset:4
	ds_read_b128 v[64:67], v60
	v_add_nc_u32_e32 v59, 1, v59
	v_add_nc_u32_e32 v60, 16, v60
	v_add_nc_u32_e32 v61, 16, v61
	v_cmp_lt_u32_e32 vcc_lo, 9, v59
	s_or_b32 s5, vcc_lo, s5
	s_waitcnt vmcnt(2) lgkmcnt(0)
	v_mul_f64 v[72:73], v[66:67], v[68:69]
	v_mul_f64 v[68:69], v[64:65], v[68:69]
	s_waitcnt vmcnt(0)
	v_fma_f64 v[64:65], v[64:65], v[70:71], -v[72:73]
	v_fma_f64 v[66:67], v[66:67], v[70:71], v[68:69]
	v_add_f64 v[3:4], v[3:4], v[64:65]
	v_add_f64 v[1:2], v[1:2], v[66:67]
	s_andn2_b32 exec_lo, exec_lo, s5
	s_cbranch_execnz .LBB25_57
; %bb.58:
	s_or_b32 exec_lo, exec_lo, s5
	v_mov_b32_e32 v59, 0
	ds_read_b128 v[59:62], v59 offset:176
	s_waitcnt lgkmcnt(0)
	v_mul_f64 v[64:65], v[1:2], v[61:62]
	v_mul_f64 v[61:62], v[3:4], v[61:62]
	v_fma_f64 v[3:4], v[3:4], v[59:60], -v[64:65]
	v_fma_f64 v[1:2], v[1:2], v[59:60], v[61:62]
	buffer_store_dword v4, off, s[0:3], 0 offset:196
	buffer_store_dword v3, off, s[0:3], 0 offset:192
	;; [unrolled: 1-line block ×4, first 2 shown]
.LBB25_59:
	s_or_b32 exec_lo, exec_lo, s4
	v_mov_b32_e32 v4, s18
	s_waitcnt_vscnt null, 0x0
	s_barrier
	buffer_gl0_inv
	s_mov_b32 s4, exec_lo
	s_clause 0x3
	buffer_load_dword v1, v4, s[0:3], 0 offen
	buffer_load_dword v2, v4, s[0:3], 0 offen offset:4
	buffer_load_dword v3, v4, s[0:3], 0 offen offset:8
	buffer_load_dword v4, v4, s[0:3], 0 offen offset:12
	s_waitcnt vmcnt(0)
	ds_write_b128 v57, v[1:4]
	s_waitcnt lgkmcnt(0)
	s_barrier
	buffer_gl0_inv
	v_cmpx_gt_u32_e32 12, v0
	s_cbranch_execz .LBB25_63
; %bb.60:
	v_mov_b32_e32 v1, 0
	v_mov_b32_e32 v3, 0
	v_add_nc_u32_e32 v59, -1, v0
	v_add_nc_u32_e32 v60, 0x1a0, v63
	v_mov_b32_e32 v2, 0
	v_mov_b32_e32 v4, 0
	v_add_nc_u32_e32 v61, 16, v63
	s_mov_b32 s5, 0
	.p2align	6
.LBB25_61:                              ; =>This Inner Loop Header: Depth=1
	s_clause 0x3
	buffer_load_dword v68, v61, s[0:3], 0 offen offset:8
	buffer_load_dword v69, v61, s[0:3], 0 offen offset:12
	buffer_load_dword v70, v61, s[0:3], 0 offen
	buffer_load_dword v71, v61, s[0:3], 0 offen offset:4
	ds_read_b128 v[64:67], v60
	v_add_nc_u32_e32 v59, 1, v59
	v_add_nc_u32_e32 v60, 16, v60
	;; [unrolled: 1-line block ×3, first 2 shown]
	v_cmp_lt_u32_e32 vcc_lo, 10, v59
	s_or_b32 s5, vcc_lo, s5
	s_waitcnt vmcnt(2) lgkmcnt(0)
	v_mul_f64 v[72:73], v[66:67], v[68:69]
	v_mul_f64 v[68:69], v[64:65], v[68:69]
	s_waitcnt vmcnt(0)
	v_fma_f64 v[64:65], v[64:65], v[70:71], -v[72:73]
	v_fma_f64 v[66:67], v[66:67], v[70:71], v[68:69]
	v_add_f64 v[3:4], v[3:4], v[64:65]
	v_add_f64 v[1:2], v[1:2], v[66:67]
	s_andn2_b32 exec_lo, exec_lo, s5
	s_cbranch_execnz .LBB25_61
; %bb.62:
	s_or_b32 exec_lo, exec_lo, s5
	v_mov_b32_e32 v59, 0
	ds_read_b128 v[59:62], v59 offset:192
	s_waitcnt lgkmcnt(0)
	v_mul_f64 v[64:65], v[1:2], v[61:62]
	v_mul_f64 v[61:62], v[3:4], v[61:62]
	v_fma_f64 v[3:4], v[3:4], v[59:60], -v[64:65]
	v_fma_f64 v[1:2], v[1:2], v[59:60], v[61:62]
	buffer_store_dword v4, off, s[0:3], 0 offset:212
	buffer_store_dword v3, off, s[0:3], 0 offset:208
	;; [unrolled: 1-line block ×4, first 2 shown]
.LBB25_63:
	s_or_b32 exec_lo, exec_lo, s4
	v_mov_b32_e32 v4, s19
	s_waitcnt_vscnt null, 0x0
	s_barrier
	buffer_gl0_inv
	s_mov_b32 s4, exec_lo
	s_clause 0x3
	buffer_load_dword v1, v4, s[0:3], 0 offen
	buffer_load_dword v2, v4, s[0:3], 0 offen offset:4
	buffer_load_dword v3, v4, s[0:3], 0 offen offset:8
	;; [unrolled: 1-line block ×3, first 2 shown]
	s_waitcnt vmcnt(0)
	ds_write_b128 v57, v[1:4]
	s_waitcnt lgkmcnt(0)
	s_barrier
	buffer_gl0_inv
	v_cmpx_gt_u32_e32 13, v0
	s_cbranch_execz .LBB25_67
; %bb.64:
	v_mov_b32_e32 v1, 0
	v_mov_b32_e32 v3, 0
	v_add_nc_u32_e32 v59, -1, v0
	v_add_nc_u32_e32 v60, 0x1a0, v63
	v_mov_b32_e32 v2, 0
	v_mov_b32_e32 v4, 0
	v_add_nc_u32_e32 v61, 16, v63
	s_mov_b32 s5, 0
	.p2align	6
.LBB25_65:                              ; =>This Inner Loop Header: Depth=1
	s_clause 0x3
	buffer_load_dword v68, v61, s[0:3], 0 offen offset:8
	buffer_load_dword v69, v61, s[0:3], 0 offen offset:12
	buffer_load_dword v70, v61, s[0:3], 0 offen
	buffer_load_dword v71, v61, s[0:3], 0 offen offset:4
	ds_read_b128 v[64:67], v60
	v_add_nc_u32_e32 v59, 1, v59
	v_add_nc_u32_e32 v60, 16, v60
	v_add_nc_u32_e32 v61, 16, v61
	v_cmp_lt_u32_e32 vcc_lo, 11, v59
	s_or_b32 s5, vcc_lo, s5
	s_waitcnt vmcnt(2) lgkmcnt(0)
	v_mul_f64 v[72:73], v[66:67], v[68:69]
	v_mul_f64 v[68:69], v[64:65], v[68:69]
	s_waitcnt vmcnt(0)
	v_fma_f64 v[64:65], v[64:65], v[70:71], -v[72:73]
	v_fma_f64 v[66:67], v[66:67], v[70:71], v[68:69]
	v_add_f64 v[3:4], v[3:4], v[64:65]
	v_add_f64 v[1:2], v[1:2], v[66:67]
	s_andn2_b32 exec_lo, exec_lo, s5
	s_cbranch_execnz .LBB25_65
; %bb.66:
	s_or_b32 exec_lo, exec_lo, s5
	v_mov_b32_e32 v59, 0
	ds_read_b128 v[59:62], v59 offset:208
	s_waitcnt lgkmcnt(0)
	v_mul_f64 v[64:65], v[1:2], v[61:62]
	v_mul_f64 v[61:62], v[3:4], v[61:62]
	v_fma_f64 v[3:4], v[3:4], v[59:60], -v[64:65]
	v_fma_f64 v[1:2], v[1:2], v[59:60], v[61:62]
	buffer_store_dword v4, off, s[0:3], 0 offset:228
	buffer_store_dword v3, off, s[0:3], 0 offset:224
	;; [unrolled: 1-line block ×4, first 2 shown]
.LBB25_67:
	s_or_b32 exec_lo, exec_lo, s4
	v_mov_b32_e32 v4, s22
	s_waitcnt_vscnt null, 0x0
	s_barrier
	buffer_gl0_inv
	s_mov_b32 s4, exec_lo
	s_clause 0x3
	buffer_load_dword v1, v4, s[0:3], 0 offen
	buffer_load_dword v2, v4, s[0:3], 0 offen offset:4
	buffer_load_dword v3, v4, s[0:3], 0 offen offset:8
	;; [unrolled: 1-line block ×3, first 2 shown]
	s_waitcnt vmcnt(0)
	ds_write_b128 v57, v[1:4]
	s_waitcnt lgkmcnt(0)
	s_barrier
	buffer_gl0_inv
	v_cmpx_gt_u32_e32 14, v0
	s_cbranch_execz .LBB25_71
; %bb.68:
	v_mov_b32_e32 v1, 0
	v_mov_b32_e32 v3, 0
	v_add_nc_u32_e32 v59, -1, v0
	v_add_nc_u32_e32 v60, 0x1a0, v63
	v_mov_b32_e32 v2, 0
	v_mov_b32_e32 v4, 0
	v_add_nc_u32_e32 v61, 16, v63
	s_mov_b32 s5, 0
	.p2align	6
.LBB25_69:                              ; =>This Inner Loop Header: Depth=1
	s_clause 0x3
	buffer_load_dword v68, v61, s[0:3], 0 offen offset:8
	buffer_load_dword v69, v61, s[0:3], 0 offen offset:12
	buffer_load_dword v70, v61, s[0:3], 0 offen
	buffer_load_dword v71, v61, s[0:3], 0 offen offset:4
	ds_read_b128 v[64:67], v60
	v_add_nc_u32_e32 v59, 1, v59
	v_add_nc_u32_e32 v60, 16, v60
	;; [unrolled: 1-line block ×3, first 2 shown]
	v_cmp_lt_u32_e32 vcc_lo, 12, v59
	s_or_b32 s5, vcc_lo, s5
	s_waitcnt vmcnt(2) lgkmcnt(0)
	v_mul_f64 v[72:73], v[66:67], v[68:69]
	v_mul_f64 v[68:69], v[64:65], v[68:69]
	s_waitcnt vmcnt(0)
	v_fma_f64 v[64:65], v[64:65], v[70:71], -v[72:73]
	v_fma_f64 v[66:67], v[66:67], v[70:71], v[68:69]
	v_add_f64 v[3:4], v[3:4], v[64:65]
	v_add_f64 v[1:2], v[1:2], v[66:67]
	s_andn2_b32 exec_lo, exec_lo, s5
	s_cbranch_execnz .LBB25_69
; %bb.70:
	s_or_b32 exec_lo, exec_lo, s5
	v_mov_b32_e32 v59, 0
	ds_read_b128 v[59:62], v59 offset:224
	s_waitcnt lgkmcnt(0)
	v_mul_f64 v[64:65], v[1:2], v[61:62]
	v_mul_f64 v[61:62], v[3:4], v[61:62]
	v_fma_f64 v[3:4], v[3:4], v[59:60], -v[64:65]
	v_fma_f64 v[1:2], v[1:2], v[59:60], v[61:62]
	buffer_store_dword v4, off, s[0:3], 0 offset:244
	buffer_store_dword v3, off, s[0:3], 0 offset:240
	;; [unrolled: 1-line block ×4, first 2 shown]
.LBB25_71:
	s_or_b32 exec_lo, exec_lo, s4
	v_mov_b32_e32 v4, s23
	s_waitcnt_vscnt null, 0x0
	s_barrier
	buffer_gl0_inv
	s_mov_b32 s4, exec_lo
	s_clause 0x3
	buffer_load_dword v1, v4, s[0:3], 0 offen
	buffer_load_dword v2, v4, s[0:3], 0 offen offset:4
	buffer_load_dword v3, v4, s[0:3], 0 offen offset:8
	;; [unrolled: 1-line block ×3, first 2 shown]
	s_waitcnt vmcnt(0)
	ds_write_b128 v57, v[1:4]
	s_waitcnt lgkmcnt(0)
	s_barrier
	buffer_gl0_inv
	v_cmpx_gt_u32_e32 15, v0
	s_cbranch_execz .LBB25_75
; %bb.72:
	v_mov_b32_e32 v1, 0
	v_mov_b32_e32 v3, 0
	v_add_nc_u32_e32 v59, -1, v0
	v_add_nc_u32_e32 v60, 0x1a0, v63
	v_mov_b32_e32 v2, 0
	v_mov_b32_e32 v4, 0
	v_add_nc_u32_e32 v61, 16, v63
	s_mov_b32 s5, 0
	.p2align	6
.LBB25_73:                              ; =>This Inner Loop Header: Depth=1
	s_clause 0x3
	buffer_load_dword v68, v61, s[0:3], 0 offen offset:8
	buffer_load_dword v69, v61, s[0:3], 0 offen offset:12
	buffer_load_dword v70, v61, s[0:3], 0 offen
	buffer_load_dword v71, v61, s[0:3], 0 offen offset:4
	ds_read_b128 v[64:67], v60
	v_add_nc_u32_e32 v59, 1, v59
	v_add_nc_u32_e32 v60, 16, v60
	;; [unrolled: 1-line block ×3, first 2 shown]
	v_cmp_lt_u32_e32 vcc_lo, 13, v59
	s_or_b32 s5, vcc_lo, s5
	s_waitcnt vmcnt(2) lgkmcnt(0)
	v_mul_f64 v[72:73], v[66:67], v[68:69]
	v_mul_f64 v[68:69], v[64:65], v[68:69]
	s_waitcnt vmcnt(0)
	v_fma_f64 v[64:65], v[64:65], v[70:71], -v[72:73]
	v_fma_f64 v[66:67], v[66:67], v[70:71], v[68:69]
	v_add_f64 v[3:4], v[3:4], v[64:65]
	v_add_f64 v[1:2], v[1:2], v[66:67]
	s_andn2_b32 exec_lo, exec_lo, s5
	s_cbranch_execnz .LBB25_73
; %bb.74:
	s_or_b32 exec_lo, exec_lo, s5
	v_mov_b32_e32 v59, 0
	ds_read_b128 v[59:62], v59 offset:240
	s_waitcnt lgkmcnt(0)
	v_mul_f64 v[64:65], v[1:2], v[61:62]
	v_mul_f64 v[61:62], v[3:4], v[61:62]
	v_fma_f64 v[3:4], v[3:4], v[59:60], -v[64:65]
	v_fma_f64 v[1:2], v[1:2], v[59:60], v[61:62]
	buffer_store_dword v4, off, s[0:3], 0 offset:260
	buffer_store_dword v3, off, s[0:3], 0 offset:256
	;; [unrolled: 1-line block ×4, first 2 shown]
.LBB25_75:
	s_or_b32 exec_lo, exec_lo, s4
	v_mov_b32_e32 v4, s24
	s_waitcnt_vscnt null, 0x0
	s_barrier
	buffer_gl0_inv
	s_mov_b32 s4, exec_lo
	s_clause 0x3
	buffer_load_dword v1, v4, s[0:3], 0 offen
	buffer_load_dword v2, v4, s[0:3], 0 offen offset:4
	buffer_load_dword v3, v4, s[0:3], 0 offen offset:8
	;; [unrolled: 1-line block ×3, first 2 shown]
	s_waitcnt vmcnt(0)
	ds_write_b128 v57, v[1:4]
	s_waitcnt lgkmcnt(0)
	s_barrier
	buffer_gl0_inv
	v_cmpx_gt_u32_e32 16, v0
	s_cbranch_execz .LBB25_79
; %bb.76:
	v_mov_b32_e32 v1, 0
	v_mov_b32_e32 v3, 0
	v_add_nc_u32_e32 v59, -1, v0
	v_add_nc_u32_e32 v60, 0x1a0, v63
	v_mov_b32_e32 v2, 0
	v_mov_b32_e32 v4, 0
	v_add_nc_u32_e32 v61, 16, v63
	s_mov_b32 s5, 0
	.p2align	6
.LBB25_77:                              ; =>This Inner Loop Header: Depth=1
	s_clause 0x3
	buffer_load_dword v68, v61, s[0:3], 0 offen offset:8
	buffer_load_dword v69, v61, s[0:3], 0 offen offset:12
	buffer_load_dword v70, v61, s[0:3], 0 offen
	buffer_load_dword v71, v61, s[0:3], 0 offen offset:4
	ds_read_b128 v[64:67], v60
	v_add_nc_u32_e32 v59, 1, v59
	v_add_nc_u32_e32 v60, 16, v60
	;; [unrolled: 1-line block ×3, first 2 shown]
	v_cmp_lt_u32_e32 vcc_lo, 14, v59
	s_or_b32 s5, vcc_lo, s5
	s_waitcnt vmcnt(2) lgkmcnt(0)
	v_mul_f64 v[72:73], v[66:67], v[68:69]
	v_mul_f64 v[68:69], v[64:65], v[68:69]
	s_waitcnt vmcnt(0)
	v_fma_f64 v[64:65], v[64:65], v[70:71], -v[72:73]
	v_fma_f64 v[66:67], v[66:67], v[70:71], v[68:69]
	v_add_f64 v[3:4], v[3:4], v[64:65]
	v_add_f64 v[1:2], v[1:2], v[66:67]
	s_andn2_b32 exec_lo, exec_lo, s5
	s_cbranch_execnz .LBB25_77
; %bb.78:
	s_or_b32 exec_lo, exec_lo, s5
	v_mov_b32_e32 v59, 0
	ds_read_b128 v[59:62], v59 offset:256
	s_waitcnt lgkmcnt(0)
	v_mul_f64 v[64:65], v[1:2], v[61:62]
	v_mul_f64 v[61:62], v[3:4], v[61:62]
	v_fma_f64 v[3:4], v[3:4], v[59:60], -v[64:65]
	v_fma_f64 v[1:2], v[1:2], v[59:60], v[61:62]
	buffer_store_dword v4, off, s[0:3], 0 offset:276
	buffer_store_dword v3, off, s[0:3], 0 offset:272
	;; [unrolled: 1-line block ×4, first 2 shown]
.LBB25_79:
	s_or_b32 exec_lo, exec_lo, s4
	v_mov_b32_e32 v4, s25
	s_waitcnt_vscnt null, 0x0
	s_barrier
	buffer_gl0_inv
	s_mov_b32 s4, exec_lo
	s_clause 0x3
	buffer_load_dword v1, v4, s[0:3], 0 offen
	buffer_load_dword v2, v4, s[0:3], 0 offen offset:4
	buffer_load_dword v3, v4, s[0:3], 0 offen offset:8
	;; [unrolled: 1-line block ×3, first 2 shown]
	s_waitcnt vmcnt(0)
	ds_write_b128 v57, v[1:4]
	s_waitcnt lgkmcnt(0)
	s_barrier
	buffer_gl0_inv
	v_cmpx_gt_u32_e32 17, v0
	s_cbranch_execz .LBB25_83
; %bb.80:
	v_mov_b32_e32 v1, 0
	v_mov_b32_e32 v3, 0
	v_add_nc_u32_e32 v59, -1, v0
	v_add_nc_u32_e32 v60, 0x1a0, v63
	v_mov_b32_e32 v2, 0
	v_mov_b32_e32 v4, 0
	v_add_nc_u32_e32 v61, 16, v63
	s_mov_b32 s5, 0
	.p2align	6
.LBB25_81:                              ; =>This Inner Loop Header: Depth=1
	s_clause 0x3
	buffer_load_dword v68, v61, s[0:3], 0 offen offset:8
	buffer_load_dword v69, v61, s[0:3], 0 offen offset:12
	buffer_load_dword v70, v61, s[0:3], 0 offen
	buffer_load_dword v71, v61, s[0:3], 0 offen offset:4
	ds_read_b128 v[64:67], v60
	v_add_nc_u32_e32 v59, 1, v59
	v_add_nc_u32_e32 v60, 16, v60
	v_add_nc_u32_e32 v61, 16, v61
	v_cmp_lt_u32_e32 vcc_lo, 15, v59
	s_or_b32 s5, vcc_lo, s5
	s_waitcnt vmcnt(2) lgkmcnt(0)
	v_mul_f64 v[72:73], v[66:67], v[68:69]
	v_mul_f64 v[68:69], v[64:65], v[68:69]
	s_waitcnt vmcnt(0)
	v_fma_f64 v[64:65], v[64:65], v[70:71], -v[72:73]
	v_fma_f64 v[66:67], v[66:67], v[70:71], v[68:69]
	v_add_f64 v[3:4], v[3:4], v[64:65]
	v_add_f64 v[1:2], v[1:2], v[66:67]
	s_andn2_b32 exec_lo, exec_lo, s5
	s_cbranch_execnz .LBB25_81
; %bb.82:
	s_or_b32 exec_lo, exec_lo, s5
	v_mov_b32_e32 v59, 0
	ds_read_b128 v[59:62], v59 offset:272
	s_waitcnt lgkmcnt(0)
	v_mul_f64 v[64:65], v[1:2], v[61:62]
	v_mul_f64 v[61:62], v[3:4], v[61:62]
	v_fma_f64 v[3:4], v[3:4], v[59:60], -v[64:65]
	v_fma_f64 v[1:2], v[1:2], v[59:60], v[61:62]
	buffer_store_dword v4, off, s[0:3], 0 offset:292
	buffer_store_dword v3, off, s[0:3], 0 offset:288
	buffer_store_dword v2, off, s[0:3], 0 offset:300
	buffer_store_dword v1, off, s[0:3], 0 offset:296
.LBB25_83:
	s_or_b32 exec_lo, exec_lo, s4
	v_mov_b32_e32 v4, s26
	s_waitcnt_vscnt null, 0x0
	s_barrier
	buffer_gl0_inv
	s_mov_b32 s4, exec_lo
	s_clause 0x3
	buffer_load_dword v1, v4, s[0:3], 0 offen
	buffer_load_dword v2, v4, s[0:3], 0 offen offset:4
	buffer_load_dword v3, v4, s[0:3], 0 offen offset:8
	;; [unrolled: 1-line block ×3, first 2 shown]
	s_waitcnt vmcnt(0)
	ds_write_b128 v57, v[1:4]
	s_waitcnt lgkmcnt(0)
	s_barrier
	buffer_gl0_inv
	v_cmpx_gt_u32_e32 18, v0
	s_cbranch_execz .LBB25_87
; %bb.84:
	v_mov_b32_e32 v1, 0
	v_mov_b32_e32 v3, 0
	v_add_nc_u32_e32 v59, -1, v0
	v_add_nc_u32_e32 v60, 0x1a0, v63
	v_mov_b32_e32 v2, 0
	v_mov_b32_e32 v4, 0
	v_add_nc_u32_e32 v61, 16, v63
	s_mov_b32 s5, 0
	.p2align	6
.LBB25_85:                              ; =>This Inner Loop Header: Depth=1
	s_clause 0x3
	buffer_load_dword v68, v61, s[0:3], 0 offen offset:8
	buffer_load_dword v69, v61, s[0:3], 0 offen offset:12
	buffer_load_dword v70, v61, s[0:3], 0 offen
	buffer_load_dword v71, v61, s[0:3], 0 offen offset:4
	ds_read_b128 v[64:67], v60
	v_add_nc_u32_e32 v59, 1, v59
	v_add_nc_u32_e32 v60, 16, v60
	v_add_nc_u32_e32 v61, 16, v61
	v_cmp_lt_u32_e32 vcc_lo, 16, v59
	s_or_b32 s5, vcc_lo, s5
	s_waitcnt vmcnt(2) lgkmcnt(0)
	v_mul_f64 v[72:73], v[66:67], v[68:69]
	v_mul_f64 v[68:69], v[64:65], v[68:69]
	s_waitcnt vmcnt(0)
	v_fma_f64 v[64:65], v[64:65], v[70:71], -v[72:73]
	v_fma_f64 v[66:67], v[66:67], v[70:71], v[68:69]
	v_add_f64 v[3:4], v[3:4], v[64:65]
	v_add_f64 v[1:2], v[1:2], v[66:67]
	s_andn2_b32 exec_lo, exec_lo, s5
	s_cbranch_execnz .LBB25_85
; %bb.86:
	s_or_b32 exec_lo, exec_lo, s5
	v_mov_b32_e32 v59, 0
	ds_read_b128 v[59:62], v59 offset:288
	s_waitcnt lgkmcnt(0)
	v_mul_f64 v[64:65], v[1:2], v[61:62]
	v_mul_f64 v[61:62], v[3:4], v[61:62]
	v_fma_f64 v[3:4], v[3:4], v[59:60], -v[64:65]
	v_fma_f64 v[1:2], v[1:2], v[59:60], v[61:62]
	buffer_store_dword v4, off, s[0:3], 0 offset:308
	buffer_store_dword v3, off, s[0:3], 0 offset:304
	;; [unrolled: 1-line block ×4, first 2 shown]
.LBB25_87:
	s_or_b32 exec_lo, exec_lo, s4
	v_mov_b32_e32 v4, s27
	s_waitcnt_vscnt null, 0x0
	s_barrier
	buffer_gl0_inv
	s_mov_b32 s4, exec_lo
	s_clause 0x3
	buffer_load_dword v1, v4, s[0:3], 0 offen
	buffer_load_dword v2, v4, s[0:3], 0 offen offset:4
	buffer_load_dword v3, v4, s[0:3], 0 offen offset:8
	;; [unrolled: 1-line block ×3, first 2 shown]
	s_waitcnt vmcnt(0)
	ds_write_b128 v57, v[1:4]
	s_waitcnt lgkmcnt(0)
	s_barrier
	buffer_gl0_inv
	v_cmpx_gt_u32_e32 19, v0
	s_cbranch_execz .LBB25_91
; %bb.88:
	v_mov_b32_e32 v1, 0
	v_mov_b32_e32 v3, 0
	v_add_nc_u32_e32 v59, -1, v0
	v_add_nc_u32_e32 v60, 0x1a0, v63
	v_mov_b32_e32 v2, 0
	v_mov_b32_e32 v4, 0
	v_add_nc_u32_e32 v61, 16, v63
	s_mov_b32 s5, 0
	.p2align	6
.LBB25_89:                              ; =>This Inner Loop Header: Depth=1
	s_clause 0x3
	buffer_load_dword v68, v61, s[0:3], 0 offen offset:8
	buffer_load_dword v69, v61, s[0:3], 0 offen offset:12
	buffer_load_dword v70, v61, s[0:3], 0 offen
	buffer_load_dword v71, v61, s[0:3], 0 offen offset:4
	ds_read_b128 v[64:67], v60
	v_add_nc_u32_e32 v59, 1, v59
	v_add_nc_u32_e32 v60, 16, v60
	;; [unrolled: 1-line block ×3, first 2 shown]
	v_cmp_lt_u32_e32 vcc_lo, 17, v59
	s_or_b32 s5, vcc_lo, s5
	s_waitcnt vmcnt(2) lgkmcnt(0)
	v_mul_f64 v[72:73], v[66:67], v[68:69]
	v_mul_f64 v[68:69], v[64:65], v[68:69]
	s_waitcnt vmcnt(0)
	v_fma_f64 v[64:65], v[64:65], v[70:71], -v[72:73]
	v_fma_f64 v[66:67], v[66:67], v[70:71], v[68:69]
	v_add_f64 v[3:4], v[3:4], v[64:65]
	v_add_f64 v[1:2], v[1:2], v[66:67]
	s_andn2_b32 exec_lo, exec_lo, s5
	s_cbranch_execnz .LBB25_89
; %bb.90:
	s_or_b32 exec_lo, exec_lo, s5
	v_mov_b32_e32 v59, 0
	ds_read_b128 v[59:62], v59 offset:304
	s_waitcnt lgkmcnt(0)
	v_mul_f64 v[64:65], v[1:2], v[61:62]
	v_mul_f64 v[61:62], v[3:4], v[61:62]
	v_fma_f64 v[3:4], v[3:4], v[59:60], -v[64:65]
	v_fma_f64 v[1:2], v[1:2], v[59:60], v[61:62]
	buffer_store_dword v4, off, s[0:3], 0 offset:324
	buffer_store_dword v3, off, s[0:3], 0 offset:320
	;; [unrolled: 1-line block ×4, first 2 shown]
.LBB25_91:
	s_or_b32 exec_lo, exec_lo, s4
	v_mov_b32_e32 v4, s28
	s_waitcnt_vscnt null, 0x0
	s_barrier
	buffer_gl0_inv
	s_mov_b32 s4, exec_lo
	s_clause 0x3
	buffer_load_dword v1, v4, s[0:3], 0 offen
	buffer_load_dword v2, v4, s[0:3], 0 offen offset:4
	buffer_load_dword v3, v4, s[0:3], 0 offen offset:8
	;; [unrolled: 1-line block ×3, first 2 shown]
	s_waitcnt vmcnt(0)
	ds_write_b128 v57, v[1:4]
	s_waitcnt lgkmcnt(0)
	s_barrier
	buffer_gl0_inv
	v_cmpx_gt_u32_e32 20, v0
	s_cbranch_execz .LBB25_95
; %bb.92:
	v_mov_b32_e32 v1, 0
	v_mov_b32_e32 v3, 0
	v_add_nc_u32_e32 v59, -1, v0
	v_add_nc_u32_e32 v60, 0x1a0, v63
	v_mov_b32_e32 v2, 0
	v_mov_b32_e32 v4, 0
	v_add_nc_u32_e32 v61, 16, v63
	s_mov_b32 s5, 0
	.p2align	6
.LBB25_93:                              ; =>This Inner Loop Header: Depth=1
	s_clause 0x3
	buffer_load_dword v68, v61, s[0:3], 0 offen offset:8
	buffer_load_dword v69, v61, s[0:3], 0 offen offset:12
	buffer_load_dword v70, v61, s[0:3], 0 offen
	buffer_load_dword v71, v61, s[0:3], 0 offen offset:4
	ds_read_b128 v[64:67], v60
	v_add_nc_u32_e32 v59, 1, v59
	v_add_nc_u32_e32 v60, 16, v60
	;; [unrolled: 1-line block ×3, first 2 shown]
	v_cmp_lt_u32_e32 vcc_lo, 18, v59
	s_or_b32 s5, vcc_lo, s5
	s_waitcnt vmcnt(2) lgkmcnt(0)
	v_mul_f64 v[72:73], v[66:67], v[68:69]
	v_mul_f64 v[68:69], v[64:65], v[68:69]
	s_waitcnt vmcnt(0)
	v_fma_f64 v[64:65], v[64:65], v[70:71], -v[72:73]
	v_fma_f64 v[66:67], v[66:67], v[70:71], v[68:69]
	v_add_f64 v[3:4], v[3:4], v[64:65]
	v_add_f64 v[1:2], v[1:2], v[66:67]
	s_andn2_b32 exec_lo, exec_lo, s5
	s_cbranch_execnz .LBB25_93
; %bb.94:
	s_or_b32 exec_lo, exec_lo, s5
	v_mov_b32_e32 v59, 0
	ds_read_b128 v[59:62], v59 offset:320
	s_waitcnt lgkmcnt(0)
	v_mul_f64 v[64:65], v[1:2], v[61:62]
	v_mul_f64 v[61:62], v[3:4], v[61:62]
	v_fma_f64 v[3:4], v[3:4], v[59:60], -v[64:65]
	v_fma_f64 v[1:2], v[1:2], v[59:60], v[61:62]
	buffer_store_dword v4, off, s[0:3], 0 offset:340
	buffer_store_dword v3, off, s[0:3], 0 offset:336
	;; [unrolled: 1-line block ×4, first 2 shown]
.LBB25_95:
	s_or_b32 exec_lo, exec_lo, s4
	v_mov_b32_e32 v4, s29
	s_waitcnt_vscnt null, 0x0
	s_barrier
	buffer_gl0_inv
	s_mov_b32 s4, exec_lo
	s_clause 0x3
	buffer_load_dword v1, v4, s[0:3], 0 offen
	buffer_load_dword v2, v4, s[0:3], 0 offen offset:4
	buffer_load_dword v3, v4, s[0:3], 0 offen offset:8
	;; [unrolled: 1-line block ×3, first 2 shown]
	s_waitcnt vmcnt(0)
	ds_write_b128 v57, v[1:4]
	s_waitcnt lgkmcnt(0)
	s_barrier
	buffer_gl0_inv
	v_cmpx_gt_u32_e32 21, v0
	s_cbranch_execz .LBB25_99
; %bb.96:
	v_mov_b32_e32 v1, 0
	v_mov_b32_e32 v3, 0
	v_add_nc_u32_e32 v59, -1, v0
	v_add_nc_u32_e32 v60, 0x1a0, v63
	v_mov_b32_e32 v2, 0
	v_mov_b32_e32 v4, 0
	v_add_nc_u32_e32 v61, 16, v63
	s_mov_b32 s5, 0
	.p2align	6
.LBB25_97:                              ; =>This Inner Loop Header: Depth=1
	s_clause 0x3
	buffer_load_dword v68, v61, s[0:3], 0 offen offset:8
	buffer_load_dword v69, v61, s[0:3], 0 offen offset:12
	buffer_load_dword v70, v61, s[0:3], 0 offen
	buffer_load_dword v71, v61, s[0:3], 0 offen offset:4
	ds_read_b128 v[64:67], v60
	v_add_nc_u32_e32 v59, 1, v59
	v_add_nc_u32_e32 v60, 16, v60
	;; [unrolled: 1-line block ×3, first 2 shown]
	v_cmp_lt_u32_e32 vcc_lo, 19, v59
	s_or_b32 s5, vcc_lo, s5
	s_waitcnt vmcnt(2) lgkmcnt(0)
	v_mul_f64 v[72:73], v[66:67], v[68:69]
	v_mul_f64 v[68:69], v[64:65], v[68:69]
	s_waitcnt vmcnt(0)
	v_fma_f64 v[64:65], v[64:65], v[70:71], -v[72:73]
	v_fma_f64 v[66:67], v[66:67], v[70:71], v[68:69]
	v_add_f64 v[3:4], v[3:4], v[64:65]
	v_add_f64 v[1:2], v[1:2], v[66:67]
	s_andn2_b32 exec_lo, exec_lo, s5
	s_cbranch_execnz .LBB25_97
; %bb.98:
	s_or_b32 exec_lo, exec_lo, s5
	v_mov_b32_e32 v59, 0
	ds_read_b128 v[59:62], v59 offset:336
	s_waitcnt lgkmcnt(0)
	v_mul_f64 v[64:65], v[1:2], v[61:62]
	v_mul_f64 v[61:62], v[3:4], v[61:62]
	v_fma_f64 v[3:4], v[3:4], v[59:60], -v[64:65]
	v_fma_f64 v[1:2], v[1:2], v[59:60], v[61:62]
	buffer_store_dword v4, off, s[0:3], 0 offset:356
	buffer_store_dword v3, off, s[0:3], 0 offset:352
	;; [unrolled: 1-line block ×4, first 2 shown]
.LBB25_99:
	s_or_b32 exec_lo, exec_lo, s4
	v_mov_b32_e32 v4, s30
	s_waitcnt_vscnt null, 0x0
	s_barrier
	buffer_gl0_inv
	s_mov_b32 s4, exec_lo
	s_clause 0x3
	buffer_load_dword v1, v4, s[0:3], 0 offen
	buffer_load_dword v2, v4, s[0:3], 0 offen offset:4
	buffer_load_dword v3, v4, s[0:3], 0 offen offset:8
	;; [unrolled: 1-line block ×3, first 2 shown]
	s_waitcnt vmcnt(0)
	ds_write_b128 v57, v[1:4]
	s_waitcnt lgkmcnt(0)
	s_barrier
	buffer_gl0_inv
	v_cmpx_gt_u32_e32 22, v0
	s_cbranch_execz .LBB25_103
; %bb.100:
	v_mov_b32_e32 v1, 0
	v_mov_b32_e32 v3, 0
	v_add_nc_u32_e32 v59, -1, v0
	v_add_nc_u32_e32 v60, 0x1a0, v63
	v_mov_b32_e32 v2, 0
	v_mov_b32_e32 v4, 0
	v_add_nc_u32_e32 v61, 16, v63
	s_mov_b32 s5, 0
	.p2align	6
.LBB25_101:                             ; =>This Inner Loop Header: Depth=1
	s_clause 0x3
	buffer_load_dword v68, v61, s[0:3], 0 offen offset:8
	buffer_load_dword v69, v61, s[0:3], 0 offen offset:12
	buffer_load_dword v70, v61, s[0:3], 0 offen
	buffer_load_dword v71, v61, s[0:3], 0 offen offset:4
	ds_read_b128 v[64:67], v60
	v_add_nc_u32_e32 v59, 1, v59
	v_add_nc_u32_e32 v60, 16, v60
	;; [unrolled: 1-line block ×3, first 2 shown]
	v_cmp_lt_u32_e32 vcc_lo, 20, v59
	s_or_b32 s5, vcc_lo, s5
	s_waitcnt vmcnt(2) lgkmcnt(0)
	v_mul_f64 v[72:73], v[66:67], v[68:69]
	v_mul_f64 v[68:69], v[64:65], v[68:69]
	s_waitcnt vmcnt(0)
	v_fma_f64 v[64:65], v[64:65], v[70:71], -v[72:73]
	v_fma_f64 v[66:67], v[66:67], v[70:71], v[68:69]
	v_add_f64 v[3:4], v[3:4], v[64:65]
	v_add_f64 v[1:2], v[1:2], v[66:67]
	s_andn2_b32 exec_lo, exec_lo, s5
	s_cbranch_execnz .LBB25_101
; %bb.102:
	s_or_b32 exec_lo, exec_lo, s5
	v_mov_b32_e32 v59, 0
	ds_read_b128 v[59:62], v59 offset:352
	s_waitcnt lgkmcnt(0)
	v_mul_f64 v[64:65], v[1:2], v[61:62]
	v_mul_f64 v[61:62], v[3:4], v[61:62]
	v_fma_f64 v[3:4], v[3:4], v[59:60], -v[64:65]
	v_fma_f64 v[1:2], v[1:2], v[59:60], v[61:62]
	buffer_store_dword v4, off, s[0:3], 0 offset:372
	buffer_store_dword v3, off, s[0:3], 0 offset:368
	;; [unrolled: 1-line block ×4, first 2 shown]
.LBB25_103:
	s_or_b32 exec_lo, exec_lo, s4
	v_mov_b32_e32 v4, s31
	s_waitcnt_vscnt null, 0x0
	s_barrier
	buffer_gl0_inv
	s_mov_b32 s4, exec_lo
	s_clause 0x3
	buffer_load_dword v1, v4, s[0:3], 0 offen
	buffer_load_dword v2, v4, s[0:3], 0 offen offset:4
	buffer_load_dword v3, v4, s[0:3], 0 offen offset:8
	;; [unrolled: 1-line block ×3, first 2 shown]
	s_waitcnt vmcnt(0)
	ds_write_b128 v57, v[1:4]
	s_waitcnt lgkmcnt(0)
	s_barrier
	buffer_gl0_inv
	v_cmpx_gt_u32_e32 23, v0
	s_cbranch_execz .LBB25_107
; %bb.104:
	v_mov_b32_e32 v1, 0
	v_mov_b32_e32 v3, 0
	v_add_nc_u32_e32 v59, -1, v0
	v_add_nc_u32_e32 v60, 0x1a0, v63
	v_mov_b32_e32 v2, 0
	v_mov_b32_e32 v4, 0
	v_add_nc_u32_e32 v61, 16, v63
	s_mov_b32 s5, 0
	.p2align	6
.LBB25_105:                             ; =>This Inner Loop Header: Depth=1
	s_clause 0x3
	buffer_load_dword v68, v61, s[0:3], 0 offen offset:8
	buffer_load_dword v69, v61, s[0:3], 0 offen offset:12
	buffer_load_dword v70, v61, s[0:3], 0 offen
	buffer_load_dword v71, v61, s[0:3], 0 offen offset:4
	ds_read_b128 v[64:67], v60
	v_add_nc_u32_e32 v59, 1, v59
	v_add_nc_u32_e32 v60, 16, v60
	;; [unrolled: 1-line block ×3, first 2 shown]
	v_cmp_lt_u32_e32 vcc_lo, 21, v59
	s_or_b32 s5, vcc_lo, s5
	s_waitcnt vmcnt(2) lgkmcnt(0)
	v_mul_f64 v[72:73], v[66:67], v[68:69]
	v_mul_f64 v[68:69], v[64:65], v[68:69]
	s_waitcnt vmcnt(0)
	v_fma_f64 v[64:65], v[64:65], v[70:71], -v[72:73]
	v_fma_f64 v[66:67], v[66:67], v[70:71], v[68:69]
	v_add_f64 v[3:4], v[3:4], v[64:65]
	v_add_f64 v[1:2], v[1:2], v[66:67]
	s_andn2_b32 exec_lo, exec_lo, s5
	s_cbranch_execnz .LBB25_105
; %bb.106:
	s_or_b32 exec_lo, exec_lo, s5
	v_mov_b32_e32 v59, 0
	ds_read_b128 v[59:62], v59 offset:368
	s_waitcnt lgkmcnt(0)
	v_mul_f64 v[64:65], v[1:2], v[61:62]
	v_mul_f64 v[61:62], v[3:4], v[61:62]
	v_fma_f64 v[3:4], v[3:4], v[59:60], -v[64:65]
	v_fma_f64 v[1:2], v[1:2], v[59:60], v[61:62]
	buffer_store_dword v4, off, s[0:3], 0 offset:388
	buffer_store_dword v3, off, s[0:3], 0 offset:384
	;; [unrolled: 1-line block ×4, first 2 shown]
.LBB25_107:
	s_or_b32 exec_lo, exec_lo, s4
	v_mov_b32_e32 v4, s33
	s_waitcnt_vscnt null, 0x0
	s_barrier
	buffer_gl0_inv
	s_mov_b32 s4, exec_lo
	s_clause 0x3
	buffer_load_dword v1, v4, s[0:3], 0 offen
	buffer_load_dword v2, v4, s[0:3], 0 offen offset:4
	buffer_load_dword v3, v4, s[0:3], 0 offen offset:8
	;; [unrolled: 1-line block ×3, first 2 shown]
	s_waitcnt vmcnt(0)
	ds_write_b128 v57, v[1:4]
	s_waitcnt lgkmcnt(0)
	s_barrier
	buffer_gl0_inv
	v_cmpx_gt_u32_e32 24, v0
	s_cbranch_execz .LBB25_111
; %bb.108:
	v_mov_b32_e32 v1, 0
	v_mov_b32_e32 v3, 0
	v_add_nc_u32_e32 v59, -1, v0
	v_add_nc_u32_e32 v60, 0x1a0, v63
	v_mov_b32_e32 v2, 0
	v_mov_b32_e32 v4, 0
	v_add_nc_u32_e32 v61, 16, v63
	s_mov_b32 s5, 0
	.p2align	6
.LBB25_109:                             ; =>This Inner Loop Header: Depth=1
	s_clause 0x3
	buffer_load_dword v68, v61, s[0:3], 0 offen offset:8
	buffer_load_dword v69, v61, s[0:3], 0 offen offset:12
	buffer_load_dword v70, v61, s[0:3], 0 offen
	buffer_load_dword v71, v61, s[0:3], 0 offen offset:4
	ds_read_b128 v[64:67], v60
	v_add_nc_u32_e32 v59, 1, v59
	v_add_nc_u32_e32 v60, 16, v60
	;; [unrolled: 1-line block ×3, first 2 shown]
	v_cmp_lt_u32_e32 vcc_lo, 22, v59
	s_or_b32 s5, vcc_lo, s5
	s_waitcnt vmcnt(2) lgkmcnt(0)
	v_mul_f64 v[72:73], v[66:67], v[68:69]
	v_mul_f64 v[68:69], v[64:65], v[68:69]
	s_waitcnt vmcnt(0)
	v_fma_f64 v[64:65], v[64:65], v[70:71], -v[72:73]
	v_fma_f64 v[66:67], v[66:67], v[70:71], v[68:69]
	v_add_f64 v[3:4], v[3:4], v[64:65]
	v_add_f64 v[1:2], v[1:2], v[66:67]
	s_andn2_b32 exec_lo, exec_lo, s5
	s_cbranch_execnz .LBB25_109
; %bb.110:
	s_or_b32 exec_lo, exec_lo, s5
	v_mov_b32_e32 v59, 0
	ds_read_b128 v[59:62], v59 offset:384
	s_waitcnt lgkmcnt(0)
	v_mul_f64 v[64:65], v[1:2], v[61:62]
	v_mul_f64 v[61:62], v[3:4], v[61:62]
	v_fma_f64 v[3:4], v[3:4], v[59:60], -v[64:65]
	v_fma_f64 v[1:2], v[1:2], v[59:60], v[61:62]
	buffer_store_dword v4, off, s[0:3], 0 offset:404
	buffer_store_dword v3, off, s[0:3], 0 offset:400
	buffer_store_dword v2, off, s[0:3], 0 offset:412
	buffer_store_dword v1, off, s[0:3], 0 offset:408
.LBB25_111:
	s_or_b32 exec_lo, exec_lo, s4
	v_mov_b32_e32 v4, s34
	s_waitcnt_vscnt null, 0x0
	s_barrier
	buffer_gl0_inv
	s_mov_b32 s4, exec_lo
	s_clause 0x3
	buffer_load_dword v1, v4, s[0:3], 0 offen
	buffer_load_dword v2, v4, s[0:3], 0 offen offset:4
	buffer_load_dword v3, v4, s[0:3], 0 offen offset:8
	;; [unrolled: 1-line block ×3, first 2 shown]
	s_waitcnt vmcnt(0)
	ds_write_b128 v57, v[1:4]
	s_waitcnt lgkmcnt(0)
	s_barrier
	buffer_gl0_inv
	v_cmpx_ne_u32_e32 25, v0
	s_cbranch_execz .LBB25_115
; %bb.112:
	v_mov_b32_e32 v1, 0
	v_mov_b32_e32 v3, 0
	;; [unrolled: 1-line block ×4, first 2 shown]
	v_add_nc_u32_e32 v59, 16, v63
	s_mov_b32 s5, 0
	.p2align	6
.LBB25_113:                             ; =>This Inner Loop Header: Depth=1
	s_clause 0x3
	buffer_load_dword v64, v59, s[0:3], 0 offen offset:8
	buffer_load_dword v65, v59, s[0:3], 0 offen offset:12
	buffer_load_dword v66, v59, s[0:3], 0 offen
	buffer_load_dword v67, v59, s[0:3], 0 offen offset:4
	ds_read_b128 v[60:63], v57
	v_add_nc_u32_e32 v58, 1, v58
	v_add_nc_u32_e32 v57, 16, v57
	;; [unrolled: 1-line block ×3, first 2 shown]
	v_cmp_lt_u32_e32 vcc_lo, 23, v58
	s_or_b32 s5, vcc_lo, s5
	s_waitcnt vmcnt(2) lgkmcnt(0)
	v_mul_f64 v[68:69], v[62:63], v[64:65]
	v_mul_f64 v[64:65], v[60:61], v[64:65]
	s_waitcnt vmcnt(0)
	v_fma_f64 v[60:61], v[60:61], v[66:67], -v[68:69]
	v_fma_f64 v[62:63], v[62:63], v[66:67], v[64:65]
	v_add_f64 v[3:4], v[3:4], v[60:61]
	v_add_f64 v[1:2], v[1:2], v[62:63]
	s_andn2_b32 exec_lo, exec_lo, s5
	s_cbranch_execnz .LBB25_113
; %bb.114:
	s_or_b32 exec_lo, exec_lo, s5
	v_mov_b32_e32 v57, 0
	ds_read_b128 v[57:60], v57 offset:400
	s_waitcnt lgkmcnt(0)
	v_mul_f64 v[61:62], v[1:2], v[59:60]
	v_mul_f64 v[59:60], v[3:4], v[59:60]
	v_fma_f64 v[3:4], v[3:4], v[57:58], -v[61:62]
	v_fma_f64 v[1:2], v[1:2], v[57:58], v[59:60]
	buffer_store_dword v4, off, s[0:3], 0 offset:420
	buffer_store_dword v3, off, s[0:3], 0 offset:416
	;; [unrolled: 1-line block ×4, first 2 shown]
.LBB25_115:
	s_or_b32 exec_lo, exec_lo, s4
	s_mov_b32 s5, -1
	s_waitcnt_vscnt null, 0x0
	s_barrier
	buffer_gl0_inv
.LBB25_116:
	s_and_b32 vcc_lo, exec_lo, s5
	s_cbranch_vccz .LBB25_118
; %bb.117:
	s_lshl_b64 s[4:5], s[6:7], 2
	v_mov_b32_e32 v1, 0
	s_add_u32 s4, s10, s4
	s_addc_u32 s5, s11, s5
	global_load_dword v1, v1, s[4:5]
	s_waitcnt vmcnt(0)
	v_cmp_ne_u32_e32 vcc_lo, 0, v1
	s_cbranch_vccz .LBB25_119
.LBB25_118:
	s_endpgm
.LBB25_119:
	v_lshl_add_u32 v1, v0, 4, 0x1a0
	s_mov_b32 s4, exec_lo
	v_cmpx_eq_u32_e32 25, v0
	s_cbranch_execz .LBB25_121
; %bb.120:
	v_mov_b32_e32 v2, s33
	s_clause 0x3
	buffer_load_dword v57, v2, s[0:3], 0 offen
	buffer_load_dword v58, v2, s[0:3], 0 offen offset:4
	buffer_load_dword v59, v2, s[0:3], 0 offen offset:8
	;; [unrolled: 1-line block ×3, first 2 shown]
	v_mov_b32_e32 v2, 0
	buffer_store_dword v2, off, s[0:3], 0 offset:400
	buffer_store_dword v2, off, s[0:3], 0 offset:404
	;; [unrolled: 1-line block ×4, first 2 shown]
	s_waitcnt vmcnt(0)
	ds_write_b128 v1, v[57:60]
.LBB25_121:
	s_or_b32 exec_lo, exec_lo, s4
	s_waitcnt lgkmcnt(0)
	s_waitcnt_vscnt null, 0x0
	s_barrier
	buffer_gl0_inv
	s_clause 0x7
	buffer_load_dword v3, off, s[0:3], 0 offset:424
	buffer_load_dword v4, off, s[0:3], 0 offset:428
	;; [unrolled: 1-line block ×8, first 2 shown]
	v_mov_b32_e32 v2, 0
	s_mov_b32 s4, exec_lo
	ds_read_b128 v[57:60], v2 offset:816
	s_waitcnt vmcnt(6) lgkmcnt(0)
	v_mul_f64 v[67:68], v[59:60], v[3:4]
	v_mul_f64 v[3:4], v[57:58], v[3:4]
	s_waitcnt vmcnt(4)
	v_fma_f64 v[57:58], v[57:58], v[61:62], -v[67:68]
	v_fma_f64 v[3:4], v[59:60], v[61:62], v[3:4]
	v_add_f64 v[57:58], v[57:58], 0
	v_add_f64 v[3:4], v[3:4], 0
	s_waitcnt vmcnt(2)
	v_add_f64 v[57:58], v[63:64], -v[57:58]
	s_waitcnt vmcnt(0)
	v_add_f64 v[3:4], v[65:66], -v[3:4]
	buffer_store_dword v57, off, s[0:3], 0 offset:400
	buffer_store_dword v58, off, s[0:3], 0 offset:404
	;; [unrolled: 1-line block ×4, first 2 shown]
	v_cmpx_lt_u32_e32 23, v0
	s_cbranch_execz .LBB25_123
; %bb.122:
	v_mov_b32_e32 v3, s31
	s_clause 0x3
	buffer_load_dword v57, v3, s[0:3], 0 offen
	buffer_load_dword v58, v3, s[0:3], 0 offen offset:4
	buffer_load_dword v59, v3, s[0:3], 0 offen offset:8
	;; [unrolled: 1-line block ×3, first 2 shown]
	buffer_store_dword v2, off, s[0:3], 0 offset:384
	buffer_store_dword v2, off, s[0:3], 0 offset:388
	;; [unrolled: 1-line block ×4, first 2 shown]
	s_waitcnt vmcnt(0)
	ds_write_b128 v1, v[57:60]
.LBB25_123:
	s_or_b32 exec_lo, exec_lo, s4
	s_waitcnt lgkmcnt(0)
	s_waitcnt_vscnt null, 0x0
	s_barrier
	buffer_gl0_inv
	s_clause 0xb
	buffer_load_dword v3, off, s[0:3], 0 offset:408
	buffer_load_dword v4, off, s[0:3], 0 offset:412
	;; [unrolled: 1-line block ×12, first 2 shown]
	ds_read_b128 v[57:60], v2 offset:800
	ds_read_b128 v[61:64], v2 offset:816
	s_mov_b32 s4, exec_lo
	s_waitcnt vmcnt(10) lgkmcnt(1)
	v_mul_f64 v[75:76], v[59:60], v[3:4]
	v_mul_f64 v[2:3], v[57:58], v[3:4]
	s_waitcnt vmcnt(8) lgkmcnt(0)
	v_mul_f64 v[77:78], v[63:64], v[65:66]
	v_mul_f64 v[65:66], v[61:62], v[65:66]
	s_waitcnt vmcnt(6)
	v_fma_f64 v[57:58], v[57:58], v[67:68], -v[75:76]
	v_fma_f64 v[2:3], v[59:60], v[67:68], v[2:3]
	s_waitcnt vmcnt(4)
	v_fma_f64 v[59:60], v[61:62], v[69:70], -v[77:78]
	v_fma_f64 v[61:62], v[63:64], v[69:70], v[65:66]
	v_add_f64 v[57:58], v[57:58], 0
	v_add_f64 v[2:3], v[2:3], 0
	;; [unrolled: 1-line block ×4, first 2 shown]
	s_waitcnt vmcnt(2)
	v_add_f64 v[57:58], v[71:72], -v[57:58]
	s_waitcnt vmcnt(0)
	v_add_f64 v[2:3], v[73:74], -v[2:3]
	buffer_store_dword v57, off, s[0:3], 0 offset:384
	buffer_store_dword v58, off, s[0:3], 0 offset:388
	;; [unrolled: 1-line block ×4, first 2 shown]
	v_cmpx_lt_u32_e32 22, v0
	s_cbranch_execz .LBB25_125
; %bb.124:
	v_mov_b32_e32 v2, s30
	s_clause 0x3
	buffer_load_dword v57, v2, s[0:3], 0 offen
	buffer_load_dword v58, v2, s[0:3], 0 offen offset:4
	buffer_load_dword v59, v2, s[0:3], 0 offen offset:8
	;; [unrolled: 1-line block ×3, first 2 shown]
	v_mov_b32_e32 v2, 0
	buffer_store_dword v2, off, s[0:3], 0 offset:368
	buffer_store_dword v2, off, s[0:3], 0 offset:372
	;; [unrolled: 1-line block ×4, first 2 shown]
	s_waitcnt vmcnt(0)
	ds_write_b128 v1, v[57:60]
.LBB25_125:
	s_or_b32 exec_lo, exec_lo, s4
	s_waitcnt lgkmcnt(0)
	s_waitcnt_vscnt null, 0x0
	s_barrier
	buffer_gl0_inv
	s_clause 0xf
	buffer_load_dword v3, off, s[0:3], 0 offset:392
	buffer_load_dword v4, off, s[0:3], 0 offset:396
	;; [unrolled: 1-line block ×16, first 2 shown]
	v_mov_b32_e32 v2, 0
	ds_read_b128 v[57:60], v2 offset:784
	ds_read_b128 v[61:64], v2 offset:800
	;; [unrolled: 1-line block ×3, first 2 shown]
	s_mov_b32 s4, exec_lo
	s_waitcnt vmcnt(14) lgkmcnt(2)
	v_mul_f64 v[83:84], v[59:60], v[3:4]
	v_mul_f64 v[3:4], v[57:58], v[3:4]
	s_waitcnt vmcnt(12) lgkmcnt(1)
	v_mul_f64 v[85:86], v[63:64], v[69:70]
	v_mul_f64 v[69:70], v[61:62], v[69:70]
	s_waitcnt vmcnt(10)
	v_fma_f64 v[57:58], v[57:58], v[71:72], -v[83:84]
	v_fma_f64 v[3:4], v[59:60], v[71:72], v[3:4]
	s_waitcnt vmcnt(8) lgkmcnt(0)
	v_mul_f64 v[71:72], v[67:68], v[73:74]
	s_waitcnt vmcnt(6)
	v_fma_f64 v[61:62], v[61:62], v[75:76], -v[85:86]
	v_mul_f64 v[59:60], v[65:66], v[73:74]
	v_fma_f64 v[63:64], v[63:64], v[75:76], v[69:70]
	v_add_f64 v[57:58], v[57:58], 0
	v_add_f64 v[3:4], v[3:4], 0
	s_waitcnt vmcnt(4)
	v_fma_f64 v[65:66], v[65:66], v[77:78], -v[71:72]
	v_fma_f64 v[59:60], v[67:68], v[77:78], v[59:60]
	v_add_f64 v[57:58], v[57:58], v[61:62]
	v_add_f64 v[3:4], v[3:4], v[63:64]
	;; [unrolled: 1-line block ×4, first 2 shown]
	s_waitcnt vmcnt(2)
	v_add_f64 v[57:58], v[79:80], -v[57:58]
	s_waitcnt vmcnt(0)
	v_add_f64 v[3:4], v[81:82], -v[3:4]
	buffer_store_dword v57, off, s[0:3], 0 offset:368
	buffer_store_dword v58, off, s[0:3], 0 offset:372
	;; [unrolled: 1-line block ×4, first 2 shown]
	v_cmpx_lt_u32_e32 21, v0
	s_cbranch_execz .LBB25_127
; %bb.126:
	v_mov_b32_e32 v3, s29
	s_clause 0x3
	buffer_load_dword v57, v3, s[0:3], 0 offen
	buffer_load_dword v58, v3, s[0:3], 0 offen offset:4
	buffer_load_dword v59, v3, s[0:3], 0 offen offset:8
	;; [unrolled: 1-line block ×3, first 2 shown]
	buffer_store_dword v2, off, s[0:3], 0 offset:352
	buffer_store_dword v2, off, s[0:3], 0 offset:356
	;; [unrolled: 1-line block ×4, first 2 shown]
	s_waitcnt vmcnt(0)
	ds_write_b128 v1, v[57:60]
.LBB25_127:
	s_or_b32 exec_lo, exec_lo, s4
	s_waitcnt lgkmcnt(0)
	s_waitcnt_vscnt null, 0x0
	s_barrier
	buffer_gl0_inv
	s_clause 0x13
	buffer_load_dword v3, off, s[0:3], 0 offset:376
	buffer_load_dword v4, off, s[0:3], 0 offset:380
	;; [unrolled: 1-line block ×20, first 2 shown]
	ds_read_b128 v[57:60], v2 offset:768
	ds_read_b128 v[61:64], v2 offset:784
	;; [unrolled: 1-line block ×3, first 2 shown]
	s_mov_b32 s4, exec_lo
	s_waitcnt vmcnt(18) lgkmcnt(2)
	v_mul_f64 v[87:88], v[59:60], v[3:4]
	v_mul_f64 v[3:4], v[57:58], v[3:4]
	s_waitcnt vmcnt(16) lgkmcnt(1)
	v_mul_f64 v[89:90], v[63:64], v[69:70]
	v_mul_f64 v[69:70], v[61:62], v[69:70]
	s_waitcnt vmcnt(14)
	v_fma_f64 v[87:88], v[57:58], v[71:72], -v[87:88]
	v_fma_f64 v[3:4], v[59:60], v[71:72], v[3:4]
	ds_read_b128 v[57:60], v2 offset:816
	s_waitcnt vmcnt(12) lgkmcnt(1)
	v_mul_f64 v[71:72], v[65:66], v[73:74]
	v_mul_f64 v[73:74], v[67:68], v[73:74]
	s_waitcnt vmcnt(10)
	v_fma_f64 v[61:62], v[61:62], v[75:76], -v[89:90]
	v_fma_f64 v[63:64], v[63:64], v[75:76], v[69:70]
	s_waitcnt vmcnt(8) lgkmcnt(0)
	v_mul_f64 v[75:76], v[59:60], v[77:78]
	v_add_f64 v[87:88], v[87:88], 0
	v_add_f64 v[2:3], v[3:4], 0
	v_mul_f64 v[69:70], v[57:58], v[77:78]
	s_waitcnt vmcnt(6)
	v_fma_f64 v[65:66], v[65:66], v[79:80], -v[73:74]
	v_fma_f64 v[67:68], v[67:68], v[79:80], v[71:72]
	s_waitcnt vmcnt(4)
	v_fma_f64 v[57:58], v[57:58], v[81:82], -v[75:76]
	v_add_f64 v[61:62], v[87:88], v[61:62]
	v_add_f64 v[2:3], v[2:3], v[63:64]
	v_fma_f64 v[59:60], v[59:60], v[81:82], v[69:70]
	v_add_f64 v[61:62], v[61:62], v[65:66]
	v_add_f64 v[2:3], v[2:3], v[67:68]
	;; [unrolled: 1-line block ×4, first 2 shown]
	s_waitcnt vmcnt(2)
	v_add_f64 v[57:58], v[83:84], -v[57:58]
	s_waitcnt vmcnt(0)
	v_add_f64 v[2:3], v[85:86], -v[2:3]
	buffer_store_dword v57, off, s[0:3], 0 offset:352
	buffer_store_dword v58, off, s[0:3], 0 offset:356
	;; [unrolled: 1-line block ×4, first 2 shown]
	v_cmpx_lt_u32_e32 20, v0
	s_cbranch_execz .LBB25_129
; %bb.128:
	v_mov_b32_e32 v2, s28
	s_clause 0x3
	buffer_load_dword v57, v2, s[0:3], 0 offen
	buffer_load_dword v58, v2, s[0:3], 0 offen offset:4
	buffer_load_dword v59, v2, s[0:3], 0 offen offset:8
	;; [unrolled: 1-line block ×3, first 2 shown]
	v_mov_b32_e32 v2, 0
	buffer_store_dword v2, off, s[0:3], 0 offset:336
	buffer_store_dword v2, off, s[0:3], 0 offset:340
	;; [unrolled: 1-line block ×4, first 2 shown]
	s_waitcnt vmcnt(0)
	ds_write_b128 v1, v[57:60]
.LBB25_129:
	s_or_b32 exec_lo, exec_lo, s4
	s_waitcnt lgkmcnt(0)
	s_waitcnt_vscnt null, 0x0
	s_barrier
	buffer_gl0_inv
	s_clause 0x17
	buffer_load_dword v3, off, s[0:3], 0 offset:360
	buffer_load_dword v4, off, s[0:3], 0 offset:364
	buffer_load_dword v69, off, s[0:3], 0 offset:376
	buffer_load_dword v70, off, s[0:3], 0 offset:380
	buffer_load_dword v71, off, s[0:3], 0 offset:352
	buffer_load_dword v72, off, s[0:3], 0 offset:356
	buffer_load_dword v73, off, s[0:3], 0 offset:392
	buffer_load_dword v74, off, s[0:3], 0 offset:396
	buffer_load_dword v75, off, s[0:3], 0 offset:368
	buffer_load_dword v76, off, s[0:3], 0 offset:372
	buffer_load_dword v78, off, s[0:3], 0 offset:412
	buffer_load_dword v79, off, s[0:3], 0 offset:424
	buffer_load_dword v81, off, s[0:3], 0 offset:416
	buffer_load_dword v77, off, s[0:3], 0 offset:408
	buffer_load_dword v83, off, s[0:3], 0 offset:384
	buffer_load_dword v84, off, s[0:3], 0 offset:388
	buffer_load_dword v80, off, s[0:3], 0 offset:428
	buffer_load_dword v86, off, s[0:3], 0 offset:404
	buffer_load_dword v85, off, s[0:3], 0 offset:400
	buffer_load_dword v82, off, s[0:3], 0 offset:420
	buffer_load_dword v87, off, s[0:3], 0 offset:336
	buffer_load_dword v88, off, s[0:3], 0 offset:340
	buffer_load_dword v89, off, s[0:3], 0 offset:344
	buffer_load_dword v90, off, s[0:3], 0 offset:348
	v_mov_b32_e32 v2, 0
	ds_read_b128 v[57:60], v2 offset:752
	ds_read_b128 v[61:64], v2 offset:768
	;; [unrolled: 1-line block ×3, first 2 shown]
	s_mov_b32 s4, exec_lo
	s_waitcnt vmcnt(22) lgkmcnt(2)
	v_mul_f64 v[91:92], v[59:60], v[3:4]
	v_mul_f64 v[3:4], v[57:58], v[3:4]
	s_waitcnt vmcnt(20) lgkmcnt(1)
	v_mul_f64 v[93:94], v[63:64], v[69:70]
	v_mul_f64 v[69:70], v[61:62], v[69:70]
	s_waitcnt vmcnt(18)
	v_fma_f64 v[91:92], v[57:58], v[71:72], -v[91:92]
	v_fma_f64 v[3:4], v[59:60], v[71:72], v[3:4]
	ds_read_b128 v[57:60], v2 offset:800
	s_waitcnt vmcnt(16) lgkmcnt(1)
	v_mul_f64 v[71:72], v[65:66], v[73:74]
	v_mul_f64 v[73:74], v[67:68], v[73:74]
	s_waitcnt vmcnt(14)
	v_fma_f64 v[93:94], v[61:62], v[75:76], -v[93:94]
	v_fma_f64 v[69:70], v[63:64], v[75:76], v[69:70]
	ds_read_b128 v[61:64], v2 offset:816
	s_waitcnt vmcnt(10) lgkmcnt(1)
	v_mul_f64 v[75:76], v[57:58], v[77:78]
	v_add_f64 v[91:92], v[91:92], 0
	v_add_f64 v[3:4], v[3:4], 0
	v_mul_f64 v[77:78], v[59:60], v[77:78]
	s_waitcnt vmcnt(8)
	v_fma_f64 v[65:66], v[65:66], v[83:84], -v[73:74]
	v_fma_f64 v[67:68], v[67:68], v[83:84], v[71:72]
	s_waitcnt vmcnt(7) lgkmcnt(0)
	v_mul_f64 v[71:72], v[63:64], v[79:80]
	s_waitcnt vmcnt(5)
	v_fma_f64 v[59:60], v[59:60], v[85:86], v[75:76]
	v_add_f64 v[73:74], v[91:92], v[93:94]
	v_add_f64 v[3:4], v[3:4], v[69:70]
	v_fma_f64 v[57:58], v[57:58], v[85:86], -v[77:78]
	v_mul_f64 v[69:70], v[61:62], v[79:80]
	s_waitcnt vmcnt(4)
	v_fma_f64 v[61:62], v[61:62], v[81:82], -v[71:72]
	v_add_f64 v[65:66], v[73:74], v[65:66]
	v_add_f64 v[3:4], v[3:4], v[67:68]
	v_fma_f64 v[63:64], v[63:64], v[81:82], v[69:70]
	v_add_f64 v[57:58], v[65:66], v[57:58]
	v_add_f64 v[3:4], v[3:4], v[59:60]
	;; [unrolled: 1-line block ×4, first 2 shown]
	s_waitcnt vmcnt(2)
	v_add_f64 v[57:58], v[87:88], -v[57:58]
	s_waitcnt vmcnt(0)
	v_add_f64 v[3:4], v[89:90], -v[3:4]
	buffer_store_dword v58, off, s[0:3], 0 offset:340
	buffer_store_dword v57, off, s[0:3], 0 offset:336
	;; [unrolled: 1-line block ×4, first 2 shown]
	v_cmpx_lt_u32_e32 19, v0
	s_cbranch_execz .LBB25_131
; %bb.130:
	v_mov_b32_e32 v3, s27
	s_clause 0x3
	buffer_load_dword v57, v3, s[0:3], 0 offen
	buffer_load_dword v58, v3, s[0:3], 0 offen offset:4
	buffer_load_dword v59, v3, s[0:3], 0 offen offset:8
	buffer_load_dword v60, v3, s[0:3], 0 offen offset:12
	buffer_store_dword v2, off, s[0:3], 0 offset:320
	buffer_store_dword v2, off, s[0:3], 0 offset:324
	;; [unrolled: 1-line block ×4, first 2 shown]
	s_waitcnt vmcnt(0)
	ds_write_b128 v1, v[57:60]
.LBB25_131:
	s_or_b32 exec_lo, exec_lo, s4
	s_waitcnt lgkmcnt(0)
	s_waitcnt_vscnt null, 0x0
	s_barrier
	buffer_gl0_inv
	s_clause 0x1b
	buffer_load_dword v3, off, s[0:3], 0 offset:344
	buffer_load_dword v4, off, s[0:3], 0 offset:348
	;; [unrolled: 1-line block ×28, first 2 shown]
	ds_read_b128 v[57:60], v2 offset:736
	ds_read_b128 v[61:64], v2 offset:752
	;; [unrolled: 1-line block ×3, first 2 shown]
	s_mov_b32 s4, exec_lo
	s_waitcnt vmcnt(26) lgkmcnt(2)
	v_mul_f64 v[95:96], v[59:60], v[3:4]
	v_mul_f64 v[3:4], v[57:58], v[3:4]
	s_waitcnt vmcnt(24) lgkmcnt(1)
	v_mul_f64 v[97:98], v[63:64], v[69:70]
	v_mul_f64 v[69:70], v[61:62], v[69:70]
	s_waitcnt vmcnt(22)
	v_fma_f64 v[95:96], v[57:58], v[71:72], -v[95:96]
	v_fma_f64 v[3:4], v[59:60], v[71:72], v[3:4]
	ds_read_b128 v[57:60], v2 offset:784
	s_waitcnt vmcnt(20) lgkmcnt(1)
	v_mul_f64 v[71:72], v[65:66], v[73:74]
	v_mul_f64 v[73:74], v[67:68], v[73:74]
	s_waitcnt vmcnt(18)
	v_fma_f64 v[97:98], v[61:62], v[75:76], -v[97:98]
	v_fma_f64 v[69:70], v[63:64], v[75:76], v[69:70]
	ds_read_b128 v[61:64], v2 offset:800
	s_waitcnt vmcnt(14) lgkmcnt(1)
	v_mul_f64 v[75:76], v[57:58], v[77:78]
	v_add_f64 v[95:96], v[95:96], 0
	v_add_f64 v[3:4], v[3:4], 0
	v_mul_f64 v[77:78], v[59:60], v[77:78]
	s_waitcnt vmcnt(12)
	v_fma_f64 v[73:74], v[65:66], v[83:84], -v[73:74]
	v_fma_f64 v[71:72], v[67:68], v[83:84], v[71:72]
	ds_read_b128 v[65:68], v2 offset:816
	s_waitcnt vmcnt(9)
	v_fma_f64 v[59:60], v[59:60], v[85:86], v[75:76]
	v_add_f64 v[95:96], v[95:96], v[97:98]
	v_add_f64 v[3:4], v[3:4], v[69:70]
	s_waitcnt lgkmcnt(1)
	v_mul_f64 v[69:70], v[61:62], v[79:80]
	v_mul_f64 v[79:80], v[63:64], v[79:80]
	v_fma_f64 v[57:58], v[57:58], v[85:86], -v[77:78]
	s_waitcnt vmcnt(7) lgkmcnt(0)
	v_mul_f64 v[75:76], v[67:68], v[87:88]
	v_add_f64 v[73:74], v[95:96], v[73:74]
	v_add_f64 v[2:3], v[3:4], v[71:72]
	v_mul_f64 v[71:72], v[65:66], v[87:88]
	s_waitcnt vmcnt(6)
	v_fma_f64 v[61:62], v[61:62], v[81:82], -v[79:80]
	v_fma_f64 v[63:64], v[63:64], v[81:82], v[69:70]
	v_add_f64 v[57:58], v[73:74], v[57:58]
	v_add_f64 v[2:3], v[2:3], v[59:60]
	s_waitcnt vmcnt(4)
	v_fma_f64 v[59:60], v[65:66], v[89:90], -v[75:76]
	v_add_f64 v[57:58], v[57:58], v[61:62]
	v_fma_f64 v[61:62], v[67:68], v[89:90], v[71:72]
	v_add_f64 v[2:3], v[2:3], v[63:64]
	v_add_f64 v[57:58], v[57:58], v[59:60]
	;; [unrolled: 1-line block ×3, first 2 shown]
	s_waitcnt vmcnt(2)
	v_add_f64 v[57:58], v[91:92], -v[57:58]
	s_waitcnt vmcnt(0)
	v_add_f64 v[2:3], v[93:94], -v[2:3]
	buffer_store_dword v58, off, s[0:3], 0 offset:324
	buffer_store_dword v57, off, s[0:3], 0 offset:320
	;; [unrolled: 1-line block ×4, first 2 shown]
	v_cmpx_lt_u32_e32 18, v0
	s_cbranch_execz .LBB25_133
; %bb.132:
	v_mov_b32_e32 v2, s26
	s_clause 0x3
	buffer_load_dword v57, v2, s[0:3], 0 offen
	buffer_load_dword v58, v2, s[0:3], 0 offen offset:4
	buffer_load_dword v59, v2, s[0:3], 0 offen offset:8
	;; [unrolled: 1-line block ×3, first 2 shown]
	v_mov_b32_e32 v2, 0
	buffer_store_dword v2, off, s[0:3], 0 offset:304
	buffer_store_dword v2, off, s[0:3], 0 offset:308
	;; [unrolled: 1-line block ×4, first 2 shown]
	s_waitcnt vmcnt(0)
	ds_write_b128 v1, v[57:60]
.LBB25_133:
	s_or_b32 exec_lo, exec_lo, s4
	s_waitcnt lgkmcnt(0)
	s_waitcnt_vscnt null, 0x0
	s_barrier
	buffer_gl0_inv
	s_clause 0x1f
	buffer_load_dword v3, off, s[0:3], 0 offset:328
	buffer_load_dword v4, off, s[0:3], 0 offset:332
	;; [unrolled: 1-line block ×32, first 2 shown]
	v_mov_b32_e32 v2, 0
	ds_read_b128 v[57:60], v2 offset:720
	ds_read_b128 v[61:64], v2 offset:736
	;; [unrolled: 1-line block ×3, first 2 shown]
	s_mov_b32 s4, exec_lo
	s_waitcnt vmcnt(30) lgkmcnt(2)
	v_mul_f64 v[99:100], v[59:60], v[3:4]
	v_mul_f64 v[3:4], v[57:58], v[3:4]
	s_waitcnt vmcnt(28) lgkmcnt(1)
	v_mul_f64 v[101:102], v[63:64], v[69:70]
	v_mul_f64 v[69:70], v[61:62], v[69:70]
	s_waitcnt vmcnt(26)
	v_fma_f64 v[99:100], v[57:58], v[71:72], -v[99:100]
	v_fma_f64 v[3:4], v[59:60], v[71:72], v[3:4]
	ds_read_b128 v[57:60], v2 offset:768
	s_waitcnt vmcnt(24) lgkmcnt(1)
	v_mul_f64 v[71:72], v[65:66], v[73:74]
	v_mul_f64 v[73:74], v[67:68], v[73:74]
	s_waitcnt vmcnt(22)
	v_fma_f64 v[101:102], v[61:62], v[75:76], -v[101:102]
	v_fma_f64 v[69:70], v[63:64], v[75:76], v[69:70]
	ds_read_b128 v[61:64], v2 offset:784
	s_waitcnt vmcnt(18) lgkmcnt(1)
	v_mul_f64 v[75:76], v[57:58], v[77:78]
	v_add_f64 v[99:100], v[99:100], 0
	v_add_f64 v[3:4], v[3:4], 0
	v_mul_f64 v[77:78], v[59:60], v[77:78]
	s_waitcnt vmcnt(16)
	v_fma_f64 v[73:74], v[65:66], v[83:84], -v[73:74]
	v_fma_f64 v[71:72], v[67:68], v[83:84], v[71:72]
	ds_read_b128 v[65:68], v2 offset:800
	s_waitcnt vmcnt(13)
	v_fma_f64 v[75:76], v[59:60], v[85:86], v[75:76]
	v_add_f64 v[99:100], v[99:100], v[101:102]
	v_add_f64 v[3:4], v[3:4], v[69:70]
	s_waitcnt lgkmcnt(1)
	v_mul_f64 v[69:70], v[61:62], v[79:80]
	v_mul_f64 v[79:80], v[63:64], v[79:80]
	v_fma_f64 v[77:78], v[57:58], v[85:86], -v[77:78]
	s_waitcnt vmcnt(9) lgkmcnt(0)
	v_mul_f64 v[83:84], v[67:68], v[87:88]
	ds_read_b128 v[57:60], v2 offset:816
	v_add_f64 v[73:74], v[99:100], v[73:74]
	v_add_f64 v[3:4], v[3:4], v[71:72]
	v_mul_f64 v[71:72], v[65:66], v[87:88]
	s_waitcnt vmcnt(8)
	v_fma_f64 v[61:62], v[61:62], v[81:82], -v[79:80]
	v_fma_f64 v[63:64], v[63:64], v[81:82], v[69:70]
	s_waitcnt vmcnt(5)
	v_fma_f64 v[65:66], v[65:66], v[93:94], -v[83:84]
	s_waitcnt lgkmcnt(0)
	v_mul_f64 v[69:70], v[57:58], v[89:90]
	v_add_f64 v[73:74], v[73:74], v[77:78]
	v_add_f64 v[3:4], v[3:4], v[75:76]
	v_mul_f64 v[75:76], v[59:60], v[89:90]
	v_fma_f64 v[67:68], v[67:68], v[93:94], v[71:72]
	s_waitcnt vmcnt(4)
	v_fma_f64 v[59:60], v[59:60], v[91:92], v[69:70]
	v_add_f64 v[61:62], v[73:74], v[61:62]
	v_add_f64 v[3:4], v[3:4], v[63:64]
	v_fma_f64 v[57:58], v[57:58], v[91:92], -v[75:76]
	v_add_f64 v[61:62], v[61:62], v[65:66]
	v_add_f64 v[3:4], v[3:4], v[67:68]
	;; [unrolled: 1-line block ×4, first 2 shown]
	s_waitcnt vmcnt(2)
	v_add_f64 v[57:58], v[95:96], -v[57:58]
	s_waitcnt vmcnt(0)
	v_add_f64 v[3:4], v[97:98], -v[3:4]
	buffer_store_dword v58, off, s[0:3], 0 offset:308
	buffer_store_dword v57, off, s[0:3], 0 offset:304
	;; [unrolled: 1-line block ×4, first 2 shown]
	v_cmpx_lt_u32_e32 17, v0
	s_cbranch_execz .LBB25_135
; %bb.134:
	v_mov_b32_e32 v3, s25
	s_clause 0x3
	buffer_load_dword v57, v3, s[0:3], 0 offen
	buffer_load_dword v58, v3, s[0:3], 0 offen offset:4
	buffer_load_dword v59, v3, s[0:3], 0 offen offset:8
	;; [unrolled: 1-line block ×3, first 2 shown]
	buffer_store_dword v2, off, s[0:3], 0 offset:288
	buffer_store_dword v2, off, s[0:3], 0 offset:292
	;; [unrolled: 1-line block ×4, first 2 shown]
	s_waitcnt vmcnt(0)
	ds_write_b128 v1, v[57:60]
.LBB25_135:
	s_or_b32 exec_lo, exec_lo, s4
	s_waitcnt lgkmcnt(0)
	s_waitcnt_vscnt null, 0x0
	s_barrier
	buffer_gl0_inv
	s_clause 0x23
	buffer_load_dword v3, off, s[0:3], 0 offset:312
	buffer_load_dword v4, off, s[0:3], 0 offset:316
	;; [unrolled: 1-line block ×36, first 2 shown]
	ds_read_b128 v[57:60], v2 offset:704
	ds_read_b128 v[61:64], v2 offset:720
	;; [unrolled: 1-line block ×3, first 2 shown]
	s_mov_b32 s4, exec_lo
	s_waitcnt vmcnt(34) lgkmcnt(2)
	v_mul_f64 v[103:104], v[59:60], v[3:4]
	v_mul_f64 v[3:4], v[57:58], v[3:4]
	s_waitcnt vmcnt(32) lgkmcnt(1)
	v_mul_f64 v[105:106], v[63:64], v[69:70]
	v_mul_f64 v[69:70], v[61:62], v[69:70]
	s_waitcnt vmcnt(30)
	v_fma_f64 v[103:104], v[57:58], v[71:72], -v[103:104]
	v_fma_f64 v[3:4], v[59:60], v[71:72], v[3:4]
	ds_read_b128 v[57:60], v2 offset:752
	s_waitcnt vmcnt(28) lgkmcnt(1)
	v_mul_f64 v[71:72], v[65:66], v[73:74]
	v_mul_f64 v[73:74], v[67:68], v[73:74]
	s_waitcnt vmcnt(26)
	v_fma_f64 v[105:106], v[61:62], v[75:76], -v[105:106]
	v_fma_f64 v[69:70], v[63:64], v[75:76], v[69:70]
	ds_read_b128 v[61:64], v2 offset:768
	s_waitcnt vmcnt(22) lgkmcnt(1)
	v_mul_f64 v[75:76], v[57:58], v[77:78]
	v_add_f64 v[103:104], v[103:104], 0
	v_add_f64 v[3:4], v[3:4], 0
	v_mul_f64 v[77:78], v[59:60], v[77:78]
	s_waitcnt vmcnt(20)
	v_fma_f64 v[73:74], v[65:66], v[83:84], -v[73:74]
	v_fma_f64 v[71:72], v[67:68], v[83:84], v[71:72]
	ds_read_b128 v[65:68], v2 offset:784
	s_waitcnt vmcnt(17)
	v_fma_f64 v[75:76], v[59:60], v[85:86], v[75:76]
	v_add_f64 v[103:104], v[103:104], v[105:106]
	v_add_f64 v[3:4], v[3:4], v[69:70]
	s_waitcnt lgkmcnt(1)
	v_mul_f64 v[69:70], v[61:62], v[79:80]
	v_mul_f64 v[79:80], v[63:64], v[79:80]
	v_fma_f64 v[77:78], v[57:58], v[85:86], -v[77:78]
	s_waitcnt vmcnt(13) lgkmcnt(0)
	v_mul_f64 v[83:84], v[67:68], v[87:88]
	ds_read_b128 v[57:60], v2 offset:800
	v_add_f64 v[73:74], v[103:104], v[73:74]
	v_add_f64 v[3:4], v[3:4], v[71:72]
	v_mul_f64 v[71:72], v[65:66], v[87:88]
	s_waitcnt vmcnt(12)
	v_fma_f64 v[79:80], v[61:62], v[81:82], -v[79:80]
	v_fma_f64 v[69:70], v[63:64], v[81:82], v[69:70]
	ds_read_b128 v[61:64], v2 offset:816
	s_waitcnt vmcnt(9)
	v_fma_f64 v[65:66], v[65:66], v[93:94], -v[83:84]
	v_add_f64 v[73:74], v[73:74], v[77:78]
	v_add_f64 v[3:4], v[3:4], v[75:76]
	s_waitcnt lgkmcnt(1)
	v_mul_f64 v[77:78], v[59:60], v[89:90]
	v_mul_f64 v[75:76], v[57:58], v[89:90]
	v_fma_f64 v[67:68], v[67:68], v[93:94], v[71:72]
	s_waitcnt vmcnt(7) lgkmcnt(0)
	v_mul_f64 v[71:72], v[63:64], v[95:96]
	v_add_f64 v[73:74], v[73:74], v[79:80]
	v_add_f64 v[2:3], v[3:4], v[69:70]
	s_waitcnt vmcnt(6)
	v_fma_f64 v[57:58], v[57:58], v[91:92], -v[77:78]
	v_mul_f64 v[69:70], v[61:62], v[95:96]
	v_fma_f64 v[59:60], v[59:60], v[91:92], v[75:76]
	s_waitcnt vmcnt(4)
	v_fma_f64 v[61:62], v[61:62], v[97:98], -v[71:72]
	v_add_f64 v[65:66], v[73:74], v[65:66]
	v_add_f64 v[2:3], v[2:3], v[67:68]
	v_fma_f64 v[63:64], v[63:64], v[97:98], v[69:70]
	v_add_f64 v[57:58], v[65:66], v[57:58]
	v_add_f64 v[2:3], v[2:3], v[59:60]
	;; [unrolled: 1-line block ×4, first 2 shown]
	s_waitcnt vmcnt(2)
	v_add_f64 v[57:58], v[99:100], -v[57:58]
	s_waitcnt vmcnt(0)
	v_add_f64 v[2:3], v[101:102], -v[2:3]
	buffer_store_dword v58, off, s[0:3], 0 offset:292
	buffer_store_dword v57, off, s[0:3], 0 offset:288
	;; [unrolled: 1-line block ×4, first 2 shown]
	v_cmpx_lt_u32_e32 16, v0
	s_cbranch_execz .LBB25_137
; %bb.136:
	v_mov_b32_e32 v2, s24
	s_clause 0x3
	buffer_load_dword v57, v2, s[0:3], 0 offen
	buffer_load_dword v58, v2, s[0:3], 0 offen offset:4
	buffer_load_dword v59, v2, s[0:3], 0 offen offset:8
	;; [unrolled: 1-line block ×3, first 2 shown]
	v_mov_b32_e32 v2, 0
	buffer_store_dword v2, off, s[0:3], 0 offset:272
	buffer_store_dword v2, off, s[0:3], 0 offset:276
	buffer_store_dword v2, off, s[0:3], 0 offset:280
	buffer_store_dword v2, off, s[0:3], 0 offset:284
	s_waitcnt vmcnt(0)
	ds_write_b128 v1, v[57:60]
.LBB25_137:
	s_or_b32 exec_lo, exec_lo, s4
	s_waitcnt lgkmcnt(0)
	s_waitcnt_vscnt null, 0x0
	s_barrier
	buffer_gl0_inv
	s_clause 0x27
	buffer_load_dword v3, off, s[0:3], 0 offset:296
	buffer_load_dword v4, off, s[0:3], 0 offset:300
	;; [unrolled: 1-line block ×40, first 2 shown]
	v_mov_b32_e32 v2, 0
	ds_read_b128 v[57:60], v2 offset:688
	ds_read_b128 v[61:64], v2 offset:704
	;; [unrolled: 1-line block ×3, first 2 shown]
	s_mov_b32 s4, exec_lo
	s_waitcnt vmcnt(38) lgkmcnt(2)
	v_mul_f64 v[107:108], v[59:60], v[3:4]
	v_mul_f64 v[3:4], v[57:58], v[3:4]
	s_waitcnt vmcnt(36) lgkmcnt(1)
	v_mul_f64 v[109:110], v[63:64], v[69:70]
	v_mul_f64 v[69:70], v[61:62], v[69:70]
	s_waitcnt vmcnt(34)
	v_fma_f64 v[107:108], v[57:58], v[71:72], -v[107:108]
	v_fma_f64 v[3:4], v[59:60], v[71:72], v[3:4]
	ds_read_b128 v[57:60], v2 offset:736
	s_waitcnt vmcnt(32) lgkmcnt(1)
	v_mul_f64 v[71:72], v[65:66], v[73:74]
	v_mul_f64 v[73:74], v[67:68], v[73:74]
	s_waitcnt vmcnt(30)
	v_fma_f64 v[109:110], v[61:62], v[75:76], -v[109:110]
	v_fma_f64 v[69:70], v[63:64], v[75:76], v[69:70]
	ds_read_b128 v[61:64], v2 offset:752
	s_waitcnt vmcnt(26) lgkmcnt(1)
	v_mul_f64 v[75:76], v[57:58], v[77:78]
	v_add_f64 v[107:108], v[107:108], 0
	v_add_f64 v[3:4], v[3:4], 0
	v_mul_f64 v[77:78], v[59:60], v[77:78]
	s_waitcnt vmcnt(24)
	v_fma_f64 v[73:74], v[65:66], v[83:84], -v[73:74]
	v_fma_f64 v[71:72], v[67:68], v[83:84], v[71:72]
	ds_read_b128 v[65:68], v2 offset:768
	s_waitcnt vmcnt(21)
	v_fma_f64 v[75:76], v[59:60], v[85:86], v[75:76]
	v_add_f64 v[107:108], v[107:108], v[109:110]
	v_add_f64 v[3:4], v[3:4], v[69:70]
	s_waitcnt lgkmcnt(1)
	v_mul_f64 v[69:70], v[61:62], v[79:80]
	v_mul_f64 v[79:80], v[63:64], v[79:80]
	v_fma_f64 v[77:78], v[57:58], v[85:86], -v[77:78]
	s_waitcnt vmcnt(17) lgkmcnt(0)
	v_mul_f64 v[83:84], v[67:68], v[87:88]
	ds_read_b128 v[57:60], v2 offset:784
	v_add_f64 v[73:74], v[107:108], v[73:74]
	v_add_f64 v[3:4], v[3:4], v[71:72]
	v_mul_f64 v[71:72], v[65:66], v[87:88]
	s_waitcnt vmcnt(16)
	v_fma_f64 v[79:80], v[61:62], v[81:82], -v[79:80]
	v_fma_f64 v[69:70], v[63:64], v[81:82], v[69:70]
	ds_read_b128 v[61:64], v2 offset:800
	s_waitcnt vmcnt(13)
	v_fma_f64 v[81:82], v[65:66], v[93:94], -v[83:84]
	v_add_f64 v[73:74], v[73:74], v[77:78]
	v_add_f64 v[3:4], v[3:4], v[75:76]
	s_waitcnt lgkmcnt(1)
	v_mul_f64 v[77:78], v[59:60], v[89:90]
	v_mul_f64 v[75:76], v[57:58], v[89:90]
	v_fma_f64 v[71:72], v[67:68], v[93:94], v[71:72]
	ds_read_b128 v[65:68], v2 offset:816
	v_add_f64 v[73:74], v[73:74], v[79:80]
	v_add_f64 v[3:4], v[3:4], v[69:70]
	s_waitcnt vmcnt(9) lgkmcnt(1)
	v_mul_f64 v[79:80], v[63:64], v[95:96]
	s_waitcnt vmcnt(8)
	v_fma_f64 v[57:58], v[57:58], v[91:92], -v[77:78]
	v_mul_f64 v[69:70], v[61:62], v[95:96]
	v_fma_f64 v[59:60], v[59:60], v[91:92], v[75:76]
	s_waitcnt vmcnt(7) lgkmcnt(0)
	v_mul_f64 v[75:76], v[67:68], v[97:98]
	v_add_f64 v[73:74], v[73:74], v[81:82]
	v_add_f64 v[3:4], v[3:4], v[71:72]
	s_waitcnt vmcnt(5)
	v_fma_f64 v[61:62], v[61:62], v[101:102], -v[79:80]
	v_mul_f64 v[71:72], v[65:66], v[97:98]
	v_fma_f64 v[63:64], v[63:64], v[101:102], v[69:70]
	v_add_f64 v[57:58], v[73:74], v[57:58]
	v_add_f64 v[3:4], v[3:4], v[59:60]
	s_waitcnt vmcnt(4)
	v_fma_f64 v[59:60], v[65:66], v[99:100], -v[75:76]
	v_add_f64 v[57:58], v[57:58], v[61:62]
	v_fma_f64 v[61:62], v[67:68], v[99:100], v[71:72]
	v_add_f64 v[3:4], v[3:4], v[63:64]
	v_add_f64 v[57:58], v[57:58], v[59:60]
	;; [unrolled: 1-line block ×3, first 2 shown]
	s_waitcnt vmcnt(2)
	v_add_f64 v[57:58], v[103:104], -v[57:58]
	s_waitcnt vmcnt(0)
	v_add_f64 v[3:4], v[105:106], -v[3:4]
	buffer_store_dword v58, off, s[0:3], 0 offset:276
	buffer_store_dword v57, off, s[0:3], 0 offset:272
	;; [unrolled: 1-line block ×4, first 2 shown]
	v_cmpx_lt_u32_e32 15, v0
	s_cbranch_execz .LBB25_139
; %bb.138:
	v_mov_b32_e32 v3, s23
	s_clause 0x3
	buffer_load_dword v57, v3, s[0:3], 0 offen
	buffer_load_dword v58, v3, s[0:3], 0 offen offset:4
	buffer_load_dword v59, v3, s[0:3], 0 offen offset:8
	buffer_load_dword v60, v3, s[0:3], 0 offen offset:12
	buffer_store_dword v2, off, s[0:3], 0 offset:256
	buffer_store_dword v2, off, s[0:3], 0 offset:260
	;; [unrolled: 1-line block ×4, first 2 shown]
	s_waitcnt vmcnt(0)
	ds_write_b128 v1, v[57:60]
.LBB25_139:
	s_or_b32 exec_lo, exec_lo, s4
	s_waitcnt lgkmcnt(0)
	s_waitcnt_vscnt null, 0x0
	s_barrier
	buffer_gl0_inv
	s_clause 0x2b
	buffer_load_dword v3, off, s[0:3], 0 offset:280
	buffer_load_dword v4, off, s[0:3], 0 offset:284
	;; [unrolled: 1-line block ×44, first 2 shown]
	ds_read_b128 v[57:60], v2 offset:672
	ds_read_b128 v[61:64], v2 offset:688
	;; [unrolled: 1-line block ×3, first 2 shown]
	s_mov_b32 s4, exec_lo
	s_waitcnt vmcnt(42) lgkmcnt(2)
	v_mul_f64 v[111:112], v[59:60], v[3:4]
	v_mul_f64 v[3:4], v[57:58], v[3:4]
	s_waitcnt vmcnt(40) lgkmcnt(1)
	v_mul_f64 v[113:114], v[63:64], v[69:70]
	v_mul_f64 v[69:70], v[61:62], v[69:70]
	s_waitcnt vmcnt(38)
	v_fma_f64 v[111:112], v[57:58], v[71:72], -v[111:112]
	v_fma_f64 v[3:4], v[59:60], v[71:72], v[3:4]
	ds_read_b128 v[57:60], v2 offset:720
	s_waitcnt vmcnt(36) lgkmcnt(1)
	v_mul_f64 v[71:72], v[65:66], v[73:74]
	v_mul_f64 v[73:74], v[67:68], v[73:74]
	s_waitcnt vmcnt(34)
	v_fma_f64 v[113:114], v[61:62], v[75:76], -v[113:114]
	v_fma_f64 v[69:70], v[63:64], v[75:76], v[69:70]
	ds_read_b128 v[61:64], v2 offset:736
	s_waitcnt vmcnt(30) lgkmcnt(1)
	v_mul_f64 v[75:76], v[57:58], v[77:78]
	v_add_f64 v[111:112], v[111:112], 0
	v_add_f64 v[3:4], v[3:4], 0
	v_mul_f64 v[77:78], v[59:60], v[77:78]
	s_waitcnt vmcnt(28)
	v_fma_f64 v[73:74], v[65:66], v[83:84], -v[73:74]
	v_fma_f64 v[71:72], v[67:68], v[83:84], v[71:72]
	ds_read_b128 v[65:68], v2 offset:752
	s_waitcnt vmcnt(25)
	v_fma_f64 v[75:76], v[59:60], v[85:86], v[75:76]
	v_add_f64 v[111:112], v[111:112], v[113:114]
	v_add_f64 v[3:4], v[3:4], v[69:70]
	s_waitcnt lgkmcnt(1)
	v_mul_f64 v[69:70], v[61:62], v[79:80]
	v_mul_f64 v[79:80], v[63:64], v[79:80]
	v_fma_f64 v[77:78], v[57:58], v[85:86], -v[77:78]
	s_waitcnt vmcnt(21) lgkmcnt(0)
	v_mul_f64 v[83:84], v[67:68], v[87:88]
	ds_read_b128 v[57:60], v2 offset:768
	v_add_f64 v[73:74], v[111:112], v[73:74]
	v_add_f64 v[3:4], v[3:4], v[71:72]
	v_mul_f64 v[71:72], v[65:66], v[87:88]
	s_waitcnt vmcnt(20)
	v_fma_f64 v[79:80], v[61:62], v[81:82], -v[79:80]
	v_fma_f64 v[69:70], v[63:64], v[81:82], v[69:70]
	ds_read_b128 v[61:64], v2 offset:784
	s_waitcnt vmcnt(17)
	v_fma_f64 v[81:82], v[65:66], v[93:94], -v[83:84]
	v_add_f64 v[73:74], v[73:74], v[77:78]
	v_add_f64 v[3:4], v[3:4], v[75:76]
	s_waitcnt lgkmcnt(1)
	v_mul_f64 v[77:78], v[59:60], v[89:90]
	v_mul_f64 v[75:76], v[57:58], v[89:90]
	v_fma_f64 v[71:72], v[67:68], v[93:94], v[71:72]
	ds_read_b128 v[65:68], v2 offset:800
	v_add_f64 v[73:74], v[73:74], v[79:80]
	v_add_f64 v[3:4], v[3:4], v[69:70]
	s_waitcnt vmcnt(13) lgkmcnt(1)
	v_mul_f64 v[79:80], v[63:64], v[95:96]
	s_waitcnt vmcnt(12)
	v_fma_f64 v[77:78], v[57:58], v[91:92], -v[77:78]
	v_mul_f64 v[69:70], v[61:62], v[95:96]
	v_fma_f64 v[75:76], v[59:60], v[91:92], v[75:76]
	ds_read_b128 v[57:60], v2 offset:816
	v_add_f64 v[73:74], v[73:74], v[81:82]
	v_add_f64 v[3:4], v[3:4], v[71:72]
	s_waitcnt vmcnt(11) lgkmcnt(1)
	v_mul_f64 v[81:82], v[67:68], v[97:98]
	s_waitcnt vmcnt(9)
	v_fma_f64 v[61:62], v[61:62], v[101:102], -v[79:80]
	v_mul_f64 v[71:72], v[65:66], v[97:98]
	v_fma_f64 v[63:64], v[63:64], v[101:102], v[69:70]
	s_waitcnt vmcnt(7) lgkmcnt(0)
	v_mul_f64 v[69:70], v[57:58], v[103:104]
	v_add_f64 v[73:74], v[73:74], v[77:78]
	v_add_f64 v[2:3], v[3:4], v[75:76]
	v_mul_f64 v[75:76], v[59:60], v[103:104]
	s_waitcnt vmcnt(6)
	v_fma_f64 v[65:66], v[65:66], v[99:100], -v[81:82]
	v_fma_f64 v[67:68], v[67:68], v[99:100], v[71:72]
	s_waitcnt vmcnt(4)
	v_fma_f64 v[59:60], v[59:60], v[105:106], v[69:70]
	v_add_f64 v[61:62], v[73:74], v[61:62]
	v_add_f64 v[2:3], v[2:3], v[63:64]
	v_fma_f64 v[57:58], v[57:58], v[105:106], -v[75:76]
	v_add_f64 v[61:62], v[61:62], v[65:66]
	v_add_f64 v[2:3], v[2:3], v[67:68]
	;; [unrolled: 1-line block ×4, first 2 shown]
	s_waitcnt vmcnt(2)
	v_add_f64 v[57:58], v[107:108], -v[57:58]
	s_waitcnt vmcnt(0)
	v_add_f64 v[2:3], v[109:110], -v[2:3]
	buffer_store_dword v58, off, s[0:3], 0 offset:260
	buffer_store_dword v57, off, s[0:3], 0 offset:256
	;; [unrolled: 1-line block ×4, first 2 shown]
	v_cmpx_lt_u32_e32 14, v0
	s_cbranch_execz .LBB25_141
; %bb.140:
	v_mov_b32_e32 v2, s22
	s_clause 0x3
	buffer_load_dword v57, v2, s[0:3], 0 offen
	buffer_load_dword v58, v2, s[0:3], 0 offen offset:4
	buffer_load_dword v59, v2, s[0:3], 0 offen offset:8
	;; [unrolled: 1-line block ×3, first 2 shown]
	v_mov_b32_e32 v2, 0
	buffer_store_dword v2, off, s[0:3], 0 offset:240
	buffer_store_dword v2, off, s[0:3], 0 offset:244
	;; [unrolled: 1-line block ×4, first 2 shown]
	s_waitcnt vmcnt(0)
	ds_write_b128 v1, v[57:60]
.LBB25_141:
	s_or_b32 exec_lo, exec_lo, s4
	s_waitcnt lgkmcnt(0)
	s_waitcnt_vscnt null, 0x0
	s_barrier
	buffer_gl0_inv
	s_clause 0x2f
	buffer_load_dword v3, off, s[0:3], 0 offset:264
	buffer_load_dword v4, off, s[0:3], 0 offset:268
	;; [unrolled: 1-line block ×48, first 2 shown]
	v_mov_b32_e32 v2, 0
	ds_read_b128 v[57:60], v2 offset:656
	ds_read_b128 v[61:64], v2 offset:672
	;; [unrolled: 1-line block ×3, first 2 shown]
	s_mov_b32 s4, exec_lo
	s_waitcnt vmcnt(46) lgkmcnt(2)
	v_mul_f64 v[115:116], v[59:60], v[3:4]
	v_mul_f64 v[3:4], v[57:58], v[3:4]
	s_waitcnt vmcnt(44) lgkmcnt(1)
	v_mul_f64 v[117:118], v[63:64], v[69:70]
	v_mul_f64 v[69:70], v[61:62], v[69:70]
	s_waitcnt vmcnt(42)
	v_fma_f64 v[115:116], v[57:58], v[71:72], -v[115:116]
	v_fma_f64 v[3:4], v[59:60], v[71:72], v[3:4]
	ds_read_b128 v[57:60], v2 offset:704
	s_waitcnt vmcnt(40) lgkmcnt(1)
	v_mul_f64 v[71:72], v[65:66], v[73:74]
	v_mul_f64 v[73:74], v[67:68], v[73:74]
	s_waitcnt vmcnt(38)
	v_fma_f64 v[117:118], v[61:62], v[75:76], -v[117:118]
	v_fma_f64 v[69:70], v[63:64], v[75:76], v[69:70]
	ds_read_b128 v[61:64], v2 offset:720
	s_waitcnt vmcnt(34) lgkmcnt(1)
	v_mul_f64 v[75:76], v[57:58], v[77:78]
	v_add_f64 v[115:116], v[115:116], 0
	v_add_f64 v[3:4], v[3:4], 0
	v_mul_f64 v[77:78], v[59:60], v[77:78]
	s_waitcnt vmcnt(32)
	v_fma_f64 v[73:74], v[65:66], v[83:84], -v[73:74]
	v_fma_f64 v[71:72], v[67:68], v[83:84], v[71:72]
	ds_read_b128 v[65:68], v2 offset:736
	s_waitcnt vmcnt(29)
	v_fma_f64 v[75:76], v[59:60], v[85:86], v[75:76]
	v_add_f64 v[115:116], v[115:116], v[117:118]
	v_add_f64 v[3:4], v[3:4], v[69:70]
	s_waitcnt lgkmcnt(1)
	v_mul_f64 v[69:70], v[61:62], v[79:80]
	v_mul_f64 v[79:80], v[63:64], v[79:80]
	v_fma_f64 v[77:78], v[57:58], v[85:86], -v[77:78]
	s_waitcnt vmcnt(25) lgkmcnt(0)
	v_mul_f64 v[83:84], v[67:68], v[87:88]
	ds_read_b128 v[57:60], v2 offset:752
	v_add_f64 v[73:74], v[115:116], v[73:74]
	v_add_f64 v[3:4], v[3:4], v[71:72]
	v_mul_f64 v[71:72], v[65:66], v[87:88]
	s_waitcnt vmcnt(24)
	v_fma_f64 v[79:80], v[61:62], v[81:82], -v[79:80]
	v_fma_f64 v[69:70], v[63:64], v[81:82], v[69:70]
	ds_read_b128 v[61:64], v2 offset:768
	s_waitcnt vmcnt(21)
	v_fma_f64 v[81:82], v[65:66], v[93:94], -v[83:84]
	v_add_f64 v[73:74], v[73:74], v[77:78]
	v_add_f64 v[3:4], v[3:4], v[75:76]
	s_waitcnt lgkmcnt(1)
	v_mul_f64 v[77:78], v[59:60], v[89:90]
	v_mul_f64 v[75:76], v[57:58], v[89:90]
	v_fma_f64 v[71:72], v[67:68], v[93:94], v[71:72]
	ds_read_b128 v[65:68], v2 offset:784
	v_add_f64 v[73:74], v[73:74], v[79:80]
	v_add_f64 v[3:4], v[3:4], v[69:70]
	s_waitcnt vmcnt(17) lgkmcnt(1)
	v_mul_f64 v[79:80], v[63:64], v[95:96]
	s_waitcnt vmcnt(16)
	v_fma_f64 v[77:78], v[57:58], v[91:92], -v[77:78]
	v_mul_f64 v[69:70], v[61:62], v[95:96]
	v_fma_f64 v[75:76], v[59:60], v[91:92], v[75:76]
	ds_read_b128 v[57:60], v2 offset:800
	v_add_f64 v[73:74], v[73:74], v[81:82]
	v_add_f64 v[3:4], v[3:4], v[71:72]
	s_waitcnt vmcnt(15) lgkmcnt(1)
	v_mul_f64 v[81:82], v[67:68], v[97:98]
	s_waitcnt vmcnt(13)
	v_fma_f64 v[79:80], v[61:62], v[101:102], -v[79:80]
	v_mul_f64 v[71:72], v[65:66], v[97:98]
	v_fma_f64 v[69:70], v[63:64], v[101:102], v[69:70]
	ds_read_b128 v[61:64], v2 offset:816
	v_add_f64 v[73:74], v[73:74], v[77:78]
	v_add_f64 v[3:4], v[3:4], v[75:76]
	s_waitcnt vmcnt(9) lgkmcnt(1)
	v_mul_f64 v[77:78], v[59:60], v[103:104]
	s_waitcnt vmcnt(8)
	v_fma_f64 v[65:66], v[65:66], v[99:100], -v[81:82]
	v_mul_f64 v[75:76], v[57:58], v[103:104]
	v_fma_f64 v[67:68], v[67:68], v[99:100], v[71:72]
	s_waitcnt vmcnt(7) lgkmcnt(0)
	v_mul_f64 v[71:72], v[63:64], v[105:106]
	v_add_f64 v[73:74], v[73:74], v[79:80]
	v_add_f64 v[3:4], v[3:4], v[69:70]
	s_waitcnt vmcnt(5)
	v_fma_f64 v[57:58], v[57:58], v[109:110], -v[77:78]
	v_mul_f64 v[69:70], v[61:62], v[105:106]
	v_fma_f64 v[59:60], v[59:60], v[109:110], v[75:76]
	s_waitcnt vmcnt(4)
	v_fma_f64 v[61:62], v[61:62], v[107:108], -v[71:72]
	v_add_f64 v[65:66], v[73:74], v[65:66]
	v_add_f64 v[3:4], v[3:4], v[67:68]
	v_fma_f64 v[63:64], v[63:64], v[107:108], v[69:70]
	v_add_f64 v[57:58], v[65:66], v[57:58]
	v_add_f64 v[3:4], v[3:4], v[59:60]
	;; [unrolled: 1-line block ×4, first 2 shown]
	s_waitcnt vmcnt(2)
	v_add_f64 v[57:58], v[111:112], -v[57:58]
	s_waitcnt vmcnt(0)
	v_add_f64 v[3:4], v[113:114], -v[3:4]
	buffer_store_dword v58, off, s[0:3], 0 offset:244
	buffer_store_dword v57, off, s[0:3], 0 offset:240
	;; [unrolled: 1-line block ×4, first 2 shown]
	v_cmpx_lt_u32_e32 13, v0
	s_cbranch_execz .LBB25_143
; %bb.142:
	v_mov_b32_e32 v3, s19
	s_clause 0x3
	buffer_load_dword v57, v3, s[0:3], 0 offen
	buffer_load_dword v58, v3, s[0:3], 0 offen offset:4
	buffer_load_dword v59, v3, s[0:3], 0 offen offset:8
	;; [unrolled: 1-line block ×3, first 2 shown]
	buffer_store_dword v2, off, s[0:3], 0 offset:224
	buffer_store_dword v2, off, s[0:3], 0 offset:228
	buffer_store_dword v2, off, s[0:3], 0 offset:232
	buffer_store_dword v2, off, s[0:3], 0 offset:236
	s_waitcnt vmcnt(0)
	ds_write_b128 v1, v[57:60]
.LBB25_143:
	s_or_b32 exec_lo, exec_lo, s4
	s_waitcnt lgkmcnt(0)
	s_waitcnt_vscnt null, 0x0
	s_barrier
	buffer_gl0_inv
	s_clause 0x2f
	buffer_load_dword v3, off, s[0:3], 0 offset:248
	buffer_load_dword v4, off, s[0:3], 0 offset:252
	;; [unrolled: 1-line block ×48, first 2 shown]
	ds_read_b128 v[57:60], v2 offset:640
	s_clause 0x3
	buffer_load_dword v115, off, s[0:3], 0 offset:224
	buffer_load_dword v116, off, s[0:3], 0 offset:228
	;; [unrolled: 1-line block ×4, first 2 shown]
	ds_read_b128 v[61:64], v2 offset:656
	ds_read_b128 v[65:68], v2 offset:672
	s_mov_b32 s4, exec_lo
	s_waitcnt vmcnt(50) lgkmcnt(2)
	v_mul_f64 v[119:120], v[59:60], v[3:4]
	v_mul_f64 v[3:4], v[57:58], v[3:4]
	s_waitcnt vmcnt(48) lgkmcnt(1)
	v_mul_f64 v[121:122], v[63:64], v[69:70]
	v_mul_f64 v[69:70], v[61:62], v[69:70]
	s_waitcnt vmcnt(46)
	v_fma_f64 v[119:120], v[57:58], v[71:72], -v[119:120]
	v_fma_f64 v[3:4], v[59:60], v[71:72], v[3:4]
	s_waitcnt vmcnt(44) lgkmcnt(0)
	v_mul_f64 v[71:72], v[65:66], v[73:74]
	v_mul_f64 v[73:74], v[67:68], v[73:74]
	s_waitcnt vmcnt(42)
	v_fma_f64 v[121:122], v[61:62], v[75:76], -v[121:122]
	ds_read_b128 v[57:60], v2 offset:688
	v_fma_f64 v[69:70], v[63:64], v[75:76], v[69:70]
	ds_read_b128 v[61:64], v2 offset:704
	v_add_f64 v[119:120], v[119:120], 0
	v_add_f64 v[3:4], v[3:4], 0
	s_waitcnt vmcnt(36)
	v_fma_f64 v[71:72], v[67:68], v[83:84], v[71:72]
	s_waitcnt lgkmcnt(1)
	v_mul_f64 v[75:76], v[57:58], v[77:78]
	v_mul_f64 v[77:78], v[59:60], v[77:78]
	v_fma_f64 v[73:74], v[65:66], v[83:84], -v[73:74]
	ds_read_b128 v[65:68], v2 offset:720
	v_add_f64 v[119:120], v[119:120], v[121:122]
	v_add_f64 v[3:4], v[3:4], v[69:70]
	s_waitcnt vmcnt(35) lgkmcnt(1)
	v_mul_f64 v[69:70], v[61:62], v[79:80]
	v_mul_f64 v[79:80], v[63:64], v[79:80]
	s_waitcnt vmcnt(33)
	v_fma_f64 v[77:78], v[57:58], v[85:86], -v[77:78]
	v_fma_f64 v[75:76], v[59:60], v[85:86], v[75:76]
	ds_read_b128 v[57:60], v2 offset:736
	s_waitcnt vmcnt(29) lgkmcnt(1)
	v_mul_f64 v[83:84], v[67:68], v[87:88]
	v_add_f64 v[73:74], v[119:120], v[73:74]
	v_add_f64 v[3:4], v[3:4], v[71:72]
	v_mul_f64 v[71:72], v[65:66], v[87:88]
	s_waitcnt vmcnt(28)
	v_fma_f64 v[79:80], v[61:62], v[81:82], -v[79:80]
	v_fma_f64 v[69:70], v[63:64], v[81:82], v[69:70]
	ds_read_b128 v[61:64], v2 offset:752
	s_waitcnt vmcnt(25)
	v_fma_f64 v[81:82], v[65:66], v[93:94], -v[83:84]
	v_add_f64 v[73:74], v[73:74], v[77:78]
	v_add_f64 v[3:4], v[3:4], v[75:76]
	s_waitcnt lgkmcnt(1)
	v_mul_f64 v[77:78], v[59:60], v[89:90]
	v_mul_f64 v[75:76], v[57:58], v[89:90]
	v_fma_f64 v[71:72], v[67:68], v[93:94], v[71:72]
	ds_read_b128 v[65:68], v2 offset:768
	v_add_f64 v[73:74], v[73:74], v[79:80]
	v_add_f64 v[3:4], v[3:4], v[69:70]
	s_waitcnt vmcnt(21) lgkmcnt(1)
	v_mul_f64 v[79:80], v[63:64], v[95:96]
	s_waitcnt vmcnt(20)
	v_fma_f64 v[77:78], v[57:58], v[91:92], -v[77:78]
	v_mul_f64 v[69:70], v[61:62], v[95:96]
	v_fma_f64 v[75:76], v[59:60], v[91:92], v[75:76]
	ds_read_b128 v[57:60], v2 offset:784
	v_add_f64 v[73:74], v[73:74], v[81:82]
	v_add_f64 v[3:4], v[3:4], v[71:72]
	s_waitcnt vmcnt(19) lgkmcnt(1)
	v_mul_f64 v[81:82], v[67:68], v[97:98]
	s_waitcnt vmcnt(17)
	v_fma_f64 v[79:80], v[61:62], v[101:102], -v[79:80]
	;; [unrolled: 9-line block ×4, first 2 shown]
	v_mul_f64 v[69:70], v[61:62], v[105:106]
	v_fma_f64 v[59:60], v[59:60], v[109:110], v[75:76]
	s_waitcnt vmcnt(7) lgkmcnt(0)
	v_mul_f64 v[75:76], v[67:68], v[111:112]
	v_add_f64 v[73:74], v[73:74], v[81:82]
	v_add_f64 v[2:3], v[3:4], v[71:72]
	s_waitcnt vmcnt(6)
	v_fma_f64 v[61:62], v[61:62], v[107:108], -v[79:80]
	v_mul_f64 v[71:72], v[65:66], v[111:112]
	v_fma_f64 v[63:64], v[63:64], v[107:108], v[69:70]
	v_add_f64 v[57:58], v[73:74], v[57:58]
	v_add_f64 v[2:3], v[2:3], v[59:60]
	s_waitcnt vmcnt(4)
	v_fma_f64 v[59:60], v[65:66], v[113:114], -v[75:76]
	v_add_f64 v[57:58], v[57:58], v[61:62]
	v_fma_f64 v[61:62], v[67:68], v[113:114], v[71:72]
	v_add_f64 v[2:3], v[2:3], v[63:64]
	v_add_f64 v[57:58], v[57:58], v[59:60]
	;; [unrolled: 1-line block ×3, first 2 shown]
	s_waitcnt vmcnt(2)
	v_add_f64 v[57:58], v[115:116], -v[57:58]
	s_waitcnt vmcnt(0)
	v_add_f64 v[2:3], v[117:118], -v[2:3]
	buffer_store_dword v58, off, s[0:3], 0 offset:228
	buffer_store_dword v57, off, s[0:3], 0 offset:224
	;; [unrolled: 1-line block ×4, first 2 shown]
	v_cmpx_lt_u32_e32 12, v0
	s_cbranch_execz .LBB25_145
; %bb.144:
	v_mov_b32_e32 v2, s18
	s_clause 0x3
	buffer_load_dword v57, v2, s[0:3], 0 offen
	buffer_load_dword v58, v2, s[0:3], 0 offen offset:4
	buffer_load_dword v59, v2, s[0:3], 0 offen offset:8
	;; [unrolled: 1-line block ×3, first 2 shown]
	v_mov_b32_e32 v2, 0
	buffer_store_dword v2, off, s[0:3], 0 offset:208
	buffer_store_dword v2, off, s[0:3], 0 offset:212
	;; [unrolled: 1-line block ×4, first 2 shown]
	s_waitcnt vmcnt(0)
	ds_write_b128 v1, v[57:60]
.LBB25_145:
	s_or_b32 exec_lo, exec_lo, s4
	s_waitcnt lgkmcnt(0)
	s_waitcnt_vscnt null, 0x0
	s_barrier
	buffer_gl0_inv
	s_clause 0x33
	buffer_load_dword v3, off, s[0:3], 0 offset:232
	buffer_load_dword v4, off, s[0:3], 0 offset:236
	;; [unrolled: 1-line block ×52, first 2 shown]
	v_mov_b32_e32 v2, 0
	ds_read_b128 v[57:60], v2 offset:624
	ds_read_b128 v[61:64], v2 offset:640
	s_clause 0x3
	buffer_load_dword v121, off, s[0:3], 0 offset:208
	buffer_load_dword v122, off, s[0:3], 0 offset:212
	;; [unrolled: 1-line block ×4, first 2 shown]
	ds_read_b128 v[65:68], v2 offset:656
	s_mov_b32 s4, exec_lo
	s_waitcnt vmcnt(54) lgkmcnt(2)
	v_mul_f64 v[119:120], v[59:60], v[3:4]
	v_mul_f64 v[3:4], v[57:58], v[3:4]
	s_waitcnt vmcnt(52) lgkmcnt(1)
	v_mul_f64 v[125:126], v[63:64], v[69:70]
	v_mul_f64 v[69:70], v[61:62], v[69:70]
	s_waitcnt vmcnt(50)
	v_fma_f64 v[119:120], v[57:58], v[71:72], -v[119:120]
	v_fma_f64 v[3:4], v[59:60], v[71:72], v[3:4]
	ds_read_b128 v[57:60], v2 offset:672
	s_waitcnt vmcnt(48) lgkmcnt(1)
	v_mul_f64 v[71:72], v[65:66], v[73:74]
	v_mul_f64 v[73:74], v[67:68], v[73:74]
	s_waitcnt vmcnt(46)
	v_fma_f64 v[125:126], v[61:62], v[75:76], -v[125:126]
	v_fma_f64 v[69:70], v[63:64], v[75:76], v[69:70]
	ds_read_b128 v[61:64], v2 offset:688
	s_waitcnt vmcnt(42) lgkmcnt(1)
	v_mul_f64 v[75:76], v[57:58], v[77:78]
	v_add_f64 v[119:120], v[119:120], 0
	v_add_f64 v[3:4], v[3:4], 0
	v_mul_f64 v[77:78], v[59:60], v[77:78]
	s_waitcnt vmcnt(40)
	v_fma_f64 v[73:74], v[65:66], v[83:84], -v[73:74]
	v_fma_f64 v[71:72], v[67:68], v[83:84], v[71:72]
	ds_read_b128 v[65:68], v2 offset:704
	s_waitcnt vmcnt(37)
	v_fma_f64 v[75:76], v[59:60], v[85:86], v[75:76]
	v_add_f64 v[119:120], v[119:120], v[125:126]
	v_add_f64 v[3:4], v[3:4], v[69:70]
	s_waitcnt lgkmcnt(1)
	v_mul_f64 v[69:70], v[61:62], v[79:80]
	v_mul_f64 v[79:80], v[63:64], v[79:80]
	v_fma_f64 v[77:78], v[57:58], v[85:86], -v[77:78]
	s_waitcnt vmcnt(33) lgkmcnt(0)
	v_mul_f64 v[83:84], v[67:68], v[87:88]
	ds_read_b128 v[57:60], v2 offset:720
	v_add_f64 v[73:74], v[119:120], v[73:74]
	v_add_f64 v[3:4], v[3:4], v[71:72]
	v_mul_f64 v[71:72], v[65:66], v[87:88]
	s_waitcnt vmcnt(32)
	v_fma_f64 v[79:80], v[61:62], v[81:82], -v[79:80]
	v_fma_f64 v[69:70], v[63:64], v[81:82], v[69:70]
	ds_read_b128 v[61:64], v2 offset:736
	s_waitcnt vmcnt(29)
	v_fma_f64 v[81:82], v[65:66], v[93:94], -v[83:84]
	v_add_f64 v[73:74], v[73:74], v[77:78]
	v_add_f64 v[3:4], v[3:4], v[75:76]
	s_waitcnt lgkmcnt(1)
	v_mul_f64 v[77:78], v[59:60], v[89:90]
	v_mul_f64 v[75:76], v[57:58], v[89:90]
	v_fma_f64 v[71:72], v[67:68], v[93:94], v[71:72]
	ds_read_b128 v[65:68], v2 offset:752
	v_add_f64 v[73:74], v[73:74], v[79:80]
	v_add_f64 v[3:4], v[3:4], v[69:70]
	s_waitcnt vmcnt(25) lgkmcnt(1)
	v_mul_f64 v[79:80], v[63:64], v[95:96]
	s_waitcnt vmcnt(24)
	v_fma_f64 v[77:78], v[57:58], v[91:92], -v[77:78]
	v_mul_f64 v[69:70], v[61:62], v[95:96]
	v_fma_f64 v[75:76], v[59:60], v[91:92], v[75:76]
	ds_read_b128 v[57:60], v2 offset:768
	v_add_f64 v[73:74], v[73:74], v[81:82]
	v_add_f64 v[3:4], v[3:4], v[71:72]
	s_waitcnt vmcnt(23) lgkmcnt(1)
	v_mul_f64 v[81:82], v[67:68], v[97:98]
	s_waitcnt vmcnt(21)
	v_fma_f64 v[79:80], v[61:62], v[101:102], -v[79:80]
	;; [unrolled: 9-line block ×5, first 2 shown]
	v_mul_f64 v[71:72], v[65:66], v[111:112]
	v_fma_f64 v[63:64], v[63:64], v[107:108], v[69:70]
	s_waitcnt vmcnt(7) lgkmcnt(0)
	v_mul_f64 v[69:70], v[57:58], v[113:114]
	v_add_f64 v[73:74], v[73:74], v[77:78]
	v_add_f64 v[3:4], v[3:4], v[75:76]
	v_mul_f64 v[75:76], v[59:60], v[113:114]
	s_waitcnt vmcnt(5)
	v_fma_f64 v[65:66], v[65:66], v[117:118], -v[81:82]
	v_fma_f64 v[67:68], v[67:68], v[117:118], v[71:72]
	s_waitcnt vmcnt(4)
	v_fma_f64 v[59:60], v[59:60], v[115:116], v[69:70]
	v_add_f64 v[61:62], v[73:74], v[61:62]
	v_add_f64 v[3:4], v[3:4], v[63:64]
	v_fma_f64 v[57:58], v[57:58], v[115:116], -v[75:76]
	v_add_f64 v[61:62], v[61:62], v[65:66]
	v_add_f64 v[3:4], v[3:4], v[67:68]
	;; [unrolled: 1-line block ×4, first 2 shown]
	s_waitcnt vmcnt(2)
	v_add_f64 v[57:58], v[121:122], -v[57:58]
	s_waitcnt vmcnt(0)
	v_add_f64 v[3:4], v[123:124], -v[3:4]
	buffer_store_dword v58, off, s[0:3], 0 offset:212
	buffer_store_dword v57, off, s[0:3], 0 offset:208
	;; [unrolled: 1-line block ×4, first 2 shown]
	v_cmpx_lt_u32_e32 11, v0
	s_cbranch_execz .LBB25_147
; %bb.146:
	v_mov_b32_e32 v3, s17
	s_clause 0x3
	buffer_load_dword v57, v3, s[0:3], 0 offen
	buffer_load_dword v58, v3, s[0:3], 0 offen offset:4
	buffer_load_dword v59, v3, s[0:3], 0 offen offset:8
	;; [unrolled: 1-line block ×3, first 2 shown]
	buffer_store_dword v2, off, s[0:3], 0 offset:192
	buffer_store_dword v2, off, s[0:3], 0 offset:196
	;; [unrolled: 1-line block ×4, first 2 shown]
	s_waitcnt vmcnt(0)
	ds_write_b128 v1, v[57:60]
.LBB25_147:
	s_or_b32 exec_lo, exec_lo, s4
	s_waitcnt lgkmcnt(0)
	s_waitcnt_vscnt null, 0x0
	s_barrier
	buffer_gl0_inv
	s_clause 0x35
	buffer_load_dword v3, off, s[0:3], 0 offset:216
	buffer_load_dword v4, off, s[0:3], 0 offset:220
	;; [unrolled: 1-line block ×54, first 2 shown]
	ds_read_b128 v[57:60], v2 offset:608
	s_clause 0x1
	buffer_load_dword v122, off, s[0:3], 0 offset:420
	buffer_load_dword v121, off, s[0:3], 0 offset:416
	ds_read_b128 v[61:64], v2 offset:624
	ds_read_b128 v[65:68], v2 offset:640
	s_mov_b32 s4, exec_lo
	s_waitcnt vmcnt(54) lgkmcnt(2)
	v_mul_f64 v[123:124], v[59:60], v[3:4]
	v_mul_f64 v[3:4], v[57:58], v[3:4]
	s_waitcnt vmcnt(52) lgkmcnt(1)
	v_mul_f64 v[125:126], v[63:64], v[69:70]
	v_mul_f64 v[69:70], v[61:62], v[69:70]
	;; [unrolled: 3-line block ×3, first 2 shown]
	v_fma_f64 v[123:124], v[57:58], v[71:72], -v[123:124]
	v_fma_f64 v[3:4], v[59:60], v[71:72], v[3:4]
	s_clause 0x3
	buffer_load_dword v71, off, s[0:3], 0 offset:192
	buffer_load_dword v72, off, s[0:3], 0 offset:196
	;; [unrolled: 1-line block ×4, first 2 shown]
	s_waitcnt vmcnt(50)
	v_fma_f64 v[125:126], v[61:62], v[75:76], -v[125:126]
	ds_read_b128 v[57:60], v2 offset:656
	v_fma_f64 v[69:70], v[63:64], v[75:76], v[69:70]
	ds_read_b128 v[61:64], v2 offset:672
	s_waitcnt vmcnt(44)
	v_fma_f64 v[73:74], v[65:66], v[83:84], -v[73:74]
	v_fma_f64 v[83:84], v[67:68], v[83:84], v[129:130]
	ds_read_b128 v[65:68], v2 offset:688
	v_add_f64 v[123:124], v[123:124], 0
	v_add_f64 v[3:4], v[3:4], 0
	s_waitcnt lgkmcnt(2)
	v_mul_f64 v[75:76], v[57:58], v[77:78]
	v_mul_f64 v[77:78], v[59:60], v[77:78]
	v_add_f64 v[123:124], v[123:124], v[125:126]
	v_add_f64 v[3:4], v[3:4], v[69:70]
	s_waitcnt vmcnt(43) lgkmcnt(1)
	v_mul_f64 v[69:70], v[61:62], v[79:80]
	v_mul_f64 v[79:80], v[63:64], v[79:80]
	s_waitcnt vmcnt(41)
	v_fma_f64 v[77:78], v[57:58], v[85:86], -v[77:78]
	v_fma_f64 v[75:76], v[59:60], v[85:86], v[75:76]
	ds_read_b128 v[57:60], v2 offset:704
	s_waitcnt vmcnt(37) lgkmcnt(1)
	v_mul_f64 v[85:86], v[67:68], v[87:88]
	v_add_f64 v[73:74], v[123:124], v[73:74]
	v_add_f64 v[3:4], v[3:4], v[83:84]
	v_mul_f64 v[83:84], v[65:66], v[87:88]
	s_waitcnt vmcnt(36)
	v_fma_f64 v[79:80], v[61:62], v[81:82], -v[79:80]
	v_fma_f64 v[69:70], v[63:64], v[81:82], v[69:70]
	ds_read_b128 v[61:64], v2 offset:720
	s_waitcnt vmcnt(33)
	v_fma_f64 v[81:82], v[65:66], v[93:94], -v[85:86]
	v_add_f64 v[73:74], v[73:74], v[77:78]
	v_add_f64 v[3:4], v[3:4], v[75:76]
	s_waitcnt lgkmcnt(1)
	v_mul_f64 v[77:78], v[59:60], v[89:90]
	v_mul_f64 v[75:76], v[57:58], v[89:90]
	v_add_f64 v[73:74], v[73:74], v[79:80]
	v_fma_f64 v[79:80], v[67:68], v[93:94], v[83:84]
	v_add_f64 v[3:4], v[3:4], v[69:70]
	ds_read_b128 v[65:68], v2 offset:736
	s_waitcnt vmcnt(29) lgkmcnt(1)
	v_mul_f64 v[83:84], v[63:64], v[95:96]
	s_waitcnt vmcnt(28)
	v_fma_f64 v[77:78], v[57:58], v[91:92], -v[77:78]
	v_mul_f64 v[69:70], v[61:62], v[95:96]
	v_fma_f64 v[75:76], v[59:60], v[91:92], v[75:76]
	ds_read_b128 v[57:60], v2 offset:752
	v_add_f64 v[73:74], v[73:74], v[81:82]
	s_waitcnt vmcnt(27) lgkmcnt(1)
	v_mul_f64 v[81:82], v[67:68], v[97:98]
	v_add_f64 v[3:4], v[3:4], v[79:80]
	v_mul_f64 v[79:80], v[65:66], v[97:98]
	s_waitcnt vmcnt(25)
	v_fma_f64 v[83:84], v[61:62], v[101:102], -v[83:84]
	v_fma_f64 v[69:70], v[63:64], v[101:102], v[69:70]
	ds_read_b128 v[61:64], v2 offset:768
	v_add_f64 v[73:74], v[73:74], v[77:78]
	s_waitcnt vmcnt(21) lgkmcnt(1)
	v_mul_f64 v[77:78], v[59:60], v[103:104]
	v_add_f64 v[3:4], v[3:4], v[75:76]
	s_waitcnt vmcnt(20)
	v_fma_f64 v[81:82], v[65:66], v[99:100], -v[81:82]
	v_mul_f64 v[75:76], v[57:58], v[103:104]
	v_fma_f64 v[79:80], v[67:68], v[99:100], v[79:80]
	ds_read_b128 v[65:68], v2 offset:784
	v_add_f64 v[73:74], v[73:74], v[83:84]
	s_waitcnt vmcnt(19) lgkmcnt(1)
	v_mul_f64 v[83:84], v[63:64], v[105:106]
	v_add_f64 v[3:4], v[3:4], v[69:70]
	s_waitcnt vmcnt(17)
	v_fma_f64 v[77:78], v[57:58], v[109:110], -v[77:78]
	v_mul_f64 v[69:70], v[61:62], v[105:106]
	;; [unrolled: 9-line block ×4, first 2 shown]
	v_fma_f64 v[67:68], v[67:68], v[117:118], v[79:80]
	s_waitcnt vmcnt(7) lgkmcnt(0)
	v_mul_f64 v[79:80], v[63:64], v[119:120]
	v_add_f64 v[73:74], v[73:74], v[83:84]
	s_waitcnt vmcnt(6)
	v_fma_f64 v[57:58], v[57:58], v[115:116], -v[77:78]
	v_add_f64 v[2:3], v[3:4], v[69:70]
	v_mul_f64 v[69:70], v[61:62], v[119:120]
	v_fma_f64 v[59:60], v[59:60], v[115:116], v[75:76]
	s_waitcnt vmcnt(4)
	v_fma_f64 v[61:62], v[61:62], v[121:122], -v[79:80]
	v_add_f64 v[65:66], v[73:74], v[65:66]
	v_add_f64 v[2:3], v[2:3], v[67:68]
	v_fma_f64 v[63:64], v[63:64], v[121:122], v[69:70]
	v_add_f64 v[57:58], v[65:66], v[57:58]
	v_add_f64 v[2:3], v[2:3], v[59:60]
	;; [unrolled: 1-line block ×4, first 2 shown]
	s_waitcnt vmcnt(2)
	v_add_f64 v[57:58], v[71:72], -v[57:58]
	s_waitcnt vmcnt(0)
	v_add_f64 v[2:3], v[127:128], -v[2:3]
	buffer_store_dword v58, off, s[0:3], 0 offset:196
	buffer_store_dword v57, off, s[0:3], 0 offset:192
	;; [unrolled: 1-line block ×4, first 2 shown]
	v_cmpx_lt_u32_e32 10, v0
	s_cbranch_execz .LBB25_149
; %bb.148:
	v_mov_b32_e32 v2, s16
	s_clause 0x3
	buffer_load_dword v57, v2, s[0:3], 0 offen
	buffer_load_dword v58, v2, s[0:3], 0 offen offset:4
	buffer_load_dword v59, v2, s[0:3], 0 offen offset:8
	;; [unrolled: 1-line block ×3, first 2 shown]
	v_mov_b32_e32 v2, 0
	buffer_store_dword v2, off, s[0:3], 0 offset:176
	buffer_store_dword v2, off, s[0:3], 0 offset:180
	;; [unrolled: 1-line block ×4, first 2 shown]
	s_waitcnt vmcnt(0)
	ds_write_b128 v1, v[57:60]
.LBB25_149:
	s_or_b32 exec_lo, exec_lo, s4
	s_waitcnt lgkmcnt(0)
	s_waitcnt_vscnt null, 0x0
	s_barrier
	buffer_gl0_inv
	s_clause 0x37
	buffer_load_dword v3, off, s[0:3], 0 offset:200
	buffer_load_dword v4, off, s[0:3], 0 offset:204
	;; [unrolled: 1-line block ×56, first 2 shown]
	v_mov_b32_e32 v2, 0
	s_mov_b32 s4, exec_lo
	ds_read_b128 v[57:60], v2 offset:592
	s_clause 0x2
	buffer_load_dword v122, off, s[0:3], 0 offset:428
	buffer_load_dword v126, off, s[0:3], 0 offset:404
	;; [unrolled: 1-line block ×3, first 2 shown]
	ds_read_b128 v[61:64], v2 offset:608
	ds_read_b128 v[65:68], v2 offset:624
	buffer_load_dword v124, off, s[0:3], 0 offset:420
	s_waitcnt vmcnt(58) lgkmcnt(2)
	v_mul_f64 v[127:128], v[59:60], v[3:4]
	v_mul_f64 v[3:4], v[57:58], v[3:4]
	s_waitcnt vmcnt(56) lgkmcnt(1)
	v_mul_f64 v[129:130], v[63:64], v[69:70]
	v_mul_f64 v[69:70], v[61:62], v[69:70]
	s_waitcnt vmcnt(54)
	v_fma_f64 v[127:128], v[57:58], v[71:72], -v[127:128]
	v_fma_f64 v[3:4], v[59:60], v[71:72], v[3:4]
	s_waitcnt vmcnt(52) lgkmcnt(0)
	v_mul_f64 v[71:72], v[65:66], v[73:74]
	v_mul_f64 v[73:74], v[67:68], v[73:74]
	s_waitcnt vmcnt(50)
	v_fma_f64 v[129:130], v[61:62], v[75:76], -v[129:130]
	ds_read_b128 v[57:60], v2 offset:640
	v_fma_f64 v[69:70], v[63:64], v[75:76], v[69:70]
	s_clause 0x3
	buffer_load_dword v75, off, s[0:3], 0 offset:176
	buffer_load_dword v76, off, s[0:3], 0 offset:180
	;; [unrolled: 1-line block ×4, first 2 shown]
	ds_read_b128 v[61:64], v2 offset:656
	v_add_f64 v[127:128], v[127:128], 0
	v_add_f64 v[3:4], v[3:4], 0
	s_waitcnt vmcnt(48)
	v_fma_f64 v[71:72], v[67:68], v[83:84], v[71:72]
	s_waitcnt lgkmcnt(1)
	v_mul_f64 v[133:134], v[57:58], v[77:78]
	v_mul_f64 v[77:78], v[59:60], v[77:78]
	v_fma_f64 v[73:74], v[65:66], v[83:84], -v[73:74]
	ds_read_b128 v[65:68], v2 offset:672
	v_add_f64 v[127:128], v[127:128], v[129:130]
	v_add_f64 v[3:4], v[3:4], v[69:70]
	s_waitcnt vmcnt(47) lgkmcnt(1)
	v_mul_f64 v[69:70], v[61:62], v[79:80]
	v_mul_f64 v[79:80], v[63:64], v[79:80]
	s_waitcnt vmcnt(45)
	v_fma_f64 v[77:78], v[57:58], v[85:86], -v[77:78]
	v_fma_f64 v[83:84], v[59:60], v[85:86], v[133:134]
	s_waitcnt vmcnt(41) lgkmcnt(0)
	v_mul_f64 v[85:86], v[67:68], v[87:88]
	ds_read_b128 v[57:60], v2 offset:688
	v_add_f64 v[73:74], v[127:128], v[73:74]
	v_add_f64 v[3:4], v[3:4], v[71:72]
	v_mul_f64 v[71:72], v[65:66], v[87:88]
	s_waitcnt vmcnt(40)
	v_fma_f64 v[79:80], v[61:62], v[81:82], -v[79:80]
	v_fma_f64 v[69:70], v[63:64], v[81:82], v[69:70]
	ds_read_b128 v[61:64], v2 offset:704
	s_waitcnt vmcnt(39) lgkmcnt(1)
	v_mul_f64 v[81:82], v[59:60], v[89:90]
	v_add_f64 v[73:74], v[73:74], v[77:78]
	v_add_f64 v[3:4], v[3:4], v[83:84]
	s_waitcnt vmcnt(37)
	v_fma_f64 v[83:84], v[65:66], v[93:94], -v[85:86]
	v_mul_f64 v[77:78], v[57:58], v[89:90]
	v_fma_f64 v[71:72], v[67:68], v[93:94], v[71:72]
	ds_read_b128 v[65:68], v2 offset:720
	s_waitcnt vmcnt(32)
	v_fma_f64 v[81:82], v[57:58], v[91:92], -v[81:82]
	v_add_f64 v[73:74], v[73:74], v[79:80]
	v_add_f64 v[3:4], v[3:4], v[69:70]
	s_waitcnt lgkmcnt(1)
	v_mul_f64 v[79:80], v[63:64], v[95:96]
	v_mul_f64 v[69:70], v[61:62], v[95:96]
	v_fma_f64 v[77:78], v[59:60], v[91:92], v[77:78]
	ds_read_b128 v[57:60], v2 offset:736
	v_add_f64 v[73:74], v[73:74], v[83:84]
	v_add_f64 v[3:4], v[3:4], v[71:72]
	s_waitcnt vmcnt(31) lgkmcnt(1)
	v_mul_f64 v[83:84], v[67:68], v[97:98]
	s_waitcnt vmcnt(29)
	v_fma_f64 v[79:80], v[61:62], v[101:102], -v[79:80]
	v_mul_f64 v[71:72], v[65:66], v[97:98]
	v_fma_f64 v[69:70], v[63:64], v[101:102], v[69:70]
	ds_read_b128 v[61:64], v2 offset:752
	v_add_f64 v[73:74], v[73:74], v[81:82]
	v_add_f64 v[3:4], v[3:4], v[77:78]
	s_waitcnt vmcnt(25) lgkmcnt(1)
	v_mul_f64 v[81:82], v[59:60], v[103:104]
	s_waitcnt vmcnt(24)
	v_fma_f64 v[83:84], v[65:66], v[99:100], -v[83:84]
	;; [unrolled: 9-line block ×6, first 2 shown]
	v_mul_f64 v[69:70], v[61:62], v[119:120]
	v_fma_f64 v[59:60], v[59:60], v[115:116], v[77:78]
	s_waitcnt vmcnt(7) lgkmcnt(0)
	v_mul_f64 v[77:78], v[67:68], v[121:122]
	v_add_f64 v[73:74], v[73:74], v[83:84]
	v_add_f64 v[3:4], v[3:4], v[71:72]
	s_waitcnt vmcnt(5)
	v_fma_f64 v[61:62], v[61:62], v[125:126], -v[79:80]
	v_mul_f64 v[71:72], v[65:66], v[121:122]
	v_fma_f64 v[63:64], v[63:64], v[125:126], v[69:70]
	v_add_f64 v[57:58], v[73:74], v[57:58]
	v_add_f64 v[3:4], v[3:4], v[59:60]
	s_waitcnt vmcnt(4)
	v_fma_f64 v[59:60], v[65:66], v[123:124], -v[77:78]
	v_add_f64 v[57:58], v[57:58], v[61:62]
	v_fma_f64 v[61:62], v[67:68], v[123:124], v[71:72]
	v_add_f64 v[3:4], v[3:4], v[63:64]
	v_add_f64 v[57:58], v[57:58], v[59:60]
	;; [unrolled: 1-line block ×3, first 2 shown]
	s_waitcnt vmcnt(2)
	v_add_f64 v[57:58], v[75:76], -v[57:58]
	s_waitcnt vmcnt(0)
	v_add_f64 v[3:4], v[131:132], -v[3:4]
	buffer_store_dword v58, off, s[0:3], 0 offset:180
	buffer_store_dword v57, off, s[0:3], 0 offset:176
	;; [unrolled: 1-line block ×4, first 2 shown]
	v_cmpx_lt_u32_e32 9, v0
	s_cbranch_execz .LBB25_151
; %bb.150:
	v_mov_b32_e32 v3, s15
	s_clause 0x3
	buffer_load_dword v57, v3, s[0:3], 0 offen
	buffer_load_dword v58, v3, s[0:3], 0 offen offset:4
	buffer_load_dword v59, v3, s[0:3], 0 offen offset:8
	;; [unrolled: 1-line block ×3, first 2 shown]
	buffer_store_dword v2, off, s[0:3], 0 offset:160
	buffer_store_dword v2, off, s[0:3], 0 offset:164
	;; [unrolled: 1-line block ×4, first 2 shown]
	s_waitcnt vmcnt(0)
	ds_write_b128 v1, v[57:60]
.LBB25_151:
	s_or_b32 exec_lo, exec_lo, s4
	s_waitcnt lgkmcnt(0)
	s_waitcnt_vscnt null, 0x0
	s_barrier
	buffer_gl0_inv
	s_clause 0x37
	buffer_load_dword v3, off, s[0:3], 0 offset:184
	buffer_load_dword v4, off, s[0:3], 0 offset:188
	;; [unrolled: 1-line block ×56, first 2 shown]
	ds_read_b128 v[57:60], v2 offset:576
	s_clause 0x2
	buffer_load_dword v122, off, s[0:3], 0 offset:412
	buffer_load_dword v126, off, s[0:3], 0 offset:388
	;; [unrolled: 1-line block ×3, first 2 shown]
	ds_read_b128 v[61:64], v2 offset:592
	s_clause 0x2
	buffer_load_dword v130, off, s[0:3], 0 offset:428
	buffer_load_dword v129, off, s[0:3], 0 offset:424
	;; [unrolled: 1-line block ×3, first 2 shown]
	ds_read_b128 v[65:68], v2 offset:608
	s_mov_b32 s4, exec_lo
	s_waitcnt vmcnt(60) lgkmcnt(2)
	v_mul_f64 v[127:128], v[59:60], v[3:4]
	v_mul_f64 v[3:4], v[57:58], v[3:4]
	s_waitcnt vmcnt(58) lgkmcnt(1)
	v_mul_f64 v[131:132], v[63:64], v[69:70]
	v_mul_f64 v[69:70], v[61:62], v[69:70]
	;; [unrolled: 3-line block ×3, first 2 shown]
	v_fma_f64 v[127:128], v[57:58], v[71:72], -v[127:128]
	v_fma_f64 v[3:4], v[59:60], v[71:72], v[3:4]
	s_clause 0x1
	buffer_load_dword v72, off, s[0:3], 0 offset:420
	buffer_load_dword v71, off, s[0:3], 0 offset:416
	s_waitcnt vmcnt(54)
	v_fma_f64 v[131:132], v[61:62], v[75:76], -v[131:132]
	ds_read_b128 v[57:60], v2 offset:624
	v_fma_f64 v[69:70], v[63:64], v[75:76], v[69:70]
	ds_read_b128 v[61:64], v2 offset:640
	s_waitcnt vmcnt(48)
	v_fma_f64 v[73:74], v[65:66], v[83:84], -v[73:74]
	v_fma_f64 v[83:84], v[67:68], v[83:84], v[133:134]
	v_add_f64 v[127:128], v[127:128], 0
	v_add_f64 v[3:4], v[3:4], 0
	s_waitcnt lgkmcnt(1)
	v_mul_f64 v[75:76], v[57:58], v[77:78]
	v_mul_f64 v[77:78], v[59:60], v[77:78]
	s_waitcnt vmcnt(47) lgkmcnt(0)
	v_mul_f64 v[133:134], v[61:62], v[79:80]
	v_mul_f64 v[79:80], v[63:64], v[79:80]
	v_add_f64 v[127:128], v[127:128], v[131:132]
	v_add_f64 v[3:4], v[3:4], v[69:70]
	s_clause 0x3
	buffer_load_dword v69, off, s[0:3], 0 offset:160
	buffer_load_dword v70, off, s[0:3], 0 offset:164
	;; [unrolled: 1-line block ×4, first 2 shown]
	s_waitcnt vmcnt(49)
	v_fma_f64 v[77:78], v[57:58], v[85:86], -v[77:78]
	ds_read_b128 v[65:68], v2 offset:656
	v_fma_f64 v[75:76], v[59:60], v[85:86], v[75:76]
	ds_read_b128 v[57:60], v2 offset:672
	s_waitcnt vmcnt(44)
	v_fma_f64 v[79:80], v[61:62], v[81:82], -v[79:80]
	v_add_f64 v[73:74], v[127:128], v[73:74]
	v_add_f64 v[3:4], v[3:4], v[83:84]
	s_waitcnt lgkmcnt(1)
	v_mul_f64 v[85:86], v[67:68], v[87:88]
	v_mul_f64 v[83:84], v[65:66], v[87:88]
	v_add_f64 v[73:74], v[73:74], v[77:78]
	v_fma_f64 v[77:78], v[63:64], v[81:82], v[133:134]
	v_add_f64 v[3:4], v[3:4], v[75:76]
	s_waitcnt vmcnt(43) lgkmcnt(0)
	v_mul_f64 v[81:82], v[59:60], v[89:90]
	s_waitcnt vmcnt(41)
	v_fma_f64 v[85:86], v[65:66], v[93:94], -v[85:86]
	ds_read_b128 v[61:64], v2 offset:688
	v_mul_f64 v[75:76], v[57:58], v[89:90]
	v_add_f64 v[73:74], v[73:74], v[79:80]
	v_fma_f64 v[79:80], v[67:68], v[93:94], v[83:84]
	v_add_f64 v[3:4], v[3:4], v[77:78]
	ds_read_b128 v[65:68], v2 offset:704
	s_waitcnt vmcnt(37) lgkmcnt(1)
	v_mul_f64 v[83:84], v[63:64], v[95:96]
	s_waitcnt vmcnt(36)
	v_fma_f64 v[81:82], v[57:58], v[91:92], -v[81:82]
	v_mul_f64 v[77:78], v[61:62], v[95:96]
	v_fma_f64 v[75:76], v[59:60], v[91:92], v[75:76]
	ds_read_b128 v[57:60], v2 offset:720
	v_add_f64 v[73:74], v[73:74], v[85:86]
	s_waitcnt vmcnt(35) lgkmcnt(1)
	v_mul_f64 v[85:86], v[67:68], v[97:98]
	v_add_f64 v[3:4], v[3:4], v[79:80]
	v_mul_f64 v[79:80], v[65:66], v[97:98]
	s_waitcnt vmcnt(33)
	v_fma_f64 v[83:84], v[61:62], v[101:102], -v[83:84]
	v_fma_f64 v[77:78], v[63:64], v[101:102], v[77:78]
	ds_read_b128 v[61:64], v2 offset:736
	v_add_f64 v[73:74], v[73:74], v[81:82]
	s_waitcnt vmcnt(29) lgkmcnt(1)
	v_mul_f64 v[81:82], v[59:60], v[103:104]
	v_add_f64 v[3:4], v[3:4], v[75:76]
	s_waitcnt vmcnt(28)
	v_fma_f64 v[85:86], v[65:66], v[99:100], -v[85:86]
	v_mul_f64 v[75:76], v[57:58], v[103:104]
	v_fma_f64 v[79:80], v[67:68], v[99:100], v[79:80]
	ds_read_b128 v[65:68], v2 offset:752
	v_add_f64 v[73:74], v[73:74], v[83:84]
	s_waitcnt vmcnt(27) lgkmcnt(1)
	v_mul_f64 v[83:84], v[63:64], v[105:106]
	v_add_f64 v[3:4], v[3:4], v[77:78]
	s_waitcnt vmcnt(25)
	v_fma_f64 v[81:82], v[57:58], v[109:110], -v[81:82]
	v_mul_f64 v[77:78], v[61:62], v[105:106]
	;; [unrolled: 9-line block ×6, first 2 shown]
	v_fma_f64 v[63:64], v[63:64], v[125:126], v[77:78]
	s_waitcnt vmcnt(7) lgkmcnt(0)
	v_mul_f64 v[77:78], v[59:60], v[129:130]
	v_add_f64 v[73:74], v[73:74], v[81:82]
	s_waitcnt vmcnt(6)
	v_fma_f64 v[65:66], v[65:66], v[123:124], -v[85:86]
	v_add_f64 v[2:3], v[3:4], v[75:76]
	v_mul_f64 v[75:76], v[57:58], v[129:130]
	v_fma_f64 v[67:68], v[67:68], v[123:124], v[79:80]
	v_add_f64 v[61:62], v[73:74], v[61:62]
	v_add_f64 v[2:3], v[2:3], v[63:64]
	s_waitcnt vmcnt(4)
	v_fma_f64 v[57:58], v[57:58], v[71:72], -v[77:78]
	v_fma_f64 v[59:60], v[59:60], v[71:72], v[75:76]
	v_add_f64 v[61:62], v[61:62], v[65:66]
	v_add_f64 v[2:3], v[2:3], v[67:68]
	;; [unrolled: 1-line block ×4, first 2 shown]
	s_waitcnt vmcnt(2)
	v_add_f64 v[57:58], v[69:70], -v[57:58]
	s_waitcnt vmcnt(0)
	v_add_f64 v[2:3], v[131:132], -v[2:3]
	buffer_store_dword v58, off, s[0:3], 0 offset:164
	buffer_store_dword v57, off, s[0:3], 0 offset:160
	;; [unrolled: 1-line block ×4, first 2 shown]
	v_cmpx_lt_u32_e32 8, v0
	s_cbranch_execz .LBB25_153
; %bb.152:
	v_mov_b32_e32 v2, s14
	s_clause 0x3
	buffer_load_dword v57, v2, s[0:3], 0 offen
	buffer_load_dword v58, v2, s[0:3], 0 offen offset:4
	buffer_load_dword v59, v2, s[0:3], 0 offen offset:8
	;; [unrolled: 1-line block ×3, first 2 shown]
	v_mov_b32_e32 v2, 0
	buffer_store_dword v2, off, s[0:3], 0 offset:144
	buffer_store_dword v2, off, s[0:3], 0 offset:148
	;; [unrolled: 1-line block ×4, first 2 shown]
	s_waitcnt vmcnt(0)
	ds_write_b128 v1, v[57:60]
.LBB25_153:
	s_or_b32 exec_lo, exec_lo, s4
	s_waitcnt lgkmcnt(0)
	s_waitcnt_vscnt null, 0x0
	s_barrier
	buffer_gl0_inv
	s_clause 0x37
	buffer_load_dword v3, off, s[0:3], 0 offset:168
	buffer_load_dword v4, off, s[0:3], 0 offset:172
	;; [unrolled: 1-line block ×56, first 2 shown]
	v_mov_b32_e32 v2, 0
	s_mov_b32 s4, exec_lo
	ds_read_b128 v[57:60], v2 offset:560
	s_clause 0x2
	buffer_load_dword v122, off, s[0:3], 0 offset:396
	buffer_load_dword v126, off, s[0:3], 0 offset:372
	;; [unrolled: 1-line block ×3, first 2 shown]
	ds_read_b128 v[61:64], v2 offset:576
	s_clause 0x4
	buffer_load_dword v130, off, s[0:3], 0 offset:412
	buffer_load_dword v131, off, s[0:3], 0 offset:424
	;; [unrolled: 1-line block ×5, first 2 shown]
	ds_read_b128 v[65:68], v2 offset:592
	s_waitcnt vmcnt(62) lgkmcnt(2)
	v_mul_f64 v[127:128], v[59:60], v[3:4]
	v_mul_f64 v[3:4], v[57:58], v[3:4]
	s_waitcnt vmcnt(60) lgkmcnt(1)
	v_mul_f64 v[134:135], v[63:64], v[69:70]
	v_mul_f64 v[69:70], v[61:62], v[69:70]
	;; [unrolled: 3-line block ×3, first 2 shown]
	v_fma_f64 v[127:128], v[57:58], v[71:72], -v[127:128]
	v_fma_f64 v[3:4], v[59:60], v[71:72], v[3:4]
	s_clause 0x2
	buffer_load_dword v132, off, s[0:3], 0 offset:428
	buffer_load_dword v72, off, s[0:3], 0 offset:404
	;; [unrolled: 1-line block ×3, first 2 shown]
	s_waitcnt vmcnt(57)
	v_fma_f64 v[138:139], v[61:62], v[75:76], -v[134:135]
	ds_read_b128 v[57:60], v2 offset:608
	v_fma_f64 v[69:70], v[63:64], v[75:76], v[69:70]
	buffer_load_dword v134, off, s[0:3], 0 offset:420
	ds_read_b128 v[61:64], v2 offset:624
	s_waitcnt vmcnt(52)
	v_fma_f64 v[73:74], v[65:66], v[83:84], -v[73:74]
	v_fma_f64 v[83:84], v[67:68], v[83:84], v[136:137]
	ds_read_b128 v[65:68], v2 offset:640
	v_add_f64 v[127:128], v[127:128], 0
	v_add_f64 v[3:4], v[3:4], 0
	s_waitcnt lgkmcnt(2)
	v_mul_f64 v[75:76], v[57:58], v[77:78]
	v_mul_f64 v[77:78], v[59:60], v[77:78]
	v_add_f64 v[127:128], v[127:128], v[138:139]
	v_add_f64 v[3:4], v[3:4], v[69:70]
	s_waitcnt vmcnt(51) lgkmcnt(1)
	v_mul_f64 v[69:70], v[61:62], v[79:80]
	v_mul_f64 v[79:80], v[63:64], v[79:80]
	s_waitcnt vmcnt(49)
	v_fma_f64 v[77:78], v[57:58], v[85:86], -v[77:78]
	v_fma_f64 v[75:76], v[59:60], v[85:86], v[75:76]
	v_add_f64 v[73:74], v[127:128], v[73:74]
	v_add_f64 v[3:4], v[3:4], v[83:84]
	s_clause 0x3
	buffer_load_dword v83, off, s[0:3], 0 offset:144
	buffer_load_dword v84, off, s[0:3], 0 offset:148
	;; [unrolled: 1-line block ×4, first 2 shown]
	s_waitcnt vmcnt(49) lgkmcnt(0)
	v_mul_f64 v[127:128], v[65:66], v[87:88]
	v_mul_f64 v[87:88], v[67:68], v[87:88]
	s_waitcnt vmcnt(48)
	v_fma_f64 v[79:80], v[61:62], v[81:82], -v[79:80]
	ds_read_b128 v[57:60], v2 offset:656
	v_fma_f64 v[69:70], v[63:64], v[81:82], v[69:70]
	ds_read_b128 v[61:64], v2 offset:672
	v_add_f64 v[73:74], v[73:74], v[77:78]
	v_add_f64 v[3:4], v[3:4], v[75:76]
	s_waitcnt vmcnt(47) lgkmcnt(1)
	v_mul_f64 v[77:78], v[59:60], v[89:90]
	s_waitcnt vmcnt(45)
	v_fma_f64 v[81:82], v[65:66], v[93:94], -v[87:88]
	v_mul_f64 v[75:76], v[57:58], v[89:90]
	s_waitcnt vmcnt(41) lgkmcnt(0)
	v_mul_f64 v[87:88], v[63:64], v[95:96]
	v_add_f64 v[73:74], v[73:74], v[79:80]
	v_fma_f64 v[79:80], v[67:68], v[93:94], v[127:128]
	v_add_f64 v[3:4], v[3:4], v[69:70]
	ds_read_b128 v[65:68], v2 offset:688
	s_waitcnt vmcnt(40)
	v_fma_f64 v[77:78], v[57:58], v[91:92], -v[77:78]
	v_mul_f64 v[69:70], v[61:62], v[95:96]
	v_fma_f64 v[75:76], v[59:60], v[91:92], v[75:76]
	ds_read_b128 v[57:60], v2 offset:704
	s_waitcnt vmcnt(37)
	v_fma_f64 v[87:88], v[61:62], v[101:102], -v[87:88]
	v_add_f64 v[73:74], v[73:74], v[81:82]
	s_waitcnt lgkmcnt(1)
	v_mul_f64 v[81:82], v[67:68], v[97:98]
	v_add_f64 v[3:4], v[3:4], v[79:80]
	v_mul_f64 v[79:80], v[65:66], v[97:98]
	v_fma_f64 v[69:70], v[63:64], v[101:102], v[69:70]
	ds_read_b128 v[61:64], v2 offset:720
	v_add_f64 v[73:74], v[73:74], v[77:78]
	s_waitcnt vmcnt(33) lgkmcnt(1)
	v_mul_f64 v[77:78], v[59:60], v[103:104]
	v_add_f64 v[3:4], v[3:4], v[75:76]
	s_waitcnt vmcnt(32)
	v_fma_f64 v[81:82], v[65:66], v[99:100], -v[81:82]
	v_mul_f64 v[75:76], v[57:58], v[103:104]
	v_fma_f64 v[79:80], v[67:68], v[99:100], v[79:80]
	ds_read_b128 v[65:68], v2 offset:736
	v_add_f64 v[73:74], v[73:74], v[87:88]
	s_waitcnt vmcnt(31) lgkmcnt(1)
	v_mul_f64 v[87:88], v[63:64], v[105:106]
	v_add_f64 v[3:4], v[3:4], v[69:70]
	s_waitcnt vmcnt(29)
	v_fma_f64 v[77:78], v[57:58], v[109:110], -v[77:78]
	;; [unrolled: 9-line block ×7, first 2 shown]
	v_mul_f64 v[75:76], v[57:58], v[129:130]
	v_fma_f64 v[67:68], v[67:68], v[123:124], v[79:80]
	v_add_f64 v[73:74], v[73:74], v[87:88]
	v_add_f64 v[3:4], v[3:4], v[69:70]
	s_waitcnt vmcnt(7) lgkmcnt(0)
	v_mul_f64 v[79:80], v[63:64], v[131:132]
	v_mul_f64 v[69:70], v[61:62], v[131:132]
	s_waitcnt vmcnt(5)
	v_fma_f64 v[57:58], v[57:58], v[71:72], -v[77:78]
	v_fma_f64 v[59:60], v[59:60], v[71:72], v[75:76]
	v_add_f64 v[65:66], v[73:74], v[65:66]
	v_add_f64 v[3:4], v[3:4], v[67:68]
	s_waitcnt vmcnt(4)
	v_fma_f64 v[61:62], v[61:62], v[133:134], -v[79:80]
	v_fma_f64 v[63:64], v[63:64], v[133:134], v[69:70]
	v_add_f64 v[57:58], v[65:66], v[57:58]
	v_add_f64 v[3:4], v[3:4], v[59:60]
	;; [unrolled: 1-line block ×4, first 2 shown]
	s_waitcnt vmcnt(2)
	v_add_f64 v[57:58], v[83:84], -v[57:58]
	s_waitcnt vmcnt(0)
	v_add_f64 v[3:4], v[85:86], -v[3:4]
	buffer_store_dword v58, off, s[0:3], 0 offset:148
	buffer_store_dword v57, off, s[0:3], 0 offset:144
	;; [unrolled: 1-line block ×4, first 2 shown]
	v_cmpx_lt_u32_e32 7, v0
	s_cbranch_execz .LBB25_155
; %bb.154:
	v_mov_b32_e32 v3, s13
	s_clause 0x3
	buffer_load_dword v57, v3, s[0:3], 0 offen
	buffer_load_dword v58, v3, s[0:3], 0 offen offset:4
	buffer_load_dword v59, v3, s[0:3], 0 offen offset:8
	;; [unrolled: 1-line block ×3, first 2 shown]
	buffer_store_dword v2, off, s[0:3], 0 offset:128
	buffer_store_dword v2, off, s[0:3], 0 offset:132
	;; [unrolled: 1-line block ×4, first 2 shown]
	s_waitcnt vmcnt(0)
	ds_write_b128 v1, v[57:60]
.LBB25_155:
	s_or_b32 exec_lo, exec_lo, s4
	s_waitcnt lgkmcnt(0)
	s_waitcnt_vscnt null, 0x0
	s_barrier
	buffer_gl0_inv
	s_clause 0x37
	buffer_load_dword v3, off, s[0:3], 0 offset:152
	buffer_load_dword v4, off, s[0:3], 0 offset:156
	buffer_load_dword v69, off, s[0:3], 0 offset:168
	buffer_load_dword v70, off, s[0:3], 0 offset:172
	buffer_load_dword v71, off, s[0:3], 0 offset:144
	buffer_load_dword v72, off, s[0:3], 0 offset:148
	buffer_load_dword v73, off, s[0:3], 0 offset:184
	buffer_load_dword v74, off, s[0:3], 0 offset:188
	buffer_load_dword v75, off, s[0:3], 0 offset:160
	buffer_load_dword v76, off, s[0:3], 0 offset:164
	buffer_load_dword v78, off, s[0:3], 0 offset:204
	buffer_load_dword v79, off, s[0:3], 0 offset:216
	buffer_load_dword v81, off, s[0:3], 0 offset:208
	buffer_load_dword v77, off, s[0:3], 0 offset:200
	buffer_load_dword v83, off, s[0:3], 0 offset:176
	buffer_load_dword v84, off, s[0:3], 0 offset:180
	buffer_load_dword v80, off, s[0:3], 0 offset:220
	buffer_load_dword v86, off, s[0:3], 0 offset:196
	buffer_load_dword v85, off, s[0:3], 0 offset:192
	buffer_load_dword v88, off, s[0:3], 0 offset:236
	buffer_load_dword v89, off, s[0:3], 0 offset:248
	buffer_load_dword v91, off, s[0:3], 0 offset:240
	buffer_load_dword v87, off, s[0:3], 0 offset:232
	buffer_load_dword v82, off, s[0:3], 0 offset:212
	buffer_load_dword v90, off, s[0:3], 0 offset:252
	buffer_load_dword v94, off, s[0:3], 0 offset:228
	buffer_load_dword v93, off, s[0:3], 0 offset:224
	buffer_load_dword v96, off, s[0:3], 0 offset:268
	buffer_load_dword v97, off, s[0:3], 0 offset:280
	buffer_load_dword v99, off, s[0:3], 0 offset:272
	buffer_load_dword v95, off, s[0:3], 0 offset:264
	buffer_load_dword v92, off, s[0:3], 0 offset:244
	buffer_load_dword v98, off, s[0:3], 0 offset:284
	buffer_load_dword v102, off, s[0:3], 0 offset:260
	buffer_load_dword v101, off, s[0:3], 0 offset:256
	buffer_load_dword v104, off, s[0:3], 0 offset:300
	buffer_load_dword v105, off, s[0:3], 0 offset:312
	buffer_load_dword v107, off, s[0:3], 0 offset:304
	buffer_load_dword v103, off, s[0:3], 0 offset:296
	buffer_load_dword v100, off, s[0:3], 0 offset:276
	buffer_load_dword v106, off, s[0:3], 0 offset:316
	buffer_load_dword v110, off, s[0:3], 0 offset:292
	buffer_load_dword v109, off, s[0:3], 0 offset:288
	buffer_load_dword v112, off, s[0:3], 0 offset:332
	buffer_load_dword v113, off, s[0:3], 0 offset:344
	buffer_load_dword v115, off, s[0:3], 0 offset:336
	buffer_load_dword v111, off, s[0:3], 0 offset:328
	buffer_load_dword v108, off, s[0:3], 0 offset:308
	buffer_load_dword v114, off, s[0:3], 0 offset:348
	buffer_load_dword v118, off, s[0:3], 0 offset:324
	buffer_load_dword v117, off, s[0:3], 0 offset:320
	buffer_load_dword v120, off, s[0:3], 0 offset:364
	buffer_load_dword v121, off, s[0:3], 0 offset:376
	buffer_load_dword v123, off, s[0:3], 0 offset:368
	buffer_load_dword v119, off, s[0:3], 0 offset:360
	buffer_load_dword v116, off, s[0:3], 0 offset:340
	ds_read_b128 v[57:60], v2 offset:544
	s_clause 0x2
	buffer_load_dword v122, off, s[0:3], 0 offset:380
	buffer_load_dword v126, off, s[0:3], 0 offset:356
	;; [unrolled: 1-line block ×3, first 2 shown]
	ds_read_b128 v[61:64], v2 offset:560
	s_clause 0x4
	buffer_load_dword v130, off, s[0:3], 0 offset:396
	buffer_load_dword v131, off, s[0:3], 0 offset:408
	;; [unrolled: 1-line block ×5, first 2 shown]
	ds_read_b128 v[65:68], v2 offset:576
	s_mov_b32 s4, exec_lo
	s_waitcnt vmcnt(62) lgkmcnt(2)
	v_mul_f64 v[127:128], v[59:60], v[3:4]
	v_mul_f64 v[3:4], v[57:58], v[3:4]
	s_waitcnt vmcnt(60) lgkmcnt(1)
	v_mul_f64 v[134:135], v[63:64], v[69:70]
	v_mul_f64 v[69:70], v[61:62], v[69:70]
	;; [unrolled: 3-line block ×3, first 2 shown]
	v_fma_f64 v[127:128], v[57:58], v[71:72], -v[127:128]
	v_fma_f64 v[3:4], v[59:60], v[71:72], v[3:4]
	s_clause 0x2
	buffer_load_dword v132, off, s[0:3], 0 offset:412
	buffer_load_dword v72, off, s[0:3], 0 offset:388
	;; [unrolled: 1-line block ×3, first 2 shown]
	s_waitcnt vmcnt(57)
	v_fma_f64 v[138:139], v[61:62], v[75:76], -v[134:135]
	ds_read_b128 v[57:60], v2 offset:592
	v_fma_f64 v[69:70], v[63:64], v[75:76], v[69:70]
	s_clause 0x2
	buffer_load_dword v76, off, s[0:3], 0 offset:428
	buffer_load_dword v75, off, s[0:3], 0 offset:424
	buffer_load_dword v134, off, s[0:3], 0 offset:404
	s_waitcnt vmcnt(54)
	v_fma_f64 v[73:74], v[65:66], v[83:84], -v[73:74]
	ds_read_b128 v[61:64], v2 offset:608
	v_fma_f64 v[83:84], v[67:68], v[83:84], v[136:137]
	v_add_f64 v[127:128], v[127:128], 0
	v_add_f64 v[3:4], v[3:4], 0
	s_waitcnt lgkmcnt(1)
	v_mul_f64 v[140:141], v[57:58], v[77:78]
	v_mul_f64 v[77:78], v[59:60], v[77:78]
	s_waitcnt vmcnt(53) lgkmcnt(0)
	v_mul_f64 v[135:136], v[61:62], v[79:80]
	v_mul_f64 v[79:80], v[63:64], v[79:80]
	v_add_f64 v[127:128], v[127:128], v[138:139]
	v_add_f64 v[3:4], v[3:4], v[69:70]
	s_clause 0x1
	buffer_load_dword v70, off, s[0:3], 0 offset:420
	buffer_load_dword v69, off, s[0:3], 0 offset:416
	s_waitcnt vmcnt(53)
	v_fma_f64 v[77:78], v[57:58], v[85:86], -v[77:78]
	ds_read_b128 v[65:68], v2 offset:624
	v_fma_f64 v[85:86], v[59:60], v[85:86], v[140:141]
	ds_read_b128 v[57:60], v2 offset:640
	s_waitcnt vmcnt(48)
	v_fma_f64 v[79:80], v[61:62], v[81:82], -v[79:80]
	v_add_f64 v[73:74], v[127:128], v[73:74]
	v_add_f64 v[3:4], v[3:4], v[83:84]
	s_waitcnt lgkmcnt(1)
	v_mul_f64 v[83:84], v[65:66], v[87:88]
	v_mul_f64 v[87:88], v[67:68], v[87:88]
	s_waitcnt vmcnt(47) lgkmcnt(0)
	v_mul_f64 v[127:128], v[57:58], v[89:90]
	v_mul_f64 v[89:90], v[59:60], v[89:90]
	v_add_f64 v[73:74], v[73:74], v[77:78]
	v_fma_f64 v[77:78], v[63:64], v[81:82], v[135:136]
	v_add_f64 v[3:4], v[3:4], v[85:86]
	s_clause 0x3
	buffer_load_dword v81, off, s[0:3], 0 offset:128
	buffer_load_dword v82, off, s[0:3], 0 offset:132
	;; [unrolled: 1-line block ×4, first 2 shown]
	s_waitcnt vmcnt(49)
	v_fma_f64 v[87:88], v[65:66], v[93:94], -v[87:88]
	ds_read_b128 v[61:64], v2 offset:656
	s_waitcnt vmcnt(44)
	v_fma_f64 v[89:90], v[57:58], v[91:92], -v[89:90]
	v_add_f64 v[73:74], v[73:74], v[79:80]
	v_fma_f64 v[79:80], v[67:68], v[93:94], v[83:84]
	v_add_f64 v[3:4], v[3:4], v[77:78]
	ds_read_b128 v[65:68], v2 offset:672
	s_waitcnt lgkmcnt(1)
	v_mul_f64 v[83:84], v[63:64], v[95:96]
	v_mul_f64 v[77:78], v[61:62], v[95:96]
	v_add_f64 v[73:74], v[73:74], v[87:88]
	v_fma_f64 v[87:88], v[59:60], v[91:92], v[127:128]
	v_add_f64 v[3:4], v[3:4], v[79:80]
	s_waitcnt vmcnt(43) lgkmcnt(0)
	v_mul_f64 v[91:92], v[67:68], v[97:98]
	s_waitcnt vmcnt(41)
	v_fma_f64 v[83:84], v[61:62], v[101:102], -v[83:84]
	ds_read_b128 v[57:60], v2 offset:688
	v_mul_f64 v[79:80], v[65:66], v[97:98]
	v_fma_f64 v[77:78], v[63:64], v[101:102], v[77:78]
	ds_read_b128 v[61:64], v2 offset:704
	v_add_f64 v[73:74], v[73:74], v[89:90]
	v_add_f64 v[3:4], v[3:4], v[87:88]
	s_waitcnt vmcnt(37) lgkmcnt(1)
	v_mul_f64 v[89:90], v[59:60], v[103:104]
	s_waitcnt vmcnt(36)
	v_fma_f64 v[91:92], v[65:66], v[99:100], -v[91:92]
	v_mul_f64 v[87:88], v[57:58], v[103:104]
	v_fma_f64 v[79:80], v[67:68], v[99:100], v[79:80]
	ds_read_b128 v[65:68], v2 offset:720
	v_add_f64 v[73:74], v[73:74], v[83:84]
	s_waitcnt vmcnt(35) lgkmcnt(1)
	v_mul_f64 v[83:84], v[63:64], v[105:106]
	v_add_f64 v[3:4], v[3:4], v[77:78]
	s_waitcnt vmcnt(33)
	v_fma_f64 v[89:90], v[57:58], v[109:110], -v[89:90]
	v_mul_f64 v[77:78], v[61:62], v[105:106]
	v_fma_f64 v[87:88], v[59:60], v[109:110], v[87:88]
	ds_read_b128 v[57:60], v2 offset:736
	v_add_f64 v[73:74], v[73:74], v[91:92]
	s_waitcnt vmcnt(29) lgkmcnt(1)
	v_mul_f64 v[91:92], v[67:68], v[111:112]
	v_add_f64 v[3:4], v[3:4], v[79:80]
	;; [unrolled: 9-line block ×6, first 2 shown]
	s_waitcnt vmcnt(12)
	v_fma_f64 v[91:92], v[65:66], v[123:124], -v[91:92]
	v_mul_f64 v[87:88], v[57:58], v[129:130]
	v_fma_f64 v[79:80], v[67:68], v[123:124], v[79:80]
	ds_read_b128 v[65:68], v2 offset:816
	v_add_f64 v[73:74], v[73:74], v[83:84]
	v_add_f64 v[3:4], v[3:4], v[77:78]
	s_waitcnt vmcnt(11) lgkmcnt(1)
	v_mul_f64 v[83:84], v[63:64], v[131:132]
	v_mul_f64 v[77:78], v[61:62], v[131:132]
	s_waitcnt vmcnt(9)
	v_fma_f64 v[57:58], v[57:58], v[71:72], -v[89:90]
	v_fma_f64 v[59:60], v[59:60], v[71:72], v[87:88]
	s_waitcnt vmcnt(7) lgkmcnt(0)
	v_mul_f64 v[71:72], v[65:66], v[75:76]
	v_mul_f64 v[75:76], v[67:68], v[75:76]
	v_add_f64 v[73:74], v[73:74], v[91:92]
	v_add_f64 v[2:3], v[3:4], v[79:80]
	s_waitcnt vmcnt(6)
	v_fma_f64 v[61:62], v[61:62], v[133:134], -v[83:84]
	v_fma_f64 v[63:64], v[63:64], v[133:134], v[77:78]
	v_add_f64 v[57:58], v[73:74], v[57:58]
	v_add_f64 v[2:3], v[2:3], v[59:60]
	s_waitcnt vmcnt(4)
	v_fma_f64 v[59:60], v[65:66], v[69:70], -v[75:76]
	v_add_f64 v[57:58], v[57:58], v[61:62]
	v_fma_f64 v[61:62], v[67:68], v[69:70], v[71:72]
	v_add_f64 v[2:3], v[2:3], v[63:64]
	v_add_f64 v[57:58], v[57:58], v[59:60]
	;; [unrolled: 1-line block ×3, first 2 shown]
	s_waitcnt vmcnt(2)
	v_add_f64 v[57:58], v[81:82], -v[57:58]
	s_waitcnt vmcnt(0)
	v_add_f64 v[2:3], v[85:86], -v[2:3]
	buffer_store_dword v58, off, s[0:3], 0 offset:132
	buffer_store_dword v57, off, s[0:3], 0 offset:128
	;; [unrolled: 1-line block ×4, first 2 shown]
	v_cmpx_lt_u32_e32 6, v0
	s_cbranch_execz .LBB25_157
; %bb.156:
	v_mov_b32_e32 v2, s12
	s_clause 0x3
	buffer_load_dword v57, v2, s[0:3], 0 offen
	buffer_load_dword v58, v2, s[0:3], 0 offen offset:4
	buffer_load_dword v59, v2, s[0:3], 0 offen offset:8
	;; [unrolled: 1-line block ×3, first 2 shown]
	v_mov_b32_e32 v2, 0
	buffer_store_dword v2, off, s[0:3], 0 offset:112
	buffer_store_dword v2, off, s[0:3], 0 offset:116
	;; [unrolled: 1-line block ×4, first 2 shown]
	s_waitcnt vmcnt(0)
	ds_write_b128 v1, v[57:60]
.LBB25_157:
	s_or_b32 exec_lo, exec_lo, s4
	s_waitcnt lgkmcnt(0)
	s_waitcnt_vscnt null, 0x0
	s_barrier
	buffer_gl0_inv
	s_clause 0x35
	buffer_load_dword v3, off, s[0:3], 0 offset:136
	buffer_load_dword v4, off, s[0:3], 0 offset:140
	;; [unrolled: 1-line block ×54, first 2 shown]
	v_mov_b32_e32 v2, 0
	s_mov_b32 s4, exec_lo
	ds_read_b128 v[57:60], v2 offset:528
	s_clause 0x3
	buffer_load_dword v121, off, s[0:3], 0 offset:360
	buffer_load_dword v122, off, s[0:3], 0 offset:364
	;; [unrolled: 1-line block ×4, first 2 shown]
	ds_read_b128 v[61:64], v2 offset:544
	s_clause 0x3
	buffer_load_dword v128, off, s[0:3], 0 offset:380
	buffer_load_dword v127, off, s[0:3], 0 offset:376
	;; [unrolled: 1-line block ×4, first 2 shown]
	ds_read_b128 v[65:68], v2 offset:560
	s_waitcnt vmcnt(60) lgkmcnt(2)
	v_mul_f64 v[125:126], v[59:60], v[3:4]
	v_mul_f64 v[3:4], v[57:58], v[3:4]
	s_waitcnt vmcnt(58) lgkmcnt(1)
	v_mul_f64 v[131:132], v[63:64], v[69:70]
	v_mul_f64 v[69:70], v[61:62], v[69:70]
	s_waitcnt vmcnt(54) lgkmcnt(0)
	v_mul_f64 v[135:136], v[65:66], v[73:74]
	v_mul_f64 v[73:74], v[67:68], v[73:74]
	v_fma_f64 v[125:126], v[57:58], v[71:72], -v[125:126]
	v_fma_f64 v[3:4], v[59:60], v[71:72], v[3:4]
	s_clause 0x3
	buffer_load_dword v71, off, s[0:3], 0 offset:392
	buffer_load_dword v72, off, s[0:3], 0 offset:396
	;; [unrolled: 1-line block ×4, first 2 shown]
	s_waitcnt vmcnt(56)
	v_fma_f64 v[131:132], v[61:62], v[75:76], -v[131:132]
	ds_read_b128 v[57:60], v2 offset:576
	v_fma_f64 v[69:70], v[63:64], v[75:76], v[69:70]
	s_clause 0x3
	buffer_load_dword v76, off, s[0:3], 0 offset:412
	buffer_load_dword v75, off, s[0:3], 0 offset:408
	;; [unrolled: 1-line block ×4, first 2 shown]
	s_waitcnt vmcnt(56)
	v_fma_f64 v[73:74], v[65:66], v[79:80], -v[73:74]
	ds_read_b128 v[61:64], v2 offset:592
	v_fma_f64 v[79:80], v[67:68], v[79:80], v[135:136]
	v_add_f64 v[125:126], v[125:126], 0
	v_add_f64 v[3:4], v[3:4], 0
	s_waitcnt lgkmcnt(1)
	v_mul_f64 v[139:140], v[57:58], v[77:78]
	v_mul_f64 v[77:78], v[59:60], v[77:78]
	s_waitcnt vmcnt(54) lgkmcnt(0)
	v_mul_f64 v[135:136], v[61:62], v[81:82]
	v_mul_f64 v[81:82], v[63:64], v[81:82]
	v_add_f64 v[125:126], v[125:126], v[131:132]
	v_add_f64 v[3:4], v[3:4], v[69:70]
	s_clause 0x3
	buffer_load_dword v69, off, s[0:3], 0 offset:424
	buffer_load_dword v70, off, s[0:3], 0 offset:428
	;; [unrolled: 1-line block ×4, first 2 shown]
	s_waitcnt vmcnt(56)
	v_fma_f64 v[77:78], v[57:58], v[83:84], -v[77:78]
	ds_read_b128 v[65:68], v2 offset:608
	v_fma_f64 v[83:84], v[59:60], v[83:84], v[139:140]
	s_waitcnt vmcnt(52)
	v_fma_f64 v[81:82], v[61:62], v[87:88], -v[81:82]
	v_add_f64 v[73:74], v[125:126], v[73:74]
	v_add_f64 v[3:4], v[3:4], v[79:80]
	s_clause 0x1
	buffer_load_dword v79, off, s[0:3], 0 offset:416
	buffer_load_dword v80, off, s[0:3], 0 offset:420
	s_waitcnt lgkmcnt(0)
	v_mul_f64 v[125:126], v[65:66], v[85:86]
	v_mul_f64 v[85:86], v[67:68], v[85:86]
	ds_read_b128 v[57:60], v2 offset:624
	v_add_f64 v[73:74], v[73:74], v[77:78]
	v_fma_f64 v[77:78], v[63:64], v[87:88], v[135:136]
	v_add_f64 v[3:4], v[3:4], v[83:84]
	ds_read_b128 v[61:64], v2 offset:640
	s_waitcnt vmcnt(52) lgkmcnt(1)
	v_mul_f64 v[87:88], v[59:60], v[89:90]
	s_waitcnt vmcnt(50)
	v_fma_f64 v[85:86], v[65:66], v[91:92], -v[85:86]
	v_mul_f64 v[83:84], v[57:58], v[89:90]
	v_add_f64 v[73:74], v[73:74], v[81:82]
	v_fma_f64 v[81:82], v[67:68], v[91:92], v[125:126]
	v_add_f64 v[3:4], v[3:4], v[77:78]
	s_clause 0x3
	buffer_load_dword v77, off, s[0:3], 0 offset:112
	buffer_load_dword v78, off, s[0:3], 0 offset:116
	;; [unrolled: 1-line block ×4, first 2 shown]
	s_waitcnt vmcnt(52) lgkmcnt(0)
	v_mul_f64 v[91:92], v[61:62], v[93:94]
	v_mul_f64 v[93:94], v[63:64], v[93:94]
	s_waitcnt vmcnt(50)
	v_fma_f64 v[87:88], v[57:58], v[95:96], -v[87:88]
	ds_read_b128 v[65:68], v2 offset:656
	v_fma_f64 v[83:84], v[59:60], v[95:96], v[83:84]
	ds_read_b128 v[57:60], v2 offset:672
	v_add_f64 v[73:74], v[73:74], v[85:86]
	v_add_f64 v[3:4], v[3:4], v[81:82]
	s_waitcnt vmcnt(48) lgkmcnt(1)
	v_mul_f64 v[85:86], v[67:68], v[97:98]
	s_waitcnt vmcnt(46)
	v_fma_f64 v[93:94], v[61:62], v[99:100], -v[93:94]
	v_mul_f64 v[81:82], v[65:66], v[97:98]
	v_add_f64 v[73:74], v[73:74], v[87:88]
	v_fma_f64 v[87:88], v[63:64], v[99:100], v[91:92]
	v_add_f64 v[3:4], v[3:4], v[83:84]
	s_waitcnt vmcnt(44) lgkmcnt(0)
	v_mul_f64 v[91:92], v[59:60], v[101:102]
	ds_read_b128 v[61:64], v2 offset:688
	s_waitcnt vmcnt(42)
	v_fma_f64 v[85:86], v[65:66], v[103:104], -v[85:86]
	v_mul_f64 v[83:84], v[57:58], v[101:102]
	v_fma_f64 v[81:82], v[67:68], v[103:104], v[81:82]
	ds_read_b128 v[65:68], v2 offset:704
	v_add_f64 v[73:74], v[73:74], v[93:94]
	v_add_f64 v[3:4], v[3:4], v[87:88]
	s_waitcnt vmcnt(40) lgkmcnt(1)
	v_mul_f64 v[93:94], v[63:64], v[105:106]
	s_waitcnt vmcnt(38)
	v_fma_f64 v[91:92], v[57:58], v[107:108], -v[91:92]
	v_mul_f64 v[87:88], v[61:62], v[105:106]
	v_fma_f64 v[83:84], v[59:60], v[107:108], v[83:84]
	ds_read_b128 v[57:60], v2 offset:720
	v_add_f64 v[73:74], v[73:74], v[85:86]
	s_waitcnt vmcnt(36) lgkmcnt(1)
	v_mul_f64 v[85:86], v[67:68], v[109:110]
	v_add_f64 v[3:4], v[3:4], v[81:82]
	s_waitcnt vmcnt(34)
	v_fma_f64 v[93:94], v[61:62], v[111:112], -v[93:94]
	v_mul_f64 v[81:82], v[65:66], v[109:110]
	v_fma_f64 v[87:88], v[63:64], v[111:112], v[87:88]
	ds_read_b128 v[61:64], v2 offset:736
	v_add_f64 v[73:74], v[73:74], v[91:92]
	s_waitcnt vmcnt(32) lgkmcnt(1)
	v_mul_f64 v[91:92], v[59:60], v[113:114]
	v_add_f64 v[3:4], v[3:4], v[83:84]
	s_waitcnt vmcnt(30)
	v_fma_f64 v[85:86], v[65:66], v[115:116], -v[85:86]
	v_mul_f64 v[83:84], v[57:58], v[113:114]
	v_fma_f64 v[81:82], v[67:68], v[115:116], v[81:82]
	ds_read_b128 v[65:68], v2 offset:752
	v_add_f64 v[73:74], v[73:74], v[93:94]
	s_waitcnt vmcnt(28) lgkmcnt(1)
	v_mul_f64 v[93:94], v[63:64], v[117:118]
	v_add_f64 v[3:4], v[3:4], v[87:88]
	s_waitcnt vmcnt(26)
	v_fma_f64 v[91:92], v[57:58], v[119:120], -v[91:92]
	v_mul_f64 v[87:88], v[61:62], v[117:118]
	v_fma_f64 v[83:84], v[59:60], v[119:120], v[83:84]
	ds_read_b128 v[57:60], v2 offset:768
	v_add_f64 v[73:74], v[73:74], v[85:86]
	s_waitcnt vmcnt(24) lgkmcnt(1)
	v_mul_f64 v[85:86], v[67:68], v[121:122]
	v_add_f64 v[3:4], v[3:4], v[81:82]
	s_waitcnt vmcnt(22)
	v_fma_f64 v[93:94], v[61:62], v[123:124], -v[93:94]
	v_mul_f64 v[81:82], v[65:66], v[121:122]
	v_fma_f64 v[87:88], v[63:64], v[123:124], v[87:88]
	ds_read_b128 v[61:64], v2 offset:784
	v_add_f64 v[73:74], v[73:74], v[91:92]
	s_waitcnt vmcnt(20) lgkmcnt(1)
	v_mul_f64 v[91:92], v[59:60], v[127:128]
	v_add_f64 v[3:4], v[3:4], v[83:84]
	s_waitcnt vmcnt(18)
	v_fma_f64 v[85:86], v[65:66], v[129:130], -v[85:86]
	v_mul_f64 v[83:84], v[57:58], v[127:128]
	v_fma_f64 v[81:82], v[67:68], v[129:130], v[81:82]
	ds_read_b128 v[65:68], v2 offset:800
	v_add_f64 v[73:74], v[73:74], v[93:94]
	v_add_f64 v[3:4], v[3:4], v[87:88]
	s_waitcnt vmcnt(16) lgkmcnt(1)
	v_mul_f64 v[87:88], v[61:62], v[71:72]
	v_mul_f64 v[71:72], v[63:64], v[71:72]
	s_waitcnt vmcnt(14)
	v_fma_f64 v[91:92], v[57:58], v[133:134], -v[91:92]
	v_fma_f64 v[83:84], v[59:60], v[133:134], v[83:84]
	ds_read_b128 v[57:60], v2 offset:816
	v_add_f64 v[73:74], v[73:74], v[85:86]
	v_add_f64 v[3:4], v[3:4], v[81:82]
	s_waitcnt vmcnt(12) lgkmcnt(1)
	v_mul_f64 v[81:82], v[65:66], v[75:76]
	v_mul_f64 v[75:76], v[67:68], v[75:76]
	s_waitcnt vmcnt(10)
	v_fma_f64 v[63:64], v[63:64], v[137:138], v[87:88]
	v_fma_f64 v[61:62], v[61:62], v[137:138], -v[71:72]
	v_add_f64 v[71:72], v[73:74], v[91:92]
	v_add_f64 v[3:4], v[3:4], v[83:84]
	s_waitcnt vmcnt(8) lgkmcnt(0)
	v_mul_f64 v[73:74], v[57:58], v[69:70]
	v_mul_f64 v[69:70], v[59:60], v[69:70]
	s_waitcnt vmcnt(6)
	v_fma_f64 v[65:66], v[65:66], v[131:132], -v[75:76]
	v_fma_f64 v[67:68], v[67:68], v[131:132], v[81:82]
	v_add_f64 v[61:62], v[71:72], v[61:62]
	v_add_f64 v[3:4], v[3:4], v[63:64]
	s_waitcnt vmcnt(4)
	v_fma_f64 v[57:58], v[57:58], v[79:80], -v[69:70]
	v_fma_f64 v[59:60], v[59:60], v[79:80], v[73:74]
	v_add_f64 v[61:62], v[61:62], v[65:66]
	v_add_f64 v[3:4], v[3:4], v[67:68]
	;; [unrolled: 1-line block ×4, first 2 shown]
	s_waitcnt vmcnt(2)
	v_add_f64 v[57:58], v[77:78], -v[57:58]
	s_waitcnt vmcnt(0)
	v_add_f64 v[3:4], v[89:90], -v[3:4]
	buffer_store_dword v58, off, s[0:3], 0 offset:116
	buffer_store_dword v57, off, s[0:3], 0 offset:112
	buffer_store_dword v4, off, s[0:3], 0 offset:124
	buffer_store_dword v3, off, s[0:3], 0 offset:120
	v_cmpx_lt_u32_e32 5, v0
	s_cbranch_execz .LBB25_159
; %bb.158:
	v_mov_b32_e32 v3, s9
	s_clause 0x3
	buffer_load_dword v57, v3, s[0:3], 0 offen
	buffer_load_dword v58, v3, s[0:3], 0 offen offset:4
	buffer_load_dword v59, v3, s[0:3], 0 offen offset:8
	;; [unrolled: 1-line block ×3, first 2 shown]
	buffer_store_dword v2, off, s[0:3], 0 offset:96
	buffer_store_dword v2, off, s[0:3], 0 offset:100
	;; [unrolled: 1-line block ×4, first 2 shown]
	s_waitcnt vmcnt(0)
	ds_write_b128 v1, v[57:60]
.LBB25_159:
	s_or_b32 exec_lo, exec_lo, s4
	s_waitcnt lgkmcnt(0)
	s_waitcnt_vscnt null, 0x0
	s_barrier
	buffer_gl0_inv
	s_clause 0x35
	buffer_load_dword v3, off, s[0:3], 0 offset:120
	buffer_load_dword v4, off, s[0:3], 0 offset:124
	;; [unrolled: 1-line block ×54, first 2 shown]
	ds_read_b128 v[57:60], v2 offset:512
	s_clause 0x3
	buffer_load_dword v121, off, s[0:3], 0 offset:344
	buffer_load_dword v122, off, s[0:3], 0 offset:348
	;; [unrolled: 1-line block ×4, first 2 shown]
	ds_read_b128 v[61:64], v2 offset:528
	s_clause 0x3
	buffer_load_dword v128, off, s[0:3], 0 offset:364
	buffer_load_dword v127, off, s[0:3], 0 offset:360
	;; [unrolled: 1-line block ×4, first 2 shown]
	ds_read_b128 v[65:68], v2 offset:544
	s_mov_b32 s4, exec_lo
	s_waitcnt vmcnt(60) lgkmcnt(2)
	v_mul_f64 v[125:126], v[59:60], v[3:4]
	v_mul_f64 v[3:4], v[57:58], v[3:4]
	s_waitcnt vmcnt(58) lgkmcnt(1)
	v_mul_f64 v[131:132], v[63:64], v[69:70]
	v_mul_f64 v[69:70], v[61:62], v[69:70]
	;; [unrolled: 3-line block ×3, first 2 shown]
	v_fma_f64 v[125:126], v[57:58], v[71:72], -v[125:126]
	v_fma_f64 v[3:4], v[59:60], v[71:72], v[3:4]
	s_clause 0x3
	buffer_load_dword v71, off, s[0:3], 0 offset:376
	buffer_load_dword v72, off, s[0:3], 0 offset:380
	;; [unrolled: 1-line block ×4, first 2 shown]
	s_waitcnt vmcnt(56)
	v_fma_f64 v[131:132], v[61:62], v[75:76], -v[131:132]
	ds_read_b128 v[57:60], v2 offset:560
	v_fma_f64 v[69:70], v[63:64], v[75:76], v[69:70]
	s_clause 0x3
	buffer_load_dword v76, off, s[0:3], 0 offset:396
	buffer_load_dword v75, off, s[0:3], 0 offset:392
	;; [unrolled: 1-line block ×4, first 2 shown]
	s_waitcnt vmcnt(56)
	v_fma_f64 v[73:74], v[65:66], v[79:80], -v[73:74]
	ds_read_b128 v[61:64], v2 offset:576
	v_fma_f64 v[79:80], v[67:68], v[79:80], v[135:136]
	v_add_f64 v[125:126], v[125:126], 0
	v_add_f64 v[3:4], v[3:4], 0
	s_waitcnt lgkmcnt(1)
	v_mul_f64 v[139:140], v[57:58], v[77:78]
	v_mul_f64 v[77:78], v[59:60], v[77:78]
	s_waitcnt vmcnt(54) lgkmcnt(0)
	v_mul_f64 v[135:136], v[61:62], v[81:82]
	v_mul_f64 v[81:82], v[63:64], v[81:82]
	v_add_f64 v[125:126], v[125:126], v[131:132]
	v_add_f64 v[3:4], v[3:4], v[69:70]
	s_clause 0x3
	buffer_load_dword v69, off, s[0:3], 0 offset:408
	buffer_load_dword v70, off, s[0:3], 0 offset:412
	;; [unrolled: 1-line block ×4, first 2 shown]
	s_waitcnt vmcnt(56)
	v_fma_f64 v[77:78], v[57:58], v[83:84], -v[77:78]
	ds_read_b128 v[65:68], v2 offset:592
	v_fma_f64 v[83:84], v[59:60], v[83:84], v[139:140]
	s_waitcnt vmcnt(52)
	v_fma_f64 v[81:82], v[61:62], v[87:88], -v[81:82]
	v_add_f64 v[73:74], v[125:126], v[73:74]
	v_add_f64 v[3:4], v[3:4], v[79:80]
	s_clause 0x3
	buffer_load_dword v80, off, s[0:3], 0 offset:428
	buffer_load_dword v79, off, s[0:3], 0 offset:424
	;; [unrolled: 1-line block ×4, first 2 shown]
	s_waitcnt lgkmcnt(0)
	v_mul_f64 v[139:140], v[65:66], v[85:86]
	v_mul_f64 v[85:86], v[67:68], v[85:86]
	ds_read_b128 v[57:60], v2 offset:608
	v_add_f64 v[73:74], v[73:74], v[77:78]
	v_fma_f64 v[77:78], v[63:64], v[87:88], v[135:136]
	v_add_f64 v[3:4], v[3:4], v[83:84]
	s_clause 0x1
	buffer_load_dword v84, off, s[0:3], 0 offset:420
	buffer_load_dword v83, off, s[0:3], 0 offset:416
	s_waitcnt vmcnt(56) lgkmcnt(0)
	v_mul_f64 v[87:88], v[57:58], v[89:90]
	v_mul_f64 v[89:90], v[59:60], v[89:90]
	s_waitcnt vmcnt(54)
	v_fma_f64 v[85:86], v[65:66], v[91:92], -v[85:86]
	ds_read_b128 v[61:64], v2 offset:624
	v_add_f64 v[73:74], v[73:74], v[81:82]
	v_fma_f64 v[81:82], v[67:68], v[91:92], v[139:140]
	v_add_f64 v[3:4], v[3:4], v[77:78]
	ds_read_b128 v[65:68], v2 offset:640
	s_waitcnt vmcnt(52) lgkmcnt(1)
	v_mul_f64 v[91:92], v[63:64], v[93:94]
	s_waitcnt vmcnt(50)
	v_fma_f64 v[89:90], v[57:58], v[95:96], -v[89:90]
	v_mul_f64 v[77:78], v[61:62], v[93:94]
	v_add_f64 v[73:74], v[73:74], v[85:86]
	v_fma_f64 v[85:86], v[59:60], v[95:96], v[87:88]
	v_add_f64 v[3:4], v[3:4], v[81:82]
	s_clause 0x3
	buffer_load_dword v81, off, s[0:3], 0 offset:96
	buffer_load_dword v82, off, s[0:3], 0 offset:100
	;; [unrolled: 1-line block ×4, first 2 shown]
	s_waitcnt vmcnt(52) lgkmcnt(0)
	v_mul_f64 v[95:96], v[67:68], v[97:98]
	s_waitcnt vmcnt(50)
	v_fma_f64 v[91:92], v[61:62], v[99:100], -v[91:92]
	ds_read_b128 v[57:60], v2 offset:656
	v_mul_f64 v[93:94], v[65:66], v[97:98]
	v_fma_f64 v[77:78], v[63:64], v[99:100], v[77:78]
	ds_read_b128 v[61:64], v2 offset:672
	v_add_f64 v[73:74], v[73:74], v[89:90]
	v_add_f64 v[3:4], v[3:4], v[85:86]
	s_waitcnt vmcnt(48) lgkmcnt(1)
	v_mul_f64 v[89:90], v[59:60], v[101:102]
	s_waitcnt vmcnt(46)
	v_fma_f64 v[95:96], v[65:66], v[103:104], -v[95:96]
	v_mul_f64 v[85:86], v[57:58], v[101:102]
	v_add_f64 v[73:74], v[73:74], v[91:92]
	v_fma_f64 v[91:92], v[67:68], v[103:104], v[93:94]
	v_add_f64 v[3:4], v[3:4], v[77:78]
	s_waitcnt vmcnt(44) lgkmcnt(0)
	v_mul_f64 v[93:94], v[63:64], v[105:106]
	s_waitcnt vmcnt(42)
	v_fma_f64 v[89:90], v[57:58], v[107:108], -v[89:90]
	ds_read_b128 v[65:68], v2 offset:688
	v_mul_f64 v[77:78], v[61:62], v[105:106]
	v_fma_f64 v[85:86], v[59:60], v[107:108], v[85:86]
	ds_read_b128 v[57:60], v2 offset:704
	v_add_f64 v[73:74], v[73:74], v[95:96]
	v_add_f64 v[3:4], v[3:4], v[91:92]
	s_waitcnt vmcnt(40) lgkmcnt(1)
	v_mul_f64 v[95:96], v[67:68], v[109:110]
	s_waitcnt vmcnt(38)
	v_fma_f64 v[93:94], v[61:62], v[111:112], -v[93:94]
	v_mul_f64 v[91:92], v[65:66], v[109:110]
	v_fma_f64 v[77:78], v[63:64], v[111:112], v[77:78]
	ds_read_b128 v[61:64], v2 offset:720
	v_add_f64 v[73:74], v[73:74], v[89:90]
	s_waitcnt vmcnt(36) lgkmcnt(1)
	v_mul_f64 v[89:90], v[59:60], v[113:114]
	v_add_f64 v[3:4], v[3:4], v[85:86]
	s_waitcnt vmcnt(34)
	v_fma_f64 v[95:96], v[65:66], v[115:116], -v[95:96]
	v_mul_f64 v[85:86], v[57:58], v[113:114]
	v_fma_f64 v[91:92], v[67:68], v[115:116], v[91:92]
	ds_read_b128 v[65:68], v2 offset:736
	v_add_f64 v[73:74], v[73:74], v[93:94]
	s_waitcnt vmcnt(32) lgkmcnt(1)
	v_mul_f64 v[93:94], v[63:64], v[117:118]
	v_add_f64 v[3:4], v[3:4], v[77:78]
	;; [unrolled: 9-line block ×4, first 2 shown]
	s_waitcnt vmcnt(22)
	v_fma_f64 v[95:96], v[65:66], v[129:130], -v[95:96]
	v_mul_f64 v[85:86], v[57:58], v[127:128]
	v_fma_f64 v[91:92], v[67:68], v[129:130], v[91:92]
	ds_read_b128 v[65:68], v2 offset:784
	v_add_f64 v[73:74], v[73:74], v[93:94]
	v_add_f64 v[3:4], v[3:4], v[77:78]
	s_waitcnt vmcnt(20) lgkmcnt(1)
	v_mul_f64 v[77:78], v[61:62], v[71:72]
	v_mul_f64 v[71:72], v[63:64], v[71:72]
	s_waitcnt vmcnt(18)
	v_fma_f64 v[89:90], v[57:58], v[133:134], -v[89:90]
	v_fma_f64 v[85:86], v[59:60], v[133:134], v[85:86]
	ds_read_b128 v[57:60], v2 offset:800
	v_add_f64 v[73:74], v[73:74], v[95:96]
	v_add_f64 v[3:4], v[3:4], v[91:92]
	s_waitcnt vmcnt(16) lgkmcnt(1)
	v_mul_f64 v[91:92], v[65:66], v[75:76]
	v_mul_f64 v[75:76], v[67:68], v[75:76]
	s_waitcnt vmcnt(14)
	v_fma_f64 v[77:78], v[63:64], v[137:138], v[77:78]
	v_fma_f64 v[71:72], v[61:62], v[137:138], -v[71:72]
	ds_read_b128 v[61:64], v2 offset:816
	v_add_f64 v[73:74], v[73:74], v[89:90]
	v_add_f64 v[3:4], v[3:4], v[85:86]
	s_waitcnt vmcnt(12) lgkmcnt(1)
	v_mul_f64 v[85:86], v[57:58], v[69:70]
	v_mul_f64 v[69:70], v[59:60], v[69:70]
	s_waitcnt vmcnt(10)
	v_fma_f64 v[65:66], v[65:66], v[131:132], -v[75:76]
	v_fma_f64 v[67:68], v[67:68], v[131:132], v[91:92]
	v_add_f64 v[71:72], v[73:74], v[71:72]
	v_add_f64 v[2:3], v[3:4], v[77:78]
	s_waitcnt vmcnt(8) lgkmcnt(0)
	v_mul_f64 v[75:76], v[63:64], v[79:80]
	v_mul_f64 v[73:74], v[61:62], v[79:80]
	s_waitcnt vmcnt(6)
	v_fma_f64 v[57:58], v[57:58], v[125:126], -v[69:70]
	v_fma_f64 v[59:60], v[59:60], v[125:126], v[85:86]
	v_add_f64 v[65:66], v[71:72], v[65:66]
	v_add_f64 v[2:3], v[2:3], v[67:68]
	s_waitcnt vmcnt(4)
	v_fma_f64 v[61:62], v[61:62], v[83:84], -v[75:76]
	v_fma_f64 v[63:64], v[63:64], v[83:84], v[73:74]
	v_add_f64 v[57:58], v[65:66], v[57:58]
	v_add_f64 v[2:3], v[2:3], v[59:60]
	;; [unrolled: 1-line block ×4, first 2 shown]
	s_waitcnt vmcnt(2)
	v_add_f64 v[57:58], v[81:82], -v[57:58]
	s_waitcnt vmcnt(0)
	v_add_f64 v[2:3], v[87:88], -v[2:3]
	buffer_store_dword v58, off, s[0:3], 0 offset:100
	buffer_store_dword v57, off, s[0:3], 0 offset:96
	;; [unrolled: 1-line block ×4, first 2 shown]
	v_cmpx_lt_u32_e32 4, v0
	s_cbranch_execz .LBB25_161
; %bb.160:
	v_mov_b32_e32 v2, s8
	s_clause 0x3
	buffer_load_dword v57, v2, s[0:3], 0 offen
	buffer_load_dword v58, v2, s[0:3], 0 offen offset:4
	buffer_load_dword v59, v2, s[0:3], 0 offen offset:8
	;; [unrolled: 1-line block ×3, first 2 shown]
	v_mov_b32_e32 v2, 0
	buffer_store_dword v2, off, s[0:3], 0 offset:80
	buffer_store_dword v2, off, s[0:3], 0 offset:84
	;; [unrolled: 1-line block ×4, first 2 shown]
	s_waitcnt vmcnt(0)
	ds_write_b128 v1, v[57:60]
.LBB25_161:
	s_or_b32 exec_lo, exec_lo, s4
	s_waitcnt lgkmcnt(0)
	s_waitcnt_vscnt null, 0x0
	s_barrier
	buffer_gl0_inv
	s_clause 0x35
	buffer_load_dword v3, off, s[0:3], 0 offset:104
	buffer_load_dword v4, off, s[0:3], 0 offset:108
	;; [unrolled: 1-line block ×54, first 2 shown]
	v_mov_b32_e32 v2, 0
	s_mov_b32 s4, exec_lo
	ds_read_b128 v[57:60], v2 offset:496
	s_clause 0x3
	buffer_load_dword v121, off, s[0:3], 0 offset:328
	buffer_load_dword v122, off, s[0:3], 0 offset:332
	;; [unrolled: 1-line block ×4, first 2 shown]
	ds_read_b128 v[61:64], v2 offset:512
	s_clause 0x3
	buffer_load_dword v128, off, s[0:3], 0 offset:348
	buffer_load_dword v127, off, s[0:3], 0 offset:344
	;; [unrolled: 1-line block ×4, first 2 shown]
	ds_read_b128 v[65:68], v2 offset:528
	s_waitcnt vmcnt(60) lgkmcnt(2)
	v_mul_f64 v[125:126], v[59:60], v[3:4]
	v_mul_f64 v[3:4], v[57:58], v[3:4]
	s_waitcnt vmcnt(58) lgkmcnt(1)
	v_mul_f64 v[131:132], v[63:64], v[69:70]
	v_mul_f64 v[69:70], v[61:62], v[69:70]
	;; [unrolled: 3-line block ×3, first 2 shown]
	v_fma_f64 v[125:126], v[57:58], v[71:72], -v[125:126]
	v_fma_f64 v[3:4], v[59:60], v[71:72], v[3:4]
	s_clause 0x3
	buffer_load_dword v71, off, s[0:3], 0 offset:360
	buffer_load_dword v72, off, s[0:3], 0 offset:364
	buffer_load_dword v134, off, s[0:3], 0 offset:340
	buffer_load_dword v133, off, s[0:3], 0 offset:336
	s_waitcnt vmcnt(56)
	v_fma_f64 v[131:132], v[61:62], v[75:76], -v[131:132]
	ds_read_b128 v[57:60], v2 offset:544
	v_fma_f64 v[69:70], v[63:64], v[75:76], v[69:70]
	s_clause 0x3
	buffer_load_dword v76, off, s[0:3], 0 offset:380
	buffer_load_dword v75, off, s[0:3], 0 offset:376
	buffer_load_dword v137, off, s[0:3], 0 offset:352
	buffer_load_dword v138, off, s[0:3], 0 offset:356
	s_waitcnt vmcnt(56)
	v_fma_f64 v[73:74], v[65:66], v[79:80], -v[73:74]
	ds_read_b128 v[61:64], v2 offset:560
	v_fma_f64 v[79:80], v[67:68], v[79:80], v[135:136]
	v_add_f64 v[125:126], v[125:126], 0
	v_add_f64 v[3:4], v[3:4], 0
	s_waitcnt lgkmcnt(1)
	v_mul_f64 v[139:140], v[57:58], v[77:78]
	v_mul_f64 v[77:78], v[59:60], v[77:78]
	s_waitcnt vmcnt(54) lgkmcnt(0)
	v_mul_f64 v[135:136], v[61:62], v[81:82]
	v_mul_f64 v[81:82], v[63:64], v[81:82]
	v_add_f64 v[125:126], v[125:126], v[131:132]
	v_add_f64 v[3:4], v[3:4], v[69:70]
	s_clause 0x3
	buffer_load_dword v69, off, s[0:3], 0 offset:392
	buffer_load_dword v70, off, s[0:3], 0 offset:396
	;; [unrolled: 1-line block ×4, first 2 shown]
	s_waitcnt vmcnt(56)
	v_fma_f64 v[77:78], v[57:58], v[83:84], -v[77:78]
	ds_read_b128 v[65:68], v2 offset:576
	v_fma_f64 v[83:84], v[59:60], v[83:84], v[139:140]
	s_waitcnt vmcnt(52)
	v_fma_f64 v[81:82], v[61:62], v[87:88], -v[81:82]
	v_add_f64 v[73:74], v[125:126], v[73:74]
	v_add_f64 v[3:4], v[3:4], v[79:80]
	s_clause 0x3
	buffer_load_dword v80, off, s[0:3], 0 offset:412
	buffer_load_dword v79, off, s[0:3], 0 offset:408
	;; [unrolled: 1-line block ×4, first 2 shown]
	s_waitcnt lgkmcnt(0)
	v_mul_f64 v[139:140], v[65:66], v[85:86]
	v_mul_f64 v[85:86], v[67:68], v[85:86]
	ds_read_b128 v[57:60], v2 offset:592
	v_add_f64 v[73:74], v[73:74], v[77:78]
	v_fma_f64 v[77:78], v[63:64], v[87:88], v[135:136]
	v_add_f64 v[3:4], v[3:4], v[83:84]
	s_clause 0x3
	buffer_load_dword v83, off, s[0:3], 0 offset:424
	buffer_load_dword v84, off, s[0:3], 0 offset:428
	;; [unrolled: 1-line block ×4, first 2 shown]
	s_waitcnt vmcnt(58) lgkmcnt(0)
	v_mul_f64 v[135:136], v[57:58], v[89:90]
	v_mul_f64 v[89:90], v[59:60], v[89:90]
	s_waitcnt vmcnt(56)
	v_fma_f64 v[85:86], v[65:66], v[91:92], -v[85:86]
	ds_read_b128 v[61:64], v2 offset:608
	v_add_f64 v[73:74], v[73:74], v[81:82]
	v_fma_f64 v[81:82], v[67:68], v[91:92], v[139:140]
	v_add_f64 v[3:4], v[3:4], v[77:78]
	s_clause 0x1
	buffer_load_dword v77, off, s[0:3], 0 offset:416
	buffer_load_dword v78, off, s[0:3], 0 offset:420
	ds_read_b128 v[65:68], v2 offset:624
	s_waitcnt vmcnt(56) lgkmcnt(1)
	v_mul_f64 v[91:92], v[61:62], v[93:94]
	v_mul_f64 v[93:94], v[63:64], v[93:94]
	s_waitcnt vmcnt(54)
	v_fma_f64 v[89:90], v[57:58], v[95:96], -v[89:90]
	v_add_f64 v[73:74], v[73:74], v[85:86]
	v_fma_f64 v[85:86], v[59:60], v[95:96], v[135:136]
	v_add_f64 v[3:4], v[3:4], v[81:82]
	ds_read_b128 v[57:60], v2 offset:640
	s_waitcnt vmcnt(52) lgkmcnt(1)
	v_mul_f64 v[95:96], v[67:68], v[97:98]
	v_mul_f64 v[81:82], v[65:66], v[97:98]
	s_waitcnt vmcnt(50)
	v_fma_f64 v[93:94], v[61:62], v[99:100], -v[93:94]
	v_add_f64 v[73:74], v[73:74], v[89:90]
	v_fma_f64 v[89:90], v[63:64], v[99:100], v[91:92]
	v_add_f64 v[3:4], v[3:4], v[85:86]
	s_clause 0x3
	buffer_load_dword v85, off, s[0:3], 0 offset:80
	buffer_load_dword v86, off, s[0:3], 0 offset:84
	;; [unrolled: 1-line block ×4, first 2 shown]
	s_waitcnt vmcnt(52) lgkmcnt(0)
	v_mul_f64 v[99:100], v[59:60], v[101:102]
	s_waitcnt vmcnt(50)
	v_fma_f64 v[95:96], v[65:66], v[103:104], -v[95:96]
	ds_read_b128 v[61:64], v2 offset:656
	v_mul_f64 v[97:98], v[57:58], v[101:102]
	v_fma_f64 v[81:82], v[67:68], v[103:104], v[81:82]
	ds_read_b128 v[65:68], v2 offset:672
	v_add_f64 v[73:74], v[73:74], v[93:94]
	v_add_f64 v[3:4], v[3:4], v[89:90]
	s_waitcnt vmcnt(48) lgkmcnt(1)
	v_mul_f64 v[93:94], v[63:64], v[105:106]
	s_waitcnt vmcnt(46)
	v_fma_f64 v[99:100], v[57:58], v[107:108], -v[99:100]
	v_mul_f64 v[89:90], v[61:62], v[105:106]
	v_add_f64 v[73:74], v[73:74], v[95:96]
	v_fma_f64 v[95:96], v[59:60], v[107:108], v[97:98]
	v_add_f64 v[3:4], v[3:4], v[81:82]
	s_waitcnt vmcnt(44) lgkmcnt(0)
	v_mul_f64 v[97:98], v[67:68], v[109:110]
	s_waitcnt vmcnt(42)
	v_fma_f64 v[93:94], v[61:62], v[111:112], -v[93:94]
	ds_read_b128 v[57:60], v2 offset:688
	v_mul_f64 v[81:82], v[65:66], v[109:110]
	v_fma_f64 v[89:90], v[63:64], v[111:112], v[89:90]
	ds_read_b128 v[61:64], v2 offset:704
	v_add_f64 v[73:74], v[73:74], v[99:100]
	v_add_f64 v[3:4], v[3:4], v[95:96]
	s_waitcnt vmcnt(40) lgkmcnt(1)
	v_mul_f64 v[99:100], v[59:60], v[113:114]
	s_waitcnt vmcnt(38)
	v_fma_f64 v[97:98], v[65:66], v[115:116], -v[97:98]
	v_mul_f64 v[95:96], v[57:58], v[113:114]
	v_fma_f64 v[81:82], v[67:68], v[115:116], v[81:82]
	ds_read_b128 v[65:68], v2 offset:720
	v_add_f64 v[73:74], v[73:74], v[93:94]
	s_waitcnt vmcnt(36) lgkmcnt(1)
	v_mul_f64 v[93:94], v[63:64], v[117:118]
	v_add_f64 v[3:4], v[3:4], v[89:90]
	s_waitcnt vmcnt(34)
	v_fma_f64 v[99:100], v[57:58], v[119:120], -v[99:100]
	v_mul_f64 v[89:90], v[61:62], v[117:118]
	v_fma_f64 v[95:96], v[59:60], v[119:120], v[95:96]
	ds_read_b128 v[57:60], v2 offset:736
	v_add_f64 v[73:74], v[73:74], v[97:98]
	s_waitcnt vmcnt(32) lgkmcnt(1)
	v_mul_f64 v[97:98], v[67:68], v[121:122]
	v_add_f64 v[3:4], v[3:4], v[81:82]
	s_waitcnt vmcnt(30)
	v_fma_f64 v[93:94], v[61:62], v[123:124], -v[93:94]
	v_mul_f64 v[81:82], v[65:66], v[121:122]
	v_fma_f64 v[89:90], v[63:64], v[123:124], v[89:90]
	ds_read_b128 v[61:64], v2 offset:752
	v_add_f64 v[73:74], v[73:74], v[99:100]
	s_waitcnt vmcnt(28) lgkmcnt(1)
	v_mul_f64 v[99:100], v[59:60], v[127:128]
	v_add_f64 v[3:4], v[3:4], v[95:96]
	s_waitcnt vmcnt(26)
	v_fma_f64 v[97:98], v[65:66], v[129:130], -v[97:98]
	v_mul_f64 v[95:96], v[57:58], v[127:128]
	v_fma_f64 v[81:82], v[67:68], v[129:130], v[81:82]
	ds_read_b128 v[65:68], v2 offset:768
	v_add_f64 v[73:74], v[73:74], v[93:94]
	v_add_f64 v[3:4], v[3:4], v[89:90]
	s_waitcnt vmcnt(24) lgkmcnt(1)
	v_mul_f64 v[89:90], v[61:62], v[71:72]
	v_mul_f64 v[71:72], v[63:64], v[71:72]
	s_waitcnt vmcnt(22)
	v_fma_f64 v[93:94], v[57:58], v[133:134], -v[99:100]
	v_fma_f64 v[95:96], v[59:60], v[133:134], v[95:96]
	ds_read_b128 v[57:60], v2 offset:784
	v_add_f64 v[73:74], v[73:74], v[97:98]
	v_add_f64 v[3:4], v[3:4], v[81:82]
	s_waitcnt vmcnt(20) lgkmcnt(1)
	v_mul_f64 v[81:82], v[65:66], v[75:76]
	v_mul_f64 v[75:76], v[67:68], v[75:76]
	s_waitcnt vmcnt(18)
	v_fma_f64 v[89:90], v[63:64], v[137:138], v[89:90]
	v_fma_f64 v[71:72], v[61:62], v[137:138], -v[71:72]
	ds_read_b128 v[61:64], v2 offset:800
	v_add_f64 v[73:74], v[73:74], v[93:94]
	v_add_f64 v[3:4], v[3:4], v[95:96]
	s_waitcnt vmcnt(16) lgkmcnt(1)
	v_mul_f64 v[93:94], v[57:58], v[69:70]
	v_mul_f64 v[69:70], v[59:60], v[69:70]
	s_waitcnt vmcnt(14)
	v_fma_f64 v[75:76], v[65:66], v[131:132], -v[75:76]
	v_add_f64 v[71:72], v[73:74], v[71:72]
	v_fma_f64 v[73:74], v[67:68], v[131:132], v[81:82]
	v_add_f64 v[3:4], v[3:4], v[89:90]
	ds_read_b128 v[65:68], v2 offset:816
	s_waitcnt vmcnt(12) lgkmcnt(1)
	v_mul_f64 v[81:82], v[61:62], v[79:80]
	v_mul_f64 v[79:80], v[63:64], v[79:80]
	s_waitcnt vmcnt(10)
	v_fma_f64 v[57:58], v[57:58], v[125:126], -v[69:70]
	v_fma_f64 v[59:60], v[59:60], v[125:126], v[93:94]
	v_add_f64 v[69:70], v[71:72], v[75:76]
	v_add_f64 v[3:4], v[3:4], v[73:74]
	s_waitcnt vmcnt(8) lgkmcnt(0)
	v_mul_f64 v[73:74], v[67:68], v[83:84]
	v_mul_f64 v[71:72], v[65:66], v[83:84]
	s_waitcnt vmcnt(6)
	v_fma_f64 v[61:62], v[61:62], v[87:88], -v[79:80]
	v_fma_f64 v[63:64], v[63:64], v[87:88], v[81:82]
	v_add_f64 v[57:58], v[69:70], v[57:58]
	v_add_f64 v[3:4], v[3:4], v[59:60]
	s_waitcnt vmcnt(4)
	v_fma_f64 v[59:60], v[65:66], v[77:78], -v[73:74]
	v_add_f64 v[57:58], v[57:58], v[61:62]
	v_fma_f64 v[61:62], v[67:68], v[77:78], v[71:72]
	v_add_f64 v[3:4], v[3:4], v[63:64]
	v_add_f64 v[57:58], v[57:58], v[59:60]
	;; [unrolled: 1-line block ×3, first 2 shown]
	s_waitcnt vmcnt(2)
	v_add_f64 v[57:58], v[85:86], -v[57:58]
	s_waitcnt vmcnt(0)
	v_add_f64 v[3:4], v[91:92], -v[3:4]
	buffer_store_dword v58, off, s[0:3], 0 offset:84
	buffer_store_dword v57, off, s[0:3], 0 offset:80
	;; [unrolled: 1-line block ×4, first 2 shown]
	v_cmpx_lt_u32_e32 3, v0
	s_cbranch_execz .LBB25_163
; %bb.162:
	v_mov_b32_e32 v3, s35
	s_clause 0x3
	buffer_load_dword v57, v3, s[0:3], 0 offen
	buffer_load_dword v58, v3, s[0:3], 0 offen offset:4
	buffer_load_dword v59, v3, s[0:3], 0 offen offset:8
	;; [unrolled: 1-line block ×3, first 2 shown]
	buffer_store_dword v2, off, s[0:3], 0 offset:64
	buffer_store_dword v2, off, s[0:3], 0 offset:68
	;; [unrolled: 1-line block ×4, first 2 shown]
	s_waitcnt vmcnt(0)
	ds_write_b128 v1, v[57:60]
.LBB25_163:
	s_or_b32 exec_lo, exec_lo, s4
	s_waitcnt lgkmcnt(0)
	s_waitcnt_vscnt null, 0x0
	s_barrier
	buffer_gl0_inv
	s_clause 0x35
	buffer_load_dword v3, off, s[0:3], 0 offset:88
	buffer_load_dword v4, off, s[0:3], 0 offset:92
	;; [unrolled: 1-line block ×54, first 2 shown]
	ds_read_b128 v[57:60], v2 offset:480
	s_clause 0x3
	buffer_load_dword v121, off, s[0:3], 0 offset:312
	buffer_load_dword v122, off, s[0:3], 0 offset:316
	;; [unrolled: 1-line block ×4, first 2 shown]
	ds_read_b128 v[61:64], v2 offset:496
	s_clause 0x3
	buffer_load_dword v128, off, s[0:3], 0 offset:332
	buffer_load_dword v127, off, s[0:3], 0 offset:328
	;; [unrolled: 1-line block ×4, first 2 shown]
	ds_read_b128 v[65:68], v2 offset:512
	s_mov_b32 s4, exec_lo
	s_waitcnt vmcnt(60) lgkmcnt(2)
	v_mul_f64 v[125:126], v[59:60], v[3:4]
	v_mul_f64 v[3:4], v[57:58], v[3:4]
	s_waitcnt vmcnt(58) lgkmcnt(1)
	v_mul_f64 v[131:132], v[63:64], v[69:70]
	v_mul_f64 v[69:70], v[61:62], v[69:70]
	;; [unrolled: 3-line block ×3, first 2 shown]
	v_fma_f64 v[125:126], v[57:58], v[71:72], -v[125:126]
	v_fma_f64 v[3:4], v[59:60], v[71:72], v[3:4]
	s_clause 0x3
	buffer_load_dword v71, off, s[0:3], 0 offset:344
	buffer_load_dword v72, off, s[0:3], 0 offset:348
	;; [unrolled: 1-line block ×4, first 2 shown]
	s_waitcnt vmcnt(56)
	v_fma_f64 v[131:132], v[61:62], v[75:76], -v[131:132]
	ds_read_b128 v[57:60], v2 offset:528
	v_fma_f64 v[69:70], v[63:64], v[75:76], v[69:70]
	s_clause 0x3
	buffer_load_dword v76, off, s[0:3], 0 offset:364
	buffer_load_dword v75, off, s[0:3], 0 offset:360
	;; [unrolled: 1-line block ×4, first 2 shown]
	s_waitcnt vmcnt(56)
	v_fma_f64 v[73:74], v[65:66], v[79:80], -v[73:74]
	ds_read_b128 v[61:64], v2 offset:544
	v_fma_f64 v[79:80], v[67:68], v[79:80], v[135:136]
	v_add_f64 v[125:126], v[125:126], 0
	v_add_f64 v[3:4], v[3:4], 0
	s_waitcnt lgkmcnt(1)
	v_mul_f64 v[139:140], v[57:58], v[77:78]
	v_mul_f64 v[77:78], v[59:60], v[77:78]
	s_waitcnt vmcnt(54) lgkmcnt(0)
	v_mul_f64 v[135:136], v[61:62], v[81:82]
	v_mul_f64 v[81:82], v[63:64], v[81:82]
	v_add_f64 v[125:126], v[125:126], v[131:132]
	v_add_f64 v[3:4], v[3:4], v[69:70]
	s_clause 0x3
	buffer_load_dword v69, off, s[0:3], 0 offset:376
	buffer_load_dword v70, off, s[0:3], 0 offset:380
	;; [unrolled: 1-line block ×4, first 2 shown]
	s_waitcnt vmcnt(56)
	v_fma_f64 v[77:78], v[57:58], v[83:84], -v[77:78]
	ds_read_b128 v[65:68], v2 offset:560
	v_fma_f64 v[83:84], v[59:60], v[83:84], v[139:140]
	s_waitcnt vmcnt(52)
	v_fma_f64 v[81:82], v[61:62], v[87:88], -v[81:82]
	v_add_f64 v[73:74], v[125:126], v[73:74]
	v_add_f64 v[3:4], v[3:4], v[79:80]
	s_clause 0x3
	buffer_load_dword v80, off, s[0:3], 0 offset:396
	buffer_load_dword v79, off, s[0:3], 0 offset:392
	;; [unrolled: 1-line block ×4, first 2 shown]
	s_waitcnt lgkmcnt(0)
	v_mul_f64 v[139:140], v[65:66], v[85:86]
	v_mul_f64 v[85:86], v[67:68], v[85:86]
	ds_read_b128 v[57:60], v2 offset:576
	v_add_f64 v[73:74], v[73:74], v[77:78]
	v_fma_f64 v[77:78], v[63:64], v[87:88], v[135:136]
	v_add_f64 v[3:4], v[3:4], v[83:84]
	s_clause 0x3
	buffer_load_dword v83, off, s[0:3], 0 offset:408
	buffer_load_dword v84, off, s[0:3], 0 offset:412
	;; [unrolled: 1-line block ×4, first 2 shown]
	s_waitcnt vmcnt(58) lgkmcnt(0)
	v_mul_f64 v[135:136], v[57:58], v[89:90]
	v_mul_f64 v[89:90], v[59:60], v[89:90]
	s_waitcnt vmcnt(56)
	v_fma_f64 v[85:86], v[65:66], v[91:92], -v[85:86]
	ds_read_b128 v[61:64], v2 offset:592
	v_add_f64 v[73:74], v[73:74], v[81:82]
	v_fma_f64 v[81:82], v[67:68], v[91:92], v[139:140]
	v_add_f64 v[3:4], v[3:4], v[77:78]
	s_clause 0x3
	buffer_load_dword v78, off, s[0:3], 0 offset:428
	buffer_load_dword v77, off, s[0:3], 0 offset:424
	;; [unrolled: 1-line block ×4, first 2 shown]
	ds_read_b128 v[65:68], v2 offset:608
	s_waitcnt vmcnt(58) lgkmcnt(1)
	v_mul_f64 v[139:140], v[61:62], v[93:94]
	v_mul_f64 v[93:94], v[63:64], v[93:94]
	s_waitcnt vmcnt(56)
	v_fma_f64 v[89:90], v[57:58], v[95:96], -v[89:90]
	v_add_f64 v[73:74], v[73:74], v[85:86]
	v_fma_f64 v[85:86], v[59:60], v[95:96], v[135:136]
	v_add_f64 v[3:4], v[3:4], v[81:82]
	s_clause 0x1
	buffer_load_dword v82, off, s[0:3], 0 offset:420
	buffer_load_dword v81, off, s[0:3], 0 offset:416
	s_waitcnt vmcnt(56) lgkmcnt(0)
	v_mul_f64 v[95:96], v[65:66], v[97:98]
	v_mul_f64 v[97:98], v[67:68], v[97:98]
	s_waitcnt vmcnt(54)
	v_fma_f64 v[93:94], v[61:62], v[99:100], -v[93:94]
	ds_read_b128 v[57:60], v2 offset:624
	v_add_f64 v[73:74], v[73:74], v[89:90]
	v_fma_f64 v[89:90], v[63:64], v[99:100], v[139:140]
	v_add_f64 v[3:4], v[3:4], v[85:86]
	ds_read_b128 v[61:64], v2 offset:640
	s_waitcnt vmcnt(52) lgkmcnt(1)
	v_mul_f64 v[99:100], v[59:60], v[101:102]
	s_waitcnt vmcnt(50)
	v_fma_f64 v[97:98], v[65:66], v[103:104], -v[97:98]
	v_mul_f64 v[85:86], v[57:58], v[101:102]
	v_add_f64 v[73:74], v[73:74], v[93:94]
	v_fma_f64 v[93:94], v[67:68], v[103:104], v[95:96]
	v_add_f64 v[3:4], v[3:4], v[89:90]
	s_clause 0x3
	buffer_load_dword v89, off, s[0:3], 0 offset:64
	buffer_load_dword v90, off, s[0:3], 0 offset:68
	;; [unrolled: 1-line block ×4, first 2 shown]
	s_waitcnt vmcnt(52) lgkmcnt(0)
	v_mul_f64 v[103:104], v[63:64], v[105:106]
	s_waitcnt vmcnt(50)
	v_fma_f64 v[99:100], v[57:58], v[107:108], -v[99:100]
	ds_read_b128 v[65:68], v2 offset:656
	v_mul_f64 v[101:102], v[61:62], v[105:106]
	v_fma_f64 v[85:86], v[59:60], v[107:108], v[85:86]
	ds_read_b128 v[57:60], v2 offset:672
	v_add_f64 v[73:74], v[73:74], v[97:98]
	v_add_f64 v[3:4], v[3:4], v[93:94]
	s_waitcnt vmcnt(48) lgkmcnt(1)
	v_mul_f64 v[97:98], v[67:68], v[109:110]
	s_waitcnt vmcnt(46)
	v_fma_f64 v[103:104], v[61:62], v[111:112], -v[103:104]
	v_mul_f64 v[93:94], v[65:66], v[109:110]
	v_add_f64 v[73:74], v[73:74], v[99:100]
	v_fma_f64 v[99:100], v[63:64], v[111:112], v[101:102]
	v_add_f64 v[3:4], v[3:4], v[85:86]
	s_waitcnt vmcnt(44) lgkmcnt(0)
	v_mul_f64 v[101:102], v[59:60], v[113:114]
	s_waitcnt vmcnt(42)
	v_fma_f64 v[97:98], v[65:66], v[115:116], -v[97:98]
	ds_read_b128 v[61:64], v2 offset:688
	v_mul_f64 v[85:86], v[57:58], v[113:114]
	v_fma_f64 v[93:94], v[67:68], v[115:116], v[93:94]
	ds_read_b128 v[65:68], v2 offset:704
	v_add_f64 v[73:74], v[73:74], v[103:104]
	v_add_f64 v[3:4], v[3:4], v[99:100]
	s_waitcnt vmcnt(40) lgkmcnt(1)
	v_mul_f64 v[103:104], v[63:64], v[117:118]
	s_waitcnt vmcnt(38)
	v_fma_f64 v[101:102], v[57:58], v[119:120], -v[101:102]
	v_mul_f64 v[99:100], v[61:62], v[117:118]
	v_fma_f64 v[85:86], v[59:60], v[119:120], v[85:86]
	ds_read_b128 v[57:60], v2 offset:720
	v_add_f64 v[73:74], v[73:74], v[97:98]
	s_waitcnt vmcnt(36) lgkmcnt(1)
	v_mul_f64 v[97:98], v[67:68], v[121:122]
	v_add_f64 v[3:4], v[3:4], v[93:94]
	s_waitcnt vmcnt(34)
	v_fma_f64 v[103:104], v[61:62], v[123:124], -v[103:104]
	v_mul_f64 v[93:94], v[65:66], v[121:122]
	v_fma_f64 v[99:100], v[63:64], v[123:124], v[99:100]
	ds_read_b128 v[61:64], v2 offset:736
	v_add_f64 v[73:74], v[73:74], v[101:102]
	s_waitcnt vmcnt(32) lgkmcnt(1)
	v_mul_f64 v[101:102], v[59:60], v[127:128]
	v_add_f64 v[3:4], v[3:4], v[85:86]
	s_waitcnt vmcnt(30)
	v_fma_f64 v[97:98], v[65:66], v[129:130], -v[97:98]
	v_mul_f64 v[85:86], v[57:58], v[127:128]
	v_fma_f64 v[93:94], v[67:68], v[129:130], v[93:94]
	ds_read_b128 v[65:68], v2 offset:752
	v_add_f64 v[73:74], v[73:74], v[103:104]
	v_add_f64 v[3:4], v[3:4], v[99:100]
	s_waitcnt vmcnt(28) lgkmcnt(1)
	v_mul_f64 v[99:100], v[61:62], v[71:72]
	v_mul_f64 v[71:72], v[63:64], v[71:72]
	s_waitcnt vmcnt(26)
	v_fma_f64 v[101:102], v[57:58], v[133:134], -v[101:102]
	v_fma_f64 v[85:86], v[59:60], v[133:134], v[85:86]
	ds_read_b128 v[57:60], v2 offset:768
	v_add_f64 v[73:74], v[73:74], v[97:98]
	v_add_f64 v[3:4], v[3:4], v[93:94]
	s_waitcnt vmcnt(24) lgkmcnt(1)
	v_mul_f64 v[93:94], v[65:66], v[75:76]
	v_mul_f64 v[75:76], v[67:68], v[75:76]
	s_waitcnt vmcnt(22)
	v_fma_f64 v[97:98], v[63:64], v[137:138], v[99:100]
	v_fma_f64 v[71:72], v[61:62], v[137:138], -v[71:72]
	ds_read_b128 v[61:64], v2 offset:784
	v_add_f64 v[73:74], v[73:74], v[101:102]
	v_add_f64 v[3:4], v[3:4], v[85:86]
	s_waitcnt vmcnt(20) lgkmcnt(1)
	v_mul_f64 v[85:86], v[57:58], v[69:70]
	v_mul_f64 v[69:70], v[59:60], v[69:70]
	s_waitcnt vmcnt(18)
	v_fma_f64 v[75:76], v[65:66], v[131:132], -v[75:76]
	v_add_f64 v[71:72], v[73:74], v[71:72]
	v_fma_f64 v[73:74], v[67:68], v[131:132], v[93:94]
	v_add_f64 v[3:4], v[3:4], v[97:98]
	ds_read_b128 v[65:68], v2 offset:800
	s_waitcnt vmcnt(16) lgkmcnt(1)
	v_mul_f64 v[93:94], v[61:62], v[79:80]
	v_mul_f64 v[79:80], v[63:64], v[79:80]
	s_waitcnt vmcnt(14)
	v_fma_f64 v[69:70], v[57:58], v[125:126], -v[69:70]
	v_add_f64 v[71:72], v[71:72], v[75:76]
	v_fma_f64 v[75:76], v[59:60], v[125:126], v[85:86]
	v_add_f64 v[3:4], v[3:4], v[73:74]
	ds_read_b128 v[57:60], v2 offset:816
	s_waitcnt vmcnt(12) lgkmcnt(1)
	v_mul_f64 v[73:74], v[65:66], v[83:84]
	v_mul_f64 v[83:84], v[67:68], v[83:84]
	s_waitcnt vmcnt(10)
	v_fma_f64 v[61:62], v[61:62], v[87:88], -v[79:80]
	v_fma_f64 v[63:64], v[63:64], v[87:88], v[93:94]
	v_add_f64 v[69:70], v[71:72], v[69:70]
	v_add_f64 v[2:3], v[3:4], v[75:76]
	s_waitcnt vmcnt(8) lgkmcnt(0)
	v_mul_f64 v[75:76], v[59:60], v[77:78]
	v_mul_f64 v[71:72], v[57:58], v[77:78]
	s_waitcnt vmcnt(6)
	v_fma_f64 v[65:66], v[65:66], v[91:92], -v[83:84]
	v_fma_f64 v[67:68], v[67:68], v[91:92], v[73:74]
	v_add_f64 v[61:62], v[69:70], v[61:62]
	v_add_f64 v[2:3], v[2:3], v[63:64]
	s_waitcnt vmcnt(4)
	v_fma_f64 v[57:58], v[57:58], v[81:82], -v[75:76]
	v_fma_f64 v[59:60], v[59:60], v[81:82], v[71:72]
	v_add_f64 v[61:62], v[61:62], v[65:66]
	v_add_f64 v[2:3], v[2:3], v[67:68]
	;; [unrolled: 1-line block ×4, first 2 shown]
	s_waitcnt vmcnt(2)
	v_add_f64 v[57:58], v[89:90], -v[57:58]
	s_waitcnt vmcnt(0)
	v_add_f64 v[2:3], v[95:96], -v[2:3]
	buffer_store_dword v58, off, s[0:3], 0 offset:68
	buffer_store_dword v57, off, s[0:3], 0 offset:64
	;; [unrolled: 1-line block ×4, first 2 shown]
	v_cmpx_lt_u32_e32 2, v0
	s_cbranch_execz .LBB25_165
; %bb.164:
	v_mov_b32_e32 v2, s36
	s_clause 0x3
	buffer_load_dword v57, v2, s[0:3], 0 offen
	buffer_load_dword v58, v2, s[0:3], 0 offen offset:4
	buffer_load_dword v59, v2, s[0:3], 0 offen offset:8
	;; [unrolled: 1-line block ×3, first 2 shown]
	v_mov_b32_e32 v2, 0
	buffer_store_dword v2, off, s[0:3], 0 offset:48
	buffer_store_dword v2, off, s[0:3], 0 offset:52
	;; [unrolled: 1-line block ×4, first 2 shown]
	s_waitcnt vmcnt(0)
	ds_write_b128 v1, v[57:60]
.LBB25_165:
	s_or_b32 exec_lo, exec_lo, s4
	s_waitcnt lgkmcnt(0)
	s_waitcnt_vscnt null, 0x0
	s_barrier
	buffer_gl0_inv
	s_clause 0x35
	buffer_load_dword v3, off, s[0:3], 0 offset:72
	buffer_load_dword v4, off, s[0:3], 0 offset:76
	;; [unrolled: 1-line block ×54, first 2 shown]
	v_mov_b32_e32 v2, 0
	s_mov_b32 s4, exec_lo
	ds_read_b128 v[57:60], v2 offset:464
	s_clause 0x3
	buffer_load_dword v121, off, s[0:3], 0 offset:296
	buffer_load_dword v122, off, s[0:3], 0 offset:300
	;; [unrolled: 1-line block ×4, first 2 shown]
	ds_read_b128 v[61:64], v2 offset:480
	s_clause 0x3
	buffer_load_dword v128, off, s[0:3], 0 offset:316
	buffer_load_dword v127, off, s[0:3], 0 offset:312
	buffer_load_dword v129, off, s[0:3], 0 offset:288
	buffer_load_dword v130, off, s[0:3], 0 offset:292
	ds_read_b128 v[65:68], v2 offset:496
	s_waitcnt vmcnt(60) lgkmcnt(2)
	v_mul_f64 v[125:126], v[59:60], v[3:4]
	v_mul_f64 v[3:4], v[57:58], v[3:4]
	s_waitcnt vmcnt(58) lgkmcnt(1)
	v_mul_f64 v[131:132], v[63:64], v[69:70]
	v_mul_f64 v[69:70], v[61:62], v[69:70]
	;; [unrolled: 3-line block ×3, first 2 shown]
	v_fma_f64 v[125:126], v[57:58], v[71:72], -v[125:126]
	v_fma_f64 v[3:4], v[59:60], v[71:72], v[3:4]
	s_clause 0x3
	buffer_load_dword v71, off, s[0:3], 0 offset:328
	buffer_load_dword v72, off, s[0:3], 0 offset:332
	;; [unrolled: 1-line block ×4, first 2 shown]
	s_waitcnt vmcnt(56)
	v_fma_f64 v[131:132], v[61:62], v[75:76], -v[131:132]
	ds_read_b128 v[57:60], v2 offset:512
	v_fma_f64 v[69:70], v[63:64], v[75:76], v[69:70]
	s_clause 0x3
	buffer_load_dword v76, off, s[0:3], 0 offset:348
	buffer_load_dword v75, off, s[0:3], 0 offset:344
	;; [unrolled: 1-line block ×4, first 2 shown]
	s_waitcnt vmcnt(56)
	v_fma_f64 v[73:74], v[65:66], v[79:80], -v[73:74]
	ds_read_b128 v[61:64], v2 offset:528
	v_fma_f64 v[79:80], v[67:68], v[79:80], v[135:136]
	v_add_f64 v[125:126], v[125:126], 0
	v_add_f64 v[3:4], v[3:4], 0
	s_waitcnt lgkmcnt(1)
	v_mul_f64 v[139:140], v[57:58], v[77:78]
	v_mul_f64 v[77:78], v[59:60], v[77:78]
	s_waitcnt vmcnt(54) lgkmcnt(0)
	v_mul_f64 v[135:136], v[61:62], v[81:82]
	v_mul_f64 v[81:82], v[63:64], v[81:82]
	v_add_f64 v[125:126], v[125:126], v[131:132]
	v_add_f64 v[3:4], v[3:4], v[69:70]
	s_clause 0x3
	buffer_load_dword v69, off, s[0:3], 0 offset:360
	buffer_load_dword v70, off, s[0:3], 0 offset:364
	;; [unrolled: 1-line block ×4, first 2 shown]
	s_waitcnt vmcnt(56)
	v_fma_f64 v[77:78], v[57:58], v[83:84], -v[77:78]
	ds_read_b128 v[65:68], v2 offset:544
	v_fma_f64 v[83:84], v[59:60], v[83:84], v[139:140]
	s_waitcnt vmcnt(52)
	v_fma_f64 v[81:82], v[61:62], v[87:88], -v[81:82]
	v_add_f64 v[73:74], v[125:126], v[73:74]
	v_add_f64 v[3:4], v[3:4], v[79:80]
	s_clause 0x3
	buffer_load_dword v80, off, s[0:3], 0 offset:380
	buffer_load_dword v79, off, s[0:3], 0 offset:376
	;; [unrolled: 1-line block ×4, first 2 shown]
	s_waitcnt lgkmcnt(0)
	v_mul_f64 v[139:140], v[65:66], v[85:86]
	v_mul_f64 v[85:86], v[67:68], v[85:86]
	ds_read_b128 v[57:60], v2 offset:560
	v_add_f64 v[73:74], v[73:74], v[77:78]
	v_fma_f64 v[77:78], v[63:64], v[87:88], v[135:136]
	v_add_f64 v[3:4], v[3:4], v[83:84]
	s_clause 0x3
	buffer_load_dword v83, off, s[0:3], 0 offset:392
	buffer_load_dword v84, off, s[0:3], 0 offset:396
	;; [unrolled: 1-line block ×4, first 2 shown]
	s_waitcnt vmcnt(58) lgkmcnt(0)
	v_mul_f64 v[135:136], v[57:58], v[89:90]
	v_mul_f64 v[89:90], v[59:60], v[89:90]
	s_waitcnt vmcnt(56)
	v_fma_f64 v[85:86], v[65:66], v[91:92], -v[85:86]
	ds_read_b128 v[61:64], v2 offset:576
	v_add_f64 v[73:74], v[73:74], v[81:82]
	v_fma_f64 v[81:82], v[67:68], v[91:92], v[139:140]
	v_add_f64 v[3:4], v[3:4], v[77:78]
	s_clause 0x3
	buffer_load_dword v78, off, s[0:3], 0 offset:412
	buffer_load_dword v77, off, s[0:3], 0 offset:408
	;; [unrolled: 1-line block ×4, first 2 shown]
	ds_read_b128 v[65:68], v2 offset:592
	s_waitcnt vmcnt(58) lgkmcnt(1)
	v_mul_f64 v[139:140], v[61:62], v[93:94]
	v_mul_f64 v[93:94], v[63:64], v[93:94]
	s_waitcnt vmcnt(56)
	v_fma_f64 v[89:90], v[57:58], v[95:96], -v[89:90]
	v_add_f64 v[73:74], v[73:74], v[85:86]
	v_fma_f64 v[85:86], v[59:60], v[95:96], v[135:136]
	v_add_f64 v[3:4], v[3:4], v[81:82]
	s_clause 0x3
	buffer_load_dword v81, off, s[0:3], 0 offset:424
	buffer_load_dword v82, off, s[0:3], 0 offset:428
	;; [unrolled: 1-line block ×4, first 2 shown]
	s_waitcnt vmcnt(58) lgkmcnt(0)
	v_mul_f64 v[135:136], v[65:66], v[97:98]
	v_mul_f64 v[97:98], v[67:68], v[97:98]
	s_waitcnt vmcnt(56)
	v_fma_f64 v[93:94], v[61:62], v[99:100], -v[93:94]
	ds_read_b128 v[57:60], v2 offset:608
	v_add_f64 v[73:74], v[73:74], v[89:90]
	v_fma_f64 v[89:90], v[63:64], v[99:100], v[139:140]
	v_add_f64 v[3:4], v[3:4], v[85:86]
	s_clause 0x1
	buffer_load_dword v85, off, s[0:3], 0 offset:416
	buffer_load_dword v86, off, s[0:3], 0 offset:420
	ds_read_b128 v[61:64], v2 offset:624
	s_waitcnt vmcnt(56) lgkmcnt(1)
	v_mul_f64 v[99:100], v[57:58], v[101:102]
	v_mul_f64 v[101:102], v[59:60], v[101:102]
	s_waitcnt vmcnt(54)
	v_fma_f64 v[97:98], v[65:66], v[103:104], -v[97:98]
	v_add_f64 v[73:74], v[73:74], v[93:94]
	v_fma_f64 v[93:94], v[67:68], v[103:104], v[135:136]
	v_add_f64 v[3:4], v[3:4], v[89:90]
	ds_read_b128 v[65:68], v2 offset:640
	s_waitcnt vmcnt(52) lgkmcnt(1)
	v_mul_f64 v[103:104], v[63:64], v[105:106]
	v_mul_f64 v[89:90], v[61:62], v[105:106]
	s_waitcnt vmcnt(50)
	v_fma_f64 v[101:102], v[57:58], v[107:108], -v[101:102]
	v_add_f64 v[73:74], v[73:74], v[97:98]
	v_fma_f64 v[97:98], v[59:60], v[107:108], v[99:100]
	v_add_f64 v[3:4], v[3:4], v[93:94]
	s_clause 0x3
	buffer_load_dword v93, off, s[0:3], 0 offset:48
	buffer_load_dword v94, off, s[0:3], 0 offset:52
	;; [unrolled: 1-line block ×4, first 2 shown]
	s_waitcnt vmcnt(52) lgkmcnt(0)
	v_mul_f64 v[107:108], v[67:68], v[109:110]
	s_waitcnt vmcnt(50)
	v_fma_f64 v[103:104], v[61:62], v[111:112], -v[103:104]
	ds_read_b128 v[57:60], v2 offset:656
	v_mul_f64 v[105:106], v[65:66], v[109:110]
	v_fma_f64 v[89:90], v[63:64], v[111:112], v[89:90]
	ds_read_b128 v[61:64], v2 offset:672
	v_add_f64 v[73:74], v[73:74], v[101:102]
	v_add_f64 v[3:4], v[3:4], v[97:98]
	s_waitcnt vmcnt(48) lgkmcnt(1)
	v_mul_f64 v[101:102], v[59:60], v[113:114]
	s_waitcnt vmcnt(46)
	v_fma_f64 v[107:108], v[65:66], v[115:116], -v[107:108]
	v_mul_f64 v[97:98], v[57:58], v[113:114]
	v_add_f64 v[73:74], v[73:74], v[103:104]
	v_fma_f64 v[103:104], v[67:68], v[115:116], v[105:106]
	v_add_f64 v[3:4], v[3:4], v[89:90]
	s_waitcnt vmcnt(44) lgkmcnt(0)
	v_mul_f64 v[105:106], v[63:64], v[117:118]
	s_waitcnt vmcnt(42)
	v_fma_f64 v[101:102], v[57:58], v[119:120], -v[101:102]
	ds_read_b128 v[65:68], v2 offset:688
	v_mul_f64 v[89:90], v[61:62], v[117:118]
	v_fma_f64 v[97:98], v[59:60], v[119:120], v[97:98]
	ds_read_b128 v[57:60], v2 offset:704
	v_add_f64 v[73:74], v[73:74], v[107:108]
	v_add_f64 v[3:4], v[3:4], v[103:104]
	s_waitcnt vmcnt(40) lgkmcnt(1)
	v_mul_f64 v[107:108], v[67:68], v[121:122]
	s_waitcnt vmcnt(38)
	v_fma_f64 v[105:106], v[61:62], v[123:124], -v[105:106]
	v_mul_f64 v[103:104], v[65:66], v[121:122]
	v_fma_f64 v[89:90], v[63:64], v[123:124], v[89:90]
	ds_read_b128 v[61:64], v2 offset:720
	v_add_f64 v[73:74], v[73:74], v[101:102]
	s_waitcnt vmcnt(36) lgkmcnt(1)
	v_mul_f64 v[101:102], v[59:60], v[127:128]
	v_add_f64 v[3:4], v[3:4], v[97:98]
	s_waitcnt vmcnt(34)
	v_fma_f64 v[107:108], v[65:66], v[129:130], -v[107:108]
	v_mul_f64 v[97:98], v[57:58], v[127:128]
	v_fma_f64 v[103:104], v[67:68], v[129:130], v[103:104]
	ds_read_b128 v[65:68], v2 offset:736
	v_add_f64 v[73:74], v[73:74], v[105:106]
	v_add_f64 v[3:4], v[3:4], v[89:90]
	s_waitcnt vmcnt(32) lgkmcnt(1)
	v_mul_f64 v[89:90], v[61:62], v[71:72]
	v_mul_f64 v[71:72], v[63:64], v[71:72]
	s_waitcnt vmcnt(30)
	v_fma_f64 v[101:102], v[57:58], v[133:134], -v[101:102]
	v_fma_f64 v[97:98], v[59:60], v[133:134], v[97:98]
	ds_read_b128 v[57:60], v2 offset:752
	v_add_f64 v[73:74], v[73:74], v[107:108]
	v_add_f64 v[3:4], v[3:4], v[103:104]
	s_waitcnt vmcnt(28) lgkmcnt(1)
	v_mul_f64 v[103:104], v[65:66], v[75:76]
	v_mul_f64 v[75:76], v[67:68], v[75:76]
	s_waitcnt vmcnt(26)
	v_fma_f64 v[89:90], v[63:64], v[137:138], v[89:90]
	v_fma_f64 v[71:72], v[61:62], v[137:138], -v[71:72]
	ds_read_b128 v[61:64], v2 offset:768
	v_add_f64 v[73:74], v[73:74], v[101:102]
	v_add_f64 v[3:4], v[3:4], v[97:98]
	s_waitcnt vmcnt(24) lgkmcnt(1)
	v_mul_f64 v[97:98], v[57:58], v[69:70]
	v_mul_f64 v[69:70], v[59:60], v[69:70]
	s_waitcnt vmcnt(22)
	v_fma_f64 v[75:76], v[65:66], v[131:132], -v[75:76]
	v_add_f64 v[71:72], v[73:74], v[71:72]
	v_fma_f64 v[73:74], v[67:68], v[131:132], v[103:104]
	v_add_f64 v[3:4], v[3:4], v[89:90]
	ds_read_b128 v[65:68], v2 offset:784
	s_waitcnt vmcnt(20) lgkmcnt(1)
	v_mul_f64 v[89:90], v[61:62], v[79:80]
	v_mul_f64 v[79:80], v[63:64], v[79:80]
	s_waitcnt vmcnt(18)
	v_fma_f64 v[69:70], v[57:58], v[125:126], -v[69:70]
	v_add_f64 v[71:72], v[71:72], v[75:76]
	v_fma_f64 v[75:76], v[59:60], v[125:126], v[97:98]
	v_add_f64 v[3:4], v[3:4], v[73:74]
	ds_read_b128 v[57:60], v2 offset:800
	;; [unrolled: 9-line block ×3, first 2 shown]
	s_waitcnt vmcnt(12) lgkmcnt(1)
	v_mul_f64 v[75:76], v[57:58], v[77:78]
	v_mul_f64 v[77:78], v[59:60], v[77:78]
	s_waitcnt vmcnt(10)
	v_fma_f64 v[65:66], v[65:66], v[91:92], -v[83:84]
	v_fma_f64 v[67:68], v[67:68], v[91:92], v[73:74]
	v_add_f64 v[69:70], v[69:70], v[79:80]
	v_add_f64 v[3:4], v[3:4], v[71:72]
	s_waitcnt vmcnt(8) lgkmcnt(0)
	v_mul_f64 v[73:74], v[63:64], v[81:82]
	v_mul_f64 v[71:72], v[61:62], v[81:82]
	s_waitcnt vmcnt(6)
	v_fma_f64 v[57:58], v[57:58], v[95:96], -v[77:78]
	v_fma_f64 v[59:60], v[59:60], v[95:96], v[75:76]
	v_add_f64 v[65:66], v[69:70], v[65:66]
	v_add_f64 v[3:4], v[3:4], v[67:68]
	s_waitcnt vmcnt(4)
	v_fma_f64 v[61:62], v[61:62], v[85:86], -v[73:74]
	v_fma_f64 v[63:64], v[63:64], v[85:86], v[71:72]
	v_add_f64 v[57:58], v[65:66], v[57:58]
	v_add_f64 v[3:4], v[3:4], v[59:60]
	;; [unrolled: 1-line block ×4, first 2 shown]
	s_waitcnt vmcnt(2)
	v_add_f64 v[57:58], v[93:94], -v[57:58]
	s_waitcnt vmcnt(0)
	v_add_f64 v[3:4], v[99:100], -v[3:4]
	buffer_store_dword v58, off, s[0:3], 0 offset:52
	buffer_store_dword v57, off, s[0:3], 0 offset:48
	;; [unrolled: 1-line block ×4, first 2 shown]
	v_cmpx_lt_u32_e32 1, v0
	s_cbranch_execz .LBB25_167
; %bb.166:
	v_mov_b32_e32 v3, s37
	s_clause 0x3
	buffer_load_dword v57, v3, s[0:3], 0 offen
	buffer_load_dword v58, v3, s[0:3], 0 offen offset:4
	buffer_load_dword v59, v3, s[0:3], 0 offen offset:8
	;; [unrolled: 1-line block ×3, first 2 shown]
	buffer_store_dword v2, off, s[0:3], 0 offset:32
	buffer_store_dword v2, off, s[0:3], 0 offset:36
	;; [unrolled: 1-line block ×4, first 2 shown]
	s_waitcnt vmcnt(0)
	ds_write_b128 v1, v[57:60]
.LBB25_167:
	s_or_b32 exec_lo, exec_lo, s4
	s_waitcnt lgkmcnt(0)
	s_waitcnt_vscnt null, 0x0
	s_barrier
	buffer_gl0_inv
	s_clause 0x35
	buffer_load_dword v3, off, s[0:3], 0 offset:56
	buffer_load_dword v4, off, s[0:3], 0 offset:60
	buffer_load_dword v69, off, s[0:3], 0 offset:72
	buffer_load_dword v70, off, s[0:3], 0 offset:76
	buffer_load_dword v71, off, s[0:3], 0 offset:48
	buffer_load_dword v72, off, s[0:3], 0 offset:52
	buffer_load_dword v73, off, s[0:3], 0 offset:88
	buffer_load_dword v74, off, s[0:3], 0 offset:92
	buffer_load_dword v75, off, s[0:3], 0 offset:64
	buffer_load_dword v76, off, s[0:3], 0 offset:68
	buffer_load_dword v78, off, s[0:3], 0 offset:108
	buffer_load_dword v77, off, s[0:3], 0 offset:104
	buffer_load_dword v79, off, s[0:3], 0 offset:80
	buffer_load_dword v80, off, s[0:3], 0 offset:84
	buffer_load_dword v81, off, s[0:3], 0 offset:120
	buffer_load_dword v82, off, s[0:3], 0 offset:124
	buffer_load_dword v84, off, s[0:3], 0 offset:100
	buffer_load_dword v83, off, s[0:3], 0 offset:96
	buffer_load_dword v86, off, s[0:3], 0 offset:140
	buffer_load_dword v85, off, s[0:3], 0 offset:136
	buffer_load_dword v87, off, s[0:3], 0 offset:112
	buffer_load_dword v88, off, s[0:3], 0 offset:116
	buffer_load_dword v89, off, s[0:3], 0 offset:152
	buffer_load_dword v90, off, s[0:3], 0 offset:156
	buffer_load_dword v92, off, s[0:3], 0 offset:132
	buffer_load_dword v91, off, s[0:3], 0 offset:128
	buffer_load_dword v94, off, s[0:3], 0 offset:172
	buffer_load_dword v93, off, s[0:3], 0 offset:168
	buffer_load_dword v95, off, s[0:3], 0 offset:144
	buffer_load_dword v96, off, s[0:3], 0 offset:148
	buffer_load_dword v97, off, s[0:3], 0 offset:184
	buffer_load_dword v98, off, s[0:3], 0 offset:188
	buffer_load_dword v100, off, s[0:3], 0 offset:164
	buffer_load_dword v99, off, s[0:3], 0 offset:160
	buffer_load_dword v102, off, s[0:3], 0 offset:204
	buffer_load_dword v101, off, s[0:3], 0 offset:200
	buffer_load_dword v103, off, s[0:3], 0 offset:176
	buffer_load_dword v104, off, s[0:3], 0 offset:180
	buffer_load_dword v105, off, s[0:3], 0 offset:216
	buffer_load_dword v106, off, s[0:3], 0 offset:220
	buffer_load_dword v108, off, s[0:3], 0 offset:196
	buffer_load_dword v107, off, s[0:3], 0 offset:192
	buffer_load_dword v110, off, s[0:3], 0 offset:236
	buffer_load_dword v109, off, s[0:3], 0 offset:232
	buffer_load_dword v111, off, s[0:3], 0 offset:208
	buffer_load_dword v112, off, s[0:3], 0 offset:212
	buffer_load_dword v113, off, s[0:3], 0 offset:248
	buffer_load_dword v114, off, s[0:3], 0 offset:252
	buffer_load_dword v116, off, s[0:3], 0 offset:228
	buffer_load_dword v115, off, s[0:3], 0 offset:224
	buffer_load_dword v118, off, s[0:3], 0 offset:268
	buffer_load_dword v117, off, s[0:3], 0 offset:264
	buffer_load_dword v119, off, s[0:3], 0 offset:240
	buffer_load_dword v120, off, s[0:3], 0 offset:244
	ds_read_b128 v[57:60], v2 offset:448
	s_clause 0x3
	buffer_load_dword v121, off, s[0:3], 0 offset:280
	buffer_load_dword v122, off, s[0:3], 0 offset:284
	;; [unrolled: 1-line block ×4, first 2 shown]
	ds_read_b128 v[61:64], v2 offset:464
	s_clause 0x3
	buffer_load_dword v128, off, s[0:3], 0 offset:300
	buffer_load_dword v127, off, s[0:3], 0 offset:296
	;; [unrolled: 1-line block ×4, first 2 shown]
	ds_read_b128 v[65:68], v2 offset:480
	s_mov_b32 s4, exec_lo
	s_waitcnt vmcnt(60) lgkmcnt(2)
	v_mul_f64 v[125:126], v[59:60], v[3:4]
	v_mul_f64 v[3:4], v[57:58], v[3:4]
	s_waitcnt vmcnt(58) lgkmcnt(1)
	v_mul_f64 v[131:132], v[63:64], v[69:70]
	v_mul_f64 v[69:70], v[61:62], v[69:70]
	;; [unrolled: 3-line block ×3, first 2 shown]
	v_fma_f64 v[125:126], v[57:58], v[71:72], -v[125:126]
	v_fma_f64 v[3:4], v[59:60], v[71:72], v[3:4]
	s_clause 0x3
	buffer_load_dword v71, off, s[0:3], 0 offset:312
	buffer_load_dword v72, off, s[0:3], 0 offset:316
	;; [unrolled: 1-line block ×4, first 2 shown]
	s_waitcnt vmcnt(56)
	v_fma_f64 v[131:132], v[61:62], v[75:76], -v[131:132]
	ds_read_b128 v[57:60], v2 offset:496
	v_fma_f64 v[69:70], v[63:64], v[75:76], v[69:70]
	s_clause 0x3
	buffer_load_dword v76, off, s[0:3], 0 offset:332
	buffer_load_dword v75, off, s[0:3], 0 offset:328
	;; [unrolled: 1-line block ×4, first 2 shown]
	s_waitcnt vmcnt(56)
	v_fma_f64 v[73:74], v[65:66], v[79:80], -v[73:74]
	ds_read_b128 v[61:64], v2 offset:512
	v_fma_f64 v[79:80], v[67:68], v[79:80], v[135:136]
	v_add_f64 v[125:126], v[125:126], 0
	v_add_f64 v[3:4], v[3:4], 0
	s_waitcnt lgkmcnt(1)
	v_mul_f64 v[139:140], v[57:58], v[77:78]
	v_mul_f64 v[77:78], v[59:60], v[77:78]
	s_waitcnt vmcnt(54) lgkmcnt(0)
	v_mul_f64 v[135:136], v[61:62], v[81:82]
	v_mul_f64 v[81:82], v[63:64], v[81:82]
	v_add_f64 v[125:126], v[125:126], v[131:132]
	v_add_f64 v[3:4], v[3:4], v[69:70]
	s_clause 0x3
	buffer_load_dword v69, off, s[0:3], 0 offset:344
	buffer_load_dword v70, off, s[0:3], 0 offset:348
	;; [unrolled: 1-line block ×4, first 2 shown]
	s_waitcnt vmcnt(56)
	v_fma_f64 v[77:78], v[57:58], v[83:84], -v[77:78]
	ds_read_b128 v[65:68], v2 offset:528
	v_fma_f64 v[83:84], v[59:60], v[83:84], v[139:140]
	s_waitcnt vmcnt(52)
	v_fma_f64 v[81:82], v[61:62], v[87:88], -v[81:82]
	v_add_f64 v[73:74], v[125:126], v[73:74]
	v_add_f64 v[3:4], v[3:4], v[79:80]
	s_clause 0x3
	buffer_load_dword v80, off, s[0:3], 0 offset:364
	buffer_load_dword v79, off, s[0:3], 0 offset:360
	;; [unrolled: 1-line block ×4, first 2 shown]
	s_waitcnt lgkmcnt(0)
	v_mul_f64 v[139:140], v[65:66], v[85:86]
	v_mul_f64 v[85:86], v[67:68], v[85:86]
	ds_read_b128 v[57:60], v2 offset:544
	v_add_f64 v[73:74], v[73:74], v[77:78]
	v_fma_f64 v[77:78], v[63:64], v[87:88], v[135:136]
	v_add_f64 v[3:4], v[3:4], v[83:84]
	s_clause 0x3
	buffer_load_dword v83, off, s[0:3], 0 offset:376
	buffer_load_dword v84, off, s[0:3], 0 offset:380
	;; [unrolled: 1-line block ×4, first 2 shown]
	s_waitcnt vmcnt(58) lgkmcnt(0)
	v_mul_f64 v[135:136], v[57:58], v[89:90]
	v_mul_f64 v[89:90], v[59:60], v[89:90]
	s_waitcnt vmcnt(56)
	v_fma_f64 v[85:86], v[65:66], v[91:92], -v[85:86]
	ds_read_b128 v[61:64], v2 offset:560
	v_add_f64 v[73:74], v[73:74], v[81:82]
	v_fma_f64 v[81:82], v[67:68], v[91:92], v[139:140]
	v_add_f64 v[3:4], v[3:4], v[77:78]
	s_clause 0x3
	buffer_load_dword v78, off, s[0:3], 0 offset:396
	buffer_load_dword v77, off, s[0:3], 0 offset:392
	;; [unrolled: 1-line block ×4, first 2 shown]
	ds_read_b128 v[65:68], v2 offset:576
	s_waitcnt vmcnt(58) lgkmcnt(1)
	v_mul_f64 v[139:140], v[61:62], v[93:94]
	v_mul_f64 v[93:94], v[63:64], v[93:94]
	s_waitcnt vmcnt(56)
	v_fma_f64 v[89:90], v[57:58], v[95:96], -v[89:90]
	v_add_f64 v[73:74], v[73:74], v[85:86]
	v_fma_f64 v[85:86], v[59:60], v[95:96], v[135:136]
	v_add_f64 v[3:4], v[3:4], v[81:82]
	s_clause 0x3
	buffer_load_dword v81, off, s[0:3], 0 offset:408
	buffer_load_dword v82, off, s[0:3], 0 offset:412
	;; [unrolled: 1-line block ×4, first 2 shown]
	s_waitcnt vmcnt(58) lgkmcnt(0)
	v_mul_f64 v[135:136], v[65:66], v[97:98]
	v_mul_f64 v[97:98], v[67:68], v[97:98]
	s_waitcnt vmcnt(56)
	v_fma_f64 v[93:94], v[61:62], v[99:100], -v[93:94]
	ds_read_b128 v[57:60], v2 offset:592
	v_add_f64 v[73:74], v[73:74], v[89:90]
	v_fma_f64 v[89:90], v[63:64], v[99:100], v[139:140]
	v_add_f64 v[3:4], v[3:4], v[85:86]
	s_clause 0x3
	buffer_load_dword v86, off, s[0:3], 0 offset:428
	buffer_load_dword v85, off, s[0:3], 0 offset:424
	;; [unrolled: 1-line block ×4, first 2 shown]
	ds_read_b128 v[61:64], v2 offset:608
	s_waitcnt vmcnt(58) lgkmcnt(1)
	v_mul_f64 v[139:140], v[57:58], v[101:102]
	v_mul_f64 v[101:102], v[59:60], v[101:102]
	s_waitcnt vmcnt(56)
	v_fma_f64 v[97:98], v[65:66], v[103:104], -v[97:98]
	v_add_f64 v[73:74], v[73:74], v[93:94]
	v_fma_f64 v[93:94], v[67:68], v[103:104], v[135:136]
	v_add_f64 v[3:4], v[3:4], v[89:90]
	s_clause 0x1
	buffer_load_dword v90, off, s[0:3], 0 offset:420
	buffer_load_dword v89, off, s[0:3], 0 offset:416
	s_waitcnt vmcnt(56) lgkmcnt(0)
	v_mul_f64 v[103:104], v[61:62], v[105:106]
	v_mul_f64 v[105:106], v[63:64], v[105:106]
	s_waitcnt vmcnt(54)
	v_fma_f64 v[101:102], v[57:58], v[107:108], -v[101:102]
	ds_read_b128 v[65:68], v2 offset:624
	v_add_f64 v[73:74], v[73:74], v[97:98]
	v_fma_f64 v[97:98], v[59:60], v[107:108], v[139:140]
	v_add_f64 v[3:4], v[3:4], v[93:94]
	ds_read_b128 v[57:60], v2 offset:640
	s_waitcnt vmcnt(52) lgkmcnt(1)
	v_mul_f64 v[107:108], v[67:68], v[109:110]
	s_waitcnt vmcnt(50)
	v_fma_f64 v[105:106], v[61:62], v[111:112], -v[105:106]
	v_mul_f64 v[93:94], v[65:66], v[109:110]
	v_add_f64 v[73:74], v[73:74], v[101:102]
	v_fma_f64 v[101:102], v[63:64], v[111:112], v[103:104]
	v_add_f64 v[3:4], v[3:4], v[97:98]
	s_clause 0x3
	buffer_load_dword v97, off, s[0:3], 0 offset:32
	buffer_load_dword v98, off, s[0:3], 0 offset:36
	;; [unrolled: 1-line block ×4, first 2 shown]
	s_waitcnt vmcnt(52) lgkmcnt(0)
	v_mul_f64 v[111:112], v[59:60], v[113:114]
	s_waitcnt vmcnt(50)
	v_fma_f64 v[107:108], v[65:66], v[115:116], -v[107:108]
	ds_read_b128 v[61:64], v2 offset:656
	v_mul_f64 v[109:110], v[57:58], v[113:114]
	v_fma_f64 v[93:94], v[67:68], v[115:116], v[93:94]
	ds_read_b128 v[65:68], v2 offset:672
	v_add_f64 v[73:74], v[73:74], v[105:106]
	v_add_f64 v[3:4], v[3:4], v[101:102]
	s_waitcnt vmcnt(48) lgkmcnt(1)
	v_mul_f64 v[105:106], v[63:64], v[117:118]
	s_waitcnt vmcnt(46)
	v_fma_f64 v[111:112], v[57:58], v[119:120], -v[111:112]
	v_mul_f64 v[101:102], v[61:62], v[117:118]
	v_add_f64 v[73:74], v[73:74], v[107:108]
	v_fma_f64 v[107:108], v[59:60], v[119:120], v[109:110]
	v_add_f64 v[3:4], v[3:4], v[93:94]
	s_waitcnt vmcnt(44) lgkmcnt(0)
	v_mul_f64 v[109:110], v[67:68], v[121:122]
	s_waitcnt vmcnt(42)
	v_fma_f64 v[105:106], v[61:62], v[123:124], -v[105:106]
	ds_read_b128 v[57:60], v2 offset:688
	v_mul_f64 v[93:94], v[65:66], v[121:122]
	v_fma_f64 v[101:102], v[63:64], v[123:124], v[101:102]
	ds_read_b128 v[61:64], v2 offset:704
	v_add_f64 v[73:74], v[73:74], v[111:112]
	v_add_f64 v[3:4], v[3:4], v[107:108]
	s_waitcnt vmcnt(40) lgkmcnt(1)
	v_mul_f64 v[111:112], v[59:60], v[127:128]
	s_waitcnt vmcnt(38)
	v_fma_f64 v[109:110], v[65:66], v[129:130], -v[109:110]
	v_mul_f64 v[107:108], v[57:58], v[127:128]
	v_fma_f64 v[93:94], v[67:68], v[129:130], v[93:94]
	ds_read_b128 v[65:68], v2 offset:720
	v_add_f64 v[73:74], v[73:74], v[105:106]
	v_add_f64 v[3:4], v[3:4], v[101:102]
	s_waitcnt vmcnt(36) lgkmcnt(1)
	v_mul_f64 v[101:102], v[61:62], v[71:72]
	v_mul_f64 v[71:72], v[63:64], v[71:72]
	s_waitcnt vmcnt(34)
	v_fma_f64 v[105:106], v[57:58], v[133:134], -v[111:112]
	v_fma_f64 v[107:108], v[59:60], v[133:134], v[107:108]
	ds_read_b128 v[57:60], v2 offset:736
	v_add_f64 v[73:74], v[73:74], v[109:110]
	v_add_f64 v[3:4], v[3:4], v[93:94]
	s_waitcnt vmcnt(32) lgkmcnt(1)
	v_mul_f64 v[93:94], v[65:66], v[75:76]
	v_mul_f64 v[75:76], v[67:68], v[75:76]
	s_waitcnt vmcnt(30)
	v_fma_f64 v[101:102], v[63:64], v[137:138], v[101:102]
	v_fma_f64 v[71:72], v[61:62], v[137:138], -v[71:72]
	ds_read_b128 v[61:64], v2 offset:752
	v_add_f64 v[73:74], v[73:74], v[105:106]
	v_add_f64 v[3:4], v[3:4], v[107:108]
	s_waitcnt vmcnt(28) lgkmcnt(1)
	v_mul_f64 v[105:106], v[57:58], v[69:70]
	v_mul_f64 v[69:70], v[59:60], v[69:70]
	s_waitcnt vmcnt(26)
	v_fma_f64 v[75:76], v[65:66], v[131:132], -v[75:76]
	v_add_f64 v[71:72], v[73:74], v[71:72]
	v_fma_f64 v[73:74], v[67:68], v[131:132], v[93:94]
	v_add_f64 v[3:4], v[3:4], v[101:102]
	ds_read_b128 v[65:68], v2 offset:768
	s_waitcnt vmcnt(24) lgkmcnt(1)
	v_mul_f64 v[93:94], v[61:62], v[79:80]
	v_mul_f64 v[79:80], v[63:64], v[79:80]
	s_waitcnt vmcnt(22)
	v_fma_f64 v[69:70], v[57:58], v[125:126], -v[69:70]
	v_add_f64 v[71:72], v[71:72], v[75:76]
	v_fma_f64 v[75:76], v[59:60], v[125:126], v[105:106]
	v_add_f64 v[3:4], v[3:4], v[73:74]
	ds_read_b128 v[57:60], v2 offset:784
	;; [unrolled: 9-line block ×3, first 2 shown]
	s_waitcnt vmcnt(16) lgkmcnt(1)
	v_mul_f64 v[75:76], v[57:58], v[77:78]
	v_mul_f64 v[77:78], v[59:60], v[77:78]
	s_waitcnt vmcnt(14)
	v_fma_f64 v[83:84], v[65:66], v[91:92], -v[83:84]
	v_fma_f64 v[73:74], v[67:68], v[91:92], v[73:74]
	ds_read_b128 v[65:68], v2 offset:816
	v_add_f64 v[69:70], v[69:70], v[79:80]
	v_add_f64 v[3:4], v[3:4], v[71:72]
	s_waitcnt vmcnt(12) lgkmcnt(1)
	v_mul_f64 v[79:80], v[63:64], v[81:82]
	v_mul_f64 v[71:72], v[61:62], v[81:82]
	s_waitcnt vmcnt(10)
	v_fma_f64 v[57:58], v[57:58], v[95:96], -v[77:78]
	v_fma_f64 v[59:60], v[59:60], v[95:96], v[75:76]
	v_add_f64 v[69:70], v[69:70], v[83:84]
	v_add_f64 v[2:3], v[3:4], v[73:74]
	s_waitcnt vmcnt(8) lgkmcnt(0)
	v_mul_f64 v[75:76], v[67:68], v[85:86]
	v_mul_f64 v[73:74], v[65:66], v[85:86]
	s_waitcnt vmcnt(6)
	v_fma_f64 v[61:62], v[61:62], v[99:100], -v[79:80]
	v_fma_f64 v[63:64], v[63:64], v[99:100], v[71:72]
	v_add_f64 v[57:58], v[69:70], v[57:58]
	v_add_f64 v[2:3], v[2:3], v[59:60]
	s_waitcnt vmcnt(4)
	v_fma_f64 v[59:60], v[65:66], v[89:90], -v[75:76]
	v_add_f64 v[57:58], v[57:58], v[61:62]
	v_fma_f64 v[61:62], v[67:68], v[89:90], v[73:74]
	v_add_f64 v[2:3], v[2:3], v[63:64]
	v_add_f64 v[57:58], v[57:58], v[59:60]
	;; [unrolled: 1-line block ×3, first 2 shown]
	s_waitcnt vmcnt(2)
	v_add_f64 v[57:58], v[97:98], -v[57:58]
	s_waitcnt vmcnt(0)
	v_add_f64 v[2:3], v[103:104], -v[2:3]
	buffer_store_dword v58, off, s[0:3], 0 offset:36
	buffer_store_dword v57, off, s[0:3], 0 offset:32
	;; [unrolled: 1-line block ×4, first 2 shown]
	v_cmpx_ne_u32_e32 0, v0
	s_cbranch_execz .LBB25_169
; %bb.168:
	s_clause 0x3
	buffer_load_dword v57, off, s[0:3], 0 offset:16
	buffer_load_dword v58, off, s[0:3], 0 offset:20
	;; [unrolled: 1-line block ×4, first 2 shown]
	v_mov_b32_e32 v0, 0
	buffer_store_dword v0, off, s[0:3], 0 offset:16
	buffer_store_dword v0, off, s[0:3], 0 offset:20
	buffer_store_dword v0, off, s[0:3], 0 offset:24
	buffer_store_dword v0, off, s[0:3], 0 offset:28
	s_waitcnt vmcnt(0)
	ds_write_b128 v1, v[57:60]
.LBB25_169:
	s_or_b32 exec_lo, exec_lo, s4
	s_waitcnt lgkmcnt(0)
	s_waitcnt_vscnt null, 0x0
	s_barrier
	buffer_gl0_inv
	s_clause 0x37
	buffer_load_dword v61, off, s[0:3], 0 offset:40
	buffer_load_dword v62, off, s[0:3], 0 offset:44
	;; [unrolled: 1-line block ×56, first 2 shown]
	v_mov_b32_e32 v0, 0
	s_and_b32 vcc_lo, exec_lo, s38
	ds_read_b128 v[1:4], v0 offset:432
	s_clause 0x2
	buffer_load_dword v118, off, s[0:3], 0 offset:268
	buffer_load_dword v122, off, s[0:3], 0 offset:244
	buffer_load_dword v121, off, s[0:3], 0 offset:240
	ds_read_b128 v[57:60], v0 offset:448
	s_clause 0x4
	buffer_load_dword v128, off, s[0:3], 0 offset:284
	buffer_load_dword v129, off, s[0:3], 0 offset:296
	;; [unrolled: 1-line block ×5, first 2 shown]
	s_waitcnt vmcnt(62) lgkmcnt(1)
	v_mul_f64 v[123:124], v[3:4], v[61:62]
	v_mul_f64 v[125:126], v[1:2], v[61:62]
	s_waitcnt vmcnt(60) lgkmcnt(0)
	v_mul_f64 v[132:133], v[59:60], v[65:66]
	ds_read_b128 v[61:64], v0 offset:464
	v_mul_f64 v[65:66], v[57:58], v[65:66]
	s_waitcnt vmcnt(58)
	v_fma_f64 v[123:124], v[1:2], v[67:68], -v[123:124]
	v_fma_f64 v[67:68], v[3:4], v[67:68], v[125:126]
	s_clause 0x2
	buffer_load_dword v130, off, s[0:3], 0 offset:300
	buffer_load_dword v126, off, s[0:3], 0 offset:276
	;; [unrolled: 1-line block ×3, first 2 shown]
	s_waitcnt vmcnt(59) lgkmcnt(0)
	v_mul_f64 v[134:135], v[61:62], v[69:70]
	v_mul_f64 v[69:70], v[63:64], v[69:70]
	s_waitcnt vmcnt(57)
	v_fma_f64 v[136:137], v[57:58], v[71:72], -v[132:133]
	ds_read_b128 v[1:4], v0 offset:480
	v_fma_f64 v[65:66], v[59:60], v[71:72], v[65:66]
	s_clause 0x4
	buffer_load_dword v72, off, s[0:3], 0 offset:316
	buffer_load_dword v133, off, s[0:3], 0 offset:328
	;; [unrolled: 1-line block ×5, first 2 shown]
	ds_read_b128 v[57:60], v0 offset:496
	v_add_f64 v[123:124], v[123:124], 0
	v_add_f64 v[67:68], v[67:68], 0
	s_waitcnt vmcnt(58) lgkmcnt(1)
	v_mul_f64 v[139:140], v[1:2], v[73:74]
	v_mul_f64 v[73:74], v[3:4], v[73:74]
	s_waitcnt vmcnt(56)
	v_fma_f64 v[69:70], v[61:62], v[79:80], -v[69:70]
	v_fma_f64 v[79:80], v[63:64], v[79:80], v[134:135]
	v_add_f64 v[123:124], v[123:124], v[136:137]
	v_add_f64 v[65:66], v[67:68], v[65:66]
	s_clause 0x2
	buffer_load_dword v134, off, s[0:3], 0 offset:332
	buffer_load_dword v68, off, s[0:3], 0 offset:308
	;; [unrolled: 1-line block ×3, first 2 shown]
	s_waitcnt vmcnt(58) lgkmcnt(0)
	v_mul_f64 v[135:136], v[57:58], v[75:76]
	v_mul_f64 v[75:76], v[59:60], v[75:76]
	s_waitcnt vmcnt(56)
	v_fma_f64 v[73:74], v[1:2], v[81:82], -v[73:74]
	ds_read_b128 v[61:64], v0 offset:512
	v_fma_f64 v[81:82], v[3:4], v[81:82], v[139:140]
	v_add_f64 v[69:70], v[123:124], v[69:70]
	v_add_f64 v[65:66], v[65:66], v[79:80]
	s_clause 0x4
	buffer_load_dword v80, off, s[0:3], 0 offset:348
	buffer_load_dword v123, off, s[0:3], 0 offset:360
	;; [unrolled: 1-line block ×5, first 2 shown]
	ds_read_b128 v[1:4], v0 offset:528
	s_waitcnt vmcnt(57) lgkmcnt(1)
	v_mul_f64 v[141:142], v[61:62], v[83:84]
	v_mul_f64 v[83:84], v[63:64], v[83:84]
	s_waitcnt vmcnt(56)
	v_fma_f64 v[75:76], v[57:58], v[77:78], -v[75:76]
	v_add_f64 v[69:70], v[69:70], v[73:74]
	v_fma_f64 v[73:74], v[59:60], v[77:78], v[135:136]
	v_add_f64 v[65:66], v[65:66], v[81:82]
	s_clause 0x2
	buffer_load_dword v124, off, s[0:3], 0 offset:364
	buffer_load_dword v78, off, s[0:3], 0 offset:340
	;; [unrolled: 1-line block ×3, first 2 shown]
	s_waitcnt vmcnt(58) lgkmcnt(0)
	v_mul_f64 v[81:82], v[1:2], v[85:86]
	v_mul_f64 v[85:86], v[3:4], v[85:86]
	s_waitcnt vmcnt(56)
	v_fma_f64 v[83:84], v[61:62], v[89:90], -v[83:84]
	ds_read_b128 v[57:60], v0 offset:544
	v_add_f64 v[69:70], v[69:70], v[75:76]
	v_fma_f64 v[75:76], v[63:64], v[89:90], v[141:142]
	v_add_f64 v[65:66], v[65:66], v[73:74]
	s_clause 0x4
	buffer_load_dword v74, off, s[0:3], 0 offset:380
	buffer_load_dword v89, off, s[0:3], 0 offset:392
	;; [unrolled: 1-line block ×5, first 2 shown]
	ds_read_b128 v[61:64], v0 offset:560
	s_waitcnt vmcnt(57) lgkmcnt(1)
	v_mul_f64 v[136:137], v[57:58], v[91:92]
	v_mul_f64 v[91:92], v[59:60], v[91:92]
	s_waitcnt vmcnt(56)
	v_fma_f64 v[85:86], v[1:2], v[87:88], -v[85:86]
	v_fma_f64 v[81:82], v[3:4], v[87:88], v[81:82]
	v_add_f64 v[69:70], v[69:70], v[83:84]
	v_add_f64 v[65:66], v[65:66], v[75:76]
	s_clause 0x2
	buffer_load_dword v90, off, s[0:3], 0 offset:396
	buffer_load_dword v76, off, s[0:3], 0 offset:372
	;; [unrolled: 1-line block ×3, first 2 shown]
	s_waitcnt vmcnt(58) lgkmcnt(0)
	v_mul_f64 v[87:88], v[63:64], v[93:94]
	ds_read_b128 v[1:4], v0 offset:576
	s_waitcnt vmcnt(56)
	v_fma_f64 v[91:92], v[57:58], v[97:98], -v[91:92]
	v_mul_f64 v[83:84], v[61:62], v[93:94]
	v_add_f64 v[69:70], v[69:70], v[85:86]
	v_fma_f64 v[85:86], v[59:60], v[97:98], v[136:137]
	v_add_f64 v[65:66], v[65:66], v[81:82]
	s_clause 0x4
	buffer_load_dword v82, off, s[0:3], 0 offset:412
	buffer_load_dword v93, off, s[0:3], 0 offset:424
	;; [unrolled: 1-line block ×5, first 2 shown]
	s_waitcnt vmcnt(57) lgkmcnt(0)
	v_mul_f64 v[142:143], v[1:2], v[99:100]
	v_mul_f64 v[98:99], v[3:4], v[99:100]
	s_waitcnt vmcnt(56)
	v_fma_f64 v[87:88], v[61:62], v[95:96], -v[87:88]
	ds_read_b128 v[57:60], v0 offset:592
	v_fma_f64 v[83:84], v[63:64], v[95:96], v[83:84]
	v_add_f64 v[69:70], v[69:70], v[91:92]
	v_add_f64 v[65:66], v[65:66], v[85:86]
	s_clause 0x2
	buffer_load_dword v94, off, s[0:3], 0 offset:428
	buffer_load_dword v86, off, s[0:3], 0 offset:404
	;; [unrolled: 1-line block ×3, first 2 shown]
	ds_read_b128 v[61:64], v0 offset:608
	s_waitcnt vmcnt(58) lgkmcnt(1)
	v_mul_f64 v[95:96], v[59:60], v[101:102]
	s_waitcnt vmcnt(56)
	v_fma_f64 v[99:100], v[1:2], v[105:106], -v[98:99]
	v_mul_f64 v[91:92], v[57:58], v[101:102]
	buffer_load_dword v98, off, s[0:3], 0 offset:420
	v_add_f64 v[69:70], v[69:70], v[87:88]
	v_fma_f64 v[87:88], v[3:4], v[105:106], v[142:143]
	v_add_f64 v[65:66], v[65:66], v[83:84]
	ds_read_b128 v[1:4], v0 offset:624
	s_waitcnt vmcnt(53) lgkmcnt(1)
	v_mul_f64 v[101:102], v[63:64], v[107:108]
	s_waitcnt vmcnt(52)
	v_fma_f64 v[95:96], v[57:58], v[103:104], -v[95:96]
	v_mul_f64 v[83:84], v[61:62], v[107:108]
	v_fma_f64 v[91:92], v[59:60], v[103:104], v[91:92]
	ds_read_b128 v[57:60], v0 offset:640
	v_add_f64 v[69:70], v[69:70], v[99:100]
	s_waitcnt vmcnt(51) lgkmcnt(1)
	v_mul_f64 v[99:100], v[3:4], v[109:110]
	v_add_f64 v[65:66], v[65:66], v[87:88]
	v_mul_f64 v[87:88], v[1:2], v[109:110]
	s_waitcnt vmcnt(49)
	v_fma_f64 v[101:102], v[61:62], v[113:114], -v[101:102]
	v_fma_f64 v[83:84], v[63:64], v[113:114], v[83:84]
	s_waitcnt vmcnt(45) lgkmcnt(0)
	v_mul_f64 v[105:106], v[59:60], v[115:116]
	v_mul_f64 v[103:104], v[57:58], v[115:116]
	v_add_f64 v[69:70], v[69:70], v[95:96]
	s_waitcnt vmcnt(44)
	v_fma_f64 v[99:100], v[1:2], v[111:112], -v[99:100]
	v_add_f64 v[65:66], v[65:66], v[91:92]
	s_clause 0x3
	buffer_load_dword v91, off, s[0:3], 0 offset:16
	buffer_load_dword v92, off, s[0:3], 0 offset:20
	;; [unrolled: 1-line block ×4, first 2 shown]
	ds_read_b128 v[61:64], v0 offset:656
	v_fma_f64 v[87:88], v[3:4], v[111:112], v[87:88]
	ds_read_b128 v[1:4], v0 offset:672
	s_waitcnt vmcnt(45)
	v_fma_f64 v[105:106], v[57:58], v[121:122], -v[105:106]
	v_add_f64 v[69:70], v[69:70], v[101:102]
	v_add_f64 v[65:66], v[65:66], v[83:84]
	s_waitcnt lgkmcnt(1)
	v_mul_f64 v[101:102], v[63:64], v[117:118]
	v_mul_f64 v[83:84], v[61:62], v[117:118]
	v_add_f64 v[69:70], v[69:70], v[99:100]
	v_fma_f64 v[99:100], v[59:60], v[121:122], v[103:104]
	v_add_f64 v[65:66], v[65:66], v[87:88]
	s_waitcnt vmcnt(41) lgkmcnt(0)
	v_mul_f64 v[103:104], v[3:4], v[127:128]
	s_waitcnt vmcnt(40)
	v_fma_f64 v[101:102], v[61:62], v[119:120], -v[101:102]
	ds_read_b128 v[57:60], v0 offset:688
	v_mul_f64 v[87:88], v[1:2], v[127:128]
	v_fma_f64 v[83:84], v[63:64], v[119:120], v[83:84]
	ds_read_b128 v[61:64], v0 offset:704
	v_add_f64 v[69:70], v[69:70], v[105:106]
	v_add_f64 v[65:66], v[65:66], v[99:100]
	s_waitcnt vmcnt(39) lgkmcnt(1)
	v_mul_f64 v[105:106], v[59:60], v[129:130]
	v_mul_f64 v[99:100], v[57:58], v[129:130]
	s_waitcnt vmcnt(37)
	v_fma_f64 v[103:104], v[1:2], v[125:126], -v[103:104]
	v_fma_f64 v[87:88], v[3:4], v[125:126], v[87:88]
	ds_read_b128 v[1:4], v0 offset:720
	v_add_f64 v[69:70], v[69:70], v[101:102]
	v_add_f64 v[65:66], v[65:66], v[83:84]
	s_waitcnt vmcnt(33) lgkmcnt(1)
	v_mul_f64 v[83:84], v[61:62], v[71:72]
	v_mul_f64 v[71:72], v[63:64], v[71:72]
	s_waitcnt vmcnt(32)
	v_fma_f64 v[101:102], v[57:58], v[131:132], -v[105:106]
	v_fma_f64 v[99:100], v[59:60], v[131:132], v[99:100]
	ds_read_b128 v[57:60], v0 offset:736
	v_add_f64 v[69:70], v[69:70], v[103:104]
	v_add_f64 v[65:66], v[65:66], v[87:88]
	s_waitcnt vmcnt(31) lgkmcnt(1)
	v_mul_f64 v[103:104], v[3:4], v[133:134]
	v_mul_f64 v[87:88], v[1:2], v[133:134]
	s_waitcnt vmcnt(29)
	v_fma_f64 v[71:72], v[61:62], v[67:68], -v[71:72]
	v_fma_f64 v[67:68], v[63:64], v[67:68], v[83:84]
	ds_read_b128 v[61:64], v0 offset:752
	v_add_f64 v[69:70], v[69:70], v[101:102]
	v_add_f64 v[65:66], v[65:66], v[99:100]
	s_waitcnt vmcnt(25) lgkmcnt(1)
	v_mul_f64 v[83:84], v[57:58], v[79:80]
	v_mul_f64 v[79:80], v[59:60], v[79:80]
	s_waitcnt vmcnt(24)
	v_fma_f64 v[99:100], v[1:2], v[138:139], -v[103:104]
	v_add_f64 v[69:70], v[69:70], v[71:72]
	v_fma_f64 v[71:72], v[3:4], v[138:139], v[87:88]
	v_add_f64 v[65:66], v[65:66], v[67:68]
	ds_read_b128 v[1:4], v0 offset:768
	s_waitcnt vmcnt(23) lgkmcnt(1)
	v_mul_f64 v[87:88], v[63:64], v[123:124]
	v_mul_f64 v[67:68], v[61:62], v[123:124]
	s_waitcnt vmcnt(21)
	v_fma_f64 v[79:80], v[57:58], v[77:78], -v[79:80]
	v_fma_f64 v[77:78], v[59:60], v[77:78], v[83:84]
	ds_read_b128 v[57:60], v0 offset:784
	v_add_f64 v[69:70], v[69:70], v[99:100]
	v_add_f64 v[65:66], v[65:66], v[71:72]
	s_waitcnt vmcnt(17) lgkmcnt(1)
	v_mul_f64 v[71:72], v[1:2], v[73:74]
	v_mul_f64 v[73:74], v[3:4], v[73:74]
	s_waitcnt vmcnt(16)
	v_fma_f64 v[83:84], v[61:62], v[140:141], -v[87:88]
	v_fma_f64 v[67:68], v[63:64], v[140:141], v[67:68]
	ds_read_b128 v[61:64], v0 offset:800
	v_add_f64 v[69:70], v[69:70], v[79:80]
	v_add_f64 v[65:66], v[65:66], v[77:78]
	;; [unrolled: 9-line block ×3, first 2 shown]
	s_waitcnt vmcnt(9) lgkmcnt(1)
	v_mul_f64 v[75:76], v[63:64], v[81:82]
	s_waitcnt vmcnt(8)
	v_fma_f64 v[57:58], v[57:58], v[135:136], -v[79:80]
	v_mul_f64 v[67:68], v[61:62], v[81:82]
	v_fma_f64 v[59:60], v[59:60], v[135:136], v[77:78]
	v_add_f64 v[69:70], v[69:70], v[73:74]
	v_add_f64 v[65:66], v[65:66], v[71:72]
	s_waitcnt vmcnt(7) lgkmcnt(0)
	v_mul_f64 v[73:74], v[3:4], v[93:94]
	v_mul_f64 v[71:72], v[1:2], v[93:94]
	s_waitcnt vmcnt(5)
	v_fma_f64 v[61:62], v[61:62], v[85:86], -v[75:76]
	v_fma_f64 v[63:64], v[63:64], v[85:86], v[67:68]
	v_add_f64 v[57:58], v[69:70], v[57:58]
	v_add_f64 v[59:60], v[65:66], v[59:60]
	s_waitcnt vmcnt(4)
	v_fma_f64 v[1:2], v[1:2], v[97:98], -v[73:74]
	v_fma_f64 v[3:4], v[3:4], v[97:98], v[71:72]
	v_add_f64 v[57:58], v[57:58], v[61:62]
	v_add_f64 v[59:60], v[59:60], v[63:64]
	;; [unrolled: 1-line block ×4, first 2 shown]
	s_waitcnt vmcnt(2)
	v_add_f64 v[1:2], v[91:92], -v[1:2]
	s_waitcnt vmcnt(0)
	v_add_f64 v[3:4], v[95:96], -v[3:4]
	buffer_store_dword v2, off, s[0:3], 0 offset:20
	buffer_store_dword v1, off, s[0:3], 0 offset:16
	;; [unrolled: 1-line block ×4, first 2 shown]
	s_cbranch_vccz .LBB25_220
; %bb.170:
	global_load_dword v0, v0, s[20:21] offset:96
	s_waitcnt vmcnt(0)
	v_add_nc_u32_e32 v0, -1, v0
	v_cmp_ne_u32_e32 vcc_lo, 24, v0
	s_cbranch_vccz .LBB25_172
; %bb.171:
	v_lshlrev_b32_e32 v0, 4, v0
	v_mov_b32_e32 v1, s33
	v_add_nc_u32_e32 v0, 16, v0
	s_clause 0x7
	buffer_load_dword v2, v0, s[0:3], 0 offen
	buffer_load_dword v3, v0, s[0:3], 0 offen offset:4
	buffer_load_dword v4, v0, s[0:3], 0 offen offset:8
	;; [unrolled: 1-line block ×6, first 2 shown]
	buffer_load_dword v61, v1, s[0:3], 0 offen
	s_waitcnt vmcnt(7)
	buffer_store_dword v2, v1, s[0:3], 0 offen
	s_waitcnt vmcnt(6)
	buffer_store_dword v3, v1, s[0:3], 0 offen offset:4
	s_waitcnt vmcnt(5)
	buffer_store_dword v4, v1, s[0:3], 0 offen offset:8
	;; [unrolled: 2-line block ×6, first 2 shown]
	s_waitcnt vmcnt(0)
	buffer_store_dword v61, v0, s[0:3], 0 offen
.LBB25_172:
	v_mov_b32_e32 v0, 0
	global_load_dword v1, v0, s[20:21] offset:92
	s_waitcnt vmcnt(0)
	v_add_nc_u32_e32 v1, -1, v1
	v_cmp_eq_u32_e32 vcc_lo, 23, v1
	s_cbranch_vccnz .LBB25_174
; %bb.173:
	v_lshlrev_b32_e32 v1, 4, v1
	v_mov_b32_e32 v2, s31
	v_add_nc_u32_e32 v1, 16, v1
	s_clause 0x7
	buffer_load_dword v3, v1, s[0:3], 0 offen
	buffer_load_dword v4, v1, s[0:3], 0 offen offset:4
	buffer_load_dword v57, v1, s[0:3], 0 offen offset:8
	;; [unrolled: 1-line block ×6, first 2 shown]
	buffer_load_dword v62, v2, s[0:3], 0 offen
	s_waitcnt vmcnt(7)
	buffer_store_dword v3, v2, s[0:3], 0 offen
	s_waitcnt vmcnt(6)
	buffer_store_dword v4, v2, s[0:3], 0 offen offset:4
	s_waitcnt vmcnt(5)
	buffer_store_dword v57, v2, s[0:3], 0 offen offset:8
	;; [unrolled: 2-line block ×6, first 2 shown]
	s_waitcnt vmcnt(0)
	buffer_store_dword v62, v1, s[0:3], 0 offen
.LBB25_174:
	global_load_dword v0, v0, s[20:21] offset:88
	s_waitcnt vmcnt(0)
	v_add_nc_u32_e32 v0, -1, v0
	v_cmp_eq_u32_e32 vcc_lo, 22, v0
	s_cbranch_vccnz .LBB25_176
; %bb.175:
	v_lshlrev_b32_e32 v0, 4, v0
	v_mov_b32_e32 v1, s30
	v_add_nc_u32_e32 v0, 16, v0
	s_clause 0x7
	buffer_load_dword v2, v0, s[0:3], 0 offen
	buffer_load_dword v3, v0, s[0:3], 0 offen offset:4
	buffer_load_dword v4, v0, s[0:3], 0 offen offset:8
	;; [unrolled: 1-line block ×6, first 2 shown]
	buffer_load_dword v61, v1, s[0:3], 0 offen
	s_waitcnt vmcnt(7)
	buffer_store_dword v2, v1, s[0:3], 0 offen
	s_waitcnt vmcnt(6)
	buffer_store_dword v3, v1, s[0:3], 0 offen offset:4
	s_waitcnt vmcnt(5)
	buffer_store_dword v4, v1, s[0:3], 0 offen offset:8
	;; [unrolled: 2-line block ×6, first 2 shown]
	s_waitcnt vmcnt(0)
	buffer_store_dword v61, v0, s[0:3], 0 offen
.LBB25_176:
	v_mov_b32_e32 v0, 0
	global_load_dword v1, v0, s[20:21] offset:84
	s_waitcnt vmcnt(0)
	v_add_nc_u32_e32 v1, -1, v1
	v_cmp_eq_u32_e32 vcc_lo, 21, v1
	s_cbranch_vccnz .LBB25_178
; %bb.177:
	v_lshlrev_b32_e32 v1, 4, v1
	v_mov_b32_e32 v2, s29
	v_add_nc_u32_e32 v1, 16, v1
	s_clause 0x7
	buffer_load_dword v3, v1, s[0:3], 0 offen
	buffer_load_dword v4, v1, s[0:3], 0 offen offset:4
	buffer_load_dword v57, v1, s[0:3], 0 offen offset:8
	;; [unrolled: 1-line block ×6, first 2 shown]
	buffer_load_dword v62, v2, s[0:3], 0 offen
	s_waitcnt vmcnt(7)
	buffer_store_dword v3, v2, s[0:3], 0 offen
	s_waitcnt vmcnt(6)
	buffer_store_dword v4, v2, s[0:3], 0 offen offset:4
	s_waitcnt vmcnt(5)
	buffer_store_dword v57, v2, s[0:3], 0 offen offset:8
	;; [unrolled: 2-line block ×6, first 2 shown]
	s_waitcnt vmcnt(0)
	buffer_store_dword v62, v1, s[0:3], 0 offen
.LBB25_178:
	global_load_dword v0, v0, s[20:21] offset:80
	s_waitcnt vmcnt(0)
	v_add_nc_u32_e32 v0, -1, v0
	v_cmp_eq_u32_e32 vcc_lo, 20, v0
	s_cbranch_vccnz .LBB25_180
; %bb.179:
	v_lshlrev_b32_e32 v0, 4, v0
	v_mov_b32_e32 v1, s28
	v_add_nc_u32_e32 v0, 16, v0
	s_clause 0x7
	buffer_load_dword v2, v0, s[0:3], 0 offen
	buffer_load_dword v3, v0, s[0:3], 0 offen offset:4
	buffer_load_dword v4, v0, s[0:3], 0 offen offset:8
	;; [unrolled: 1-line block ×6, first 2 shown]
	buffer_load_dword v61, v1, s[0:3], 0 offen
	s_waitcnt vmcnt(7)
	buffer_store_dword v2, v1, s[0:3], 0 offen
	s_waitcnt vmcnt(6)
	buffer_store_dword v3, v1, s[0:3], 0 offen offset:4
	s_waitcnt vmcnt(5)
	buffer_store_dword v4, v1, s[0:3], 0 offen offset:8
	;; [unrolled: 2-line block ×6, first 2 shown]
	s_waitcnt vmcnt(0)
	buffer_store_dword v61, v0, s[0:3], 0 offen
.LBB25_180:
	v_mov_b32_e32 v0, 0
	global_load_dword v1, v0, s[20:21] offset:76
	s_waitcnt vmcnt(0)
	v_add_nc_u32_e32 v1, -1, v1
	v_cmp_eq_u32_e32 vcc_lo, 19, v1
	s_cbranch_vccnz .LBB25_182
; %bb.181:
	v_lshlrev_b32_e32 v1, 4, v1
	v_mov_b32_e32 v2, s27
	v_add_nc_u32_e32 v1, 16, v1
	s_clause 0x7
	buffer_load_dword v3, v1, s[0:3], 0 offen
	buffer_load_dword v4, v1, s[0:3], 0 offen offset:4
	buffer_load_dword v57, v1, s[0:3], 0 offen offset:8
	;; [unrolled: 1-line block ×6, first 2 shown]
	buffer_load_dword v62, v2, s[0:3], 0 offen
	s_waitcnt vmcnt(7)
	buffer_store_dword v3, v2, s[0:3], 0 offen
	s_waitcnt vmcnt(6)
	buffer_store_dword v4, v2, s[0:3], 0 offen offset:4
	s_waitcnt vmcnt(5)
	buffer_store_dword v57, v2, s[0:3], 0 offen offset:8
	;; [unrolled: 2-line block ×6, first 2 shown]
	s_waitcnt vmcnt(0)
	buffer_store_dword v62, v1, s[0:3], 0 offen
.LBB25_182:
	global_load_dword v0, v0, s[20:21] offset:72
	s_waitcnt vmcnt(0)
	v_add_nc_u32_e32 v0, -1, v0
	v_cmp_eq_u32_e32 vcc_lo, 18, v0
	s_cbranch_vccnz .LBB25_184
; %bb.183:
	v_lshlrev_b32_e32 v0, 4, v0
	v_mov_b32_e32 v1, s26
	v_add_nc_u32_e32 v0, 16, v0
	s_clause 0x7
	buffer_load_dword v2, v0, s[0:3], 0 offen
	buffer_load_dword v3, v0, s[0:3], 0 offen offset:4
	buffer_load_dword v4, v0, s[0:3], 0 offen offset:8
	;; [unrolled: 1-line block ×6, first 2 shown]
	buffer_load_dword v61, v1, s[0:3], 0 offen
	s_waitcnt vmcnt(7)
	buffer_store_dword v2, v1, s[0:3], 0 offen
	s_waitcnt vmcnt(6)
	buffer_store_dword v3, v1, s[0:3], 0 offen offset:4
	s_waitcnt vmcnt(5)
	buffer_store_dword v4, v1, s[0:3], 0 offen offset:8
	;; [unrolled: 2-line block ×6, first 2 shown]
	s_waitcnt vmcnt(0)
	buffer_store_dword v61, v0, s[0:3], 0 offen
.LBB25_184:
	v_mov_b32_e32 v0, 0
	global_load_dword v1, v0, s[20:21] offset:68
	s_waitcnt vmcnt(0)
	v_add_nc_u32_e32 v1, -1, v1
	v_cmp_eq_u32_e32 vcc_lo, 17, v1
	s_cbranch_vccnz .LBB25_186
; %bb.185:
	v_lshlrev_b32_e32 v1, 4, v1
	v_mov_b32_e32 v2, s25
	v_add_nc_u32_e32 v1, 16, v1
	s_clause 0x7
	buffer_load_dword v3, v1, s[0:3], 0 offen
	buffer_load_dword v4, v1, s[0:3], 0 offen offset:4
	buffer_load_dword v57, v1, s[0:3], 0 offen offset:8
	;; [unrolled: 1-line block ×6, first 2 shown]
	buffer_load_dword v62, v2, s[0:3], 0 offen
	s_waitcnt vmcnt(7)
	buffer_store_dword v3, v2, s[0:3], 0 offen
	s_waitcnt vmcnt(6)
	buffer_store_dword v4, v2, s[0:3], 0 offen offset:4
	s_waitcnt vmcnt(5)
	buffer_store_dword v57, v2, s[0:3], 0 offen offset:8
	;; [unrolled: 2-line block ×6, first 2 shown]
	s_waitcnt vmcnt(0)
	buffer_store_dword v62, v1, s[0:3], 0 offen
.LBB25_186:
	global_load_dword v0, v0, s[20:21] offset:64
	s_waitcnt vmcnt(0)
	v_add_nc_u32_e32 v0, -1, v0
	v_cmp_eq_u32_e32 vcc_lo, 16, v0
	s_cbranch_vccnz .LBB25_188
; %bb.187:
	v_lshlrev_b32_e32 v0, 4, v0
	v_mov_b32_e32 v1, s24
	v_add_nc_u32_e32 v0, 16, v0
	s_clause 0x7
	buffer_load_dword v2, v0, s[0:3], 0 offen
	buffer_load_dword v3, v0, s[0:3], 0 offen offset:4
	buffer_load_dword v4, v0, s[0:3], 0 offen offset:8
	buffer_load_dword v57, v0, s[0:3], 0 offen offset:12
	buffer_load_dword v58, v1, s[0:3], 0 offen offset:12
	buffer_load_dword v59, v1, s[0:3], 0 offen offset:8
	buffer_load_dword v60, v1, s[0:3], 0 offen offset:4
	buffer_load_dword v61, v1, s[0:3], 0 offen
	s_waitcnt vmcnt(7)
	buffer_store_dword v2, v1, s[0:3], 0 offen
	s_waitcnt vmcnt(6)
	buffer_store_dword v3, v1, s[0:3], 0 offen offset:4
	s_waitcnt vmcnt(5)
	buffer_store_dword v4, v1, s[0:3], 0 offen offset:8
	;; [unrolled: 2-line block ×6, first 2 shown]
	s_waitcnt vmcnt(0)
	buffer_store_dword v61, v0, s[0:3], 0 offen
.LBB25_188:
	v_mov_b32_e32 v0, 0
	global_load_dword v1, v0, s[20:21] offset:60
	s_waitcnt vmcnt(0)
	v_add_nc_u32_e32 v1, -1, v1
	v_cmp_eq_u32_e32 vcc_lo, 15, v1
	s_cbranch_vccnz .LBB25_190
; %bb.189:
	v_lshlrev_b32_e32 v1, 4, v1
	v_mov_b32_e32 v2, s23
	v_add_nc_u32_e32 v1, 16, v1
	s_clause 0x7
	buffer_load_dword v3, v1, s[0:3], 0 offen
	buffer_load_dword v4, v1, s[0:3], 0 offen offset:4
	buffer_load_dword v57, v1, s[0:3], 0 offen offset:8
	;; [unrolled: 1-line block ×6, first 2 shown]
	buffer_load_dword v62, v2, s[0:3], 0 offen
	s_waitcnt vmcnt(7)
	buffer_store_dword v3, v2, s[0:3], 0 offen
	s_waitcnt vmcnt(6)
	buffer_store_dword v4, v2, s[0:3], 0 offen offset:4
	s_waitcnt vmcnt(5)
	buffer_store_dword v57, v2, s[0:3], 0 offen offset:8
	;; [unrolled: 2-line block ×6, first 2 shown]
	s_waitcnt vmcnt(0)
	buffer_store_dword v62, v1, s[0:3], 0 offen
.LBB25_190:
	global_load_dword v0, v0, s[20:21] offset:56
	s_waitcnt vmcnt(0)
	v_add_nc_u32_e32 v0, -1, v0
	v_cmp_eq_u32_e32 vcc_lo, 14, v0
	s_cbranch_vccnz .LBB25_192
; %bb.191:
	v_lshlrev_b32_e32 v0, 4, v0
	v_mov_b32_e32 v1, s22
	v_add_nc_u32_e32 v0, 16, v0
	s_clause 0x7
	buffer_load_dword v2, v0, s[0:3], 0 offen
	buffer_load_dword v3, v0, s[0:3], 0 offen offset:4
	buffer_load_dword v4, v0, s[0:3], 0 offen offset:8
	;; [unrolled: 1-line block ×6, first 2 shown]
	buffer_load_dword v61, v1, s[0:3], 0 offen
	s_waitcnt vmcnt(7)
	buffer_store_dword v2, v1, s[0:3], 0 offen
	s_waitcnt vmcnt(6)
	buffer_store_dword v3, v1, s[0:3], 0 offen offset:4
	s_waitcnt vmcnt(5)
	buffer_store_dword v4, v1, s[0:3], 0 offen offset:8
	;; [unrolled: 2-line block ×6, first 2 shown]
	s_waitcnt vmcnt(0)
	buffer_store_dword v61, v0, s[0:3], 0 offen
.LBB25_192:
	v_mov_b32_e32 v0, 0
	global_load_dword v1, v0, s[20:21] offset:52
	s_waitcnt vmcnt(0)
	v_add_nc_u32_e32 v1, -1, v1
	v_cmp_eq_u32_e32 vcc_lo, 13, v1
	s_cbranch_vccnz .LBB25_194
; %bb.193:
	v_lshlrev_b32_e32 v1, 4, v1
	v_mov_b32_e32 v2, s19
	v_add_nc_u32_e32 v1, 16, v1
	s_clause 0x7
	buffer_load_dword v3, v1, s[0:3], 0 offen
	buffer_load_dword v4, v1, s[0:3], 0 offen offset:4
	buffer_load_dword v57, v1, s[0:3], 0 offen offset:8
	buffer_load_dword v58, v1, s[0:3], 0 offen offset:12
	buffer_load_dword v59, v2, s[0:3], 0 offen offset:12
	buffer_load_dword v60, v2, s[0:3], 0 offen offset:8
	buffer_load_dword v61, v2, s[0:3], 0 offen offset:4
	buffer_load_dword v62, v2, s[0:3], 0 offen
	s_waitcnt vmcnt(7)
	buffer_store_dword v3, v2, s[0:3], 0 offen
	s_waitcnt vmcnt(6)
	buffer_store_dword v4, v2, s[0:3], 0 offen offset:4
	s_waitcnt vmcnt(5)
	buffer_store_dword v57, v2, s[0:3], 0 offen offset:8
	;; [unrolled: 2-line block ×6, first 2 shown]
	s_waitcnt vmcnt(0)
	buffer_store_dword v62, v1, s[0:3], 0 offen
.LBB25_194:
	global_load_dword v0, v0, s[20:21] offset:48
	s_waitcnt vmcnt(0)
	v_add_nc_u32_e32 v0, -1, v0
	v_cmp_eq_u32_e32 vcc_lo, 12, v0
	s_cbranch_vccnz .LBB25_196
; %bb.195:
	v_lshlrev_b32_e32 v0, 4, v0
	v_mov_b32_e32 v1, s18
	v_add_nc_u32_e32 v0, 16, v0
	s_clause 0x7
	buffer_load_dword v2, v0, s[0:3], 0 offen
	buffer_load_dword v3, v0, s[0:3], 0 offen offset:4
	buffer_load_dword v4, v0, s[0:3], 0 offen offset:8
	buffer_load_dword v57, v0, s[0:3], 0 offen offset:12
	buffer_load_dword v58, v1, s[0:3], 0 offen offset:12
	buffer_load_dword v59, v1, s[0:3], 0 offen offset:8
	buffer_load_dword v60, v1, s[0:3], 0 offen offset:4
	buffer_load_dword v61, v1, s[0:3], 0 offen
	s_waitcnt vmcnt(7)
	buffer_store_dword v2, v1, s[0:3], 0 offen
	s_waitcnt vmcnt(6)
	buffer_store_dword v3, v1, s[0:3], 0 offen offset:4
	s_waitcnt vmcnt(5)
	buffer_store_dword v4, v1, s[0:3], 0 offen offset:8
	;; [unrolled: 2-line block ×6, first 2 shown]
	s_waitcnt vmcnt(0)
	buffer_store_dword v61, v0, s[0:3], 0 offen
.LBB25_196:
	v_mov_b32_e32 v0, 0
	global_load_dword v1, v0, s[20:21] offset:44
	s_waitcnt vmcnt(0)
	v_add_nc_u32_e32 v1, -1, v1
	v_cmp_eq_u32_e32 vcc_lo, 11, v1
	s_cbranch_vccnz .LBB25_198
; %bb.197:
	v_lshlrev_b32_e32 v1, 4, v1
	v_mov_b32_e32 v2, s17
	v_add_nc_u32_e32 v1, 16, v1
	s_clause 0x7
	buffer_load_dword v3, v1, s[0:3], 0 offen
	buffer_load_dword v4, v1, s[0:3], 0 offen offset:4
	buffer_load_dword v57, v1, s[0:3], 0 offen offset:8
	;; [unrolled: 1-line block ×6, first 2 shown]
	buffer_load_dword v62, v2, s[0:3], 0 offen
	s_waitcnt vmcnt(7)
	buffer_store_dword v3, v2, s[0:3], 0 offen
	s_waitcnt vmcnt(6)
	buffer_store_dword v4, v2, s[0:3], 0 offen offset:4
	s_waitcnt vmcnt(5)
	buffer_store_dword v57, v2, s[0:3], 0 offen offset:8
	;; [unrolled: 2-line block ×6, first 2 shown]
	s_waitcnt vmcnt(0)
	buffer_store_dword v62, v1, s[0:3], 0 offen
.LBB25_198:
	global_load_dword v0, v0, s[20:21] offset:40
	s_waitcnt vmcnt(0)
	v_add_nc_u32_e32 v0, -1, v0
	v_cmp_eq_u32_e32 vcc_lo, 10, v0
	s_cbranch_vccnz .LBB25_200
; %bb.199:
	v_lshlrev_b32_e32 v0, 4, v0
	v_mov_b32_e32 v1, s16
	v_add_nc_u32_e32 v0, 16, v0
	s_clause 0x7
	buffer_load_dword v2, v0, s[0:3], 0 offen
	buffer_load_dword v3, v0, s[0:3], 0 offen offset:4
	buffer_load_dword v4, v0, s[0:3], 0 offen offset:8
	;; [unrolled: 1-line block ×6, first 2 shown]
	buffer_load_dword v61, v1, s[0:3], 0 offen
	s_waitcnt vmcnt(7)
	buffer_store_dword v2, v1, s[0:3], 0 offen
	s_waitcnt vmcnt(6)
	buffer_store_dword v3, v1, s[0:3], 0 offen offset:4
	s_waitcnt vmcnt(5)
	buffer_store_dword v4, v1, s[0:3], 0 offen offset:8
	;; [unrolled: 2-line block ×6, first 2 shown]
	s_waitcnt vmcnt(0)
	buffer_store_dword v61, v0, s[0:3], 0 offen
.LBB25_200:
	v_mov_b32_e32 v0, 0
	global_load_dword v1, v0, s[20:21] offset:36
	s_waitcnt vmcnt(0)
	v_add_nc_u32_e32 v1, -1, v1
	v_cmp_eq_u32_e32 vcc_lo, 9, v1
	s_cbranch_vccnz .LBB25_202
; %bb.201:
	v_lshlrev_b32_e32 v1, 4, v1
	v_mov_b32_e32 v2, s15
	v_add_nc_u32_e32 v1, 16, v1
	s_clause 0x7
	buffer_load_dword v3, v1, s[0:3], 0 offen
	buffer_load_dword v4, v1, s[0:3], 0 offen offset:4
	buffer_load_dword v57, v1, s[0:3], 0 offen offset:8
	;; [unrolled: 1-line block ×6, first 2 shown]
	buffer_load_dword v62, v2, s[0:3], 0 offen
	s_waitcnt vmcnt(7)
	buffer_store_dword v3, v2, s[0:3], 0 offen
	s_waitcnt vmcnt(6)
	buffer_store_dword v4, v2, s[0:3], 0 offen offset:4
	s_waitcnt vmcnt(5)
	buffer_store_dword v57, v2, s[0:3], 0 offen offset:8
	;; [unrolled: 2-line block ×6, first 2 shown]
	s_waitcnt vmcnt(0)
	buffer_store_dword v62, v1, s[0:3], 0 offen
.LBB25_202:
	global_load_dword v0, v0, s[20:21] offset:32
	s_waitcnt vmcnt(0)
	v_add_nc_u32_e32 v0, -1, v0
	v_cmp_eq_u32_e32 vcc_lo, 8, v0
	s_cbranch_vccnz .LBB25_204
; %bb.203:
	v_lshlrev_b32_e32 v0, 4, v0
	v_mov_b32_e32 v1, s14
	v_add_nc_u32_e32 v0, 16, v0
	s_clause 0x7
	buffer_load_dword v2, v0, s[0:3], 0 offen
	buffer_load_dword v3, v0, s[0:3], 0 offen offset:4
	buffer_load_dword v4, v0, s[0:3], 0 offen offset:8
	;; [unrolled: 1-line block ×6, first 2 shown]
	buffer_load_dword v61, v1, s[0:3], 0 offen
	s_waitcnt vmcnt(7)
	buffer_store_dword v2, v1, s[0:3], 0 offen
	s_waitcnt vmcnt(6)
	buffer_store_dword v3, v1, s[0:3], 0 offen offset:4
	s_waitcnt vmcnt(5)
	buffer_store_dword v4, v1, s[0:3], 0 offen offset:8
	;; [unrolled: 2-line block ×6, first 2 shown]
	s_waitcnt vmcnt(0)
	buffer_store_dword v61, v0, s[0:3], 0 offen
.LBB25_204:
	v_mov_b32_e32 v0, 0
	global_load_dword v1, v0, s[20:21] offset:28
	s_waitcnt vmcnt(0)
	v_add_nc_u32_e32 v1, -1, v1
	v_cmp_eq_u32_e32 vcc_lo, 7, v1
	s_cbranch_vccnz .LBB25_206
; %bb.205:
	v_lshlrev_b32_e32 v1, 4, v1
	v_mov_b32_e32 v2, s13
	v_add_nc_u32_e32 v1, 16, v1
	s_clause 0x7
	buffer_load_dword v3, v1, s[0:3], 0 offen
	buffer_load_dword v4, v1, s[0:3], 0 offen offset:4
	buffer_load_dword v57, v1, s[0:3], 0 offen offset:8
	buffer_load_dword v58, v1, s[0:3], 0 offen offset:12
	buffer_load_dword v59, v2, s[0:3], 0 offen offset:12
	buffer_load_dword v60, v2, s[0:3], 0 offen offset:8
	buffer_load_dword v61, v2, s[0:3], 0 offen offset:4
	buffer_load_dword v62, v2, s[0:3], 0 offen
	s_waitcnt vmcnt(7)
	buffer_store_dword v3, v2, s[0:3], 0 offen
	s_waitcnt vmcnt(6)
	buffer_store_dword v4, v2, s[0:3], 0 offen offset:4
	s_waitcnt vmcnt(5)
	buffer_store_dword v57, v2, s[0:3], 0 offen offset:8
	;; [unrolled: 2-line block ×6, first 2 shown]
	s_waitcnt vmcnt(0)
	buffer_store_dword v62, v1, s[0:3], 0 offen
.LBB25_206:
	global_load_dword v0, v0, s[20:21] offset:24
	s_waitcnt vmcnt(0)
	v_add_nc_u32_e32 v0, -1, v0
	v_cmp_eq_u32_e32 vcc_lo, 6, v0
	s_cbranch_vccnz .LBB25_208
; %bb.207:
	v_lshlrev_b32_e32 v0, 4, v0
	v_mov_b32_e32 v1, s12
	v_add_nc_u32_e32 v0, 16, v0
	s_clause 0x7
	buffer_load_dword v2, v0, s[0:3], 0 offen
	buffer_load_dword v3, v0, s[0:3], 0 offen offset:4
	buffer_load_dword v4, v0, s[0:3], 0 offen offset:8
	;; [unrolled: 1-line block ×6, first 2 shown]
	buffer_load_dword v61, v1, s[0:3], 0 offen
	s_waitcnt vmcnt(7)
	buffer_store_dword v2, v1, s[0:3], 0 offen
	s_waitcnt vmcnt(6)
	buffer_store_dword v3, v1, s[0:3], 0 offen offset:4
	s_waitcnt vmcnt(5)
	buffer_store_dword v4, v1, s[0:3], 0 offen offset:8
	;; [unrolled: 2-line block ×6, first 2 shown]
	s_waitcnt vmcnt(0)
	buffer_store_dword v61, v0, s[0:3], 0 offen
.LBB25_208:
	v_mov_b32_e32 v0, 0
	global_load_dword v1, v0, s[20:21] offset:20
	s_waitcnt vmcnt(0)
	v_add_nc_u32_e32 v1, -1, v1
	v_cmp_eq_u32_e32 vcc_lo, 5, v1
	s_cbranch_vccnz .LBB25_210
; %bb.209:
	v_lshlrev_b32_e32 v1, 4, v1
	v_mov_b32_e32 v2, s9
	v_add_nc_u32_e32 v1, 16, v1
	s_clause 0x7
	buffer_load_dword v3, v1, s[0:3], 0 offen
	buffer_load_dword v4, v1, s[0:3], 0 offen offset:4
	buffer_load_dword v57, v1, s[0:3], 0 offen offset:8
	;; [unrolled: 1-line block ×6, first 2 shown]
	buffer_load_dword v62, v2, s[0:3], 0 offen
	s_waitcnt vmcnt(7)
	buffer_store_dword v3, v2, s[0:3], 0 offen
	s_waitcnt vmcnt(6)
	buffer_store_dword v4, v2, s[0:3], 0 offen offset:4
	s_waitcnt vmcnt(5)
	buffer_store_dword v57, v2, s[0:3], 0 offen offset:8
	;; [unrolled: 2-line block ×6, first 2 shown]
	s_waitcnt vmcnt(0)
	buffer_store_dword v62, v1, s[0:3], 0 offen
.LBB25_210:
	global_load_dword v0, v0, s[20:21] offset:16
	s_waitcnt vmcnt(0)
	v_add_nc_u32_e32 v0, -1, v0
	v_cmp_eq_u32_e32 vcc_lo, 4, v0
	s_cbranch_vccnz .LBB25_212
; %bb.211:
	v_lshlrev_b32_e32 v0, 4, v0
	v_mov_b32_e32 v1, s8
	v_add_nc_u32_e32 v0, 16, v0
	s_clause 0x7
	buffer_load_dword v2, v0, s[0:3], 0 offen
	buffer_load_dword v3, v0, s[0:3], 0 offen offset:4
	buffer_load_dword v4, v0, s[0:3], 0 offen offset:8
	;; [unrolled: 1-line block ×6, first 2 shown]
	buffer_load_dword v61, v1, s[0:3], 0 offen
	s_waitcnt vmcnt(7)
	buffer_store_dword v2, v1, s[0:3], 0 offen
	s_waitcnt vmcnt(6)
	buffer_store_dword v3, v1, s[0:3], 0 offen offset:4
	s_waitcnt vmcnt(5)
	buffer_store_dword v4, v1, s[0:3], 0 offen offset:8
	;; [unrolled: 2-line block ×6, first 2 shown]
	s_waitcnt vmcnt(0)
	buffer_store_dword v61, v0, s[0:3], 0 offen
.LBB25_212:
	v_mov_b32_e32 v0, 0
	global_load_dword v1, v0, s[20:21] offset:12
	s_waitcnt vmcnt(0)
	v_add_nc_u32_e32 v1, -1, v1
	v_cmp_eq_u32_e32 vcc_lo, 3, v1
	s_cbranch_vccnz .LBB25_214
; %bb.213:
	v_lshlrev_b32_e32 v1, 4, v1
	v_mov_b32_e32 v2, s35
	v_add_nc_u32_e32 v1, 16, v1
	s_clause 0x7
	buffer_load_dword v3, v1, s[0:3], 0 offen
	buffer_load_dword v4, v1, s[0:3], 0 offen offset:4
	buffer_load_dword v57, v1, s[0:3], 0 offen offset:8
	;; [unrolled: 1-line block ×6, first 2 shown]
	buffer_load_dword v62, v2, s[0:3], 0 offen
	s_waitcnt vmcnt(7)
	buffer_store_dword v3, v2, s[0:3], 0 offen
	s_waitcnt vmcnt(6)
	buffer_store_dword v4, v2, s[0:3], 0 offen offset:4
	s_waitcnt vmcnt(5)
	buffer_store_dword v57, v2, s[0:3], 0 offen offset:8
	;; [unrolled: 2-line block ×6, first 2 shown]
	s_waitcnt vmcnt(0)
	buffer_store_dword v62, v1, s[0:3], 0 offen
.LBB25_214:
	global_load_dword v0, v0, s[20:21] offset:8
	s_waitcnt vmcnt(0)
	v_add_nc_u32_e32 v0, -1, v0
	v_cmp_eq_u32_e32 vcc_lo, 2, v0
	s_cbranch_vccnz .LBB25_216
; %bb.215:
	v_lshlrev_b32_e32 v0, 4, v0
	v_mov_b32_e32 v1, s36
	v_add_nc_u32_e32 v0, 16, v0
	s_clause 0x7
	buffer_load_dword v2, v0, s[0:3], 0 offen
	buffer_load_dword v3, v0, s[0:3], 0 offen offset:4
	buffer_load_dword v4, v0, s[0:3], 0 offen offset:8
	;; [unrolled: 1-line block ×6, first 2 shown]
	buffer_load_dword v61, v1, s[0:3], 0 offen
	s_waitcnt vmcnt(7)
	buffer_store_dword v2, v1, s[0:3], 0 offen
	s_waitcnt vmcnt(6)
	buffer_store_dword v3, v1, s[0:3], 0 offen offset:4
	s_waitcnt vmcnt(5)
	buffer_store_dword v4, v1, s[0:3], 0 offen offset:8
	;; [unrolled: 2-line block ×6, first 2 shown]
	s_waitcnt vmcnt(0)
	buffer_store_dword v61, v0, s[0:3], 0 offen
.LBB25_216:
	v_mov_b32_e32 v0, 0
	global_load_dword v1, v0, s[20:21] offset:4
	s_waitcnt vmcnt(0)
	v_add_nc_u32_e32 v1, -1, v1
	v_cmp_eq_u32_e32 vcc_lo, 1, v1
	s_cbranch_vccnz .LBB25_218
; %bb.217:
	v_lshlrev_b32_e32 v1, 4, v1
	v_mov_b32_e32 v2, s37
	v_add_nc_u32_e32 v1, 16, v1
	s_clause 0x7
	buffer_load_dword v3, v1, s[0:3], 0 offen
	buffer_load_dword v4, v1, s[0:3], 0 offen offset:4
	buffer_load_dword v57, v1, s[0:3], 0 offen offset:8
	;; [unrolled: 1-line block ×6, first 2 shown]
	buffer_load_dword v62, v2, s[0:3], 0 offen
	s_waitcnt vmcnt(7)
	buffer_store_dword v3, v2, s[0:3], 0 offen
	s_waitcnt vmcnt(6)
	buffer_store_dword v4, v2, s[0:3], 0 offen offset:4
	s_waitcnt vmcnt(5)
	buffer_store_dword v57, v2, s[0:3], 0 offen offset:8
	;; [unrolled: 2-line block ×6, first 2 shown]
	s_waitcnt vmcnt(0)
	buffer_store_dword v62, v1, s[0:3], 0 offen
.LBB25_218:
	global_load_dword v0, v0, s[20:21]
	s_waitcnt vmcnt(0)
	v_add_nc_u32_e32 v0, -1, v0
	v_cmp_eq_u32_e32 vcc_lo, 0, v0
	s_cbranch_vccnz .LBB25_220
; %bb.219:
	v_lshlrev_b32_e32 v0, 4, v0
	v_add_nc_u32_e32 v0, 16, v0
	s_clause 0x7
	buffer_load_dword v1, v0, s[0:3], 0 offen
	buffer_load_dword v2, v0, s[0:3], 0 offen offset:4
	buffer_load_dword v3, v0, s[0:3], 0 offen offset:8
	;; [unrolled: 1-line block ×3, first 2 shown]
	buffer_load_dword v57, off, s[0:3], 0 offset:28
	buffer_load_dword v58, off, s[0:3], 0 offset:24
	;; [unrolled: 1-line block ×4, first 2 shown]
	s_waitcnt vmcnt(7)
	buffer_store_dword v1, off, s[0:3], 0 offset:16
	s_waitcnt vmcnt(6)
	buffer_store_dword v2, off, s[0:3], 0 offset:20
	;; [unrolled: 2-line block ×4, first 2 shown]
	s_waitcnt vmcnt(3)
	buffer_store_dword v57, v0, s[0:3], 0 offen offset:12
	s_waitcnt vmcnt(2)
	buffer_store_dword v58, v0, s[0:3], 0 offen offset:8
	s_waitcnt vmcnt(1)
	buffer_store_dword v59, v0, s[0:3], 0 offen offset:4
	s_waitcnt vmcnt(0)
	buffer_store_dword v60, v0, s[0:3], 0 offen
.LBB25_220:
	v_mov_b32_e32 v4, s37
	s_clause 0x3
	buffer_load_dword v0, off, s[0:3], 0 offset:16
	buffer_load_dword v1, off, s[0:3], 0 offset:20
	;; [unrolled: 1-line block ×4, first 2 shown]
	v_mov_b32_e32 v133, s28
	v_mov_b32_e32 v137, s30
	;; [unrolled: 1-line block ×3, first 2 shown]
	s_clause 0x3
	buffer_load_dword v57, v4, s[0:3], 0 offen
	buffer_load_dword v58, v4, s[0:3], 0 offen offset:4
	buffer_load_dword v59, v4, s[0:3], 0 offen offset:8
	;; [unrolled: 1-line block ×3, first 2 shown]
	v_mov_b32_e32 v4, s36
	v_mov_b32_e32 v72, s8
	;; [unrolled: 1-line block ×4, first 2 shown]
	s_clause 0x3
	buffer_load_dword v61, v4, s[0:3], 0 offen
	buffer_load_dword v62, v4, s[0:3], 0 offen offset:4
	buffer_load_dword v63, v4, s[0:3], 0 offen offset:8
	buffer_load_dword v64, v4, s[0:3], 0 offen offset:12
	v_mov_b32_e32 v4, s35
	v_mov_b32_e32 v84, s13
	;; [unrolled: 1-line block ×15, first 2 shown]
	s_clause 0x3e
	buffer_load_dword v65, v4, s[0:3], 0 offen
	buffer_load_dword v66, v4, s[0:3], 0 offen offset:4
	buffer_load_dword v67, v4, s[0:3], 0 offen offset:8
	buffer_load_dword v68, v4, s[0:3], 0 offen offset:12
	buffer_load_dword v69, v72, s[0:3], 0 offen
	buffer_load_dword v70, v72, s[0:3], 0 offen offset:4
	buffer_load_dword v71, v72, s[0:3], 0 offen offset:8
	buffer_load_dword v72, v72, s[0:3], 0 offen offset:12
	;; [unrolled: 4-line block ×15, first 2 shown]
	buffer_load_dword v125, v128, s[0:3], 0 offen
	buffer_load_dword v126, v128, s[0:3], 0 offen offset:4
	buffer_load_dword v127, v128, s[0:3], 0 offen offset:8
	s_clause 0x4
	buffer_load_dword v128, v128, s[0:3], 0 offen offset:12
	buffer_load_dword v129, v132, s[0:3], 0 offen
	buffer_load_dword v130, v132, s[0:3], 0 offen offset:4
	buffer_load_dword v131, v132, s[0:3], 0 offen offset:8
	;; [unrolled: 1-line block ×3, first 2 shown]
	v_mov_b32_e32 v138, s31
	v_mov_b32_e32 v140, s34
	s_waitcnt vmcnt(62)
	global_store_dwordx4 v[5:6], v[0:3], off
	s_clause 0x7
	buffer_load_dword v0, v133, s[0:3], 0 offen
	buffer_load_dword v1, v133, s[0:3], 0 offen offset:4
	buffer_load_dword v2, v133, s[0:3], 0 offen offset:8
	buffer_load_dword v3, v133, s[0:3], 0 offen offset:12
	buffer_load_dword v133, v136, s[0:3], 0 offen
	buffer_load_dword v134, v136, s[0:3], 0 offen offset:4
	buffer_load_dword v135, v136, s[0:3], 0 offen offset:8
	buffer_load_dword v136, v136, s[0:3], 0 offen offset:12
	global_store_dwordx4 v[7:8], v[57:60], off
	s_clause 0x7
	buffer_load_dword v4, v137, s[0:3], 0 offen
	buffer_load_dword v5, v137, s[0:3], 0 offen offset:4
	buffer_load_dword v6, v137, s[0:3], 0 offen offset:8
	buffer_load_dword v7, v137, s[0:3], 0 offen offset:12
	buffer_load_dword v57, v138, s[0:3], 0 offen
	buffer_load_dword v58, v138, s[0:3], 0 offen offset:4
	buffer_load_dword v59, v138, s[0:3], 0 offen offset:8
	buffer_load_dword v60, v138, s[0:3], 0 offen offset:12
	;; [unrolled: 10-line block ×3, first 2 shown]
	global_store_dwordx4 v[9:10], v[65:68], off
	s_waitcnt vmcnt(62)
	global_store_dwordx4 v[13:14], v[69:72], off
	global_store_dwordx4 v[15:16], v[73:76], off
	;; [unrolled: 1-line block ×6, first 2 shown]
	s_waitcnt vmcnt(60)
	global_store_dwordx4 v[25:26], v[93:96], off
	s_waitcnt vmcnt(56)
	global_store_dwordx4 v[27:28], v[97:100], off
	;; [unrolled: 2-line block ×16, first 2 shown]
	s_endpgm
	.section	.rodata,"a",@progbits
	.p2align	6, 0x0
	.amdhsa_kernel _ZN9rocsolver6v33100L18getri_kernel_smallILi26E19rocblas_complex_numIdEPS3_EEvT1_iilPiilS6_bb
		.amdhsa_group_segment_fixed_size 840
		.amdhsa_private_segment_fixed_size 448
		.amdhsa_kernarg_size 60
		.amdhsa_user_sgpr_count 6
		.amdhsa_user_sgpr_private_segment_buffer 1
		.amdhsa_user_sgpr_dispatch_ptr 0
		.amdhsa_user_sgpr_queue_ptr 0
		.amdhsa_user_sgpr_kernarg_segment_ptr 1
		.amdhsa_user_sgpr_dispatch_id 0
		.amdhsa_user_sgpr_flat_scratch_init 0
		.amdhsa_user_sgpr_private_segment_size 0
		.amdhsa_wavefront_size32 1
		.amdhsa_uses_dynamic_stack 0
		.amdhsa_system_sgpr_private_segment_wavefront_offset 1
		.amdhsa_system_sgpr_workgroup_id_x 1
		.amdhsa_system_sgpr_workgroup_id_y 0
		.amdhsa_system_sgpr_workgroup_id_z 0
		.amdhsa_system_sgpr_workgroup_info 0
		.amdhsa_system_vgpr_workitem_id 0
		.amdhsa_next_free_vgpr 144
		.amdhsa_next_free_sgpr 42
		.amdhsa_reserve_vcc 1
		.amdhsa_reserve_flat_scratch 0
		.amdhsa_float_round_mode_32 0
		.amdhsa_float_round_mode_16_64 0
		.amdhsa_float_denorm_mode_32 3
		.amdhsa_float_denorm_mode_16_64 3
		.amdhsa_dx10_clamp 1
		.amdhsa_ieee_mode 1
		.amdhsa_fp16_overflow 0
		.amdhsa_workgroup_processor_mode 1
		.amdhsa_memory_ordered 1
		.amdhsa_forward_progress 1
		.amdhsa_shared_vgpr_count 0
		.amdhsa_exception_fp_ieee_invalid_op 0
		.amdhsa_exception_fp_denorm_src 0
		.amdhsa_exception_fp_ieee_div_zero 0
		.amdhsa_exception_fp_ieee_overflow 0
		.amdhsa_exception_fp_ieee_underflow 0
		.amdhsa_exception_fp_ieee_inexact 0
		.amdhsa_exception_int_div_zero 0
	.end_amdhsa_kernel
	.section	.text._ZN9rocsolver6v33100L18getri_kernel_smallILi26E19rocblas_complex_numIdEPS3_EEvT1_iilPiilS6_bb,"axG",@progbits,_ZN9rocsolver6v33100L18getri_kernel_smallILi26E19rocblas_complex_numIdEPS3_EEvT1_iilPiilS6_bb,comdat
.Lfunc_end25:
	.size	_ZN9rocsolver6v33100L18getri_kernel_smallILi26E19rocblas_complex_numIdEPS3_EEvT1_iilPiilS6_bb, .Lfunc_end25-_ZN9rocsolver6v33100L18getri_kernel_smallILi26E19rocblas_complex_numIdEPS3_EEvT1_iilPiilS6_bb
                                        ; -- End function
	.set _ZN9rocsolver6v33100L18getri_kernel_smallILi26E19rocblas_complex_numIdEPS3_EEvT1_iilPiilS6_bb.num_vgpr, 144
	.set _ZN9rocsolver6v33100L18getri_kernel_smallILi26E19rocblas_complex_numIdEPS3_EEvT1_iilPiilS6_bb.num_agpr, 0
	.set _ZN9rocsolver6v33100L18getri_kernel_smallILi26E19rocblas_complex_numIdEPS3_EEvT1_iilPiilS6_bb.numbered_sgpr, 42
	.set _ZN9rocsolver6v33100L18getri_kernel_smallILi26E19rocblas_complex_numIdEPS3_EEvT1_iilPiilS6_bb.num_named_barrier, 0
	.set _ZN9rocsolver6v33100L18getri_kernel_smallILi26E19rocblas_complex_numIdEPS3_EEvT1_iilPiilS6_bb.private_seg_size, 448
	.set _ZN9rocsolver6v33100L18getri_kernel_smallILi26E19rocblas_complex_numIdEPS3_EEvT1_iilPiilS6_bb.uses_vcc, 1
	.set _ZN9rocsolver6v33100L18getri_kernel_smallILi26E19rocblas_complex_numIdEPS3_EEvT1_iilPiilS6_bb.uses_flat_scratch, 0
	.set _ZN9rocsolver6v33100L18getri_kernel_smallILi26E19rocblas_complex_numIdEPS3_EEvT1_iilPiilS6_bb.has_dyn_sized_stack, 0
	.set _ZN9rocsolver6v33100L18getri_kernel_smallILi26E19rocblas_complex_numIdEPS3_EEvT1_iilPiilS6_bb.has_recursion, 0
	.set _ZN9rocsolver6v33100L18getri_kernel_smallILi26E19rocblas_complex_numIdEPS3_EEvT1_iilPiilS6_bb.has_indirect_call, 0
	.section	.AMDGPU.csdata,"",@progbits
; Kernel info:
; codeLenInByte = 55992
; TotalNumSgprs: 44
; NumVgprs: 144
; ScratchSize: 448
; MemoryBound: 0
; FloatMode: 240
; IeeeMode: 1
; LDSByteSize: 840 bytes/workgroup (compile time only)
; SGPRBlocks: 0
; VGPRBlocks: 17
; NumSGPRsForWavesPerEU: 44
; NumVGPRsForWavesPerEU: 144
; Occupancy: 7
; WaveLimiterHint : 1
; COMPUTE_PGM_RSRC2:SCRATCH_EN: 1
; COMPUTE_PGM_RSRC2:USER_SGPR: 6
; COMPUTE_PGM_RSRC2:TRAP_HANDLER: 0
; COMPUTE_PGM_RSRC2:TGID_X_EN: 1
; COMPUTE_PGM_RSRC2:TGID_Y_EN: 0
; COMPUTE_PGM_RSRC2:TGID_Z_EN: 0
; COMPUTE_PGM_RSRC2:TIDIG_COMP_CNT: 0
	.section	.text._ZN9rocsolver6v33100L18getri_kernel_smallILi27E19rocblas_complex_numIdEPS3_EEvT1_iilPiilS6_bb,"axG",@progbits,_ZN9rocsolver6v33100L18getri_kernel_smallILi27E19rocblas_complex_numIdEPS3_EEvT1_iilPiilS6_bb,comdat
	.globl	_ZN9rocsolver6v33100L18getri_kernel_smallILi27E19rocblas_complex_numIdEPS3_EEvT1_iilPiilS6_bb ; -- Begin function _ZN9rocsolver6v33100L18getri_kernel_smallILi27E19rocblas_complex_numIdEPS3_EEvT1_iilPiilS6_bb
	.p2align	8
	.type	_ZN9rocsolver6v33100L18getri_kernel_smallILi27E19rocblas_complex_numIdEPS3_EEvT1_iilPiilS6_bb,@function
_ZN9rocsolver6v33100L18getri_kernel_smallILi27E19rocblas_complex_numIdEPS3_EEvT1_iilPiilS6_bb: ; @_ZN9rocsolver6v33100L18getri_kernel_smallILi27E19rocblas_complex_numIdEPS3_EEvT1_iilPiilS6_bb
; %bb.0:
	s_add_u32 s0, s0, s7
	s_addc_u32 s1, s1, 0
	s_mov_b32 s7, exec_lo
	v_cmpx_gt_u32_e32 27, v0
	s_cbranch_execz .LBB26_122
; %bb.1:
	s_clause 0x2
	s_load_dword s7, s[4:5], 0x38
	s_load_dwordx4 s[16:19], s[4:5], 0x10
	s_load_dwordx4 s[8:11], s[4:5], 0x28
                                        ; implicit-def: $sgpr20_sgpr21
	s_waitcnt lgkmcnt(0)
	s_bitcmp1_b32 s7, 8
	s_cselect_b32 s38, -1, 0
	s_bfe_u32 s12, s7, 0x10008
	s_ashr_i32 s7, s6, 31
	s_cmp_eq_u32 s12, 0
	s_cbranch_scc1 .LBB26_3
; %bb.2:
	s_load_dword s12, s[4:5], 0x20
	s_mul_i32 s13, s8, s7
	s_mul_hi_u32 s14, s8, s6
	s_mul_i32 s9, s9, s6
	s_add_i32 s13, s14, s13
	s_mul_i32 s8, s8, s6
	s_add_i32 s9, s13, s9
	s_lshl_b64 s[8:9], s[8:9], 2
	s_waitcnt lgkmcnt(0)
	s_ashr_i32 s13, s12, 31
	s_add_u32 s14, s18, s8
	s_addc_u32 s15, s19, s9
	s_lshl_b64 s[8:9], s[12:13], 2
	s_add_u32 s20, s14, s8
	s_addc_u32 s21, s15, s9
.LBB26_3:
	s_clause 0x1
	s_load_dwordx4 s[12:15], s[4:5], 0x0
	s_load_dword s40, s[4:5], 0x38
	s_mul_i32 s4, s16, s7
	s_mul_hi_u32 s5, s16, s6
	s_mul_i32 s8, s17, s6
	s_add_i32 s5, s5, s4
	s_mul_i32 s4, s16, s6
	s_add_i32 s5, s5, s8
	v_lshlrev_b32_e32 v65, 4, v0
	s_lshl_b64 s[4:5], s[4:5], 4
	s_movk_i32 s16, 0xc0
	s_movk_i32 s17, 0xd0
	;; [unrolled: 1-line block ×10, first 2 shown]
	s_waitcnt lgkmcnt(0)
	s_ashr_i32 s9, s14, 31
	s_mov_b32 s8, s14
	s_add_u32 s12, s12, s4
	s_addc_u32 s13, s13, s5
	s_lshl_b64 s[4:5], s[8:9], 4
	s_mov_b32 s8, s15
	s_add_u32 s4, s12, s4
	s_addc_u32 s5, s13, s5
	v_add_co_u32 v5, s12, s4, v65
	s_ashr_i32 s9, s15, 31
	v_add_co_ci_u32_e64 v6, null, s5, 0, s12
	s_lshl_b64 s[8:9], s[8:9], 4
	global_load_dwordx4 v[1:4], v65, s[4:5]
	v_add_co_u32 v7, vcc_lo, v5, s8
	v_add_co_ci_u32_e64 v8, null, s9, v6, vcc_lo
	v_add3_u32 v9, s15, s15, v0
	s_movk_i32 s8, 0x60
	s_movk_i32 s9, 0x70
	global_load_dwordx4 v[59:62], v[7:8], off
	s_movk_i32 s12, 0x80
	v_add_nc_u32_e32 v11, s15, v9
	v_ashrrev_i32_e32 v10, 31, v9
	s_movk_i32 s13, 0x90
	s_movk_i32 s14, 0xa0
	;; [unrolled: 1-line block ×3, first 2 shown]
	v_add_nc_u32_e32 v13, s15, v11
	v_ashrrev_i32_e32 v12, 31, v11
	v_lshlrev_b64 v[9:10], 4, v[9:10]
	s_movk_i32 s47, 0x170
	s_movk_i32 s48, 0x180
	v_add_nc_u32_e32 v15, s15, v13
	v_ashrrev_i32_e32 v14, 31, v13
	v_lshlrev_b64 v[11:12], 4, v[11:12]
	v_add_co_u32 v9, vcc_lo, s4, v9
	v_add_nc_u32_e32 v17, s15, v15
	v_ashrrev_i32_e32 v16, 31, v15
	v_lshlrev_b64 v[13:14], 4, v[13:14]
	v_add_co_ci_u32_e64 v10, null, s5, v10, vcc_lo
	v_add_nc_u32_e32 v19, s15, v17
	v_ashrrev_i32_e32 v18, 31, v17
	v_lshlrev_b64 v[15:16], 4, v[15:16]
	v_add_co_u32 v11, vcc_lo, s4, v11
	v_add_nc_u32_e32 v21, s15, v19
	v_ashrrev_i32_e32 v20, 31, v19
	v_lshlrev_b64 v[17:18], 4, v[17:18]
	v_add_co_ci_u32_e64 v12, null, s5, v12, vcc_lo
	v_add_nc_u32_e32 v23, s15, v21
	v_ashrrev_i32_e32 v22, 31, v21
	v_add_co_u32 v13, vcc_lo, s4, v13
	v_lshlrev_b64 v[19:20], 4, v[19:20]
	v_add_nc_u32_e32 v25, s15, v23
	v_ashrrev_i32_e32 v24, 31, v23
	v_add_co_ci_u32_e64 v14, null, s5, v14, vcc_lo
	v_add_co_u32 v15, vcc_lo, s4, v15
	v_add_nc_u32_e32 v27, s15, v25
	v_ashrrev_i32_e32 v26, 31, v25
	v_lshlrev_b64 v[21:22], 4, v[21:22]
	v_add_co_ci_u32_e64 v16, null, s5, v16, vcc_lo
	v_add_nc_u32_e32 v29, s15, v27
	v_ashrrev_i32_e32 v28, 31, v27
	v_add_co_u32 v17, vcc_lo, s4, v17
	v_lshlrev_b64 v[23:24], 4, v[23:24]
	v_add_nc_u32_e32 v31, s15, v29
	v_ashrrev_i32_e32 v30, 31, v29
	v_add_co_ci_u32_e64 v18, null, s5, v18, vcc_lo
	v_add_co_u32 v19, vcc_lo, s4, v19
	v_add_nc_u32_e32 v33, s15, v31
	v_lshlrev_b64 v[25:26], 4, v[25:26]
	v_ashrrev_i32_e32 v32, 31, v31
	v_add_co_ci_u32_e64 v20, null, s5, v20, vcc_lo
	v_add_nc_u32_e32 v35, s15, v33
	v_add_co_u32 v21, vcc_lo, s4, v21
	v_lshlrev_b64 v[27:28], 4, v[27:28]
	v_ashrrev_i32_e32 v34, 31, v33
	v_add_nc_u32_e32 v37, s15, v35
	v_add_co_ci_u32_e64 v22, null, s5, v22, vcc_lo
	v_add_co_u32 v23, vcc_lo, s4, v23
	v_add_nc_u32_e32 v39, s15, v37
	v_lshlrev_b64 v[29:30], 4, v[29:30]
	v_ashrrev_i32_e32 v36, 31, v35
	v_add_co_ci_u32_e64 v24, null, s5, v24, vcc_lo
	v_add_nc_u32_e32 v41, s15, v39
	v_add_co_u32 v25, vcc_lo, s4, v25
	v_lshlrev_b64 v[31:32], 4, v[31:32]
	v_ashrrev_i32_e32 v38, 31, v37
	v_add_nc_u32_e32 v43, s15, v41
	v_add_co_ci_u32_e64 v26, null, s5, v26, vcc_lo
	v_add_co_u32 v27, vcc_lo, s4, v27
	v_add_nc_u32_e32 v45, s15, v43
	v_lshlrev_b64 v[33:34], 4, v[33:34]
	v_ashrrev_i32_e32 v40, 31, v39
	v_add_co_ci_u32_e64 v28, null, s5, v28, vcc_lo
	v_add_nc_u32_e32 v47, s15, v45
	v_add_co_u32 v29, vcc_lo, s4, v29
	v_lshlrev_b64 v[35:36], 4, v[35:36]
	v_ashrrev_i32_e32 v42, 31, v41
	v_add_co_ci_u32_e64 v30, null, s5, v30, vcc_lo
	v_add_co_u32 v31, vcc_lo, s4, v31
	v_lshlrev_b64 v[37:38], 4, v[37:38]
	v_ashrrev_i32_e32 v44, 31, v43
	v_add_co_ci_u32_e64 v32, null, s5, v32, vcc_lo
	v_add_co_u32 v33, vcc_lo, s4, v33
	v_lshlrev_b64 v[39:40], 4, v[39:40]
	v_add_nc_u32_e32 v49, s15, v47
	v_ashrrev_i32_e32 v46, 31, v45
	v_add_co_ci_u32_e64 v34, null, s5, v34, vcc_lo
	v_add_co_u32 v35, vcc_lo, s4, v35
	v_lshlrev_b64 v[41:42], 4, v[41:42]
	v_ashrrev_i32_e32 v48, 31, v47
	v_add_co_ci_u32_e64 v36, null, s5, v36, vcc_lo
	v_add_co_u32 v37, vcc_lo, s4, v37
	v_lshlrev_b64 v[43:44], 4, v[43:44]
	;; [unrolled: 4-line block ×3, first 2 shown]
	v_add_co_ci_u32_e64 v40, null, s5, v40, vcc_lo
	v_add_co_u32 v41, vcc_lo, s4, v41
	v_lshlrev_b64 v[47:48], 4, v[47:48]
	v_add_co_ci_u32_e64 v42, null, s5, v42, vcc_lo
	v_add_co_u32 v43, vcc_lo, s4, v43
	v_add_nc_u32_e32 v51, s15, v49
	v_lshlrev_b64 v[49:50], 4, v[49:50]
	v_add_co_ci_u32_e64 v44, null, s5, v44, vcc_lo
	v_add_co_u32 v45, vcc_lo, s4, v45
	v_add_co_ci_u32_e64 v46, null, s5, v46, vcc_lo
	v_add_co_u32 v47, vcc_lo, s4, v47
	;; [unrolled: 2-line block ×3, first 2 shown]
	v_add_co_ci_u32_e64 v50, null, s5, v50, vcc_lo
	s_clause 0x14
	global_load_dwordx4 v[66:69], v[9:10], off
	global_load_dwordx4 v[70:73], v[11:12], off
	global_load_dwordx4 v[74:77], v[13:14], off
	global_load_dwordx4 v[78:81], v[15:16], off
	global_load_dwordx4 v[82:85], v[17:18], off
	global_load_dwordx4 v[86:89], v[19:20], off
	global_load_dwordx4 v[90:93], v[21:22], off
	global_load_dwordx4 v[94:97], v[23:24], off
	global_load_dwordx4 v[98:101], v[25:26], off
	global_load_dwordx4 v[102:105], v[27:28], off
	global_load_dwordx4 v[106:109], v[29:30], off
	global_load_dwordx4 v[110:113], v[31:32], off
	global_load_dwordx4 v[114:117], v[33:34], off
	global_load_dwordx4 v[118:121], v[35:36], off
	global_load_dwordx4 v[122:125], v[37:38], off
	global_load_dwordx4 v[126:129], v[39:40], off
	global_load_dwordx4 v[130:133], v[41:42], off
	global_load_dwordx4 v[134:137], v[43:44], off
	global_load_dwordx4 v[138:141], v[45:46], off
	global_load_dwordx4 v[142:145], v[47:48], off
	global_load_dwordx4 v[146:149], v[49:50], off
	v_add_nc_u32_e32 v53, s15, v51
	v_ashrrev_i32_e32 v52, 31, v51
	s_movk_i32 s49, 0x190
	s_movk_i32 s50, 0x1a0
	s_add_i32 s33, s8, 16
	v_add_nc_u32_e32 v55, s15, v53
	v_ashrrev_i32_e32 v54, 31, v53
	v_lshlrev_b64 v[51:52], 4, v[51:52]
	s_add_i32 s31, s9, 16
	s_add_i32 s30, s12, 16
	v_add_nc_u32_e32 v57, s15, v55
	v_ashrrev_i32_e32 v56, 31, v55
	v_lshlrev_b64 v[53:54], 4, v[53:54]
	v_add_co_u32 v51, vcc_lo, s4, v51
	v_ashrrev_i32_e32 v58, 31, v57
	v_add_co_ci_u32_e64 v52, null, s5, v52, vcc_lo
	v_lshlrev_b64 v[55:56], 4, v[55:56]
	v_add_co_u32 v53, vcc_lo, s4, v53
	v_add_co_ci_u32_e64 v54, null, s5, v54, vcc_lo
	v_lshlrev_b64 v[63:64], 4, v[57:58]
	global_load_dwordx4 v[150:153], v[51:52], off
	v_add_co_u32 v57, vcc_lo, s4, v55
	v_add_co_ci_u32_e64 v58, null, s5, v56, vcc_lo
	global_load_dwordx4 v[154:157], v[53:54], off
	v_add_co_u32 v55, vcc_lo, s4, v63
	v_add_co_ci_u32_e64 v56, null, s5, v64, vcc_lo
	s_movk_i32 s4, 0x50
	s_movk_i32 s15, 0xb0
	s_add_i32 s34, s4, 16
	s_add_i32 s29, s13, 16
	;; [unrolled: 1-line block ×19, first 2 shown]
	s_mov_b32 s5, -1
	s_mov_b32 s39, 32
	s_mov_b32 s37, 48
	;; [unrolled: 1-line block ×3, first 2 shown]
	s_movk_i32 s35, 0x50
	s_bitcmp0_b32 s40, 0
	s_waitcnt vmcnt(24)
	buffer_store_dword v4, off, s[0:3], 0 offset:28
	buffer_store_dword v3, off, s[0:3], 0 offset:24
	;; [unrolled: 1-line block ×4, first 2 shown]
	global_load_dwordx4 v[1:4], v[57:58], off
	s_waitcnt vmcnt(24)
	buffer_store_dword v62, off, s[0:3], 0 offset:44
	buffer_store_dword v61, off, s[0:3], 0 offset:40
	buffer_store_dword v60, off, s[0:3], 0 offset:36
	buffer_store_dword v59, off, s[0:3], 0 offset:32
	global_load_dwordx4 v[59:62], v[55:56], off
	s_waitcnt vmcnt(24)
	buffer_store_dword v69, off, s[0:3], 0 offset:60
	buffer_store_dword v68, off, s[0:3], 0 offset:56
	buffer_store_dword v67, off, s[0:3], 0 offset:52
	buffer_store_dword v66, off, s[0:3], 0 offset:48
	s_waitcnt vmcnt(23)
	buffer_store_dword v73, off, s[0:3], 0 offset:76
	buffer_store_dword v72, off, s[0:3], 0 offset:72
	buffer_store_dword v71, off, s[0:3], 0 offset:68
	buffer_store_dword v70, off, s[0:3], 0 offset:64
	;; [unrolled: 5-line block ×25, first 2 shown]
	s_cbranch_scc1 .LBB26_120
; %bb.4:
	v_cmp_eq_u32_e64 s4, 0, v0
	s_and_saveexec_b32 s5, s4
; %bb.5:
	v_mov_b32_e32 v1, 0
	ds_write_b32 v1, v1 offset:864
; %bb.6:
	s_or_b32 exec_lo, exec_lo, s5
	v_lshl_add_u32 v66, v0, 4, 16
	s_waitcnt lgkmcnt(0)
	s_waitcnt_vscnt null, 0x0
	s_barrier
	buffer_gl0_inv
	s_clause 0x3
	buffer_load_dword v1, v66, s[0:3], 0 offen
	buffer_load_dword v2, v66, s[0:3], 0 offen offset:4
	buffer_load_dword v3, v66, s[0:3], 0 offen offset:8
	buffer_load_dword v4, v66, s[0:3], 0 offen offset:12
	s_waitcnt vmcnt(2)
	v_cmp_eq_f64_e32 vcc_lo, 0, v[1:2]
	s_waitcnt vmcnt(0)
	v_cmp_eq_f64_e64 s5, 0, v[3:4]
	s_and_b32 s5, vcc_lo, s5
	s_and_saveexec_b32 s40, s5
	s_cbranch_execz .LBB26_10
; %bb.7:
	v_mov_b32_e32 v1, 0
	s_mov_b32 s41, 0
	ds_read_b32 v2, v1 offset:864
	s_waitcnt lgkmcnt(0)
	v_readfirstlane_b32 s5, v2
	v_add_nc_u32_e32 v2, 1, v0
	s_cmp_eq_u32 s5, 0
	v_cmp_gt_i32_e32 vcc_lo, s5, v2
	s_cselect_b32 s42, -1, 0
	s_or_b32 s42, s42, vcc_lo
	s_and_b32 exec_lo, exec_lo, s42
	s_cbranch_execz .LBB26_10
; %bb.8:
	v_mov_b32_e32 v3, s5
.LBB26_9:                               ; =>This Inner Loop Header: Depth=1
	ds_cmpst_rtn_b32 v3, v1, v3, v2 offset:864
	s_waitcnt lgkmcnt(0)
	v_cmp_ne_u32_e32 vcc_lo, 0, v3
	v_cmp_le_i32_e64 s5, v3, v2
	s_and_b32 s5, vcc_lo, s5
	s_and_b32 s5, exec_lo, s5
	s_or_b32 s41, s5, s41
	s_andn2_b32 exec_lo, exec_lo, s41
	s_cbranch_execnz .LBB26_9
.LBB26_10:
	s_or_b32 exec_lo, exec_lo, s40
	v_mov_b32_e32 v1, 0
	s_barrier
	buffer_gl0_inv
	ds_read_b32 v2, v1 offset:864
	s_and_saveexec_b32 s5, s4
	s_cbranch_execz .LBB26_12
; %bb.11:
	s_lshl_b64 s[40:41], s[6:7], 2
	s_add_u32 s40, s10, s40
	s_addc_u32 s41, s11, s41
	s_waitcnt lgkmcnt(0)
	global_store_dword v1, v2, s[40:41]
.LBB26_12:
	s_or_b32 exec_lo, exec_lo, s5
	s_waitcnt lgkmcnt(0)
	v_cmp_ne_u32_e32 vcc_lo, 0, v2
	s_mov_b32 s5, 0
	s_cbranch_vccnz .LBB26_120
; %bb.13:
	s_clause 0x3
	buffer_load_dword v61, v66, s[0:3], 0 offen
	buffer_load_dword v62, v66, s[0:3], 0 offen offset:4
	buffer_load_dword v63, v66, s[0:3], 0 offen offset:8
	;; [unrolled: 1-line block ×3, first 2 shown]
                                        ; implicit-def: $vgpr59_vgpr60
                                        ; implicit-def: $vgpr3_vgpr4
	s_waitcnt vmcnt(0)
	v_cmp_ngt_f64_e64 s5, |v[61:62]|, |v[63:64]|
	s_and_saveexec_b32 s40, s5
	s_xor_b32 s5, exec_lo, s40
	s_cbranch_execz .LBB26_15
; %bb.14:
	v_div_scale_f64 v[1:2], null, v[63:64], v[63:64], v[61:62]
	v_div_scale_f64 v[67:68], vcc_lo, v[61:62], v[63:64], v[61:62]
	v_rcp_f64_e32 v[3:4], v[1:2]
	v_fma_f64 v[59:60], -v[1:2], v[3:4], 1.0
	v_fma_f64 v[3:4], v[3:4], v[59:60], v[3:4]
	v_fma_f64 v[59:60], -v[1:2], v[3:4], 1.0
	v_fma_f64 v[3:4], v[3:4], v[59:60], v[3:4]
	v_mul_f64 v[59:60], v[67:68], v[3:4]
	v_fma_f64 v[1:2], -v[1:2], v[59:60], v[67:68]
	v_div_fmas_f64 v[1:2], v[1:2], v[3:4], v[59:60]
	v_div_fixup_f64 v[1:2], v[1:2], v[63:64], v[61:62]
	v_fma_f64 v[3:4], v[61:62], v[1:2], v[63:64]
	v_div_scale_f64 v[59:60], null, v[3:4], v[3:4], 1.0
	v_div_scale_f64 v[67:68], vcc_lo, 1.0, v[3:4], 1.0
	v_rcp_f64_e32 v[61:62], v[59:60]
	v_fma_f64 v[63:64], -v[59:60], v[61:62], 1.0
	v_fma_f64 v[61:62], v[61:62], v[63:64], v[61:62]
	v_fma_f64 v[63:64], -v[59:60], v[61:62], 1.0
	v_fma_f64 v[61:62], v[61:62], v[63:64], v[61:62]
	v_mul_f64 v[63:64], v[67:68], v[61:62]
	v_fma_f64 v[59:60], -v[59:60], v[63:64], v[67:68]
	v_div_fmas_f64 v[59:60], v[59:60], v[61:62], v[63:64]
                                        ; implicit-def: $vgpr61_vgpr62
                                        ; implicit-def: $vgpr63_vgpr64
	v_div_fixup_f64 v[3:4], v[59:60], v[3:4], 1.0
	v_mul_f64 v[59:60], v[1:2], v[3:4]
	v_xor_b32_e32 v4, 0x80000000, v4
	v_xor_b32_e32 v2, 0x80000000, v60
	v_mov_b32_e32 v1, v59
.LBB26_15:
	s_andn2_saveexec_b32 s5, s5
	s_cbranch_execz .LBB26_17
; %bb.16:
	v_div_scale_f64 v[1:2], null, v[61:62], v[61:62], v[63:64]
	v_div_scale_f64 v[67:68], vcc_lo, v[63:64], v[61:62], v[63:64]
	v_rcp_f64_e32 v[3:4], v[1:2]
	v_fma_f64 v[59:60], -v[1:2], v[3:4], 1.0
	v_fma_f64 v[3:4], v[3:4], v[59:60], v[3:4]
	v_fma_f64 v[59:60], -v[1:2], v[3:4], 1.0
	v_fma_f64 v[3:4], v[3:4], v[59:60], v[3:4]
	v_mul_f64 v[59:60], v[67:68], v[3:4]
	v_fma_f64 v[1:2], -v[1:2], v[59:60], v[67:68]
	v_div_fmas_f64 v[1:2], v[1:2], v[3:4], v[59:60]
	v_div_fixup_f64 v[1:2], v[1:2], v[61:62], v[63:64]
	v_fma_f64 v[3:4], v[63:64], v[1:2], v[61:62]
	v_div_scale_f64 v[59:60], null, v[3:4], v[3:4], 1.0
	v_rcp_f64_e32 v[61:62], v[59:60]
	v_fma_f64 v[63:64], -v[59:60], v[61:62], 1.0
	v_fma_f64 v[61:62], v[61:62], v[63:64], v[61:62]
	v_fma_f64 v[63:64], -v[59:60], v[61:62], 1.0
	v_fma_f64 v[61:62], v[61:62], v[63:64], v[61:62]
	v_div_scale_f64 v[63:64], vcc_lo, 1.0, v[3:4], 1.0
	v_mul_f64 v[67:68], v[63:64], v[61:62]
	v_fma_f64 v[59:60], -v[59:60], v[67:68], v[63:64]
	v_div_fmas_f64 v[59:60], v[59:60], v[61:62], v[67:68]
	v_div_fixup_f64 v[59:60], v[59:60], v[3:4], 1.0
	v_mul_f64 v[3:4], v[1:2], -v[59:60]
	v_xor_b32_e32 v2, 0x80000000, v60
	v_mov_b32_e32 v1, v59
.LBB26_17:
	s_or_b32 exec_lo, exec_lo, s5
	v_mov_b32_e32 v64, s39
	buffer_store_dword v60, v66, s[0:3], 0 offen offset:4
	buffer_store_dword v59, v66, s[0:3], 0 offen
	buffer_store_dword v4, v66, s[0:3], 0 offen offset:12
	buffer_store_dword v3, v66, s[0:3], 0 offen offset:8
	v_xor_b32_e32 v4, 0x80000000, v4
	v_add_nc_u32_e32 v59, 0x1b0, v65
	s_clause 0x3
	buffer_load_dword v63, v64, s[0:3], 0 offen offset:12
	buffer_load_dword v62, v64, s[0:3], 0 offen offset:8
	;; [unrolled: 1-line block ×3, first 2 shown]
	buffer_load_dword v60, v64, s[0:3], 0 offen
	ds_write_b128 v65, v[1:4]
	s_waitcnt vmcnt(0)
	ds_write_b128 v65, v[60:63] offset:432
	s_waitcnt lgkmcnt(0)
	s_waitcnt_vscnt null, 0x0
	s_barrier
	buffer_gl0_inv
	s_and_saveexec_b32 s5, s4
	s_cbranch_execz .LBB26_19
; %bb.18:
	s_clause 0x3
	buffer_load_dword v67, v66, s[0:3], 0 offen offset:8
	buffer_load_dword v68, v66, s[0:3], 0 offen offset:12
	buffer_load_dword v69, v66, s[0:3], 0 offen
	buffer_load_dword v70, v66, s[0:3], 0 offen offset:4
	ds_read_b128 v[1:4], v59
	v_mov_b32_e32 v60, 0
	ds_read_b128 v[60:63], v60 offset:16
	s_waitcnt vmcnt(2) lgkmcnt(1)
	v_mul_f64 v[71:72], v[1:2], v[67:68]
	v_mul_f64 v[67:68], v[3:4], v[67:68]
	s_waitcnt vmcnt(0)
	v_fma_f64 v[3:4], v[3:4], v[69:70], v[71:72]
	v_fma_f64 v[1:2], v[1:2], v[69:70], -v[67:68]
	v_add_f64 v[3:4], v[3:4], 0
	v_add_f64 v[1:2], v[1:2], 0
	s_waitcnt lgkmcnt(0)
	v_mul_f64 v[67:68], v[3:4], v[62:63]
	v_mul_f64 v[62:63], v[1:2], v[62:63]
	v_fma_f64 v[1:2], v[1:2], v[60:61], -v[67:68]
	v_fma_f64 v[3:4], v[3:4], v[60:61], v[62:63]
	buffer_store_dword v1, off, s[0:3], 0 offset:32
	buffer_store_dword v2, off, s[0:3], 0 offset:36
	;; [unrolled: 1-line block ×4, first 2 shown]
.LBB26_19:
	s_or_b32 exec_lo, exec_lo, s5
	v_mov_b32_e32 v4, s37
	s_waitcnt_vscnt null, 0x0
	s_barrier
	buffer_gl0_inv
	s_mov_b32 s5, exec_lo
	s_clause 0x3
	buffer_load_dword v1, v4, s[0:3], 0 offen
	buffer_load_dword v2, v4, s[0:3], 0 offen offset:4
	buffer_load_dword v3, v4, s[0:3], 0 offen offset:8
	;; [unrolled: 1-line block ×3, first 2 shown]
	s_waitcnt vmcnt(0)
	ds_write_b128 v59, v[1:4]
	s_waitcnt lgkmcnt(0)
	s_barrier
	buffer_gl0_inv
	v_cmpx_gt_u32_e32 2, v0
	s_cbranch_execz .LBB26_23
; %bb.20:
	s_clause 0x3
	buffer_load_dword v60, v66, s[0:3], 0 offen offset:8
	buffer_load_dword v61, v66, s[0:3], 0 offen offset:12
	buffer_load_dword v62, v66, s[0:3], 0 offen
	buffer_load_dword v63, v66, s[0:3], 0 offen offset:4
	ds_read_b128 v[1:4], v59
	s_waitcnt vmcnt(2) lgkmcnt(0)
	v_mul_f64 v[66:67], v[3:4], v[60:61]
	v_mul_f64 v[60:61], v[1:2], v[60:61]
	s_waitcnt vmcnt(0)
	v_fma_f64 v[1:2], v[1:2], v[62:63], -v[66:67]
	v_fma_f64 v[3:4], v[3:4], v[62:63], v[60:61]
	v_add_f64 v[1:2], v[1:2], 0
	v_add_f64 v[3:4], v[3:4], 0
	s_and_saveexec_b32 s40, s4
	s_cbranch_execz .LBB26_22
; %bb.21:
	s_clause 0x3
	buffer_load_dword v66, off, s[0:3], 0 offset:40
	buffer_load_dword v67, off, s[0:3], 0 offset:44
	;; [unrolled: 1-line block ×4, first 2 shown]
	v_mov_b32_e32 v60, 0
	ds_read_b128 v[60:63], v60 offset:448
	s_waitcnt vmcnt(2) lgkmcnt(0)
	v_mul_f64 v[70:71], v[60:61], v[66:67]
	v_mul_f64 v[66:67], v[62:63], v[66:67]
	s_waitcnt vmcnt(0)
	v_fma_f64 v[62:63], v[62:63], v[68:69], v[70:71]
	v_fma_f64 v[60:61], v[60:61], v[68:69], -v[66:67]
	v_add_f64 v[3:4], v[3:4], v[62:63]
	v_add_f64 v[1:2], v[1:2], v[60:61]
.LBB26_22:
	s_or_b32 exec_lo, exec_lo, s40
	v_mov_b32_e32 v60, 0
	ds_read_b128 v[60:63], v60 offset:32
	s_waitcnt lgkmcnt(0)
	v_mul_f64 v[66:67], v[3:4], v[62:63]
	v_mul_f64 v[62:63], v[1:2], v[62:63]
	v_fma_f64 v[1:2], v[1:2], v[60:61], -v[66:67]
	v_fma_f64 v[3:4], v[3:4], v[60:61], v[62:63]
	buffer_store_dword v2, off, s[0:3], 0 offset:52
	buffer_store_dword v1, off, s[0:3], 0 offset:48
	;; [unrolled: 1-line block ×4, first 2 shown]
.LBB26_23:
	s_or_b32 exec_lo, exec_lo, s5
	v_mov_b32_e32 v4, s36
	s_waitcnt_vscnt null, 0x0
	s_barrier
	buffer_gl0_inv
	v_add_nc_u32_e32 v60, -1, v0
	s_clause 0x3
	buffer_load_dword v1, v4, s[0:3], 0 offen
	buffer_load_dword v2, v4, s[0:3], 0 offen offset:4
	buffer_load_dword v3, v4, s[0:3], 0 offen offset:8
	buffer_load_dword v4, v4, s[0:3], 0 offen offset:12
	s_mov_b32 s4, exec_lo
	s_waitcnt vmcnt(0)
	ds_write_b128 v59, v[1:4]
	s_waitcnt lgkmcnt(0)
	s_barrier
	buffer_gl0_inv
	v_cmpx_gt_u32_e32 3, v0
	s_cbranch_execz .LBB26_27
; %bb.24:
	v_mov_b32_e32 v1, 0
	v_mov_b32_e32 v3, 0
	v_add_nc_u32_e32 v61, -1, v0
	v_add_nc_u32_e32 v62, 0x1b0, v65
	v_mov_b32_e32 v2, 0
	v_mov_b32_e32 v4, 0
	v_add_nc_u32_e32 v63, 16, v65
	s_mov_b32 s5, 0
	.p2align	6
.LBB26_25:                              ; =>This Inner Loop Header: Depth=1
	s_clause 0x3
	buffer_load_dword v70, v63, s[0:3], 0 offen offset:8
	buffer_load_dword v71, v63, s[0:3], 0 offen offset:12
	buffer_load_dword v72, v63, s[0:3], 0 offen
	buffer_load_dword v73, v63, s[0:3], 0 offen offset:4
	ds_read_b128 v[66:69], v62
	v_add_nc_u32_e32 v61, 1, v61
	v_add_nc_u32_e32 v62, 16, v62
	;; [unrolled: 1-line block ×3, first 2 shown]
	v_cmp_lt_u32_e32 vcc_lo, 1, v61
	s_or_b32 s5, vcc_lo, s5
	s_waitcnt vmcnt(2) lgkmcnt(0)
	v_mul_f64 v[74:75], v[68:69], v[70:71]
	v_mul_f64 v[70:71], v[66:67], v[70:71]
	s_waitcnt vmcnt(0)
	v_fma_f64 v[66:67], v[66:67], v[72:73], -v[74:75]
	v_fma_f64 v[68:69], v[68:69], v[72:73], v[70:71]
	v_add_f64 v[3:4], v[3:4], v[66:67]
	v_add_f64 v[1:2], v[1:2], v[68:69]
	s_andn2_b32 exec_lo, exec_lo, s5
	s_cbranch_execnz .LBB26_25
; %bb.26:
	s_or_b32 exec_lo, exec_lo, s5
	v_mov_b32_e32 v61, 0
	ds_read_b128 v[61:64], v61 offset:48
	s_waitcnt lgkmcnt(0)
	v_mul_f64 v[66:67], v[1:2], v[63:64]
	v_mul_f64 v[63:64], v[3:4], v[63:64]
	v_fma_f64 v[3:4], v[3:4], v[61:62], -v[66:67]
	v_fma_f64 v[1:2], v[1:2], v[61:62], v[63:64]
	buffer_store_dword v4, off, s[0:3], 0 offset:68
	buffer_store_dword v3, off, s[0:3], 0 offset:64
	;; [unrolled: 1-line block ×4, first 2 shown]
.LBB26_27:
	s_or_b32 exec_lo, exec_lo, s4
	v_mov_b32_e32 v4, s35
	s_waitcnt_vscnt null, 0x0
	s_barrier
	buffer_gl0_inv
	s_mov_b32 s4, exec_lo
	s_clause 0x3
	buffer_load_dword v1, v4, s[0:3], 0 offen
	buffer_load_dword v2, v4, s[0:3], 0 offen offset:4
	buffer_load_dword v3, v4, s[0:3], 0 offen offset:8
	;; [unrolled: 1-line block ×3, first 2 shown]
	s_waitcnt vmcnt(0)
	ds_write_b128 v59, v[1:4]
	s_waitcnt lgkmcnt(0)
	s_barrier
	buffer_gl0_inv
	v_cmpx_gt_u32_e32 4, v0
	s_cbranch_execz .LBB26_31
; %bb.28:
	v_mov_b32_e32 v1, 0
	v_mov_b32_e32 v3, 0
	v_add_nc_u32_e32 v61, -1, v0
	v_add_nc_u32_e32 v62, 0x1b0, v65
	v_mov_b32_e32 v2, 0
	v_mov_b32_e32 v4, 0
	v_add_nc_u32_e32 v63, 16, v65
	s_mov_b32 s5, 0
	.p2align	6
.LBB26_29:                              ; =>This Inner Loop Header: Depth=1
	s_clause 0x3
	buffer_load_dword v70, v63, s[0:3], 0 offen offset:8
	buffer_load_dword v71, v63, s[0:3], 0 offen offset:12
	buffer_load_dword v72, v63, s[0:3], 0 offen
	buffer_load_dword v73, v63, s[0:3], 0 offen offset:4
	ds_read_b128 v[66:69], v62
	v_add_nc_u32_e32 v61, 1, v61
	v_add_nc_u32_e32 v62, 16, v62
	;; [unrolled: 1-line block ×3, first 2 shown]
	v_cmp_lt_u32_e32 vcc_lo, 2, v61
	s_or_b32 s5, vcc_lo, s5
	s_waitcnt vmcnt(2) lgkmcnt(0)
	v_mul_f64 v[74:75], v[68:69], v[70:71]
	v_mul_f64 v[70:71], v[66:67], v[70:71]
	s_waitcnt vmcnt(0)
	v_fma_f64 v[66:67], v[66:67], v[72:73], -v[74:75]
	v_fma_f64 v[68:69], v[68:69], v[72:73], v[70:71]
	v_add_f64 v[3:4], v[3:4], v[66:67]
	v_add_f64 v[1:2], v[1:2], v[68:69]
	s_andn2_b32 exec_lo, exec_lo, s5
	s_cbranch_execnz .LBB26_29
; %bb.30:
	s_or_b32 exec_lo, exec_lo, s5
	v_mov_b32_e32 v61, 0
	ds_read_b128 v[61:64], v61 offset:64
	s_waitcnt lgkmcnt(0)
	v_mul_f64 v[66:67], v[1:2], v[63:64]
	v_mul_f64 v[63:64], v[3:4], v[63:64]
	v_fma_f64 v[3:4], v[3:4], v[61:62], -v[66:67]
	v_fma_f64 v[1:2], v[1:2], v[61:62], v[63:64]
	buffer_store_dword v4, off, s[0:3], 0 offset:84
	buffer_store_dword v3, off, s[0:3], 0 offset:80
	;; [unrolled: 1-line block ×4, first 2 shown]
.LBB26_31:
	s_or_b32 exec_lo, exec_lo, s4
	v_mov_b32_e32 v4, s34
	s_waitcnt_vscnt null, 0x0
	s_barrier
	buffer_gl0_inv
	s_mov_b32 s4, exec_lo
	s_clause 0x3
	buffer_load_dword v1, v4, s[0:3], 0 offen
	buffer_load_dword v2, v4, s[0:3], 0 offen offset:4
	buffer_load_dword v3, v4, s[0:3], 0 offen offset:8
	;; [unrolled: 1-line block ×3, first 2 shown]
	s_waitcnt vmcnt(0)
	ds_write_b128 v59, v[1:4]
	s_waitcnt lgkmcnt(0)
	s_barrier
	buffer_gl0_inv
	v_cmpx_gt_u32_e32 5, v0
	s_cbranch_execz .LBB26_35
; %bb.32:
	v_mov_b32_e32 v1, 0
	v_mov_b32_e32 v3, 0
	v_add_nc_u32_e32 v61, -1, v0
	v_add_nc_u32_e32 v62, 0x1b0, v65
	v_mov_b32_e32 v2, 0
	v_mov_b32_e32 v4, 0
	v_add_nc_u32_e32 v63, 16, v65
	s_mov_b32 s5, 0
	.p2align	6
.LBB26_33:                              ; =>This Inner Loop Header: Depth=1
	s_clause 0x3
	buffer_load_dword v70, v63, s[0:3], 0 offen offset:8
	buffer_load_dword v71, v63, s[0:3], 0 offen offset:12
	buffer_load_dword v72, v63, s[0:3], 0 offen
	buffer_load_dword v73, v63, s[0:3], 0 offen offset:4
	ds_read_b128 v[66:69], v62
	v_add_nc_u32_e32 v61, 1, v61
	v_add_nc_u32_e32 v62, 16, v62
	;; [unrolled: 1-line block ×3, first 2 shown]
	v_cmp_lt_u32_e32 vcc_lo, 3, v61
	s_or_b32 s5, vcc_lo, s5
	s_waitcnt vmcnt(2) lgkmcnt(0)
	v_mul_f64 v[74:75], v[68:69], v[70:71]
	v_mul_f64 v[70:71], v[66:67], v[70:71]
	s_waitcnt vmcnt(0)
	v_fma_f64 v[66:67], v[66:67], v[72:73], -v[74:75]
	v_fma_f64 v[68:69], v[68:69], v[72:73], v[70:71]
	v_add_f64 v[3:4], v[3:4], v[66:67]
	v_add_f64 v[1:2], v[1:2], v[68:69]
	s_andn2_b32 exec_lo, exec_lo, s5
	s_cbranch_execnz .LBB26_33
; %bb.34:
	s_or_b32 exec_lo, exec_lo, s5
	v_mov_b32_e32 v61, 0
	ds_read_b128 v[61:64], v61 offset:80
	s_waitcnt lgkmcnt(0)
	v_mul_f64 v[66:67], v[1:2], v[63:64]
	v_mul_f64 v[63:64], v[3:4], v[63:64]
	v_fma_f64 v[3:4], v[3:4], v[61:62], -v[66:67]
	v_fma_f64 v[1:2], v[1:2], v[61:62], v[63:64]
	buffer_store_dword v4, off, s[0:3], 0 offset:100
	buffer_store_dword v3, off, s[0:3], 0 offset:96
	buffer_store_dword v2, off, s[0:3], 0 offset:108
	buffer_store_dword v1, off, s[0:3], 0 offset:104
.LBB26_35:
	s_or_b32 exec_lo, exec_lo, s4
	v_mov_b32_e32 v4, s33
	s_waitcnt_vscnt null, 0x0
	s_barrier
	buffer_gl0_inv
	s_mov_b32 s4, exec_lo
	s_clause 0x3
	buffer_load_dword v1, v4, s[0:3], 0 offen
	buffer_load_dword v2, v4, s[0:3], 0 offen offset:4
	buffer_load_dword v3, v4, s[0:3], 0 offen offset:8
	;; [unrolled: 1-line block ×3, first 2 shown]
	s_waitcnt vmcnt(0)
	ds_write_b128 v59, v[1:4]
	s_waitcnt lgkmcnt(0)
	s_barrier
	buffer_gl0_inv
	v_cmpx_gt_u32_e32 6, v0
	s_cbranch_execz .LBB26_39
; %bb.36:
	v_mov_b32_e32 v1, 0
	v_mov_b32_e32 v3, 0
	v_add_nc_u32_e32 v61, -1, v0
	v_add_nc_u32_e32 v62, 0x1b0, v65
	v_mov_b32_e32 v2, 0
	v_mov_b32_e32 v4, 0
	v_add_nc_u32_e32 v63, 16, v65
	s_mov_b32 s5, 0
	.p2align	6
.LBB26_37:                              ; =>This Inner Loop Header: Depth=1
	s_clause 0x3
	buffer_load_dword v70, v63, s[0:3], 0 offen offset:8
	buffer_load_dword v71, v63, s[0:3], 0 offen offset:12
	buffer_load_dword v72, v63, s[0:3], 0 offen
	buffer_load_dword v73, v63, s[0:3], 0 offen offset:4
	ds_read_b128 v[66:69], v62
	v_add_nc_u32_e32 v61, 1, v61
	v_add_nc_u32_e32 v62, 16, v62
	;; [unrolled: 1-line block ×3, first 2 shown]
	v_cmp_lt_u32_e32 vcc_lo, 4, v61
	s_or_b32 s5, vcc_lo, s5
	s_waitcnt vmcnt(2) lgkmcnt(0)
	v_mul_f64 v[74:75], v[68:69], v[70:71]
	v_mul_f64 v[70:71], v[66:67], v[70:71]
	s_waitcnt vmcnt(0)
	v_fma_f64 v[66:67], v[66:67], v[72:73], -v[74:75]
	v_fma_f64 v[68:69], v[68:69], v[72:73], v[70:71]
	v_add_f64 v[3:4], v[3:4], v[66:67]
	v_add_f64 v[1:2], v[1:2], v[68:69]
	s_andn2_b32 exec_lo, exec_lo, s5
	s_cbranch_execnz .LBB26_37
; %bb.38:
	s_or_b32 exec_lo, exec_lo, s5
	v_mov_b32_e32 v61, 0
	ds_read_b128 v[61:64], v61 offset:96
	s_waitcnt lgkmcnt(0)
	v_mul_f64 v[66:67], v[1:2], v[63:64]
	v_mul_f64 v[63:64], v[3:4], v[63:64]
	v_fma_f64 v[3:4], v[3:4], v[61:62], -v[66:67]
	v_fma_f64 v[1:2], v[1:2], v[61:62], v[63:64]
	buffer_store_dword v4, off, s[0:3], 0 offset:116
	buffer_store_dword v3, off, s[0:3], 0 offset:112
	;; [unrolled: 1-line block ×4, first 2 shown]
.LBB26_39:
	s_or_b32 exec_lo, exec_lo, s4
	v_mov_b32_e32 v4, s31
	s_waitcnt_vscnt null, 0x0
	s_barrier
	buffer_gl0_inv
	s_mov_b32 s4, exec_lo
	s_clause 0x3
	buffer_load_dword v1, v4, s[0:3], 0 offen
	buffer_load_dword v2, v4, s[0:3], 0 offen offset:4
	buffer_load_dword v3, v4, s[0:3], 0 offen offset:8
	;; [unrolled: 1-line block ×3, first 2 shown]
	s_waitcnt vmcnt(0)
	ds_write_b128 v59, v[1:4]
	s_waitcnt lgkmcnt(0)
	s_barrier
	buffer_gl0_inv
	v_cmpx_gt_u32_e32 7, v0
	s_cbranch_execz .LBB26_43
; %bb.40:
	v_mov_b32_e32 v1, 0
	v_mov_b32_e32 v3, 0
	v_add_nc_u32_e32 v61, -1, v0
	v_add_nc_u32_e32 v62, 0x1b0, v65
	v_mov_b32_e32 v2, 0
	v_mov_b32_e32 v4, 0
	v_add_nc_u32_e32 v63, 16, v65
	s_mov_b32 s5, 0
	.p2align	6
.LBB26_41:                              ; =>This Inner Loop Header: Depth=1
	s_clause 0x3
	buffer_load_dword v70, v63, s[0:3], 0 offen offset:8
	buffer_load_dword v71, v63, s[0:3], 0 offen offset:12
	buffer_load_dword v72, v63, s[0:3], 0 offen
	buffer_load_dword v73, v63, s[0:3], 0 offen offset:4
	ds_read_b128 v[66:69], v62
	v_add_nc_u32_e32 v61, 1, v61
	v_add_nc_u32_e32 v62, 16, v62
	;; [unrolled: 1-line block ×3, first 2 shown]
	v_cmp_lt_u32_e32 vcc_lo, 5, v61
	s_or_b32 s5, vcc_lo, s5
	s_waitcnt vmcnt(2) lgkmcnt(0)
	v_mul_f64 v[74:75], v[68:69], v[70:71]
	v_mul_f64 v[70:71], v[66:67], v[70:71]
	s_waitcnt vmcnt(0)
	v_fma_f64 v[66:67], v[66:67], v[72:73], -v[74:75]
	v_fma_f64 v[68:69], v[68:69], v[72:73], v[70:71]
	v_add_f64 v[3:4], v[3:4], v[66:67]
	v_add_f64 v[1:2], v[1:2], v[68:69]
	s_andn2_b32 exec_lo, exec_lo, s5
	s_cbranch_execnz .LBB26_41
; %bb.42:
	s_or_b32 exec_lo, exec_lo, s5
	v_mov_b32_e32 v61, 0
	ds_read_b128 v[61:64], v61 offset:112
	s_waitcnt lgkmcnt(0)
	v_mul_f64 v[66:67], v[1:2], v[63:64]
	v_mul_f64 v[63:64], v[3:4], v[63:64]
	v_fma_f64 v[3:4], v[3:4], v[61:62], -v[66:67]
	v_fma_f64 v[1:2], v[1:2], v[61:62], v[63:64]
	buffer_store_dword v4, off, s[0:3], 0 offset:132
	buffer_store_dword v3, off, s[0:3], 0 offset:128
	;; [unrolled: 1-line block ×4, first 2 shown]
.LBB26_43:
	s_or_b32 exec_lo, exec_lo, s4
	v_mov_b32_e32 v4, s30
	s_waitcnt_vscnt null, 0x0
	s_barrier
	buffer_gl0_inv
	s_mov_b32 s4, exec_lo
	s_clause 0x3
	buffer_load_dword v1, v4, s[0:3], 0 offen
	buffer_load_dword v2, v4, s[0:3], 0 offen offset:4
	buffer_load_dword v3, v4, s[0:3], 0 offen offset:8
	;; [unrolled: 1-line block ×3, first 2 shown]
	s_waitcnt vmcnt(0)
	ds_write_b128 v59, v[1:4]
	s_waitcnt lgkmcnt(0)
	s_barrier
	buffer_gl0_inv
	v_cmpx_gt_u32_e32 8, v0
	s_cbranch_execz .LBB26_47
; %bb.44:
	v_mov_b32_e32 v1, 0
	v_mov_b32_e32 v3, 0
	v_add_nc_u32_e32 v61, -1, v0
	v_add_nc_u32_e32 v62, 0x1b0, v65
	v_mov_b32_e32 v2, 0
	v_mov_b32_e32 v4, 0
	v_add_nc_u32_e32 v63, 16, v65
	s_mov_b32 s5, 0
	.p2align	6
.LBB26_45:                              ; =>This Inner Loop Header: Depth=1
	s_clause 0x3
	buffer_load_dword v70, v63, s[0:3], 0 offen offset:8
	buffer_load_dword v71, v63, s[0:3], 0 offen offset:12
	buffer_load_dword v72, v63, s[0:3], 0 offen
	buffer_load_dword v73, v63, s[0:3], 0 offen offset:4
	ds_read_b128 v[66:69], v62
	v_add_nc_u32_e32 v61, 1, v61
	v_add_nc_u32_e32 v62, 16, v62
	;; [unrolled: 1-line block ×3, first 2 shown]
	v_cmp_lt_u32_e32 vcc_lo, 6, v61
	s_or_b32 s5, vcc_lo, s5
	s_waitcnt vmcnt(2) lgkmcnt(0)
	v_mul_f64 v[74:75], v[68:69], v[70:71]
	v_mul_f64 v[70:71], v[66:67], v[70:71]
	s_waitcnt vmcnt(0)
	v_fma_f64 v[66:67], v[66:67], v[72:73], -v[74:75]
	v_fma_f64 v[68:69], v[68:69], v[72:73], v[70:71]
	v_add_f64 v[3:4], v[3:4], v[66:67]
	v_add_f64 v[1:2], v[1:2], v[68:69]
	s_andn2_b32 exec_lo, exec_lo, s5
	s_cbranch_execnz .LBB26_45
; %bb.46:
	s_or_b32 exec_lo, exec_lo, s5
	v_mov_b32_e32 v61, 0
	ds_read_b128 v[61:64], v61 offset:128
	s_waitcnt lgkmcnt(0)
	v_mul_f64 v[66:67], v[1:2], v[63:64]
	v_mul_f64 v[63:64], v[3:4], v[63:64]
	v_fma_f64 v[3:4], v[3:4], v[61:62], -v[66:67]
	v_fma_f64 v[1:2], v[1:2], v[61:62], v[63:64]
	buffer_store_dword v4, off, s[0:3], 0 offset:148
	buffer_store_dword v3, off, s[0:3], 0 offset:144
	;; [unrolled: 1-line block ×4, first 2 shown]
.LBB26_47:
	s_or_b32 exec_lo, exec_lo, s4
	v_mov_b32_e32 v4, s29
	s_waitcnt_vscnt null, 0x0
	s_barrier
	buffer_gl0_inv
	s_mov_b32 s4, exec_lo
	s_clause 0x3
	buffer_load_dword v1, v4, s[0:3], 0 offen
	buffer_load_dword v2, v4, s[0:3], 0 offen offset:4
	buffer_load_dword v3, v4, s[0:3], 0 offen offset:8
	;; [unrolled: 1-line block ×3, first 2 shown]
	s_waitcnt vmcnt(0)
	ds_write_b128 v59, v[1:4]
	s_waitcnt lgkmcnt(0)
	s_barrier
	buffer_gl0_inv
	v_cmpx_gt_u32_e32 9, v0
	s_cbranch_execz .LBB26_51
; %bb.48:
	v_mov_b32_e32 v1, 0
	v_mov_b32_e32 v3, 0
	v_add_nc_u32_e32 v61, -1, v0
	v_add_nc_u32_e32 v62, 0x1b0, v65
	v_mov_b32_e32 v2, 0
	v_mov_b32_e32 v4, 0
	v_add_nc_u32_e32 v63, 16, v65
	s_mov_b32 s5, 0
	.p2align	6
.LBB26_49:                              ; =>This Inner Loop Header: Depth=1
	s_clause 0x3
	buffer_load_dword v70, v63, s[0:3], 0 offen offset:8
	buffer_load_dword v71, v63, s[0:3], 0 offen offset:12
	buffer_load_dword v72, v63, s[0:3], 0 offen
	buffer_load_dword v73, v63, s[0:3], 0 offen offset:4
	ds_read_b128 v[66:69], v62
	v_add_nc_u32_e32 v61, 1, v61
	v_add_nc_u32_e32 v62, 16, v62
	;; [unrolled: 1-line block ×3, first 2 shown]
	v_cmp_lt_u32_e32 vcc_lo, 7, v61
	s_or_b32 s5, vcc_lo, s5
	s_waitcnt vmcnt(2) lgkmcnt(0)
	v_mul_f64 v[74:75], v[68:69], v[70:71]
	v_mul_f64 v[70:71], v[66:67], v[70:71]
	s_waitcnt vmcnt(0)
	v_fma_f64 v[66:67], v[66:67], v[72:73], -v[74:75]
	v_fma_f64 v[68:69], v[68:69], v[72:73], v[70:71]
	v_add_f64 v[3:4], v[3:4], v[66:67]
	v_add_f64 v[1:2], v[1:2], v[68:69]
	s_andn2_b32 exec_lo, exec_lo, s5
	s_cbranch_execnz .LBB26_49
; %bb.50:
	s_or_b32 exec_lo, exec_lo, s5
	v_mov_b32_e32 v61, 0
	ds_read_b128 v[61:64], v61 offset:144
	s_waitcnt lgkmcnt(0)
	v_mul_f64 v[66:67], v[1:2], v[63:64]
	v_mul_f64 v[63:64], v[3:4], v[63:64]
	v_fma_f64 v[3:4], v[3:4], v[61:62], -v[66:67]
	v_fma_f64 v[1:2], v[1:2], v[61:62], v[63:64]
	buffer_store_dword v4, off, s[0:3], 0 offset:164
	buffer_store_dword v3, off, s[0:3], 0 offset:160
	;; [unrolled: 1-line block ×4, first 2 shown]
.LBB26_51:
	s_or_b32 exec_lo, exec_lo, s4
	v_mov_b32_e32 v4, s28
	s_waitcnt_vscnt null, 0x0
	s_barrier
	buffer_gl0_inv
	s_mov_b32 s4, exec_lo
	s_clause 0x3
	buffer_load_dword v1, v4, s[0:3], 0 offen
	buffer_load_dword v2, v4, s[0:3], 0 offen offset:4
	buffer_load_dword v3, v4, s[0:3], 0 offen offset:8
	;; [unrolled: 1-line block ×3, first 2 shown]
	s_waitcnt vmcnt(0)
	ds_write_b128 v59, v[1:4]
	s_waitcnt lgkmcnt(0)
	s_barrier
	buffer_gl0_inv
	v_cmpx_gt_u32_e32 10, v0
	s_cbranch_execz .LBB26_55
; %bb.52:
	v_mov_b32_e32 v1, 0
	v_mov_b32_e32 v3, 0
	v_add_nc_u32_e32 v61, -1, v0
	v_add_nc_u32_e32 v62, 0x1b0, v65
	v_mov_b32_e32 v2, 0
	v_mov_b32_e32 v4, 0
	v_add_nc_u32_e32 v63, 16, v65
	s_mov_b32 s5, 0
	.p2align	6
.LBB26_53:                              ; =>This Inner Loop Header: Depth=1
	s_clause 0x3
	buffer_load_dword v70, v63, s[0:3], 0 offen offset:8
	buffer_load_dword v71, v63, s[0:3], 0 offen offset:12
	buffer_load_dword v72, v63, s[0:3], 0 offen
	buffer_load_dword v73, v63, s[0:3], 0 offen offset:4
	ds_read_b128 v[66:69], v62
	v_add_nc_u32_e32 v61, 1, v61
	v_add_nc_u32_e32 v62, 16, v62
	;; [unrolled: 1-line block ×3, first 2 shown]
	v_cmp_lt_u32_e32 vcc_lo, 8, v61
	s_or_b32 s5, vcc_lo, s5
	s_waitcnt vmcnt(2) lgkmcnt(0)
	v_mul_f64 v[74:75], v[68:69], v[70:71]
	v_mul_f64 v[70:71], v[66:67], v[70:71]
	s_waitcnt vmcnt(0)
	v_fma_f64 v[66:67], v[66:67], v[72:73], -v[74:75]
	v_fma_f64 v[68:69], v[68:69], v[72:73], v[70:71]
	v_add_f64 v[3:4], v[3:4], v[66:67]
	v_add_f64 v[1:2], v[1:2], v[68:69]
	s_andn2_b32 exec_lo, exec_lo, s5
	s_cbranch_execnz .LBB26_53
; %bb.54:
	s_or_b32 exec_lo, exec_lo, s5
	v_mov_b32_e32 v61, 0
	ds_read_b128 v[61:64], v61 offset:160
	s_waitcnt lgkmcnt(0)
	v_mul_f64 v[66:67], v[1:2], v[63:64]
	v_mul_f64 v[63:64], v[3:4], v[63:64]
	v_fma_f64 v[3:4], v[3:4], v[61:62], -v[66:67]
	v_fma_f64 v[1:2], v[1:2], v[61:62], v[63:64]
	buffer_store_dword v4, off, s[0:3], 0 offset:180
	buffer_store_dword v3, off, s[0:3], 0 offset:176
	;; [unrolled: 1-line block ×4, first 2 shown]
.LBB26_55:
	s_or_b32 exec_lo, exec_lo, s4
	v_mov_b32_e32 v4, s27
	s_waitcnt_vscnt null, 0x0
	s_barrier
	buffer_gl0_inv
	s_mov_b32 s4, exec_lo
	s_clause 0x3
	buffer_load_dword v1, v4, s[0:3], 0 offen
	buffer_load_dword v2, v4, s[0:3], 0 offen offset:4
	buffer_load_dword v3, v4, s[0:3], 0 offen offset:8
	;; [unrolled: 1-line block ×3, first 2 shown]
	s_waitcnt vmcnt(0)
	ds_write_b128 v59, v[1:4]
	s_waitcnt lgkmcnt(0)
	s_barrier
	buffer_gl0_inv
	v_cmpx_gt_u32_e32 11, v0
	s_cbranch_execz .LBB26_59
; %bb.56:
	v_mov_b32_e32 v1, 0
	v_mov_b32_e32 v3, 0
	v_add_nc_u32_e32 v61, -1, v0
	v_add_nc_u32_e32 v62, 0x1b0, v65
	v_mov_b32_e32 v2, 0
	v_mov_b32_e32 v4, 0
	v_add_nc_u32_e32 v63, 16, v65
	s_mov_b32 s5, 0
	.p2align	6
.LBB26_57:                              ; =>This Inner Loop Header: Depth=1
	s_clause 0x3
	buffer_load_dword v70, v63, s[0:3], 0 offen offset:8
	buffer_load_dword v71, v63, s[0:3], 0 offen offset:12
	buffer_load_dword v72, v63, s[0:3], 0 offen
	buffer_load_dword v73, v63, s[0:3], 0 offen offset:4
	ds_read_b128 v[66:69], v62
	v_add_nc_u32_e32 v61, 1, v61
	v_add_nc_u32_e32 v62, 16, v62
	;; [unrolled: 1-line block ×3, first 2 shown]
	v_cmp_lt_u32_e32 vcc_lo, 9, v61
	s_or_b32 s5, vcc_lo, s5
	s_waitcnt vmcnt(2) lgkmcnt(0)
	v_mul_f64 v[74:75], v[68:69], v[70:71]
	v_mul_f64 v[70:71], v[66:67], v[70:71]
	s_waitcnt vmcnt(0)
	v_fma_f64 v[66:67], v[66:67], v[72:73], -v[74:75]
	v_fma_f64 v[68:69], v[68:69], v[72:73], v[70:71]
	v_add_f64 v[3:4], v[3:4], v[66:67]
	v_add_f64 v[1:2], v[1:2], v[68:69]
	s_andn2_b32 exec_lo, exec_lo, s5
	s_cbranch_execnz .LBB26_57
; %bb.58:
	s_or_b32 exec_lo, exec_lo, s5
	v_mov_b32_e32 v61, 0
	ds_read_b128 v[61:64], v61 offset:176
	s_waitcnt lgkmcnt(0)
	v_mul_f64 v[66:67], v[1:2], v[63:64]
	v_mul_f64 v[63:64], v[3:4], v[63:64]
	v_fma_f64 v[3:4], v[3:4], v[61:62], -v[66:67]
	v_fma_f64 v[1:2], v[1:2], v[61:62], v[63:64]
	buffer_store_dword v4, off, s[0:3], 0 offset:196
	buffer_store_dword v3, off, s[0:3], 0 offset:192
	;; [unrolled: 1-line block ×4, first 2 shown]
.LBB26_59:
	s_or_b32 exec_lo, exec_lo, s4
	v_mov_b32_e32 v4, s26
	s_waitcnt_vscnt null, 0x0
	s_barrier
	buffer_gl0_inv
	s_mov_b32 s4, exec_lo
	s_clause 0x3
	buffer_load_dword v1, v4, s[0:3], 0 offen
	buffer_load_dword v2, v4, s[0:3], 0 offen offset:4
	buffer_load_dword v3, v4, s[0:3], 0 offen offset:8
	;; [unrolled: 1-line block ×3, first 2 shown]
	s_waitcnt vmcnt(0)
	ds_write_b128 v59, v[1:4]
	s_waitcnt lgkmcnt(0)
	s_barrier
	buffer_gl0_inv
	v_cmpx_gt_u32_e32 12, v0
	s_cbranch_execz .LBB26_63
; %bb.60:
	v_mov_b32_e32 v1, 0
	v_mov_b32_e32 v3, 0
	v_add_nc_u32_e32 v61, -1, v0
	v_add_nc_u32_e32 v62, 0x1b0, v65
	v_mov_b32_e32 v2, 0
	v_mov_b32_e32 v4, 0
	v_add_nc_u32_e32 v63, 16, v65
	s_mov_b32 s5, 0
	.p2align	6
.LBB26_61:                              ; =>This Inner Loop Header: Depth=1
	s_clause 0x3
	buffer_load_dword v70, v63, s[0:3], 0 offen offset:8
	buffer_load_dword v71, v63, s[0:3], 0 offen offset:12
	buffer_load_dword v72, v63, s[0:3], 0 offen
	buffer_load_dword v73, v63, s[0:3], 0 offen offset:4
	ds_read_b128 v[66:69], v62
	v_add_nc_u32_e32 v61, 1, v61
	v_add_nc_u32_e32 v62, 16, v62
	;; [unrolled: 1-line block ×3, first 2 shown]
	v_cmp_lt_u32_e32 vcc_lo, 10, v61
	s_or_b32 s5, vcc_lo, s5
	s_waitcnt vmcnt(2) lgkmcnt(0)
	v_mul_f64 v[74:75], v[68:69], v[70:71]
	v_mul_f64 v[70:71], v[66:67], v[70:71]
	s_waitcnt vmcnt(0)
	v_fma_f64 v[66:67], v[66:67], v[72:73], -v[74:75]
	v_fma_f64 v[68:69], v[68:69], v[72:73], v[70:71]
	v_add_f64 v[3:4], v[3:4], v[66:67]
	v_add_f64 v[1:2], v[1:2], v[68:69]
	s_andn2_b32 exec_lo, exec_lo, s5
	s_cbranch_execnz .LBB26_61
; %bb.62:
	s_or_b32 exec_lo, exec_lo, s5
	v_mov_b32_e32 v61, 0
	ds_read_b128 v[61:64], v61 offset:192
	s_waitcnt lgkmcnt(0)
	v_mul_f64 v[66:67], v[1:2], v[63:64]
	v_mul_f64 v[63:64], v[3:4], v[63:64]
	v_fma_f64 v[3:4], v[3:4], v[61:62], -v[66:67]
	v_fma_f64 v[1:2], v[1:2], v[61:62], v[63:64]
	buffer_store_dword v4, off, s[0:3], 0 offset:212
	buffer_store_dword v3, off, s[0:3], 0 offset:208
	;; [unrolled: 1-line block ×4, first 2 shown]
.LBB26_63:
	s_or_b32 exec_lo, exec_lo, s4
	v_mov_b32_e32 v4, s25
	s_waitcnt_vscnt null, 0x0
	s_barrier
	buffer_gl0_inv
	s_mov_b32 s4, exec_lo
	s_clause 0x3
	buffer_load_dword v1, v4, s[0:3], 0 offen
	buffer_load_dword v2, v4, s[0:3], 0 offen offset:4
	buffer_load_dword v3, v4, s[0:3], 0 offen offset:8
	buffer_load_dword v4, v4, s[0:3], 0 offen offset:12
	s_waitcnt vmcnt(0)
	ds_write_b128 v59, v[1:4]
	s_waitcnt lgkmcnt(0)
	s_barrier
	buffer_gl0_inv
	v_cmpx_gt_u32_e32 13, v0
	s_cbranch_execz .LBB26_67
; %bb.64:
	v_mov_b32_e32 v1, 0
	v_mov_b32_e32 v3, 0
	v_add_nc_u32_e32 v61, -1, v0
	v_add_nc_u32_e32 v62, 0x1b0, v65
	v_mov_b32_e32 v2, 0
	v_mov_b32_e32 v4, 0
	v_add_nc_u32_e32 v63, 16, v65
	s_mov_b32 s5, 0
	.p2align	6
.LBB26_65:                              ; =>This Inner Loop Header: Depth=1
	s_clause 0x3
	buffer_load_dword v70, v63, s[0:3], 0 offen offset:8
	buffer_load_dword v71, v63, s[0:3], 0 offen offset:12
	buffer_load_dword v72, v63, s[0:3], 0 offen
	buffer_load_dword v73, v63, s[0:3], 0 offen offset:4
	ds_read_b128 v[66:69], v62
	v_add_nc_u32_e32 v61, 1, v61
	v_add_nc_u32_e32 v62, 16, v62
	;; [unrolled: 1-line block ×3, first 2 shown]
	v_cmp_lt_u32_e32 vcc_lo, 11, v61
	s_or_b32 s5, vcc_lo, s5
	s_waitcnt vmcnt(2) lgkmcnt(0)
	v_mul_f64 v[74:75], v[68:69], v[70:71]
	v_mul_f64 v[70:71], v[66:67], v[70:71]
	s_waitcnt vmcnt(0)
	v_fma_f64 v[66:67], v[66:67], v[72:73], -v[74:75]
	v_fma_f64 v[68:69], v[68:69], v[72:73], v[70:71]
	v_add_f64 v[3:4], v[3:4], v[66:67]
	v_add_f64 v[1:2], v[1:2], v[68:69]
	s_andn2_b32 exec_lo, exec_lo, s5
	s_cbranch_execnz .LBB26_65
; %bb.66:
	s_or_b32 exec_lo, exec_lo, s5
	v_mov_b32_e32 v61, 0
	ds_read_b128 v[61:64], v61 offset:208
	s_waitcnt lgkmcnt(0)
	v_mul_f64 v[66:67], v[1:2], v[63:64]
	v_mul_f64 v[63:64], v[3:4], v[63:64]
	v_fma_f64 v[3:4], v[3:4], v[61:62], -v[66:67]
	v_fma_f64 v[1:2], v[1:2], v[61:62], v[63:64]
	buffer_store_dword v4, off, s[0:3], 0 offset:228
	buffer_store_dword v3, off, s[0:3], 0 offset:224
	buffer_store_dword v2, off, s[0:3], 0 offset:236
	buffer_store_dword v1, off, s[0:3], 0 offset:232
.LBB26_67:
	s_or_b32 exec_lo, exec_lo, s4
	v_mov_b32_e32 v4, s24
	s_waitcnt_vscnt null, 0x0
	s_barrier
	buffer_gl0_inv
	s_mov_b32 s4, exec_lo
	s_clause 0x3
	buffer_load_dword v1, v4, s[0:3], 0 offen
	buffer_load_dword v2, v4, s[0:3], 0 offen offset:4
	buffer_load_dword v3, v4, s[0:3], 0 offen offset:8
	;; [unrolled: 1-line block ×3, first 2 shown]
	s_waitcnt vmcnt(0)
	ds_write_b128 v59, v[1:4]
	s_waitcnt lgkmcnt(0)
	s_barrier
	buffer_gl0_inv
	v_cmpx_gt_u32_e32 14, v0
	s_cbranch_execz .LBB26_71
; %bb.68:
	v_mov_b32_e32 v1, 0
	v_mov_b32_e32 v3, 0
	v_add_nc_u32_e32 v61, -1, v0
	v_add_nc_u32_e32 v62, 0x1b0, v65
	v_mov_b32_e32 v2, 0
	v_mov_b32_e32 v4, 0
	v_add_nc_u32_e32 v63, 16, v65
	s_mov_b32 s5, 0
	.p2align	6
.LBB26_69:                              ; =>This Inner Loop Header: Depth=1
	s_clause 0x3
	buffer_load_dword v70, v63, s[0:3], 0 offen offset:8
	buffer_load_dword v71, v63, s[0:3], 0 offen offset:12
	buffer_load_dword v72, v63, s[0:3], 0 offen
	buffer_load_dword v73, v63, s[0:3], 0 offen offset:4
	ds_read_b128 v[66:69], v62
	v_add_nc_u32_e32 v61, 1, v61
	v_add_nc_u32_e32 v62, 16, v62
	;; [unrolled: 1-line block ×3, first 2 shown]
	v_cmp_lt_u32_e32 vcc_lo, 12, v61
	s_or_b32 s5, vcc_lo, s5
	s_waitcnt vmcnt(2) lgkmcnt(0)
	v_mul_f64 v[74:75], v[68:69], v[70:71]
	v_mul_f64 v[70:71], v[66:67], v[70:71]
	s_waitcnt vmcnt(0)
	v_fma_f64 v[66:67], v[66:67], v[72:73], -v[74:75]
	v_fma_f64 v[68:69], v[68:69], v[72:73], v[70:71]
	v_add_f64 v[3:4], v[3:4], v[66:67]
	v_add_f64 v[1:2], v[1:2], v[68:69]
	s_andn2_b32 exec_lo, exec_lo, s5
	s_cbranch_execnz .LBB26_69
; %bb.70:
	s_or_b32 exec_lo, exec_lo, s5
	v_mov_b32_e32 v61, 0
	ds_read_b128 v[61:64], v61 offset:224
	s_waitcnt lgkmcnt(0)
	v_mul_f64 v[66:67], v[1:2], v[63:64]
	v_mul_f64 v[63:64], v[3:4], v[63:64]
	v_fma_f64 v[3:4], v[3:4], v[61:62], -v[66:67]
	v_fma_f64 v[1:2], v[1:2], v[61:62], v[63:64]
	buffer_store_dword v4, off, s[0:3], 0 offset:244
	buffer_store_dword v3, off, s[0:3], 0 offset:240
	;; [unrolled: 1-line block ×4, first 2 shown]
.LBB26_71:
	s_or_b32 exec_lo, exec_lo, s4
	v_mov_b32_e32 v4, s23
	s_waitcnt_vscnt null, 0x0
	s_barrier
	buffer_gl0_inv
	s_mov_b32 s4, exec_lo
	s_clause 0x3
	buffer_load_dword v1, v4, s[0:3], 0 offen
	buffer_load_dword v2, v4, s[0:3], 0 offen offset:4
	buffer_load_dword v3, v4, s[0:3], 0 offen offset:8
	;; [unrolled: 1-line block ×3, first 2 shown]
	s_waitcnt vmcnt(0)
	ds_write_b128 v59, v[1:4]
	s_waitcnt lgkmcnt(0)
	s_barrier
	buffer_gl0_inv
	v_cmpx_gt_u32_e32 15, v0
	s_cbranch_execz .LBB26_75
; %bb.72:
	v_mov_b32_e32 v1, 0
	v_mov_b32_e32 v3, 0
	v_add_nc_u32_e32 v61, -1, v0
	v_add_nc_u32_e32 v62, 0x1b0, v65
	v_mov_b32_e32 v2, 0
	v_mov_b32_e32 v4, 0
	v_add_nc_u32_e32 v63, 16, v65
	s_mov_b32 s5, 0
	.p2align	6
.LBB26_73:                              ; =>This Inner Loop Header: Depth=1
	s_clause 0x3
	buffer_load_dword v70, v63, s[0:3], 0 offen offset:8
	buffer_load_dword v71, v63, s[0:3], 0 offen offset:12
	buffer_load_dword v72, v63, s[0:3], 0 offen
	buffer_load_dword v73, v63, s[0:3], 0 offen offset:4
	ds_read_b128 v[66:69], v62
	v_add_nc_u32_e32 v61, 1, v61
	v_add_nc_u32_e32 v62, 16, v62
	;; [unrolled: 1-line block ×3, first 2 shown]
	v_cmp_lt_u32_e32 vcc_lo, 13, v61
	s_or_b32 s5, vcc_lo, s5
	s_waitcnt vmcnt(2) lgkmcnt(0)
	v_mul_f64 v[74:75], v[68:69], v[70:71]
	v_mul_f64 v[70:71], v[66:67], v[70:71]
	s_waitcnt vmcnt(0)
	v_fma_f64 v[66:67], v[66:67], v[72:73], -v[74:75]
	v_fma_f64 v[68:69], v[68:69], v[72:73], v[70:71]
	v_add_f64 v[3:4], v[3:4], v[66:67]
	v_add_f64 v[1:2], v[1:2], v[68:69]
	s_andn2_b32 exec_lo, exec_lo, s5
	s_cbranch_execnz .LBB26_73
; %bb.74:
	s_or_b32 exec_lo, exec_lo, s5
	v_mov_b32_e32 v61, 0
	ds_read_b128 v[61:64], v61 offset:240
	s_waitcnt lgkmcnt(0)
	v_mul_f64 v[66:67], v[1:2], v[63:64]
	v_mul_f64 v[63:64], v[3:4], v[63:64]
	v_fma_f64 v[3:4], v[3:4], v[61:62], -v[66:67]
	v_fma_f64 v[1:2], v[1:2], v[61:62], v[63:64]
	buffer_store_dword v4, off, s[0:3], 0 offset:260
	buffer_store_dword v3, off, s[0:3], 0 offset:256
	;; [unrolled: 1-line block ×4, first 2 shown]
.LBB26_75:
	s_or_b32 exec_lo, exec_lo, s4
	v_mov_b32_e32 v4, s22
	s_waitcnt_vscnt null, 0x0
	s_barrier
	buffer_gl0_inv
	s_mov_b32 s4, exec_lo
	s_clause 0x3
	buffer_load_dword v1, v4, s[0:3], 0 offen
	buffer_load_dword v2, v4, s[0:3], 0 offen offset:4
	buffer_load_dword v3, v4, s[0:3], 0 offen offset:8
	;; [unrolled: 1-line block ×3, first 2 shown]
	s_waitcnt vmcnt(0)
	ds_write_b128 v59, v[1:4]
	s_waitcnt lgkmcnt(0)
	s_barrier
	buffer_gl0_inv
	v_cmpx_gt_u32_e32 16, v0
	s_cbranch_execz .LBB26_79
; %bb.76:
	v_mov_b32_e32 v1, 0
	v_mov_b32_e32 v3, 0
	v_add_nc_u32_e32 v61, -1, v0
	v_add_nc_u32_e32 v62, 0x1b0, v65
	v_mov_b32_e32 v2, 0
	v_mov_b32_e32 v4, 0
	v_add_nc_u32_e32 v63, 16, v65
	s_mov_b32 s5, 0
	.p2align	6
.LBB26_77:                              ; =>This Inner Loop Header: Depth=1
	s_clause 0x3
	buffer_load_dword v70, v63, s[0:3], 0 offen offset:8
	buffer_load_dword v71, v63, s[0:3], 0 offen offset:12
	buffer_load_dword v72, v63, s[0:3], 0 offen
	buffer_load_dword v73, v63, s[0:3], 0 offen offset:4
	ds_read_b128 v[66:69], v62
	v_add_nc_u32_e32 v61, 1, v61
	v_add_nc_u32_e32 v62, 16, v62
	;; [unrolled: 1-line block ×3, first 2 shown]
	v_cmp_lt_u32_e32 vcc_lo, 14, v61
	s_or_b32 s5, vcc_lo, s5
	s_waitcnt vmcnt(2) lgkmcnt(0)
	v_mul_f64 v[74:75], v[68:69], v[70:71]
	v_mul_f64 v[70:71], v[66:67], v[70:71]
	s_waitcnt vmcnt(0)
	v_fma_f64 v[66:67], v[66:67], v[72:73], -v[74:75]
	v_fma_f64 v[68:69], v[68:69], v[72:73], v[70:71]
	v_add_f64 v[3:4], v[3:4], v[66:67]
	v_add_f64 v[1:2], v[1:2], v[68:69]
	s_andn2_b32 exec_lo, exec_lo, s5
	s_cbranch_execnz .LBB26_77
; %bb.78:
	s_or_b32 exec_lo, exec_lo, s5
	v_mov_b32_e32 v61, 0
	ds_read_b128 v[61:64], v61 offset:256
	s_waitcnt lgkmcnt(0)
	v_mul_f64 v[66:67], v[1:2], v[63:64]
	v_mul_f64 v[63:64], v[3:4], v[63:64]
	v_fma_f64 v[3:4], v[3:4], v[61:62], -v[66:67]
	v_fma_f64 v[1:2], v[1:2], v[61:62], v[63:64]
	buffer_store_dword v4, off, s[0:3], 0 offset:276
	buffer_store_dword v3, off, s[0:3], 0 offset:272
	;; [unrolled: 1-line block ×4, first 2 shown]
.LBB26_79:
	s_or_b32 exec_lo, exec_lo, s4
	v_mov_b32_e32 v4, s19
	s_waitcnt_vscnt null, 0x0
	s_barrier
	buffer_gl0_inv
	s_mov_b32 s4, exec_lo
	s_clause 0x3
	buffer_load_dword v1, v4, s[0:3], 0 offen
	buffer_load_dword v2, v4, s[0:3], 0 offen offset:4
	buffer_load_dword v3, v4, s[0:3], 0 offen offset:8
	buffer_load_dword v4, v4, s[0:3], 0 offen offset:12
	s_waitcnt vmcnt(0)
	ds_write_b128 v59, v[1:4]
	s_waitcnt lgkmcnt(0)
	s_barrier
	buffer_gl0_inv
	v_cmpx_gt_u32_e32 17, v0
	s_cbranch_execz .LBB26_83
; %bb.80:
	v_mov_b32_e32 v1, 0
	v_mov_b32_e32 v3, 0
	v_add_nc_u32_e32 v61, -1, v0
	v_add_nc_u32_e32 v62, 0x1b0, v65
	v_mov_b32_e32 v2, 0
	v_mov_b32_e32 v4, 0
	v_add_nc_u32_e32 v63, 16, v65
	s_mov_b32 s5, 0
	.p2align	6
.LBB26_81:                              ; =>This Inner Loop Header: Depth=1
	s_clause 0x3
	buffer_load_dword v70, v63, s[0:3], 0 offen offset:8
	buffer_load_dword v71, v63, s[0:3], 0 offen offset:12
	buffer_load_dword v72, v63, s[0:3], 0 offen
	buffer_load_dword v73, v63, s[0:3], 0 offen offset:4
	ds_read_b128 v[66:69], v62
	v_add_nc_u32_e32 v61, 1, v61
	v_add_nc_u32_e32 v62, 16, v62
	;; [unrolled: 1-line block ×3, first 2 shown]
	v_cmp_lt_u32_e32 vcc_lo, 15, v61
	s_or_b32 s5, vcc_lo, s5
	s_waitcnt vmcnt(2) lgkmcnt(0)
	v_mul_f64 v[74:75], v[68:69], v[70:71]
	v_mul_f64 v[70:71], v[66:67], v[70:71]
	s_waitcnt vmcnt(0)
	v_fma_f64 v[66:67], v[66:67], v[72:73], -v[74:75]
	v_fma_f64 v[68:69], v[68:69], v[72:73], v[70:71]
	v_add_f64 v[3:4], v[3:4], v[66:67]
	v_add_f64 v[1:2], v[1:2], v[68:69]
	s_andn2_b32 exec_lo, exec_lo, s5
	s_cbranch_execnz .LBB26_81
; %bb.82:
	s_or_b32 exec_lo, exec_lo, s5
	v_mov_b32_e32 v61, 0
	ds_read_b128 v[61:64], v61 offset:272
	s_waitcnt lgkmcnt(0)
	v_mul_f64 v[66:67], v[1:2], v[63:64]
	v_mul_f64 v[63:64], v[3:4], v[63:64]
	v_fma_f64 v[3:4], v[3:4], v[61:62], -v[66:67]
	v_fma_f64 v[1:2], v[1:2], v[61:62], v[63:64]
	buffer_store_dword v4, off, s[0:3], 0 offset:292
	buffer_store_dword v3, off, s[0:3], 0 offset:288
	;; [unrolled: 1-line block ×4, first 2 shown]
.LBB26_83:
	s_or_b32 exec_lo, exec_lo, s4
	v_mov_b32_e32 v4, s18
	s_waitcnt_vscnt null, 0x0
	s_barrier
	buffer_gl0_inv
	s_mov_b32 s4, exec_lo
	s_clause 0x3
	buffer_load_dword v1, v4, s[0:3], 0 offen
	buffer_load_dword v2, v4, s[0:3], 0 offen offset:4
	buffer_load_dword v3, v4, s[0:3], 0 offen offset:8
	;; [unrolled: 1-line block ×3, first 2 shown]
	s_waitcnt vmcnt(0)
	ds_write_b128 v59, v[1:4]
	s_waitcnt lgkmcnt(0)
	s_barrier
	buffer_gl0_inv
	v_cmpx_gt_u32_e32 18, v0
	s_cbranch_execz .LBB26_87
; %bb.84:
	v_mov_b32_e32 v1, 0
	v_mov_b32_e32 v3, 0
	v_add_nc_u32_e32 v61, -1, v0
	v_add_nc_u32_e32 v62, 0x1b0, v65
	v_mov_b32_e32 v2, 0
	v_mov_b32_e32 v4, 0
	v_add_nc_u32_e32 v63, 16, v65
	s_mov_b32 s5, 0
	.p2align	6
.LBB26_85:                              ; =>This Inner Loop Header: Depth=1
	s_clause 0x3
	buffer_load_dword v70, v63, s[0:3], 0 offen offset:8
	buffer_load_dword v71, v63, s[0:3], 0 offen offset:12
	buffer_load_dword v72, v63, s[0:3], 0 offen
	buffer_load_dword v73, v63, s[0:3], 0 offen offset:4
	ds_read_b128 v[66:69], v62
	v_add_nc_u32_e32 v61, 1, v61
	v_add_nc_u32_e32 v62, 16, v62
	;; [unrolled: 1-line block ×3, first 2 shown]
	v_cmp_lt_u32_e32 vcc_lo, 16, v61
	s_or_b32 s5, vcc_lo, s5
	s_waitcnt vmcnt(2) lgkmcnt(0)
	v_mul_f64 v[74:75], v[68:69], v[70:71]
	v_mul_f64 v[70:71], v[66:67], v[70:71]
	s_waitcnt vmcnt(0)
	v_fma_f64 v[66:67], v[66:67], v[72:73], -v[74:75]
	v_fma_f64 v[68:69], v[68:69], v[72:73], v[70:71]
	v_add_f64 v[3:4], v[3:4], v[66:67]
	v_add_f64 v[1:2], v[1:2], v[68:69]
	s_andn2_b32 exec_lo, exec_lo, s5
	s_cbranch_execnz .LBB26_85
; %bb.86:
	s_or_b32 exec_lo, exec_lo, s5
	v_mov_b32_e32 v61, 0
	ds_read_b128 v[61:64], v61 offset:288
	s_waitcnt lgkmcnt(0)
	v_mul_f64 v[66:67], v[1:2], v[63:64]
	v_mul_f64 v[63:64], v[3:4], v[63:64]
	v_fma_f64 v[3:4], v[3:4], v[61:62], -v[66:67]
	v_fma_f64 v[1:2], v[1:2], v[61:62], v[63:64]
	buffer_store_dword v4, off, s[0:3], 0 offset:308
	buffer_store_dword v3, off, s[0:3], 0 offset:304
	;; [unrolled: 1-line block ×4, first 2 shown]
.LBB26_87:
	s_or_b32 exec_lo, exec_lo, s4
	v_mov_b32_e32 v4, s17
	s_waitcnt_vscnt null, 0x0
	s_barrier
	buffer_gl0_inv
	s_mov_b32 s4, exec_lo
	s_clause 0x3
	buffer_load_dword v1, v4, s[0:3], 0 offen
	buffer_load_dword v2, v4, s[0:3], 0 offen offset:4
	buffer_load_dword v3, v4, s[0:3], 0 offen offset:8
	;; [unrolled: 1-line block ×3, first 2 shown]
	s_waitcnt vmcnt(0)
	ds_write_b128 v59, v[1:4]
	s_waitcnt lgkmcnt(0)
	s_barrier
	buffer_gl0_inv
	v_cmpx_gt_u32_e32 19, v0
	s_cbranch_execz .LBB26_91
; %bb.88:
	v_mov_b32_e32 v1, 0
	v_mov_b32_e32 v3, 0
	v_add_nc_u32_e32 v61, -1, v0
	v_add_nc_u32_e32 v62, 0x1b0, v65
	v_mov_b32_e32 v2, 0
	v_mov_b32_e32 v4, 0
	v_add_nc_u32_e32 v63, 16, v65
	s_mov_b32 s5, 0
	.p2align	6
.LBB26_89:                              ; =>This Inner Loop Header: Depth=1
	s_clause 0x3
	buffer_load_dword v70, v63, s[0:3], 0 offen offset:8
	buffer_load_dword v71, v63, s[0:3], 0 offen offset:12
	buffer_load_dword v72, v63, s[0:3], 0 offen
	buffer_load_dword v73, v63, s[0:3], 0 offen offset:4
	ds_read_b128 v[66:69], v62
	v_add_nc_u32_e32 v61, 1, v61
	v_add_nc_u32_e32 v62, 16, v62
	;; [unrolled: 1-line block ×3, first 2 shown]
	v_cmp_lt_u32_e32 vcc_lo, 17, v61
	s_or_b32 s5, vcc_lo, s5
	s_waitcnt vmcnt(2) lgkmcnt(0)
	v_mul_f64 v[74:75], v[68:69], v[70:71]
	v_mul_f64 v[70:71], v[66:67], v[70:71]
	s_waitcnt vmcnt(0)
	v_fma_f64 v[66:67], v[66:67], v[72:73], -v[74:75]
	v_fma_f64 v[68:69], v[68:69], v[72:73], v[70:71]
	v_add_f64 v[3:4], v[3:4], v[66:67]
	v_add_f64 v[1:2], v[1:2], v[68:69]
	s_andn2_b32 exec_lo, exec_lo, s5
	s_cbranch_execnz .LBB26_89
; %bb.90:
	s_or_b32 exec_lo, exec_lo, s5
	v_mov_b32_e32 v61, 0
	ds_read_b128 v[61:64], v61 offset:304
	s_waitcnt lgkmcnt(0)
	v_mul_f64 v[66:67], v[1:2], v[63:64]
	v_mul_f64 v[63:64], v[3:4], v[63:64]
	v_fma_f64 v[3:4], v[3:4], v[61:62], -v[66:67]
	v_fma_f64 v[1:2], v[1:2], v[61:62], v[63:64]
	buffer_store_dword v4, off, s[0:3], 0 offset:324
	buffer_store_dword v3, off, s[0:3], 0 offset:320
	buffer_store_dword v2, off, s[0:3], 0 offset:332
	buffer_store_dword v1, off, s[0:3], 0 offset:328
.LBB26_91:
	s_or_b32 exec_lo, exec_lo, s4
	v_mov_b32_e32 v4, s16
	s_waitcnt_vscnt null, 0x0
	s_barrier
	buffer_gl0_inv
	s_mov_b32 s4, exec_lo
	s_clause 0x3
	buffer_load_dword v1, v4, s[0:3], 0 offen
	buffer_load_dword v2, v4, s[0:3], 0 offen offset:4
	buffer_load_dword v3, v4, s[0:3], 0 offen offset:8
	;; [unrolled: 1-line block ×3, first 2 shown]
	s_waitcnt vmcnt(0)
	ds_write_b128 v59, v[1:4]
	s_waitcnt lgkmcnt(0)
	s_barrier
	buffer_gl0_inv
	v_cmpx_gt_u32_e32 20, v0
	s_cbranch_execz .LBB26_95
; %bb.92:
	v_mov_b32_e32 v1, 0
	v_mov_b32_e32 v3, 0
	v_add_nc_u32_e32 v61, -1, v0
	v_add_nc_u32_e32 v62, 0x1b0, v65
	v_mov_b32_e32 v2, 0
	v_mov_b32_e32 v4, 0
	v_add_nc_u32_e32 v63, 16, v65
	s_mov_b32 s5, 0
	.p2align	6
.LBB26_93:                              ; =>This Inner Loop Header: Depth=1
	s_clause 0x3
	buffer_load_dword v70, v63, s[0:3], 0 offen offset:8
	buffer_load_dword v71, v63, s[0:3], 0 offen offset:12
	buffer_load_dword v72, v63, s[0:3], 0 offen
	buffer_load_dword v73, v63, s[0:3], 0 offen offset:4
	ds_read_b128 v[66:69], v62
	v_add_nc_u32_e32 v61, 1, v61
	v_add_nc_u32_e32 v62, 16, v62
	;; [unrolled: 1-line block ×3, first 2 shown]
	v_cmp_lt_u32_e32 vcc_lo, 18, v61
	s_or_b32 s5, vcc_lo, s5
	s_waitcnt vmcnt(2) lgkmcnt(0)
	v_mul_f64 v[74:75], v[68:69], v[70:71]
	v_mul_f64 v[70:71], v[66:67], v[70:71]
	s_waitcnt vmcnt(0)
	v_fma_f64 v[66:67], v[66:67], v[72:73], -v[74:75]
	v_fma_f64 v[68:69], v[68:69], v[72:73], v[70:71]
	v_add_f64 v[3:4], v[3:4], v[66:67]
	v_add_f64 v[1:2], v[1:2], v[68:69]
	s_andn2_b32 exec_lo, exec_lo, s5
	s_cbranch_execnz .LBB26_93
; %bb.94:
	s_or_b32 exec_lo, exec_lo, s5
	v_mov_b32_e32 v61, 0
	ds_read_b128 v[61:64], v61 offset:320
	s_waitcnt lgkmcnt(0)
	v_mul_f64 v[66:67], v[1:2], v[63:64]
	v_mul_f64 v[63:64], v[3:4], v[63:64]
	v_fma_f64 v[3:4], v[3:4], v[61:62], -v[66:67]
	v_fma_f64 v[1:2], v[1:2], v[61:62], v[63:64]
	buffer_store_dword v4, off, s[0:3], 0 offset:340
	buffer_store_dword v3, off, s[0:3], 0 offset:336
	;; [unrolled: 1-line block ×4, first 2 shown]
.LBB26_95:
	s_or_b32 exec_lo, exec_lo, s4
	v_mov_b32_e32 v4, s15
	s_waitcnt_vscnt null, 0x0
	s_barrier
	buffer_gl0_inv
	s_mov_b32 s4, exec_lo
	s_clause 0x3
	buffer_load_dword v1, v4, s[0:3], 0 offen
	buffer_load_dword v2, v4, s[0:3], 0 offen offset:4
	buffer_load_dword v3, v4, s[0:3], 0 offen offset:8
	;; [unrolled: 1-line block ×3, first 2 shown]
	s_waitcnt vmcnt(0)
	ds_write_b128 v59, v[1:4]
	s_waitcnt lgkmcnt(0)
	s_barrier
	buffer_gl0_inv
	v_cmpx_gt_u32_e32 21, v0
	s_cbranch_execz .LBB26_99
; %bb.96:
	v_mov_b32_e32 v1, 0
	v_mov_b32_e32 v3, 0
	v_add_nc_u32_e32 v61, -1, v0
	v_add_nc_u32_e32 v62, 0x1b0, v65
	v_mov_b32_e32 v2, 0
	v_mov_b32_e32 v4, 0
	v_add_nc_u32_e32 v63, 16, v65
	s_mov_b32 s5, 0
	.p2align	6
.LBB26_97:                              ; =>This Inner Loop Header: Depth=1
	s_clause 0x3
	buffer_load_dword v70, v63, s[0:3], 0 offen offset:8
	buffer_load_dword v71, v63, s[0:3], 0 offen offset:12
	buffer_load_dword v72, v63, s[0:3], 0 offen
	buffer_load_dword v73, v63, s[0:3], 0 offen offset:4
	ds_read_b128 v[66:69], v62
	v_add_nc_u32_e32 v61, 1, v61
	v_add_nc_u32_e32 v62, 16, v62
	;; [unrolled: 1-line block ×3, first 2 shown]
	v_cmp_lt_u32_e32 vcc_lo, 19, v61
	s_or_b32 s5, vcc_lo, s5
	s_waitcnt vmcnt(2) lgkmcnt(0)
	v_mul_f64 v[74:75], v[68:69], v[70:71]
	v_mul_f64 v[70:71], v[66:67], v[70:71]
	s_waitcnt vmcnt(0)
	v_fma_f64 v[66:67], v[66:67], v[72:73], -v[74:75]
	v_fma_f64 v[68:69], v[68:69], v[72:73], v[70:71]
	v_add_f64 v[3:4], v[3:4], v[66:67]
	v_add_f64 v[1:2], v[1:2], v[68:69]
	s_andn2_b32 exec_lo, exec_lo, s5
	s_cbranch_execnz .LBB26_97
; %bb.98:
	s_or_b32 exec_lo, exec_lo, s5
	v_mov_b32_e32 v61, 0
	ds_read_b128 v[61:64], v61 offset:336
	s_waitcnt lgkmcnt(0)
	v_mul_f64 v[66:67], v[1:2], v[63:64]
	v_mul_f64 v[63:64], v[3:4], v[63:64]
	v_fma_f64 v[3:4], v[3:4], v[61:62], -v[66:67]
	v_fma_f64 v[1:2], v[1:2], v[61:62], v[63:64]
	buffer_store_dword v4, off, s[0:3], 0 offset:356
	buffer_store_dword v3, off, s[0:3], 0 offset:352
	;; [unrolled: 1-line block ×4, first 2 shown]
.LBB26_99:
	s_or_b32 exec_lo, exec_lo, s4
	v_mov_b32_e32 v4, s14
	s_waitcnt_vscnt null, 0x0
	s_barrier
	buffer_gl0_inv
	s_mov_b32 s4, exec_lo
	s_clause 0x3
	buffer_load_dword v1, v4, s[0:3], 0 offen
	buffer_load_dword v2, v4, s[0:3], 0 offen offset:4
	buffer_load_dword v3, v4, s[0:3], 0 offen offset:8
	buffer_load_dword v4, v4, s[0:3], 0 offen offset:12
	s_waitcnt vmcnt(0)
	ds_write_b128 v59, v[1:4]
	s_waitcnt lgkmcnt(0)
	s_barrier
	buffer_gl0_inv
	v_cmpx_gt_u32_e32 22, v0
	s_cbranch_execz .LBB26_103
; %bb.100:
	v_mov_b32_e32 v1, 0
	v_mov_b32_e32 v3, 0
	v_add_nc_u32_e32 v61, -1, v0
	v_add_nc_u32_e32 v62, 0x1b0, v65
	v_mov_b32_e32 v2, 0
	v_mov_b32_e32 v4, 0
	v_add_nc_u32_e32 v63, 16, v65
	s_mov_b32 s5, 0
	.p2align	6
.LBB26_101:                             ; =>This Inner Loop Header: Depth=1
	s_clause 0x3
	buffer_load_dword v70, v63, s[0:3], 0 offen offset:8
	buffer_load_dword v71, v63, s[0:3], 0 offen offset:12
	buffer_load_dword v72, v63, s[0:3], 0 offen
	buffer_load_dword v73, v63, s[0:3], 0 offen offset:4
	ds_read_b128 v[66:69], v62
	v_add_nc_u32_e32 v61, 1, v61
	v_add_nc_u32_e32 v62, 16, v62
	;; [unrolled: 1-line block ×3, first 2 shown]
	v_cmp_lt_u32_e32 vcc_lo, 20, v61
	s_or_b32 s5, vcc_lo, s5
	s_waitcnt vmcnt(2) lgkmcnt(0)
	v_mul_f64 v[74:75], v[68:69], v[70:71]
	v_mul_f64 v[70:71], v[66:67], v[70:71]
	s_waitcnt vmcnt(0)
	v_fma_f64 v[66:67], v[66:67], v[72:73], -v[74:75]
	v_fma_f64 v[68:69], v[68:69], v[72:73], v[70:71]
	v_add_f64 v[3:4], v[3:4], v[66:67]
	v_add_f64 v[1:2], v[1:2], v[68:69]
	s_andn2_b32 exec_lo, exec_lo, s5
	s_cbranch_execnz .LBB26_101
; %bb.102:
	s_or_b32 exec_lo, exec_lo, s5
	v_mov_b32_e32 v61, 0
	ds_read_b128 v[61:64], v61 offset:352
	s_waitcnt lgkmcnt(0)
	v_mul_f64 v[66:67], v[1:2], v[63:64]
	v_mul_f64 v[63:64], v[3:4], v[63:64]
	v_fma_f64 v[3:4], v[3:4], v[61:62], -v[66:67]
	v_fma_f64 v[1:2], v[1:2], v[61:62], v[63:64]
	buffer_store_dword v4, off, s[0:3], 0 offset:372
	buffer_store_dword v3, off, s[0:3], 0 offset:368
	;; [unrolled: 1-line block ×4, first 2 shown]
.LBB26_103:
	s_or_b32 exec_lo, exec_lo, s4
	v_mov_b32_e32 v4, s13
	s_waitcnt_vscnt null, 0x0
	s_barrier
	buffer_gl0_inv
	s_mov_b32 s4, exec_lo
	s_clause 0x3
	buffer_load_dword v1, v4, s[0:3], 0 offen
	buffer_load_dword v2, v4, s[0:3], 0 offen offset:4
	buffer_load_dword v3, v4, s[0:3], 0 offen offset:8
	;; [unrolled: 1-line block ×3, first 2 shown]
	s_waitcnt vmcnt(0)
	ds_write_b128 v59, v[1:4]
	s_waitcnt lgkmcnt(0)
	s_barrier
	buffer_gl0_inv
	v_cmpx_gt_u32_e32 23, v0
	s_cbranch_execz .LBB26_107
; %bb.104:
	v_mov_b32_e32 v1, 0
	v_mov_b32_e32 v3, 0
	v_add_nc_u32_e32 v61, -1, v0
	v_add_nc_u32_e32 v62, 0x1b0, v65
	v_mov_b32_e32 v2, 0
	v_mov_b32_e32 v4, 0
	v_add_nc_u32_e32 v63, 16, v65
	s_mov_b32 s5, 0
	.p2align	6
.LBB26_105:                             ; =>This Inner Loop Header: Depth=1
	s_clause 0x3
	buffer_load_dword v70, v63, s[0:3], 0 offen offset:8
	buffer_load_dword v71, v63, s[0:3], 0 offen offset:12
	buffer_load_dword v72, v63, s[0:3], 0 offen
	buffer_load_dword v73, v63, s[0:3], 0 offen offset:4
	ds_read_b128 v[66:69], v62
	v_add_nc_u32_e32 v61, 1, v61
	v_add_nc_u32_e32 v62, 16, v62
	;; [unrolled: 1-line block ×3, first 2 shown]
	v_cmp_lt_u32_e32 vcc_lo, 21, v61
	s_or_b32 s5, vcc_lo, s5
	s_waitcnt vmcnt(2) lgkmcnt(0)
	v_mul_f64 v[74:75], v[68:69], v[70:71]
	v_mul_f64 v[70:71], v[66:67], v[70:71]
	s_waitcnt vmcnt(0)
	v_fma_f64 v[66:67], v[66:67], v[72:73], -v[74:75]
	v_fma_f64 v[68:69], v[68:69], v[72:73], v[70:71]
	v_add_f64 v[3:4], v[3:4], v[66:67]
	v_add_f64 v[1:2], v[1:2], v[68:69]
	s_andn2_b32 exec_lo, exec_lo, s5
	s_cbranch_execnz .LBB26_105
; %bb.106:
	s_or_b32 exec_lo, exec_lo, s5
	v_mov_b32_e32 v61, 0
	ds_read_b128 v[61:64], v61 offset:368
	s_waitcnt lgkmcnt(0)
	v_mul_f64 v[66:67], v[1:2], v[63:64]
	v_mul_f64 v[63:64], v[3:4], v[63:64]
	v_fma_f64 v[3:4], v[3:4], v[61:62], -v[66:67]
	v_fma_f64 v[1:2], v[1:2], v[61:62], v[63:64]
	buffer_store_dword v4, off, s[0:3], 0 offset:388
	buffer_store_dword v3, off, s[0:3], 0 offset:384
	;; [unrolled: 1-line block ×4, first 2 shown]
.LBB26_107:
	s_or_b32 exec_lo, exec_lo, s4
	v_mov_b32_e32 v4, s12
	s_waitcnt_vscnt null, 0x0
	s_barrier
	buffer_gl0_inv
	s_mov_b32 s4, exec_lo
	s_clause 0x3
	buffer_load_dword v1, v4, s[0:3], 0 offen
	buffer_load_dword v2, v4, s[0:3], 0 offen offset:4
	buffer_load_dword v3, v4, s[0:3], 0 offen offset:8
	;; [unrolled: 1-line block ×3, first 2 shown]
	s_waitcnt vmcnt(0)
	ds_write_b128 v59, v[1:4]
	s_waitcnt lgkmcnt(0)
	s_barrier
	buffer_gl0_inv
	v_cmpx_gt_u32_e32 24, v0
	s_cbranch_execz .LBB26_111
; %bb.108:
	v_mov_b32_e32 v1, 0
	v_mov_b32_e32 v3, 0
	v_add_nc_u32_e32 v61, -1, v0
	v_add_nc_u32_e32 v62, 0x1b0, v65
	v_mov_b32_e32 v2, 0
	v_mov_b32_e32 v4, 0
	v_add_nc_u32_e32 v63, 16, v65
	s_mov_b32 s5, 0
	.p2align	6
.LBB26_109:                             ; =>This Inner Loop Header: Depth=1
	s_clause 0x3
	buffer_load_dword v70, v63, s[0:3], 0 offen offset:8
	buffer_load_dword v71, v63, s[0:3], 0 offen offset:12
	buffer_load_dword v72, v63, s[0:3], 0 offen
	buffer_load_dword v73, v63, s[0:3], 0 offen offset:4
	ds_read_b128 v[66:69], v62
	v_add_nc_u32_e32 v61, 1, v61
	v_add_nc_u32_e32 v62, 16, v62
	;; [unrolled: 1-line block ×3, first 2 shown]
	v_cmp_lt_u32_e32 vcc_lo, 22, v61
	s_or_b32 s5, vcc_lo, s5
	s_waitcnt vmcnt(2) lgkmcnt(0)
	v_mul_f64 v[74:75], v[68:69], v[70:71]
	v_mul_f64 v[70:71], v[66:67], v[70:71]
	s_waitcnt vmcnt(0)
	v_fma_f64 v[66:67], v[66:67], v[72:73], -v[74:75]
	v_fma_f64 v[68:69], v[68:69], v[72:73], v[70:71]
	v_add_f64 v[3:4], v[3:4], v[66:67]
	v_add_f64 v[1:2], v[1:2], v[68:69]
	s_andn2_b32 exec_lo, exec_lo, s5
	s_cbranch_execnz .LBB26_109
; %bb.110:
	s_or_b32 exec_lo, exec_lo, s5
	v_mov_b32_e32 v61, 0
	ds_read_b128 v[61:64], v61 offset:384
	s_waitcnt lgkmcnt(0)
	v_mul_f64 v[66:67], v[1:2], v[63:64]
	v_mul_f64 v[63:64], v[3:4], v[63:64]
	v_fma_f64 v[3:4], v[3:4], v[61:62], -v[66:67]
	v_fma_f64 v[1:2], v[1:2], v[61:62], v[63:64]
	buffer_store_dword v4, off, s[0:3], 0 offset:404
	buffer_store_dword v3, off, s[0:3], 0 offset:400
	;; [unrolled: 1-line block ×4, first 2 shown]
.LBB26_111:
	s_or_b32 exec_lo, exec_lo, s4
	v_mov_b32_e32 v4, s9
	s_waitcnt_vscnt null, 0x0
	s_barrier
	buffer_gl0_inv
	s_mov_b32 s4, exec_lo
	s_clause 0x3
	buffer_load_dword v1, v4, s[0:3], 0 offen
	buffer_load_dword v2, v4, s[0:3], 0 offen offset:4
	buffer_load_dword v3, v4, s[0:3], 0 offen offset:8
	;; [unrolled: 1-line block ×3, first 2 shown]
	s_waitcnt vmcnt(0)
	ds_write_b128 v59, v[1:4]
	s_waitcnt lgkmcnt(0)
	s_barrier
	buffer_gl0_inv
	v_cmpx_gt_u32_e32 25, v0
	s_cbranch_execz .LBB26_115
; %bb.112:
	v_mov_b32_e32 v1, 0
	v_mov_b32_e32 v3, 0
	v_add_nc_u32_e32 v61, -1, v0
	v_add_nc_u32_e32 v62, 0x1b0, v65
	v_mov_b32_e32 v2, 0
	v_mov_b32_e32 v4, 0
	v_add_nc_u32_e32 v63, 16, v65
	s_mov_b32 s5, 0
	.p2align	6
.LBB26_113:                             ; =>This Inner Loop Header: Depth=1
	s_clause 0x3
	buffer_load_dword v70, v63, s[0:3], 0 offen offset:8
	buffer_load_dword v71, v63, s[0:3], 0 offen offset:12
	buffer_load_dword v72, v63, s[0:3], 0 offen
	buffer_load_dword v73, v63, s[0:3], 0 offen offset:4
	ds_read_b128 v[66:69], v62
	v_add_nc_u32_e32 v61, 1, v61
	v_add_nc_u32_e32 v62, 16, v62
	;; [unrolled: 1-line block ×3, first 2 shown]
	v_cmp_lt_u32_e32 vcc_lo, 23, v61
	s_or_b32 s5, vcc_lo, s5
	s_waitcnt vmcnt(2) lgkmcnt(0)
	v_mul_f64 v[74:75], v[68:69], v[70:71]
	v_mul_f64 v[70:71], v[66:67], v[70:71]
	s_waitcnt vmcnt(0)
	v_fma_f64 v[66:67], v[66:67], v[72:73], -v[74:75]
	v_fma_f64 v[68:69], v[68:69], v[72:73], v[70:71]
	v_add_f64 v[3:4], v[3:4], v[66:67]
	v_add_f64 v[1:2], v[1:2], v[68:69]
	s_andn2_b32 exec_lo, exec_lo, s5
	s_cbranch_execnz .LBB26_113
; %bb.114:
	s_or_b32 exec_lo, exec_lo, s5
	v_mov_b32_e32 v61, 0
	ds_read_b128 v[61:64], v61 offset:400
	s_waitcnt lgkmcnt(0)
	v_mul_f64 v[66:67], v[1:2], v[63:64]
	v_mul_f64 v[63:64], v[3:4], v[63:64]
	v_fma_f64 v[3:4], v[3:4], v[61:62], -v[66:67]
	v_fma_f64 v[1:2], v[1:2], v[61:62], v[63:64]
	buffer_store_dword v4, off, s[0:3], 0 offset:420
	buffer_store_dword v3, off, s[0:3], 0 offset:416
	;; [unrolled: 1-line block ×4, first 2 shown]
.LBB26_115:
	s_or_b32 exec_lo, exec_lo, s4
	v_mov_b32_e32 v4, s8
	s_waitcnt_vscnt null, 0x0
	s_barrier
	buffer_gl0_inv
	s_mov_b32 s4, exec_lo
	s_clause 0x3
	buffer_load_dword v1, v4, s[0:3], 0 offen
	buffer_load_dword v2, v4, s[0:3], 0 offen offset:4
	buffer_load_dword v3, v4, s[0:3], 0 offen offset:8
	;; [unrolled: 1-line block ×3, first 2 shown]
	s_waitcnt vmcnt(0)
	ds_write_b128 v59, v[1:4]
	s_waitcnt lgkmcnt(0)
	s_barrier
	buffer_gl0_inv
	v_cmpx_ne_u32_e32 26, v0
	s_cbranch_execz .LBB26_119
; %bb.116:
	v_mov_b32_e32 v1, 0
	v_mov_b32_e32 v3, 0
	;; [unrolled: 1-line block ×4, first 2 shown]
	v_add_nc_u32_e32 v61, 16, v65
	s_mov_b32 s5, 0
	.p2align	6
.LBB26_117:                             ; =>This Inner Loop Header: Depth=1
	s_clause 0x3
	buffer_load_dword v66, v61, s[0:3], 0 offen offset:8
	buffer_load_dword v67, v61, s[0:3], 0 offen offset:12
	buffer_load_dword v68, v61, s[0:3], 0 offen
	buffer_load_dword v69, v61, s[0:3], 0 offen offset:4
	ds_read_b128 v[62:65], v59
	v_add_nc_u32_e32 v60, 1, v60
	v_add_nc_u32_e32 v59, 16, v59
	;; [unrolled: 1-line block ×3, first 2 shown]
	v_cmp_lt_u32_e32 vcc_lo, 24, v60
	s_or_b32 s5, vcc_lo, s5
	s_waitcnt vmcnt(2) lgkmcnt(0)
	v_mul_f64 v[70:71], v[64:65], v[66:67]
	v_mul_f64 v[66:67], v[62:63], v[66:67]
	s_waitcnt vmcnt(0)
	v_fma_f64 v[62:63], v[62:63], v[68:69], -v[70:71]
	v_fma_f64 v[64:65], v[64:65], v[68:69], v[66:67]
	v_add_f64 v[3:4], v[3:4], v[62:63]
	v_add_f64 v[1:2], v[1:2], v[64:65]
	s_andn2_b32 exec_lo, exec_lo, s5
	s_cbranch_execnz .LBB26_117
; %bb.118:
	s_or_b32 exec_lo, exec_lo, s5
	v_mov_b32_e32 v59, 0
	ds_read_b128 v[59:62], v59 offset:416
	s_waitcnt lgkmcnt(0)
	v_mul_f64 v[63:64], v[1:2], v[61:62]
	v_mul_f64 v[61:62], v[3:4], v[61:62]
	v_fma_f64 v[3:4], v[3:4], v[59:60], -v[63:64]
	v_fma_f64 v[1:2], v[1:2], v[59:60], v[61:62]
	buffer_store_dword v4, off, s[0:3], 0 offset:436
	buffer_store_dword v3, off, s[0:3], 0 offset:432
	;; [unrolled: 1-line block ×4, first 2 shown]
.LBB26_119:
	s_or_b32 exec_lo, exec_lo, s4
	s_mov_b32 s5, -1
	s_waitcnt_vscnt null, 0x0
	s_barrier
	buffer_gl0_inv
.LBB26_120:
	s_and_b32 vcc_lo, exec_lo, s5
	s_cbranch_vccz .LBB26_122
; %bb.121:
	s_lshl_b64 s[4:5], s[6:7], 2
	v_mov_b32_e32 v1, 0
	s_add_u32 s4, s10, s4
	s_addc_u32 s5, s11, s5
	global_load_dword v1, v1, s[4:5]
	s_waitcnt vmcnt(0)
	v_cmp_ne_u32_e32 vcc_lo, 0, v1
	s_cbranch_vccz .LBB26_123
.LBB26_122:
	s_endpgm
.LBB26_123:
	v_lshl_add_u32 v1, v0, 4, 0x1b0
	s_mov_b32 s4, exec_lo
	v_cmpx_eq_u32_e32 26, v0
	s_cbranch_execz .LBB26_125
; %bb.124:
	v_mov_b32_e32 v2, s9
	s_clause 0x3
	buffer_load_dword v59, v2, s[0:3], 0 offen
	buffer_load_dword v60, v2, s[0:3], 0 offen offset:4
	buffer_load_dword v61, v2, s[0:3], 0 offen offset:8
	;; [unrolled: 1-line block ×3, first 2 shown]
	v_mov_b32_e32 v2, 0
	buffer_store_dword v2, off, s[0:3], 0 offset:416
	buffer_store_dword v2, off, s[0:3], 0 offset:420
	;; [unrolled: 1-line block ×4, first 2 shown]
	s_waitcnt vmcnt(0)
	ds_write_b128 v1, v[59:62]
.LBB26_125:
	s_or_b32 exec_lo, exec_lo, s4
	s_waitcnt lgkmcnt(0)
	s_waitcnt_vscnt null, 0x0
	s_barrier
	buffer_gl0_inv
	s_clause 0x7
	buffer_load_dword v3, off, s[0:3], 0 offset:440
	buffer_load_dword v4, off, s[0:3], 0 offset:444
	;; [unrolled: 1-line block ×8, first 2 shown]
	v_mov_b32_e32 v2, 0
	s_mov_b32 s4, exec_lo
	ds_read_b128 v[59:62], v2 offset:848
	s_waitcnt vmcnt(6) lgkmcnt(0)
	v_mul_f64 v[69:70], v[61:62], v[3:4]
	v_mul_f64 v[3:4], v[59:60], v[3:4]
	s_waitcnt vmcnt(4)
	v_fma_f64 v[59:60], v[59:60], v[63:64], -v[69:70]
	v_fma_f64 v[3:4], v[61:62], v[63:64], v[3:4]
	v_add_f64 v[59:60], v[59:60], 0
	v_add_f64 v[3:4], v[3:4], 0
	s_waitcnt vmcnt(2)
	v_add_f64 v[59:60], v[65:66], -v[59:60]
	s_waitcnt vmcnt(0)
	v_add_f64 v[3:4], v[67:68], -v[3:4]
	buffer_store_dword v59, off, s[0:3], 0 offset:416
	buffer_store_dword v60, off, s[0:3], 0 offset:420
	;; [unrolled: 1-line block ×4, first 2 shown]
	v_cmpx_lt_u32_e32 24, v0
	s_cbranch_execz .LBB26_127
; %bb.126:
	v_mov_b32_e32 v3, s12
	s_clause 0x3
	buffer_load_dword v59, v3, s[0:3], 0 offen
	buffer_load_dword v60, v3, s[0:3], 0 offen offset:4
	buffer_load_dword v61, v3, s[0:3], 0 offen offset:8
	;; [unrolled: 1-line block ×3, first 2 shown]
	buffer_store_dword v2, off, s[0:3], 0 offset:400
	buffer_store_dword v2, off, s[0:3], 0 offset:404
	;; [unrolled: 1-line block ×4, first 2 shown]
	s_waitcnt vmcnt(0)
	ds_write_b128 v1, v[59:62]
.LBB26_127:
	s_or_b32 exec_lo, exec_lo, s4
	s_waitcnt lgkmcnt(0)
	s_waitcnt_vscnt null, 0x0
	s_barrier
	buffer_gl0_inv
	s_clause 0xb
	buffer_load_dword v3, off, s[0:3], 0 offset:424
	buffer_load_dword v4, off, s[0:3], 0 offset:428
	;; [unrolled: 1-line block ×12, first 2 shown]
	ds_read_b128 v[59:62], v2 offset:832
	ds_read_b128 v[63:66], v2 offset:848
	s_mov_b32 s4, exec_lo
	s_waitcnt vmcnt(10) lgkmcnt(1)
	v_mul_f64 v[77:78], v[61:62], v[3:4]
	v_mul_f64 v[2:3], v[59:60], v[3:4]
	s_waitcnt vmcnt(8) lgkmcnt(0)
	v_mul_f64 v[79:80], v[65:66], v[67:68]
	v_mul_f64 v[67:68], v[63:64], v[67:68]
	s_waitcnt vmcnt(6)
	v_fma_f64 v[59:60], v[59:60], v[69:70], -v[77:78]
	v_fma_f64 v[2:3], v[61:62], v[69:70], v[2:3]
	s_waitcnt vmcnt(4)
	v_fma_f64 v[61:62], v[63:64], v[71:72], -v[79:80]
	v_fma_f64 v[63:64], v[65:66], v[71:72], v[67:68]
	v_add_f64 v[59:60], v[59:60], 0
	v_add_f64 v[2:3], v[2:3], 0
	;; [unrolled: 1-line block ×4, first 2 shown]
	s_waitcnt vmcnt(2)
	v_add_f64 v[59:60], v[73:74], -v[59:60]
	s_waitcnt vmcnt(0)
	v_add_f64 v[2:3], v[75:76], -v[2:3]
	buffer_store_dword v59, off, s[0:3], 0 offset:400
	buffer_store_dword v60, off, s[0:3], 0 offset:404
	;; [unrolled: 1-line block ×4, first 2 shown]
	v_cmpx_lt_u32_e32 23, v0
	s_cbranch_execz .LBB26_129
; %bb.128:
	v_mov_b32_e32 v2, s13
	s_clause 0x3
	buffer_load_dword v59, v2, s[0:3], 0 offen
	buffer_load_dword v60, v2, s[0:3], 0 offen offset:4
	buffer_load_dword v61, v2, s[0:3], 0 offen offset:8
	;; [unrolled: 1-line block ×3, first 2 shown]
	v_mov_b32_e32 v2, 0
	buffer_store_dword v2, off, s[0:3], 0 offset:384
	buffer_store_dword v2, off, s[0:3], 0 offset:388
	;; [unrolled: 1-line block ×4, first 2 shown]
	s_waitcnt vmcnt(0)
	ds_write_b128 v1, v[59:62]
.LBB26_129:
	s_or_b32 exec_lo, exec_lo, s4
	s_waitcnt lgkmcnt(0)
	s_waitcnt_vscnt null, 0x0
	s_barrier
	buffer_gl0_inv
	s_clause 0xf
	buffer_load_dword v3, off, s[0:3], 0 offset:408
	buffer_load_dword v4, off, s[0:3], 0 offset:412
	;; [unrolled: 1-line block ×16, first 2 shown]
	v_mov_b32_e32 v2, 0
	ds_read_b128 v[59:62], v2 offset:816
	ds_read_b128 v[63:66], v2 offset:832
	;; [unrolled: 1-line block ×3, first 2 shown]
	s_mov_b32 s4, exec_lo
	s_waitcnt vmcnt(14) lgkmcnt(2)
	v_mul_f64 v[85:86], v[61:62], v[3:4]
	v_mul_f64 v[3:4], v[59:60], v[3:4]
	s_waitcnt vmcnt(12) lgkmcnt(1)
	v_mul_f64 v[87:88], v[65:66], v[71:72]
	v_mul_f64 v[71:72], v[63:64], v[71:72]
	s_waitcnt vmcnt(10)
	v_fma_f64 v[59:60], v[59:60], v[73:74], -v[85:86]
	v_fma_f64 v[3:4], v[61:62], v[73:74], v[3:4]
	s_waitcnt vmcnt(8) lgkmcnt(0)
	v_mul_f64 v[73:74], v[69:70], v[75:76]
	s_waitcnt vmcnt(6)
	v_fma_f64 v[63:64], v[63:64], v[77:78], -v[87:88]
	v_mul_f64 v[61:62], v[67:68], v[75:76]
	v_fma_f64 v[65:66], v[65:66], v[77:78], v[71:72]
	v_add_f64 v[59:60], v[59:60], 0
	v_add_f64 v[3:4], v[3:4], 0
	s_waitcnt vmcnt(4)
	v_fma_f64 v[67:68], v[67:68], v[79:80], -v[73:74]
	v_fma_f64 v[61:62], v[69:70], v[79:80], v[61:62]
	v_add_f64 v[59:60], v[59:60], v[63:64]
	v_add_f64 v[3:4], v[3:4], v[65:66]
	;; [unrolled: 1-line block ×4, first 2 shown]
	s_waitcnt vmcnt(2)
	v_add_f64 v[59:60], v[81:82], -v[59:60]
	s_waitcnt vmcnt(0)
	v_add_f64 v[3:4], v[83:84], -v[3:4]
	buffer_store_dword v59, off, s[0:3], 0 offset:384
	buffer_store_dword v60, off, s[0:3], 0 offset:388
	;; [unrolled: 1-line block ×4, first 2 shown]
	v_cmpx_lt_u32_e32 22, v0
	s_cbranch_execz .LBB26_131
; %bb.130:
	v_mov_b32_e32 v3, s14
	s_clause 0x3
	buffer_load_dword v59, v3, s[0:3], 0 offen
	buffer_load_dword v60, v3, s[0:3], 0 offen offset:4
	buffer_load_dword v61, v3, s[0:3], 0 offen offset:8
	;; [unrolled: 1-line block ×3, first 2 shown]
	buffer_store_dword v2, off, s[0:3], 0 offset:368
	buffer_store_dword v2, off, s[0:3], 0 offset:372
	;; [unrolled: 1-line block ×4, first 2 shown]
	s_waitcnt vmcnt(0)
	ds_write_b128 v1, v[59:62]
.LBB26_131:
	s_or_b32 exec_lo, exec_lo, s4
	s_waitcnt lgkmcnt(0)
	s_waitcnt_vscnt null, 0x0
	s_barrier
	buffer_gl0_inv
	s_clause 0x13
	buffer_load_dword v3, off, s[0:3], 0 offset:392
	buffer_load_dword v4, off, s[0:3], 0 offset:396
	;; [unrolled: 1-line block ×20, first 2 shown]
	ds_read_b128 v[59:62], v2 offset:800
	ds_read_b128 v[63:66], v2 offset:816
	;; [unrolled: 1-line block ×3, first 2 shown]
	s_mov_b32 s4, exec_lo
	s_waitcnt vmcnt(18) lgkmcnt(2)
	v_mul_f64 v[89:90], v[61:62], v[3:4]
	v_mul_f64 v[3:4], v[59:60], v[3:4]
	s_waitcnt vmcnt(16) lgkmcnt(1)
	v_mul_f64 v[91:92], v[65:66], v[71:72]
	v_mul_f64 v[71:72], v[63:64], v[71:72]
	s_waitcnt vmcnt(14)
	v_fma_f64 v[89:90], v[59:60], v[73:74], -v[89:90]
	v_fma_f64 v[3:4], v[61:62], v[73:74], v[3:4]
	ds_read_b128 v[59:62], v2 offset:848
	s_waitcnt vmcnt(12) lgkmcnt(1)
	v_mul_f64 v[73:74], v[67:68], v[75:76]
	v_mul_f64 v[75:76], v[69:70], v[75:76]
	s_waitcnt vmcnt(10)
	v_fma_f64 v[63:64], v[63:64], v[77:78], -v[91:92]
	v_fma_f64 v[65:66], v[65:66], v[77:78], v[71:72]
	s_waitcnt vmcnt(8) lgkmcnt(0)
	v_mul_f64 v[77:78], v[61:62], v[79:80]
	v_add_f64 v[89:90], v[89:90], 0
	v_add_f64 v[2:3], v[3:4], 0
	v_mul_f64 v[71:72], v[59:60], v[79:80]
	s_waitcnt vmcnt(6)
	v_fma_f64 v[67:68], v[67:68], v[81:82], -v[75:76]
	v_fma_f64 v[69:70], v[69:70], v[81:82], v[73:74]
	s_waitcnt vmcnt(4)
	v_fma_f64 v[59:60], v[59:60], v[83:84], -v[77:78]
	v_add_f64 v[63:64], v[89:90], v[63:64]
	v_add_f64 v[2:3], v[2:3], v[65:66]
	v_fma_f64 v[61:62], v[61:62], v[83:84], v[71:72]
	v_add_f64 v[63:64], v[63:64], v[67:68]
	v_add_f64 v[2:3], v[2:3], v[69:70]
	;; [unrolled: 1-line block ×4, first 2 shown]
	s_waitcnt vmcnt(2)
	v_add_f64 v[59:60], v[85:86], -v[59:60]
	s_waitcnt vmcnt(0)
	v_add_f64 v[2:3], v[87:88], -v[2:3]
	buffer_store_dword v59, off, s[0:3], 0 offset:368
	buffer_store_dword v60, off, s[0:3], 0 offset:372
	;; [unrolled: 1-line block ×4, first 2 shown]
	v_cmpx_lt_u32_e32 21, v0
	s_cbranch_execz .LBB26_133
; %bb.132:
	v_mov_b32_e32 v2, s15
	s_clause 0x3
	buffer_load_dword v59, v2, s[0:3], 0 offen
	buffer_load_dword v60, v2, s[0:3], 0 offen offset:4
	buffer_load_dword v61, v2, s[0:3], 0 offen offset:8
	;; [unrolled: 1-line block ×3, first 2 shown]
	v_mov_b32_e32 v2, 0
	buffer_store_dword v2, off, s[0:3], 0 offset:352
	buffer_store_dword v2, off, s[0:3], 0 offset:356
	;; [unrolled: 1-line block ×4, first 2 shown]
	s_waitcnt vmcnt(0)
	ds_write_b128 v1, v[59:62]
.LBB26_133:
	s_or_b32 exec_lo, exec_lo, s4
	s_waitcnt lgkmcnt(0)
	s_waitcnt_vscnt null, 0x0
	s_barrier
	buffer_gl0_inv
	s_clause 0x17
	buffer_load_dword v3, off, s[0:3], 0 offset:376
	buffer_load_dword v4, off, s[0:3], 0 offset:380
	;; [unrolled: 1-line block ×24, first 2 shown]
	v_mov_b32_e32 v2, 0
	ds_read_b128 v[59:62], v2 offset:784
	ds_read_b128 v[63:66], v2 offset:800
	;; [unrolled: 1-line block ×3, first 2 shown]
	s_mov_b32 s4, exec_lo
	s_waitcnt vmcnt(22) lgkmcnt(2)
	v_mul_f64 v[93:94], v[61:62], v[3:4]
	v_mul_f64 v[3:4], v[59:60], v[3:4]
	s_waitcnt vmcnt(20) lgkmcnt(1)
	v_mul_f64 v[95:96], v[65:66], v[71:72]
	v_mul_f64 v[71:72], v[63:64], v[71:72]
	s_waitcnt vmcnt(18)
	v_fma_f64 v[93:94], v[59:60], v[73:74], -v[93:94]
	v_fma_f64 v[3:4], v[61:62], v[73:74], v[3:4]
	ds_read_b128 v[59:62], v2 offset:832
	s_waitcnt vmcnt(16) lgkmcnt(1)
	v_mul_f64 v[73:74], v[67:68], v[75:76]
	v_mul_f64 v[75:76], v[69:70], v[75:76]
	s_waitcnt vmcnt(14)
	v_fma_f64 v[95:96], v[63:64], v[77:78], -v[95:96]
	v_fma_f64 v[71:72], v[65:66], v[77:78], v[71:72]
	ds_read_b128 v[63:66], v2 offset:848
	s_waitcnt vmcnt(10) lgkmcnt(1)
	v_mul_f64 v[77:78], v[59:60], v[79:80]
	v_add_f64 v[93:94], v[93:94], 0
	v_add_f64 v[3:4], v[3:4], 0
	v_mul_f64 v[79:80], v[61:62], v[79:80]
	s_waitcnt vmcnt(8)
	v_fma_f64 v[67:68], v[67:68], v[85:86], -v[75:76]
	v_fma_f64 v[69:70], v[69:70], v[85:86], v[73:74]
	s_waitcnt vmcnt(7) lgkmcnt(0)
	v_mul_f64 v[73:74], v[65:66], v[81:82]
	s_waitcnt vmcnt(5)
	v_fma_f64 v[61:62], v[61:62], v[87:88], v[77:78]
	v_add_f64 v[75:76], v[93:94], v[95:96]
	v_add_f64 v[3:4], v[3:4], v[71:72]
	v_fma_f64 v[59:60], v[59:60], v[87:88], -v[79:80]
	v_mul_f64 v[71:72], v[63:64], v[81:82]
	s_waitcnt vmcnt(4)
	v_fma_f64 v[63:64], v[63:64], v[83:84], -v[73:74]
	v_add_f64 v[67:68], v[75:76], v[67:68]
	v_add_f64 v[3:4], v[3:4], v[69:70]
	v_fma_f64 v[65:66], v[65:66], v[83:84], v[71:72]
	v_add_f64 v[59:60], v[67:68], v[59:60]
	v_add_f64 v[3:4], v[3:4], v[61:62]
	;; [unrolled: 1-line block ×4, first 2 shown]
	s_waitcnt vmcnt(2)
	v_add_f64 v[59:60], v[89:90], -v[59:60]
	s_waitcnt vmcnt(0)
	v_add_f64 v[3:4], v[91:92], -v[3:4]
	buffer_store_dword v60, off, s[0:3], 0 offset:356
	buffer_store_dword v59, off, s[0:3], 0 offset:352
	;; [unrolled: 1-line block ×4, first 2 shown]
	v_cmpx_lt_u32_e32 20, v0
	s_cbranch_execz .LBB26_135
; %bb.134:
	v_mov_b32_e32 v3, s16
	s_clause 0x3
	buffer_load_dword v59, v3, s[0:3], 0 offen
	buffer_load_dword v60, v3, s[0:3], 0 offen offset:4
	buffer_load_dword v61, v3, s[0:3], 0 offen offset:8
	;; [unrolled: 1-line block ×3, first 2 shown]
	buffer_store_dword v2, off, s[0:3], 0 offset:336
	buffer_store_dword v2, off, s[0:3], 0 offset:340
	;; [unrolled: 1-line block ×4, first 2 shown]
	s_waitcnt vmcnt(0)
	ds_write_b128 v1, v[59:62]
.LBB26_135:
	s_or_b32 exec_lo, exec_lo, s4
	s_waitcnt lgkmcnt(0)
	s_waitcnt_vscnt null, 0x0
	s_barrier
	buffer_gl0_inv
	s_clause 0x1b
	buffer_load_dword v3, off, s[0:3], 0 offset:360
	buffer_load_dword v4, off, s[0:3], 0 offset:364
	;; [unrolled: 1-line block ×28, first 2 shown]
	ds_read_b128 v[59:62], v2 offset:768
	ds_read_b128 v[63:66], v2 offset:784
	;; [unrolled: 1-line block ×3, first 2 shown]
	s_mov_b32 s4, exec_lo
	s_waitcnt vmcnt(26) lgkmcnt(2)
	v_mul_f64 v[97:98], v[61:62], v[3:4]
	v_mul_f64 v[3:4], v[59:60], v[3:4]
	s_waitcnt vmcnt(24) lgkmcnt(1)
	v_mul_f64 v[99:100], v[65:66], v[71:72]
	v_mul_f64 v[71:72], v[63:64], v[71:72]
	s_waitcnt vmcnt(22)
	v_fma_f64 v[97:98], v[59:60], v[73:74], -v[97:98]
	v_fma_f64 v[3:4], v[61:62], v[73:74], v[3:4]
	ds_read_b128 v[59:62], v2 offset:816
	s_waitcnt vmcnt(20) lgkmcnt(1)
	v_mul_f64 v[73:74], v[67:68], v[75:76]
	v_mul_f64 v[75:76], v[69:70], v[75:76]
	s_waitcnt vmcnt(18)
	v_fma_f64 v[99:100], v[63:64], v[77:78], -v[99:100]
	v_fma_f64 v[71:72], v[65:66], v[77:78], v[71:72]
	ds_read_b128 v[63:66], v2 offset:832
	s_waitcnt vmcnt(14) lgkmcnt(1)
	v_mul_f64 v[77:78], v[59:60], v[79:80]
	v_add_f64 v[97:98], v[97:98], 0
	v_add_f64 v[3:4], v[3:4], 0
	v_mul_f64 v[79:80], v[61:62], v[79:80]
	s_waitcnt vmcnt(12)
	v_fma_f64 v[75:76], v[67:68], v[85:86], -v[75:76]
	v_fma_f64 v[73:74], v[69:70], v[85:86], v[73:74]
	ds_read_b128 v[67:70], v2 offset:848
	s_waitcnt vmcnt(9)
	v_fma_f64 v[61:62], v[61:62], v[87:88], v[77:78]
	v_add_f64 v[97:98], v[97:98], v[99:100]
	v_add_f64 v[3:4], v[3:4], v[71:72]
	s_waitcnt lgkmcnt(1)
	v_mul_f64 v[71:72], v[63:64], v[81:82]
	v_mul_f64 v[81:82], v[65:66], v[81:82]
	v_fma_f64 v[59:60], v[59:60], v[87:88], -v[79:80]
	s_waitcnt vmcnt(7) lgkmcnt(0)
	v_mul_f64 v[77:78], v[69:70], v[89:90]
	v_add_f64 v[75:76], v[97:98], v[75:76]
	v_add_f64 v[2:3], v[3:4], v[73:74]
	v_mul_f64 v[73:74], v[67:68], v[89:90]
	s_waitcnt vmcnt(6)
	v_fma_f64 v[63:64], v[63:64], v[83:84], -v[81:82]
	v_fma_f64 v[65:66], v[65:66], v[83:84], v[71:72]
	v_add_f64 v[59:60], v[75:76], v[59:60]
	v_add_f64 v[2:3], v[2:3], v[61:62]
	s_waitcnt vmcnt(4)
	v_fma_f64 v[61:62], v[67:68], v[91:92], -v[77:78]
	v_add_f64 v[59:60], v[59:60], v[63:64]
	v_fma_f64 v[63:64], v[69:70], v[91:92], v[73:74]
	v_add_f64 v[2:3], v[2:3], v[65:66]
	v_add_f64 v[59:60], v[59:60], v[61:62]
	;; [unrolled: 1-line block ×3, first 2 shown]
	s_waitcnt vmcnt(2)
	v_add_f64 v[59:60], v[93:94], -v[59:60]
	s_waitcnt vmcnt(0)
	v_add_f64 v[2:3], v[95:96], -v[2:3]
	buffer_store_dword v60, off, s[0:3], 0 offset:340
	buffer_store_dword v59, off, s[0:3], 0 offset:336
	buffer_store_dword v3, off, s[0:3], 0 offset:348
	buffer_store_dword v2, off, s[0:3], 0 offset:344
	v_cmpx_lt_u32_e32 19, v0
	s_cbranch_execz .LBB26_137
; %bb.136:
	v_mov_b32_e32 v2, s17
	s_clause 0x3
	buffer_load_dword v59, v2, s[0:3], 0 offen
	buffer_load_dword v60, v2, s[0:3], 0 offen offset:4
	buffer_load_dword v61, v2, s[0:3], 0 offen offset:8
	;; [unrolled: 1-line block ×3, first 2 shown]
	v_mov_b32_e32 v2, 0
	buffer_store_dword v2, off, s[0:3], 0 offset:320
	buffer_store_dword v2, off, s[0:3], 0 offset:324
	;; [unrolled: 1-line block ×4, first 2 shown]
	s_waitcnt vmcnt(0)
	ds_write_b128 v1, v[59:62]
.LBB26_137:
	s_or_b32 exec_lo, exec_lo, s4
	s_waitcnt lgkmcnt(0)
	s_waitcnt_vscnt null, 0x0
	s_barrier
	buffer_gl0_inv
	s_clause 0x1f
	buffer_load_dword v3, off, s[0:3], 0 offset:344
	buffer_load_dword v4, off, s[0:3], 0 offset:348
	buffer_load_dword v71, off, s[0:3], 0 offset:360
	buffer_load_dword v72, off, s[0:3], 0 offset:364
	buffer_load_dword v73, off, s[0:3], 0 offset:336
	buffer_load_dword v74, off, s[0:3], 0 offset:340
	buffer_load_dword v75, off, s[0:3], 0 offset:376
	buffer_load_dword v76, off, s[0:3], 0 offset:380
	buffer_load_dword v77, off, s[0:3], 0 offset:352
	buffer_load_dword v78, off, s[0:3], 0 offset:356
	buffer_load_dword v80, off, s[0:3], 0 offset:396
	buffer_load_dword v81, off, s[0:3], 0 offset:408
	buffer_load_dword v83, off, s[0:3], 0 offset:400
	buffer_load_dword v79, off, s[0:3], 0 offset:392
	buffer_load_dword v85, off, s[0:3], 0 offset:368
	buffer_load_dword v86, off, s[0:3], 0 offset:372
	buffer_load_dword v82, off, s[0:3], 0 offset:412
	buffer_load_dword v88, off, s[0:3], 0 offset:388
	buffer_load_dword v87, off, s[0:3], 0 offset:384
	buffer_load_dword v90, off, s[0:3], 0 offset:428
	buffer_load_dword v91, off, s[0:3], 0 offset:440
	buffer_load_dword v93, off, s[0:3], 0 offset:432
	buffer_load_dword v89, off, s[0:3], 0 offset:424
	buffer_load_dword v84, off, s[0:3], 0 offset:404
	buffer_load_dword v92, off, s[0:3], 0 offset:444
	buffer_load_dword v96, off, s[0:3], 0 offset:420
	buffer_load_dword v95, off, s[0:3], 0 offset:416
	buffer_load_dword v94, off, s[0:3], 0 offset:436
	buffer_load_dword v97, off, s[0:3], 0 offset:320
	buffer_load_dword v98, off, s[0:3], 0 offset:324
	buffer_load_dword v99, off, s[0:3], 0 offset:328
	buffer_load_dword v100, off, s[0:3], 0 offset:332
	v_mov_b32_e32 v2, 0
	ds_read_b128 v[59:62], v2 offset:752
	ds_read_b128 v[63:66], v2 offset:768
	;; [unrolled: 1-line block ×3, first 2 shown]
	s_mov_b32 s4, exec_lo
	s_waitcnt vmcnt(30) lgkmcnt(2)
	v_mul_f64 v[101:102], v[61:62], v[3:4]
	v_mul_f64 v[3:4], v[59:60], v[3:4]
	s_waitcnt vmcnt(28) lgkmcnt(1)
	v_mul_f64 v[103:104], v[65:66], v[71:72]
	v_mul_f64 v[71:72], v[63:64], v[71:72]
	s_waitcnt vmcnt(26)
	v_fma_f64 v[101:102], v[59:60], v[73:74], -v[101:102]
	v_fma_f64 v[3:4], v[61:62], v[73:74], v[3:4]
	ds_read_b128 v[59:62], v2 offset:800
	s_waitcnt vmcnt(24) lgkmcnt(1)
	v_mul_f64 v[73:74], v[67:68], v[75:76]
	v_mul_f64 v[75:76], v[69:70], v[75:76]
	s_waitcnt vmcnt(22)
	v_fma_f64 v[103:104], v[63:64], v[77:78], -v[103:104]
	v_fma_f64 v[71:72], v[65:66], v[77:78], v[71:72]
	ds_read_b128 v[63:66], v2 offset:816
	s_waitcnt vmcnt(18) lgkmcnt(1)
	v_mul_f64 v[77:78], v[59:60], v[79:80]
	v_add_f64 v[101:102], v[101:102], 0
	v_add_f64 v[3:4], v[3:4], 0
	v_mul_f64 v[79:80], v[61:62], v[79:80]
	s_waitcnt vmcnt(16)
	v_fma_f64 v[75:76], v[67:68], v[85:86], -v[75:76]
	v_fma_f64 v[73:74], v[69:70], v[85:86], v[73:74]
	ds_read_b128 v[67:70], v2 offset:832
	s_waitcnt vmcnt(13)
	v_fma_f64 v[77:78], v[61:62], v[87:88], v[77:78]
	v_add_f64 v[101:102], v[101:102], v[103:104]
	v_add_f64 v[3:4], v[3:4], v[71:72]
	s_waitcnt lgkmcnt(1)
	v_mul_f64 v[71:72], v[63:64], v[81:82]
	v_mul_f64 v[81:82], v[65:66], v[81:82]
	v_fma_f64 v[79:80], v[59:60], v[87:88], -v[79:80]
	s_waitcnt vmcnt(9) lgkmcnt(0)
	v_mul_f64 v[85:86], v[69:70], v[89:90]
	ds_read_b128 v[59:62], v2 offset:848
	v_add_f64 v[75:76], v[101:102], v[75:76]
	v_add_f64 v[3:4], v[3:4], v[73:74]
	v_mul_f64 v[73:74], v[67:68], v[89:90]
	s_waitcnt vmcnt(8)
	v_fma_f64 v[63:64], v[63:64], v[83:84], -v[81:82]
	v_fma_f64 v[65:66], v[65:66], v[83:84], v[71:72]
	s_waitcnt vmcnt(5)
	v_fma_f64 v[67:68], v[67:68], v[95:96], -v[85:86]
	s_waitcnt lgkmcnt(0)
	v_mul_f64 v[71:72], v[59:60], v[91:92]
	v_add_f64 v[75:76], v[75:76], v[79:80]
	v_add_f64 v[3:4], v[3:4], v[77:78]
	v_mul_f64 v[77:78], v[61:62], v[91:92]
	v_fma_f64 v[69:70], v[69:70], v[95:96], v[73:74]
	s_waitcnt vmcnt(4)
	v_fma_f64 v[61:62], v[61:62], v[93:94], v[71:72]
	v_add_f64 v[63:64], v[75:76], v[63:64]
	v_add_f64 v[3:4], v[3:4], v[65:66]
	v_fma_f64 v[59:60], v[59:60], v[93:94], -v[77:78]
	v_add_f64 v[63:64], v[63:64], v[67:68]
	v_add_f64 v[3:4], v[3:4], v[69:70]
	;; [unrolled: 1-line block ×4, first 2 shown]
	s_waitcnt vmcnt(2)
	v_add_f64 v[59:60], v[97:98], -v[59:60]
	s_waitcnt vmcnt(0)
	v_add_f64 v[3:4], v[99:100], -v[3:4]
	buffer_store_dword v60, off, s[0:3], 0 offset:324
	buffer_store_dword v59, off, s[0:3], 0 offset:320
	;; [unrolled: 1-line block ×4, first 2 shown]
	v_cmpx_lt_u32_e32 18, v0
	s_cbranch_execz .LBB26_139
; %bb.138:
	v_mov_b32_e32 v3, s18
	s_clause 0x3
	buffer_load_dword v59, v3, s[0:3], 0 offen
	buffer_load_dword v60, v3, s[0:3], 0 offen offset:4
	buffer_load_dword v61, v3, s[0:3], 0 offen offset:8
	;; [unrolled: 1-line block ×3, first 2 shown]
	buffer_store_dword v2, off, s[0:3], 0 offset:304
	buffer_store_dword v2, off, s[0:3], 0 offset:308
	;; [unrolled: 1-line block ×4, first 2 shown]
	s_waitcnt vmcnt(0)
	ds_write_b128 v1, v[59:62]
.LBB26_139:
	s_or_b32 exec_lo, exec_lo, s4
	s_waitcnt lgkmcnt(0)
	s_waitcnt_vscnt null, 0x0
	s_barrier
	buffer_gl0_inv
	s_clause 0x23
	buffer_load_dword v3, off, s[0:3], 0 offset:328
	buffer_load_dword v4, off, s[0:3], 0 offset:332
	;; [unrolled: 1-line block ×36, first 2 shown]
	ds_read_b128 v[59:62], v2 offset:736
	ds_read_b128 v[63:66], v2 offset:752
	;; [unrolled: 1-line block ×3, first 2 shown]
	s_mov_b32 s4, exec_lo
	s_waitcnt vmcnt(34) lgkmcnt(2)
	v_mul_f64 v[105:106], v[61:62], v[3:4]
	v_mul_f64 v[3:4], v[59:60], v[3:4]
	s_waitcnt vmcnt(32) lgkmcnt(1)
	v_mul_f64 v[107:108], v[65:66], v[71:72]
	v_mul_f64 v[71:72], v[63:64], v[71:72]
	s_waitcnt vmcnt(30)
	v_fma_f64 v[105:106], v[59:60], v[73:74], -v[105:106]
	v_fma_f64 v[3:4], v[61:62], v[73:74], v[3:4]
	ds_read_b128 v[59:62], v2 offset:784
	s_waitcnt vmcnt(28) lgkmcnt(1)
	v_mul_f64 v[73:74], v[67:68], v[75:76]
	v_mul_f64 v[75:76], v[69:70], v[75:76]
	s_waitcnt vmcnt(26)
	v_fma_f64 v[107:108], v[63:64], v[77:78], -v[107:108]
	v_fma_f64 v[71:72], v[65:66], v[77:78], v[71:72]
	ds_read_b128 v[63:66], v2 offset:800
	s_waitcnt vmcnt(22) lgkmcnt(1)
	v_mul_f64 v[77:78], v[59:60], v[79:80]
	v_add_f64 v[105:106], v[105:106], 0
	v_add_f64 v[3:4], v[3:4], 0
	v_mul_f64 v[79:80], v[61:62], v[79:80]
	s_waitcnt vmcnt(20)
	v_fma_f64 v[75:76], v[67:68], v[85:86], -v[75:76]
	v_fma_f64 v[73:74], v[69:70], v[85:86], v[73:74]
	ds_read_b128 v[67:70], v2 offset:816
	s_waitcnt vmcnt(17)
	v_fma_f64 v[77:78], v[61:62], v[87:88], v[77:78]
	v_add_f64 v[105:106], v[105:106], v[107:108]
	v_add_f64 v[3:4], v[3:4], v[71:72]
	s_waitcnt lgkmcnt(1)
	v_mul_f64 v[71:72], v[63:64], v[81:82]
	v_mul_f64 v[81:82], v[65:66], v[81:82]
	v_fma_f64 v[79:80], v[59:60], v[87:88], -v[79:80]
	s_waitcnt vmcnt(13) lgkmcnt(0)
	v_mul_f64 v[85:86], v[69:70], v[89:90]
	ds_read_b128 v[59:62], v2 offset:832
	v_add_f64 v[75:76], v[105:106], v[75:76]
	v_add_f64 v[3:4], v[3:4], v[73:74]
	v_mul_f64 v[73:74], v[67:68], v[89:90]
	s_waitcnt vmcnt(12)
	v_fma_f64 v[81:82], v[63:64], v[83:84], -v[81:82]
	v_fma_f64 v[71:72], v[65:66], v[83:84], v[71:72]
	ds_read_b128 v[63:66], v2 offset:848
	s_waitcnt vmcnt(9)
	v_fma_f64 v[67:68], v[67:68], v[95:96], -v[85:86]
	v_add_f64 v[75:76], v[75:76], v[79:80]
	v_add_f64 v[3:4], v[3:4], v[77:78]
	s_waitcnt lgkmcnt(1)
	v_mul_f64 v[79:80], v[61:62], v[91:92]
	v_mul_f64 v[77:78], v[59:60], v[91:92]
	v_fma_f64 v[69:70], v[69:70], v[95:96], v[73:74]
	s_waitcnt vmcnt(7) lgkmcnt(0)
	v_mul_f64 v[73:74], v[65:66], v[97:98]
	v_add_f64 v[75:76], v[75:76], v[81:82]
	v_add_f64 v[2:3], v[3:4], v[71:72]
	s_waitcnt vmcnt(6)
	v_fma_f64 v[59:60], v[59:60], v[93:94], -v[79:80]
	v_mul_f64 v[71:72], v[63:64], v[97:98]
	v_fma_f64 v[61:62], v[61:62], v[93:94], v[77:78]
	s_waitcnt vmcnt(4)
	v_fma_f64 v[63:64], v[63:64], v[99:100], -v[73:74]
	v_add_f64 v[67:68], v[75:76], v[67:68]
	v_add_f64 v[2:3], v[2:3], v[69:70]
	v_fma_f64 v[65:66], v[65:66], v[99:100], v[71:72]
	v_add_f64 v[59:60], v[67:68], v[59:60]
	v_add_f64 v[2:3], v[2:3], v[61:62]
	v_add_f64 v[59:60], v[59:60], v[63:64]
	v_add_f64 v[2:3], v[2:3], v[65:66]
	s_waitcnt vmcnt(2)
	v_add_f64 v[59:60], v[101:102], -v[59:60]
	s_waitcnt vmcnt(0)
	v_add_f64 v[2:3], v[103:104], -v[2:3]
	buffer_store_dword v60, off, s[0:3], 0 offset:308
	buffer_store_dword v59, off, s[0:3], 0 offset:304
	;; [unrolled: 1-line block ×4, first 2 shown]
	v_cmpx_lt_u32_e32 17, v0
	s_cbranch_execz .LBB26_141
; %bb.140:
	v_mov_b32_e32 v2, s19
	s_clause 0x3
	buffer_load_dword v59, v2, s[0:3], 0 offen
	buffer_load_dword v60, v2, s[0:3], 0 offen offset:4
	buffer_load_dword v61, v2, s[0:3], 0 offen offset:8
	;; [unrolled: 1-line block ×3, first 2 shown]
	v_mov_b32_e32 v2, 0
	buffer_store_dword v2, off, s[0:3], 0 offset:288
	buffer_store_dword v2, off, s[0:3], 0 offset:292
	;; [unrolled: 1-line block ×4, first 2 shown]
	s_waitcnt vmcnt(0)
	ds_write_b128 v1, v[59:62]
.LBB26_141:
	s_or_b32 exec_lo, exec_lo, s4
	s_waitcnt lgkmcnt(0)
	s_waitcnt_vscnt null, 0x0
	s_barrier
	buffer_gl0_inv
	s_clause 0x27
	buffer_load_dword v3, off, s[0:3], 0 offset:312
	buffer_load_dword v4, off, s[0:3], 0 offset:316
	;; [unrolled: 1-line block ×40, first 2 shown]
	v_mov_b32_e32 v2, 0
	ds_read_b128 v[59:62], v2 offset:720
	ds_read_b128 v[63:66], v2 offset:736
	ds_read_b128 v[67:70], v2 offset:752
	s_mov_b32 s4, exec_lo
	s_waitcnt vmcnt(38) lgkmcnt(2)
	v_mul_f64 v[109:110], v[61:62], v[3:4]
	v_mul_f64 v[3:4], v[59:60], v[3:4]
	s_waitcnt vmcnt(36) lgkmcnt(1)
	v_mul_f64 v[111:112], v[65:66], v[71:72]
	v_mul_f64 v[71:72], v[63:64], v[71:72]
	s_waitcnt vmcnt(34)
	v_fma_f64 v[109:110], v[59:60], v[73:74], -v[109:110]
	v_fma_f64 v[3:4], v[61:62], v[73:74], v[3:4]
	ds_read_b128 v[59:62], v2 offset:768
	s_waitcnt vmcnt(32) lgkmcnt(1)
	v_mul_f64 v[73:74], v[67:68], v[75:76]
	v_mul_f64 v[75:76], v[69:70], v[75:76]
	s_waitcnt vmcnt(30)
	v_fma_f64 v[111:112], v[63:64], v[77:78], -v[111:112]
	v_fma_f64 v[71:72], v[65:66], v[77:78], v[71:72]
	ds_read_b128 v[63:66], v2 offset:784
	s_waitcnt vmcnt(26) lgkmcnt(1)
	v_mul_f64 v[77:78], v[59:60], v[79:80]
	v_add_f64 v[109:110], v[109:110], 0
	v_add_f64 v[3:4], v[3:4], 0
	v_mul_f64 v[79:80], v[61:62], v[79:80]
	s_waitcnt vmcnt(24)
	v_fma_f64 v[75:76], v[67:68], v[85:86], -v[75:76]
	v_fma_f64 v[73:74], v[69:70], v[85:86], v[73:74]
	ds_read_b128 v[67:70], v2 offset:800
	s_waitcnt vmcnt(21)
	v_fma_f64 v[77:78], v[61:62], v[87:88], v[77:78]
	v_add_f64 v[109:110], v[109:110], v[111:112]
	v_add_f64 v[3:4], v[3:4], v[71:72]
	s_waitcnt lgkmcnt(1)
	v_mul_f64 v[71:72], v[63:64], v[81:82]
	v_mul_f64 v[81:82], v[65:66], v[81:82]
	v_fma_f64 v[79:80], v[59:60], v[87:88], -v[79:80]
	s_waitcnt vmcnt(17) lgkmcnt(0)
	v_mul_f64 v[85:86], v[69:70], v[89:90]
	ds_read_b128 v[59:62], v2 offset:816
	v_add_f64 v[75:76], v[109:110], v[75:76]
	v_add_f64 v[3:4], v[3:4], v[73:74]
	v_mul_f64 v[73:74], v[67:68], v[89:90]
	s_waitcnt vmcnt(16)
	v_fma_f64 v[81:82], v[63:64], v[83:84], -v[81:82]
	v_fma_f64 v[71:72], v[65:66], v[83:84], v[71:72]
	ds_read_b128 v[63:66], v2 offset:832
	s_waitcnt vmcnt(13)
	v_fma_f64 v[83:84], v[67:68], v[95:96], -v[85:86]
	v_add_f64 v[75:76], v[75:76], v[79:80]
	v_add_f64 v[3:4], v[3:4], v[77:78]
	s_waitcnt lgkmcnt(1)
	v_mul_f64 v[79:80], v[61:62], v[91:92]
	v_mul_f64 v[77:78], v[59:60], v[91:92]
	v_fma_f64 v[73:74], v[69:70], v[95:96], v[73:74]
	ds_read_b128 v[67:70], v2 offset:848
	v_add_f64 v[75:76], v[75:76], v[81:82]
	v_add_f64 v[3:4], v[3:4], v[71:72]
	s_waitcnt vmcnt(9) lgkmcnt(1)
	v_mul_f64 v[81:82], v[65:66], v[97:98]
	s_waitcnt vmcnt(8)
	v_fma_f64 v[59:60], v[59:60], v[93:94], -v[79:80]
	v_mul_f64 v[71:72], v[63:64], v[97:98]
	v_fma_f64 v[61:62], v[61:62], v[93:94], v[77:78]
	s_waitcnt vmcnt(7) lgkmcnt(0)
	v_mul_f64 v[77:78], v[69:70], v[99:100]
	v_add_f64 v[75:76], v[75:76], v[83:84]
	v_add_f64 v[3:4], v[3:4], v[73:74]
	s_waitcnt vmcnt(5)
	v_fma_f64 v[63:64], v[63:64], v[103:104], -v[81:82]
	v_mul_f64 v[73:74], v[67:68], v[99:100]
	v_fma_f64 v[65:66], v[65:66], v[103:104], v[71:72]
	v_add_f64 v[59:60], v[75:76], v[59:60]
	v_add_f64 v[3:4], v[3:4], v[61:62]
	s_waitcnt vmcnt(4)
	v_fma_f64 v[61:62], v[67:68], v[101:102], -v[77:78]
	v_add_f64 v[59:60], v[59:60], v[63:64]
	v_fma_f64 v[63:64], v[69:70], v[101:102], v[73:74]
	v_add_f64 v[3:4], v[3:4], v[65:66]
	v_add_f64 v[59:60], v[59:60], v[61:62]
	;; [unrolled: 1-line block ×3, first 2 shown]
	s_waitcnt vmcnt(2)
	v_add_f64 v[59:60], v[105:106], -v[59:60]
	s_waitcnt vmcnt(0)
	v_add_f64 v[3:4], v[107:108], -v[3:4]
	buffer_store_dword v60, off, s[0:3], 0 offset:292
	buffer_store_dword v59, off, s[0:3], 0 offset:288
	;; [unrolled: 1-line block ×4, first 2 shown]
	v_cmpx_lt_u32_e32 16, v0
	s_cbranch_execz .LBB26_143
; %bb.142:
	v_mov_b32_e32 v3, s22
	s_clause 0x3
	buffer_load_dword v59, v3, s[0:3], 0 offen
	buffer_load_dword v60, v3, s[0:3], 0 offen offset:4
	buffer_load_dword v61, v3, s[0:3], 0 offen offset:8
	;; [unrolled: 1-line block ×3, first 2 shown]
	buffer_store_dword v2, off, s[0:3], 0 offset:272
	buffer_store_dword v2, off, s[0:3], 0 offset:276
	;; [unrolled: 1-line block ×4, first 2 shown]
	s_waitcnt vmcnt(0)
	ds_write_b128 v1, v[59:62]
.LBB26_143:
	s_or_b32 exec_lo, exec_lo, s4
	s_waitcnt lgkmcnt(0)
	s_waitcnt_vscnt null, 0x0
	s_barrier
	buffer_gl0_inv
	s_clause 0x2b
	buffer_load_dword v3, off, s[0:3], 0 offset:296
	buffer_load_dword v4, off, s[0:3], 0 offset:300
	;; [unrolled: 1-line block ×44, first 2 shown]
	ds_read_b128 v[59:62], v2 offset:704
	ds_read_b128 v[63:66], v2 offset:720
	;; [unrolled: 1-line block ×3, first 2 shown]
	s_mov_b32 s4, exec_lo
	s_waitcnt vmcnt(42) lgkmcnt(2)
	v_mul_f64 v[113:114], v[61:62], v[3:4]
	v_mul_f64 v[3:4], v[59:60], v[3:4]
	s_waitcnt vmcnt(40) lgkmcnt(1)
	v_mul_f64 v[115:116], v[65:66], v[71:72]
	v_mul_f64 v[71:72], v[63:64], v[71:72]
	s_waitcnt vmcnt(38)
	v_fma_f64 v[113:114], v[59:60], v[73:74], -v[113:114]
	v_fma_f64 v[3:4], v[61:62], v[73:74], v[3:4]
	ds_read_b128 v[59:62], v2 offset:752
	s_waitcnt vmcnt(36) lgkmcnt(1)
	v_mul_f64 v[73:74], v[67:68], v[75:76]
	v_mul_f64 v[75:76], v[69:70], v[75:76]
	s_waitcnt vmcnt(34)
	v_fma_f64 v[115:116], v[63:64], v[77:78], -v[115:116]
	v_fma_f64 v[71:72], v[65:66], v[77:78], v[71:72]
	ds_read_b128 v[63:66], v2 offset:768
	s_waitcnt vmcnt(30) lgkmcnt(1)
	v_mul_f64 v[77:78], v[59:60], v[79:80]
	v_add_f64 v[113:114], v[113:114], 0
	v_add_f64 v[3:4], v[3:4], 0
	v_mul_f64 v[79:80], v[61:62], v[79:80]
	s_waitcnt vmcnt(28)
	v_fma_f64 v[75:76], v[67:68], v[85:86], -v[75:76]
	v_fma_f64 v[73:74], v[69:70], v[85:86], v[73:74]
	ds_read_b128 v[67:70], v2 offset:784
	s_waitcnt vmcnt(25)
	v_fma_f64 v[77:78], v[61:62], v[87:88], v[77:78]
	v_add_f64 v[113:114], v[113:114], v[115:116]
	v_add_f64 v[3:4], v[3:4], v[71:72]
	s_waitcnt lgkmcnt(1)
	v_mul_f64 v[71:72], v[63:64], v[81:82]
	v_mul_f64 v[81:82], v[65:66], v[81:82]
	v_fma_f64 v[79:80], v[59:60], v[87:88], -v[79:80]
	s_waitcnt vmcnt(21) lgkmcnt(0)
	v_mul_f64 v[85:86], v[69:70], v[89:90]
	ds_read_b128 v[59:62], v2 offset:800
	v_add_f64 v[75:76], v[113:114], v[75:76]
	v_add_f64 v[3:4], v[3:4], v[73:74]
	v_mul_f64 v[73:74], v[67:68], v[89:90]
	s_waitcnt vmcnt(20)
	v_fma_f64 v[81:82], v[63:64], v[83:84], -v[81:82]
	v_fma_f64 v[71:72], v[65:66], v[83:84], v[71:72]
	ds_read_b128 v[63:66], v2 offset:816
	s_waitcnt vmcnt(17)
	v_fma_f64 v[83:84], v[67:68], v[95:96], -v[85:86]
	v_add_f64 v[75:76], v[75:76], v[79:80]
	v_add_f64 v[3:4], v[3:4], v[77:78]
	s_waitcnt lgkmcnt(1)
	v_mul_f64 v[79:80], v[61:62], v[91:92]
	v_mul_f64 v[77:78], v[59:60], v[91:92]
	v_fma_f64 v[73:74], v[69:70], v[95:96], v[73:74]
	ds_read_b128 v[67:70], v2 offset:832
	v_add_f64 v[75:76], v[75:76], v[81:82]
	v_add_f64 v[3:4], v[3:4], v[71:72]
	s_waitcnt vmcnt(13) lgkmcnt(1)
	v_mul_f64 v[81:82], v[65:66], v[97:98]
	s_waitcnt vmcnt(12)
	v_fma_f64 v[79:80], v[59:60], v[93:94], -v[79:80]
	v_mul_f64 v[71:72], v[63:64], v[97:98]
	v_fma_f64 v[77:78], v[61:62], v[93:94], v[77:78]
	ds_read_b128 v[59:62], v2 offset:848
	v_add_f64 v[75:76], v[75:76], v[83:84]
	v_add_f64 v[3:4], v[3:4], v[73:74]
	s_waitcnt vmcnt(11) lgkmcnt(1)
	v_mul_f64 v[83:84], v[69:70], v[99:100]
	s_waitcnt vmcnt(9)
	v_fma_f64 v[63:64], v[63:64], v[103:104], -v[81:82]
	v_mul_f64 v[73:74], v[67:68], v[99:100]
	v_fma_f64 v[65:66], v[65:66], v[103:104], v[71:72]
	s_waitcnt vmcnt(7) lgkmcnt(0)
	v_mul_f64 v[71:72], v[59:60], v[105:106]
	v_add_f64 v[75:76], v[75:76], v[79:80]
	v_add_f64 v[2:3], v[3:4], v[77:78]
	v_mul_f64 v[77:78], v[61:62], v[105:106]
	s_waitcnt vmcnt(6)
	v_fma_f64 v[67:68], v[67:68], v[101:102], -v[83:84]
	v_fma_f64 v[69:70], v[69:70], v[101:102], v[73:74]
	s_waitcnt vmcnt(4)
	v_fma_f64 v[61:62], v[61:62], v[107:108], v[71:72]
	v_add_f64 v[63:64], v[75:76], v[63:64]
	v_add_f64 v[2:3], v[2:3], v[65:66]
	v_fma_f64 v[59:60], v[59:60], v[107:108], -v[77:78]
	v_add_f64 v[63:64], v[63:64], v[67:68]
	v_add_f64 v[2:3], v[2:3], v[69:70]
	;; [unrolled: 1-line block ×4, first 2 shown]
	s_waitcnt vmcnt(2)
	v_add_f64 v[59:60], v[109:110], -v[59:60]
	s_waitcnt vmcnt(0)
	v_add_f64 v[2:3], v[111:112], -v[2:3]
	buffer_store_dword v60, off, s[0:3], 0 offset:276
	buffer_store_dword v59, off, s[0:3], 0 offset:272
	;; [unrolled: 1-line block ×4, first 2 shown]
	v_cmpx_lt_u32_e32 15, v0
	s_cbranch_execz .LBB26_145
; %bb.144:
	v_mov_b32_e32 v2, s23
	s_clause 0x3
	buffer_load_dword v59, v2, s[0:3], 0 offen
	buffer_load_dword v60, v2, s[0:3], 0 offen offset:4
	buffer_load_dword v61, v2, s[0:3], 0 offen offset:8
	;; [unrolled: 1-line block ×3, first 2 shown]
	v_mov_b32_e32 v2, 0
	buffer_store_dword v2, off, s[0:3], 0 offset:256
	buffer_store_dword v2, off, s[0:3], 0 offset:260
	;; [unrolled: 1-line block ×4, first 2 shown]
	s_waitcnt vmcnt(0)
	ds_write_b128 v1, v[59:62]
.LBB26_145:
	s_or_b32 exec_lo, exec_lo, s4
	s_waitcnt lgkmcnt(0)
	s_waitcnt_vscnt null, 0x0
	s_barrier
	buffer_gl0_inv
	s_clause 0x2f
	buffer_load_dword v3, off, s[0:3], 0 offset:280
	buffer_load_dword v4, off, s[0:3], 0 offset:284
	;; [unrolled: 1-line block ×48, first 2 shown]
	v_mov_b32_e32 v2, 0
	ds_read_b128 v[59:62], v2 offset:688
	ds_read_b128 v[63:66], v2 offset:704
	;; [unrolled: 1-line block ×3, first 2 shown]
	s_mov_b32 s4, exec_lo
	s_waitcnt vmcnt(46) lgkmcnt(2)
	v_mul_f64 v[117:118], v[61:62], v[3:4]
	v_mul_f64 v[3:4], v[59:60], v[3:4]
	s_waitcnt vmcnt(44) lgkmcnt(1)
	v_mul_f64 v[119:120], v[65:66], v[71:72]
	v_mul_f64 v[71:72], v[63:64], v[71:72]
	s_waitcnt vmcnt(42)
	v_fma_f64 v[117:118], v[59:60], v[73:74], -v[117:118]
	v_fma_f64 v[3:4], v[61:62], v[73:74], v[3:4]
	ds_read_b128 v[59:62], v2 offset:736
	s_waitcnt vmcnt(40) lgkmcnt(1)
	v_mul_f64 v[73:74], v[67:68], v[75:76]
	v_mul_f64 v[75:76], v[69:70], v[75:76]
	s_waitcnt vmcnt(38)
	v_fma_f64 v[119:120], v[63:64], v[77:78], -v[119:120]
	v_fma_f64 v[71:72], v[65:66], v[77:78], v[71:72]
	ds_read_b128 v[63:66], v2 offset:752
	s_waitcnt vmcnt(34) lgkmcnt(1)
	v_mul_f64 v[77:78], v[59:60], v[79:80]
	v_add_f64 v[117:118], v[117:118], 0
	v_add_f64 v[3:4], v[3:4], 0
	v_mul_f64 v[79:80], v[61:62], v[79:80]
	s_waitcnt vmcnt(32)
	v_fma_f64 v[75:76], v[67:68], v[85:86], -v[75:76]
	v_fma_f64 v[73:74], v[69:70], v[85:86], v[73:74]
	ds_read_b128 v[67:70], v2 offset:768
	s_waitcnt vmcnt(29)
	v_fma_f64 v[77:78], v[61:62], v[87:88], v[77:78]
	v_add_f64 v[117:118], v[117:118], v[119:120]
	v_add_f64 v[3:4], v[3:4], v[71:72]
	s_waitcnt lgkmcnt(1)
	v_mul_f64 v[71:72], v[63:64], v[81:82]
	v_mul_f64 v[81:82], v[65:66], v[81:82]
	v_fma_f64 v[79:80], v[59:60], v[87:88], -v[79:80]
	s_waitcnt vmcnt(25) lgkmcnt(0)
	v_mul_f64 v[85:86], v[69:70], v[89:90]
	ds_read_b128 v[59:62], v2 offset:784
	v_add_f64 v[75:76], v[117:118], v[75:76]
	v_add_f64 v[3:4], v[3:4], v[73:74]
	v_mul_f64 v[73:74], v[67:68], v[89:90]
	s_waitcnt vmcnt(24)
	v_fma_f64 v[81:82], v[63:64], v[83:84], -v[81:82]
	v_fma_f64 v[71:72], v[65:66], v[83:84], v[71:72]
	ds_read_b128 v[63:66], v2 offset:800
	s_waitcnt vmcnt(21)
	v_fma_f64 v[83:84], v[67:68], v[95:96], -v[85:86]
	v_add_f64 v[75:76], v[75:76], v[79:80]
	v_add_f64 v[3:4], v[3:4], v[77:78]
	s_waitcnt lgkmcnt(1)
	v_mul_f64 v[79:80], v[61:62], v[91:92]
	v_mul_f64 v[77:78], v[59:60], v[91:92]
	v_fma_f64 v[73:74], v[69:70], v[95:96], v[73:74]
	ds_read_b128 v[67:70], v2 offset:816
	v_add_f64 v[75:76], v[75:76], v[81:82]
	v_add_f64 v[3:4], v[3:4], v[71:72]
	s_waitcnt vmcnt(17) lgkmcnt(1)
	v_mul_f64 v[81:82], v[65:66], v[97:98]
	s_waitcnt vmcnt(16)
	v_fma_f64 v[79:80], v[59:60], v[93:94], -v[79:80]
	v_mul_f64 v[71:72], v[63:64], v[97:98]
	v_fma_f64 v[77:78], v[61:62], v[93:94], v[77:78]
	ds_read_b128 v[59:62], v2 offset:832
	v_add_f64 v[75:76], v[75:76], v[83:84]
	v_add_f64 v[3:4], v[3:4], v[73:74]
	s_waitcnt vmcnt(15) lgkmcnt(1)
	v_mul_f64 v[83:84], v[69:70], v[99:100]
	s_waitcnt vmcnt(13)
	v_fma_f64 v[81:82], v[63:64], v[103:104], -v[81:82]
	;; [unrolled: 9-line block ×3, first 2 shown]
	v_mul_f64 v[77:78], v[59:60], v[105:106]
	v_fma_f64 v[69:70], v[69:70], v[101:102], v[73:74]
	s_waitcnt vmcnt(7) lgkmcnt(0)
	v_mul_f64 v[73:74], v[65:66], v[107:108]
	v_add_f64 v[75:76], v[75:76], v[81:82]
	v_add_f64 v[3:4], v[3:4], v[71:72]
	s_waitcnt vmcnt(5)
	v_fma_f64 v[59:60], v[59:60], v[111:112], -v[79:80]
	v_mul_f64 v[71:72], v[63:64], v[107:108]
	v_fma_f64 v[61:62], v[61:62], v[111:112], v[77:78]
	s_waitcnt vmcnt(4)
	v_fma_f64 v[63:64], v[63:64], v[109:110], -v[73:74]
	v_add_f64 v[67:68], v[75:76], v[67:68]
	v_add_f64 v[3:4], v[3:4], v[69:70]
	v_fma_f64 v[65:66], v[65:66], v[109:110], v[71:72]
	v_add_f64 v[59:60], v[67:68], v[59:60]
	v_add_f64 v[3:4], v[3:4], v[61:62]
	;; [unrolled: 1-line block ×4, first 2 shown]
	s_waitcnt vmcnt(2)
	v_add_f64 v[59:60], v[113:114], -v[59:60]
	s_waitcnt vmcnt(0)
	v_add_f64 v[3:4], v[115:116], -v[3:4]
	buffer_store_dword v60, off, s[0:3], 0 offset:260
	buffer_store_dword v59, off, s[0:3], 0 offset:256
	;; [unrolled: 1-line block ×4, first 2 shown]
	v_cmpx_lt_u32_e32 14, v0
	s_cbranch_execz .LBB26_147
; %bb.146:
	v_mov_b32_e32 v3, s24
	s_clause 0x3
	buffer_load_dword v59, v3, s[0:3], 0 offen
	buffer_load_dword v60, v3, s[0:3], 0 offen offset:4
	buffer_load_dword v61, v3, s[0:3], 0 offen offset:8
	;; [unrolled: 1-line block ×3, first 2 shown]
	buffer_store_dword v2, off, s[0:3], 0 offset:240
	buffer_store_dword v2, off, s[0:3], 0 offset:244
	;; [unrolled: 1-line block ×4, first 2 shown]
	s_waitcnt vmcnt(0)
	ds_write_b128 v1, v[59:62]
.LBB26_147:
	s_or_b32 exec_lo, exec_lo, s4
	s_waitcnt lgkmcnt(0)
	s_waitcnt_vscnt null, 0x0
	s_barrier
	buffer_gl0_inv
	s_clause 0x2f
	buffer_load_dword v3, off, s[0:3], 0 offset:264
	buffer_load_dword v4, off, s[0:3], 0 offset:268
	;; [unrolled: 1-line block ×48, first 2 shown]
	ds_read_b128 v[59:62], v2 offset:672
	s_clause 0x3
	buffer_load_dword v117, off, s[0:3], 0 offset:240
	buffer_load_dword v118, off, s[0:3], 0 offset:244
	buffer_load_dword v119, off, s[0:3], 0 offset:248
	buffer_load_dword v120, off, s[0:3], 0 offset:252
	ds_read_b128 v[63:66], v2 offset:688
	ds_read_b128 v[67:70], v2 offset:704
	s_mov_b32 s4, exec_lo
	s_waitcnt vmcnt(50) lgkmcnt(2)
	v_mul_f64 v[121:122], v[61:62], v[3:4]
	v_mul_f64 v[3:4], v[59:60], v[3:4]
	s_waitcnt vmcnt(48) lgkmcnt(1)
	v_mul_f64 v[123:124], v[65:66], v[71:72]
	v_mul_f64 v[71:72], v[63:64], v[71:72]
	s_waitcnt vmcnt(46)
	v_fma_f64 v[121:122], v[59:60], v[73:74], -v[121:122]
	v_fma_f64 v[3:4], v[61:62], v[73:74], v[3:4]
	s_waitcnt vmcnt(44) lgkmcnt(0)
	v_mul_f64 v[73:74], v[67:68], v[75:76]
	v_mul_f64 v[75:76], v[69:70], v[75:76]
	s_waitcnt vmcnt(42)
	v_fma_f64 v[123:124], v[63:64], v[77:78], -v[123:124]
	ds_read_b128 v[59:62], v2 offset:720
	v_fma_f64 v[71:72], v[65:66], v[77:78], v[71:72]
	ds_read_b128 v[63:66], v2 offset:736
	v_add_f64 v[121:122], v[121:122], 0
	v_add_f64 v[3:4], v[3:4], 0
	s_waitcnt vmcnt(36)
	v_fma_f64 v[73:74], v[69:70], v[85:86], v[73:74]
	s_waitcnt lgkmcnt(1)
	v_mul_f64 v[77:78], v[59:60], v[79:80]
	v_mul_f64 v[79:80], v[61:62], v[79:80]
	v_fma_f64 v[75:76], v[67:68], v[85:86], -v[75:76]
	ds_read_b128 v[67:70], v2 offset:752
	v_add_f64 v[121:122], v[121:122], v[123:124]
	v_add_f64 v[3:4], v[3:4], v[71:72]
	s_waitcnt vmcnt(35) lgkmcnt(1)
	v_mul_f64 v[71:72], v[63:64], v[81:82]
	v_mul_f64 v[81:82], v[65:66], v[81:82]
	s_waitcnt vmcnt(33)
	v_fma_f64 v[79:80], v[59:60], v[87:88], -v[79:80]
	v_fma_f64 v[77:78], v[61:62], v[87:88], v[77:78]
	ds_read_b128 v[59:62], v2 offset:768
	s_waitcnt vmcnt(29) lgkmcnt(1)
	v_mul_f64 v[85:86], v[69:70], v[89:90]
	v_add_f64 v[75:76], v[121:122], v[75:76]
	v_add_f64 v[3:4], v[3:4], v[73:74]
	v_mul_f64 v[73:74], v[67:68], v[89:90]
	s_waitcnt vmcnt(28)
	v_fma_f64 v[81:82], v[63:64], v[83:84], -v[81:82]
	v_fma_f64 v[71:72], v[65:66], v[83:84], v[71:72]
	ds_read_b128 v[63:66], v2 offset:784
	s_waitcnt vmcnt(25)
	v_fma_f64 v[83:84], v[67:68], v[95:96], -v[85:86]
	v_add_f64 v[75:76], v[75:76], v[79:80]
	v_add_f64 v[3:4], v[3:4], v[77:78]
	s_waitcnt lgkmcnt(1)
	v_mul_f64 v[79:80], v[61:62], v[91:92]
	v_mul_f64 v[77:78], v[59:60], v[91:92]
	v_fma_f64 v[73:74], v[69:70], v[95:96], v[73:74]
	ds_read_b128 v[67:70], v2 offset:800
	v_add_f64 v[75:76], v[75:76], v[81:82]
	v_add_f64 v[3:4], v[3:4], v[71:72]
	s_waitcnt vmcnt(21) lgkmcnt(1)
	v_mul_f64 v[81:82], v[65:66], v[97:98]
	s_waitcnt vmcnt(20)
	v_fma_f64 v[79:80], v[59:60], v[93:94], -v[79:80]
	v_mul_f64 v[71:72], v[63:64], v[97:98]
	v_fma_f64 v[77:78], v[61:62], v[93:94], v[77:78]
	ds_read_b128 v[59:62], v2 offset:816
	v_add_f64 v[75:76], v[75:76], v[83:84]
	v_add_f64 v[3:4], v[3:4], v[73:74]
	s_waitcnt vmcnt(19) lgkmcnt(1)
	v_mul_f64 v[83:84], v[69:70], v[99:100]
	s_waitcnt vmcnt(17)
	v_fma_f64 v[81:82], v[63:64], v[103:104], -v[81:82]
	;; [unrolled: 9-line block ×4, first 2 shown]
	v_mul_f64 v[71:72], v[63:64], v[107:108]
	v_fma_f64 v[61:62], v[61:62], v[111:112], v[77:78]
	s_waitcnt vmcnt(7) lgkmcnt(0)
	v_mul_f64 v[77:78], v[69:70], v[113:114]
	v_add_f64 v[75:76], v[75:76], v[83:84]
	v_add_f64 v[2:3], v[3:4], v[73:74]
	s_waitcnt vmcnt(6)
	v_fma_f64 v[63:64], v[63:64], v[109:110], -v[81:82]
	v_mul_f64 v[73:74], v[67:68], v[113:114]
	v_fma_f64 v[65:66], v[65:66], v[109:110], v[71:72]
	v_add_f64 v[59:60], v[75:76], v[59:60]
	v_add_f64 v[2:3], v[2:3], v[61:62]
	s_waitcnt vmcnt(4)
	v_fma_f64 v[61:62], v[67:68], v[115:116], -v[77:78]
	v_add_f64 v[59:60], v[59:60], v[63:64]
	v_fma_f64 v[63:64], v[69:70], v[115:116], v[73:74]
	v_add_f64 v[2:3], v[2:3], v[65:66]
	v_add_f64 v[59:60], v[59:60], v[61:62]
	;; [unrolled: 1-line block ×3, first 2 shown]
	s_waitcnt vmcnt(2)
	v_add_f64 v[59:60], v[117:118], -v[59:60]
	s_waitcnt vmcnt(0)
	v_add_f64 v[2:3], v[119:120], -v[2:3]
	buffer_store_dword v60, off, s[0:3], 0 offset:244
	buffer_store_dword v59, off, s[0:3], 0 offset:240
	;; [unrolled: 1-line block ×4, first 2 shown]
	v_cmpx_lt_u32_e32 13, v0
	s_cbranch_execz .LBB26_149
; %bb.148:
	v_mov_b32_e32 v2, s25
	s_clause 0x3
	buffer_load_dword v59, v2, s[0:3], 0 offen
	buffer_load_dword v60, v2, s[0:3], 0 offen offset:4
	buffer_load_dword v61, v2, s[0:3], 0 offen offset:8
	;; [unrolled: 1-line block ×3, first 2 shown]
	v_mov_b32_e32 v2, 0
	buffer_store_dword v2, off, s[0:3], 0 offset:224
	buffer_store_dword v2, off, s[0:3], 0 offset:228
	;; [unrolled: 1-line block ×4, first 2 shown]
	s_waitcnt vmcnt(0)
	ds_write_b128 v1, v[59:62]
.LBB26_149:
	s_or_b32 exec_lo, exec_lo, s4
	s_waitcnt lgkmcnt(0)
	s_waitcnt_vscnt null, 0x0
	s_barrier
	buffer_gl0_inv
	s_clause 0x33
	buffer_load_dword v3, off, s[0:3], 0 offset:248
	buffer_load_dword v4, off, s[0:3], 0 offset:252
	;; [unrolled: 1-line block ×52, first 2 shown]
	v_mov_b32_e32 v2, 0
	ds_read_b128 v[59:62], v2 offset:656
	ds_read_b128 v[63:66], v2 offset:672
	s_clause 0x3
	buffer_load_dword v123, off, s[0:3], 0 offset:224
	buffer_load_dword v124, off, s[0:3], 0 offset:228
	;; [unrolled: 1-line block ×4, first 2 shown]
	ds_read_b128 v[67:70], v2 offset:688
	s_mov_b32 s4, exec_lo
	s_waitcnt vmcnt(54) lgkmcnt(2)
	v_mul_f64 v[121:122], v[61:62], v[3:4]
	v_mul_f64 v[3:4], v[59:60], v[3:4]
	s_waitcnt vmcnt(52) lgkmcnt(1)
	v_mul_f64 v[127:128], v[65:66], v[71:72]
	v_mul_f64 v[71:72], v[63:64], v[71:72]
	s_waitcnt vmcnt(50)
	v_fma_f64 v[121:122], v[59:60], v[73:74], -v[121:122]
	v_fma_f64 v[3:4], v[61:62], v[73:74], v[3:4]
	ds_read_b128 v[59:62], v2 offset:704
	s_waitcnt vmcnt(48) lgkmcnt(1)
	v_mul_f64 v[73:74], v[67:68], v[75:76]
	v_mul_f64 v[75:76], v[69:70], v[75:76]
	s_waitcnt vmcnt(46)
	v_fma_f64 v[127:128], v[63:64], v[77:78], -v[127:128]
	v_fma_f64 v[71:72], v[65:66], v[77:78], v[71:72]
	ds_read_b128 v[63:66], v2 offset:720
	s_waitcnt vmcnt(42) lgkmcnt(1)
	v_mul_f64 v[77:78], v[59:60], v[79:80]
	v_add_f64 v[121:122], v[121:122], 0
	v_add_f64 v[3:4], v[3:4], 0
	v_mul_f64 v[79:80], v[61:62], v[79:80]
	s_waitcnt vmcnt(40)
	v_fma_f64 v[75:76], v[67:68], v[85:86], -v[75:76]
	v_fma_f64 v[73:74], v[69:70], v[85:86], v[73:74]
	ds_read_b128 v[67:70], v2 offset:736
	s_waitcnt vmcnt(37)
	v_fma_f64 v[77:78], v[61:62], v[87:88], v[77:78]
	v_add_f64 v[121:122], v[121:122], v[127:128]
	v_add_f64 v[3:4], v[3:4], v[71:72]
	s_waitcnt lgkmcnt(1)
	v_mul_f64 v[71:72], v[63:64], v[81:82]
	v_mul_f64 v[81:82], v[65:66], v[81:82]
	v_fma_f64 v[79:80], v[59:60], v[87:88], -v[79:80]
	s_waitcnt vmcnt(33) lgkmcnt(0)
	v_mul_f64 v[85:86], v[69:70], v[89:90]
	ds_read_b128 v[59:62], v2 offset:752
	v_add_f64 v[75:76], v[121:122], v[75:76]
	v_add_f64 v[3:4], v[3:4], v[73:74]
	v_mul_f64 v[73:74], v[67:68], v[89:90]
	s_waitcnt vmcnt(32)
	v_fma_f64 v[81:82], v[63:64], v[83:84], -v[81:82]
	v_fma_f64 v[71:72], v[65:66], v[83:84], v[71:72]
	ds_read_b128 v[63:66], v2 offset:768
	s_waitcnt vmcnt(29)
	v_fma_f64 v[83:84], v[67:68], v[95:96], -v[85:86]
	v_add_f64 v[75:76], v[75:76], v[79:80]
	v_add_f64 v[3:4], v[3:4], v[77:78]
	s_waitcnt lgkmcnt(1)
	v_mul_f64 v[79:80], v[61:62], v[91:92]
	v_mul_f64 v[77:78], v[59:60], v[91:92]
	v_fma_f64 v[73:74], v[69:70], v[95:96], v[73:74]
	ds_read_b128 v[67:70], v2 offset:784
	v_add_f64 v[75:76], v[75:76], v[81:82]
	v_add_f64 v[3:4], v[3:4], v[71:72]
	s_waitcnt vmcnt(25) lgkmcnt(1)
	v_mul_f64 v[81:82], v[65:66], v[97:98]
	s_waitcnt vmcnt(24)
	v_fma_f64 v[79:80], v[59:60], v[93:94], -v[79:80]
	v_mul_f64 v[71:72], v[63:64], v[97:98]
	v_fma_f64 v[77:78], v[61:62], v[93:94], v[77:78]
	ds_read_b128 v[59:62], v2 offset:800
	v_add_f64 v[75:76], v[75:76], v[83:84]
	v_add_f64 v[3:4], v[3:4], v[73:74]
	s_waitcnt vmcnt(23) lgkmcnt(1)
	v_mul_f64 v[83:84], v[69:70], v[99:100]
	s_waitcnt vmcnt(21)
	v_fma_f64 v[81:82], v[63:64], v[103:104], -v[81:82]
	;; [unrolled: 9-line block ×5, first 2 shown]
	v_mul_f64 v[73:74], v[67:68], v[113:114]
	v_fma_f64 v[65:66], v[65:66], v[109:110], v[71:72]
	s_waitcnt vmcnt(7) lgkmcnt(0)
	v_mul_f64 v[71:72], v[59:60], v[115:116]
	v_add_f64 v[75:76], v[75:76], v[79:80]
	v_add_f64 v[3:4], v[3:4], v[77:78]
	v_mul_f64 v[77:78], v[61:62], v[115:116]
	s_waitcnt vmcnt(5)
	v_fma_f64 v[67:68], v[67:68], v[119:120], -v[83:84]
	v_fma_f64 v[69:70], v[69:70], v[119:120], v[73:74]
	s_waitcnt vmcnt(4)
	v_fma_f64 v[61:62], v[61:62], v[117:118], v[71:72]
	v_add_f64 v[63:64], v[75:76], v[63:64]
	v_add_f64 v[3:4], v[3:4], v[65:66]
	v_fma_f64 v[59:60], v[59:60], v[117:118], -v[77:78]
	v_add_f64 v[63:64], v[63:64], v[67:68]
	v_add_f64 v[3:4], v[3:4], v[69:70]
	;; [unrolled: 1-line block ×4, first 2 shown]
	s_waitcnt vmcnt(2)
	v_add_f64 v[59:60], v[123:124], -v[59:60]
	s_waitcnt vmcnt(0)
	v_add_f64 v[3:4], v[125:126], -v[3:4]
	buffer_store_dword v60, off, s[0:3], 0 offset:228
	buffer_store_dword v59, off, s[0:3], 0 offset:224
	;; [unrolled: 1-line block ×4, first 2 shown]
	v_cmpx_lt_u32_e32 12, v0
	s_cbranch_execz .LBB26_151
; %bb.150:
	v_mov_b32_e32 v3, s26
	s_clause 0x3
	buffer_load_dword v59, v3, s[0:3], 0 offen
	buffer_load_dword v60, v3, s[0:3], 0 offen offset:4
	buffer_load_dword v61, v3, s[0:3], 0 offen offset:8
	;; [unrolled: 1-line block ×3, first 2 shown]
	buffer_store_dword v2, off, s[0:3], 0 offset:208
	buffer_store_dword v2, off, s[0:3], 0 offset:212
	buffer_store_dword v2, off, s[0:3], 0 offset:216
	buffer_store_dword v2, off, s[0:3], 0 offset:220
	s_waitcnt vmcnt(0)
	ds_write_b128 v1, v[59:62]
.LBB26_151:
	s_or_b32 exec_lo, exec_lo, s4
	s_waitcnt lgkmcnt(0)
	s_waitcnt_vscnt null, 0x0
	s_barrier
	buffer_gl0_inv
	s_clause 0x35
	buffer_load_dword v3, off, s[0:3], 0 offset:232
	buffer_load_dword v4, off, s[0:3], 0 offset:236
	;; [unrolled: 1-line block ×54, first 2 shown]
	ds_read_b128 v[59:62], v2 offset:640
	s_clause 0x1
	buffer_load_dword v124, off, s[0:3], 0 offset:436
	buffer_load_dword v123, off, s[0:3], 0 offset:432
	ds_read_b128 v[63:66], v2 offset:656
	ds_read_b128 v[67:70], v2 offset:672
	s_mov_b32 s4, exec_lo
	s_waitcnt vmcnt(54) lgkmcnt(2)
	v_mul_f64 v[125:126], v[61:62], v[3:4]
	v_mul_f64 v[3:4], v[59:60], v[3:4]
	s_waitcnt vmcnt(52) lgkmcnt(1)
	v_mul_f64 v[127:128], v[65:66], v[71:72]
	v_mul_f64 v[71:72], v[63:64], v[71:72]
	s_waitcnt vmcnt(48) lgkmcnt(0)
	v_mul_f64 v[131:132], v[67:68], v[75:76]
	v_mul_f64 v[75:76], v[69:70], v[75:76]
	v_fma_f64 v[125:126], v[59:60], v[73:74], -v[125:126]
	v_fma_f64 v[3:4], v[61:62], v[73:74], v[3:4]
	s_clause 0x3
	buffer_load_dword v73, off, s[0:3], 0 offset:208
	buffer_load_dword v74, off, s[0:3], 0 offset:212
	;; [unrolled: 1-line block ×4, first 2 shown]
	s_waitcnt vmcnt(50)
	v_fma_f64 v[127:128], v[63:64], v[77:78], -v[127:128]
	ds_read_b128 v[59:62], v2 offset:688
	v_fma_f64 v[71:72], v[65:66], v[77:78], v[71:72]
	ds_read_b128 v[63:66], v2 offset:704
	s_waitcnt vmcnt(44)
	v_fma_f64 v[75:76], v[67:68], v[85:86], -v[75:76]
	v_fma_f64 v[85:86], v[69:70], v[85:86], v[131:132]
	ds_read_b128 v[67:70], v2 offset:720
	v_add_f64 v[125:126], v[125:126], 0
	v_add_f64 v[3:4], v[3:4], 0
	s_waitcnt lgkmcnt(2)
	v_mul_f64 v[77:78], v[59:60], v[79:80]
	v_mul_f64 v[79:80], v[61:62], v[79:80]
	v_add_f64 v[125:126], v[125:126], v[127:128]
	v_add_f64 v[3:4], v[3:4], v[71:72]
	s_waitcnt vmcnt(43) lgkmcnt(1)
	v_mul_f64 v[71:72], v[63:64], v[81:82]
	v_mul_f64 v[81:82], v[65:66], v[81:82]
	s_waitcnt vmcnt(41)
	v_fma_f64 v[79:80], v[59:60], v[87:88], -v[79:80]
	v_fma_f64 v[77:78], v[61:62], v[87:88], v[77:78]
	ds_read_b128 v[59:62], v2 offset:736
	s_waitcnt vmcnt(37) lgkmcnt(1)
	v_mul_f64 v[87:88], v[69:70], v[89:90]
	v_add_f64 v[75:76], v[125:126], v[75:76]
	v_add_f64 v[3:4], v[3:4], v[85:86]
	v_mul_f64 v[85:86], v[67:68], v[89:90]
	s_waitcnt vmcnt(36)
	v_fma_f64 v[81:82], v[63:64], v[83:84], -v[81:82]
	v_fma_f64 v[71:72], v[65:66], v[83:84], v[71:72]
	ds_read_b128 v[63:66], v2 offset:752
	s_waitcnt vmcnt(33)
	v_fma_f64 v[83:84], v[67:68], v[95:96], -v[87:88]
	v_add_f64 v[75:76], v[75:76], v[79:80]
	v_add_f64 v[3:4], v[3:4], v[77:78]
	s_waitcnt lgkmcnt(1)
	v_mul_f64 v[79:80], v[61:62], v[91:92]
	v_mul_f64 v[77:78], v[59:60], v[91:92]
	v_add_f64 v[75:76], v[75:76], v[81:82]
	v_fma_f64 v[81:82], v[69:70], v[95:96], v[85:86]
	v_add_f64 v[3:4], v[3:4], v[71:72]
	ds_read_b128 v[67:70], v2 offset:768
	s_waitcnt vmcnt(29) lgkmcnt(1)
	v_mul_f64 v[85:86], v[65:66], v[97:98]
	s_waitcnt vmcnt(28)
	v_fma_f64 v[79:80], v[59:60], v[93:94], -v[79:80]
	v_mul_f64 v[71:72], v[63:64], v[97:98]
	v_fma_f64 v[77:78], v[61:62], v[93:94], v[77:78]
	ds_read_b128 v[59:62], v2 offset:784
	v_add_f64 v[75:76], v[75:76], v[83:84]
	s_waitcnt vmcnt(27) lgkmcnt(1)
	v_mul_f64 v[83:84], v[69:70], v[99:100]
	v_add_f64 v[3:4], v[3:4], v[81:82]
	v_mul_f64 v[81:82], v[67:68], v[99:100]
	s_waitcnt vmcnt(25)
	v_fma_f64 v[85:86], v[63:64], v[103:104], -v[85:86]
	v_fma_f64 v[71:72], v[65:66], v[103:104], v[71:72]
	ds_read_b128 v[63:66], v2 offset:800
	v_add_f64 v[75:76], v[75:76], v[79:80]
	s_waitcnt vmcnt(21) lgkmcnt(1)
	v_mul_f64 v[79:80], v[61:62], v[105:106]
	v_add_f64 v[3:4], v[3:4], v[77:78]
	s_waitcnt vmcnt(20)
	v_fma_f64 v[83:84], v[67:68], v[101:102], -v[83:84]
	v_mul_f64 v[77:78], v[59:60], v[105:106]
	v_fma_f64 v[81:82], v[69:70], v[101:102], v[81:82]
	ds_read_b128 v[67:70], v2 offset:816
	v_add_f64 v[75:76], v[75:76], v[85:86]
	s_waitcnt vmcnt(19) lgkmcnt(1)
	v_mul_f64 v[85:86], v[65:66], v[107:108]
	v_add_f64 v[3:4], v[3:4], v[71:72]
	s_waitcnt vmcnt(17)
	v_fma_f64 v[79:80], v[59:60], v[111:112], -v[79:80]
	v_mul_f64 v[71:72], v[63:64], v[107:108]
	;; [unrolled: 9-line block ×4, first 2 shown]
	v_fma_f64 v[69:70], v[69:70], v[119:120], v[81:82]
	s_waitcnt vmcnt(7) lgkmcnt(0)
	v_mul_f64 v[81:82], v[65:66], v[121:122]
	v_add_f64 v[75:76], v[75:76], v[85:86]
	s_waitcnt vmcnt(6)
	v_fma_f64 v[59:60], v[59:60], v[117:118], -v[79:80]
	v_add_f64 v[2:3], v[3:4], v[71:72]
	v_mul_f64 v[71:72], v[63:64], v[121:122]
	v_fma_f64 v[61:62], v[61:62], v[117:118], v[77:78]
	s_waitcnt vmcnt(4)
	v_fma_f64 v[63:64], v[63:64], v[123:124], -v[81:82]
	v_add_f64 v[67:68], v[75:76], v[67:68]
	v_add_f64 v[2:3], v[2:3], v[69:70]
	v_fma_f64 v[65:66], v[65:66], v[123:124], v[71:72]
	v_add_f64 v[59:60], v[67:68], v[59:60]
	v_add_f64 v[2:3], v[2:3], v[61:62]
	;; [unrolled: 1-line block ×4, first 2 shown]
	s_waitcnt vmcnt(2)
	v_add_f64 v[59:60], v[73:74], -v[59:60]
	s_waitcnt vmcnt(0)
	v_add_f64 v[2:3], v[129:130], -v[2:3]
	buffer_store_dword v60, off, s[0:3], 0 offset:212
	buffer_store_dword v59, off, s[0:3], 0 offset:208
	buffer_store_dword v3, off, s[0:3], 0 offset:220
	buffer_store_dword v2, off, s[0:3], 0 offset:216
	v_cmpx_lt_u32_e32 11, v0
	s_cbranch_execz .LBB26_153
; %bb.152:
	v_mov_b32_e32 v2, s27
	s_clause 0x3
	buffer_load_dword v59, v2, s[0:3], 0 offen
	buffer_load_dword v60, v2, s[0:3], 0 offen offset:4
	buffer_load_dword v61, v2, s[0:3], 0 offen offset:8
	;; [unrolled: 1-line block ×3, first 2 shown]
	v_mov_b32_e32 v2, 0
	buffer_store_dword v2, off, s[0:3], 0 offset:192
	buffer_store_dword v2, off, s[0:3], 0 offset:196
	;; [unrolled: 1-line block ×4, first 2 shown]
	s_waitcnt vmcnt(0)
	ds_write_b128 v1, v[59:62]
.LBB26_153:
	s_or_b32 exec_lo, exec_lo, s4
	s_waitcnt lgkmcnt(0)
	s_waitcnt_vscnt null, 0x0
	s_barrier
	buffer_gl0_inv
	s_clause 0x37
	buffer_load_dword v3, off, s[0:3], 0 offset:216
	buffer_load_dword v4, off, s[0:3], 0 offset:220
	;; [unrolled: 1-line block ×56, first 2 shown]
	v_mov_b32_e32 v2, 0
	s_mov_b32 s4, exec_lo
	ds_read_b128 v[59:62], v2 offset:624
	s_clause 0x2
	buffer_load_dword v124, off, s[0:3], 0 offset:444
	buffer_load_dword v128, off, s[0:3], 0 offset:420
	;; [unrolled: 1-line block ×3, first 2 shown]
	ds_read_b128 v[63:66], v2 offset:640
	ds_read_b128 v[67:70], v2 offset:656
	buffer_load_dword v126, off, s[0:3], 0 offset:436
	s_waitcnt vmcnt(58) lgkmcnt(2)
	v_mul_f64 v[129:130], v[61:62], v[3:4]
	v_mul_f64 v[3:4], v[59:60], v[3:4]
	s_waitcnt vmcnt(56) lgkmcnt(1)
	v_mul_f64 v[131:132], v[65:66], v[71:72]
	v_mul_f64 v[71:72], v[63:64], v[71:72]
	s_waitcnt vmcnt(54)
	v_fma_f64 v[129:130], v[59:60], v[73:74], -v[129:130]
	v_fma_f64 v[3:4], v[61:62], v[73:74], v[3:4]
	s_waitcnt vmcnt(52) lgkmcnt(0)
	v_mul_f64 v[73:74], v[67:68], v[75:76]
	v_mul_f64 v[75:76], v[69:70], v[75:76]
	s_waitcnt vmcnt(50)
	v_fma_f64 v[131:132], v[63:64], v[77:78], -v[131:132]
	ds_read_b128 v[59:62], v2 offset:672
	v_fma_f64 v[71:72], v[65:66], v[77:78], v[71:72]
	s_clause 0x3
	buffer_load_dword v77, off, s[0:3], 0 offset:192
	buffer_load_dword v78, off, s[0:3], 0 offset:196
	;; [unrolled: 1-line block ×4, first 2 shown]
	ds_read_b128 v[63:66], v2 offset:688
	v_add_f64 v[129:130], v[129:130], 0
	v_add_f64 v[3:4], v[3:4], 0
	s_waitcnt vmcnt(48)
	v_fma_f64 v[73:74], v[69:70], v[85:86], v[73:74]
	s_waitcnt lgkmcnt(1)
	v_mul_f64 v[135:136], v[59:60], v[79:80]
	v_mul_f64 v[79:80], v[61:62], v[79:80]
	v_fma_f64 v[75:76], v[67:68], v[85:86], -v[75:76]
	ds_read_b128 v[67:70], v2 offset:704
	v_add_f64 v[129:130], v[129:130], v[131:132]
	v_add_f64 v[3:4], v[3:4], v[71:72]
	s_waitcnt vmcnt(47) lgkmcnt(1)
	v_mul_f64 v[71:72], v[63:64], v[81:82]
	v_mul_f64 v[81:82], v[65:66], v[81:82]
	s_waitcnt vmcnt(45)
	v_fma_f64 v[79:80], v[59:60], v[87:88], -v[79:80]
	v_fma_f64 v[85:86], v[61:62], v[87:88], v[135:136]
	s_waitcnt vmcnt(41) lgkmcnt(0)
	v_mul_f64 v[87:88], v[69:70], v[89:90]
	ds_read_b128 v[59:62], v2 offset:720
	v_add_f64 v[75:76], v[129:130], v[75:76]
	v_add_f64 v[3:4], v[3:4], v[73:74]
	v_mul_f64 v[73:74], v[67:68], v[89:90]
	s_waitcnt vmcnt(40)
	v_fma_f64 v[81:82], v[63:64], v[83:84], -v[81:82]
	v_fma_f64 v[71:72], v[65:66], v[83:84], v[71:72]
	ds_read_b128 v[63:66], v2 offset:736
	s_waitcnt vmcnt(39) lgkmcnt(1)
	v_mul_f64 v[83:84], v[61:62], v[91:92]
	v_add_f64 v[75:76], v[75:76], v[79:80]
	v_add_f64 v[3:4], v[3:4], v[85:86]
	s_waitcnt vmcnt(37)
	v_fma_f64 v[85:86], v[67:68], v[95:96], -v[87:88]
	v_mul_f64 v[79:80], v[59:60], v[91:92]
	v_fma_f64 v[73:74], v[69:70], v[95:96], v[73:74]
	ds_read_b128 v[67:70], v2 offset:752
	s_waitcnt vmcnt(32)
	v_fma_f64 v[83:84], v[59:60], v[93:94], -v[83:84]
	v_add_f64 v[75:76], v[75:76], v[81:82]
	v_add_f64 v[3:4], v[3:4], v[71:72]
	s_waitcnt lgkmcnt(1)
	v_mul_f64 v[81:82], v[65:66], v[97:98]
	v_mul_f64 v[71:72], v[63:64], v[97:98]
	v_fma_f64 v[79:80], v[61:62], v[93:94], v[79:80]
	ds_read_b128 v[59:62], v2 offset:768
	v_add_f64 v[75:76], v[75:76], v[85:86]
	v_add_f64 v[3:4], v[3:4], v[73:74]
	s_waitcnt vmcnt(31) lgkmcnt(1)
	v_mul_f64 v[85:86], v[69:70], v[99:100]
	s_waitcnt vmcnt(29)
	v_fma_f64 v[81:82], v[63:64], v[103:104], -v[81:82]
	v_mul_f64 v[73:74], v[67:68], v[99:100]
	v_fma_f64 v[71:72], v[65:66], v[103:104], v[71:72]
	ds_read_b128 v[63:66], v2 offset:784
	v_add_f64 v[75:76], v[75:76], v[83:84]
	v_add_f64 v[3:4], v[3:4], v[79:80]
	s_waitcnt vmcnt(25) lgkmcnt(1)
	v_mul_f64 v[83:84], v[61:62], v[105:106]
	s_waitcnt vmcnt(24)
	v_fma_f64 v[85:86], v[67:68], v[101:102], -v[85:86]
	;; [unrolled: 9-line block ×6, first 2 shown]
	v_mul_f64 v[71:72], v[63:64], v[121:122]
	v_fma_f64 v[61:62], v[61:62], v[117:118], v[79:80]
	s_waitcnt vmcnt(7) lgkmcnt(0)
	v_mul_f64 v[79:80], v[69:70], v[123:124]
	v_add_f64 v[75:76], v[75:76], v[85:86]
	v_add_f64 v[3:4], v[3:4], v[73:74]
	s_waitcnt vmcnt(5)
	v_fma_f64 v[63:64], v[63:64], v[127:128], -v[81:82]
	v_mul_f64 v[73:74], v[67:68], v[123:124]
	v_fma_f64 v[65:66], v[65:66], v[127:128], v[71:72]
	v_add_f64 v[59:60], v[75:76], v[59:60]
	v_add_f64 v[3:4], v[3:4], v[61:62]
	s_waitcnt vmcnt(4)
	v_fma_f64 v[61:62], v[67:68], v[125:126], -v[79:80]
	v_add_f64 v[59:60], v[59:60], v[63:64]
	v_fma_f64 v[63:64], v[69:70], v[125:126], v[73:74]
	v_add_f64 v[3:4], v[3:4], v[65:66]
	v_add_f64 v[59:60], v[59:60], v[61:62]
	;; [unrolled: 1-line block ×3, first 2 shown]
	s_waitcnt vmcnt(2)
	v_add_f64 v[59:60], v[77:78], -v[59:60]
	s_waitcnt vmcnt(0)
	v_add_f64 v[3:4], v[133:134], -v[3:4]
	buffer_store_dword v60, off, s[0:3], 0 offset:196
	buffer_store_dword v59, off, s[0:3], 0 offset:192
	;; [unrolled: 1-line block ×4, first 2 shown]
	v_cmpx_lt_u32_e32 10, v0
	s_cbranch_execz .LBB26_155
; %bb.154:
	v_mov_b32_e32 v3, s28
	s_clause 0x3
	buffer_load_dword v59, v3, s[0:3], 0 offen
	buffer_load_dword v60, v3, s[0:3], 0 offen offset:4
	buffer_load_dword v61, v3, s[0:3], 0 offen offset:8
	;; [unrolled: 1-line block ×3, first 2 shown]
	buffer_store_dword v2, off, s[0:3], 0 offset:176
	buffer_store_dword v2, off, s[0:3], 0 offset:180
	;; [unrolled: 1-line block ×4, first 2 shown]
	s_waitcnt vmcnt(0)
	ds_write_b128 v1, v[59:62]
.LBB26_155:
	s_or_b32 exec_lo, exec_lo, s4
	s_waitcnt lgkmcnt(0)
	s_waitcnt_vscnt null, 0x0
	s_barrier
	buffer_gl0_inv
	s_clause 0x37
	buffer_load_dword v3, off, s[0:3], 0 offset:200
	buffer_load_dword v4, off, s[0:3], 0 offset:204
	;; [unrolled: 1-line block ×56, first 2 shown]
	ds_read_b128 v[59:62], v2 offset:608
	s_clause 0x2
	buffer_load_dword v124, off, s[0:3], 0 offset:428
	buffer_load_dword v128, off, s[0:3], 0 offset:404
	;; [unrolled: 1-line block ×3, first 2 shown]
	ds_read_b128 v[63:66], v2 offset:624
	s_clause 0x2
	buffer_load_dword v132, off, s[0:3], 0 offset:444
	buffer_load_dword v131, off, s[0:3], 0 offset:440
	;; [unrolled: 1-line block ×3, first 2 shown]
	ds_read_b128 v[67:70], v2 offset:640
	s_mov_b32 s4, exec_lo
	s_waitcnt vmcnt(60) lgkmcnt(2)
	v_mul_f64 v[129:130], v[61:62], v[3:4]
	v_mul_f64 v[3:4], v[59:60], v[3:4]
	s_waitcnt vmcnt(58) lgkmcnt(1)
	v_mul_f64 v[133:134], v[65:66], v[71:72]
	v_mul_f64 v[71:72], v[63:64], v[71:72]
	;; [unrolled: 3-line block ×3, first 2 shown]
	v_fma_f64 v[129:130], v[59:60], v[73:74], -v[129:130]
	v_fma_f64 v[3:4], v[61:62], v[73:74], v[3:4]
	s_clause 0x1
	buffer_load_dword v74, off, s[0:3], 0 offset:436
	buffer_load_dword v73, off, s[0:3], 0 offset:432
	s_waitcnt vmcnt(54)
	v_fma_f64 v[133:134], v[63:64], v[77:78], -v[133:134]
	ds_read_b128 v[59:62], v2 offset:656
	v_fma_f64 v[71:72], v[65:66], v[77:78], v[71:72]
	ds_read_b128 v[63:66], v2 offset:672
	s_waitcnt vmcnt(48)
	v_fma_f64 v[75:76], v[67:68], v[85:86], -v[75:76]
	v_fma_f64 v[85:86], v[69:70], v[85:86], v[135:136]
	v_add_f64 v[129:130], v[129:130], 0
	v_add_f64 v[3:4], v[3:4], 0
	s_waitcnt lgkmcnt(1)
	v_mul_f64 v[77:78], v[59:60], v[79:80]
	v_mul_f64 v[79:80], v[61:62], v[79:80]
	s_waitcnt vmcnt(47) lgkmcnt(0)
	v_mul_f64 v[135:136], v[63:64], v[81:82]
	v_mul_f64 v[81:82], v[65:66], v[81:82]
	v_add_f64 v[129:130], v[129:130], v[133:134]
	v_add_f64 v[3:4], v[3:4], v[71:72]
	s_clause 0x3
	buffer_load_dword v71, off, s[0:3], 0 offset:176
	buffer_load_dword v72, off, s[0:3], 0 offset:180
	;; [unrolled: 1-line block ×4, first 2 shown]
	s_waitcnt vmcnt(49)
	v_fma_f64 v[79:80], v[59:60], v[87:88], -v[79:80]
	ds_read_b128 v[67:70], v2 offset:688
	v_fma_f64 v[77:78], v[61:62], v[87:88], v[77:78]
	ds_read_b128 v[59:62], v2 offset:704
	s_waitcnt vmcnt(44)
	v_fma_f64 v[81:82], v[63:64], v[83:84], -v[81:82]
	v_add_f64 v[75:76], v[129:130], v[75:76]
	v_add_f64 v[3:4], v[3:4], v[85:86]
	s_waitcnt lgkmcnt(1)
	v_mul_f64 v[87:88], v[69:70], v[89:90]
	v_mul_f64 v[85:86], v[67:68], v[89:90]
	v_add_f64 v[75:76], v[75:76], v[79:80]
	v_fma_f64 v[79:80], v[65:66], v[83:84], v[135:136]
	v_add_f64 v[3:4], v[3:4], v[77:78]
	s_waitcnt vmcnt(43) lgkmcnt(0)
	v_mul_f64 v[83:84], v[61:62], v[91:92]
	s_waitcnt vmcnt(41)
	v_fma_f64 v[87:88], v[67:68], v[95:96], -v[87:88]
	ds_read_b128 v[63:66], v2 offset:720
	v_mul_f64 v[77:78], v[59:60], v[91:92]
	v_add_f64 v[75:76], v[75:76], v[81:82]
	v_fma_f64 v[81:82], v[69:70], v[95:96], v[85:86]
	v_add_f64 v[3:4], v[3:4], v[79:80]
	ds_read_b128 v[67:70], v2 offset:736
	s_waitcnt vmcnt(37) lgkmcnt(1)
	v_mul_f64 v[85:86], v[65:66], v[97:98]
	s_waitcnt vmcnt(36)
	v_fma_f64 v[83:84], v[59:60], v[93:94], -v[83:84]
	v_mul_f64 v[79:80], v[63:64], v[97:98]
	v_fma_f64 v[77:78], v[61:62], v[93:94], v[77:78]
	ds_read_b128 v[59:62], v2 offset:752
	v_add_f64 v[75:76], v[75:76], v[87:88]
	s_waitcnt vmcnt(35) lgkmcnt(1)
	v_mul_f64 v[87:88], v[69:70], v[99:100]
	v_add_f64 v[3:4], v[3:4], v[81:82]
	v_mul_f64 v[81:82], v[67:68], v[99:100]
	s_waitcnt vmcnt(33)
	v_fma_f64 v[85:86], v[63:64], v[103:104], -v[85:86]
	v_fma_f64 v[79:80], v[65:66], v[103:104], v[79:80]
	ds_read_b128 v[63:66], v2 offset:768
	v_add_f64 v[75:76], v[75:76], v[83:84]
	s_waitcnt vmcnt(29) lgkmcnt(1)
	v_mul_f64 v[83:84], v[61:62], v[105:106]
	v_add_f64 v[3:4], v[3:4], v[77:78]
	s_waitcnt vmcnt(28)
	v_fma_f64 v[87:88], v[67:68], v[101:102], -v[87:88]
	v_mul_f64 v[77:78], v[59:60], v[105:106]
	v_fma_f64 v[81:82], v[69:70], v[101:102], v[81:82]
	ds_read_b128 v[67:70], v2 offset:784
	v_add_f64 v[75:76], v[75:76], v[85:86]
	s_waitcnt vmcnt(27) lgkmcnt(1)
	v_mul_f64 v[85:86], v[65:66], v[107:108]
	v_add_f64 v[3:4], v[3:4], v[79:80]
	s_waitcnt vmcnt(25)
	v_fma_f64 v[83:84], v[59:60], v[111:112], -v[83:84]
	v_mul_f64 v[79:80], v[63:64], v[107:108]
	v_fma_f64 v[77:78], v[61:62], v[111:112], v[77:78]
	ds_read_b128 v[59:62], v2 offset:800
	v_add_f64 v[75:76], v[75:76], v[87:88]
	s_waitcnt vmcnt(21) lgkmcnt(1)
	v_mul_f64 v[87:88], v[69:70], v[113:114]
	v_add_f64 v[3:4], v[3:4], v[81:82]
	s_waitcnt vmcnt(20)
	v_fma_f64 v[85:86], v[63:64], v[109:110], -v[85:86]
	v_mul_f64 v[81:82], v[67:68], v[113:114]
	v_fma_f64 v[79:80], v[65:66], v[109:110], v[79:80]
	ds_read_b128 v[63:66], v2 offset:816
	v_add_f64 v[75:76], v[75:76], v[83:84]
	s_waitcnt vmcnt(19) lgkmcnt(1)
	v_mul_f64 v[83:84], v[61:62], v[115:116]
	v_add_f64 v[3:4], v[3:4], v[77:78]
	s_waitcnt vmcnt(17)
	v_fma_f64 v[87:88], v[67:68], v[119:120], -v[87:88]
	v_mul_f64 v[77:78], v[59:60], v[115:116]
	v_fma_f64 v[81:82], v[69:70], v[119:120], v[81:82]
	ds_read_b128 v[67:70], v2 offset:832
	v_add_f64 v[75:76], v[75:76], v[85:86]
	s_waitcnt vmcnt(13) lgkmcnt(1)
	v_mul_f64 v[85:86], v[65:66], v[121:122]
	v_add_f64 v[3:4], v[3:4], v[79:80]
	s_waitcnt vmcnt(12)
	v_fma_f64 v[83:84], v[59:60], v[117:118], -v[83:84]
	v_mul_f64 v[79:80], v[63:64], v[121:122]
	v_fma_f64 v[77:78], v[61:62], v[117:118], v[77:78]
	ds_read_b128 v[59:62], v2 offset:848
	v_add_f64 v[75:76], v[75:76], v[87:88]
	s_waitcnt vmcnt(11) lgkmcnt(1)
	v_mul_f64 v[87:88], v[69:70], v[123:124]
	v_add_f64 v[3:4], v[3:4], v[81:82]
	s_waitcnt vmcnt(9)
	v_fma_f64 v[63:64], v[63:64], v[127:128], -v[85:86]
	v_mul_f64 v[81:82], v[67:68], v[123:124]
	v_fma_f64 v[65:66], v[65:66], v[127:128], v[79:80]
	s_waitcnt vmcnt(7) lgkmcnt(0)
	v_mul_f64 v[79:80], v[61:62], v[131:132]
	v_add_f64 v[75:76], v[75:76], v[83:84]
	s_waitcnt vmcnt(6)
	v_fma_f64 v[67:68], v[67:68], v[125:126], -v[87:88]
	v_add_f64 v[2:3], v[3:4], v[77:78]
	v_mul_f64 v[77:78], v[59:60], v[131:132]
	v_fma_f64 v[69:70], v[69:70], v[125:126], v[81:82]
	v_add_f64 v[63:64], v[75:76], v[63:64]
	v_add_f64 v[2:3], v[2:3], v[65:66]
	s_waitcnt vmcnt(4)
	v_fma_f64 v[59:60], v[59:60], v[73:74], -v[79:80]
	v_fma_f64 v[61:62], v[61:62], v[73:74], v[77:78]
	v_add_f64 v[63:64], v[63:64], v[67:68]
	v_add_f64 v[2:3], v[2:3], v[69:70]
	;; [unrolled: 1-line block ×4, first 2 shown]
	s_waitcnt vmcnt(2)
	v_add_f64 v[59:60], v[71:72], -v[59:60]
	s_waitcnt vmcnt(0)
	v_add_f64 v[2:3], v[133:134], -v[2:3]
	buffer_store_dword v60, off, s[0:3], 0 offset:180
	buffer_store_dword v59, off, s[0:3], 0 offset:176
	buffer_store_dword v3, off, s[0:3], 0 offset:188
	buffer_store_dword v2, off, s[0:3], 0 offset:184
	v_cmpx_lt_u32_e32 9, v0
	s_cbranch_execz .LBB26_157
; %bb.156:
	v_mov_b32_e32 v2, s29
	s_clause 0x3
	buffer_load_dword v59, v2, s[0:3], 0 offen
	buffer_load_dword v60, v2, s[0:3], 0 offen offset:4
	buffer_load_dword v61, v2, s[0:3], 0 offen offset:8
	;; [unrolled: 1-line block ×3, first 2 shown]
	v_mov_b32_e32 v2, 0
	buffer_store_dword v2, off, s[0:3], 0 offset:160
	buffer_store_dword v2, off, s[0:3], 0 offset:164
	;; [unrolled: 1-line block ×4, first 2 shown]
	s_waitcnt vmcnt(0)
	ds_write_b128 v1, v[59:62]
.LBB26_157:
	s_or_b32 exec_lo, exec_lo, s4
	s_waitcnt lgkmcnt(0)
	s_waitcnt_vscnt null, 0x0
	s_barrier
	buffer_gl0_inv
	s_clause 0x37
	buffer_load_dword v3, off, s[0:3], 0 offset:184
	buffer_load_dword v4, off, s[0:3], 0 offset:188
	;; [unrolled: 1-line block ×56, first 2 shown]
	v_mov_b32_e32 v2, 0
	s_mov_b32 s4, exec_lo
	ds_read_b128 v[59:62], v2 offset:592
	s_clause 0x2
	buffer_load_dword v124, off, s[0:3], 0 offset:412
	buffer_load_dword v128, off, s[0:3], 0 offset:388
	;; [unrolled: 1-line block ×3, first 2 shown]
	ds_read_b128 v[63:66], v2 offset:608
	s_clause 0x4
	buffer_load_dword v132, off, s[0:3], 0 offset:428
	buffer_load_dword v133, off, s[0:3], 0 offset:440
	;; [unrolled: 1-line block ×5, first 2 shown]
	ds_read_b128 v[67:70], v2 offset:624
	s_waitcnt vmcnt(62) lgkmcnt(2)
	v_mul_f64 v[129:130], v[61:62], v[3:4]
	v_mul_f64 v[3:4], v[59:60], v[3:4]
	s_waitcnt vmcnt(60) lgkmcnt(1)
	v_mul_f64 v[136:137], v[65:66], v[71:72]
	v_mul_f64 v[71:72], v[63:64], v[71:72]
	;; [unrolled: 3-line block ×3, first 2 shown]
	v_fma_f64 v[129:130], v[59:60], v[73:74], -v[129:130]
	v_fma_f64 v[3:4], v[61:62], v[73:74], v[3:4]
	s_clause 0x2
	buffer_load_dword v134, off, s[0:3], 0 offset:444
	buffer_load_dword v74, off, s[0:3], 0 offset:420
	;; [unrolled: 1-line block ×3, first 2 shown]
	s_waitcnt vmcnt(57)
	v_fma_f64 v[140:141], v[63:64], v[77:78], -v[136:137]
	ds_read_b128 v[59:62], v2 offset:640
	v_fma_f64 v[71:72], v[65:66], v[77:78], v[71:72]
	buffer_load_dword v136, off, s[0:3], 0 offset:436
	ds_read_b128 v[63:66], v2 offset:656
	s_waitcnt vmcnt(52)
	v_fma_f64 v[75:76], v[67:68], v[85:86], -v[75:76]
	v_fma_f64 v[85:86], v[69:70], v[85:86], v[138:139]
	ds_read_b128 v[67:70], v2 offset:672
	v_add_f64 v[129:130], v[129:130], 0
	v_add_f64 v[3:4], v[3:4], 0
	s_waitcnt lgkmcnt(2)
	v_mul_f64 v[77:78], v[59:60], v[79:80]
	v_mul_f64 v[79:80], v[61:62], v[79:80]
	v_add_f64 v[129:130], v[129:130], v[140:141]
	v_add_f64 v[3:4], v[3:4], v[71:72]
	s_waitcnt vmcnt(51) lgkmcnt(1)
	v_mul_f64 v[71:72], v[63:64], v[81:82]
	v_mul_f64 v[81:82], v[65:66], v[81:82]
	s_waitcnt vmcnt(49)
	v_fma_f64 v[79:80], v[59:60], v[87:88], -v[79:80]
	v_fma_f64 v[77:78], v[61:62], v[87:88], v[77:78]
	v_add_f64 v[75:76], v[129:130], v[75:76]
	v_add_f64 v[3:4], v[3:4], v[85:86]
	s_clause 0x3
	buffer_load_dword v85, off, s[0:3], 0 offset:160
	buffer_load_dword v86, off, s[0:3], 0 offset:164
	;; [unrolled: 1-line block ×4, first 2 shown]
	s_waitcnt vmcnt(49) lgkmcnt(0)
	v_mul_f64 v[129:130], v[67:68], v[89:90]
	v_mul_f64 v[89:90], v[69:70], v[89:90]
	s_waitcnt vmcnt(48)
	v_fma_f64 v[81:82], v[63:64], v[83:84], -v[81:82]
	ds_read_b128 v[59:62], v2 offset:688
	v_fma_f64 v[71:72], v[65:66], v[83:84], v[71:72]
	ds_read_b128 v[63:66], v2 offset:704
	v_add_f64 v[75:76], v[75:76], v[79:80]
	v_add_f64 v[3:4], v[3:4], v[77:78]
	s_waitcnt vmcnt(47) lgkmcnt(1)
	v_mul_f64 v[79:80], v[61:62], v[91:92]
	s_waitcnt vmcnt(45)
	v_fma_f64 v[83:84], v[67:68], v[95:96], -v[89:90]
	v_mul_f64 v[77:78], v[59:60], v[91:92]
	s_waitcnt vmcnt(41) lgkmcnt(0)
	v_mul_f64 v[89:90], v[65:66], v[97:98]
	v_add_f64 v[75:76], v[75:76], v[81:82]
	v_fma_f64 v[81:82], v[69:70], v[95:96], v[129:130]
	v_add_f64 v[3:4], v[3:4], v[71:72]
	ds_read_b128 v[67:70], v2 offset:720
	s_waitcnt vmcnt(40)
	v_fma_f64 v[79:80], v[59:60], v[93:94], -v[79:80]
	v_mul_f64 v[71:72], v[63:64], v[97:98]
	v_fma_f64 v[77:78], v[61:62], v[93:94], v[77:78]
	ds_read_b128 v[59:62], v2 offset:736
	s_waitcnt vmcnt(37)
	v_fma_f64 v[89:90], v[63:64], v[103:104], -v[89:90]
	v_add_f64 v[75:76], v[75:76], v[83:84]
	s_waitcnt lgkmcnt(1)
	v_mul_f64 v[83:84], v[69:70], v[99:100]
	v_add_f64 v[3:4], v[3:4], v[81:82]
	v_mul_f64 v[81:82], v[67:68], v[99:100]
	v_fma_f64 v[71:72], v[65:66], v[103:104], v[71:72]
	ds_read_b128 v[63:66], v2 offset:752
	v_add_f64 v[75:76], v[75:76], v[79:80]
	s_waitcnt vmcnt(33) lgkmcnt(1)
	v_mul_f64 v[79:80], v[61:62], v[105:106]
	v_add_f64 v[3:4], v[3:4], v[77:78]
	s_waitcnt vmcnt(32)
	v_fma_f64 v[83:84], v[67:68], v[101:102], -v[83:84]
	v_mul_f64 v[77:78], v[59:60], v[105:106]
	v_fma_f64 v[81:82], v[69:70], v[101:102], v[81:82]
	ds_read_b128 v[67:70], v2 offset:768
	v_add_f64 v[75:76], v[75:76], v[89:90]
	s_waitcnt vmcnt(31) lgkmcnt(1)
	v_mul_f64 v[89:90], v[65:66], v[107:108]
	v_add_f64 v[3:4], v[3:4], v[71:72]
	s_waitcnt vmcnt(29)
	v_fma_f64 v[79:80], v[59:60], v[111:112], -v[79:80]
	;; [unrolled: 9-line block ×7, first 2 shown]
	v_mul_f64 v[77:78], v[59:60], v[131:132]
	v_fma_f64 v[69:70], v[69:70], v[125:126], v[81:82]
	v_add_f64 v[75:76], v[75:76], v[89:90]
	v_add_f64 v[3:4], v[3:4], v[71:72]
	s_waitcnt vmcnt(7) lgkmcnt(0)
	v_mul_f64 v[81:82], v[65:66], v[133:134]
	v_mul_f64 v[71:72], v[63:64], v[133:134]
	s_waitcnt vmcnt(5)
	v_fma_f64 v[59:60], v[59:60], v[73:74], -v[79:80]
	v_fma_f64 v[61:62], v[61:62], v[73:74], v[77:78]
	v_add_f64 v[67:68], v[75:76], v[67:68]
	v_add_f64 v[3:4], v[3:4], v[69:70]
	s_waitcnt vmcnt(4)
	v_fma_f64 v[63:64], v[63:64], v[135:136], -v[81:82]
	v_fma_f64 v[65:66], v[65:66], v[135:136], v[71:72]
	v_add_f64 v[59:60], v[67:68], v[59:60]
	v_add_f64 v[3:4], v[3:4], v[61:62]
	;; [unrolled: 1-line block ×4, first 2 shown]
	s_waitcnt vmcnt(2)
	v_add_f64 v[59:60], v[85:86], -v[59:60]
	s_waitcnt vmcnt(0)
	v_add_f64 v[3:4], v[87:88], -v[3:4]
	buffer_store_dword v60, off, s[0:3], 0 offset:164
	buffer_store_dword v59, off, s[0:3], 0 offset:160
	;; [unrolled: 1-line block ×4, first 2 shown]
	v_cmpx_lt_u32_e32 8, v0
	s_cbranch_execz .LBB26_159
; %bb.158:
	v_mov_b32_e32 v3, s30
	s_clause 0x3
	buffer_load_dword v59, v3, s[0:3], 0 offen
	buffer_load_dword v60, v3, s[0:3], 0 offen offset:4
	buffer_load_dword v61, v3, s[0:3], 0 offen offset:8
	;; [unrolled: 1-line block ×3, first 2 shown]
	buffer_store_dword v2, off, s[0:3], 0 offset:144
	buffer_store_dword v2, off, s[0:3], 0 offset:148
	;; [unrolled: 1-line block ×4, first 2 shown]
	s_waitcnt vmcnt(0)
	ds_write_b128 v1, v[59:62]
.LBB26_159:
	s_or_b32 exec_lo, exec_lo, s4
	s_waitcnt lgkmcnt(0)
	s_waitcnt_vscnt null, 0x0
	s_barrier
	buffer_gl0_inv
	s_clause 0x35
	buffer_load_dword v3, off, s[0:3], 0 offset:168
	buffer_load_dword v4, off, s[0:3], 0 offset:172
	;; [unrolled: 1-line block ×54, first 2 shown]
	ds_read_b128 v[59:62], v2 offset:576
	s_clause 0x3
	buffer_load_dword v123, off, s[0:3], 0 offset:392
	buffer_load_dword v124, off, s[0:3], 0 offset:396
	;; [unrolled: 1-line block ×4, first 2 shown]
	ds_read_b128 v[63:66], v2 offset:592
	s_clause 0x3
	buffer_load_dword v130, off, s[0:3], 0 offset:412
	buffer_load_dword v129, off, s[0:3], 0 offset:408
	;; [unrolled: 1-line block ×4, first 2 shown]
	ds_read_b128 v[67:70], v2 offset:608
	s_mov_b32 s4, exec_lo
	s_waitcnt vmcnt(60) lgkmcnt(2)
	v_mul_f64 v[127:128], v[61:62], v[3:4]
	v_mul_f64 v[3:4], v[59:60], v[3:4]
	s_waitcnt vmcnt(58) lgkmcnt(1)
	v_mul_f64 v[133:134], v[65:66], v[71:72]
	v_mul_f64 v[71:72], v[63:64], v[71:72]
	;; [unrolled: 3-line block ×3, first 2 shown]
	v_fma_f64 v[127:128], v[59:60], v[73:74], -v[127:128]
	v_fma_f64 v[3:4], v[61:62], v[73:74], v[3:4]
	s_clause 0x3
	buffer_load_dword v73, off, s[0:3], 0 offset:424
	buffer_load_dword v74, off, s[0:3], 0 offset:428
	buffer_load_dword v136, off, s[0:3], 0 offset:404
	buffer_load_dword v135, off, s[0:3], 0 offset:400
	s_waitcnt vmcnt(56)
	v_fma_f64 v[133:134], v[63:64], v[77:78], -v[133:134]
	ds_read_b128 v[59:62], v2 offset:624
	v_fma_f64 v[71:72], v[65:66], v[77:78], v[71:72]
	s_clause 0x3
	buffer_load_dword v78, off, s[0:3], 0 offset:444
	buffer_load_dword v77, off, s[0:3], 0 offset:440
	;; [unrolled: 1-line block ×4, first 2 shown]
	s_waitcnt vmcnt(56)
	v_fma_f64 v[75:76], v[67:68], v[81:82], -v[75:76]
	ds_read_b128 v[63:66], v2 offset:640
	v_fma_f64 v[81:82], v[69:70], v[81:82], v[137:138]
	v_add_f64 v[127:128], v[127:128], 0
	v_add_f64 v[3:4], v[3:4], 0
	s_waitcnt lgkmcnt(1)
	v_mul_f64 v[141:142], v[59:60], v[79:80]
	v_mul_f64 v[79:80], v[61:62], v[79:80]
	v_add_f64 v[127:128], v[127:128], v[133:134]
	v_add_f64 v[3:4], v[3:4], v[71:72]
	s_clause 0x1
	buffer_load_dword v72, off, s[0:3], 0 offset:436
	buffer_load_dword v71, off, s[0:3], 0 offset:432
	s_waitcnt vmcnt(56) lgkmcnt(0)
	v_mul_f64 v[133:134], v[63:64], v[83:84]
	v_mul_f64 v[83:84], v[65:66], v[83:84]
	s_waitcnt vmcnt(54)
	v_fma_f64 v[79:80], v[59:60], v[85:86], -v[79:80]
	ds_read_b128 v[67:70], v2 offset:656
	v_fma_f64 v[85:86], v[61:62], v[85:86], v[141:142]
	ds_read_b128 v[59:62], v2 offset:672
	v_add_f64 v[75:76], v[127:128], v[75:76]
	v_add_f64 v[3:4], v[3:4], v[81:82]
	s_waitcnt vmcnt(52) lgkmcnt(1)
	v_mul_f64 v[81:82], v[67:68], v[87:88]
	v_mul_f64 v[87:88], v[69:70], v[87:88]
	s_waitcnt vmcnt(50)
	v_fma_f64 v[83:84], v[63:64], v[89:90], -v[83:84]
	s_waitcnt vmcnt(48) lgkmcnt(0)
	v_mul_f64 v[127:128], v[59:60], v[91:92]
	v_mul_f64 v[91:92], v[61:62], v[91:92]
	v_add_f64 v[75:76], v[75:76], v[79:80]
	v_fma_f64 v[79:80], v[65:66], v[89:90], v[133:134]
	v_add_f64 v[3:4], v[3:4], v[85:86]
	s_clause 0x3
	buffer_load_dword v85, off, s[0:3], 0 offset:144
	buffer_load_dword v86, off, s[0:3], 0 offset:148
	;; [unrolled: 1-line block ×4, first 2 shown]
	ds_read_b128 v[63:66], v2 offset:688
	s_waitcnt vmcnt(50)
	v_fma_f64 v[87:88], v[67:68], v[93:94], -v[87:88]
	v_fma_f64 v[81:82], v[69:70], v[93:94], v[81:82]
	ds_read_b128 v[67:70], v2 offset:704
	s_waitcnt vmcnt(46)
	v_fma_f64 v[91:92], v[59:60], v[97:98], -v[91:92]
	v_add_f64 v[75:76], v[75:76], v[83:84]
	v_add_f64 v[3:4], v[3:4], v[79:80]
	s_waitcnt lgkmcnt(1)
	v_mul_f64 v[83:84], v[65:66], v[95:96]
	v_mul_f64 v[79:80], v[63:64], v[95:96]
	s_waitcnt vmcnt(44) lgkmcnt(0)
	v_mul_f64 v[93:94], v[69:70], v[99:100]
	v_add_f64 v[75:76], v[75:76], v[87:88]
	v_fma_f64 v[87:88], v[61:62], v[97:98], v[127:128]
	v_add_f64 v[3:4], v[3:4], v[81:82]
	s_waitcnt vmcnt(42)
	v_fma_f64 v[83:84], v[63:64], v[101:102], -v[83:84]
	ds_read_b128 v[59:62], v2 offset:720
	v_mul_f64 v[81:82], v[67:68], v[99:100]
	v_fma_f64 v[79:80], v[65:66], v[101:102], v[79:80]
	ds_read_b128 v[63:66], v2 offset:736
	s_waitcnt vmcnt(38)
	v_fma_f64 v[93:94], v[67:68], v[105:106], -v[93:94]
	v_add_f64 v[75:76], v[75:76], v[91:92]
	v_add_f64 v[3:4], v[3:4], v[87:88]
	s_waitcnt lgkmcnt(1)
	v_mul_f64 v[91:92], v[61:62], v[103:104]
	v_mul_f64 v[87:88], v[59:60], v[103:104]
	v_fma_f64 v[81:82], v[69:70], v[105:106], v[81:82]
	ds_read_b128 v[67:70], v2 offset:752
	v_add_f64 v[75:76], v[75:76], v[83:84]
	s_waitcnt vmcnt(36) lgkmcnt(1)
	v_mul_f64 v[83:84], v[65:66], v[107:108]
	v_add_f64 v[3:4], v[3:4], v[79:80]
	s_waitcnt vmcnt(34)
	v_fma_f64 v[91:92], v[59:60], v[109:110], -v[91:92]
	v_mul_f64 v[79:80], v[63:64], v[107:108]
	v_fma_f64 v[87:88], v[61:62], v[109:110], v[87:88]
	ds_read_b128 v[59:62], v2 offset:768
	v_add_f64 v[75:76], v[75:76], v[93:94]
	s_waitcnt vmcnt(32) lgkmcnt(1)
	v_mul_f64 v[93:94], v[69:70], v[111:112]
	v_add_f64 v[3:4], v[3:4], v[81:82]
	s_waitcnt vmcnt(30)
	v_fma_f64 v[83:84], v[63:64], v[113:114], -v[83:84]
	;; [unrolled: 9-line block ×6, first 2 shown]
	v_mul_f64 v[87:88], v[59:60], v[129:130]
	v_fma_f64 v[81:82], v[69:70], v[131:132], v[81:82]
	ds_read_b128 v[67:70], v2 offset:848
	v_add_f64 v[75:76], v[75:76], v[83:84]
	v_add_f64 v[3:4], v[3:4], v[79:80]
	s_waitcnt vmcnt(12) lgkmcnt(1)
	v_mul_f64 v[79:80], v[63:64], v[73:74]
	v_mul_f64 v[73:74], v[65:66], v[73:74]
	s_waitcnt vmcnt(10)
	v_fma_f64 v[59:60], v[59:60], v[135:136], -v[91:92]
	v_fma_f64 v[61:62], v[61:62], v[135:136], v[87:88]
	v_add_f64 v[75:76], v[75:76], v[93:94]
	v_add_f64 v[2:3], v[3:4], v[81:82]
	s_waitcnt vmcnt(8) lgkmcnt(0)
	v_mul_f64 v[81:82], v[67:68], v[77:78]
	v_mul_f64 v[77:78], v[69:70], v[77:78]
	s_waitcnt vmcnt(6)
	v_fma_f64 v[65:66], v[65:66], v[139:140], v[79:80]
	v_fma_f64 v[63:64], v[63:64], v[139:140], -v[73:74]
	v_add_f64 v[59:60], v[75:76], v[59:60]
	v_add_f64 v[2:3], v[2:3], v[61:62]
	s_waitcnt vmcnt(4)
	v_fma_f64 v[61:62], v[67:68], v[71:72], -v[77:78]
	v_add_f64 v[59:60], v[59:60], v[63:64]
	v_fma_f64 v[63:64], v[69:70], v[71:72], v[81:82]
	v_add_f64 v[2:3], v[2:3], v[65:66]
	v_add_f64 v[59:60], v[59:60], v[61:62]
	;; [unrolled: 1-line block ×3, first 2 shown]
	s_waitcnt vmcnt(2)
	v_add_f64 v[59:60], v[85:86], -v[59:60]
	s_waitcnt vmcnt(0)
	v_add_f64 v[2:3], v[89:90], -v[2:3]
	buffer_store_dword v60, off, s[0:3], 0 offset:148
	buffer_store_dword v59, off, s[0:3], 0 offset:144
	;; [unrolled: 1-line block ×4, first 2 shown]
	v_cmpx_lt_u32_e32 7, v0
	s_cbranch_execz .LBB26_161
; %bb.160:
	v_mov_b32_e32 v2, s31
	s_clause 0x3
	buffer_load_dword v59, v2, s[0:3], 0 offen
	buffer_load_dword v60, v2, s[0:3], 0 offen offset:4
	buffer_load_dword v61, v2, s[0:3], 0 offen offset:8
	;; [unrolled: 1-line block ×3, first 2 shown]
	v_mov_b32_e32 v2, 0
	buffer_store_dword v2, off, s[0:3], 0 offset:128
	buffer_store_dword v2, off, s[0:3], 0 offset:132
	;; [unrolled: 1-line block ×4, first 2 shown]
	s_waitcnt vmcnt(0)
	ds_write_b128 v1, v[59:62]
.LBB26_161:
	s_or_b32 exec_lo, exec_lo, s4
	s_waitcnt lgkmcnt(0)
	s_waitcnt_vscnt null, 0x0
	s_barrier
	buffer_gl0_inv
	s_clause 0x37
	buffer_load_dword v3, off, s[0:3], 0 offset:152
	buffer_load_dword v4, off, s[0:3], 0 offset:156
	;; [unrolled: 1-line block ×56, first 2 shown]
	v_mov_b32_e32 v2, 0
	s_mov_b32 s4, exec_lo
	ds_read_b128 v[59:62], v2 offset:560
	s_clause 0x2
	buffer_load_dword v124, off, s[0:3], 0 offset:380
	buffer_load_dword v128, off, s[0:3], 0 offset:356
	;; [unrolled: 1-line block ×3, first 2 shown]
	ds_read_b128 v[63:66], v2 offset:576
	s_clause 0x4
	buffer_load_dword v132, off, s[0:3], 0 offset:396
	buffer_load_dword v133, off, s[0:3], 0 offset:408
	;; [unrolled: 1-line block ×5, first 2 shown]
	ds_read_b128 v[67:70], v2 offset:592
	s_waitcnt vmcnt(62) lgkmcnt(2)
	v_mul_f64 v[129:130], v[61:62], v[3:4]
	v_mul_f64 v[3:4], v[59:60], v[3:4]
	s_waitcnt vmcnt(60) lgkmcnt(1)
	v_mul_f64 v[136:137], v[65:66], v[71:72]
	v_mul_f64 v[71:72], v[63:64], v[71:72]
	;; [unrolled: 3-line block ×3, first 2 shown]
	v_fma_f64 v[129:130], v[59:60], v[73:74], -v[129:130]
	v_fma_f64 v[3:4], v[61:62], v[73:74], v[3:4]
	s_clause 0x2
	buffer_load_dword v134, off, s[0:3], 0 offset:412
	buffer_load_dword v74, off, s[0:3], 0 offset:388
	;; [unrolled: 1-line block ×3, first 2 shown]
	s_waitcnt vmcnt(57)
	v_fma_f64 v[140:141], v[63:64], v[77:78], -v[136:137]
	ds_read_b128 v[59:62], v2 offset:608
	v_fma_f64 v[71:72], v[65:66], v[77:78], v[71:72]
	s_clause 0x4
	buffer_load_dword v78, off, s[0:3], 0 offset:428
	buffer_load_dword v137, off, s[0:3], 0 offset:440
	;; [unrolled: 1-line block ×5, first 2 shown]
	s_waitcnt vmcnt(56)
	v_fma_f64 v[75:76], v[67:68], v[85:86], -v[75:76]
	ds_read_b128 v[63:66], v2 offset:624
	v_fma_f64 v[85:86], v[69:70], v[85:86], v[138:139]
	v_add_f64 v[129:130], v[129:130], 0
	v_add_f64 v[3:4], v[3:4], 0
	s_waitcnt lgkmcnt(1)
	v_mul_f64 v[143:144], v[59:60], v[79:80]
	v_mul_f64 v[79:80], v[61:62], v[79:80]
	v_add_f64 v[129:130], v[129:130], v[140:141]
	v_add_f64 v[3:4], v[3:4], v[71:72]
	s_clause 0x2
	buffer_load_dword v138, off, s[0:3], 0 offset:444
	buffer_load_dword v72, off, s[0:3], 0 offset:420
	;; [unrolled: 1-line block ×3, first 2 shown]
	s_waitcnt vmcnt(58) lgkmcnt(0)
	v_mul_f64 v[139:140], v[63:64], v[81:82]
	v_mul_f64 v[81:82], v[65:66], v[81:82]
	s_waitcnt vmcnt(56)
	v_fma_f64 v[79:80], v[59:60], v[87:88], -v[79:80]
	ds_read_b128 v[67:70], v2 offset:640
	v_fma_f64 v[87:88], v[61:62], v[87:88], v[143:144]
	buffer_load_dword v143, off, s[0:3], 0 offset:436
	ds_read_b128 v[59:62], v2 offset:656
	v_add_f64 v[75:76], v[129:130], v[75:76]
	v_add_f64 v[3:4], v[3:4], v[85:86]
	s_waitcnt vmcnt(53) lgkmcnt(1)
	v_mul_f64 v[85:86], v[67:68], v[89:90]
	v_mul_f64 v[89:90], v[69:70], v[89:90]
	s_waitcnt vmcnt(52)
	v_fma_f64 v[81:82], v[63:64], v[83:84], -v[81:82]
	v_add_f64 v[75:76], v[75:76], v[79:80]
	v_fma_f64 v[79:80], v[65:66], v[83:84], v[139:140]
	v_add_f64 v[3:4], v[3:4], v[87:88]
	s_waitcnt vmcnt(51) lgkmcnt(0)
	v_mul_f64 v[87:88], v[61:62], v[91:92]
	ds_read_b128 v[63:66], v2 offset:672
	s_waitcnt vmcnt(49)
	v_fma_f64 v[89:90], v[67:68], v[95:96], -v[89:90]
	v_mul_f64 v[83:84], v[59:60], v[91:92]
	v_add_f64 v[75:76], v[75:76], v[81:82]
	v_fma_f64 v[81:82], v[69:70], v[95:96], v[85:86]
	v_add_f64 v[3:4], v[3:4], v[79:80]
	s_clause 0x3
	buffer_load_dword v79, off, s[0:3], 0 offset:128
	buffer_load_dword v80, off, s[0:3], 0 offset:132
	buffer_load_dword v85, off, s[0:3], 0 offset:136
	buffer_load_dword v86, off, s[0:3], 0 offset:140
	s_waitcnt vmcnt(49) lgkmcnt(0)
	v_mul_f64 v[95:96], v[65:66], v[97:98]
	s_waitcnt vmcnt(48)
	v_fma_f64 v[87:88], v[59:60], v[93:94], -v[87:88]
	ds_read_b128 v[67:70], v2 offset:688
	v_mul_f64 v[91:92], v[63:64], v[97:98]
	v_fma_f64 v[83:84], v[61:62], v[93:94], v[83:84]
	ds_read_b128 v[59:62], v2 offset:704
	v_add_f64 v[75:76], v[75:76], v[89:90]
	v_add_f64 v[3:4], v[3:4], v[81:82]
	s_waitcnt vmcnt(47) lgkmcnt(1)
	v_mul_f64 v[89:90], v[69:70], v[99:100]
	s_waitcnt vmcnt(45)
	v_fma_f64 v[93:94], v[63:64], v[103:104], -v[95:96]
	v_mul_f64 v[81:82], v[67:68], v[99:100]
	v_add_f64 v[75:76], v[75:76], v[87:88]
	v_fma_f64 v[87:88], v[65:66], v[103:104], v[91:92]
	v_add_f64 v[3:4], v[3:4], v[83:84]
	s_waitcnt vmcnt(41) lgkmcnt(0)
	v_mul_f64 v[91:92], v[61:62], v[105:106]
	s_waitcnt vmcnt(40)
	v_fma_f64 v[89:90], v[67:68], v[101:102], -v[89:90]
	ds_read_b128 v[63:66], v2 offset:720
	v_mul_f64 v[83:84], v[59:60], v[105:106]
	v_fma_f64 v[81:82], v[69:70], v[101:102], v[81:82]
	ds_read_b128 v[67:70], v2 offset:736
	v_add_f64 v[75:76], v[75:76], v[93:94]
	v_add_f64 v[3:4], v[3:4], v[87:88]
	s_waitcnt vmcnt(39) lgkmcnt(1)
	v_mul_f64 v[93:94], v[65:66], v[107:108]
	s_waitcnt vmcnt(37)
	v_fma_f64 v[91:92], v[59:60], v[111:112], -v[91:92]
	v_mul_f64 v[87:88], v[63:64], v[107:108]
	v_fma_f64 v[83:84], v[61:62], v[111:112], v[83:84]
	ds_read_b128 v[59:62], v2 offset:752
	v_add_f64 v[75:76], v[75:76], v[89:90]
	s_waitcnt vmcnt(33) lgkmcnt(1)
	v_mul_f64 v[89:90], v[69:70], v[113:114]
	v_add_f64 v[3:4], v[3:4], v[81:82]
	s_waitcnt vmcnt(32)
	v_fma_f64 v[93:94], v[63:64], v[109:110], -v[93:94]
	v_mul_f64 v[81:82], v[67:68], v[113:114]
	v_fma_f64 v[87:88], v[65:66], v[109:110], v[87:88]
	ds_read_b128 v[63:66], v2 offset:768
	v_add_f64 v[75:76], v[75:76], v[91:92]
	s_waitcnt vmcnt(31) lgkmcnt(1)
	v_mul_f64 v[91:92], v[61:62], v[115:116]
	v_add_f64 v[3:4], v[3:4], v[83:84]
	;; [unrolled: 9-line block ×5, first 2 shown]
	s_waitcnt vmcnt(16)
	v_fma_f64 v[89:90], v[67:68], v[125:126], -v[89:90]
	v_mul_f64 v[83:84], v[59:60], v[131:132]
	v_fma_f64 v[81:82], v[69:70], v[125:126], v[81:82]
	ds_read_b128 v[67:70], v2 offset:832
	v_add_f64 v[75:76], v[75:76], v[93:94]
	v_add_f64 v[3:4], v[3:4], v[87:88]
	s_waitcnt vmcnt(15) lgkmcnt(1)
	v_mul_f64 v[93:94], v[65:66], v[133:134]
	v_mul_f64 v[87:88], v[63:64], v[133:134]
	s_waitcnt vmcnt(13)
	v_fma_f64 v[91:92], v[59:60], v[73:74], -v[91:92]
	v_fma_f64 v[73:74], v[61:62], v[73:74], v[83:84]
	ds_read_b128 v[59:62], v2 offset:848
	v_add_f64 v[75:76], v[75:76], v[89:90]
	v_add_f64 v[3:4], v[3:4], v[81:82]
	s_waitcnt vmcnt(9) lgkmcnt(1)
	v_mul_f64 v[81:82], v[67:68], v[77:78]
	v_mul_f64 v[77:78], v[69:70], v[77:78]
	s_waitcnt vmcnt(8)
	v_fma_f64 v[63:64], v[63:64], v[135:136], -v[93:94]
	v_fma_f64 v[65:66], v[65:66], v[135:136], v[87:88]
	v_add_f64 v[75:76], v[75:76], v[91:92]
	v_add_f64 v[3:4], v[3:4], v[73:74]
	s_waitcnt vmcnt(7) lgkmcnt(0)
	v_mul_f64 v[83:84], v[61:62], v[137:138]
	v_mul_f64 v[73:74], v[59:60], v[137:138]
	s_waitcnt vmcnt(5)
	v_fma_f64 v[67:68], v[67:68], v[71:72], -v[77:78]
	v_fma_f64 v[69:70], v[69:70], v[71:72], v[81:82]
	v_add_f64 v[63:64], v[75:76], v[63:64]
	v_add_f64 v[3:4], v[3:4], v[65:66]
	s_waitcnt vmcnt(4)
	v_fma_f64 v[59:60], v[59:60], v[142:143], -v[83:84]
	v_fma_f64 v[61:62], v[61:62], v[142:143], v[73:74]
	v_add_f64 v[63:64], v[63:64], v[67:68]
	v_add_f64 v[3:4], v[3:4], v[69:70]
	;; [unrolled: 1-line block ×4, first 2 shown]
	s_waitcnt vmcnt(2)
	v_add_f64 v[59:60], v[79:80], -v[59:60]
	s_waitcnt vmcnt(0)
	v_add_f64 v[3:4], v[85:86], -v[3:4]
	buffer_store_dword v60, off, s[0:3], 0 offset:132
	buffer_store_dword v59, off, s[0:3], 0 offset:128
	;; [unrolled: 1-line block ×4, first 2 shown]
	v_cmpx_lt_u32_e32 6, v0
	s_cbranch_execz .LBB26_163
; %bb.162:
	v_mov_b32_e32 v3, s33
	s_clause 0x3
	buffer_load_dword v59, v3, s[0:3], 0 offen
	buffer_load_dword v60, v3, s[0:3], 0 offen offset:4
	buffer_load_dword v61, v3, s[0:3], 0 offen offset:8
	;; [unrolled: 1-line block ×3, first 2 shown]
	buffer_store_dword v2, off, s[0:3], 0 offset:112
	buffer_store_dword v2, off, s[0:3], 0 offset:116
	;; [unrolled: 1-line block ×4, first 2 shown]
	s_waitcnt vmcnt(0)
	ds_write_b128 v1, v[59:62]
.LBB26_163:
	s_or_b32 exec_lo, exec_lo, s4
	s_waitcnt lgkmcnt(0)
	s_waitcnt_vscnt null, 0x0
	s_barrier
	buffer_gl0_inv
	s_clause 0x37
	buffer_load_dword v3, off, s[0:3], 0 offset:136
	buffer_load_dword v4, off, s[0:3], 0 offset:140
	buffer_load_dword v71, off, s[0:3], 0 offset:152
	buffer_load_dword v72, off, s[0:3], 0 offset:156
	buffer_load_dword v73, off, s[0:3], 0 offset:128
	buffer_load_dword v74, off, s[0:3], 0 offset:132
	buffer_load_dword v75, off, s[0:3], 0 offset:168
	buffer_load_dword v76, off, s[0:3], 0 offset:172
	buffer_load_dword v77, off, s[0:3], 0 offset:144
	buffer_load_dword v78, off, s[0:3], 0 offset:148
	buffer_load_dword v80, off, s[0:3], 0 offset:188
	buffer_load_dword v81, off, s[0:3], 0 offset:200
	buffer_load_dword v83, off, s[0:3], 0 offset:192
	buffer_load_dword v79, off, s[0:3], 0 offset:184
	buffer_load_dword v85, off, s[0:3], 0 offset:160
	buffer_load_dword v86, off, s[0:3], 0 offset:164
	buffer_load_dword v82, off, s[0:3], 0 offset:204
	buffer_load_dword v88, off, s[0:3], 0 offset:180
	buffer_load_dword v87, off, s[0:3], 0 offset:176
	buffer_load_dword v90, off, s[0:3], 0 offset:220
	buffer_load_dword v91, off, s[0:3], 0 offset:232
	buffer_load_dword v93, off, s[0:3], 0 offset:224
	buffer_load_dword v89, off, s[0:3], 0 offset:216
	buffer_load_dword v84, off, s[0:3], 0 offset:196
	buffer_load_dword v92, off, s[0:3], 0 offset:236
	buffer_load_dword v96, off, s[0:3], 0 offset:212
	buffer_load_dword v95, off, s[0:3], 0 offset:208
	buffer_load_dword v98, off, s[0:3], 0 offset:252
	buffer_load_dword v99, off, s[0:3], 0 offset:264
	buffer_load_dword v101, off, s[0:3], 0 offset:256
	buffer_load_dword v97, off, s[0:3], 0 offset:248
	buffer_load_dword v94, off, s[0:3], 0 offset:228
	buffer_load_dword v100, off, s[0:3], 0 offset:268
	buffer_load_dword v104, off, s[0:3], 0 offset:244
	buffer_load_dword v103, off, s[0:3], 0 offset:240
	buffer_load_dword v106, off, s[0:3], 0 offset:284
	buffer_load_dword v107, off, s[0:3], 0 offset:296
	buffer_load_dword v109, off, s[0:3], 0 offset:288
	buffer_load_dword v105, off, s[0:3], 0 offset:280
	buffer_load_dword v102, off, s[0:3], 0 offset:260
	buffer_load_dword v108, off, s[0:3], 0 offset:300
	buffer_load_dword v112, off, s[0:3], 0 offset:276
	buffer_load_dword v111, off, s[0:3], 0 offset:272
	buffer_load_dword v114, off, s[0:3], 0 offset:316
	buffer_load_dword v115, off, s[0:3], 0 offset:328
	buffer_load_dword v117, off, s[0:3], 0 offset:320
	buffer_load_dword v113, off, s[0:3], 0 offset:312
	buffer_load_dword v110, off, s[0:3], 0 offset:292
	buffer_load_dword v116, off, s[0:3], 0 offset:332
	buffer_load_dword v120, off, s[0:3], 0 offset:308
	buffer_load_dword v119, off, s[0:3], 0 offset:304
	buffer_load_dword v122, off, s[0:3], 0 offset:348
	buffer_load_dword v123, off, s[0:3], 0 offset:360
	buffer_load_dword v125, off, s[0:3], 0 offset:352
	buffer_load_dword v121, off, s[0:3], 0 offset:344
	buffer_load_dword v118, off, s[0:3], 0 offset:324
	ds_read_b128 v[59:62], v2 offset:544
	s_clause 0x2
	buffer_load_dword v124, off, s[0:3], 0 offset:364
	buffer_load_dword v128, off, s[0:3], 0 offset:340
	;; [unrolled: 1-line block ×3, first 2 shown]
	ds_read_b128 v[63:66], v2 offset:560
	s_clause 0x4
	buffer_load_dword v132, off, s[0:3], 0 offset:380
	buffer_load_dword v133, off, s[0:3], 0 offset:392
	;; [unrolled: 1-line block ×5, first 2 shown]
	ds_read_b128 v[67:70], v2 offset:576
	s_mov_b32 s4, exec_lo
	s_waitcnt vmcnt(62) lgkmcnt(2)
	v_mul_f64 v[129:130], v[61:62], v[3:4]
	v_mul_f64 v[3:4], v[59:60], v[3:4]
	s_waitcnt vmcnt(60) lgkmcnt(1)
	v_mul_f64 v[136:137], v[65:66], v[71:72]
	v_mul_f64 v[71:72], v[63:64], v[71:72]
	;; [unrolled: 3-line block ×3, first 2 shown]
	v_fma_f64 v[129:130], v[59:60], v[73:74], -v[129:130]
	v_fma_f64 v[3:4], v[61:62], v[73:74], v[3:4]
	s_clause 0x2
	buffer_load_dword v134, off, s[0:3], 0 offset:396
	buffer_load_dword v74, off, s[0:3], 0 offset:372
	;; [unrolled: 1-line block ×3, first 2 shown]
	s_waitcnt vmcnt(57)
	v_fma_f64 v[140:141], v[63:64], v[77:78], -v[136:137]
	ds_read_b128 v[59:62], v2 offset:592
	v_fma_f64 v[71:72], v[65:66], v[77:78], v[71:72]
	s_clause 0x4
	buffer_load_dword v78, off, s[0:3], 0 offset:412
	buffer_load_dword v137, off, s[0:3], 0 offset:424
	;; [unrolled: 1-line block ×5, first 2 shown]
	s_waitcnt vmcnt(56)
	v_fma_f64 v[75:76], v[67:68], v[85:86], -v[75:76]
	ds_read_b128 v[63:66], v2 offset:608
	v_fma_f64 v[85:86], v[69:70], v[85:86], v[138:139]
	v_add_f64 v[129:130], v[129:130], 0
	v_add_f64 v[3:4], v[3:4], 0
	s_waitcnt lgkmcnt(1)
	v_mul_f64 v[143:144], v[59:60], v[79:80]
	v_mul_f64 v[79:80], v[61:62], v[79:80]
	v_add_f64 v[129:130], v[129:130], v[140:141]
	v_add_f64 v[3:4], v[3:4], v[71:72]
	s_clause 0x2
	buffer_load_dword v138, off, s[0:3], 0 offset:428
	buffer_load_dword v72, off, s[0:3], 0 offset:404
	;; [unrolled: 1-line block ×3, first 2 shown]
	s_waitcnt vmcnt(58) lgkmcnt(0)
	v_mul_f64 v[139:140], v[63:64], v[81:82]
	v_mul_f64 v[81:82], v[65:66], v[81:82]
	s_waitcnt vmcnt(56)
	v_fma_f64 v[79:80], v[59:60], v[87:88], -v[79:80]
	ds_read_b128 v[67:70], v2 offset:624
	v_fma_f64 v[87:88], v[61:62], v[87:88], v[143:144]
	v_add_f64 v[75:76], v[129:130], v[75:76]
	v_add_f64 v[3:4], v[3:4], v[85:86]
	s_clause 0x2
	buffer_load_dword v86, off, s[0:3], 0 offset:444
	buffer_load_dword v85, off, s[0:3], 0 offset:440
	;; [unrolled: 1-line block ×3, first 2 shown]
	ds_read_b128 v[59:62], v2 offset:640
	s_waitcnt vmcnt(55) lgkmcnt(1)
	v_mul_f64 v[129:130], v[67:68], v[89:90]
	v_mul_f64 v[89:90], v[69:70], v[89:90]
	s_waitcnt vmcnt(54)
	v_fma_f64 v[81:82], v[63:64], v[83:84], -v[81:82]
	v_add_f64 v[75:76], v[75:76], v[79:80]
	v_fma_f64 v[79:80], v[65:66], v[83:84], v[139:140]
	v_add_f64 v[3:4], v[3:4], v[87:88]
	s_clause 0x1
	buffer_load_dword v84, off, s[0:3], 0 offset:436
	buffer_load_dword v83, off, s[0:3], 0 offset:432
	s_waitcnt vmcnt(55) lgkmcnt(0)
	v_mul_f64 v[87:88], v[59:60], v[91:92]
	v_mul_f64 v[91:92], v[61:62], v[91:92]
	s_waitcnt vmcnt(53)
	v_fma_f64 v[89:90], v[67:68], v[95:96], -v[89:90]
	ds_read_b128 v[63:66], v2 offset:656
	v_add_f64 v[75:76], v[75:76], v[81:82]
	v_fma_f64 v[81:82], v[69:70], v[95:96], v[129:130]
	v_add_f64 v[3:4], v[3:4], v[79:80]
	ds_read_b128 v[67:70], v2 offset:672
	s_waitcnt vmcnt(48)
	v_fma_f64 v[87:88], v[61:62], v[93:94], v[87:88]
	s_waitcnt lgkmcnt(1)
	v_mul_f64 v[95:96], v[65:66], v[97:98]
	v_fma_f64 v[91:92], v[59:60], v[93:94], -v[91:92]
	v_mul_f64 v[79:80], v[63:64], v[97:98]
	v_add_f64 v[75:76], v[75:76], v[89:90]
	s_waitcnt vmcnt(47) lgkmcnt(0)
	v_mul_f64 v[97:98], v[69:70], v[99:100]
	v_add_f64 v[3:4], v[3:4], v[81:82]
	s_clause 0x3
	buffer_load_dword v81, off, s[0:3], 0 offset:112
	buffer_load_dword v82, off, s[0:3], 0 offset:116
	;; [unrolled: 1-line block ×4, first 2 shown]
	ds_read_b128 v[59:62], v2 offset:688
	s_waitcnt vmcnt(49)
	v_fma_f64 v[95:96], v[63:64], v[103:104], -v[95:96]
	v_mul_f64 v[93:94], v[67:68], v[99:100]
	v_fma_f64 v[79:80], v[65:66], v[103:104], v[79:80]
	ds_read_b128 v[63:66], v2 offset:704
	v_add_f64 v[75:76], v[75:76], v[91:92]
	s_waitcnt vmcnt(44)
	v_fma_f64 v[97:98], v[67:68], v[101:102], -v[97:98]
	v_add_f64 v[3:4], v[3:4], v[87:88]
	s_waitcnt lgkmcnt(1)
	v_mul_f64 v[91:92], v[61:62], v[105:106]
	v_mul_f64 v[87:88], v[59:60], v[105:106]
	v_fma_f64 v[93:94], v[69:70], v[101:102], v[93:94]
	ds_read_b128 v[67:70], v2 offset:720
	v_add_f64 v[75:76], v[75:76], v[95:96]
	s_waitcnt vmcnt(43) lgkmcnt(1)
	v_mul_f64 v[95:96], v[65:66], v[107:108]
	v_add_f64 v[3:4], v[3:4], v[79:80]
	s_waitcnt vmcnt(41)
	v_fma_f64 v[91:92], v[59:60], v[111:112], -v[91:92]
	v_mul_f64 v[79:80], v[63:64], v[107:108]
	v_fma_f64 v[87:88], v[61:62], v[111:112], v[87:88]
	ds_read_b128 v[59:62], v2 offset:736
	v_add_f64 v[75:76], v[75:76], v[97:98]
	s_waitcnt vmcnt(37) lgkmcnt(1)
	v_mul_f64 v[97:98], v[69:70], v[113:114]
	v_add_f64 v[3:4], v[3:4], v[93:94]
	s_waitcnt vmcnt(36)
	v_fma_f64 v[95:96], v[63:64], v[109:110], -v[95:96]
	;; [unrolled: 9-line block ×6, first 2 shown]
	v_mul_f64 v[87:88], v[59:60], v[131:132]
	v_fma_f64 v[93:94], v[69:70], v[125:126], v[93:94]
	ds_read_b128 v[67:70], v2 offset:816
	v_add_f64 v[75:76], v[75:76], v[95:96]
	v_add_f64 v[3:4], v[3:4], v[79:80]
	s_waitcnt vmcnt(19) lgkmcnt(1)
	v_mul_f64 v[95:96], v[65:66], v[133:134]
	v_mul_f64 v[79:80], v[63:64], v[133:134]
	s_waitcnt vmcnt(17)
	v_fma_f64 v[91:92], v[59:60], v[73:74], -v[91:92]
	v_fma_f64 v[73:74], v[61:62], v[73:74], v[87:88]
	ds_read_b128 v[59:62], v2 offset:832
	s_waitcnt vmcnt(13) lgkmcnt(1)
	v_mul_f64 v[87:88], v[67:68], v[77:78]
	v_mul_f64 v[77:78], v[69:70], v[77:78]
	v_add_f64 v[75:76], v[75:76], v[97:98]
	v_add_f64 v[3:4], v[3:4], v[93:94]
	s_waitcnt vmcnt(12)
	v_fma_f64 v[93:94], v[63:64], v[135:136], -v[95:96]
	v_fma_f64 v[79:80], v[65:66], v[135:136], v[79:80]
	ds_read_b128 v[63:66], v2 offset:848
	v_add_f64 v[75:76], v[75:76], v[91:92]
	v_add_f64 v[3:4], v[3:4], v[73:74]
	s_waitcnt vmcnt(11) lgkmcnt(1)
	v_mul_f64 v[91:92], v[61:62], v[137:138]
	v_mul_f64 v[73:74], v[59:60], v[137:138]
	s_waitcnt vmcnt(9)
	v_fma_f64 v[67:68], v[67:68], v[71:72], -v[77:78]
	v_fma_f64 v[69:70], v[69:70], v[71:72], v[87:88]
	v_add_f64 v[75:76], v[75:76], v[93:94]
	v_add_f64 v[2:3], v[3:4], v[79:80]
	s_waitcnt vmcnt(7) lgkmcnt(0)
	v_mul_f64 v[77:78], v[65:66], v[85:86]
	s_waitcnt vmcnt(6)
	v_fma_f64 v[59:60], v[59:60], v[142:143], -v[91:92]
	v_mul_f64 v[71:72], v[63:64], v[85:86]
	v_fma_f64 v[61:62], v[61:62], v[142:143], v[73:74]
	v_add_f64 v[67:68], v[75:76], v[67:68]
	v_add_f64 v[2:3], v[2:3], v[69:70]
	s_waitcnt vmcnt(4)
	v_fma_f64 v[63:64], v[63:64], v[83:84], -v[77:78]
	v_fma_f64 v[65:66], v[65:66], v[83:84], v[71:72]
	v_add_f64 v[59:60], v[67:68], v[59:60]
	v_add_f64 v[2:3], v[2:3], v[61:62]
	;; [unrolled: 1-line block ×4, first 2 shown]
	s_waitcnt vmcnt(2)
	v_add_f64 v[59:60], v[81:82], -v[59:60]
	s_waitcnt vmcnt(0)
	v_add_f64 v[2:3], v[89:90], -v[2:3]
	buffer_store_dword v60, off, s[0:3], 0 offset:116
	buffer_store_dword v59, off, s[0:3], 0 offset:112
	;; [unrolled: 1-line block ×4, first 2 shown]
	v_cmpx_lt_u32_e32 5, v0
	s_cbranch_execz .LBB26_165
; %bb.164:
	v_mov_b32_e32 v2, s34
	s_clause 0x3
	buffer_load_dword v59, v2, s[0:3], 0 offen
	buffer_load_dword v60, v2, s[0:3], 0 offen offset:4
	buffer_load_dword v61, v2, s[0:3], 0 offen offset:8
	;; [unrolled: 1-line block ×3, first 2 shown]
	v_mov_b32_e32 v2, 0
	buffer_store_dword v2, off, s[0:3], 0 offset:96
	buffer_store_dword v2, off, s[0:3], 0 offset:100
	;; [unrolled: 1-line block ×4, first 2 shown]
	s_waitcnt vmcnt(0)
	ds_write_b128 v1, v[59:62]
.LBB26_165:
	s_or_b32 exec_lo, exec_lo, s4
	s_waitcnt lgkmcnt(0)
	s_waitcnt_vscnt null, 0x0
	s_barrier
	buffer_gl0_inv
	s_clause 0x37
	buffer_load_dword v3, off, s[0:3], 0 offset:120
	buffer_load_dword v4, off, s[0:3], 0 offset:124
	;; [unrolled: 1-line block ×56, first 2 shown]
	v_mov_b32_e32 v2, 0
	s_mov_b32 s4, exec_lo
	ds_read_b128 v[59:62], v2 offset:528
	s_clause 0x2
	buffer_load_dword v124, off, s[0:3], 0 offset:348
	buffer_load_dword v128, off, s[0:3], 0 offset:324
	;; [unrolled: 1-line block ×3, first 2 shown]
	ds_read_b128 v[63:66], v2 offset:544
	s_clause 0x4
	buffer_load_dword v132, off, s[0:3], 0 offset:364
	buffer_load_dword v133, off, s[0:3], 0 offset:376
	;; [unrolled: 1-line block ×5, first 2 shown]
	ds_read_b128 v[67:70], v2 offset:560
	s_waitcnt vmcnt(62) lgkmcnt(2)
	v_mul_f64 v[129:130], v[61:62], v[3:4]
	v_mul_f64 v[3:4], v[59:60], v[3:4]
	s_waitcnt vmcnt(60) lgkmcnt(1)
	v_mul_f64 v[136:137], v[65:66], v[71:72]
	v_mul_f64 v[71:72], v[63:64], v[71:72]
	;; [unrolled: 3-line block ×3, first 2 shown]
	v_fma_f64 v[129:130], v[59:60], v[73:74], -v[129:130]
	v_fma_f64 v[3:4], v[61:62], v[73:74], v[3:4]
	s_clause 0x2
	buffer_load_dword v134, off, s[0:3], 0 offset:380
	buffer_load_dword v74, off, s[0:3], 0 offset:356
	;; [unrolled: 1-line block ×3, first 2 shown]
	s_waitcnt vmcnt(57)
	v_fma_f64 v[140:141], v[63:64], v[77:78], -v[136:137]
	ds_read_b128 v[59:62], v2 offset:576
	v_fma_f64 v[71:72], v[65:66], v[77:78], v[71:72]
	s_clause 0x4
	buffer_load_dword v78, off, s[0:3], 0 offset:396
	buffer_load_dword v137, off, s[0:3], 0 offset:408
	;; [unrolled: 1-line block ×5, first 2 shown]
	s_waitcnt vmcnt(56)
	v_fma_f64 v[75:76], v[67:68], v[85:86], -v[75:76]
	ds_read_b128 v[63:66], v2 offset:592
	v_fma_f64 v[85:86], v[69:70], v[85:86], v[138:139]
	v_add_f64 v[129:130], v[129:130], 0
	v_add_f64 v[3:4], v[3:4], 0
	s_waitcnt lgkmcnt(1)
	v_mul_f64 v[143:144], v[59:60], v[79:80]
	v_mul_f64 v[79:80], v[61:62], v[79:80]
	v_add_f64 v[129:130], v[129:130], v[140:141]
	v_add_f64 v[3:4], v[3:4], v[71:72]
	s_clause 0x2
	buffer_load_dword v138, off, s[0:3], 0 offset:412
	buffer_load_dword v72, off, s[0:3], 0 offset:388
	;; [unrolled: 1-line block ×3, first 2 shown]
	s_waitcnt vmcnt(58) lgkmcnt(0)
	v_mul_f64 v[139:140], v[63:64], v[81:82]
	v_mul_f64 v[81:82], v[65:66], v[81:82]
	s_waitcnt vmcnt(56)
	v_fma_f64 v[79:80], v[59:60], v[87:88], -v[79:80]
	ds_read_b128 v[67:70], v2 offset:608
	v_fma_f64 v[87:88], v[61:62], v[87:88], v[143:144]
	v_add_f64 v[75:76], v[129:130], v[75:76]
	v_add_f64 v[3:4], v[3:4], v[85:86]
	s_clause 0x4
	buffer_load_dword v86, off, s[0:3], 0 offset:428
	buffer_load_dword v129, off, s[0:3], 0 offset:440
	;; [unrolled: 1-line block ×5, first 2 shown]
	ds_read_b128 v[59:62], v2 offset:624
	s_waitcnt vmcnt(57) lgkmcnt(1)
	v_mul_f64 v[145:146], v[67:68], v[89:90]
	v_mul_f64 v[89:90], v[69:70], v[89:90]
	s_waitcnt vmcnt(56)
	v_fma_f64 v[81:82], v[63:64], v[83:84], -v[81:82]
	v_add_f64 v[75:76], v[75:76], v[79:80]
	v_fma_f64 v[79:80], v[65:66], v[83:84], v[139:140]
	v_add_f64 v[3:4], v[3:4], v[87:88]
	s_clause 0x2
	buffer_load_dword v130, off, s[0:3], 0 offset:444
	buffer_load_dword v84, off, s[0:3], 0 offset:420
	buffer_load_dword v83, off, s[0:3], 0 offset:416
	s_waitcnt vmcnt(58) lgkmcnt(0)
	v_mul_f64 v[87:88], v[59:60], v[91:92]
	v_mul_f64 v[91:92], v[61:62], v[91:92]
	s_waitcnt vmcnt(56)
	v_fma_f64 v[89:90], v[67:68], v[95:96], -v[89:90]
	ds_read_b128 v[63:66], v2 offset:640
	v_add_f64 v[75:76], v[75:76], v[81:82]
	v_fma_f64 v[81:82], v[69:70], v[95:96], v[145:146]
	v_add_f64 v[3:4], v[3:4], v[79:80]
	buffer_load_dword v145, off, s[0:3], 0 offset:436
	ds_read_b128 v[67:70], v2 offset:656
	s_waitcnt vmcnt(53) lgkmcnt(1)
	v_mul_f64 v[95:96], v[65:66], v[97:98]
	s_waitcnt vmcnt(52)
	v_fma_f64 v[91:92], v[59:60], v[93:94], -v[91:92]
	v_mul_f64 v[79:80], v[63:64], v[97:98]
	v_fma_f64 v[87:88], v[61:62], v[93:94], v[87:88]
	ds_read_b128 v[59:62], v2 offset:672
	v_add_f64 v[75:76], v[75:76], v[89:90]
	v_add_f64 v[3:4], v[3:4], v[81:82]
	s_waitcnt vmcnt(51) lgkmcnt(1)
	v_mul_f64 v[89:90], v[69:70], v[99:100]
	v_mul_f64 v[81:82], v[67:68], v[99:100]
	s_waitcnt vmcnt(49)
	v_fma_f64 v[93:94], v[63:64], v[103:104], -v[95:96]
	v_fma_f64 v[79:80], v[65:66], v[103:104], v[79:80]
	s_waitcnt vmcnt(45) lgkmcnt(0)
	v_mul_f64 v[97:98], v[61:62], v[105:106]
	v_mul_f64 v[95:96], v[59:60], v[105:106]
	v_add_f64 v[75:76], v[75:76], v[91:92]
	v_add_f64 v[3:4], v[3:4], v[87:88]
	s_clause 0x3
	buffer_load_dword v87, off, s[0:3], 0 offset:96
	buffer_load_dword v88, off, s[0:3], 0 offset:100
	;; [unrolled: 1-line block ×4, first 2 shown]
	s_waitcnt vmcnt(48)
	v_fma_f64 v[89:90], v[67:68], v[101:102], -v[89:90]
	ds_read_b128 v[63:66], v2 offset:688
	v_fma_f64 v[81:82], v[69:70], v[101:102], v[81:82]
	ds_read_b128 v[67:70], v2 offset:704
	s_waitcnt vmcnt(45)
	v_fma_f64 v[97:98], v[59:60], v[111:112], -v[97:98]
	v_add_f64 v[75:76], v[75:76], v[93:94]
	v_add_f64 v[3:4], v[3:4], v[79:80]
	s_waitcnt lgkmcnt(1)
	v_mul_f64 v[93:94], v[65:66], v[107:108]
	v_mul_f64 v[79:80], v[63:64], v[107:108]
	v_add_f64 v[75:76], v[75:76], v[89:90]
	v_fma_f64 v[89:90], v[61:62], v[111:112], v[95:96]
	v_add_f64 v[3:4], v[3:4], v[81:82]
	s_waitcnt vmcnt(41) lgkmcnt(0)
	v_mul_f64 v[95:96], v[69:70], v[113:114]
	s_waitcnt vmcnt(40)
	v_fma_f64 v[93:94], v[63:64], v[109:110], -v[93:94]
	ds_read_b128 v[59:62], v2 offset:720
	v_mul_f64 v[81:82], v[67:68], v[113:114]
	v_fma_f64 v[79:80], v[65:66], v[109:110], v[79:80]
	ds_read_b128 v[63:66], v2 offset:736
	v_add_f64 v[75:76], v[75:76], v[97:98]
	v_add_f64 v[3:4], v[3:4], v[89:90]
	s_waitcnt vmcnt(39) lgkmcnt(1)
	v_mul_f64 v[97:98], v[61:62], v[115:116]
	s_waitcnt vmcnt(37)
	v_fma_f64 v[95:96], v[67:68], v[119:120], -v[95:96]
	v_mul_f64 v[89:90], v[59:60], v[115:116]
	v_fma_f64 v[81:82], v[69:70], v[119:120], v[81:82]
	ds_read_b128 v[67:70], v2 offset:752
	v_add_f64 v[75:76], v[75:76], v[93:94]
	s_waitcnt vmcnt(33) lgkmcnt(1)
	v_mul_f64 v[93:94], v[65:66], v[121:122]
	v_add_f64 v[3:4], v[3:4], v[79:80]
	s_waitcnt vmcnt(32)
	v_fma_f64 v[97:98], v[59:60], v[117:118], -v[97:98]
	v_mul_f64 v[79:80], v[63:64], v[121:122]
	v_fma_f64 v[89:90], v[61:62], v[117:118], v[89:90]
	ds_read_b128 v[59:62], v2 offset:768
	v_add_f64 v[75:76], v[75:76], v[95:96]
	s_waitcnt vmcnt(31) lgkmcnt(1)
	v_mul_f64 v[95:96], v[69:70], v[123:124]
	v_add_f64 v[3:4], v[3:4], v[81:82]
	;; [unrolled: 9-line block ×3, first 2 shown]
	s_waitcnt vmcnt(24)
	v_fma_f64 v[95:96], v[67:68], v[125:126], -v[95:96]
	v_mul_f64 v[89:90], v[59:60], v[131:132]
	v_fma_f64 v[81:82], v[69:70], v[125:126], v[81:82]
	ds_read_b128 v[67:70], v2 offset:800
	v_add_f64 v[75:76], v[75:76], v[93:94]
	v_add_f64 v[3:4], v[3:4], v[79:80]
	s_waitcnt vmcnt(23) lgkmcnt(1)
	v_mul_f64 v[93:94], v[65:66], v[133:134]
	v_mul_f64 v[79:80], v[63:64], v[133:134]
	s_waitcnt vmcnt(21)
	v_fma_f64 v[97:98], v[59:60], v[73:74], -v[97:98]
	v_fma_f64 v[73:74], v[61:62], v[73:74], v[89:90]
	ds_read_b128 v[59:62], v2 offset:816
	v_add_f64 v[75:76], v[75:76], v[95:96]
	v_add_f64 v[3:4], v[3:4], v[81:82]
	s_waitcnt vmcnt(17) lgkmcnt(1)
	v_mul_f64 v[81:82], v[67:68], v[77:78]
	v_mul_f64 v[77:78], v[69:70], v[77:78]
	s_waitcnt vmcnt(16)
	v_fma_f64 v[89:90], v[63:64], v[135:136], -v[93:94]
	;; [unrolled: 9-line block ×3, first 2 shown]
	v_fma_f64 v[71:72], v[69:70], v[71:72], v[81:82]
	ds_read_b128 v[67:70], v2 offset:848
	v_add_f64 v[75:76], v[75:76], v[89:90]
	v_add_f64 v[3:4], v[3:4], v[79:80]
	s_waitcnt vmcnt(9) lgkmcnt(1)
	v_mul_f64 v[81:82], v[65:66], v[85:86]
	s_waitcnt vmcnt(8)
	v_fma_f64 v[59:60], v[59:60], v[142:143], -v[93:94]
	v_mul_f64 v[79:80], v[63:64], v[85:86]
	v_fma_f64 v[61:62], v[61:62], v[142:143], v[73:74]
	v_add_f64 v[75:76], v[75:76], v[77:78]
	v_add_f64 v[3:4], v[3:4], v[71:72]
	s_waitcnt vmcnt(7) lgkmcnt(0)
	v_mul_f64 v[73:74], v[69:70], v[129:130]
	v_mul_f64 v[71:72], v[67:68], v[129:130]
	s_waitcnt vmcnt(5)
	v_fma_f64 v[63:64], v[63:64], v[83:84], -v[81:82]
	v_fma_f64 v[65:66], v[65:66], v[83:84], v[79:80]
	v_add_f64 v[59:60], v[75:76], v[59:60]
	v_add_f64 v[3:4], v[3:4], v[61:62]
	s_waitcnt vmcnt(4)
	v_fma_f64 v[61:62], v[67:68], v[144:145], -v[73:74]
	v_add_f64 v[59:60], v[59:60], v[63:64]
	v_fma_f64 v[63:64], v[69:70], v[144:145], v[71:72]
	v_add_f64 v[3:4], v[3:4], v[65:66]
	v_add_f64 v[59:60], v[59:60], v[61:62]
	;; [unrolled: 1-line block ×3, first 2 shown]
	s_waitcnt vmcnt(2)
	v_add_f64 v[59:60], v[87:88], -v[59:60]
	s_waitcnt vmcnt(0)
	v_add_f64 v[3:4], v[91:92], -v[3:4]
	buffer_store_dword v60, off, s[0:3], 0 offset:100
	buffer_store_dword v59, off, s[0:3], 0 offset:96
	;; [unrolled: 1-line block ×4, first 2 shown]
	v_cmpx_lt_u32_e32 4, v0
	s_cbranch_execz .LBB26_167
; %bb.166:
	v_mov_b32_e32 v3, s35
	s_clause 0x3
	buffer_load_dword v59, v3, s[0:3], 0 offen
	buffer_load_dword v60, v3, s[0:3], 0 offen offset:4
	buffer_load_dword v61, v3, s[0:3], 0 offen offset:8
	;; [unrolled: 1-line block ×3, first 2 shown]
	buffer_store_dword v2, off, s[0:3], 0 offset:80
	buffer_store_dword v2, off, s[0:3], 0 offset:84
	;; [unrolled: 1-line block ×4, first 2 shown]
	s_waitcnt vmcnt(0)
	ds_write_b128 v1, v[59:62]
.LBB26_167:
	s_or_b32 exec_lo, exec_lo, s4
	s_waitcnt lgkmcnt(0)
	s_waitcnt_vscnt null, 0x0
	s_barrier
	buffer_gl0_inv
	s_clause 0x37
	buffer_load_dword v3, off, s[0:3], 0 offset:104
	buffer_load_dword v4, off, s[0:3], 0 offset:108
	;; [unrolled: 1-line block ×56, first 2 shown]
	ds_read_b128 v[59:62], v2 offset:512
	s_clause 0x2
	buffer_load_dword v124, off, s[0:3], 0 offset:332
	buffer_load_dword v128, off, s[0:3], 0 offset:308
	;; [unrolled: 1-line block ×3, first 2 shown]
	ds_read_b128 v[63:66], v2 offset:528
	s_clause 0x4
	buffer_load_dword v132, off, s[0:3], 0 offset:348
	buffer_load_dword v133, off, s[0:3], 0 offset:360
	;; [unrolled: 1-line block ×5, first 2 shown]
	ds_read_b128 v[67:70], v2 offset:544
	s_mov_b32 s4, exec_lo
	s_waitcnt vmcnt(62) lgkmcnt(2)
	v_mul_f64 v[129:130], v[61:62], v[3:4]
	v_mul_f64 v[3:4], v[59:60], v[3:4]
	s_waitcnt vmcnt(60) lgkmcnt(1)
	v_mul_f64 v[136:137], v[65:66], v[71:72]
	v_mul_f64 v[71:72], v[63:64], v[71:72]
	;; [unrolled: 3-line block ×3, first 2 shown]
	v_fma_f64 v[129:130], v[59:60], v[73:74], -v[129:130]
	v_fma_f64 v[3:4], v[61:62], v[73:74], v[3:4]
	s_clause 0x2
	buffer_load_dword v134, off, s[0:3], 0 offset:364
	buffer_load_dword v74, off, s[0:3], 0 offset:340
	;; [unrolled: 1-line block ×3, first 2 shown]
	s_waitcnt vmcnt(57)
	v_fma_f64 v[140:141], v[63:64], v[77:78], -v[136:137]
	ds_read_b128 v[59:62], v2 offset:560
	v_fma_f64 v[71:72], v[65:66], v[77:78], v[71:72]
	s_clause 0x4
	buffer_load_dword v78, off, s[0:3], 0 offset:380
	buffer_load_dword v137, off, s[0:3], 0 offset:392
	buffer_load_dword v142, off, s[0:3], 0 offset:384
	buffer_load_dword v77, off, s[0:3], 0 offset:376
	buffer_load_dword v136, off, s[0:3], 0 offset:356
	s_waitcnt vmcnt(56)
	v_fma_f64 v[75:76], v[67:68], v[85:86], -v[75:76]
	ds_read_b128 v[63:66], v2 offset:576
	v_fma_f64 v[85:86], v[69:70], v[85:86], v[138:139]
	v_add_f64 v[129:130], v[129:130], 0
	v_add_f64 v[3:4], v[3:4], 0
	s_waitcnt lgkmcnt(1)
	v_mul_f64 v[143:144], v[59:60], v[79:80]
	v_mul_f64 v[79:80], v[61:62], v[79:80]
	v_add_f64 v[129:130], v[129:130], v[140:141]
	v_add_f64 v[3:4], v[3:4], v[71:72]
	s_clause 0x2
	buffer_load_dword v138, off, s[0:3], 0 offset:396
	buffer_load_dword v72, off, s[0:3], 0 offset:372
	buffer_load_dword v71, off, s[0:3], 0 offset:368
	s_waitcnt vmcnt(58) lgkmcnt(0)
	v_mul_f64 v[139:140], v[63:64], v[81:82]
	v_mul_f64 v[81:82], v[65:66], v[81:82]
	s_waitcnt vmcnt(56)
	v_fma_f64 v[79:80], v[59:60], v[87:88], -v[79:80]
	ds_read_b128 v[67:70], v2 offset:592
	v_fma_f64 v[87:88], v[61:62], v[87:88], v[143:144]
	v_add_f64 v[75:76], v[129:130], v[75:76]
	v_add_f64 v[3:4], v[3:4], v[85:86]
	s_clause 0x4
	buffer_load_dword v86, off, s[0:3], 0 offset:412
	buffer_load_dword v129, off, s[0:3], 0 offset:424
	;; [unrolled: 1-line block ×5, first 2 shown]
	ds_read_b128 v[59:62], v2 offset:608
	s_waitcnt vmcnt(57) lgkmcnt(1)
	v_mul_f64 v[145:146], v[67:68], v[89:90]
	v_mul_f64 v[89:90], v[69:70], v[89:90]
	s_waitcnt vmcnt(56)
	v_fma_f64 v[81:82], v[63:64], v[83:84], -v[81:82]
	v_add_f64 v[75:76], v[75:76], v[79:80]
	v_fma_f64 v[79:80], v[65:66], v[83:84], v[139:140]
	v_add_f64 v[3:4], v[3:4], v[87:88]
	s_clause 0x2
	buffer_load_dword v130, off, s[0:3], 0 offset:428
	buffer_load_dword v84, off, s[0:3], 0 offset:404
	;; [unrolled: 1-line block ×3, first 2 shown]
	s_waitcnt vmcnt(58) lgkmcnt(0)
	v_mul_f64 v[87:88], v[59:60], v[91:92]
	v_mul_f64 v[91:92], v[61:62], v[91:92]
	s_waitcnt vmcnt(56)
	v_fma_f64 v[89:90], v[67:68], v[95:96], -v[89:90]
	ds_read_b128 v[63:66], v2 offset:624
	v_add_f64 v[75:76], v[75:76], v[81:82]
	v_fma_f64 v[81:82], v[69:70], v[95:96], v[145:146]
	v_add_f64 v[3:4], v[3:4], v[79:80]
	s_clause 0x2
	buffer_load_dword v80, off, s[0:3], 0 offset:444
	buffer_load_dword v79, off, s[0:3], 0 offset:440
	buffer_load_dword v145, off, s[0:3], 0 offset:420
	ds_read_b128 v[67:70], v2 offset:640
	s_waitcnt vmcnt(55) lgkmcnt(1)
	v_mul_f64 v[95:96], v[63:64], v[97:98]
	v_mul_f64 v[97:98], v[65:66], v[97:98]
	s_waitcnt vmcnt(54)
	v_fma_f64 v[91:92], v[59:60], v[93:94], -v[91:92]
	v_fma_f64 v[87:88], v[61:62], v[93:94], v[87:88]
	v_add_f64 v[75:76], v[75:76], v[89:90]
	v_add_f64 v[3:4], v[3:4], v[81:82]
	s_clause 0x1
	buffer_load_dword v82, off, s[0:3], 0 offset:436
	buffer_load_dword v81, off, s[0:3], 0 offset:432
	s_waitcnt vmcnt(55) lgkmcnt(0)
	v_mul_f64 v[93:94], v[69:70], v[99:100]
	ds_read_b128 v[59:62], v2 offset:656
	s_waitcnt vmcnt(53)
	v_fma_f64 v[97:98], v[63:64], v[103:104], -v[97:98]
	v_mul_f64 v[89:90], v[67:68], v[99:100]
	v_add_f64 v[75:76], v[75:76], v[91:92]
	v_fma_f64 v[91:92], v[65:66], v[103:104], v[95:96]
	v_add_f64 v[3:4], v[3:4], v[87:88]
	ds_read_b128 v[63:66], v2 offset:672
	s_waitcnt vmcnt(49) lgkmcnt(1)
	v_mul_f64 v[95:96], v[61:62], v[105:106]
	s_waitcnt vmcnt(48)
	v_fma_f64 v[93:94], v[67:68], v[101:102], -v[93:94]
	v_mul_f64 v[87:88], v[59:60], v[105:106]
	v_fma_f64 v[89:90], v[69:70], v[101:102], v[89:90]
	v_add_f64 v[75:76], v[75:76], v[97:98]
	s_waitcnt vmcnt(47) lgkmcnt(0)
	v_mul_f64 v[101:102], v[65:66], v[107:108]
	v_add_f64 v[3:4], v[3:4], v[91:92]
	s_clause 0x3
	buffer_load_dword v91, off, s[0:3], 0 offset:80
	buffer_load_dword v92, off, s[0:3], 0 offset:84
	;; [unrolled: 1-line block ×4, first 2 shown]
	s_waitcnt vmcnt(49)
	v_fma_f64 v[95:96], v[59:60], v[111:112], -v[95:96]
	ds_read_b128 v[67:70], v2 offset:688
	v_mul_f64 v[99:100], v[63:64], v[107:108]
	v_fma_f64 v[87:88], v[61:62], v[111:112], v[87:88]
	ds_read_b128 v[59:62], v2 offset:704
	v_add_f64 v[75:76], v[75:76], v[93:94]
	s_waitcnt vmcnt(44)
	v_fma_f64 v[101:102], v[63:64], v[109:110], -v[101:102]
	v_add_f64 v[3:4], v[3:4], v[89:90]
	s_waitcnt lgkmcnt(1)
	v_mul_f64 v[93:94], v[69:70], v[113:114]
	v_mul_f64 v[89:90], v[67:68], v[113:114]
	v_add_f64 v[75:76], v[75:76], v[95:96]
	v_fma_f64 v[95:96], v[65:66], v[109:110], v[99:100]
	v_add_f64 v[3:4], v[3:4], v[87:88]
	s_waitcnt vmcnt(43) lgkmcnt(0)
	v_mul_f64 v[99:100], v[61:62], v[115:116]
	s_waitcnt vmcnt(41)
	v_fma_f64 v[93:94], v[67:68], v[119:120], -v[93:94]
	ds_read_b128 v[63:66], v2 offset:720
	v_mul_f64 v[87:88], v[59:60], v[115:116]
	v_fma_f64 v[89:90], v[69:70], v[119:120], v[89:90]
	ds_read_b128 v[67:70], v2 offset:736
	v_add_f64 v[75:76], v[75:76], v[101:102]
	v_add_f64 v[3:4], v[3:4], v[95:96]
	s_waitcnt vmcnt(37) lgkmcnt(1)
	v_mul_f64 v[101:102], v[65:66], v[121:122]
	s_waitcnt vmcnt(36)
	v_fma_f64 v[99:100], v[59:60], v[117:118], -v[99:100]
	v_mul_f64 v[95:96], v[63:64], v[121:122]
	v_fma_f64 v[87:88], v[61:62], v[117:118], v[87:88]
	ds_read_b128 v[59:62], v2 offset:752
	v_add_f64 v[75:76], v[75:76], v[93:94]
	s_waitcnt vmcnt(35) lgkmcnt(1)
	v_mul_f64 v[93:94], v[69:70], v[123:124]
	v_add_f64 v[3:4], v[3:4], v[89:90]
	s_waitcnt vmcnt(33)
	v_fma_f64 v[101:102], v[63:64], v[127:128], -v[101:102]
	v_mul_f64 v[89:90], v[67:68], v[123:124]
	v_fma_f64 v[95:96], v[65:66], v[127:128], v[95:96]
	ds_read_b128 v[63:66], v2 offset:768
	v_add_f64 v[75:76], v[75:76], v[99:100]
	s_waitcnt vmcnt(29) lgkmcnt(1)
	v_mul_f64 v[99:100], v[61:62], v[131:132]
	v_add_f64 v[3:4], v[3:4], v[87:88]
	s_waitcnt vmcnt(28)
	v_fma_f64 v[93:94], v[67:68], v[125:126], -v[93:94]
	v_mul_f64 v[87:88], v[59:60], v[131:132]
	v_fma_f64 v[89:90], v[69:70], v[125:126], v[89:90]
	ds_read_b128 v[67:70], v2 offset:784
	v_add_f64 v[75:76], v[75:76], v[101:102]
	v_add_f64 v[3:4], v[3:4], v[95:96]
	s_waitcnt vmcnt(27) lgkmcnt(1)
	v_mul_f64 v[101:102], v[65:66], v[133:134]
	v_mul_f64 v[95:96], v[63:64], v[133:134]
	s_waitcnt vmcnt(25)
	v_fma_f64 v[99:100], v[59:60], v[73:74], -v[99:100]
	v_fma_f64 v[73:74], v[61:62], v[73:74], v[87:88]
	ds_read_b128 v[59:62], v2 offset:800
	s_waitcnt vmcnt(21) lgkmcnt(1)
	v_mul_f64 v[87:88], v[67:68], v[77:78]
	v_mul_f64 v[77:78], v[69:70], v[77:78]
	v_add_f64 v[75:76], v[75:76], v[93:94]
	v_add_f64 v[3:4], v[3:4], v[89:90]
	s_waitcnt vmcnt(20)
	v_fma_f64 v[89:90], v[63:64], v[135:136], -v[101:102]
	v_fma_f64 v[93:94], v[65:66], v[135:136], v[95:96]
	ds_read_b128 v[63:66], v2 offset:816
	v_add_f64 v[75:76], v[75:76], v[99:100]
	v_add_f64 v[3:4], v[3:4], v[73:74]
	s_waitcnt vmcnt(19) lgkmcnt(1)
	v_mul_f64 v[95:96], v[61:62], v[137:138]
	v_mul_f64 v[73:74], v[59:60], v[137:138]
	s_waitcnt vmcnt(17)
	v_fma_f64 v[77:78], v[67:68], v[71:72], -v[77:78]
	v_fma_f64 v[71:72], v[69:70], v[71:72], v[87:88]
	ds_read_b128 v[67:70], v2 offset:832
	v_add_f64 v[75:76], v[75:76], v[89:90]
	v_add_f64 v[3:4], v[3:4], v[93:94]
	s_waitcnt vmcnt(13) lgkmcnt(1)
	v_mul_f64 v[87:88], v[63:64], v[85:86]
	v_mul_f64 v[85:86], v[65:66], v[85:86]
	;; [unrolled: 9-line block ×3, first 2 shown]
	s_waitcnt vmcnt(9)
	v_fma_f64 v[63:64], v[63:64], v[83:84], -v[85:86]
	v_fma_f64 v[65:66], v[65:66], v[83:84], v[87:88]
	v_add_f64 v[75:76], v[75:76], v[89:90]
	v_add_f64 v[2:3], v[3:4], v[73:74]
	s_waitcnt vmcnt(7) lgkmcnt(0)
	v_mul_f64 v[73:74], v[59:60], v[79:80]
	v_mul_f64 v[79:80], v[61:62], v[79:80]
	s_waitcnt vmcnt(6)
	v_fma_f64 v[67:68], v[67:68], v[144:145], -v[77:78]
	v_fma_f64 v[69:70], v[69:70], v[144:145], v[71:72]
	v_add_f64 v[63:64], v[75:76], v[63:64]
	v_add_f64 v[2:3], v[2:3], v[65:66]
	s_waitcnt vmcnt(4)
	v_fma_f64 v[59:60], v[59:60], v[81:82], -v[79:80]
	v_fma_f64 v[61:62], v[61:62], v[81:82], v[73:74]
	v_add_f64 v[63:64], v[63:64], v[67:68]
	v_add_f64 v[2:3], v[2:3], v[69:70]
	;; [unrolled: 1-line block ×4, first 2 shown]
	s_waitcnt vmcnt(2)
	v_add_f64 v[59:60], v[91:92], -v[59:60]
	s_waitcnt vmcnt(0)
	v_add_f64 v[2:3], v[97:98], -v[2:3]
	buffer_store_dword v60, off, s[0:3], 0 offset:84
	buffer_store_dword v59, off, s[0:3], 0 offset:80
	;; [unrolled: 1-line block ×4, first 2 shown]
	v_cmpx_lt_u32_e32 3, v0
	s_cbranch_execz .LBB26_169
; %bb.168:
	v_mov_b32_e32 v2, s36
	s_clause 0x3
	buffer_load_dword v59, v2, s[0:3], 0 offen
	buffer_load_dword v60, v2, s[0:3], 0 offen offset:4
	buffer_load_dword v61, v2, s[0:3], 0 offen offset:8
	;; [unrolled: 1-line block ×3, first 2 shown]
	v_mov_b32_e32 v2, 0
	buffer_store_dword v2, off, s[0:3], 0 offset:64
	buffer_store_dword v2, off, s[0:3], 0 offset:68
	;; [unrolled: 1-line block ×4, first 2 shown]
	s_waitcnt vmcnt(0)
	ds_write_b128 v1, v[59:62]
.LBB26_169:
	s_or_b32 exec_lo, exec_lo, s4
	s_waitcnt lgkmcnt(0)
	s_waitcnt_vscnt null, 0x0
	s_barrier
	buffer_gl0_inv
	s_clause 0x37
	buffer_load_dword v3, off, s[0:3], 0 offset:88
	buffer_load_dword v4, off, s[0:3], 0 offset:92
	;; [unrolled: 1-line block ×56, first 2 shown]
	v_mov_b32_e32 v2, 0
	s_mov_b32 s4, exec_lo
	ds_read_b128 v[59:62], v2 offset:496
	s_clause 0x2
	buffer_load_dword v124, off, s[0:3], 0 offset:316
	buffer_load_dword v128, off, s[0:3], 0 offset:292
	;; [unrolled: 1-line block ×3, first 2 shown]
	ds_read_b128 v[63:66], v2 offset:512
	s_clause 0x4
	buffer_load_dword v132, off, s[0:3], 0 offset:332
	buffer_load_dword v133, off, s[0:3], 0 offset:344
	;; [unrolled: 1-line block ×5, first 2 shown]
	ds_read_b128 v[67:70], v2 offset:528
	s_waitcnt vmcnt(62) lgkmcnt(2)
	v_mul_f64 v[129:130], v[61:62], v[3:4]
	v_mul_f64 v[3:4], v[59:60], v[3:4]
	s_waitcnt vmcnt(60) lgkmcnt(1)
	v_mul_f64 v[136:137], v[65:66], v[71:72]
	v_mul_f64 v[71:72], v[63:64], v[71:72]
	;; [unrolled: 3-line block ×3, first 2 shown]
	v_fma_f64 v[129:130], v[59:60], v[73:74], -v[129:130]
	v_fma_f64 v[3:4], v[61:62], v[73:74], v[3:4]
	s_clause 0x2
	buffer_load_dword v134, off, s[0:3], 0 offset:348
	buffer_load_dword v74, off, s[0:3], 0 offset:324
	;; [unrolled: 1-line block ×3, first 2 shown]
	s_waitcnt vmcnt(57)
	v_fma_f64 v[140:141], v[63:64], v[77:78], -v[136:137]
	ds_read_b128 v[59:62], v2 offset:544
	v_fma_f64 v[71:72], v[65:66], v[77:78], v[71:72]
	s_clause 0x4
	buffer_load_dword v78, off, s[0:3], 0 offset:364
	buffer_load_dword v137, off, s[0:3], 0 offset:376
	buffer_load_dword v142, off, s[0:3], 0 offset:368
	buffer_load_dword v77, off, s[0:3], 0 offset:360
	buffer_load_dword v136, off, s[0:3], 0 offset:340
	s_waitcnt vmcnt(56)
	v_fma_f64 v[75:76], v[67:68], v[85:86], -v[75:76]
	ds_read_b128 v[63:66], v2 offset:560
	v_fma_f64 v[85:86], v[69:70], v[85:86], v[138:139]
	v_add_f64 v[129:130], v[129:130], 0
	v_add_f64 v[3:4], v[3:4], 0
	s_waitcnt lgkmcnt(1)
	v_mul_f64 v[143:144], v[59:60], v[79:80]
	v_mul_f64 v[79:80], v[61:62], v[79:80]
	v_add_f64 v[129:130], v[129:130], v[140:141]
	v_add_f64 v[3:4], v[3:4], v[71:72]
	s_clause 0x2
	buffer_load_dword v138, off, s[0:3], 0 offset:380
	buffer_load_dword v72, off, s[0:3], 0 offset:356
	;; [unrolled: 1-line block ×3, first 2 shown]
	s_waitcnt vmcnt(58) lgkmcnt(0)
	v_mul_f64 v[139:140], v[63:64], v[81:82]
	v_mul_f64 v[81:82], v[65:66], v[81:82]
	s_waitcnt vmcnt(56)
	v_fma_f64 v[79:80], v[59:60], v[87:88], -v[79:80]
	ds_read_b128 v[67:70], v2 offset:576
	v_fma_f64 v[87:88], v[61:62], v[87:88], v[143:144]
	v_add_f64 v[75:76], v[129:130], v[75:76]
	v_add_f64 v[3:4], v[3:4], v[85:86]
	s_clause 0x4
	buffer_load_dword v86, off, s[0:3], 0 offset:396
	buffer_load_dword v129, off, s[0:3], 0 offset:408
	;; [unrolled: 1-line block ×5, first 2 shown]
	ds_read_b128 v[59:62], v2 offset:592
	s_waitcnt vmcnt(57) lgkmcnt(1)
	v_mul_f64 v[145:146], v[67:68], v[89:90]
	v_mul_f64 v[89:90], v[69:70], v[89:90]
	s_waitcnt vmcnt(56)
	v_fma_f64 v[81:82], v[63:64], v[83:84], -v[81:82]
	v_add_f64 v[75:76], v[75:76], v[79:80]
	v_fma_f64 v[79:80], v[65:66], v[83:84], v[139:140]
	v_add_f64 v[3:4], v[3:4], v[87:88]
	s_clause 0x2
	buffer_load_dword v130, off, s[0:3], 0 offset:412
	buffer_load_dword v84, off, s[0:3], 0 offset:388
	buffer_load_dword v83, off, s[0:3], 0 offset:384
	s_waitcnt vmcnt(58) lgkmcnt(0)
	v_mul_f64 v[87:88], v[59:60], v[91:92]
	v_mul_f64 v[91:92], v[61:62], v[91:92]
	s_waitcnt vmcnt(56)
	v_fma_f64 v[89:90], v[67:68], v[95:96], -v[89:90]
	ds_read_b128 v[63:66], v2 offset:608
	v_add_f64 v[75:76], v[75:76], v[81:82]
	v_fma_f64 v[81:82], v[69:70], v[95:96], v[145:146]
	v_add_f64 v[3:4], v[3:4], v[79:80]
	s_clause 0x4
	buffer_load_dword v80, off, s[0:3], 0 offset:428
	buffer_load_dword v95, off, s[0:3], 0 offset:440
	buffer_load_dword v139, off, s[0:3], 0 offset:432
	buffer_load_dword v79, off, s[0:3], 0 offset:424
	buffer_load_dword v145, off, s[0:3], 0 offset:404
	ds_read_b128 v[67:70], v2 offset:624
	s_waitcnt vmcnt(57) lgkmcnt(1)
	v_mul_f64 v[140:141], v[63:64], v[97:98]
	v_mul_f64 v[97:98], v[65:66], v[97:98]
	s_waitcnt vmcnt(56)
	v_fma_f64 v[91:92], v[59:60], v[93:94], -v[91:92]
	v_fma_f64 v[87:88], v[61:62], v[93:94], v[87:88]
	v_add_f64 v[75:76], v[75:76], v[89:90]
	v_add_f64 v[3:4], v[3:4], v[81:82]
	s_clause 0x2
	buffer_load_dword v96, off, s[0:3], 0 offset:444
	buffer_load_dword v82, off, s[0:3], 0 offset:420
	;; [unrolled: 1-line block ×3, first 2 shown]
	s_waitcnt vmcnt(58) lgkmcnt(0)
	v_mul_f64 v[93:94], v[69:70], v[99:100]
	ds_read_b128 v[59:62], v2 offset:640
	s_waitcnt vmcnt(56)
	v_fma_f64 v[97:98], v[63:64], v[103:104], -v[97:98]
	v_mul_f64 v[89:90], v[67:68], v[99:100]
	v_add_f64 v[75:76], v[75:76], v[91:92]
	v_fma_f64 v[91:92], v[65:66], v[103:104], v[140:141]
	v_add_f64 v[3:4], v[3:4], v[87:88]
	buffer_load_dword v140, off, s[0:3], 0 offset:436
	ds_read_b128 v[63:66], v2 offset:656
	s_waitcnt vmcnt(53) lgkmcnt(1)
	v_mul_f64 v[99:100], v[61:62], v[105:106]
	s_waitcnt vmcnt(52)
	v_fma_f64 v[93:94], v[67:68], v[101:102], -v[93:94]
	v_mul_f64 v[87:88], v[59:60], v[105:106]
	v_fma_f64 v[89:90], v[69:70], v[101:102], v[89:90]
	ds_read_b128 v[67:70], v2 offset:672
	v_add_f64 v[75:76], v[75:76], v[97:98]
	v_add_f64 v[3:4], v[3:4], v[91:92]
	s_waitcnt vmcnt(51) lgkmcnt(1)
	v_mul_f64 v[97:98], v[65:66], v[107:108]
	v_mul_f64 v[91:92], v[63:64], v[107:108]
	s_waitcnt vmcnt(49)
	v_fma_f64 v[99:100], v[59:60], v[111:112], -v[99:100]
	v_fma_f64 v[87:88], v[61:62], v[111:112], v[87:88]
	s_waitcnt vmcnt(45) lgkmcnt(0)
	v_mul_f64 v[103:104], v[69:70], v[113:114]
	v_mul_f64 v[101:102], v[67:68], v[113:114]
	v_add_f64 v[75:76], v[75:76], v[93:94]
	v_add_f64 v[3:4], v[3:4], v[89:90]
	s_clause 0x3
	buffer_load_dword v89, off, s[0:3], 0 offset:64
	buffer_load_dword v90, off, s[0:3], 0 offset:68
	;; [unrolled: 1-line block ×4, first 2 shown]
	s_waitcnt vmcnt(48)
	v_fma_f64 v[97:98], v[63:64], v[109:110], -v[97:98]
	ds_read_b128 v[59:62], v2 offset:688
	v_fma_f64 v[91:92], v[65:66], v[109:110], v[91:92]
	ds_read_b128 v[63:66], v2 offset:704
	s_waitcnt vmcnt(45)
	v_fma_f64 v[103:104], v[67:68], v[119:120], -v[103:104]
	v_add_f64 v[75:76], v[75:76], v[99:100]
	v_add_f64 v[3:4], v[3:4], v[87:88]
	s_waitcnt lgkmcnt(1)
	v_mul_f64 v[99:100], v[61:62], v[115:116]
	v_mul_f64 v[87:88], v[59:60], v[115:116]
	v_add_f64 v[75:76], v[75:76], v[97:98]
	v_fma_f64 v[97:98], v[69:70], v[119:120], v[101:102]
	v_add_f64 v[3:4], v[3:4], v[91:92]
	s_waitcnt vmcnt(41) lgkmcnt(0)
	v_mul_f64 v[101:102], v[65:66], v[121:122]
	s_waitcnt vmcnt(40)
	v_fma_f64 v[99:100], v[59:60], v[117:118], -v[99:100]
	ds_read_b128 v[67:70], v2 offset:720
	v_mul_f64 v[91:92], v[63:64], v[121:122]
	v_fma_f64 v[87:88], v[61:62], v[117:118], v[87:88]
	ds_read_b128 v[59:62], v2 offset:736
	v_add_f64 v[75:76], v[75:76], v[103:104]
	v_add_f64 v[3:4], v[3:4], v[97:98]
	s_waitcnt vmcnt(39) lgkmcnt(1)
	v_mul_f64 v[103:104], v[69:70], v[123:124]
	s_waitcnt vmcnt(37)
	v_fma_f64 v[101:102], v[63:64], v[127:128], -v[101:102]
	v_mul_f64 v[97:98], v[67:68], v[123:124]
	v_fma_f64 v[91:92], v[65:66], v[127:128], v[91:92]
	ds_read_b128 v[63:66], v2 offset:752
	v_add_f64 v[75:76], v[75:76], v[99:100]
	s_waitcnt vmcnt(33) lgkmcnt(1)
	v_mul_f64 v[99:100], v[61:62], v[131:132]
	v_add_f64 v[3:4], v[3:4], v[87:88]
	s_waitcnt vmcnt(32)
	v_fma_f64 v[103:104], v[67:68], v[125:126], -v[103:104]
	v_mul_f64 v[87:88], v[59:60], v[131:132]
	v_fma_f64 v[97:98], v[69:70], v[125:126], v[97:98]
	ds_read_b128 v[67:70], v2 offset:768
	v_add_f64 v[75:76], v[75:76], v[101:102]
	v_add_f64 v[3:4], v[3:4], v[91:92]
	s_waitcnt vmcnt(31) lgkmcnt(1)
	v_mul_f64 v[101:102], v[65:66], v[133:134]
	v_mul_f64 v[91:92], v[63:64], v[133:134]
	s_waitcnt vmcnt(29)
	v_fma_f64 v[99:100], v[59:60], v[73:74], -v[99:100]
	v_fma_f64 v[73:74], v[61:62], v[73:74], v[87:88]
	ds_read_b128 v[59:62], v2 offset:784
	s_waitcnt vmcnt(25) lgkmcnt(1)
	v_mul_f64 v[87:88], v[67:68], v[77:78]
	v_mul_f64 v[77:78], v[69:70], v[77:78]
	v_add_f64 v[75:76], v[75:76], v[103:104]
	v_add_f64 v[3:4], v[3:4], v[97:98]
	s_waitcnt vmcnt(24)
	v_fma_f64 v[97:98], v[63:64], v[135:136], -v[101:102]
	v_fma_f64 v[91:92], v[65:66], v[135:136], v[91:92]
	ds_read_b128 v[63:66], v2 offset:800
	v_add_f64 v[75:76], v[75:76], v[99:100]
	v_add_f64 v[3:4], v[3:4], v[73:74]
	s_waitcnt vmcnt(23) lgkmcnt(1)
	v_mul_f64 v[99:100], v[61:62], v[137:138]
	v_mul_f64 v[73:74], v[59:60], v[137:138]
	s_waitcnt vmcnt(21)
	v_fma_f64 v[77:78], v[67:68], v[71:72], -v[77:78]
	v_fma_f64 v[71:72], v[69:70], v[71:72], v[87:88]
	ds_read_b128 v[67:70], v2 offset:816
	v_add_f64 v[75:76], v[75:76], v[97:98]
	v_add_f64 v[3:4], v[3:4], v[91:92]
	s_waitcnt vmcnt(17) lgkmcnt(1)
	v_mul_f64 v[87:88], v[63:64], v[85:86]
	v_mul_f64 v[85:86], v[65:66], v[85:86]
	;; [unrolled: 9-line block ×4, first 2 shown]
	s_waitcnt vmcnt(8)
	v_fma_f64 v[67:68], v[67:68], v[144:145], -v[77:78]
	v_fma_f64 v[69:70], v[69:70], v[144:145], v[71:72]
	v_add_f64 v[75:76], v[75:76], v[85:86]
	v_add_f64 v[3:4], v[3:4], v[83:84]
	s_waitcnt vmcnt(7) lgkmcnt(0)
	v_mul_f64 v[77:78], v[65:66], v[95:96]
	v_mul_f64 v[71:72], v[63:64], v[95:96]
	s_waitcnt vmcnt(5)
	v_fma_f64 v[59:60], v[59:60], v[81:82], -v[79:80]
	v_fma_f64 v[61:62], v[61:62], v[81:82], v[73:74]
	v_add_f64 v[67:68], v[75:76], v[67:68]
	v_add_f64 v[3:4], v[3:4], v[69:70]
	s_waitcnt vmcnt(4)
	v_fma_f64 v[63:64], v[63:64], v[139:140], -v[77:78]
	v_fma_f64 v[65:66], v[65:66], v[139:140], v[71:72]
	v_add_f64 v[59:60], v[67:68], v[59:60]
	v_add_f64 v[3:4], v[3:4], v[61:62]
	;; [unrolled: 1-line block ×4, first 2 shown]
	s_waitcnt vmcnt(2)
	v_add_f64 v[59:60], v[89:90], -v[59:60]
	s_waitcnt vmcnt(0)
	v_add_f64 v[3:4], v[93:94], -v[3:4]
	buffer_store_dword v60, off, s[0:3], 0 offset:68
	buffer_store_dword v59, off, s[0:3], 0 offset:64
	buffer_store_dword v4, off, s[0:3], 0 offset:76
	buffer_store_dword v3, off, s[0:3], 0 offset:72
	v_cmpx_lt_u32_e32 2, v0
	s_cbranch_execz .LBB26_171
; %bb.170:
	v_mov_b32_e32 v3, s37
	s_clause 0x3
	buffer_load_dword v59, v3, s[0:3], 0 offen
	buffer_load_dword v60, v3, s[0:3], 0 offen offset:4
	buffer_load_dword v61, v3, s[0:3], 0 offen offset:8
	;; [unrolled: 1-line block ×3, first 2 shown]
	buffer_store_dword v2, off, s[0:3], 0 offset:48
	buffer_store_dword v2, off, s[0:3], 0 offset:52
	;; [unrolled: 1-line block ×4, first 2 shown]
	s_waitcnt vmcnt(0)
	ds_write_b128 v1, v[59:62]
.LBB26_171:
	s_or_b32 exec_lo, exec_lo, s4
	s_waitcnt lgkmcnt(0)
	s_waitcnt_vscnt null, 0x0
	s_barrier
	buffer_gl0_inv
	s_clause 0x37
	buffer_load_dword v3, off, s[0:3], 0 offset:72
	buffer_load_dword v4, off, s[0:3], 0 offset:76
	;; [unrolled: 1-line block ×56, first 2 shown]
	ds_read_b128 v[59:62], v2 offset:480
	s_clause 0x2
	buffer_load_dword v124, off, s[0:3], 0 offset:300
	buffer_load_dword v128, off, s[0:3], 0 offset:276
	;; [unrolled: 1-line block ×3, first 2 shown]
	ds_read_b128 v[63:66], v2 offset:496
	s_clause 0x4
	buffer_load_dword v132, off, s[0:3], 0 offset:316
	buffer_load_dword v133, off, s[0:3], 0 offset:328
	;; [unrolled: 1-line block ×5, first 2 shown]
	ds_read_b128 v[67:70], v2 offset:512
	s_mov_b32 s4, exec_lo
	s_waitcnt vmcnt(62) lgkmcnt(2)
	v_mul_f64 v[129:130], v[61:62], v[3:4]
	v_mul_f64 v[3:4], v[59:60], v[3:4]
	s_waitcnt vmcnt(60) lgkmcnt(1)
	v_mul_f64 v[136:137], v[65:66], v[71:72]
	v_mul_f64 v[71:72], v[63:64], v[71:72]
	;; [unrolled: 3-line block ×3, first 2 shown]
	v_fma_f64 v[129:130], v[59:60], v[73:74], -v[129:130]
	v_fma_f64 v[3:4], v[61:62], v[73:74], v[3:4]
	s_clause 0x2
	buffer_load_dword v134, off, s[0:3], 0 offset:332
	buffer_load_dword v74, off, s[0:3], 0 offset:308
	buffer_load_dword v73, off, s[0:3], 0 offset:304
	s_waitcnt vmcnt(57)
	v_fma_f64 v[140:141], v[63:64], v[77:78], -v[136:137]
	ds_read_b128 v[59:62], v2 offset:528
	v_fma_f64 v[71:72], v[65:66], v[77:78], v[71:72]
	s_clause 0x4
	buffer_load_dword v78, off, s[0:3], 0 offset:348
	buffer_load_dword v137, off, s[0:3], 0 offset:360
	buffer_load_dword v142, off, s[0:3], 0 offset:352
	buffer_load_dword v77, off, s[0:3], 0 offset:344
	buffer_load_dword v136, off, s[0:3], 0 offset:324
	s_waitcnt vmcnt(56)
	v_fma_f64 v[75:76], v[67:68], v[85:86], -v[75:76]
	ds_read_b128 v[63:66], v2 offset:544
	v_fma_f64 v[85:86], v[69:70], v[85:86], v[138:139]
	v_add_f64 v[129:130], v[129:130], 0
	v_add_f64 v[3:4], v[3:4], 0
	s_waitcnt lgkmcnt(1)
	v_mul_f64 v[143:144], v[59:60], v[79:80]
	v_mul_f64 v[79:80], v[61:62], v[79:80]
	v_add_f64 v[129:130], v[129:130], v[140:141]
	v_add_f64 v[3:4], v[3:4], v[71:72]
	s_clause 0x2
	buffer_load_dword v138, off, s[0:3], 0 offset:364
	buffer_load_dword v72, off, s[0:3], 0 offset:340
	;; [unrolled: 1-line block ×3, first 2 shown]
	s_waitcnt vmcnt(58) lgkmcnt(0)
	v_mul_f64 v[139:140], v[63:64], v[81:82]
	v_mul_f64 v[81:82], v[65:66], v[81:82]
	s_waitcnt vmcnt(56)
	v_fma_f64 v[79:80], v[59:60], v[87:88], -v[79:80]
	ds_read_b128 v[67:70], v2 offset:560
	v_fma_f64 v[87:88], v[61:62], v[87:88], v[143:144]
	v_add_f64 v[75:76], v[129:130], v[75:76]
	v_add_f64 v[3:4], v[3:4], v[85:86]
	s_clause 0x4
	buffer_load_dword v86, off, s[0:3], 0 offset:380
	buffer_load_dword v129, off, s[0:3], 0 offset:392
	;; [unrolled: 1-line block ×5, first 2 shown]
	ds_read_b128 v[59:62], v2 offset:576
	s_waitcnt vmcnt(57) lgkmcnt(1)
	v_mul_f64 v[145:146], v[67:68], v[89:90]
	v_mul_f64 v[89:90], v[69:70], v[89:90]
	s_waitcnt vmcnt(56)
	v_fma_f64 v[81:82], v[63:64], v[83:84], -v[81:82]
	v_add_f64 v[75:76], v[75:76], v[79:80]
	v_fma_f64 v[79:80], v[65:66], v[83:84], v[139:140]
	v_add_f64 v[3:4], v[3:4], v[87:88]
	s_clause 0x2
	buffer_load_dword v130, off, s[0:3], 0 offset:396
	buffer_load_dword v84, off, s[0:3], 0 offset:372
	;; [unrolled: 1-line block ×3, first 2 shown]
	s_waitcnt vmcnt(58) lgkmcnt(0)
	v_mul_f64 v[87:88], v[59:60], v[91:92]
	v_mul_f64 v[91:92], v[61:62], v[91:92]
	s_waitcnt vmcnt(56)
	v_fma_f64 v[89:90], v[67:68], v[95:96], -v[89:90]
	ds_read_b128 v[63:66], v2 offset:592
	v_add_f64 v[75:76], v[75:76], v[81:82]
	v_fma_f64 v[81:82], v[69:70], v[95:96], v[145:146]
	v_add_f64 v[3:4], v[3:4], v[79:80]
	s_clause 0x4
	buffer_load_dword v80, off, s[0:3], 0 offset:412
	buffer_load_dword v95, off, s[0:3], 0 offset:424
	;; [unrolled: 1-line block ×5, first 2 shown]
	ds_read_b128 v[67:70], v2 offset:608
	s_waitcnt vmcnt(57) lgkmcnt(1)
	v_mul_f64 v[140:141], v[63:64], v[97:98]
	v_mul_f64 v[97:98], v[65:66], v[97:98]
	s_waitcnt vmcnt(56)
	v_fma_f64 v[91:92], v[59:60], v[93:94], -v[91:92]
	v_fma_f64 v[87:88], v[61:62], v[93:94], v[87:88]
	v_add_f64 v[75:76], v[75:76], v[89:90]
	v_add_f64 v[3:4], v[3:4], v[81:82]
	s_clause 0x2
	buffer_load_dword v96, off, s[0:3], 0 offset:428
	buffer_load_dword v82, off, s[0:3], 0 offset:404
	;; [unrolled: 1-line block ×3, first 2 shown]
	s_waitcnt vmcnt(58) lgkmcnt(0)
	v_mul_f64 v[93:94], v[69:70], v[99:100]
	ds_read_b128 v[59:62], v2 offset:624
	s_waitcnt vmcnt(56)
	v_fma_f64 v[97:98], v[63:64], v[103:104], -v[97:98]
	v_mul_f64 v[89:90], v[67:68], v[99:100]
	v_add_f64 v[75:76], v[75:76], v[91:92]
	v_fma_f64 v[91:92], v[65:66], v[103:104], v[140:141]
	v_add_f64 v[3:4], v[3:4], v[87:88]
	s_clause 0x2
	buffer_load_dword v88, off, s[0:3], 0 offset:444
	buffer_load_dword v87, off, s[0:3], 0 offset:440
	;; [unrolled: 1-line block ×3, first 2 shown]
	s_waitcnt vmcnt(55) lgkmcnt(0)
	v_mul_f64 v[103:104], v[61:62], v[105:106]
	s_waitcnt vmcnt(54)
	v_fma_f64 v[93:94], v[67:68], v[101:102], -v[93:94]
	ds_read_b128 v[63:66], v2 offset:640
	v_mul_f64 v[99:100], v[59:60], v[105:106]
	v_fma_f64 v[89:90], v[69:70], v[101:102], v[89:90]
	v_add_f64 v[75:76], v[75:76], v[97:98]
	v_add_f64 v[3:4], v[3:4], v[91:92]
	s_clause 0x1
	buffer_load_dword v92, off, s[0:3], 0 offset:436
	buffer_load_dword v91, off, s[0:3], 0 offset:432
	s_waitcnt vmcnt(55) lgkmcnt(0)
	v_mul_f64 v[101:102], v[65:66], v[107:108]
	s_waitcnt vmcnt(53)
	v_fma_f64 v[103:104], v[59:60], v[111:112], -v[103:104]
	ds_read_b128 v[67:70], v2 offset:656
	v_mul_f64 v[97:98], v[63:64], v[107:108]
	v_add_f64 v[75:76], v[75:76], v[93:94]
	v_fma_f64 v[93:94], v[61:62], v[111:112], v[99:100]
	v_add_f64 v[3:4], v[3:4], v[89:90]
	ds_read_b128 v[59:62], v2 offset:672
	s_waitcnt vmcnt(49) lgkmcnt(1)
	v_mul_f64 v[99:100], v[69:70], v[113:114]
	s_waitcnt vmcnt(48)
	v_fma_f64 v[101:102], v[63:64], v[109:110], -v[101:102]
	v_mul_f64 v[89:90], v[67:68], v[113:114]
	v_fma_f64 v[97:98], v[65:66], v[109:110], v[97:98]
	v_add_f64 v[75:76], v[75:76], v[103:104]
	s_waitcnt vmcnt(47) lgkmcnt(0)
	v_mul_f64 v[107:108], v[61:62], v[115:116]
	v_add_f64 v[3:4], v[3:4], v[93:94]
	s_clause 0x3
	buffer_load_dword v93, off, s[0:3], 0 offset:48
	buffer_load_dword v94, off, s[0:3], 0 offset:52
	;; [unrolled: 1-line block ×4, first 2 shown]
	s_waitcnt vmcnt(49)
	v_fma_f64 v[99:100], v[67:68], v[119:120], -v[99:100]
	ds_read_b128 v[63:66], v2 offset:688
	v_mul_f64 v[105:106], v[59:60], v[115:116]
	v_fma_f64 v[89:90], v[69:70], v[119:120], v[89:90]
	ds_read_b128 v[67:70], v2 offset:704
	v_add_f64 v[75:76], v[75:76], v[101:102]
	s_waitcnt vmcnt(44)
	v_fma_f64 v[107:108], v[59:60], v[117:118], -v[107:108]
	v_add_f64 v[3:4], v[3:4], v[97:98]
	s_waitcnt lgkmcnt(1)
	v_mul_f64 v[101:102], v[65:66], v[121:122]
	v_mul_f64 v[97:98], v[63:64], v[121:122]
	v_add_f64 v[75:76], v[75:76], v[99:100]
	v_fma_f64 v[99:100], v[61:62], v[117:118], v[105:106]
	v_add_f64 v[3:4], v[3:4], v[89:90]
	s_waitcnt vmcnt(43) lgkmcnt(0)
	v_mul_f64 v[105:106], v[69:70], v[123:124]
	s_waitcnt vmcnt(41)
	v_fma_f64 v[101:102], v[63:64], v[127:128], -v[101:102]
	ds_read_b128 v[59:62], v2 offset:720
	v_mul_f64 v[89:90], v[67:68], v[123:124]
	v_fma_f64 v[97:98], v[65:66], v[127:128], v[97:98]
	ds_read_b128 v[63:66], v2 offset:736
	v_add_f64 v[75:76], v[75:76], v[107:108]
	v_add_f64 v[3:4], v[3:4], v[99:100]
	s_waitcnt vmcnt(37) lgkmcnt(1)
	v_mul_f64 v[107:108], v[61:62], v[131:132]
	s_waitcnt vmcnt(36)
	v_fma_f64 v[105:106], v[67:68], v[125:126], -v[105:106]
	v_mul_f64 v[99:100], v[59:60], v[131:132]
	v_fma_f64 v[89:90], v[69:70], v[125:126], v[89:90]
	ds_read_b128 v[67:70], v2 offset:752
	v_add_f64 v[75:76], v[75:76], v[101:102]
	v_add_f64 v[3:4], v[3:4], v[97:98]
	s_waitcnt vmcnt(35) lgkmcnt(1)
	v_mul_f64 v[101:102], v[65:66], v[133:134]
	v_mul_f64 v[97:98], v[63:64], v[133:134]
	s_waitcnt vmcnt(33)
	v_fma_f64 v[107:108], v[59:60], v[73:74], -v[107:108]
	v_fma_f64 v[73:74], v[61:62], v[73:74], v[99:100]
	ds_read_b128 v[59:62], v2 offset:768
	v_add_f64 v[75:76], v[75:76], v[105:106]
	v_add_f64 v[3:4], v[3:4], v[89:90]
	s_waitcnt vmcnt(29) lgkmcnt(1)
	v_mul_f64 v[89:90], v[67:68], v[77:78]
	v_mul_f64 v[77:78], v[69:70], v[77:78]
	s_waitcnt vmcnt(28)
	v_fma_f64 v[99:100], v[63:64], v[135:136], -v[101:102]
	;; [unrolled: 9-line block ×7, first 2 shown]
	v_fma_f64 v[61:62], v[61:62], v[81:82], v[73:74]
	v_add_f64 v[75:76], v[75:76], v[77:78]
	v_add_f64 v[2:3], v[3:4], v[71:72]
	s_waitcnt vmcnt(7) lgkmcnt(0)
	v_mul_f64 v[73:74], v[69:70], v[87:88]
	s_waitcnt vmcnt(6)
	v_fma_f64 v[63:64], v[63:64], v[139:140], -v[85:86]
	v_mul_f64 v[71:72], v[67:68], v[87:88]
	v_fma_f64 v[65:66], v[65:66], v[139:140], v[83:84]
	v_add_f64 v[59:60], v[75:76], v[59:60]
	v_add_f64 v[2:3], v[2:3], v[61:62]
	s_waitcnt vmcnt(4)
	v_fma_f64 v[61:62], v[67:68], v[91:92], -v[73:74]
	v_add_f64 v[59:60], v[59:60], v[63:64]
	v_fma_f64 v[63:64], v[69:70], v[91:92], v[71:72]
	v_add_f64 v[2:3], v[2:3], v[65:66]
	v_add_f64 v[59:60], v[59:60], v[61:62]
	;; [unrolled: 1-line block ×3, first 2 shown]
	s_waitcnt vmcnt(2)
	v_add_f64 v[59:60], v[93:94], -v[59:60]
	s_waitcnt vmcnt(0)
	v_add_f64 v[2:3], v[103:104], -v[2:3]
	buffer_store_dword v60, off, s[0:3], 0 offset:52
	buffer_store_dword v59, off, s[0:3], 0 offset:48
	;; [unrolled: 1-line block ×4, first 2 shown]
	v_cmpx_lt_u32_e32 1, v0
	s_cbranch_execz .LBB26_173
; %bb.172:
	v_mov_b32_e32 v2, s39
	s_clause 0x3
	buffer_load_dword v59, v2, s[0:3], 0 offen
	buffer_load_dword v60, v2, s[0:3], 0 offen offset:4
	buffer_load_dword v61, v2, s[0:3], 0 offen offset:8
	;; [unrolled: 1-line block ×3, first 2 shown]
	v_mov_b32_e32 v2, 0
	buffer_store_dword v2, off, s[0:3], 0 offset:32
	buffer_store_dword v2, off, s[0:3], 0 offset:36
	;; [unrolled: 1-line block ×4, first 2 shown]
	s_waitcnt vmcnt(0)
	ds_write_b128 v1, v[59:62]
.LBB26_173:
	s_or_b32 exec_lo, exec_lo, s4
	s_waitcnt lgkmcnt(0)
	s_waitcnt_vscnt null, 0x0
	s_barrier
	buffer_gl0_inv
	s_clause 0x37
	buffer_load_dword v3, off, s[0:3], 0 offset:56
	buffer_load_dword v4, off, s[0:3], 0 offset:60
	;; [unrolled: 1-line block ×56, first 2 shown]
	v_mov_b32_e32 v2, 0
	s_mov_b32 s4, exec_lo
	ds_read_b128 v[59:62], v2 offset:464
	s_clause 0x2
	buffer_load_dword v124, off, s[0:3], 0 offset:284
	buffer_load_dword v128, off, s[0:3], 0 offset:260
	;; [unrolled: 1-line block ×3, first 2 shown]
	ds_read_b128 v[63:66], v2 offset:480
	s_clause 0x4
	buffer_load_dword v132, off, s[0:3], 0 offset:300
	buffer_load_dword v133, off, s[0:3], 0 offset:312
	;; [unrolled: 1-line block ×5, first 2 shown]
	ds_read_b128 v[67:70], v2 offset:496
	s_waitcnt vmcnt(62) lgkmcnt(2)
	v_mul_f64 v[129:130], v[61:62], v[3:4]
	v_mul_f64 v[3:4], v[59:60], v[3:4]
	s_waitcnt vmcnt(60) lgkmcnt(1)
	v_mul_f64 v[136:137], v[65:66], v[71:72]
	v_mul_f64 v[71:72], v[63:64], v[71:72]
	;; [unrolled: 3-line block ×3, first 2 shown]
	v_fma_f64 v[129:130], v[59:60], v[73:74], -v[129:130]
	v_fma_f64 v[3:4], v[61:62], v[73:74], v[3:4]
	s_clause 0x2
	buffer_load_dword v134, off, s[0:3], 0 offset:316
	buffer_load_dword v74, off, s[0:3], 0 offset:292
	;; [unrolled: 1-line block ×3, first 2 shown]
	s_waitcnt vmcnt(57)
	v_fma_f64 v[140:141], v[63:64], v[77:78], -v[136:137]
	ds_read_b128 v[59:62], v2 offset:512
	v_fma_f64 v[71:72], v[65:66], v[77:78], v[71:72]
	s_clause 0x4
	buffer_load_dword v78, off, s[0:3], 0 offset:332
	buffer_load_dword v137, off, s[0:3], 0 offset:344
	;; [unrolled: 1-line block ×5, first 2 shown]
	s_waitcnt vmcnt(56)
	v_fma_f64 v[75:76], v[67:68], v[85:86], -v[75:76]
	ds_read_b128 v[63:66], v2 offset:528
	v_fma_f64 v[85:86], v[69:70], v[85:86], v[138:139]
	v_add_f64 v[129:130], v[129:130], 0
	v_add_f64 v[3:4], v[3:4], 0
	s_waitcnt lgkmcnt(1)
	v_mul_f64 v[143:144], v[59:60], v[79:80]
	v_mul_f64 v[79:80], v[61:62], v[79:80]
	v_add_f64 v[129:130], v[129:130], v[140:141]
	v_add_f64 v[3:4], v[3:4], v[71:72]
	s_clause 0x2
	buffer_load_dword v138, off, s[0:3], 0 offset:348
	buffer_load_dword v72, off, s[0:3], 0 offset:324
	;; [unrolled: 1-line block ×3, first 2 shown]
	s_waitcnt vmcnt(58) lgkmcnt(0)
	v_mul_f64 v[139:140], v[63:64], v[81:82]
	v_mul_f64 v[81:82], v[65:66], v[81:82]
	s_waitcnt vmcnt(56)
	v_fma_f64 v[79:80], v[59:60], v[87:88], -v[79:80]
	ds_read_b128 v[67:70], v2 offset:544
	v_fma_f64 v[87:88], v[61:62], v[87:88], v[143:144]
	v_add_f64 v[75:76], v[129:130], v[75:76]
	v_add_f64 v[3:4], v[3:4], v[85:86]
	s_clause 0x4
	buffer_load_dword v86, off, s[0:3], 0 offset:364
	buffer_load_dword v129, off, s[0:3], 0 offset:376
	;; [unrolled: 1-line block ×5, first 2 shown]
	ds_read_b128 v[59:62], v2 offset:560
	s_waitcnt vmcnt(57) lgkmcnt(1)
	v_mul_f64 v[145:146], v[67:68], v[89:90]
	v_mul_f64 v[89:90], v[69:70], v[89:90]
	s_waitcnt vmcnt(56)
	v_fma_f64 v[81:82], v[63:64], v[83:84], -v[81:82]
	v_add_f64 v[75:76], v[75:76], v[79:80]
	v_fma_f64 v[79:80], v[65:66], v[83:84], v[139:140]
	v_add_f64 v[3:4], v[3:4], v[87:88]
	s_clause 0x2
	buffer_load_dword v130, off, s[0:3], 0 offset:380
	buffer_load_dword v84, off, s[0:3], 0 offset:356
	;; [unrolled: 1-line block ×3, first 2 shown]
	s_waitcnt vmcnt(58) lgkmcnt(0)
	v_mul_f64 v[87:88], v[59:60], v[91:92]
	v_mul_f64 v[91:92], v[61:62], v[91:92]
	s_waitcnt vmcnt(56)
	v_fma_f64 v[89:90], v[67:68], v[95:96], -v[89:90]
	ds_read_b128 v[63:66], v2 offset:576
	v_add_f64 v[75:76], v[75:76], v[81:82]
	v_fma_f64 v[81:82], v[69:70], v[95:96], v[145:146]
	v_add_f64 v[3:4], v[3:4], v[79:80]
	s_clause 0x4
	buffer_load_dword v80, off, s[0:3], 0 offset:396
	buffer_load_dword v95, off, s[0:3], 0 offset:408
	;; [unrolled: 1-line block ×5, first 2 shown]
	ds_read_b128 v[67:70], v2 offset:592
	s_waitcnt vmcnt(57) lgkmcnt(1)
	v_mul_f64 v[140:141], v[63:64], v[97:98]
	v_mul_f64 v[97:98], v[65:66], v[97:98]
	s_waitcnt vmcnt(56)
	v_fma_f64 v[91:92], v[59:60], v[93:94], -v[91:92]
	v_fma_f64 v[87:88], v[61:62], v[93:94], v[87:88]
	v_add_f64 v[75:76], v[75:76], v[89:90]
	v_add_f64 v[3:4], v[3:4], v[81:82]
	s_clause 0x2
	buffer_load_dword v96, off, s[0:3], 0 offset:412
	buffer_load_dword v82, off, s[0:3], 0 offset:388
	;; [unrolled: 1-line block ×3, first 2 shown]
	s_waitcnt vmcnt(58) lgkmcnt(0)
	v_mul_f64 v[93:94], v[69:70], v[99:100]
	ds_read_b128 v[59:62], v2 offset:608
	s_waitcnt vmcnt(56)
	v_fma_f64 v[97:98], v[63:64], v[103:104], -v[97:98]
	v_mul_f64 v[89:90], v[67:68], v[99:100]
	v_add_f64 v[75:76], v[75:76], v[91:92]
	v_fma_f64 v[91:92], v[65:66], v[103:104], v[140:141]
	v_add_f64 v[3:4], v[3:4], v[87:88]
	s_clause 0x4
	buffer_load_dword v88, off, s[0:3], 0 offset:428
	buffer_load_dword v99, off, s[0:3], 0 offset:440
	;; [unrolled: 1-line block ×5, first 2 shown]
	s_waitcnt vmcnt(57) lgkmcnt(0)
	v_mul_f64 v[146:147], v[59:60], v[105:106]
	v_mul_f64 v[104:105], v[61:62], v[105:106]
	s_waitcnt vmcnt(56)
	v_fma_f64 v[93:94], v[67:68], v[101:102], -v[93:94]
	ds_read_b128 v[63:66], v2 offset:624
	v_fma_f64 v[89:90], v[69:70], v[101:102], v[89:90]
	v_add_f64 v[75:76], v[75:76], v[97:98]
	v_add_f64 v[3:4], v[3:4], v[91:92]
	s_clause 0x2
	buffer_load_dword v100, off, s[0:3], 0 offset:444
	buffer_load_dword v92, off, s[0:3], 0 offset:420
	;; [unrolled: 1-line block ×3, first 2 shown]
	ds_read_b128 v[67:70], v2 offset:640
	s_waitcnt vmcnt(58) lgkmcnt(1)
	v_mul_f64 v[101:102], v[65:66], v[107:108]
	s_waitcnt vmcnt(56)
	v_fma_f64 v[105:106], v[59:60], v[111:112], -v[104:105]
	v_mul_f64 v[97:98], v[63:64], v[107:108]
	buffer_load_dword v104, off, s[0:3], 0 offset:436
	v_add_f64 v[75:76], v[75:76], v[93:94]
	v_fma_f64 v[93:94], v[61:62], v[111:112], v[146:147]
	v_add_f64 v[3:4], v[3:4], v[89:90]
	ds_read_b128 v[59:62], v2 offset:656
	s_waitcnt vmcnt(53) lgkmcnt(1)
	v_mul_f64 v[107:108], v[69:70], v[113:114]
	s_waitcnt vmcnt(52)
	v_fma_f64 v[101:102], v[63:64], v[109:110], -v[101:102]
	v_mul_f64 v[89:90], v[67:68], v[113:114]
	v_fma_f64 v[97:98], v[65:66], v[109:110], v[97:98]
	ds_read_b128 v[63:66], v2 offset:672
	v_add_f64 v[75:76], v[75:76], v[105:106]
	s_waitcnt vmcnt(51) lgkmcnt(1)
	v_mul_f64 v[105:106], v[61:62], v[115:116]
	v_add_f64 v[3:4], v[3:4], v[93:94]
	v_mul_f64 v[93:94], v[59:60], v[115:116]
	s_waitcnt vmcnt(49)
	v_fma_f64 v[107:108], v[67:68], v[119:120], -v[107:108]
	v_fma_f64 v[89:90], v[69:70], v[119:120], v[89:90]
	s_waitcnt vmcnt(45) lgkmcnt(0)
	v_mul_f64 v[111:112], v[65:66], v[121:122]
	v_mul_f64 v[109:110], v[63:64], v[121:122]
	v_add_f64 v[75:76], v[75:76], v[101:102]
	s_waitcnt vmcnt(44)
	v_fma_f64 v[105:106], v[59:60], v[117:118], -v[105:106]
	v_add_f64 v[3:4], v[3:4], v[97:98]
	s_clause 0x3
	buffer_load_dword v97, off, s[0:3], 0 offset:32
	buffer_load_dword v98, off, s[0:3], 0 offset:36
	;; [unrolled: 1-line block ×4, first 2 shown]
	ds_read_b128 v[67:70], v2 offset:688
	v_fma_f64 v[93:94], v[61:62], v[117:118], v[93:94]
	ds_read_b128 v[59:62], v2 offset:704
	s_waitcnt vmcnt(45)
	v_fma_f64 v[111:112], v[63:64], v[127:128], -v[111:112]
	v_add_f64 v[75:76], v[75:76], v[107:108]
	v_add_f64 v[3:4], v[3:4], v[89:90]
	s_waitcnt lgkmcnt(1)
	v_mul_f64 v[107:108], v[69:70], v[123:124]
	v_mul_f64 v[89:90], v[67:68], v[123:124]
	v_add_f64 v[75:76], v[75:76], v[105:106]
	v_fma_f64 v[105:106], v[65:66], v[127:128], v[109:110]
	v_add_f64 v[3:4], v[3:4], v[93:94]
	s_waitcnt vmcnt(41) lgkmcnt(0)
	v_mul_f64 v[109:110], v[61:62], v[131:132]
	s_waitcnt vmcnt(40)
	v_fma_f64 v[107:108], v[67:68], v[125:126], -v[107:108]
	ds_read_b128 v[63:66], v2 offset:720
	v_mul_f64 v[93:94], v[59:60], v[131:132]
	v_fma_f64 v[89:90], v[69:70], v[125:126], v[89:90]
	ds_read_b128 v[67:70], v2 offset:736
	v_add_f64 v[75:76], v[75:76], v[111:112]
	v_add_f64 v[3:4], v[3:4], v[105:106]
	s_waitcnt vmcnt(39) lgkmcnt(1)
	v_mul_f64 v[111:112], v[65:66], v[133:134]
	v_mul_f64 v[105:106], v[63:64], v[133:134]
	s_waitcnt vmcnt(37)
	v_fma_f64 v[109:110], v[59:60], v[73:74], -v[109:110]
	v_fma_f64 v[73:74], v[61:62], v[73:74], v[93:94]
	ds_read_b128 v[59:62], v2 offset:752
	v_add_f64 v[75:76], v[75:76], v[107:108]
	v_add_f64 v[3:4], v[3:4], v[89:90]
	s_waitcnt vmcnt(33) lgkmcnt(1)
	v_mul_f64 v[89:90], v[67:68], v[77:78]
	v_mul_f64 v[77:78], v[69:70], v[77:78]
	s_waitcnt vmcnt(32)
	v_fma_f64 v[93:94], v[63:64], v[135:136], -v[111:112]
	;; [unrolled: 9-line block ×7, first 2 shown]
	v_fma_f64 v[73:74], v[61:62], v[81:82], v[73:74]
	ds_read_b128 v[59:62], v2 offset:848
	v_add_f64 v[75:76], v[75:76], v[77:78]
	v_add_f64 v[3:4], v[3:4], v[71:72]
	s_waitcnt vmcnt(9) lgkmcnt(1)
	v_mul_f64 v[77:78], v[69:70], v[87:88]
	s_waitcnt vmcnt(8)
	v_fma_f64 v[63:64], v[63:64], v[139:140], -v[85:86]
	v_mul_f64 v[71:72], v[67:68], v[87:88]
	v_fma_f64 v[65:66], v[65:66], v[139:140], v[83:84]
	v_add_f64 v[75:76], v[75:76], v[79:80]
	v_add_f64 v[3:4], v[3:4], v[73:74]
	s_waitcnt vmcnt(7) lgkmcnt(0)
	v_mul_f64 v[79:80], v[61:62], v[99:100]
	v_mul_f64 v[73:74], v[59:60], v[99:100]
	s_waitcnt vmcnt(5)
	v_fma_f64 v[67:68], v[67:68], v[91:92], -v[77:78]
	v_fma_f64 v[69:70], v[69:70], v[91:92], v[71:72]
	v_add_f64 v[63:64], v[75:76], v[63:64]
	v_add_f64 v[3:4], v[3:4], v[65:66]
	s_waitcnt vmcnt(4)
	v_fma_f64 v[59:60], v[59:60], v[103:104], -v[79:80]
	v_fma_f64 v[61:62], v[61:62], v[103:104], v[73:74]
	v_add_f64 v[63:64], v[63:64], v[67:68]
	v_add_f64 v[3:4], v[3:4], v[69:70]
	;; [unrolled: 1-line block ×4, first 2 shown]
	s_waitcnt vmcnt(2)
	v_add_f64 v[59:60], v[97:98], -v[59:60]
	s_waitcnt vmcnt(0)
	v_add_f64 v[3:4], v[101:102], -v[3:4]
	buffer_store_dword v60, off, s[0:3], 0 offset:36
	buffer_store_dword v59, off, s[0:3], 0 offset:32
	;; [unrolled: 1-line block ×4, first 2 shown]
	v_cmpx_ne_u32_e32 0, v0
	s_cbranch_execz .LBB26_175
; %bb.174:
	s_clause 0x3
	buffer_load_dword v59, off, s[0:3], 0 offset:16
	buffer_load_dword v60, off, s[0:3], 0 offset:20
	;; [unrolled: 1-line block ×4, first 2 shown]
	buffer_store_dword v2, off, s[0:3], 0 offset:16
	buffer_store_dword v2, off, s[0:3], 0 offset:20
	;; [unrolled: 1-line block ×4, first 2 shown]
	s_waitcnt vmcnt(0)
	ds_write_b128 v1, v[59:62]
.LBB26_175:
	s_or_b32 exec_lo, exec_lo, s4
	s_waitcnt lgkmcnt(0)
	s_waitcnt_vscnt null, 0x0
	s_barrier
	buffer_gl0_inv
	s_clause 0x37
	buffer_load_dword v0, off, s[0:3], 0 offset:40
	buffer_load_dword v1, off, s[0:3], 0 offset:44
	;; [unrolled: 1-line block ×56, first 2 shown]
	ds_read_b128 v[59:62], v2 offset:448
	s_clause 0x2
	buffer_load_dword v122, off, s[0:3], 0 offset:268
	buffer_load_dword v126, off, s[0:3], 0 offset:244
	buffer_load_dword v125, off, s[0:3], 0 offset:240
	ds_read_b128 v[63:66], v2 offset:464
	s_clause 0x4
	buffer_load_dword v130, off, s[0:3], 0 offset:284
	buffer_load_dword v131, off, s[0:3], 0 offset:296
	;; [unrolled: 1-line block ×5, first 2 shown]
	ds_read_b128 v[67:70], v2 offset:480
	s_and_b32 vcc_lo, exec_lo, s38
	s_waitcnt vmcnt(62) lgkmcnt(2)
	v_mul_f64 v[127:128], v[61:62], v[0:1]
	v_mul_f64 v[0:1], v[59:60], v[0:1]
	s_waitcnt vmcnt(60) lgkmcnt(1)
	v_mul_f64 v[134:135], v[65:66], v[3:4]
	v_mul_f64 v[3:4], v[63:64], v[3:4]
	s_waitcnt vmcnt(56) lgkmcnt(0)
	v_mul_f64 v[136:137], v[67:68], v[73:74]
	v_mul_f64 v[73:74], v[69:70], v[73:74]
	v_fma_f64 v[127:128], v[59:60], v[71:72], -v[127:128]
	v_fma_f64 v[0:1], v[61:62], v[71:72], v[0:1]
	s_clause 0x2
	buffer_load_dword v132, off, s[0:3], 0 offset:300
	buffer_load_dword v72, off, s[0:3], 0 offset:276
	;; [unrolled: 1-line block ×3, first 2 shown]
	s_waitcnt vmcnt(57)
	v_fma_f64 v[138:139], v[63:64], v[75:76], -v[134:135]
	ds_read_b128 v[59:62], v2 offset:496
	v_fma_f64 v[3:4], v[65:66], v[75:76], v[3:4]
	s_clause 0x4
	buffer_load_dword v76, off, s[0:3], 0 offset:316
	buffer_load_dword v135, off, s[0:3], 0 offset:328
	;; [unrolled: 1-line block ×5, first 2 shown]
	s_waitcnt vmcnt(56)
	v_fma_f64 v[73:74], v[67:68], v[83:84], -v[73:74]
	ds_read_b128 v[63:66], v2 offset:512
	v_fma_f64 v[83:84], v[69:70], v[83:84], v[136:137]
	v_add_f64 v[127:128], v[127:128], 0
	v_add_f64 v[0:1], v[0:1], 0
	s_waitcnt lgkmcnt(1)
	v_mul_f64 v[141:142], v[59:60], v[77:78]
	v_mul_f64 v[77:78], v[61:62], v[77:78]
	v_add_f64 v[127:128], v[127:128], v[138:139]
	v_add_f64 v[0:1], v[0:1], v[3:4]
	s_clause 0x2
	buffer_load_dword v136, off, s[0:3], 0 offset:332
	buffer_load_dword v4, off, s[0:3], 0 offset:308
	;; [unrolled: 1-line block ×3, first 2 shown]
	s_waitcnt vmcnt(58) lgkmcnt(0)
	v_mul_f64 v[137:138], v[63:64], v[79:80]
	v_mul_f64 v[79:80], v[65:66], v[79:80]
	s_waitcnt vmcnt(56)
	v_fma_f64 v[77:78], v[59:60], v[85:86], -v[77:78]
	ds_read_b128 v[67:70], v2 offset:528
	v_fma_f64 v[85:86], v[61:62], v[85:86], v[141:142]
	v_add_f64 v[73:74], v[127:128], v[73:74]
	v_add_f64 v[0:1], v[0:1], v[83:84]
	s_clause 0x4
	buffer_load_dword v84, off, s[0:3], 0 offset:348
	buffer_load_dword v127, off, s[0:3], 0 offset:360
	;; [unrolled: 1-line block ×5, first 2 shown]
	ds_read_b128 v[59:62], v2 offset:544
	s_waitcnt vmcnt(57) lgkmcnt(1)
	v_mul_f64 v[143:144], v[67:68], v[87:88]
	v_mul_f64 v[87:88], v[69:70], v[87:88]
	s_waitcnt vmcnt(56)
	v_fma_f64 v[79:80], v[63:64], v[81:82], -v[79:80]
	v_add_f64 v[73:74], v[73:74], v[77:78]
	v_fma_f64 v[77:78], v[65:66], v[81:82], v[137:138]
	v_add_f64 v[0:1], v[0:1], v[85:86]
	s_clause 0x2
	buffer_load_dword v128, off, s[0:3], 0 offset:364
	buffer_load_dword v82, off, s[0:3], 0 offset:340
	;; [unrolled: 1-line block ×3, first 2 shown]
	s_waitcnt vmcnt(58) lgkmcnt(0)
	v_mul_f64 v[85:86], v[59:60], v[89:90]
	v_mul_f64 v[89:90], v[61:62], v[89:90]
	s_waitcnt vmcnt(56)
	v_fma_f64 v[87:88], v[67:68], v[93:94], -v[87:88]
	ds_read_b128 v[63:66], v2 offset:560
	v_add_f64 v[73:74], v[73:74], v[79:80]
	v_fma_f64 v[79:80], v[69:70], v[93:94], v[143:144]
	v_add_f64 v[0:1], v[0:1], v[77:78]
	s_clause 0x4
	buffer_load_dword v78, off, s[0:3], 0 offset:380
	buffer_load_dword v93, off, s[0:3], 0 offset:392
	;; [unrolled: 1-line block ×5, first 2 shown]
	ds_read_b128 v[67:70], v2 offset:576
	s_waitcnt vmcnt(57) lgkmcnt(1)
	v_mul_f64 v[138:139], v[63:64], v[95:96]
	v_mul_f64 v[95:96], v[65:66], v[95:96]
	s_waitcnt vmcnt(56)
	v_fma_f64 v[89:90], v[59:60], v[91:92], -v[89:90]
	v_fma_f64 v[85:86], v[61:62], v[91:92], v[85:86]
	v_add_f64 v[73:74], v[73:74], v[87:88]
	v_add_f64 v[0:1], v[0:1], v[79:80]
	s_clause 0x2
	buffer_load_dword v94, off, s[0:3], 0 offset:396
	buffer_load_dword v80, off, s[0:3], 0 offset:372
	;; [unrolled: 1-line block ×3, first 2 shown]
	s_waitcnt vmcnt(58) lgkmcnt(0)
	v_mul_f64 v[91:92], v[69:70], v[97:98]
	ds_read_b128 v[59:62], v2 offset:592
	s_waitcnt vmcnt(56)
	v_fma_f64 v[95:96], v[63:64], v[101:102], -v[95:96]
	v_mul_f64 v[87:88], v[67:68], v[97:98]
	v_add_f64 v[73:74], v[73:74], v[89:90]
	v_fma_f64 v[89:90], v[65:66], v[101:102], v[138:139]
	v_add_f64 v[0:1], v[0:1], v[85:86]
	s_clause 0x4
	buffer_load_dword v86, off, s[0:3], 0 offset:412
	buffer_load_dword v97, off, s[0:3], 0 offset:424
	;; [unrolled: 1-line block ×5, first 2 shown]
	s_waitcnt vmcnt(57) lgkmcnt(0)
	v_mul_f64 v[144:145], v[59:60], v[103:104]
	v_mul_f64 v[102:103], v[61:62], v[103:104]
	s_waitcnt vmcnt(56)
	v_fma_f64 v[91:92], v[67:68], v[99:100], -v[91:92]
	ds_read_b128 v[63:66], v2 offset:608
	v_fma_f64 v[87:88], v[69:70], v[99:100], v[87:88]
	v_add_f64 v[73:74], v[73:74], v[95:96]
	v_add_f64 v[0:1], v[0:1], v[89:90]
	s_clause 0x2
	buffer_load_dword v98, off, s[0:3], 0 offset:428
	buffer_load_dword v90, off, s[0:3], 0 offset:404
	;; [unrolled: 1-line block ×3, first 2 shown]
	ds_read_b128 v[67:70], v2 offset:624
	s_waitcnt vmcnt(58) lgkmcnt(1)
	v_mul_f64 v[99:100], v[65:66], v[105:106]
	s_waitcnt vmcnt(56)
	v_fma_f64 v[103:104], v[59:60], v[109:110], -v[102:103]
	v_mul_f64 v[95:96], v[63:64], v[105:106]
	v_add_f64 v[73:74], v[73:74], v[91:92]
	v_fma_f64 v[91:92], v[61:62], v[109:110], v[144:145]
	v_add_f64 v[0:1], v[0:1], v[87:88]
	s_clause 0x2
	buffer_load_dword v88, off, s[0:3], 0 offset:444
	buffer_load_dword v87, off, s[0:3], 0 offset:440
	;; [unrolled: 1-line block ×3, first 2 shown]
	s_waitcnt vmcnt(55) lgkmcnt(0)
	v_mul_f64 v[109:110], v[69:70], v[111:112]
	s_waitcnt vmcnt(54)
	v_fma_f64 v[99:100], v[63:64], v[107:108], -v[99:100]
	ds_read_b128 v[59:62], v2 offset:640
	v_mul_f64 v[105:106], v[67:68], v[111:112]
	v_fma_f64 v[95:96], v[65:66], v[107:108], v[95:96]
	v_add_f64 v[73:74], v[73:74], v[103:104]
	v_add_f64 v[0:1], v[0:1], v[91:92]
	s_clause 0x1
	buffer_load_dword v92, off, s[0:3], 0 offset:436
	buffer_load_dword v91, off, s[0:3], 0 offset:432
	s_waitcnt vmcnt(55) lgkmcnt(0)
	v_mul_f64 v[107:108], v[61:62], v[113:114]
	s_waitcnt vmcnt(53)
	v_fma_f64 v[109:110], v[67:68], v[117:118], -v[109:110]
	ds_read_b128 v[63:66], v2 offset:656
	v_mul_f64 v[103:104], v[59:60], v[113:114]
	v_add_f64 v[73:74], v[73:74], v[99:100]
	v_fma_f64 v[99:100], v[69:70], v[117:118], v[105:106]
	v_add_f64 v[0:1], v[0:1], v[95:96]
	ds_read_b128 v[67:70], v2 offset:672
	s_waitcnt vmcnt(49) lgkmcnt(1)
	v_mul_f64 v[105:106], v[65:66], v[119:120]
	s_waitcnt vmcnt(48)
	v_fma_f64 v[107:108], v[59:60], v[115:116], -v[107:108]
	v_mul_f64 v[95:96], v[63:64], v[119:120]
	v_fma_f64 v[103:104], v[61:62], v[115:116], v[103:104]
	v_add_f64 v[73:74], v[73:74], v[109:110]
	s_waitcnt vmcnt(47) lgkmcnt(0)
	v_mul_f64 v[113:114], v[69:70], v[121:122]
	v_add_f64 v[0:1], v[0:1], v[99:100]
	s_clause 0x3
	buffer_load_dword v99, off, s[0:3], 0 offset:16
	buffer_load_dword v100, off, s[0:3], 0 offset:20
	buffer_load_dword v109, off, s[0:3], 0 offset:24
	buffer_load_dword v110, off, s[0:3], 0 offset:28
	s_waitcnt vmcnt(49)
	v_fma_f64 v[105:106], v[63:64], v[125:126], -v[105:106]
	ds_read_b128 v[59:62], v2 offset:688
	v_mul_f64 v[111:112], v[67:68], v[121:122]
	v_fma_f64 v[95:96], v[65:66], v[125:126], v[95:96]
	ds_read_b128 v[63:66], v2 offset:704
	v_add_f64 v[73:74], v[73:74], v[107:108]
	s_waitcnt vmcnt(44)
	v_fma_f64 v[113:114], v[67:68], v[123:124], -v[113:114]
	v_add_f64 v[0:1], v[0:1], v[103:104]
	s_waitcnt lgkmcnt(1)
	v_mul_f64 v[107:108], v[61:62], v[129:130]
	v_mul_f64 v[103:104], v[59:60], v[129:130]
	v_add_f64 v[73:74], v[73:74], v[105:106]
	v_fma_f64 v[105:106], v[69:70], v[123:124], v[111:112]
	v_add_f64 v[0:1], v[0:1], v[95:96]
	ds_read_b128 v[67:70], v2 offset:720
	s_waitcnt vmcnt(43) lgkmcnt(1)
	v_mul_f64 v[111:112], v[65:66], v[131:132]
	v_mul_f64 v[95:96], v[63:64], v[131:132]
	s_waitcnt vmcnt(41)
	v_fma_f64 v[107:108], v[59:60], v[71:72], -v[107:108]
	v_fma_f64 v[71:72], v[61:62], v[71:72], v[103:104]
	ds_read_b128 v[59:62], v2 offset:736
	v_add_f64 v[73:74], v[73:74], v[113:114]
	s_waitcnt vmcnt(37) lgkmcnt(1)
	v_mul_f64 v[103:104], v[67:68], v[75:76]
	v_add_f64 v[0:1], v[0:1], v[105:106]
	v_mul_f64 v[75:76], v[69:70], v[75:76]
	s_waitcnt vmcnt(36)
	v_fma_f64 v[105:106], v[63:64], v[133:134], -v[111:112]
	v_fma_f64 v[95:96], v[65:66], v[133:134], v[95:96]
	ds_read_b128 v[63:66], v2 offset:752
	v_add_f64 v[73:74], v[73:74], v[107:108]
	v_add_f64 v[0:1], v[0:1], v[71:72]
	s_waitcnt vmcnt(35) lgkmcnt(1)
	v_mul_f64 v[107:108], v[61:62], v[135:136]
	v_mul_f64 v[71:72], v[59:60], v[135:136]
	s_waitcnt vmcnt(33)
	v_fma_f64 v[75:76], v[67:68], v[3:4], -v[75:76]
	v_fma_f64 v[3:4], v[69:70], v[3:4], v[103:104]
	ds_read_b128 v[67:70], v2 offset:768
	v_add_f64 v[73:74], v[73:74], v[105:106]
	v_add_f64 v[0:1], v[0:1], v[95:96]
	s_waitcnt vmcnt(29) lgkmcnt(1)
	v_mul_f64 v[95:96], v[63:64], v[83:84]
	v_mul_f64 v[83:84], v[65:66], v[83:84]
	s_waitcnt vmcnt(28)
	v_fma_f64 v[103:104], v[59:60], v[140:141], -v[107:108]
	v_fma_f64 v[71:72], v[61:62], v[140:141], v[71:72]
	ds_read_b128 v[59:62], v2 offset:784
	v_add_f64 v[73:74], v[73:74], v[75:76]
	v_add_f64 v[0:1], v[0:1], v[3:4]
	s_waitcnt vmcnt(27) lgkmcnt(1)
	v_mul_f64 v[75:76], v[69:70], v[127:128]
	v_mul_f64 v[3:4], v[67:68], v[127:128]
	s_waitcnt vmcnt(25)
	v_fma_f64 v[83:84], v[63:64], v[81:82], -v[83:84]
	v_fma_f64 v[81:82], v[65:66], v[81:82], v[95:96]
	ds_read_b128 v[63:66], v2 offset:800
	v_add_f64 v[73:74], v[73:74], v[103:104]
	v_add_f64 v[0:1], v[0:1], v[71:72]
	s_waitcnt vmcnt(21) lgkmcnt(1)
	v_mul_f64 v[71:72], v[59:60], v[77:78]
	v_mul_f64 v[77:78], v[61:62], v[77:78]
	s_waitcnt vmcnt(20)
	v_fma_f64 v[75:76], v[67:68], v[142:143], -v[75:76]
	v_fma_f64 v[3:4], v[69:70], v[142:143], v[3:4]
	ds_read_b128 v[67:70], v2 offset:816
	v_add_f64 v[73:74], v[73:74], v[83:84]
	v_add_f64 v[0:1], v[0:1], v[81:82]
	s_waitcnt vmcnt(19) lgkmcnt(1)
	v_mul_f64 v[83:84], v[65:66], v[93:94]
	v_mul_f64 v[81:82], v[63:64], v[93:94]
	s_waitcnt vmcnt(17)
	v_fma_f64 v[77:78], v[59:60], v[79:80], -v[77:78]
	v_fma_f64 v[71:72], v[61:62], v[79:80], v[71:72]
	ds_read_b128 v[59:62], v2 offset:832
	v_add_f64 v[73:74], v[73:74], v[75:76]
	v_add_f64 v[0:1], v[0:1], v[3:4]
	s_waitcnt vmcnt(13) lgkmcnt(1)
	v_mul_f64 v[79:80], v[69:70], v[85:86]
	s_waitcnt vmcnt(12)
	v_fma_f64 v[63:64], v[63:64], v[137:138], -v[83:84]
	v_mul_f64 v[75:76], v[67:68], v[85:86]
	v_fma_f64 v[65:66], v[65:66], v[137:138], v[81:82]
	v_add_f64 v[73:74], v[73:74], v[77:78]
	v_add_f64 v[71:72], v[0:1], v[71:72]
	ds_read_b128 v[0:3], v2 offset:848
	s_waitcnt vmcnt(11) lgkmcnt(1)
	v_mul_f64 v[81:82], v[61:62], v[97:98]
	v_mul_f64 v[77:78], v[59:60], v[97:98]
	s_waitcnt vmcnt(9)
	v_fma_f64 v[67:68], v[67:68], v[89:90], -v[79:80]
	v_fma_f64 v[69:70], v[69:70], v[89:90], v[75:76]
	v_add_f64 v[63:64], v[73:74], v[63:64]
	v_add_f64 v[65:66], v[71:72], v[65:66]
	s_waitcnt vmcnt(7) lgkmcnt(0)
	v_mul_f64 v[73:74], v[2:3], v[87:88]
	s_waitcnt vmcnt(6)
	v_fma_f64 v[59:60], v[59:60], v[101:102], -v[81:82]
	v_mul_f64 v[71:72], v[0:1], v[87:88]
	v_fma_f64 v[61:62], v[61:62], v[101:102], v[77:78]
	v_add_f64 v[63:64], v[63:64], v[67:68]
	v_add_f64 v[65:66], v[65:66], v[69:70]
	s_waitcnt vmcnt(4)
	v_fma_f64 v[0:1], v[0:1], v[91:92], -v[73:74]
	v_fma_f64 v[2:3], v[2:3], v[91:92], v[71:72]
	v_add_f64 v[59:60], v[63:64], v[59:60]
	v_add_f64 v[61:62], v[65:66], v[61:62]
	;; [unrolled: 1-line block ×4, first 2 shown]
	s_waitcnt vmcnt(2)
	v_add_f64 v[0:1], v[99:100], -v[0:1]
	s_waitcnt vmcnt(0)
	v_add_f64 v[2:3], v[109:110], -v[2:3]
	buffer_store_dword v1, off, s[0:3], 0 offset:20
	buffer_store_dword v0, off, s[0:3], 0 offset:16
	;; [unrolled: 1-line block ×4, first 2 shown]
	s_cbranch_vccz .LBB26_228
; %bb.176:
	v_mov_b32_e32 v0, 0
	global_load_dword v1, v0, s[20:21] offset:100
	s_waitcnt vmcnt(0)
	v_add_nc_u32_e32 v1, -1, v1
	v_cmp_ne_u32_e32 vcc_lo, 25, v1
	s_cbranch_vccz .LBB26_178
; %bb.177:
	v_lshlrev_b32_e32 v1, 4, v1
	v_mov_b32_e32 v2, s9
	v_add_nc_u32_e32 v1, 16, v1
	s_clause 0x7
	buffer_load_dword v3, v1, s[0:3], 0 offen
	buffer_load_dword v4, v1, s[0:3], 0 offen offset:4
	buffer_load_dword v59, v1, s[0:3], 0 offen offset:8
	;; [unrolled: 1-line block ×6, first 2 shown]
	buffer_load_dword v64, v2, s[0:3], 0 offen
	s_waitcnt vmcnt(7)
	buffer_store_dword v3, v2, s[0:3], 0 offen
	s_waitcnt vmcnt(6)
	buffer_store_dword v4, v2, s[0:3], 0 offen offset:4
	s_waitcnt vmcnt(5)
	buffer_store_dword v59, v2, s[0:3], 0 offen offset:8
	;; [unrolled: 2-line block ×6, first 2 shown]
	s_waitcnt vmcnt(0)
	buffer_store_dword v64, v1, s[0:3], 0 offen
.LBB26_178:
	global_load_dword v0, v0, s[20:21] offset:96
	s_waitcnt vmcnt(0)
	v_add_nc_u32_e32 v0, -1, v0
	v_cmp_eq_u32_e32 vcc_lo, 24, v0
	s_cbranch_vccnz .LBB26_180
; %bb.179:
	v_lshlrev_b32_e32 v0, 4, v0
	v_mov_b32_e32 v1, s12
	v_add_nc_u32_e32 v0, 16, v0
	s_clause 0x7
	buffer_load_dword v2, v0, s[0:3], 0 offen
	buffer_load_dword v3, v0, s[0:3], 0 offen offset:4
	buffer_load_dword v4, v0, s[0:3], 0 offen offset:8
	;; [unrolled: 1-line block ×6, first 2 shown]
	buffer_load_dword v63, v1, s[0:3], 0 offen
	s_waitcnt vmcnt(7)
	buffer_store_dword v2, v1, s[0:3], 0 offen
	s_waitcnt vmcnt(6)
	buffer_store_dword v3, v1, s[0:3], 0 offen offset:4
	s_waitcnt vmcnt(5)
	buffer_store_dword v4, v1, s[0:3], 0 offen offset:8
	s_waitcnt vmcnt(4)
	buffer_store_dword v59, v1, s[0:3], 0 offen offset:12
	s_waitcnt vmcnt(3)
	buffer_store_dword v60, v0, s[0:3], 0 offen offset:12
	s_waitcnt vmcnt(2)
	buffer_store_dword v61, v0, s[0:3], 0 offen offset:8
	s_waitcnt vmcnt(1)
	buffer_store_dword v62, v0, s[0:3], 0 offen offset:4
	s_waitcnt vmcnt(0)
	buffer_store_dword v63, v0, s[0:3], 0 offen
.LBB26_180:
	v_mov_b32_e32 v0, 0
	global_load_dword v1, v0, s[20:21] offset:92
	s_waitcnt vmcnt(0)
	v_add_nc_u32_e32 v1, -1, v1
	v_cmp_eq_u32_e32 vcc_lo, 23, v1
	s_cbranch_vccnz .LBB26_182
; %bb.181:
	v_lshlrev_b32_e32 v1, 4, v1
	v_mov_b32_e32 v2, s13
	v_add_nc_u32_e32 v1, 16, v1
	s_clause 0x7
	buffer_load_dword v3, v1, s[0:3], 0 offen
	buffer_load_dword v4, v1, s[0:3], 0 offen offset:4
	buffer_load_dword v59, v1, s[0:3], 0 offen offset:8
	;; [unrolled: 1-line block ×6, first 2 shown]
	buffer_load_dword v64, v2, s[0:3], 0 offen
	s_waitcnt vmcnt(7)
	buffer_store_dword v3, v2, s[0:3], 0 offen
	s_waitcnt vmcnt(6)
	buffer_store_dword v4, v2, s[0:3], 0 offen offset:4
	s_waitcnt vmcnt(5)
	buffer_store_dword v59, v2, s[0:3], 0 offen offset:8
	s_waitcnt vmcnt(4)
	buffer_store_dword v60, v2, s[0:3], 0 offen offset:12
	s_waitcnt vmcnt(3)
	buffer_store_dword v61, v1, s[0:3], 0 offen offset:12
	s_waitcnt vmcnt(2)
	buffer_store_dword v62, v1, s[0:3], 0 offen offset:8
	s_waitcnt vmcnt(1)
	buffer_store_dword v63, v1, s[0:3], 0 offen offset:4
	s_waitcnt vmcnt(0)
	buffer_store_dword v64, v1, s[0:3], 0 offen
.LBB26_182:
	global_load_dword v0, v0, s[20:21] offset:88
	s_waitcnt vmcnt(0)
	v_add_nc_u32_e32 v0, -1, v0
	v_cmp_eq_u32_e32 vcc_lo, 22, v0
	s_cbranch_vccnz .LBB26_184
; %bb.183:
	v_lshlrev_b32_e32 v0, 4, v0
	v_mov_b32_e32 v1, s14
	v_add_nc_u32_e32 v0, 16, v0
	s_clause 0x7
	buffer_load_dword v2, v0, s[0:3], 0 offen
	buffer_load_dword v3, v0, s[0:3], 0 offen offset:4
	buffer_load_dword v4, v0, s[0:3], 0 offen offset:8
	;; [unrolled: 1-line block ×6, first 2 shown]
	buffer_load_dword v63, v1, s[0:3], 0 offen
	s_waitcnt vmcnt(7)
	buffer_store_dword v2, v1, s[0:3], 0 offen
	s_waitcnt vmcnt(6)
	buffer_store_dword v3, v1, s[0:3], 0 offen offset:4
	s_waitcnt vmcnt(5)
	buffer_store_dword v4, v1, s[0:3], 0 offen offset:8
	;; [unrolled: 2-line block ×6, first 2 shown]
	s_waitcnt vmcnt(0)
	buffer_store_dword v63, v0, s[0:3], 0 offen
.LBB26_184:
	v_mov_b32_e32 v0, 0
	global_load_dword v1, v0, s[20:21] offset:84
	s_waitcnt vmcnt(0)
	v_add_nc_u32_e32 v1, -1, v1
	v_cmp_eq_u32_e32 vcc_lo, 21, v1
	s_cbranch_vccnz .LBB26_186
; %bb.185:
	v_lshlrev_b32_e32 v1, 4, v1
	v_mov_b32_e32 v2, s15
	v_add_nc_u32_e32 v1, 16, v1
	s_clause 0x7
	buffer_load_dword v3, v1, s[0:3], 0 offen
	buffer_load_dword v4, v1, s[0:3], 0 offen offset:4
	buffer_load_dword v59, v1, s[0:3], 0 offen offset:8
	buffer_load_dword v60, v1, s[0:3], 0 offen offset:12
	buffer_load_dword v61, v2, s[0:3], 0 offen offset:12
	buffer_load_dword v62, v2, s[0:3], 0 offen offset:8
	buffer_load_dword v63, v2, s[0:3], 0 offen offset:4
	buffer_load_dword v64, v2, s[0:3], 0 offen
	s_waitcnt vmcnt(7)
	buffer_store_dword v3, v2, s[0:3], 0 offen
	s_waitcnt vmcnt(6)
	buffer_store_dword v4, v2, s[0:3], 0 offen offset:4
	s_waitcnt vmcnt(5)
	buffer_store_dword v59, v2, s[0:3], 0 offen offset:8
	;; [unrolled: 2-line block ×6, first 2 shown]
	s_waitcnt vmcnt(0)
	buffer_store_dword v64, v1, s[0:3], 0 offen
.LBB26_186:
	global_load_dword v0, v0, s[20:21] offset:80
	s_waitcnt vmcnt(0)
	v_add_nc_u32_e32 v0, -1, v0
	v_cmp_eq_u32_e32 vcc_lo, 20, v0
	s_cbranch_vccnz .LBB26_188
; %bb.187:
	v_lshlrev_b32_e32 v0, 4, v0
	v_mov_b32_e32 v1, s16
	v_add_nc_u32_e32 v0, 16, v0
	s_clause 0x7
	buffer_load_dword v2, v0, s[0:3], 0 offen
	buffer_load_dword v3, v0, s[0:3], 0 offen offset:4
	buffer_load_dword v4, v0, s[0:3], 0 offen offset:8
	;; [unrolled: 1-line block ×6, first 2 shown]
	buffer_load_dword v63, v1, s[0:3], 0 offen
	s_waitcnt vmcnt(7)
	buffer_store_dword v2, v1, s[0:3], 0 offen
	s_waitcnt vmcnt(6)
	buffer_store_dword v3, v1, s[0:3], 0 offen offset:4
	s_waitcnt vmcnt(5)
	buffer_store_dword v4, v1, s[0:3], 0 offen offset:8
	;; [unrolled: 2-line block ×6, first 2 shown]
	s_waitcnt vmcnt(0)
	buffer_store_dword v63, v0, s[0:3], 0 offen
.LBB26_188:
	v_mov_b32_e32 v0, 0
	global_load_dword v1, v0, s[20:21] offset:76
	s_waitcnt vmcnt(0)
	v_add_nc_u32_e32 v1, -1, v1
	v_cmp_eq_u32_e32 vcc_lo, 19, v1
	s_cbranch_vccnz .LBB26_190
; %bb.189:
	v_lshlrev_b32_e32 v1, 4, v1
	v_mov_b32_e32 v2, s17
	v_add_nc_u32_e32 v1, 16, v1
	s_clause 0x7
	buffer_load_dword v3, v1, s[0:3], 0 offen
	buffer_load_dword v4, v1, s[0:3], 0 offen offset:4
	buffer_load_dword v59, v1, s[0:3], 0 offen offset:8
	;; [unrolled: 1-line block ×6, first 2 shown]
	buffer_load_dword v64, v2, s[0:3], 0 offen
	s_waitcnt vmcnt(7)
	buffer_store_dword v3, v2, s[0:3], 0 offen
	s_waitcnt vmcnt(6)
	buffer_store_dword v4, v2, s[0:3], 0 offen offset:4
	s_waitcnt vmcnt(5)
	buffer_store_dword v59, v2, s[0:3], 0 offen offset:8
	;; [unrolled: 2-line block ×6, first 2 shown]
	s_waitcnt vmcnt(0)
	buffer_store_dword v64, v1, s[0:3], 0 offen
.LBB26_190:
	global_load_dword v0, v0, s[20:21] offset:72
	s_waitcnt vmcnt(0)
	v_add_nc_u32_e32 v0, -1, v0
	v_cmp_eq_u32_e32 vcc_lo, 18, v0
	s_cbranch_vccnz .LBB26_192
; %bb.191:
	v_lshlrev_b32_e32 v0, 4, v0
	v_mov_b32_e32 v1, s18
	v_add_nc_u32_e32 v0, 16, v0
	s_clause 0x7
	buffer_load_dword v2, v0, s[0:3], 0 offen
	buffer_load_dword v3, v0, s[0:3], 0 offen offset:4
	buffer_load_dword v4, v0, s[0:3], 0 offen offset:8
	buffer_load_dword v59, v0, s[0:3], 0 offen offset:12
	buffer_load_dword v60, v1, s[0:3], 0 offen offset:12
	buffer_load_dword v61, v1, s[0:3], 0 offen offset:8
	buffer_load_dword v62, v1, s[0:3], 0 offen offset:4
	buffer_load_dword v63, v1, s[0:3], 0 offen
	s_waitcnt vmcnt(7)
	buffer_store_dword v2, v1, s[0:3], 0 offen
	s_waitcnt vmcnt(6)
	buffer_store_dword v3, v1, s[0:3], 0 offen offset:4
	s_waitcnt vmcnt(5)
	buffer_store_dword v4, v1, s[0:3], 0 offen offset:8
	;; [unrolled: 2-line block ×6, first 2 shown]
	s_waitcnt vmcnt(0)
	buffer_store_dword v63, v0, s[0:3], 0 offen
.LBB26_192:
	v_mov_b32_e32 v0, 0
	global_load_dword v1, v0, s[20:21] offset:68
	s_waitcnt vmcnt(0)
	v_add_nc_u32_e32 v1, -1, v1
	v_cmp_eq_u32_e32 vcc_lo, 17, v1
	s_cbranch_vccnz .LBB26_194
; %bb.193:
	v_lshlrev_b32_e32 v1, 4, v1
	v_mov_b32_e32 v2, s19
	v_add_nc_u32_e32 v1, 16, v1
	s_clause 0x7
	buffer_load_dword v3, v1, s[0:3], 0 offen
	buffer_load_dword v4, v1, s[0:3], 0 offen offset:4
	buffer_load_dword v59, v1, s[0:3], 0 offen offset:8
	;; [unrolled: 1-line block ×6, first 2 shown]
	buffer_load_dword v64, v2, s[0:3], 0 offen
	s_waitcnt vmcnt(7)
	buffer_store_dword v3, v2, s[0:3], 0 offen
	s_waitcnt vmcnt(6)
	buffer_store_dword v4, v2, s[0:3], 0 offen offset:4
	s_waitcnt vmcnt(5)
	buffer_store_dword v59, v2, s[0:3], 0 offen offset:8
	s_waitcnt vmcnt(4)
	buffer_store_dword v60, v2, s[0:3], 0 offen offset:12
	s_waitcnt vmcnt(3)
	buffer_store_dword v61, v1, s[0:3], 0 offen offset:12
	s_waitcnt vmcnt(2)
	buffer_store_dword v62, v1, s[0:3], 0 offen offset:8
	s_waitcnt vmcnt(1)
	buffer_store_dword v63, v1, s[0:3], 0 offen offset:4
	s_waitcnt vmcnt(0)
	buffer_store_dword v64, v1, s[0:3], 0 offen
.LBB26_194:
	global_load_dword v0, v0, s[20:21] offset:64
	s_waitcnt vmcnt(0)
	v_add_nc_u32_e32 v0, -1, v0
	v_cmp_eq_u32_e32 vcc_lo, 16, v0
	s_cbranch_vccnz .LBB26_196
; %bb.195:
	v_lshlrev_b32_e32 v0, 4, v0
	v_mov_b32_e32 v1, s22
	v_add_nc_u32_e32 v0, 16, v0
	s_clause 0x7
	buffer_load_dword v2, v0, s[0:3], 0 offen
	buffer_load_dword v3, v0, s[0:3], 0 offen offset:4
	buffer_load_dword v4, v0, s[0:3], 0 offen offset:8
	;; [unrolled: 1-line block ×6, first 2 shown]
	buffer_load_dword v63, v1, s[0:3], 0 offen
	s_waitcnt vmcnt(7)
	buffer_store_dword v2, v1, s[0:3], 0 offen
	s_waitcnt vmcnt(6)
	buffer_store_dword v3, v1, s[0:3], 0 offen offset:4
	s_waitcnt vmcnt(5)
	buffer_store_dword v4, v1, s[0:3], 0 offen offset:8
	s_waitcnt vmcnt(4)
	buffer_store_dword v59, v1, s[0:3], 0 offen offset:12
	s_waitcnt vmcnt(3)
	buffer_store_dword v60, v0, s[0:3], 0 offen offset:12
	s_waitcnt vmcnt(2)
	buffer_store_dword v61, v0, s[0:3], 0 offen offset:8
	s_waitcnt vmcnt(1)
	buffer_store_dword v62, v0, s[0:3], 0 offen offset:4
	s_waitcnt vmcnt(0)
	buffer_store_dword v63, v0, s[0:3], 0 offen
.LBB26_196:
	v_mov_b32_e32 v0, 0
	global_load_dword v1, v0, s[20:21] offset:60
	s_waitcnt vmcnt(0)
	v_add_nc_u32_e32 v1, -1, v1
	v_cmp_eq_u32_e32 vcc_lo, 15, v1
	s_cbranch_vccnz .LBB26_198
; %bb.197:
	v_lshlrev_b32_e32 v1, 4, v1
	v_mov_b32_e32 v2, s23
	v_add_nc_u32_e32 v1, 16, v1
	s_clause 0x7
	buffer_load_dword v3, v1, s[0:3], 0 offen
	buffer_load_dword v4, v1, s[0:3], 0 offen offset:4
	buffer_load_dword v59, v1, s[0:3], 0 offen offset:8
	;; [unrolled: 1-line block ×6, first 2 shown]
	buffer_load_dword v64, v2, s[0:3], 0 offen
	s_waitcnt vmcnt(7)
	buffer_store_dword v3, v2, s[0:3], 0 offen
	s_waitcnt vmcnt(6)
	buffer_store_dword v4, v2, s[0:3], 0 offen offset:4
	s_waitcnt vmcnt(5)
	buffer_store_dword v59, v2, s[0:3], 0 offen offset:8
	;; [unrolled: 2-line block ×6, first 2 shown]
	s_waitcnt vmcnt(0)
	buffer_store_dword v64, v1, s[0:3], 0 offen
.LBB26_198:
	global_load_dword v0, v0, s[20:21] offset:56
	s_waitcnt vmcnt(0)
	v_add_nc_u32_e32 v0, -1, v0
	v_cmp_eq_u32_e32 vcc_lo, 14, v0
	s_cbranch_vccnz .LBB26_200
; %bb.199:
	v_lshlrev_b32_e32 v0, 4, v0
	v_mov_b32_e32 v1, s24
	v_add_nc_u32_e32 v0, 16, v0
	s_clause 0x7
	buffer_load_dword v2, v0, s[0:3], 0 offen
	buffer_load_dword v3, v0, s[0:3], 0 offen offset:4
	buffer_load_dword v4, v0, s[0:3], 0 offen offset:8
	buffer_load_dword v59, v0, s[0:3], 0 offen offset:12
	buffer_load_dword v60, v1, s[0:3], 0 offen offset:12
	buffer_load_dword v61, v1, s[0:3], 0 offen offset:8
	buffer_load_dword v62, v1, s[0:3], 0 offen offset:4
	buffer_load_dword v63, v1, s[0:3], 0 offen
	s_waitcnt vmcnt(7)
	buffer_store_dword v2, v1, s[0:3], 0 offen
	s_waitcnt vmcnt(6)
	buffer_store_dword v3, v1, s[0:3], 0 offen offset:4
	s_waitcnt vmcnt(5)
	buffer_store_dword v4, v1, s[0:3], 0 offen offset:8
	;; [unrolled: 2-line block ×6, first 2 shown]
	s_waitcnt vmcnt(0)
	buffer_store_dword v63, v0, s[0:3], 0 offen
.LBB26_200:
	v_mov_b32_e32 v0, 0
	global_load_dword v1, v0, s[20:21] offset:52
	s_waitcnt vmcnt(0)
	v_add_nc_u32_e32 v1, -1, v1
	v_cmp_eq_u32_e32 vcc_lo, 13, v1
	s_cbranch_vccnz .LBB26_202
; %bb.201:
	v_lshlrev_b32_e32 v1, 4, v1
	v_mov_b32_e32 v2, s25
	v_add_nc_u32_e32 v1, 16, v1
	s_clause 0x7
	buffer_load_dword v3, v1, s[0:3], 0 offen
	buffer_load_dword v4, v1, s[0:3], 0 offen offset:4
	buffer_load_dword v59, v1, s[0:3], 0 offen offset:8
	;; [unrolled: 1-line block ×6, first 2 shown]
	buffer_load_dword v64, v2, s[0:3], 0 offen
	s_waitcnt vmcnt(7)
	buffer_store_dword v3, v2, s[0:3], 0 offen
	s_waitcnt vmcnt(6)
	buffer_store_dword v4, v2, s[0:3], 0 offen offset:4
	s_waitcnt vmcnt(5)
	buffer_store_dword v59, v2, s[0:3], 0 offen offset:8
	;; [unrolled: 2-line block ×6, first 2 shown]
	s_waitcnt vmcnt(0)
	buffer_store_dword v64, v1, s[0:3], 0 offen
.LBB26_202:
	global_load_dword v0, v0, s[20:21] offset:48
	s_waitcnt vmcnt(0)
	v_add_nc_u32_e32 v0, -1, v0
	v_cmp_eq_u32_e32 vcc_lo, 12, v0
	s_cbranch_vccnz .LBB26_204
; %bb.203:
	v_lshlrev_b32_e32 v0, 4, v0
	v_mov_b32_e32 v1, s26
	v_add_nc_u32_e32 v0, 16, v0
	s_clause 0x7
	buffer_load_dword v2, v0, s[0:3], 0 offen
	buffer_load_dword v3, v0, s[0:3], 0 offen offset:4
	buffer_load_dword v4, v0, s[0:3], 0 offen offset:8
	;; [unrolled: 1-line block ×6, first 2 shown]
	buffer_load_dword v63, v1, s[0:3], 0 offen
	s_waitcnt vmcnt(7)
	buffer_store_dword v2, v1, s[0:3], 0 offen
	s_waitcnt vmcnt(6)
	buffer_store_dword v3, v1, s[0:3], 0 offen offset:4
	s_waitcnt vmcnt(5)
	buffer_store_dword v4, v1, s[0:3], 0 offen offset:8
	;; [unrolled: 2-line block ×6, first 2 shown]
	s_waitcnt vmcnt(0)
	buffer_store_dword v63, v0, s[0:3], 0 offen
.LBB26_204:
	v_mov_b32_e32 v0, 0
	global_load_dword v1, v0, s[20:21] offset:44
	s_waitcnt vmcnt(0)
	v_add_nc_u32_e32 v1, -1, v1
	v_cmp_eq_u32_e32 vcc_lo, 11, v1
	s_cbranch_vccnz .LBB26_206
; %bb.205:
	v_lshlrev_b32_e32 v1, 4, v1
	v_mov_b32_e32 v2, s27
	v_add_nc_u32_e32 v1, 16, v1
	s_clause 0x7
	buffer_load_dword v3, v1, s[0:3], 0 offen
	buffer_load_dword v4, v1, s[0:3], 0 offen offset:4
	buffer_load_dword v59, v1, s[0:3], 0 offen offset:8
	;; [unrolled: 1-line block ×6, first 2 shown]
	buffer_load_dword v64, v2, s[0:3], 0 offen
	s_waitcnt vmcnt(7)
	buffer_store_dword v3, v2, s[0:3], 0 offen
	s_waitcnt vmcnt(6)
	buffer_store_dword v4, v2, s[0:3], 0 offen offset:4
	s_waitcnt vmcnt(5)
	buffer_store_dword v59, v2, s[0:3], 0 offen offset:8
	s_waitcnt vmcnt(4)
	buffer_store_dword v60, v2, s[0:3], 0 offen offset:12
	s_waitcnt vmcnt(3)
	buffer_store_dword v61, v1, s[0:3], 0 offen offset:12
	s_waitcnt vmcnt(2)
	buffer_store_dword v62, v1, s[0:3], 0 offen offset:8
	s_waitcnt vmcnt(1)
	buffer_store_dword v63, v1, s[0:3], 0 offen offset:4
	s_waitcnt vmcnt(0)
	buffer_store_dword v64, v1, s[0:3], 0 offen
.LBB26_206:
	global_load_dword v0, v0, s[20:21] offset:40
	s_waitcnt vmcnt(0)
	v_add_nc_u32_e32 v0, -1, v0
	v_cmp_eq_u32_e32 vcc_lo, 10, v0
	s_cbranch_vccnz .LBB26_208
; %bb.207:
	v_lshlrev_b32_e32 v0, 4, v0
	v_mov_b32_e32 v1, s28
	v_add_nc_u32_e32 v0, 16, v0
	s_clause 0x7
	buffer_load_dword v2, v0, s[0:3], 0 offen
	buffer_load_dword v3, v0, s[0:3], 0 offen offset:4
	buffer_load_dword v4, v0, s[0:3], 0 offen offset:8
	;; [unrolled: 1-line block ×6, first 2 shown]
	buffer_load_dword v63, v1, s[0:3], 0 offen
	s_waitcnt vmcnt(7)
	buffer_store_dword v2, v1, s[0:3], 0 offen
	s_waitcnt vmcnt(6)
	buffer_store_dword v3, v1, s[0:3], 0 offen offset:4
	s_waitcnt vmcnt(5)
	buffer_store_dword v4, v1, s[0:3], 0 offen offset:8
	;; [unrolled: 2-line block ×6, first 2 shown]
	s_waitcnt vmcnt(0)
	buffer_store_dword v63, v0, s[0:3], 0 offen
.LBB26_208:
	v_mov_b32_e32 v0, 0
	global_load_dword v1, v0, s[20:21] offset:36
	s_waitcnt vmcnt(0)
	v_add_nc_u32_e32 v1, -1, v1
	v_cmp_eq_u32_e32 vcc_lo, 9, v1
	s_cbranch_vccnz .LBB26_210
; %bb.209:
	v_lshlrev_b32_e32 v1, 4, v1
	v_mov_b32_e32 v2, s29
	v_add_nc_u32_e32 v1, 16, v1
	s_clause 0x7
	buffer_load_dword v3, v1, s[0:3], 0 offen
	buffer_load_dword v4, v1, s[0:3], 0 offen offset:4
	buffer_load_dword v59, v1, s[0:3], 0 offen offset:8
	;; [unrolled: 1-line block ×6, first 2 shown]
	buffer_load_dword v64, v2, s[0:3], 0 offen
	s_waitcnt vmcnt(7)
	buffer_store_dword v3, v2, s[0:3], 0 offen
	s_waitcnt vmcnt(6)
	buffer_store_dword v4, v2, s[0:3], 0 offen offset:4
	s_waitcnt vmcnt(5)
	buffer_store_dword v59, v2, s[0:3], 0 offen offset:8
	;; [unrolled: 2-line block ×6, first 2 shown]
	s_waitcnt vmcnt(0)
	buffer_store_dword v64, v1, s[0:3], 0 offen
.LBB26_210:
	global_load_dword v0, v0, s[20:21] offset:32
	s_waitcnt vmcnt(0)
	v_add_nc_u32_e32 v0, -1, v0
	v_cmp_eq_u32_e32 vcc_lo, 8, v0
	s_cbranch_vccnz .LBB26_212
; %bb.211:
	v_lshlrev_b32_e32 v0, 4, v0
	v_mov_b32_e32 v1, s30
	v_add_nc_u32_e32 v0, 16, v0
	s_clause 0x7
	buffer_load_dword v2, v0, s[0:3], 0 offen
	buffer_load_dword v3, v0, s[0:3], 0 offen offset:4
	buffer_load_dword v4, v0, s[0:3], 0 offen offset:8
	;; [unrolled: 1-line block ×6, first 2 shown]
	buffer_load_dword v63, v1, s[0:3], 0 offen
	s_waitcnt vmcnt(7)
	buffer_store_dword v2, v1, s[0:3], 0 offen
	s_waitcnt vmcnt(6)
	buffer_store_dword v3, v1, s[0:3], 0 offen offset:4
	s_waitcnt vmcnt(5)
	buffer_store_dword v4, v1, s[0:3], 0 offen offset:8
	;; [unrolled: 2-line block ×6, first 2 shown]
	s_waitcnt vmcnt(0)
	buffer_store_dword v63, v0, s[0:3], 0 offen
.LBB26_212:
	v_mov_b32_e32 v0, 0
	global_load_dword v1, v0, s[20:21] offset:28
	s_waitcnt vmcnt(0)
	v_add_nc_u32_e32 v1, -1, v1
	v_cmp_eq_u32_e32 vcc_lo, 7, v1
	s_cbranch_vccnz .LBB26_214
; %bb.213:
	v_lshlrev_b32_e32 v1, 4, v1
	v_mov_b32_e32 v2, s31
	v_add_nc_u32_e32 v1, 16, v1
	s_clause 0x7
	buffer_load_dword v3, v1, s[0:3], 0 offen
	buffer_load_dword v4, v1, s[0:3], 0 offen offset:4
	buffer_load_dword v59, v1, s[0:3], 0 offen offset:8
	;; [unrolled: 1-line block ×6, first 2 shown]
	buffer_load_dword v64, v2, s[0:3], 0 offen
	s_waitcnt vmcnt(7)
	buffer_store_dword v3, v2, s[0:3], 0 offen
	s_waitcnt vmcnt(6)
	buffer_store_dword v4, v2, s[0:3], 0 offen offset:4
	s_waitcnt vmcnt(5)
	buffer_store_dword v59, v2, s[0:3], 0 offen offset:8
	;; [unrolled: 2-line block ×6, first 2 shown]
	s_waitcnt vmcnt(0)
	buffer_store_dword v64, v1, s[0:3], 0 offen
.LBB26_214:
	global_load_dword v0, v0, s[20:21] offset:24
	s_waitcnt vmcnt(0)
	v_add_nc_u32_e32 v0, -1, v0
	v_cmp_eq_u32_e32 vcc_lo, 6, v0
	s_cbranch_vccnz .LBB26_216
; %bb.215:
	v_lshlrev_b32_e32 v0, 4, v0
	v_mov_b32_e32 v1, s33
	v_add_nc_u32_e32 v0, 16, v0
	s_clause 0x7
	buffer_load_dword v2, v0, s[0:3], 0 offen
	buffer_load_dword v3, v0, s[0:3], 0 offen offset:4
	buffer_load_dword v4, v0, s[0:3], 0 offen offset:8
	;; [unrolled: 1-line block ×6, first 2 shown]
	buffer_load_dword v63, v1, s[0:3], 0 offen
	s_waitcnt vmcnt(7)
	buffer_store_dword v2, v1, s[0:3], 0 offen
	s_waitcnt vmcnt(6)
	buffer_store_dword v3, v1, s[0:3], 0 offen offset:4
	s_waitcnt vmcnt(5)
	buffer_store_dword v4, v1, s[0:3], 0 offen offset:8
	;; [unrolled: 2-line block ×6, first 2 shown]
	s_waitcnt vmcnt(0)
	buffer_store_dword v63, v0, s[0:3], 0 offen
.LBB26_216:
	v_mov_b32_e32 v0, 0
	global_load_dword v1, v0, s[20:21] offset:20
	s_waitcnt vmcnt(0)
	v_add_nc_u32_e32 v1, -1, v1
	v_cmp_eq_u32_e32 vcc_lo, 5, v1
	s_cbranch_vccnz .LBB26_218
; %bb.217:
	v_lshlrev_b32_e32 v1, 4, v1
	v_mov_b32_e32 v2, s34
	v_add_nc_u32_e32 v1, 16, v1
	s_clause 0x7
	buffer_load_dword v3, v1, s[0:3], 0 offen
	buffer_load_dword v4, v1, s[0:3], 0 offen offset:4
	buffer_load_dword v59, v1, s[0:3], 0 offen offset:8
	buffer_load_dword v60, v1, s[0:3], 0 offen offset:12
	buffer_load_dword v61, v2, s[0:3], 0 offen offset:12
	buffer_load_dword v62, v2, s[0:3], 0 offen offset:8
	buffer_load_dword v63, v2, s[0:3], 0 offen offset:4
	buffer_load_dword v64, v2, s[0:3], 0 offen
	s_waitcnt vmcnt(7)
	buffer_store_dword v3, v2, s[0:3], 0 offen
	s_waitcnt vmcnt(6)
	buffer_store_dword v4, v2, s[0:3], 0 offen offset:4
	s_waitcnt vmcnt(5)
	buffer_store_dword v59, v2, s[0:3], 0 offen offset:8
	s_waitcnt vmcnt(4)
	buffer_store_dword v60, v2, s[0:3], 0 offen offset:12
	s_waitcnt vmcnt(3)
	buffer_store_dword v61, v1, s[0:3], 0 offen offset:12
	s_waitcnt vmcnt(2)
	buffer_store_dword v62, v1, s[0:3], 0 offen offset:8
	s_waitcnt vmcnt(1)
	buffer_store_dword v63, v1, s[0:3], 0 offen offset:4
	s_waitcnt vmcnt(0)
	buffer_store_dword v64, v1, s[0:3], 0 offen
.LBB26_218:
	global_load_dword v0, v0, s[20:21] offset:16
	s_waitcnt vmcnt(0)
	v_add_nc_u32_e32 v0, -1, v0
	v_cmp_eq_u32_e32 vcc_lo, 4, v0
	s_cbranch_vccnz .LBB26_220
; %bb.219:
	v_lshlrev_b32_e32 v0, 4, v0
	v_mov_b32_e32 v1, s35
	v_add_nc_u32_e32 v0, 16, v0
	s_clause 0x7
	buffer_load_dword v2, v0, s[0:3], 0 offen
	buffer_load_dword v3, v0, s[0:3], 0 offen offset:4
	buffer_load_dword v4, v0, s[0:3], 0 offen offset:8
	;; [unrolled: 1-line block ×6, first 2 shown]
	buffer_load_dword v63, v1, s[0:3], 0 offen
	s_waitcnt vmcnt(7)
	buffer_store_dword v2, v1, s[0:3], 0 offen
	s_waitcnt vmcnt(6)
	buffer_store_dword v3, v1, s[0:3], 0 offen offset:4
	s_waitcnt vmcnt(5)
	buffer_store_dword v4, v1, s[0:3], 0 offen offset:8
	;; [unrolled: 2-line block ×6, first 2 shown]
	s_waitcnt vmcnt(0)
	buffer_store_dword v63, v0, s[0:3], 0 offen
.LBB26_220:
	v_mov_b32_e32 v0, 0
	global_load_dword v1, v0, s[20:21] offset:12
	s_waitcnt vmcnt(0)
	v_add_nc_u32_e32 v1, -1, v1
	v_cmp_eq_u32_e32 vcc_lo, 3, v1
	s_cbranch_vccnz .LBB26_222
; %bb.221:
	v_lshlrev_b32_e32 v1, 4, v1
	v_mov_b32_e32 v2, s36
	v_add_nc_u32_e32 v1, 16, v1
	s_clause 0x7
	buffer_load_dword v3, v1, s[0:3], 0 offen
	buffer_load_dword v4, v1, s[0:3], 0 offen offset:4
	buffer_load_dword v59, v1, s[0:3], 0 offen offset:8
	;; [unrolled: 1-line block ×6, first 2 shown]
	buffer_load_dword v64, v2, s[0:3], 0 offen
	s_waitcnt vmcnt(7)
	buffer_store_dword v3, v2, s[0:3], 0 offen
	s_waitcnt vmcnt(6)
	buffer_store_dword v4, v2, s[0:3], 0 offen offset:4
	s_waitcnt vmcnt(5)
	buffer_store_dword v59, v2, s[0:3], 0 offen offset:8
	;; [unrolled: 2-line block ×6, first 2 shown]
	s_waitcnt vmcnt(0)
	buffer_store_dword v64, v1, s[0:3], 0 offen
.LBB26_222:
	global_load_dword v0, v0, s[20:21] offset:8
	s_waitcnt vmcnt(0)
	v_add_nc_u32_e32 v0, -1, v0
	v_cmp_eq_u32_e32 vcc_lo, 2, v0
	s_cbranch_vccnz .LBB26_224
; %bb.223:
	v_lshlrev_b32_e32 v0, 4, v0
	v_mov_b32_e32 v1, s37
	v_add_nc_u32_e32 v0, 16, v0
	s_clause 0x7
	buffer_load_dword v2, v0, s[0:3], 0 offen
	buffer_load_dword v3, v0, s[0:3], 0 offen offset:4
	buffer_load_dword v4, v0, s[0:3], 0 offen offset:8
	;; [unrolled: 1-line block ×6, first 2 shown]
	buffer_load_dword v63, v1, s[0:3], 0 offen
	s_waitcnt vmcnt(7)
	buffer_store_dword v2, v1, s[0:3], 0 offen
	s_waitcnt vmcnt(6)
	buffer_store_dword v3, v1, s[0:3], 0 offen offset:4
	s_waitcnt vmcnt(5)
	buffer_store_dword v4, v1, s[0:3], 0 offen offset:8
	;; [unrolled: 2-line block ×6, first 2 shown]
	s_waitcnt vmcnt(0)
	buffer_store_dword v63, v0, s[0:3], 0 offen
.LBB26_224:
	v_mov_b32_e32 v0, 0
	global_load_dword v1, v0, s[20:21] offset:4
	s_waitcnt vmcnt(0)
	v_add_nc_u32_e32 v1, -1, v1
	v_cmp_eq_u32_e32 vcc_lo, 1, v1
	s_cbranch_vccnz .LBB26_226
; %bb.225:
	v_lshlrev_b32_e32 v1, 4, v1
	v_mov_b32_e32 v2, s39
	v_add_nc_u32_e32 v1, 16, v1
	s_clause 0x7
	buffer_load_dword v3, v1, s[0:3], 0 offen
	buffer_load_dword v4, v1, s[0:3], 0 offen offset:4
	buffer_load_dword v59, v1, s[0:3], 0 offen offset:8
	;; [unrolled: 1-line block ×6, first 2 shown]
	buffer_load_dword v64, v2, s[0:3], 0 offen
	s_waitcnt vmcnt(7)
	buffer_store_dword v3, v2, s[0:3], 0 offen
	s_waitcnt vmcnt(6)
	buffer_store_dword v4, v2, s[0:3], 0 offen offset:4
	s_waitcnt vmcnt(5)
	buffer_store_dword v59, v2, s[0:3], 0 offen offset:8
	;; [unrolled: 2-line block ×6, first 2 shown]
	s_waitcnt vmcnt(0)
	buffer_store_dword v64, v1, s[0:3], 0 offen
.LBB26_226:
	global_load_dword v0, v0, s[20:21]
	s_waitcnt vmcnt(0)
	v_add_nc_u32_e32 v0, -1, v0
	v_cmp_eq_u32_e32 vcc_lo, 0, v0
	s_cbranch_vccnz .LBB26_228
; %bb.227:
	v_lshlrev_b32_e32 v0, 4, v0
	v_add_nc_u32_e32 v0, 16, v0
	s_clause 0x7
	buffer_load_dword v1, v0, s[0:3], 0 offen
	buffer_load_dword v2, v0, s[0:3], 0 offen offset:4
	buffer_load_dword v3, v0, s[0:3], 0 offen offset:8
	;; [unrolled: 1-line block ×3, first 2 shown]
	buffer_load_dword v59, off, s[0:3], 0 offset:28
	buffer_load_dword v60, off, s[0:3], 0 offset:24
	buffer_load_dword v61, off, s[0:3], 0 offset:20
	buffer_load_dword v62, off, s[0:3], 0 offset:16
	s_waitcnt vmcnt(7)
	buffer_store_dword v1, off, s[0:3], 0 offset:16
	s_waitcnt vmcnt(6)
	buffer_store_dword v2, off, s[0:3], 0 offset:20
	;; [unrolled: 2-line block ×4, first 2 shown]
	s_waitcnt vmcnt(3)
	buffer_store_dword v59, v0, s[0:3], 0 offen offset:12
	s_waitcnt vmcnt(2)
	buffer_store_dword v60, v0, s[0:3], 0 offen offset:8
	;; [unrolled: 2-line block ×3, first 2 shown]
	s_waitcnt vmcnt(0)
	buffer_store_dword v62, v0, s[0:3], 0 offen
.LBB26_228:
	s_clause 0x3
	buffer_load_dword v0, off, s[0:3], 0 offset:16
	buffer_load_dword v1, off, s[0:3], 0 offset:20
	;; [unrolled: 1-line block ×4, first 2 shown]
	v_mov_b32_e32 v4, s39
	v_mov_b32_e32 v151, s12
	;; [unrolled: 1-line block ×26, first 2 shown]
	s_clause 0x3e
	buffer_load_dword v59, v4, s[0:3], 0 offen
	buffer_load_dword v60, v4, s[0:3], 0 offen offset:4
	buffer_load_dword v61, v4, s[0:3], 0 offen offset:8
	buffer_load_dword v62, v4, s[0:3], 0 offen offset:12
	buffer_load_dword v63, v66, s[0:3], 0 offen
	buffer_load_dword v64, v66, s[0:3], 0 offen offset:4
	buffer_load_dword v65, v66, s[0:3], 0 offen offset:8
	buffer_load_dword v66, v66, s[0:3], 0 offen offset:12
	;; [unrolled: 4-line block ×15, first 2 shown]
	buffer_load_dword v119, v122, s[0:3], 0 offen
	buffer_load_dword v120, v122, s[0:3], 0 offen offset:4
	buffer_load_dword v121, v122, s[0:3], 0 offen offset:8
	s_clause 0x1c
	buffer_load_dword v122, v122, s[0:3], 0 offen offset:12
	buffer_load_dword v123, v126, s[0:3], 0 offen
	buffer_load_dword v124, v126, s[0:3], 0 offen offset:4
	buffer_load_dword v125, v126, s[0:3], 0 offen offset:8
	buffer_load_dword v126, v126, s[0:3], 0 offen offset:12
	buffer_load_dword v127, v130, s[0:3], 0 offen
	buffer_load_dword v128, v130, s[0:3], 0 offen offset:4
	buffer_load_dword v129, v130, s[0:3], 0 offen offset:8
	;; [unrolled: 4-line block ×7, first 2 shown]
	buffer_load_dword v150, v150, s[0:3], 0 offen offset:12
	s_waitcnt vmcnt(62)
	global_store_dwordx4 v[5:6], v[0:3], off
	s_clause 0xb
	buffer_load_dword v0, v151, s[0:3], 0 offen
	buffer_load_dword v1, v151, s[0:3], 0 offen offset:4
	buffer_load_dword v2, v151, s[0:3], 0 offen offset:8
	buffer_load_dword v3, v151, s[0:3], 0 offen offset:12
	buffer_load_dword v151, v154, s[0:3], 0 offen
	buffer_load_dword v152, v154, s[0:3], 0 offen offset:4
	buffer_load_dword v153, v154, s[0:3], 0 offen offset:8
	buffer_load_dword v154, v154, s[0:3], 0 offen offset:12
	;; [unrolled: 4-line block ×3, first 2 shown]
	global_store_dwordx4 v[7:8], v[59:62], off
	global_store_dwordx4 v[9:10], v[63:66], off
	;; [unrolled: 1-line block ×7, first 2 shown]
	s_waitcnt vmcnt(62)
	global_store_dwordx4 v[21:22], v[87:90], off
	global_store_dwordx4 v[23:24], v[91:94], off
	global_store_dwordx4 v[25:26], v[95:98], off
	s_waitcnt vmcnt(60)
	global_store_dwordx4 v[27:28], v[99:102], off
	s_waitcnt vmcnt(56)
	global_store_dwordx4 v[29:30], v[103:106], off
	;; [unrolled: 2-line block ×16, first 2 shown]
	s_endpgm
	.section	.rodata,"a",@progbits
	.p2align	6, 0x0
	.amdhsa_kernel _ZN9rocsolver6v33100L18getri_kernel_smallILi27E19rocblas_complex_numIdEPS3_EEvT1_iilPiilS6_bb
		.amdhsa_group_segment_fixed_size 872
		.amdhsa_private_segment_fixed_size 464
		.amdhsa_kernarg_size 60
		.amdhsa_user_sgpr_count 6
		.amdhsa_user_sgpr_private_segment_buffer 1
		.amdhsa_user_sgpr_dispatch_ptr 0
		.amdhsa_user_sgpr_queue_ptr 0
		.amdhsa_user_sgpr_kernarg_segment_ptr 1
		.amdhsa_user_sgpr_dispatch_id 0
		.amdhsa_user_sgpr_flat_scratch_init 0
		.amdhsa_user_sgpr_private_segment_size 0
		.amdhsa_wavefront_size32 1
		.amdhsa_uses_dynamic_stack 0
		.amdhsa_system_sgpr_private_segment_wavefront_offset 1
		.amdhsa_system_sgpr_workgroup_id_x 1
		.amdhsa_system_sgpr_workgroup_id_y 0
		.amdhsa_system_sgpr_workgroup_id_z 0
		.amdhsa_system_sgpr_workgroup_info 0
		.amdhsa_system_vgpr_workitem_id 0
		.amdhsa_next_free_vgpr 159
		.amdhsa_next_free_sgpr 51
		.amdhsa_reserve_vcc 1
		.amdhsa_reserve_flat_scratch 0
		.amdhsa_float_round_mode_32 0
		.amdhsa_float_round_mode_16_64 0
		.amdhsa_float_denorm_mode_32 3
		.amdhsa_float_denorm_mode_16_64 3
		.amdhsa_dx10_clamp 1
		.amdhsa_ieee_mode 1
		.amdhsa_fp16_overflow 0
		.amdhsa_workgroup_processor_mode 1
		.amdhsa_memory_ordered 1
		.amdhsa_forward_progress 1
		.amdhsa_shared_vgpr_count 0
		.amdhsa_exception_fp_ieee_invalid_op 0
		.amdhsa_exception_fp_denorm_src 0
		.amdhsa_exception_fp_ieee_div_zero 0
		.amdhsa_exception_fp_ieee_overflow 0
		.amdhsa_exception_fp_ieee_underflow 0
		.amdhsa_exception_fp_ieee_inexact 0
		.amdhsa_exception_int_div_zero 0
	.end_amdhsa_kernel
	.section	.text._ZN9rocsolver6v33100L18getri_kernel_smallILi27E19rocblas_complex_numIdEPS3_EEvT1_iilPiilS6_bb,"axG",@progbits,_ZN9rocsolver6v33100L18getri_kernel_smallILi27E19rocblas_complex_numIdEPS3_EEvT1_iilPiilS6_bb,comdat
.Lfunc_end26:
	.size	_ZN9rocsolver6v33100L18getri_kernel_smallILi27E19rocblas_complex_numIdEPS3_EEvT1_iilPiilS6_bb, .Lfunc_end26-_ZN9rocsolver6v33100L18getri_kernel_smallILi27E19rocblas_complex_numIdEPS3_EEvT1_iilPiilS6_bb
                                        ; -- End function
	.set _ZN9rocsolver6v33100L18getri_kernel_smallILi27E19rocblas_complex_numIdEPS3_EEvT1_iilPiilS6_bb.num_vgpr, 159
	.set _ZN9rocsolver6v33100L18getri_kernel_smallILi27E19rocblas_complex_numIdEPS3_EEvT1_iilPiilS6_bb.num_agpr, 0
	.set _ZN9rocsolver6v33100L18getri_kernel_smallILi27E19rocblas_complex_numIdEPS3_EEvT1_iilPiilS6_bb.numbered_sgpr, 51
	.set _ZN9rocsolver6v33100L18getri_kernel_smallILi27E19rocblas_complex_numIdEPS3_EEvT1_iilPiilS6_bb.num_named_barrier, 0
	.set _ZN9rocsolver6v33100L18getri_kernel_smallILi27E19rocblas_complex_numIdEPS3_EEvT1_iilPiilS6_bb.private_seg_size, 464
	.set _ZN9rocsolver6v33100L18getri_kernel_smallILi27E19rocblas_complex_numIdEPS3_EEvT1_iilPiilS6_bb.uses_vcc, 1
	.set _ZN9rocsolver6v33100L18getri_kernel_smallILi27E19rocblas_complex_numIdEPS3_EEvT1_iilPiilS6_bb.uses_flat_scratch, 0
	.set _ZN9rocsolver6v33100L18getri_kernel_smallILi27E19rocblas_complex_numIdEPS3_EEvT1_iilPiilS6_bb.has_dyn_sized_stack, 0
	.set _ZN9rocsolver6v33100L18getri_kernel_smallILi27E19rocblas_complex_numIdEPS3_EEvT1_iilPiilS6_bb.has_recursion, 0
	.set _ZN9rocsolver6v33100L18getri_kernel_smallILi27E19rocblas_complex_numIdEPS3_EEvT1_iilPiilS6_bb.has_indirect_call, 0
	.section	.AMDGPU.csdata,"",@progbits
; Kernel info:
; codeLenInByte = 59480
; TotalNumSgprs: 53
; NumVgprs: 159
; ScratchSize: 464
; MemoryBound: 0
; FloatMode: 240
; IeeeMode: 1
; LDSByteSize: 872 bytes/workgroup (compile time only)
; SGPRBlocks: 0
; VGPRBlocks: 19
; NumSGPRsForWavesPerEU: 53
; NumVGPRsForWavesPerEU: 159
; Occupancy: 6
; WaveLimiterHint : 1
; COMPUTE_PGM_RSRC2:SCRATCH_EN: 1
; COMPUTE_PGM_RSRC2:USER_SGPR: 6
; COMPUTE_PGM_RSRC2:TRAP_HANDLER: 0
; COMPUTE_PGM_RSRC2:TGID_X_EN: 1
; COMPUTE_PGM_RSRC2:TGID_Y_EN: 0
; COMPUTE_PGM_RSRC2:TGID_Z_EN: 0
; COMPUTE_PGM_RSRC2:TIDIG_COMP_CNT: 0
	.section	.text._ZN9rocsolver6v33100L18getri_kernel_smallILi28E19rocblas_complex_numIdEPS3_EEvT1_iilPiilS6_bb,"axG",@progbits,_ZN9rocsolver6v33100L18getri_kernel_smallILi28E19rocblas_complex_numIdEPS3_EEvT1_iilPiilS6_bb,comdat
	.globl	_ZN9rocsolver6v33100L18getri_kernel_smallILi28E19rocblas_complex_numIdEPS3_EEvT1_iilPiilS6_bb ; -- Begin function _ZN9rocsolver6v33100L18getri_kernel_smallILi28E19rocblas_complex_numIdEPS3_EEvT1_iilPiilS6_bb
	.p2align	8
	.type	_ZN9rocsolver6v33100L18getri_kernel_smallILi28E19rocblas_complex_numIdEPS3_EEvT1_iilPiilS6_bb,@function
_ZN9rocsolver6v33100L18getri_kernel_smallILi28E19rocblas_complex_numIdEPS3_EEvT1_iilPiilS6_bb: ; @_ZN9rocsolver6v33100L18getri_kernel_smallILi28E19rocblas_complex_numIdEPS3_EEvT1_iilPiilS6_bb
; %bb.0:
	s_add_u32 s0, s0, s7
	s_addc_u32 s1, s1, 0
	s_mov_b32 s7, exec_lo
	v_cmpx_gt_u32_e32 28, v0
	s_cbranch_execz .LBB27_126
; %bb.1:
	s_clause 0x2
	s_load_dword s7, s[4:5], 0x38
	s_load_dwordx4 s[16:19], s[4:5], 0x10
	s_load_dwordx4 s[8:11], s[4:5], 0x28
                                        ; implicit-def: $sgpr20_sgpr21
	s_waitcnt lgkmcnt(0)
	s_bitcmp1_b32 s7, 8
	s_cselect_b32 s36, -1, 0
	s_bfe_u32 s12, s7, 0x10008
	s_ashr_i32 s7, s6, 31
	s_cmp_eq_u32 s12, 0
	s_cbranch_scc1 .LBB27_3
; %bb.2:
	s_load_dword s12, s[4:5], 0x20
	s_mul_i32 s13, s8, s7
	s_mul_hi_u32 s14, s8, s6
	s_mul_i32 s9, s9, s6
	s_add_i32 s13, s14, s13
	s_mul_i32 s8, s8, s6
	s_add_i32 s9, s13, s9
	s_lshl_b64 s[8:9], s[8:9], 2
	s_waitcnt lgkmcnt(0)
	s_ashr_i32 s13, s12, 31
	s_add_u32 s14, s18, s8
	s_addc_u32 s15, s19, s9
	s_lshl_b64 s[8:9], s[12:13], 2
	s_add_u32 s20, s14, s8
	s_addc_u32 s21, s15, s9
.LBB27_3:
	s_clause 0x1
	s_load_dwordx4 s[12:15], s[4:5], 0x0
	s_load_dword s41, s[4:5], 0x38
	s_mul_i32 s4, s16, s7
	s_mul_hi_u32 s5, s16, s6
	s_mul_i32 s8, s17, s6
	s_add_i32 s5, s5, s4
	s_mul_i32 s4, s16, s6
	s_add_i32 s5, s5, s8
	v_lshlrev_b32_e32 v67, 4, v0
	s_lshl_b64 s[4:5], s[4:5], 4
	s_movk_i32 s16, 0xc0
	s_movk_i32 s17, 0xd0
	;; [unrolled: 1-line block ×10, first 2 shown]
	s_waitcnt lgkmcnt(0)
	v_add3_u32 v7, s15, s15, v0
	s_ashr_i32 s9, s14, 31
	s_mov_b32 s8, s14
	s_add_u32 s12, s12, s4
	s_addc_u32 s13, s13, s5
	s_lshl_b64 s[4:5], s[8:9], 4
	v_ashrrev_i32_e32 v8, 31, v7
	s_add_u32 s4, s12, s4
	s_addc_u32 s5, s13, s5
	v_add_co_u32 v5, s12, s4, v67
	s_mov_b32 s8, s15
	s_ashr_i32 s9, s15, 31
	v_add_co_ci_u32_e64 v6, null, s5, 0, s12
	s_lshl_b64 s[8:9], s[8:9], 4
	v_lshlrev_b64 v[9:10], 4, v[7:8]
	v_add_nc_u32_e32 v13, s15, v7
	v_add_co_u32 v7, vcc_lo, v5, s8
	v_add_co_ci_u32_e64 v8, null, s9, v6, vcc_lo
	v_add_co_u32 v9, vcc_lo, s4, v9
	s_clause 0x1
	global_load_dwordx4 v[1:4], v67, s[4:5]
	global_load_dwordx4 v[59:62], v[7:8], off
	v_add_co_ci_u32_e64 v10, null, s5, v10, vcc_lo
	v_ashrrev_i32_e32 v14, 31, v13
	s_movk_i32 s8, 0x60
	s_movk_i32 s9, 0x70
	global_load_dwordx4 v[63:66], v[9:10], off
	s_movk_i32 s12, 0x80
	v_lshlrev_b64 v[11:12], 4, v[13:14]
	v_add_nc_u32_e32 v13, s15, v13
	s_movk_i32 s13, 0x90
	s_movk_i32 s14, 0xa0
	;; [unrolled: 1-line block ×4, first 2 shown]
	v_add_co_u32 v11, vcc_lo, s4, v11
	v_add_co_ci_u32_e64 v12, null, s5, v12, vcc_lo
	v_add_nc_u32_e32 v15, s15, v13
	v_ashrrev_i32_e32 v14, 31, v13
	s_movk_i32 s49, 0x180
	global_load_dwordx4 v[68:71], v[11:12], off
	s_movk_i32 s50, 0x190
	v_add_nc_u32_e32 v17, s15, v15
	v_ashrrev_i32_e32 v16, 31, v15
	v_lshlrev_b64 v[13:14], 4, v[13:14]
	s_movk_i32 s51, 0x1a0
	s_movk_i32 s52, 0x1b0
	v_add_nc_u32_e32 v19, s15, v17
	v_ashrrev_i32_e32 v18, 31, v17
	v_lshlrev_b64 v[15:16], 4, v[15:16]
	v_add_co_u32 v13, vcc_lo, s4, v13
	v_add_nc_u32_e32 v21, s15, v19
	v_ashrrev_i32_e32 v20, 31, v19
	v_lshlrev_b64 v[17:18], 4, v[17:18]
	v_add_co_ci_u32_e64 v14, null, s5, v14, vcc_lo
	v_add_nc_u32_e32 v23, s15, v21
	v_ashrrev_i32_e32 v22, 31, v21
	v_lshlrev_b64 v[19:20], 4, v[19:20]
	v_add_co_u32 v15, vcc_lo, s4, v15
	v_add_nc_u32_e32 v25, s15, v23
	v_ashrrev_i32_e32 v24, 31, v23
	v_lshlrev_b64 v[21:22], 4, v[21:22]
	v_add_co_ci_u32_e64 v16, null, s5, v16, vcc_lo
	v_add_nc_u32_e32 v27, s15, v25
	v_ashrrev_i32_e32 v26, 31, v25
	v_add_co_u32 v17, vcc_lo, s4, v17
	v_lshlrev_b64 v[23:24], 4, v[23:24]
	v_add_nc_u32_e32 v29, s15, v27
	v_ashrrev_i32_e32 v28, 31, v27
	v_add_co_ci_u32_e64 v18, null, s5, v18, vcc_lo
	v_add_co_u32 v19, vcc_lo, s4, v19
	v_add_nc_u32_e32 v31, s15, v29
	v_ashrrev_i32_e32 v30, 31, v29
	v_lshlrev_b64 v[25:26], 4, v[25:26]
	v_add_co_ci_u32_e64 v20, null, s5, v20, vcc_lo
	v_add_nc_u32_e32 v33, s15, v31
	v_ashrrev_i32_e32 v32, 31, v31
	v_add_co_u32 v21, vcc_lo, s4, v21
	v_lshlrev_b64 v[27:28], 4, v[27:28]
	v_add_nc_u32_e32 v35, s15, v33
	v_ashrrev_i32_e32 v34, 31, v33
	v_add_co_ci_u32_e64 v22, null, s5, v22, vcc_lo
	v_add_co_u32 v23, vcc_lo, s4, v23
	v_add_nc_u32_e32 v37, s15, v35
	v_lshlrev_b64 v[29:30], 4, v[29:30]
	v_ashrrev_i32_e32 v36, 31, v35
	v_add_co_ci_u32_e64 v24, null, s5, v24, vcc_lo
	v_add_nc_u32_e32 v39, s15, v37
	v_add_co_u32 v25, vcc_lo, s4, v25
	v_lshlrev_b64 v[31:32], 4, v[31:32]
	v_ashrrev_i32_e32 v38, 31, v37
	v_add_nc_u32_e32 v41, s15, v39
	v_add_co_ci_u32_e64 v26, null, s5, v26, vcc_lo
	v_add_co_u32 v27, vcc_lo, s4, v27
	v_add_nc_u32_e32 v43, s15, v41
	v_lshlrev_b64 v[33:34], 4, v[33:34]
	v_ashrrev_i32_e32 v40, 31, v39
	v_add_co_ci_u32_e64 v28, null, s5, v28, vcc_lo
	v_add_nc_u32_e32 v45, s15, v43
	v_add_co_u32 v29, vcc_lo, s4, v29
	v_lshlrev_b64 v[35:36], 4, v[35:36]
	v_ashrrev_i32_e32 v42, 31, v41
	v_add_nc_u32_e32 v47, s15, v45
	;; [unrolled: 11-line block ×3, first 2 shown]
	v_add_co_ci_u32_e64 v34, null, s5, v34, vcc_lo
	v_add_co_u32 v35, vcc_lo, s4, v35
	v_lshlrev_b64 v[41:42], 4, v[41:42]
	v_ashrrev_i32_e32 v48, 31, v47
	v_add_nc_u32_e32 v55, s15, v53
	v_add_co_ci_u32_e64 v36, null, s5, v36, vcc_lo
	v_add_co_u32 v37, vcc_lo, s4, v37
	v_lshlrev_b64 v[43:44], 4, v[43:44]
	v_ashrrev_i32_e32 v50, 31, v49
	v_add_co_ci_u32_e64 v38, null, s5, v38, vcc_lo
	v_add_co_u32 v39, vcc_lo, s4, v39
	v_lshlrev_b64 v[45:46], 4, v[45:46]
	v_ashrrev_i32_e32 v52, 31, v51
	v_add_co_ci_u32_e64 v40, null, s5, v40, vcc_lo
	v_add_co_u32 v41, vcc_lo, s4, v41
	v_lshlrev_b64 v[47:48], 4, v[47:48]
	v_add_nc_u32_e32 v57, s15, v55
	v_ashrrev_i32_e32 v54, 31, v53
	v_add_co_ci_u32_e64 v42, null, s5, v42, vcc_lo
	v_add_co_u32 v43, vcc_lo, s4, v43
	v_lshlrev_b64 v[49:50], 4, v[49:50]
	v_ashrrev_i32_e32 v56, 31, v55
	v_add_co_ci_u32_e64 v44, null, s5, v44, vcc_lo
	v_add_co_u32 v45, vcc_lo, s4, v45
	v_lshlrev_b64 v[51:52], 4, v[51:52]
	;; [unrolled: 4-line block ×3, first 2 shown]
	v_add_co_ci_u32_e64 v48, null, s5, v48, vcc_lo
	v_add_co_u32 v49, vcc_lo, s4, v49
	v_lshlrev_b64 v[55:56], 4, v[55:56]
	v_add_co_ci_u32_e64 v50, null, s5, v50, vcc_lo
	v_add_co_u32 v51, vcc_lo, s4, v51
	v_add_nc_u32_e32 v152, s15, v57
	v_lshlrev_b64 v[57:58], 4, v[57:58]
	v_add_co_ci_u32_e64 v52, null, s5, v52, vcc_lo
	v_add_co_u32 v53, vcc_lo, s4, v53
	v_add_co_ci_u32_e64 v54, null, s5, v54, vcc_lo
	v_add_co_u32 v55, vcc_lo, s4, v55
	;; [unrolled: 2-line block ×3, first 2 shown]
	v_ashrrev_i32_e32 v153, 31, v152
	v_add_co_ci_u32_e64 v58, null, s5, v58, vcc_lo
	s_clause 0x12
	global_load_dwordx4 v[72:75], v[13:14], off
	global_load_dwordx4 v[76:79], v[15:16], off
	;; [unrolled: 1-line block ×19, first 2 shown]
	v_lshlrev_b64 v[156:157], 4, v[152:153]
	s_movk_i32 s15, 0xb0
	s_add_i32 s34, s8, 16
	s_add_i32 s33, s9, 16
	;; [unrolled: 1-line block ×22, first 2 shown]
	s_mov_b32 s40, 32
	s_mov_b32 s39, 48
	;; [unrolled: 1-line block ×3, first 2 shown]
	s_movk_i32 s37, 0x50
	s_waitcnt vmcnt(22)
	buffer_store_dword v4, off, s[0:3], 0 offset:28
	buffer_store_dword v3, off, s[0:3], 0 offset:24
	;; [unrolled: 1-line block ×4, first 2 shown]
	s_clause 0x1
	global_load_dwordx4 v[1:4], v[51:52], off
	global_load_dwordx4 v[148:151], v[53:54], off
	s_waitcnt vmcnt(23)
	buffer_store_dword v62, off, s[0:3], 0 offset:44
	buffer_store_dword v61, off, s[0:3], 0 offset:40
	;; [unrolled: 1-line block ×4, first 2 shown]
	s_waitcnt vmcnt(22)
	buffer_store_dword v66, off, s[0:3], 0 offset:60
	buffer_store_dword v65, off, s[0:3], 0 offset:56
	;; [unrolled: 1-line block ×4, first 2 shown]
	s_clause 0x1
	global_load_dwordx4 v[61:64], v[55:56], off
	global_load_dwordx4 v[152:155], v[57:58], off
	v_add_co_u32 v59, vcc_lo, s4, v156
	v_add_co_ci_u32_e64 v60, null, s5, v157, vcc_lo
	s_waitcnt vmcnt(23)
	buffer_store_dword v71, off, s[0:3], 0 offset:76
	buffer_store_dword v70, off, s[0:3], 0 offset:72
	;; [unrolled: 1-line block ×4, first 2 shown]
	global_load_dwordx4 v[68:71], v[59:60], off
	s_movk_i32 s4, 0x50
	s_mov_b32 s5, -1
	s_add_i32 s35, s4, 16
	s_bitcmp0_b32 s41, 0
	s_waitcnt vmcnt(23)
	buffer_store_dword v75, off, s[0:3], 0 offset:92
	buffer_store_dword v74, off, s[0:3], 0 offset:88
	buffer_store_dword v73, off, s[0:3], 0 offset:84
	buffer_store_dword v72, off, s[0:3], 0 offset:80
	s_waitcnt vmcnt(22)
	buffer_store_dword v79, off, s[0:3], 0 offset:108
	buffer_store_dword v78, off, s[0:3], 0 offset:104
	buffer_store_dword v77, off, s[0:3], 0 offset:100
	buffer_store_dword v76, off, s[0:3], 0 offset:96
	;; [unrolled: 5-line block ×24, first 2 shown]
	s_cbranch_scc1 .LBB27_124
; %bb.4:
	v_cmp_eq_u32_e64 s4, 0, v0
	s_and_saveexec_b32 s5, s4
; %bb.5:
	v_mov_b32_e32 v1, 0
	ds_write_b32 v1, v1 offset:896
; %bb.6:
	s_or_b32 exec_lo, exec_lo, s5
	v_lshl_add_u32 v68, v0, 4, 16
	s_waitcnt lgkmcnt(0)
	s_waitcnt_vscnt null, 0x0
	s_barrier
	buffer_gl0_inv
	s_clause 0x3
	buffer_load_dword v1, v68, s[0:3], 0 offen
	buffer_load_dword v2, v68, s[0:3], 0 offen offset:4
	buffer_load_dword v3, v68, s[0:3], 0 offen offset:8
	;; [unrolled: 1-line block ×3, first 2 shown]
	s_waitcnt vmcnt(2)
	v_cmp_eq_f64_e32 vcc_lo, 0, v[1:2]
	s_waitcnt vmcnt(0)
	v_cmp_eq_f64_e64 s5, 0, v[3:4]
	s_and_b32 s5, vcc_lo, s5
	s_and_saveexec_b32 s41, s5
	s_cbranch_execz .LBB27_10
; %bb.7:
	v_mov_b32_e32 v1, 0
	s_mov_b32 s42, 0
	ds_read_b32 v2, v1 offset:896
	s_waitcnt lgkmcnt(0)
	v_readfirstlane_b32 s5, v2
	v_add_nc_u32_e32 v2, 1, v0
	s_cmp_eq_u32 s5, 0
	v_cmp_gt_i32_e32 vcc_lo, s5, v2
	s_cselect_b32 s43, -1, 0
	s_or_b32 s43, s43, vcc_lo
	s_and_b32 exec_lo, exec_lo, s43
	s_cbranch_execz .LBB27_10
; %bb.8:
	v_mov_b32_e32 v3, s5
.LBB27_9:                               ; =>This Inner Loop Header: Depth=1
	ds_cmpst_rtn_b32 v3, v1, v3, v2 offset:896
	s_waitcnt lgkmcnt(0)
	v_cmp_ne_u32_e32 vcc_lo, 0, v3
	v_cmp_le_i32_e64 s5, v3, v2
	s_and_b32 s5, vcc_lo, s5
	s_and_b32 s5, exec_lo, s5
	s_or_b32 s42, s5, s42
	s_andn2_b32 exec_lo, exec_lo, s42
	s_cbranch_execnz .LBB27_9
.LBB27_10:
	s_or_b32 exec_lo, exec_lo, s41
	v_mov_b32_e32 v1, 0
	s_barrier
	buffer_gl0_inv
	ds_read_b32 v2, v1 offset:896
	s_and_saveexec_b32 s5, s4
	s_cbranch_execz .LBB27_12
; %bb.11:
	s_lshl_b64 s[42:43], s[6:7], 2
	s_add_u32 s42, s10, s42
	s_addc_u32 s43, s11, s43
	s_waitcnt lgkmcnt(0)
	global_store_dword v1, v2, s[42:43]
.LBB27_12:
	s_or_b32 exec_lo, exec_lo, s5
	s_waitcnt lgkmcnt(0)
	v_cmp_ne_u32_e32 vcc_lo, 0, v2
	s_mov_b32 s5, 0
	s_cbranch_vccnz .LBB27_124
; %bb.13:
	s_clause 0x3
	buffer_load_dword v63, v68, s[0:3], 0 offen
	buffer_load_dword v64, v68, s[0:3], 0 offen offset:4
	buffer_load_dword v65, v68, s[0:3], 0 offen offset:8
	;; [unrolled: 1-line block ×3, first 2 shown]
                                        ; implicit-def: $vgpr61_vgpr62
                                        ; implicit-def: $vgpr3_vgpr4
	s_waitcnt vmcnt(0)
	v_cmp_ngt_f64_e64 s5, |v[63:64]|, |v[65:66]|
	s_and_saveexec_b32 s41, s5
	s_xor_b32 s5, exec_lo, s41
	s_cbranch_execz .LBB27_15
; %bb.14:
	v_div_scale_f64 v[1:2], null, v[65:66], v[65:66], v[63:64]
	v_div_scale_f64 v[69:70], vcc_lo, v[63:64], v[65:66], v[63:64]
	v_rcp_f64_e32 v[3:4], v[1:2]
	v_fma_f64 v[61:62], -v[1:2], v[3:4], 1.0
	v_fma_f64 v[3:4], v[3:4], v[61:62], v[3:4]
	v_fma_f64 v[61:62], -v[1:2], v[3:4], 1.0
	v_fma_f64 v[3:4], v[3:4], v[61:62], v[3:4]
	v_mul_f64 v[61:62], v[69:70], v[3:4]
	v_fma_f64 v[1:2], -v[1:2], v[61:62], v[69:70]
	v_div_fmas_f64 v[1:2], v[1:2], v[3:4], v[61:62]
	v_div_fixup_f64 v[1:2], v[1:2], v[65:66], v[63:64]
	v_fma_f64 v[3:4], v[63:64], v[1:2], v[65:66]
	v_div_scale_f64 v[61:62], null, v[3:4], v[3:4], 1.0
	v_div_scale_f64 v[69:70], vcc_lo, 1.0, v[3:4], 1.0
	v_rcp_f64_e32 v[63:64], v[61:62]
	v_fma_f64 v[65:66], -v[61:62], v[63:64], 1.0
	v_fma_f64 v[63:64], v[63:64], v[65:66], v[63:64]
	v_fma_f64 v[65:66], -v[61:62], v[63:64], 1.0
	v_fma_f64 v[63:64], v[63:64], v[65:66], v[63:64]
	v_mul_f64 v[65:66], v[69:70], v[63:64]
	v_fma_f64 v[61:62], -v[61:62], v[65:66], v[69:70]
	v_div_fmas_f64 v[61:62], v[61:62], v[63:64], v[65:66]
                                        ; implicit-def: $vgpr63_vgpr64
                                        ; implicit-def: $vgpr65_vgpr66
	v_div_fixup_f64 v[3:4], v[61:62], v[3:4], 1.0
	v_mul_f64 v[61:62], v[1:2], v[3:4]
	v_xor_b32_e32 v4, 0x80000000, v4
	v_xor_b32_e32 v2, 0x80000000, v62
	v_mov_b32_e32 v1, v61
.LBB27_15:
	s_andn2_saveexec_b32 s5, s5
	s_cbranch_execz .LBB27_17
; %bb.16:
	v_div_scale_f64 v[1:2], null, v[63:64], v[63:64], v[65:66]
	v_div_scale_f64 v[69:70], vcc_lo, v[65:66], v[63:64], v[65:66]
	v_rcp_f64_e32 v[3:4], v[1:2]
	v_fma_f64 v[61:62], -v[1:2], v[3:4], 1.0
	v_fma_f64 v[3:4], v[3:4], v[61:62], v[3:4]
	v_fma_f64 v[61:62], -v[1:2], v[3:4], 1.0
	v_fma_f64 v[3:4], v[3:4], v[61:62], v[3:4]
	v_mul_f64 v[61:62], v[69:70], v[3:4]
	v_fma_f64 v[1:2], -v[1:2], v[61:62], v[69:70]
	v_div_fmas_f64 v[1:2], v[1:2], v[3:4], v[61:62]
	v_div_fixup_f64 v[1:2], v[1:2], v[63:64], v[65:66]
	v_fma_f64 v[3:4], v[65:66], v[1:2], v[63:64]
	v_div_scale_f64 v[61:62], null, v[3:4], v[3:4], 1.0
	v_rcp_f64_e32 v[63:64], v[61:62]
	v_fma_f64 v[65:66], -v[61:62], v[63:64], 1.0
	v_fma_f64 v[63:64], v[63:64], v[65:66], v[63:64]
	v_fma_f64 v[65:66], -v[61:62], v[63:64], 1.0
	v_fma_f64 v[63:64], v[63:64], v[65:66], v[63:64]
	v_div_scale_f64 v[65:66], vcc_lo, 1.0, v[3:4], 1.0
	v_mul_f64 v[69:70], v[65:66], v[63:64]
	v_fma_f64 v[61:62], -v[61:62], v[69:70], v[65:66]
	v_div_fmas_f64 v[61:62], v[61:62], v[63:64], v[69:70]
	v_div_fixup_f64 v[61:62], v[61:62], v[3:4], 1.0
	v_mul_f64 v[3:4], v[1:2], -v[61:62]
	v_xor_b32_e32 v2, 0x80000000, v62
	v_mov_b32_e32 v1, v61
.LBB27_17:
	s_or_b32 exec_lo, exec_lo, s5
	v_mov_b32_e32 v66, s40
	buffer_store_dword v62, v68, s[0:3], 0 offen offset:4
	buffer_store_dword v61, v68, s[0:3], 0 offen
	buffer_store_dword v4, v68, s[0:3], 0 offen offset:12
	buffer_store_dword v3, v68, s[0:3], 0 offen offset:8
	v_xor_b32_e32 v4, 0x80000000, v4
	v_add_nc_u32_e32 v61, 0x1c0, v67
	s_clause 0x3
	buffer_load_dword v65, v66, s[0:3], 0 offen offset:12
	buffer_load_dword v64, v66, s[0:3], 0 offen offset:8
	;; [unrolled: 1-line block ×3, first 2 shown]
	buffer_load_dword v62, v66, s[0:3], 0 offen
	ds_write_b128 v67, v[1:4]
	s_waitcnt vmcnt(0)
	ds_write_b128 v67, v[62:65] offset:448
	s_waitcnt lgkmcnt(0)
	s_waitcnt_vscnt null, 0x0
	s_barrier
	buffer_gl0_inv
	s_and_saveexec_b32 s5, s4
	s_cbranch_execz .LBB27_19
; %bb.18:
	s_clause 0x3
	buffer_load_dword v69, v68, s[0:3], 0 offen offset:8
	buffer_load_dword v70, v68, s[0:3], 0 offen offset:12
	buffer_load_dword v71, v68, s[0:3], 0 offen
	buffer_load_dword v72, v68, s[0:3], 0 offen offset:4
	ds_read_b128 v[1:4], v61
	v_mov_b32_e32 v62, 0
	ds_read_b128 v[62:65], v62 offset:16
	s_waitcnt vmcnt(2) lgkmcnt(1)
	v_mul_f64 v[73:74], v[1:2], v[69:70]
	v_mul_f64 v[69:70], v[3:4], v[69:70]
	s_waitcnt vmcnt(0)
	v_fma_f64 v[3:4], v[3:4], v[71:72], v[73:74]
	v_fma_f64 v[1:2], v[1:2], v[71:72], -v[69:70]
	v_add_f64 v[3:4], v[3:4], 0
	v_add_f64 v[1:2], v[1:2], 0
	s_waitcnt lgkmcnt(0)
	v_mul_f64 v[69:70], v[3:4], v[64:65]
	v_mul_f64 v[64:65], v[1:2], v[64:65]
	v_fma_f64 v[1:2], v[1:2], v[62:63], -v[69:70]
	v_fma_f64 v[3:4], v[3:4], v[62:63], v[64:65]
	buffer_store_dword v1, off, s[0:3], 0 offset:32
	buffer_store_dword v2, off, s[0:3], 0 offset:36
	;; [unrolled: 1-line block ×4, first 2 shown]
.LBB27_19:
	s_or_b32 exec_lo, exec_lo, s5
	v_mov_b32_e32 v4, s39
	s_waitcnt_vscnt null, 0x0
	s_barrier
	buffer_gl0_inv
	s_mov_b32 s5, exec_lo
	s_clause 0x3
	buffer_load_dword v1, v4, s[0:3], 0 offen
	buffer_load_dword v2, v4, s[0:3], 0 offen offset:4
	buffer_load_dword v3, v4, s[0:3], 0 offen offset:8
	;; [unrolled: 1-line block ×3, first 2 shown]
	s_waitcnt vmcnt(0)
	ds_write_b128 v61, v[1:4]
	s_waitcnt lgkmcnt(0)
	s_barrier
	buffer_gl0_inv
	v_cmpx_gt_u32_e32 2, v0
	s_cbranch_execz .LBB27_23
; %bb.20:
	s_clause 0x3
	buffer_load_dword v62, v68, s[0:3], 0 offen offset:8
	buffer_load_dword v63, v68, s[0:3], 0 offen offset:12
	buffer_load_dword v64, v68, s[0:3], 0 offen
	buffer_load_dword v65, v68, s[0:3], 0 offen offset:4
	ds_read_b128 v[1:4], v61
	s_waitcnt vmcnt(2) lgkmcnt(0)
	v_mul_f64 v[68:69], v[3:4], v[62:63]
	v_mul_f64 v[62:63], v[1:2], v[62:63]
	s_waitcnt vmcnt(0)
	v_fma_f64 v[1:2], v[1:2], v[64:65], -v[68:69]
	v_fma_f64 v[3:4], v[3:4], v[64:65], v[62:63]
	v_add_f64 v[1:2], v[1:2], 0
	v_add_f64 v[3:4], v[3:4], 0
	s_and_saveexec_b32 s41, s4
	s_cbranch_execz .LBB27_22
; %bb.21:
	s_clause 0x3
	buffer_load_dword v68, off, s[0:3], 0 offset:40
	buffer_load_dword v69, off, s[0:3], 0 offset:44
	;; [unrolled: 1-line block ×4, first 2 shown]
	v_mov_b32_e32 v62, 0
	ds_read_b128 v[62:65], v62 offset:464
	s_waitcnt vmcnt(2) lgkmcnt(0)
	v_mul_f64 v[72:73], v[62:63], v[68:69]
	v_mul_f64 v[68:69], v[64:65], v[68:69]
	s_waitcnt vmcnt(0)
	v_fma_f64 v[64:65], v[64:65], v[70:71], v[72:73]
	v_fma_f64 v[62:63], v[62:63], v[70:71], -v[68:69]
	v_add_f64 v[3:4], v[3:4], v[64:65]
	v_add_f64 v[1:2], v[1:2], v[62:63]
.LBB27_22:
	s_or_b32 exec_lo, exec_lo, s41
	v_mov_b32_e32 v62, 0
	ds_read_b128 v[62:65], v62 offset:32
	s_waitcnt lgkmcnt(0)
	v_mul_f64 v[68:69], v[3:4], v[64:65]
	v_mul_f64 v[64:65], v[1:2], v[64:65]
	v_fma_f64 v[1:2], v[1:2], v[62:63], -v[68:69]
	v_fma_f64 v[3:4], v[3:4], v[62:63], v[64:65]
	buffer_store_dword v2, off, s[0:3], 0 offset:52
	buffer_store_dword v1, off, s[0:3], 0 offset:48
	;; [unrolled: 1-line block ×4, first 2 shown]
.LBB27_23:
	s_or_b32 exec_lo, exec_lo, s5
	v_mov_b32_e32 v4, s38
	s_waitcnt_vscnt null, 0x0
	s_barrier
	buffer_gl0_inv
	v_add_nc_u32_e32 v62, -1, v0
	s_clause 0x3
	buffer_load_dword v1, v4, s[0:3], 0 offen
	buffer_load_dword v2, v4, s[0:3], 0 offen offset:4
	buffer_load_dword v3, v4, s[0:3], 0 offen offset:8
	;; [unrolled: 1-line block ×3, first 2 shown]
	s_mov_b32 s4, exec_lo
	s_waitcnt vmcnt(0)
	ds_write_b128 v61, v[1:4]
	s_waitcnt lgkmcnt(0)
	s_barrier
	buffer_gl0_inv
	v_cmpx_gt_u32_e32 3, v0
	s_cbranch_execz .LBB27_27
; %bb.24:
	v_mov_b32_e32 v1, 0
	v_mov_b32_e32 v3, 0
	v_add_nc_u32_e32 v63, -1, v0
	v_add_nc_u32_e32 v64, 0x1c0, v67
	v_mov_b32_e32 v2, 0
	v_mov_b32_e32 v4, 0
	v_add_nc_u32_e32 v65, 16, v67
	s_mov_b32 s5, 0
	.p2align	6
.LBB27_25:                              ; =>This Inner Loop Header: Depth=1
	s_clause 0x3
	buffer_load_dword v72, v65, s[0:3], 0 offen offset:8
	buffer_load_dword v73, v65, s[0:3], 0 offen offset:12
	buffer_load_dword v74, v65, s[0:3], 0 offen
	buffer_load_dword v75, v65, s[0:3], 0 offen offset:4
	ds_read_b128 v[68:71], v64
	v_add_nc_u32_e32 v63, 1, v63
	v_add_nc_u32_e32 v64, 16, v64
	;; [unrolled: 1-line block ×3, first 2 shown]
	v_cmp_lt_u32_e32 vcc_lo, 1, v63
	s_or_b32 s5, vcc_lo, s5
	s_waitcnt vmcnt(2) lgkmcnt(0)
	v_mul_f64 v[76:77], v[70:71], v[72:73]
	v_mul_f64 v[72:73], v[68:69], v[72:73]
	s_waitcnt vmcnt(0)
	v_fma_f64 v[68:69], v[68:69], v[74:75], -v[76:77]
	v_fma_f64 v[70:71], v[70:71], v[74:75], v[72:73]
	v_add_f64 v[3:4], v[3:4], v[68:69]
	v_add_f64 v[1:2], v[1:2], v[70:71]
	s_andn2_b32 exec_lo, exec_lo, s5
	s_cbranch_execnz .LBB27_25
; %bb.26:
	s_or_b32 exec_lo, exec_lo, s5
	v_mov_b32_e32 v63, 0
	ds_read_b128 v[63:66], v63 offset:48
	s_waitcnt lgkmcnt(0)
	v_mul_f64 v[68:69], v[1:2], v[65:66]
	v_mul_f64 v[65:66], v[3:4], v[65:66]
	v_fma_f64 v[3:4], v[3:4], v[63:64], -v[68:69]
	v_fma_f64 v[1:2], v[1:2], v[63:64], v[65:66]
	buffer_store_dword v4, off, s[0:3], 0 offset:68
	buffer_store_dword v3, off, s[0:3], 0 offset:64
	;; [unrolled: 1-line block ×4, first 2 shown]
.LBB27_27:
	s_or_b32 exec_lo, exec_lo, s4
	v_mov_b32_e32 v4, s37
	s_waitcnt_vscnt null, 0x0
	s_barrier
	buffer_gl0_inv
	s_mov_b32 s4, exec_lo
	s_clause 0x3
	buffer_load_dword v1, v4, s[0:3], 0 offen
	buffer_load_dword v2, v4, s[0:3], 0 offen offset:4
	buffer_load_dword v3, v4, s[0:3], 0 offen offset:8
	;; [unrolled: 1-line block ×3, first 2 shown]
	s_waitcnt vmcnt(0)
	ds_write_b128 v61, v[1:4]
	s_waitcnt lgkmcnt(0)
	s_barrier
	buffer_gl0_inv
	v_cmpx_gt_u32_e32 4, v0
	s_cbranch_execz .LBB27_31
; %bb.28:
	v_mov_b32_e32 v1, 0
	v_mov_b32_e32 v3, 0
	v_add_nc_u32_e32 v63, -1, v0
	v_add_nc_u32_e32 v64, 0x1c0, v67
	v_mov_b32_e32 v2, 0
	v_mov_b32_e32 v4, 0
	v_add_nc_u32_e32 v65, 16, v67
	s_mov_b32 s5, 0
	.p2align	6
.LBB27_29:                              ; =>This Inner Loop Header: Depth=1
	s_clause 0x3
	buffer_load_dword v72, v65, s[0:3], 0 offen offset:8
	buffer_load_dword v73, v65, s[0:3], 0 offen offset:12
	buffer_load_dword v74, v65, s[0:3], 0 offen
	buffer_load_dword v75, v65, s[0:3], 0 offen offset:4
	ds_read_b128 v[68:71], v64
	v_add_nc_u32_e32 v63, 1, v63
	v_add_nc_u32_e32 v64, 16, v64
	;; [unrolled: 1-line block ×3, first 2 shown]
	v_cmp_lt_u32_e32 vcc_lo, 2, v63
	s_or_b32 s5, vcc_lo, s5
	s_waitcnt vmcnt(2) lgkmcnt(0)
	v_mul_f64 v[76:77], v[70:71], v[72:73]
	v_mul_f64 v[72:73], v[68:69], v[72:73]
	s_waitcnt vmcnt(0)
	v_fma_f64 v[68:69], v[68:69], v[74:75], -v[76:77]
	v_fma_f64 v[70:71], v[70:71], v[74:75], v[72:73]
	v_add_f64 v[3:4], v[3:4], v[68:69]
	v_add_f64 v[1:2], v[1:2], v[70:71]
	s_andn2_b32 exec_lo, exec_lo, s5
	s_cbranch_execnz .LBB27_29
; %bb.30:
	s_or_b32 exec_lo, exec_lo, s5
	v_mov_b32_e32 v63, 0
	ds_read_b128 v[63:66], v63 offset:64
	s_waitcnt lgkmcnt(0)
	v_mul_f64 v[68:69], v[1:2], v[65:66]
	v_mul_f64 v[65:66], v[3:4], v[65:66]
	v_fma_f64 v[3:4], v[3:4], v[63:64], -v[68:69]
	v_fma_f64 v[1:2], v[1:2], v[63:64], v[65:66]
	buffer_store_dword v4, off, s[0:3], 0 offset:84
	buffer_store_dword v3, off, s[0:3], 0 offset:80
	;; [unrolled: 1-line block ×4, first 2 shown]
.LBB27_31:
	s_or_b32 exec_lo, exec_lo, s4
	v_mov_b32_e32 v4, s35
	s_waitcnt_vscnt null, 0x0
	s_barrier
	buffer_gl0_inv
	s_mov_b32 s4, exec_lo
	s_clause 0x3
	buffer_load_dword v1, v4, s[0:3], 0 offen
	buffer_load_dword v2, v4, s[0:3], 0 offen offset:4
	buffer_load_dword v3, v4, s[0:3], 0 offen offset:8
	;; [unrolled: 1-line block ×3, first 2 shown]
	s_waitcnt vmcnt(0)
	ds_write_b128 v61, v[1:4]
	s_waitcnt lgkmcnt(0)
	s_barrier
	buffer_gl0_inv
	v_cmpx_gt_u32_e32 5, v0
	s_cbranch_execz .LBB27_35
; %bb.32:
	v_mov_b32_e32 v1, 0
	v_mov_b32_e32 v3, 0
	v_add_nc_u32_e32 v63, -1, v0
	v_add_nc_u32_e32 v64, 0x1c0, v67
	v_mov_b32_e32 v2, 0
	v_mov_b32_e32 v4, 0
	v_add_nc_u32_e32 v65, 16, v67
	s_mov_b32 s5, 0
	.p2align	6
.LBB27_33:                              ; =>This Inner Loop Header: Depth=1
	s_clause 0x3
	buffer_load_dword v72, v65, s[0:3], 0 offen offset:8
	buffer_load_dword v73, v65, s[0:3], 0 offen offset:12
	buffer_load_dword v74, v65, s[0:3], 0 offen
	buffer_load_dword v75, v65, s[0:3], 0 offen offset:4
	ds_read_b128 v[68:71], v64
	v_add_nc_u32_e32 v63, 1, v63
	v_add_nc_u32_e32 v64, 16, v64
	;; [unrolled: 1-line block ×3, first 2 shown]
	v_cmp_lt_u32_e32 vcc_lo, 3, v63
	s_or_b32 s5, vcc_lo, s5
	s_waitcnt vmcnt(2) lgkmcnt(0)
	v_mul_f64 v[76:77], v[70:71], v[72:73]
	v_mul_f64 v[72:73], v[68:69], v[72:73]
	s_waitcnt vmcnt(0)
	v_fma_f64 v[68:69], v[68:69], v[74:75], -v[76:77]
	v_fma_f64 v[70:71], v[70:71], v[74:75], v[72:73]
	v_add_f64 v[3:4], v[3:4], v[68:69]
	v_add_f64 v[1:2], v[1:2], v[70:71]
	s_andn2_b32 exec_lo, exec_lo, s5
	s_cbranch_execnz .LBB27_33
; %bb.34:
	s_or_b32 exec_lo, exec_lo, s5
	v_mov_b32_e32 v63, 0
	ds_read_b128 v[63:66], v63 offset:80
	s_waitcnt lgkmcnt(0)
	v_mul_f64 v[68:69], v[1:2], v[65:66]
	v_mul_f64 v[65:66], v[3:4], v[65:66]
	v_fma_f64 v[3:4], v[3:4], v[63:64], -v[68:69]
	v_fma_f64 v[1:2], v[1:2], v[63:64], v[65:66]
	buffer_store_dword v4, off, s[0:3], 0 offset:100
	buffer_store_dword v3, off, s[0:3], 0 offset:96
	;; [unrolled: 1-line block ×4, first 2 shown]
.LBB27_35:
	s_or_b32 exec_lo, exec_lo, s4
	v_mov_b32_e32 v4, s34
	s_waitcnt_vscnt null, 0x0
	s_barrier
	buffer_gl0_inv
	s_mov_b32 s4, exec_lo
	s_clause 0x3
	buffer_load_dword v1, v4, s[0:3], 0 offen
	buffer_load_dword v2, v4, s[0:3], 0 offen offset:4
	buffer_load_dword v3, v4, s[0:3], 0 offen offset:8
	;; [unrolled: 1-line block ×3, first 2 shown]
	s_waitcnt vmcnt(0)
	ds_write_b128 v61, v[1:4]
	s_waitcnt lgkmcnt(0)
	s_barrier
	buffer_gl0_inv
	v_cmpx_gt_u32_e32 6, v0
	s_cbranch_execz .LBB27_39
; %bb.36:
	v_mov_b32_e32 v1, 0
	v_mov_b32_e32 v3, 0
	v_add_nc_u32_e32 v63, -1, v0
	v_add_nc_u32_e32 v64, 0x1c0, v67
	v_mov_b32_e32 v2, 0
	v_mov_b32_e32 v4, 0
	v_add_nc_u32_e32 v65, 16, v67
	s_mov_b32 s5, 0
	.p2align	6
.LBB27_37:                              ; =>This Inner Loop Header: Depth=1
	s_clause 0x3
	buffer_load_dword v72, v65, s[0:3], 0 offen offset:8
	buffer_load_dword v73, v65, s[0:3], 0 offen offset:12
	buffer_load_dword v74, v65, s[0:3], 0 offen
	buffer_load_dword v75, v65, s[0:3], 0 offen offset:4
	ds_read_b128 v[68:71], v64
	v_add_nc_u32_e32 v63, 1, v63
	v_add_nc_u32_e32 v64, 16, v64
	;; [unrolled: 1-line block ×3, first 2 shown]
	v_cmp_lt_u32_e32 vcc_lo, 4, v63
	s_or_b32 s5, vcc_lo, s5
	s_waitcnt vmcnt(2) lgkmcnt(0)
	v_mul_f64 v[76:77], v[70:71], v[72:73]
	v_mul_f64 v[72:73], v[68:69], v[72:73]
	s_waitcnt vmcnt(0)
	v_fma_f64 v[68:69], v[68:69], v[74:75], -v[76:77]
	v_fma_f64 v[70:71], v[70:71], v[74:75], v[72:73]
	v_add_f64 v[3:4], v[3:4], v[68:69]
	v_add_f64 v[1:2], v[1:2], v[70:71]
	s_andn2_b32 exec_lo, exec_lo, s5
	s_cbranch_execnz .LBB27_37
; %bb.38:
	s_or_b32 exec_lo, exec_lo, s5
	v_mov_b32_e32 v63, 0
	ds_read_b128 v[63:66], v63 offset:96
	s_waitcnt lgkmcnt(0)
	v_mul_f64 v[68:69], v[1:2], v[65:66]
	v_mul_f64 v[65:66], v[3:4], v[65:66]
	v_fma_f64 v[3:4], v[3:4], v[63:64], -v[68:69]
	v_fma_f64 v[1:2], v[1:2], v[63:64], v[65:66]
	buffer_store_dword v4, off, s[0:3], 0 offset:116
	buffer_store_dword v3, off, s[0:3], 0 offset:112
	;; [unrolled: 1-line block ×4, first 2 shown]
.LBB27_39:
	s_or_b32 exec_lo, exec_lo, s4
	v_mov_b32_e32 v4, s33
	s_waitcnt_vscnt null, 0x0
	s_barrier
	buffer_gl0_inv
	s_mov_b32 s4, exec_lo
	s_clause 0x3
	buffer_load_dword v1, v4, s[0:3], 0 offen
	buffer_load_dword v2, v4, s[0:3], 0 offen offset:4
	buffer_load_dword v3, v4, s[0:3], 0 offen offset:8
	;; [unrolled: 1-line block ×3, first 2 shown]
	s_waitcnt vmcnt(0)
	ds_write_b128 v61, v[1:4]
	s_waitcnt lgkmcnt(0)
	s_barrier
	buffer_gl0_inv
	v_cmpx_gt_u32_e32 7, v0
	s_cbranch_execz .LBB27_43
; %bb.40:
	v_mov_b32_e32 v1, 0
	v_mov_b32_e32 v3, 0
	v_add_nc_u32_e32 v63, -1, v0
	v_add_nc_u32_e32 v64, 0x1c0, v67
	v_mov_b32_e32 v2, 0
	v_mov_b32_e32 v4, 0
	v_add_nc_u32_e32 v65, 16, v67
	s_mov_b32 s5, 0
	.p2align	6
.LBB27_41:                              ; =>This Inner Loop Header: Depth=1
	s_clause 0x3
	buffer_load_dword v72, v65, s[0:3], 0 offen offset:8
	buffer_load_dword v73, v65, s[0:3], 0 offen offset:12
	buffer_load_dword v74, v65, s[0:3], 0 offen
	buffer_load_dword v75, v65, s[0:3], 0 offen offset:4
	ds_read_b128 v[68:71], v64
	v_add_nc_u32_e32 v63, 1, v63
	v_add_nc_u32_e32 v64, 16, v64
	;; [unrolled: 1-line block ×3, first 2 shown]
	v_cmp_lt_u32_e32 vcc_lo, 5, v63
	s_or_b32 s5, vcc_lo, s5
	s_waitcnt vmcnt(2) lgkmcnt(0)
	v_mul_f64 v[76:77], v[70:71], v[72:73]
	v_mul_f64 v[72:73], v[68:69], v[72:73]
	s_waitcnt vmcnt(0)
	v_fma_f64 v[68:69], v[68:69], v[74:75], -v[76:77]
	v_fma_f64 v[70:71], v[70:71], v[74:75], v[72:73]
	v_add_f64 v[3:4], v[3:4], v[68:69]
	v_add_f64 v[1:2], v[1:2], v[70:71]
	s_andn2_b32 exec_lo, exec_lo, s5
	s_cbranch_execnz .LBB27_41
; %bb.42:
	s_or_b32 exec_lo, exec_lo, s5
	v_mov_b32_e32 v63, 0
	ds_read_b128 v[63:66], v63 offset:112
	s_waitcnt lgkmcnt(0)
	v_mul_f64 v[68:69], v[1:2], v[65:66]
	v_mul_f64 v[65:66], v[3:4], v[65:66]
	v_fma_f64 v[3:4], v[3:4], v[63:64], -v[68:69]
	v_fma_f64 v[1:2], v[1:2], v[63:64], v[65:66]
	buffer_store_dword v4, off, s[0:3], 0 offset:132
	buffer_store_dword v3, off, s[0:3], 0 offset:128
	;; [unrolled: 1-line block ×4, first 2 shown]
.LBB27_43:
	s_or_b32 exec_lo, exec_lo, s4
	v_mov_b32_e32 v4, s31
	s_waitcnt_vscnt null, 0x0
	s_barrier
	buffer_gl0_inv
	s_mov_b32 s4, exec_lo
	s_clause 0x3
	buffer_load_dword v1, v4, s[0:3], 0 offen
	buffer_load_dword v2, v4, s[0:3], 0 offen offset:4
	buffer_load_dword v3, v4, s[0:3], 0 offen offset:8
	;; [unrolled: 1-line block ×3, first 2 shown]
	s_waitcnt vmcnt(0)
	ds_write_b128 v61, v[1:4]
	s_waitcnt lgkmcnt(0)
	s_barrier
	buffer_gl0_inv
	v_cmpx_gt_u32_e32 8, v0
	s_cbranch_execz .LBB27_47
; %bb.44:
	v_mov_b32_e32 v1, 0
	v_mov_b32_e32 v3, 0
	v_add_nc_u32_e32 v63, -1, v0
	v_add_nc_u32_e32 v64, 0x1c0, v67
	v_mov_b32_e32 v2, 0
	v_mov_b32_e32 v4, 0
	v_add_nc_u32_e32 v65, 16, v67
	s_mov_b32 s5, 0
	.p2align	6
.LBB27_45:                              ; =>This Inner Loop Header: Depth=1
	s_clause 0x3
	buffer_load_dword v72, v65, s[0:3], 0 offen offset:8
	buffer_load_dword v73, v65, s[0:3], 0 offen offset:12
	buffer_load_dword v74, v65, s[0:3], 0 offen
	buffer_load_dword v75, v65, s[0:3], 0 offen offset:4
	ds_read_b128 v[68:71], v64
	v_add_nc_u32_e32 v63, 1, v63
	v_add_nc_u32_e32 v64, 16, v64
	;; [unrolled: 1-line block ×3, first 2 shown]
	v_cmp_lt_u32_e32 vcc_lo, 6, v63
	s_or_b32 s5, vcc_lo, s5
	s_waitcnt vmcnt(2) lgkmcnt(0)
	v_mul_f64 v[76:77], v[70:71], v[72:73]
	v_mul_f64 v[72:73], v[68:69], v[72:73]
	s_waitcnt vmcnt(0)
	v_fma_f64 v[68:69], v[68:69], v[74:75], -v[76:77]
	v_fma_f64 v[70:71], v[70:71], v[74:75], v[72:73]
	v_add_f64 v[3:4], v[3:4], v[68:69]
	v_add_f64 v[1:2], v[1:2], v[70:71]
	s_andn2_b32 exec_lo, exec_lo, s5
	s_cbranch_execnz .LBB27_45
; %bb.46:
	s_or_b32 exec_lo, exec_lo, s5
	v_mov_b32_e32 v63, 0
	ds_read_b128 v[63:66], v63 offset:128
	s_waitcnt lgkmcnt(0)
	v_mul_f64 v[68:69], v[1:2], v[65:66]
	v_mul_f64 v[65:66], v[3:4], v[65:66]
	v_fma_f64 v[3:4], v[3:4], v[63:64], -v[68:69]
	v_fma_f64 v[1:2], v[1:2], v[63:64], v[65:66]
	buffer_store_dword v4, off, s[0:3], 0 offset:148
	buffer_store_dword v3, off, s[0:3], 0 offset:144
	;; [unrolled: 1-line block ×4, first 2 shown]
.LBB27_47:
	s_or_b32 exec_lo, exec_lo, s4
	v_mov_b32_e32 v4, s30
	s_waitcnt_vscnt null, 0x0
	s_barrier
	buffer_gl0_inv
	s_mov_b32 s4, exec_lo
	s_clause 0x3
	buffer_load_dword v1, v4, s[0:3], 0 offen
	buffer_load_dword v2, v4, s[0:3], 0 offen offset:4
	buffer_load_dword v3, v4, s[0:3], 0 offen offset:8
	;; [unrolled: 1-line block ×3, first 2 shown]
	s_waitcnt vmcnt(0)
	ds_write_b128 v61, v[1:4]
	s_waitcnt lgkmcnt(0)
	s_barrier
	buffer_gl0_inv
	v_cmpx_gt_u32_e32 9, v0
	s_cbranch_execz .LBB27_51
; %bb.48:
	v_mov_b32_e32 v1, 0
	v_mov_b32_e32 v3, 0
	v_add_nc_u32_e32 v63, -1, v0
	v_add_nc_u32_e32 v64, 0x1c0, v67
	v_mov_b32_e32 v2, 0
	v_mov_b32_e32 v4, 0
	v_add_nc_u32_e32 v65, 16, v67
	s_mov_b32 s5, 0
	.p2align	6
.LBB27_49:                              ; =>This Inner Loop Header: Depth=1
	s_clause 0x3
	buffer_load_dword v72, v65, s[0:3], 0 offen offset:8
	buffer_load_dword v73, v65, s[0:3], 0 offen offset:12
	buffer_load_dword v74, v65, s[0:3], 0 offen
	buffer_load_dword v75, v65, s[0:3], 0 offen offset:4
	ds_read_b128 v[68:71], v64
	v_add_nc_u32_e32 v63, 1, v63
	v_add_nc_u32_e32 v64, 16, v64
	;; [unrolled: 1-line block ×3, first 2 shown]
	v_cmp_lt_u32_e32 vcc_lo, 7, v63
	s_or_b32 s5, vcc_lo, s5
	s_waitcnt vmcnt(2) lgkmcnt(0)
	v_mul_f64 v[76:77], v[70:71], v[72:73]
	v_mul_f64 v[72:73], v[68:69], v[72:73]
	s_waitcnt vmcnt(0)
	v_fma_f64 v[68:69], v[68:69], v[74:75], -v[76:77]
	v_fma_f64 v[70:71], v[70:71], v[74:75], v[72:73]
	v_add_f64 v[3:4], v[3:4], v[68:69]
	v_add_f64 v[1:2], v[1:2], v[70:71]
	s_andn2_b32 exec_lo, exec_lo, s5
	s_cbranch_execnz .LBB27_49
; %bb.50:
	s_or_b32 exec_lo, exec_lo, s5
	v_mov_b32_e32 v63, 0
	ds_read_b128 v[63:66], v63 offset:144
	s_waitcnt lgkmcnt(0)
	v_mul_f64 v[68:69], v[1:2], v[65:66]
	v_mul_f64 v[65:66], v[3:4], v[65:66]
	v_fma_f64 v[3:4], v[3:4], v[63:64], -v[68:69]
	v_fma_f64 v[1:2], v[1:2], v[63:64], v[65:66]
	buffer_store_dword v4, off, s[0:3], 0 offset:164
	buffer_store_dword v3, off, s[0:3], 0 offset:160
	buffer_store_dword v2, off, s[0:3], 0 offset:172
	buffer_store_dword v1, off, s[0:3], 0 offset:168
.LBB27_51:
	s_or_b32 exec_lo, exec_lo, s4
	v_mov_b32_e32 v4, s29
	s_waitcnt_vscnt null, 0x0
	s_barrier
	buffer_gl0_inv
	s_mov_b32 s4, exec_lo
	s_clause 0x3
	buffer_load_dword v1, v4, s[0:3], 0 offen
	buffer_load_dword v2, v4, s[0:3], 0 offen offset:4
	buffer_load_dword v3, v4, s[0:3], 0 offen offset:8
	;; [unrolled: 1-line block ×3, first 2 shown]
	s_waitcnt vmcnt(0)
	ds_write_b128 v61, v[1:4]
	s_waitcnt lgkmcnt(0)
	s_barrier
	buffer_gl0_inv
	v_cmpx_gt_u32_e32 10, v0
	s_cbranch_execz .LBB27_55
; %bb.52:
	v_mov_b32_e32 v1, 0
	v_mov_b32_e32 v3, 0
	v_add_nc_u32_e32 v63, -1, v0
	v_add_nc_u32_e32 v64, 0x1c0, v67
	v_mov_b32_e32 v2, 0
	v_mov_b32_e32 v4, 0
	v_add_nc_u32_e32 v65, 16, v67
	s_mov_b32 s5, 0
	.p2align	6
.LBB27_53:                              ; =>This Inner Loop Header: Depth=1
	s_clause 0x3
	buffer_load_dword v72, v65, s[0:3], 0 offen offset:8
	buffer_load_dword v73, v65, s[0:3], 0 offen offset:12
	buffer_load_dword v74, v65, s[0:3], 0 offen
	buffer_load_dword v75, v65, s[0:3], 0 offen offset:4
	ds_read_b128 v[68:71], v64
	v_add_nc_u32_e32 v63, 1, v63
	v_add_nc_u32_e32 v64, 16, v64
	;; [unrolled: 1-line block ×3, first 2 shown]
	v_cmp_lt_u32_e32 vcc_lo, 8, v63
	s_or_b32 s5, vcc_lo, s5
	s_waitcnt vmcnt(2) lgkmcnt(0)
	v_mul_f64 v[76:77], v[70:71], v[72:73]
	v_mul_f64 v[72:73], v[68:69], v[72:73]
	s_waitcnt vmcnt(0)
	v_fma_f64 v[68:69], v[68:69], v[74:75], -v[76:77]
	v_fma_f64 v[70:71], v[70:71], v[74:75], v[72:73]
	v_add_f64 v[3:4], v[3:4], v[68:69]
	v_add_f64 v[1:2], v[1:2], v[70:71]
	s_andn2_b32 exec_lo, exec_lo, s5
	s_cbranch_execnz .LBB27_53
; %bb.54:
	s_or_b32 exec_lo, exec_lo, s5
	v_mov_b32_e32 v63, 0
	ds_read_b128 v[63:66], v63 offset:160
	s_waitcnt lgkmcnt(0)
	v_mul_f64 v[68:69], v[1:2], v[65:66]
	v_mul_f64 v[65:66], v[3:4], v[65:66]
	v_fma_f64 v[3:4], v[3:4], v[63:64], -v[68:69]
	v_fma_f64 v[1:2], v[1:2], v[63:64], v[65:66]
	buffer_store_dword v4, off, s[0:3], 0 offset:180
	buffer_store_dword v3, off, s[0:3], 0 offset:176
	;; [unrolled: 1-line block ×4, first 2 shown]
.LBB27_55:
	s_or_b32 exec_lo, exec_lo, s4
	v_mov_b32_e32 v4, s28
	s_waitcnt_vscnt null, 0x0
	s_barrier
	buffer_gl0_inv
	s_mov_b32 s4, exec_lo
	s_clause 0x3
	buffer_load_dword v1, v4, s[0:3], 0 offen
	buffer_load_dword v2, v4, s[0:3], 0 offen offset:4
	buffer_load_dword v3, v4, s[0:3], 0 offen offset:8
	buffer_load_dword v4, v4, s[0:3], 0 offen offset:12
	s_waitcnt vmcnt(0)
	ds_write_b128 v61, v[1:4]
	s_waitcnt lgkmcnt(0)
	s_barrier
	buffer_gl0_inv
	v_cmpx_gt_u32_e32 11, v0
	s_cbranch_execz .LBB27_59
; %bb.56:
	v_mov_b32_e32 v1, 0
	v_mov_b32_e32 v3, 0
	v_add_nc_u32_e32 v63, -1, v0
	v_add_nc_u32_e32 v64, 0x1c0, v67
	v_mov_b32_e32 v2, 0
	v_mov_b32_e32 v4, 0
	v_add_nc_u32_e32 v65, 16, v67
	s_mov_b32 s5, 0
	.p2align	6
.LBB27_57:                              ; =>This Inner Loop Header: Depth=1
	s_clause 0x3
	buffer_load_dword v72, v65, s[0:3], 0 offen offset:8
	buffer_load_dword v73, v65, s[0:3], 0 offen offset:12
	buffer_load_dword v74, v65, s[0:3], 0 offen
	buffer_load_dword v75, v65, s[0:3], 0 offen offset:4
	ds_read_b128 v[68:71], v64
	v_add_nc_u32_e32 v63, 1, v63
	v_add_nc_u32_e32 v64, 16, v64
	;; [unrolled: 1-line block ×3, first 2 shown]
	v_cmp_lt_u32_e32 vcc_lo, 9, v63
	s_or_b32 s5, vcc_lo, s5
	s_waitcnt vmcnt(2) lgkmcnt(0)
	v_mul_f64 v[76:77], v[70:71], v[72:73]
	v_mul_f64 v[72:73], v[68:69], v[72:73]
	s_waitcnt vmcnt(0)
	v_fma_f64 v[68:69], v[68:69], v[74:75], -v[76:77]
	v_fma_f64 v[70:71], v[70:71], v[74:75], v[72:73]
	v_add_f64 v[3:4], v[3:4], v[68:69]
	v_add_f64 v[1:2], v[1:2], v[70:71]
	s_andn2_b32 exec_lo, exec_lo, s5
	s_cbranch_execnz .LBB27_57
; %bb.58:
	s_or_b32 exec_lo, exec_lo, s5
	v_mov_b32_e32 v63, 0
	ds_read_b128 v[63:66], v63 offset:176
	s_waitcnt lgkmcnt(0)
	v_mul_f64 v[68:69], v[1:2], v[65:66]
	v_mul_f64 v[65:66], v[3:4], v[65:66]
	v_fma_f64 v[3:4], v[3:4], v[63:64], -v[68:69]
	v_fma_f64 v[1:2], v[1:2], v[63:64], v[65:66]
	buffer_store_dword v4, off, s[0:3], 0 offset:196
	buffer_store_dword v3, off, s[0:3], 0 offset:192
	;; [unrolled: 1-line block ×4, first 2 shown]
.LBB27_59:
	s_or_b32 exec_lo, exec_lo, s4
	v_mov_b32_e32 v4, s27
	s_waitcnt_vscnt null, 0x0
	s_barrier
	buffer_gl0_inv
	s_mov_b32 s4, exec_lo
	s_clause 0x3
	buffer_load_dword v1, v4, s[0:3], 0 offen
	buffer_load_dword v2, v4, s[0:3], 0 offen offset:4
	buffer_load_dword v3, v4, s[0:3], 0 offen offset:8
	;; [unrolled: 1-line block ×3, first 2 shown]
	s_waitcnt vmcnt(0)
	ds_write_b128 v61, v[1:4]
	s_waitcnt lgkmcnt(0)
	s_barrier
	buffer_gl0_inv
	v_cmpx_gt_u32_e32 12, v0
	s_cbranch_execz .LBB27_63
; %bb.60:
	v_mov_b32_e32 v1, 0
	v_mov_b32_e32 v3, 0
	v_add_nc_u32_e32 v63, -1, v0
	v_add_nc_u32_e32 v64, 0x1c0, v67
	v_mov_b32_e32 v2, 0
	v_mov_b32_e32 v4, 0
	v_add_nc_u32_e32 v65, 16, v67
	s_mov_b32 s5, 0
	.p2align	6
.LBB27_61:                              ; =>This Inner Loop Header: Depth=1
	s_clause 0x3
	buffer_load_dword v72, v65, s[0:3], 0 offen offset:8
	buffer_load_dword v73, v65, s[0:3], 0 offen offset:12
	buffer_load_dword v74, v65, s[0:3], 0 offen
	buffer_load_dword v75, v65, s[0:3], 0 offen offset:4
	ds_read_b128 v[68:71], v64
	v_add_nc_u32_e32 v63, 1, v63
	v_add_nc_u32_e32 v64, 16, v64
	v_add_nc_u32_e32 v65, 16, v65
	v_cmp_lt_u32_e32 vcc_lo, 10, v63
	s_or_b32 s5, vcc_lo, s5
	s_waitcnt vmcnt(2) lgkmcnt(0)
	v_mul_f64 v[76:77], v[70:71], v[72:73]
	v_mul_f64 v[72:73], v[68:69], v[72:73]
	s_waitcnt vmcnt(0)
	v_fma_f64 v[68:69], v[68:69], v[74:75], -v[76:77]
	v_fma_f64 v[70:71], v[70:71], v[74:75], v[72:73]
	v_add_f64 v[3:4], v[3:4], v[68:69]
	v_add_f64 v[1:2], v[1:2], v[70:71]
	s_andn2_b32 exec_lo, exec_lo, s5
	s_cbranch_execnz .LBB27_61
; %bb.62:
	s_or_b32 exec_lo, exec_lo, s5
	v_mov_b32_e32 v63, 0
	ds_read_b128 v[63:66], v63 offset:192
	s_waitcnt lgkmcnt(0)
	v_mul_f64 v[68:69], v[1:2], v[65:66]
	v_mul_f64 v[65:66], v[3:4], v[65:66]
	v_fma_f64 v[3:4], v[3:4], v[63:64], -v[68:69]
	v_fma_f64 v[1:2], v[1:2], v[63:64], v[65:66]
	buffer_store_dword v4, off, s[0:3], 0 offset:212
	buffer_store_dword v3, off, s[0:3], 0 offset:208
	;; [unrolled: 1-line block ×4, first 2 shown]
.LBB27_63:
	s_or_b32 exec_lo, exec_lo, s4
	v_mov_b32_e32 v4, s26
	s_waitcnt_vscnt null, 0x0
	s_barrier
	buffer_gl0_inv
	s_mov_b32 s4, exec_lo
	s_clause 0x3
	buffer_load_dword v1, v4, s[0:3], 0 offen
	buffer_load_dword v2, v4, s[0:3], 0 offen offset:4
	buffer_load_dword v3, v4, s[0:3], 0 offen offset:8
	;; [unrolled: 1-line block ×3, first 2 shown]
	s_waitcnt vmcnt(0)
	ds_write_b128 v61, v[1:4]
	s_waitcnt lgkmcnt(0)
	s_barrier
	buffer_gl0_inv
	v_cmpx_gt_u32_e32 13, v0
	s_cbranch_execz .LBB27_67
; %bb.64:
	v_mov_b32_e32 v1, 0
	v_mov_b32_e32 v3, 0
	v_add_nc_u32_e32 v63, -1, v0
	v_add_nc_u32_e32 v64, 0x1c0, v67
	v_mov_b32_e32 v2, 0
	v_mov_b32_e32 v4, 0
	v_add_nc_u32_e32 v65, 16, v67
	s_mov_b32 s5, 0
	.p2align	6
.LBB27_65:                              ; =>This Inner Loop Header: Depth=1
	s_clause 0x3
	buffer_load_dword v72, v65, s[0:3], 0 offen offset:8
	buffer_load_dword v73, v65, s[0:3], 0 offen offset:12
	buffer_load_dword v74, v65, s[0:3], 0 offen
	buffer_load_dword v75, v65, s[0:3], 0 offen offset:4
	ds_read_b128 v[68:71], v64
	v_add_nc_u32_e32 v63, 1, v63
	v_add_nc_u32_e32 v64, 16, v64
	;; [unrolled: 1-line block ×3, first 2 shown]
	v_cmp_lt_u32_e32 vcc_lo, 11, v63
	s_or_b32 s5, vcc_lo, s5
	s_waitcnt vmcnt(2) lgkmcnt(0)
	v_mul_f64 v[76:77], v[70:71], v[72:73]
	v_mul_f64 v[72:73], v[68:69], v[72:73]
	s_waitcnt vmcnt(0)
	v_fma_f64 v[68:69], v[68:69], v[74:75], -v[76:77]
	v_fma_f64 v[70:71], v[70:71], v[74:75], v[72:73]
	v_add_f64 v[3:4], v[3:4], v[68:69]
	v_add_f64 v[1:2], v[1:2], v[70:71]
	s_andn2_b32 exec_lo, exec_lo, s5
	s_cbranch_execnz .LBB27_65
; %bb.66:
	s_or_b32 exec_lo, exec_lo, s5
	v_mov_b32_e32 v63, 0
	ds_read_b128 v[63:66], v63 offset:208
	s_waitcnt lgkmcnt(0)
	v_mul_f64 v[68:69], v[1:2], v[65:66]
	v_mul_f64 v[65:66], v[3:4], v[65:66]
	v_fma_f64 v[3:4], v[3:4], v[63:64], -v[68:69]
	v_fma_f64 v[1:2], v[1:2], v[63:64], v[65:66]
	buffer_store_dword v4, off, s[0:3], 0 offset:228
	buffer_store_dword v3, off, s[0:3], 0 offset:224
	buffer_store_dword v2, off, s[0:3], 0 offset:236
	buffer_store_dword v1, off, s[0:3], 0 offset:232
.LBB27_67:
	s_or_b32 exec_lo, exec_lo, s4
	v_mov_b32_e32 v4, s25
	s_waitcnt_vscnt null, 0x0
	s_barrier
	buffer_gl0_inv
	s_mov_b32 s4, exec_lo
	s_clause 0x3
	buffer_load_dword v1, v4, s[0:3], 0 offen
	buffer_load_dword v2, v4, s[0:3], 0 offen offset:4
	buffer_load_dword v3, v4, s[0:3], 0 offen offset:8
	;; [unrolled: 1-line block ×3, first 2 shown]
	s_waitcnt vmcnt(0)
	ds_write_b128 v61, v[1:4]
	s_waitcnt lgkmcnt(0)
	s_barrier
	buffer_gl0_inv
	v_cmpx_gt_u32_e32 14, v0
	s_cbranch_execz .LBB27_71
; %bb.68:
	v_mov_b32_e32 v1, 0
	v_mov_b32_e32 v3, 0
	v_add_nc_u32_e32 v63, -1, v0
	v_add_nc_u32_e32 v64, 0x1c0, v67
	v_mov_b32_e32 v2, 0
	v_mov_b32_e32 v4, 0
	v_add_nc_u32_e32 v65, 16, v67
	s_mov_b32 s5, 0
	.p2align	6
.LBB27_69:                              ; =>This Inner Loop Header: Depth=1
	s_clause 0x3
	buffer_load_dword v72, v65, s[0:3], 0 offen offset:8
	buffer_load_dword v73, v65, s[0:3], 0 offen offset:12
	buffer_load_dword v74, v65, s[0:3], 0 offen
	buffer_load_dword v75, v65, s[0:3], 0 offen offset:4
	ds_read_b128 v[68:71], v64
	v_add_nc_u32_e32 v63, 1, v63
	v_add_nc_u32_e32 v64, 16, v64
	;; [unrolled: 1-line block ×3, first 2 shown]
	v_cmp_lt_u32_e32 vcc_lo, 12, v63
	s_or_b32 s5, vcc_lo, s5
	s_waitcnt vmcnt(2) lgkmcnt(0)
	v_mul_f64 v[76:77], v[70:71], v[72:73]
	v_mul_f64 v[72:73], v[68:69], v[72:73]
	s_waitcnt vmcnt(0)
	v_fma_f64 v[68:69], v[68:69], v[74:75], -v[76:77]
	v_fma_f64 v[70:71], v[70:71], v[74:75], v[72:73]
	v_add_f64 v[3:4], v[3:4], v[68:69]
	v_add_f64 v[1:2], v[1:2], v[70:71]
	s_andn2_b32 exec_lo, exec_lo, s5
	s_cbranch_execnz .LBB27_69
; %bb.70:
	s_or_b32 exec_lo, exec_lo, s5
	v_mov_b32_e32 v63, 0
	ds_read_b128 v[63:66], v63 offset:224
	s_waitcnt lgkmcnt(0)
	v_mul_f64 v[68:69], v[1:2], v[65:66]
	v_mul_f64 v[65:66], v[3:4], v[65:66]
	v_fma_f64 v[3:4], v[3:4], v[63:64], -v[68:69]
	v_fma_f64 v[1:2], v[1:2], v[63:64], v[65:66]
	buffer_store_dword v4, off, s[0:3], 0 offset:244
	buffer_store_dword v3, off, s[0:3], 0 offset:240
	;; [unrolled: 1-line block ×4, first 2 shown]
.LBB27_71:
	s_or_b32 exec_lo, exec_lo, s4
	v_mov_b32_e32 v4, s24
	s_waitcnt_vscnt null, 0x0
	s_barrier
	buffer_gl0_inv
	s_mov_b32 s4, exec_lo
	s_clause 0x3
	buffer_load_dword v1, v4, s[0:3], 0 offen
	buffer_load_dword v2, v4, s[0:3], 0 offen offset:4
	buffer_load_dword v3, v4, s[0:3], 0 offen offset:8
	buffer_load_dword v4, v4, s[0:3], 0 offen offset:12
	s_waitcnt vmcnt(0)
	ds_write_b128 v61, v[1:4]
	s_waitcnt lgkmcnt(0)
	s_barrier
	buffer_gl0_inv
	v_cmpx_gt_u32_e32 15, v0
	s_cbranch_execz .LBB27_75
; %bb.72:
	v_mov_b32_e32 v1, 0
	v_mov_b32_e32 v3, 0
	v_add_nc_u32_e32 v63, -1, v0
	v_add_nc_u32_e32 v64, 0x1c0, v67
	v_mov_b32_e32 v2, 0
	v_mov_b32_e32 v4, 0
	v_add_nc_u32_e32 v65, 16, v67
	s_mov_b32 s5, 0
	.p2align	6
.LBB27_73:                              ; =>This Inner Loop Header: Depth=1
	s_clause 0x3
	buffer_load_dword v72, v65, s[0:3], 0 offen offset:8
	buffer_load_dword v73, v65, s[0:3], 0 offen offset:12
	buffer_load_dword v74, v65, s[0:3], 0 offen
	buffer_load_dword v75, v65, s[0:3], 0 offen offset:4
	ds_read_b128 v[68:71], v64
	v_add_nc_u32_e32 v63, 1, v63
	v_add_nc_u32_e32 v64, 16, v64
	;; [unrolled: 1-line block ×3, first 2 shown]
	v_cmp_lt_u32_e32 vcc_lo, 13, v63
	s_or_b32 s5, vcc_lo, s5
	s_waitcnt vmcnt(2) lgkmcnt(0)
	v_mul_f64 v[76:77], v[70:71], v[72:73]
	v_mul_f64 v[72:73], v[68:69], v[72:73]
	s_waitcnt vmcnt(0)
	v_fma_f64 v[68:69], v[68:69], v[74:75], -v[76:77]
	v_fma_f64 v[70:71], v[70:71], v[74:75], v[72:73]
	v_add_f64 v[3:4], v[3:4], v[68:69]
	v_add_f64 v[1:2], v[1:2], v[70:71]
	s_andn2_b32 exec_lo, exec_lo, s5
	s_cbranch_execnz .LBB27_73
; %bb.74:
	s_or_b32 exec_lo, exec_lo, s5
	v_mov_b32_e32 v63, 0
	ds_read_b128 v[63:66], v63 offset:240
	s_waitcnt lgkmcnt(0)
	v_mul_f64 v[68:69], v[1:2], v[65:66]
	v_mul_f64 v[65:66], v[3:4], v[65:66]
	v_fma_f64 v[3:4], v[3:4], v[63:64], -v[68:69]
	v_fma_f64 v[1:2], v[1:2], v[63:64], v[65:66]
	buffer_store_dword v4, off, s[0:3], 0 offset:260
	buffer_store_dword v3, off, s[0:3], 0 offset:256
	;; [unrolled: 1-line block ×4, first 2 shown]
.LBB27_75:
	s_or_b32 exec_lo, exec_lo, s4
	v_mov_b32_e32 v4, s23
	s_waitcnt_vscnt null, 0x0
	s_barrier
	buffer_gl0_inv
	s_mov_b32 s4, exec_lo
	s_clause 0x3
	buffer_load_dword v1, v4, s[0:3], 0 offen
	buffer_load_dword v2, v4, s[0:3], 0 offen offset:4
	buffer_load_dword v3, v4, s[0:3], 0 offen offset:8
	;; [unrolled: 1-line block ×3, first 2 shown]
	s_waitcnt vmcnt(0)
	ds_write_b128 v61, v[1:4]
	s_waitcnt lgkmcnt(0)
	s_barrier
	buffer_gl0_inv
	v_cmpx_gt_u32_e32 16, v0
	s_cbranch_execz .LBB27_79
; %bb.76:
	v_mov_b32_e32 v1, 0
	v_mov_b32_e32 v3, 0
	v_add_nc_u32_e32 v63, -1, v0
	v_add_nc_u32_e32 v64, 0x1c0, v67
	v_mov_b32_e32 v2, 0
	v_mov_b32_e32 v4, 0
	v_add_nc_u32_e32 v65, 16, v67
	s_mov_b32 s5, 0
	.p2align	6
.LBB27_77:                              ; =>This Inner Loop Header: Depth=1
	s_clause 0x3
	buffer_load_dword v72, v65, s[0:3], 0 offen offset:8
	buffer_load_dword v73, v65, s[0:3], 0 offen offset:12
	buffer_load_dword v74, v65, s[0:3], 0 offen
	buffer_load_dword v75, v65, s[0:3], 0 offen offset:4
	ds_read_b128 v[68:71], v64
	v_add_nc_u32_e32 v63, 1, v63
	v_add_nc_u32_e32 v64, 16, v64
	;; [unrolled: 1-line block ×3, first 2 shown]
	v_cmp_lt_u32_e32 vcc_lo, 14, v63
	s_or_b32 s5, vcc_lo, s5
	s_waitcnt vmcnt(2) lgkmcnt(0)
	v_mul_f64 v[76:77], v[70:71], v[72:73]
	v_mul_f64 v[72:73], v[68:69], v[72:73]
	s_waitcnt vmcnt(0)
	v_fma_f64 v[68:69], v[68:69], v[74:75], -v[76:77]
	v_fma_f64 v[70:71], v[70:71], v[74:75], v[72:73]
	v_add_f64 v[3:4], v[3:4], v[68:69]
	v_add_f64 v[1:2], v[1:2], v[70:71]
	s_andn2_b32 exec_lo, exec_lo, s5
	s_cbranch_execnz .LBB27_77
; %bb.78:
	s_or_b32 exec_lo, exec_lo, s5
	v_mov_b32_e32 v63, 0
	ds_read_b128 v[63:66], v63 offset:256
	s_waitcnt lgkmcnt(0)
	v_mul_f64 v[68:69], v[1:2], v[65:66]
	v_mul_f64 v[65:66], v[3:4], v[65:66]
	v_fma_f64 v[3:4], v[3:4], v[63:64], -v[68:69]
	v_fma_f64 v[1:2], v[1:2], v[63:64], v[65:66]
	buffer_store_dword v4, off, s[0:3], 0 offset:276
	buffer_store_dword v3, off, s[0:3], 0 offset:272
	;; [unrolled: 1-line block ×4, first 2 shown]
.LBB27_79:
	s_or_b32 exec_lo, exec_lo, s4
	v_mov_b32_e32 v4, s22
	s_waitcnt_vscnt null, 0x0
	s_barrier
	buffer_gl0_inv
	s_mov_b32 s4, exec_lo
	s_clause 0x3
	buffer_load_dword v1, v4, s[0:3], 0 offen
	buffer_load_dword v2, v4, s[0:3], 0 offen offset:4
	buffer_load_dword v3, v4, s[0:3], 0 offen offset:8
	;; [unrolled: 1-line block ×3, first 2 shown]
	s_waitcnt vmcnt(0)
	ds_write_b128 v61, v[1:4]
	s_waitcnt lgkmcnt(0)
	s_barrier
	buffer_gl0_inv
	v_cmpx_gt_u32_e32 17, v0
	s_cbranch_execz .LBB27_83
; %bb.80:
	v_mov_b32_e32 v1, 0
	v_mov_b32_e32 v3, 0
	v_add_nc_u32_e32 v63, -1, v0
	v_add_nc_u32_e32 v64, 0x1c0, v67
	v_mov_b32_e32 v2, 0
	v_mov_b32_e32 v4, 0
	v_add_nc_u32_e32 v65, 16, v67
	s_mov_b32 s5, 0
	.p2align	6
.LBB27_81:                              ; =>This Inner Loop Header: Depth=1
	s_clause 0x3
	buffer_load_dword v72, v65, s[0:3], 0 offen offset:8
	buffer_load_dword v73, v65, s[0:3], 0 offen offset:12
	buffer_load_dword v74, v65, s[0:3], 0 offen
	buffer_load_dword v75, v65, s[0:3], 0 offen offset:4
	ds_read_b128 v[68:71], v64
	v_add_nc_u32_e32 v63, 1, v63
	v_add_nc_u32_e32 v64, 16, v64
	;; [unrolled: 1-line block ×3, first 2 shown]
	v_cmp_lt_u32_e32 vcc_lo, 15, v63
	s_or_b32 s5, vcc_lo, s5
	s_waitcnt vmcnt(2) lgkmcnt(0)
	v_mul_f64 v[76:77], v[70:71], v[72:73]
	v_mul_f64 v[72:73], v[68:69], v[72:73]
	s_waitcnt vmcnt(0)
	v_fma_f64 v[68:69], v[68:69], v[74:75], -v[76:77]
	v_fma_f64 v[70:71], v[70:71], v[74:75], v[72:73]
	v_add_f64 v[3:4], v[3:4], v[68:69]
	v_add_f64 v[1:2], v[1:2], v[70:71]
	s_andn2_b32 exec_lo, exec_lo, s5
	s_cbranch_execnz .LBB27_81
; %bb.82:
	s_or_b32 exec_lo, exec_lo, s5
	v_mov_b32_e32 v63, 0
	ds_read_b128 v[63:66], v63 offset:272
	s_waitcnt lgkmcnt(0)
	v_mul_f64 v[68:69], v[1:2], v[65:66]
	v_mul_f64 v[65:66], v[3:4], v[65:66]
	v_fma_f64 v[3:4], v[3:4], v[63:64], -v[68:69]
	v_fma_f64 v[1:2], v[1:2], v[63:64], v[65:66]
	buffer_store_dword v4, off, s[0:3], 0 offset:292
	buffer_store_dword v3, off, s[0:3], 0 offset:288
	;; [unrolled: 1-line block ×4, first 2 shown]
.LBB27_83:
	s_or_b32 exec_lo, exec_lo, s4
	v_mov_b32_e32 v4, s19
	s_waitcnt_vscnt null, 0x0
	s_barrier
	buffer_gl0_inv
	s_mov_b32 s4, exec_lo
	s_clause 0x3
	buffer_load_dword v1, v4, s[0:3], 0 offen
	buffer_load_dword v2, v4, s[0:3], 0 offen offset:4
	buffer_load_dword v3, v4, s[0:3], 0 offen offset:8
	;; [unrolled: 1-line block ×3, first 2 shown]
	s_waitcnt vmcnt(0)
	ds_write_b128 v61, v[1:4]
	s_waitcnt lgkmcnt(0)
	s_barrier
	buffer_gl0_inv
	v_cmpx_gt_u32_e32 18, v0
	s_cbranch_execz .LBB27_87
; %bb.84:
	v_mov_b32_e32 v1, 0
	v_mov_b32_e32 v3, 0
	v_add_nc_u32_e32 v63, -1, v0
	v_add_nc_u32_e32 v64, 0x1c0, v67
	v_mov_b32_e32 v2, 0
	v_mov_b32_e32 v4, 0
	v_add_nc_u32_e32 v65, 16, v67
	s_mov_b32 s5, 0
	.p2align	6
.LBB27_85:                              ; =>This Inner Loop Header: Depth=1
	s_clause 0x3
	buffer_load_dword v72, v65, s[0:3], 0 offen offset:8
	buffer_load_dword v73, v65, s[0:3], 0 offen offset:12
	buffer_load_dword v74, v65, s[0:3], 0 offen
	buffer_load_dword v75, v65, s[0:3], 0 offen offset:4
	ds_read_b128 v[68:71], v64
	v_add_nc_u32_e32 v63, 1, v63
	v_add_nc_u32_e32 v64, 16, v64
	;; [unrolled: 1-line block ×3, first 2 shown]
	v_cmp_lt_u32_e32 vcc_lo, 16, v63
	s_or_b32 s5, vcc_lo, s5
	s_waitcnt vmcnt(2) lgkmcnt(0)
	v_mul_f64 v[76:77], v[70:71], v[72:73]
	v_mul_f64 v[72:73], v[68:69], v[72:73]
	s_waitcnt vmcnt(0)
	v_fma_f64 v[68:69], v[68:69], v[74:75], -v[76:77]
	v_fma_f64 v[70:71], v[70:71], v[74:75], v[72:73]
	v_add_f64 v[3:4], v[3:4], v[68:69]
	v_add_f64 v[1:2], v[1:2], v[70:71]
	s_andn2_b32 exec_lo, exec_lo, s5
	s_cbranch_execnz .LBB27_85
; %bb.86:
	s_or_b32 exec_lo, exec_lo, s5
	v_mov_b32_e32 v63, 0
	ds_read_b128 v[63:66], v63 offset:288
	s_waitcnt lgkmcnt(0)
	v_mul_f64 v[68:69], v[1:2], v[65:66]
	v_mul_f64 v[65:66], v[3:4], v[65:66]
	v_fma_f64 v[3:4], v[3:4], v[63:64], -v[68:69]
	v_fma_f64 v[1:2], v[1:2], v[63:64], v[65:66]
	buffer_store_dword v4, off, s[0:3], 0 offset:308
	buffer_store_dword v3, off, s[0:3], 0 offset:304
	;; [unrolled: 1-line block ×4, first 2 shown]
.LBB27_87:
	s_or_b32 exec_lo, exec_lo, s4
	v_mov_b32_e32 v4, s18
	s_waitcnt_vscnt null, 0x0
	s_barrier
	buffer_gl0_inv
	s_mov_b32 s4, exec_lo
	s_clause 0x3
	buffer_load_dword v1, v4, s[0:3], 0 offen
	buffer_load_dword v2, v4, s[0:3], 0 offen offset:4
	buffer_load_dword v3, v4, s[0:3], 0 offen offset:8
	buffer_load_dword v4, v4, s[0:3], 0 offen offset:12
	s_waitcnt vmcnt(0)
	ds_write_b128 v61, v[1:4]
	s_waitcnt lgkmcnt(0)
	s_barrier
	buffer_gl0_inv
	v_cmpx_gt_u32_e32 19, v0
	s_cbranch_execz .LBB27_91
; %bb.88:
	v_mov_b32_e32 v1, 0
	v_mov_b32_e32 v3, 0
	v_add_nc_u32_e32 v63, -1, v0
	v_add_nc_u32_e32 v64, 0x1c0, v67
	v_mov_b32_e32 v2, 0
	v_mov_b32_e32 v4, 0
	v_add_nc_u32_e32 v65, 16, v67
	s_mov_b32 s5, 0
	.p2align	6
.LBB27_89:                              ; =>This Inner Loop Header: Depth=1
	s_clause 0x3
	buffer_load_dword v72, v65, s[0:3], 0 offen offset:8
	buffer_load_dword v73, v65, s[0:3], 0 offen offset:12
	buffer_load_dword v74, v65, s[0:3], 0 offen
	buffer_load_dword v75, v65, s[0:3], 0 offen offset:4
	ds_read_b128 v[68:71], v64
	v_add_nc_u32_e32 v63, 1, v63
	v_add_nc_u32_e32 v64, 16, v64
	v_add_nc_u32_e32 v65, 16, v65
	v_cmp_lt_u32_e32 vcc_lo, 17, v63
	s_or_b32 s5, vcc_lo, s5
	s_waitcnt vmcnt(2) lgkmcnt(0)
	v_mul_f64 v[76:77], v[70:71], v[72:73]
	v_mul_f64 v[72:73], v[68:69], v[72:73]
	s_waitcnt vmcnt(0)
	v_fma_f64 v[68:69], v[68:69], v[74:75], -v[76:77]
	v_fma_f64 v[70:71], v[70:71], v[74:75], v[72:73]
	v_add_f64 v[3:4], v[3:4], v[68:69]
	v_add_f64 v[1:2], v[1:2], v[70:71]
	s_andn2_b32 exec_lo, exec_lo, s5
	s_cbranch_execnz .LBB27_89
; %bb.90:
	s_or_b32 exec_lo, exec_lo, s5
	v_mov_b32_e32 v63, 0
	ds_read_b128 v[63:66], v63 offset:304
	s_waitcnt lgkmcnt(0)
	v_mul_f64 v[68:69], v[1:2], v[65:66]
	v_mul_f64 v[65:66], v[3:4], v[65:66]
	v_fma_f64 v[3:4], v[3:4], v[63:64], -v[68:69]
	v_fma_f64 v[1:2], v[1:2], v[63:64], v[65:66]
	buffer_store_dword v4, off, s[0:3], 0 offset:324
	buffer_store_dword v3, off, s[0:3], 0 offset:320
	;; [unrolled: 1-line block ×4, first 2 shown]
.LBB27_91:
	s_or_b32 exec_lo, exec_lo, s4
	v_mov_b32_e32 v4, s17
	s_waitcnt_vscnt null, 0x0
	s_barrier
	buffer_gl0_inv
	s_mov_b32 s4, exec_lo
	s_clause 0x3
	buffer_load_dword v1, v4, s[0:3], 0 offen
	buffer_load_dword v2, v4, s[0:3], 0 offen offset:4
	buffer_load_dword v3, v4, s[0:3], 0 offen offset:8
	;; [unrolled: 1-line block ×3, first 2 shown]
	s_waitcnt vmcnt(0)
	ds_write_b128 v61, v[1:4]
	s_waitcnt lgkmcnt(0)
	s_barrier
	buffer_gl0_inv
	v_cmpx_gt_u32_e32 20, v0
	s_cbranch_execz .LBB27_95
; %bb.92:
	v_mov_b32_e32 v1, 0
	v_mov_b32_e32 v3, 0
	v_add_nc_u32_e32 v63, -1, v0
	v_add_nc_u32_e32 v64, 0x1c0, v67
	v_mov_b32_e32 v2, 0
	v_mov_b32_e32 v4, 0
	v_add_nc_u32_e32 v65, 16, v67
	s_mov_b32 s5, 0
	.p2align	6
.LBB27_93:                              ; =>This Inner Loop Header: Depth=1
	s_clause 0x3
	buffer_load_dword v72, v65, s[0:3], 0 offen offset:8
	buffer_load_dword v73, v65, s[0:3], 0 offen offset:12
	buffer_load_dword v74, v65, s[0:3], 0 offen
	buffer_load_dword v75, v65, s[0:3], 0 offen offset:4
	ds_read_b128 v[68:71], v64
	v_add_nc_u32_e32 v63, 1, v63
	v_add_nc_u32_e32 v64, 16, v64
	;; [unrolled: 1-line block ×3, first 2 shown]
	v_cmp_lt_u32_e32 vcc_lo, 18, v63
	s_or_b32 s5, vcc_lo, s5
	s_waitcnt vmcnt(2) lgkmcnt(0)
	v_mul_f64 v[76:77], v[70:71], v[72:73]
	v_mul_f64 v[72:73], v[68:69], v[72:73]
	s_waitcnt vmcnt(0)
	v_fma_f64 v[68:69], v[68:69], v[74:75], -v[76:77]
	v_fma_f64 v[70:71], v[70:71], v[74:75], v[72:73]
	v_add_f64 v[3:4], v[3:4], v[68:69]
	v_add_f64 v[1:2], v[1:2], v[70:71]
	s_andn2_b32 exec_lo, exec_lo, s5
	s_cbranch_execnz .LBB27_93
; %bb.94:
	s_or_b32 exec_lo, exec_lo, s5
	v_mov_b32_e32 v63, 0
	ds_read_b128 v[63:66], v63 offset:320
	s_waitcnt lgkmcnt(0)
	v_mul_f64 v[68:69], v[1:2], v[65:66]
	v_mul_f64 v[65:66], v[3:4], v[65:66]
	v_fma_f64 v[3:4], v[3:4], v[63:64], -v[68:69]
	v_fma_f64 v[1:2], v[1:2], v[63:64], v[65:66]
	buffer_store_dword v4, off, s[0:3], 0 offset:340
	buffer_store_dword v3, off, s[0:3], 0 offset:336
	;; [unrolled: 1-line block ×4, first 2 shown]
.LBB27_95:
	s_or_b32 exec_lo, exec_lo, s4
	v_mov_b32_e32 v4, s16
	s_waitcnt_vscnt null, 0x0
	s_barrier
	buffer_gl0_inv
	s_mov_b32 s4, exec_lo
	s_clause 0x3
	buffer_load_dword v1, v4, s[0:3], 0 offen
	buffer_load_dword v2, v4, s[0:3], 0 offen offset:4
	buffer_load_dword v3, v4, s[0:3], 0 offen offset:8
	buffer_load_dword v4, v4, s[0:3], 0 offen offset:12
	s_waitcnt vmcnt(0)
	ds_write_b128 v61, v[1:4]
	s_waitcnt lgkmcnt(0)
	s_barrier
	buffer_gl0_inv
	v_cmpx_gt_u32_e32 21, v0
	s_cbranch_execz .LBB27_99
; %bb.96:
	v_mov_b32_e32 v1, 0
	v_mov_b32_e32 v3, 0
	v_add_nc_u32_e32 v63, -1, v0
	v_add_nc_u32_e32 v64, 0x1c0, v67
	v_mov_b32_e32 v2, 0
	v_mov_b32_e32 v4, 0
	v_add_nc_u32_e32 v65, 16, v67
	s_mov_b32 s5, 0
	.p2align	6
.LBB27_97:                              ; =>This Inner Loop Header: Depth=1
	s_clause 0x3
	buffer_load_dword v72, v65, s[0:3], 0 offen offset:8
	buffer_load_dword v73, v65, s[0:3], 0 offen offset:12
	buffer_load_dword v74, v65, s[0:3], 0 offen
	buffer_load_dword v75, v65, s[0:3], 0 offen offset:4
	ds_read_b128 v[68:71], v64
	v_add_nc_u32_e32 v63, 1, v63
	v_add_nc_u32_e32 v64, 16, v64
	;; [unrolled: 1-line block ×3, first 2 shown]
	v_cmp_lt_u32_e32 vcc_lo, 19, v63
	s_or_b32 s5, vcc_lo, s5
	s_waitcnt vmcnt(2) lgkmcnt(0)
	v_mul_f64 v[76:77], v[70:71], v[72:73]
	v_mul_f64 v[72:73], v[68:69], v[72:73]
	s_waitcnt vmcnt(0)
	v_fma_f64 v[68:69], v[68:69], v[74:75], -v[76:77]
	v_fma_f64 v[70:71], v[70:71], v[74:75], v[72:73]
	v_add_f64 v[3:4], v[3:4], v[68:69]
	v_add_f64 v[1:2], v[1:2], v[70:71]
	s_andn2_b32 exec_lo, exec_lo, s5
	s_cbranch_execnz .LBB27_97
; %bb.98:
	s_or_b32 exec_lo, exec_lo, s5
	v_mov_b32_e32 v63, 0
	ds_read_b128 v[63:66], v63 offset:336
	s_waitcnt lgkmcnt(0)
	v_mul_f64 v[68:69], v[1:2], v[65:66]
	v_mul_f64 v[65:66], v[3:4], v[65:66]
	v_fma_f64 v[3:4], v[3:4], v[63:64], -v[68:69]
	v_fma_f64 v[1:2], v[1:2], v[63:64], v[65:66]
	buffer_store_dword v4, off, s[0:3], 0 offset:356
	buffer_store_dword v3, off, s[0:3], 0 offset:352
	;; [unrolled: 1-line block ×4, first 2 shown]
.LBB27_99:
	s_or_b32 exec_lo, exec_lo, s4
	v_mov_b32_e32 v4, s15
	s_waitcnt_vscnt null, 0x0
	s_barrier
	buffer_gl0_inv
	s_mov_b32 s4, exec_lo
	s_clause 0x3
	buffer_load_dword v1, v4, s[0:3], 0 offen
	buffer_load_dword v2, v4, s[0:3], 0 offen offset:4
	buffer_load_dword v3, v4, s[0:3], 0 offen offset:8
	;; [unrolled: 1-line block ×3, first 2 shown]
	s_waitcnt vmcnt(0)
	ds_write_b128 v61, v[1:4]
	s_waitcnt lgkmcnt(0)
	s_barrier
	buffer_gl0_inv
	v_cmpx_gt_u32_e32 22, v0
	s_cbranch_execz .LBB27_103
; %bb.100:
	v_mov_b32_e32 v1, 0
	v_mov_b32_e32 v3, 0
	v_add_nc_u32_e32 v63, -1, v0
	v_add_nc_u32_e32 v64, 0x1c0, v67
	v_mov_b32_e32 v2, 0
	v_mov_b32_e32 v4, 0
	v_add_nc_u32_e32 v65, 16, v67
	s_mov_b32 s5, 0
	.p2align	6
.LBB27_101:                             ; =>This Inner Loop Header: Depth=1
	s_clause 0x3
	buffer_load_dword v72, v65, s[0:3], 0 offen offset:8
	buffer_load_dword v73, v65, s[0:3], 0 offen offset:12
	buffer_load_dword v74, v65, s[0:3], 0 offen
	buffer_load_dword v75, v65, s[0:3], 0 offen offset:4
	ds_read_b128 v[68:71], v64
	v_add_nc_u32_e32 v63, 1, v63
	v_add_nc_u32_e32 v64, 16, v64
	v_add_nc_u32_e32 v65, 16, v65
	v_cmp_lt_u32_e32 vcc_lo, 20, v63
	s_or_b32 s5, vcc_lo, s5
	s_waitcnt vmcnt(2) lgkmcnt(0)
	v_mul_f64 v[76:77], v[70:71], v[72:73]
	v_mul_f64 v[72:73], v[68:69], v[72:73]
	s_waitcnt vmcnt(0)
	v_fma_f64 v[68:69], v[68:69], v[74:75], -v[76:77]
	v_fma_f64 v[70:71], v[70:71], v[74:75], v[72:73]
	v_add_f64 v[3:4], v[3:4], v[68:69]
	v_add_f64 v[1:2], v[1:2], v[70:71]
	s_andn2_b32 exec_lo, exec_lo, s5
	s_cbranch_execnz .LBB27_101
; %bb.102:
	s_or_b32 exec_lo, exec_lo, s5
	v_mov_b32_e32 v63, 0
	ds_read_b128 v[63:66], v63 offset:352
	s_waitcnt lgkmcnt(0)
	v_mul_f64 v[68:69], v[1:2], v[65:66]
	v_mul_f64 v[65:66], v[3:4], v[65:66]
	v_fma_f64 v[3:4], v[3:4], v[63:64], -v[68:69]
	v_fma_f64 v[1:2], v[1:2], v[63:64], v[65:66]
	buffer_store_dword v4, off, s[0:3], 0 offset:372
	buffer_store_dword v3, off, s[0:3], 0 offset:368
	;; [unrolled: 1-line block ×4, first 2 shown]
.LBB27_103:
	s_or_b32 exec_lo, exec_lo, s4
	v_mov_b32_e32 v4, s14
	s_waitcnt_vscnt null, 0x0
	s_barrier
	buffer_gl0_inv
	s_mov_b32 s4, exec_lo
	s_clause 0x3
	buffer_load_dword v1, v4, s[0:3], 0 offen
	buffer_load_dword v2, v4, s[0:3], 0 offen offset:4
	buffer_load_dword v3, v4, s[0:3], 0 offen offset:8
	;; [unrolled: 1-line block ×3, first 2 shown]
	s_waitcnt vmcnt(0)
	ds_write_b128 v61, v[1:4]
	s_waitcnt lgkmcnt(0)
	s_barrier
	buffer_gl0_inv
	v_cmpx_gt_u32_e32 23, v0
	s_cbranch_execz .LBB27_107
; %bb.104:
	v_mov_b32_e32 v1, 0
	v_mov_b32_e32 v3, 0
	v_add_nc_u32_e32 v63, -1, v0
	v_add_nc_u32_e32 v64, 0x1c0, v67
	v_mov_b32_e32 v2, 0
	v_mov_b32_e32 v4, 0
	v_add_nc_u32_e32 v65, 16, v67
	s_mov_b32 s5, 0
	.p2align	6
.LBB27_105:                             ; =>This Inner Loop Header: Depth=1
	s_clause 0x3
	buffer_load_dword v72, v65, s[0:3], 0 offen offset:8
	buffer_load_dword v73, v65, s[0:3], 0 offen offset:12
	buffer_load_dword v74, v65, s[0:3], 0 offen
	buffer_load_dword v75, v65, s[0:3], 0 offen offset:4
	ds_read_b128 v[68:71], v64
	v_add_nc_u32_e32 v63, 1, v63
	v_add_nc_u32_e32 v64, 16, v64
	;; [unrolled: 1-line block ×3, first 2 shown]
	v_cmp_lt_u32_e32 vcc_lo, 21, v63
	s_or_b32 s5, vcc_lo, s5
	s_waitcnt vmcnt(2) lgkmcnt(0)
	v_mul_f64 v[76:77], v[70:71], v[72:73]
	v_mul_f64 v[72:73], v[68:69], v[72:73]
	s_waitcnt vmcnt(0)
	v_fma_f64 v[68:69], v[68:69], v[74:75], -v[76:77]
	v_fma_f64 v[70:71], v[70:71], v[74:75], v[72:73]
	v_add_f64 v[3:4], v[3:4], v[68:69]
	v_add_f64 v[1:2], v[1:2], v[70:71]
	s_andn2_b32 exec_lo, exec_lo, s5
	s_cbranch_execnz .LBB27_105
; %bb.106:
	s_or_b32 exec_lo, exec_lo, s5
	v_mov_b32_e32 v63, 0
	ds_read_b128 v[63:66], v63 offset:368
	s_waitcnt lgkmcnt(0)
	v_mul_f64 v[68:69], v[1:2], v[65:66]
	v_mul_f64 v[65:66], v[3:4], v[65:66]
	v_fma_f64 v[3:4], v[3:4], v[63:64], -v[68:69]
	v_fma_f64 v[1:2], v[1:2], v[63:64], v[65:66]
	buffer_store_dword v4, off, s[0:3], 0 offset:388
	buffer_store_dword v3, off, s[0:3], 0 offset:384
	;; [unrolled: 1-line block ×4, first 2 shown]
.LBB27_107:
	s_or_b32 exec_lo, exec_lo, s4
	v_mov_b32_e32 v4, s13
	s_waitcnt_vscnt null, 0x0
	s_barrier
	buffer_gl0_inv
	s_mov_b32 s4, exec_lo
	s_clause 0x3
	buffer_load_dword v1, v4, s[0:3], 0 offen
	buffer_load_dword v2, v4, s[0:3], 0 offen offset:4
	buffer_load_dword v3, v4, s[0:3], 0 offen offset:8
	;; [unrolled: 1-line block ×3, first 2 shown]
	s_waitcnt vmcnt(0)
	ds_write_b128 v61, v[1:4]
	s_waitcnt lgkmcnt(0)
	s_barrier
	buffer_gl0_inv
	v_cmpx_gt_u32_e32 24, v0
	s_cbranch_execz .LBB27_111
; %bb.108:
	v_mov_b32_e32 v1, 0
	v_mov_b32_e32 v3, 0
	v_add_nc_u32_e32 v63, -1, v0
	v_add_nc_u32_e32 v64, 0x1c0, v67
	v_mov_b32_e32 v2, 0
	v_mov_b32_e32 v4, 0
	v_add_nc_u32_e32 v65, 16, v67
	s_mov_b32 s5, 0
	.p2align	6
.LBB27_109:                             ; =>This Inner Loop Header: Depth=1
	s_clause 0x3
	buffer_load_dword v72, v65, s[0:3], 0 offen offset:8
	buffer_load_dword v73, v65, s[0:3], 0 offen offset:12
	buffer_load_dword v74, v65, s[0:3], 0 offen
	buffer_load_dword v75, v65, s[0:3], 0 offen offset:4
	ds_read_b128 v[68:71], v64
	v_add_nc_u32_e32 v63, 1, v63
	v_add_nc_u32_e32 v64, 16, v64
	;; [unrolled: 1-line block ×3, first 2 shown]
	v_cmp_lt_u32_e32 vcc_lo, 22, v63
	s_or_b32 s5, vcc_lo, s5
	s_waitcnt vmcnt(2) lgkmcnt(0)
	v_mul_f64 v[76:77], v[70:71], v[72:73]
	v_mul_f64 v[72:73], v[68:69], v[72:73]
	s_waitcnt vmcnt(0)
	v_fma_f64 v[68:69], v[68:69], v[74:75], -v[76:77]
	v_fma_f64 v[70:71], v[70:71], v[74:75], v[72:73]
	v_add_f64 v[3:4], v[3:4], v[68:69]
	v_add_f64 v[1:2], v[1:2], v[70:71]
	s_andn2_b32 exec_lo, exec_lo, s5
	s_cbranch_execnz .LBB27_109
; %bb.110:
	s_or_b32 exec_lo, exec_lo, s5
	v_mov_b32_e32 v63, 0
	ds_read_b128 v[63:66], v63 offset:384
	s_waitcnt lgkmcnt(0)
	v_mul_f64 v[68:69], v[1:2], v[65:66]
	v_mul_f64 v[65:66], v[3:4], v[65:66]
	v_fma_f64 v[3:4], v[3:4], v[63:64], -v[68:69]
	v_fma_f64 v[1:2], v[1:2], v[63:64], v[65:66]
	buffer_store_dword v4, off, s[0:3], 0 offset:404
	buffer_store_dword v3, off, s[0:3], 0 offset:400
	;; [unrolled: 1-line block ×4, first 2 shown]
.LBB27_111:
	s_or_b32 exec_lo, exec_lo, s4
	v_mov_b32_e32 v4, s12
	s_waitcnt_vscnt null, 0x0
	s_barrier
	buffer_gl0_inv
	s_mov_b32 s4, exec_lo
	s_clause 0x3
	buffer_load_dword v1, v4, s[0:3], 0 offen
	buffer_load_dword v2, v4, s[0:3], 0 offen offset:4
	buffer_load_dword v3, v4, s[0:3], 0 offen offset:8
	;; [unrolled: 1-line block ×3, first 2 shown]
	s_waitcnt vmcnt(0)
	ds_write_b128 v61, v[1:4]
	s_waitcnt lgkmcnt(0)
	s_barrier
	buffer_gl0_inv
	v_cmpx_gt_u32_e32 25, v0
	s_cbranch_execz .LBB27_115
; %bb.112:
	v_mov_b32_e32 v1, 0
	v_mov_b32_e32 v3, 0
	v_add_nc_u32_e32 v63, -1, v0
	v_add_nc_u32_e32 v64, 0x1c0, v67
	v_mov_b32_e32 v2, 0
	v_mov_b32_e32 v4, 0
	v_add_nc_u32_e32 v65, 16, v67
	s_mov_b32 s5, 0
	.p2align	6
.LBB27_113:                             ; =>This Inner Loop Header: Depth=1
	s_clause 0x3
	buffer_load_dword v72, v65, s[0:3], 0 offen offset:8
	buffer_load_dword v73, v65, s[0:3], 0 offen offset:12
	buffer_load_dword v74, v65, s[0:3], 0 offen
	buffer_load_dword v75, v65, s[0:3], 0 offen offset:4
	ds_read_b128 v[68:71], v64
	v_add_nc_u32_e32 v63, 1, v63
	v_add_nc_u32_e32 v64, 16, v64
	;; [unrolled: 1-line block ×3, first 2 shown]
	v_cmp_lt_u32_e32 vcc_lo, 23, v63
	s_or_b32 s5, vcc_lo, s5
	s_waitcnt vmcnt(2) lgkmcnt(0)
	v_mul_f64 v[76:77], v[70:71], v[72:73]
	v_mul_f64 v[72:73], v[68:69], v[72:73]
	s_waitcnt vmcnt(0)
	v_fma_f64 v[68:69], v[68:69], v[74:75], -v[76:77]
	v_fma_f64 v[70:71], v[70:71], v[74:75], v[72:73]
	v_add_f64 v[3:4], v[3:4], v[68:69]
	v_add_f64 v[1:2], v[1:2], v[70:71]
	s_andn2_b32 exec_lo, exec_lo, s5
	s_cbranch_execnz .LBB27_113
; %bb.114:
	s_or_b32 exec_lo, exec_lo, s5
	v_mov_b32_e32 v63, 0
	ds_read_b128 v[63:66], v63 offset:400
	s_waitcnt lgkmcnt(0)
	v_mul_f64 v[68:69], v[1:2], v[65:66]
	v_mul_f64 v[65:66], v[3:4], v[65:66]
	v_fma_f64 v[3:4], v[3:4], v[63:64], -v[68:69]
	v_fma_f64 v[1:2], v[1:2], v[63:64], v[65:66]
	buffer_store_dword v4, off, s[0:3], 0 offset:420
	buffer_store_dword v3, off, s[0:3], 0 offset:416
	;; [unrolled: 1-line block ×4, first 2 shown]
.LBB27_115:
	s_or_b32 exec_lo, exec_lo, s4
	v_mov_b32_e32 v4, s9
	s_waitcnt_vscnt null, 0x0
	s_barrier
	buffer_gl0_inv
	s_mov_b32 s4, exec_lo
	s_clause 0x3
	buffer_load_dword v1, v4, s[0:3], 0 offen
	buffer_load_dword v2, v4, s[0:3], 0 offen offset:4
	buffer_load_dword v3, v4, s[0:3], 0 offen offset:8
	;; [unrolled: 1-line block ×3, first 2 shown]
	s_waitcnt vmcnt(0)
	ds_write_b128 v61, v[1:4]
	s_waitcnt lgkmcnt(0)
	s_barrier
	buffer_gl0_inv
	v_cmpx_gt_u32_e32 26, v0
	s_cbranch_execz .LBB27_119
; %bb.116:
	v_mov_b32_e32 v1, 0
	v_mov_b32_e32 v3, 0
	v_add_nc_u32_e32 v63, -1, v0
	v_add_nc_u32_e32 v64, 0x1c0, v67
	v_mov_b32_e32 v2, 0
	v_mov_b32_e32 v4, 0
	v_add_nc_u32_e32 v65, 16, v67
	s_mov_b32 s5, 0
	.p2align	6
.LBB27_117:                             ; =>This Inner Loop Header: Depth=1
	s_clause 0x3
	buffer_load_dword v72, v65, s[0:3], 0 offen offset:8
	buffer_load_dword v73, v65, s[0:3], 0 offen offset:12
	buffer_load_dword v74, v65, s[0:3], 0 offen
	buffer_load_dword v75, v65, s[0:3], 0 offen offset:4
	ds_read_b128 v[68:71], v64
	v_add_nc_u32_e32 v63, 1, v63
	v_add_nc_u32_e32 v64, 16, v64
	;; [unrolled: 1-line block ×3, first 2 shown]
	v_cmp_lt_u32_e32 vcc_lo, 24, v63
	s_or_b32 s5, vcc_lo, s5
	s_waitcnt vmcnt(2) lgkmcnt(0)
	v_mul_f64 v[76:77], v[70:71], v[72:73]
	v_mul_f64 v[72:73], v[68:69], v[72:73]
	s_waitcnt vmcnt(0)
	v_fma_f64 v[68:69], v[68:69], v[74:75], -v[76:77]
	v_fma_f64 v[70:71], v[70:71], v[74:75], v[72:73]
	v_add_f64 v[3:4], v[3:4], v[68:69]
	v_add_f64 v[1:2], v[1:2], v[70:71]
	s_andn2_b32 exec_lo, exec_lo, s5
	s_cbranch_execnz .LBB27_117
; %bb.118:
	s_or_b32 exec_lo, exec_lo, s5
	v_mov_b32_e32 v63, 0
	ds_read_b128 v[63:66], v63 offset:416
	s_waitcnt lgkmcnt(0)
	v_mul_f64 v[68:69], v[1:2], v[65:66]
	v_mul_f64 v[65:66], v[3:4], v[65:66]
	v_fma_f64 v[3:4], v[3:4], v[63:64], -v[68:69]
	v_fma_f64 v[1:2], v[1:2], v[63:64], v[65:66]
	buffer_store_dword v4, off, s[0:3], 0 offset:436
	buffer_store_dword v3, off, s[0:3], 0 offset:432
	buffer_store_dword v2, off, s[0:3], 0 offset:444
	buffer_store_dword v1, off, s[0:3], 0 offset:440
.LBB27_119:
	s_or_b32 exec_lo, exec_lo, s4
	v_mov_b32_e32 v4, s8
	s_waitcnt_vscnt null, 0x0
	s_barrier
	buffer_gl0_inv
	s_mov_b32 s4, exec_lo
	s_clause 0x3
	buffer_load_dword v1, v4, s[0:3], 0 offen
	buffer_load_dword v2, v4, s[0:3], 0 offen offset:4
	buffer_load_dword v3, v4, s[0:3], 0 offen offset:8
	;; [unrolled: 1-line block ×3, first 2 shown]
	s_waitcnt vmcnt(0)
	ds_write_b128 v61, v[1:4]
	s_waitcnt lgkmcnt(0)
	s_barrier
	buffer_gl0_inv
	v_cmpx_ne_u32_e32 27, v0
	s_cbranch_execz .LBB27_123
; %bb.120:
	v_mov_b32_e32 v1, 0
	v_mov_b32_e32 v3, 0
	;; [unrolled: 1-line block ×4, first 2 shown]
	v_add_nc_u32_e32 v63, 16, v67
	s_mov_b32 s5, 0
	.p2align	6
.LBB27_121:                             ; =>This Inner Loop Header: Depth=1
	s_clause 0x3
	buffer_load_dword v68, v63, s[0:3], 0 offen offset:8
	buffer_load_dword v69, v63, s[0:3], 0 offen offset:12
	buffer_load_dword v70, v63, s[0:3], 0 offen
	buffer_load_dword v71, v63, s[0:3], 0 offen offset:4
	ds_read_b128 v[64:67], v61
	v_add_nc_u32_e32 v62, 1, v62
	v_add_nc_u32_e32 v61, 16, v61
	;; [unrolled: 1-line block ×3, first 2 shown]
	v_cmp_lt_u32_e32 vcc_lo, 25, v62
	s_or_b32 s5, vcc_lo, s5
	s_waitcnt vmcnt(2) lgkmcnt(0)
	v_mul_f64 v[72:73], v[66:67], v[68:69]
	v_mul_f64 v[68:69], v[64:65], v[68:69]
	s_waitcnt vmcnt(0)
	v_fma_f64 v[64:65], v[64:65], v[70:71], -v[72:73]
	v_fma_f64 v[66:67], v[66:67], v[70:71], v[68:69]
	v_add_f64 v[3:4], v[3:4], v[64:65]
	v_add_f64 v[1:2], v[1:2], v[66:67]
	s_andn2_b32 exec_lo, exec_lo, s5
	s_cbranch_execnz .LBB27_121
; %bb.122:
	s_or_b32 exec_lo, exec_lo, s5
	v_mov_b32_e32 v61, 0
	ds_read_b128 v[61:64], v61 offset:432
	s_waitcnt lgkmcnt(0)
	v_mul_f64 v[65:66], v[1:2], v[63:64]
	v_mul_f64 v[63:64], v[3:4], v[63:64]
	v_fma_f64 v[3:4], v[3:4], v[61:62], -v[65:66]
	v_fma_f64 v[1:2], v[1:2], v[61:62], v[63:64]
	buffer_store_dword v4, off, s[0:3], 0 offset:452
	buffer_store_dword v3, off, s[0:3], 0 offset:448
	;; [unrolled: 1-line block ×4, first 2 shown]
.LBB27_123:
	s_or_b32 exec_lo, exec_lo, s4
	s_mov_b32 s5, -1
	s_waitcnt_vscnt null, 0x0
	s_barrier
	buffer_gl0_inv
.LBB27_124:
	s_and_b32 vcc_lo, exec_lo, s5
	s_cbranch_vccz .LBB27_126
; %bb.125:
	s_lshl_b64 s[4:5], s[6:7], 2
	v_mov_b32_e32 v1, 0
	s_add_u32 s4, s10, s4
	s_addc_u32 s5, s11, s5
	global_load_dword v1, v1, s[4:5]
	s_waitcnt vmcnt(0)
	v_cmp_ne_u32_e32 vcc_lo, 0, v1
	s_cbranch_vccz .LBB27_127
.LBB27_126:
	s_endpgm
.LBB27_127:
	v_lshl_add_u32 v1, v0, 4, 0x1c0
	s_mov_b32 s4, exec_lo
	v_cmpx_eq_u32_e32 27, v0
	s_cbranch_execz .LBB27_129
; %bb.128:
	v_mov_b32_e32 v2, s9
	s_clause 0x3
	buffer_load_dword v61, v2, s[0:3], 0 offen
	buffer_load_dword v62, v2, s[0:3], 0 offen offset:4
	buffer_load_dword v63, v2, s[0:3], 0 offen offset:8
	;; [unrolled: 1-line block ×3, first 2 shown]
	v_mov_b32_e32 v2, 0
	buffer_store_dword v2, off, s[0:3], 0 offset:432
	buffer_store_dword v2, off, s[0:3], 0 offset:436
	;; [unrolled: 1-line block ×4, first 2 shown]
	s_waitcnt vmcnt(0)
	ds_write_b128 v1, v[61:64]
.LBB27_129:
	s_or_b32 exec_lo, exec_lo, s4
	s_waitcnt lgkmcnt(0)
	s_waitcnt_vscnt null, 0x0
	s_barrier
	buffer_gl0_inv
	s_clause 0x7
	buffer_load_dword v3, off, s[0:3], 0 offset:456
	buffer_load_dword v4, off, s[0:3], 0 offset:460
	;; [unrolled: 1-line block ×8, first 2 shown]
	v_mov_b32_e32 v2, 0
	s_mov_b32 s4, exec_lo
	ds_read_b128 v[61:64], v2 offset:880
	s_waitcnt vmcnt(6) lgkmcnt(0)
	v_mul_f64 v[71:72], v[63:64], v[3:4]
	v_mul_f64 v[3:4], v[61:62], v[3:4]
	s_waitcnt vmcnt(4)
	v_fma_f64 v[61:62], v[61:62], v[65:66], -v[71:72]
	v_fma_f64 v[3:4], v[63:64], v[65:66], v[3:4]
	v_add_f64 v[61:62], v[61:62], 0
	v_add_f64 v[3:4], v[3:4], 0
	s_waitcnt vmcnt(2)
	v_add_f64 v[61:62], v[67:68], -v[61:62]
	s_waitcnt vmcnt(0)
	v_add_f64 v[3:4], v[69:70], -v[3:4]
	buffer_store_dword v61, off, s[0:3], 0 offset:432
	buffer_store_dword v62, off, s[0:3], 0 offset:436
	;; [unrolled: 1-line block ×4, first 2 shown]
	v_cmpx_lt_u32_e32 25, v0
	s_cbranch_execz .LBB27_131
; %bb.130:
	v_mov_b32_e32 v3, s12
	s_clause 0x3
	buffer_load_dword v61, v3, s[0:3], 0 offen
	buffer_load_dword v62, v3, s[0:3], 0 offen offset:4
	buffer_load_dword v63, v3, s[0:3], 0 offen offset:8
	;; [unrolled: 1-line block ×3, first 2 shown]
	buffer_store_dword v2, off, s[0:3], 0 offset:416
	buffer_store_dword v2, off, s[0:3], 0 offset:420
	;; [unrolled: 1-line block ×4, first 2 shown]
	s_waitcnt vmcnt(0)
	ds_write_b128 v1, v[61:64]
.LBB27_131:
	s_or_b32 exec_lo, exec_lo, s4
	s_waitcnt lgkmcnt(0)
	s_waitcnt_vscnt null, 0x0
	s_barrier
	buffer_gl0_inv
	s_clause 0xb
	buffer_load_dword v3, off, s[0:3], 0 offset:440
	buffer_load_dword v4, off, s[0:3], 0 offset:444
	;; [unrolled: 1-line block ×12, first 2 shown]
	ds_read_b128 v[61:64], v2 offset:864
	ds_read_b128 v[65:68], v2 offset:880
	s_mov_b32 s4, exec_lo
	s_waitcnt vmcnt(10) lgkmcnt(1)
	v_mul_f64 v[79:80], v[63:64], v[3:4]
	v_mul_f64 v[2:3], v[61:62], v[3:4]
	s_waitcnt vmcnt(8) lgkmcnt(0)
	v_mul_f64 v[81:82], v[67:68], v[69:70]
	v_mul_f64 v[69:70], v[65:66], v[69:70]
	s_waitcnt vmcnt(6)
	v_fma_f64 v[61:62], v[61:62], v[71:72], -v[79:80]
	v_fma_f64 v[2:3], v[63:64], v[71:72], v[2:3]
	s_waitcnt vmcnt(4)
	v_fma_f64 v[63:64], v[65:66], v[73:74], -v[81:82]
	v_fma_f64 v[65:66], v[67:68], v[73:74], v[69:70]
	v_add_f64 v[61:62], v[61:62], 0
	v_add_f64 v[2:3], v[2:3], 0
	;; [unrolled: 1-line block ×4, first 2 shown]
	s_waitcnt vmcnt(2)
	v_add_f64 v[61:62], v[75:76], -v[61:62]
	s_waitcnt vmcnt(0)
	v_add_f64 v[2:3], v[77:78], -v[2:3]
	buffer_store_dword v61, off, s[0:3], 0 offset:416
	buffer_store_dword v62, off, s[0:3], 0 offset:420
	buffer_store_dword v2, off, s[0:3], 0 offset:424
	buffer_store_dword v3, off, s[0:3], 0 offset:428
	v_cmpx_lt_u32_e32 24, v0
	s_cbranch_execz .LBB27_133
; %bb.132:
	v_mov_b32_e32 v2, s13
	s_clause 0x3
	buffer_load_dword v61, v2, s[0:3], 0 offen
	buffer_load_dword v62, v2, s[0:3], 0 offen offset:4
	buffer_load_dword v63, v2, s[0:3], 0 offen offset:8
	;; [unrolled: 1-line block ×3, first 2 shown]
	v_mov_b32_e32 v2, 0
	buffer_store_dword v2, off, s[0:3], 0 offset:400
	buffer_store_dword v2, off, s[0:3], 0 offset:404
	;; [unrolled: 1-line block ×4, first 2 shown]
	s_waitcnt vmcnt(0)
	ds_write_b128 v1, v[61:64]
.LBB27_133:
	s_or_b32 exec_lo, exec_lo, s4
	s_waitcnt lgkmcnt(0)
	s_waitcnt_vscnt null, 0x0
	s_barrier
	buffer_gl0_inv
	s_clause 0xf
	buffer_load_dword v3, off, s[0:3], 0 offset:424
	buffer_load_dword v4, off, s[0:3], 0 offset:428
	;; [unrolled: 1-line block ×16, first 2 shown]
	v_mov_b32_e32 v2, 0
	ds_read_b128 v[61:64], v2 offset:848
	ds_read_b128 v[65:68], v2 offset:864
	;; [unrolled: 1-line block ×3, first 2 shown]
	s_mov_b32 s4, exec_lo
	s_waitcnt vmcnt(14) lgkmcnt(2)
	v_mul_f64 v[87:88], v[63:64], v[3:4]
	v_mul_f64 v[3:4], v[61:62], v[3:4]
	s_waitcnt vmcnt(12) lgkmcnt(1)
	v_mul_f64 v[89:90], v[67:68], v[73:74]
	v_mul_f64 v[73:74], v[65:66], v[73:74]
	s_waitcnt vmcnt(10)
	v_fma_f64 v[61:62], v[61:62], v[75:76], -v[87:88]
	v_fma_f64 v[3:4], v[63:64], v[75:76], v[3:4]
	s_waitcnt vmcnt(8) lgkmcnt(0)
	v_mul_f64 v[75:76], v[71:72], v[77:78]
	s_waitcnt vmcnt(6)
	v_fma_f64 v[65:66], v[65:66], v[79:80], -v[89:90]
	v_mul_f64 v[63:64], v[69:70], v[77:78]
	v_fma_f64 v[67:68], v[67:68], v[79:80], v[73:74]
	v_add_f64 v[61:62], v[61:62], 0
	v_add_f64 v[3:4], v[3:4], 0
	s_waitcnt vmcnt(4)
	v_fma_f64 v[69:70], v[69:70], v[81:82], -v[75:76]
	v_fma_f64 v[63:64], v[71:72], v[81:82], v[63:64]
	v_add_f64 v[61:62], v[61:62], v[65:66]
	v_add_f64 v[3:4], v[3:4], v[67:68]
	;; [unrolled: 1-line block ×4, first 2 shown]
	s_waitcnt vmcnt(2)
	v_add_f64 v[61:62], v[83:84], -v[61:62]
	s_waitcnt vmcnt(0)
	v_add_f64 v[3:4], v[85:86], -v[3:4]
	buffer_store_dword v61, off, s[0:3], 0 offset:400
	buffer_store_dword v62, off, s[0:3], 0 offset:404
	;; [unrolled: 1-line block ×4, first 2 shown]
	v_cmpx_lt_u32_e32 23, v0
	s_cbranch_execz .LBB27_135
; %bb.134:
	v_mov_b32_e32 v3, s14
	s_clause 0x3
	buffer_load_dword v61, v3, s[0:3], 0 offen
	buffer_load_dword v62, v3, s[0:3], 0 offen offset:4
	buffer_load_dword v63, v3, s[0:3], 0 offen offset:8
	;; [unrolled: 1-line block ×3, first 2 shown]
	buffer_store_dword v2, off, s[0:3], 0 offset:384
	buffer_store_dword v2, off, s[0:3], 0 offset:388
	;; [unrolled: 1-line block ×4, first 2 shown]
	s_waitcnt vmcnt(0)
	ds_write_b128 v1, v[61:64]
.LBB27_135:
	s_or_b32 exec_lo, exec_lo, s4
	s_waitcnt lgkmcnt(0)
	s_waitcnt_vscnt null, 0x0
	s_barrier
	buffer_gl0_inv
	s_clause 0x13
	buffer_load_dword v3, off, s[0:3], 0 offset:408
	buffer_load_dword v4, off, s[0:3], 0 offset:412
	;; [unrolled: 1-line block ×20, first 2 shown]
	ds_read_b128 v[61:64], v2 offset:832
	ds_read_b128 v[65:68], v2 offset:848
	;; [unrolled: 1-line block ×3, first 2 shown]
	s_mov_b32 s4, exec_lo
	s_waitcnt vmcnt(18) lgkmcnt(2)
	v_mul_f64 v[91:92], v[63:64], v[3:4]
	v_mul_f64 v[3:4], v[61:62], v[3:4]
	s_waitcnt vmcnt(16) lgkmcnt(1)
	v_mul_f64 v[93:94], v[67:68], v[73:74]
	v_mul_f64 v[73:74], v[65:66], v[73:74]
	s_waitcnt vmcnt(14)
	v_fma_f64 v[91:92], v[61:62], v[75:76], -v[91:92]
	v_fma_f64 v[3:4], v[63:64], v[75:76], v[3:4]
	ds_read_b128 v[61:64], v2 offset:880
	s_waitcnt vmcnt(12) lgkmcnt(1)
	v_mul_f64 v[75:76], v[69:70], v[77:78]
	v_mul_f64 v[77:78], v[71:72], v[77:78]
	s_waitcnt vmcnt(10)
	v_fma_f64 v[65:66], v[65:66], v[79:80], -v[93:94]
	v_fma_f64 v[67:68], v[67:68], v[79:80], v[73:74]
	s_waitcnt vmcnt(8) lgkmcnt(0)
	v_mul_f64 v[79:80], v[63:64], v[81:82]
	v_add_f64 v[91:92], v[91:92], 0
	v_add_f64 v[2:3], v[3:4], 0
	v_mul_f64 v[73:74], v[61:62], v[81:82]
	s_waitcnt vmcnt(6)
	v_fma_f64 v[69:70], v[69:70], v[83:84], -v[77:78]
	v_fma_f64 v[71:72], v[71:72], v[83:84], v[75:76]
	s_waitcnt vmcnt(4)
	v_fma_f64 v[61:62], v[61:62], v[85:86], -v[79:80]
	v_add_f64 v[65:66], v[91:92], v[65:66]
	v_add_f64 v[2:3], v[2:3], v[67:68]
	v_fma_f64 v[63:64], v[63:64], v[85:86], v[73:74]
	v_add_f64 v[65:66], v[65:66], v[69:70]
	v_add_f64 v[2:3], v[2:3], v[71:72]
	;; [unrolled: 1-line block ×4, first 2 shown]
	s_waitcnt vmcnt(2)
	v_add_f64 v[61:62], v[87:88], -v[61:62]
	s_waitcnt vmcnt(0)
	v_add_f64 v[2:3], v[89:90], -v[2:3]
	buffer_store_dword v61, off, s[0:3], 0 offset:384
	buffer_store_dword v62, off, s[0:3], 0 offset:388
	;; [unrolled: 1-line block ×4, first 2 shown]
	v_cmpx_lt_u32_e32 22, v0
	s_cbranch_execz .LBB27_137
; %bb.136:
	v_mov_b32_e32 v2, s15
	s_clause 0x3
	buffer_load_dword v61, v2, s[0:3], 0 offen
	buffer_load_dword v62, v2, s[0:3], 0 offen offset:4
	buffer_load_dword v63, v2, s[0:3], 0 offen offset:8
	;; [unrolled: 1-line block ×3, first 2 shown]
	v_mov_b32_e32 v2, 0
	buffer_store_dword v2, off, s[0:3], 0 offset:368
	buffer_store_dword v2, off, s[0:3], 0 offset:372
	;; [unrolled: 1-line block ×4, first 2 shown]
	s_waitcnt vmcnt(0)
	ds_write_b128 v1, v[61:64]
.LBB27_137:
	s_or_b32 exec_lo, exec_lo, s4
	s_waitcnt lgkmcnt(0)
	s_waitcnt_vscnt null, 0x0
	s_barrier
	buffer_gl0_inv
	s_clause 0x17
	buffer_load_dword v3, off, s[0:3], 0 offset:392
	buffer_load_dword v4, off, s[0:3], 0 offset:396
	;; [unrolled: 1-line block ×24, first 2 shown]
	v_mov_b32_e32 v2, 0
	ds_read_b128 v[61:64], v2 offset:816
	ds_read_b128 v[65:68], v2 offset:832
	;; [unrolled: 1-line block ×3, first 2 shown]
	s_mov_b32 s4, exec_lo
	s_waitcnt vmcnt(22) lgkmcnt(2)
	v_mul_f64 v[95:96], v[63:64], v[3:4]
	v_mul_f64 v[3:4], v[61:62], v[3:4]
	s_waitcnt vmcnt(20) lgkmcnt(1)
	v_mul_f64 v[97:98], v[67:68], v[73:74]
	v_mul_f64 v[73:74], v[65:66], v[73:74]
	s_waitcnt vmcnt(18)
	v_fma_f64 v[95:96], v[61:62], v[75:76], -v[95:96]
	v_fma_f64 v[3:4], v[63:64], v[75:76], v[3:4]
	ds_read_b128 v[61:64], v2 offset:864
	s_waitcnt vmcnt(16) lgkmcnt(1)
	v_mul_f64 v[75:76], v[69:70], v[77:78]
	v_mul_f64 v[77:78], v[71:72], v[77:78]
	s_waitcnt vmcnt(14)
	v_fma_f64 v[97:98], v[65:66], v[79:80], -v[97:98]
	v_fma_f64 v[73:74], v[67:68], v[79:80], v[73:74]
	ds_read_b128 v[65:68], v2 offset:880
	s_waitcnt vmcnt(10) lgkmcnt(1)
	v_mul_f64 v[79:80], v[61:62], v[81:82]
	v_add_f64 v[95:96], v[95:96], 0
	v_add_f64 v[3:4], v[3:4], 0
	v_mul_f64 v[81:82], v[63:64], v[81:82]
	s_waitcnt vmcnt(8)
	v_fma_f64 v[69:70], v[69:70], v[87:88], -v[77:78]
	v_fma_f64 v[71:72], v[71:72], v[87:88], v[75:76]
	s_waitcnt vmcnt(7) lgkmcnt(0)
	v_mul_f64 v[75:76], v[67:68], v[83:84]
	s_waitcnt vmcnt(5)
	v_fma_f64 v[63:64], v[63:64], v[89:90], v[79:80]
	v_add_f64 v[77:78], v[95:96], v[97:98]
	v_add_f64 v[3:4], v[3:4], v[73:74]
	v_fma_f64 v[61:62], v[61:62], v[89:90], -v[81:82]
	v_mul_f64 v[73:74], v[65:66], v[83:84]
	s_waitcnt vmcnt(4)
	v_fma_f64 v[65:66], v[65:66], v[85:86], -v[75:76]
	v_add_f64 v[69:70], v[77:78], v[69:70]
	v_add_f64 v[3:4], v[3:4], v[71:72]
	v_fma_f64 v[67:68], v[67:68], v[85:86], v[73:74]
	v_add_f64 v[61:62], v[69:70], v[61:62]
	v_add_f64 v[3:4], v[3:4], v[63:64]
	;; [unrolled: 1-line block ×4, first 2 shown]
	s_waitcnt vmcnt(2)
	v_add_f64 v[61:62], v[91:92], -v[61:62]
	s_waitcnt vmcnt(0)
	v_add_f64 v[3:4], v[93:94], -v[3:4]
	buffer_store_dword v62, off, s[0:3], 0 offset:372
	buffer_store_dword v61, off, s[0:3], 0 offset:368
	;; [unrolled: 1-line block ×4, first 2 shown]
	v_cmpx_lt_u32_e32 21, v0
	s_cbranch_execz .LBB27_139
; %bb.138:
	v_mov_b32_e32 v3, s16
	s_clause 0x3
	buffer_load_dword v61, v3, s[0:3], 0 offen
	buffer_load_dword v62, v3, s[0:3], 0 offen offset:4
	buffer_load_dword v63, v3, s[0:3], 0 offen offset:8
	;; [unrolled: 1-line block ×3, first 2 shown]
	buffer_store_dword v2, off, s[0:3], 0 offset:352
	buffer_store_dword v2, off, s[0:3], 0 offset:356
	;; [unrolled: 1-line block ×4, first 2 shown]
	s_waitcnt vmcnt(0)
	ds_write_b128 v1, v[61:64]
.LBB27_139:
	s_or_b32 exec_lo, exec_lo, s4
	s_waitcnt lgkmcnt(0)
	s_waitcnt_vscnt null, 0x0
	s_barrier
	buffer_gl0_inv
	s_clause 0x1b
	buffer_load_dword v3, off, s[0:3], 0 offset:376
	buffer_load_dword v4, off, s[0:3], 0 offset:380
	;; [unrolled: 1-line block ×28, first 2 shown]
	ds_read_b128 v[61:64], v2 offset:800
	ds_read_b128 v[65:68], v2 offset:816
	;; [unrolled: 1-line block ×3, first 2 shown]
	s_mov_b32 s4, exec_lo
	s_waitcnt vmcnt(26) lgkmcnt(2)
	v_mul_f64 v[99:100], v[63:64], v[3:4]
	v_mul_f64 v[3:4], v[61:62], v[3:4]
	s_waitcnt vmcnt(24) lgkmcnt(1)
	v_mul_f64 v[101:102], v[67:68], v[73:74]
	v_mul_f64 v[73:74], v[65:66], v[73:74]
	s_waitcnt vmcnt(22)
	v_fma_f64 v[99:100], v[61:62], v[75:76], -v[99:100]
	v_fma_f64 v[3:4], v[63:64], v[75:76], v[3:4]
	ds_read_b128 v[61:64], v2 offset:848
	s_waitcnt vmcnt(20) lgkmcnt(1)
	v_mul_f64 v[75:76], v[69:70], v[77:78]
	v_mul_f64 v[77:78], v[71:72], v[77:78]
	s_waitcnt vmcnt(18)
	v_fma_f64 v[101:102], v[65:66], v[79:80], -v[101:102]
	v_fma_f64 v[73:74], v[67:68], v[79:80], v[73:74]
	ds_read_b128 v[65:68], v2 offset:864
	s_waitcnt vmcnt(14) lgkmcnt(1)
	v_mul_f64 v[79:80], v[61:62], v[81:82]
	v_add_f64 v[99:100], v[99:100], 0
	v_add_f64 v[3:4], v[3:4], 0
	v_mul_f64 v[81:82], v[63:64], v[81:82]
	s_waitcnt vmcnt(12)
	v_fma_f64 v[77:78], v[69:70], v[87:88], -v[77:78]
	v_fma_f64 v[75:76], v[71:72], v[87:88], v[75:76]
	ds_read_b128 v[69:72], v2 offset:880
	s_waitcnt vmcnt(9)
	v_fma_f64 v[63:64], v[63:64], v[89:90], v[79:80]
	v_add_f64 v[99:100], v[99:100], v[101:102]
	v_add_f64 v[3:4], v[3:4], v[73:74]
	s_waitcnt lgkmcnt(1)
	v_mul_f64 v[73:74], v[65:66], v[83:84]
	v_mul_f64 v[83:84], v[67:68], v[83:84]
	v_fma_f64 v[61:62], v[61:62], v[89:90], -v[81:82]
	s_waitcnt vmcnt(7) lgkmcnt(0)
	v_mul_f64 v[79:80], v[71:72], v[91:92]
	v_add_f64 v[77:78], v[99:100], v[77:78]
	v_add_f64 v[2:3], v[3:4], v[75:76]
	v_mul_f64 v[75:76], v[69:70], v[91:92]
	s_waitcnt vmcnt(6)
	v_fma_f64 v[65:66], v[65:66], v[85:86], -v[83:84]
	v_fma_f64 v[67:68], v[67:68], v[85:86], v[73:74]
	v_add_f64 v[61:62], v[77:78], v[61:62]
	v_add_f64 v[2:3], v[2:3], v[63:64]
	s_waitcnt vmcnt(4)
	v_fma_f64 v[63:64], v[69:70], v[93:94], -v[79:80]
	v_add_f64 v[61:62], v[61:62], v[65:66]
	v_fma_f64 v[65:66], v[71:72], v[93:94], v[75:76]
	v_add_f64 v[2:3], v[2:3], v[67:68]
	v_add_f64 v[61:62], v[61:62], v[63:64]
	;; [unrolled: 1-line block ×3, first 2 shown]
	s_waitcnt vmcnt(2)
	v_add_f64 v[61:62], v[95:96], -v[61:62]
	s_waitcnt vmcnt(0)
	v_add_f64 v[2:3], v[97:98], -v[2:3]
	buffer_store_dword v62, off, s[0:3], 0 offset:356
	buffer_store_dword v61, off, s[0:3], 0 offset:352
	;; [unrolled: 1-line block ×4, first 2 shown]
	v_cmpx_lt_u32_e32 20, v0
	s_cbranch_execz .LBB27_141
; %bb.140:
	v_mov_b32_e32 v2, s17
	s_clause 0x3
	buffer_load_dword v61, v2, s[0:3], 0 offen
	buffer_load_dword v62, v2, s[0:3], 0 offen offset:4
	buffer_load_dword v63, v2, s[0:3], 0 offen offset:8
	;; [unrolled: 1-line block ×3, first 2 shown]
	v_mov_b32_e32 v2, 0
	buffer_store_dword v2, off, s[0:3], 0 offset:336
	buffer_store_dword v2, off, s[0:3], 0 offset:340
	;; [unrolled: 1-line block ×4, first 2 shown]
	s_waitcnt vmcnt(0)
	ds_write_b128 v1, v[61:64]
.LBB27_141:
	s_or_b32 exec_lo, exec_lo, s4
	s_waitcnt lgkmcnt(0)
	s_waitcnt_vscnt null, 0x0
	s_barrier
	buffer_gl0_inv
	s_clause 0x1f
	buffer_load_dword v3, off, s[0:3], 0 offset:360
	buffer_load_dword v4, off, s[0:3], 0 offset:364
	;; [unrolled: 1-line block ×32, first 2 shown]
	v_mov_b32_e32 v2, 0
	ds_read_b128 v[61:64], v2 offset:784
	ds_read_b128 v[65:68], v2 offset:800
	ds_read_b128 v[69:72], v2 offset:816
	s_mov_b32 s4, exec_lo
	s_waitcnt vmcnt(30) lgkmcnt(2)
	v_mul_f64 v[103:104], v[63:64], v[3:4]
	v_mul_f64 v[3:4], v[61:62], v[3:4]
	s_waitcnt vmcnt(28) lgkmcnt(1)
	v_mul_f64 v[105:106], v[67:68], v[73:74]
	v_mul_f64 v[73:74], v[65:66], v[73:74]
	s_waitcnt vmcnt(26)
	v_fma_f64 v[103:104], v[61:62], v[75:76], -v[103:104]
	v_fma_f64 v[3:4], v[63:64], v[75:76], v[3:4]
	ds_read_b128 v[61:64], v2 offset:832
	s_waitcnt vmcnt(24) lgkmcnt(1)
	v_mul_f64 v[75:76], v[69:70], v[77:78]
	v_mul_f64 v[77:78], v[71:72], v[77:78]
	s_waitcnt vmcnt(22)
	v_fma_f64 v[105:106], v[65:66], v[79:80], -v[105:106]
	v_fma_f64 v[73:74], v[67:68], v[79:80], v[73:74]
	ds_read_b128 v[65:68], v2 offset:848
	s_waitcnt vmcnt(18) lgkmcnt(1)
	v_mul_f64 v[79:80], v[61:62], v[81:82]
	v_add_f64 v[103:104], v[103:104], 0
	v_add_f64 v[3:4], v[3:4], 0
	v_mul_f64 v[81:82], v[63:64], v[81:82]
	s_waitcnt vmcnt(16)
	v_fma_f64 v[77:78], v[69:70], v[87:88], -v[77:78]
	v_fma_f64 v[75:76], v[71:72], v[87:88], v[75:76]
	ds_read_b128 v[69:72], v2 offset:864
	s_waitcnt vmcnt(13)
	v_fma_f64 v[79:80], v[63:64], v[89:90], v[79:80]
	v_add_f64 v[103:104], v[103:104], v[105:106]
	v_add_f64 v[3:4], v[3:4], v[73:74]
	s_waitcnt lgkmcnt(1)
	v_mul_f64 v[73:74], v[65:66], v[83:84]
	v_mul_f64 v[83:84], v[67:68], v[83:84]
	v_fma_f64 v[81:82], v[61:62], v[89:90], -v[81:82]
	s_waitcnt vmcnt(9) lgkmcnt(0)
	v_mul_f64 v[87:88], v[71:72], v[91:92]
	ds_read_b128 v[61:64], v2 offset:880
	v_add_f64 v[77:78], v[103:104], v[77:78]
	v_add_f64 v[3:4], v[3:4], v[75:76]
	v_mul_f64 v[75:76], v[69:70], v[91:92]
	s_waitcnt vmcnt(8)
	v_fma_f64 v[65:66], v[65:66], v[85:86], -v[83:84]
	v_fma_f64 v[67:68], v[67:68], v[85:86], v[73:74]
	s_waitcnt vmcnt(5)
	v_fma_f64 v[69:70], v[69:70], v[97:98], -v[87:88]
	s_waitcnt lgkmcnt(0)
	v_mul_f64 v[73:74], v[61:62], v[93:94]
	v_add_f64 v[77:78], v[77:78], v[81:82]
	v_add_f64 v[3:4], v[3:4], v[79:80]
	v_mul_f64 v[79:80], v[63:64], v[93:94]
	v_fma_f64 v[71:72], v[71:72], v[97:98], v[75:76]
	s_waitcnt vmcnt(4)
	v_fma_f64 v[63:64], v[63:64], v[95:96], v[73:74]
	v_add_f64 v[65:66], v[77:78], v[65:66]
	v_add_f64 v[3:4], v[3:4], v[67:68]
	v_fma_f64 v[61:62], v[61:62], v[95:96], -v[79:80]
	v_add_f64 v[65:66], v[65:66], v[69:70]
	v_add_f64 v[3:4], v[3:4], v[71:72]
	;; [unrolled: 1-line block ×4, first 2 shown]
	s_waitcnt vmcnt(2)
	v_add_f64 v[61:62], v[99:100], -v[61:62]
	s_waitcnt vmcnt(0)
	v_add_f64 v[3:4], v[101:102], -v[3:4]
	buffer_store_dword v62, off, s[0:3], 0 offset:340
	buffer_store_dword v61, off, s[0:3], 0 offset:336
	;; [unrolled: 1-line block ×4, first 2 shown]
	v_cmpx_lt_u32_e32 19, v0
	s_cbranch_execz .LBB27_143
; %bb.142:
	v_mov_b32_e32 v3, s18
	s_clause 0x3
	buffer_load_dword v61, v3, s[0:3], 0 offen
	buffer_load_dword v62, v3, s[0:3], 0 offen offset:4
	buffer_load_dword v63, v3, s[0:3], 0 offen offset:8
	;; [unrolled: 1-line block ×3, first 2 shown]
	buffer_store_dword v2, off, s[0:3], 0 offset:320
	buffer_store_dword v2, off, s[0:3], 0 offset:324
	;; [unrolled: 1-line block ×4, first 2 shown]
	s_waitcnt vmcnt(0)
	ds_write_b128 v1, v[61:64]
.LBB27_143:
	s_or_b32 exec_lo, exec_lo, s4
	s_waitcnt lgkmcnt(0)
	s_waitcnt_vscnt null, 0x0
	s_barrier
	buffer_gl0_inv
	s_clause 0x23
	buffer_load_dword v3, off, s[0:3], 0 offset:344
	buffer_load_dword v4, off, s[0:3], 0 offset:348
	;; [unrolled: 1-line block ×36, first 2 shown]
	ds_read_b128 v[61:64], v2 offset:768
	ds_read_b128 v[65:68], v2 offset:784
	;; [unrolled: 1-line block ×3, first 2 shown]
	s_mov_b32 s4, exec_lo
	s_waitcnt vmcnt(34) lgkmcnt(2)
	v_mul_f64 v[107:108], v[63:64], v[3:4]
	v_mul_f64 v[3:4], v[61:62], v[3:4]
	s_waitcnt vmcnt(32) lgkmcnt(1)
	v_mul_f64 v[109:110], v[67:68], v[73:74]
	v_mul_f64 v[73:74], v[65:66], v[73:74]
	s_waitcnt vmcnt(30)
	v_fma_f64 v[107:108], v[61:62], v[75:76], -v[107:108]
	v_fma_f64 v[3:4], v[63:64], v[75:76], v[3:4]
	ds_read_b128 v[61:64], v2 offset:816
	s_waitcnt vmcnt(28) lgkmcnt(1)
	v_mul_f64 v[75:76], v[69:70], v[77:78]
	v_mul_f64 v[77:78], v[71:72], v[77:78]
	s_waitcnt vmcnt(26)
	v_fma_f64 v[109:110], v[65:66], v[79:80], -v[109:110]
	v_fma_f64 v[73:74], v[67:68], v[79:80], v[73:74]
	ds_read_b128 v[65:68], v2 offset:832
	s_waitcnt vmcnt(22) lgkmcnt(1)
	v_mul_f64 v[79:80], v[61:62], v[81:82]
	v_add_f64 v[107:108], v[107:108], 0
	v_add_f64 v[3:4], v[3:4], 0
	v_mul_f64 v[81:82], v[63:64], v[81:82]
	s_waitcnt vmcnt(20)
	v_fma_f64 v[77:78], v[69:70], v[87:88], -v[77:78]
	v_fma_f64 v[75:76], v[71:72], v[87:88], v[75:76]
	ds_read_b128 v[69:72], v2 offset:848
	s_waitcnt vmcnt(17)
	v_fma_f64 v[79:80], v[63:64], v[89:90], v[79:80]
	v_add_f64 v[107:108], v[107:108], v[109:110]
	v_add_f64 v[3:4], v[3:4], v[73:74]
	s_waitcnt lgkmcnt(1)
	v_mul_f64 v[73:74], v[65:66], v[83:84]
	v_mul_f64 v[83:84], v[67:68], v[83:84]
	v_fma_f64 v[81:82], v[61:62], v[89:90], -v[81:82]
	s_waitcnt vmcnt(13) lgkmcnt(0)
	v_mul_f64 v[87:88], v[71:72], v[91:92]
	ds_read_b128 v[61:64], v2 offset:864
	v_add_f64 v[77:78], v[107:108], v[77:78]
	v_add_f64 v[3:4], v[3:4], v[75:76]
	v_mul_f64 v[75:76], v[69:70], v[91:92]
	s_waitcnt vmcnt(12)
	v_fma_f64 v[83:84], v[65:66], v[85:86], -v[83:84]
	v_fma_f64 v[73:74], v[67:68], v[85:86], v[73:74]
	ds_read_b128 v[65:68], v2 offset:880
	s_waitcnt vmcnt(9)
	v_fma_f64 v[69:70], v[69:70], v[97:98], -v[87:88]
	v_add_f64 v[77:78], v[77:78], v[81:82]
	v_add_f64 v[3:4], v[3:4], v[79:80]
	s_waitcnt lgkmcnt(1)
	v_mul_f64 v[81:82], v[63:64], v[93:94]
	v_mul_f64 v[79:80], v[61:62], v[93:94]
	v_fma_f64 v[71:72], v[71:72], v[97:98], v[75:76]
	s_waitcnt vmcnt(7) lgkmcnt(0)
	v_mul_f64 v[75:76], v[67:68], v[99:100]
	v_add_f64 v[77:78], v[77:78], v[83:84]
	v_add_f64 v[2:3], v[3:4], v[73:74]
	s_waitcnt vmcnt(6)
	v_fma_f64 v[61:62], v[61:62], v[95:96], -v[81:82]
	v_mul_f64 v[73:74], v[65:66], v[99:100]
	v_fma_f64 v[63:64], v[63:64], v[95:96], v[79:80]
	s_waitcnt vmcnt(4)
	v_fma_f64 v[65:66], v[65:66], v[101:102], -v[75:76]
	v_add_f64 v[69:70], v[77:78], v[69:70]
	v_add_f64 v[2:3], v[2:3], v[71:72]
	v_fma_f64 v[67:68], v[67:68], v[101:102], v[73:74]
	v_add_f64 v[61:62], v[69:70], v[61:62]
	v_add_f64 v[2:3], v[2:3], v[63:64]
	;; [unrolled: 1-line block ×4, first 2 shown]
	s_waitcnt vmcnt(2)
	v_add_f64 v[61:62], v[103:104], -v[61:62]
	s_waitcnt vmcnt(0)
	v_add_f64 v[2:3], v[105:106], -v[2:3]
	buffer_store_dword v62, off, s[0:3], 0 offset:324
	buffer_store_dword v61, off, s[0:3], 0 offset:320
	;; [unrolled: 1-line block ×4, first 2 shown]
	v_cmpx_lt_u32_e32 18, v0
	s_cbranch_execz .LBB27_145
; %bb.144:
	v_mov_b32_e32 v2, s19
	s_clause 0x3
	buffer_load_dword v61, v2, s[0:3], 0 offen
	buffer_load_dword v62, v2, s[0:3], 0 offen offset:4
	buffer_load_dword v63, v2, s[0:3], 0 offen offset:8
	;; [unrolled: 1-line block ×3, first 2 shown]
	v_mov_b32_e32 v2, 0
	buffer_store_dword v2, off, s[0:3], 0 offset:304
	buffer_store_dword v2, off, s[0:3], 0 offset:308
	buffer_store_dword v2, off, s[0:3], 0 offset:312
	buffer_store_dword v2, off, s[0:3], 0 offset:316
	s_waitcnt vmcnt(0)
	ds_write_b128 v1, v[61:64]
.LBB27_145:
	s_or_b32 exec_lo, exec_lo, s4
	s_waitcnt lgkmcnt(0)
	s_waitcnt_vscnt null, 0x0
	s_barrier
	buffer_gl0_inv
	s_clause 0x27
	buffer_load_dword v3, off, s[0:3], 0 offset:328
	buffer_load_dword v4, off, s[0:3], 0 offset:332
	;; [unrolled: 1-line block ×40, first 2 shown]
	v_mov_b32_e32 v2, 0
	ds_read_b128 v[61:64], v2 offset:752
	ds_read_b128 v[65:68], v2 offset:768
	;; [unrolled: 1-line block ×3, first 2 shown]
	s_mov_b32 s4, exec_lo
	s_waitcnt vmcnt(38) lgkmcnt(2)
	v_mul_f64 v[111:112], v[63:64], v[3:4]
	v_mul_f64 v[3:4], v[61:62], v[3:4]
	s_waitcnt vmcnt(36) lgkmcnt(1)
	v_mul_f64 v[113:114], v[67:68], v[73:74]
	v_mul_f64 v[73:74], v[65:66], v[73:74]
	s_waitcnt vmcnt(34)
	v_fma_f64 v[111:112], v[61:62], v[75:76], -v[111:112]
	v_fma_f64 v[3:4], v[63:64], v[75:76], v[3:4]
	ds_read_b128 v[61:64], v2 offset:800
	s_waitcnt vmcnt(32) lgkmcnt(1)
	v_mul_f64 v[75:76], v[69:70], v[77:78]
	v_mul_f64 v[77:78], v[71:72], v[77:78]
	s_waitcnt vmcnt(30)
	v_fma_f64 v[113:114], v[65:66], v[79:80], -v[113:114]
	v_fma_f64 v[73:74], v[67:68], v[79:80], v[73:74]
	ds_read_b128 v[65:68], v2 offset:816
	s_waitcnt vmcnt(26) lgkmcnt(1)
	v_mul_f64 v[79:80], v[61:62], v[81:82]
	v_add_f64 v[111:112], v[111:112], 0
	v_add_f64 v[3:4], v[3:4], 0
	v_mul_f64 v[81:82], v[63:64], v[81:82]
	s_waitcnt vmcnt(24)
	v_fma_f64 v[77:78], v[69:70], v[87:88], -v[77:78]
	v_fma_f64 v[75:76], v[71:72], v[87:88], v[75:76]
	ds_read_b128 v[69:72], v2 offset:832
	s_waitcnt vmcnt(21)
	v_fma_f64 v[79:80], v[63:64], v[89:90], v[79:80]
	v_add_f64 v[111:112], v[111:112], v[113:114]
	v_add_f64 v[3:4], v[3:4], v[73:74]
	s_waitcnt lgkmcnt(1)
	v_mul_f64 v[73:74], v[65:66], v[83:84]
	v_mul_f64 v[83:84], v[67:68], v[83:84]
	v_fma_f64 v[81:82], v[61:62], v[89:90], -v[81:82]
	s_waitcnt vmcnt(17) lgkmcnt(0)
	v_mul_f64 v[87:88], v[71:72], v[91:92]
	ds_read_b128 v[61:64], v2 offset:848
	v_add_f64 v[77:78], v[111:112], v[77:78]
	v_add_f64 v[3:4], v[3:4], v[75:76]
	v_mul_f64 v[75:76], v[69:70], v[91:92]
	s_waitcnt vmcnt(16)
	v_fma_f64 v[83:84], v[65:66], v[85:86], -v[83:84]
	v_fma_f64 v[73:74], v[67:68], v[85:86], v[73:74]
	ds_read_b128 v[65:68], v2 offset:864
	s_waitcnt vmcnt(13)
	v_fma_f64 v[85:86], v[69:70], v[97:98], -v[87:88]
	v_add_f64 v[77:78], v[77:78], v[81:82]
	v_add_f64 v[3:4], v[3:4], v[79:80]
	s_waitcnt lgkmcnt(1)
	v_mul_f64 v[81:82], v[63:64], v[93:94]
	v_mul_f64 v[79:80], v[61:62], v[93:94]
	v_fma_f64 v[75:76], v[71:72], v[97:98], v[75:76]
	ds_read_b128 v[69:72], v2 offset:880
	v_add_f64 v[77:78], v[77:78], v[83:84]
	v_add_f64 v[3:4], v[3:4], v[73:74]
	s_waitcnt vmcnt(9) lgkmcnt(1)
	v_mul_f64 v[83:84], v[67:68], v[99:100]
	s_waitcnt vmcnt(8)
	v_fma_f64 v[61:62], v[61:62], v[95:96], -v[81:82]
	v_mul_f64 v[73:74], v[65:66], v[99:100]
	v_fma_f64 v[63:64], v[63:64], v[95:96], v[79:80]
	s_waitcnt vmcnt(7) lgkmcnt(0)
	v_mul_f64 v[79:80], v[71:72], v[101:102]
	v_add_f64 v[77:78], v[77:78], v[85:86]
	v_add_f64 v[3:4], v[3:4], v[75:76]
	s_waitcnt vmcnt(5)
	v_fma_f64 v[65:66], v[65:66], v[105:106], -v[83:84]
	v_mul_f64 v[75:76], v[69:70], v[101:102]
	v_fma_f64 v[67:68], v[67:68], v[105:106], v[73:74]
	v_add_f64 v[61:62], v[77:78], v[61:62]
	v_add_f64 v[3:4], v[3:4], v[63:64]
	s_waitcnt vmcnt(4)
	v_fma_f64 v[63:64], v[69:70], v[103:104], -v[79:80]
	v_add_f64 v[61:62], v[61:62], v[65:66]
	v_fma_f64 v[65:66], v[71:72], v[103:104], v[75:76]
	v_add_f64 v[3:4], v[3:4], v[67:68]
	v_add_f64 v[61:62], v[61:62], v[63:64]
	v_add_f64 v[3:4], v[3:4], v[65:66]
	s_waitcnt vmcnt(2)
	v_add_f64 v[61:62], v[107:108], -v[61:62]
	s_waitcnt vmcnt(0)
	v_add_f64 v[3:4], v[109:110], -v[3:4]
	buffer_store_dword v62, off, s[0:3], 0 offset:308
	buffer_store_dword v61, off, s[0:3], 0 offset:304
	buffer_store_dword v4, off, s[0:3], 0 offset:316
	buffer_store_dword v3, off, s[0:3], 0 offset:312
	v_cmpx_lt_u32_e32 17, v0
	s_cbranch_execz .LBB27_147
; %bb.146:
	v_mov_b32_e32 v3, s22
	s_clause 0x3
	buffer_load_dword v61, v3, s[0:3], 0 offen
	buffer_load_dword v62, v3, s[0:3], 0 offen offset:4
	buffer_load_dword v63, v3, s[0:3], 0 offen offset:8
	;; [unrolled: 1-line block ×3, first 2 shown]
	buffer_store_dword v2, off, s[0:3], 0 offset:288
	buffer_store_dword v2, off, s[0:3], 0 offset:292
	;; [unrolled: 1-line block ×4, first 2 shown]
	s_waitcnt vmcnt(0)
	ds_write_b128 v1, v[61:64]
.LBB27_147:
	s_or_b32 exec_lo, exec_lo, s4
	s_waitcnt lgkmcnt(0)
	s_waitcnt_vscnt null, 0x0
	s_barrier
	buffer_gl0_inv
	s_clause 0x2b
	buffer_load_dword v3, off, s[0:3], 0 offset:312
	buffer_load_dword v4, off, s[0:3], 0 offset:316
	;; [unrolled: 1-line block ×44, first 2 shown]
	ds_read_b128 v[61:64], v2 offset:736
	ds_read_b128 v[65:68], v2 offset:752
	;; [unrolled: 1-line block ×3, first 2 shown]
	s_mov_b32 s4, exec_lo
	s_waitcnt vmcnt(42) lgkmcnt(2)
	v_mul_f64 v[115:116], v[63:64], v[3:4]
	v_mul_f64 v[3:4], v[61:62], v[3:4]
	s_waitcnt vmcnt(40) lgkmcnt(1)
	v_mul_f64 v[117:118], v[67:68], v[73:74]
	v_mul_f64 v[73:74], v[65:66], v[73:74]
	s_waitcnt vmcnt(38)
	v_fma_f64 v[115:116], v[61:62], v[75:76], -v[115:116]
	v_fma_f64 v[3:4], v[63:64], v[75:76], v[3:4]
	ds_read_b128 v[61:64], v2 offset:784
	s_waitcnt vmcnt(36) lgkmcnt(1)
	v_mul_f64 v[75:76], v[69:70], v[77:78]
	v_mul_f64 v[77:78], v[71:72], v[77:78]
	s_waitcnt vmcnt(34)
	v_fma_f64 v[117:118], v[65:66], v[79:80], -v[117:118]
	v_fma_f64 v[73:74], v[67:68], v[79:80], v[73:74]
	ds_read_b128 v[65:68], v2 offset:800
	s_waitcnt vmcnt(30) lgkmcnt(1)
	v_mul_f64 v[79:80], v[61:62], v[81:82]
	v_add_f64 v[115:116], v[115:116], 0
	v_add_f64 v[3:4], v[3:4], 0
	v_mul_f64 v[81:82], v[63:64], v[81:82]
	s_waitcnt vmcnt(28)
	v_fma_f64 v[77:78], v[69:70], v[87:88], -v[77:78]
	v_fma_f64 v[75:76], v[71:72], v[87:88], v[75:76]
	ds_read_b128 v[69:72], v2 offset:816
	s_waitcnt vmcnt(25)
	v_fma_f64 v[79:80], v[63:64], v[89:90], v[79:80]
	v_add_f64 v[115:116], v[115:116], v[117:118]
	v_add_f64 v[3:4], v[3:4], v[73:74]
	s_waitcnt lgkmcnt(1)
	v_mul_f64 v[73:74], v[65:66], v[83:84]
	v_mul_f64 v[83:84], v[67:68], v[83:84]
	v_fma_f64 v[81:82], v[61:62], v[89:90], -v[81:82]
	s_waitcnt vmcnt(21) lgkmcnt(0)
	v_mul_f64 v[87:88], v[71:72], v[91:92]
	ds_read_b128 v[61:64], v2 offset:832
	v_add_f64 v[77:78], v[115:116], v[77:78]
	v_add_f64 v[3:4], v[3:4], v[75:76]
	v_mul_f64 v[75:76], v[69:70], v[91:92]
	s_waitcnt vmcnt(20)
	v_fma_f64 v[83:84], v[65:66], v[85:86], -v[83:84]
	v_fma_f64 v[73:74], v[67:68], v[85:86], v[73:74]
	ds_read_b128 v[65:68], v2 offset:848
	s_waitcnt vmcnt(17)
	v_fma_f64 v[85:86], v[69:70], v[97:98], -v[87:88]
	v_add_f64 v[77:78], v[77:78], v[81:82]
	v_add_f64 v[3:4], v[3:4], v[79:80]
	s_waitcnt lgkmcnt(1)
	v_mul_f64 v[81:82], v[63:64], v[93:94]
	v_mul_f64 v[79:80], v[61:62], v[93:94]
	v_fma_f64 v[75:76], v[71:72], v[97:98], v[75:76]
	ds_read_b128 v[69:72], v2 offset:864
	v_add_f64 v[77:78], v[77:78], v[83:84]
	v_add_f64 v[3:4], v[3:4], v[73:74]
	s_waitcnt vmcnt(13) lgkmcnt(1)
	v_mul_f64 v[83:84], v[67:68], v[99:100]
	s_waitcnt vmcnt(12)
	v_fma_f64 v[81:82], v[61:62], v[95:96], -v[81:82]
	v_mul_f64 v[73:74], v[65:66], v[99:100]
	v_fma_f64 v[79:80], v[63:64], v[95:96], v[79:80]
	ds_read_b128 v[61:64], v2 offset:880
	v_add_f64 v[77:78], v[77:78], v[85:86]
	v_add_f64 v[3:4], v[3:4], v[75:76]
	s_waitcnt vmcnt(11) lgkmcnt(1)
	v_mul_f64 v[85:86], v[71:72], v[101:102]
	s_waitcnt vmcnt(9)
	v_fma_f64 v[65:66], v[65:66], v[105:106], -v[83:84]
	v_mul_f64 v[75:76], v[69:70], v[101:102]
	v_fma_f64 v[67:68], v[67:68], v[105:106], v[73:74]
	s_waitcnt vmcnt(7) lgkmcnt(0)
	v_mul_f64 v[73:74], v[61:62], v[107:108]
	v_add_f64 v[77:78], v[77:78], v[81:82]
	v_add_f64 v[2:3], v[3:4], v[79:80]
	v_mul_f64 v[79:80], v[63:64], v[107:108]
	s_waitcnt vmcnt(6)
	v_fma_f64 v[69:70], v[69:70], v[103:104], -v[85:86]
	v_fma_f64 v[71:72], v[71:72], v[103:104], v[75:76]
	s_waitcnt vmcnt(4)
	v_fma_f64 v[63:64], v[63:64], v[109:110], v[73:74]
	v_add_f64 v[65:66], v[77:78], v[65:66]
	v_add_f64 v[2:3], v[2:3], v[67:68]
	v_fma_f64 v[61:62], v[61:62], v[109:110], -v[79:80]
	v_add_f64 v[65:66], v[65:66], v[69:70]
	v_add_f64 v[2:3], v[2:3], v[71:72]
	;; [unrolled: 1-line block ×4, first 2 shown]
	s_waitcnt vmcnt(2)
	v_add_f64 v[61:62], v[111:112], -v[61:62]
	s_waitcnt vmcnt(0)
	v_add_f64 v[2:3], v[113:114], -v[2:3]
	buffer_store_dword v62, off, s[0:3], 0 offset:292
	buffer_store_dword v61, off, s[0:3], 0 offset:288
	buffer_store_dword v3, off, s[0:3], 0 offset:300
	buffer_store_dword v2, off, s[0:3], 0 offset:296
	v_cmpx_lt_u32_e32 16, v0
	s_cbranch_execz .LBB27_149
; %bb.148:
	v_mov_b32_e32 v2, s23
	s_clause 0x3
	buffer_load_dword v61, v2, s[0:3], 0 offen
	buffer_load_dword v62, v2, s[0:3], 0 offen offset:4
	buffer_load_dword v63, v2, s[0:3], 0 offen offset:8
	;; [unrolled: 1-line block ×3, first 2 shown]
	v_mov_b32_e32 v2, 0
	buffer_store_dword v2, off, s[0:3], 0 offset:272
	buffer_store_dword v2, off, s[0:3], 0 offset:276
	;; [unrolled: 1-line block ×4, first 2 shown]
	s_waitcnt vmcnt(0)
	ds_write_b128 v1, v[61:64]
.LBB27_149:
	s_or_b32 exec_lo, exec_lo, s4
	s_waitcnt lgkmcnt(0)
	s_waitcnt_vscnt null, 0x0
	s_barrier
	buffer_gl0_inv
	s_clause 0x2f
	buffer_load_dword v3, off, s[0:3], 0 offset:296
	buffer_load_dword v4, off, s[0:3], 0 offset:300
	;; [unrolled: 1-line block ×48, first 2 shown]
	v_mov_b32_e32 v2, 0
	ds_read_b128 v[61:64], v2 offset:720
	ds_read_b128 v[65:68], v2 offset:736
	;; [unrolled: 1-line block ×3, first 2 shown]
	s_mov_b32 s4, exec_lo
	s_waitcnt vmcnt(46) lgkmcnt(2)
	v_mul_f64 v[119:120], v[63:64], v[3:4]
	v_mul_f64 v[3:4], v[61:62], v[3:4]
	s_waitcnt vmcnt(44) lgkmcnt(1)
	v_mul_f64 v[121:122], v[67:68], v[73:74]
	v_mul_f64 v[73:74], v[65:66], v[73:74]
	s_waitcnt vmcnt(42)
	v_fma_f64 v[119:120], v[61:62], v[75:76], -v[119:120]
	v_fma_f64 v[3:4], v[63:64], v[75:76], v[3:4]
	ds_read_b128 v[61:64], v2 offset:768
	s_waitcnt vmcnt(40) lgkmcnt(1)
	v_mul_f64 v[75:76], v[69:70], v[77:78]
	v_mul_f64 v[77:78], v[71:72], v[77:78]
	s_waitcnt vmcnt(38)
	v_fma_f64 v[121:122], v[65:66], v[79:80], -v[121:122]
	v_fma_f64 v[73:74], v[67:68], v[79:80], v[73:74]
	ds_read_b128 v[65:68], v2 offset:784
	s_waitcnt vmcnt(34) lgkmcnt(1)
	v_mul_f64 v[79:80], v[61:62], v[81:82]
	v_add_f64 v[119:120], v[119:120], 0
	v_add_f64 v[3:4], v[3:4], 0
	v_mul_f64 v[81:82], v[63:64], v[81:82]
	s_waitcnt vmcnt(32)
	v_fma_f64 v[77:78], v[69:70], v[87:88], -v[77:78]
	v_fma_f64 v[75:76], v[71:72], v[87:88], v[75:76]
	ds_read_b128 v[69:72], v2 offset:800
	s_waitcnt vmcnt(29)
	v_fma_f64 v[79:80], v[63:64], v[89:90], v[79:80]
	v_add_f64 v[119:120], v[119:120], v[121:122]
	v_add_f64 v[3:4], v[3:4], v[73:74]
	s_waitcnt lgkmcnt(1)
	v_mul_f64 v[73:74], v[65:66], v[83:84]
	v_mul_f64 v[83:84], v[67:68], v[83:84]
	v_fma_f64 v[81:82], v[61:62], v[89:90], -v[81:82]
	s_waitcnt vmcnt(25) lgkmcnt(0)
	v_mul_f64 v[87:88], v[71:72], v[91:92]
	ds_read_b128 v[61:64], v2 offset:816
	v_add_f64 v[77:78], v[119:120], v[77:78]
	v_add_f64 v[3:4], v[3:4], v[75:76]
	v_mul_f64 v[75:76], v[69:70], v[91:92]
	s_waitcnt vmcnt(24)
	v_fma_f64 v[83:84], v[65:66], v[85:86], -v[83:84]
	v_fma_f64 v[73:74], v[67:68], v[85:86], v[73:74]
	ds_read_b128 v[65:68], v2 offset:832
	s_waitcnt vmcnt(21)
	v_fma_f64 v[85:86], v[69:70], v[97:98], -v[87:88]
	v_add_f64 v[77:78], v[77:78], v[81:82]
	v_add_f64 v[3:4], v[3:4], v[79:80]
	s_waitcnt lgkmcnt(1)
	v_mul_f64 v[81:82], v[63:64], v[93:94]
	v_mul_f64 v[79:80], v[61:62], v[93:94]
	v_fma_f64 v[75:76], v[71:72], v[97:98], v[75:76]
	ds_read_b128 v[69:72], v2 offset:848
	v_add_f64 v[77:78], v[77:78], v[83:84]
	v_add_f64 v[3:4], v[3:4], v[73:74]
	s_waitcnt vmcnt(17) lgkmcnt(1)
	v_mul_f64 v[83:84], v[67:68], v[99:100]
	s_waitcnt vmcnt(16)
	v_fma_f64 v[81:82], v[61:62], v[95:96], -v[81:82]
	v_mul_f64 v[73:74], v[65:66], v[99:100]
	v_fma_f64 v[79:80], v[63:64], v[95:96], v[79:80]
	ds_read_b128 v[61:64], v2 offset:864
	v_add_f64 v[77:78], v[77:78], v[85:86]
	v_add_f64 v[3:4], v[3:4], v[75:76]
	s_waitcnt vmcnt(15) lgkmcnt(1)
	v_mul_f64 v[85:86], v[71:72], v[101:102]
	s_waitcnt vmcnt(13)
	v_fma_f64 v[83:84], v[65:66], v[105:106], -v[83:84]
	;; [unrolled: 9-line block ×3, first 2 shown]
	v_mul_f64 v[79:80], v[61:62], v[107:108]
	v_fma_f64 v[71:72], v[71:72], v[103:104], v[75:76]
	s_waitcnt vmcnt(7) lgkmcnt(0)
	v_mul_f64 v[75:76], v[67:68], v[109:110]
	v_add_f64 v[77:78], v[77:78], v[83:84]
	v_add_f64 v[3:4], v[3:4], v[73:74]
	s_waitcnt vmcnt(5)
	v_fma_f64 v[61:62], v[61:62], v[113:114], -v[81:82]
	v_mul_f64 v[73:74], v[65:66], v[109:110]
	v_fma_f64 v[63:64], v[63:64], v[113:114], v[79:80]
	s_waitcnt vmcnt(4)
	v_fma_f64 v[65:66], v[65:66], v[111:112], -v[75:76]
	v_add_f64 v[69:70], v[77:78], v[69:70]
	v_add_f64 v[3:4], v[3:4], v[71:72]
	v_fma_f64 v[67:68], v[67:68], v[111:112], v[73:74]
	v_add_f64 v[61:62], v[69:70], v[61:62]
	v_add_f64 v[3:4], v[3:4], v[63:64]
	v_add_f64 v[61:62], v[61:62], v[65:66]
	v_add_f64 v[3:4], v[3:4], v[67:68]
	s_waitcnt vmcnt(2)
	v_add_f64 v[61:62], v[115:116], -v[61:62]
	s_waitcnt vmcnt(0)
	v_add_f64 v[3:4], v[117:118], -v[3:4]
	buffer_store_dword v62, off, s[0:3], 0 offset:276
	buffer_store_dword v61, off, s[0:3], 0 offset:272
	;; [unrolled: 1-line block ×4, first 2 shown]
	v_cmpx_lt_u32_e32 15, v0
	s_cbranch_execz .LBB27_151
; %bb.150:
	v_mov_b32_e32 v3, s24
	s_clause 0x3
	buffer_load_dword v61, v3, s[0:3], 0 offen
	buffer_load_dword v62, v3, s[0:3], 0 offen offset:4
	buffer_load_dword v63, v3, s[0:3], 0 offen offset:8
	;; [unrolled: 1-line block ×3, first 2 shown]
	buffer_store_dword v2, off, s[0:3], 0 offset:256
	buffer_store_dword v2, off, s[0:3], 0 offset:260
	;; [unrolled: 1-line block ×4, first 2 shown]
	s_waitcnt vmcnt(0)
	ds_write_b128 v1, v[61:64]
.LBB27_151:
	s_or_b32 exec_lo, exec_lo, s4
	s_waitcnt lgkmcnt(0)
	s_waitcnt_vscnt null, 0x0
	s_barrier
	buffer_gl0_inv
	s_clause 0x2f
	buffer_load_dword v3, off, s[0:3], 0 offset:280
	buffer_load_dword v4, off, s[0:3], 0 offset:284
	;; [unrolled: 1-line block ×48, first 2 shown]
	ds_read_b128 v[61:64], v2 offset:704
	s_clause 0x3
	buffer_load_dword v119, off, s[0:3], 0 offset:256
	buffer_load_dword v120, off, s[0:3], 0 offset:260
	;; [unrolled: 1-line block ×4, first 2 shown]
	ds_read_b128 v[65:68], v2 offset:720
	ds_read_b128 v[69:72], v2 offset:736
	s_mov_b32 s4, exec_lo
	s_waitcnt vmcnt(50) lgkmcnt(2)
	v_mul_f64 v[123:124], v[63:64], v[3:4]
	v_mul_f64 v[3:4], v[61:62], v[3:4]
	s_waitcnt vmcnt(48) lgkmcnt(1)
	v_mul_f64 v[125:126], v[67:68], v[73:74]
	v_mul_f64 v[73:74], v[65:66], v[73:74]
	s_waitcnt vmcnt(46)
	v_fma_f64 v[123:124], v[61:62], v[75:76], -v[123:124]
	v_fma_f64 v[3:4], v[63:64], v[75:76], v[3:4]
	s_waitcnt vmcnt(44) lgkmcnt(0)
	v_mul_f64 v[75:76], v[69:70], v[77:78]
	v_mul_f64 v[77:78], v[71:72], v[77:78]
	s_waitcnt vmcnt(42)
	v_fma_f64 v[125:126], v[65:66], v[79:80], -v[125:126]
	ds_read_b128 v[61:64], v2 offset:752
	v_fma_f64 v[73:74], v[67:68], v[79:80], v[73:74]
	ds_read_b128 v[65:68], v2 offset:768
	v_add_f64 v[123:124], v[123:124], 0
	v_add_f64 v[3:4], v[3:4], 0
	s_waitcnt vmcnt(36)
	v_fma_f64 v[75:76], v[71:72], v[87:88], v[75:76]
	s_waitcnt lgkmcnt(1)
	v_mul_f64 v[79:80], v[61:62], v[81:82]
	v_mul_f64 v[81:82], v[63:64], v[81:82]
	v_fma_f64 v[77:78], v[69:70], v[87:88], -v[77:78]
	ds_read_b128 v[69:72], v2 offset:784
	v_add_f64 v[123:124], v[123:124], v[125:126]
	v_add_f64 v[3:4], v[3:4], v[73:74]
	s_waitcnt vmcnt(35) lgkmcnt(1)
	v_mul_f64 v[73:74], v[65:66], v[83:84]
	v_mul_f64 v[83:84], v[67:68], v[83:84]
	s_waitcnt vmcnt(33)
	v_fma_f64 v[81:82], v[61:62], v[89:90], -v[81:82]
	v_fma_f64 v[79:80], v[63:64], v[89:90], v[79:80]
	ds_read_b128 v[61:64], v2 offset:800
	s_waitcnt vmcnt(29) lgkmcnt(1)
	v_mul_f64 v[87:88], v[71:72], v[91:92]
	v_add_f64 v[77:78], v[123:124], v[77:78]
	v_add_f64 v[3:4], v[3:4], v[75:76]
	v_mul_f64 v[75:76], v[69:70], v[91:92]
	s_waitcnt vmcnt(28)
	v_fma_f64 v[83:84], v[65:66], v[85:86], -v[83:84]
	v_fma_f64 v[73:74], v[67:68], v[85:86], v[73:74]
	ds_read_b128 v[65:68], v2 offset:816
	s_waitcnt vmcnt(25)
	v_fma_f64 v[85:86], v[69:70], v[97:98], -v[87:88]
	v_add_f64 v[77:78], v[77:78], v[81:82]
	v_add_f64 v[3:4], v[3:4], v[79:80]
	s_waitcnt lgkmcnt(1)
	v_mul_f64 v[81:82], v[63:64], v[93:94]
	v_mul_f64 v[79:80], v[61:62], v[93:94]
	v_fma_f64 v[75:76], v[71:72], v[97:98], v[75:76]
	ds_read_b128 v[69:72], v2 offset:832
	v_add_f64 v[77:78], v[77:78], v[83:84]
	v_add_f64 v[3:4], v[3:4], v[73:74]
	s_waitcnt vmcnt(21) lgkmcnt(1)
	v_mul_f64 v[83:84], v[67:68], v[99:100]
	s_waitcnt vmcnt(20)
	v_fma_f64 v[81:82], v[61:62], v[95:96], -v[81:82]
	v_mul_f64 v[73:74], v[65:66], v[99:100]
	v_fma_f64 v[79:80], v[63:64], v[95:96], v[79:80]
	ds_read_b128 v[61:64], v2 offset:848
	v_add_f64 v[77:78], v[77:78], v[85:86]
	v_add_f64 v[3:4], v[3:4], v[75:76]
	s_waitcnt vmcnt(19) lgkmcnt(1)
	v_mul_f64 v[85:86], v[71:72], v[101:102]
	s_waitcnt vmcnt(17)
	v_fma_f64 v[83:84], v[65:66], v[105:106], -v[83:84]
	;; [unrolled: 9-line block ×4, first 2 shown]
	v_mul_f64 v[73:74], v[65:66], v[109:110]
	v_fma_f64 v[63:64], v[63:64], v[113:114], v[79:80]
	s_waitcnt vmcnt(7) lgkmcnt(0)
	v_mul_f64 v[79:80], v[71:72], v[115:116]
	v_add_f64 v[77:78], v[77:78], v[85:86]
	v_add_f64 v[2:3], v[3:4], v[75:76]
	s_waitcnt vmcnt(6)
	v_fma_f64 v[65:66], v[65:66], v[111:112], -v[83:84]
	v_mul_f64 v[75:76], v[69:70], v[115:116]
	v_fma_f64 v[67:68], v[67:68], v[111:112], v[73:74]
	v_add_f64 v[61:62], v[77:78], v[61:62]
	v_add_f64 v[2:3], v[2:3], v[63:64]
	s_waitcnt vmcnt(4)
	v_fma_f64 v[63:64], v[69:70], v[117:118], -v[79:80]
	v_add_f64 v[61:62], v[61:62], v[65:66]
	v_fma_f64 v[65:66], v[71:72], v[117:118], v[75:76]
	v_add_f64 v[2:3], v[2:3], v[67:68]
	v_add_f64 v[61:62], v[61:62], v[63:64]
	;; [unrolled: 1-line block ×3, first 2 shown]
	s_waitcnt vmcnt(2)
	v_add_f64 v[61:62], v[119:120], -v[61:62]
	s_waitcnt vmcnt(0)
	v_add_f64 v[2:3], v[121:122], -v[2:3]
	buffer_store_dword v62, off, s[0:3], 0 offset:260
	buffer_store_dword v61, off, s[0:3], 0 offset:256
	;; [unrolled: 1-line block ×4, first 2 shown]
	v_cmpx_lt_u32_e32 14, v0
	s_cbranch_execz .LBB27_153
; %bb.152:
	v_mov_b32_e32 v2, s25
	s_clause 0x3
	buffer_load_dword v61, v2, s[0:3], 0 offen
	buffer_load_dword v62, v2, s[0:3], 0 offen offset:4
	buffer_load_dword v63, v2, s[0:3], 0 offen offset:8
	;; [unrolled: 1-line block ×3, first 2 shown]
	v_mov_b32_e32 v2, 0
	buffer_store_dword v2, off, s[0:3], 0 offset:240
	buffer_store_dword v2, off, s[0:3], 0 offset:244
	;; [unrolled: 1-line block ×4, first 2 shown]
	s_waitcnt vmcnt(0)
	ds_write_b128 v1, v[61:64]
.LBB27_153:
	s_or_b32 exec_lo, exec_lo, s4
	s_waitcnt lgkmcnt(0)
	s_waitcnt_vscnt null, 0x0
	s_barrier
	buffer_gl0_inv
	s_clause 0x33
	buffer_load_dword v3, off, s[0:3], 0 offset:264
	buffer_load_dword v4, off, s[0:3], 0 offset:268
	;; [unrolled: 1-line block ×52, first 2 shown]
	v_mov_b32_e32 v2, 0
	ds_read_b128 v[61:64], v2 offset:688
	ds_read_b128 v[65:68], v2 offset:704
	s_clause 0x3
	buffer_load_dword v125, off, s[0:3], 0 offset:240
	buffer_load_dword v126, off, s[0:3], 0 offset:244
	;; [unrolled: 1-line block ×4, first 2 shown]
	ds_read_b128 v[69:72], v2 offset:720
	s_mov_b32 s4, exec_lo
	s_waitcnt vmcnt(54) lgkmcnt(2)
	v_mul_f64 v[123:124], v[63:64], v[3:4]
	v_mul_f64 v[3:4], v[61:62], v[3:4]
	s_waitcnt vmcnt(52) lgkmcnt(1)
	v_mul_f64 v[129:130], v[67:68], v[73:74]
	v_mul_f64 v[73:74], v[65:66], v[73:74]
	s_waitcnt vmcnt(50)
	v_fma_f64 v[123:124], v[61:62], v[75:76], -v[123:124]
	v_fma_f64 v[3:4], v[63:64], v[75:76], v[3:4]
	ds_read_b128 v[61:64], v2 offset:736
	s_waitcnt vmcnt(48) lgkmcnt(1)
	v_mul_f64 v[75:76], v[69:70], v[77:78]
	v_mul_f64 v[77:78], v[71:72], v[77:78]
	s_waitcnt vmcnt(46)
	v_fma_f64 v[129:130], v[65:66], v[79:80], -v[129:130]
	v_fma_f64 v[73:74], v[67:68], v[79:80], v[73:74]
	ds_read_b128 v[65:68], v2 offset:752
	s_waitcnt vmcnt(42) lgkmcnt(1)
	v_mul_f64 v[79:80], v[61:62], v[81:82]
	v_add_f64 v[123:124], v[123:124], 0
	v_add_f64 v[3:4], v[3:4], 0
	v_mul_f64 v[81:82], v[63:64], v[81:82]
	s_waitcnt vmcnt(40)
	v_fma_f64 v[77:78], v[69:70], v[87:88], -v[77:78]
	v_fma_f64 v[75:76], v[71:72], v[87:88], v[75:76]
	ds_read_b128 v[69:72], v2 offset:768
	s_waitcnt vmcnt(37)
	v_fma_f64 v[79:80], v[63:64], v[89:90], v[79:80]
	v_add_f64 v[123:124], v[123:124], v[129:130]
	v_add_f64 v[3:4], v[3:4], v[73:74]
	s_waitcnt lgkmcnt(1)
	v_mul_f64 v[73:74], v[65:66], v[83:84]
	v_mul_f64 v[83:84], v[67:68], v[83:84]
	v_fma_f64 v[81:82], v[61:62], v[89:90], -v[81:82]
	s_waitcnt vmcnt(33) lgkmcnt(0)
	v_mul_f64 v[87:88], v[71:72], v[91:92]
	ds_read_b128 v[61:64], v2 offset:784
	v_add_f64 v[77:78], v[123:124], v[77:78]
	v_add_f64 v[3:4], v[3:4], v[75:76]
	v_mul_f64 v[75:76], v[69:70], v[91:92]
	s_waitcnt vmcnt(32)
	v_fma_f64 v[83:84], v[65:66], v[85:86], -v[83:84]
	v_fma_f64 v[73:74], v[67:68], v[85:86], v[73:74]
	ds_read_b128 v[65:68], v2 offset:800
	s_waitcnt vmcnt(29)
	v_fma_f64 v[85:86], v[69:70], v[97:98], -v[87:88]
	v_add_f64 v[77:78], v[77:78], v[81:82]
	v_add_f64 v[3:4], v[3:4], v[79:80]
	s_waitcnt lgkmcnt(1)
	v_mul_f64 v[81:82], v[63:64], v[93:94]
	v_mul_f64 v[79:80], v[61:62], v[93:94]
	v_fma_f64 v[75:76], v[71:72], v[97:98], v[75:76]
	ds_read_b128 v[69:72], v2 offset:816
	v_add_f64 v[77:78], v[77:78], v[83:84]
	v_add_f64 v[3:4], v[3:4], v[73:74]
	s_waitcnt vmcnt(25) lgkmcnt(1)
	v_mul_f64 v[83:84], v[67:68], v[99:100]
	s_waitcnt vmcnt(24)
	v_fma_f64 v[81:82], v[61:62], v[95:96], -v[81:82]
	v_mul_f64 v[73:74], v[65:66], v[99:100]
	v_fma_f64 v[79:80], v[63:64], v[95:96], v[79:80]
	ds_read_b128 v[61:64], v2 offset:832
	v_add_f64 v[77:78], v[77:78], v[85:86]
	v_add_f64 v[3:4], v[3:4], v[75:76]
	s_waitcnt vmcnt(23) lgkmcnt(1)
	v_mul_f64 v[85:86], v[71:72], v[101:102]
	s_waitcnt vmcnt(21)
	v_fma_f64 v[83:84], v[65:66], v[105:106], -v[83:84]
	;; [unrolled: 9-line block ×5, first 2 shown]
	v_mul_f64 v[75:76], v[69:70], v[115:116]
	v_fma_f64 v[67:68], v[67:68], v[111:112], v[73:74]
	s_waitcnt vmcnt(7) lgkmcnt(0)
	v_mul_f64 v[73:74], v[61:62], v[117:118]
	v_add_f64 v[77:78], v[77:78], v[81:82]
	v_add_f64 v[3:4], v[3:4], v[79:80]
	v_mul_f64 v[79:80], v[63:64], v[117:118]
	s_waitcnt vmcnt(5)
	v_fma_f64 v[69:70], v[69:70], v[121:122], -v[85:86]
	v_fma_f64 v[71:72], v[71:72], v[121:122], v[75:76]
	s_waitcnt vmcnt(4)
	v_fma_f64 v[63:64], v[63:64], v[119:120], v[73:74]
	v_add_f64 v[65:66], v[77:78], v[65:66]
	v_add_f64 v[3:4], v[3:4], v[67:68]
	v_fma_f64 v[61:62], v[61:62], v[119:120], -v[79:80]
	v_add_f64 v[65:66], v[65:66], v[69:70]
	v_add_f64 v[3:4], v[3:4], v[71:72]
	;; [unrolled: 1-line block ×4, first 2 shown]
	s_waitcnt vmcnt(2)
	v_add_f64 v[61:62], v[125:126], -v[61:62]
	s_waitcnt vmcnt(0)
	v_add_f64 v[3:4], v[127:128], -v[3:4]
	buffer_store_dword v62, off, s[0:3], 0 offset:244
	buffer_store_dword v61, off, s[0:3], 0 offset:240
	;; [unrolled: 1-line block ×4, first 2 shown]
	v_cmpx_lt_u32_e32 13, v0
	s_cbranch_execz .LBB27_155
; %bb.154:
	v_mov_b32_e32 v3, s26
	s_clause 0x3
	buffer_load_dword v61, v3, s[0:3], 0 offen
	buffer_load_dword v62, v3, s[0:3], 0 offen offset:4
	buffer_load_dword v63, v3, s[0:3], 0 offen offset:8
	;; [unrolled: 1-line block ×3, first 2 shown]
	buffer_store_dword v2, off, s[0:3], 0 offset:224
	buffer_store_dword v2, off, s[0:3], 0 offset:228
	;; [unrolled: 1-line block ×4, first 2 shown]
	s_waitcnt vmcnt(0)
	ds_write_b128 v1, v[61:64]
.LBB27_155:
	s_or_b32 exec_lo, exec_lo, s4
	s_waitcnt lgkmcnt(0)
	s_waitcnt_vscnt null, 0x0
	s_barrier
	buffer_gl0_inv
	s_clause 0x35
	buffer_load_dword v3, off, s[0:3], 0 offset:248
	buffer_load_dword v4, off, s[0:3], 0 offset:252
	;; [unrolled: 1-line block ×54, first 2 shown]
	ds_read_b128 v[61:64], v2 offset:672
	s_clause 0x1
	buffer_load_dword v126, off, s[0:3], 0 offset:452
	buffer_load_dword v125, off, s[0:3], 0 offset:448
	ds_read_b128 v[65:68], v2 offset:688
	ds_read_b128 v[69:72], v2 offset:704
	s_mov_b32 s4, exec_lo
	s_waitcnt vmcnt(54) lgkmcnt(2)
	v_mul_f64 v[127:128], v[63:64], v[3:4]
	v_mul_f64 v[3:4], v[61:62], v[3:4]
	s_waitcnt vmcnt(52) lgkmcnt(1)
	v_mul_f64 v[129:130], v[67:68], v[73:74]
	v_mul_f64 v[73:74], v[65:66], v[73:74]
	;; [unrolled: 3-line block ×3, first 2 shown]
	v_fma_f64 v[127:128], v[61:62], v[75:76], -v[127:128]
	v_fma_f64 v[3:4], v[63:64], v[75:76], v[3:4]
	s_clause 0x3
	buffer_load_dword v75, off, s[0:3], 0 offset:224
	buffer_load_dword v76, off, s[0:3], 0 offset:228
	;; [unrolled: 1-line block ×4, first 2 shown]
	s_waitcnt vmcnt(50)
	v_fma_f64 v[129:130], v[65:66], v[79:80], -v[129:130]
	ds_read_b128 v[61:64], v2 offset:720
	v_fma_f64 v[73:74], v[67:68], v[79:80], v[73:74]
	ds_read_b128 v[65:68], v2 offset:736
	s_waitcnt vmcnt(44)
	v_fma_f64 v[77:78], v[69:70], v[87:88], -v[77:78]
	v_fma_f64 v[87:88], v[71:72], v[87:88], v[133:134]
	ds_read_b128 v[69:72], v2 offset:752
	v_add_f64 v[127:128], v[127:128], 0
	v_add_f64 v[3:4], v[3:4], 0
	s_waitcnt lgkmcnt(2)
	v_mul_f64 v[79:80], v[61:62], v[81:82]
	v_mul_f64 v[81:82], v[63:64], v[81:82]
	v_add_f64 v[127:128], v[127:128], v[129:130]
	v_add_f64 v[3:4], v[3:4], v[73:74]
	s_waitcnt vmcnt(43) lgkmcnt(1)
	v_mul_f64 v[73:74], v[65:66], v[83:84]
	v_mul_f64 v[83:84], v[67:68], v[83:84]
	s_waitcnt vmcnt(41)
	v_fma_f64 v[81:82], v[61:62], v[89:90], -v[81:82]
	v_fma_f64 v[79:80], v[63:64], v[89:90], v[79:80]
	ds_read_b128 v[61:64], v2 offset:768
	s_waitcnt vmcnt(37) lgkmcnt(1)
	v_mul_f64 v[89:90], v[71:72], v[91:92]
	v_add_f64 v[77:78], v[127:128], v[77:78]
	v_add_f64 v[3:4], v[3:4], v[87:88]
	v_mul_f64 v[87:88], v[69:70], v[91:92]
	s_waitcnt vmcnt(36)
	v_fma_f64 v[83:84], v[65:66], v[85:86], -v[83:84]
	v_fma_f64 v[73:74], v[67:68], v[85:86], v[73:74]
	ds_read_b128 v[65:68], v2 offset:784
	s_waitcnt vmcnt(33)
	v_fma_f64 v[85:86], v[69:70], v[97:98], -v[89:90]
	v_add_f64 v[77:78], v[77:78], v[81:82]
	v_add_f64 v[3:4], v[3:4], v[79:80]
	s_waitcnt lgkmcnt(1)
	v_mul_f64 v[81:82], v[63:64], v[93:94]
	v_mul_f64 v[79:80], v[61:62], v[93:94]
	v_add_f64 v[77:78], v[77:78], v[83:84]
	v_fma_f64 v[83:84], v[71:72], v[97:98], v[87:88]
	v_add_f64 v[3:4], v[3:4], v[73:74]
	ds_read_b128 v[69:72], v2 offset:800
	s_waitcnt vmcnt(29) lgkmcnt(1)
	v_mul_f64 v[87:88], v[67:68], v[99:100]
	s_waitcnt vmcnt(28)
	v_fma_f64 v[81:82], v[61:62], v[95:96], -v[81:82]
	v_mul_f64 v[73:74], v[65:66], v[99:100]
	v_fma_f64 v[79:80], v[63:64], v[95:96], v[79:80]
	ds_read_b128 v[61:64], v2 offset:816
	v_add_f64 v[77:78], v[77:78], v[85:86]
	s_waitcnt vmcnt(27) lgkmcnt(1)
	v_mul_f64 v[85:86], v[71:72], v[101:102]
	v_add_f64 v[3:4], v[3:4], v[83:84]
	v_mul_f64 v[83:84], v[69:70], v[101:102]
	s_waitcnt vmcnt(25)
	v_fma_f64 v[87:88], v[65:66], v[105:106], -v[87:88]
	v_fma_f64 v[73:74], v[67:68], v[105:106], v[73:74]
	ds_read_b128 v[65:68], v2 offset:832
	v_add_f64 v[77:78], v[77:78], v[81:82]
	s_waitcnt vmcnt(21) lgkmcnt(1)
	v_mul_f64 v[81:82], v[63:64], v[107:108]
	v_add_f64 v[3:4], v[3:4], v[79:80]
	s_waitcnt vmcnt(20)
	v_fma_f64 v[85:86], v[69:70], v[103:104], -v[85:86]
	v_mul_f64 v[79:80], v[61:62], v[107:108]
	v_fma_f64 v[83:84], v[71:72], v[103:104], v[83:84]
	ds_read_b128 v[69:72], v2 offset:848
	v_add_f64 v[77:78], v[77:78], v[87:88]
	s_waitcnt vmcnt(19) lgkmcnt(1)
	v_mul_f64 v[87:88], v[67:68], v[109:110]
	v_add_f64 v[3:4], v[3:4], v[73:74]
	s_waitcnt vmcnt(17)
	v_fma_f64 v[81:82], v[61:62], v[113:114], -v[81:82]
	v_mul_f64 v[73:74], v[65:66], v[109:110]
	;; [unrolled: 9-line block ×4, first 2 shown]
	v_fma_f64 v[71:72], v[71:72], v[121:122], v[83:84]
	s_waitcnt vmcnt(7) lgkmcnt(0)
	v_mul_f64 v[83:84], v[67:68], v[123:124]
	v_add_f64 v[77:78], v[77:78], v[87:88]
	s_waitcnt vmcnt(6)
	v_fma_f64 v[61:62], v[61:62], v[119:120], -v[81:82]
	v_add_f64 v[2:3], v[3:4], v[73:74]
	v_mul_f64 v[73:74], v[65:66], v[123:124]
	v_fma_f64 v[63:64], v[63:64], v[119:120], v[79:80]
	s_waitcnt vmcnt(4)
	v_fma_f64 v[65:66], v[65:66], v[125:126], -v[83:84]
	v_add_f64 v[69:70], v[77:78], v[69:70]
	v_add_f64 v[2:3], v[2:3], v[71:72]
	v_fma_f64 v[67:68], v[67:68], v[125:126], v[73:74]
	v_add_f64 v[61:62], v[69:70], v[61:62]
	v_add_f64 v[2:3], v[2:3], v[63:64]
	;; [unrolled: 1-line block ×4, first 2 shown]
	s_waitcnt vmcnt(2)
	v_add_f64 v[61:62], v[75:76], -v[61:62]
	s_waitcnt vmcnt(0)
	v_add_f64 v[2:3], v[131:132], -v[2:3]
	buffer_store_dword v62, off, s[0:3], 0 offset:228
	buffer_store_dword v61, off, s[0:3], 0 offset:224
	;; [unrolled: 1-line block ×4, first 2 shown]
	v_cmpx_lt_u32_e32 12, v0
	s_cbranch_execz .LBB27_157
; %bb.156:
	v_mov_b32_e32 v2, s27
	s_clause 0x3
	buffer_load_dword v61, v2, s[0:3], 0 offen
	buffer_load_dword v62, v2, s[0:3], 0 offen offset:4
	buffer_load_dword v63, v2, s[0:3], 0 offen offset:8
	;; [unrolled: 1-line block ×3, first 2 shown]
	v_mov_b32_e32 v2, 0
	buffer_store_dword v2, off, s[0:3], 0 offset:208
	buffer_store_dword v2, off, s[0:3], 0 offset:212
	;; [unrolled: 1-line block ×4, first 2 shown]
	s_waitcnt vmcnt(0)
	ds_write_b128 v1, v[61:64]
.LBB27_157:
	s_or_b32 exec_lo, exec_lo, s4
	s_waitcnt lgkmcnt(0)
	s_waitcnt_vscnt null, 0x0
	s_barrier
	buffer_gl0_inv
	s_clause 0x37
	buffer_load_dword v3, off, s[0:3], 0 offset:232
	buffer_load_dword v4, off, s[0:3], 0 offset:236
	;; [unrolled: 1-line block ×56, first 2 shown]
	v_mov_b32_e32 v2, 0
	s_mov_b32 s4, exec_lo
	ds_read_b128 v[61:64], v2 offset:656
	s_clause 0x2
	buffer_load_dword v126, off, s[0:3], 0 offset:460
	buffer_load_dword v130, off, s[0:3], 0 offset:436
	;; [unrolled: 1-line block ×3, first 2 shown]
	ds_read_b128 v[65:68], v2 offset:672
	ds_read_b128 v[69:72], v2 offset:688
	buffer_load_dword v128, off, s[0:3], 0 offset:452
	s_waitcnt vmcnt(58) lgkmcnt(2)
	v_mul_f64 v[131:132], v[63:64], v[3:4]
	v_mul_f64 v[3:4], v[61:62], v[3:4]
	s_waitcnt vmcnt(56) lgkmcnt(1)
	v_mul_f64 v[133:134], v[67:68], v[73:74]
	v_mul_f64 v[73:74], v[65:66], v[73:74]
	s_waitcnt vmcnt(54)
	v_fma_f64 v[131:132], v[61:62], v[75:76], -v[131:132]
	v_fma_f64 v[3:4], v[63:64], v[75:76], v[3:4]
	s_waitcnt vmcnt(52) lgkmcnt(0)
	v_mul_f64 v[75:76], v[69:70], v[77:78]
	v_mul_f64 v[77:78], v[71:72], v[77:78]
	s_waitcnt vmcnt(50)
	v_fma_f64 v[133:134], v[65:66], v[79:80], -v[133:134]
	ds_read_b128 v[61:64], v2 offset:704
	v_fma_f64 v[73:74], v[67:68], v[79:80], v[73:74]
	s_clause 0x3
	buffer_load_dword v79, off, s[0:3], 0 offset:208
	buffer_load_dword v80, off, s[0:3], 0 offset:212
	;; [unrolled: 1-line block ×4, first 2 shown]
	ds_read_b128 v[65:68], v2 offset:720
	v_add_f64 v[131:132], v[131:132], 0
	v_add_f64 v[3:4], v[3:4], 0
	s_waitcnt vmcnt(48)
	v_fma_f64 v[75:76], v[71:72], v[87:88], v[75:76]
	s_waitcnt lgkmcnt(1)
	v_mul_f64 v[137:138], v[61:62], v[81:82]
	v_mul_f64 v[81:82], v[63:64], v[81:82]
	v_fma_f64 v[77:78], v[69:70], v[87:88], -v[77:78]
	ds_read_b128 v[69:72], v2 offset:736
	v_add_f64 v[131:132], v[131:132], v[133:134]
	v_add_f64 v[3:4], v[3:4], v[73:74]
	s_waitcnt vmcnt(47) lgkmcnt(1)
	v_mul_f64 v[73:74], v[65:66], v[83:84]
	v_mul_f64 v[83:84], v[67:68], v[83:84]
	s_waitcnt vmcnt(45)
	v_fma_f64 v[81:82], v[61:62], v[89:90], -v[81:82]
	v_fma_f64 v[87:88], v[63:64], v[89:90], v[137:138]
	s_waitcnt vmcnt(41) lgkmcnt(0)
	v_mul_f64 v[89:90], v[71:72], v[91:92]
	ds_read_b128 v[61:64], v2 offset:752
	v_add_f64 v[77:78], v[131:132], v[77:78]
	v_add_f64 v[3:4], v[3:4], v[75:76]
	v_mul_f64 v[75:76], v[69:70], v[91:92]
	s_waitcnt vmcnt(40)
	v_fma_f64 v[83:84], v[65:66], v[85:86], -v[83:84]
	v_fma_f64 v[73:74], v[67:68], v[85:86], v[73:74]
	ds_read_b128 v[65:68], v2 offset:768
	s_waitcnt vmcnt(39) lgkmcnt(1)
	v_mul_f64 v[85:86], v[63:64], v[93:94]
	v_add_f64 v[77:78], v[77:78], v[81:82]
	v_add_f64 v[3:4], v[3:4], v[87:88]
	s_waitcnt vmcnt(37)
	v_fma_f64 v[87:88], v[69:70], v[97:98], -v[89:90]
	v_mul_f64 v[81:82], v[61:62], v[93:94]
	v_fma_f64 v[75:76], v[71:72], v[97:98], v[75:76]
	ds_read_b128 v[69:72], v2 offset:784
	s_waitcnt vmcnt(32)
	v_fma_f64 v[85:86], v[61:62], v[95:96], -v[85:86]
	v_add_f64 v[77:78], v[77:78], v[83:84]
	v_add_f64 v[3:4], v[3:4], v[73:74]
	s_waitcnt lgkmcnt(1)
	v_mul_f64 v[83:84], v[67:68], v[99:100]
	v_mul_f64 v[73:74], v[65:66], v[99:100]
	v_fma_f64 v[81:82], v[63:64], v[95:96], v[81:82]
	ds_read_b128 v[61:64], v2 offset:800
	v_add_f64 v[77:78], v[77:78], v[87:88]
	v_add_f64 v[3:4], v[3:4], v[75:76]
	s_waitcnt vmcnt(31) lgkmcnt(1)
	v_mul_f64 v[87:88], v[71:72], v[101:102]
	s_waitcnt vmcnt(29)
	v_fma_f64 v[83:84], v[65:66], v[105:106], -v[83:84]
	v_mul_f64 v[75:76], v[69:70], v[101:102]
	v_fma_f64 v[73:74], v[67:68], v[105:106], v[73:74]
	ds_read_b128 v[65:68], v2 offset:816
	v_add_f64 v[77:78], v[77:78], v[85:86]
	v_add_f64 v[3:4], v[3:4], v[81:82]
	s_waitcnt vmcnt(25) lgkmcnt(1)
	v_mul_f64 v[85:86], v[63:64], v[107:108]
	s_waitcnt vmcnt(24)
	v_fma_f64 v[87:88], v[69:70], v[103:104], -v[87:88]
	;; [unrolled: 9-line block ×6, first 2 shown]
	v_mul_f64 v[73:74], v[65:66], v[123:124]
	v_fma_f64 v[63:64], v[63:64], v[119:120], v[81:82]
	s_waitcnt vmcnt(7) lgkmcnt(0)
	v_mul_f64 v[81:82], v[71:72], v[125:126]
	v_add_f64 v[77:78], v[77:78], v[87:88]
	v_add_f64 v[3:4], v[3:4], v[75:76]
	s_waitcnt vmcnt(5)
	v_fma_f64 v[65:66], v[65:66], v[129:130], -v[83:84]
	v_mul_f64 v[75:76], v[69:70], v[125:126]
	v_fma_f64 v[67:68], v[67:68], v[129:130], v[73:74]
	v_add_f64 v[61:62], v[77:78], v[61:62]
	v_add_f64 v[3:4], v[3:4], v[63:64]
	s_waitcnt vmcnt(4)
	v_fma_f64 v[63:64], v[69:70], v[127:128], -v[81:82]
	v_add_f64 v[61:62], v[61:62], v[65:66]
	v_fma_f64 v[65:66], v[71:72], v[127:128], v[75:76]
	v_add_f64 v[3:4], v[3:4], v[67:68]
	v_add_f64 v[61:62], v[61:62], v[63:64]
	;; [unrolled: 1-line block ×3, first 2 shown]
	s_waitcnt vmcnt(2)
	v_add_f64 v[61:62], v[79:80], -v[61:62]
	s_waitcnt vmcnt(0)
	v_add_f64 v[3:4], v[135:136], -v[3:4]
	buffer_store_dword v62, off, s[0:3], 0 offset:212
	buffer_store_dword v61, off, s[0:3], 0 offset:208
	;; [unrolled: 1-line block ×4, first 2 shown]
	v_cmpx_lt_u32_e32 11, v0
	s_cbranch_execz .LBB27_159
; %bb.158:
	v_mov_b32_e32 v3, s28
	s_clause 0x3
	buffer_load_dword v61, v3, s[0:3], 0 offen
	buffer_load_dword v62, v3, s[0:3], 0 offen offset:4
	buffer_load_dword v63, v3, s[0:3], 0 offen offset:8
	;; [unrolled: 1-line block ×3, first 2 shown]
	buffer_store_dword v2, off, s[0:3], 0 offset:192
	buffer_store_dword v2, off, s[0:3], 0 offset:196
	;; [unrolled: 1-line block ×4, first 2 shown]
	s_waitcnt vmcnt(0)
	ds_write_b128 v1, v[61:64]
.LBB27_159:
	s_or_b32 exec_lo, exec_lo, s4
	s_waitcnt lgkmcnt(0)
	s_waitcnt_vscnt null, 0x0
	s_barrier
	buffer_gl0_inv
	s_clause 0x37
	buffer_load_dword v3, off, s[0:3], 0 offset:216
	buffer_load_dword v4, off, s[0:3], 0 offset:220
	;; [unrolled: 1-line block ×56, first 2 shown]
	ds_read_b128 v[61:64], v2 offset:640
	s_clause 0x2
	buffer_load_dword v126, off, s[0:3], 0 offset:444
	buffer_load_dword v130, off, s[0:3], 0 offset:420
	;; [unrolled: 1-line block ×3, first 2 shown]
	ds_read_b128 v[65:68], v2 offset:656
	s_clause 0x2
	buffer_load_dword v134, off, s[0:3], 0 offset:460
	buffer_load_dword v133, off, s[0:3], 0 offset:456
	;; [unrolled: 1-line block ×3, first 2 shown]
	ds_read_b128 v[69:72], v2 offset:672
	s_mov_b32 s4, exec_lo
	s_waitcnt vmcnt(60) lgkmcnt(2)
	v_mul_f64 v[131:132], v[63:64], v[3:4]
	v_mul_f64 v[3:4], v[61:62], v[3:4]
	s_waitcnt vmcnt(58) lgkmcnt(1)
	v_mul_f64 v[135:136], v[67:68], v[73:74]
	v_mul_f64 v[73:74], v[65:66], v[73:74]
	s_waitcnt vmcnt(54) lgkmcnt(0)
	v_mul_f64 v[137:138], v[69:70], v[77:78]
	v_mul_f64 v[77:78], v[71:72], v[77:78]
	v_fma_f64 v[131:132], v[61:62], v[75:76], -v[131:132]
	v_fma_f64 v[3:4], v[63:64], v[75:76], v[3:4]
	s_clause 0x1
	buffer_load_dword v76, off, s[0:3], 0 offset:452
	buffer_load_dword v75, off, s[0:3], 0 offset:448
	s_waitcnt vmcnt(54)
	v_fma_f64 v[135:136], v[65:66], v[79:80], -v[135:136]
	ds_read_b128 v[61:64], v2 offset:688
	v_fma_f64 v[73:74], v[67:68], v[79:80], v[73:74]
	ds_read_b128 v[65:68], v2 offset:704
	s_waitcnt vmcnt(48)
	v_fma_f64 v[77:78], v[69:70], v[87:88], -v[77:78]
	v_fma_f64 v[87:88], v[71:72], v[87:88], v[137:138]
	v_add_f64 v[131:132], v[131:132], 0
	v_add_f64 v[3:4], v[3:4], 0
	s_waitcnt lgkmcnt(1)
	v_mul_f64 v[79:80], v[61:62], v[81:82]
	v_mul_f64 v[81:82], v[63:64], v[81:82]
	s_waitcnt vmcnt(47) lgkmcnt(0)
	v_mul_f64 v[137:138], v[65:66], v[83:84]
	v_mul_f64 v[83:84], v[67:68], v[83:84]
	v_add_f64 v[131:132], v[131:132], v[135:136]
	v_add_f64 v[3:4], v[3:4], v[73:74]
	s_clause 0x3
	buffer_load_dword v73, off, s[0:3], 0 offset:192
	buffer_load_dword v74, off, s[0:3], 0 offset:196
	;; [unrolled: 1-line block ×4, first 2 shown]
	s_waitcnt vmcnt(49)
	v_fma_f64 v[81:82], v[61:62], v[89:90], -v[81:82]
	ds_read_b128 v[69:72], v2 offset:720
	v_fma_f64 v[79:80], v[63:64], v[89:90], v[79:80]
	ds_read_b128 v[61:64], v2 offset:736
	s_waitcnt vmcnt(44)
	v_fma_f64 v[83:84], v[65:66], v[85:86], -v[83:84]
	v_add_f64 v[77:78], v[131:132], v[77:78]
	v_add_f64 v[3:4], v[3:4], v[87:88]
	s_waitcnt lgkmcnt(1)
	v_mul_f64 v[89:90], v[71:72], v[91:92]
	v_mul_f64 v[87:88], v[69:70], v[91:92]
	v_add_f64 v[77:78], v[77:78], v[81:82]
	v_fma_f64 v[81:82], v[67:68], v[85:86], v[137:138]
	v_add_f64 v[3:4], v[3:4], v[79:80]
	s_waitcnt vmcnt(43) lgkmcnt(0)
	v_mul_f64 v[85:86], v[63:64], v[93:94]
	s_waitcnt vmcnt(41)
	v_fma_f64 v[89:90], v[69:70], v[97:98], -v[89:90]
	ds_read_b128 v[65:68], v2 offset:752
	v_mul_f64 v[79:80], v[61:62], v[93:94]
	v_add_f64 v[77:78], v[77:78], v[83:84]
	v_fma_f64 v[83:84], v[71:72], v[97:98], v[87:88]
	v_add_f64 v[3:4], v[3:4], v[81:82]
	ds_read_b128 v[69:72], v2 offset:768
	s_waitcnt vmcnt(37) lgkmcnt(1)
	v_mul_f64 v[87:88], v[67:68], v[99:100]
	s_waitcnt vmcnt(36)
	v_fma_f64 v[85:86], v[61:62], v[95:96], -v[85:86]
	v_mul_f64 v[81:82], v[65:66], v[99:100]
	v_fma_f64 v[79:80], v[63:64], v[95:96], v[79:80]
	ds_read_b128 v[61:64], v2 offset:784
	v_add_f64 v[77:78], v[77:78], v[89:90]
	s_waitcnt vmcnt(35) lgkmcnt(1)
	v_mul_f64 v[89:90], v[71:72], v[101:102]
	v_add_f64 v[3:4], v[3:4], v[83:84]
	v_mul_f64 v[83:84], v[69:70], v[101:102]
	s_waitcnt vmcnt(33)
	v_fma_f64 v[87:88], v[65:66], v[105:106], -v[87:88]
	v_fma_f64 v[81:82], v[67:68], v[105:106], v[81:82]
	ds_read_b128 v[65:68], v2 offset:800
	v_add_f64 v[77:78], v[77:78], v[85:86]
	s_waitcnt vmcnt(29) lgkmcnt(1)
	v_mul_f64 v[85:86], v[63:64], v[107:108]
	v_add_f64 v[3:4], v[3:4], v[79:80]
	s_waitcnt vmcnt(28)
	v_fma_f64 v[89:90], v[69:70], v[103:104], -v[89:90]
	v_mul_f64 v[79:80], v[61:62], v[107:108]
	v_fma_f64 v[83:84], v[71:72], v[103:104], v[83:84]
	ds_read_b128 v[69:72], v2 offset:816
	v_add_f64 v[77:78], v[77:78], v[87:88]
	s_waitcnt vmcnt(27) lgkmcnt(1)
	v_mul_f64 v[87:88], v[67:68], v[109:110]
	v_add_f64 v[3:4], v[3:4], v[81:82]
	s_waitcnt vmcnt(25)
	v_fma_f64 v[85:86], v[61:62], v[113:114], -v[85:86]
	v_mul_f64 v[81:82], v[65:66], v[109:110]
	v_fma_f64 v[79:80], v[63:64], v[113:114], v[79:80]
	ds_read_b128 v[61:64], v2 offset:832
	v_add_f64 v[77:78], v[77:78], v[89:90]
	s_waitcnt vmcnt(21) lgkmcnt(1)
	v_mul_f64 v[89:90], v[71:72], v[115:116]
	v_add_f64 v[3:4], v[3:4], v[83:84]
	s_waitcnt vmcnt(20)
	v_fma_f64 v[87:88], v[65:66], v[111:112], -v[87:88]
	v_mul_f64 v[83:84], v[69:70], v[115:116]
	v_fma_f64 v[81:82], v[67:68], v[111:112], v[81:82]
	ds_read_b128 v[65:68], v2 offset:848
	v_add_f64 v[77:78], v[77:78], v[85:86]
	s_waitcnt vmcnt(19) lgkmcnt(1)
	v_mul_f64 v[85:86], v[63:64], v[117:118]
	v_add_f64 v[3:4], v[3:4], v[79:80]
	s_waitcnt vmcnt(17)
	v_fma_f64 v[89:90], v[69:70], v[121:122], -v[89:90]
	v_mul_f64 v[79:80], v[61:62], v[117:118]
	v_fma_f64 v[83:84], v[71:72], v[121:122], v[83:84]
	ds_read_b128 v[69:72], v2 offset:864
	v_add_f64 v[77:78], v[77:78], v[87:88]
	s_waitcnt vmcnt(13) lgkmcnt(1)
	v_mul_f64 v[87:88], v[67:68], v[123:124]
	v_add_f64 v[3:4], v[3:4], v[81:82]
	s_waitcnt vmcnt(12)
	v_fma_f64 v[85:86], v[61:62], v[119:120], -v[85:86]
	v_mul_f64 v[81:82], v[65:66], v[123:124]
	v_fma_f64 v[79:80], v[63:64], v[119:120], v[79:80]
	ds_read_b128 v[61:64], v2 offset:880
	v_add_f64 v[77:78], v[77:78], v[89:90]
	s_waitcnt vmcnt(11) lgkmcnt(1)
	v_mul_f64 v[89:90], v[71:72], v[125:126]
	v_add_f64 v[3:4], v[3:4], v[83:84]
	s_waitcnt vmcnt(9)
	v_fma_f64 v[65:66], v[65:66], v[129:130], -v[87:88]
	v_mul_f64 v[83:84], v[69:70], v[125:126]
	v_fma_f64 v[67:68], v[67:68], v[129:130], v[81:82]
	s_waitcnt vmcnt(7) lgkmcnt(0)
	v_mul_f64 v[81:82], v[63:64], v[133:134]
	v_add_f64 v[77:78], v[77:78], v[85:86]
	s_waitcnt vmcnt(6)
	v_fma_f64 v[69:70], v[69:70], v[127:128], -v[89:90]
	v_add_f64 v[2:3], v[3:4], v[79:80]
	v_mul_f64 v[79:80], v[61:62], v[133:134]
	v_fma_f64 v[71:72], v[71:72], v[127:128], v[83:84]
	v_add_f64 v[65:66], v[77:78], v[65:66]
	v_add_f64 v[2:3], v[2:3], v[67:68]
	s_waitcnt vmcnt(4)
	v_fma_f64 v[61:62], v[61:62], v[75:76], -v[81:82]
	v_fma_f64 v[63:64], v[63:64], v[75:76], v[79:80]
	v_add_f64 v[65:66], v[65:66], v[69:70]
	v_add_f64 v[2:3], v[2:3], v[71:72]
	;; [unrolled: 1-line block ×4, first 2 shown]
	s_waitcnt vmcnt(2)
	v_add_f64 v[61:62], v[73:74], -v[61:62]
	s_waitcnt vmcnt(0)
	v_add_f64 v[2:3], v[135:136], -v[2:3]
	buffer_store_dword v62, off, s[0:3], 0 offset:196
	buffer_store_dword v61, off, s[0:3], 0 offset:192
	;; [unrolled: 1-line block ×4, first 2 shown]
	v_cmpx_lt_u32_e32 10, v0
	s_cbranch_execz .LBB27_161
; %bb.160:
	v_mov_b32_e32 v2, s29
	s_clause 0x3
	buffer_load_dword v61, v2, s[0:3], 0 offen
	buffer_load_dword v62, v2, s[0:3], 0 offen offset:4
	buffer_load_dword v63, v2, s[0:3], 0 offen offset:8
	buffer_load_dword v64, v2, s[0:3], 0 offen offset:12
	v_mov_b32_e32 v2, 0
	buffer_store_dword v2, off, s[0:3], 0 offset:176
	buffer_store_dword v2, off, s[0:3], 0 offset:180
	;; [unrolled: 1-line block ×4, first 2 shown]
	s_waitcnt vmcnt(0)
	ds_write_b128 v1, v[61:64]
.LBB27_161:
	s_or_b32 exec_lo, exec_lo, s4
	s_waitcnt lgkmcnt(0)
	s_waitcnt_vscnt null, 0x0
	s_barrier
	buffer_gl0_inv
	s_clause 0x35
	buffer_load_dword v3, off, s[0:3], 0 offset:200
	buffer_load_dword v4, off, s[0:3], 0 offset:204
	;; [unrolled: 1-line block ×54, first 2 shown]
	v_mov_b32_e32 v2, 0
	s_mov_b32 s4, exec_lo
	ds_read_b128 v[61:64], v2 offset:624
	s_clause 0x3
	buffer_load_dword v125, off, s[0:3], 0 offset:424
	buffer_load_dword v126, off, s[0:3], 0 offset:428
	;; [unrolled: 1-line block ×4, first 2 shown]
	ds_read_b128 v[65:68], v2 offset:640
	s_clause 0x3
	buffer_load_dword v132, off, s[0:3], 0 offset:444
	buffer_load_dword v131, off, s[0:3], 0 offset:440
	;; [unrolled: 1-line block ×4, first 2 shown]
	ds_read_b128 v[69:72], v2 offset:656
	s_waitcnt vmcnt(60) lgkmcnt(2)
	v_mul_f64 v[129:130], v[63:64], v[3:4]
	v_mul_f64 v[3:4], v[61:62], v[3:4]
	s_waitcnt vmcnt(58) lgkmcnt(1)
	v_mul_f64 v[135:136], v[67:68], v[73:74]
	v_mul_f64 v[73:74], v[65:66], v[73:74]
	;; [unrolled: 3-line block ×3, first 2 shown]
	v_fma_f64 v[129:130], v[61:62], v[75:76], -v[129:130]
	v_fma_f64 v[3:4], v[63:64], v[75:76], v[3:4]
	s_clause 0x3
	buffer_load_dword v75, off, s[0:3], 0 offset:456
	buffer_load_dword v76, off, s[0:3], 0 offset:460
	;; [unrolled: 1-line block ×4, first 2 shown]
	s_waitcnt vmcnt(56)
	v_fma_f64 v[135:136], v[65:66], v[79:80], -v[135:136]
	ds_read_b128 v[61:64], v2 offset:672
	v_fma_f64 v[73:74], v[67:68], v[79:80], v[73:74]
	s_clause 0x1
	buffer_load_dword v79, off, s[0:3], 0 offset:448
	buffer_load_dword v80, off, s[0:3], 0 offset:452
	s_waitcnt vmcnt(54)
	v_fma_f64 v[77:78], v[69:70], v[83:84], -v[77:78]
	ds_read_b128 v[65:68], v2 offset:688
	v_fma_f64 v[83:84], v[71:72], v[83:84], v[139:140]
	ds_read_b128 v[69:72], v2 offset:704
	v_add_f64 v[129:130], v[129:130], 0
	v_add_f64 v[3:4], v[3:4], 0
	s_waitcnt lgkmcnt(2)
	v_mul_f64 v[141:142], v[61:62], v[81:82]
	v_mul_f64 v[81:82], v[63:64], v[81:82]
	v_add_f64 v[129:130], v[129:130], v[135:136]
	v_add_f64 v[3:4], v[3:4], v[73:74]
	s_waitcnt vmcnt(52) lgkmcnt(1)
	v_mul_f64 v[73:74], v[65:66], v[85:86]
	v_mul_f64 v[85:86], v[67:68], v[85:86]
	s_waitcnt vmcnt(50)
	v_fma_f64 v[81:82], v[61:62], v[87:88], -v[81:82]
	v_fma_f64 v[87:88], v[63:64], v[87:88], v[141:142]
	s_waitcnt vmcnt(48) lgkmcnt(0)
	v_mul_f64 v[135:136], v[69:70], v[89:90]
	v_mul_f64 v[89:90], v[71:72], v[89:90]
	v_add_f64 v[77:78], v[129:130], v[77:78]
	v_add_f64 v[3:4], v[3:4], v[83:84]
	s_clause 0x3
	buffer_load_dword v83, off, s[0:3], 0 offset:176
	buffer_load_dword v84, off, s[0:3], 0 offset:180
	;; [unrolled: 1-line block ×4, first 2 shown]
	s_waitcnt vmcnt(50)
	v_fma_f64 v[85:86], v[65:66], v[91:92], -v[85:86]
	ds_read_b128 v[61:64], v2 offset:720
	v_fma_f64 v[73:74], v[67:68], v[91:92], v[73:74]
	ds_read_b128 v[65:68], v2 offset:736
	s_waitcnt vmcnt(46)
	v_fma_f64 v[89:90], v[69:70], v[95:96], -v[89:90]
	v_add_f64 v[77:78], v[77:78], v[81:82]
	v_add_f64 v[3:4], v[3:4], v[87:88]
	s_waitcnt lgkmcnt(1)
	v_mul_f64 v[87:88], v[63:64], v[93:94]
	v_mul_f64 v[81:82], v[61:62], v[93:94]
	s_waitcnt vmcnt(44) lgkmcnt(0)
	v_mul_f64 v[91:92], v[67:68], v[97:98]
	v_add_f64 v[77:78], v[77:78], v[85:86]
	v_fma_f64 v[85:86], v[71:72], v[95:96], v[135:136]
	v_add_f64 v[3:4], v[3:4], v[73:74]
	s_waitcnt vmcnt(42)
	v_fma_f64 v[87:88], v[61:62], v[99:100], -v[87:88]
	ds_read_b128 v[69:72], v2 offset:752
	v_mul_f64 v[73:74], v[65:66], v[97:98]
	v_fma_f64 v[81:82], v[63:64], v[99:100], v[81:82]
	ds_read_b128 v[61:64], v2 offset:768
	s_waitcnt vmcnt(38)
	v_fma_f64 v[91:92], v[65:66], v[103:104], -v[91:92]
	v_add_f64 v[77:78], v[77:78], v[89:90]
	v_add_f64 v[3:4], v[3:4], v[85:86]
	s_waitcnt lgkmcnt(1)
	v_mul_f64 v[89:90], v[71:72], v[101:102]
	v_mul_f64 v[85:86], v[69:70], v[101:102]
	v_fma_f64 v[73:74], v[67:68], v[103:104], v[73:74]
	ds_read_b128 v[65:68], v2 offset:784
	v_add_f64 v[77:78], v[77:78], v[87:88]
	s_waitcnt vmcnt(36) lgkmcnt(1)
	v_mul_f64 v[87:88], v[63:64], v[105:106]
	v_add_f64 v[3:4], v[3:4], v[81:82]
	s_waitcnt vmcnt(34)
	v_fma_f64 v[89:90], v[69:70], v[107:108], -v[89:90]
	v_mul_f64 v[81:82], v[61:62], v[105:106]
	v_fma_f64 v[85:86], v[71:72], v[107:108], v[85:86]
	ds_read_b128 v[69:72], v2 offset:800
	v_add_f64 v[77:78], v[77:78], v[91:92]
	s_waitcnt vmcnt(32) lgkmcnt(1)
	v_mul_f64 v[91:92], v[67:68], v[109:110]
	v_add_f64 v[3:4], v[3:4], v[73:74]
	s_waitcnt vmcnt(30)
	v_fma_f64 v[87:88], v[61:62], v[111:112], -v[87:88]
	;; [unrolled: 9-line block ×7, first 2 shown]
	v_mul_f64 v[81:82], v[61:62], v[131:132]
	v_fma_f64 v[71:72], v[71:72], v[133:134], v[85:86]
	v_add_f64 v[77:78], v[77:78], v[91:92]
	v_add_f64 v[3:4], v[3:4], v[73:74]
	s_waitcnt vmcnt(8) lgkmcnt(0)
	v_mul_f64 v[73:74], v[65:66], v[75:76]
	v_mul_f64 v[75:76], v[67:68], v[75:76]
	s_waitcnt vmcnt(6)
	v_fma_f64 v[61:62], v[61:62], v[137:138], -v[87:88]
	v_fma_f64 v[63:64], v[63:64], v[137:138], v[81:82]
	v_add_f64 v[69:70], v[77:78], v[69:70]
	v_add_f64 v[3:4], v[3:4], v[71:72]
	s_waitcnt vmcnt(4)
	v_fma_f64 v[67:68], v[67:68], v[79:80], v[73:74]
	v_fma_f64 v[65:66], v[65:66], v[79:80], -v[75:76]
	v_add_f64 v[61:62], v[69:70], v[61:62]
	v_add_f64 v[3:4], v[3:4], v[63:64]
	;; [unrolled: 1-line block ×4, first 2 shown]
	s_waitcnt vmcnt(2)
	v_add_f64 v[61:62], v[83:84], -v[61:62]
	s_waitcnt vmcnt(0)
	v_add_f64 v[3:4], v[129:130], -v[3:4]
	buffer_store_dword v62, off, s[0:3], 0 offset:180
	buffer_store_dword v61, off, s[0:3], 0 offset:176
	;; [unrolled: 1-line block ×4, first 2 shown]
	v_cmpx_lt_u32_e32 9, v0
	s_cbranch_execz .LBB27_163
; %bb.162:
	v_mov_b32_e32 v3, s30
	s_clause 0x3
	buffer_load_dword v61, v3, s[0:3], 0 offen
	buffer_load_dword v62, v3, s[0:3], 0 offen offset:4
	buffer_load_dword v63, v3, s[0:3], 0 offen offset:8
	;; [unrolled: 1-line block ×3, first 2 shown]
	buffer_store_dword v2, off, s[0:3], 0 offset:160
	buffer_store_dword v2, off, s[0:3], 0 offset:164
	;; [unrolled: 1-line block ×4, first 2 shown]
	s_waitcnt vmcnt(0)
	ds_write_b128 v1, v[61:64]
.LBB27_163:
	s_or_b32 exec_lo, exec_lo, s4
	s_waitcnt lgkmcnt(0)
	s_waitcnt_vscnt null, 0x0
	s_barrier
	buffer_gl0_inv
	s_clause 0x37
	buffer_load_dword v3, off, s[0:3], 0 offset:184
	buffer_load_dword v4, off, s[0:3], 0 offset:188
	buffer_load_dword v73, off, s[0:3], 0 offset:200
	buffer_load_dword v74, off, s[0:3], 0 offset:204
	buffer_load_dword v75, off, s[0:3], 0 offset:176
	buffer_load_dword v76, off, s[0:3], 0 offset:180
	buffer_load_dword v77, off, s[0:3], 0 offset:216
	buffer_load_dword v78, off, s[0:3], 0 offset:220
	buffer_load_dword v79, off, s[0:3], 0 offset:192
	buffer_load_dword v80, off, s[0:3], 0 offset:196
	buffer_load_dword v82, off, s[0:3], 0 offset:236
	buffer_load_dword v83, off, s[0:3], 0 offset:248
	buffer_load_dword v85, off, s[0:3], 0 offset:240
	buffer_load_dword v81, off, s[0:3], 0 offset:232
	buffer_load_dword v87, off, s[0:3], 0 offset:208
	buffer_load_dword v88, off, s[0:3], 0 offset:212
	buffer_load_dword v84, off, s[0:3], 0 offset:252
	buffer_load_dword v90, off, s[0:3], 0 offset:228
	buffer_load_dword v89, off, s[0:3], 0 offset:224
	buffer_load_dword v92, off, s[0:3], 0 offset:268
	buffer_load_dword v93, off, s[0:3], 0 offset:280
	buffer_load_dword v95, off, s[0:3], 0 offset:272
	buffer_load_dword v91, off, s[0:3], 0 offset:264
	buffer_load_dword v86, off, s[0:3], 0 offset:244
	buffer_load_dword v94, off, s[0:3], 0 offset:284
	buffer_load_dword v98, off, s[0:3], 0 offset:260
	buffer_load_dword v97, off, s[0:3], 0 offset:256
	buffer_load_dword v100, off, s[0:3], 0 offset:300
	buffer_load_dword v101, off, s[0:3], 0 offset:312
	buffer_load_dword v103, off, s[0:3], 0 offset:304
	buffer_load_dword v99, off, s[0:3], 0 offset:296
	buffer_load_dword v96, off, s[0:3], 0 offset:276
	buffer_load_dword v102, off, s[0:3], 0 offset:316
	buffer_load_dword v106, off, s[0:3], 0 offset:292
	buffer_load_dword v105, off, s[0:3], 0 offset:288
	buffer_load_dword v108, off, s[0:3], 0 offset:332
	buffer_load_dword v109, off, s[0:3], 0 offset:344
	buffer_load_dword v111, off, s[0:3], 0 offset:336
	buffer_load_dword v107, off, s[0:3], 0 offset:328
	buffer_load_dword v104, off, s[0:3], 0 offset:308
	buffer_load_dword v110, off, s[0:3], 0 offset:348
	buffer_load_dword v114, off, s[0:3], 0 offset:324
	buffer_load_dword v113, off, s[0:3], 0 offset:320
	buffer_load_dword v116, off, s[0:3], 0 offset:364
	buffer_load_dword v117, off, s[0:3], 0 offset:376
	buffer_load_dword v119, off, s[0:3], 0 offset:368
	buffer_load_dword v115, off, s[0:3], 0 offset:360
	buffer_load_dword v112, off, s[0:3], 0 offset:340
	buffer_load_dword v118, off, s[0:3], 0 offset:380
	buffer_load_dword v122, off, s[0:3], 0 offset:356
	buffer_load_dword v121, off, s[0:3], 0 offset:352
	buffer_load_dword v124, off, s[0:3], 0 offset:396
	buffer_load_dword v125, off, s[0:3], 0 offset:408
	buffer_load_dword v127, off, s[0:3], 0 offset:400
	buffer_load_dword v123, off, s[0:3], 0 offset:392
	buffer_load_dword v120, off, s[0:3], 0 offset:372
	ds_read_b128 v[61:64], v2 offset:608
	s_clause 0x2
	buffer_load_dword v126, off, s[0:3], 0 offset:412
	buffer_load_dword v130, off, s[0:3], 0 offset:388
	buffer_load_dword v129, off, s[0:3], 0 offset:384
	ds_read_b128 v[65:68], v2 offset:624
	s_clause 0x4
	buffer_load_dword v134, off, s[0:3], 0 offset:428
	buffer_load_dword v135, off, s[0:3], 0 offset:440
	;; [unrolled: 1-line block ×5, first 2 shown]
	ds_read_b128 v[69:72], v2 offset:640
	s_mov_b32 s4, exec_lo
	s_waitcnt vmcnt(62) lgkmcnt(2)
	v_mul_f64 v[131:132], v[63:64], v[3:4]
	v_mul_f64 v[3:4], v[61:62], v[3:4]
	s_waitcnt vmcnt(60) lgkmcnt(1)
	v_mul_f64 v[138:139], v[67:68], v[73:74]
	v_mul_f64 v[73:74], v[65:66], v[73:74]
	;; [unrolled: 3-line block ×3, first 2 shown]
	v_fma_f64 v[131:132], v[61:62], v[75:76], -v[131:132]
	v_fma_f64 v[3:4], v[63:64], v[75:76], v[3:4]
	s_clause 0x2
	buffer_load_dword v136, off, s[0:3], 0 offset:444
	buffer_load_dword v76, off, s[0:3], 0 offset:420
	;; [unrolled: 1-line block ×3, first 2 shown]
	s_waitcnt vmcnt(57)
	v_fma_f64 v[142:143], v[65:66], v[79:80], -v[138:139]
	ds_read_b128 v[61:64], v2 offset:656
	v_fma_f64 v[73:74], v[67:68], v[79:80], v[73:74]
	s_clause 0x2
	buffer_load_dword v80, off, s[0:3], 0 offset:460
	buffer_load_dword v79, off, s[0:3], 0 offset:456
	;; [unrolled: 1-line block ×3, first 2 shown]
	s_waitcnt vmcnt(54)
	v_fma_f64 v[77:78], v[69:70], v[87:88], -v[77:78]
	ds_read_b128 v[65:68], v2 offset:672
	v_fma_f64 v[87:88], v[71:72], v[87:88], v[140:141]
	v_add_f64 v[131:132], v[131:132], 0
	v_add_f64 v[3:4], v[3:4], 0
	s_waitcnt lgkmcnt(1)
	v_mul_f64 v[144:145], v[61:62], v[81:82]
	v_mul_f64 v[81:82], v[63:64], v[81:82]
	s_waitcnt vmcnt(53) lgkmcnt(0)
	v_mul_f64 v[139:140], v[65:66], v[83:84]
	v_mul_f64 v[83:84], v[67:68], v[83:84]
	v_add_f64 v[131:132], v[131:132], v[142:143]
	v_add_f64 v[3:4], v[3:4], v[73:74]
	s_clause 0x1
	buffer_load_dword v74, off, s[0:3], 0 offset:452
	buffer_load_dword v73, off, s[0:3], 0 offset:448
	s_waitcnt vmcnt(53)
	v_fma_f64 v[81:82], v[61:62], v[89:90], -v[81:82]
	ds_read_b128 v[69:72], v2 offset:688
	v_fma_f64 v[89:90], v[63:64], v[89:90], v[144:145]
	ds_read_b128 v[61:64], v2 offset:704
	s_waitcnt vmcnt(48)
	v_fma_f64 v[83:84], v[65:66], v[85:86], -v[83:84]
	v_add_f64 v[77:78], v[131:132], v[77:78]
	v_add_f64 v[3:4], v[3:4], v[87:88]
	s_waitcnt lgkmcnt(1)
	v_mul_f64 v[87:88], v[69:70], v[91:92]
	v_mul_f64 v[91:92], v[71:72], v[91:92]
	s_waitcnt vmcnt(47) lgkmcnt(0)
	v_mul_f64 v[131:132], v[61:62], v[93:94]
	v_mul_f64 v[93:94], v[63:64], v[93:94]
	v_add_f64 v[77:78], v[77:78], v[81:82]
	v_fma_f64 v[81:82], v[67:68], v[85:86], v[139:140]
	v_add_f64 v[3:4], v[3:4], v[89:90]
	s_clause 0x3
	buffer_load_dword v85, off, s[0:3], 0 offset:160
	buffer_load_dword v86, off, s[0:3], 0 offset:164
	;; [unrolled: 1-line block ×4, first 2 shown]
	s_waitcnt vmcnt(49)
	v_fma_f64 v[91:92], v[69:70], v[97:98], -v[91:92]
	ds_read_b128 v[65:68], v2 offset:720
	s_waitcnt vmcnt(44)
	v_fma_f64 v[93:94], v[61:62], v[95:96], -v[93:94]
	v_add_f64 v[77:78], v[77:78], v[83:84]
	v_fma_f64 v[83:84], v[71:72], v[97:98], v[87:88]
	v_add_f64 v[3:4], v[3:4], v[81:82]
	ds_read_b128 v[69:72], v2 offset:736
	s_waitcnt lgkmcnt(1)
	v_mul_f64 v[87:88], v[67:68], v[99:100]
	v_mul_f64 v[81:82], v[65:66], v[99:100]
	v_add_f64 v[77:78], v[77:78], v[91:92]
	v_fma_f64 v[91:92], v[63:64], v[95:96], v[131:132]
	v_add_f64 v[3:4], v[3:4], v[83:84]
	s_waitcnt vmcnt(43) lgkmcnt(0)
	v_mul_f64 v[95:96], v[71:72], v[101:102]
	s_waitcnt vmcnt(41)
	v_fma_f64 v[87:88], v[65:66], v[105:106], -v[87:88]
	ds_read_b128 v[61:64], v2 offset:752
	v_mul_f64 v[83:84], v[69:70], v[101:102]
	v_fma_f64 v[81:82], v[67:68], v[105:106], v[81:82]
	ds_read_b128 v[65:68], v2 offset:768
	v_add_f64 v[77:78], v[77:78], v[93:94]
	v_add_f64 v[3:4], v[3:4], v[91:92]
	s_waitcnt vmcnt(37) lgkmcnt(1)
	v_mul_f64 v[93:94], v[63:64], v[107:108]
	s_waitcnt vmcnt(36)
	v_fma_f64 v[95:96], v[69:70], v[103:104], -v[95:96]
	v_mul_f64 v[91:92], v[61:62], v[107:108]
	v_fma_f64 v[83:84], v[71:72], v[103:104], v[83:84]
	ds_read_b128 v[69:72], v2 offset:784
	v_add_f64 v[77:78], v[77:78], v[87:88]
	s_waitcnt vmcnt(35) lgkmcnt(1)
	v_mul_f64 v[87:88], v[67:68], v[109:110]
	v_add_f64 v[3:4], v[3:4], v[81:82]
	s_waitcnt vmcnt(33)
	v_fma_f64 v[93:94], v[61:62], v[113:114], -v[93:94]
	v_mul_f64 v[81:82], v[65:66], v[109:110]
	v_fma_f64 v[91:92], v[63:64], v[113:114], v[91:92]
	ds_read_b128 v[61:64], v2 offset:800
	v_add_f64 v[77:78], v[77:78], v[95:96]
	s_waitcnt vmcnt(29) lgkmcnt(1)
	v_mul_f64 v[95:96], v[71:72], v[115:116]
	v_add_f64 v[3:4], v[3:4], v[83:84]
	;; [unrolled: 9-line block ×6, first 2 shown]
	s_waitcnt vmcnt(12)
	v_fma_f64 v[95:96], v[69:70], v[127:128], -v[95:96]
	v_mul_f64 v[91:92], v[61:62], v[133:134]
	v_fma_f64 v[83:84], v[71:72], v[127:128], v[83:84]
	ds_read_b128 v[69:72], v2 offset:880
	v_add_f64 v[77:78], v[77:78], v[87:88]
	v_add_f64 v[3:4], v[3:4], v[81:82]
	s_waitcnt vmcnt(11) lgkmcnt(1)
	v_mul_f64 v[87:88], v[67:68], v[135:136]
	v_mul_f64 v[81:82], v[65:66], v[135:136]
	s_waitcnt vmcnt(9)
	v_fma_f64 v[61:62], v[61:62], v[75:76], -v[93:94]
	v_fma_f64 v[63:64], v[63:64], v[75:76], v[91:92]
	s_waitcnt vmcnt(7) lgkmcnt(0)
	v_mul_f64 v[75:76], v[69:70], v[79:80]
	v_mul_f64 v[79:80], v[71:72], v[79:80]
	v_add_f64 v[77:78], v[77:78], v[95:96]
	v_add_f64 v[2:3], v[3:4], v[83:84]
	s_waitcnt vmcnt(6)
	v_fma_f64 v[65:66], v[65:66], v[137:138], -v[87:88]
	v_fma_f64 v[67:68], v[67:68], v[137:138], v[81:82]
	v_add_f64 v[61:62], v[77:78], v[61:62]
	v_add_f64 v[2:3], v[2:3], v[63:64]
	s_waitcnt vmcnt(4)
	v_fma_f64 v[63:64], v[69:70], v[73:74], -v[79:80]
	v_add_f64 v[61:62], v[61:62], v[65:66]
	v_fma_f64 v[65:66], v[71:72], v[73:74], v[75:76]
	v_add_f64 v[2:3], v[2:3], v[67:68]
	v_add_f64 v[61:62], v[61:62], v[63:64]
	;; [unrolled: 1-line block ×3, first 2 shown]
	s_waitcnt vmcnt(2)
	v_add_f64 v[61:62], v[85:86], -v[61:62]
	s_waitcnt vmcnt(0)
	v_add_f64 v[2:3], v[89:90], -v[2:3]
	buffer_store_dword v62, off, s[0:3], 0 offset:164
	buffer_store_dword v61, off, s[0:3], 0 offset:160
	;; [unrolled: 1-line block ×4, first 2 shown]
	v_cmpx_lt_u32_e32 8, v0
	s_cbranch_execz .LBB27_165
; %bb.164:
	v_mov_b32_e32 v2, s31
	s_clause 0x3
	buffer_load_dword v61, v2, s[0:3], 0 offen
	buffer_load_dword v62, v2, s[0:3], 0 offen offset:4
	buffer_load_dword v63, v2, s[0:3], 0 offen offset:8
	;; [unrolled: 1-line block ×3, first 2 shown]
	v_mov_b32_e32 v2, 0
	buffer_store_dword v2, off, s[0:3], 0 offset:144
	buffer_store_dword v2, off, s[0:3], 0 offset:148
	;; [unrolled: 1-line block ×4, first 2 shown]
	s_waitcnt vmcnt(0)
	ds_write_b128 v1, v[61:64]
.LBB27_165:
	s_or_b32 exec_lo, exec_lo, s4
	s_waitcnt lgkmcnt(0)
	s_waitcnt_vscnt null, 0x0
	s_barrier
	buffer_gl0_inv
	s_clause 0x37
	buffer_load_dword v3, off, s[0:3], 0 offset:168
	buffer_load_dword v4, off, s[0:3], 0 offset:172
	;; [unrolled: 1-line block ×56, first 2 shown]
	v_mov_b32_e32 v2, 0
	s_mov_b32 s4, exec_lo
	ds_read_b128 v[61:64], v2 offset:592
	s_clause 0x2
	buffer_load_dword v126, off, s[0:3], 0 offset:396
	buffer_load_dword v130, off, s[0:3], 0 offset:372
	;; [unrolled: 1-line block ×3, first 2 shown]
	ds_read_b128 v[65:68], v2 offset:608
	s_clause 0x4
	buffer_load_dword v134, off, s[0:3], 0 offset:412
	buffer_load_dword v135, off, s[0:3], 0 offset:424
	;; [unrolled: 1-line block ×5, first 2 shown]
	ds_read_b128 v[69:72], v2 offset:624
	s_waitcnt vmcnt(62) lgkmcnt(2)
	v_mul_f64 v[131:132], v[63:64], v[3:4]
	v_mul_f64 v[3:4], v[61:62], v[3:4]
	s_waitcnt vmcnt(60) lgkmcnt(1)
	v_mul_f64 v[138:139], v[67:68], v[73:74]
	v_mul_f64 v[73:74], v[65:66], v[73:74]
	;; [unrolled: 3-line block ×3, first 2 shown]
	v_fma_f64 v[131:132], v[61:62], v[75:76], -v[131:132]
	v_fma_f64 v[3:4], v[63:64], v[75:76], v[3:4]
	s_clause 0x2
	buffer_load_dword v136, off, s[0:3], 0 offset:428
	buffer_load_dword v76, off, s[0:3], 0 offset:404
	;; [unrolled: 1-line block ×3, first 2 shown]
	s_waitcnt vmcnt(57)
	v_fma_f64 v[142:143], v[65:66], v[79:80], -v[138:139]
	ds_read_b128 v[61:64], v2 offset:640
	v_fma_f64 v[73:74], v[67:68], v[79:80], v[73:74]
	s_clause 0x4
	buffer_load_dword v80, off, s[0:3], 0 offset:444
	buffer_load_dword v139, off, s[0:3], 0 offset:456
	buffer_load_dword v144, off, s[0:3], 0 offset:448
	buffer_load_dword v79, off, s[0:3], 0 offset:440
	buffer_load_dword v138, off, s[0:3], 0 offset:420
	s_waitcnt vmcnt(56)
	v_fma_f64 v[77:78], v[69:70], v[87:88], -v[77:78]
	ds_read_b128 v[65:68], v2 offset:656
	v_fma_f64 v[87:88], v[71:72], v[87:88], v[140:141]
	v_add_f64 v[131:132], v[131:132], 0
	v_add_f64 v[3:4], v[3:4], 0
	s_waitcnt lgkmcnt(1)
	v_mul_f64 v[145:146], v[61:62], v[81:82]
	v_mul_f64 v[81:82], v[63:64], v[81:82]
	v_add_f64 v[131:132], v[131:132], v[142:143]
	v_add_f64 v[3:4], v[3:4], v[73:74]
	s_clause 0x2
	buffer_load_dword v140, off, s[0:3], 0 offset:460
	buffer_load_dword v74, off, s[0:3], 0 offset:436
	;; [unrolled: 1-line block ×3, first 2 shown]
	s_waitcnt vmcnt(58) lgkmcnt(0)
	v_mul_f64 v[141:142], v[65:66], v[83:84]
	v_mul_f64 v[83:84], v[67:68], v[83:84]
	s_waitcnt vmcnt(56)
	v_fma_f64 v[81:82], v[61:62], v[89:90], -v[81:82]
	ds_read_b128 v[69:72], v2 offset:672
	v_fma_f64 v[89:90], v[63:64], v[89:90], v[145:146]
	buffer_load_dword v145, off, s[0:3], 0 offset:452
	ds_read_b128 v[61:64], v2 offset:688
	v_add_f64 v[77:78], v[131:132], v[77:78]
	v_add_f64 v[3:4], v[3:4], v[87:88]
	s_waitcnt vmcnt(53) lgkmcnt(1)
	v_mul_f64 v[87:88], v[69:70], v[91:92]
	v_mul_f64 v[91:92], v[71:72], v[91:92]
	s_waitcnt vmcnt(52)
	v_fma_f64 v[83:84], v[65:66], v[85:86], -v[83:84]
	v_add_f64 v[77:78], v[77:78], v[81:82]
	v_fma_f64 v[81:82], v[67:68], v[85:86], v[141:142]
	v_add_f64 v[3:4], v[3:4], v[89:90]
	s_waitcnt vmcnt(51) lgkmcnt(0)
	v_mul_f64 v[89:90], v[63:64], v[93:94]
	ds_read_b128 v[65:68], v2 offset:704
	s_waitcnt vmcnt(49)
	v_fma_f64 v[91:92], v[69:70], v[97:98], -v[91:92]
	v_mul_f64 v[85:86], v[61:62], v[93:94]
	v_add_f64 v[77:78], v[77:78], v[83:84]
	v_fma_f64 v[83:84], v[71:72], v[97:98], v[87:88]
	v_add_f64 v[3:4], v[3:4], v[81:82]
	s_clause 0x3
	buffer_load_dword v81, off, s[0:3], 0 offset:144
	buffer_load_dword v82, off, s[0:3], 0 offset:148
	;; [unrolled: 1-line block ×4, first 2 shown]
	s_waitcnt vmcnt(49) lgkmcnt(0)
	v_mul_f64 v[97:98], v[67:68], v[99:100]
	s_waitcnt vmcnt(48)
	v_fma_f64 v[89:90], v[61:62], v[95:96], -v[89:90]
	ds_read_b128 v[69:72], v2 offset:720
	v_mul_f64 v[93:94], v[65:66], v[99:100]
	v_fma_f64 v[85:86], v[63:64], v[95:96], v[85:86]
	ds_read_b128 v[61:64], v2 offset:736
	v_add_f64 v[77:78], v[77:78], v[91:92]
	v_add_f64 v[3:4], v[3:4], v[83:84]
	s_waitcnt vmcnt(47) lgkmcnt(1)
	v_mul_f64 v[91:92], v[71:72], v[101:102]
	s_waitcnt vmcnt(45)
	v_fma_f64 v[95:96], v[65:66], v[105:106], -v[97:98]
	v_mul_f64 v[83:84], v[69:70], v[101:102]
	v_add_f64 v[77:78], v[77:78], v[89:90]
	v_fma_f64 v[89:90], v[67:68], v[105:106], v[93:94]
	v_add_f64 v[3:4], v[3:4], v[85:86]
	s_waitcnt vmcnt(41) lgkmcnt(0)
	v_mul_f64 v[93:94], v[63:64], v[107:108]
	s_waitcnt vmcnt(40)
	v_fma_f64 v[91:92], v[69:70], v[103:104], -v[91:92]
	ds_read_b128 v[65:68], v2 offset:752
	v_mul_f64 v[85:86], v[61:62], v[107:108]
	v_fma_f64 v[83:84], v[71:72], v[103:104], v[83:84]
	ds_read_b128 v[69:72], v2 offset:768
	v_add_f64 v[77:78], v[77:78], v[95:96]
	v_add_f64 v[3:4], v[3:4], v[89:90]
	s_waitcnt vmcnt(39) lgkmcnt(1)
	v_mul_f64 v[95:96], v[67:68], v[109:110]
	s_waitcnt vmcnt(37)
	v_fma_f64 v[93:94], v[61:62], v[113:114], -v[93:94]
	v_mul_f64 v[89:90], v[65:66], v[109:110]
	v_fma_f64 v[85:86], v[63:64], v[113:114], v[85:86]
	ds_read_b128 v[61:64], v2 offset:784
	v_add_f64 v[77:78], v[77:78], v[91:92]
	s_waitcnt vmcnt(33) lgkmcnt(1)
	v_mul_f64 v[91:92], v[71:72], v[115:116]
	v_add_f64 v[3:4], v[3:4], v[83:84]
	s_waitcnt vmcnt(32)
	v_fma_f64 v[95:96], v[65:66], v[111:112], -v[95:96]
	v_mul_f64 v[83:84], v[69:70], v[115:116]
	v_fma_f64 v[89:90], v[67:68], v[111:112], v[89:90]
	ds_read_b128 v[65:68], v2 offset:800
	v_add_f64 v[77:78], v[77:78], v[93:94]
	s_waitcnt vmcnt(31) lgkmcnt(1)
	v_mul_f64 v[93:94], v[63:64], v[117:118]
	v_add_f64 v[3:4], v[3:4], v[85:86]
	s_waitcnt vmcnt(29)
	v_fma_f64 v[91:92], v[69:70], v[121:122], -v[91:92]
	v_mul_f64 v[85:86], v[61:62], v[117:118]
	v_fma_f64 v[83:84], v[71:72], v[121:122], v[83:84]
	ds_read_b128 v[69:72], v2 offset:816
	v_add_f64 v[77:78], v[77:78], v[95:96]
	s_waitcnt vmcnt(25) lgkmcnt(1)
	v_mul_f64 v[95:96], v[67:68], v[123:124]
	v_add_f64 v[3:4], v[3:4], v[89:90]
	s_waitcnt vmcnt(24)
	v_fma_f64 v[93:94], v[61:62], v[119:120], -v[93:94]
	v_mul_f64 v[89:90], v[65:66], v[123:124]
	v_fma_f64 v[85:86], v[63:64], v[119:120], v[85:86]
	ds_read_b128 v[61:64], v2 offset:832
	v_add_f64 v[77:78], v[77:78], v[91:92]
	s_waitcnt vmcnt(23) lgkmcnt(1)
	v_mul_f64 v[91:92], v[71:72], v[125:126]
	v_add_f64 v[3:4], v[3:4], v[83:84]
	s_waitcnt vmcnt(21)
	v_fma_f64 v[95:96], v[65:66], v[129:130], -v[95:96]
	v_mul_f64 v[83:84], v[69:70], v[125:126]
	v_fma_f64 v[89:90], v[67:68], v[129:130], v[89:90]
	ds_read_b128 v[65:68], v2 offset:848
	v_add_f64 v[77:78], v[77:78], v[93:94]
	s_waitcnt vmcnt(17) lgkmcnt(1)
	v_mul_f64 v[93:94], v[63:64], v[133:134]
	v_add_f64 v[3:4], v[3:4], v[85:86]
	s_waitcnt vmcnt(16)
	v_fma_f64 v[91:92], v[69:70], v[127:128], -v[91:92]
	v_mul_f64 v[85:86], v[61:62], v[133:134]
	v_fma_f64 v[83:84], v[71:72], v[127:128], v[83:84]
	ds_read_b128 v[69:72], v2 offset:864
	v_add_f64 v[77:78], v[77:78], v[95:96]
	v_add_f64 v[3:4], v[3:4], v[89:90]
	s_waitcnt vmcnt(15) lgkmcnt(1)
	v_mul_f64 v[95:96], v[67:68], v[135:136]
	v_mul_f64 v[89:90], v[65:66], v[135:136]
	s_waitcnt vmcnt(13)
	v_fma_f64 v[93:94], v[61:62], v[75:76], -v[93:94]
	v_fma_f64 v[75:76], v[63:64], v[75:76], v[85:86]
	ds_read_b128 v[61:64], v2 offset:880
	v_add_f64 v[77:78], v[77:78], v[91:92]
	v_add_f64 v[3:4], v[3:4], v[83:84]
	s_waitcnt vmcnt(9) lgkmcnt(1)
	v_mul_f64 v[83:84], v[69:70], v[79:80]
	v_mul_f64 v[79:80], v[71:72], v[79:80]
	s_waitcnt vmcnt(8)
	v_fma_f64 v[65:66], v[65:66], v[137:138], -v[95:96]
	v_fma_f64 v[67:68], v[67:68], v[137:138], v[89:90]
	v_add_f64 v[77:78], v[77:78], v[93:94]
	v_add_f64 v[3:4], v[3:4], v[75:76]
	s_waitcnt vmcnt(7) lgkmcnt(0)
	v_mul_f64 v[85:86], v[63:64], v[139:140]
	v_mul_f64 v[75:76], v[61:62], v[139:140]
	s_waitcnt vmcnt(5)
	v_fma_f64 v[69:70], v[69:70], v[73:74], -v[79:80]
	v_fma_f64 v[71:72], v[71:72], v[73:74], v[83:84]
	v_add_f64 v[65:66], v[77:78], v[65:66]
	v_add_f64 v[3:4], v[3:4], v[67:68]
	s_waitcnt vmcnt(4)
	v_fma_f64 v[61:62], v[61:62], v[144:145], -v[85:86]
	v_fma_f64 v[63:64], v[63:64], v[144:145], v[75:76]
	v_add_f64 v[65:66], v[65:66], v[69:70]
	v_add_f64 v[3:4], v[3:4], v[71:72]
	;; [unrolled: 1-line block ×4, first 2 shown]
	s_waitcnt vmcnt(2)
	v_add_f64 v[61:62], v[81:82], -v[61:62]
	s_waitcnt vmcnt(0)
	v_add_f64 v[3:4], v[87:88], -v[3:4]
	buffer_store_dword v62, off, s[0:3], 0 offset:148
	buffer_store_dword v61, off, s[0:3], 0 offset:144
	;; [unrolled: 1-line block ×4, first 2 shown]
	v_cmpx_lt_u32_e32 7, v0
	s_cbranch_execz .LBB27_167
; %bb.166:
	v_mov_b32_e32 v3, s33
	s_clause 0x3
	buffer_load_dword v61, v3, s[0:3], 0 offen
	buffer_load_dword v62, v3, s[0:3], 0 offen offset:4
	buffer_load_dword v63, v3, s[0:3], 0 offen offset:8
	;; [unrolled: 1-line block ×3, first 2 shown]
	buffer_store_dword v2, off, s[0:3], 0 offset:128
	buffer_store_dword v2, off, s[0:3], 0 offset:132
	;; [unrolled: 1-line block ×4, first 2 shown]
	s_waitcnt vmcnt(0)
	ds_write_b128 v1, v[61:64]
.LBB27_167:
	s_or_b32 exec_lo, exec_lo, s4
	s_waitcnt lgkmcnt(0)
	s_waitcnt_vscnt null, 0x0
	s_barrier
	buffer_gl0_inv
	s_clause 0x37
	buffer_load_dword v3, off, s[0:3], 0 offset:152
	buffer_load_dword v4, off, s[0:3], 0 offset:156
	;; [unrolled: 1-line block ×56, first 2 shown]
	ds_read_b128 v[61:64], v2 offset:576
	s_clause 0x2
	buffer_load_dword v126, off, s[0:3], 0 offset:380
	buffer_load_dword v130, off, s[0:3], 0 offset:356
	;; [unrolled: 1-line block ×3, first 2 shown]
	ds_read_b128 v[65:68], v2 offset:592
	s_clause 0x4
	buffer_load_dword v134, off, s[0:3], 0 offset:396
	buffer_load_dword v135, off, s[0:3], 0 offset:408
	;; [unrolled: 1-line block ×5, first 2 shown]
	ds_read_b128 v[69:72], v2 offset:608
	s_mov_b32 s4, exec_lo
	s_waitcnt vmcnt(62) lgkmcnt(2)
	v_mul_f64 v[131:132], v[63:64], v[3:4]
	v_mul_f64 v[3:4], v[61:62], v[3:4]
	s_waitcnt vmcnt(60) lgkmcnt(1)
	v_mul_f64 v[138:139], v[67:68], v[73:74]
	v_mul_f64 v[73:74], v[65:66], v[73:74]
	;; [unrolled: 3-line block ×3, first 2 shown]
	v_fma_f64 v[131:132], v[61:62], v[75:76], -v[131:132]
	v_fma_f64 v[3:4], v[63:64], v[75:76], v[3:4]
	s_clause 0x2
	buffer_load_dword v136, off, s[0:3], 0 offset:412
	buffer_load_dword v76, off, s[0:3], 0 offset:388
	;; [unrolled: 1-line block ×3, first 2 shown]
	s_waitcnt vmcnt(57)
	v_fma_f64 v[142:143], v[65:66], v[79:80], -v[138:139]
	ds_read_b128 v[61:64], v2 offset:624
	v_fma_f64 v[73:74], v[67:68], v[79:80], v[73:74]
	s_clause 0x4
	buffer_load_dword v80, off, s[0:3], 0 offset:428
	buffer_load_dword v139, off, s[0:3], 0 offset:440
	;; [unrolled: 1-line block ×5, first 2 shown]
	s_waitcnt vmcnt(56)
	v_fma_f64 v[77:78], v[69:70], v[87:88], -v[77:78]
	ds_read_b128 v[65:68], v2 offset:640
	v_fma_f64 v[87:88], v[71:72], v[87:88], v[140:141]
	v_add_f64 v[131:132], v[131:132], 0
	v_add_f64 v[3:4], v[3:4], 0
	s_waitcnt lgkmcnt(1)
	v_mul_f64 v[145:146], v[61:62], v[81:82]
	v_mul_f64 v[81:82], v[63:64], v[81:82]
	v_add_f64 v[131:132], v[131:132], v[142:143]
	v_add_f64 v[3:4], v[3:4], v[73:74]
	s_clause 0x2
	buffer_load_dword v140, off, s[0:3], 0 offset:444
	buffer_load_dword v74, off, s[0:3], 0 offset:420
	;; [unrolled: 1-line block ×3, first 2 shown]
	s_waitcnt vmcnt(58) lgkmcnt(0)
	v_mul_f64 v[141:142], v[65:66], v[83:84]
	v_mul_f64 v[83:84], v[67:68], v[83:84]
	s_waitcnt vmcnt(56)
	v_fma_f64 v[81:82], v[61:62], v[89:90], -v[81:82]
	ds_read_b128 v[69:72], v2 offset:656
	v_fma_f64 v[89:90], v[63:64], v[89:90], v[145:146]
	v_add_f64 v[77:78], v[131:132], v[77:78]
	v_add_f64 v[3:4], v[3:4], v[87:88]
	s_clause 0x2
	buffer_load_dword v88, off, s[0:3], 0 offset:460
	buffer_load_dword v87, off, s[0:3], 0 offset:456
	;; [unrolled: 1-line block ×3, first 2 shown]
	ds_read_b128 v[61:64], v2 offset:672
	s_waitcnt vmcnt(55) lgkmcnt(1)
	v_mul_f64 v[131:132], v[69:70], v[91:92]
	v_mul_f64 v[91:92], v[71:72], v[91:92]
	s_waitcnt vmcnt(54)
	v_fma_f64 v[83:84], v[65:66], v[85:86], -v[83:84]
	v_add_f64 v[77:78], v[77:78], v[81:82]
	v_fma_f64 v[81:82], v[67:68], v[85:86], v[141:142]
	v_add_f64 v[3:4], v[3:4], v[89:90]
	s_clause 0x1
	buffer_load_dword v86, off, s[0:3], 0 offset:452
	buffer_load_dword v85, off, s[0:3], 0 offset:448
	s_waitcnt vmcnt(55) lgkmcnt(0)
	v_mul_f64 v[89:90], v[61:62], v[93:94]
	v_mul_f64 v[93:94], v[63:64], v[93:94]
	s_waitcnt vmcnt(53)
	v_fma_f64 v[91:92], v[69:70], v[97:98], -v[91:92]
	ds_read_b128 v[65:68], v2 offset:688
	v_add_f64 v[77:78], v[77:78], v[83:84]
	v_fma_f64 v[83:84], v[71:72], v[97:98], v[131:132]
	v_add_f64 v[3:4], v[3:4], v[81:82]
	ds_read_b128 v[69:72], v2 offset:704
	s_waitcnt vmcnt(48)
	v_fma_f64 v[89:90], v[63:64], v[95:96], v[89:90]
	s_waitcnt lgkmcnt(1)
	v_mul_f64 v[97:98], v[67:68], v[99:100]
	v_fma_f64 v[93:94], v[61:62], v[95:96], -v[93:94]
	v_mul_f64 v[81:82], v[65:66], v[99:100]
	v_add_f64 v[77:78], v[77:78], v[91:92]
	s_waitcnt vmcnt(47) lgkmcnt(0)
	v_mul_f64 v[99:100], v[71:72], v[101:102]
	v_add_f64 v[3:4], v[3:4], v[83:84]
	s_clause 0x3
	buffer_load_dword v83, off, s[0:3], 0 offset:128
	buffer_load_dword v84, off, s[0:3], 0 offset:132
	;; [unrolled: 1-line block ×4, first 2 shown]
	ds_read_b128 v[61:64], v2 offset:720
	s_waitcnt vmcnt(49)
	v_fma_f64 v[97:98], v[65:66], v[105:106], -v[97:98]
	v_mul_f64 v[95:96], v[69:70], v[101:102]
	v_fma_f64 v[81:82], v[67:68], v[105:106], v[81:82]
	ds_read_b128 v[65:68], v2 offset:736
	v_add_f64 v[77:78], v[77:78], v[93:94]
	s_waitcnt vmcnt(44)
	v_fma_f64 v[99:100], v[69:70], v[103:104], -v[99:100]
	v_add_f64 v[3:4], v[3:4], v[89:90]
	s_waitcnt lgkmcnt(1)
	v_mul_f64 v[93:94], v[63:64], v[107:108]
	v_mul_f64 v[89:90], v[61:62], v[107:108]
	v_fma_f64 v[95:96], v[71:72], v[103:104], v[95:96]
	ds_read_b128 v[69:72], v2 offset:752
	v_add_f64 v[77:78], v[77:78], v[97:98]
	s_waitcnt vmcnt(43) lgkmcnt(1)
	v_mul_f64 v[97:98], v[67:68], v[109:110]
	v_add_f64 v[3:4], v[3:4], v[81:82]
	s_waitcnt vmcnt(41)
	v_fma_f64 v[93:94], v[61:62], v[113:114], -v[93:94]
	v_mul_f64 v[81:82], v[65:66], v[109:110]
	v_fma_f64 v[89:90], v[63:64], v[113:114], v[89:90]
	ds_read_b128 v[61:64], v2 offset:768
	v_add_f64 v[77:78], v[77:78], v[99:100]
	s_waitcnt vmcnt(37) lgkmcnt(1)
	v_mul_f64 v[99:100], v[71:72], v[115:116]
	v_add_f64 v[3:4], v[3:4], v[95:96]
	s_waitcnt vmcnt(36)
	v_fma_f64 v[97:98], v[65:66], v[111:112], -v[97:98]
	;; [unrolled: 9-line block ×6, first 2 shown]
	v_mul_f64 v[89:90], v[61:62], v[133:134]
	v_fma_f64 v[95:96], v[71:72], v[127:128], v[95:96]
	ds_read_b128 v[69:72], v2 offset:848
	v_add_f64 v[77:78], v[77:78], v[97:98]
	v_add_f64 v[3:4], v[3:4], v[81:82]
	s_waitcnt vmcnt(19) lgkmcnt(1)
	v_mul_f64 v[97:98], v[67:68], v[135:136]
	v_mul_f64 v[81:82], v[65:66], v[135:136]
	s_waitcnt vmcnt(17)
	v_fma_f64 v[93:94], v[61:62], v[75:76], -v[93:94]
	v_fma_f64 v[75:76], v[63:64], v[75:76], v[89:90]
	ds_read_b128 v[61:64], v2 offset:864
	s_waitcnt vmcnt(13) lgkmcnt(1)
	v_mul_f64 v[89:90], v[69:70], v[79:80]
	v_mul_f64 v[79:80], v[71:72], v[79:80]
	v_add_f64 v[77:78], v[77:78], v[99:100]
	v_add_f64 v[3:4], v[3:4], v[95:96]
	s_waitcnt vmcnt(12)
	v_fma_f64 v[95:96], v[65:66], v[137:138], -v[97:98]
	v_fma_f64 v[81:82], v[67:68], v[137:138], v[81:82]
	ds_read_b128 v[65:68], v2 offset:880
	v_add_f64 v[77:78], v[77:78], v[93:94]
	v_add_f64 v[3:4], v[3:4], v[75:76]
	s_waitcnt vmcnt(11) lgkmcnt(1)
	v_mul_f64 v[93:94], v[63:64], v[139:140]
	v_mul_f64 v[75:76], v[61:62], v[139:140]
	s_waitcnt vmcnt(9)
	v_fma_f64 v[69:70], v[69:70], v[73:74], -v[79:80]
	v_fma_f64 v[71:72], v[71:72], v[73:74], v[89:90]
	v_add_f64 v[77:78], v[77:78], v[95:96]
	v_add_f64 v[2:3], v[3:4], v[81:82]
	s_waitcnt vmcnt(7) lgkmcnt(0)
	v_mul_f64 v[79:80], v[67:68], v[87:88]
	s_waitcnt vmcnt(6)
	v_fma_f64 v[61:62], v[61:62], v[144:145], -v[93:94]
	v_mul_f64 v[73:74], v[65:66], v[87:88]
	v_fma_f64 v[63:64], v[63:64], v[144:145], v[75:76]
	v_add_f64 v[69:70], v[77:78], v[69:70]
	v_add_f64 v[2:3], v[2:3], v[71:72]
	s_waitcnt vmcnt(4)
	v_fma_f64 v[65:66], v[65:66], v[85:86], -v[79:80]
	v_fma_f64 v[67:68], v[67:68], v[85:86], v[73:74]
	v_add_f64 v[61:62], v[69:70], v[61:62]
	v_add_f64 v[2:3], v[2:3], v[63:64]
	;; [unrolled: 1-line block ×4, first 2 shown]
	s_waitcnt vmcnt(2)
	v_add_f64 v[61:62], v[83:84], -v[61:62]
	s_waitcnt vmcnt(0)
	v_add_f64 v[2:3], v[91:92], -v[2:3]
	buffer_store_dword v62, off, s[0:3], 0 offset:132
	buffer_store_dword v61, off, s[0:3], 0 offset:128
	;; [unrolled: 1-line block ×4, first 2 shown]
	v_cmpx_lt_u32_e32 6, v0
	s_cbranch_execz .LBB27_169
; %bb.168:
	v_mov_b32_e32 v2, s34
	s_clause 0x3
	buffer_load_dword v61, v2, s[0:3], 0 offen
	buffer_load_dword v62, v2, s[0:3], 0 offen offset:4
	buffer_load_dword v63, v2, s[0:3], 0 offen offset:8
	;; [unrolled: 1-line block ×3, first 2 shown]
	v_mov_b32_e32 v2, 0
	buffer_store_dword v2, off, s[0:3], 0 offset:112
	buffer_store_dword v2, off, s[0:3], 0 offset:116
	;; [unrolled: 1-line block ×4, first 2 shown]
	s_waitcnt vmcnt(0)
	ds_write_b128 v1, v[61:64]
.LBB27_169:
	s_or_b32 exec_lo, exec_lo, s4
	s_waitcnt lgkmcnt(0)
	s_waitcnt_vscnt null, 0x0
	s_barrier
	buffer_gl0_inv
	s_clause 0x37
	buffer_load_dword v3, off, s[0:3], 0 offset:136
	buffer_load_dword v4, off, s[0:3], 0 offset:140
	buffer_load_dword v73, off, s[0:3], 0 offset:152
	buffer_load_dword v74, off, s[0:3], 0 offset:156
	buffer_load_dword v75, off, s[0:3], 0 offset:128
	buffer_load_dword v76, off, s[0:3], 0 offset:132
	buffer_load_dword v77, off, s[0:3], 0 offset:168
	buffer_load_dword v78, off, s[0:3], 0 offset:172
	buffer_load_dword v79, off, s[0:3], 0 offset:144
	buffer_load_dword v80, off, s[0:3], 0 offset:148
	buffer_load_dword v82, off, s[0:3], 0 offset:188
	buffer_load_dword v83, off, s[0:3], 0 offset:200
	buffer_load_dword v85, off, s[0:3], 0 offset:192
	buffer_load_dword v81, off, s[0:3], 0 offset:184
	buffer_load_dword v87, off, s[0:3], 0 offset:160
	buffer_load_dword v88, off, s[0:3], 0 offset:164
	buffer_load_dword v84, off, s[0:3], 0 offset:204
	buffer_load_dword v90, off, s[0:3], 0 offset:180
	buffer_load_dword v89, off, s[0:3], 0 offset:176
	buffer_load_dword v92, off, s[0:3], 0 offset:220
	buffer_load_dword v93, off, s[0:3], 0 offset:232
	buffer_load_dword v95, off, s[0:3], 0 offset:224
	buffer_load_dword v91, off, s[0:3], 0 offset:216
	buffer_load_dword v86, off, s[0:3], 0 offset:196
	buffer_load_dword v94, off, s[0:3], 0 offset:236
	buffer_load_dword v98, off, s[0:3], 0 offset:212
	buffer_load_dword v97, off, s[0:3], 0 offset:208
	buffer_load_dword v100, off, s[0:3], 0 offset:252
	buffer_load_dword v101, off, s[0:3], 0 offset:264
	buffer_load_dword v103, off, s[0:3], 0 offset:256
	buffer_load_dword v99, off, s[0:3], 0 offset:248
	buffer_load_dword v96, off, s[0:3], 0 offset:228
	buffer_load_dword v102, off, s[0:3], 0 offset:268
	buffer_load_dword v106, off, s[0:3], 0 offset:244
	buffer_load_dword v105, off, s[0:3], 0 offset:240
	buffer_load_dword v108, off, s[0:3], 0 offset:284
	buffer_load_dword v109, off, s[0:3], 0 offset:296
	buffer_load_dword v111, off, s[0:3], 0 offset:288
	buffer_load_dword v107, off, s[0:3], 0 offset:280
	buffer_load_dword v104, off, s[0:3], 0 offset:260
	buffer_load_dword v110, off, s[0:3], 0 offset:300
	buffer_load_dword v114, off, s[0:3], 0 offset:276
	buffer_load_dword v113, off, s[0:3], 0 offset:272
	buffer_load_dword v116, off, s[0:3], 0 offset:316
	buffer_load_dword v117, off, s[0:3], 0 offset:328
	buffer_load_dword v119, off, s[0:3], 0 offset:320
	buffer_load_dword v115, off, s[0:3], 0 offset:312
	buffer_load_dword v112, off, s[0:3], 0 offset:292
	buffer_load_dword v118, off, s[0:3], 0 offset:332
	buffer_load_dword v122, off, s[0:3], 0 offset:308
	buffer_load_dword v121, off, s[0:3], 0 offset:304
	buffer_load_dword v124, off, s[0:3], 0 offset:348
	buffer_load_dword v125, off, s[0:3], 0 offset:360
	buffer_load_dword v127, off, s[0:3], 0 offset:352
	buffer_load_dword v123, off, s[0:3], 0 offset:344
	buffer_load_dword v120, off, s[0:3], 0 offset:324
	v_mov_b32_e32 v2, 0
	s_mov_b32 s4, exec_lo
	ds_read_b128 v[61:64], v2 offset:560
	s_clause 0x2
	buffer_load_dword v126, off, s[0:3], 0 offset:364
	buffer_load_dword v130, off, s[0:3], 0 offset:340
	;; [unrolled: 1-line block ×3, first 2 shown]
	ds_read_b128 v[65:68], v2 offset:576
	s_clause 0x4
	buffer_load_dword v134, off, s[0:3], 0 offset:380
	buffer_load_dword v135, off, s[0:3], 0 offset:392
	;; [unrolled: 1-line block ×5, first 2 shown]
	ds_read_b128 v[69:72], v2 offset:592
	s_waitcnt vmcnt(62) lgkmcnt(2)
	v_mul_f64 v[131:132], v[63:64], v[3:4]
	v_mul_f64 v[3:4], v[61:62], v[3:4]
	s_waitcnt vmcnt(60) lgkmcnt(1)
	v_mul_f64 v[138:139], v[67:68], v[73:74]
	v_mul_f64 v[73:74], v[65:66], v[73:74]
	;; [unrolled: 3-line block ×3, first 2 shown]
	v_fma_f64 v[131:132], v[61:62], v[75:76], -v[131:132]
	v_fma_f64 v[3:4], v[63:64], v[75:76], v[3:4]
	s_clause 0x2
	buffer_load_dword v136, off, s[0:3], 0 offset:396
	buffer_load_dword v76, off, s[0:3], 0 offset:372
	;; [unrolled: 1-line block ×3, first 2 shown]
	s_waitcnt vmcnt(57)
	v_fma_f64 v[142:143], v[65:66], v[79:80], -v[138:139]
	ds_read_b128 v[61:64], v2 offset:608
	v_fma_f64 v[73:74], v[67:68], v[79:80], v[73:74]
	s_clause 0x4
	buffer_load_dword v80, off, s[0:3], 0 offset:412
	buffer_load_dword v139, off, s[0:3], 0 offset:424
	;; [unrolled: 1-line block ×5, first 2 shown]
	s_waitcnt vmcnt(56)
	v_fma_f64 v[77:78], v[69:70], v[87:88], -v[77:78]
	ds_read_b128 v[65:68], v2 offset:624
	v_fma_f64 v[87:88], v[71:72], v[87:88], v[140:141]
	v_add_f64 v[131:132], v[131:132], 0
	v_add_f64 v[3:4], v[3:4], 0
	s_waitcnt lgkmcnt(1)
	v_mul_f64 v[145:146], v[61:62], v[81:82]
	v_mul_f64 v[81:82], v[63:64], v[81:82]
	v_add_f64 v[131:132], v[131:132], v[142:143]
	v_add_f64 v[3:4], v[3:4], v[73:74]
	s_clause 0x2
	buffer_load_dword v140, off, s[0:3], 0 offset:428
	buffer_load_dword v74, off, s[0:3], 0 offset:404
	;; [unrolled: 1-line block ×3, first 2 shown]
	s_waitcnt vmcnt(58) lgkmcnt(0)
	v_mul_f64 v[141:142], v[65:66], v[83:84]
	v_mul_f64 v[83:84], v[67:68], v[83:84]
	s_waitcnt vmcnt(56)
	v_fma_f64 v[81:82], v[61:62], v[89:90], -v[81:82]
	ds_read_b128 v[69:72], v2 offset:640
	v_fma_f64 v[89:90], v[63:64], v[89:90], v[145:146]
	v_add_f64 v[77:78], v[131:132], v[77:78]
	v_add_f64 v[3:4], v[3:4], v[87:88]
	s_clause 0x4
	buffer_load_dword v88, off, s[0:3], 0 offset:444
	buffer_load_dword v131, off, s[0:3], 0 offset:456
	buffer_load_dword v146, off, s[0:3], 0 offset:448
	buffer_load_dword v87, off, s[0:3], 0 offset:440
	buffer_load_dword v145, off, s[0:3], 0 offset:420
	ds_read_b128 v[61:64], v2 offset:656
	s_waitcnt vmcnt(57) lgkmcnt(1)
	v_mul_f64 v[147:148], v[69:70], v[91:92]
	v_mul_f64 v[91:92], v[71:72], v[91:92]
	s_waitcnt vmcnt(56)
	v_fma_f64 v[83:84], v[65:66], v[85:86], -v[83:84]
	v_add_f64 v[77:78], v[77:78], v[81:82]
	v_fma_f64 v[81:82], v[67:68], v[85:86], v[141:142]
	v_add_f64 v[3:4], v[3:4], v[89:90]
	s_clause 0x2
	buffer_load_dword v132, off, s[0:3], 0 offset:460
	buffer_load_dword v86, off, s[0:3], 0 offset:436
	;; [unrolled: 1-line block ×3, first 2 shown]
	s_waitcnt vmcnt(58) lgkmcnt(0)
	v_mul_f64 v[89:90], v[61:62], v[93:94]
	v_mul_f64 v[93:94], v[63:64], v[93:94]
	s_waitcnt vmcnt(56)
	v_fma_f64 v[91:92], v[69:70], v[97:98], -v[91:92]
	ds_read_b128 v[65:68], v2 offset:672
	v_add_f64 v[77:78], v[77:78], v[83:84]
	v_fma_f64 v[83:84], v[71:72], v[97:98], v[147:148]
	v_add_f64 v[3:4], v[3:4], v[81:82]
	buffer_load_dword v147, off, s[0:3], 0 offset:452
	ds_read_b128 v[69:72], v2 offset:688
	s_waitcnt vmcnt(53) lgkmcnt(1)
	v_mul_f64 v[97:98], v[67:68], v[99:100]
	s_waitcnt vmcnt(52)
	v_fma_f64 v[93:94], v[61:62], v[95:96], -v[93:94]
	v_mul_f64 v[81:82], v[65:66], v[99:100]
	v_fma_f64 v[89:90], v[63:64], v[95:96], v[89:90]
	ds_read_b128 v[61:64], v2 offset:704
	v_add_f64 v[77:78], v[77:78], v[91:92]
	v_add_f64 v[3:4], v[3:4], v[83:84]
	s_waitcnt vmcnt(51) lgkmcnt(1)
	v_mul_f64 v[91:92], v[71:72], v[101:102]
	v_mul_f64 v[83:84], v[69:70], v[101:102]
	s_waitcnt vmcnt(49)
	v_fma_f64 v[95:96], v[65:66], v[105:106], -v[97:98]
	v_fma_f64 v[81:82], v[67:68], v[105:106], v[81:82]
	s_waitcnt vmcnt(45) lgkmcnt(0)
	v_mul_f64 v[99:100], v[63:64], v[107:108]
	v_mul_f64 v[97:98], v[61:62], v[107:108]
	v_add_f64 v[77:78], v[77:78], v[93:94]
	v_add_f64 v[3:4], v[3:4], v[89:90]
	s_clause 0x3
	buffer_load_dword v89, off, s[0:3], 0 offset:112
	buffer_load_dword v90, off, s[0:3], 0 offset:116
	;; [unrolled: 1-line block ×4, first 2 shown]
	s_waitcnt vmcnt(48)
	v_fma_f64 v[91:92], v[69:70], v[103:104], -v[91:92]
	ds_read_b128 v[65:68], v2 offset:720
	v_fma_f64 v[83:84], v[71:72], v[103:104], v[83:84]
	ds_read_b128 v[69:72], v2 offset:736
	s_waitcnt vmcnt(45)
	v_fma_f64 v[99:100], v[61:62], v[113:114], -v[99:100]
	v_add_f64 v[77:78], v[77:78], v[95:96]
	v_add_f64 v[3:4], v[3:4], v[81:82]
	s_waitcnt lgkmcnt(1)
	v_mul_f64 v[95:96], v[67:68], v[109:110]
	v_mul_f64 v[81:82], v[65:66], v[109:110]
	v_add_f64 v[77:78], v[77:78], v[91:92]
	v_fma_f64 v[91:92], v[63:64], v[113:114], v[97:98]
	v_add_f64 v[3:4], v[3:4], v[83:84]
	s_waitcnt vmcnt(41) lgkmcnt(0)
	v_mul_f64 v[97:98], v[71:72], v[115:116]
	s_waitcnt vmcnt(40)
	v_fma_f64 v[95:96], v[65:66], v[111:112], -v[95:96]
	ds_read_b128 v[61:64], v2 offset:752
	v_mul_f64 v[83:84], v[69:70], v[115:116]
	v_fma_f64 v[81:82], v[67:68], v[111:112], v[81:82]
	ds_read_b128 v[65:68], v2 offset:768
	v_add_f64 v[77:78], v[77:78], v[99:100]
	v_add_f64 v[3:4], v[3:4], v[91:92]
	s_waitcnt vmcnt(39) lgkmcnt(1)
	v_mul_f64 v[99:100], v[63:64], v[117:118]
	s_waitcnt vmcnt(37)
	v_fma_f64 v[97:98], v[69:70], v[121:122], -v[97:98]
	v_mul_f64 v[91:92], v[61:62], v[117:118]
	v_fma_f64 v[83:84], v[71:72], v[121:122], v[83:84]
	ds_read_b128 v[69:72], v2 offset:784
	v_add_f64 v[77:78], v[77:78], v[95:96]
	s_waitcnt vmcnt(33) lgkmcnt(1)
	v_mul_f64 v[95:96], v[67:68], v[123:124]
	v_add_f64 v[3:4], v[3:4], v[81:82]
	s_waitcnt vmcnt(32)
	v_fma_f64 v[99:100], v[61:62], v[119:120], -v[99:100]
	v_mul_f64 v[81:82], v[65:66], v[123:124]
	v_fma_f64 v[91:92], v[63:64], v[119:120], v[91:92]
	ds_read_b128 v[61:64], v2 offset:800
	v_add_f64 v[77:78], v[77:78], v[97:98]
	s_waitcnt vmcnt(31) lgkmcnt(1)
	v_mul_f64 v[97:98], v[71:72], v[125:126]
	v_add_f64 v[3:4], v[3:4], v[83:84]
	;; [unrolled: 9-line block ×3, first 2 shown]
	s_waitcnt vmcnt(24)
	v_fma_f64 v[97:98], v[69:70], v[127:128], -v[97:98]
	v_mul_f64 v[91:92], v[61:62], v[133:134]
	v_fma_f64 v[83:84], v[71:72], v[127:128], v[83:84]
	ds_read_b128 v[69:72], v2 offset:832
	v_add_f64 v[77:78], v[77:78], v[95:96]
	v_add_f64 v[3:4], v[3:4], v[81:82]
	s_waitcnt vmcnt(23) lgkmcnt(1)
	v_mul_f64 v[95:96], v[67:68], v[135:136]
	v_mul_f64 v[81:82], v[65:66], v[135:136]
	s_waitcnt vmcnt(21)
	v_fma_f64 v[99:100], v[61:62], v[75:76], -v[99:100]
	v_fma_f64 v[75:76], v[63:64], v[75:76], v[91:92]
	ds_read_b128 v[61:64], v2 offset:848
	v_add_f64 v[77:78], v[77:78], v[97:98]
	v_add_f64 v[3:4], v[3:4], v[83:84]
	s_waitcnt vmcnt(17) lgkmcnt(1)
	v_mul_f64 v[83:84], v[69:70], v[79:80]
	v_mul_f64 v[79:80], v[71:72], v[79:80]
	s_waitcnt vmcnt(16)
	v_fma_f64 v[91:92], v[65:66], v[137:138], -v[95:96]
	;; [unrolled: 9-line block ×3, first 2 shown]
	v_fma_f64 v[73:74], v[71:72], v[73:74], v[83:84]
	ds_read_b128 v[69:72], v2 offset:880
	v_add_f64 v[77:78], v[77:78], v[91:92]
	v_add_f64 v[3:4], v[3:4], v[81:82]
	s_waitcnt vmcnt(9) lgkmcnt(1)
	v_mul_f64 v[83:84], v[67:68], v[87:88]
	s_waitcnt vmcnt(8)
	v_fma_f64 v[61:62], v[61:62], v[144:145], -v[95:96]
	v_mul_f64 v[81:82], v[65:66], v[87:88]
	v_fma_f64 v[63:64], v[63:64], v[144:145], v[75:76]
	v_add_f64 v[77:78], v[77:78], v[79:80]
	v_add_f64 v[3:4], v[3:4], v[73:74]
	s_waitcnt vmcnt(7) lgkmcnt(0)
	v_mul_f64 v[75:76], v[71:72], v[131:132]
	v_mul_f64 v[73:74], v[69:70], v[131:132]
	s_waitcnt vmcnt(5)
	v_fma_f64 v[65:66], v[65:66], v[85:86], -v[83:84]
	v_fma_f64 v[67:68], v[67:68], v[85:86], v[81:82]
	v_add_f64 v[61:62], v[77:78], v[61:62]
	v_add_f64 v[3:4], v[3:4], v[63:64]
	s_waitcnt vmcnt(4)
	v_fma_f64 v[63:64], v[69:70], v[146:147], -v[75:76]
	v_add_f64 v[61:62], v[61:62], v[65:66]
	v_fma_f64 v[65:66], v[71:72], v[146:147], v[73:74]
	v_add_f64 v[3:4], v[3:4], v[67:68]
	v_add_f64 v[61:62], v[61:62], v[63:64]
	;; [unrolled: 1-line block ×3, first 2 shown]
	s_waitcnt vmcnt(2)
	v_add_f64 v[61:62], v[89:90], -v[61:62]
	s_waitcnt vmcnt(0)
	v_add_f64 v[3:4], v[93:94], -v[3:4]
	buffer_store_dword v62, off, s[0:3], 0 offset:116
	buffer_store_dword v61, off, s[0:3], 0 offset:112
	;; [unrolled: 1-line block ×4, first 2 shown]
	v_cmpx_lt_u32_e32 5, v0
	s_cbranch_execz .LBB27_171
; %bb.170:
	v_mov_b32_e32 v3, s35
	s_clause 0x3
	buffer_load_dword v61, v3, s[0:3], 0 offen
	buffer_load_dword v62, v3, s[0:3], 0 offen offset:4
	buffer_load_dword v63, v3, s[0:3], 0 offen offset:8
	;; [unrolled: 1-line block ×3, first 2 shown]
	buffer_store_dword v2, off, s[0:3], 0 offset:96
	buffer_store_dword v2, off, s[0:3], 0 offset:100
	;; [unrolled: 1-line block ×4, first 2 shown]
	s_waitcnt vmcnt(0)
	ds_write_b128 v1, v[61:64]
.LBB27_171:
	s_or_b32 exec_lo, exec_lo, s4
	s_waitcnt lgkmcnt(0)
	s_waitcnt_vscnt null, 0x0
	s_barrier
	buffer_gl0_inv
	s_clause 0x37
	buffer_load_dword v3, off, s[0:3], 0 offset:120
	buffer_load_dword v4, off, s[0:3], 0 offset:124
	;; [unrolled: 1-line block ×56, first 2 shown]
	ds_read_b128 v[61:64], v2 offset:544
	s_clause 0x2
	buffer_load_dword v126, off, s[0:3], 0 offset:348
	buffer_load_dword v130, off, s[0:3], 0 offset:324
	;; [unrolled: 1-line block ×3, first 2 shown]
	ds_read_b128 v[65:68], v2 offset:560
	s_clause 0x4
	buffer_load_dword v134, off, s[0:3], 0 offset:364
	buffer_load_dword v135, off, s[0:3], 0 offset:376
	;; [unrolled: 1-line block ×5, first 2 shown]
	ds_read_b128 v[69:72], v2 offset:576
	s_mov_b32 s4, exec_lo
	s_waitcnt vmcnt(62) lgkmcnt(2)
	v_mul_f64 v[131:132], v[63:64], v[3:4]
	v_mul_f64 v[3:4], v[61:62], v[3:4]
	s_waitcnt vmcnt(60) lgkmcnt(1)
	v_mul_f64 v[138:139], v[67:68], v[73:74]
	v_mul_f64 v[73:74], v[65:66], v[73:74]
	;; [unrolled: 3-line block ×3, first 2 shown]
	v_fma_f64 v[131:132], v[61:62], v[75:76], -v[131:132]
	v_fma_f64 v[3:4], v[63:64], v[75:76], v[3:4]
	s_clause 0x2
	buffer_load_dword v136, off, s[0:3], 0 offset:380
	buffer_load_dword v76, off, s[0:3], 0 offset:356
	buffer_load_dword v75, off, s[0:3], 0 offset:352
	s_waitcnt vmcnt(57)
	v_fma_f64 v[142:143], v[65:66], v[79:80], -v[138:139]
	ds_read_b128 v[61:64], v2 offset:592
	v_fma_f64 v[73:74], v[67:68], v[79:80], v[73:74]
	s_clause 0x4
	buffer_load_dword v80, off, s[0:3], 0 offset:396
	buffer_load_dword v139, off, s[0:3], 0 offset:408
	;; [unrolled: 1-line block ×5, first 2 shown]
	s_waitcnt vmcnt(56)
	v_fma_f64 v[77:78], v[69:70], v[87:88], -v[77:78]
	ds_read_b128 v[65:68], v2 offset:608
	v_fma_f64 v[87:88], v[71:72], v[87:88], v[140:141]
	v_add_f64 v[131:132], v[131:132], 0
	v_add_f64 v[3:4], v[3:4], 0
	s_waitcnt lgkmcnt(1)
	v_mul_f64 v[145:146], v[61:62], v[81:82]
	v_mul_f64 v[81:82], v[63:64], v[81:82]
	v_add_f64 v[131:132], v[131:132], v[142:143]
	v_add_f64 v[3:4], v[3:4], v[73:74]
	s_clause 0x2
	buffer_load_dword v140, off, s[0:3], 0 offset:412
	buffer_load_dword v74, off, s[0:3], 0 offset:388
	;; [unrolled: 1-line block ×3, first 2 shown]
	s_waitcnt vmcnt(58) lgkmcnt(0)
	v_mul_f64 v[141:142], v[65:66], v[83:84]
	v_mul_f64 v[83:84], v[67:68], v[83:84]
	s_waitcnt vmcnt(56)
	v_fma_f64 v[81:82], v[61:62], v[89:90], -v[81:82]
	ds_read_b128 v[69:72], v2 offset:624
	v_fma_f64 v[89:90], v[63:64], v[89:90], v[145:146]
	v_add_f64 v[77:78], v[131:132], v[77:78]
	v_add_f64 v[3:4], v[3:4], v[87:88]
	s_clause 0x4
	buffer_load_dword v88, off, s[0:3], 0 offset:428
	buffer_load_dword v131, off, s[0:3], 0 offset:440
	;; [unrolled: 1-line block ×5, first 2 shown]
	ds_read_b128 v[61:64], v2 offset:640
	s_waitcnt vmcnt(57) lgkmcnt(1)
	v_mul_f64 v[147:148], v[69:70], v[91:92]
	v_mul_f64 v[91:92], v[71:72], v[91:92]
	s_waitcnt vmcnt(56)
	v_fma_f64 v[83:84], v[65:66], v[85:86], -v[83:84]
	v_add_f64 v[77:78], v[77:78], v[81:82]
	v_fma_f64 v[81:82], v[67:68], v[85:86], v[141:142]
	v_add_f64 v[3:4], v[3:4], v[89:90]
	s_clause 0x2
	buffer_load_dword v132, off, s[0:3], 0 offset:444
	buffer_load_dword v86, off, s[0:3], 0 offset:420
	;; [unrolled: 1-line block ×3, first 2 shown]
	s_waitcnt vmcnt(58) lgkmcnt(0)
	v_mul_f64 v[89:90], v[61:62], v[93:94]
	v_mul_f64 v[93:94], v[63:64], v[93:94]
	s_waitcnt vmcnt(56)
	v_fma_f64 v[91:92], v[69:70], v[97:98], -v[91:92]
	ds_read_b128 v[65:68], v2 offset:656
	v_add_f64 v[77:78], v[77:78], v[83:84]
	v_fma_f64 v[83:84], v[71:72], v[97:98], v[147:148]
	v_add_f64 v[3:4], v[3:4], v[81:82]
	s_clause 0x2
	buffer_load_dword v82, off, s[0:3], 0 offset:460
	buffer_load_dword v81, off, s[0:3], 0 offset:456
	;; [unrolled: 1-line block ×3, first 2 shown]
	ds_read_b128 v[69:72], v2 offset:672
	s_waitcnt vmcnt(55) lgkmcnt(1)
	v_mul_f64 v[97:98], v[65:66], v[99:100]
	v_mul_f64 v[99:100], v[67:68], v[99:100]
	s_waitcnt vmcnt(54)
	v_fma_f64 v[93:94], v[61:62], v[95:96], -v[93:94]
	v_fma_f64 v[89:90], v[63:64], v[95:96], v[89:90]
	v_add_f64 v[77:78], v[77:78], v[91:92]
	v_add_f64 v[3:4], v[3:4], v[83:84]
	s_clause 0x1
	buffer_load_dword v84, off, s[0:3], 0 offset:452
	buffer_load_dword v83, off, s[0:3], 0 offset:448
	s_waitcnt vmcnt(55) lgkmcnt(0)
	v_mul_f64 v[95:96], v[71:72], v[101:102]
	ds_read_b128 v[61:64], v2 offset:688
	s_waitcnt vmcnt(53)
	v_fma_f64 v[99:100], v[65:66], v[105:106], -v[99:100]
	v_mul_f64 v[91:92], v[69:70], v[101:102]
	v_add_f64 v[77:78], v[77:78], v[93:94]
	v_fma_f64 v[93:94], v[67:68], v[105:106], v[97:98]
	v_add_f64 v[3:4], v[3:4], v[89:90]
	ds_read_b128 v[65:68], v2 offset:704
	s_waitcnt vmcnt(49) lgkmcnt(1)
	v_mul_f64 v[97:98], v[63:64], v[107:108]
	s_waitcnt vmcnt(48)
	v_fma_f64 v[95:96], v[69:70], v[103:104], -v[95:96]
	v_mul_f64 v[89:90], v[61:62], v[107:108]
	v_fma_f64 v[91:92], v[71:72], v[103:104], v[91:92]
	v_add_f64 v[77:78], v[77:78], v[99:100]
	s_waitcnt vmcnt(47) lgkmcnt(0)
	v_mul_f64 v[103:104], v[67:68], v[109:110]
	v_add_f64 v[3:4], v[3:4], v[93:94]
	s_clause 0x3
	buffer_load_dword v93, off, s[0:3], 0 offset:96
	buffer_load_dword v94, off, s[0:3], 0 offset:100
	;; [unrolled: 1-line block ×4, first 2 shown]
	s_waitcnt vmcnt(49)
	v_fma_f64 v[97:98], v[61:62], v[113:114], -v[97:98]
	ds_read_b128 v[69:72], v2 offset:720
	v_mul_f64 v[101:102], v[65:66], v[109:110]
	v_fma_f64 v[89:90], v[63:64], v[113:114], v[89:90]
	ds_read_b128 v[61:64], v2 offset:736
	v_add_f64 v[77:78], v[77:78], v[95:96]
	s_waitcnt vmcnt(44)
	v_fma_f64 v[103:104], v[65:66], v[111:112], -v[103:104]
	v_add_f64 v[3:4], v[3:4], v[91:92]
	s_waitcnt lgkmcnt(1)
	v_mul_f64 v[95:96], v[71:72], v[115:116]
	v_mul_f64 v[91:92], v[69:70], v[115:116]
	v_add_f64 v[77:78], v[77:78], v[97:98]
	v_fma_f64 v[97:98], v[67:68], v[111:112], v[101:102]
	v_add_f64 v[3:4], v[3:4], v[89:90]
	s_waitcnt vmcnt(43) lgkmcnt(0)
	v_mul_f64 v[101:102], v[63:64], v[117:118]
	s_waitcnt vmcnt(41)
	v_fma_f64 v[95:96], v[69:70], v[121:122], -v[95:96]
	ds_read_b128 v[65:68], v2 offset:752
	v_mul_f64 v[89:90], v[61:62], v[117:118]
	v_fma_f64 v[91:92], v[71:72], v[121:122], v[91:92]
	ds_read_b128 v[69:72], v2 offset:768
	v_add_f64 v[77:78], v[77:78], v[103:104]
	v_add_f64 v[3:4], v[3:4], v[97:98]
	s_waitcnt vmcnt(37) lgkmcnt(1)
	v_mul_f64 v[103:104], v[67:68], v[123:124]
	s_waitcnt vmcnt(36)
	v_fma_f64 v[101:102], v[61:62], v[119:120], -v[101:102]
	v_mul_f64 v[97:98], v[65:66], v[123:124]
	v_fma_f64 v[89:90], v[63:64], v[119:120], v[89:90]
	ds_read_b128 v[61:64], v2 offset:784
	v_add_f64 v[77:78], v[77:78], v[95:96]
	s_waitcnt vmcnt(35) lgkmcnt(1)
	v_mul_f64 v[95:96], v[71:72], v[125:126]
	v_add_f64 v[3:4], v[3:4], v[91:92]
	s_waitcnt vmcnt(33)
	v_fma_f64 v[103:104], v[65:66], v[129:130], -v[103:104]
	v_mul_f64 v[91:92], v[69:70], v[125:126]
	v_fma_f64 v[97:98], v[67:68], v[129:130], v[97:98]
	ds_read_b128 v[65:68], v2 offset:800
	v_add_f64 v[77:78], v[77:78], v[101:102]
	s_waitcnt vmcnt(29) lgkmcnt(1)
	v_mul_f64 v[101:102], v[63:64], v[133:134]
	v_add_f64 v[3:4], v[3:4], v[89:90]
	s_waitcnt vmcnt(28)
	v_fma_f64 v[95:96], v[69:70], v[127:128], -v[95:96]
	v_mul_f64 v[89:90], v[61:62], v[133:134]
	v_fma_f64 v[91:92], v[71:72], v[127:128], v[91:92]
	ds_read_b128 v[69:72], v2 offset:816
	v_add_f64 v[77:78], v[77:78], v[103:104]
	v_add_f64 v[3:4], v[3:4], v[97:98]
	s_waitcnt vmcnt(27) lgkmcnt(1)
	v_mul_f64 v[103:104], v[67:68], v[135:136]
	v_mul_f64 v[97:98], v[65:66], v[135:136]
	s_waitcnt vmcnt(25)
	v_fma_f64 v[101:102], v[61:62], v[75:76], -v[101:102]
	v_fma_f64 v[75:76], v[63:64], v[75:76], v[89:90]
	ds_read_b128 v[61:64], v2 offset:832
	s_waitcnt vmcnt(21) lgkmcnt(1)
	v_mul_f64 v[89:90], v[69:70], v[79:80]
	v_mul_f64 v[79:80], v[71:72], v[79:80]
	v_add_f64 v[77:78], v[77:78], v[95:96]
	v_add_f64 v[3:4], v[3:4], v[91:92]
	s_waitcnt vmcnt(20)
	v_fma_f64 v[91:92], v[65:66], v[137:138], -v[103:104]
	v_fma_f64 v[95:96], v[67:68], v[137:138], v[97:98]
	ds_read_b128 v[65:68], v2 offset:848
	v_add_f64 v[77:78], v[77:78], v[101:102]
	v_add_f64 v[3:4], v[3:4], v[75:76]
	s_waitcnt vmcnt(19) lgkmcnt(1)
	v_mul_f64 v[97:98], v[63:64], v[139:140]
	v_mul_f64 v[75:76], v[61:62], v[139:140]
	s_waitcnt vmcnt(17)
	v_fma_f64 v[79:80], v[69:70], v[73:74], -v[79:80]
	v_fma_f64 v[73:74], v[71:72], v[73:74], v[89:90]
	ds_read_b128 v[69:72], v2 offset:864
	v_add_f64 v[77:78], v[77:78], v[91:92]
	v_add_f64 v[3:4], v[3:4], v[95:96]
	s_waitcnt vmcnt(13) lgkmcnt(1)
	v_mul_f64 v[89:90], v[65:66], v[87:88]
	v_mul_f64 v[87:88], v[67:68], v[87:88]
	;; [unrolled: 9-line block ×3, first 2 shown]
	s_waitcnt vmcnt(9)
	v_fma_f64 v[65:66], v[65:66], v[85:86], -v[87:88]
	v_fma_f64 v[67:68], v[67:68], v[85:86], v[89:90]
	v_add_f64 v[77:78], v[77:78], v[91:92]
	v_add_f64 v[2:3], v[3:4], v[75:76]
	s_waitcnt vmcnt(7) lgkmcnt(0)
	v_mul_f64 v[75:76], v[61:62], v[81:82]
	v_mul_f64 v[81:82], v[63:64], v[81:82]
	s_waitcnt vmcnt(6)
	v_fma_f64 v[69:70], v[69:70], v[146:147], -v[79:80]
	v_fma_f64 v[71:72], v[71:72], v[146:147], v[73:74]
	v_add_f64 v[65:66], v[77:78], v[65:66]
	v_add_f64 v[2:3], v[2:3], v[67:68]
	s_waitcnt vmcnt(4)
	v_fma_f64 v[61:62], v[61:62], v[83:84], -v[81:82]
	v_fma_f64 v[63:64], v[63:64], v[83:84], v[75:76]
	v_add_f64 v[65:66], v[65:66], v[69:70]
	v_add_f64 v[2:3], v[2:3], v[71:72]
	;; [unrolled: 1-line block ×4, first 2 shown]
	s_waitcnt vmcnt(2)
	v_add_f64 v[61:62], v[93:94], -v[61:62]
	s_waitcnt vmcnt(0)
	v_add_f64 v[2:3], v[99:100], -v[2:3]
	buffer_store_dword v62, off, s[0:3], 0 offset:100
	buffer_store_dword v61, off, s[0:3], 0 offset:96
	;; [unrolled: 1-line block ×4, first 2 shown]
	v_cmpx_lt_u32_e32 4, v0
	s_cbranch_execz .LBB27_173
; %bb.172:
	v_mov_b32_e32 v2, s37
	s_clause 0x3
	buffer_load_dword v61, v2, s[0:3], 0 offen
	buffer_load_dword v62, v2, s[0:3], 0 offen offset:4
	buffer_load_dword v63, v2, s[0:3], 0 offen offset:8
	;; [unrolled: 1-line block ×3, first 2 shown]
	v_mov_b32_e32 v2, 0
	buffer_store_dword v2, off, s[0:3], 0 offset:80
	buffer_store_dword v2, off, s[0:3], 0 offset:84
	;; [unrolled: 1-line block ×4, first 2 shown]
	s_waitcnt vmcnt(0)
	ds_write_b128 v1, v[61:64]
.LBB27_173:
	s_or_b32 exec_lo, exec_lo, s4
	s_waitcnt lgkmcnt(0)
	s_waitcnt_vscnt null, 0x0
	s_barrier
	buffer_gl0_inv
	s_clause 0x37
	buffer_load_dword v3, off, s[0:3], 0 offset:104
	buffer_load_dword v4, off, s[0:3], 0 offset:108
	;; [unrolled: 1-line block ×56, first 2 shown]
	v_mov_b32_e32 v2, 0
	s_mov_b32 s4, exec_lo
	ds_read_b128 v[61:64], v2 offset:528
	s_clause 0x2
	buffer_load_dword v126, off, s[0:3], 0 offset:332
	buffer_load_dword v130, off, s[0:3], 0 offset:308
	;; [unrolled: 1-line block ×3, first 2 shown]
	ds_read_b128 v[65:68], v2 offset:544
	s_clause 0x4
	buffer_load_dword v134, off, s[0:3], 0 offset:348
	buffer_load_dword v135, off, s[0:3], 0 offset:360
	;; [unrolled: 1-line block ×5, first 2 shown]
	ds_read_b128 v[69:72], v2 offset:560
	s_waitcnt vmcnt(62) lgkmcnt(2)
	v_mul_f64 v[131:132], v[63:64], v[3:4]
	v_mul_f64 v[3:4], v[61:62], v[3:4]
	s_waitcnt vmcnt(60) lgkmcnt(1)
	v_mul_f64 v[138:139], v[67:68], v[73:74]
	v_mul_f64 v[73:74], v[65:66], v[73:74]
	;; [unrolled: 3-line block ×3, first 2 shown]
	v_fma_f64 v[131:132], v[61:62], v[75:76], -v[131:132]
	v_fma_f64 v[3:4], v[63:64], v[75:76], v[3:4]
	s_clause 0x2
	buffer_load_dword v136, off, s[0:3], 0 offset:364
	buffer_load_dword v76, off, s[0:3], 0 offset:340
	;; [unrolled: 1-line block ×3, first 2 shown]
	s_waitcnt vmcnt(57)
	v_fma_f64 v[142:143], v[65:66], v[79:80], -v[138:139]
	ds_read_b128 v[61:64], v2 offset:576
	v_fma_f64 v[73:74], v[67:68], v[79:80], v[73:74]
	s_clause 0x4
	buffer_load_dword v80, off, s[0:3], 0 offset:380
	buffer_load_dword v139, off, s[0:3], 0 offset:392
	;; [unrolled: 1-line block ×5, first 2 shown]
	s_waitcnt vmcnt(56)
	v_fma_f64 v[77:78], v[69:70], v[87:88], -v[77:78]
	ds_read_b128 v[65:68], v2 offset:592
	v_fma_f64 v[87:88], v[71:72], v[87:88], v[140:141]
	v_add_f64 v[131:132], v[131:132], 0
	v_add_f64 v[3:4], v[3:4], 0
	s_waitcnt lgkmcnt(1)
	v_mul_f64 v[145:146], v[61:62], v[81:82]
	v_mul_f64 v[81:82], v[63:64], v[81:82]
	v_add_f64 v[131:132], v[131:132], v[142:143]
	v_add_f64 v[3:4], v[3:4], v[73:74]
	s_clause 0x2
	buffer_load_dword v140, off, s[0:3], 0 offset:396
	buffer_load_dword v74, off, s[0:3], 0 offset:372
	;; [unrolled: 1-line block ×3, first 2 shown]
	s_waitcnt vmcnt(58) lgkmcnt(0)
	v_mul_f64 v[141:142], v[65:66], v[83:84]
	v_mul_f64 v[83:84], v[67:68], v[83:84]
	s_waitcnt vmcnt(56)
	v_fma_f64 v[81:82], v[61:62], v[89:90], -v[81:82]
	ds_read_b128 v[69:72], v2 offset:608
	v_fma_f64 v[89:90], v[63:64], v[89:90], v[145:146]
	v_add_f64 v[77:78], v[131:132], v[77:78]
	v_add_f64 v[3:4], v[3:4], v[87:88]
	s_clause 0x4
	buffer_load_dword v88, off, s[0:3], 0 offset:412
	buffer_load_dword v131, off, s[0:3], 0 offset:424
	;; [unrolled: 1-line block ×5, first 2 shown]
	ds_read_b128 v[61:64], v2 offset:624
	s_waitcnt vmcnt(57) lgkmcnt(1)
	v_mul_f64 v[147:148], v[69:70], v[91:92]
	v_mul_f64 v[91:92], v[71:72], v[91:92]
	s_waitcnt vmcnt(56)
	v_fma_f64 v[83:84], v[65:66], v[85:86], -v[83:84]
	v_add_f64 v[77:78], v[77:78], v[81:82]
	v_fma_f64 v[81:82], v[67:68], v[85:86], v[141:142]
	v_add_f64 v[3:4], v[3:4], v[89:90]
	s_clause 0x2
	buffer_load_dword v132, off, s[0:3], 0 offset:428
	buffer_load_dword v86, off, s[0:3], 0 offset:404
	;; [unrolled: 1-line block ×3, first 2 shown]
	s_waitcnt vmcnt(58) lgkmcnt(0)
	v_mul_f64 v[89:90], v[61:62], v[93:94]
	v_mul_f64 v[93:94], v[63:64], v[93:94]
	s_waitcnt vmcnt(56)
	v_fma_f64 v[91:92], v[69:70], v[97:98], -v[91:92]
	ds_read_b128 v[65:68], v2 offset:640
	v_add_f64 v[77:78], v[77:78], v[83:84]
	v_fma_f64 v[83:84], v[71:72], v[97:98], v[147:148]
	v_add_f64 v[3:4], v[3:4], v[81:82]
	s_clause 0x4
	buffer_load_dword v82, off, s[0:3], 0 offset:444
	buffer_load_dword v97, off, s[0:3], 0 offset:456
	;; [unrolled: 1-line block ×5, first 2 shown]
	ds_read_b128 v[69:72], v2 offset:656
	s_waitcnt vmcnt(57) lgkmcnt(1)
	v_mul_f64 v[142:143], v[65:66], v[99:100]
	v_mul_f64 v[99:100], v[67:68], v[99:100]
	s_waitcnt vmcnt(56)
	v_fma_f64 v[93:94], v[61:62], v[95:96], -v[93:94]
	v_fma_f64 v[89:90], v[63:64], v[95:96], v[89:90]
	v_add_f64 v[77:78], v[77:78], v[91:92]
	v_add_f64 v[3:4], v[3:4], v[83:84]
	s_clause 0x2
	buffer_load_dword v98, off, s[0:3], 0 offset:460
	buffer_load_dword v84, off, s[0:3], 0 offset:436
	;; [unrolled: 1-line block ×3, first 2 shown]
	s_waitcnt vmcnt(58) lgkmcnt(0)
	v_mul_f64 v[95:96], v[71:72], v[101:102]
	ds_read_b128 v[61:64], v2 offset:672
	s_waitcnt vmcnt(56)
	v_fma_f64 v[99:100], v[65:66], v[105:106], -v[99:100]
	v_mul_f64 v[91:92], v[69:70], v[101:102]
	v_add_f64 v[77:78], v[77:78], v[93:94]
	v_fma_f64 v[93:94], v[67:68], v[105:106], v[142:143]
	v_add_f64 v[3:4], v[3:4], v[89:90]
	buffer_load_dword v142, off, s[0:3], 0 offset:452
	ds_read_b128 v[65:68], v2 offset:688
	s_waitcnt vmcnt(53) lgkmcnt(1)
	v_mul_f64 v[101:102], v[63:64], v[107:108]
	s_waitcnt vmcnt(52)
	v_fma_f64 v[95:96], v[69:70], v[103:104], -v[95:96]
	v_mul_f64 v[89:90], v[61:62], v[107:108]
	v_fma_f64 v[91:92], v[71:72], v[103:104], v[91:92]
	ds_read_b128 v[69:72], v2 offset:704
	v_add_f64 v[77:78], v[77:78], v[99:100]
	v_add_f64 v[3:4], v[3:4], v[93:94]
	s_waitcnt vmcnt(51) lgkmcnt(1)
	v_mul_f64 v[99:100], v[67:68], v[109:110]
	v_mul_f64 v[93:94], v[65:66], v[109:110]
	s_waitcnt vmcnt(49)
	v_fma_f64 v[101:102], v[61:62], v[113:114], -v[101:102]
	v_fma_f64 v[89:90], v[63:64], v[113:114], v[89:90]
	s_waitcnt vmcnt(45) lgkmcnt(0)
	v_mul_f64 v[105:106], v[71:72], v[115:116]
	v_mul_f64 v[103:104], v[69:70], v[115:116]
	v_add_f64 v[77:78], v[77:78], v[95:96]
	v_add_f64 v[3:4], v[3:4], v[91:92]
	s_clause 0x3
	buffer_load_dword v91, off, s[0:3], 0 offset:80
	buffer_load_dword v92, off, s[0:3], 0 offset:84
	;; [unrolled: 1-line block ×4, first 2 shown]
	s_waitcnt vmcnt(48)
	v_fma_f64 v[99:100], v[65:66], v[111:112], -v[99:100]
	ds_read_b128 v[61:64], v2 offset:720
	v_fma_f64 v[93:94], v[67:68], v[111:112], v[93:94]
	ds_read_b128 v[65:68], v2 offset:736
	s_waitcnt vmcnt(45)
	v_fma_f64 v[105:106], v[69:70], v[121:122], -v[105:106]
	v_add_f64 v[77:78], v[77:78], v[101:102]
	v_add_f64 v[3:4], v[3:4], v[89:90]
	s_waitcnt lgkmcnt(1)
	v_mul_f64 v[101:102], v[63:64], v[117:118]
	v_mul_f64 v[89:90], v[61:62], v[117:118]
	v_add_f64 v[77:78], v[77:78], v[99:100]
	v_fma_f64 v[99:100], v[71:72], v[121:122], v[103:104]
	v_add_f64 v[3:4], v[3:4], v[93:94]
	s_waitcnt vmcnt(41) lgkmcnt(0)
	v_mul_f64 v[103:104], v[67:68], v[123:124]
	s_waitcnt vmcnt(40)
	v_fma_f64 v[101:102], v[61:62], v[119:120], -v[101:102]
	ds_read_b128 v[69:72], v2 offset:752
	v_mul_f64 v[93:94], v[65:66], v[123:124]
	v_fma_f64 v[89:90], v[63:64], v[119:120], v[89:90]
	ds_read_b128 v[61:64], v2 offset:768
	v_add_f64 v[77:78], v[77:78], v[105:106]
	v_add_f64 v[3:4], v[3:4], v[99:100]
	s_waitcnt vmcnt(39) lgkmcnt(1)
	v_mul_f64 v[105:106], v[71:72], v[125:126]
	s_waitcnt vmcnt(37)
	v_fma_f64 v[103:104], v[65:66], v[129:130], -v[103:104]
	v_mul_f64 v[99:100], v[69:70], v[125:126]
	v_fma_f64 v[93:94], v[67:68], v[129:130], v[93:94]
	ds_read_b128 v[65:68], v2 offset:784
	v_add_f64 v[77:78], v[77:78], v[101:102]
	s_waitcnt vmcnt(33) lgkmcnt(1)
	v_mul_f64 v[101:102], v[63:64], v[133:134]
	v_add_f64 v[3:4], v[3:4], v[89:90]
	s_waitcnt vmcnt(32)
	v_fma_f64 v[105:106], v[69:70], v[127:128], -v[105:106]
	v_mul_f64 v[89:90], v[61:62], v[133:134]
	v_fma_f64 v[99:100], v[71:72], v[127:128], v[99:100]
	ds_read_b128 v[69:72], v2 offset:800
	v_add_f64 v[77:78], v[77:78], v[103:104]
	v_add_f64 v[3:4], v[3:4], v[93:94]
	s_waitcnt vmcnt(31) lgkmcnt(1)
	v_mul_f64 v[103:104], v[67:68], v[135:136]
	v_mul_f64 v[93:94], v[65:66], v[135:136]
	s_waitcnt vmcnt(29)
	v_fma_f64 v[101:102], v[61:62], v[75:76], -v[101:102]
	v_fma_f64 v[75:76], v[63:64], v[75:76], v[89:90]
	ds_read_b128 v[61:64], v2 offset:816
	s_waitcnt vmcnt(25) lgkmcnt(1)
	v_mul_f64 v[89:90], v[69:70], v[79:80]
	v_mul_f64 v[79:80], v[71:72], v[79:80]
	v_add_f64 v[77:78], v[77:78], v[105:106]
	v_add_f64 v[3:4], v[3:4], v[99:100]
	s_waitcnt vmcnt(24)
	v_fma_f64 v[99:100], v[65:66], v[137:138], -v[103:104]
	v_fma_f64 v[93:94], v[67:68], v[137:138], v[93:94]
	ds_read_b128 v[65:68], v2 offset:832
	v_add_f64 v[77:78], v[77:78], v[101:102]
	v_add_f64 v[3:4], v[3:4], v[75:76]
	s_waitcnt vmcnt(23) lgkmcnt(1)
	v_mul_f64 v[101:102], v[63:64], v[139:140]
	v_mul_f64 v[75:76], v[61:62], v[139:140]
	s_waitcnt vmcnt(21)
	v_fma_f64 v[79:80], v[69:70], v[73:74], -v[79:80]
	v_fma_f64 v[73:74], v[71:72], v[73:74], v[89:90]
	ds_read_b128 v[69:72], v2 offset:848
	v_add_f64 v[77:78], v[77:78], v[99:100]
	v_add_f64 v[3:4], v[3:4], v[93:94]
	s_waitcnt vmcnt(17) lgkmcnt(1)
	v_mul_f64 v[89:90], v[65:66], v[87:88]
	v_mul_f64 v[87:88], v[67:68], v[87:88]
	;; [unrolled: 9-line block ×4, first 2 shown]
	s_waitcnt vmcnt(8)
	v_fma_f64 v[69:70], v[69:70], v[146:147], -v[79:80]
	v_fma_f64 v[71:72], v[71:72], v[146:147], v[73:74]
	v_add_f64 v[77:78], v[77:78], v[87:88]
	v_add_f64 v[3:4], v[3:4], v[85:86]
	s_waitcnt vmcnt(7) lgkmcnt(0)
	v_mul_f64 v[79:80], v[67:68], v[97:98]
	v_mul_f64 v[73:74], v[65:66], v[97:98]
	s_waitcnt vmcnt(5)
	v_fma_f64 v[61:62], v[61:62], v[83:84], -v[81:82]
	v_fma_f64 v[63:64], v[63:64], v[83:84], v[75:76]
	v_add_f64 v[69:70], v[77:78], v[69:70]
	v_add_f64 v[3:4], v[3:4], v[71:72]
	s_waitcnt vmcnt(4)
	v_fma_f64 v[65:66], v[65:66], v[141:142], -v[79:80]
	v_fma_f64 v[67:68], v[67:68], v[141:142], v[73:74]
	v_add_f64 v[61:62], v[69:70], v[61:62]
	v_add_f64 v[3:4], v[3:4], v[63:64]
	;; [unrolled: 1-line block ×4, first 2 shown]
	s_waitcnt vmcnt(2)
	v_add_f64 v[61:62], v[91:92], -v[61:62]
	s_waitcnt vmcnt(0)
	v_add_f64 v[3:4], v[95:96], -v[3:4]
	buffer_store_dword v62, off, s[0:3], 0 offset:84
	buffer_store_dword v61, off, s[0:3], 0 offset:80
	;; [unrolled: 1-line block ×4, first 2 shown]
	v_cmpx_lt_u32_e32 3, v0
	s_cbranch_execz .LBB27_175
; %bb.174:
	v_mov_b32_e32 v3, s38
	s_clause 0x3
	buffer_load_dword v61, v3, s[0:3], 0 offen
	buffer_load_dword v62, v3, s[0:3], 0 offen offset:4
	buffer_load_dword v63, v3, s[0:3], 0 offen offset:8
	;; [unrolled: 1-line block ×3, first 2 shown]
	buffer_store_dword v2, off, s[0:3], 0 offset:64
	buffer_store_dword v2, off, s[0:3], 0 offset:68
	;; [unrolled: 1-line block ×4, first 2 shown]
	s_waitcnt vmcnt(0)
	ds_write_b128 v1, v[61:64]
.LBB27_175:
	s_or_b32 exec_lo, exec_lo, s4
	s_waitcnt lgkmcnt(0)
	s_waitcnt_vscnt null, 0x0
	s_barrier
	buffer_gl0_inv
	s_clause 0x37
	buffer_load_dword v3, off, s[0:3], 0 offset:88
	buffer_load_dword v4, off, s[0:3], 0 offset:92
	;; [unrolled: 1-line block ×56, first 2 shown]
	ds_read_b128 v[61:64], v2 offset:512
	s_clause 0x2
	buffer_load_dword v126, off, s[0:3], 0 offset:316
	buffer_load_dword v130, off, s[0:3], 0 offset:292
	;; [unrolled: 1-line block ×3, first 2 shown]
	ds_read_b128 v[65:68], v2 offset:528
	s_clause 0x4
	buffer_load_dword v134, off, s[0:3], 0 offset:332
	buffer_load_dword v135, off, s[0:3], 0 offset:344
	;; [unrolled: 1-line block ×5, first 2 shown]
	ds_read_b128 v[69:72], v2 offset:544
	s_mov_b32 s4, exec_lo
	s_waitcnt vmcnt(62) lgkmcnt(2)
	v_mul_f64 v[131:132], v[63:64], v[3:4]
	v_mul_f64 v[3:4], v[61:62], v[3:4]
	s_waitcnt vmcnt(60) lgkmcnt(1)
	v_mul_f64 v[138:139], v[67:68], v[73:74]
	v_mul_f64 v[73:74], v[65:66], v[73:74]
	;; [unrolled: 3-line block ×3, first 2 shown]
	v_fma_f64 v[131:132], v[61:62], v[75:76], -v[131:132]
	v_fma_f64 v[3:4], v[63:64], v[75:76], v[3:4]
	s_clause 0x2
	buffer_load_dword v136, off, s[0:3], 0 offset:348
	buffer_load_dword v76, off, s[0:3], 0 offset:324
	;; [unrolled: 1-line block ×3, first 2 shown]
	s_waitcnt vmcnt(57)
	v_fma_f64 v[142:143], v[65:66], v[79:80], -v[138:139]
	ds_read_b128 v[61:64], v2 offset:560
	v_fma_f64 v[73:74], v[67:68], v[79:80], v[73:74]
	s_clause 0x4
	buffer_load_dword v80, off, s[0:3], 0 offset:364
	buffer_load_dword v139, off, s[0:3], 0 offset:376
	;; [unrolled: 1-line block ×5, first 2 shown]
	s_waitcnt vmcnt(56)
	v_fma_f64 v[77:78], v[69:70], v[87:88], -v[77:78]
	ds_read_b128 v[65:68], v2 offset:576
	v_fma_f64 v[87:88], v[71:72], v[87:88], v[140:141]
	v_add_f64 v[131:132], v[131:132], 0
	v_add_f64 v[3:4], v[3:4], 0
	s_waitcnt lgkmcnt(1)
	v_mul_f64 v[145:146], v[61:62], v[81:82]
	v_mul_f64 v[81:82], v[63:64], v[81:82]
	v_add_f64 v[131:132], v[131:132], v[142:143]
	v_add_f64 v[3:4], v[3:4], v[73:74]
	s_clause 0x2
	buffer_load_dword v140, off, s[0:3], 0 offset:380
	buffer_load_dword v74, off, s[0:3], 0 offset:356
	;; [unrolled: 1-line block ×3, first 2 shown]
	s_waitcnt vmcnt(58) lgkmcnt(0)
	v_mul_f64 v[141:142], v[65:66], v[83:84]
	v_mul_f64 v[83:84], v[67:68], v[83:84]
	s_waitcnt vmcnt(56)
	v_fma_f64 v[81:82], v[61:62], v[89:90], -v[81:82]
	ds_read_b128 v[69:72], v2 offset:592
	v_fma_f64 v[89:90], v[63:64], v[89:90], v[145:146]
	v_add_f64 v[77:78], v[131:132], v[77:78]
	v_add_f64 v[3:4], v[3:4], v[87:88]
	s_clause 0x4
	buffer_load_dword v88, off, s[0:3], 0 offset:396
	buffer_load_dword v131, off, s[0:3], 0 offset:408
	;; [unrolled: 1-line block ×5, first 2 shown]
	ds_read_b128 v[61:64], v2 offset:608
	s_waitcnt vmcnt(57) lgkmcnt(1)
	v_mul_f64 v[147:148], v[69:70], v[91:92]
	v_mul_f64 v[91:92], v[71:72], v[91:92]
	s_waitcnt vmcnt(56)
	v_fma_f64 v[83:84], v[65:66], v[85:86], -v[83:84]
	v_add_f64 v[77:78], v[77:78], v[81:82]
	v_fma_f64 v[81:82], v[67:68], v[85:86], v[141:142]
	v_add_f64 v[3:4], v[3:4], v[89:90]
	s_clause 0x2
	buffer_load_dword v132, off, s[0:3], 0 offset:412
	buffer_load_dword v86, off, s[0:3], 0 offset:388
	;; [unrolled: 1-line block ×3, first 2 shown]
	s_waitcnt vmcnt(58) lgkmcnt(0)
	v_mul_f64 v[89:90], v[61:62], v[93:94]
	v_mul_f64 v[93:94], v[63:64], v[93:94]
	s_waitcnt vmcnt(56)
	v_fma_f64 v[91:92], v[69:70], v[97:98], -v[91:92]
	ds_read_b128 v[65:68], v2 offset:624
	v_add_f64 v[77:78], v[77:78], v[83:84]
	v_fma_f64 v[83:84], v[71:72], v[97:98], v[147:148]
	v_add_f64 v[3:4], v[3:4], v[81:82]
	s_clause 0x4
	buffer_load_dword v82, off, s[0:3], 0 offset:428
	buffer_load_dword v97, off, s[0:3], 0 offset:440
	;; [unrolled: 1-line block ×5, first 2 shown]
	ds_read_b128 v[69:72], v2 offset:640
	s_waitcnt vmcnt(57) lgkmcnt(1)
	v_mul_f64 v[142:143], v[65:66], v[99:100]
	v_mul_f64 v[99:100], v[67:68], v[99:100]
	s_waitcnt vmcnt(56)
	v_fma_f64 v[93:94], v[61:62], v[95:96], -v[93:94]
	v_fma_f64 v[89:90], v[63:64], v[95:96], v[89:90]
	v_add_f64 v[77:78], v[77:78], v[91:92]
	v_add_f64 v[3:4], v[3:4], v[83:84]
	s_clause 0x2
	buffer_load_dword v98, off, s[0:3], 0 offset:444
	buffer_load_dword v84, off, s[0:3], 0 offset:420
	;; [unrolled: 1-line block ×3, first 2 shown]
	s_waitcnt vmcnt(58) lgkmcnt(0)
	v_mul_f64 v[95:96], v[71:72], v[101:102]
	ds_read_b128 v[61:64], v2 offset:656
	s_waitcnt vmcnt(56)
	v_fma_f64 v[99:100], v[65:66], v[105:106], -v[99:100]
	v_mul_f64 v[91:92], v[69:70], v[101:102]
	v_add_f64 v[77:78], v[77:78], v[93:94]
	v_fma_f64 v[93:94], v[67:68], v[105:106], v[142:143]
	v_add_f64 v[3:4], v[3:4], v[89:90]
	s_clause 0x2
	buffer_load_dword v90, off, s[0:3], 0 offset:460
	buffer_load_dword v89, off, s[0:3], 0 offset:456
	buffer_load_dword v142, off, s[0:3], 0 offset:436
	s_waitcnt vmcnt(55) lgkmcnt(0)
	v_mul_f64 v[105:106], v[63:64], v[107:108]
	s_waitcnt vmcnt(54)
	v_fma_f64 v[95:96], v[69:70], v[103:104], -v[95:96]
	ds_read_b128 v[65:68], v2 offset:672
	v_mul_f64 v[101:102], v[61:62], v[107:108]
	v_fma_f64 v[91:92], v[71:72], v[103:104], v[91:92]
	v_add_f64 v[77:78], v[77:78], v[99:100]
	v_add_f64 v[3:4], v[3:4], v[93:94]
	s_clause 0x1
	buffer_load_dword v94, off, s[0:3], 0 offset:452
	buffer_load_dword v93, off, s[0:3], 0 offset:448
	s_waitcnt vmcnt(55) lgkmcnt(0)
	v_mul_f64 v[103:104], v[67:68], v[109:110]
	s_waitcnt vmcnt(53)
	v_fma_f64 v[105:106], v[61:62], v[113:114], -v[105:106]
	ds_read_b128 v[69:72], v2 offset:688
	v_mul_f64 v[99:100], v[65:66], v[109:110]
	v_add_f64 v[77:78], v[77:78], v[95:96]
	v_fma_f64 v[95:96], v[63:64], v[113:114], v[101:102]
	v_add_f64 v[3:4], v[3:4], v[91:92]
	ds_read_b128 v[61:64], v2 offset:704
	s_waitcnt vmcnt(49) lgkmcnt(1)
	v_mul_f64 v[101:102], v[71:72], v[115:116]
	s_waitcnt vmcnt(48)
	v_fma_f64 v[103:104], v[65:66], v[111:112], -v[103:104]
	v_mul_f64 v[91:92], v[69:70], v[115:116]
	v_fma_f64 v[99:100], v[67:68], v[111:112], v[99:100]
	v_add_f64 v[77:78], v[77:78], v[105:106]
	s_waitcnt vmcnt(47) lgkmcnt(0)
	v_mul_f64 v[109:110], v[63:64], v[117:118]
	v_add_f64 v[3:4], v[3:4], v[95:96]
	s_clause 0x3
	buffer_load_dword v95, off, s[0:3], 0 offset:64
	buffer_load_dword v96, off, s[0:3], 0 offset:68
	;; [unrolled: 1-line block ×4, first 2 shown]
	s_waitcnt vmcnt(49)
	v_fma_f64 v[101:102], v[69:70], v[121:122], -v[101:102]
	ds_read_b128 v[65:68], v2 offset:720
	v_mul_f64 v[107:108], v[61:62], v[117:118]
	v_fma_f64 v[91:92], v[71:72], v[121:122], v[91:92]
	ds_read_b128 v[69:72], v2 offset:736
	v_add_f64 v[77:78], v[77:78], v[103:104]
	s_waitcnt vmcnt(44)
	v_fma_f64 v[109:110], v[61:62], v[119:120], -v[109:110]
	v_add_f64 v[3:4], v[3:4], v[99:100]
	s_waitcnt lgkmcnt(1)
	v_mul_f64 v[103:104], v[67:68], v[123:124]
	v_mul_f64 v[99:100], v[65:66], v[123:124]
	v_add_f64 v[77:78], v[77:78], v[101:102]
	v_fma_f64 v[101:102], v[63:64], v[119:120], v[107:108]
	v_add_f64 v[3:4], v[3:4], v[91:92]
	s_waitcnt vmcnt(43) lgkmcnt(0)
	v_mul_f64 v[107:108], v[71:72], v[125:126]
	s_waitcnt vmcnt(41)
	v_fma_f64 v[103:104], v[65:66], v[129:130], -v[103:104]
	ds_read_b128 v[61:64], v2 offset:752
	v_mul_f64 v[91:92], v[69:70], v[125:126]
	v_fma_f64 v[99:100], v[67:68], v[129:130], v[99:100]
	ds_read_b128 v[65:68], v2 offset:768
	v_add_f64 v[77:78], v[77:78], v[109:110]
	v_add_f64 v[3:4], v[3:4], v[101:102]
	s_waitcnt vmcnt(37) lgkmcnt(1)
	v_mul_f64 v[109:110], v[63:64], v[133:134]
	s_waitcnt vmcnt(36)
	v_fma_f64 v[107:108], v[69:70], v[127:128], -v[107:108]
	v_mul_f64 v[101:102], v[61:62], v[133:134]
	v_fma_f64 v[91:92], v[71:72], v[127:128], v[91:92]
	ds_read_b128 v[69:72], v2 offset:784
	v_add_f64 v[77:78], v[77:78], v[103:104]
	v_add_f64 v[3:4], v[3:4], v[99:100]
	s_waitcnt vmcnt(35) lgkmcnt(1)
	v_mul_f64 v[103:104], v[67:68], v[135:136]
	v_mul_f64 v[99:100], v[65:66], v[135:136]
	s_waitcnt vmcnt(33)
	v_fma_f64 v[109:110], v[61:62], v[75:76], -v[109:110]
	v_fma_f64 v[75:76], v[63:64], v[75:76], v[101:102]
	ds_read_b128 v[61:64], v2 offset:800
	v_add_f64 v[77:78], v[77:78], v[107:108]
	v_add_f64 v[3:4], v[3:4], v[91:92]
	s_waitcnt vmcnt(29) lgkmcnt(1)
	v_mul_f64 v[91:92], v[69:70], v[79:80]
	v_mul_f64 v[79:80], v[71:72], v[79:80]
	s_waitcnt vmcnt(28)
	v_fma_f64 v[101:102], v[65:66], v[137:138], -v[103:104]
	;; [unrolled: 9-line block ×7, first 2 shown]
	v_fma_f64 v[63:64], v[63:64], v[83:84], v[75:76]
	v_add_f64 v[77:78], v[77:78], v[79:80]
	v_add_f64 v[2:3], v[3:4], v[73:74]
	s_waitcnt vmcnt(7) lgkmcnt(0)
	v_mul_f64 v[75:76], v[71:72], v[89:90]
	s_waitcnt vmcnt(6)
	v_fma_f64 v[65:66], v[65:66], v[141:142], -v[87:88]
	v_mul_f64 v[73:74], v[69:70], v[89:90]
	v_fma_f64 v[67:68], v[67:68], v[141:142], v[85:86]
	v_add_f64 v[61:62], v[77:78], v[61:62]
	v_add_f64 v[2:3], v[2:3], v[63:64]
	s_waitcnt vmcnt(4)
	v_fma_f64 v[63:64], v[69:70], v[93:94], -v[75:76]
	v_add_f64 v[61:62], v[61:62], v[65:66]
	v_fma_f64 v[65:66], v[71:72], v[93:94], v[73:74]
	v_add_f64 v[2:3], v[2:3], v[67:68]
	v_add_f64 v[61:62], v[61:62], v[63:64]
	;; [unrolled: 1-line block ×3, first 2 shown]
	s_waitcnt vmcnt(2)
	v_add_f64 v[61:62], v[95:96], -v[61:62]
	s_waitcnt vmcnt(0)
	v_add_f64 v[2:3], v[105:106], -v[2:3]
	buffer_store_dword v62, off, s[0:3], 0 offset:68
	buffer_store_dword v61, off, s[0:3], 0 offset:64
	;; [unrolled: 1-line block ×4, first 2 shown]
	v_cmpx_lt_u32_e32 2, v0
	s_cbranch_execz .LBB27_177
; %bb.176:
	v_mov_b32_e32 v2, s39
	s_clause 0x3
	buffer_load_dword v61, v2, s[0:3], 0 offen
	buffer_load_dword v62, v2, s[0:3], 0 offen offset:4
	buffer_load_dword v63, v2, s[0:3], 0 offen offset:8
	;; [unrolled: 1-line block ×3, first 2 shown]
	v_mov_b32_e32 v2, 0
	buffer_store_dword v2, off, s[0:3], 0 offset:48
	buffer_store_dword v2, off, s[0:3], 0 offset:52
	;; [unrolled: 1-line block ×4, first 2 shown]
	s_waitcnt vmcnt(0)
	ds_write_b128 v1, v[61:64]
.LBB27_177:
	s_or_b32 exec_lo, exec_lo, s4
	s_waitcnt lgkmcnt(0)
	s_waitcnt_vscnt null, 0x0
	s_barrier
	buffer_gl0_inv
	s_clause 0x37
	buffer_load_dword v3, off, s[0:3], 0 offset:72
	buffer_load_dword v4, off, s[0:3], 0 offset:76
	;; [unrolled: 1-line block ×56, first 2 shown]
	v_mov_b32_e32 v2, 0
	s_mov_b32 s4, exec_lo
	ds_read_b128 v[61:64], v2 offset:496
	s_clause 0x2
	buffer_load_dword v126, off, s[0:3], 0 offset:300
	buffer_load_dword v130, off, s[0:3], 0 offset:276
	;; [unrolled: 1-line block ×3, first 2 shown]
	ds_read_b128 v[65:68], v2 offset:512
	s_clause 0x4
	buffer_load_dword v134, off, s[0:3], 0 offset:316
	buffer_load_dword v135, off, s[0:3], 0 offset:328
	;; [unrolled: 1-line block ×5, first 2 shown]
	ds_read_b128 v[69:72], v2 offset:528
	s_waitcnt vmcnt(62) lgkmcnt(2)
	v_mul_f64 v[131:132], v[63:64], v[3:4]
	v_mul_f64 v[3:4], v[61:62], v[3:4]
	s_waitcnt vmcnt(60) lgkmcnt(1)
	v_mul_f64 v[138:139], v[67:68], v[73:74]
	v_mul_f64 v[73:74], v[65:66], v[73:74]
	;; [unrolled: 3-line block ×3, first 2 shown]
	v_fma_f64 v[131:132], v[61:62], v[75:76], -v[131:132]
	v_fma_f64 v[3:4], v[63:64], v[75:76], v[3:4]
	s_clause 0x2
	buffer_load_dword v136, off, s[0:3], 0 offset:332
	buffer_load_dword v76, off, s[0:3], 0 offset:308
	;; [unrolled: 1-line block ×3, first 2 shown]
	s_waitcnt vmcnt(57)
	v_fma_f64 v[142:143], v[65:66], v[79:80], -v[138:139]
	ds_read_b128 v[61:64], v2 offset:544
	v_fma_f64 v[73:74], v[67:68], v[79:80], v[73:74]
	s_clause 0x4
	buffer_load_dword v80, off, s[0:3], 0 offset:348
	buffer_load_dword v139, off, s[0:3], 0 offset:360
	;; [unrolled: 1-line block ×5, first 2 shown]
	s_waitcnt vmcnt(56)
	v_fma_f64 v[77:78], v[69:70], v[87:88], -v[77:78]
	ds_read_b128 v[65:68], v2 offset:560
	v_fma_f64 v[87:88], v[71:72], v[87:88], v[140:141]
	v_add_f64 v[131:132], v[131:132], 0
	v_add_f64 v[3:4], v[3:4], 0
	s_waitcnt lgkmcnt(1)
	v_mul_f64 v[145:146], v[61:62], v[81:82]
	v_mul_f64 v[81:82], v[63:64], v[81:82]
	v_add_f64 v[131:132], v[131:132], v[142:143]
	v_add_f64 v[3:4], v[3:4], v[73:74]
	s_clause 0x2
	buffer_load_dword v140, off, s[0:3], 0 offset:364
	buffer_load_dword v74, off, s[0:3], 0 offset:340
	;; [unrolled: 1-line block ×3, first 2 shown]
	s_waitcnt vmcnt(58) lgkmcnt(0)
	v_mul_f64 v[141:142], v[65:66], v[83:84]
	v_mul_f64 v[83:84], v[67:68], v[83:84]
	s_waitcnt vmcnt(56)
	v_fma_f64 v[81:82], v[61:62], v[89:90], -v[81:82]
	ds_read_b128 v[69:72], v2 offset:576
	v_fma_f64 v[89:90], v[63:64], v[89:90], v[145:146]
	v_add_f64 v[77:78], v[131:132], v[77:78]
	v_add_f64 v[3:4], v[3:4], v[87:88]
	s_clause 0x4
	buffer_load_dword v88, off, s[0:3], 0 offset:380
	buffer_load_dword v131, off, s[0:3], 0 offset:392
	;; [unrolled: 1-line block ×5, first 2 shown]
	ds_read_b128 v[61:64], v2 offset:592
	s_waitcnt vmcnt(57) lgkmcnt(1)
	v_mul_f64 v[147:148], v[69:70], v[91:92]
	v_mul_f64 v[91:92], v[71:72], v[91:92]
	s_waitcnt vmcnt(56)
	v_fma_f64 v[83:84], v[65:66], v[85:86], -v[83:84]
	v_add_f64 v[77:78], v[77:78], v[81:82]
	v_fma_f64 v[81:82], v[67:68], v[85:86], v[141:142]
	v_add_f64 v[3:4], v[3:4], v[89:90]
	s_clause 0x2
	buffer_load_dword v132, off, s[0:3], 0 offset:396
	buffer_load_dword v86, off, s[0:3], 0 offset:372
	;; [unrolled: 1-line block ×3, first 2 shown]
	s_waitcnt vmcnt(58) lgkmcnt(0)
	v_mul_f64 v[89:90], v[61:62], v[93:94]
	v_mul_f64 v[93:94], v[63:64], v[93:94]
	s_waitcnt vmcnt(56)
	v_fma_f64 v[91:92], v[69:70], v[97:98], -v[91:92]
	ds_read_b128 v[65:68], v2 offset:608
	v_add_f64 v[77:78], v[77:78], v[83:84]
	v_fma_f64 v[83:84], v[71:72], v[97:98], v[147:148]
	v_add_f64 v[3:4], v[3:4], v[81:82]
	s_clause 0x4
	buffer_load_dword v82, off, s[0:3], 0 offset:412
	buffer_load_dword v97, off, s[0:3], 0 offset:424
	;; [unrolled: 1-line block ×5, first 2 shown]
	ds_read_b128 v[69:72], v2 offset:624
	s_waitcnt vmcnt(57) lgkmcnt(1)
	v_mul_f64 v[142:143], v[65:66], v[99:100]
	v_mul_f64 v[99:100], v[67:68], v[99:100]
	s_waitcnt vmcnt(56)
	v_fma_f64 v[93:94], v[61:62], v[95:96], -v[93:94]
	v_fma_f64 v[89:90], v[63:64], v[95:96], v[89:90]
	v_add_f64 v[77:78], v[77:78], v[91:92]
	v_add_f64 v[3:4], v[3:4], v[83:84]
	s_clause 0x2
	buffer_load_dword v98, off, s[0:3], 0 offset:428
	buffer_load_dword v84, off, s[0:3], 0 offset:404
	;; [unrolled: 1-line block ×3, first 2 shown]
	s_waitcnt vmcnt(58) lgkmcnt(0)
	v_mul_f64 v[95:96], v[71:72], v[101:102]
	ds_read_b128 v[61:64], v2 offset:640
	s_waitcnt vmcnt(56)
	v_fma_f64 v[99:100], v[65:66], v[105:106], -v[99:100]
	v_mul_f64 v[91:92], v[69:70], v[101:102]
	v_add_f64 v[77:78], v[77:78], v[93:94]
	v_fma_f64 v[93:94], v[67:68], v[105:106], v[142:143]
	v_add_f64 v[3:4], v[3:4], v[89:90]
	s_clause 0x4
	buffer_load_dword v90, off, s[0:3], 0 offset:444
	buffer_load_dword v101, off, s[0:3], 0 offset:456
	;; [unrolled: 1-line block ×5, first 2 shown]
	s_waitcnt vmcnt(57) lgkmcnt(0)
	v_mul_f64 v[148:149], v[61:62], v[107:108]
	v_mul_f64 v[106:107], v[63:64], v[107:108]
	s_waitcnt vmcnt(56)
	v_fma_f64 v[95:96], v[69:70], v[103:104], -v[95:96]
	ds_read_b128 v[65:68], v2 offset:656
	v_fma_f64 v[91:92], v[71:72], v[103:104], v[91:92]
	v_add_f64 v[77:78], v[77:78], v[99:100]
	v_add_f64 v[3:4], v[3:4], v[93:94]
	s_clause 0x2
	buffer_load_dword v102, off, s[0:3], 0 offset:460
	buffer_load_dword v94, off, s[0:3], 0 offset:436
	;; [unrolled: 1-line block ×3, first 2 shown]
	ds_read_b128 v[69:72], v2 offset:672
	s_waitcnt vmcnt(58) lgkmcnt(1)
	v_mul_f64 v[103:104], v[67:68], v[109:110]
	s_waitcnt vmcnt(56)
	v_fma_f64 v[107:108], v[61:62], v[113:114], -v[106:107]
	v_mul_f64 v[99:100], v[65:66], v[109:110]
	buffer_load_dword v106, off, s[0:3], 0 offset:452
	v_add_f64 v[77:78], v[77:78], v[95:96]
	v_fma_f64 v[95:96], v[63:64], v[113:114], v[148:149]
	v_add_f64 v[3:4], v[3:4], v[91:92]
	ds_read_b128 v[61:64], v2 offset:688
	s_waitcnt vmcnt(53) lgkmcnt(1)
	v_mul_f64 v[109:110], v[71:72], v[115:116]
	s_waitcnt vmcnt(52)
	v_fma_f64 v[103:104], v[65:66], v[111:112], -v[103:104]
	v_mul_f64 v[91:92], v[69:70], v[115:116]
	v_fma_f64 v[99:100], v[67:68], v[111:112], v[99:100]
	ds_read_b128 v[65:68], v2 offset:704
	v_add_f64 v[77:78], v[77:78], v[107:108]
	s_waitcnt vmcnt(51) lgkmcnt(1)
	v_mul_f64 v[107:108], v[63:64], v[117:118]
	v_add_f64 v[3:4], v[3:4], v[95:96]
	v_mul_f64 v[95:96], v[61:62], v[117:118]
	s_waitcnt vmcnt(49)
	v_fma_f64 v[109:110], v[69:70], v[121:122], -v[109:110]
	v_fma_f64 v[91:92], v[71:72], v[121:122], v[91:92]
	s_waitcnt vmcnt(45) lgkmcnt(0)
	v_mul_f64 v[113:114], v[67:68], v[123:124]
	v_mul_f64 v[111:112], v[65:66], v[123:124]
	v_add_f64 v[77:78], v[77:78], v[103:104]
	s_waitcnt vmcnt(44)
	v_fma_f64 v[107:108], v[61:62], v[119:120], -v[107:108]
	v_add_f64 v[3:4], v[3:4], v[99:100]
	s_clause 0x3
	buffer_load_dword v99, off, s[0:3], 0 offset:48
	buffer_load_dword v100, off, s[0:3], 0 offset:52
	;; [unrolled: 1-line block ×4, first 2 shown]
	ds_read_b128 v[69:72], v2 offset:720
	v_fma_f64 v[95:96], v[63:64], v[119:120], v[95:96]
	ds_read_b128 v[61:64], v2 offset:736
	s_waitcnt vmcnt(45)
	v_fma_f64 v[113:114], v[65:66], v[129:130], -v[113:114]
	v_add_f64 v[77:78], v[77:78], v[109:110]
	v_add_f64 v[3:4], v[3:4], v[91:92]
	s_waitcnt lgkmcnt(1)
	v_mul_f64 v[109:110], v[71:72], v[125:126]
	v_mul_f64 v[91:92], v[69:70], v[125:126]
	v_add_f64 v[77:78], v[77:78], v[107:108]
	v_fma_f64 v[107:108], v[67:68], v[129:130], v[111:112]
	v_add_f64 v[3:4], v[3:4], v[95:96]
	s_waitcnt vmcnt(41) lgkmcnt(0)
	v_mul_f64 v[111:112], v[63:64], v[133:134]
	s_waitcnt vmcnt(40)
	v_fma_f64 v[109:110], v[69:70], v[127:128], -v[109:110]
	ds_read_b128 v[65:68], v2 offset:752
	v_mul_f64 v[95:96], v[61:62], v[133:134]
	v_fma_f64 v[91:92], v[71:72], v[127:128], v[91:92]
	ds_read_b128 v[69:72], v2 offset:768
	v_add_f64 v[77:78], v[77:78], v[113:114]
	v_add_f64 v[3:4], v[3:4], v[107:108]
	s_waitcnt vmcnt(39) lgkmcnt(1)
	v_mul_f64 v[113:114], v[67:68], v[135:136]
	v_mul_f64 v[107:108], v[65:66], v[135:136]
	s_waitcnt vmcnt(37)
	v_fma_f64 v[111:112], v[61:62], v[75:76], -v[111:112]
	v_fma_f64 v[75:76], v[63:64], v[75:76], v[95:96]
	ds_read_b128 v[61:64], v2 offset:784
	v_add_f64 v[77:78], v[77:78], v[109:110]
	v_add_f64 v[3:4], v[3:4], v[91:92]
	s_waitcnt vmcnt(33) lgkmcnt(1)
	v_mul_f64 v[91:92], v[69:70], v[79:80]
	v_mul_f64 v[79:80], v[71:72], v[79:80]
	s_waitcnt vmcnt(32)
	v_fma_f64 v[95:96], v[65:66], v[137:138], -v[113:114]
	;; [unrolled: 9-line block ×7, first 2 shown]
	v_fma_f64 v[75:76], v[63:64], v[83:84], v[75:76]
	ds_read_b128 v[61:64], v2 offset:880
	v_add_f64 v[77:78], v[77:78], v[79:80]
	v_add_f64 v[3:4], v[3:4], v[73:74]
	s_waitcnt vmcnt(9) lgkmcnt(1)
	v_mul_f64 v[79:80], v[71:72], v[89:90]
	s_waitcnt vmcnt(8)
	v_fma_f64 v[65:66], v[65:66], v[141:142], -v[87:88]
	v_mul_f64 v[73:74], v[69:70], v[89:90]
	v_fma_f64 v[67:68], v[67:68], v[141:142], v[85:86]
	v_add_f64 v[77:78], v[77:78], v[81:82]
	v_add_f64 v[3:4], v[3:4], v[75:76]
	s_waitcnt vmcnt(7) lgkmcnt(0)
	v_mul_f64 v[81:82], v[63:64], v[101:102]
	v_mul_f64 v[75:76], v[61:62], v[101:102]
	s_waitcnt vmcnt(5)
	v_fma_f64 v[69:70], v[69:70], v[93:94], -v[79:80]
	v_fma_f64 v[71:72], v[71:72], v[93:94], v[73:74]
	v_add_f64 v[65:66], v[77:78], v[65:66]
	v_add_f64 v[3:4], v[3:4], v[67:68]
	s_waitcnt vmcnt(4)
	v_fma_f64 v[61:62], v[61:62], v[105:106], -v[81:82]
	v_fma_f64 v[63:64], v[63:64], v[105:106], v[75:76]
	v_add_f64 v[65:66], v[65:66], v[69:70]
	v_add_f64 v[3:4], v[3:4], v[71:72]
	;; [unrolled: 1-line block ×4, first 2 shown]
	s_waitcnt vmcnt(2)
	v_add_f64 v[61:62], v[99:100], -v[61:62]
	s_waitcnt vmcnt(0)
	v_add_f64 v[3:4], v[103:104], -v[3:4]
	buffer_store_dword v62, off, s[0:3], 0 offset:52
	buffer_store_dword v61, off, s[0:3], 0 offset:48
	;; [unrolled: 1-line block ×4, first 2 shown]
	v_cmpx_lt_u32_e32 1, v0
	s_cbranch_execz .LBB27_179
; %bb.178:
	v_mov_b32_e32 v3, s40
	s_clause 0x3
	buffer_load_dword v61, v3, s[0:3], 0 offen
	buffer_load_dword v62, v3, s[0:3], 0 offen offset:4
	buffer_load_dword v63, v3, s[0:3], 0 offen offset:8
	;; [unrolled: 1-line block ×3, first 2 shown]
	buffer_store_dword v2, off, s[0:3], 0 offset:32
	buffer_store_dword v2, off, s[0:3], 0 offset:36
	;; [unrolled: 1-line block ×4, first 2 shown]
	s_waitcnt vmcnt(0)
	ds_write_b128 v1, v[61:64]
.LBB27_179:
	s_or_b32 exec_lo, exec_lo, s4
	s_waitcnt lgkmcnt(0)
	s_waitcnt_vscnt null, 0x0
	s_barrier
	buffer_gl0_inv
	s_clause 0x37
	buffer_load_dword v3, off, s[0:3], 0 offset:56
	buffer_load_dword v4, off, s[0:3], 0 offset:60
	;; [unrolled: 1-line block ×56, first 2 shown]
	ds_read_b128 v[61:64], v2 offset:480
	s_clause 0x2
	buffer_load_dword v126, off, s[0:3], 0 offset:284
	buffer_load_dword v130, off, s[0:3], 0 offset:260
	;; [unrolled: 1-line block ×3, first 2 shown]
	ds_read_b128 v[65:68], v2 offset:496
	s_clause 0x4
	buffer_load_dword v134, off, s[0:3], 0 offset:300
	buffer_load_dword v135, off, s[0:3], 0 offset:312
	;; [unrolled: 1-line block ×5, first 2 shown]
	ds_read_b128 v[69:72], v2 offset:512
	s_mov_b32 s4, exec_lo
	s_waitcnt vmcnt(62) lgkmcnt(2)
	v_mul_f64 v[131:132], v[63:64], v[3:4]
	v_mul_f64 v[3:4], v[61:62], v[3:4]
	s_waitcnt vmcnt(60) lgkmcnt(1)
	v_mul_f64 v[138:139], v[67:68], v[73:74]
	v_mul_f64 v[73:74], v[65:66], v[73:74]
	;; [unrolled: 3-line block ×3, first 2 shown]
	v_fma_f64 v[131:132], v[61:62], v[75:76], -v[131:132]
	v_fma_f64 v[3:4], v[63:64], v[75:76], v[3:4]
	s_clause 0x2
	buffer_load_dword v136, off, s[0:3], 0 offset:316
	buffer_load_dword v76, off, s[0:3], 0 offset:292
	;; [unrolled: 1-line block ×3, first 2 shown]
	s_waitcnt vmcnt(57)
	v_fma_f64 v[142:143], v[65:66], v[79:80], -v[138:139]
	ds_read_b128 v[61:64], v2 offset:528
	v_fma_f64 v[73:74], v[67:68], v[79:80], v[73:74]
	s_clause 0x4
	buffer_load_dword v80, off, s[0:3], 0 offset:332
	buffer_load_dword v139, off, s[0:3], 0 offset:344
	buffer_load_dword v144, off, s[0:3], 0 offset:336
	buffer_load_dword v79, off, s[0:3], 0 offset:328
	buffer_load_dword v138, off, s[0:3], 0 offset:308
	s_waitcnt vmcnt(56)
	v_fma_f64 v[77:78], v[69:70], v[87:88], -v[77:78]
	ds_read_b128 v[65:68], v2 offset:544
	v_fma_f64 v[87:88], v[71:72], v[87:88], v[140:141]
	v_add_f64 v[131:132], v[131:132], 0
	v_add_f64 v[3:4], v[3:4], 0
	s_waitcnt lgkmcnt(1)
	v_mul_f64 v[145:146], v[61:62], v[81:82]
	v_mul_f64 v[81:82], v[63:64], v[81:82]
	v_add_f64 v[131:132], v[131:132], v[142:143]
	v_add_f64 v[3:4], v[3:4], v[73:74]
	s_clause 0x2
	buffer_load_dword v140, off, s[0:3], 0 offset:348
	buffer_load_dword v74, off, s[0:3], 0 offset:324
	;; [unrolled: 1-line block ×3, first 2 shown]
	s_waitcnt vmcnt(58) lgkmcnt(0)
	v_mul_f64 v[141:142], v[65:66], v[83:84]
	v_mul_f64 v[83:84], v[67:68], v[83:84]
	s_waitcnt vmcnt(56)
	v_fma_f64 v[81:82], v[61:62], v[89:90], -v[81:82]
	ds_read_b128 v[69:72], v2 offset:560
	v_fma_f64 v[89:90], v[63:64], v[89:90], v[145:146]
	v_add_f64 v[77:78], v[131:132], v[77:78]
	v_add_f64 v[3:4], v[3:4], v[87:88]
	s_clause 0x4
	buffer_load_dword v88, off, s[0:3], 0 offset:364
	buffer_load_dword v131, off, s[0:3], 0 offset:376
	;; [unrolled: 1-line block ×5, first 2 shown]
	ds_read_b128 v[61:64], v2 offset:576
	s_waitcnt vmcnt(57) lgkmcnt(1)
	v_mul_f64 v[147:148], v[69:70], v[91:92]
	v_mul_f64 v[91:92], v[71:72], v[91:92]
	s_waitcnt vmcnt(56)
	v_fma_f64 v[83:84], v[65:66], v[85:86], -v[83:84]
	v_add_f64 v[77:78], v[77:78], v[81:82]
	v_fma_f64 v[81:82], v[67:68], v[85:86], v[141:142]
	v_add_f64 v[3:4], v[3:4], v[89:90]
	s_clause 0x2
	buffer_load_dword v132, off, s[0:3], 0 offset:380
	buffer_load_dword v86, off, s[0:3], 0 offset:356
	;; [unrolled: 1-line block ×3, first 2 shown]
	s_waitcnt vmcnt(58) lgkmcnt(0)
	v_mul_f64 v[89:90], v[61:62], v[93:94]
	v_mul_f64 v[93:94], v[63:64], v[93:94]
	s_waitcnt vmcnt(56)
	v_fma_f64 v[91:92], v[69:70], v[97:98], -v[91:92]
	ds_read_b128 v[65:68], v2 offset:592
	v_add_f64 v[77:78], v[77:78], v[83:84]
	v_fma_f64 v[83:84], v[71:72], v[97:98], v[147:148]
	v_add_f64 v[3:4], v[3:4], v[81:82]
	s_clause 0x4
	buffer_load_dword v82, off, s[0:3], 0 offset:396
	buffer_load_dword v97, off, s[0:3], 0 offset:408
	;; [unrolled: 1-line block ×5, first 2 shown]
	ds_read_b128 v[69:72], v2 offset:608
	s_waitcnt vmcnt(57) lgkmcnt(1)
	v_mul_f64 v[142:143], v[65:66], v[99:100]
	v_mul_f64 v[99:100], v[67:68], v[99:100]
	s_waitcnt vmcnt(56)
	v_fma_f64 v[93:94], v[61:62], v[95:96], -v[93:94]
	v_fma_f64 v[89:90], v[63:64], v[95:96], v[89:90]
	v_add_f64 v[77:78], v[77:78], v[91:92]
	v_add_f64 v[3:4], v[3:4], v[83:84]
	s_clause 0x2
	buffer_load_dword v98, off, s[0:3], 0 offset:412
	buffer_load_dword v84, off, s[0:3], 0 offset:388
	;; [unrolled: 1-line block ×3, first 2 shown]
	s_waitcnt vmcnt(58) lgkmcnt(0)
	v_mul_f64 v[95:96], v[71:72], v[101:102]
	ds_read_b128 v[61:64], v2 offset:624
	s_waitcnt vmcnt(56)
	v_fma_f64 v[99:100], v[65:66], v[105:106], -v[99:100]
	v_mul_f64 v[91:92], v[69:70], v[101:102]
	v_add_f64 v[77:78], v[77:78], v[93:94]
	v_fma_f64 v[93:94], v[67:68], v[105:106], v[142:143]
	v_add_f64 v[3:4], v[3:4], v[89:90]
	s_clause 0x4
	buffer_load_dword v90, off, s[0:3], 0 offset:428
	buffer_load_dword v101, off, s[0:3], 0 offset:440
	;; [unrolled: 1-line block ×5, first 2 shown]
	s_waitcnt vmcnt(57) lgkmcnt(0)
	v_mul_f64 v[148:149], v[61:62], v[107:108]
	v_mul_f64 v[106:107], v[63:64], v[107:108]
	s_waitcnt vmcnt(56)
	v_fma_f64 v[95:96], v[69:70], v[103:104], -v[95:96]
	ds_read_b128 v[65:68], v2 offset:640
	v_fma_f64 v[91:92], v[71:72], v[103:104], v[91:92]
	v_add_f64 v[77:78], v[77:78], v[99:100]
	v_add_f64 v[3:4], v[3:4], v[93:94]
	s_clause 0x2
	buffer_load_dword v102, off, s[0:3], 0 offset:444
	buffer_load_dword v94, off, s[0:3], 0 offset:420
	;; [unrolled: 1-line block ×3, first 2 shown]
	ds_read_b128 v[69:72], v2 offset:656
	s_waitcnt vmcnt(58) lgkmcnt(1)
	v_mul_f64 v[103:104], v[67:68], v[109:110]
	s_waitcnt vmcnt(56)
	v_fma_f64 v[107:108], v[61:62], v[113:114], -v[106:107]
	v_mul_f64 v[99:100], v[65:66], v[109:110]
	v_add_f64 v[77:78], v[77:78], v[95:96]
	v_fma_f64 v[95:96], v[63:64], v[113:114], v[148:149]
	v_add_f64 v[3:4], v[3:4], v[91:92]
	s_clause 0x2
	buffer_load_dword v92, off, s[0:3], 0 offset:460
	buffer_load_dword v91, off, s[0:3], 0 offset:456
	;; [unrolled: 1-line block ×3, first 2 shown]
	s_waitcnt vmcnt(55) lgkmcnt(0)
	v_mul_f64 v[113:114], v[71:72], v[115:116]
	s_waitcnt vmcnt(54)
	v_fma_f64 v[103:104], v[65:66], v[111:112], -v[103:104]
	ds_read_b128 v[61:64], v2 offset:672
	v_mul_f64 v[109:110], v[69:70], v[115:116]
	v_fma_f64 v[99:100], v[67:68], v[111:112], v[99:100]
	v_add_f64 v[77:78], v[77:78], v[107:108]
	v_add_f64 v[3:4], v[3:4], v[95:96]
	s_clause 0x1
	buffer_load_dword v96, off, s[0:3], 0 offset:452
	buffer_load_dword v95, off, s[0:3], 0 offset:448
	s_waitcnt vmcnt(55) lgkmcnt(0)
	v_mul_f64 v[111:112], v[63:64], v[117:118]
	s_waitcnt vmcnt(53)
	v_fma_f64 v[113:114], v[69:70], v[121:122], -v[113:114]
	ds_read_b128 v[65:68], v2 offset:688
	v_mul_f64 v[107:108], v[61:62], v[117:118]
	v_add_f64 v[77:78], v[77:78], v[103:104]
	v_fma_f64 v[103:104], v[71:72], v[121:122], v[109:110]
	v_add_f64 v[3:4], v[3:4], v[99:100]
	ds_read_b128 v[69:72], v2 offset:704
	s_waitcnt vmcnt(49) lgkmcnt(1)
	v_mul_f64 v[109:110], v[67:68], v[123:124]
	s_waitcnt vmcnt(48)
	v_fma_f64 v[111:112], v[61:62], v[119:120], -v[111:112]
	v_mul_f64 v[99:100], v[65:66], v[123:124]
	v_fma_f64 v[107:108], v[63:64], v[119:120], v[107:108]
	v_add_f64 v[77:78], v[77:78], v[113:114]
	s_waitcnt vmcnt(47) lgkmcnt(0)
	v_mul_f64 v[117:118], v[71:72], v[125:126]
	v_add_f64 v[3:4], v[3:4], v[103:104]
	s_clause 0x3
	buffer_load_dword v103, off, s[0:3], 0 offset:32
	buffer_load_dword v104, off, s[0:3], 0 offset:36
	;; [unrolled: 1-line block ×4, first 2 shown]
	s_waitcnt vmcnt(49)
	v_fma_f64 v[109:110], v[65:66], v[129:130], -v[109:110]
	ds_read_b128 v[61:64], v2 offset:720
	v_mul_f64 v[115:116], v[69:70], v[125:126]
	v_fma_f64 v[99:100], v[67:68], v[129:130], v[99:100]
	ds_read_b128 v[65:68], v2 offset:736
	v_add_f64 v[77:78], v[77:78], v[111:112]
	s_waitcnt vmcnt(44)
	v_fma_f64 v[117:118], v[69:70], v[127:128], -v[117:118]
	v_add_f64 v[3:4], v[3:4], v[107:108]
	s_waitcnt lgkmcnt(1)
	v_mul_f64 v[111:112], v[63:64], v[133:134]
	v_mul_f64 v[107:108], v[61:62], v[133:134]
	v_add_f64 v[77:78], v[77:78], v[109:110]
	v_fma_f64 v[109:110], v[71:72], v[127:128], v[115:116]
	v_add_f64 v[3:4], v[3:4], v[99:100]
	ds_read_b128 v[69:72], v2 offset:752
	s_waitcnt vmcnt(43) lgkmcnt(1)
	v_mul_f64 v[115:116], v[67:68], v[135:136]
	v_mul_f64 v[99:100], v[65:66], v[135:136]
	s_waitcnt vmcnt(41)
	v_fma_f64 v[111:112], v[61:62], v[75:76], -v[111:112]
	v_fma_f64 v[75:76], v[63:64], v[75:76], v[107:108]
	ds_read_b128 v[61:64], v2 offset:768
	v_add_f64 v[77:78], v[77:78], v[117:118]
	s_waitcnt vmcnt(37) lgkmcnt(1)
	v_mul_f64 v[107:108], v[69:70], v[79:80]
	v_add_f64 v[3:4], v[3:4], v[109:110]
	v_mul_f64 v[79:80], v[71:72], v[79:80]
	s_waitcnt vmcnt(36)
	v_fma_f64 v[109:110], v[65:66], v[137:138], -v[115:116]
	v_fma_f64 v[99:100], v[67:68], v[137:138], v[99:100]
	ds_read_b128 v[65:68], v2 offset:784
	v_add_f64 v[77:78], v[77:78], v[111:112]
	v_add_f64 v[3:4], v[3:4], v[75:76]
	s_waitcnt vmcnt(35) lgkmcnt(1)
	v_mul_f64 v[111:112], v[63:64], v[139:140]
	v_mul_f64 v[75:76], v[61:62], v[139:140]
	s_waitcnt vmcnt(33)
	v_fma_f64 v[79:80], v[69:70], v[73:74], -v[79:80]
	v_fma_f64 v[73:74], v[71:72], v[73:74], v[107:108]
	ds_read_b128 v[69:72], v2 offset:800
	v_add_f64 v[77:78], v[77:78], v[109:110]
	v_add_f64 v[3:4], v[3:4], v[99:100]
	s_waitcnt vmcnt(29) lgkmcnt(1)
	v_mul_f64 v[99:100], v[65:66], v[87:88]
	;; [unrolled: 9-line block ×6, first 2 shown]
	s_waitcnt vmcnt(12)
	v_fma_f64 v[83:84], v[65:66], v[141:142], -v[87:88]
	v_mul_f64 v[73:74], v[69:70], v[89:90]
	v_add_f64 v[77:78], v[77:78], v[81:82]
	v_fma_f64 v[81:82], v[67:68], v[141:142], v[85:86]
	v_add_f64 v[3:4], v[3:4], v[75:76]
	ds_read_b128 v[65:68], v2 offset:880
	s_waitcnt vmcnt(11) lgkmcnt(1)
	v_mul_f64 v[85:86], v[63:64], v[101:102]
	v_mul_f64 v[75:76], v[61:62], v[101:102]
	s_waitcnt vmcnt(9)
	v_fma_f64 v[69:70], v[69:70], v[93:94], -v[79:80]
	v_fma_f64 v[71:72], v[71:72], v[93:94], v[73:74]
	v_add_f64 v[77:78], v[77:78], v[83:84]
	v_add_f64 v[2:3], v[3:4], v[81:82]
	s_waitcnt vmcnt(7) lgkmcnt(0)
	v_mul_f64 v[79:80], v[67:68], v[91:92]
	s_waitcnt vmcnt(6)
	v_fma_f64 v[61:62], v[61:62], v[105:106], -v[85:86]
	v_mul_f64 v[73:74], v[65:66], v[91:92]
	v_fma_f64 v[63:64], v[63:64], v[105:106], v[75:76]
	v_add_f64 v[69:70], v[77:78], v[69:70]
	v_add_f64 v[2:3], v[2:3], v[71:72]
	s_waitcnt vmcnt(4)
	v_fma_f64 v[65:66], v[65:66], v[95:96], -v[79:80]
	v_fma_f64 v[67:68], v[67:68], v[95:96], v[73:74]
	v_add_f64 v[61:62], v[69:70], v[61:62]
	v_add_f64 v[2:3], v[2:3], v[63:64]
	;; [unrolled: 1-line block ×4, first 2 shown]
	s_waitcnt vmcnt(2)
	v_add_f64 v[61:62], v[103:104], -v[61:62]
	s_waitcnt vmcnt(0)
	v_add_f64 v[2:3], v[113:114], -v[2:3]
	buffer_store_dword v62, off, s[0:3], 0 offset:36
	buffer_store_dword v61, off, s[0:3], 0 offset:32
	;; [unrolled: 1-line block ×4, first 2 shown]
	v_cmpx_ne_u32_e32 0, v0
	s_cbranch_execz .LBB27_181
; %bb.180:
	s_clause 0x3
	buffer_load_dword v61, off, s[0:3], 0 offset:16
	buffer_load_dword v62, off, s[0:3], 0 offset:20
	;; [unrolled: 1-line block ×4, first 2 shown]
	v_mov_b32_e32 v0, 0
	buffer_store_dword v0, off, s[0:3], 0 offset:16
	buffer_store_dword v0, off, s[0:3], 0 offset:20
	;; [unrolled: 1-line block ×4, first 2 shown]
	s_waitcnt vmcnt(0)
	ds_write_b128 v1, v[61:64]
.LBB27_181:
	s_or_b32 exec_lo, exec_lo, s4
	s_waitcnt lgkmcnt(0)
	s_waitcnt_vscnt null, 0x0
	s_barrier
	buffer_gl0_inv
	s_clause 0x37
	buffer_load_dword v65, off, s[0:3], 0 offset:40
	buffer_load_dword v66, off, s[0:3], 0 offset:44
	;; [unrolled: 1-line block ×56, first 2 shown]
	v_mov_b32_e32 v0, 0
	s_and_b32 vcc_lo, exec_lo, s36
	ds_read_b128 v[1:4], v0 offset:464
	s_clause 0x2
	buffer_load_dword v122, off, s[0:3], 0 offset:268
	buffer_load_dword v126, off, s[0:3], 0 offset:244
	;; [unrolled: 1-line block ×3, first 2 shown]
	ds_read_b128 v[61:64], v0 offset:480
	s_clause 0x4
	buffer_load_dword v132, off, s[0:3], 0 offset:284
	buffer_load_dword v133, off, s[0:3], 0 offset:296
	;; [unrolled: 1-line block ×5, first 2 shown]
	s_waitcnt vmcnt(62) lgkmcnt(1)
	v_mul_f64 v[127:128], v[3:4], v[65:66]
	v_mul_f64 v[129:130], v[1:2], v[65:66]
	s_waitcnt vmcnt(60) lgkmcnt(0)
	v_mul_f64 v[136:137], v[63:64], v[69:70]
	ds_read_b128 v[65:68], v0 offset:496
	v_mul_f64 v[69:70], v[61:62], v[69:70]
	s_waitcnt vmcnt(58)
	v_fma_f64 v[127:128], v[1:2], v[71:72], -v[127:128]
	v_fma_f64 v[71:72], v[3:4], v[71:72], v[129:130]
	s_clause 0x2
	buffer_load_dword v134, off, s[0:3], 0 offset:300
	buffer_load_dword v130, off, s[0:3], 0 offset:276
	buffer_load_dword v129, off, s[0:3], 0 offset:272
	s_waitcnt vmcnt(59) lgkmcnt(0)
	v_mul_f64 v[138:139], v[65:66], v[73:74]
	v_mul_f64 v[73:74], v[67:68], v[73:74]
	s_waitcnt vmcnt(57)
	v_fma_f64 v[140:141], v[61:62], v[75:76], -v[136:137]
	ds_read_b128 v[1:4], v0 offset:512
	v_fma_f64 v[69:70], v[63:64], v[75:76], v[69:70]
	s_clause 0x4
	buffer_load_dword v76, off, s[0:3], 0 offset:316
	buffer_load_dword v137, off, s[0:3], 0 offset:328
	buffer_load_dword v142, off, s[0:3], 0 offset:320
	buffer_load_dword v75, off, s[0:3], 0 offset:312
	buffer_load_dword v136, off, s[0:3], 0 offset:292
	ds_read_b128 v[61:64], v0 offset:528
	v_add_f64 v[127:128], v[127:128], 0
	v_add_f64 v[71:72], v[71:72], 0
	s_waitcnt vmcnt(58) lgkmcnt(1)
	v_mul_f64 v[143:144], v[1:2], v[77:78]
	v_mul_f64 v[77:78], v[3:4], v[77:78]
	s_waitcnt vmcnt(56)
	v_fma_f64 v[73:74], v[65:66], v[83:84], -v[73:74]
	v_fma_f64 v[83:84], v[67:68], v[83:84], v[138:139]
	v_add_f64 v[127:128], v[127:128], v[140:141]
	v_add_f64 v[69:70], v[71:72], v[69:70]
	s_clause 0x2
	buffer_load_dword v138, off, s[0:3], 0 offset:332
	buffer_load_dword v72, off, s[0:3], 0 offset:308
	;; [unrolled: 1-line block ×3, first 2 shown]
	s_waitcnt vmcnt(58) lgkmcnt(0)
	v_mul_f64 v[139:140], v[61:62], v[79:80]
	v_mul_f64 v[79:80], v[63:64], v[79:80]
	s_waitcnt vmcnt(56)
	v_fma_f64 v[77:78], v[1:2], v[85:86], -v[77:78]
	ds_read_b128 v[65:68], v0 offset:544
	v_fma_f64 v[85:86], v[3:4], v[85:86], v[143:144]
	v_add_f64 v[73:74], v[127:128], v[73:74]
	v_add_f64 v[69:70], v[69:70], v[83:84]
	s_clause 0x4
	buffer_load_dword v84, off, s[0:3], 0 offset:348
	buffer_load_dword v127, off, s[0:3], 0 offset:360
	;; [unrolled: 1-line block ×5, first 2 shown]
	ds_read_b128 v[1:4], v0 offset:560
	s_waitcnt vmcnt(57) lgkmcnt(1)
	v_mul_f64 v[145:146], v[65:66], v[87:88]
	v_mul_f64 v[87:88], v[67:68], v[87:88]
	s_waitcnt vmcnt(56)
	v_fma_f64 v[79:80], v[61:62], v[81:82], -v[79:80]
	v_add_f64 v[73:74], v[73:74], v[77:78]
	v_fma_f64 v[77:78], v[63:64], v[81:82], v[139:140]
	v_add_f64 v[69:70], v[69:70], v[85:86]
	s_clause 0x2
	buffer_load_dword v128, off, s[0:3], 0 offset:364
	buffer_load_dword v82, off, s[0:3], 0 offset:340
	;; [unrolled: 1-line block ×3, first 2 shown]
	s_waitcnt vmcnt(58) lgkmcnt(0)
	v_mul_f64 v[85:86], v[1:2], v[89:90]
	v_mul_f64 v[89:90], v[3:4], v[89:90]
	s_waitcnt vmcnt(56)
	v_fma_f64 v[87:88], v[65:66], v[93:94], -v[87:88]
	ds_read_b128 v[61:64], v0 offset:576
	v_add_f64 v[73:74], v[73:74], v[79:80]
	v_fma_f64 v[79:80], v[67:68], v[93:94], v[145:146]
	v_add_f64 v[69:70], v[69:70], v[77:78]
	s_clause 0x4
	buffer_load_dword v78, off, s[0:3], 0 offset:380
	buffer_load_dword v93, off, s[0:3], 0 offset:392
	;; [unrolled: 1-line block ×5, first 2 shown]
	ds_read_b128 v[65:68], v0 offset:592
	s_waitcnt vmcnt(57) lgkmcnt(1)
	v_mul_f64 v[140:141], v[61:62], v[95:96]
	v_mul_f64 v[95:96], v[63:64], v[95:96]
	s_waitcnt vmcnt(56)
	v_fma_f64 v[89:90], v[1:2], v[91:92], -v[89:90]
	v_fma_f64 v[85:86], v[3:4], v[91:92], v[85:86]
	v_add_f64 v[73:74], v[73:74], v[87:88]
	v_add_f64 v[69:70], v[69:70], v[79:80]
	s_clause 0x2
	buffer_load_dword v94, off, s[0:3], 0 offset:396
	buffer_load_dword v80, off, s[0:3], 0 offset:372
	;; [unrolled: 1-line block ×3, first 2 shown]
	s_waitcnt vmcnt(58) lgkmcnt(0)
	v_mul_f64 v[91:92], v[67:68], v[97:98]
	ds_read_b128 v[1:4], v0 offset:608
	s_waitcnt vmcnt(56)
	v_fma_f64 v[95:96], v[61:62], v[101:102], -v[95:96]
	v_mul_f64 v[87:88], v[65:66], v[97:98]
	v_add_f64 v[73:74], v[73:74], v[89:90]
	v_fma_f64 v[89:90], v[63:64], v[101:102], v[140:141]
	v_add_f64 v[69:70], v[69:70], v[85:86]
	s_clause 0x4
	buffer_load_dword v86, off, s[0:3], 0 offset:412
	buffer_load_dword v97, off, s[0:3], 0 offset:424
	;; [unrolled: 1-line block ×5, first 2 shown]
	s_waitcnt vmcnt(57) lgkmcnt(0)
	v_mul_f64 v[146:147], v[1:2], v[103:104]
	v_mul_f64 v[102:103], v[3:4], v[103:104]
	s_waitcnt vmcnt(56)
	v_fma_f64 v[91:92], v[65:66], v[99:100], -v[91:92]
	ds_read_b128 v[61:64], v0 offset:624
	v_fma_f64 v[87:88], v[67:68], v[99:100], v[87:88]
	v_add_f64 v[73:74], v[73:74], v[95:96]
	v_add_f64 v[69:70], v[69:70], v[89:90]
	s_clause 0x2
	buffer_load_dword v98, off, s[0:3], 0 offset:428
	buffer_load_dword v90, off, s[0:3], 0 offset:404
	;; [unrolled: 1-line block ×3, first 2 shown]
	ds_read_b128 v[65:68], v0 offset:640
	s_waitcnt vmcnt(58) lgkmcnt(1)
	v_mul_f64 v[99:100], v[63:64], v[105:106]
	s_waitcnt vmcnt(56)
	v_fma_f64 v[103:104], v[1:2], v[109:110], -v[102:103]
	v_mul_f64 v[95:96], v[61:62], v[105:106]
	v_add_f64 v[73:74], v[73:74], v[91:92]
	v_fma_f64 v[91:92], v[3:4], v[109:110], v[146:147]
	v_add_f64 v[69:70], v[69:70], v[87:88]
	s_clause 0x4
	buffer_load_dword v88, off, s[0:3], 0 offset:444
	buffer_load_dword v105, off, s[0:3], 0 offset:456
	;; [unrolled: 1-line block ×5, first 2 shown]
	s_waitcnt vmcnt(57) lgkmcnt(0)
	v_mul_f64 v[146:147], v[65:66], v[111:112]
	v_mul_f64 v[110:111], v[67:68], v[111:112]
	s_waitcnt vmcnt(56)
	v_fma_f64 v[99:100], v[61:62], v[107:108], -v[99:100]
	ds_read_b128 v[1:4], v0 offset:656
	v_fma_f64 v[95:96], v[63:64], v[107:108], v[95:96]
	v_add_f64 v[73:74], v[73:74], v[103:104]
	v_add_f64 v[69:70], v[69:70], v[91:92]
	s_clause 0x2
	buffer_load_dword v106, off, s[0:3], 0 offset:460
	buffer_load_dword v92, off, s[0:3], 0 offset:436
	;; [unrolled: 1-line block ×3, first 2 shown]
	ds_read_b128 v[61:64], v0 offset:672
	s_waitcnt vmcnt(58) lgkmcnt(1)
	v_mul_f64 v[107:108], v[3:4], v[113:114]
	s_waitcnt vmcnt(56)
	v_fma_f64 v[111:112], v[65:66], v[117:118], -v[110:111]
	v_mul_f64 v[103:104], v[1:2], v[113:114]
	buffer_load_dword v110, off, s[0:3], 0 offset:452
	v_add_f64 v[73:74], v[73:74], v[99:100]
	v_fma_f64 v[99:100], v[67:68], v[117:118], v[146:147]
	v_add_f64 v[69:70], v[69:70], v[95:96]
	ds_read_b128 v[65:68], v0 offset:688
	s_waitcnt vmcnt(53) lgkmcnt(1)
	v_mul_f64 v[113:114], v[63:64], v[119:120]
	s_waitcnt vmcnt(52)
	v_fma_f64 v[107:108], v[1:2], v[115:116], -v[107:108]
	v_mul_f64 v[95:96], v[61:62], v[119:120]
	v_fma_f64 v[103:104], v[3:4], v[115:116], v[103:104]
	ds_read_b128 v[1:4], v0 offset:704
	v_add_f64 v[73:74], v[73:74], v[111:112]
	s_waitcnt vmcnt(51) lgkmcnt(1)
	v_mul_f64 v[111:112], v[67:68], v[121:122]
	v_add_f64 v[69:70], v[69:70], v[99:100]
	v_mul_f64 v[99:100], v[65:66], v[121:122]
	s_waitcnt vmcnt(49)
	v_fma_f64 v[113:114], v[61:62], v[125:126], -v[113:114]
	v_fma_f64 v[95:96], v[63:64], v[125:126], v[95:96]
	s_waitcnt vmcnt(45) lgkmcnt(0)
	v_mul_f64 v[117:118], v[3:4], v[131:132]
	v_mul_f64 v[115:116], v[1:2], v[131:132]
	v_add_f64 v[73:74], v[73:74], v[107:108]
	s_waitcnt vmcnt(44)
	v_fma_f64 v[111:112], v[65:66], v[123:124], -v[111:112]
	v_add_f64 v[69:70], v[69:70], v[103:104]
	s_clause 0x3
	buffer_load_dword v103, off, s[0:3], 0 offset:16
	buffer_load_dword v104, off, s[0:3], 0 offset:20
	;; [unrolled: 1-line block ×4, first 2 shown]
	ds_read_b128 v[61:64], v0 offset:720
	v_fma_f64 v[99:100], v[67:68], v[123:124], v[99:100]
	ds_read_b128 v[65:68], v0 offset:736
	v_add_f64 v[73:74], v[73:74], v[113:114]
	v_add_f64 v[69:70], v[69:70], v[95:96]
	s_waitcnt vmcnt(47) lgkmcnt(1)
	v_mul_f64 v[113:114], v[63:64], v[133:134]
	v_mul_f64 v[95:96], v[61:62], v[133:134]
	s_waitcnt vmcnt(45)
	v_fma_f64 v[117:118], v[1:2], v[129:130], -v[117:118]
	v_add_f64 v[73:74], v[73:74], v[111:112]
	v_fma_f64 v[111:112], v[3:4], v[129:130], v[115:116]
	v_add_f64 v[69:70], v[69:70], v[99:100]
	s_waitcnt vmcnt(41) lgkmcnt(0)
	v_mul_f64 v[99:100], v[65:66], v[75:76]
	v_mul_f64 v[75:76], v[67:68], v[75:76]
	ds_read_b128 v[1:4], v0 offset:752
	s_waitcnt vmcnt(40)
	v_fma_f64 v[113:114], v[61:62], v[135:136], -v[113:114]
	v_fma_f64 v[95:96], v[63:64], v[135:136], v[95:96]
	ds_read_b128 v[61:64], v0 offset:768
	v_add_f64 v[73:74], v[73:74], v[117:118]
	v_add_f64 v[69:70], v[69:70], v[111:112]
	s_waitcnt vmcnt(39) lgkmcnt(1)
	v_mul_f64 v[115:116], v[3:4], v[137:138]
	v_mul_f64 v[111:112], v[1:2], v[137:138]
	s_waitcnt vmcnt(37)
	v_fma_f64 v[75:76], v[65:66], v[71:72], -v[75:76]
	v_fma_f64 v[71:72], v[67:68], v[71:72], v[99:100]
	ds_read_b128 v[65:68], v0 offset:784
	v_add_f64 v[73:74], v[73:74], v[113:114]
	v_add_f64 v[69:70], v[69:70], v[95:96]
	s_waitcnt vmcnt(33) lgkmcnt(1)
	v_mul_f64 v[95:96], v[61:62], v[83:84]
	v_mul_f64 v[83:84], v[63:64], v[83:84]
	s_waitcnt vmcnt(32)
	v_fma_f64 v[99:100], v[1:2], v[142:143], -v[115:116]
	v_add_f64 v[73:74], v[73:74], v[75:76]
	v_fma_f64 v[75:76], v[3:4], v[142:143], v[111:112]
	v_add_f64 v[69:70], v[69:70], v[71:72]
	ds_read_b128 v[1:4], v0 offset:800
	s_waitcnt vmcnt(31) lgkmcnt(1)
	v_mul_f64 v[111:112], v[67:68], v[127:128]
	v_mul_f64 v[71:72], v[65:66], v[127:128]
	s_waitcnt vmcnt(29)
	v_fma_f64 v[83:84], v[61:62], v[81:82], -v[83:84]
	v_fma_f64 v[81:82], v[63:64], v[81:82], v[95:96]
	ds_read_b128 v[61:64], v0 offset:816
	v_add_f64 v[73:74], v[73:74], v[99:100]
	v_add_f64 v[69:70], v[69:70], v[75:76]
	s_waitcnt vmcnt(25) lgkmcnt(1)
	v_mul_f64 v[75:76], v[1:2], v[77:78]
	v_mul_f64 v[77:78], v[3:4], v[77:78]
	s_waitcnt vmcnt(24)
	v_fma_f64 v[95:96], v[65:66], v[144:145], -v[111:112]
	v_fma_f64 v[71:72], v[67:68], v[144:145], v[71:72]
	ds_read_b128 v[65:68], v0 offset:832
	v_add_f64 v[73:74], v[73:74], v[83:84]
	v_add_f64 v[69:70], v[69:70], v[81:82]
	;; [unrolled: 9-line block ×3, first 2 shown]
	s_waitcnt vmcnt(17) lgkmcnt(1)
	v_mul_f64 v[79:80], v[67:68], v[85:86]
	s_waitcnt vmcnt(16)
	v_fma_f64 v[83:84], v[61:62], v[139:140], -v[83:84]
	v_mul_f64 v[71:72], v[65:66], v[85:86]
	v_add_f64 v[73:74], v[73:74], v[77:78]
	v_fma_f64 v[77:78], v[63:64], v[139:140], v[81:82]
	v_add_f64 v[69:70], v[69:70], v[75:76]
	ds_read_b128 v[61:64], v0 offset:864
	s_waitcnt vmcnt(15) lgkmcnt(1)
	v_mul_f64 v[81:82], v[3:4], v[97:98]
	v_mul_f64 v[75:76], v[1:2], v[97:98]
	s_waitcnt vmcnt(13)
	v_fma_f64 v[79:80], v[65:66], v[89:90], -v[79:80]
	v_fma_f64 v[71:72], v[67:68], v[89:90], v[71:72]
	ds_read_b128 v[65:68], v0 offset:880
	v_add_f64 v[73:74], v[73:74], v[83:84]
	v_add_f64 v[69:70], v[69:70], v[77:78]
	s_waitcnt vmcnt(9) lgkmcnt(1)
	v_mul_f64 v[83:84], v[63:64], v[87:88]
	s_waitcnt vmcnt(8)
	v_fma_f64 v[1:2], v[1:2], v[101:102], -v[81:82]
	v_mul_f64 v[77:78], v[61:62], v[87:88]
	v_fma_f64 v[3:4], v[3:4], v[101:102], v[75:76]
	v_add_f64 v[73:74], v[73:74], v[79:80]
	v_add_f64 v[69:70], v[69:70], v[71:72]
	s_waitcnt vmcnt(7) lgkmcnt(0)
	v_mul_f64 v[75:76], v[67:68], v[105:106]
	v_mul_f64 v[71:72], v[65:66], v[105:106]
	s_waitcnt vmcnt(5)
	v_fma_f64 v[61:62], v[61:62], v[91:92], -v[83:84]
	v_fma_f64 v[63:64], v[63:64], v[91:92], v[77:78]
	v_add_f64 v[1:2], v[73:74], v[1:2]
	v_add_f64 v[3:4], v[69:70], v[3:4]
	s_waitcnt vmcnt(4)
	v_fma_f64 v[65:66], v[65:66], v[109:110], -v[75:76]
	v_add_f64 v[1:2], v[1:2], v[61:62]
	v_fma_f64 v[61:62], v[67:68], v[109:110], v[71:72]
	v_add_f64 v[3:4], v[3:4], v[63:64]
	v_add_f64 v[1:2], v[1:2], v[65:66]
	;; [unrolled: 1-line block ×3, first 2 shown]
	s_waitcnt vmcnt(2)
	v_add_f64 v[1:2], v[103:104], -v[1:2]
	s_waitcnt vmcnt(0)
	v_add_f64 v[3:4], v[107:108], -v[3:4]
	buffer_store_dword v2, off, s[0:3], 0 offset:20
	buffer_store_dword v1, off, s[0:3], 0 offset:16
	;; [unrolled: 1-line block ×4, first 2 shown]
	s_cbranch_vccz .LBB27_236
; %bb.182:
	global_load_dword v0, v0, s[20:21] offset:104
	s_waitcnt vmcnt(0)
	v_add_nc_u32_e32 v0, -1, v0
	v_cmp_ne_u32_e32 vcc_lo, 26, v0
	s_cbranch_vccz .LBB27_184
; %bb.183:
	v_lshlrev_b32_e32 v0, 4, v0
	v_mov_b32_e32 v1, s9
	v_add_nc_u32_e32 v0, 16, v0
	s_clause 0x7
	buffer_load_dword v2, v0, s[0:3], 0 offen
	buffer_load_dword v3, v0, s[0:3], 0 offen offset:4
	buffer_load_dword v4, v0, s[0:3], 0 offen offset:8
	buffer_load_dword v61, v0, s[0:3], 0 offen offset:12
	buffer_load_dword v62, v1, s[0:3], 0 offen offset:12
	buffer_load_dword v63, v1, s[0:3], 0 offen offset:8
	buffer_load_dword v64, v1, s[0:3], 0 offen offset:4
	buffer_load_dword v65, v1, s[0:3], 0 offen
	s_waitcnt vmcnt(7)
	buffer_store_dword v2, v1, s[0:3], 0 offen
	s_waitcnt vmcnt(6)
	buffer_store_dword v3, v1, s[0:3], 0 offen offset:4
	s_waitcnt vmcnt(5)
	buffer_store_dword v4, v1, s[0:3], 0 offen offset:8
	s_waitcnt vmcnt(4)
	buffer_store_dword v61, v1, s[0:3], 0 offen offset:12
	s_waitcnt vmcnt(3)
	buffer_store_dword v62, v0, s[0:3], 0 offen offset:12
	s_waitcnt vmcnt(2)
	buffer_store_dword v63, v0, s[0:3], 0 offen offset:8
	s_waitcnt vmcnt(1)
	buffer_store_dword v64, v0, s[0:3], 0 offen offset:4
	s_waitcnt vmcnt(0)
	buffer_store_dword v65, v0, s[0:3], 0 offen
.LBB27_184:
	v_mov_b32_e32 v0, 0
	global_load_dword v1, v0, s[20:21] offset:100
	s_waitcnt vmcnt(0)
	v_add_nc_u32_e32 v1, -1, v1
	v_cmp_eq_u32_e32 vcc_lo, 25, v1
	s_cbranch_vccnz .LBB27_186
; %bb.185:
	v_lshlrev_b32_e32 v1, 4, v1
	v_mov_b32_e32 v2, s12
	v_add_nc_u32_e32 v1, 16, v1
	s_clause 0x7
	buffer_load_dword v3, v1, s[0:3], 0 offen
	buffer_load_dword v4, v1, s[0:3], 0 offen offset:4
	buffer_load_dword v61, v1, s[0:3], 0 offen offset:8
	;; [unrolled: 1-line block ×6, first 2 shown]
	buffer_load_dword v66, v2, s[0:3], 0 offen
	s_waitcnt vmcnt(7)
	buffer_store_dword v3, v2, s[0:3], 0 offen
	s_waitcnt vmcnt(6)
	buffer_store_dword v4, v2, s[0:3], 0 offen offset:4
	s_waitcnt vmcnt(5)
	buffer_store_dword v61, v2, s[0:3], 0 offen offset:8
	;; [unrolled: 2-line block ×6, first 2 shown]
	s_waitcnt vmcnt(0)
	buffer_store_dword v66, v1, s[0:3], 0 offen
.LBB27_186:
	global_load_dword v0, v0, s[20:21] offset:96
	s_waitcnt vmcnt(0)
	v_add_nc_u32_e32 v0, -1, v0
	v_cmp_eq_u32_e32 vcc_lo, 24, v0
	s_cbranch_vccnz .LBB27_188
; %bb.187:
	v_lshlrev_b32_e32 v0, 4, v0
	v_mov_b32_e32 v1, s13
	v_add_nc_u32_e32 v0, 16, v0
	s_clause 0x7
	buffer_load_dword v2, v0, s[0:3], 0 offen
	buffer_load_dword v3, v0, s[0:3], 0 offen offset:4
	buffer_load_dword v4, v0, s[0:3], 0 offen offset:8
	;; [unrolled: 1-line block ×6, first 2 shown]
	buffer_load_dword v65, v1, s[0:3], 0 offen
	s_waitcnt vmcnt(7)
	buffer_store_dword v2, v1, s[0:3], 0 offen
	s_waitcnt vmcnt(6)
	buffer_store_dword v3, v1, s[0:3], 0 offen offset:4
	s_waitcnt vmcnt(5)
	buffer_store_dword v4, v1, s[0:3], 0 offen offset:8
	;; [unrolled: 2-line block ×6, first 2 shown]
	s_waitcnt vmcnt(0)
	buffer_store_dword v65, v0, s[0:3], 0 offen
.LBB27_188:
	v_mov_b32_e32 v0, 0
	global_load_dword v1, v0, s[20:21] offset:92
	s_waitcnt vmcnt(0)
	v_add_nc_u32_e32 v1, -1, v1
	v_cmp_eq_u32_e32 vcc_lo, 23, v1
	s_cbranch_vccnz .LBB27_190
; %bb.189:
	v_lshlrev_b32_e32 v1, 4, v1
	v_mov_b32_e32 v2, s14
	v_add_nc_u32_e32 v1, 16, v1
	s_clause 0x7
	buffer_load_dword v3, v1, s[0:3], 0 offen
	buffer_load_dword v4, v1, s[0:3], 0 offen offset:4
	buffer_load_dword v61, v1, s[0:3], 0 offen offset:8
	;; [unrolled: 1-line block ×6, first 2 shown]
	buffer_load_dword v66, v2, s[0:3], 0 offen
	s_waitcnt vmcnt(7)
	buffer_store_dword v3, v2, s[0:3], 0 offen
	s_waitcnt vmcnt(6)
	buffer_store_dword v4, v2, s[0:3], 0 offen offset:4
	s_waitcnt vmcnt(5)
	buffer_store_dword v61, v2, s[0:3], 0 offen offset:8
	;; [unrolled: 2-line block ×6, first 2 shown]
	s_waitcnt vmcnt(0)
	buffer_store_dword v66, v1, s[0:3], 0 offen
.LBB27_190:
	global_load_dword v0, v0, s[20:21] offset:88
	s_waitcnt vmcnt(0)
	v_add_nc_u32_e32 v0, -1, v0
	v_cmp_eq_u32_e32 vcc_lo, 22, v0
	s_cbranch_vccnz .LBB27_192
; %bb.191:
	v_lshlrev_b32_e32 v0, 4, v0
	v_mov_b32_e32 v1, s15
	v_add_nc_u32_e32 v0, 16, v0
	s_clause 0x7
	buffer_load_dword v2, v0, s[0:3], 0 offen
	buffer_load_dword v3, v0, s[0:3], 0 offen offset:4
	buffer_load_dword v4, v0, s[0:3], 0 offen offset:8
	;; [unrolled: 1-line block ×6, first 2 shown]
	buffer_load_dword v65, v1, s[0:3], 0 offen
	s_waitcnt vmcnt(7)
	buffer_store_dword v2, v1, s[0:3], 0 offen
	s_waitcnt vmcnt(6)
	buffer_store_dword v3, v1, s[0:3], 0 offen offset:4
	s_waitcnt vmcnt(5)
	buffer_store_dword v4, v1, s[0:3], 0 offen offset:8
	;; [unrolled: 2-line block ×6, first 2 shown]
	s_waitcnt vmcnt(0)
	buffer_store_dword v65, v0, s[0:3], 0 offen
.LBB27_192:
	v_mov_b32_e32 v0, 0
	global_load_dword v1, v0, s[20:21] offset:84
	s_waitcnt vmcnt(0)
	v_add_nc_u32_e32 v1, -1, v1
	v_cmp_eq_u32_e32 vcc_lo, 21, v1
	s_cbranch_vccnz .LBB27_194
; %bb.193:
	v_lshlrev_b32_e32 v1, 4, v1
	v_mov_b32_e32 v2, s16
	v_add_nc_u32_e32 v1, 16, v1
	s_clause 0x7
	buffer_load_dword v3, v1, s[0:3], 0 offen
	buffer_load_dword v4, v1, s[0:3], 0 offen offset:4
	buffer_load_dword v61, v1, s[0:3], 0 offen offset:8
	;; [unrolled: 1-line block ×6, first 2 shown]
	buffer_load_dword v66, v2, s[0:3], 0 offen
	s_waitcnt vmcnt(7)
	buffer_store_dword v3, v2, s[0:3], 0 offen
	s_waitcnt vmcnt(6)
	buffer_store_dword v4, v2, s[0:3], 0 offen offset:4
	s_waitcnt vmcnt(5)
	buffer_store_dword v61, v2, s[0:3], 0 offen offset:8
	;; [unrolled: 2-line block ×6, first 2 shown]
	s_waitcnt vmcnt(0)
	buffer_store_dword v66, v1, s[0:3], 0 offen
.LBB27_194:
	global_load_dword v0, v0, s[20:21] offset:80
	s_waitcnt vmcnt(0)
	v_add_nc_u32_e32 v0, -1, v0
	v_cmp_eq_u32_e32 vcc_lo, 20, v0
	s_cbranch_vccnz .LBB27_196
; %bb.195:
	v_lshlrev_b32_e32 v0, 4, v0
	v_mov_b32_e32 v1, s17
	v_add_nc_u32_e32 v0, 16, v0
	s_clause 0x7
	buffer_load_dword v2, v0, s[0:3], 0 offen
	buffer_load_dword v3, v0, s[0:3], 0 offen offset:4
	buffer_load_dword v4, v0, s[0:3], 0 offen offset:8
	;; [unrolled: 1-line block ×6, first 2 shown]
	buffer_load_dword v65, v1, s[0:3], 0 offen
	s_waitcnt vmcnt(7)
	buffer_store_dword v2, v1, s[0:3], 0 offen
	s_waitcnt vmcnt(6)
	buffer_store_dword v3, v1, s[0:3], 0 offen offset:4
	s_waitcnt vmcnt(5)
	buffer_store_dword v4, v1, s[0:3], 0 offen offset:8
	;; [unrolled: 2-line block ×6, first 2 shown]
	s_waitcnt vmcnt(0)
	buffer_store_dword v65, v0, s[0:3], 0 offen
.LBB27_196:
	v_mov_b32_e32 v0, 0
	global_load_dword v1, v0, s[20:21] offset:76
	s_waitcnt vmcnt(0)
	v_add_nc_u32_e32 v1, -1, v1
	v_cmp_eq_u32_e32 vcc_lo, 19, v1
	s_cbranch_vccnz .LBB27_198
; %bb.197:
	v_lshlrev_b32_e32 v1, 4, v1
	v_mov_b32_e32 v2, s18
	v_add_nc_u32_e32 v1, 16, v1
	s_clause 0x7
	buffer_load_dword v3, v1, s[0:3], 0 offen
	buffer_load_dword v4, v1, s[0:3], 0 offen offset:4
	buffer_load_dword v61, v1, s[0:3], 0 offen offset:8
	buffer_load_dword v62, v1, s[0:3], 0 offen offset:12
	buffer_load_dword v63, v2, s[0:3], 0 offen offset:12
	buffer_load_dword v64, v2, s[0:3], 0 offen offset:8
	buffer_load_dword v65, v2, s[0:3], 0 offen offset:4
	buffer_load_dword v66, v2, s[0:3], 0 offen
	s_waitcnt vmcnt(7)
	buffer_store_dword v3, v2, s[0:3], 0 offen
	s_waitcnt vmcnt(6)
	buffer_store_dword v4, v2, s[0:3], 0 offen offset:4
	s_waitcnt vmcnt(5)
	buffer_store_dword v61, v2, s[0:3], 0 offen offset:8
	;; [unrolled: 2-line block ×6, first 2 shown]
	s_waitcnt vmcnt(0)
	buffer_store_dword v66, v1, s[0:3], 0 offen
.LBB27_198:
	global_load_dword v0, v0, s[20:21] offset:72
	s_waitcnt vmcnt(0)
	v_add_nc_u32_e32 v0, -1, v0
	v_cmp_eq_u32_e32 vcc_lo, 18, v0
	s_cbranch_vccnz .LBB27_200
; %bb.199:
	v_lshlrev_b32_e32 v0, 4, v0
	v_mov_b32_e32 v1, s19
	v_add_nc_u32_e32 v0, 16, v0
	s_clause 0x7
	buffer_load_dword v2, v0, s[0:3], 0 offen
	buffer_load_dword v3, v0, s[0:3], 0 offen offset:4
	buffer_load_dword v4, v0, s[0:3], 0 offen offset:8
	;; [unrolled: 1-line block ×6, first 2 shown]
	buffer_load_dword v65, v1, s[0:3], 0 offen
	s_waitcnt vmcnt(7)
	buffer_store_dword v2, v1, s[0:3], 0 offen
	s_waitcnt vmcnt(6)
	buffer_store_dword v3, v1, s[0:3], 0 offen offset:4
	s_waitcnt vmcnt(5)
	buffer_store_dword v4, v1, s[0:3], 0 offen offset:8
	;; [unrolled: 2-line block ×6, first 2 shown]
	s_waitcnt vmcnt(0)
	buffer_store_dword v65, v0, s[0:3], 0 offen
.LBB27_200:
	v_mov_b32_e32 v0, 0
	global_load_dword v1, v0, s[20:21] offset:68
	s_waitcnt vmcnt(0)
	v_add_nc_u32_e32 v1, -1, v1
	v_cmp_eq_u32_e32 vcc_lo, 17, v1
	s_cbranch_vccnz .LBB27_202
; %bb.201:
	v_lshlrev_b32_e32 v1, 4, v1
	v_mov_b32_e32 v2, s22
	v_add_nc_u32_e32 v1, 16, v1
	s_clause 0x7
	buffer_load_dword v3, v1, s[0:3], 0 offen
	buffer_load_dword v4, v1, s[0:3], 0 offen offset:4
	buffer_load_dword v61, v1, s[0:3], 0 offen offset:8
	;; [unrolled: 1-line block ×6, first 2 shown]
	buffer_load_dword v66, v2, s[0:3], 0 offen
	s_waitcnt vmcnt(7)
	buffer_store_dword v3, v2, s[0:3], 0 offen
	s_waitcnt vmcnt(6)
	buffer_store_dword v4, v2, s[0:3], 0 offen offset:4
	s_waitcnt vmcnt(5)
	buffer_store_dword v61, v2, s[0:3], 0 offen offset:8
	;; [unrolled: 2-line block ×6, first 2 shown]
	s_waitcnt vmcnt(0)
	buffer_store_dword v66, v1, s[0:3], 0 offen
.LBB27_202:
	global_load_dword v0, v0, s[20:21] offset:64
	s_waitcnt vmcnt(0)
	v_add_nc_u32_e32 v0, -1, v0
	v_cmp_eq_u32_e32 vcc_lo, 16, v0
	s_cbranch_vccnz .LBB27_204
; %bb.203:
	v_lshlrev_b32_e32 v0, 4, v0
	v_mov_b32_e32 v1, s23
	v_add_nc_u32_e32 v0, 16, v0
	s_clause 0x7
	buffer_load_dword v2, v0, s[0:3], 0 offen
	buffer_load_dword v3, v0, s[0:3], 0 offen offset:4
	buffer_load_dword v4, v0, s[0:3], 0 offen offset:8
	;; [unrolled: 1-line block ×6, first 2 shown]
	buffer_load_dword v65, v1, s[0:3], 0 offen
	s_waitcnt vmcnt(7)
	buffer_store_dword v2, v1, s[0:3], 0 offen
	s_waitcnt vmcnt(6)
	buffer_store_dword v3, v1, s[0:3], 0 offen offset:4
	s_waitcnt vmcnt(5)
	buffer_store_dword v4, v1, s[0:3], 0 offen offset:8
	;; [unrolled: 2-line block ×6, first 2 shown]
	s_waitcnt vmcnt(0)
	buffer_store_dword v65, v0, s[0:3], 0 offen
.LBB27_204:
	v_mov_b32_e32 v0, 0
	global_load_dword v1, v0, s[20:21] offset:60
	s_waitcnt vmcnt(0)
	v_add_nc_u32_e32 v1, -1, v1
	v_cmp_eq_u32_e32 vcc_lo, 15, v1
	s_cbranch_vccnz .LBB27_206
; %bb.205:
	v_lshlrev_b32_e32 v1, 4, v1
	v_mov_b32_e32 v2, s24
	v_add_nc_u32_e32 v1, 16, v1
	s_clause 0x7
	buffer_load_dword v3, v1, s[0:3], 0 offen
	buffer_load_dword v4, v1, s[0:3], 0 offen offset:4
	buffer_load_dword v61, v1, s[0:3], 0 offen offset:8
	;; [unrolled: 1-line block ×6, first 2 shown]
	buffer_load_dword v66, v2, s[0:3], 0 offen
	s_waitcnt vmcnt(7)
	buffer_store_dword v3, v2, s[0:3], 0 offen
	s_waitcnt vmcnt(6)
	buffer_store_dword v4, v2, s[0:3], 0 offen offset:4
	s_waitcnt vmcnt(5)
	buffer_store_dword v61, v2, s[0:3], 0 offen offset:8
	s_waitcnt vmcnt(4)
	buffer_store_dword v62, v2, s[0:3], 0 offen offset:12
	s_waitcnt vmcnt(3)
	buffer_store_dword v63, v1, s[0:3], 0 offen offset:12
	s_waitcnt vmcnt(2)
	buffer_store_dword v64, v1, s[0:3], 0 offen offset:8
	s_waitcnt vmcnt(1)
	buffer_store_dword v65, v1, s[0:3], 0 offen offset:4
	s_waitcnt vmcnt(0)
	buffer_store_dword v66, v1, s[0:3], 0 offen
.LBB27_206:
	global_load_dword v0, v0, s[20:21] offset:56
	s_waitcnt vmcnt(0)
	v_add_nc_u32_e32 v0, -1, v0
	v_cmp_eq_u32_e32 vcc_lo, 14, v0
	s_cbranch_vccnz .LBB27_208
; %bb.207:
	v_lshlrev_b32_e32 v0, 4, v0
	v_mov_b32_e32 v1, s25
	v_add_nc_u32_e32 v0, 16, v0
	s_clause 0x7
	buffer_load_dword v2, v0, s[0:3], 0 offen
	buffer_load_dword v3, v0, s[0:3], 0 offen offset:4
	buffer_load_dword v4, v0, s[0:3], 0 offen offset:8
	buffer_load_dword v61, v0, s[0:3], 0 offen offset:12
	buffer_load_dword v62, v1, s[0:3], 0 offen offset:12
	buffer_load_dword v63, v1, s[0:3], 0 offen offset:8
	buffer_load_dword v64, v1, s[0:3], 0 offen offset:4
	buffer_load_dword v65, v1, s[0:3], 0 offen
	s_waitcnt vmcnt(7)
	buffer_store_dword v2, v1, s[0:3], 0 offen
	s_waitcnt vmcnt(6)
	buffer_store_dword v3, v1, s[0:3], 0 offen offset:4
	s_waitcnt vmcnt(5)
	buffer_store_dword v4, v1, s[0:3], 0 offen offset:8
	;; [unrolled: 2-line block ×6, first 2 shown]
	s_waitcnt vmcnt(0)
	buffer_store_dword v65, v0, s[0:3], 0 offen
.LBB27_208:
	v_mov_b32_e32 v0, 0
	global_load_dword v1, v0, s[20:21] offset:52
	s_waitcnt vmcnt(0)
	v_add_nc_u32_e32 v1, -1, v1
	v_cmp_eq_u32_e32 vcc_lo, 13, v1
	s_cbranch_vccnz .LBB27_210
; %bb.209:
	v_lshlrev_b32_e32 v1, 4, v1
	v_mov_b32_e32 v2, s26
	v_add_nc_u32_e32 v1, 16, v1
	s_clause 0x7
	buffer_load_dword v3, v1, s[0:3], 0 offen
	buffer_load_dword v4, v1, s[0:3], 0 offen offset:4
	buffer_load_dword v61, v1, s[0:3], 0 offen offset:8
	;; [unrolled: 1-line block ×6, first 2 shown]
	buffer_load_dword v66, v2, s[0:3], 0 offen
	s_waitcnt vmcnt(7)
	buffer_store_dword v3, v2, s[0:3], 0 offen
	s_waitcnt vmcnt(6)
	buffer_store_dword v4, v2, s[0:3], 0 offen offset:4
	s_waitcnt vmcnt(5)
	buffer_store_dword v61, v2, s[0:3], 0 offen offset:8
	;; [unrolled: 2-line block ×6, first 2 shown]
	s_waitcnt vmcnt(0)
	buffer_store_dword v66, v1, s[0:3], 0 offen
.LBB27_210:
	global_load_dword v0, v0, s[20:21] offset:48
	s_waitcnt vmcnt(0)
	v_add_nc_u32_e32 v0, -1, v0
	v_cmp_eq_u32_e32 vcc_lo, 12, v0
	s_cbranch_vccnz .LBB27_212
; %bb.211:
	v_lshlrev_b32_e32 v0, 4, v0
	v_mov_b32_e32 v1, s27
	v_add_nc_u32_e32 v0, 16, v0
	s_clause 0x7
	buffer_load_dword v2, v0, s[0:3], 0 offen
	buffer_load_dword v3, v0, s[0:3], 0 offen offset:4
	buffer_load_dword v4, v0, s[0:3], 0 offen offset:8
	;; [unrolled: 1-line block ×6, first 2 shown]
	buffer_load_dword v65, v1, s[0:3], 0 offen
	s_waitcnt vmcnt(7)
	buffer_store_dword v2, v1, s[0:3], 0 offen
	s_waitcnt vmcnt(6)
	buffer_store_dword v3, v1, s[0:3], 0 offen offset:4
	s_waitcnt vmcnt(5)
	buffer_store_dword v4, v1, s[0:3], 0 offen offset:8
	;; [unrolled: 2-line block ×6, first 2 shown]
	s_waitcnt vmcnt(0)
	buffer_store_dword v65, v0, s[0:3], 0 offen
.LBB27_212:
	v_mov_b32_e32 v0, 0
	global_load_dword v1, v0, s[20:21] offset:44
	s_waitcnt vmcnt(0)
	v_add_nc_u32_e32 v1, -1, v1
	v_cmp_eq_u32_e32 vcc_lo, 11, v1
	s_cbranch_vccnz .LBB27_214
; %bb.213:
	v_lshlrev_b32_e32 v1, 4, v1
	v_mov_b32_e32 v2, s28
	v_add_nc_u32_e32 v1, 16, v1
	s_clause 0x7
	buffer_load_dword v3, v1, s[0:3], 0 offen
	buffer_load_dword v4, v1, s[0:3], 0 offen offset:4
	buffer_load_dword v61, v1, s[0:3], 0 offen offset:8
	;; [unrolled: 1-line block ×6, first 2 shown]
	buffer_load_dword v66, v2, s[0:3], 0 offen
	s_waitcnt vmcnt(7)
	buffer_store_dword v3, v2, s[0:3], 0 offen
	s_waitcnt vmcnt(6)
	buffer_store_dword v4, v2, s[0:3], 0 offen offset:4
	s_waitcnt vmcnt(5)
	buffer_store_dword v61, v2, s[0:3], 0 offen offset:8
	;; [unrolled: 2-line block ×6, first 2 shown]
	s_waitcnt vmcnt(0)
	buffer_store_dword v66, v1, s[0:3], 0 offen
.LBB27_214:
	global_load_dword v0, v0, s[20:21] offset:40
	s_waitcnt vmcnt(0)
	v_add_nc_u32_e32 v0, -1, v0
	v_cmp_eq_u32_e32 vcc_lo, 10, v0
	s_cbranch_vccnz .LBB27_216
; %bb.215:
	v_lshlrev_b32_e32 v0, 4, v0
	v_mov_b32_e32 v1, s29
	v_add_nc_u32_e32 v0, 16, v0
	s_clause 0x7
	buffer_load_dword v2, v0, s[0:3], 0 offen
	buffer_load_dword v3, v0, s[0:3], 0 offen offset:4
	buffer_load_dword v4, v0, s[0:3], 0 offen offset:8
	;; [unrolled: 1-line block ×6, first 2 shown]
	buffer_load_dword v65, v1, s[0:3], 0 offen
	s_waitcnt vmcnt(7)
	buffer_store_dword v2, v1, s[0:3], 0 offen
	s_waitcnt vmcnt(6)
	buffer_store_dword v3, v1, s[0:3], 0 offen offset:4
	s_waitcnt vmcnt(5)
	buffer_store_dword v4, v1, s[0:3], 0 offen offset:8
	;; [unrolled: 2-line block ×6, first 2 shown]
	s_waitcnt vmcnt(0)
	buffer_store_dword v65, v0, s[0:3], 0 offen
.LBB27_216:
	v_mov_b32_e32 v0, 0
	global_load_dword v1, v0, s[20:21] offset:36
	s_waitcnt vmcnt(0)
	v_add_nc_u32_e32 v1, -1, v1
	v_cmp_eq_u32_e32 vcc_lo, 9, v1
	s_cbranch_vccnz .LBB27_218
; %bb.217:
	v_lshlrev_b32_e32 v1, 4, v1
	v_mov_b32_e32 v2, s30
	v_add_nc_u32_e32 v1, 16, v1
	s_clause 0x7
	buffer_load_dword v3, v1, s[0:3], 0 offen
	buffer_load_dword v4, v1, s[0:3], 0 offen offset:4
	buffer_load_dword v61, v1, s[0:3], 0 offen offset:8
	;; [unrolled: 1-line block ×6, first 2 shown]
	buffer_load_dword v66, v2, s[0:3], 0 offen
	s_waitcnt vmcnt(7)
	buffer_store_dword v3, v2, s[0:3], 0 offen
	s_waitcnt vmcnt(6)
	buffer_store_dword v4, v2, s[0:3], 0 offen offset:4
	s_waitcnt vmcnt(5)
	buffer_store_dword v61, v2, s[0:3], 0 offen offset:8
	;; [unrolled: 2-line block ×6, first 2 shown]
	s_waitcnt vmcnt(0)
	buffer_store_dword v66, v1, s[0:3], 0 offen
.LBB27_218:
	global_load_dword v0, v0, s[20:21] offset:32
	s_waitcnt vmcnt(0)
	v_add_nc_u32_e32 v0, -1, v0
	v_cmp_eq_u32_e32 vcc_lo, 8, v0
	s_cbranch_vccnz .LBB27_220
; %bb.219:
	v_lshlrev_b32_e32 v0, 4, v0
	v_mov_b32_e32 v1, s31
	v_add_nc_u32_e32 v0, 16, v0
	s_clause 0x7
	buffer_load_dword v2, v0, s[0:3], 0 offen
	buffer_load_dword v3, v0, s[0:3], 0 offen offset:4
	buffer_load_dword v4, v0, s[0:3], 0 offen offset:8
	;; [unrolled: 1-line block ×6, first 2 shown]
	buffer_load_dword v65, v1, s[0:3], 0 offen
	s_waitcnt vmcnt(7)
	buffer_store_dword v2, v1, s[0:3], 0 offen
	s_waitcnt vmcnt(6)
	buffer_store_dword v3, v1, s[0:3], 0 offen offset:4
	s_waitcnt vmcnt(5)
	buffer_store_dword v4, v1, s[0:3], 0 offen offset:8
	;; [unrolled: 2-line block ×6, first 2 shown]
	s_waitcnt vmcnt(0)
	buffer_store_dword v65, v0, s[0:3], 0 offen
.LBB27_220:
	v_mov_b32_e32 v0, 0
	global_load_dword v1, v0, s[20:21] offset:28
	s_waitcnt vmcnt(0)
	v_add_nc_u32_e32 v1, -1, v1
	v_cmp_eq_u32_e32 vcc_lo, 7, v1
	s_cbranch_vccnz .LBB27_222
; %bb.221:
	v_lshlrev_b32_e32 v1, 4, v1
	v_mov_b32_e32 v2, s33
	v_add_nc_u32_e32 v1, 16, v1
	s_clause 0x7
	buffer_load_dword v3, v1, s[0:3], 0 offen
	buffer_load_dword v4, v1, s[0:3], 0 offen offset:4
	buffer_load_dword v61, v1, s[0:3], 0 offen offset:8
	;; [unrolled: 1-line block ×6, first 2 shown]
	buffer_load_dword v66, v2, s[0:3], 0 offen
	s_waitcnt vmcnt(7)
	buffer_store_dword v3, v2, s[0:3], 0 offen
	s_waitcnt vmcnt(6)
	buffer_store_dword v4, v2, s[0:3], 0 offen offset:4
	s_waitcnt vmcnt(5)
	buffer_store_dword v61, v2, s[0:3], 0 offen offset:8
	;; [unrolled: 2-line block ×6, first 2 shown]
	s_waitcnt vmcnt(0)
	buffer_store_dword v66, v1, s[0:3], 0 offen
.LBB27_222:
	global_load_dword v0, v0, s[20:21] offset:24
	s_waitcnt vmcnt(0)
	v_add_nc_u32_e32 v0, -1, v0
	v_cmp_eq_u32_e32 vcc_lo, 6, v0
	s_cbranch_vccnz .LBB27_224
; %bb.223:
	v_lshlrev_b32_e32 v0, 4, v0
	v_mov_b32_e32 v1, s34
	v_add_nc_u32_e32 v0, 16, v0
	s_clause 0x7
	buffer_load_dword v2, v0, s[0:3], 0 offen
	buffer_load_dword v3, v0, s[0:3], 0 offen offset:4
	buffer_load_dword v4, v0, s[0:3], 0 offen offset:8
	;; [unrolled: 1-line block ×6, first 2 shown]
	buffer_load_dword v65, v1, s[0:3], 0 offen
	s_waitcnt vmcnt(7)
	buffer_store_dword v2, v1, s[0:3], 0 offen
	s_waitcnt vmcnt(6)
	buffer_store_dword v3, v1, s[0:3], 0 offen offset:4
	s_waitcnt vmcnt(5)
	buffer_store_dword v4, v1, s[0:3], 0 offen offset:8
	s_waitcnt vmcnt(4)
	buffer_store_dword v61, v1, s[0:3], 0 offen offset:12
	s_waitcnt vmcnt(3)
	buffer_store_dword v62, v0, s[0:3], 0 offen offset:12
	s_waitcnt vmcnt(2)
	buffer_store_dword v63, v0, s[0:3], 0 offen offset:8
	s_waitcnt vmcnt(1)
	buffer_store_dword v64, v0, s[0:3], 0 offen offset:4
	s_waitcnt vmcnt(0)
	buffer_store_dword v65, v0, s[0:3], 0 offen
.LBB27_224:
	v_mov_b32_e32 v0, 0
	global_load_dword v1, v0, s[20:21] offset:20
	s_waitcnt vmcnt(0)
	v_add_nc_u32_e32 v1, -1, v1
	v_cmp_eq_u32_e32 vcc_lo, 5, v1
	s_cbranch_vccnz .LBB27_226
; %bb.225:
	v_lshlrev_b32_e32 v1, 4, v1
	v_mov_b32_e32 v2, s35
	v_add_nc_u32_e32 v1, 16, v1
	s_clause 0x7
	buffer_load_dword v3, v1, s[0:3], 0 offen
	buffer_load_dword v4, v1, s[0:3], 0 offen offset:4
	buffer_load_dword v61, v1, s[0:3], 0 offen offset:8
	;; [unrolled: 1-line block ×6, first 2 shown]
	buffer_load_dword v66, v2, s[0:3], 0 offen
	s_waitcnt vmcnt(7)
	buffer_store_dword v3, v2, s[0:3], 0 offen
	s_waitcnt vmcnt(6)
	buffer_store_dword v4, v2, s[0:3], 0 offen offset:4
	s_waitcnt vmcnt(5)
	buffer_store_dword v61, v2, s[0:3], 0 offen offset:8
	;; [unrolled: 2-line block ×6, first 2 shown]
	s_waitcnt vmcnt(0)
	buffer_store_dword v66, v1, s[0:3], 0 offen
.LBB27_226:
	global_load_dword v0, v0, s[20:21] offset:16
	s_waitcnt vmcnt(0)
	v_add_nc_u32_e32 v0, -1, v0
	v_cmp_eq_u32_e32 vcc_lo, 4, v0
	s_cbranch_vccnz .LBB27_228
; %bb.227:
	v_lshlrev_b32_e32 v0, 4, v0
	v_mov_b32_e32 v1, s37
	v_add_nc_u32_e32 v0, 16, v0
	s_clause 0x7
	buffer_load_dword v2, v0, s[0:3], 0 offen
	buffer_load_dword v3, v0, s[0:3], 0 offen offset:4
	buffer_load_dword v4, v0, s[0:3], 0 offen offset:8
	;; [unrolled: 1-line block ×6, first 2 shown]
	buffer_load_dword v65, v1, s[0:3], 0 offen
	s_waitcnt vmcnt(7)
	buffer_store_dword v2, v1, s[0:3], 0 offen
	s_waitcnt vmcnt(6)
	buffer_store_dword v3, v1, s[0:3], 0 offen offset:4
	s_waitcnt vmcnt(5)
	buffer_store_dword v4, v1, s[0:3], 0 offen offset:8
	;; [unrolled: 2-line block ×6, first 2 shown]
	s_waitcnt vmcnt(0)
	buffer_store_dword v65, v0, s[0:3], 0 offen
.LBB27_228:
	v_mov_b32_e32 v0, 0
	global_load_dword v1, v0, s[20:21] offset:12
	s_waitcnt vmcnt(0)
	v_add_nc_u32_e32 v1, -1, v1
	v_cmp_eq_u32_e32 vcc_lo, 3, v1
	s_cbranch_vccnz .LBB27_230
; %bb.229:
	v_lshlrev_b32_e32 v1, 4, v1
	v_mov_b32_e32 v2, s38
	v_add_nc_u32_e32 v1, 16, v1
	s_clause 0x7
	buffer_load_dword v3, v1, s[0:3], 0 offen
	buffer_load_dword v4, v1, s[0:3], 0 offen offset:4
	buffer_load_dword v61, v1, s[0:3], 0 offen offset:8
	;; [unrolled: 1-line block ×6, first 2 shown]
	buffer_load_dword v66, v2, s[0:3], 0 offen
	s_waitcnt vmcnt(7)
	buffer_store_dword v3, v2, s[0:3], 0 offen
	s_waitcnt vmcnt(6)
	buffer_store_dword v4, v2, s[0:3], 0 offen offset:4
	s_waitcnt vmcnt(5)
	buffer_store_dword v61, v2, s[0:3], 0 offen offset:8
	;; [unrolled: 2-line block ×6, first 2 shown]
	s_waitcnt vmcnt(0)
	buffer_store_dword v66, v1, s[0:3], 0 offen
.LBB27_230:
	global_load_dword v0, v0, s[20:21] offset:8
	s_waitcnt vmcnt(0)
	v_add_nc_u32_e32 v0, -1, v0
	v_cmp_eq_u32_e32 vcc_lo, 2, v0
	s_cbranch_vccnz .LBB27_232
; %bb.231:
	v_lshlrev_b32_e32 v0, 4, v0
	v_mov_b32_e32 v1, s39
	v_add_nc_u32_e32 v0, 16, v0
	s_clause 0x7
	buffer_load_dword v2, v0, s[0:3], 0 offen
	buffer_load_dword v3, v0, s[0:3], 0 offen offset:4
	buffer_load_dword v4, v0, s[0:3], 0 offen offset:8
	;; [unrolled: 1-line block ×6, first 2 shown]
	buffer_load_dword v65, v1, s[0:3], 0 offen
	s_waitcnt vmcnt(7)
	buffer_store_dword v2, v1, s[0:3], 0 offen
	s_waitcnt vmcnt(6)
	buffer_store_dword v3, v1, s[0:3], 0 offen offset:4
	s_waitcnt vmcnt(5)
	buffer_store_dword v4, v1, s[0:3], 0 offen offset:8
	;; [unrolled: 2-line block ×6, first 2 shown]
	s_waitcnt vmcnt(0)
	buffer_store_dword v65, v0, s[0:3], 0 offen
.LBB27_232:
	v_mov_b32_e32 v0, 0
	global_load_dword v1, v0, s[20:21] offset:4
	s_waitcnt vmcnt(0)
	v_add_nc_u32_e32 v1, -1, v1
	v_cmp_eq_u32_e32 vcc_lo, 1, v1
	s_cbranch_vccnz .LBB27_234
; %bb.233:
	v_lshlrev_b32_e32 v1, 4, v1
	v_mov_b32_e32 v2, s40
	v_add_nc_u32_e32 v1, 16, v1
	s_clause 0x7
	buffer_load_dword v3, v1, s[0:3], 0 offen
	buffer_load_dword v4, v1, s[0:3], 0 offen offset:4
	buffer_load_dword v61, v1, s[0:3], 0 offen offset:8
	;; [unrolled: 1-line block ×6, first 2 shown]
	buffer_load_dword v66, v2, s[0:3], 0 offen
	s_waitcnt vmcnt(7)
	buffer_store_dword v3, v2, s[0:3], 0 offen
	s_waitcnt vmcnt(6)
	buffer_store_dword v4, v2, s[0:3], 0 offen offset:4
	s_waitcnt vmcnt(5)
	buffer_store_dword v61, v2, s[0:3], 0 offen offset:8
	;; [unrolled: 2-line block ×6, first 2 shown]
	s_waitcnt vmcnt(0)
	buffer_store_dword v66, v1, s[0:3], 0 offen
.LBB27_234:
	global_load_dword v0, v0, s[20:21]
	s_waitcnt vmcnt(0)
	v_add_nc_u32_e32 v0, -1, v0
	v_cmp_eq_u32_e32 vcc_lo, 0, v0
	s_cbranch_vccnz .LBB27_236
; %bb.235:
	v_lshlrev_b32_e32 v0, 4, v0
	v_add_nc_u32_e32 v0, 16, v0
	s_clause 0x7
	buffer_load_dword v1, v0, s[0:3], 0 offen
	buffer_load_dword v2, v0, s[0:3], 0 offen offset:4
	buffer_load_dword v3, v0, s[0:3], 0 offen offset:8
	;; [unrolled: 1-line block ×3, first 2 shown]
	buffer_load_dword v61, off, s[0:3], 0 offset:28
	buffer_load_dword v62, off, s[0:3], 0 offset:24
	;; [unrolled: 1-line block ×4, first 2 shown]
	s_waitcnt vmcnt(7)
	buffer_store_dword v1, off, s[0:3], 0 offset:16
	s_waitcnt vmcnt(6)
	buffer_store_dword v2, off, s[0:3], 0 offset:20
	;; [unrolled: 2-line block ×4, first 2 shown]
	s_waitcnt vmcnt(3)
	buffer_store_dword v61, v0, s[0:3], 0 offen offset:12
	s_waitcnt vmcnt(2)
	buffer_store_dword v62, v0, s[0:3], 0 offen offset:8
	;; [unrolled: 2-line block ×3, first 2 shown]
	s_waitcnt vmcnt(0)
	buffer_store_dword v64, v0, s[0:3], 0 offen
.LBB27_236:
	v_mov_b32_e32 v4, s40
	s_clause 0x3
	buffer_load_dword v0, off, s[0:3], 0 offset:16
	buffer_load_dword v1, off, s[0:3], 0 offset:20
	;; [unrolled: 1-line block ×4, first 2 shown]
	v_mov_b32_e32 v153, s13
	v_mov_b32_e32 v157, s9
	v_mov_b32_e32 v72, s38
	s_clause 0x3
	buffer_load_dword v61, v4, s[0:3], 0 offen
	buffer_load_dword v62, v4, s[0:3], 0 offen offset:4
	buffer_load_dword v63, v4, s[0:3], 0 offen offset:8
	;; [unrolled: 1-line block ×3, first 2 shown]
	v_mov_b32_e32 v4, s39
	v_mov_b32_e32 v76, s37
	;; [unrolled: 1-line block ×22, first 2 shown]
	s_clause 0x3e
	buffer_load_dword v65, v4, s[0:3], 0 offen
	buffer_load_dword v66, v4, s[0:3], 0 offen offset:4
	buffer_load_dword v67, v4, s[0:3], 0 offen offset:8
	buffer_load_dword v68, v4, s[0:3], 0 offen offset:12
	buffer_load_dword v69, v72, s[0:3], 0 offen
	buffer_load_dword v70, v72, s[0:3], 0 offen offset:4
	buffer_load_dword v71, v72, s[0:3], 0 offen offset:8
	buffer_load_dword v72, v72, s[0:3], 0 offen offset:12
	;; [unrolled: 4-line block ×15, first 2 shown]
	buffer_load_dword v125, v128, s[0:3], 0 offen
	buffer_load_dword v126, v128, s[0:3], 0 offen offset:4
	buffer_load_dword v127, v128, s[0:3], 0 offen offset:8
	s_clause 0x18
	buffer_load_dword v128, v128, s[0:3], 0 offen offset:12
	buffer_load_dword v129, v132, s[0:3], 0 offen
	buffer_load_dword v130, v132, s[0:3], 0 offen offset:4
	buffer_load_dword v131, v132, s[0:3], 0 offen offset:8
	buffer_load_dword v132, v132, s[0:3], 0 offen offset:12
	buffer_load_dword v133, v136, s[0:3], 0 offen
	buffer_load_dword v134, v136, s[0:3], 0 offen offset:4
	buffer_load_dword v135, v136, s[0:3], 0 offen offset:8
	;; [unrolled: 4-line block ×6, first 2 shown]
	buffer_load_dword v152, v152, s[0:3], 0 offen offset:12
	v_mov_b32_e32 v158, s8
	s_waitcnt vmcnt(62)
	global_store_dwordx4 v[5:6], v[0:3], off
	s_clause 0x7
	buffer_load_dword v0, v153, s[0:3], 0 offen
	buffer_load_dword v1, v153, s[0:3], 0 offen offset:4
	buffer_load_dword v2, v153, s[0:3], 0 offen offset:8
	;; [unrolled: 1-line block ×3, first 2 shown]
	buffer_load_dword v153, v156, s[0:3], 0 offen
	buffer_load_dword v154, v156, s[0:3], 0 offen offset:4
	buffer_load_dword v155, v156, s[0:3], 0 offen offset:8
	;; [unrolled: 1-line block ×3, first 2 shown]
	global_store_dwordx4 v[7:8], v[61:64], off
	s_clause 0x7
	buffer_load_dword v4, v157, s[0:3], 0 offen
	buffer_load_dword v5, v157, s[0:3], 0 offen offset:4
	buffer_load_dword v6, v157, s[0:3], 0 offen offset:8
	buffer_load_dword v7, v157, s[0:3], 0 offen offset:12
	buffer_load_dword v61, v158, s[0:3], 0 offen
	buffer_load_dword v62, v158, s[0:3], 0 offen offset:4
	buffer_load_dword v63, v158, s[0:3], 0 offen offset:8
	;; [unrolled: 1-line block ×3, first 2 shown]
	global_store_dwordx4 v[9:10], v[65:68], off
	global_store_dwordx4 v[11:12], v[69:72], off
	;; [unrolled: 1-line block ×6, first 2 shown]
	s_waitcnt vmcnt(62)
	global_store_dwordx4 v[21:22], v[89:92], off
	global_store_dwordx4 v[23:24], v[93:96], off
	;; [unrolled: 1-line block ×4, first 2 shown]
	s_waitcnt vmcnt(60)
	global_store_dwordx4 v[29:30], v[105:108], off
	s_waitcnt vmcnt(56)
	global_store_dwordx4 v[31:32], v[109:112], off
	;; [unrolled: 2-line block ×16, first 2 shown]
	s_endpgm
	.section	.rodata,"a",@progbits
	.p2align	6, 0x0
	.amdhsa_kernel _ZN9rocsolver6v33100L18getri_kernel_smallILi28E19rocblas_complex_numIdEPS3_EEvT1_iilPiilS6_bb
		.amdhsa_group_segment_fixed_size 904
		.amdhsa_private_segment_fixed_size 480
		.amdhsa_kernarg_size 60
		.amdhsa_user_sgpr_count 6
		.amdhsa_user_sgpr_private_segment_buffer 1
		.amdhsa_user_sgpr_dispatch_ptr 0
		.amdhsa_user_sgpr_queue_ptr 0
		.amdhsa_user_sgpr_kernarg_segment_ptr 1
		.amdhsa_user_sgpr_dispatch_id 0
		.amdhsa_user_sgpr_flat_scratch_init 0
		.amdhsa_user_sgpr_private_segment_size 0
		.amdhsa_wavefront_size32 1
		.amdhsa_uses_dynamic_stack 0
		.amdhsa_system_sgpr_private_segment_wavefront_offset 1
		.amdhsa_system_sgpr_workgroup_id_x 1
		.amdhsa_system_sgpr_workgroup_id_y 0
		.amdhsa_system_sgpr_workgroup_id_z 0
		.amdhsa_system_sgpr_workgroup_info 0
		.amdhsa_system_vgpr_workitem_id 0
		.amdhsa_next_free_vgpr 159
		.amdhsa_next_free_sgpr 53
		.amdhsa_reserve_vcc 1
		.amdhsa_reserve_flat_scratch 0
		.amdhsa_float_round_mode_32 0
		.amdhsa_float_round_mode_16_64 0
		.amdhsa_float_denorm_mode_32 3
		.amdhsa_float_denorm_mode_16_64 3
		.amdhsa_dx10_clamp 1
		.amdhsa_ieee_mode 1
		.amdhsa_fp16_overflow 0
		.amdhsa_workgroup_processor_mode 1
		.amdhsa_memory_ordered 1
		.amdhsa_forward_progress 1
		.amdhsa_shared_vgpr_count 0
		.amdhsa_exception_fp_ieee_invalid_op 0
		.amdhsa_exception_fp_denorm_src 0
		.amdhsa_exception_fp_ieee_div_zero 0
		.amdhsa_exception_fp_ieee_overflow 0
		.amdhsa_exception_fp_ieee_underflow 0
		.amdhsa_exception_fp_ieee_inexact 0
		.amdhsa_exception_int_div_zero 0
	.end_amdhsa_kernel
	.section	.text._ZN9rocsolver6v33100L18getri_kernel_smallILi28E19rocblas_complex_numIdEPS3_EEvT1_iilPiilS6_bb,"axG",@progbits,_ZN9rocsolver6v33100L18getri_kernel_smallILi28E19rocblas_complex_numIdEPS3_EEvT1_iilPiilS6_bb,comdat
.Lfunc_end27:
	.size	_ZN9rocsolver6v33100L18getri_kernel_smallILi28E19rocblas_complex_numIdEPS3_EEvT1_iilPiilS6_bb, .Lfunc_end27-_ZN9rocsolver6v33100L18getri_kernel_smallILi28E19rocblas_complex_numIdEPS3_EEvT1_iilPiilS6_bb
                                        ; -- End function
	.set _ZN9rocsolver6v33100L18getri_kernel_smallILi28E19rocblas_complex_numIdEPS3_EEvT1_iilPiilS6_bb.num_vgpr, 159
	.set _ZN9rocsolver6v33100L18getri_kernel_smallILi28E19rocblas_complex_numIdEPS3_EEvT1_iilPiilS6_bb.num_agpr, 0
	.set _ZN9rocsolver6v33100L18getri_kernel_smallILi28E19rocblas_complex_numIdEPS3_EEvT1_iilPiilS6_bb.numbered_sgpr, 53
	.set _ZN9rocsolver6v33100L18getri_kernel_smallILi28E19rocblas_complex_numIdEPS3_EEvT1_iilPiilS6_bb.num_named_barrier, 0
	.set _ZN9rocsolver6v33100L18getri_kernel_smallILi28E19rocblas_complex_numIdEPS3_EEvT1_iilPiilS6_bb.private_seg_size, 480
	.set _ZN9rocsolver6v33100L18getri_kernel_smallILi28E19rocblas_complex_numIdEPS3_EEvT1_iilPiilS6_bb.uses_vcc, 1
	.set _ZN9rocsolver6v33100L18getri_kernel_smallILi28E19rocblas_complex_numIdEPS3_EEvT1_iilPiilS6_bb.uses_flat_scratch, 0
	.set _ZN9rocsolver6v33100L18getri_kernel_smallILi28E19rocblas_complex_numIdEPS3_EEvT1_iilPiilS6_bb.has_dyn_sized_stack, 0
	.set _ZN9rocsolver6v33100L18getri_kernel_smallILi28E19rocblas_complex_numIdEPS3_EEvT1_iilPiilS6_bb.has_recursion, 0
	.set _ZN9rocsolver6v33100L18getri_kernel_smallILi28E19rocblas_complex_numIdEPS3_EEvT1_iilPiilS6_bb.has_indirect_call, 0
	.section	.AMDGPU.csdata,"",@progbits
; Kernel info:
; codeLenInByte = 63052
; TotalNumSgprs: 55
; NumVgprs: 159
; ScratchSize: 480
; MemoryBound: 0
; FloatMode: 240
; IeeeMode: 1
; LDSByteSize: 904 bytes/workgroup (compile time only)
; SGPRBlocks: 0
; VGPRBlocks: 19
; NumSGPRsForWavesPerEU: 55
; NumVGPRsForWavesPerEU: 159
; Occupancy: 6
; WaveLimiterHint : 1
; COMPUTE_PGM_RSRC2:SCRATCH_EN: 1
; COMPUTE_PGM_RSRC2:USER_SGPR: 6
; COMPUTE_PGM_RSRC2:TRAP_HANDLER: 0
; COMPUTE_PGM_RSRC2:TGID_X_EN: 1
; COMPUTE_PGM_RSRC2:TGID_Y_EN: 0
; COMPUTE_PGM_RSRC2:TGID_Z_EN: 0
; COMPUTE_PGM_RSRC2:TIDIG_COMP_CNT: 0
	.section	.text._ZN9rocsolver6v33100L18getri_kernel_smallILi29E19rocblas_complex_numIdEPS3_EEvT1_iilPiilS6_bb,"axG",@progbits,_ZN9rocsolver6v33100L18getri_kernel_smallILi29E19rocblas_complex_numIdEPS3_EEvT1_iilPiilS6_bb,comdat
	.globl	_ZN9rocsolver6v33100L18getri_kernel_smallILi29E19rocblas_complex_numIdEPS3_EEvT1_iilPiilS6_bb ; -- Begin function _ZN9rocsolver6v33100L18getri_kernel_smallILi29E19rocblas_complex_numIdEPS3_EEvT1_iilPiilS6_bb
	.p2align	8
	.type	_ZN9rocsolver6v33100L18getri_kernel_smallILi29E19rocblas_complex_numIdEPS3_EEvT1_iilPiilS6_bb,@function
_ZN9rocsolver6v33100L18getri_kernel_smallILi29E19rocblas_complex_numIdEPS3_EEvT1_iilPiilS6_bb: ; @_ZN9rocsolver6v33100L18getri_kernel_smallILi29E19rocblas_complex_numIdEPS3_EEvT1_iilPiilS6_bb
; %bb.0:
	s_add_u32 s0, s0, s7
	s_addc_u32 s1, s1, 0
	s_mov_b32 s7, exec_lo
	v_cmpx_gt_u32_e32 29, v0
	s_cbranch_execz .LBB28_130
; %bb.1:
	s_clause 0x2
	s_load_dword s7, s[4:5], 0x38
	s_load_dwordx4 s[16:19], s[4:5], 0x10
	s_load_dwordx4 s[8:11], s[4:5], 0x28
                                        ; implicit-def: $sgpr20_sgpr21
	s_waitcnt lgkmcnt(0)
	s_bitcmp1_b32 s7, 8
	s_cselect_b32 s37, -1, 0
	s_bfe_u32 s12, s7, 0x10008
	s_ashr_i32 s7, s6, 31
	s_cmp_eq_u32 s12, 0
	s_cbranch_scc1 .LBB28_3
; %bb.2:
	s_load_dword s12, s[4:5], 0x20
	s_mul_i32 s13, s8, s7
	s_mul_hi_u32 s14, s8, s6
	s_mul_i32 s9, s9, s6
	s_add_i32 s13, s14, s13
	s_mul_i32 s8, s8, s6
	s_add_i32 s9, s13, s9
	s_lshl_b64 s[8:9], s[8:9], 2
	s_waitcnt lgkmcnt(0)
	s_ashr_i32 s13, s12, 31
	s_add_u32 s14, s18, s8
	s_addc_u32 s15, s19, s9
	s_lshl_b64 s[8:9], s[12:13], 2
	s_add_u32 s20, s14, s8
	s_addc_u32 s21, s15, s9
.LBB28_3:
	s_clause 0x1
	s_load_dwordx4 s[12:15], s[4:5], 0x0
	s_load_dword s42, s[4:5], 0x38
	s_mul_i32 s4, s16, s7
	s_mul_hi_u32 s5, s16, s6
	s_mul_i32 s8, s17, s6
	s_add_i32 s5, s5, s4
	s_mul_i32 s4, s16, s6
	s_add_i32 s5, s5, s8
	v_lshlrev_b32_e32 v69, 4, v0
	s_lshl_b64 s[4:5], s[4:5], 4
	s_movk_i32 s16, 0xc0
	s_movk_i32 s17, 0xd0
	;; [unrolled: 1-line block ×10, first 2 shown]
	s_waitcnt lgkmcnt(0)
	s_ashr_i32 s9, s14, 31
	s_mov_b32 s8, s14
	s_add_u32 s12, s12, s4
	s_addc_u32 s13, s13, s5
	s_lshl_b64 s[4:5], s[8:9], 4
	v_add3_u32 v7, s15, s15, v0
	s_add_u32 s4, s12, s4
	s_addc_u32 s5, s13, s5
	v_add_co_u32 v5, s12, s4, v69
	global_load_dwordx4 v[1:4], v69, s[4:5]
	v_add_nc_u32_e32 v9, s15, v7
	v_ashrrev_i32_e32 v8, 31, v7
	s_mov_b32 s8, s15
	s_ashr_i32 s9, s15, 31
	v_add_co_ci_u32_e64 v6, null, s5, 0, s12
	v_add_nc_u32_e32 v15, s15, v9
	v_ashrrev_i32_e32 v10, 31, v9
	s_lshl_b64 s[8:9], s[8:9], 4
	v_lshlrev_b64 v[11:12], 4, v[7:8]
	v_add_co_u32 v7, vcc_lo, v5, s8
	v_ashrrev_i32_e32 v16, 31, v15
	v_add_co_ci_u32_e64 v8, null, s9, v6, vcc_lo
	v_lshlrev_b64 v[13:14], 4, v[9:10]
	v_add_co_u32 v9, vcc_lo, s4, v11
	v_lshlrev_b64 v[16:17], 4, v[15:16]
	v_add_co_ci_u32_e64 v10, null, s5, v12, vcc_lo
	global_load_dwordx4 v[63:66], v[7:8], off
	v_add_co_u32 v11, vcc_lo, s4, v13
	v_add_co_ci_u32_e64 v12, null, s5, v14, vcc_lo
	v_add_co_u32 v13, vcc_lo, s4, v16
	global_load_dwordx4 v[70:73], v[9:10], off
	v_add_co_ci_u32_e64 v14, null, s5, v17, vcc_lo
	s_clause 0x1
	global_load_dwordx4 v[74:77], v[11:12], off
	global_load_dwordx4 v[78:81], v[13:14], off
	v_add_nc_u32_e32 v15, s15, v15
	s_movk_i32 s8, 0x60
	s_movk_i32 s9, 0x70
	;; [unrolled: 1-line block ×4, first 2 shown]
	v_add_nc_u32_e32 v17, s15, v15
	v_ashrrev_i32_e32 v16, 31, v15
	s_movk_i32 s14, 0xa0
	s_movk_i32 s47, 0x160
	;; [unrolled: 1-line block ×3, first 2 shown]
	v_add_nc_u32_e32 v19, s15, v17
	v_ashrrev_i32_e32 v18, 31, v17
	v_lshlrev_b64 v[15:16], 4, v[15:16]
	s_movk_i32 s49, 0x180
	s_movk_i32 s50, 0x190
	v_add_nc_u32_e32 v21, s15, v19
	v_ashrrev_i32_e32 v20, 31, v19
	v_lshlrev_b64 v[17:18], 4, v[17:18]
	v_add_co_u32 v15, vcc_lo, s4, v15
	v_add_nc_u32_e32 v23, s15, v21
	v_ashrrev_i32_e32 v22, 31, v21
	v_lshlrev_b64 v[19:20], 4, v[19:20]
	v_add_co_ci_u32_e64 v16, null, s5, v16, vcc_lo
	v_add_nc_u32_e32 v25, s15, v23
	v_ashrrev_i32_e32 v24, 31, v23
	v_lshlrev_b64 v[21:22], 4, v[21:22]
	v_add_co_u32 v17, vcc_lo, s4, v17
	v_add_nc_u32_e32 v27, s15, v25
	v_ashrrev_i32_e32 v26, 31, v25
	v_lshlrev_b64 v[23:24], 4, v[23:24]
	v_add_co_ci_u32_e64 v18, null, s5, v18, vcc_lo
	v_add_nc_u32_e32 v29, s15, v27
	v_ashrrev_i32_e32 v28, 31, v27
	v_add_co_u32 v19, vcc_lo, s4, v19
	v_lshlrev_b64 v[25:26], 4, v[25:26]
	v_add_nc_u32_e32 v31, s15, v29
	v_ashrrev_i32_e32 v30, 31, v29
	v_add_co_ci_u32_e64 v20, null, s5, v20, vcc_lo
	v_add_co_u32 v21, vcc_lo, s4, v21
	v_add_nc_u32_e32 v33, s15, v31
	v_ashrrev_i32_e32 v32, 31, v31
	v_lshlrev_b64 v[27:28], 4, v[27:28]
	v_add_co_ci_u32_e64 v22, null, s5, v22, vcc_lo
	v_add_nc_u32_e32 v35, s15, v33
	v_ashrrev_i32_e32 v34, 31, v33
	v_add_co_u32 v23, vcc_lo, s4, v23
	v_lshlrev_b64 v[29:30], 4, v[29:30]
	v_add_nc_u32_e32 v37, s15, v35
	v_ashrrev_i32_e32 v36, 31, v35
	v_add_co_ci_u32_e64 v24, null, s5, v24, vcc_lo
	v_add_co_u32 v25, vcc_lo, s4, v25
	v_add_nc_u32_e32 v39, s15, v37
	v_lshlrev_b64 v[31:32], 4, v[31:32]
	v_ashrrev_i32_e32 v38, 31, v37
	v_add_co_ci_u32_e64 v26, null, s5, v26, vcc_lo
	v_add_nc_u32_e32 v41, s15, v39
	v_add_co_u32 v27, vcc_lo, s4, v27
	v_lshlrev_b64 v[33:34], 4, v[33:34]
	v_ashrrev_i32_e32 v40, 31, v39
	v_add_nc_u32_e32 v43, s15, v41
	v_add_co_ci_u32_e64 v28, null, s5, v28, vcc_lo
	v_add_co_u32 v29, vcc_lo, s4, v29
	v_add_nc_u32_e32 v45, s15, v43
	v_lshlrev_b64 v[35:36], 4, v[35:36]
	v_ashrrev_i32_e32 v42, 31, v41
	v_add_co_ci_u32_e64 v30, null, s5, v30, vcc_lo
	v_add_nc_u32_e32 v47, s15, v45
	v_add_co_u32 v31, vcc_lo, s4, v31
	v_lshlrev_b64 v[37:38], 4, v[37:38]
	v_ashrrev_i32_e32 v44, 31, v43
	v_add_nc_u32_e32 v49, s15, v47
	v_add_co_ci_u32_e64 v32, null, s5, v32, vcc_lo
	v_add_co_u32 v33, vcc_lo, s4, v33
	v_add_nc_u32_e32 v51, s15, v49
	v_lshlrev_b64 v[39:40], 4, v[39:40]
	v_ashrrev_i32_e32 v46, 31, v45
	v_add_co_ci_u32_e64 v34, null, s5, v34, vcc_lo
	v_add_co_u32 v35, vcc_lo, s4, v35
	v_lshlrev_b64 v[41:42], 4, v[41:42]
	v_ashrrev_i32_e32 v48, 31, v47
	v_add_co_ci_u32_e64 v36, null, s5, v36, vcc_lo
	v_add_co_u32 v37, vcc_lo, s4, v37
	v_lshlrev_b64 v[43:44], 4, v[43:44]
	v_add_nc_u32_e32 v53, s15, v51
	v_ashrrev_i32_e32 v50, 31, v49
	v_add_co_ci_u32_e64 v38, null, s5, v38, vcc_lo
	v_add_co_u32 v39, vcc_lo, s4, v39
	v_lshlrev_b64 v[45:46], 4, v[45:46]
	v_ashrrev_i32_e32 v52, 31, v51
	v_add_co_ci_u32_e64 v40, null, s5, v40, vcc_lo
	v_add_co_u32 v41, vcc_lo, s4, v41
	v_lshlrev_b64 v[47:48], 4, v[47:48]
	;; [unrolled: 4-line block ×3, first 2 shown]
	v_add_co_ci_u32_e64 v44, null, s5, v44, vcc_lo
	v_add_co_u32 v45, vcc_lo, s4, v45
	v_lshlrev_b64 v[51:52], 4, v[51:52]
	v_add_co_ci_u32_e64 v46, null, s5, v46, vcc_lo
	v_add_co_u32 v47, vcc_lo, s4, v47
	v_add_nc_u32_e32 v55, s15, v53
	v_lshlrev_b64 v[53:54], 4, v[53:54]
	v_add_co_ci_u32_e64 v48, null, s5, v48, vcc_lo
	v_add_co_u32 v49, vcc_lo, s4, v49
	v_add_co_ci_u32_e64 v50, null, s5, v50, vcc_lo
	v_add_co_u32 v51, vcc_lo, s4, v51
	;; [unrolled: 2-line block ×3, first 2 shown]
	v_add_co_ci_u32_e64 v54, null, s5, v54, vcc_lo
	s_clause 0x11
	global_load_dwordx4 v[82:85], v[15:16], off
	global_load_dwordx4 v[86:89], v[17:18], off
	;; [unrolled: 1-line block ×18, first 2 shown]
	v_add_nc_u32_e32 v57, s15, v55
	v_ashrrev_i32_e32 v56, 31, v55
	s_movk_i32 s51, 0x1a0
	s_movk_i32 s52, 0x1b0
	;; [unrolled: 1-line block ×3, first 2 shown]
	v_add_nc_u32_e32 v59, s15, v57
	v_ashrrev_i32_e32 v58, 31, v57
	v_lshlrev_b64 v[55:56], 4, v[55:56]
	s_add_i32 s35, s8, 16
	s_add_i32 s34, s9, 16
	v_add_nc_u32_e32 v61, s15, v59
	v_ashrrev_i32_e32 v60, 31, v59
	v_lshlrev_b64 v[57:58], 4, v[57:58]
	v_add_co_u32 v55, vcc_lo, s4, v55
	v_ashrrev_i32_e32 v62, 31, v61
	v_add_co_ci_u32_e64 v56, null, s5, v56, vcc_lo
	v_lshlrev_b64 v[59:60], 4, v[59:60]
	v_add_co_u32 v57, vcc_lo, s4, v57
	v_add_co_ci_u32_e64 v58, null, s5, v58, vcc_lo
	v_lshlrev_b64 v[67:68], 4, v[61:62]
	v_add_co_u32 v61, vcc_lo, s4, v59
	v_add_co_ci_u32_e64 v62, null, s5, v60, vcc_lo
	s_movk_i32 s15, 0xb0
	v_add_co_u32 v59, vcc_lo, s4, v67
	v_add_co_ci_u32_e64 v60, null, s5, v68, vcc_lo
	s_movk_i32 s4, 0x50
	s_add_i32 s33, s12, 16
	s_add_i32 s36, s4, 16
	;; [unrolled: 1-line block ×22, first 2 shown]
	s_mov_b32 s5, -1
	s_mov_b32 s41, 32
	s_mov_b32 s40, 48
	;; [unrolled: 1-line block ×3, first 2 shown]
	s_movk_i32 s38, 0x50
	s_bitcmp0_b32 s42, 0
	s_waitcnt vmcnt(22)
	buffer_store_dword v4, off, s[0:3], 0 offset:28
	buffer_store_dword v3, off, s[0:3], 0 offset:24
	;; [unrolled: 1-line block ×4, first 2 shown]
	s_clause 0x1
	global_load_dwordx4 v[1:4], v[51:52], off
	global_load_dwordx4 v[154:157], v[53:54], off
	s_waitcnt vmcnt(23)
	buffer_store_dword v66, off, s[0:3], 0 offset:44
	buffer_store_dword v65, off, s[0:3], 0 offset:40
	buffer_store_dword v64, off, s[0:3], 0 offset:36
	buffer_store_dword v63, off, s[0:3], 0 offset:32
	global_load_dwordx4 v[63:66], v[55:56], off
	s_waitcnt vmcnt(23)
	buffer_store_dword v73, off, s[0:3], 0 offset:60
	buffer_store_dword v72, off, s[0:3], 0 offset:56
	buffer_store_dword v71, off, s[0:3], 0 offset:52
	buffer_store_dword v70, off, s[0:3], 0 offset:48
	;; [unrolled: 6-line block ×5, first 2 shown]
	s_waitcnt vmcnt(22)
	buffer_store_dword v89, off, s[0:3], 0 offset:124
	buffer_store_dword v88, off, s[0:3], 0 offset:120
	buffer_store_dword v87, off, s[0:3], 0 offset:116
	buffer_store_dword v86, off, s[0:3], 0 offset:112
	s_waitcnt vmcnt(21)
	buffer_store_dword v93, off, s[0:3], 0 offset:140
	buffer_store_dword v92, off, s[0:3], 0 offset:136
	buffer_store_dword v91, off, s[0:3], 0 offset:132
	buffer_store_dword v90, off, s[0:3], 0 offset:128
	;; [unrolled: 5-line block ×23, first 2 shown]
	s_cbranch_scc1 .LBB28_128
; %bb.4:
	v_cmp_eq_u32_e64 s4, 0, v0
	s_and_saveexec_b32 s5, s4
; %bb.5:
	v_mov_b32_e32 v1, 0
	ds_write_b32 v1, v1 offset:928
; %bb.6:
	s_or_b32 exec_lo, exec_lo, s5
	v_lshl_add_u32 v70, v0, 4, 16
	s_waitcnt lgkmcnt(0)
	s_waitcnt_vscnt null, 0x0
	s_barrier
	buffer_gl0_inv
	s_clause 0x3
	buffer_load_dword v1, v70, s[0:3], 0 offen
	buffer_load_dword v2, v70, s[0:3], 0 offen offset:4
	buffer_load_dword v3, v70, s[0:3], 0 offen offset:8
	;; [unrolled: 1-line block ×3, first 2 shown]
	s_waitcnt vmcnt(2)
	v_cmp_eq_f64_e32 vcc_lo, 0, v[1:2]
	s_waitcnt vmcnt(0)
	v_cmp_eq_f64_e64 s5, 0, v[3:4]
	s_and_b32 s5, vcc_lo, s5
	s_and_saveexec_b32 s42, s5
	s_cbranch_execz .LBB28_10
; %bb.7:
	v_mov_b32_e32 v1, 0
	s_mov_b32 s43, 0
	ds_read_b32 v2, v1 offset:928
	s_waitcnt lgkmcnt(0)
	v_readfirstlane_b32 s5, v2
	v_add_nc_u32_e32 v2, 1, v0
	s_cmp_eq_u32 s5, 0
	v_cmp_gt_i32_e32 vcc_lo, s5, v2
	s_cselect_b32 s44, -1, 0
	s_or_b32 s44, s44, vcc_lo
	s_and_b32 exec_lo, exec_lo, s44
	s_cbranch_execz .LBB28_10
; %bb.8:
	v_mov_b32_e32 v3, s5
.LBB28_9:                               ; =>This Inner Loop Header: Depth=1
	ds_cmpst_rtn_b32 v3, v1, v3, v2 offset:928
	s_waitcnt lgkmcnt(0)
	v_cmp_ne_u32_e32 vcc_lo, 0, v3
	v_cmp_le_i32_e64 s5, v3, v2
	s_and_b32 s5, vcc_lo, s5
	s_and_b32 s5, exec_lo, s5
	s_or_b32 s43, s5, s43
	s_andn2_b32 exec_lo, exec_lo, s43
	s_cbranch_execnz .LBB28_9
.LBB28_10:
	s_or_b32 exec_lo, exec_lo, s42
	v_mov_b32_e32 v1, 0
	s_barrier
	buffer_gl0_inv
	ds_read_b32 v2, v1 offset:928
	s_and_saveexec_b32 s5, s4
	s_cbranch_execz .LBB28_12
; %bb.11:
	s_lshl_b64 s[42:43], s[6:7], 2
	s_add_u32 s42, s10, s42
	s_addc_u32 s43, s11, s43
	s_waitcnt lgkmcnt(0)
	global_store_dword v1, v2, s[42:43]
.LBB28_12:
	s_or_b32 exec_lo, exec_lo, s5
	s_waitcnt lgkmcnt(0)
	v_cmp_ne_u32_e32 vcc_lo, 0, v2
	s_mov_b32 s5, 0
	s_cbranch_vccnz .LBB28_128
; %bb.13:
	s_clause 0x3
	buffer_load_dword v65, v70, s[0:3], 0 offen
	buffer_load_dword v66, v70, s[0:3], 0 offen offset:4
	buffer_load_dword v67, v70, s[0:3], 0 offen offset:8
	;; [unrolled: 1-line block ×3, first 2 shown]
                                        ; implicit-def: $vgpr63_vgpr64
                                        ; implicit-def: $vgpr3_vgpr4
	s_waitcnt vmcnt(0)
	v_cmp_ngt_f64_e64 s5, |v[65:66]|, |v[67:68]|
	s_and_saveexec_b32 s42, s5
	s_xor_b32 s5, exec_lo, s42
	s_cbranch_execz .LBB28_15
; %bb.14:
	v_div_scale_f64 v[1:2], null, v[67:68], v[67:68], v[65:66]
	v_div_scale_f64 v[71:72], vcc_lo, v[65:66], v[67:68], v[65:66]
	v_rcp_f64_e32 v[3:4], v[1:2]
	v_fma_f64 v[63:64], -v[1:2], v[3:4], 1.0
	v_fma_f64 v[3:4], v[3:4], v[63:64], v[3:4]
	v_fma_f64 v[63:64], -v[1:2], v[3:4], 1.0
	v_fma_f64 v[3:4], v[3:4], v[63:64], v[3:4]
	v_mul_f64 v[63:64], v[71:72], v[3:4]
	v_fma_f64 v[1:2], -v[1:2], v[63:64], v[71:72]
	v_div_fmas_f64 v[1:2], v[1:2], v[3:4], v[63:64]
	v_div_fixup_f64 v[1:2], v[1:2], v[67:68], v[65:66]
	v_fma_f64 v[3:4], v[65:66], v[1:2], v[67:68]
	v_div_scale_f64 v[63:64], null, v[3:4], v[3:4], 1.0
	v_div_scale_f64 v[71:72], vcc_lo, 1.0, v[3:4], 1.0
	v_rcp_f64_e32 v[65:66], v[63:64]
	v_fma_f64 v[67:68], -v[63:64], v[65:66], 1.0
	v_fma_f64 v[65:66], v[65:66], v[67:68], v[65:66]
	v_fma_f64 v[67:68], -v[63:64], v[65:66], 1.0
	v_fma_f64 v[65:66], v[65:66], v[67:68], v[65:66]
	v_mul_f64 v[67:68], v[71:72], v[65:66]
	v_fma_f64 v[63:64], -v[63:64], v[67:68], v[71:72]
	v_div_fmas_f64 v[63:64], v[63:64], v[65:66], v[67:68]
                                        ; implicit-def: $vgpr65_vgpr66
                                        ; implicit-def: $vgpr67_vgpr68
	v_div_fixup_f64 v[3:4], v[63:64], v[3:4], 1.0
	v_mul_f64 v[63:64], v[1:2], v[3:4]
	v_xor_b32_e32 v4, 0x80000000, v4
	v_xor_b32_e32 v2, 0x80000000, v64
	v_mov_b32_e32 v1, v63
.LBB28_15:
	s_andn2_saveexec_b32 s5, s5
	s_cbranch_execz .LBB28_17
; %bb.16:
	v_div_scale_f64 v[1:2], null, v[65:66], v[65:66], v[67:68]
	v_div_scale_f64 v[71:72], vcc_lo, v[67:68], v[65:66], v[67:68]
	v_rcp_f64_e32 v[3:4], v[1:2]
	v_fma_f64 v[63:64], -v[1:2], v[3:4], 1.0
	v_fma_f64 v[3:4], v[3:4], v[63:64], v[3:4]
	v_fma_f64 v[63:64], -v[1:2], v[3:4], 1.0
	v_fma_f64 v[3:4], v[3:4], v[63:64], v[3:4]
	v_mul_f64 v[63:64], v[71:72], v[3:4]
	v_fma_f64 v[1:2], -v[1:2], v[63:64], v[71:72]
	v_div_fmas_f64 v[1:2], v[1:2], v[3:4], v[63:64]
	v_div_fixup_f64 v[1:2], v[1:2], v[65:66], v[67:68]
	v_fma_f64 v[3:4], v[67:68], v[1:2], v[65:66]
	v_div_scale_f64 v[63:64], null, v[3:4], v[3:4], 1.0
	v_rcp_f64_e32 v[65:66], v[63:64]
	v_fma_f64 v[67:68], -v[63:64], v[65:66], 1.0
	v_fma_f64 v[65:66], v[65:66], v[67:68], v[65:66]
	v_fma_f64 v[67:68], -v[63:64], v[65:66], 1.0
	v_fma_f64 v[65:66], v[65:66], v[67:68], v[65:66]
	v_div_scale_f64 v[67:68], vcc_lo, 1.0, v[3:4], 1.0
	v_mul_f64 v[71:72], v[67:68], v[65:66]
	v_fma_f64 v[63:64], -v[63:64], v[71:72], v[67:68]
	v_div_fmas_f64 v[63:64], v[63:64], v[65:66], v[71:72]
	v_div_fixup_f64 v[63:64], v[63:64], v[3:4], 1.0
	v_mul_f64 v[3:4], v[1:2], -v[63:64]
	v_xor_b32_e32 v2, 0x80000000, v64
	v_mov_b32_e32 v1, v63
.LBB28_17:
	s_or_b32 exec_lo, exec_lo, s5
	v_mov_b32_e32 v68, s41
	buffer_store_dword v64, v70, s[0:3], 0 offen offset:4
	buffer_store_dword v63, v70, s[0:3], 0 offen
	buffer_store_dword v4, v70, s[0:3], 0 offen offset:12
	buffer_store_dword v3, v70, s[0:3], 0 offen offset:8
	v_xor_b32_e32 v4, 0x80000000, v4
	v_add_nc_u32_e32 v63, 0x1d0, v69
	s_clause 0x3
	buffer_load_dword v67, v68, s[0:3], 0 offen offset:12
	buffer_load_dword v66, v68, s[0:3], 0 offen offset:8
	;; [unrolled: 1-line block ×3, first 2 shown]
	buffer_load_dword v64, v68, s[0:3], 0 offen
	ds_write_b128 v69, v[1:4]
	s_waitcnt vmcnt(0)
	ds_write_b128 v69, v[64:67] offset:464
	s_waitcnt lgkmcnt(0)
	s_waitcnt_vscnt null, 0x0
	s_barrier
	buffer_gl0_inv
	s_and_saveexec_b32 s5, s4
	s_cbranch_execz .LBB28_19
; %bb.18:
	s_clause 0x3
	buffer_load_dword v71, v70, s[0:3], 0 offen offset:8
	buffer_load_dword v72, v70, s[0:3], 0 offen offset:12
	buffer_load_dword v73, v70, s[0:3], 0 offen
	buffer_load_dword v74, v70, s[0:3], 0 offen offset:4
	ds_read_b128 v[1:4], v63
	v_mov_b32_e32 v64, 0
	ds_read_b128 v[64:67], v64 offset:16
	s_waitcnt vmcnt(2) lgkmcnt(1)
	v_mul_f64 v[75:76], v[1:2], v[71:72]
	v_mul_f64 v[71:72], v[3:4], v[71:72]
	s_waitcnt vmcnt(0)
	v_fma_f64 v[3:4], v[3:4], v[73:74], v[75:76]
	v_fma_f64 v[1:2], v[1:2], v[73:74], -v[71:72]
	v_add_f64 v[3:4], v[3:4], 0
	v_add_f64 v[1:2], v[1:2], 0
	s_waitcnt lgkmcnt(0)
	v_mul_f64 v[71:72], v[3:4], v[66:67]
	v_mul_f64 v[66:67], v[1:2], v[66:67]
	v_fma_f64 v[1:2], v[1:2], v[64:65], -v[71:72]
	v_fma_f64 v[3:4], v[3:4], v[64:65], v[66:67]
	buffer_store_dword v1, off, s[0:3], 0 offset:32
	buffer_store_dword v2, off, s[0:3], 0 offset:36
	;; [unrolled: 1-line block ×4, first 2 shown]
.LBB28_19:
	s_or_b32 exec_lo, exec_lo, s5
	v_mov_b32_e32 v4, s40
	s_waitcnt_vscnt null, 0x0
	s_barrier
	buffer_gl0_inv
	s_mov_b32 s5, exec_lo
	s_clause 0x3
	buffer_load_dword v1, v4, s[0:3], 0 offen
	buffer_load_dword v2, v4, s[0:3], 0 offen offset:4
	buffer_load_dword v3, v4, s[0:3], 0 offen offset:8
	;; [unrolled: 1-line block ×3, first 2 shown]
	s_waitcnt vmcnt(0)
	ds_write_b128 v63, v[1:4]
	s_waitcnt lgkmcnt(0)
	s_barrier
	buffer_gl0_inv
	v_cmpx_gt_u32_e32 2, v0
	s_cbranch_execz .LBB28_23
; %bb.20:
	s_clause 0x3
	buffer_load_dword v64, v70, s[0:3], 0 offen offset:8
	buffer_load_dword v65, v70, s[0:3], 0 offen offset:12
	buffer_load_dword v66, v70, s[0:3], 0 offen
	buffer_load_dword v67, v70, s[0:3], 0 offen offset:4
	ds_read_b128 v[1:4], v63
	s_waitcnt vmcnt(2) lgkmcnt(0)
	v_mul_f64 v[70:71], v[3:4], v[64:65]
	v_mul_f64 v[64:65], v[1:2], v[64:65]
	s_waitcnt vmcnt(0)
	v_fma_f64 v[1:2], v[1:2], v[66:67], -v[70:71]
	v_fma_f64 v[3:4], v[3:4], v[66:67], v[64:65]
	v_add_f64 v[1:2], v[1:2], 0
	v_add_f64 v[3:4], v[3:4], 0
	s_and_saveexec_b32 s42, s4
	s_cbranch_execz .LBB28_22
; %bb.21:
	s_clause 0x3
	buffer_load_dword v70, off, s[0:3], 0 offset:40
	buffer_load_dword v71, off, s[0:3], 0 offset:44
	;; [unrolled: 1-line block ×4, first 2 shown]
	v_mov_b32_e32 v64, 0
	ds_read_b128 v[64:67], v64 offset:480
	s_waitcnt vmcnt(2) lgkmcnt(0)
	v_mul_f64 v[74:75], v[64:65], v[70:71]
	v_mul_f64 v[70:71], v[66:67], v[70:71]
	s_waitcnt vmcnt(0)
	v_fma_f64 v[66:67], v[66:67], v[72:73], v[74:75]
	v_fma_f64 v[64:65], v[64:65], v[72:73], -v[70:71]
	v_add_f64 v[3:4], v[3:4], v[66:67]
	v_add_f64 v[1:2], v[1:2], v[64:65]
.LBB28_22:
	s_or_b32 exec_lo, exec_lo, s42
	v_mov_b32_e32 v64, 0
	ds_read_b128 v[64:67], v64 offset:32
	s_waitcnt lgkmcnt(0)
	v_mul_f64 v[70:71], v[3:4], v[66:67]
	v_mul_f64 v[66:67], v[1:2], v[66:67]
	v_fma_f64 v[1:2], v[1:2], v[64:65], -v[70:71]
	v_fma_f64 v[3:4], v[3:4], v[64:65], v[66:67]
	buffer_store_dword v2, off, s[0:3], 0 offset:52
	buffer_store_dword v1, off, s[0:3], 0 offset:48
	;; [unrolled: 1-line block ×4, first 2 shown]
.LBB28_23:
	s_or_b32 exec_lo, exec_lo, s5
	v_mov_b32_e32 v4, s39
	s_waitcnt_vscnt null, 0x0
	s_barrier
	buffer_gl0_inv
	v_add_nc_u32_e32 v64, -1, v0
	s_clause 0x3
	buffer_load_dword v1, v4, s[0:3], 0 offen
	buffer_load_dword v2, v4, s[0:3], 0 offen offset:4
	buffer_load_dword v3, v4, s[0:3], 0 offen offset:8
	;; [unrolled: 1-line block ×3, first 2 shown]
	s_mov_b32 s4, exec_lo
	s_waitcnt vmcnt(0)
	ds_write_b128 v63, v[1:4]
	s_waitcnt lgkmcnt(0)
	s_barrier
	buffer_gl0_inv
	v_cmpx_gt_u32_e32 3, v0
	s_cbranch_execz .LBB28_27
; %bb.24:
	v_mov_b32_e32 v1, 0
	v_mov_b32_e32 v3, 0
	v_add_nc_u32_e32 v65, -1, v0
	v_add_nc_u32_e32 v66, 0x1d0, v69
	v_mov_b32_e32 v2, 0
	v_mov_b32_e32 v4, 0
	v_add_nc_u32_e32 v67, 16, v69
	s_mov_b32 s5, 0
	.p2align	6
.LBB28_25:                              ; =>This Inner Loop Header: Depth=1
	s_clause 0x3
	buffer_load_dword v74, v67, s[0:3], 0 offen offset:8
	buffer_load_dword v75, v67, s[0:3], 0 offen offset:12
	buffer_load_dword v76, v67, s[0:3], 0 offen
	buffer_load_dword v77, v67, s[0:3], 0 offen offset:4
	ds_read_b128 v[70:73], v66
	v_add_nc_u32_e32 v65, 1, v65
	v_add_nc_u32_e32 v66, 16, v66
	;; [unrolled: 1-line block ×3, first 2 shown]
	v_cmp_lt_u32_e32 vcc_lo, 1, v65
	s_or_b32 s5, vcc_lo, s5
	s_waitcnt vmcnt(2) lgkmcnt(0)
	v_mul_f64 v[78:79], v[72:73], v[74:75]
	v_mul_f64 v[74:75], v[70:71], v[74:75]
	s_waitcnt vmcnt(0)
	v_fma_f64 v[70:71], v[70:71], v[76:77], -v[78:79]
	v_fma_f64 v[72:73], v[72:73], v[76:77], v[74:75]
	v_add_f64 v[3:4], v[3:4], v[70:71]
	v_add_f64 v[1:2], v[1:2], v[72:73]
	s_andn2_b32 exec_lo, exec_lo, s5
	s_cbranch_execnz .LBB28_25
; %bb.26:
	s_or_b32 exec_lo, exec_lo, s5
	v_mov_b32_e32 v65, 0
	ds_read_b128 v[65:68], v65 offset:48
	s_waitcnt lgkmcnt(0)
	v_mul_f64 v[70:71], v[1:2], v[67:68]
	v_mul_f64 v[67:68], v[3:4], v[67:68]
	v_fma_f64 v[3:4], v[3:4], v[65:66], -v[70:71]
	v_fma_f64 v[1:2], v[1:2], v[65:66], v[67:68]
	buffer_store_dword v4, off, s[0:3], 0 offset:68
	buffer_store_dword v3, off, s[0:3], 0 offset:64
	;; [unrolled: 1-line block ×4, first 2 shown]
.LBB28_27:
	s_or_b32 exec_lo, exec_lo, s4
	v_mov_b32_e32 v4, s38
	s_waitcnt_vscnt null, 0x0
	s_barrier
	buffer_gl0_inv
	s_mov_b32 s4, exec_lo
	s_clause 0x3
	buffer_load_dword v1, v4, s[0:3], 0 offen
	buffer_load_dword v2, v4, s[0:3], 0 offen offset:4
	buffer_load_dword v3, v4, s[0:3], 0 offen offset:8
	;; [unrolled: 1-line block ×3, first 2 shown]
	s_waitcnt vmcnt(0)
	ds_write_b128 v63, v[1:4]
	s_waitcnt lgkmcnt(0)
	s_barrier
	buffer_gl0_inv
	v_cmpx_gt_u32_e32 4, v0
	s_cbranch_execz .LBB28_31
; %bb.28:
	v_mov_b32_e32 v1, 0
	v_mov_b32_e32 v3, 0
	v_add_nc_u32_e32 v65, -1, v0
	v_add_nc_u32_e32 v66, 0x1d0, v69
	v_mov_b32_e32 v2, 0
	v_mov_b32_e32 v4, 0
	v_add_nc_u32_e32 v67, 16, v69
	s_mov_b32 s5, 0
	.p2align	6
.LBB28_29:                              ; =>This Inner Loop Header: Depth=1
	s_clause 0x3
	buffer_load_dword v74, v67, s[0:3], 0 offen offset:8
	buffer_load_dword v75, v67, s[0:3], 0 offen offset:12
	buffer_load_dword v76, v67, s[0:3], 0 offen
	buffer_load_dword v77, v67, s[0:3], 0 offen offset:4
	ds_read_b128 v[70:73], v66
	v_add_nc_u32_e32 v65, 1, v65
	v_add_nc_u32_e32 v66, 16, v66
	;; [unrolled: 1-line block ×3, first 2 shown]
	v_cmp_lt_u32_e32 vcc_lo, 2, v65
	s_or_b32 s5, vcc_lo, s5
	s_waitcnt vmcnt(2) lgkmcnt(0)
	v_mul_f64 v[78:79], v[72:73], v[74:75]
	v_mul_f64 v[74:75], v[70:71], v[74:75]
	s_waitcnt vmcnt(0)
	v_fma_f64 v[70:71], v[70:71], v[76:77], -v[78:79]
	v_fma_f64 v[72:73], v[72:73], v[76:77], v[74:75]
	v_add_f64 v[3:4], v[3:4], v[70:71]
	v_add_f64 v[1:2], v[1:2], v[72:73]
	s_andn2_b32 exec_lo, exec_lo, s5
	s_cbranch_execnz .LBB28_29
; %bb.30:
	s_or_b32 exec_lo, exec_lo, s5
	v_mov_b32_e32 v65, 0
	ds_read_b128 v[65:68], v65 offset:64
	s_waitcnt lgkmcnt(0)
	v_mul_f64 v[70:71], v[1:2], v[67:68]
	v_mul_f64 v[67:68], v[3:4], v[67:68]
	v_fma_f64 v[3:4], v[3:4], v[65:66], -v[70:71]
	v_fma_f64 v[1:2], v[1:2], v[65:66], v[67:68]
	buffer_store_dword v4, off, s[0:3], 0 offset:84
	buffer_store_dword v3, off, s[0:3], 0 offset:80
	;; [unrolled: 1-line block ×4, first 2 shown]
.LBB28_31:
	s_or_b32 exec_lo, exec_lo, s4
	v_mov_b32_e32 v4, s36
	s_waitcnt_vscnt null, 0x0
	s_barrier
	buffer_gl0_inv
	s_mov_b32 s4, exec_lo
	s_clause 0x3
	buffer_load_dword v1, v4, s[0:3], 0 offen
	buffer_load_dword v2, v4, s[0:3], 0 offen offset:4
	buffer_load_dword v3, v4, s[0:3], 0 offen offset:8
	;; [unrolled: 1-line block ×3, first 2 shown]
	s_waitcnt vmcnt(0)
	ds_write_b128 v63, v[1:4]
	s_waitcnt lgkmcnt(0)
	s_barrier
	buffer_gl0_inv
	v_cmpx_gt_u32_e32 5, v0
	s_cbranch_execz .LBB28_35
; %bb.32:
	v_mov_b32_e32 v1, 0
	v_mov_b32_e32 v3, 0
	v_add_nc_u32_e32 v65, -1, v0
	v_add_nc_u32_e32 v66, 0x1d0, v69
	v_mov_b32_e32 v2, 0
	v_mov_b32_e32 v4, 0
	v_add_nc_u32_e32 v67, 16, v69
	s_mov_b32 s5, 0
	.p2align	6
.LBB28_33:                              ; =>This Inner Loop Header: Depth=1
	s_clause 0x3
	buffer_load_dword v74, v67, s[0:3], 0 offen offset:8
	buffer_load_dword v75, v67, s[0:3], 0 offen offset:12
	buffer_load_dword v76, v67, s[0:3], 0 offen
	buffer_load_dword v77, v67, s[0:3], 0 offen offset:4
	ds_read_b128 v[70:73], v66
	v_add_nc_u32_e32 v65, 1, v65
	v_add_nc_u32_e32 v66, 16, v66
	;; [unrolled: 1-line block ×3, first 2 shown]
	v_cmp_lt_u32_e32 vcc_lo, 3, v65
	s_or_b32 s5, vcc_lo, s5
	s_waitcnt vmcnt(2) lgkmcnt(0)
	v_mul_f64 v[78:79], v[72:73], v[74:75]
	v_mul_f64 v[74:75], v[70:71], v[74:75]
	s_waitcnt vmcnt(0)
	v_fma_f64 v[70:71], v[70:71], v[76:77], -v[78:79]
	v_fma_f64 v[72:73], v[72:73], v[76:77], v[74:75]
	v_add_f64 v[3:4], v[3:4], v[70:71]
	v_add_f64 v[1:2], v[1:2], v[72:73]
	s_andn2_b32 exec_lo, exec_lo, s5
	s_cbranch_execnz .LBB28_33
; %bb.34:
	s_or_b32 exec_lo, exec_lo, s5
	v_mov_b32_e32 v65, 0
	ds_read_b128 v[65:68], v65 offset:80
	s_waitcnt lgkmcnt(0)
	v_mul_f64 v[70:71], v[1:2], v[67:68]
	v_mul_f64 v[67:68], v[3:4], v[67:68]
	v_fma_f64 v[3:4], v[3:4], v[65:66], -v[70:71]
	v_fma_f64 v[1:2], v[1:2], v[65:66], v[67:68]
	buffer_store_dword v4, off, s[0:3], 0 offset:100
	buffer_store_dword v3, off, s[0:3], 0 offset:96
	;; [unrolled: 1-line block ×4, first 2 shown]
.LBB28_35:
	s_or_b32 exec_lo, exec_lo, s4
	v_mov_b32_e32 v4, s35
	s_waitcnt_vscnt null, 0x0
	s_barrier
	buffer_gl0_inv
	s_mov_b32 s4, exec_lo
	s_clause 0x3
	buffer_load_dword v1, v4, s[0:3], 0 offen
	buffer_load_dword v2, v4, s[0:3], 0 offen offset:4
	buffer_load_dword v3, v4, s[0:3], 0 offen offset:8
	;; [unrolled: 1-line block ×3, first 2 shown]
	s_waitcnt vmcnt(0)
	ds_write_b128 v63, v[1:4]
	s_waitcnt lgkmcnt(0)
	s_barrier
	buffer_gl0_inv
	v_cmpx_gt_u32_e32 6, v0
	s_cbranch_execz .LBB28_39
; %bb.36:
	v_mov_b32_e32 v1, 0
	v_mov_b32_e32 v3, 0
	v_add_nc_u32_e32 v65, -1, v0
	v_add_nc_u32_e32 v66, 0x1d0, v69
	v_mov_b32_e32 v2, 0
	v_mov_b32_e32 v4, 0
	v_add_nc_u32_e32 v67, 16, v69
	s_mov_b32 s5, 0
	.p2align	6
.LBB28_37:                              ; =>This Inner Loop Header: Depth=1
	s_clause 0x3
	buffer_load_dword v74, v67, s[0:3], 0 offen offset:8
	buffer_load_dword v75, v67, s[0:3], 0 offen offset:12
	buffer_load_dword v76, v67, s[0:3], 0 offen
	buffer_load_dword v77, v67, s[0:3], 0 offen offset:4
	ds_read_b128 v[70:73], v66
	v_add_nc_u32_e32 v65, 1, v65
	v_add_nc_u32_e32 v66, 16, v66
	;; [unrolled: 1-line block ×3, first 2 shown]
	v_cmp_lt_u32_e32 vcc_lo, 4, v65
	s_or_b32 s5, vcc_lo, s5
	s_waitcnt vmcnt(2) lgkmcnt(0)
	v_mul_f64 v[78:79], v[72:73], v[74:75]
	v_mul_f64 v[74:75], v[70:71], v[74:75]
	s_waitcnt vmcnt(0)
	v_fma_f64 v[70:71], v[70:71], v[76:77], -v[78:79]
	v_fma_f64 v[72:73], v[72:73], v[76:77], v[74:75]
	v_add_f64 v[3:4], v[3:4], v[70:71]
	v_add_f64 v[1:2], v[1:2], v[72:73]
	s_andn2_b32 exec_lo, exec_lo, s5
	s_cbranch_execnz .LBB28_37
; %bb.38:
	s_or_b32 exec_lo, exec_lo, s5
	v_mov_b32_e32 v65, 0
	ds_read_b128 v[65:68], v65 offset:96
	s_waitcnt lgkmcnt(0)
	v_mul_f64 v[70:71], v[1:2], v[67:68]
	v_mul_f64 v[67:68], v[3:4], v[67:68]
	v_fma_f64 v[3:4], v[3:4], v[65:66], -v[70:71]
	v_fma_f64 v[1:2], v[1:2], v[65:66], v[67:68]
	buffer_store_dword v4, off, s[0:3], 0 offset:116
	buffer_store_dword v3, off, s[0:3], 0 offset:112
	;; [unrolled: 1-line block ×4, first 2 shown]
.LBB28_39:
	s_or_b32 exec_lo, exec_lo, s4
	v_mov_b32_e32 v4, s34
	s_waitcnt_vscnt null, 0x0
	s_barrier
	buffer_gl0_inv
	s_mov_b32 s4, exec_lo
	s_clause 0x3
	buffer_load_dword v1, v4, s[0:3], 0 offen
	buffer_load_dword v2, v4, s[0:3], 0 offen offset:4
	buffer_load_dword v3, v4, s[0:3], 0 offen offset:8
	;; [unrolled: 1-line block ×3, first 2 shown]
	s_waitcnt vmcnt(0)
	ds_write_b128 v63, v[1:4]
	s_waitcnt lgkmcnt(0)
	s_barrier
	buffer_gl0_inv
	v_cmpx_gt_u32_e32 7, v0
	s_cbranch_execz .LBB28_43
; %bb.40:
	v_mov_b32_e32 v1, 0
	v_mov_b32_e32 v3, 0
	v_add_nc_u32_e32 v65, -1, v0
	v_add_nc_u32_e32 v66, 0x1d0, v69
	v_mov_b32_e32 v2, 0
	v_mov_b32_e32 v4, 0
	v_add_nc_u32_e32 v67, 16, v69
	s_mov_b32 s5, 0
	.p2align	6
.LBB28_41:                              ; =>This Inner Loop Header: Depth=1
	s_clause 0x3
	buffer_load_dword v74, v67, s[0:3], 0 offen offset:8
	buffer_load_dword v75, v67, s[0:3], 0 offen offset:12
	buffer_load_dword v76, v67, s[0:3], 0 offen
	buffer_load_dword v77, v67, s[0:3], 0 offen offset:4
	ds_read_b128 v[70:73], v66
	v_add_nc_u32_e32 v65, 1, v65
	v_add_nc_u32_e32 v66, 16, v66
	;; [unrolled: 1-line block ×3, first 2 shown]
	v_cmp_lt_u32_e32 vcc_lo, 5, v65
	s_or_b32 s5, vcc_lo, s5
	s_waitcnt vmcnt(2) lgkmcnt(0)
	v_mul_f64 v[78:79], v[72:73], v[74:75]
	v_mul_f64 v[74:75], v[70:71], v[74:75]
	s_waitcnt vmcnt(0)
	v_fma_f64 v[70:71], v[70:71], v[76:77], -v[78:79]
	v_fma_f64 v[72:73], v[72:73], v[76:77], v[74:75]
	v_add_f64 v[3:4], v[3:4], v[70:71]
	v_add_f64 v[1:2], v[1:2], v[72:73]
	s_andn2_b32 exec_lo, exec_lo, s5
	s_cbranch_execnz .LBB28_41
; %bb.42:
	s_or_b32 exec_lo, exec_lo, s5
	v_mov_b32_e32 v65, 0
	ds_read_b128 v[65:68], v65 offset:112
	s_waitcnt lgkmcnt(0)
	v_mul_f64 v[70:71], v[1:2], v[67:68]
	v_mul_f64 v[67:68], v[3:4], v[67:68]
	v_fma_f64 v[3:4], v[3:4], v[65:66], -v[70:71]
	v_fma_f64 v[1:2], v[1:2], v[65:66], v[67:68]
	buffer_store_dword v4, off, s[0:3], 0 offset:132
	buffer_store_dword v3, off, s[0:3], 0 offset:128
	;; [unrolled: 1-line block ×4, first 2 shown]
.LBB28_43:
	s_or_b32 exec_lo, exec_lo, s4
	v_mov_b32_e32 v4, s33
	s_waitcnt_vscnt null, 0x0
	s_barrier
	buffer_gl0_inv
	s_mov_b32 s4, exec_lo
	s_clause 0x3
	buffer_load_dword v1, v4, s[0:3], 0 offen
	buffer_load_dword v2, v4, s[0:3], 0 offen offset:4
	buffer_load_dword v3, v4, s[0:3], 0 offen offset:8
	;; [unrolled: 1-line block ×3, first 2 shown]
	s_waitcnt vmcnt(0)
	ds_write_b128 v63, v[1:4]
	s_waitcnt lgkmcnt(0)
	s_barrier
	buffer_gl0_inv
	v_cmpx_gt_u32_e32 8, v0
	s_cbranch_execz .LBB28_47
; %bb.44:
	v_mov_b32_e32 v1, 0
	v_mov_b32_e32 v3, 0
	v_add_nc_u32_e32 v65, -1, v0
	v_add_nc_u32_e32 v66, 0x1d0, v69
	v_mov_b32_e32 v2, 0
	v_mov_b32_e32 v4, 0
	v_add_nc_u32_e32 v67, 16, v69
	s_mov_b32 s5, 0
	.p2align	6
.LBB28_45:                              ; =>This Inner Loop Header: Depth=1
	s_clause 0x3
	buffer_load_dword v74, v67, s[0:3], 0 offen offset:8
	buffer_load_dword v75, v67, s[0:3], 0 offen offset:12
	buffer_load_dword v76, v67, s[0:3], 0 offen
	buffer_load_dword v77, v67, s[0:3], 0 offen offset:4
	ds_read_b128 v[70:73], v66
	v_add_nc_u32_e32 v65, 1, v65
	v_add_nc_u32_e32 v66, 16, v66
	;; [unrolled: 1-line block ×3, first 2 shown]
	v_cmp_lt_u32_e32 vcc_lo, 6, v65
	s_or_b32 s5, vcc_lo, s5
	s_waitcnt vmcnt(2) lgkmcnt(0)
	v_mul_f64 v[78:79], v[72:73], v[74:75]
	v_mul_f64 v[74:75], v[70:71], v[74:75]
	s_waitcnt vmcnt(0)
	v_fma_f64 v[70:71], v[70:71], v[76:77], -v[78:79]
	v_fma_f64 v[72:73], v[72:73], v[76:77], v[74:75]
	v_add_f64 v[3:4], v[3:4], v[70:71]
	v_add_f64 v[1:2], v[1:2], v[72:73]
	s_andn2_b32 exec_lo, exec_lo, s5
	s_cbranch_execnz .LBB28_45
; %bb.46:
	s_or_b32 exec_lo, exec_lo, s5
	v_mov_b32_e32 v65, 0
	ds_read_b128 v[65:68], v65 offset:128
	s_waitcnt lgkmcnt(0)
	v_mul_f64 v[70:71], v[1:2], v[67:68]
	v_mul_f64 v[67:68], v[3:4], v[67:68]
	v_fma_f64 v[3:4], v[3:4], v[65:66], -v[70:71]
	v_fma_f64 v[1:2], v[1:2], v[65:66], v[67:68]
	buffer_store_dword v4, off, s[0:3], 0 offset:148
	buffer_store_dword v3, off, s[0:3], 0 offset:144
	;; [unrolled: 1-line block ×4, first 2 shown]
.LBB28_47:
	s_or_b32 exec_lo, exec_lo, s4
	v_mov_b32_e32 v4, s31
	s_waitcnt_vscnt null, 0x0
	s_barrier
	buffer_gl0_inv
	s_mov_b32 s4, exec_lo
	s_clause 0x3
	buffer_load_dword v1, v4, s[0:3], 0 offen
	buffer_load_dword v2, v4, s[0:3], 0 offen offset:4
	buffer_load_dword v3, v4, s[0:3], 0 offen offset:8
	buffer_load_dword v4, v4, s[0:3], 0 offen offset:12
	s_waitcnt vmcnt(0)
	ds_write_b128 v63, v[1:4]
	s_waitcnt lgkmcnt(0)
	s_barrier
	buffer_gl0_inv
	v_cmpx_gt_u32_e32 9, v0
	s_cbranch_execz .LBB28_51
; %bb.48:
	v_mov_b32_e32 v1, 0
	v_mov_b32_e32 v3, 0
	v_add_nc_u32_e32 v65, -1, v0
	v_add_nc_u32_e32 v66, 0x1d0, v69
	v_mov_b32_e32 v2, 0
	v_mov_b32_e32 v4, 0
	v_add_nc_u32_e32 v67, 16, v69
	s_mov_b32 s5, 0
	.p2align	6
.LBB28_49:                              ; =>This Inner Loop Header: Depth=1
	s_clause 0x3
	buffer_load_dword v74, v67, s[0:3], 0 offen offset:8
	buffer_load_dword v75, v67, s[0:3], 0 offen offset:12
	buffer_load_dword v76, v67, s[0:3], 0 offen
	buffer_load_dword v77, v67, s[0:3], 0 offen offset:4
	ds_read_b128 v[70:73], v66
	v_add_nc_u32_e32 v65, 1, v65
	v_add_nc_u32_e32 v66, 16, v66
	;; [unrolled: 1-line block ×3, first 2 shown]
	v_cmp_lt_u32_e32 vcc_lo, 7, v65
	s_or_b32 s5, vcc_lo, s5
	s_waitcnt vmcnt(2) lgkmcnt(0)
	v_mul_f64 v[78:79], v[72:73], v[74:75]
	v_mul_f64 v[74:75], v[70:71], v[74:75]
	s_waitcnt vmcnt(0)
	v_fma_f64 v[70:71], v[70:71], v[76:77], -v[78:79]
	v_fma_f64 v[72:73], v[72:73], v[76:77], v[74:75]
	v_add_f64 v[3:4], v[3:4], v[70:71]
	v_add_f64 v[1:2], v[1:2], v[72:73]
	s_andn2_b32 exec_lo, exec_lo, s5
	s_cbranch_execnz .LBB28_49
; %bb.50:
	s_or_b32 exec_lo, exec_lo, s5
	v_mov_b32_e32 v65, 0
	ds_read_b128 v[65:68], v65 offset:144
	s_waitcnt lgkmcnt(0)
	v_mul_f64 v[70:71], v[1:2], v[67:68]
	v_mul_f64 v[67:68], v[3:4], v[67:68]
	v_fma_f64 v[3:4], v[3:4], v[65:66], -v[70:71]
	v_fma_f64 v[1:2], v[1:2], v[65:66], v[67:68]
	buffer_store_dword v4, off, s[0:3], 0 offset:164
	buffer_store_dword v3, off, s[0:3], 0 offset:160
	buffer_store_dword v2, off, s[0:3], 0 offset:172
	buffer_store_dword v1, off, s[0:3], 0 offset:168
.LBB28_51:
	s_or_b32 exec_lo, exec_lo, s4
	v_mov_b32_e32 v4, s30
	s_waitcnt_vscnt null, 0x0
	s_barrier
	buffer_gl0_inv
	s_mov_b32 s4, exec_lo
	s_clause 0x3
	buffer_load_dword v1, v4, s[0:3], 0 offen
	buffer_load_dword v2, v4, s[0:3], 0 offen offset:4
	buffer_load_dword v3, v4, s[0:3], 0 offen offset:8
	;; [unrolled: 1-line block ×3, first 2 shown]
	s_waitcnt vmcnt(0)
	ds_write_b128 v63, v[1:4]
	s_waitcnt lgkmcnt(0)
	s_barrier
	buffer_gl0_inv
	v_cmpx_gt_u32_e32 10, v0
	s_cbranch_execz .LBB28_55
; %bb.52:
	v_mov_b32_e32 v1, 0
	v_mov_b32_e32 v3, 0
	v_add_nc_u32_e32 v65, -1, v0
	v_add_nc_u32_e32 v66, 0x1d0, v69
	v_mov_b32_e32 v2, 0
	v_mov_b32_e32 v4, 0
	v_add_nc_u32_e32 v67, 16, v69
	s_mov_b32 s5, 0
	.p2align	6
.LBB28_53:                              ; =>This Inner Loop Header: Depth=1
	s_clause 0x3
	buffer_load_dword v74, v67, s[0:3], 0 offen offset:8
	buffer_load_dword v75, v67, s[0:3], 0 offen offset:12
	buffer_load_dword v76, v67, s[0:3], 0 offen
	buffer_load_dword v77, v67, s[0:3], 0 offen offset:4
	ds_read_b128 v[70:73], v66
	v_add_nc_u32_e32 v65, 1, v65
	v_add_nc_u32_e32 v66, 16, v66
	;; [unrolled: 1-line block ×3, first 2 shown]
	v_cmp_lt_u32_e32 vcc_lo, 8, v65
	s_or_b32 s5, vcc_lo, s5
	s_waitcnt vmcnt(2) lgkmcnt(0)
	v_mul_f64 v[78:79], v[72:73], v[74:75]
	v_mul_f64 v[74:75], v[70:71], v[74:75]
	s_waitcnt vmcnt(0)
	v_fma_f64 v[70:71], v[70:71], v[76:77], -v[78:79]
	v_fma_f64 v[72:73], v[72:73], v[76:77], v[74:75]
	v_add_f64 v[3:4], v[3:4], v[70:71]
	v_add_f64 v[1:2], v[1:2], v[72:73]
	s_andn2_b32 exec_lo, exec_lo, s5
	s_cbranch_execnz .LBB28_53
; %bb.54:
	s_or_b32 exec_lo, exec_lo, s5
	v_mov_b32_e32 v65, 0
	ds_read_b128 v[65:68], v65 offset:160
	s_waitcnt lgkmcnt(0)
	v_mul_f64 v[70:71], v[1:2], v[67:68]
	v_mul_f64 v[67:68], v[3:4], v[67:68]
	v_fma_f64 v[3:4], v[3:4], v[65:66], -v[70:71]
	v_fma_f64 v[1:2], v[1:2], v[65:66], v[67:68]
	buffer_store_dword v4, off, s[0:3], 0 offset:180
	buffer_store_dword v3, off, s[0:3], 0 offset:176
	buffer_store_dword v2, off, s[0:3], 0 offset:188
	buffer_store_dword v1, off, s[0:3], 0 offset:184
.LBB28_55:
	s_or_b32 exec_lo, exec_lo, s4
	v_mov_b32_e32 v4, s29
	s_waitcnt_vscnt null, 0x0
	s_barrier
	buffer_gl0_inv
	s_mov_b32 s4, exec_lo
	s_clause 0x3
	buffer_load_dword v1, v4, s[0:3], 0 offen
	buffer_load_dword v2, v4, s[0:3], 0 offen offset:4
	buffer_load_dword v3, v4, s[0:3], 0 offen offset:8
	;; [unrolled: 1-line block ×3, first 2 shown]
	s_waitcnt vmcnt(0)
	ds_write_b128 v63, v[1:4]
	s_waitcnt lgkmcnt(0)
	s_barrier
	buffer_gl0_inv
	v_cmpx_gt_u32_e32 11, v0
	s_cbranch_execz .LBB28_59
; %bb.56:
	v_mov_b32_e32 v1, 0
	v_mov_b32_e32 v3, 0
	v_add_nc_u32_e32 v65, -1, v0
	v_add_nc_u32_e32 v66, 0x1d0, v69
	v_mov_b32_e32 v2, 0
	v_mov_b32_e32 v4, 0
	v_add_nc_u32_e32 v67, 16, v69
	s_mov_b32 s5, 0
	.p2align	6
.LBB28_57:                              ; =>This Inner Loop Header: Depth=1
	s_clause 0x3
	buffer_load_dword v74, v67, s[0:3], 0 offen offset:8
	buffer_load_dword v75, v67, s[0:3], 0 offen offset:12
	buffer_load_dword v76, v67, s[0:3], 0 offen
	buffer_load_dword v77, v67, s[0:3], 0 offen offset:4
	ds_read_b128 v[70:73], v66
	v_add_nc_u32_e32 v65, 1, v65
	v_add_nc_u32_e32 v66, 16, v66
	;; [unrolled: 1-line block ×3, first 2 shown]
	v_cmp_lt_u32_e32 vcc_lo, 9, v65
	s_or_b32 s5, vcc_lo, s5
	s_waitcnt vmcnt(2) lgkmcnt(0)
	v_mul_f64 v[78:79], v[72:73], v[74:75]
	v_mul_f64 v[74:75], v[70:71], v[74:75]
	s_waitcnt vmcnt(0)
	v_fma_f64 v[70:71], v[70:71], v[76:77], -v[78:79]
	v_fma_f64 v[72:73], v[72:73], v[76:77], v[74:75]
	v_add_f64 v[3:4], v[3:4], v[70:71]
	v_add_f64 v[1:2], v[1:2], v[72:73]
	s_andn2_b32 exec_lo, exec_lo, s5
	s_cbranch_execnz .LBB28_57
; %bb.58:
	s_or_b32 exec_lo, exec_lo, s5
	v_mov_b32_e32 v65, 0
	ds_read_b128 v[65:68], v65 offset:176
	s_waitcnt lgkmcnt(0)
	v_mul_f64 v[70:71], v[1:2], v[67:68]
	v_mul_f64 v[67:68], v[3:4], v[67:68]
	v_fma_f64 v[3:4], v[3:4], v[65:66], -v[70:71]
	v_fma_f64 v[1:2], v[1:2], v[65:66], v[67:68]
	buffer_store_dword v4, off, s[0:3], 0 offset:196
	buffer_store_dword v3, off, s[0:3], 0 offset:192
	;; [unrolled: 1-line block ×4, first 2 shown]
.LBB28_59:
	s_or_b32 exec_lo, exec_lo, s4
	v_mov_b32_e32 v4, s28
	s_waitcnt_vscnt null, 0x0
	s_barrier
	buffer_gl0_inv
	s_mov_b32 s4, exec_lo
	s_clause 0x3
	buffer_load_dword v1, v4, s[0:3], 0 offen
	buffer_load_dword v2, v4, s[0:3], 0 offen offset:4
	buffer_load_dword v3, v4, s[0:3], 0 offen offset:8
	buffer_load_dword v4, v4, s[0:3], 0 offen offset:12
	s_waitcnt vmcnt(0)
	ds_write_b128 v63, v[1:4]
	s_waitcnt lgkmcnt(0)
	s_barrier
	buffer_gl0_inv
	v_cmpx_gt_u32_e32 12, v0
	s_cbranch_execz .LBB28_63
; %bb.60:
	v_mov_b32_e32 v1, 0
	v_mov_b32_e32 v3, 0
	v_add_nc_u32_e32 v65, -1, v0
	v_add_nc_u32_e32 v66, 0x1d0, v69
	v_mov_b32_e32 v2, 0
	v_mov_b32_e32 v4, 0
	v_add_nc_u32_e32 v67, 16, v69
	s_mov_b32 s5, 0
	.p2align	6
.LBB28_61:                              ; =>This Inner Loop Header: Depth=1
	s_clause 0x3
	buffer_load_dword v74, v67, s[0:3], 0 offen offset:8
	buffer_load_dword v75, v67, s[0:3], 0 offen offset:12
	buffer_load_dword v76, v67, s[0:3], 0 offen
	buffer_load_dword v77, v67, s[0:3], 0 offen offset:4
	ds_read_b128 v[70:73], v66
	v_add_nc_u32_e32 v65, 1, v65
	v_add_nc_u32_e32 v66, 16, v66
	;; [unrolled: 1-line block ×3, first 2 shown]
	v_cmp_lt_u32_e32 vcc_lo, 10, v65
	s_or_b32 s5, vcc_lo, s5
	s_waitcnt vmcnt(2) lgkmcnt(0)
	v_mul_f64 v[78:79], v[72:73], v[74:75]
	v_mul_f64 v[74:75], v[70:71], v[74:75]
	s_waitcnt vmcnt(0)
	v_fma_f64 v[70:71], v[70:71], v[76:77], -v[78:79]
	v_fma_f64 v[72:73], v[72:73], v[76:77], v[74:75]
	v_add_f64 v[3:4], v[3:4], v[70:71]
	v_add_f64 v[1:2], v[1:2], v[72:73]
	s_andn2_b32 exec_lo, exec_lo, s5
	s_cbranch_execnz .LBB28_61
; %bb.62:
	s_or_b32 exec_lo, exec_lo, s5
	v_mov_b32_e32 v65, 0
	ds_read_b128 v[65:68], v65 offset:192
	s_waitcnt lgkmcnt(0)
	v_mul_f64 v[70:71], v[1:2], v[67:68]
	v_mul_f64 v[67:68], v[3:4], v[67:68]
	v_fma_f64 v[3:4], v[3:4], v[65:66], -v[70:71]
	v_fma_f64 v[1:2], v[1:2], v[65:66], v[67:68]
	buffer_store_dword v4, off, s[0:3], 0 offset:212
	buffer_store_dword v3, off, s[0:3], 0 offset:208
	;; [unrolled: 1-line block ×4, first 2 shown]
.LBB28_63:
	s_or_b32 exec_lo, exec_lo, s4
	v_mov_b32_e32 v4, s27
	s_waitcnt_vscnt null, 0x0
	s_barrier
	buffer_gl0_inv
	s_mov_b32 s4, exec_lo
	s_clause 0x3
	buffer_load_dword v1, v4, s[0:3], 0 offen
	buffer_load_dword v2, v4, s[0:3], 0 offen offset:4
	buffer_load_dword v3, v4, s[0:3], 0 offen offset:8
	;; [unrolled: 1-line block ×3, first 2 shown]
	s_waitcnt vmcnt(0)
	ds_write_b128 v63, v[1:4]
	s_waitcnt lgkmcnt(0)
	s_barrier
	buffer_gl0_inv
	v_cmpx_gt_u32_e32 13, v0
	s_cbranch_execz .LBB28_67
; %bb.64:
	v_mov_b32_e32 v1, 0
	v_mov_b32_e32 v3, 0
	v_add_nc_u32_e32 v65, -1, v0
	v_add_nc_u32_e32 v66, 0x1d0, v69
	v_mov_b32_e32 v2, 0
	v_mov_b32_e32 v4, 0
	v_add_nc_u32_e32 v67, 16, v69
	s_mov_b32 s5, 0
	.p2align	6
.LBB28_65:                              ; =>This Inner Loop Header: Depth=1
	s_clause 0x3
	buffer_load_dword v74, v67, s[0:3], 0 offen offset:8
	buffer_load_dword v75, v67, s[0:3], 0 offen offset:12
	buffer_load_dword v76, v67, s[0:3], 0 offen
	buffer_load_dword v77, v67, s[0:3], 0 offen offset:4
	ds_read_b128 v[70:73], v66
	v_add_nc_u32_e32 v65, 1, v65
	v_add_nc_u32_e32 v66, 16, v66
	;; [unrolled: 1-line block ×3, first 2 shown]
	v_cmp_lt_u32_e32 vcc_lo, 11, v65
	s_or_b32 s5, vcc_lo, s5
	s_waitcnt vmcnt(2) lgkmcnt(0)
	v_mul_f64 v[78:79], v[72:73], v[74:75]
	v_mul_f64 v[74:75], v[70:71], v[74:75]
	s_waitcnt vmcnt(0)
	v_fma_f64 v[70:71], v[70:71], v[76:77], -v[78:79]
	v_fma_f64 v[72:73], v[72:73], v[76:77], v[74:75]
	v_add_f64 v[3:4], v[3:4], v[70:71]
	v_add_f64 v[1:2], v[1:2], v[72:73]
	s_andn2_b32 exec_lo, exec_lo, s5
	s_cbranch_execnz .LBB28_65
; %bb.66:
	s_or_b32 exec_lo, exec_lo, s5
	v_mov_b32_e32 v65, 0
	ds_read_b128 v[65:68], v65 offset:208
	s_waitcnt lgkmcnt(0)
	v_mul_f64 v[70:71], v[1:2], v[67:68]
	v_mul_f64 v[67:68], v[3:4], v[67:68]
	v_fma_f64 v[3:4], v[3:4], v[65:66], -v[70:71]
	v_fma_f64 v[1:2], v[1:2], v[65:66], v[67:68]
	buffer_store_dword v4, off, s[0:3], 0 offset:228
	buffer_store_dword v3, off, s[0:3], 0 offset:224
	;; [unrolled: 1-line block ×4, first 2 shown]
.LBB28_67:
	s_or_b32 exec_lo, exec_lo, s4
	v_mov_b32_e32 v4, s26
	s_waitcnt_vscnt null, 0x0
	s_barrier
	buffer_gl0_inv
	s_mov_b32 s4, exec_lo
	s_clause 0x3
	buffer_load_dword v1, v4, s[0:3], 0 offen
	buffer_load_dword v2, v4, s[0:3], 0 offen offset:4
	buffer_load_dword v3, v4, s[0:3], 0 offen offset:8
	;; [unrolled: 1-line block ×3, first 2 shown]
	s_waitcnt vmcnt(0)
	ds_write_b128 v63, v[1:4]
	s_waitcnt lgkmcnt(0)
	s_barrier
	buffer_gl0_inv
	v_cmpx_gt_u32_e32 14, v0
	s_cbranch_execz .LBB28_71
; %bb.68:
	v_mov_b32_e32 v1, 0
	v_mov_b32_e32 v3, 0
	v_add_nc_u32_e32 v65, -1, v0
	v_add_nc_u32_e32 v66, 0x1d0, v69
	v_mov_b32_e32 v2, 0
	v_mov_b32_e32 v4, 0
	v_add_nc_u32_e32 v67, 16, v69
	s_mov_b32 s5, 0
	.p2align	6
.LBB28_69:                              ; =>This Inner Loop Header: Depth=1
	s_clause 0x3
	buffer_load_dword v74, v67, s[0:3], 0 offen offset:8
	buffer_load_dword v75, v67, s[0:3], 0 offen offset:12
	buffer_load_dword v76, v67, s[0:3], 0 offen
	buffer_load_dword v77, v67, s[0:3], 0 offen offset:4
	ds_read_b128 v[70:73], v66
	v_add_nc_u32_e32 v65, 1, v65
	v_add_nc_u32_e32 v66, 16, v66
	;; [unrolled: 1-line block ×3, first 2 shown]
	v_cmp_lt_u32_e32 vcc_lo, 12, v65
	s_or_b32 s5, vcc_lo, s5
	s_waitcnt vmcnt(2) lgkmcnt(0)
	v_mul_f64 v[78:79], v[72:73], v[74:75]
	v_mul_f64 v[74:75], v[70:71], v[74:75]
	s_waitcnt vmcnt(0)
	v_fma_f64 v[70:71], v[70:71], v[76:77], -v[78:79]
	v_fma_f64 v[72:73], v[72:73], v[76:77], v[74:75]
	v_add_f64 v[3:4], v[3:4], v[70:71]
	v_add_f64 v[1:2], v[1:2], v[72:73]
	s_andn2_b32 exec_lo, exec_lo, s5
	s_cbranch_execnz .LBB28_69
; %bb.70:
	s_or_b32 exec_lo, exec_lo, s5
	v_mov_b32_e32 v65, 0
	ds_read_b128 v[65:68], v65 offset:224
	s_waitcnt lgkmcnt(0)
	v_mul_f64 v[70:71], v[1:2], v[67:68]
	v_mul_f64 v[67:68], v[3:4], v[67:68]
	v_fma_f64 v[3:4], v[3:4], v[65:66], -v[70:71]
	v_fma_f64 v[1:2], v[1:2], v[65:66], v[67:68]
	buffer_store_dword v4, off, s[0:3], 0 offset:244
	buffer_store_dword v3, off, s[0:3], 0 offset:240
	;; [unrolled: 1-line block ×4, first 2 shown]
.LBB28_71:
	s_or_b32 exec_lo, exec_lo, s4
	v_mov_b32_e32 v4, s25
	s_waitcnt_vscnt null, 0x0
	s_barrier
	buffer_gl0_inv
	s_mov_b32 s4, exec_lo
	s_clause 0x3
	buffer_load_dword v1, v4, s[0:3], 0 offen
	buffer_load_dword v2, v4, s[0:3], 0 offen offset:4
	buffer_load_dword v3, v4, s[0:3], 0 offen offset:8
	;; [unrolled: 1-line block ×3, first 2 shown]
	s_waitcnt vmcnt(0)
	ds_write_b128 v63, v[1:4]
	s_waitcnt lgkmcnt(0)
	s_barrier
	buffer_gl0_inv
	v_cmpx_gt_u32_e32 15, v0
	s_cbranch_execz .LBB28_75
; %bb.72:
	v_mov_b32_e32 v1, 0
	v_mov_b32_e32 v3, 0
	v_add_nc_u32_e32 v65, -1, v0
	v_add_nc_u32_e32 v66, 0x1d0, v69
	v_mov_b32_e32 v2, 0
	v_mov_b32_e32 v4, 0
	v_add_nc_u32_e32 v67, 16, v69
	s_mov_b32 s5, 0
	.p2align	6
.LBB28_73:                              ; =>This Inner Loop Header: Depth=1
	s_clause 0x3
	buffer_load_dword v74, v67, s[0:3], 0 offen offset:8
	buffer_load_dword v75, v67, s[0:3], 0 offen offset:12
	buffer_load_dword v76, v67, s[0:3], 0 offen
	buffer_load_dword v77, v67, s[0:3], 0 offen offset:4
	ds_read_b128 v[70:73], v66
	v_add_nc_u32_e32 v65, 1, v65
	v_add_nc_u32_e32 v66, 16, v66
	;; [unrolled: 1-line block ×3, first 2 shown]
	v_cmp_lt_u32_e32 vcc_lo, 13, v65
	s_or_b32 s5, vcc_lo, s5
	s_waitcnt vmcnt(2) lgkmcnt(0)
	v_mul_f64 v[78:79], v[72:73], v[74:75]
	v_mul_f64 v[74:75], v[70:71], v[74:75]
	s_waitcnt vmcnt(0)
	v_fma_f64 v[70:71], v[70:71], v[76:77], -v[78:79]
	v_fma_f64 v[72:73], v[72:73], v[76:77], v[74:75]
	v_add_f64 v[3:4], v[3:4], v[70:71]
	v_add_f64 v[1:2], v[1:2], v[72:73]
	s_andn2_b32 exec_lo, exec_lo, s5
	s_cbranch_execnz .LBB28_73
; %bb.74:
	s_or_b32 exec_lo, exec_lo, s5
	v_mov_b32_e32 v65, 0
	ds_read_b128 v[65:68], v65 offset:240
	s_waitcnt lgkmcnt(0)
	v_mul_f64 v[70:71], v[1:2], v[67:68]
	v_mul_f64 v[67:68], v[3:4], v[67:68]
	v_fma_f64 v[3:4], v[3:4], v[65:66], -v[70:71]
	v_fma_f64 v[1:2], v[1:2], v[65:66], v[67:68]
	buffer_store_dword v4, off, s[0:3], 0 offset:260
	buffer_store_dword v3, off, s[0:3], 0 offset:256
	;; [unrolled: 1-line block ×4, first 2 shown]
.LBB28_75:
	s_or_b32 exec_lo, exec_lo, s4
	v_mov_b32_e32 v4, s24
	s_waitcnt_vscnt null, 0x0
	s_barrier
	buffer_gl0_inv
	s_mov_b32 s4, exec_lo
	s_clause 0x3
	buffer_load_dword v1, v4, s[0:3], 0 offen
	buffer_load_dword v2, v4, s[0:3], 0 offen offset:4
	buffer_load_dword v3, v4, s[0:3], 0 offen offset:8
	buffer_load_dword v4, v4, s[0:3], 0 offen offset:12
	s_waitcnt vmcnt(0)
	ds_write_b128 v63, v[1:4]
	s_waitcnt lgkmcnt(0)
	s_barrier
	buffer_gl0_inv
	v_cmpx_gt_u32_e32 16, v0
	s_cbranch_execz .LBB28_79
; %bb.76:
	v_mov_b32_e32 v1, 0
	v_mov_b32_e32 v3, 0
	v_add_nc_u32_e32 v65, -1, v0
	v_add_nc_u32_e32 v66, 0x1d0, v69
	v_mov_b32_e32 v2, 0
	v_mov_b32_e32 v4, 0
	v_add_nc_u32_e32 v67, 16, v69
	s_mov_b32 s5, 0
	.p2align	6
.LBB28_77:                              ; =>This Inner Loop Header: Depth=1
	s_clause 0x3
	buffer_load_dword v74, v67, s[0:3], 0 offen offset:8
	buffer_load_dword v75, v67, s[0:3], 0 offen offset:12
	buffer_load_dword v76, v67, s[0:3], 0 offen
	buffer_load_dword v77, v67, s[0:3], 0 offen offset:4
	ds_read_b128 v[70:73], v66
	v_add_nc_u32_e32 v65, 1, v65
	v_add_nc_u32_e32 v66, 16, v66
	;; [unrolled: 1-line block ×3, first 2 shown]
	v_cmp_lt_u32_e32 vcc_lo, 14, v65
	s_or_b32 s5, vcc_lo, s5
	s_waitcnt vmcnt(2) lgkmcnt(0)
	v_mul_f64 v[78:79], v[72:73], v[74:75]
	v_mul_f64 v[74:75], v[70:71], v[74:75]
	s_waitcnt vmcnt(0)
	v_fma_f64 v[70:71], v[70:71], v[76:77], -v[78:79]
	v_fma_f64 v[72:73], v[72:73], v[76:77], v[74:75]
	v_add_f64 v[3:4], v[3:4], v[70:71]
	v_add_f64 v[1:2], v[1:2], v[72:73]
	s_andn2_b32 exec_lo, exec_lo, s5
	s_cbranch_execnz .LBB28_77
; %bb.78:
	s_or_b32 exec_lo, exec_lo, s5
	v_mov_b32_e32 v65, 0
	ds_read_b128 v[65:68], v65 offset:256
	s_waitcnt lgkmcnt(0)
	v_mul_f64 v[70:71], v[1:2], v[67:68]
	v_mul_f64 v[67:68], v[3:4], v[67:68]
	v_fma_f64 v[3:4], v[3:4], v[65:66], -v[70:71]
	v_fma_f64 v[1:2], v[1:2], v[65:66], v[67:68]
	buffer_store_dword v4, off, s[0:3], 0 offset:276
	buffer_store_dword v3, off, s[0:3], 0 offset:272
	;; [unrolled: 1-line block ×4, first 2 shown]
.LBB28_79:
	s_or_b32 exec_lo, exec_lo, s4
	v_mov_b32_e32 v4, s23
	s_waitcnt_vscnt null, 0x0
	s_barrier
	buffer_gl0_inv
	s_mov_b32 s4, exec_lo
	s_clause 0x3
	buffer_load_dword v1, v4, s[0:3], 0 offen
	buffer_load_dword v2, v4, s[0:3], 0 offen offset:4
	buffer_load_dword v3, v4, s[0:3], 0 offen offset:8
	;; [unrolled: 1-line block ×3, first 2 shown]
	s_waitcnt vmcnt(0)
	ds_write_b128 v63, v[1:4]
	s_waitcnt lgkmcnt(0)
	s_barrier
	buffer_gl0_inv
	v_cmpx_gt_u32_e32 17, v0
	s_cbranch_execz .LBB28_83
; %bb.80:
	v_mov_b32_e32 v1, 0
	v_mov_b32_e32 v3, 0
	v_add_nc_u32_e32 v65, -1, v0
	v_add_nc_u32_e32 v66, 0x1d0, v69
	v_mov_b32_e32 v2, 0
	v_mov_b32_e32 v4, 0
	v_add_nc_u32_e32 v67, 16, v69
	s_mov_b32 s5, 0
	.p2align	6
.LBB28_81:                              ; =>This Inner Loop Header: Depth=1
	s_clause 0x3
	buffer_load_dword v74, v67, s[0:3], 0 offen offset:8
	buffer_load_dword v75, v67, s[0:3], 0 offen offset:12
	buffer_load_dword v76, v67, s[0:3], 0 offen
	buffer_load_dword v77, v67, s[0:3], 0 offen offset:4
	ds_read_b128 v[70:73], v66
	v_add_nc_u32_e32 v65, 1, v65
	v_add_nc_u32_e32 v66, 16, v66
	;; [unrolled: 1-line block ×3, first 2 shown]
	v_cmp_lt_u32_e32 vcc_lo, 15, v65
	s_or_b32 s5, vcc_lo, s5
	s_waitcnt vmcnt(2) lgkmcnt(0)
	v_mul_f64 v[78:79], v[72:73], v[74:75]
	v_mul_f64 v[74:75], v[70:71], v[74:75]
	s_waitcnt vmcnt(0)
	v_fma_f64 v[70:71], v[70:71], v[76:77], -v[78:79]
	v_fma_f64 v[72:73], v[72:73], v[76:77], v[74:75]
	v_add_f64 v[3:4], v[3:4], v[70:71]
	v_add_f64 v[1:2], v[1:2], v[72:73]
	s_andn2_b32 exec_lo, exec_lo, s5
	s_cbranch_execnz .LBB28_81
; %bb.82:
	s_or_b32 exec_lo, exec_lo, s5
	v_mov_b32_e32 v65, 0
	ds_read_b128 v[65:68], v65 offset:272
	s_waitcnt lgkmcnt(0)
	v_mul_f64 v[70:71], v[1:2], v[67:68]
	v_mul_f64 v[67:68], v[3:4], v[67:68]
	v_fma_f64 v[3:4], v[3:4], v[65:66], -v[70:71]
	v_fma_f64 v[1:2], v[1:2], v[65:66], v[67:68]
	buffer_store_dword v4, off, s[0:3], 0 offset:292
	buffer_store_dword v3, off, s[0:3], 0 offset:288
	;; [unrolled: 1-line block ×4, first 2 shown]
.LBB28_83:
	s_or_b32 exec_lo, exec_lo, s4
	v_mov_b32_e32 v4, s22
	s_waitcnt_vscnt null, 0x0
	s_barrier
	buffer_gl0_inv
	s_mov_b32 s4, exec_lo
	s_clause 0x3
	buffer_load_dword v1, v4, s[0:3], 0 offen
	buffer_load_dword v2, v4, s[0:3], 0 offen offset:4
	buffer_load_dword v3, v4, s[0:3], 0 offen offset:8
	;; [unrolled: 1-line block ×3, first 2 shown]
	s_waitcnt vmcnt(0)
	ds_write_b128 v63, v[1:4]
	s_waitcnt lgkmcnt(0)
	s_barrier
	buffer_gl0_inv
	v_cmpx_gt_u32_e32 18, v0
	s_cbranch_execz .LBB28_87
; %bb.84:
	v_mov_b32_e32 v1, 0
	v_mov_b32_e32 v3, 0
	v_add_nc_u32_e32 v65, -1, v0
	v_add_nc_u32_e32 v66, 0x1d0, v69
	v_mov_b32_e32 v2, 0
	v_mov_b32_e32 v4, 0
	v_add_nc_u32_e32 v67, 16, v69
	s_mov_b32 s5, 0
	.p2align	6
.LBB28_85:                              ; =>This Inner Loop Header: Depth=1
	s_clause 0x3
	buffer_load_dword v74, v67, s[0:3], 0 offen offset:8
	buffer_load_dword v75, v67, s[0:3], 0 offen offset:12
	buffer_load_dword v76, v67, s[0:3], 0 offen
	buffer_load_dword v77, v67, s[0:3], 0 offen offset:4
	ds_read_b128 v[70:73], v66
	v_add_nc_u32_e32 v65, 1, v65
	v_add_nc_u32_e32 v66, 16, v66
	;; [unrolled: 1-line block ×3, first 2 shown]
	v_cmp_lt_u32_e32 vcc_lo, 16, v65
	s_or_b32 s5, vcc_lo, s5
	s_waitcnt vmcnt(2) lgkmcnt(0)
	v_mul_f64 v[78:79], v[72:73], v[74:75]
	v_mul_f64 v[74:75], v[70:71], v[74:75]
	s_waitcnt vmcnt(0)
	v_fma_f64 v[70:71], v[70:71], v[76:77], -v[78:79]
	v_fma_f64 v[72:73], v[72:73], v[76:77], v[74:75]
	v_add_f64 v[3:4], v[3:4], v[70:71]
	v_add_f64 v[1:2], v[1:2], v[72:73]
	s_andn2_b32 exec_lo, exec_lo, s5
	s_cbranch_execnz .LBB28_85
; %bb.86:
	s_or_b32 exec_lo, exec_lo, s5
	v_mov_b32_e32 v65, 0
	ds_read_b128 v[65:68], v65 offset:288
	s_waitcnt lgkmcnt(0)
	v_mul_f64 v[70:71], v[1:2], v[67:68]
	v_mul_f64 v[67:68], v[3:4], v[67:68]
	v_fma_f64 v[3:4], v[3:4], v[65:66], -v[70:71]
	v_fma_f64 v[1:2], v[1:2], v[65:66], v[67:68]
	buffer_store_dword v4, off, s[0:3], 0 offset:308
	buffer_store_dword v3, off, s[0:3], 0 offset:304
	;; [unrolled: 1-line block ×4, first 2 shown]
.LBB28_87:
	s_or_b32 exec_lo, exec_lo, s4
	v_mov_b32_e32 v4, s19
	s_waitcnt_vscnt null, 0x0
	s_barrier
	buffer_gl0_inv
	s_mov_b32 s4, exec_lo
	s_clause 0x3
	buffer_load_dword v1, v4, s[0:3], 0 offen
	buffer_load_dword v2, v4, s[0:3], 0 offen offset:4
	buffer_load_dword v3, v4, s[0:3], 0 offen offset:8
	;; [unrolled: 1-line block ×3, first 2 shown]
	s_waitcnt vmcnt(0)
	ds_write_b128 v63, v[1:4]
	s_waitcnt lgkmcnt(0)
	s_barrier
	buffer_gl0_inv
	v_cmpx_gt_u32_e32 19, v0
	s_cbranch_execz .LBB28_91
; %bb.88:
	v_mov_b32_e32 v1, 0
	v_mov_b32_e32 v3, 0
	v_add_nc_u32_e32 v65, -1, v0
	v_add_nc_u32_e32 v66, 0x1d0, v69
	v_mov_b32_e32 v2, 0
	v_mov_b32_e32 v4, 0
	v_add_nc_u32_e32 v67, 16, v69
	s_mov_b32 s5, 0
	.p2align	6
.LBB28_89:                              ; =>This Inner Loop Header: Depth=1
	s_clause 0x3
	buffer_load_dword v74, v67, s[0:3], 0 offen offset:8
	buffer_load_dword v75, v67, s[0:3], 0 offen offset:12
	buffer_load_dword v76, v67, s[0:3], 0 offen
	buffer_load_dword v77, v67, s[0:3], 0 offen offset:4
	ds_read_b128 v[70:73], v66
	v_add_nc_u32_e32 v65, 1, v65
	v_add_nc_u32_e32 v66, 16, v66
	;; [unrolled: 1-line block ×3, first 2 shown]
	v_cmp_lt_u32_e32 vcc_lo, 17, v65
	s_or_b32 s5, vcc_lo, s5
	s_waitcnt vmcnt(2) lgkmcnt(0)
	v_mul_f64 v[78:79], v[72:73], v[74:75]
	v_mul_f64 v[74:75], v[70:71], v[74:75]
	s_waitcnt vmcnt(0)
	v_fma_f64 v[70:71], v[70:71], v[76:77], -v[78:79]
	v_fma_f64 v[72:73], v[72:73], v[76:77], v[74:75]
	v_add_f64 v[3:4], v[3:4], v[70:71]
	v_add_f64 v[1:2], v[1:2], v[72:73]
	s_andn2_b32 exec_lo, exec_lo, s5
	s_cbranch_execnz .LBB28_89
; %bb.90:
	s_or_b32 exec_lo, exec_lo, s5
	v_mov_b32_e32 v65, 0
	ds_read_b128 v[65:68], v65 offset:304
	s_waitcnt lgkmcnt(0)
	v_mul_f64 v[70:71], v[1:2], v[67:68]
	v_mul_f64 v[67:68], v[3:4], v[67:68]
	v_fma_f64 v[3:4], v[3:4], v[65:66], -v[70:71]
	v_fma_f64 v[1:2], v[1:2], v[65:66], v[67:68]
	buffer_store_dword v4, off, s[0:3], 0 offset:324
	buffer_store_dword v3, off, s[0:3], 0 offset:320
	;; [unrolled: 1-line block ×4, first 2 shown]
.LBB28_91:
	s_or_b32 exec_lo, exec_lo, s4
	v_mov_b32_e32 v4, s18
	s_waitcnt_vscnt null, 0x0
	s_barrier
	buffer_gl0_inv
	s_mov_b32 s4, exec_lo
	s_clause 0x3
	buffer_load_dword v1, v4, s[0:3], 0 offen
	buffer_load_dword v2, v4, s[0:3], 0 offen offset:4
	buffer_load_dword v3, v4, s[0:3], 0 offen offset:8
	;; [unrolled: 1-line block ×3, first 2 shown]
	s_waitcnt vmcnt(0)
	ds_write_b128 v63, v[1:4]
	s_waitcnt lgkmcnt(0)
	s_barrier
	buffer_gl0_inv
	v_cmpx_gt_u32_e32 20, v0
	s_cbranch_execz .LBB28_95
; %bb.92:
	v_mov_b32_e32 v1, 0
	v_mov_b32_e32 v3, 0
	v_add_nc_u32_e32 v65, -1, v0
	v_add_nc_u32_e32 v66, 0x1d0, v69
	v_mov_b32_e32 v2, 0
	v_mov_b32_e32 v4, 0
	v_add_nc_u32_e32 v67, 16, v69
	s_mov_b32 s5, 0
	.p2align	6
.LBB28_93:                              ; =>This Inner Loop Header: Depth=1
	s_clause 0x3
	buffer_load_dword v74, v67, s[0:3], 0 offen offset:8
	buffer_load_dword v75, v67, s[0:3], 0 offen offset:12
	buffer_load_dword v76, v67, s[0:3], 0 offen
	buffer_load_dword v77, v67, s[0:3], 0 offen offset:4
	ds_read_b128 v[70:73], v66
	v_add_nc_u32_e32 v65, 1, v65
	v_add_nc_u32_e32 v66, 16, v66
	;; [unrolled: 1-line block ×3, first 2 shown]
	v_cmp_lt_u32_e32 vcc_lo, 18, v65
	s_or_b32 s5, vcc_lo, s5
	s_waitcnt vmcnt(2) lgkmcnt(0)
	v_mul_f64 v[78:79], v[72:73], v[74:75]
	v_mul_f64 v[74:75], v[70:71], v[74:75]
	s_waitcnt vmcnt(0)
	v_fma_f64 v[70:71], v[70:71], v[76:77], -v[78:79]
	v_fma_f64 v[72:73], v[72:73], v[76:77], v[74:75]
	v_add_f64 v[3:4], v[3:4], v[70:71]
	v_add_f64 v[1:2], v[1:2], v[72:73]
	s_andn2_b32 exec_lo, exec_lo, s5
	s_cbranch_execnz .LBB28_93
; %bb.94:
	s_or_b32 exec_lo, exec_lo, s5
	v_mov_b32_e32 v65, 0
	ds_read_b128 v[65:68], v65 offset:320
	s_waitcnt lgkmcnt(0)
	v_mul_f64 v[70:71], v[1:2], v[67:68]
	v_mul_f64 v[67:68], v[3:4], v[67:68]
	v_fma_f64 v[3:4], v[3:4], v[65:66], -v[70:71]
	v_fma_f64 v[1:2], v[1:2], v[65:66], v[67:68]
	buffer_store_dword v4, off, s[0:3], 0 offset:340
	buffer_store_dword v3, off, s[0:3], 0 offset:336
	;; [unrolled: 1-line block ×4, first 2 shown]
.LBB28_95:
	s_or_b32 exec_lo, exec_lo, s4
	v_mov_b32_e32 v4, s17
	s_waitcnt_vscnt null, 0x0
	s_barrier
	buffer_gl0_inv
	s_mov_b32 s4, exec_lo
	s_clause 0x3
	buffer_load_dword v1, v4, s[0:3], 0 offen
	buffer_load_dword v2, v4, s[0:3], 0 offen offset:4
	buffer_load_dword v3, v4, s[0:3], 0 offen offset:8
	;; [unrolled: 1-line block ×3, first 2 shown]
	s_waitcnt vmcnt(0)
	ds_write_b128 v63, v[1:4]
	s_waitcnt lgkmcnt(0)
	s_barrier
	buffer_gl0_inv
	v_cmpx_gt_u32_e32 21, v0
	s_cbranch_execz .LBB28_99
; %bb.96:
	v_mov_b32_e32 v1, 0
	v_mov_b32_e32 v3, 0
	v_add_nc_u32_e32 v65, -1, v0
	v_add_nc_u32_e32 v66, 0x1d0, v69
	v_mov_b32_e32 v2, 0
	v_mov_b32_e32 v4, 0
	v_add_nc_u32_e32 v67, 16, v69
	s_mov_b32 s5, 0
	.p2align	6
.LBB28_97:                              ; =>This Inner Loop Header: Depth=1
	s_clause 0x3
	buffer_load_dword v74, v67, s[0:3], 0 offen offset:8
	buffer_load_dword v75, v67, s[0:3], 0 offen offset:12
	buffer_load_dword v76, v67, s[0:3], 0 offen
	buffer_load_dword v77, v67, s[0:3], 0 offen offset:4
	ds_read_b128 v[70:73], v66
	v_add_nc_u32_e32 v65, 1, v65
	v_add_nc_u32_e32 v66, 16, v66
	;; [unrolled: 1-line block ×3, first 2 shown]
	v_cmp_lt_u32_e32 vcc_lo, 19, v65
	s_or_b32 s5, vcc_lo, s5
	s_waitcnt vmcnt(2) lgkmcnt(0)
	v_mul_f64 v[78:79], v[72:73], v[74:75]
	v_mul_f64 v[74:75], v[70:71], v[74:75]
	s_waitcnt vmcnt(0)
	v_fma_f64 v[70:71], v[70:71], v[76:77], -v[78:79]
	v_fma_f64 v[72:73], v[72:73], v[76:77], v[74:75]
	v_add_f64 v[3:4], v[3:4], v[70:71]
	v_add_f64 v[1:2], v[1:2], v[72:73]
	s_andn2_b32 exec_lo, exec_lo, s5
	s_cbranch_execnz .LBB28_97
; %bb.98:
	s_or_b32 exec_lo, exec_lo, s5
	v_mov_b32_e32 v65, 0
	ds_read_b128 v[65:68], v65 offset:336
	s_waitcnt lgkmcnt(0)
	v_mul_f64 v[70:71], v[1:2], v[67:68]
	v_mul_f64 v[67:68], v[3:4], v[67:68]
	v_fma_f64 v[3:4], v[3:4], v[65:66], -v[70:71]
	v_fma_f64 v[1:2], v[1:2], v[65:66], v[67:68]
	buffer_store_dword v4, off, s[0:3], 0 offset:356
	buffer_store_dword v3, off, s[0:3], 0 offset:352
	;; [unrolled: 1-line block ×4, first 2 shown]
.LBB28_99:
	s_or_b32 exec_lo, exec_lo, s4
	v_mov_b32_e32 v4, s16
	s_waitcnt_vscnt null, 0x0
	s_barrier
	buffer_gl0_inv
	s_mov_b32 s4, exec_lo
	s_clause 0x3
	buffer_load_dword v1, v4, s[0:3], 0 offen
	buffer_load_dword v2, v4, s[0:3], 0 offen offset:4
	buffer_load_dword v3, v4, s[0:3], 0 offen offset:8
	;; [unrolled: 1-line block ×3, first 2 shown]
	s_waitcnt vmcnt(0)
	ds_write_b128 v63, v[1:4]
	s_waitcnt lgkmcnt(0)
	s_barrier
	buffer_gl0_inv
	v_cmpx_gt_u32_e32 22, v0
	s_cbranch_execz .LBB28_103
; %bb.100:
	v_mov_b32_e32 v1, 0
	v_mov_b32_e32 v3, 0
	v_add_nc_u32_e32 v65, -1, v0
	v_add_nc_u32_e32 v66, 0x1d0, v69
	v_mov_b32_e32 v2, 0
	v_mov_b32_e32 v4, 0
	v_add_nc_u32_e32 v67, 16, v69
	s_mov_b32 s5, 0
	.p2align	6
.LBB28_101:                             ; =>This Inner Loop Header: Depth=1
	s_clause 0x3
	buffer_load_dword v74, v67, s[0:3], 0 offen offset:8
	buffer_load_dword v75, v67, s[0:3], 0 offen offset:12
	buffer_load_dword v76, v67, s[0:3], 0 offen
	buffer_load_dword v77, v67, s[0:3], 0 offen offset:4
	ds_read_b128 v[70:73], v66
	v_add_nc_u32_e32 v65, 1, v65
	v_add_nc_u32_e32 v66, 16, v66
	;; [unrolled: 1-line block ×3, first 2 shown]
	v_cmp_lt_u32_e32 vcc_lo, 20, v65
	s_or_b32 s5, vcc_lo, s5
	s_waitcnt vmcnt(2) lgkmcnt(0)
	v_mul_f64 v[78:79], v[72:73], v[74:75]
	v_mul_f64 v[74:75], v[70:71], v[74:75]
	s_waitcnt vmcnt(0)
	v_fma_f64 v[70:71], v[70:71], v[76:77], -v[78:79]
	v_fma_f64 v[72:73], v[72:73], v[76:77], v[74:75]
	v_add_f64 v[3:4], v[3:4], v[70:71]
	v_add_f64 v[1:2], v[1:2], v[72:73]
	s_andn2_b32 exec_lo, exec_lo, s5
	s_cbranch_execnz .LBB28_101
; %bb.102:
	s_or_b32 exec_lo, exec_lo, s5
	v_mov_b32_e32 v65, 0
	ds_read_b128 v[65:68], v65 offset:352
	s_waitcnt lgkmcnt(0)
	v_mul_f64 v[70:71], v[1:2], v[67:68]
	v_mul_f64 v[67:68], v[3:4], v[67:68]
	v_fma_f64 v[3:4], v[3:4], v[65:66], -v[70:71]
	v_fma_f64 v[1:2], v[1:2], v[65:66], v[67:68]
	buffer_store_dword v4, off, s[0:3], 0 offset:372
	buffer_store_dword v3, off, s[0:3], 0 offset:368
	;; [unrolled: 1-line block ×4, first 2 shown]
.LBB28_103:
	s_or_b32 exec_lo, exec_lo, s4
	v_mov_b32_e32 v4, s15
	s_waitcnt_vscnt null, 0x0
	s_barrier
	buffer_gl0_inv
	s_mov_b32 s4, exec_lo
	s_clause 0x3
	buffer_load_dword v1, v4, s[0:3], 0 offen
	buffer_load_dword v2, v4, s[0:3], 0 offen offset:4
	buffer_load_dword v3, v4, s[0:3], 0 offen offset:8
	;; [unrolled: 1-line block ×3, first 2 shown]
	s_waitcnt vmcnt(0)
	ds_write_b128 v63, v[1:4]
	s_waitcnt lgkmcnt(0)
	s_barrier
	buffer_gl0_inv
	v_cmpx_gt_u32_e32 23, v0
	s_cbranch_execz .LBB28_107
; %bb.104:
	v_mov_b32_e32 v1, 0
	v_mov_b32_e32 v3, 0
	v_add_nc_u32_e32 v65, -1, v0
	v_add_nc_u32_e32 v66, 0x1d0, v69
	v_mov_b32_e32 v2, 0
	v_mov_b32_e32 v4, 0
	v_add_nc_u32_e32 v67, 16, v69
	s_mov_b32 s5, 0
	.p2align	6
.LBB28_105:                             ; =>This Inner Loop Header: Depth=1
	s_clause 0x3
	buffer_load_dword v74, v67, s[0:3], 0 offen offset:8
	buffer_load_dword v75, v67, s[0:3], 0 offen offset:12
	buffer_load_dword v76, v67, s[0:3], 0 offen
	buffer_load_dword v77, v67, s[0:3], 0 offen offset:4
	ds_read_b128 v[70:73], v66
	v_add_nc_u32_e32 v65, 1, v65
	v_add_nc_u32_e32 v66, 16, v66
	v_add_nc_u32_e32 v67, 16, v67
	v_cmp_lt_u32_e32 vcc_lo, 21, v65
	s_or_b32 s5, vcc_lo, s5
	s_waitcnt vmcnt(2) lgkmcnt(0)
	v_mul_f64 v[78:79], v[72:73], v[74:75]
	v_mul_f64 v[74:75], v[70:71], v[74:75]
	s_waitcnt vmcnt(0)
	v_fma_f64 v[70:71], v[70:71], v[76:77], -v[78:79]
	v_fma_f64 v[72:73], v[72:73], v[76:77], v[74:75]
	v_add_f64 v[3:4], v[3:4], v[70:71]
	v_add_f64 v[1:2], v[1:2], v[72:73]
	s_andn2_b32 exec_lo, exec_lo, s5
	s_cbranch_execnz .LBB28_105
; %bb.106:
	s_or_b32 exec_lo, exec_lo, s5
	v_mov_b32_e32 v65, 0
	ds_read_b128 v[65:68], v65 offset:368
	s_waitcnt lgkmcnt(0)
	v_mul_f64 v[70:71], v[1:2], v[67:68]
	v_mul_f64 v[67:68], v[3:4], v[67:68]
	v_fma_f64 v[3:4], v[3:4], v[65:66], -v[70:71]
	v_fma_f64 v[1:2], v[1:2], v[65:66], v[67:68]
	buffer_store_dword v4, off, s[0:3], 0 offset:388
	buffer_store_dword v3, off, s[0:3], 0 offset:384
	;; [unrolled: 1-line block ×4, first 2 shown]
.LBB28_107:
	s_or_b32 exec_lo, exec_lo, s4
	v_mov_b32_e32 v4, s14
	s_waitcnt_vscnt null, 0x0
	s_barrier
	buffer_gl0_inv
	s_mov_b32 s4, exec_lo
	s_clause 0x3
	buffer_load_dword v1, v4, s[0:3], 0 offen
	buffer_load_dword v2, v4, s[0:3], 0 offen offset:4
	buffer_load_dword v3, v4, s[0:3], 0 offen offset:8
	;; [unrolled: 1-line block ×3, first 2 shown]
	s_waitcnt vmcnt(0)
	ds_write_b128 v63, v[1:4]
	s_waitcnt lgkmcnt(0)
	s_barrier
	buffer_gl0_inv
	v_cmpx_gt_u32_e32 24, v0
	s_cbranch_execz .LBB28_111
; %bb.108:
	v_mov_b32_e32 v1, 0
	v_mov_b32_e32 v3, 0
	v_add_nc_u32_e32 v65, -1, v0
	v_add_nc_u32_e32 v66, 0x1d0, v69
	v_mov_b32_e32 v2, 0
	v_mov_b32_e32 v4, 0
	v_add_nc_u32_e32 v67, 16, v69
	s_mov_b32 s5, 0
	.p2align	6
.LBB28_109:                             ; =>This Inner Loop Header: Depth=1
	s_clause 0x3
	buffer_load_dword v74, v67, s[0:3], 0 offen offset:8
	buffer_load_dword v75, v67, s[0:3], 0 offen offset:12
	buffer_load_dword v76, v67, s[0:3], 0 offen
	buffer_load_dword v77, v67, s[0:3], 0 offen offset:4
	ds_read_b128 v[70:73], v66
	v_add_nc_u32_e32 v65, 1, v65
	v_add_nc_u32_e32 v66, 16, v66
	;; [unrolled: 1-line block ×3, first 2 shown]
	v_cmp_lt_u32_e32 vcc_lo, 22, v65
	s_or_b32 s5, vcc_lo, s5
	s_waitcnt vmcnt(2) lgkmcnt(0)
	v_mul_f64 v[78:79], v[72:73], v[74:75]
	v_mul_f64 v[74:75], v[70:71], v[74:75]
	s_waitcnt vmcnt(0)
	v_fma_f64 v[70:71], v[70:71], v[76:77], -v[78:79]
	v_fma_f64 v[72:73], v[72:73], v[76:77], v[74:75]
	v_add_f64 v[3:4], v[3:4], v[70:71]
	v_add_f64 v[1:2], v[1:2], v[72:73]
	s_andn2_b32 exec_lo, exec_lo, s5
	s_cbranch_execnz .LBB28_109
; %bb.110:
	s_or_b32 exec_lo, exec_lo, s5
	v_mov_b32_e32 v65, 0
	ds_read_b128 v[65:68], v65 offset:384
	s_waitcnt lgkmcnt(0)
	v_mul_f64 v[70:71], v[1:2], v[67:68]
	v_mul_f64 v[67:68], v[3:4], v[67:68]
	v_fma_f64 v[3:4], v[3:4], v[65:66], -v[70:71]
	v_fma_f64 v[1:2], v[1:2], v[65:66], v[67:68]
	buffer_store_dword v4, off, s[0:3], 0 offset:404
	buffer_store_dword v3, off, s[0:3], 0 offset:400
	;; [unrolled: 1-line block ×4, first 2 shown]
.LBB28_111:
	s_or_b32 exec_lo, exec_lo, s4
	v_mov_b32_e32 v4, s13
	s_waitcnt_vscnt null, 0x0
	s_barrier
	buffer_gl0_inv
	s_mov_b32 s4, exec_lo
	s_clause 0x3
	buffer_load_dword v1, v4, s[0:3], 0 offen
	buffer_load_dword v2, v4, s[0:3], 0 offen offset:4
	buffer_load_dword v3, v4, s[0:3], 0 offen offset:8
	;; [unrolled: 1-line block ×3, first 2 shown]
	s_waitcnt vmcnt(0)
	ds_write_b128 v63, v[1:4]
	s_waitcnt lgkmcnt(0)
	s_barrier
	buffer_gl0_inv
	v_cmpx_gt_u32_e32 25, v0
	s_cbranch_execz .LBB28_115
; %bb.112:
	v_mov_b32_e32 v1, 0
	v_mov_b32_e32 v3, 0
	v_add_nc_u32_e32 v65, -1, v0
	v_add_nc_u32_e32 v66, 0x1d0, v69
	v_mov_b32_e32 v2, 0
	v_mov_b32_e32 v4, 0
	v_add_nc_u32_e32 v67, 16, v69
	s_mov_b32 s5, 0
	.p2align	6
.LBB28_113:                             ; =>This Inner Loop Header: Depth=1
	s_clause 0x3
	buffer_load_dword v74, v67, s[0:3], 0 offen offset:8
	buffer_load_dword v75, v67, s[0:3], 0 offen offset:12
	buffer_load_dword v76, v67, s[0:3], 0 offen
	buffer_load_dword v77, v67, s[0:3], 0 offen offset:4
	ds_read_b128 v[70:73], v66
	v_add_nc_u32_e32 v65, 1, v65
	v_add_nc_u32_e32 v66, 16, v66
	v_add_nc_u32_e32 v67, 16, v67
	v_cmp_lt_u32_e32 vcc_lo, 23, v65
	s_or_b32 s5, vcc_lo, s5
	s_waitcnt vmcnt(2) lgkmcnt(0)
	v_mul_f64 v[78:79], v[72:73], v[74:75]
	v_mul_f64 v[74:75], v[70:71], v[74:75]
	s_waitcnt vmcnt(0)
	v_fma_f64 v[70:71], v[70:71], v[76:77], -v[78:79]
	v_fma_f64 v[72:73], v[72:73], v[76:77], v[74:75]
	v_add_f64 v[3:4], v[3:4], v[70:71]
	v_add_f64 v[1:2], v[1:2], v[72:73]
	s_andn2_b32 exec_lo, exec_lo, s5
	s_cbranch_execnz .LBB28_113
; %bb.114:
	s_or_b32 exec_lo, exec_lo, s5
	v_mov_b32_e32 v65, 0
	ds_read_b128 v[65:68], v65 offset:400
	s_waitcnt lgkmcnt(0)
	v_mul_f64 v[70:71], v[1:2], v[67:68]
	v_mul_f64 v[67:68], v[3:4], v[67:68]
	v_fma_f64 v[3:4], v[3:4], v[65:66], -v[70:71]
	v_fma_f64 v[1:2], v[1:2], v[65:66], v[67:68]
	buffer_store_dword v4, off, s[0:3], 0 offset:420
	buffer_store_dword v3, off, s[0:3], 0 offset:416
	;; [unrolled: 1-line block ×4, first 2 shown]
.LBB28_115:
	s_or_b32 exec_lo, exec_lo, s4
	v_mov_b32_e32 v4, s12
	s_waitcnt_vscnt null, 0x0
	s_barrier
	buffer_gl0_inv
	s_mov_b32 s4, exec_lo
	s_clause 0x3
	buffer_load_dword v1, v4, s[0:3], 0 offen
	buffer_load_dword v2, v4, s[0:3], 0 offen offset:4
	buffer_load_dword v3, v4, s[0:3], 0 offen offset:8
	;; [unrolled: 1-line block ×3, first 2 shown]
	s_waitcnt vmcnt(0)
	ds_write_b128 v63, v[1:4]
	s_waitcnt lgkmcnt(0)
	s_barrier
	buffer_gl0_inv
	v_cmpx_gt_u32_e32 26, v0
	s_cbranch_execz .LBB28_119
; %bb.116:
	v_mov_b32_e32 v1, 0
	v_mov_b32_e32 v3, 0
	v_add_nc_u32_e32 v65, -1, v0
	v_add_nc_u32_e32 v66, 0x1d0, v69
	v_mov_b32_e32 v2, 0
	v_mov_b32_e32 v4, 0
	v_add_nc_u32_e32 v67, 16, v69
	s_mov_b32 s5, 0
	.p2align	6
.LBB28_117:                             ; =>This Inner Loop Header: Depth=1
	s_clause 0x3
	buffer_load_dword v74, v67, s[0:3], 0 offen offset:8
	buffer_load_dword v75, v67, s[0:3], 0 offen offset:12
	buffer_load_dword v76, v67, s[0:3], 0 offen
	buffer_load_dword v77, v67, s[0:3], 0 offen offset:4
	ds_read_b128 v[70:73], v66
	v_add_nc_u32_e32 v65, 1, v65
	v_add_nc_u32_e32 v66, 16, v66
	;; [unrolled: 1-line block ×3, first 2 shown]
	v_cmp_lt_u32_e32 vcc_lo, 24, v65
	s_or_b32 s5, vcc_lo, s5
	s_waitcnt vmcnt(2) lgkmcnt(0)
	v_mul_f64 v[78:79], v[72:73], v[74:75]
	v_mul_f64 v[74:75], v[70:71], v[74:75]
	s_waitcnt vmcnt(0)
	v_fma_f64 v[70:71], v[70:71], v[76:77], -v[78:79]
	v_fma_f64 v[72:73], v[72:73], v[76:77], v[74:75]
	v_add_f64 v[3:4], v[3:4], v[70:71]
	v_add_f64 v[1:2], v[1:2], v[72:73]
	s_andn2_b32 exec_lo, exec_lo, s5
	s_cbranch_execnz .LBB28_117
; %bb.118:
	s_or_b32 exec_lo, exec_lo, s5
	v_mov_b32_e32 v65, 0
	ds_read_b128 v[65:68], v65 offset:416
	s_waitcnt lgkmcnt(0)
	v_mul_f64 v[70:71], v[1:2], v[67:68]
	v_mul_f64 v[67:68], v[3:4], v[67:68]
	v_fma_f64 v[3:4], v[3:4], v[65:66], -v[70:71]
	v_fma_f64 v[1:2], v[1:2], v[65:66], v[67:68]
	buffer_store_dword v4, off, s[0:3], 0 offset:436
	buffer_store_dword v3, off, s[0:3], 0 offset:432
	;; [unrolled: 1-line block ×4, first 2 shown]
.LBB28_119:
	s_or_b32 exec_lo, exec_lo, s4
	v_mov_b32_e32 v4, s9
	s_waitcnt_vscnt null, 0x0
	s_barrier
	buffer_gl0_inv
	s_mov_b32 s4, exec_lo
	s_clause 0x3
	buffer_load_dword v1, v4, s[0:3], 0 offen
	buffer_load_dword v2, v4, s[0:3], 0 offen offset:4
	buffer_load_dword v3, v4, s[0:3], 0 offen offset:8
	buffer_load_dword v4, v4, s[0:3], 0 offen offset:12
	s_waitcnt vmcnt(0)
	ds_write_b128 v63, v[1:4]
	s_waitcnt lgkmcnt(0)
	s_barrier
	buffer_gl0_inv
	v_cmpx_gt_u32_e32 27, v0
	s_cbranch_execz .LBB28_123
; %bb.120:
	v_mov_b32_e32 v1, 0
	v_mov_b32_e32 v3, 0
	v_add_nc_u32_e32 v65, -1, v0
	v_add_nc_u32_e32 v66, 0x1d0, v69
	v_mov_b32_e32 v2, 0
	v_mov_b32_e32 v4, 0
	v_add_nc_u32_e32 v67, 16, v69
	s_mov_b32 s5, 0
	.p2align	6
.LBB28_121:                             ; =>This Inner Loop Header: Depth=1
	s_clause 0x3
	buffer_load_dword v74, v67, s[0:3], 0 offen offset:8
	buffer_load_dword v75, v67, s[0:3], 0 offen offset:12
	buffer_load_dword v76, v67, s[0:3], 0 offen
	buffer_load_dword v77, v67, s[0:3], 0 offen offset:4
	ds_read_b128 v[70:73], v66
	v_add_nc_u32_e32 v65, 1, v65
	v_add_nc_u32_e32 v66, 16, v66
	;; [unrolled: 1-line block ×3, first 2 shown]
	v_cmp_lt_u32_e32 vcc_lo, 25, v65
	s_or_b32 s5, vcc_lo, s5
	s_waitcnt vmcnt(2) lgkmcnt(0)
	v_mul_f64 v[78:79], v[72:73], v[74:75]
	v_mul_f64 v[74:75], v[70:71], v[74:75]
	s_waitcnt vmcnt(0)
	v_fma_f64 v[70:71], v[70:71], v[76:77], -v[78:79]
	v_fma_f64 v[72:73], v[72:73], v[76:77], v[74:75]
	v_add_f64 v[3:4], v[3:4], v[70:71]
	v_add_f64 v[1:2], v[1:2], v[72:73]
	s_andn2_b32 exec_lo, exec_lo, s5
	s_cbranch_execnz .LBB28_121
; %bb.122:
	s_or_b32 exec_lo, exec_lo, s5
	v_mov_b32_e32 v65, 0
	ds_read_b128 v[65:68], v65 offset:432
	s_waitcnt lgkmcnt(0)
	v_mul_f64 v[70:71], v[1:2], v[67:68]
	v_mul_f64 v[67:68], v[3:4], v[67:68]
	v_fma_f64 v[3:4], v[3:4], v[65:66], -v[70:71]
	v_fma_f64 v[1:2], v[1:2], v[65:66], v[67:68]
	buffer_store_dword v4, off, s[0:3], 0 offset:452
	buffer_store_dword v3, off, s[0:3], 0 offset:448
	;; [unrolled: 1-line block ×4, first 2 shown]
.LBB28_123:
	s_or_b32 exec_lo, exec_lo, s4
	v_mov_b32_e32 v4, s8
	s_waitcnt_vscnt null, 0x0
	s_barrier
	buffer_gl0_inv
	s_mov_b32 s4, exec_lo
	s_clause 0x3
	buffer_load_dword v1, v4, s[0:3], 0 offen
	buffer_load_dword v2, v4, s[0:3], 0 offen offset:4
	buffer_load_dword v3, v4, s[0:3], 0 offen offset:8
	;; [unrolled: 1-line block ×3, first 2 shown]
	s_waitcnt vmcnt(0)
	ds_write_b128 v63, v[1:4]
	s_waitcnt lgkmcnt(0)
	s_barrier
	buffer_gl0_inv
	v_cmpx_ne_u32_e32 28, v0
	s_cbranch_execz .LBB28_127
; %bb.124:
	v_mov_b32_e32 v1, 0
	v_mov_b32_e32 v3, 0
	;; [unrolled: 1-line block ×4, first 2 shown]
	v_add_nc_u32_e32 v65, 16, v69
	s_mov_b32 s5, 0
	.p2align	6
.LBB28_125:                             ; =>This Inner Loop Header: Depth=1
	s_clause 0x3
	buffer_load_dword v70, v65, s[0:3], 0 offen offset:8
	buffer_load_dword v71, v65, s[0:3], 0 offen offset:12
	buffer_load_dword v72, v65, s[0:3], 0 offen
	buffer_load_dword v73, v65, s[0:3], 0 offen offset:4
	ds_read_b128 v[66:69], v63
	v_add_nc_u32_e32 v64, 1, v64
	v_add_nc_u32_e32 v63, 16, v63
	;; [unrolled: 1-line block ×3, first 2 shown]
	v_cmp_lt_u32_e32 vcc_lo, 26, v64
	s_or_b32 s5, vcc_lo, s5
	s_waitcnt vmcnt(2) lgkmcnt(0)
	v_mul_f64 v[74:75], v[68:69], v[70:71]
	v_mul_f64 v[70:71], v[66:67], v[70:71]
	s_waitcnt vmcnt(0)
	v_fma_f64 v[66:67], v[66:67], v[72:73], -v[74:75]
	v_fma_f64 v[68:69], v[68:69], v[72:73], v[70:71]
	v_add_f64 v[3:4], v[3:4], v[66:67]
	v_add_f64 v[1:2], v[1:2], v[68:69]
	s_andn2_b32 exec_lo, exec_lo, s5
	s_cbranch_execnz .LBB28_125
; %bb.126:
	s_or_b32 exec_lo, exec_lo, s5
	v_mov_b32_e32 v63, 0
	ds_read_b128 v[63:66], v63 offset:448
	s_waitcnt lgkmcnt(0)
	v_mul_f64 v[67:68], v[1:2], v[65:66]
	v_mul_f64 v[65:66], v[3:4], v[65:66]
	v_fma_f64 v[3:4], v[3:4], v[63:64], -v[67:68]
	v_fma_f64 v[1:2], v[1:2], v[63:64], v[65:66]
	buffer_store_dword v4, off, s[0:3], 0 offset:468
	buffer_store_dword v3, off, s[0:3], 0 offset:464
	;; [unrolled: 1-line block ×4, first 2 shown]
.LBB28_127:
	s_or_b32 exec_lo, exec_lo, s4
	s_mov_b32 s5, -1
	s_waitcnt_vscnt null, 0x0
	s_barrier
	buffer_gl0_inv
.LBB28_128:
	s_and_b32 vcc_lo, exec_lo, s5
	s_cbranch_vccz .LBB28_130
; %bb.129:
	s_lshl_b64 s[4:5], s[6:7], 2
	v_mov_b32_e32 v1, 0
	s_add_u32 s4, s10, s4
	s_addc_u32 s5, s11, s5
	global_load_dword v1, v1, s[4:5]
	s_waitcnt vmcnt(0)
	v_cmp_ne_u32_e32 vcc_lo, 0, v1
	s_cbranch_vccz .LBB28_131
.LBB28_130:
	s_endpgm
.LBB28_131:
	v_lshl_add_u32 v1, v0, 4, 0x1d0
	s_mov_b32 s4, exec_lo
	v_cmpx_eq_u32_e32 28, v0
	s_cbranch_execz .LBB28_133
; %bb.132:
	v_mov_b32_e32 v2, s9
	s_clause 0x3
	buffer_load_dword v63, v2, s[0:3], 0 offen
	buffer_load_dword v64, v2, s[0:3], 0 offen offset:4
	buffer_load_dword v65, v2, s[0:3], 0 offen offset:8
	;; [unrolled: 1-line block ×3, first 2 shown]
	v_mov_b32_e32 v2, 0
	buffer_store_dword v2, off, s[0:3], 0 offset:448
	buffer_store_dword v2, off, s[0:3], 0 offset:452
	;; [unrolled: 1-line block ×4, first 2 shown]
	s_waitcnt vmcnt(0)
	ds_write_b128 v1, v[63:66]
.LBB28_133:
	s_or_b32 exec_lo, exec_lo, s4
	s_waitcnt lgkmcnt(0)
	s_waitcnt_vscnt null, 0x0
	s_barrier
	buffer_gl0_inv
	s_clause 0x7
	buffer_load_dword v3, off, s[0:3], 0 offset:472
	buffer_load_dword v4, off, s[0:3], 0 offset:476
	;; [unrolled: 1-line block ×8, first 2 shown]
	v_mov_b32_e32 v2, 0
	s_mov_b32 s4, exec_lo
	ds_read_b128 v[63:66], v2 offset:912
	s_waitcnt vmcnt(6) lgkmcnt(0)
	v_mul_f64 v[73:74], v[65:66], v[3:4]
	v_mul_f64 v[3:4], v[63:64], v[3:4]
	s_waitcnt vmcnt(4)
	v_fma_f64 v[63:64], v[63:64], v[67:68], -v[73:74]
	v_fma_f64 v[3:4], v[65:66], v[67:68], v[3:4]
	v_add_f64 v[63:64], v[63:64], 0
	v_add_f64 v[3:4], v[3:4], 0
	s_waitcnt vmcnt(2)
	v_add_f64 v[63:64], v[69:70], -v[63:64]
	s_waitcnt vmcnt(0)
	v_add_f64 v[3:4], v[71:72], -v[3:4]
	buffer_store_dword v63, off, s[0:3], 0 offset:448
	buffer_store_dword v64, off, s[0:3], 0 offset:452
	;; [unrolled: 1-line block ×4, first 2 shown]
	v_cmpx_lt_u32_e32 26, v0
	s_cbranch_execz .LBB28_135
; %bb.134:
	v_mov_b32_e32 v3, s12
	s_clause 0x3
	buffer_load_dword v63, v3, s[0:3], 0 offen
	buffer_load_dword v64, v3, s[0:3], 0 offen offset:4
	buffer_load_dword v65, v3, s[0:3], 0 offen offset:8
	;; [unrolled: 1-line block ×3, first 2 shown]
	buffer_store_dword v2, off, s[0:3], 0 offset:432
	buffer_store_dword v2, off, s[0:3], 0 offset:436
	;; [unrolled: 1-line block ×4, first 2 shown]
	s_waitcnt vmcnt(0)
	ds_write_b128 v1, v[63:66]
.LBB28_135:
	s_or_b32 exec_lo, exec_lo, s4
	s_waitcnt lgkmcnt(0)
	s_waitcnt_vscnt null, 0x0
	s_barrier
	buffer_gl0_inv
	s_clause 0xb
	buffer_load_dword v3, off, s[0:3], 0 offset:456
	buffer_load_dword v4, off, s[0:3], 0 offset:460
	buffer_load_dword v71, off, s[0:3], 0 offset:472
	buffer_load_dword v72, off, s[0:3], 0 offset:476
	buffer_load_dword v73, off, s[0:3], 0 offset:448
	buffer_load_dword v74, off, s[0:3], 0 offset:452
	buffer_load_dword v75, off, s[0:3], 0 offset:464
	buffer_load_dword v76, off, s[0:3], 0 offset:468
	buffer_load_dword v77, off, s[0:3], 0 offset:432
	buffer_load_dword v78, off, s[0:3], 0 offset:436
	buffer_load_dword v79, off, s[0:3], 0 offset:440
	buffer_load_dword v80, off, s[0:3], 0 offset:444
	ds_read_b128 v[63:66], v2 offset:896
	ds_read_b128 v[67:70], v2 offset:912
	s_mov_b32 s4, exec_lo
	s_waitcnt vmcnt(10) lgkmcnt(1)
	v_mul_f64 v[81:82], v[65:66], v[3:4]
	v_mul_f64 v[2:3], v[63:64], v[3:4]
	s_waitcnt vmcnt(8) lgkmcnt(0)
	v_mul_f64 v[83:84], v[69:70], v[71:72]
	v_mul_f64 v[71:72], v[67:68], v[71:72]
	s_waitcnt vmcnt(6)
	v_fma_f64 v[63:64], v[63:64], v[73:74], -v[81:82]
	v_fma_f64 v[2:3], v[65:66], v[73:74], v[2:3]
	s_waitcnt vmcnt(4)
	v_fma_f64 v[65:66], v[67:68], v[75:76], -v[83:84]
	v_fma_f64 v[67:68], v[69:70], v[75:76], v[71:72]
	v_add_f64 v[63:64], v[63:64], 0
	v_add_f64 v[2:3], v[2:3], 0
	;; [unrolled: 1-line block ×4, first 2 shown]
	s_waitcnt vmcnt(2)
	v_add_f64 v[63:64], v[77:78], -v[63:64]
	s_waitcnt vmcnt(0)
	v_add_f64 v[2:3], v[79:80], -v[2:3]
	buffer_store_dword v63, off, s[0:3], 0 offset:432
	buffer_store_dword v64, off, s[0:3], 0 offset:436
	;; [unrolled: 1-line block ×4, first 2 shown]
	v_cmpx_lt_u32_e32 25, v0
	s_cbranch_execz .LBB28_137
; %bb.136:
	v_mov_b32_e32 v2, s13
	s_clause 0x3
	buffer_load_dword v63, v2, s[0:3], 0 offen
	buffer_load_dword v64, v2, s[0:3], 0 offen offset:4
	buffer_load_dword v65, v2, s[0:3], 0 offen offset:8
	;; [unrolled: 1-line block ×3, first 2 shown]
	v_mov_b32_e32 v2, 0
	buffer_store_dword v2, off, s[0:3], 0 offset:416
	buffer_store_dword v2, off, s[0:3], 0 offset:420
	;; [unrolled: 1-line block ×4, first 2 shown]
	s_waitcnt vmcnt(0)
	ds_write_b128 v1, v[63:66]
.LBB28_137:
	s_or_b32 exec_lo, exec_lo, s4
	s_waitcnt lgkmcnt(0)
	s_waitcnt_vscnt null, 0x0
	s_barrier
	buffer_gl0_inv
	s_clause 0xf
	buffer_load_dword v3, off, s[0:3], 0 offset:440
	buffer_load_dword v4, off, s[0:3], 0 offset:444
	;; [unrolled: 1-line block ×16, first 2 shown]
	v_mov_b32_e32 v2, 0
	ds_read_b128 v[63:66], v2 offset:880
	ds_read_b128 v[67:70], v2 offset:896
	;; [unrolled: 1-line block ×3, first 2 shown]
	s_mov_b32 s4, exec_lo
	s_waitcnt vmcnt(14) lgkmcnt(2)
	v_mul_f64 v[89:90], v[65:66], v[3:4]
	v_mul_f64 v[3:4], v[63:64], v[3:4]
	s_waitcnt vmcnt(12) lgkmcnt(1)
	v_mul_f64 v[91:92], v[69:70], v[75:76]
	v_mul_f64 v[75:76], v[67:68], v[75:76]
	s_waitcnt vmcnt(10)
	v_fma_f64 v[63:64], v[63:64], v[77:78], -v[89:90]
	v_fma_f64 v[3:4], v[65:66], v[77:78], v[3:4]
	s_waitcnt vmcnt(8) lgkmcnt(0)
	v_mul_f64 v[77:78], v[73:74], v[79:80]
	s_waitcnt vmcnt(6)
	v_fma_f64 v[67:68], v[67:68], v[81:82], -v[91:92]
	v_mul_f64 v[65:66], v[71:72], v[79:80]
	v_fma_f64 v[69:70], v[69:70], v[81:82], v[75:76]
	v_add_f64 v[63:64], v[63:64], 0
	v_add_f64 v[3:4], v[3:4], 0
	s_waitcnt vmcnt(4)
	v_fma_f64 v[71:72], v[71:72], v[83:84], -v[77:78]
	v_fma_f64 v[65:66], v[73:74], v[83:84], v[65:66]
	v_add_f64 v[63:64], v[63:64], v[67:68]
	v_add_f64 v[3:4], v[3:4], v[69:70]
	;; [unrolled: 1-line block ×4, first 2 shown]
	s_waitcnt vmcnt(2)
	v_add_f64 v[63:64], v[85:86], -v[63:64]
	s_waitcnt vmcnt(0)
	v_add_f64 v[3:4], v[87:88], -v[3:4]
	buffer_store_dword v63, off, s[0:3], 0 offset:416
	buffer_store_dword v64, off, s[0:3], 0 offset:420
	;; [unrolled: 1-line block ×4, first 2 shown]
	v_cmpx_lt_u32_e32 24, v0
	s_cbranch_execz .LBB28_139
; %bb.138:
	v_mov_b32_e32 v3, s14
	s_clause 0x3
	buffer_load_dword v63, v3, s[0:3], 0 offen
	buffer_load_dword v64, v3, s[0:3], 0 offen offset:4
	buffer_load_dword v65, v3, s[0:3], 0 offen offset:8
	;; [unrolled: 1-line block ×3, first 2 shown]
	buffer_store_dword v2, off, s[0:3], 0 offset:400
	buffer_store_dword v2, off, s[0:3], 0 offset:404
	;; [unrolled: 1-line block ×4, first 2 shown]
	s_waitcnt vmcnt(0)
	ds_write_b128 v1, v[63:66]
.LBB28_139:
	s_or_b32 exec_lo, exec_lo, s4
	s_waitcnt lgkmcnt(0)
	s_waitcnt_vscnt null, 0x0
	s_barrier
	buffer_gl0_inv
	s_clause 0x13
	buffer_load_dword v3, off, s[0:3], 0 offset:424
	buffer_load_dword v4, off, s[0:3], 0 offset:428
	;; [unrolled: 1-line block ×20, first 2 shown]
	ds_read_b128 v[63:66], v2 offset:864
	ds_read_b128 v[67:70], v2 offset:880
	;; [unrolled: 1-line block ×3, first 2 shown]
	s_mov_b32 s4, exec_lo
	s_waitcnt vmcnt(18) lgkmcnt(2)
	v_mul_f64 v[93:94], v[65:66], v[3:4]
	v_mul_f64 v[3:4], v[63:64], v[3:4]
	s_waitcnt vmcnt(16) lgkmcnt(1)
	v_mul_f64 v[95:96], v[69:70], v[75:76]
	v_mul_f64 v[75:76], v[67:68], v[75:76]
	s_waitcnt vmcnt(14)
	v_fma_f64 v[93:94], v[63:64], v[77:78], -v[93:94]
	v_fma_f64 v[3:4], v[65:66], v[77:78], v[3:4]
	ds_read_b128 v[63:66], v2 offset:912
	s_waitcnt vmcnt(12) lgkmcnt(1)
	v_mul_f64 v[77:78], v[71:72], v[79:80]
	v_mul_f64 v[79:80], v[73:74], v[79:80]
	s_waitcnt vmcnt(10)
	v_fma_f64 v[67:68], v[67:68], v[81:82], -v[95:96]
	v_fma_f64 v[69:70], v[69:70], v[81:82], v[75:76]
	s_waitcnt vmcnt(8) lgkmcnt(0)
	v_mul_f64 v[81:82], v[65:66], v[83:84]
	v_add_f64 v[93:94], v[93:94], 0
	v_add_f64 v[2:3], v[3:4], 0
	v_mul_f64 v[75:76], v[63:64], v[83:84]
	s_waitcnt vmcnt(6)
	v_fma_f64 v[71:72], v[71:72], v[85:86], -v[79:80]
	v_fma_f64 v[73:74], v[73:74], v[85:86], v[77:78]
	s_waitcnt vmcnt(4)
	v_fma_f64 v[63:64], v[63:64], v[87:88], -v[81:82]
	v_add_f64 v[67:68], v[93:94], v[67:68]
	v_add_f64 v[2:3], v[2:3], v[69:70]
	v_fma_f64 v[65:66], v[65:66], v[87:88], v[75:76]
	v_add_f64 v[67:68], v[67:68], v[71:72]
	v_add_f64 v[2:3], v[2:3], v[73:74]
	;; [unrolled: 1-line block ×4, first 2 shown]
	s_waitcnt vmcnt(2)
	v_add_f64 v[63:64], v[89:90], -v[63:64]
	s_waitcnt vmcnt(0)
	v_add_f64 v[2:3], v[91:92], -v[2:3]
	buffer_store_dword v63, off, s[0:3], 0 offset:400
	buffer_store_dword v64, off, s[0:3], 0 offset:404
	;; [unrolled: 1-line block ×4, first 2 shown]
	v_cmpx_lt_u32_e32 23, v0
	s_cbranch_execz .LBB28_141
; %bb.140:
	v_mov_b32_e32 v2, s15
	s_clause 0x3
	buffer_load_dword v63, v2, s[0:3], 0 offen
	buffer_load_dword v64, v2, s[0:3], 0 offen offset:4
	buffer_load_dword v65, v2, s[0:3], 0 offen offset:8
	;; [unrolled: 1-line block ×3, first 2 shown]
	v_mov_b32_e32 v2, 0
	buffer_store_dword v2, off, s[0:3], 0 offset:384
	buffer_store_dword v2, off, s[0:3], 0 offset:388
	;; [unrolled: 1-line block ×4, first 2 shown]
	s_waitcnt vmcnt(0)
	ds_write_b128 v1, v[63:66]
.LBB28_141:
	s_or_b32 exec_lo, exec_lo, s4
	s_waitcnt lgkmcnt(0)
	s_waitcnt_vscnt null, 0x0
	s_barrier
	buffer_gl0_inv
	s_clause 0x17
	buffer_load_dword v3, off, s[0:3], 0 offset:408
	buffer_load_dword v4, off, s[0:3], 0 offset:412
	buffer_load_dword v75, off, s[0:3], 0 offset:424
	buffer_load_dword v76, off, s[0:3], 0 offset:428
	buffer_load_dword v77, off, s[0:3], 0 offset:400
	buffer_load_dword v78, off, s[0:3], 0 offset:404
	buffer_load_dword v79, off, s[0:3], 0 offset:440
	buffer_load_dword v80, off, s[0:3], 0 offset:444
	buffer_load_dword v81, off, s[0:3], 0 offset:416
	buffer_load_dword v82, off, s[0:3], 0 offset:420
	buffer_load_dword v84, off, s[0:3], 0 offset:460
	buffer_load_dword v85, off, s[0:3], 0 offset:472
	buffer_load_dword v87, off, s[0:3], 0 offset:464
	buffer_load_dword v83, off, s[0:3], 0 offset:456
	buffer_load_dword v89, off, s[0:3], 0 offset:432
	buffer_load_dword v90, off, s[0:3], 0 offset:436
	buffer_load_dword v86, off, s[0:3], 0 offset:476
	buffer_load_dword v92, off, s[0:3], 0 offset:452
	buffer_load_dword v91, off, s[0:3], 0 offset:448
	buffer_load_dword v88, off, s[0:3], 0 offset:468
	buffer_load_dword v93, off, s[0:3], 0 offset:384
	buffer_load_dword v94, off, s[0:3], 0 offset:388
	buffer_load_dword v95, off, s[0:3], 0 offset:392
	buffer_load_dword v96, off, s[0:3], 0 offset:396
	v_mov_b32_e32 v2, 0
	ds_read_b128 v[63:66], v2 offset:848
	ds_read_b128 v[67:70], v2 offset:864
	;; [unrolled: 1-line block ×3, first 2 shown]
	s_mov_b32 s4, exec_lo
	s_waitcnt vmcnt(22) lgkmcnt(2)
	v_mul_f64 v[97:98], v[65:66], v[3:4]
	v_mul_f64 v[3:4], v[63:64], v[3:4]
	s_waitcnt vmcnt(20) lgkmcnt(1)
	v_mul_f64 v[99:100], v[69:70], v[75:76]
	v_mul_f64 v[75:76], v[67:68], v[75:76]
	s_waitcnt vmcnt(18)
	v_fma_f64 v[97:98], v[63:64], v[77:78], -v[97:98]
	v_fma_f64 v[3:4], v[65:66], v[77:78], v[3:4]
	ds_read_b128 v[63:66], v2 offset:896
	s_waitcnt vmcnt(16) lgkmcnt(1)
	v_mul_f64 v[77:78], v[71:72], v[79:80]
	v_mul_f64 v[79:80], v[73:74], v[79:80]
	s_waitcnt vmcnt(14)
	v_fma_f64 v[99:100], v[67:68], v[81:82], -v[99:100]
	v_fma_f64 v[75:76], v[69:70], v[81:82], v[75:76]
	ds_read_b128 v[67:70], v2 offset:912
	s_waitcnt vmcnt(10) lgkmcnt(1)
	v_mul_f64 v[81:82], v[63:64], v[83:84]
	v_add_f64 v[97:98], v[97:98], 0
	v_add_f64 v[3:4], v[3:4], 0
	v_mul_f64 v[83:84], v[65:66], v[83:84]
	s_waitcnt vmcnt(8)
	v_fma_f64 v[71:72], v[71:72], v[89:90], -v[79:80]
	v_fma_f64 v[73:74], v[73:74], v[89:90], v[77:78]
	s_waitcnt vmcnt(7) lgkmcnt(0)
	v_mul_f64 v[77:78], v[69:70], v[85:86]
	s_waitcnt vmcnt(5)
	v_fma_f64 v[65:66], v[65:66], v[91:92], v[81:82]
	v_add_f64 v[79:80], v[97:98], v[99:100]
	v_add_f64 v[3:4], v[3:4], v[75:76]
	v_fma_f64 v[63:64], v[63:64], v[91:92], -v[83:84]
	v_mul_f64 v[75:76], v[67:68], v[85:86]
	s_waitcnt vmcnt(4)
	v_fma_f64 v[67:68], v[67:68], v[87:88], -v[77:78]
	v_add_f64 v[71:72], v[79:80], v[71:72]
	v_add_f64 v[3:4], v[3:4], v[73:74]
	v_fma_f64 v[69:70], v[69:70], v[87:88], v[75:76]
	v_add_f64 v[63:64], v[71:72], v[63:64]
	v_add_f64 v[3:4], v[3:4], v[65:66]
	;; [unrolled: 1-line block ×4, first 2 shown]
	s_waitcnt vmcnt(2)
	v_add_f64 v[63:64], v[93:94], -v[63:64]
	s_waitcnt vmcnt(0)
	v_add_f64 v[3:4], v[95:96], -v[3:4]
	buffer_store_dword v64, off, s[0:3], 0 offset:388
	buffer_store_dword v63, off, s[0:3], 0 offset:384
	;; [unrolled: 1-line block ×4, first 2 shown]
	v_cmpx_lt_u32_e32 22, v0
	s_cbranch_execz .LBB28_143
; %bb.142:
	v_mov_b32_e32 v3, s16
	s_clause 0x3
	buffer_load_dword v63, v3, s[0:3], 0 offen
	buffer_load_dword v64, v3, s[0:3], 0 offen offset:4
	buffer_load_dword v65, v3, s[0:3], 0 offen offset:8
	buffer_load_dword v66, v3, s[0:3], 0 offen offset:12
	buffer_store_dword v2, off, s[0:3], 0 offset:368
	buffer_store_dword v2, off, s[0:3], 0 offset:372
	;; [unrolled: 1-line block ×4, first 2 shown]
	s_waitcnt vmcnt(0)
	ds_write_b128 v1, v[63:66]
.LBB28_143:
	s_or_b32 exec_lo, exec_lo, s4
	s_waitcnt lgkmcnt(0)
	s_waitcnt_vscnt null, 0x0
	s_barrier
	buffer_gl0_inv
	s_clause 0x1b
	buffer_load_dword v3, off, s[0:3], 0 offset:392
	buffer_load_dword v4, off, s[0:3], 0 offset:396
	;; [unrolled: 1-line block ×28, first 2 shown]
	ds_read_b128 v[63:66], v2 offset:832
	ds_read_b128 v[67:70], v2 offset:848
	;; [unrolled: 1-line block ×3, first 2 shown]
	s_mov_b32 s4, exec_lo
	s_waitcnt vmcnt(26) lgkmcnt(2)
	v_mul_f64 v[101:102], v[65:66], v[3:4]
	v_mul_f64 v[3:4], v[63:64], v[3:4]
	s_waitcnt vmcnt(24) lgkmcnt(1)
	v_mul_f64 v[103:104], v[69:70], v[75:76]
	v_mul_f64 v[75:76], v[67:68], v[75:76]
	s_waitcnt vmcnt(22)
	v_fma_f64 v[101:102], v[63:64], v[77:78], -v[101:102]
	v_fma_f64 v[3:4], v[65:66], v[77:78], v[3:4]
	ds_read_b128 v[63:66], v2 offset:880
	s_waitcnt vmcnt(20) lgkmcnt(1)
	v_mul_f64 v[77:78], v[71:72], v[79:80]
	v_mul_f64 v[79:80], v[73:74], v[79:80]
	s_waitcnt vmcnt(18)
	v_fma_f64 v[103:104], v[67:68], v[81:82], -v[103:104]
	v_fma_f64 v[75:76], v[69:70], v[81:82], v[75:76]
	ds_read_b128 v[67:70], v2 offset:896
	s_waitcnt vmcnt(14) lgkmcnt(1)
	v_mul_f64 v[81:82], v[63:64], v[83:84]
	v_add_f64 v[101:102], v[101:102], 0
	v_add_f64 v[3:4], v[3:4], 0
	v_mul_f64 v[83:84], v[65:66], v[83:84]
	s_waitcnt vmcnt(12)
	v_fma_f64 v[79:80], v[71:72], v[89:90], -v[79:80]
	v_fma_f64 v[77:78], v[73:74], v[89:90], v[77:78]
	ds_read_b128 v[71:74], v2 offset:912
	s_waitcnt vmcnt(9)
	v_fma_f64 v[65:66], v[65:66], v[91:92], v[81:82]
	v_add_f64 v[101:102], v[101:102], v[103:104]
	v_add_f64 v[3:4], v[3:4], v[75:76]
	s_waitcnt lgkmcnt(1)
	v_mul_f64 v[75:76], v[67:68], v[85:86]
	v_mul_f64 v[85:86], v[69:70], v[85:86]
	v_fma_f64 v[63:64], v[63:64], v[91:92], -v[83:84]
	s_waitcnt vmcnt(7) lgkmcnt(0)
	v_mul_f64 v[81:82], v[73:74], v[93:94]
	v_add_f64 v[79:80], v[101:102], v[79:80]
	v_add_f64 v[2:3], v[3:4], v[77:78]
	v_mul_f64 v[77:78], v[71:72], v[93:94]
	s_waitcnt vmcnt(6)
	v_fma_f64 v[67:68], v[67:68], v[87:88], -v[85:86]
	v_fma_f64 v[69:70], v[69:70], v[87:88], v[75:76]
	v_add_f64 v[63:64], v[79:80], v[63:64]
	v_add_f64 v[2:3], v[2:3], v[65:66]
	s_waitcnt vmcnt(4)
	v_fma_f64 v[65:66], v[71:72], v[95:96], -v[81:82]
	v_add_f64 v[63:64], v[63:64], v[67:68]
	v_fma_f64 v[67:68], v[73:74], v[95:96], v[77:78]
	v_add_f64 v[2:3], v[2:3], v[69:70]
	v_add_f64 v[63:64], v[63:64], v[65:66]
	;; [unrolled: 1-line block ×3, first 2 shown]
	s_waitcnt vmcnt(2)
	v_add_f64 v[63:64], v[97:98], -v[63:64]
	s_waitcnt vmcnt(0)
	v_add_f64 v[2:3], v[99:100], -v[2:3]
	buffer_store_dword v64, off, s[0:3], 0 offset:372
	buffer_store_dword v63, off, s[0:3], 0 offset:368
	;; [unrolled: 1-line block ×4, first 2 shown]
	v_cmpx_lt_u32_e32 21, v0
	s_cbranch_execz .LBB28_145
; %bb.144:
	v_mov_b32_e32 v2, s17
	s_clause 0x3
	buffer_load_dword v63, v2, s[0:3], 0 offen
	buffer_load_dword v64, v2, s[0:3], 0 offen offset:4
	buffer_load_dword v65, v2, s[0:3], 0 offen offset:8
	;; [unrolled: 1-line block ×3, first 2 shown]
	v_mov_b32_e32 v2, 0
	buffer_store_dword v2, off, s[0:3], 0 offset:352
	buffer_store_dword v2, off, s[0:3], 0 offset:356
	;; [unrolled: 1-line block ×4, first 2 shown]
	s_waitcnt vmcnt(0)
	ds_write_b128 v1, v[63:66]
.LBB28_145:
	s_or_b32 exec_lo, exec_lo, s4
	s_waitcnt lgkmcnt(0)
	s_waitcnt_vscnt null, 0x0
	s_barrier
	buffer_gl0_inv
	s_clause 0x1f
	buffer_load_dword v3, off, s[0:3], 0 offset:376
	buffer_load_dword v4, off, s[0:3], 0 offset:380
	buffer_load_dword v75, off, s[0:3], 0 offset:392
	buffer_load_dword v76, off, s[0:3], 0 offset:396
	buffer_load_dword v77, off, s[0:3], 0 offset:368
	buffer_load_dword v78, off, s[0:3], 0 offset:372
	buffer_load_dword v79, off, s[0:3], 0 offset:408
	buffer_load_dword v80, off, s[0:3], 0 offset:412
	buffer_load_dword v81, off, s[0:3], 0 offset:384
	buffer_load_dword v82, off, s[0:3], 0 offset:388
	buffer_load_dword v84, off, s[0:3], 0 offset:428
	buffer_load_dword v85, off, s[0:3], 0 offset:440
	buffer_load_dword v87, off, s[0:3], 0 offset:432
	buffer_load_dword v83, off, s[0:3], 0 offset:424
	buffer_load_dword v89, off, s[0:3], 0 offset:400
	buffer_load_dword v90, off, s[0:3], 0 offset:404
	buffer_load_dword v86, off, s[0:3], 0 offset:444
	buffer_load_dword v92, off, s[0:3], 0 offset:420
	buffer_load_dword v91, off, s[0:3], 0 offset:416
	buffer_load_dword v94, off, s[0:3], 0 offset:460
	buffer_load_dword v95, off, s[0:3], 0 offset:472
	buffer_load_dword v97, off, s[0:3], 0 offset:464
	buffer_load_dword v93, off, s[0:3], 0 offset:456
	buffer_load_dword v88, off, s[0:3], 0 offset:436
	buffer_load_dword v96, off, s[0:3], 0 offset:476
	buffer_load_dword v100, off, s[0:3], 0 offset:452
	buffer_load_dword v99, off, s[0:3], 0 offset:448
	buffer_load_dword v98, off, s[0:3], 0 offset:468
	buffer_load_dword v101, off, s[0:3], 0 offset:352
	buffer_load_dword v102, off, s[0:3], 0 offset:356
	buffer_load_dword v103, off, s[0:3], 0 offset:360
	buffer_load_dword v104, off, s[0:3], 0 offset:364
	v_mov_b32_e32 v2, 0
	ds_read_b128 v[63:66], v2 offset:816
	ds_read_b128 v[67:70], v2 offset:832
	;; [unrolled: 1-line block ×3, first 2 shown]
	s_mov_b32 s4, exec_lo
	s_waitcnt vmcnt(30) lgkmcnt(2)
	v_mul_f64 v[105:106], v[65:66], v[3:4]
	v_mul_f64 v[3:4], v[63:64], v[3:4]
	s_waitcnt vmcnt(28) lgkmcnt(1)
	v_mul_f64 v[107:108], v[69:70], v[75:76]
	v_mul_f64 v[75:76], v[67:68], v[75:76]
	s_waitcnt vmcnt(26)
	v_fma_f64 v[105:106], v[63:64], v[77:78], -v[105:106]
	v_fma_f64 v[3:4], v[65:66], v[77:78], v[3:4]
	ds_read_b128 v[63:66], v2 offset:864
	s_waitcnt vmcnt(24) lgkmcnt(1)
	v_mul_f64 v[77:78], v[71:72], v[79:80]
	v_mul_f64 v[79:80], v[73:74], v[79:80]
	s_waitcnt vmcnt(22)
	v_fma_f64 v[107:108], v[67:68], v[81:82], -v[107:108]
	v_fma_f64 v[75:76], v[69:70], v[81:82], v[75:76]
	ds_read_b128 v[67:70], v2 offset:880
	s_waitcnt vmcnt(18) lgkmcnt(1)
	v_mul_f64 v[81:82], v[63:64], v[83:84]
	v_add_f64 v[105:106], v[105:106], 0
	v_add_f64 v[3:4], v[3:4], 0
	v_mul_f64 v[83:84], v[65:66], v[83:84]
	s_waitcnt vmcnt(16)
	v_fma_f64 v[79:80], v[71:72], v[89:90], -v[79:80]
	v_fma_f64 v[77:78], v[73:74], v[89:90], v[77:78]
	ds_read_b128 v[71:74], v2 offset:896
	s_waitcnt vmcnt(13)
	v_fma_f64 v[81:82], v[65:66], v[91:92], v[81:82]
	v_add_f64 v[105:106], v[105:106], v[107:108]
	v_add_f64 v[3:4], v[3:4], v[75:76]
	s_waitcnt lgkmcnt(1)
	v_mul_f64 v[75:76], v[67:68], v[85:86]
	v_mul_f64 v[85:86], v[69:70], v[85:86]
	v_fma_f64 v[83:84], v[63:64], v[91:92], -v[83:84]
	s_waitcnt vmcnt(9) lgkmcnt(0)
	v_mul_f64 v[89:90], v[73:74], v[93:94]
	ds_read_b128 v[63:66], v2 offset:912
	v_add_f64 v[79:80], v[105:106], v[79:80]
	v_add_f64 v[3:4], v[3:4], v[77:78]
	v_mul_f64 v[77:78], v[71:72], v[93:94]
	s_waitcnt vmcnt(8)
	v_fma_f64 v[67:68], v[67:68], v[87:88], -v[85:86]
	v_fma_f64 v[69:70], v[69:70], v[87:88], v[75:76]
	s_waitcnt vmcnt(5)
	v_fma_f64 v[71:72], v[71:72], v[99:100], -v[89:90]
	s_waitcnt lgkmcnt(0)
	v_mul_f64 v[75:76], v[63:64], v[95:96]
	v_add_f64 v[79:80], v[79:80], v[83:84]
	v_add_f64 v[3:4], v[3:4], v[81:82]
	v_mul_f64 v[81:82], v[65:66], v[95:96]
	v_fma_f64 v[73:74], v[73:74], v[99:100], v[77:78]
	s_waitcnt vmcnt(4)
	v_fma_f64 v[65:66], v[65:66], v[97:98], v[75:76]
	v_add_f64 v[67:68], v[79:80], v[67:68]
	v_add_f64 v[3:4], v[3:4], v[69:70]
	v_fma_f64 v[63:64], v[63:64], v[97:98], -v[81:82]
	v_add_f64 v[67:68], v[67:68], v[71:72]
	v_add_f64 v[3:4], v[3:4], v[73:74]
	;; [unrolled: 1-line block ×4, first 2 shown]
	s_waitcnt vmcnt(2)
	v_add_f64 v[63:64], v[101:102], -v[63:64]
	s_waitcnt vmcnt(0)
	v_add_f64 v[3:4], v[103:104], -v[3:4]
	buffer_store_dword v64, off, s[0:3], 0 offset:356
	buffer_store_dword v63, off, s[0:3], 0 offset:352
	;; [unrolled: 1-line block ×4, first 2 shown]
	v_cmpx_lt_u32_e32 20, v0
	s_cbranch_execz .LBB28_147
; %bb.146:
	v_mov_b32_e32 v3, s18
	s_clause 0x3
	buffer_load_dword v63, v3, s[0:3], 0 offen
	buffer_load_dword v64, v3, s[0:3], 0 offen offset:4
	buffer_load_dword v65, v3, s[0:3], 0 offen offset:8
	;; [unrolled: 1-line block ×3, first 2 shown]
	buffer_store_dword v2, off, s[0:3], 0 offset:336
	buffer_store_dword v2, off, s[0:3], 0 offset:340
	;; [unrolled: 1-line block ×4, first 2 shown]
	s_waitcnt vmcnt(0)
	ds_write_b128 v1, v[63:66]
.LBB28_147:
	s_or_b32 exec_lo, exec_lo, s4
	s_waitcnt lgkmcnt(0)
	s_waitcnt_vscnt null, 0x0
	s_barrier
	buffer_gl0_inv
	s_clause 0x23
	buffer_load_dword v3, off, s[0:3], 0 offset:360
	buffer_load_dword v4, off, s[0:3], 0 offset:364
	;; [unrolled: 1-line block ×36, first 2 shown]
	ds_read_b128 v[63:66], v2 offset:800
	ds_read_b128 v[67:70], v2 offset:816
	ds_read_b128 v[71:74], v2 offset:832
	s_mov_b32 s4, exec_lo
	s_waitcnt vmcnt(34) lgkmcnt(2)
	v_mul_f64 v[109:110], v[65:66], v[3:4]
	v_mul_f64 v[3:4], v[63:64], v[3:4]
	s_waitcnt vmcnt(32) lgkmcnt(1)
	v_mul_f64 v[111:112], v[69:70], v[75:76]
	v_mul_f64 v[75:76], v[67:68], v[75:76]
	s_waitcnt vmcnt(30)
	v_fma_f64 v[109:110], v[63:64], v[77:78], -v[109:110]
	v_fma_f64 v[3:4], v[65:66], v[77:78], v[3:4]
	ds_read_b128 v[63:66], v2 offset:848
	s_waitcnt vmcnt(28) lgkmcnt(1)
	v_mul_f64 v[77:78], v[71:72], v[79:80]
	v_mul_f64 v[79:80], v[73:74], v[79:80]
	s_waitcnt vmcnt(26)
	v_fma_f64 v[111:112], v[67:68], v[81:82], -v[111:112]
	v_fma_f64 v[75:76], v[69:70], v[81:82], v[75:76]
	ds_read_b128 v[67:70], v2 offset:864
	s_waitcnt vmcnt(22) lgkmcnt(1)
	v_mul_f64 v[81:82], v[63:64], v[83:84]
	v_add_f64 v[109:110], v[109:110], 0
	v_add_f64 v[3:4], v[3:4], 0
	v_mul_f64 v[83:84], v[65:66], v[83:84]
	s_waitcnt vmcnt(20)
	v_fma_f64 v[79:80], v[71:72], v[89:90], -v[79:80]
	v_fma_f64 v[77:78], v[73:74], v[89:90], v[77:78]
	ds_read_b128 v[71:74], v2 offset:880
	s_waitcnt vmcnt(17)
	v_fma_f64 v[81:82], v[65:66], v[91:92], v[81:82]
	v_add_f64 v[109:110], v[109:110], v[111:112]
	v_add_f64 v[3:4], v[3:4], v[75:76]
	s_waitcnt lgkmcnt(1)
	v_mul_f64 v[75:76], v[67:68], v[85:86]
	v_mul_f64 v[85:86], v[69:70], v[85:86]
	v_fma_f64 v[83:84], v[63:64], v[91:92], -v[83:84]
	s_waitcnt vmcnt(13) lgkmcnt(0)
	v_mul_f64 v[89:90], v[73:74], v[93:94]
	ds_read_b128 v[63:66], v2 offset:896
	v_add_f64 v[79:80], v[109:110], v[79:80]
	v_add_f64 v[3:4], v[3:4], v[77:78]
	v_mul_f64 v[77:78], v[71:72], v[93:94]
	s_waitcnt vmcnt(12)
	v_fma_f64 v[85:86], v[67:68], v[87:88], -v[85:86]
	v_fma_f64 v[75:76], v[69:70], v[87:88], v[75:76]
	ds_read_b128 v[67:70], v2 offset:912
	s_waitcnt vmcnt(9)
	v_fma_f64 v[71:72], v[71:72], v[99:100], -v[89:90]
	v_add_f64 v[79:80], v[79:80], v[83:84]
	v_add_f64 v[3:4], v[3:4], v[81:82]
	s_waitcnt lgkmcnt(1)
	v_mul_f64 v[83:84], v[65:66], v[95:96]
	v_mul_f64 v[81:82], v[63:64], v[95:96]
	v_fma_f64 v[73:74], v[73:74], v[99:100], v[77:78]
	s_waitcnt vmcnt(7) lgkmcnt(0)
	v_mul_f64 v[77:78], v[69:70], v[101:102]
	v_add_f64 v[79:80], v[79:80], v[85:86]
	v_add_f64 v[2:3], v[3:4], v[75:76]
	s_waitcnt vmcnt(6)
	v_fma_f64 v[63:64], v[63:64], v[97:98], -v[83:84]
	v_mul_f64 v[75:76], v[67:68], v[101:102]
	v_fma_f64 v[65:66], v[65:66], v[97:98], v[81:82]
	s_waitcnt vmcnt(4)
	v_fma_f64 v[67:68], v[67:68], v[103:104], -v[77:78]
	v_add_f64 v[71:72], v[79:80], v[71:72]
	v_add_f64 v[2:3], v[2:3], v[73:74]
	v_fma_f64 v[69:70], v[69:70], v[103:104], v[75:76]
	v_add_f64 v[63:64], v[71:72], v[63:64]
	v_add_f64 v[2:3], v[2:3], v[65:66]
	;; [unrolled: 1-line block ×4, first 2 shown]
	s_waitcnt vmcnt(2)
	v_add_f64 v[63:64], v[105:106], -v[63:64]
	s_waitcnt vmcnt(0)
	v_add_f64 v[2:3], v[107:108], -v[2:3]
	buffer_store_dword v64, off, s[0:3], 0 offset:340
	buffer_store_dword v63, off, s[0:3], 0 offset:336
	;; [unrolled: 1-line block ×4, first 2 shown]
	v_cmpx_lt_u32_e32 19, v0
	s_cbranch_execz .LBB28_149
; %bb.148:
	v_mov_b32_e32 v2, s19
	s_clause 0x3
	buffer_load_dword v63, v2, s[0:3], 0 offen
	buffer_load_dword v64, v2, s[0:3], 0 offen offset:4
	buffer_load_dword v65, v2, s[0:3], 0 offen offset:8
	;; [unrolled: 1-line block ×3, first 2 shown]
	v_mov_b32_e32 v2, 0
	buffer_store_dword v2, off, s[0:3], 0 offset:320
	buffer_store_dword v2, off, s[0:3], 0 offset:324
	;; [unrolled: 1-line block ×4, first 2 shown]
	s_waitcnt vmcnt(0)
	ds_write_b128 v1, v[63:66]
.LBB28_149:
	s_or_b32 exec_lo, exec_lo, s4
	s_waitcnt lgkmcnt(0)
	s_waitcnt_vscnt null, 0x0
	s_barrier
	buffer_gl0_inv
	s_clause 0x27
	buffer_load_dword v3, off, s[0:3], 0 offset:344
	buffer_load_dword v4, off, s[0:3], 0 offset:348
	;; [unrolled: 1-line block ×40, first 2 shown]
	v_mov_b32_e32 v2, 0
	ds_read_b128 v[63:66], v2 offset:784
	ds_read_b128 v[67:70], v2 offset:800
	;; [unrolled: 1-line block ×3, first 2 shown]
	s_mov_b32 s4, exec_lo
	s_waitcnt vmcnt(38) lgkmcnt(2)
	v_mul_f64 v[113:114], v[65:66], v[3:4]
	v_mul_f64 v[3:4], v[63:64], v[3:4]
	s_waitcnt vmcnt(36) lgkmcnt(1)
	v_mul_f64 v[115:116], v[69:70], v[75:76]
	v_mul_f64 v[75:76], v[67:68], v[75:76]
	s_waitcnt vmcnt(34)
	v_fma_f64 v[113:114], v[63:64], v[77:78], -v[113:114]
	v_fma_f64 v[3:4], v[65:66], v[77:78], v[3:4]
	ds_read_b128 v[63:66], v2 offset:832
	s_waitcnt vmcnt(32) lgkmcnt(1)
	v_mul_f64 v[77:78], v[71:72], v[79:80]
	v_mul_f64 v[79:80], v[73:74], v[79:80]
	s_waitcnt vmcnt(30)
	v_fma_f64 v[115:116], v[67:68], v[81:82], -v[115:116]
	v_fma_f64 v[75:76], v[69:70], v[81:82], v[75:76]
	ds_read_b128 v[67:70], v2 offset:848
	s_waitcnt vmcnt(26) lgkmcnt(1)
	v_mul_f64 v[81:82], v[63:64], v[83:84]
	v_add_f64 v[113:114], v[113:114], 0
	v_add_f64 v[3:4], v[3:4], 0
	v_mul_f64 v[83:84], v[65:66], v[83:84]
	s_waitcnt vmcnt(24)
	v_fma_f64 v[79:80], v[71:72], v[89:90], -v[79:80]
	v_fma_f64 v[77:78], v[73:74], v[89:90], v[77:78]
	ds_read_b128 v[71:74], v2 offset:864
	s_waitcnt vmcnt(21)
	v_fma_f64 v[81:82], v[65:66], v[91:92], v[81:82]
	v_add_f64 v[113:114], v[113:114], v[115:116]
	v_add_f64 v[3:4], v[3:4], v[75:76]
	s_waitcnt lgkmcnt(1)
	v_mul_f64 v[75:76], v[67:68], v[85:86]
	v_mul_f64 v[85:86], v[69:70], v[85:86]
	v_fma_f64 v[83:84], v[63:64], v[91:92], -v[83:84]
	s_waitcnt vmcnt(17) lgkmcnt(0)
	v_mul_f64 v[89:90], v[73:74], v[93:94]
	ds_read_b128 v[63:66], v2 offset:880
	v_add_f64 v[79:80], v[113:114], v[79:80]
	v_add_f64 v[3:4], v[3:4], v[77:78]
	v_mul_f64 v[77:78], v[71:72], v[93:94]
	s_waitcnt vmcnt(16)
	v_fma_f64 v[85:86], v[67:68], v[87:88], -v[85:86]
	v_fma_f64 v[75:76], v[69:70], v[87:88], v[75:76]
	ds_read_b128 v[67:70], v2 offset:896
	s_waitcnt vmcnt(13)
	v_fma_f64 v[87:88], v[71:72], v[99:100], -v[89:90]
	v_add_f64 v[79:80], v[79:80], v[83:84]
	v_add_f64 v[3:4], v[3:4], v[81:82]
	s_waitcnt lgkmcnt(1)
	v_mul_f64 v[83:84], v[65:66], v[95:96]
	v_mul_f64 v[81:82], v[63:64], v[95:96]
	v_fma_f64 v[77:78], v[73:74], v[99:100], v[77:78]
	ds_read_b128 v[71:74], v2 offset:912
	v_add_f64 v[79:80], v[79:80], v[85:86]
	v_add_f64 v[3:4], v[3:4], v[75:76]
	s_waitcnt vmcnt(9) lgkmcnt(1)
	v_mul_f64 v[85:86], v[69:70], v[101:102]
	s_waitcnt vmcnt(8)
	v_fma_f64 v[63:64], v[63:64], v[97:98], -v[83:84]
	v_mul_f64 v[75:76], v[67:68], v[101:102]
	v_fma_f64 v[65:66], v[65:66], v[97:98], v[81:82]
	s_waitcnt vmcnt(7) lgkmcnt(0)
	v_mul_f64 v[81:82], v[73:74], v[103:104]
	v_add_f64 v[79:80], v[79:80], v[87:88]
	v_add_f64 v[3:4], v[3:4], v[77:78]
	s_waitcnt vmcnt(5)
	v_fma_f64 v[67:68], v[67:68], v[107:108], -v[85:86]
	v_mul_f64 v[77:78], v[71:72], v[103:104]
	v_fma_f64 v[69:70], v[69:70], v[107:108], v[75:76]
	v_add_f64 v[63:64], v[79:80], v[63:64]
	v_add_f64 v[3:4], v[3:4], v[65:66]
	s_waitcnt vmcnt(4)
	v_fma_f64 v[65:66], v[71:72], v[105:106], -v[81:82]
	v_add_f64 v[63:64], v[63:64], v[67:68]
	v_fma_f64 v[67:68], v[73:74], v[105:106], v[77:78]
	v_add_f64 v[3:4], v[3:4], v[69:70]
	v_add_f64 v[63:64], v[63:64], v[65:66]
	;; [unrolled: 1-line block ×3, first 2 shown]
	s_waitcnt vmcnt(2)
	v_add_f64 v[63:64], v[109:110], -v[63:64]
	s_waitcnt vmcnt(0)
	v_add_f64 v[3:4], v[111:112], -v[3:4]
	buffer_store_dword v64, off, s[0:3], 0 offset:324
	buffer_store_dword v63, off, s[0:3], 0 offset:320
	;; [unrolled: 1-line block ×4, first 2 shown]
	v_cmpx_lt_u32_e32 18, v0
	s_cbranch_execz .LBB28_151
; %bb.150:
	v_mov_b32_e32 v3, s22
	s_clause 0x3
	buffer_load_dword v63, v3, s[0:3], 0 offen
	buffer_load_dword v64, v3, s[0:3], 0 offen offset:4
	buffer_load_dword v65, v3, s[0:3], 0 offen offset:8
	;; [unrolled: 1-line block ×3, first 2 shown]
	buffer_store_dword v2, off, s[0:3], 0 offset:304
	buffer_store_dword v2, off, s[0:3], 0 offset:308
	;; [unrolled: 1-line block ×4, first 2 shown]
	s_waitcnt vmcnt(0)
	ds_write_b128 v1, v[63:66]
.LBB28_151:
	s_or_b32 exec_lo, exec_lo, s4
	s_waitcnt lgkmcnt(0)
	s_waitcnt_vscnt null, 0x0
	s_barrier
	buffer_gl0_inv
	s_clause 0x2b
	buffer_load_dword v3, off, s[0:3], 0 offset:328
	buffer_load_dword v4, off, s[0:3], 0 offset:332
	;; [unrolled: 1-line block ×44, first 2 shown]
	ds_read_b128 v[63:66], v2 offset:768
	ds_read_b128 v[67:70], v2 offset:784
	;; [unrolled: 1-line block ×3, first 2 shown]
	s_mov_b32 s4, exec_lo
	s_waitcnt vmcnt(42) lgkmcnt(2)
	v_mul_f64 v[117:118], v[65:66], v[3:4]
	v_mul_f64 v[3:4], v[63:64], v[3:4]
	s_waitcnt vmcnt(40) lgkmcnt(1)
	v_mul_f64 v[119:120], v[69:70], v[75:76]
	v_mul_f64 v[75:76], v[67:68], v[75:76]
	s_waitcnt vmcnt(38)
	v_fma_f64 v[117:118], v[63:64], v[77:78], -v[117:118]
	v_fma_f64 v[3:4], v[65:66], v[77:78], v[3:4]
	ds_read_b128 v[63:66], v2 offset:816
	s_waitcnt vmcnt(36) lgkmcnt(1)
	v_mul_f64 v[77:78], v[71:72], v[79:80]
	v_mul_f64 v[79:80], v[73:74], v[79:80]
	s_waitcnt vmcnt(34)
	v_fma_f64 v[119:120], v[67:68], v[81:82], -v[119:120]
	v_fma_f64 v[75:76], v[69:70], v[81:82], v[75:76]
	ds_read_b128 v[67:70], v2 offset:832
	s_waitcnt vmcnt(30) lgkmcnt(1)
	v_mul_f64 v[81:82], v[63:64], v[83:84]
	v_add_f64 v[117:118], v[117:118], 0
	v_add_f64 v[3:4], v[3:4], 0
	v_mul_f64 v[83:84], v[65:66], v[83:84]
	s_waitcnt vmcnt(28)
	v_fma_f64 v[79:80], v[71:72], v[89:90], -v[79:80]
	v_fma_f64 v[77:78], v[73:74], v[89:90], v[77:78]
	ds_read_b128 v[71:74], v2 offset:848
	s_waitcnt vmcnt(25)
	v_fma_f64 v[81:82], v[65:66], v[91:92], v[81:82]
	v_add_f64 v[117:118], v[117:118], v[119:120]
	v_add_f64 v[3:4], v[3:4], v[75:76]
	s_waitcnt lgkmcnt(1)
	v_mul_f64 v[75:76], v[67:68], v[85:86]
	v_mul_f64 v[85:86], v[69:70], v[85:86]
	v_fma_f64 v[83:84], v[63:64], v[91:92], -v[83:84]
	s_waitcnt vmcnt(21) lgkmcnt(0)
	v_mul_f64 v[89:90], v[73:74], v[93:94]
	ds_read_b128 v[63:66], v2 offset:864
	v_add_f64 v[79:80], v[117:118], v[79:80]
	v_add_f64 v[3:4], v[3:4], v[77:78]
	v_mul_f64 v[77:78], v[71:72], v[93:94]
	s_waitcnt vmcnt(20)
	v_fma_f64 v[85:86], v[67:68], v[87:88], -v[85:86]
	v_fma_f64 v[75:76], v[69:70], v[87:88], v[75:76]
	ds_read_b128 v[67:70], v2 offset:880
	s_waitcnt vmcnt(17)
	v_fma_f64 v[87:88], v[71:72], v[99:100], -v[89:90]
	v_add_f64 v[79:80], v[79:80], v[83:84]
	v_add_f64 v[3:4], v[3:4], v[81:82]
	s_waitcnt lgkmcnt(1)
	v_mul_f64 v[83:84], v[65:66], v[95:96]
	v_mul_f64 v[81:82], v[63:64], v[95:96]
	v_fma_f64 v[77:78], v[73:74], v[99:100], v[77:78]
	ds_read_b128 v[71:74], v2 offset:896
	v_add_f64 v[79:80], v[79:80], v[85:86]
	v_add_f64 v[3:4], v[3:4], v[75:76]
	s_waitcnt vmcnt(13) lgkmcnt(1)
	v_mul_f64 v[85:86], v[69:70], v[101:102]
	s_waitcnt vmcnt(12)
	v_fma_f64 v[83:84], v[63:64], v[97:98], -v[83:84]
	v_mul_f64 v[75:76], v[67:68], v[101:102]
	v_fma_f64 v[81:82], v[65:66], v[97:98], v[81:82]
	ds_read_b128 v[63:66], v2 offset:912
	v_add_f64 v[79:80], v[79:80], v[87:88]
	v_add_f64 v[3:4], v[3:4], v[77:78]
	s_waitcnt vmcnt(11) lgkmcnt(1)
	v_mul_f64 v[87:88], v[73:74], v[103:104]
	s_waitcnt vmcnt(9)
	v_fma_f64 v[67:68], v[67:68], v[107:108], -v[85:86]
	v_mul_f64 v[77:78], v[71:72], v[103:104]
	v_fma_f64 v[69:70], v[69:70], v[107:108], v[75:76]
	s_waitcnt vmcnt(7) lgkmcnt(0)
	v_mul_f64 v[75:76], v[63:64], v[109:110]
	v_add_f64 v[79:80], v[79:80], v[83:84]
	v_add_f64 v[2:3], v[3:4], v[81:82]
	v_mul_f64 v[81:82], v[65:66], v[109:110]
	s_waitcnt vmcnt(6)
	v_fma_f64 v[71:72], v[71:72], v[105:106], -v[87:88]
	v_fma_f64 v[73:74], v[73:74], v[105:106], v[77:78]
	s_waitcnt vmcnt(4)
	v_fma_f64 v[65:66], v[65:66], v[111:112], v[75:76]
	v_add_f64 v[67:68], v[79:80], v[67:68]
	v_add_f64 v[2:3], v[2:3], v[69:70]
	v_fma_f64 v[63:64], v[63:64], v[111:112], -v[81:82]
	v_add_f64 v[67:68], v[67:68], v[71:72]
	v_add_f64 v[2:3], v[2:3], v[73:74]
	;; [unrolled: 1-line block ×4, first 2 shown]
	s_waitcnt vmcnt(2)
	v_add_f64 v[63:64], v[113:114], -v[63:64]
	s_waitcnt vmcnt(0)
	v_add_f64 v[2:3], v[115:116], -v[2:3]
	buffer_store_dword v64, off, s[0:3], 0 offset:308
	buffer_store_dword v63, off, s[0:3], 0 offset:304
	;; [unrolled: 1-line block ×4, first 2 shown]
	v_cmpx_lt_u32_e32 17, v0
	s_cbranch_execz .LBB28_153
; %bb.152:
	v_mov_b32_e32 v2, s23
	s_clause 0x3
	buffer_load_dword v63, v2, s[0:3], 0 offen
	buffer_load_dword v64, v2, s[0:3], 0 offen offset:4
	buffer_load_dword v65, v2, s[0:3], 0 offen offset:8
	;; [unrolled: 1-line block ×3, first 2 shown]
	v_mov_b32_e32 v2, 0
	buffer_store_dword v2, off, s[0:3], 0 offset:288
	buffer_store_dword v2, off, s[0:3], 0 offset:292
	;; [unrolled: 1-line block ×4, first 2 shown]
	s_waitcnt vmcnt(0)
	ds_write_b128 v1, v[63:66]
.LBB28_153:
	s_or_b32 exec_lo, exec_lo, s4
	s_waitcnt lgkmcnt(0)
	s_waitcnt_vscnt null, 0x0
	s_barrier
	buffer_gl0_inv
	s_clause 0x2f
	buffer_load_dword v3, off, s[0:3], 0 offset:312
	buffer_load_dword v4, off, s[0:3], 0 offset:316
	;; [unrolled: 1-line block ×48, first 2 shown]
	v_mov_b32_e32 v2, 0
	ds_read_b128 v[63:66], v2 offset:752
	ds_read_b128 v[67:70], v2 offset:768
	;; [unrolled: 1-line block ×3, first 2 shown]
	s_mov_b32 s4, exec_lo
	s_waitcnt vmcnt(46) lgkmcnt(2)
	v_mul_f64 v[121:122], v[65:66], v[3:4]
	v_mul_f64 v[3:4], v[63:64], v[3:4]
	s_waitcnt vmcnt(44) lgkmcnt(1)
	v_mul_f64 v[123:124], v[69:70], v[75:76]
	v_mul_f64 v[75:76], v[67:68], v[75:76]
	s_waitcnt vmcnt(42)
	v_fma_f64 v[121:122], v[63:64], v[77:78], -v[121:122]
	v_fma_f64 v[3:4], v[65:66], v[77:78], v[3:4]
	ds_read_b128 v[63:66], v2 offset:800
	s_waitcnt vmcnt(40) lgkmcnt(1)
	v_mul_f64 v[77:78], v[71:72], v[79:80]
	v_mul_f64 v[79:80], v[73:74], v[79:80]
	s_waitcnt vmcnt(38)
	v_fma_f64 v[123:124], v[67:68], v[81:82], -v[123:124]
	v_fma_f64 v[75:76], v[69:70], v[81:82], v[75:76]
	ds_read_b128 v[67:70], v2 offset:816
	s_waitcnt vmcnt(34) lgkmcnt(1)
	v_mul_f64 v[81:82], v[63:64], v[83:84]
	v_add_f64 v[121:122], v[121:122], 0
	v_add_f64 v[3:4], v[3:4], 0
	v_mul_f64 v[83:84], v[65:66], v[83:84]
	s_waitcnt vmcnt(32)
	v_fma_f64 v[79:80], v[71:72], v[89:90], -v[79:80]
	v_fma_f64 v[77:78], v[73:74], v[89:90], v[77:78]
	ds_read_b128 v[71:74], v2 offset:832
	s_waitcnt vmcnt(29)
	v_fma_f64 v[81:82], v[65:66], v[91:92], v[81:82]
	v_add_f64 v[121:122], v[121:122], v[123:124]
	v_add_f64 v[3:4], v[3:4], v[75:76]
	s_waitcnt lgkmcnt(1)
	v_mul_f64 v[75:76], v[67:68], v[85:86]
	v_mul_f64 v[85:86], v[69:70], v[85:86]
	v_fma_f64 v[83:84], v[63:64], v[91:92], -v[83:84]
	s_waitcnt vmcnt(25) lgkmcnt(0)
	v_mul_f64 v[89:90], v[73:74], v[93:94]
	ds_read_b128 v[63:66], v2 offset:848
	v_add_f64 v[79:80], v[121:122], v[79:80]
	v_add_f64 v[3:4], v[3:4], v[77:78]
	v_mul_f64 v[77:78], v[71:72], v[93:94]
	s_waitcnt vmcnt(24)
	v_fma_f64 v[85:86], v[67:68], v[87:88], -v[85:86]
	v_fma_f64 v[75:76], v[69:70], v[87:88], v[75:76]
	ds_read_b128 v[67:70], v2 offset:864
	s_waitcnt vmcnt(21)
	v_fma_f64 v[87:88], v[71:72], v[99:100], -v[89:90]
	v_add_f64 v[79:80], v[79:80], v[83:84]
	v_add_f64 v[3:4], v[3:4], v[81:82]
	s_waitcnt lgkmcnt(1)
	v_mul_f64 v[83:84], v[65:66], v[95:96]
	v_mul_f64 v[81:82], v[63:64], v[95:96]
	v_fma_f64 v[77:78], v[73:74], v[99:100], v[77:78]
	ds_read_b128 v[71:74], v2 offset:880
	v_add_f64 v[79:80], v[79:80], v[85:86]
	v_add_f64 v[3:4], v[3:4], v[75:76]
	s_waitcnt vmcnt(17) lgkmcnt(1)
	v_mul_f64 v[85:86], v[69:70], v[101:102]
	s_waitcnt vmcnt(16)
	v_fma_f64 v[83:84], v[63:64], v[97:98], -v[83:84]
	v_mul_f64 v[75:76], v[67:68], v[101:102]
	v_fma_f64 v[81:82], v[65:66], v[97:98], v[81:82]
	ds_read_b128 v[63:66], v2 offset:896
	v_add_f64 v[79:80], v[79:80], v[87:88]
	v_add_f64 v[3:4], v[3:4], v[77:78]
	s_waitcnt vmcnt(15) lgkmcnt(1)
	v_mul_f64 v[87:88], v[73:74], v[103:104]
	s_waitcnt vmcnt(13)
	v_fma_f64 v[85:86], v[67:68], v[107:108], -v[85:86]
	;; [unrolled: 9-line block ×3, first 2 shown]
	v_mul_f64 v[81:82], v[63:64], v[109:110]
	v_fma_f64 v[73:74], v[73:74], v[105:106], v[77:78]
	s_waitcnt vmcnt(7) lgkmcnt(0)
	v_mul_f64 v[77:78], v[69:70], v[111:112]
	v_add_f64 v[79:80], v[79:80], v[85:86]
	v_add_f64 v[3:4], v[3:4], v[75:76]
	s_waitcnt vmcnt(5)
	v_fma_f64 v[63:64], v[63:64], v[115:116], -v[83:84]
	v_mul_f64 v[75:76], v[67:68], v[111:112]
	v_fma_f64 v[65:66], v[65:66], v[115:116], v[81:82]
	s_waitcnt vmcnt(4)
	v_fma_f64 v[67:68], v[67:68], v[113:114], -v[77:78]
	v_add_f64 v[71:72], v[79:80], v[71:72]
	v_add_f64 v[3:4], v[3:4], v[73:74]
	v_fma_f64 v[69:70], v[69:70], v[113:114], v[75:76]
	v_add_f64 v[63:64], v[71:72], v[63:64]
	v_add_f64 v[3:4], v[3:4], v[65:66]
	;; [unrolled: 1-line block ×4, first 2 shown]
	s_waitcnt vmcnt(2)
	v_add_f64 v[63:64], v[117:118], -v[63:64]
	s_waitcnt vmcnt(0)
	v_add_f64 v[3:4], v[119:120], -v[3:4]
	buffer_store_dword v64, off, s[0:3], 0 offset:292
	buffer_store_dword v63, off, s[0:3], 0 offset:288
	;; [unrolled: 1-line block ×4, first 2 shown]
	v_cmpx_lt_u32_e32 16, v0
	s_cbranch_execz .LBB28_155
; %bb.154:
	v_mov_b32_e32 v3, s24
	s_clause 0x3
	buffer_load_dword v63, v3, s[0:3], 0 offen
	buffer_load_dword v64, v3, s[0:3], 0 offen offset:4
	buffer_load_dword v65, v3, s[0:3], 0 offen offset:8
	;; [unrolled: 1-line block ×3, first 2 shown]
	buffer_store_dword v2, off, s[0:3], 0 offset:272
	buffer_store_dword v2, off, s[0:3], 0 offset:276
	;; [unrolled: 1-line block ×4, first 2 shown]
	s_waitcnt vmcnt(0)
	ds_write_b128 v1, v[63:66]
.LBB28_155:
	s_or_b32 exec_lo, exec_lo, s4
	s_waitcnt lgkmcnt(0)
	s_waitcnt_vscnt null, 0x0
	s_barrier
	buffer_gl0_inv
	s_clause 0x2f
	buffer_load_dword v3, off, s[0:3], 0 offset:296
	buffer_load_dword v4, off, s[0:3], 0 offset:300
	;; [unrolled: 1-line block ×48, first 2 shown]
	ds_read_b128 v[63:66], v2 offset:736
	s_clause 0x3
	buffer_load_dword v121, off, s[0:3], 0 offset:272
	buffer_load_dword v122, off, s[0:3], 0 offset:276
	;; [unrolled: 1-line block ×4, first 2 shown]
	ds_read_b128 v[67:70], v2 offset:752
	ds_read_b128 v[71:74], v2 offset:768
	s_mov_b32 s4, exec_lo
	s_waitcnt vmcnt(50) lgkmcnt(2)
	v_mul_f64 v[125:126], v[65:66], v[3:4]
	v_mul_f64 v[3:4], v[63:64], v[3:4]
	s_waitcnt vmcnt(48) lgkmcnt(1)
	v_mul_f64 v[127:128], v[69:70], v[75:76]
	v_mul_f64 v[75:76], v[67:68], v[75:76]
	s_waitcnt vmcnt(46)
	v_fma_f64 v[125:126], v[63:64], v[77:78], -v[125:126]
	v_fma_f64 v[3:4], v[65:66], v[77:78], v[3:4]
	s_waitcnt vmcnt(44) lgkmcnt(0)
	v_mul_f64 v[77:78], v[71:72], v[79:80]
	v_mul_f64 v[79:80], v[73:74], v[79:80]
	s_waitcnt vmcnt(42)
	v_fma_f64 v[127:128], v[67:68], v[81:82], -v[127:128]
	ds_read_b128 v[63:66], v2 offset:784
	v_fma_f64 v[75:76], v[69:70], v[81:82], v[75:76]
	ds_read_b128 v[67:70], v2 offset:800
	v_add_f64 v[125:126], v[125:126], 0
	v_add_f64 v[3:4], v[3:4], 0
	s_waitcnt vmcnt(36)
	v_fma_f64 v[77:78], v[73:74], v[89:90], v[77:78]
	s_waitcnt lgkmcnt(1)
	v_mul_f64 v[81:82], v[63:64], v[83:84]
	v_mul_f64 v[83:84], v[65:66], v[83:84]
	v_fma_f64 v[79:80], v[71:72], v[89:90], -v[79:80]
	ds_read_b128 v[71:74], v2 offset:816
	v_add_f64 v[125:126], v[125:126], v[127:128]
	v_add_f64 v[3:4], v[3:4], v[75:76]
	s_waitcnt vmcnt(35) lgkmcnt(1)
	v_mul_f64 v[75:76], v[67:68], v[85:86]
	v_mul_f64 v[85:86], v[69:70], v[85:86]
	s_waitcnt vmcnt(33)
	v_fma_f64 v[83:84], v[63:64], v[91:92], -v[83:84]
	v_fma_f64 v[81:82], v[65:66], v[91:92], v[81:82]
	ds_read_b128 v[63:66], v2 offset:832
	s_waitcnt vmcnt(29) lgkmcnt(1)
	v_mul_f64 v[89:90], v[73:74], v[93:94]
	v_add_f64 v[79:80], v[125:126], v[79:80]
	v_add_f64 v[3:4], v[3:4], v[77:78]
	v_mul_f64 v[77:78], v[71:72], v[93:94]
	s_waitcnt vmcnt(28)
	v_fma_f64 v[85:86], v[67:68], v[87:88], -v[85:86]
	v_fma_f64 v[75:76], v[69:70], v[87:88], v[75:76]
	ds_read_b128 v[67:70], v2 offset:848
	s_waitcnt vmcnt(25)
	v_fma_f64 v[87:88], v[71:72], v[99:100], -v[89:90]
	v_add_f64 v[79:80], v[79:80], v[83:84]
	v_add_f64 v[3:4], v[3:4], v[81:82]
	s_waitcnt lgkmcnt(1)
	v_mul_f64 v[83:84], v[65:66], v[95:96]
	v_mul_f64 v[81:82], v[63:64], v[95:96]
	v_fma_f64 v[77:78], v[73:74], v[99:100], v[77:78]
	ds_read_b128 v[71:74], v2 offset:864
	v_add_f64 v[79:80], v[79:80], v[85:86]
	v_add_f64 v[3:4], v[3:4], v[75:76]
	s_waitcnt vmcnt(21) lgkmcnt(1)
	v_mul_f64 v[85:86], v[69:70], v[101:102]
	s_waitcnt vmcnt(20)
	v_fma_f64 v[83:84], v[63:64], v[97:98], -v[83:84]
	v_mul_f64 v[75:76], v[67:68], v[101:102]
	v_fma_f64 v[81:82], v[65:66], v[97:98], v[81:82]
	ds_read_b128 v[63:66], v2 offset:880
	v_add_f64 v[79:80], v[79:80], v[87:88]
	v_add_f64 v[3:4], v[3:4], v[77:78]
	s_waitcnt vmcnt(19) lgkmcnt(1)
	v_mul_f64 v[87:88], v[73:74], v[103:104]
	s_waitcnt vmcnt(17)
	v_fma_f64 v[85:86], v[67:68], v[107:108], -v[85:86]
	v_mul_f64 v[77:78], v[71:72], v[103:104]
	v_fma_f64 v[75:76], v[69:70], v[107:108], v[75:76]
	ds_read_b128 v[67:70], v2 offset:896
	v_add_f64 v[79:80], v[79:80], v[83:84]
	v_add_f64 v[3:4], v[3:4], v[81:82]
	s_waitcnt vmcnt(13) lgkmcnt(1)
	v_mul_f64 v[83:84], v[65:66], v[109:110]
	s_waitcnt vmcnt(12)
	v_fma_f64 v[87:88], v[71:72], v[105:106], -v[87:88]
	v_mul_f64 v[81:82], v[63:64], v[109:110]
	v_fma_f64 v[77:78], v[73:74], v[105:106], v[77:78]
	ds_read_b128 v[71:74], v2 offset:912
	v_add_f64 v[79:80], v[79:80], v[85:86]
	v_add_f64 v[3:4], v[3:4], v[75:76]
	s_waitcnt vmcnt(11) lgkmcnt(1)
	v_mul_f64 v[85:86], v[69:70], v[111:112]
	s_waitcnt vmcnt(9)
	v_fma_f64 v[63:64], v[63:64], v[115:116], -v[83:84]
	v_mul_f64 v[75:76], v[67:68], v[111:112]
	v_fma_f64 v[65:66], v[65:66], v[115:116], v[81:82]
	s_waitcnt vmcnt(7) lgkmcnt(0)
	v_mul_f64 v[81:82], v[73:74], v[117:118]
	v_add_f64 v[79:80], v[79:80], v[87:88]
	v_add_f64 v[2:3], v[3:4], v[77:78]
	s_waitcnt vmcnt(6)
	v_fma_f64 v[67:68], v[67:68], v[113:114], -v[85:86]
	v_mul_f64 v[77:78], v[71:72], v[117:118]
	v_fma_f64 v[69:70], v[69:70], v[113:114], v[75:76]
	v_add_f64 v[63:64], v[79:80], v[63:64]
	v_add_f64 v[2:3], v[2:3], v[65:66]
	s_waitcnt vmcnt(4)
	v_fma_f64 v[65:66], v[71:72], v[119:120], -v[81:82]
	v_add_f64 v[63:64], v[63:64], v[67:68]
	v_fma_f64 v[67:68], v[73:74], v[119:120], v[77:78]
	v_add_f64 v[2:3], v[2:3], v[69:70]
	v_add_f64 v[63:64], v[63:64], v[65:66]
	;; [unrolled: 1-line block ×3, first 2 shown]
	s_waitcnt vmcnt(2)
	v_add_f64 v[63:64], v[121:122], -v[63:64]
	s_waitcnt vmcnt(0)
	v_add_f64 v[2:3], v[123:124], -v[2:3]
	buffer_store_dword v64, off, s[0:3], 0 offset:276
	buffer_store_dword v63, off, s[0:3], 0 offset:272
	;; [unrolled: 1-line block ×4, first 2 shown]
	v_cmpx_lt_u32_e32 15, v0
	s_cbranch_execz .LBB28_157
; %bb.156:
	v_mov_b32_e32 v2, s25
	s_clause 0x3
	buffer_load_dword v63, v2, s[0:3], 0 offen
	buffer_load_dword v64, v2, s[0:3], 0 offen offset:4
	buffer_load_dword v65, v2, s[0:3], 0 offen offset:8
	;; [unrolled: 1-line block ×3, first 2 shown]
	v_mov_b32_e32 v2, 0
	buffer_store_dword v2, off, s[0:3], 0 offset:256
	buffer_store_dword v2, off, s[0:3], 0 offset:260
	;; [unrolled: 1-line block ×4, first 2 shown]
	s_waitcnt vmcnt(0)
	ds_write_b128 v1, v[63:66]
.LBB28_157:
	s_or_b32 exec_lo, exec_lo, s4
	s_waitcnt lgkmcnt(0)
	s_waitcnt_vscnt null, 0x0
	s_barrier
	buffer_gl0_inv
	s_clause 0x33
	buffer_load_dword v3, off, s[0:3], 0 offset:280
	buffer_load_dword v4, off, s[0:3], 0 offset:284
	;; [unrolled: 1-line block ×52, first 2 shown]
	v_mov_b32_e32 v2, 0
	ds_read_b128 v[63:66], v2 offset:720
	ds_read_b128 v[67:70], v2 offset:736
	s_clause 0x3
	buffer_load_dword v127, off, s[0:3], 0 offset:256
	buffer_load_dword v128, off, s[0:3], 0 offset:260
	;; [unrolled: 1-line block ×4, first 2 shown]
	ds_read_b128 v[71:74], v2 offset:752
	s_mov_b32 s4, exec_lo
	s_waitcnt vmcnt(54) lgkmcnt(2)
	v_mul_f64 v[125:126], v[65:66], v[3:4]
	v_mul_f64 v[3:4], v[63:64], v[3:4]
	s_waitcnt vmcnt(52) lgkmcnt(1)
	v_mul_f64 v[131:132], v[69:70], v[75:76]
	v_mul_f64 v[75:76], v[67:68], v[75:76]
	s_waitcnt vmcnt(50)
	v_fma_f64 v[125:126], v[63:64], v[77:78], -v[125:126]
	v_fma_f64 v[3:4], v[65:66], v[77:78], v[3:4]
	ds_read_b128 v[63:66], v2 offset:768
	s_waitcnt vmcnt(48) lgkmcnt(1)
	v_mul_f64 v[77:78], v[71:72], v[79:80]
	v_mul_f64 v[79:80], v[73:74], v[79:80]
	s_waitcnt vmcnt(46)
	v_fma_f64 v[131:132], v[67:68], v[81:82], -v[131:132]
	v_fma_f64 v[75:76], v[69:70], v[81:82], v[75:76]
	ds_read_b128 v[67:70], v2 offset:784
	s_waitcnt vmcnt(42) lgkmcnt(1)
	v_mul_f64 v[81:82], v[63:64], v[83:84]
	v_add_f64 v[125:126], v[125:126], 0
	v_add_f64 v[3:4], v[3:4], 0
	v_mul_f64 v[83:84], v[65:66], v[83:84]
	s_waitcnt vmcnt(40)
	v_fma_f64 v[79:80], v[71:72], v[89:90], -v[79:80]
	v_fma_f64 v[77:78], v[73:74], v[89:90], v[77:78]
	ds_read_b128 v[71:74], v2 offset:800
	s_waitcnt vmcnt(37)
	v_fma_f64 v[81:82], v[65:66], v[91:92], v[81:82]
	v_add_f64 v[125:126], v[125:126], v[131:132]
	v_add_f64 v[3:4], v[3:4], v[75:76]
	s_waitcnt lgkmcnt(1)
	v_mul_f64 v[75:76], v[67:68], v[85:86]
	v_mul_f64 v[85:86], v[69:70], v[85:86]
	v_fma_f64 v[83:84], v[63:64], v[91:92], -v[83:84]
	s_waitcnt vmcnt(33) lgkmcnt(0)
	v_mul_f64 v[89:90], v[73:74], v[93:94]
	ds_read_b128 v[63:66], v2 offset:816
	v_add_f64 v[79:80], v[125:126], v[79:80]
	v_add_f64 v[3:4], v[3:4], v[77:78]
	v_mul_f64 v[77:78], v[71:72], v[93:94]
	s_waitcnt vmcnt(32)
	v_fma_f64 v[85:86], v[67:68], v[87:88], -v[85:86]
	v_fma_f64 v[75:76], v[69:70], v[87:88], v[75:76]
	ds_read_b128 v[67:70], v2 offset:832
	s_waitcnt vmcnt(29)
	v_fma_f64 v[87:88], v[71:72], v[99:100], -v[89:90]
	v_add_f64 v[79:80], v[79:80], v[83:84]
	v_add_f64 v[3:4], v[3:4], v[81:82]
	s_waitcnt lgkmcnt(1)
	v_mul_f64 v[83:84], v[65:66], v[95:96]
	v_mul_f64 v[81:82], v[63:64], v[95:96]
	v_fma_f64 v[77:78], v[73:74], v[99:100], v[77:78]
	ds_read_b128 v[71:74], v2 offset:848
	v_add_f64 v[79:80], v[79:80], v[85:86]
	v_add_f64 v[3:4], v[3:4], v[75:76]
	s_waitcnt vmcnt(25) lgkmcnt(1)
	v_mul_f64 v[85:86], v[69:70], v[101:102]
	s_waitcnt vmcnt(24)
	v_fma_f64 v[83:84], v[63:64], v[97:98], -v[83:84]
	v_mul_f64 v[75:76], v[67:68], v[101:102]
	v_fma_f64 v[81:82], v[65:66], v[97:98], v[81:82]
	ds_read_b128 v[63:66], v2 offset:864
	v_add_f64 v[79:80], v[79:80], v[87:88]
	v_add_f64 v[3:4], v[3:4], v[77:78]
	s_waitcnt vmcnt(23) lgkmcnt(1)
	v_mul_f64 v[87:88], v[73:74], v[103:104]
	s_waitcnt vmcnt(21)
	v_fma_f64 v[85:86], v[67:68], v[107:108], -v[85:86]
	;; [unrolled: 9-line block ×5, first 2 shown]
	v_mul_f64 v[77:78], v[71:72], v[117:118]
	v_fma_f64 v[69:70], v[69:70], v[113:114], v[75:76]
	s_waitcnt vmcnt(7) lgkmcnt(0)
	v_mul_f64 v[75:76], v[63:64], v[119:120]
	v_add_f64 v[79:80], v[79:80], v[83:84]
	v_add_f64 v[3:4], v[3:4], v[81:82]
	v_mul_f64 v[81:82], v[65:66], v[119:120]
	s_waitcnt vmcnt(5)
	v_fma_f64 v[71:72], v[71:72], v[123:124], -v[87:88]
	v_fma_f64 v[73:74], v[73:74], v[123:124], v[77:78]
	s_waitcnt vmcnt(4)
	v_fma_f64 v[65:66], v[65:66], v[121:122], v[75:76]
	v_add_f64 v[67:68], v[79:80], v[67:68]
	v_add_f64 v[3:4], v[3:4], v[69:70]
	v_fma_f64 v[63:64], v[63:64], v[121:122], -v[81:82]
	v_add_f64 v[67:68], v[67:68], v[71:72]
	v_add_f64 v[3:4], v[3:4], v[73:74]
	;; [unrolled: 1-line block ×4, first 2 shown]
	s_waitcnt vmcnt(2)
	v_add_f64 v[63:64], v[127:128], -v[63:64]
	s_waitcnt vmcnt(0)
	v_add_f64 v[3:4], v[129:130], -v[3:4]
	buffer_store_dword v64, off, s[0:3], 0 offset:260
	buffer_store_dword v63, off, s[0:3], 0 offset:256
	;; [unrolled: 1-line block ×4, first 2 shown]
	v_cmpx_lt_u32_e32 14, v0
	s_cbranch_execz .LBB28_159
; %bb.158:
	v_mov_b32_e32 v3, s26
	s_clause 0x3
	buffer_load_dword v63, v3, s[0:3], 0 offen
	buffer_load_dword v64, v3, s[0:3], 0 offen offset:4
	buffer_load_dword v65, v3, s[0:3], 0 offen offset:8
	;; [unrolled: 1-line block ×3, first 2 shown]
	buffer_store_dword v2, off, s[0:3], 0 offset:240
	buffer_store_dword v2, off, s[0:3], 0 offset:244
	;; [unrolled: 1-line block ×4, first 2 shown]
	s_waitcnt vmcnt(0)
	ds_write_b128 v1, v[63:66]
.LBB28_159:
	s_or_b32 exec_lo, exec_lo, s4
	s_waitcnt lgkmcnt(0)
	s_waitcnt_vscnt null, 0x0
	s_barrier
	buffer_gl0_inv
	s_clause 0x35
	buffer_load_dword v3, off, s[0:3], 0 offset:264
	buffer_load_dword v4, off, s[0:3], 0 offset:268
	;; [unrolled: 1-line block ×54, first 2 shown]
	ds_read_b128 v[63:66], v2 offset:704
	s_clause 0x1
	buffer_load_dword v128, off, s[0:3], 0 offset:468
	buffer_load_dword v127, off, s[0:3], 0 offset:464
	ds_read_b128 v[67:70], v2 offset:720
	ds_read_b128 v[71:74], v2 offset:736
	s_mov_b32 s4, exec_lo
	s_waitcnt vmcnt(54) lgkmcnt(2)
	v_mul_f64 v[129:130], v[65:66], v[3:4]
	v_mul_f64 v[3:4], v[63:64], v[3:4]
	s_waitcnt vmcnt(52) lgkmcnt(1)
	v_mul_f64 v[131:132], v[69:70], v[75:76]
	v_mul_f64 v[75:76], v[67:68], v[75:76]
	;; [unrolled: 3-line block ×3, first 2 shown]
	v_fma_f64 v[129:130], v[63:64], v[77:78], -v[129:130]
	v_fma_f64 v[3:4], v[65:66], v[77:78], v[3:4]
	s_clause 0x3
	buffer_load_dword v77, off, s[0:3], 0 offset:240
	buffer_load_dword v78, off, s[0:3], 0 offset:244
	;; [unrolled: 1-line block ×4, first 2 shown]
	s_waitcnt vmcnt(50)
	v_fma_f64 v[131:132], v[67:68], v[81:82], -v[131:132]
	ds_read_b128 v[63:66], v2 offset:752
	v_fma_f64 v[75:76], v[69:70], v[81:82], v[75:76]
	ds_read_b128 v[67:70], v2 offset:768
	s_waitcnt vmcnt(44)
	v_fma_f64 v[79:80], v[71:72], v[89:90], -v[79:80]
	v_fma_f64 v[89:90], v[73:74], v[89:90], v[135:136]
	ds_read_b128 v[71:74], v2 offset:784
	v_add_f64 v[129:130], v[129:130], 0
	v_add_f64 v[3:4], v[3:4], 0
	s_waitcnt lgkmcnt(2)
	v_mul_f64 v[81:82], v[63:64], v[83:84]
	v_mul_f64 v[83:84], v[65:66], v[83:84]
	v_add_f64 v[129:130], v[129:130], v[131:132]
	v_add_f64 v[3:4], v[3:4], v[75:76]
	s_waitcnt vmcnt(43) lgkmcnt(1)
	v_mul_f64 v[75:76], v[67:68], v[85:86]
	v_mul_f64 v[85:86], v[69:70], v[85:86]
	s_waitcnt vmcnt(41)
	v_fma_f64 v[83:84], v[63:64], v[91:92], -v[83:84]
	v_fma_f64 v[81:82], v[65:66], v[91:92], v[81:82]
	ds_read_b128 v[63:66], v2 offset:800
	s_waitcnt vmcnt(37) lgkmcnt(1)
	v_mul_f64 v[91:92], v[73:74], v[93:94]
	v_add_f64 v[79:80], v[129:130], v[79:80]
	v_add_f64 v[3:4], v[3:4], v[89:90]
	v_mul_f64 v[89:90], v[71:72], v[93:94]
	s_waitcnt vmcnt(36)
	v_fma_f64 v[85:86], v[67:68], v[87:88], -v[85:86]
	v_fma_f64 v[75:76], v[69:70], v[87:88], v[75:76]
	ds_read_b128 v[67:70], v2 offset:816
	s_waitcnt vmcnt(33)
	v_fma_f64 v[87:88], v[71:72], v[99:100], -v[91:92]
	v_add_f64 v[79:80], v[79:80], v[83:84]
	v_add_f64 v[3:4], v[3:4], v[81:82]
	s_waitcnt lgkmcnt(1)
	v_mul_f64 v[83:84], v[65:66], v[95:96]
	v_mul_f64 v[81:82], v[63:64], v[95:96]
	v_add_f64 v[79:80], v[79:80], v[85:86]
	v_fma_f64 v[85:86], v[73:74], v[99:100], v[89:90]
	v_add_f64 v[3:4], v[3:4], v[75:76]
	ds_read_b128 v[71:74], v2 offset:832
	s_waitcnt vmcnt(29) lgkmcnt(1)
	v_mul_f64 v[89:90], v[69:70], v[101:102]
	s_waitcnt vmcnt(28)
	v_fma_f64 v[83:84], v[63:64], v[97:98], -v[83:84]
	v_mul_f64 v[75:76], v[67:68], v[101:102]
	v_fma_f64 v[81:82], v[65:66], v[97:98], v[81:82]
	ds_read_b128 v[63:66], v2 offset:848
	v_add_f64 v[79:80], v[79:80], v[87:88]
	s_waitcnt vmcnt(27) lgkmcnt(1)
	v_mul_f64 v[87:88], v[73:74], v[103:104]
	v_add_f64 v[3:4], v[3:4], v[85:86]
	v_mul_f64 v[85:86], v[71:72], v[103:104]
	s_waitcnt vmcnt(25)
	v_fma_f64 v[89:90], v[67:68], v[107:108], -v[89:90]
	v_fma_f64 v[75:76], v[69:70], v[107:108], v[75:76]
	ds_read_b128 v[67:70], v2 offset:864
	v_add_f64 v[79:80], v[79:80], v[83:84]
	s_waitcnt vmcnt(21) lgkmcnt(1)
	v_mul_f64 v[83:84], v[65:66], v[109:110]
	v_add_f64 v[3:4], v[3:4], v[81:82]
	s_waitcnt vmcnt(20)
	v_fma_f64 v[87:88], v[71:72], v[105:106], -v[87:88]
	v_mul_f64 v[81:82], v[63:64], v[109:110]
	v_fma_f64 v[85:86], v[73:74], v[105:106], v[85:86]
	ds_read_b128 v[71:74], v2 offset:880
	v_add_f64 v[79:80], v[79:80], v[89:90]
	s_waitcnt vmcnt(19) lgkmcnt(1)
	v_mul_f64 v[89:90], v[69:70], v[111:112]
	v_add_f64 v[3:4], v[3:4], v[75:76]
	s_waitcnt vmcnt(17)
	v_fma_f64 v[83:84], v[63:64], v[115:116], -v[83:84]
	v_mul_f64 v[75:76], v[67:68], v[111:112]
	;; [unrolled: 9-line block ×4, first 2 shown]
	v_fma_f64 v[73:74], v[73:74], v[123:124], v[85:86]
	s_waitcnt vmcnt(7) lgkmcnt(0)
	v_mul_f64 v[85:86], v[69:70], v[125:126]
	v_add_f64 v[79:80], v[79:80], v[89:90]
	s_waitcnt vmcnt(6)
	v_fma_f64 v[63:64], v[63:64], v[121:122], -v[83:84]
	v_add_f64 v[2:3], v[3:4], v[75:76]
	v_mul_f64 v[75:76], v[67:68], v[125:126]
	v_fma_f64 v[65:66], v[65:66], v[121:122], v[81:82]
	s_waitcnt vmcnt(4)
	v_fma_f64 v[67:68], v[67:68], v[127:128], -v[85:86]
	v_add_f64 v[71:72], v[79:80], v[71:72]
	v_add_f64 v[2:3], v[2:3], v[73:74]
	v_fma_f64 v[69:70], v[69:70], v[127:128], v[75:76]
	v_add_f64 v[63:64], v[71:72], v[63:64]
	v_add_f64 v[2:3], v[2:3], v[65:66]
	;; [unrolled: 1-line block ×4, first 2 shown]
	s_waitcnt vmcnt(2)
	v_add_f64 v[63:64], v[77:78], -v[63:64]
	s_waitcnt vmcnt(0)
	v_add_f64 v[2:3], v[133:134], -v[2:3]
	buffer_store_dword v64, off, s[0:3], 0 offset:244
	buffer_store_dword v63, off, s[0:3], 0 offset:240
	;; [unrolled: 1-line block ×4, first 2 shown]
	v_cmpx_lt_u32_e32 13, v0
	s_cbranch_execz .LBB28_161
; %bb.160:
	v_mov_b32_e32 v2, s27
	s_clause 0x3
	buffer_load_dword v63, v2, s[0:3], 0 offen
	buffer_load_dword v64, v2, s[0:3], 0 offen offset:4
	buffer_load_dword v65, v2, s[0:3], 0 offen offset:8
	;; [unrolled: 1-line block ×3, first 2 shown]
	v_mov_b32_e32 v2, 0
	buffer_store_dword v2, off, s[0:3], 0 offset:224
	buffer_store_dword v2, off, s[0:3], 0 offset:228
	;; [unrolled: 1-line block ×4, first 2 shown]
	s_waitcnt vmcnt(0)
	ds_write_b128 v1, v[63:66]
.LBB28_161:
	s_or_b32 exec_lo, exec_lo, s4
	s_waitcnt lgkmcnt(0)
	s_waitcnt_vscnt null, 0x0
	s_barrier
	buffer_gl0_inv
	s_clause 0x37
	buffer_load_dword v3, off, s[0:3], 0 offset:248
	buffer_load_dword v4, off, s[0:3], 0 offset:252
	;; [unrolled: 1-line block ×56, first 2 shown]
	v_mov_b32_e32 v2, 0
	s_mov_b32 s4, exec_lo
	ds_read_b128 v[63:66], v2 offset:688
	s_clause 0x2
	buffer_load_dword v128, off, s[0:3], 0 offset:476
	buffer_load_dword v132, off, s[0:3], 0 offset:452
	;; [unrolled: 1-line block ×3, first 2 shown]
	ds_read_b128 v[67:70], v2 offset:704
	ds_read_b128 v[71:74], v2 offset:720
	buffer_load_dword v130, off, s[0:3], 0 offset:468
	s_waitcnt vmcnt(58) lgkmcnt(2)
	v_mul_f64 v[133:134], v[65:66], v[3:4]
	v_mul_f64 v[3:4], v[63:64], v[3:4]
	s_waitcnt vmcnt(56) lgkmcnt(1)
	v_mul_f64 v[135:136], v[69:70], v[75:76]
	v_mul_f64 v[75:76], v[67:68], v[75:76]
	s_waitcnt vmcnt(54)
	v_fma_f64 v[133:134], v[63:64], v[77:78], -v[133:134]
	v_fma_f64 v[3:4], v[65:66], v[77:78], v[3:4]
	s_waitcnt vmcnt(52) lgkmcnt(0)
	v_mul_f64 v[77:78], v[71:72], v[79:80]
	v_mul_f64 v[79:80], v[73:74], v[79:80]
	s_waitcnt vmcnt(50)
	v_fma_f64 v[135:136], v[67:68], v[81:82], -v[135:136]
	ds_read_b128 v[63:66], v2 offset:736
	v_fma_f64 v[75:76], v[69:70], v[81:82], v[75:76]
	s_clause 0x3
	buffer_load_dword v81, off, s[0:3], 0 offset:224
	buffer_load_dword v82, off, s[0:3], 0 offset:228
	;; [unrolled: 1-line block ×4, first 2 shown]
	ds_read_b128 v[67:70], v2 offset:752
	v_add_f64 v[133:134], v[133:134], 0
	v_add_f64 v[3:4], v[3:4], 0
	s_waitcnt vmcnt(48)
	v_fma_f64 v[77:78], v[73:74], v[89:90], v[77:78]
	s_waitcnt lgkmcnt(1)
	v_mul_f64 v[139:140], v[63:64], v[83:84]
	v_mul_f64 v[83:84], v[65:66], v[83:84]
	v_fma_f64 v[79:80], v[71:72], v[89:90], -v[79:80]
	ds_read_b128 v[71:74], v2 offset:768
	v_add_f64 v[133:134], v[133:134], v[135:136]
	v_add_f64 v[3:4], v[3:4], v[75:76]
	s_waitcnt vmcnt(47) lgkmcnt(1)
	v_mul_f64 v[75:76], v[67:68], v[85:86]
	v_mul_f64 v[85:86], v[69:70], v[85:86]
	s_waitcnt vmcnt(45)
	v_fma_f64 v[83:84], v[63:64], v[91:92], -v[83:84]
	v_fma_f64 v[89:90], v[65:66], v[91:92], v[139:140]
	s_waitcnt vmcnt(41) lgkmcnt(0)
	v_mul_f64 v[91:92], v[73:74], v[93:94]
	ds_read_b128 v[63:66], v2 offset:784
	v_add_f64 v[79:80], v[133:134], v[79:80]
	v_add_f64 v[3:4], v[3:4], v[77:78]
	v_mul_f64 v[77:78], v[71:72], v[93:94]
	s_waitcnt vmcnt(40)
	v_fma_f64 v[85:86], v[67:68], v[87:88], -v[85:86]
	v_fma_f64 v[75:76], v[69:70], v[87:88], v[75:76]
	ds_read_b128 v[67:70], v2 offset:800
	s_waitcnt vmcnt(39) lgkmcnt(1)
	v_mul_f64 v[87:88], v[65:66], v[95:96]
	v_add_f64 v[79:80], v[79:80], v[83:84]
	v_add_f64 v[3:4], v[3:4], v[89:90]
	s_waitcnt vmcnt(37)
	v_fma_f64 v[89:90], v[71:72], v[99:100], -v[91:92]
	v_mul_f64 v[83:84], v[63:64], v[95:96]
	v_fma_f64 v[77:78], v[73:74], v[99:100], v[77:78]
	ds_read_b128 v[71:74], v2 offset:816
	s_waitcnt vmcnt(32)
	v_fma_f64 v[87:88], v[63:64], v[97:98], -v[87:88]
	v_add_f64 v[79:80], v[79:80], v[85:86]
	v_add_f64 v[3:4], v[3:4], v[75:76]
	s_waitcnt lgkmcnt(1)
	v_mul_f64 v[85:86], v[69:70], v[101:102]
	v_mul_f64 v[75:76], v[67:68], v[101:102]
	v_fma_f64 v[83:84], v[65:66], v[97:98], v[83:84]
	ds_read_b128 v[63:66], v2 offset:832
	v_add_f64 v[79:80], v[79:80], v[89:90]
	v_add_f64 v[3:4], v[3:4], v[77:78]
	s_waitcnt vmcnt(31) lgkmcnt(1)
	v_mul_f64 v[89:90], v[73:74], v[103:104]
	s_waitcnt vmcnt(29)
	v_fma_f64 v[85:86], v[67:68], v[107:108], -v[85:86]
	v_mul_f64 v[77:78], v[71:72], v[103:104]
	v_fma_f64 v[75:76], v[69:70], v[107:108], v[75:76]
	ds_read_b128 v[67:70], v2 offset:848
	v_add_f64 v[79:80], v[79:80], v[87:88]
	v_add_f64 v[3:4], v[3:4], v[83:84]
	s_waitcnt vmcnt(25) lgkmcnt(1)
	v_mul_f64 v[87:88], v[65:66], v[109:110]
	s_waitcnt vmcnt(24)
	v_fma_f64 v[89:90], v[71:72], v[105:106], -v[89:90]
	;; [unrolled: 9-line block ×6, first 2 shown]
	v_mul_f64 v[75:76], v[67:68], v[125:126]
	v_fma_f64 v[65:66], v[65:66], v[121:122], v[83:84]
	s_waitcnt vmcnt(7) lgkmcnt(0)
	v_mul_f64 v[83:84], v[73:74], v[127:128]
	v_add_f64 v[79:80], v[79:80], v[89:90]
	v_add_f64 v[3:4], v[3:4], v[77:78]
	s_waitcnt vmcnt(5)
	v_fma_f64 v[67:68], v[67:68], v[131:132], -v[85:86]
	v_mul_f64 v[77:78], v[71:72], v[127:128]
	v_fma_f64 v[69:70], v[69:70], v[131:132], v[75:76]
	v_add_f64 v[63:64], v[79:80], v[63:64]
	v_add_f64 v[3:4], v[3:4], v[65:66]
	s_waitcnt vmcnt(4)
	v_fma_f64 v[65:66], v[71:72], v[129:130], -v[83:84]
	v_add_f64 v[63:64], v[63:64], v[67:68]
	v_fma_f64 v[67:68], v[73:74], v[129:130], v[77:78]
	v_add_f64 v[3:4], v[3:4], v[69:70]
	v_add_f64 v[63:64], v[63:64], v[65:66]
	;; [unrolled: 1-line block ×3, first 2 shown]
	s_waitcnt vmcnt(2)
	v_add_f64 v[63:64], v[81:82], -v[63:64]
	s_waitcnt vmcnt(0)
	v_add_f64 v[3:4], v[137:138], -v[3:4]
	buffer_store_dword v64, off, s[0:3], 0 offset:228
	buffer_store_dword v63, off, s[0:3], 0 offset:224
	;; [unrolled: 1-line block ×4, first 2 shown]
	v_cmpx_lt_u32_e32 12, v0
	s_cbranch_execz .LBB28_163
; %bb.162:
	v_mov_b32_e32 v3, s28
	s_clause 0x3
	buffer_load_dword v63, v3, s[0:3], 0 offen
	buffer_load_dword v64, v3, s[0:3], 0 offen offset:4
	buffer_load_dword v65, v3, s[0:3], 0 offen offset:8
	;; [unrolled: 1-line block ×3, first 2 shown]
	buffer_store_dword v2, off, s[0:3], 0 offset:208
	buffer_store_dword v2, off, s[0:3], 0 offset:212
	;; [unrolled: 1-line block ×4, first 2 shown]
	s_waitcnt vmcnt(0)
	ds_write_b128 v1, v[63:66]
.LBB28_163:
	s_or_b32 exec_lo, exec_lo, s4
	s_waitcnt lgkmcnt(0)
	s_waitcnt_vscnt null, 0x0
	s_barrier
	buffer_gl0_inv
	s_clause 0x37
	buffer_load_dword v3, off, s[0:3], 0 offset:232
	buffer_load_dword v4, off, s[0:3], 0 offset:236
	;; [unrolled: 1-line block ×56, first 2 shown]
	ds_read_b128 v[63:66], v2 offset:672
	s_clause 0x2
	buffer_load_dword v128, off, s[0:3], 0 offset:460
	buffer_load_dword v132, off, s[0:3], 0 offset:436
	;; [unrolled: 1-line block ×3, first 2 shown]
	ds_read_b128 v[67:70], v2 offset:688
	s_clause 0x2
	buffer_load_dword v136, off, s[0:3], 0 offset:476
	buffer_load_dword v135, off, s[0:3], 0 offset:472
	buffer_load_dword v130, off, s[0:3], 0 offset:452
	ds_read_b128 v[71:74], v2 offset:704
	s_mov_b32 s4, exec_lo
	s_waitcnt vmcnt(60) lgkmcnt(2)
	v_mul_f64 v[133:134], v[65:66], v[3:4]
	v_mul_f64 v[3:4], v[63:64], v[3:4]
	s_waitcnt vmcnt(58) lgkmcnt(1)
	v_mul_f64 v[137:138], v[69:70], v[75:76]
	v_mul_f64 v[75:76], v[67:68], v[75:76]
	;; [unrolled: 3-line block ×3, first 2 shown]
	v_fma_f64 v[133:134], v[63:64], v[77:78], -v[133:134]
	v_fma_f64 v[3:4], v[65:66], v[77:78], v[3:4]
	s_clause 0x1
	buffer_load_dword v78, off, s[0:3], 0 offset:468
	buffer_load_dword v77, off, s[0:3], 0 offset:464
	s_waitcnt vmcnt(54)
	v_fma_f64 v[137:138], v[67:68], v[81:82], -v[137:138]
	ds_read_b128 v[63:66], v2 offset:720
	v_fma_f64 v[75:76], v[69:70], v[81:82], v[75:76]
	ds_read_b128 v[67:70], v2 offset:736
	s_waitcnt vmcnt(48)
	v_fma_f64 v[79:80], v[71:72], v[89:90], -v[79:80]
	v_fma_f64 v[89:90], v[73:74], v[89:90], v[139:140]
	v_add_f64 v[133:134], v[133:134], 0
	v_add_f64 v[3:4], v[3:4], 0
	s_waitcnt lgkmcnt(1)
	v_mul_f64 v[81:82], v[63:64], v[83:84]
	v_mul_f64 v[83:84], v[65:66], v[83:84]
	s_waitcnt vmcnt(47) lgkmcnt(0)
	v_mul_f64 v[139:140], v[67:68], v[85:86]
	v_mul_f64 v[85:86], v[69:70], v[85:86]
	v_add_f64 v[133:134], v[133:134], v[137:138]
	v_add_f64 v[3:4], v[3:4], v[75:76]
	s_clause 0x3
	buffer_load_dword v75, off, s[0:3], 0 offset:208
	buffer_load_dword v76, off, s[0:3], 0 offset:212
	;; [unrolled: 1-line block ×4, first 2 shown]
	s_waitcnt vmcnt(49)
	v_fma_f64 v[83:84], v[63:64], v[91:92], -v[83:84]
	ds_read_b128 v[71:74], v2 offset:752
	v_fma_f64 v[81:82], v[65:66], v[91:92], v[81:82]
	ds_read_b128 v[63:66], v2 offset:768
	s_waitcnt vmcnt(44)
	v_fma_f64 v[85:86], v[67:68], v[87:88], -v[85:86]
	v_add_f64 v[79:80], v[133:134], v[79:80]
	v_add_f64 v[3:4], v[3:4], v[89:90]
	s_waitcnt lgkmcnt(1)
	v_mul_f64 v[91:92], v[73:74], v[93:94]
	v_mul_f64 v[89:90], v[71:72], v[93:94]
	v_add_f64 v[79:80], v[79:80], v[83:84]
	v_fma_f64 v[83:84], v[69:70], v[87:88], v[139:140]
	v_add_f64 v[3:4], v[3:4], v[81:82]
	s_waitcnt vmcnt(43) lgkmcnt(0)
	v_mul_f64 v[87:88], v[65:66], v[95:96]
	s_waitcnt vmcnt(41)
	v_fma_f64 v[91:92], v[71:72], v[99:100], -v[91:92]
	ds_read_b128 v[67:70], v2 offset:784
	v_mul_f64 v[81:82], v[63:64], v[95:96]
	v_add_f64 v[79:80], v[79:80], v[85:86]
	v_fma_f64 v[85:86], v[73:74], v[99:100], v[89:90]
	v_add_f64 v[3:4], v[3:4], v[83:84]
	ds_read_b128 v[71:74], v2 offset:800
	s_waitcnt vmcnt(37) lgkmcnt(1)
	v_mul_f64 v[89:90], v[69:70], v[101:102]
	s_waitcnt vmcnt(36)
	v_fma_f64 v[87:88], v[63:64], v[97:98], -v[87:88]
	v_mul_f64 v[83:84], v[67:68], v[101:102]
	v_fma_f64 v[81:82], v[65:66], v[97:98], v[81:82]
	ds_read_b128 v[63:66], v2 offset:816
	v_add_f64 v[79:80], v[79:80], v[91:92]
	s_waitcnt vmcnt(35) lgkmcnt(1)
	v_mul_f64 v[91:92], v[73:74], v[103:104]
	v_add_f64 v[3:4], v[3:4], v[85:86]
	v_mul_f64 v[85:86], v[71:72], v[103:104]
	s_waitcnt vmcnt(33)
	v_fma_f64 v[89:90], v[67:68], v[107:108], -v[89:90]
	v_fma_f64 v[83:84], v[69:70], v[107:108], v[83:84]
	ds_read_b128 v[67:70], v2 offset:832
	v_add_f64 v[79:80], v[79:80], v[87:88]
	s_waitcnt vmcnt(29) lgkmcnt(1)
	v_mul_f64 v[87:88], v[65:66], v[109:110]
	v_add_f64 v[3:4], v[3:4], v[81:82]
	s_waitcnt vmcnt(28)
	v_fma_f64 v[91:92], v[71:72], v[105:106], -v[91:92]
	v_mul_f64 v[81:82], v[63:64], v[109:110]
	v_fma_f64 v[85:86], v[73:74], v[105:106], v[85:86]
	ds_read_b128 v[71:74], v2 offset:848
	v_add_f64 v[79:80], v[79:80], v[89:90]
	s_waitcnt vmcnt(27) lgkmcnt(1)
	v_mul_f64 v[89:90], v[69:70], v[111:112]
	v_add_f64 v[3:4], v[3:4], v[83:84]
	s_waitcnt vmcnt(25)
	v_fma_f64 v[87:88], v[63:64], v[115:116], -v[87:88]
	v_mul_f64 v[83:84], v[67:68], v[111:112]
	v_fma_f64 v[81:82], v[65:66], v[115:116], v[81:82]
	ds_read_b128 v[63:66], v2 offset:864
	v_add_f64 v[79:80], v[79:80], v[91:92]
	s_waitcnt vmcnt(21) lgkmcnt(1)
	v_mul_f64 v[91:92], v[73:74], v[117:118]
	v_add_f64 v[3:4], v[3:4], v[85:86]
	s_waitcnt vmcnt(20)
	v_fma_f64 v[89:90], v[67:68], v[113:114], -v[89:90]
	v_mul_f64 v[85:86], v[71:72], v[117:118]
	v_fma_f64 v[83:84], v[69:70], v[113:114], v[83:84]
	ds_read_b128 v[67:70], v2 offset:880
	v_add_f64 v[79:80], v[79:80], v[87:88]
	s_waitcnt vmcnt(19) lgkmcnt(1)
	v_mul_f64 v[87:88], v[65:66], v[119:120]
	v_add_f64 v[3:4], v[3:4], v[81:82]
	s_waitcnt vmcnt(17)
	v_fma_f64 v[91:92], v[71:72], v[123:124], -v[91:92]
	v_mul_f64 v[81:82], v[63:64], v[119:120]
	v_fma_f64 v[85:86], v[73:74], v[123:124], v[85:86]
	ds_read_b128 v[71:74], v2 offset:896
	v_add_f64 v[79:80], v[79:80], v[89:90]
	s_waitcnt vmcnt(13) lgkmcnt(1)
	v_mul_f64 v[89:90], v[69:70], v[125:126]
	v_add_f64 v[3:4], v[3:4], v[83:84]
	s_waitcnt vmcnt(12)
	v_fma_f64 v[87:88], v[63:64], v[121:122], -v[87:88]
	v_mul_f64 v[83:84], v[67:68], v[125:126]
	v_fma_f64 v[81:82], v[65:66], v[121:122], v[81:82]
	ds_read_b128 v[63:66], v2 offset:912
	v_add_f64 v[79:80], v[79:80], v[91:92]
	s_waitcnt vmcnt(11) lgkmcnt(1)
	v_mul_f64 v[91:92], v[73:74], v[127:128]
	v_add_f64 v[3:4], v[3:4], v[85:86]
	s_waitcnt vmcnt(9)
	v_fma_f64 v[67:68], v[67:68], v[131:132], -v[89:90]
	v_mul_f64 v[85:86], v[71:72], v[127:128]
	v_fma_f64 v[69:70], v[69:70], v[131:132], v[83:84]
	s_waitcnt vmcnt(7) lgkmcnt(0)
	v_mul_f64 v[83:84], v[65:66], v[135:136]
	v_add_f64 v[79:80], v[79:80], v[87:88]
	s_waitcnt vmcnt(6)
	v_fma_f64 v[71:72], v[71:72], v[129:130], -v[91:92]
	v_add_f64 v[2:3], v[3:4], v[81:82]
	v_mul_f64 v[81:82], v[63:64], v[135:136]
	v_fma_f64 v[73:74], v[73:74], v[129:130], v[85:86]
	v_add_f64 v[67:68], v[79:80], v[67:68]
	v_add_f64 v[2:3], v[2:3], v[69:70]
	s_waitcnt vmcnt(4)
	v_fma_f64 v[63:64], v[63:64], v[77:78], -v[83:84]
	v_fma_f64 v[65:66], v[65:66], v[77:78], v[81:82]
	v_add_f64 v[67:68], v[67:68], v[71:72]
	v_add_f64 v[2:3], v[2:3], v[73:74]
	;; [unrolled: 1-line block ×4, first 2 shown]
	s_waitcnt vmcnt(2)
	v_add_f64 v[63:64], v[75:76], -v[63:64]
	s_waitcnt vmcnt(0)
	v_add_f64 v[2:3], v[137:138], -v[2:3]
	buffer_store_dword v64, off, s[0:3], 0 offset:212
	buffer_store_dword v63, off, s[0:3], 0 offset:208
	;; [unrolled: 1-line block ×4, first 2 shown]
	v_cmpx_lt_u32_e32 11, v0
	s_cbranch_execz .LBB28_165
; %bb.164:
	v_mov_b32_e32 v2, s29
	s_clause 0x3
	buffer_load_dword v63, v2, s[0:3], 0 offen
	buffer_load_dword v64, v2, s[0:3], 0 offen offset:4
	buffer_load_dword v65, v2, s[0:3], 0 offen offset:8
	;; [unrolled: 1-line block ×3, first 2 shown]
	v_mov_b32_e32 v2, 0
	buffer_store_dword v2, off, s[0:3], 0 offset:192
	buffer_store_dword v2, off, s[0:3], 0 offset:196
	;; [unrolled: 1-line block ×4, first 2 shown]
	s_waitcnt vmcnt(0)
	ds_write_b128 v1, v[63:66]
.LBB28_165:
	s_or_b32 exec_lo, exec_lo, s4
	s_waitcnt lgkmcnt(0)
	s_waitcnt_vscnt null, 0x0
	s_barrier
	buffer_gl0_inv
	s_clause 0x35
	buffer_load_dword v3, off, s[0:3], 0 offset:216
	buffer_load_dword v4, off, s[0:3], 0 offset:220
	;; [unrolled: 1-line block ×54, first 2 shown]
	v_mov_b32_e32 v2, 0
	s_mov_b32 s4, exec_lo
	ds_read_b128 v[63:66], v2 offset:656
	s_clause 0x3
	buffer_load_dword v127, off, s[0:3], 0 offset:440
	buffer_load_dword v128, off, s[0:3], 0 offset:444
	;; [unrolled: 1-line block ×4, first 2 shown]
	ds_read_b128 v[67:70], v2 offset:672
	s_clause 0x3
	buffer_load_dword v134, off, s[0:3], 0 offset:460
	buffer_load_dword v133, off, s[0:3], 0 offset:456
	;; [unrolled: 1-line block ×4, first 2 shown]
	ds_read_b128 v[71:74], v2 offset:688
	s_waitcnt vmcnt(60) lgkmcnt(2)
	v_mul_f64 v[131:132], v[65:66], v[3:4]
	v_mul_f64 v[3:4], v[63:64], v[3:4]
	s_waitcnt vmcnt(58) lgkmcnt(1)
	v_mul_f64 v[137:138], v[69:70], v[75:76]
	v_mul_f64 v[75:76], v[67:68], v[75:76]
	;; [unrolled: 3-line block ×3, first 2 shown]
	v_fma_f64 v[131:132], v[63:64], v[77:78], -v[131:132]
	v_fma_f64 v[3:4], v[65:66], v[77:78], v[3:4]
	s_clause 0x3
	buffer_load_dword v77, off, s[0:3], 0 offset:472
	buffer_load_dword v78, off, s[0:3], 0 offset:476
	;; [unrolled: 1-line block ×4, first 2 shown]
	s_waitcnt vmcnt(56)
	v_fma_f64 v[137:138], v[67:68], v[81:82], -v[137:138]
	ds_read_b128 v[63:66], v2 offset:704
	v_fma_f64 v[75:76], v[69:70], v[81:82], v[75:76]
	s_clause 0x1
	buffer_load_dword v81, off, s[0:3], 0 offset:464
	buffer_load_dword v82, off, s[0:3], 0 offset:468
	s_waitcnt vmcnt(54)
	v_fma_f64 v[79:80], v[71:72], v[85:86], -v[79:80]
	ds_read_b128 v[67:70], v2 offset:720
	v_fma_f64 v[85:86], v[73:74], v[85:86], v[141:142]
	ds_read_b128 v[71:74], v2 offset:736
	v_add_f64 v[131:132], v[131:132], 0
	v_add_f64 v[3:4], v[3:4], 0
	s_waitcnt lgkmcnt(2)
	v_mul_f64 v[143:144], v[63:64], v[83:84]
	v_mul_f64 v[83:84], v[65:66], v[83:84]
	v_add_f64 v[131:132], v[131:132], v[137:138]
	v_add_f64 v[3:4], v[3:4], v[75:76]
	s_waitcnt vmcnt(52) lgkmcnt(1)
	v_mul_f64 v[75:76], v[67:68], v[87:88]
	v_mul_f64 v[87:88], v[69:70], v[87:88]
	s_waitcnt vmcnt(50)
	v_fma_f64 v[83:84], v[63:64], v[89:90], -v[83:84]
	v_fma_f64 v[89:90], v[65:66], v[89:90], v[143:144]
	s_waitcnt vmcnt(48) lgkmcnt(0)
	v_mul_f64 v[137:138], v[71:72], v[91:92]
	v_mul_f64 v[91:92], v[73:74], v[91:92]
	v_add_f64 v[79:80], v[131:132], v[79:80]
	v_add_f64 v[3:4], v[3:4], v[85:86]
	s_clause 0x3
	buffer_load_dword v85, off, s[0:3], 0 offset:192
	buffer_load_dword v86, off, s[0:3], 0 offset:196
	;; [unrolled: 1-line block ×4, first 2 shown]
	s_waitcnt vmcnt(50)
	v_fma_f64 v[87:88], v[67:68], v[93:94], -v[87:88]
	ds_read_b128 v[63:66], v2 offset:752
	v_fma_f64 v[75:76], v[69:70], v[93:94], v[75:76]
	ds_read_b128 v[67:70], v2 offset:768
	s_waitcnt vmcnt(46)
	v_fma_f64 v[91:92], v[71:72], v[97:98], -v[91:92]
	v_add_f64 v[79:80], v[79:80], v[83:84]
	v_add_f64 v[3:4], v[3:4], v[89:90]
	s_waitcnt lgkmcnt(1)
	v_mul_f64 v[89:90], v[65:66], v[95:96]
	v_mul_f64 v[83:84], v[63:64], v[95:96]
	s_waitcnt vmcnt(44) lgkmcnt(0)
	v_mul_f64 v[93:94], v[69:70], v[99:100]
	v_add_f64 v[79:80], v[79:80], v[87:88]
	v_fma_f64 v[87:88], v[73:74], v[97:98], v[137:138]
	v_add_f64 v[3:4], v[3:4], v[75:76]
	s_waitcnt vmcnt(42)
	v_fma_f64 v[89:90], v[63:64], v[101:102], -v[89:90]
	ds_read_b128 v[71:74], v2 offset:784
	v_mul_f64 v[75:76], v[67:68], v[99:100]
	v_fma_f64 v[83:84], v[65:66], v[101:102], v[83:84]
	ds_read_b128 v[63:66], v2 offset:800
	s_waitcnt vmcnt(38)
	v_fma_f64 v[93:94], v[67:68], v[105:106], -v[93:94]
	v_add_f64 v[79:80], v[79:80], v[91:92]
	v_add_f64 v[3:4], v[3:4], v[87:88]
	s_waitcnt lgkmcnt(1)
	v_mul_f64 v[91:92], v[73:74], v[103:104]
	v_mul_f64 v[87:88], v[71:72], v[103:104]
	v_fma_f64 v[75:76], v[69:70], v[105:106], v[75:76]
	ds_read_b128 v[67:70], v2 offset:816
	v_add_f64 v[79:80], v[79:80], v[89:90]
	s_waitcnt vmcnt(36) lgkmcnt(1)
	v_mul_f64 v[89:90], v[65:66], v[107:108]
	v_add_f64 v[3:4], v[3:4], v[83:84]
	s_waitcnt vmcnt(34)
	v_fma_f64 v[91:92], v[71:72], v[109:110], -v[91:92]
	v_mul_f64 v[83:84], v[63:64], v[107:108]
	v_fma_f64 v[87:88], v[73:74], v[109:110], v[87:88]
	ds_read_b128 v[71:74], v2 offset:832
	v_add_f64 v[79:80], v[79:80], v[93:94]
	s_waitcnt vmcnt(32) lgkmcnt(1)
	v_mul_f64 v[93:94], v[69:70], v[111:112]
	v_add_f64 v[3:4], v[3:4], v[75:76]
	s_waitcnt vmcnt(30)
	v_fma_f64 v[89:90], v[63:64], v[113:114], -v[89:90]
	;; [unrolled: 9-line block ×7, first 2 shown]
	v_mul_f64 v[83:84], v[63:64], v[133:134]
	v_fma_f64 v[73:74], v[73:74], v[135:136], v[87:88]
	v_add_f64 v[79:80], v[79:80], v[93:94]
	v_add_f64 v[3:4], v[3:4], v[75:76]
	s_waitcnt vmcnt(8) lgkmcnt(0)
	v_mul_f64 v[75:76], v[67:68], v[77:78]
	v_mul_f64 v[77:78], v[69:70], v[77:78]
	s_waitcnt vmcnt(6)
	v_fma_f64 v[63:64], v[63:64], v[139:140], -v[89:90]
	v_fma_f64 v[65:66], v[65:66], v[139:140], v[83:84]
	v_add_f64 v[71:72], v[79:80], v[71:72]
	v_add_f64 v[3:4], v[3:4], v[73:74]
	s_waitcnt vmcnt(4)
	v_fma_f64 v[69:70], v[69:70], v[81:82], v[75:76]
	v_fma_f64 v[67:68], v[67:68], v[81:82], -v[77:78]
	v_add_f64 v[63:64], v[71:72], v[63:64]
	v_add_f64 v[3:4], v[3:4], v[65:66]
	;; [unrolled: 1-line block ×4, first 2 shown]
	s_waitcnt vmcnt(2)
	v_add_f64 v[63:64], v[85:86], -v[63:64]
	s_waitcnt vmcnt(0)
	v_add_f64 v[3:4], v[131:132], -v[3:4]
	buffer_store_dword v64, off, s[0:3], 0 offset:196
	buffer_store_dword v63, off, s[0:3], 0 offset:192
	;; [unrolled: 1-line block ×4, first 2 shown]
	v_cmpx_lt_u32_e32 10, v0
	s_cbranch_execz .LBB28_167
; %bb.166:
	v_mov_b32_e32 v3, s30
	s_clause 0x3
	buffer_load_dword v63, v3, s[0:3], 0 offen
	buffer_load_dword v64, v3, s[0:3], 0 offen offset:4
	buffer_load_dword v65, v3, s[0:3], 0 offen offset:8
	;; [unrolled: 1-line block ×3, first 2 shown]
	buffer_store_dword v2, off, s[0:3], 0 offset:176
	buffer_store_dword v2, off, s[0:3], 0 offset:180
	;; [unrolled: 1-line block ×4, first 2 shown]
	s_waitcnt vmcnt(0)
	ds_write_b128 v1, v[63:66]
.LBB28_167:
	s_or_b32 exec_lo, exec_lo, s4
	s_waitcnt lgkmcnt(0)
	s_waitcnt_vscnt null, 0x0
	s_barrier
	buffer_gl0_inv
	s_clause 0x37
	buffer_load_dword v3, off, s[0:3], 0 offset:200
	buffer_load_dword v4, off, s[0:3], 0 offset:204
	;; [unrolled: 1-line block ×56, first 2 shown]
	ds_read_b128 v[63:66], v2 offset:640
	s_clause 0x2
	buffer_load_dword v128, off, s[0:3], 0 offset:428
	buffer_load_dword v132, off, s[0:3], 0 offset:404
	;; [unrolled: 1-line block ×3, first 2 shown]
	ds_read_b128 v[67:70], v2 offset:656
	s_clause 0x4
	buffer_load_dword v136, off, s[0:3], 0 offset:444
	buffer_load_dword v137, off, s[0:3], 0 offset:456
	;; [unrolled: 1-line block ×5, first 2 shown]
	ds_read_b128 v[71:74], v2 offset:672
	s_mov_b32 s4, exec_lo
	s_waitcnt vmcnt(62) lgkmcnt(2)
	v_mul_f64 v[133:134], v[65:66], v[3:4]
	v_mul_f64 v[3:4], v[63:64], v[3:4]
	s_waitcnt vmcnt(60) lgkmcnt(1)
	v_mul_f64 v[140:141], v[69:70], v[75:76]
	v_mul_f64 v[75:76], v[67:68], v[75:76]
	;; [unrolled: 3-line block ×3, first 2 shown]
	v_fma_f64 v[133:134], v[63:64], v[77:78], -v[133:134]
	v_fma_f64 v[3:4], v[65:66], v[77:78], v[3:4]
	s_clause 0x2
	buffer_load_dword v138, off, s[0:3], 0 offset:460
	buffer_load_dword v78, off, s[0:3], 0 offset:436
	;; [unrolled: 1-line block ×3, first 2 shown]
	s_waitcnt vmcnt(57)
	v_fma_f64 v[144:145], v[67:68], v[81:82], -v[140:141]
	ds_read_b128 v[63:66], v2 offset:688
	v_fma_f64 v[75:76], v[69:70], v[81:82], v[75:76]
	s_clause 0x2
	buffer_load_dword v82, off, s[0:3], 0 offset:476
	buffer_load_dword v81, off, s[0:3], 0 offset:472
	;; [unrolled: 1-line block ×3, first 2 shown]
	s_waitcnt vmcnt(54)
	v_fma_f64 v[79:80], v[71:72], v[89:90], -v[79:80]
	ds_read_b128 v[67:70], v2 offset:704
	v_fma_f64 v[89:90], v[73:74], v[89:90], v[142:143]
	v_add_f64 v[133:134], v[133:134], 0
	v_add_f64 v[3:4], v[3:4], 0
	s_waitcnt lgkmcnt(1)
	v_mul_f64 v[146:147], v[63:64], v[83:84]
	v_mul_f64 v[83:84], v[65:66], v[83:84]
	s_waitcnt vmcnt(53) lgkmcnt(0)
	v_mul_f64 v[141:142], v[67:68], v[85:86]
	v_mul_f64 v[85:86], v[69:70], v[85:86]
	v_add_f64 v[133:134], v[133:134], v[144:145]
	v_add_f64 v[3:4], v[3:4], v[75:76]
	s_clause 0x1
	buffer_load_dword v76, off, s[0:3], 0 offset:468
	buffer_load_dword v75, off, s[0:3], 0 offset:464
	s_waitcnt vmcnt(53)
	v_fma_f64 v[83:84], v[63:64], v[91:92], -v[83:84]
	ds_read_b128 v[71:74], v2 offset:720
	v_fma_f64 v[91:92], v[65:66], v[91:92], v[146:147]
	ds_read_b128 v[63:66], v2 offset:736
	s_waitcnt vmcnt(48)
	v_fma_f64 v[85:86], v[67:68], v[87:88], -v[85:86]
	v_add_f64 v[79:80], v[133:134], v[79:80]
	v_add_f64 v[3:4], v[3:4], v[89:90]
	s_waitcnt lgkmcnt(1)
	v_mul_f64 v[89:90], v[71:72], v[93:94]
	v_mul_f64 v[93:94], v[73:74], v[93:94]
	s_waitcnt vmcnt(47) lgkmcnt(0)
	v_mul_f64 v[133:134], v[63:64], v[95:96]
	v_mul_f64 v[95:96], v[65:66], v[95:96]
	v_add_f64 v[79:80], v[79:80], v[83:84]
	v_fma_f64 v[83:84], v[69:70], v[87:88], v[141:142]
	v_add_f64 v[3:4], v[3:4], v[91:92]
	s_clause 0x3
	buffer_load_dword v87, off, s[0:3], 0 offset:176
	buffer_load_dword v88, off, s[0:3], 0 offset:180
	;; [unrolled: 1-line block ×4, first 2 shown]
	s_waitcnt vmcnt(49)
	v_fma_f64 v[93:94], v[71:72], v[99:100], -v[93:94]
	ds_read_b128 v[67:70], v2 offset:752
	s_waitcnt vmcnt(44)
	v_fma_f64 v[95:96], v[63:64], v[97:98], -v[95:96]
	v_add_f64 v[79:80], v[79:80], v[85:86]
	v_fma_f64 v[85:86], v[73:74], v[99:100], v[89:90]
	v_add_f64 v[3:4], v[3:4], v[83:84]
	ds_read_b128 v[71:74], v2 offset:768
	s_waitcnt lgkmcnt(1)
	v_mul_f64 v[89:90], v[69:70], v[101:102]
	v_mul_f64 v[83:84], v[67:68], v[101:102]
	v_add_f64 v[79:80], v[79:80], v[93:94]
	v_fma_f64 v[93:94], v[65:66], v[97:98], v[133:134]
	v_add_f64 v[3:4], v[3:4], v[85:86]
	s_waitcnt vmcnt(43) lgkmcnt(0)
	v_mul_f64 v[97:98], v[73:74], v[103:104]
	s_waitcnt vmcnt(41)
	v_fma_f64 v[89:90], v[67:68], v[107:108], -v[89:90]
	ds_read_b128 v[63:66], v2 offset:784
	v_mul_f64 v[85:86], v[71:72], v[103:104]
	v_fma_f64 v[83:84], v[69:70], v[107:108], v[83:84]
	ds_read_b128 v[67:70], v2 offset:800
	v_add_f64 v[79:80], v[79:80], v[95:96]
	v_add_f64 v[3:4], v[3:4], v[93:94]
	s_waitcnt vmcnt(37) lgkmcnt(1)
	v_mul_f64 v[95:96], v[65:66], v[109:110]
	s_waitcnt vmcnt(36)
	v_fma_f64 v[97:98], v[71:72], v[105:106], -v[97:98]
	v_mul_f64 v[93:94], v[63:64], v[109:110]
	v_fma_f64 v[85:86], v[73:74], v[105:106], v[85:86]
	ds_read_b128 v[71:74], v2 offset:816
	v_add_f64 v[79:80], v[79:80], v[89:90]
	s_waitcnt vmcnt(35) lgkmcnt(1)
	v_mul_f64 v[89:90], v[69:70], v[111:112]
	v_add_f64 v[3:4], v[3:4], v[83:84]
	s_waitcnt vmcnt(33)
	v_fma_f64 v[95:96], v[63:64], v[115:116], -v[95:96]
	v_mul_f64 v[83:84], v[67:68], v[111:112]
	v_fma_f64 v[93:94], v[65:66], v[115:116], v[93:94]
	ds_read_b128 v[63:66], v2 offset:832
	v_add_f64 v[79:80], v[79:80], v[97:98]
	s_waitcnt vmcnt(29) lgkmcnt(1)
	v_mul_f64 v[97:98], v[73:74], v[117:118]
	v_add_f64 v[3:4], v[3:4], v[85:86]
	;; [unrolled: 9-line block ×6, first 2 shown]
	s_waitcnt vmcnt(12)
	v_fma_f64 v[97:98], v[71:72], v[129:130], -v[97:98]
	v_mul_f64 v[93:94], v[63:64], v[135:136]
	v_fma_f64 v[85:86], v[73:74], v[129:130], v[85:86]
	ds_read_b128 v[71:74], v2 offset:912
	v_add_f64 v[79:80], v[79:80], v[89:90]
	v_add_f64 v[3:4], v[3:4], v[83:84]
	s_waitcnt vmcnt(11) lgkmcnt(1)
	v_mul_f64 v[89:90], v[69:70], v[137:138]
	v_mul_f64 v[83:84], v[67:68], v[137:138]
	s_waitcnt vmcnt(9)
	v_fma_f64 v[63:64], v[63:64], v[77:78], -v[95:96]
	v_fma_f64 v[65:66], v[65:66], v[77:78], v[93:94]
	s_waitcnt vmcnt(7) lgkmcnt(0)
	v_mul_f64 v[77:78], v[71:72], v[81:82]
	v_mul_f64 v[81:82], v[73:74], v[81:82]
	v_add_f64 v[79:80], v[79:80], v[97:98]
	v_add_f64 v[2:3], v[3:4], v[85:86]
	s_waitcnt vmcnt(6)
	v_fma_f64 v[67:68], v[67:68], v[139:140], -v[89:90]
	v_fma_f64 v[69:70], v[69:70], v[139:140], v[83:84]
	v_add_f64 v[63:64], v[79:80], v[63:64]
	v_add_f64 v[2:3], v[2:3], v[65:66]
	s_waitcnt vmcnt(4)
	v_fma_f64 v[65:66], v[71:72], v[75:76], -v[81:82]
	v_add_f64 v[63:64], v[63:64], v[67:68]
	v_fma_f64 v[67:68], v[73:74], v[75:76], v[77:78]
	v_add_f64 v[2:3], v[2:3], v[69:70]
	v_add_f64 v[63:64], v[63:64], v[65:66]
	;; [unrolled: 1-line block ×3, first 2 shown]
	s_waitcnt vmcnt(2)
	v_add_f64 v[63:64], v[87:88], -v[63:64]
	s_waitcnt vmcnt(0)
	v_add_f64 v[2:3], v[91:92], -v[2:3]
	buffer_store_dword v64, off, s[0:3], 0 offset:180
	buffer_store_dword v63, off, s[0:3], 0 offset:176
	;; [unrolled: 1-line block ×4, first 2 shown]
	v_cmpx_lt_u32_e32 9, v0
	s_cbranch_execz .LBB28_169
; %bb.168:
	v_mov_b32_e32 v2, s31
	s_clause 0x3
	buffer_load_dword v63, v2, s[0:3], 0 offen
	buffer_load_dword v64, v2, s[0:3], 0 offen offset:4
	buffer_load_dword v65, v2, s[0:3], 0 offen offset:8
	;; [unrolled: 1-line block ×3, first 2 shown]
	v_mov_b32_e32 v2, 0
	buffer_store_dword v2, off, s[0:3], 0 offset:160
	buffer_store_dword v2, off, s[0:3], 0 offset:164
	buffer_store_dword v2, off, s[0:3], 0 offset:168
	buffer_store_dword v2, off, s[0:3], 0 offset:172
	s_waitcnt vmcnt(0)
	ds_write_b128 v1, v[63:66]
.LBB28_169:
	s_or_b32 exec_lo, exec_lo, s4
	s_waitcnt lgkmcnt(0)
	s_waitcnt_vscnt null, 0x0
	s_barrier
	buffer_gl0_inv
	s_clause 0x37
	buffer_load_dword v3, off, s[0:3], 0 offset:184
	buffer_load_dword v4, off, s[0:3], 0 offset:188
	;; [unrolled: 1-line block ×56, first 2 shown]
	v_mov_b32_e32 v2, 0
	s_mov_b32 s4, exec_lo
	ds_read_b128 v[63:66], v2 offset:624
	s_clause 0x2
	buffer_load_dword v128, off, s[0:3], 0 offset:412
	buffer_load_dword v132, off, s[0:3], 0 offset:388
	;; [unrolled: 1-line block ×3, first 2 shown]
	ds_read_b128 v[67:70], v2 offset:640
	s_clause 0x4
	buffer_load_dword v136, off, s[0:3], 0 offset:428
	buffer_load_dword v137, off, s[0:3], 0 offset:440
	;; [unrolled: 1-line block ×5, first 2 shown]
	ds_read_b128 v[71:74], v2 offset:656
	s_waitcnt vmcnt(62) lgkmcnt(2)
	v_mul_f64 v[133:134], v[65:66], v[3:4]
	v_mul_f64 v[3:4], v[63:64], v[3:4]
	s_waitcnt vmcnt(60) lgkmcnt(1)
	v_mul_f64 v[140:141], v[69:70], v[75:76]
	v_mul_f64 v[75:76], v[67:68], v[75:76]
	;; [unrolled: 3-line block ×3, first 2 shown]
	v_fma_f64 v[133:134], v[63:64], v[77:78], -v[133:134]
	v_fma_f64 v[3:4], v[65:66], v[77:78], v[3:4]
	s_clause 0x2
	buffer_load_dword v138, off, s[0:3], 0 offset:444
	buffer_load_dword v78, off, s[0:3], 0 offset:420
	;; [unrolled: 1-line block ×3, first 2 shown]
	s_waitcnt vmcnt(57)
	v_fma_f64 v[144:145], v[67:68], v[81:82], -v[140:141]
	ds_read_b128 v[63:66], v2 offset:672
	v_fma_f64 v[75:76], v[69:70], v[81:82], v[75:76]
	s_clause 0x4
	buffer_load_dword v82, off, s[0:3], 0 offset:460
	buffer_load_dword v141, off, s[0:3], 0 offset:472
	;; [unrolled: 1-line block ×5, first 2 shown]
	s_waitcnt vmcnt(56)
	v_fma_f64 v[79:80], v[71:72], v[89:90], -v[79:80]
	ds_read_b128 v[67:70], v2 offset:688
	v_fma_f64 v[89:90], v[73:74], v[89:90], v[142:143]
	v_add_f64 v[133:134], v[133:134], 0
	v_add_f64 v[3:4], v[3:4], 0
	s_waitcnt lgkmcnt(1)
	v_mul_f64 v[147:148], v[63:64], v[83:84]
	v_mul_f64 v[83:84], v[65:66], v[83:84]
	v_add_f64 v[133:134], v[133:134], v[144:145]
	v_add_f64 v[3:4], v[3:4], v[75:76]
	s_clause 0x2
	buffer_load_dword v142, off, s[0:3], 0 offset:476
	buffer_load_dword v76, off, s[0:3], 0 offset:452
	;; [unrolled: 1-line block ×3, first 2 shown]
	s_waitcnt vmcnt(58) lgkmcnt(0)
	v_mul_f64 v[143:144], v[67:68], v[85:86]
	v_mul_f64 v[85:86], v[69:70], v[85:86]
	s_waitcnt vmcnt(56)
	v_fma_f64 v[83:84], v[63:64], v[91:92], -v[83:84]
	ds_read_b128 v[71:74], v2 offset:704
	v_fma_f64 v[91:92], v[65:66], v[91:92], v[147:148]
	buffer_load_dword v147, off, s[0:3], 0 offset:468
	ds_read_b128 v[63:66], v2 offset:720
	v_add_f64 v[79:80], v[133:134], v[79:80]
	v_add_f64 v[3:4], v[3:4], v[89:90]
	s_waitcnt vmcnt(53) lgkmcnt(1)
	v_mul_f64 v[89:90], v[71:72], v[93:94]
	v_mul_f64 v[93:94], v[73:74], v[93:94]
	s_waitcnt vmcnt(52)
	v_fma_f64 v[85:86], v[67:68], v[87:88], -v[85:86]
	v_add_f64 v[79:80], v[79:80], v[83:84]
	v_fma_f64 v[83:84], v[69:70], v[87:88], v[143:144]
	v_add_f64 v[3:4], v[3:4], v[91:92]
	s_waitcnt vmcnt(51) lgkmcnt(0)
	v_mul_f64 v[91:92], v[65:66], v[95:96]
	ds_read_b128 v[67:70], v2 offset:736
	s_waitcnt vmcnt(49)
	v_fma_f64 v[93:94], v[71:72], v[99:100], -v[93:94]
	v_mul_f64 v[87:88], v[63:64], v[95:96]
	v_add_f64 v[79:80], v[79:80], v[85:86]
	v_fma_f64 v[85:86], v[73:74], v[99:100], v[89:90]
	v_add_f64 v[3:4], v[3:4], v[83:84]
	s_clause 0x3
	buffer_load_dword v83, off, s[0:3], 0 offset:160
	buffer_load_dword v84, off, s[0:3], 0 offset:164
	;; [unrolled: 1-line block ×4, first 2 shown]
	s_waitcnt vmcnt(49) lgkmcnt(0)
	v_mul_f64 v[99:100], v[69:70], v[101:102]
	s_waitcnt vmcnt(48)
	v_fma_f64 v[91:92], v[63:64], v[97:98], -v[91:92]
	ds_read_b128 v[71:74], v2 offset:752
	v_mul_f64 v[95:96], v[67:68], v[101:102]
	v_fma_f64 v[87:88], v[65:66], v[97:98], v[87:88]
	ds_read_b128 v[63:66], v2 offset:768
	v_add_f64 v[79:80], v[79:80], v[93:94]
	v_add_f64 v[3:4], v[3:4], v[85:86]
	s_waitcnt vmcnt(47) lgkmcnt(1)
	v_mul_f64 v[93:94], v[73:74], v[103:104]
	s_waitcnt vmcnt(45)
	v_fma_f64 v[97:98], v[67:68], v[107:108], -v[99:100]
	v_mul_f64 v[85:86], v[71:72], v[103:104]
	v_add_f64 v[79:80], v[79:80], v[91:92]
	v_fma_f64 v[91:92], v[69:70], v[107:108], v[95:96]
	v_add_f64 v[3:4], v[3:4], v[87:88]
	s_waitcnt vmcnt(41) lgkmcnt(0)
	v_mul_f64 v[95:96], v[65:66], v[109:110]
	s_waitcnt vmcnt(40)
	v_fma_f64 v[93:94], v[71:72], v[105:106], -v[93:94]
	ds_read_b128 v[67:70], v2 offset:784
	v_mul_f64 v[87:88], v[63:64], v[109:110]
	v_fma_f64 v[85:86], v[73:74], v[105:106], v[85:86]
	ds_read_b128 v[71:74], v2 offset:800
	v_add_f64 v[79:80], v[79:80], v[97:98]
	v_add_f64 v[3:4], v[3:4], v[91:92]
	s_waitcnt vmcnt(39) lgkmcnt(1)
	v_mul_f64 v[97:98], v[69:70], v[111:112]
	s_waitcnt vmcnt(37)
	v_fma_f64 v[95:96], v[63:64], v[115:116], -v[95:96]
	v_mul_f64 v[91:92], v[67:68], v[111:112]
	v_fma_f64 v[87:88], v[65:66], v[115:116], v[87:88]
	ds_read_b128 v[63:66], v2 offset:816
	v_add_f64 v[79:80], v[79:80], v[93:94]
	s_waitcnt vmcnt(33) lgkmcnt(1)
	v_mul_f64 v[93:94], v[73:74], v[117:118]
	v_add_f64 v[3:4], v[3:4], v[85:86]
	s_waitcnt vmcnt(32)
	v_fma_f64 v[97:98], v[67:68], v[113:114], -v[97:98]
	v_mul_f64 v[85:86], v[71:72], v[117:118]
	v_fma_f64 v[91:92], v[69:70], v[113:114], v[91:92]
	ds_read_b128 v[67:70], v2 offset:832
	v_add_f64 v[79:80], v[79:80], v[95:96]
	s_waitcnt vmcnt(31) lgkmcnt(1)
	v_mul_f64 v[95:96], v[65:66], v[119:120]
	v_add_f64 v[3:4], v[3:4], v[87:88]
	;; [unrolled: 9-line block ×5, first 2 shown]
	s_waitcnt vmcnt(16)
	v_fma_f64 v[93:94], v[71:72], v[129:130], -v[93:94]
	v_mul_f64 v[87:88], v[63:64], v[135:136]
	v_fma_f64 v[85:86], v[73:74], v[129:130], v[85:86]
	ds_read_b128 v[71:74], v2 offset:896
	v_add_f64 v[79:80], v[79:80], v[97:98]
	v_add_f64 v[3:4], v[3:4], v[91:92]
	s_waitcnt vmcnt(15) lgkmcnt(1)
	v_mul_f64 v[97:98], v[69:70], v[137:138]
	v_mul_f64 v[91:92], v[67:68], v[137:138]
	s_waitcnt vmcnt(13)
	v_fma_f64 v[95:96], v[63:64], v[77:78], -v[95:96]
	v_fma_f64 v[77:78], v[65:66], v[77:78], v[87:88]
	ds_read_b128 v[63:66], v2 offset:912
	v_add_f64 v[79:80], v[79:80], v[93:94]
	v_add_f64 v[3:4], v[3:4], v[85:86]
	s_waitcnt vmcnt(9) lgkmcnt(1)
	v_mul_f64 v[85:86], v[71:72], v[81:82]
	v_mul_f64 v[81:82], v[73:74], v[81:82]
	s_waitcnt vmcnt(8)
	v_fma_f64 v[67:68], v[67:68], v[139:140], -v[97:98]
	v_fma_f64 v[69:70], v[69:70], v[139:140], v[91:92]
	v_add_f64 v[79:80], v[79:80], v[95:96]
	v_add_f64 v[3:4], v[3:4], v[77:78]
	s_waitcnt vmcnt(7) lgkmcnt(0)
	v_mul_f64 v[87:88], v[65:66], v[141:142]
	v_mul_f64 v[77:78], v[63:64], v[141:142]
	s_waitcnt vmcnt(5)
	v_fma_f64 v[71:72], v[71:72], v[75:76], -v[81:82]
	v_fma_f64 v[73:74], v[73:74], v[75:76], v[85:86]
	v_add_f64 v[67:68], v[79:80], v[67:68]
	v_add_f64 v[3:4], v[3:4], v[69:70]
	s_waitcnt vmcnt(4)
	v_fma_f64 v[63:64], v[63:64], v[146:147], -v[87:88]
	v_fma_f64 v[65:66], v[65:66], v[146:147], v[77:78]
	v_add_f64 v[67:68], v[67:68], v[71:72]
	v_add_f64 v[3:4], v[3:4], v[73:74]
	;; [unrolled: 1-line block ×4, first 2 shown]
	s_waitcnt vmcnt(2)
	v_add_f64 v[63:64], v[83:84], -v[63:64]
	s_waitcnt vmcnt(0)
	v_add_f64 v[3:4], v[89:90], -v[3:4]
	buffer_store_dword v64, off, s[0:3], 0 offset:164
	buffer_store_dword v63, off, s[0:3], 0 offset:160
	;; [unrolled: 1-line block ×4, first 2 shown]
	v_cmpx_lt_u32_e32 8, v0
	s_cbranch_execz .LBB28_171
; %bb.170:
	v_mov_b32_e32 v3, s33
	s_clause 0x3
	buffer_load_dword v63, v3, s[0:3], 0 offen
	buffer_load_dword v64, v3, s[0:3], 0 offen offset:4
	buffer_load_dword v65, v3, s[0:3], 0 offen offset:8
	;; [unrolled: 1-line block ×3, first 2 shown]
	buffer_store_dword v2, off, s[0:3], 0 offset:144
	buffer_store_dword v2, off, s[0:3], 0 offset:148
	;; [unrolled: 1-line block ×4, first 2 shown]
	s_waitcnt vmcnt(0)
	ds_write_b128 v1, v[63:66]
.LBB28_171:
	s_or_b32 exec_lo, exec_lo, s4
	s_waitcnt lgkmcnt(0)
	s_waitcnt_vscnt null, 0x0
	s_barrier
	buffer_gl0_inv
	s_clause 0x37
	buffer_load_dword v3, off, s[0:3], 0 offset:168
	buffer_load_dword v4, off, s[0:3], 0 offset:172
	;; [unrolled: 1-line block ×56, first 2 shown]
	ds_read_b128 v[63:66], v2 offset:608
	s_clause 0x2
	buffer_load_dword v128, off, s[0:3], 0 offset:396
	buffer_load_dword v132, off, s[0:3], 0 offset:372
	;; [unrolled: 1-line block ×3, first 2 shown]
	ds_read_b128 v[67:70], v2 offset:624
	s_clause 0x4
	buffer_load_dword v136, off, s[0:3], 0 offset:412
	buffer_load_dword v137, off, s[0:3], 0 offset:424
	;; [unrolled: 1-line block ×5, first 2 shown]
	ds_read_b128 v[71:74], v2 offset:640
	s_mov_b32 s4, exec_lo
	s_waitcnt vmcnt(62) lgkmcnt(2)
	v_mul_f64 v[133:134], v[65:66], v[3:4]
	v_mul_f64 v[3:4], v[63:64], v[3:4]
	s_waitcnt vmcnt(60) lgkmcnt(1)
	v_mul_f64 v[140:141], v[69:70], v[75:76]
	v_mul_f64 v[75:76], v[67:68], v[75:76]
	;; [unrolled: 3-line block ×3, first 2 shown]
	v_fma_f64 v[133:134], v[63:64], v[77:78], -v[133:134]
	v_fma_f64 v[3:4], v[65:66], v[77:78], v[3:4]
	s_clause 0x2
	buffer_load_dword v138, off, s[0:3], 0 offset:428
	buffer_load_dword v78, off, s[0:3], 0 offset:404
	;; [unrolled: 1-line block ×3, first 2 shown]
	s_waitcnt vmcnt(57)
	v_fma_f64 v[144:145], v[67:68], v[81:82], -v[140:141]
	ds_read_b128 v[63:66], v2 offset:656
	v_fma_f64 v[75:76], v[69:70], v[81:82], v[75:76]
	s_clause 0x4
	buffer_load_dword v82, off, s[0:3], 0 offset:444
	buffer_load_dword v141, off, s[0:3], 0 offset:456
	;; [unrolled: 1-line block ×5, first 2 shown]
	s_waitcnt vmcnt(56)
	v_fma_f64 v[79:80], v[71:72], v[89:90], -v[79:80]
	ds_read_b128 v[67:70], v2 offset:672
	v_fma_f64 v[89:90], v[73:74], v[89:90], v[142:143]
	v_add_f64 v[133:134], v[133:134], 0
	v_add_f64 v[3:4], v[3:4], 0
	s_waitcnt lgkmcnt(1)
	v_mul_f64 v[147:148], v[63:64], v[83:84]
	v_mul_f64 v[83:84], v[65:66], v[83:84]
	v_add_f64 v[133:134], v[133:134], v[144:145]
	v_add_f64 v[3:4], v[3:4], v[75:76]
	s_clause 0x2
	buffer_load_dword v142, off, s[0:3], 0 offset:460
	buffer_load_dword v76, off, s[0:3], 0 offset:436
	buffer_load_dword v75, off, s[0:3], 0 offset:432
	s_waitcnt vmcnt(58) lgkmcnt(0)
	v_mul_f64 v[143:144], v[67:68], v[85:86]
	v_mul_f64 v[85:86], v[69:70], v[85:86]
	s_waitcnt vmcnt(56)
	v_fma_f64 v[83:84], v[63:64], v[91:92], -v[83:84]
	ds_read_b128 v[71:74], v2 offset:688
	v_fma_f64 v[91:92], v[65:66], v[91:92], v[147:148]
	v_add_f64 v[79:80], v[133:134], v[79:80]
	v_add_f64 v[3:4], v[3:4], v[89:90]
	s_clause 0x2
	buffer_load_dword v90, off, s[0:3], 0 offset:476
	buffer_load_dword v89, off, s[0:3], 0 offset:472
	;; [unrolled: 1-line block ×3, first 2 shown]
	ds_read_b128 v[63:66], v2 offset:704
	s_waitcnt vmcnt(55) lgkmcnt(1)
	v_mul_f64 v[133:134], v[71:72], v[93:94]
	v_mul_f64 v[93:94], v[73:74], v[93:94]
	s_waitcnt vmcnt(54)
	v_fma_f64 v[85:86], v[67:68], v[87:88], -v[85:86]
	v_add_f64 v[79:80], v[79:80], v[83:84]
	v_fma_f64 v[83:84], v[69:70], v[87:88], v[143:144]
	v_add_f64 v[3:4], v[3:4], v[91:92]
	s_clause 0x1
	buffer_load_dword v88, off, s[0:3], 0 offset:468
	buffer_load_dword v87, off, s[0:3], 0 offset:464
	s_waitcnt vmcnt(55) lgkmcnt(0)
	v_mul_f64 v[91:92], v[63:64], v[95:96]
	v_mul_f64 v[95:96], v[65:66], v[95:96]
	s_waitcnt vmcnt(53)
	v_fma_f64 v[93:94], v[71:72], v[99:100], -v[93:94]
	ds_read_b128 v[67:70], v2 offset:720
	v_add_f64 v[79:80], v[79:80], v[85:86]
	v_fma_f64 v[85:86], v[73:74], v[99:100], v[133:134]
	v_add_f64 v[3:4], v[3:4], v[83:84]
	ds_read_b128 v[71:74], v2 offset:736
	s_waitcnt vmcnt(48)
	v_fma_f64 v[91:92], v[65:66], v[97:98], v[91:92]
	s_waitcnt lgkmcnt(1)
	v_mul_f64 v[99:100], v[69:70], v[101:102]
	v_fma_f64 v[95:96], v[63:64], v[97:98], -v[95:96]
	v_mul_f64 v[83:84], v[67:68], v[101:102]
	v_add_f64 v[79:80], v[79:80], v[93:94]
	s_waitcnt vmcnt(47) lgkmcnt(0)
	v_mul_f64 v[101:102], v[73:74], v[103:104]
	v_add_f64 v[3:4], v[3:4], v[85:86]
	s_clause 0x3
	buffer_load_dword v85, off, s[0:3], 0 offset:144
	buffer_load_dword v86, off, s[0:3], 0 offset:148
	;; [unrolled: 1-line block ×4, first 2 shown]
	ds_read_b128 v[63:66], v2 offset:752
	s_waitcnt vmcnt(49)
	v_fma_f64 v[99:100], v[67:68], v[107:108], -v[99:100]
	v_mul_f64 v[97:98], v[71:72], v[103:104]
	v_fma_f64 v[83:84], v[69:70], v[107:108], v[83:84]
	ds_read_b128 v[67:70], v2 offset:768
	v_add_f64 v[79:80], v[79:80], v[95:96]
	s_waitcnt vmcnt(44)
	v_fma_f64 v[101:102], v[71:72], v[105:106], -v[101:102]
	v_add_f64 v[3:4], v[3:4], v[91:92]
	s_waitcnt lgkmcnt(1)
	v_mul_f64 v[95:96], v[65:66], v[109:110]
	v_mul_f64 v[91:92], v[63:64], v[109:110]
	v_fma_f64 v[97:98], v[73:74], v[105:106], v[97:98]
	ds_read_b128 v[71:74], v2 offset:784
	v_add_f64 v[79:80], v[79:80], v[99:100]
	s_waitcnt vmcnt(43) lgkmcnt(1)
	v_mul_f64 v[99:100], v[69:70], v[111:112]
	v_add_f64 v[3:4], v[3:4], v[83:84]
	s_waitcnt vmcnt(41)
	v_fma_f64 v[95:96], v[63:64], v[115:116], -v[95:96]
	v_mul_f64 v[83:84], v[67:68], v[111:112]
	v_fma_f64 v[91:92], v[65:66], v[115:116], v[91:92]
	ds_read_b128 v[63:66], v2 offset:800
	v_add_f64 v[79:80], v[79:80], v[101:102]
	s_waitcnt vmcnt(37) lgkmcnt(1)
	v_mul_f64 v[101:102], v[73:74], v[117:118]
	v_add_f64 v[3:4], v[3:4], v[97:98]
	s_waitcnt vmcnt(36)
	v_fma_f64 v[99:100], v[67:68], v[113:114], -v[99:100]
	;; [unrolled: 9-line block ×6, first 2 shown]
	v_mul_f64 v[91:92], v[63:64], v[135:136]
	v_fma_f64 v[97:98], v[73:74], v[129:130], v[97:98]
	ds_read_b128 v[71:74], v2 offset:880
	v_add_f64 v[79:80], v[79:80], v[99:100]
	v_add_f64 v[3:4], v[3:4], v[83:84]
	s_waitcnt vmcnt(19) lgkmcnt(1)
	v_mul_f64 v[99:100], v[69:70], v[137:138]
	v_mul_f64 v[83:84], v[67:68], v[137:138]
	s_waitcnt vmcnt(17)
	v_fma_f64 v[95:96], v[63:64], v[77:78], -v[95:96]
	v_fma_f64 v[77:78], v[65:66], v[77:78], v[91:92]
	ds_read_b128 v[63:66], v2 offset:896
	s_waitcnt vmcnt(13) lgkmcnt(1)
	v_mul_f64 v[91:92], v[71:72], v[81:82]
	v_mul_f64 v[81:82], v[73:74], v[81:82]
	v_add_f64 v[79:80], v[79:80], v[101:102]
	v_add_f64 v[3:4], v[3:4], v[97:98]
	s_waitcnt vmcnt(12)
	v_fma_f64 v[97:98], v[67:68], v[139:140], -v[99:100]
	v_fma_f64 v[83:84], v[69:70], v[139:140], v[83:84]
	ds_read_b128 v[67:70], v2 offset:912
	v_add_f64 v[79:80], v[79:80], v[95:96]
	v_add_f64 v[3:4], v[3:4], v[77:78]
	s_waitcnt vmcnt(11) lgkmcnt(1)
	v_mul_f64 v[95:96], v[65:66], v[141:142]
	v_mul_f64 v[77:78], v[63:64], v[141:142]
	s_waitcnt vmcnt(9)
	v_fma_f64 v[71:72], v[71:72], v[75:76], -v[81:82]
	v_fma_f64 v[73:74], v[73:74], v[75:76], v[91:92]
	v_add_f64 v[79:80], v[79:80], v[97:98]
	v_add_f64 v[2:3], v[3:4], v[83:84]
	s_waitcnt vmcnt(7) lgkmcnt(0)
	v_mul_f64 v[81:82], v[69:70], v[89:90]
	s_waitcnt vmcnt(6)
	v_fma_f64 v[63:64], v[63:64], v[146:147], -v[95:96]
	v_mul_f64 v[75:76], v[67:68], v[89:90]
	v_fma_f64 v[65:66], v[65:66], v[146:147], v[77:78]
	v_add_f64 v[71:72], v[79:80], v[71:72]
	v_add_f64 v[2:3], v[2:3], v[73:74]
	s_waitcnt vmcnt(4)
	v_fma_f64 v[67:68], v[67:68], v[87:88], -v[81:82]
	v_fma_f64 v[69:70], v[69:70], v[87:88], v[75:76]
	v_add_f64 v[63:64], v[71:72], v[63:64]
	v_add_f64 v[2:3], v[2:3], v[65:66]
	;; [unrolled: 1-line block ×4, first 2 shown]
	s_waitcnt vmcnt(2)
	v_add_f64 v[63:64], v[85:86], -v[63:64]
	s_waitcnt vmcnt(0)
	v_add_f64 v[2:3], v[93:94], -v[2:3]
	buffer_store_dword v64, off, s[0:3], 0 offset:148
	buffer_store_dword v63, off, s[0:3], 0 offset:144
	buffer_store_dword v3, off, s[0:3], 0 offset:156
	buffer_store_dword v2, off, s[0:3], 0 offset:152
	v_cmpx_lt_u32_e32 7, v0
	s_cbranch_execz .LBB28_173
; %bb.172:
	v_mov_b32_e32 v2, s34
	s_clause 0x3
	buffer_load_dword v63, v2, s[0:3], 0 offen
	buffer_load_dword v64, v2, s[0:3], 0 offen offset:4
	buffer_load_dword v65, v2, s[0:3], 0 offen offset:8
	;; [unrolled: 1-line block ×3, first 2 shown]
	v_mov_b32_e32 v2, 0
	buffer_store_dword v2, off, s[0:3], 0 offset:128
	buffer_store_dword v2, off, s[0:3], 0 offset:132
	;; [unrolled: 1-line block ×4, first 2 shown]
	s_waitcnt vmcnt(0)
	ds_write_b128 v1, v[63:66]
.LBB28_173:
	s_or_b32 exec_lo, exec_lo, s4
	s_waitcnt lgkmcnt(0)
	s_waitcnt_vscnt null, 0x0
	s_barrier
	buffer_gl0_inv
	s_clause 0x37
	buffer_load_dword v3, off, s[0:3], 0 offset:152
	buffer_load_dword v4, off, s[0:3], 0 offset:156
	buffer_load_dword v75, off, s[0:3], 0 offset:168
	buffer_load_dword v76, off, s[0:3], 0 offset:172
	buffer_load_dword v77, off, s[0:3], 0 offset:144
	buffer_load_dword v78, off, s[0:3], 0 offset:148
	buffer_load_dword v79, off, s[0:3], 0 offset:184
	buffer_load_dword v80, off, s[0:3], 0 offset:188
	buffer_load_dword v81, off, s[0:3], 0 offset:160
	buffer_load_dword v82, off, s[0:3], 0 offset:164
	buffer_load_dword v84, off, s[0:3], 0 offset:204
	buffer_load_dword v85, off, s[0:3], 0 offset:216
	buffer_load_dword v87, off, s[0:3], 0 offset:208
	buffer_load_dword v83, off, s[0:3], 0 offset:200
	buffer_load_dword v89, off, s[0:3], 0 offset:176
	buffer_load_dword v90, off, s[0:3], 0 offset:180
	buffer_load_dword v86, off, s[0:3], 0 offset:220
	buffer_load_dword v92, off, s[0:3], 0 offset:196
	buffer_load_dword v91, off, s[0:3], 0 offset:192
	buffer_load_dword v94, off, s[0:3], 0 offset:236
	buffer_load_dword v95, off, s[0:3], 0 offset:248
	buffer_load_dword v97, off, s[0:3], 0 offset:240
	buffer_load_dword v93, off, s[0:3], 0 offset:232
	buffer_load_dword v88, off, s[0:3], 0 offset:212
	buffer_load_dword v96, off, s[0:3], 0 offset:252
	buffer_load_dword v100, off, s[0:3], 0 offset:228
	buffer_load_dword v99, off, s[0:3], 0 offset:224
	buffer_load_dword v102, off, s[0:3], 0 offset:268
	buffer_load_dword v103, off, s[0:3], 0 offset:280
	buffer_load_dword v105, off, s[0:3], 0 offset:272
	buffer_load_dword v101, off, s[0:3], 0 offset:264
	buffer_load_dword v98, off, s[0:3], 0 offset:244
	buffer_load_dword v104, off, s[0:3], 0 offset:284
	buffer_load_dword v108, off, s[0:3], 0 offset:260
	buffer_load_dword v107, off, s[0:3], 0 offset:256
	buffer_load_dword v110, off, s[0:3], 0 offset:300
	buffer_load_dword v111, off, s[0:3], 0 offset:312
	buffer_load_dword v113, off, s[0:3], 0 offset:304
	buffer_load_dword v109, off, s[0:3], 0 offset:296
	buffer_load_dword v106, off, s[0:3], 0 offset:276
	buffer_load_dword v112, off, s[0:3], 0 offset:316
	buffer_load_dword v116, off, s[0:3], 0 offset:292
	buffer_load_dword v115, off, s[0:3], 0 offset:288
	buffer_load_dword v118, off, s[0:3], 0 offset:332
	buffer_load_dword v119, off, s[0:3], 0 offset:344
	buffer_load_dword v121, off, s[0:3], 0 offset:336
	buffer_load_dword v117, off, s[0:3], 0 offset:328
	buffer_load_dword v114, off, s[0:3], 0 offset:308
	buffer_load_dword v120, off, s[0:3], 0 offset:348
	buffer_load_dword v124, off, s[0:3], 0 offset:324
	buffer_load_dword v123, off, s[0:3], 0 offset:320
	buffer_load_dword v126, off, s[0:3], 0 offset:364
	buffer_load_dword v127, off, s[0:3], 0 offset:376
	buffer_load_dword v129, off, s[0:3], 0 offset:368
	buffer_load_dword v125, off, s[0:3], 0 offset:360
	buffer_load_dword v122, off, s[0:3], 0 offset:340
	v_mov_b32_e32 v2, 0
	s_mov_b32 s4, exec_lo
	ds_read_b128 v[63:66], v2 offset:592
	s_clause 0x2
	buffer_load_dword v128, off, s[0:3], 0 offset:380
	buffer_load_dword v132, off, s[0:3], 0 offset:356
	;; [unrolled: 1-line block ×3, first 2 shown]
	ds_read_b128 v[67:70], v2 offset:608
	s_clause 0x4
	buffer_load_dword v136, off, s[0:3], 0 offset:396
	buffer_load_dword v137, off, s[0:3], 0 offset:408
	;; [unrolled: 1-line block ×5, first 2 shown]
	ds_read_b128 v[71:74], v2 offset:624
	s_waitcnt vmcnt(62) lgkmcnt(2)
	v_mul_f64 v[133:134], v[65:66], v[3:4]
	v_mul_f64 v[3:4], v[63:64], v[3:4]
	s_waitcnt vmcnt(60) lgkmcnt(1)
	v_mul_f64 v[140:141], v[69:70], v[75:76]
	v_mul_f64 v[75:76], v[67:68], v[75:76]
	;; [unrolled: 3-line block ×3, first 2 shown]
	v_fma_f64 v[133:134], v[63:64], v[77:78], -v[133:134]
	v_fma_f64 v[3:4], v[65:66], v[77:78], v[3:4]
	s_clause 0x2
	buffer_load_dword v138, off, s[0:3], 0 offset:412
	buffer_load_dword v78, off, s[0:3], 0 offset:388
	;; [unrolled: 1-line block ×3, first 2 shown]
	s_waitcnt vmcnt(57)
	v_fma_f64 v[144:145], v[67:68], v[81:82], -v[140:141]
	ds_read_b128 v[63:66], v2 offset:640
	v_fma_f64 v[75:76], v[69:70], v[81:82], v[75:76]
	s_clause 0x4
	buffer_load_dword v82, off, s[0:3], 0 offset:428
	buffer_load_dword v141, off, s[0:3], 0 offset:440
	;; [unrolled: 1-line block ×5, first 2 shown]
	s_waitcnt vmcnt(56)
	v_fma_f64 v[79:80], v[71:72], v[89:90], -v[79:80]
	ds_read_b128 v[67:70], v2 offset:656
	v_fma_f64 v[89:90], v[73:74], v[89:90], v[142:143]
	v_add_f64 v[133:134], v[133:134], 0
	v_add_f64 v[3:4], v[3:4], 0
	s_waitcnt lgkmcnt(1)
	v_mul_f64 v[147:148], v[63:64], v[83:84]
	v_mul_f64 v[83:84], v[65:66], v[83:84]
	v_add_f64 v[133:134], v[133:134], v[144:145]
	v_add_f64 v[3:4], v[3:4], v[75:76]
	s_clause 0x2
	buffer_load_dword v142, off, s[0:3], 0 offset:444
	buffer_load_dword v76, off, s[0:3], 0 offset:420
	buffer_load_dword v75, off, s[0:3], 0 offset:416
	s_waitcnt vmcnt(58) lgkmcnt(0)
	v_mul_f64 v[143:144], v[67:68], v[85:86]
	v_mul_f64 v[85:86], v[69:70], v[85:86]
	s_waitcnt vmcnt(56)
	v_fma_f64 v[83:84], v[63:64], v[91:92], -v[83:84]
	ds_read_b128 v[71:74], v2 offset:672
	v_fma_f64 v[91:92], v[65:66], v[91:92], v[147:148]
	v_add_f64 v[79:80], v[133:134], v[79:80]
	v_add_f64 v[3:4], v[3:4], v[89:90]
	s_clause 0x4
	buffer_load_dword v90, off, s[0:3], 0 offset:460
	buffer_load_dword v133, off, s[0:3], 0 offset:472
	;; [unrolled: 1-line block ×5, first 2 shown]
	ds_read_b128 v[63:66], v2 offset:688
	s_waitcnt vmcnt(57) lgkmcnt(1)
	v_mul_f64 v[149:150], v[71:72], v[93:94]
	v_mul_f64 v[93:94], v[73:74], v[93:94]
	s_waitcnt vmcnt(56)
	v_fma_f64 v[85:86], v[67:68], v[87:88], -v[85:86]
	v_add_f64 v[79:80], v[79:80], v[83:84]
	v_fma_f64 v[83:84], v[69:70], v[87:88], v[143:144]
	v_add_f64 v[3:4], v[3:4], v[91:92]
	s_clause 0x2
	buffer_load_dword v134, off, s[0:3], 0 offset:476
	buffer_load_dword v88, off, s[0:3], 0 offset:452
	;; [unrolled: 1-line block ×3, first 2 shown]
	s_waitcnt vmcnt(58) lgkmcnt(0)
	v_mul_f64 v[91:92], v[63:64], v[95:96]
	v_mul_f64 v[95:96], v[65:66], v[95:96]
	s_waitcnt vmcnt(56)
	v_fma_f64 v[93:94], v[71:72], v[99:100], -v[93:94]
	ds_read_b128 v[67:70], v2 offset:704
	v_add_f64 v[79:80], v[79:80], v[85:86]
	v_fma_f64 v[85:86], v[73:74], v[99:100], v[149:150]
	v_add_f64 v[3:4], v[3:4], v[83:84]
	buffer_load_dword v149, off, s[0:3], 0 offset:468
	ds_read_b128 v[71:74], v2 offset:720
	s_waitcnt vmcnt(53) lgkmcnt(1)
	v_mul_f64 v[99:100], v[69:70], v[101:102]
	s_waitcnt vmcnt(52)
	v_fma_f64 v[95:96], v[63:64], v[97:98], -v[95:96]
	v_mul_f64 v[83:84], v[67:68], v[101:102]
	v_fma_f64 v[91:92], v[65:66], v[97:98], v[91:92]
	ds_read_b128 v[63:66], v2 offset:736
	v_add_f64 v[79:80], v[79:80], v[93:94]
	v_add_f64 v[3:4], v[3:4], v[85:86]
	s_waitcnt vmcnt(51) lgkmcnt(1)
	v_mul_f64 v[93:94], v[73:74], v[103:104]
	v_mul_f64 v[85:86], v[71:72], v[103:104]
	s_waitcnt vmcnt(49)
	v_fma_f64 v[97:98], v[67:68], v[107:108], -v[99:100]
	v_fma_f64 v[83:84], v[69:70], v[107:108], v[83:84]
	s_waitcnt vmcnt(45) lgkmcnt(0)
	v_mul_f64 v[101:102], v[65:66], v[109:110]
	v_mul_f64 v[99:100], v[63:64], v[109:110]
	v_add_f64 v[79:80], v[79:80], v[95:96]
	v_add_f64 v[3:4], v[3:4], v[91:92]
	s_clause 0x3
	buffer_load_dword v91, off, s[0:3], 0 offset:128
	buffer_load_dword v92, off, s[0:3], 0 offset:132
	;; [unrolled: 1-line block ×4, first 2 shown]
	s_waitcnt vmcnt(48)
	v_fma_f64 v[93:94], v[71:72], v[105:106], -v[93:94]
	ds_read_b128 v[67:70], v2 offset:752
	v_fma_f64 v[85:86], v[73:74], v[105:106], v[85:86]
	ds_read_b128 v[71:74], v2 offset:768
	s_waitcnt vmcnt(45)
	v_fma_f64 v[101:102], v[63:64], v[115:116], -v[101:102]
	v_add_f64 v[79:80], v[79:80], v[97:98]
	v_add_f64 v[3:4], v[3:4], v[83:84]
	s_waitcnt lgkmcnt(1)
	v_mul_f64 v[97:98], v[69:70], v[111:112]
	v_mul_f64 v[83:84], v[67:68], v[111:112]
	v_add_f64 v[79:80], v[79:80], v[93:94]
	v_fma_f64 v[93:94], v[65:66], v[115:116], v[99:100]
	v_add_f64 v[3:4], v[3:4], v[85:86]
	s_waitcnt vmcnt(41) lgkmcnt(0)
	v_mul_f64 v[99:100], v[73:74], v[117:118]
	s_waitcnt vmcnt(40)
	v_fma_f64 v[97:98], v[67:68], v[113:114], -v[97:98]
	ds_read_b128 v[63:66], v2 offset:784
	v_mul_f64 v[85:86], v[71:72], v[117:118]
	v_fma_f64 v[83:84], v[69:70], v[113:114], v[83:84]
	ds_read_b128 v[67:70], v2 offset:800
	v_add_f64 v[79:80], v[79:80], v[101:102]
	v_add_f64 v[3:4], v[3:4], v[93:94]
	s_waitcnt vmcnt(39) lgkmcnt(1)
	v_mul_f64 v[101:102], v[65:66], v[119:120]
	s_waitcnt vmcnt(37)
	v_fma_f64 v[99:100], v[71:72], v[123:124], -v[99:100]
	v_mul_f64 v[93:94], v[63:64], v[119:120]
	v_fma_f64 v[85:86], v[73:74], v[123:124], v[85:86]
	ds_read_b128 v[71:74], v2 offset:816
	v_add_f64 v[79:80], v[79:80], v[97:98]
	s_waitcnt vmcnt(33) lgkmcnt(1)
	v_mul_f64 v[97:98], v[69:70], v[125:126]
	v_add_f64 v[3:4], v[3:4], v[83:84]
	s_waitcnt vmcnt(32)
	v_fma_f64 v[101:102], v[63:64], v[121:122], -v[101:102]
	v_mul_f64 v[83:84], v[67:68], v[125:126]
	v_fma_f64 v[93:94], v[65:66], v[121:122], v[93:94]
	ds_read_b128 v[63:66], v2 offset:832
	v_add_f64 v[79:80], v[79:80], v[99:100]
	s_waitcnt vmcnt(31) lgkmcnt(1)
	v_mul_f64 v[99:100], v[73:74], v[127:128]
	v_add_f64 v[3:4], v[3:4], v[85:86]
	;; [unrolled: 9-line block ×3, first 2 shown]
	s_waitcnt vmcnt(24)
	v_fma_f64 v[99:100], v[71:72], v[129:130], -v[99:100]
	v_mul_f64 v[93:94], v[63:64], v[135:136]
	v_fma_f64 v[85:86], v[73:74], v[129:130], v[85:86]
	ds_read_b128 v[71:74], v2 offset:864
	v_add_f64 v[79:80], v[79:80], v[97:98]
	v_add_f64 v[3:4], v[3:4], v[83:84]
	s_waitcnt vmcnt(23) lgkmcnt(1)
	v_mul_f64 v[97:98], v[69:70], v[137:138]
	v_mul_f64 v[83:84], v[67:68], v[137:138]
	s_waitcnt vmcnt(21)
	v_fma_f64 v[101:102], v[63:64], v[77:78], -v[101:102]
	v_fma_f64 v[77:78], v[65:66], v[77:78], v[93:94]
	ds_read_b128 v[63:66], v2 offset:880
	v_add_f64 v[79:80], v[79:80], v[99:100]
	v_add_f64 v[3:4], v[3:4], v[85:86]
	s_waitcnt vmcnt(17) lgkmcnt(1)
	v_mul_f64 v[85:86], v[71:72], v[81:82]
	v_mul_f64 v[81:82], v[73:74], v[81:82]
	s_waitcnt vmcnt(16)
	v_fma_f64 v[93:94], v[67:68], v[139:140], -v[97:98]
	;; [unrolled: 9-line block ×3, first 2 shown]
	v_fma_f64 v[75:76], v[73:74], v[75:76], v[85:86]
	ds_read_b128 v[71:74], v2 offset:912
	v_add_f64 v[79:80], v[79:80], v[93:94]
	v_add_f64 v[3:4], v[3:4], v[83:84]
	s_waitcnt vmcnt(9) lgkmcnt(1)
	v_mul_f64 v[85:86], v[69:70], v[89:90]
	s_waitcnt vmcnt(8)
	v_fma_f64 v[63:64], v[63:64], v[146:147], -v[97:98]
	v_mul_f64 v[83:84], v[67:68], v[89:90]
	v_fma_f64 v[65:66], v[65:66], v[146:147], v[77:78]
	v_add_f64 v[79:80], v[79:80], v[81:82]
	v_add_f64 v[3:4], v[3:4], v[75:76]
	s_waitcnt vmcnt(7) lgkmcnt(0)
	v_mul_f64 v[77:78], v[73:74], v[133:134]
	v_mul_f64 v[75:76], v[71:72], v[133:134]
	s_waitcnt vmcnt(5)
	v_fma_f64 v[67:68], v[67:68], v[87:88], -v[85:86]
	v_fma_f64 v[69:70], v[69:70], v[87:88], v[83:84]
	v_add_f64 v[63:64], v[79:80], v[63:64]
	v_add_f64 v[3:4], v[3:4], v[65:66]
	s_waitcnt vmcnt(4)
	v_fma_f64 v[65:66], v[71:72], v[148:149], -v[77:78]
	v_add_f64 v[63:64], v[63:64], v[67:68]
	v_fma_f64 v[67:68], v[73:74], v[148:149], v[75:76]
	v_add_f64 v[3:4], v[3:4], v[69:70]
	v_add_f64 v[63:64], v[63:64], v[65:66]
	;; [unrolled: 1-line block ×3, first 2 shown]
	s_waitcnt vmcnt(2)
	v_add_f64 v[63:64], v[91:92], -v[63:64]
	s_waitcnt vmcnt(0)
	v_add_f64 v[3:4], v[95:96], -v[3:4]
	buffer_store_dword v64, off, s[0:3], 0 offset:132
	buffer_store_dword v63, off, s[0:3], 0 offset:128
	;; [unrolled: 1-line block ×4, first 2 shown]
	v_cmpx_lt_u32_e32 6, v0
	s_cbranch_execz .LBB28_175
; %bb.174:
	v_mov_b32_e32 v3, s35
	s_clause 0x3
	buffer_load_dword v63, v3, s[0:3], 0 offen
	buffer_load_dword v64, v3, s[0:3], 0 offen offset:4
	buffer_load_dword v65, v3, s[0:3], 0 offen offset:8
	;; [unrolled: 1-line block ×3, first 2 shown]
	buffer_store_dword v2, off, s[0:3], 0 offset:112
	buffer_store_dword v2, off, s[0:3], 0 offset:116
	buffer_store_dword v2, off, s[0:3], 0 offset:120
	buffer_store_dword v2, off, s[0:3], 0 offset:124
	s_waitcnt vmcnt(0)
	ds_write_b128 v1, v[63:66]
.LBB28_175:
	s_or_b32 exec_lo, exec_lo, s4
	s_waitcnt lgkmcnt(0)
	s_waitcnt_vscnt null, 0x0
	s_barrier
	buffer_gl0_inv
	s_clause 0x37
	buffer_load_dword v3, off, s[0:3], 0 offset:136
	buffer_load_dword v4, off, s[0:3], 0 offset:140
	;; [unrolled: 1-line block ×56, first 2 shown]
	ds_read_b128 v[63:66], v2 offset:576
	s_clause 0x2
	buffer_load_dword v128, off, s[0:3], 0 offset:364
	buffer_load_dword v132, off, s[0:3], 0 offset:340
	;; [unrolled: 1-line block ×3, first 2 shown]
	ds_read_b128 v[67:70], v2 offset:592
	s_clause 0x4
	buffer_load_dword v136, off, s[0:3], 0 offset:380
	buffer_load_dword v137, off, s[0:3], 0 offset:392
	;; [unrolled: 1-line block ×5, first 2 shown]
	ds_read_b128 v[71:74], v2 offset:608
	s_mov_b32 s4, exec_lo
	s_waitcnt vmcnt(62) lgkmcnt(2)
	v_mul_f64 v[133:134], v[65:66], v[3:4]
	v_mul_f64 v[3:4], v[63:64], v[3:4]
	s_waitcnt vmcnt(60) lgkmcnt(1)
	v_mul_f64 v[140:141], v[69:70], v[75:76]
	v_mul_f64 v[75:76], v[67:68], v[75:76]
	;; [unrolled: 3-line block ×3, first 2 shown]
	v_fma_f64 v[133:134], v[63:64], v[77:78], -v[133:134]
	v_fma_f64 v[3:4], v[65:66], v[77:78], v[3:4]
	s_clause 0x2
	buffer_load_dword v138, off, s[0:3], 0 offset:396
	buffer_load_dword v78, off, s[0:3], 0 offset:372
	buffer_load_dword v77, off, s[0:3], 0 offset:368
	s_waitcnt vmcnt(57)
	v_fma_f64 v[144:145], v[67:68], v[81:82], -v[140:141]
	ds_read_b128 v[63:66], v2 offset:624
	v_fma_f64 v[75:76], v[69:70], v[81:82], v[75:76]
	s_clause 0x4
	buffer_load_dword v82, off, s[0:3], 0 offset:412
	buffer_load_dword v141, off, s[0:3], 0 offset:424
	;; [unrolled: 1-line block ×5, first 2 shown]
	s_waitcnt vmcnt(56)
	v_fma_f64 v[79:80], v[71:72], v[89:90], -v[79:80]
	ds_read_b128 v[67:70], v2 offset:640
	v_fma_f64 v[89:90], v[73:74], v[89:90], v[142:143]
	v_add_f64 v[133:134], v[133:134], 0
	v_add_f64 v[3:4], v[3:4], 0
	s_waitcnt lgkmcnt(1)
	v_mul_f64 v[147:148], v[63:64], v[83:84]
	v_mul_f64 v[83:84], v[65:66], v[83:84]
	v_add_f64 v[133:134], v[133:134], v[144:145]
	v_add_f64 v[3:4], v[3:4], v[75:76]
	s_clause 0x2
	buffer_load_dword v142, off, s[0:3], 0 offset:428
	buffer_load_dword v76, off, s[0:3], 0 offset:404
	buffer_load_dword v75, off, s[0:3], 0 offset:400
	s_waitcnt vmcnt(58) lgkmcnt(0)
	v_mul_f64 v[143:144], v[67:68], v[85:86]
	v_mul_f64 v[85:86], v[69:70], v[85:86]
	s_waitcnt vmcnt(56)
	v_fma_f64 v[83:84], v[63:64], v[91:92], -v[83:84]
	ds_read_b128 v[71:74], v2 offset:656
	v_fma_f64 v[91:92], v[65:66], v[91:92], v[147:148]
	v_add_f64 v[79:80], v[133:134], v[79:80]
	v_add_f64 v[3:4], v[3:4], v[89:90]
	s_clause 0x4
	buffer_load_dword v90, off, s[0:3], 0 offset:444
	buffer_load_dword v133, off, s[0:3], 0 offset:456
	;; [unrolled: 1-line block ×5, first 2 shown]
	ds_read_b128 v[63:66], v2 offset:672
	s_waitcnt vmcnt(57) lgkmcnt(1)
	v_mul_f64 v[149:150], v[71:72], v[93:94]
	v_mul_f64 v[93:94], v[73:74], v[93:94]
	s_waitcnt vmcnt(56)
	v_fma_f64 v[85:86], v[67:68], v[87:88], -v[85:86]
	v_add_f64 v[79:80], v[79:80], v[83:84]
	v_fma_f64 v[83:84], v[69:70], v[87:88], v[143:144]
	v_add_f64 v[3:4], v[3:4], v[91:92]
	s_clause 0x2
	buffer_load_dword v134, off, s[0:3], 0 offset:460
	buffer_load_dword v88, off, s[0:3], 0 offset:436
	;; [unrolled: 1-line block ×3, first 2 shown]
	s_waitcnt vmcnt(58) lgkmcnt(0)
	v_mul_f64 v[91:92], v[63:64], v[95:96]
	v_mul_f64 v[95:96], v[65:66], v[95:96]
	s_waitcnt vmcnt(56)
	v_fma_f64 v[93:94], v[71:72], v[99:100], -v[93:94]
	ds_read_b128 v[67:70], v2 offset:688
	v_add_f64 v[79:80], v[79:80], v[85:86]
	v_fma_f64 v[85:86], v[73:74], v[99:100], v[149:150]
	v_add_f64 v[3:4], v[3:4], v[83:84]
	s_clause 0x2
	buffer_load_dword v84, off, s[0:3], 0 offset:476
	buffer_load_dword v83, off, s[0:3], 0 offset:472
	;; [unrolled: 1-line block ×3, first 2 shown]
	ds_read_b128 v[71:74], v2 offset:704
	s_waitcnt vmcnt(55) lgkmcnt(1)
	v_mul_f64 v[99:100], v[67:68], v[101:102]
	v_mul_f64 v[101:102], v[69:70], v[101:102]
	s_waitcnt vmcnt(54)
	v_fma_f64 v[95:96], v[63:64], v[97:98], -v[95:96]
	v_fma_f64 v[91:92], v[65:66], v[97:98], v[91:92]
	v_add_f64 v[79:80], v[79:80], v[93:94]
	v_add_f64 v[3:4], v[3:4], v[85:86]
	s_clause 0x1
	buffer_load_dword v86, off, s[0:3], 0 offset:468
	buffer_load_dword v85, off, s[0:3], 0 offset:464
	s_waitcnt vmcnt(55) lgkmcnt(0)
	v_mul_f64 v[97:98], v[73:74], v[103:104]
	ds_read_b128 v[63:66], v2 offset:720
	s_waitcnt vmcnt(53)
	v_fma_f64 v[101:102], v[67:68], v[107:108], -v[101:102]
	v_mul_f64 v[93:94], v[71:72], v[103:104]
	v_add_f64 v[79:80], v[79:80], v[95:96]
	v_fma_f64 v[95:96], v[69:70], v[107:108], v[99:100]
	v_add_f64 v[3:4], v[3:4], v[91:92]
	ds_read_b128 v[67:70], v2 offset:736
	s_waitcnt vmcnt(49) lgkmcnt(1)
	v_mul_f64 v[99:100], v[65:66], v[109:110]
	s_waitcnt vmcnt(48)
	v_fma_f64 v[97:98], v[71:72], v[105:106], -v[97:98]
	v_mul_f64 v[91:92], v[63:64], v[109:110]
	v_fma_f64 v[93:94], v[73:74], v[105:106], v[93:94]
	v_add_f64 v[79:80], v[79:80], v[101:102]
	s_waitcnt vmcnt(47) lgkmcnt(0)
	v_mul_f64 v[105:106], v[69:70], v[111:112]
	v_add_f64 v[3:4], v[3:4], v[95:96]
	s_clause 0x3
	buffer_load_dword v95, off, s[0:3], 0 offset:112
	buffer_load_dword v96, off, s[0:3], 0 offset:116
	;; [unrolled: 1-line block ×4, first 2 shown]
	s_waitcnt vmcnt(49)
	v_fma_f64 v[99:100], v[63:64], v[115:116], -v[99:100]
	ds_read_b128 v[71:74], v2 offset:752
	v_mul_f64 v[103:104], v[67:68], v[111:112]
	v_fma_f64 v[91:92], v[65:66], v[115:116], v[91:92]
	ds_read_b128 v[63:66], v2 offset:768
	v_add_f64 v[79:80], v[79:80], v[97:98]
	s_waitcnt vmcnt(44)
	v_fma_f64 v[105:106], v[67:68], v[113:114], -v[105:106]
	v_add_f64 v[3:4], v[3:4], v[93:94]
	s_waitcnt lgkmcnt(1)
	v_mul_f64 v[97:98], v[73:74], v[117:118]
	v_mul_f64 v[93:94], v[71:72], v[117:118]
	v_add_f64 v[79:80], v[79:80], v[99:100]
	v_fma_f64 v[99:100], v[69:70], v[113:114], v[103:104]
	v_add_f64 v[3:4], v[3:4], v[91:92]
	s_waitcnt vmcnt(43) lgkmcnt(0)
	v_mul_f64 v[103:104], v[65:66], v[119:120]
	s_waitcnt vmcnt(41)
	v_fma_f64 v[97:98], v[71:72], v[123:124], -v[97:98]
	ds_read_b128 v[67:70], v2 offset:784
	v_mul_f64 v[91:92], v[63:64], v[119:120]
	v_fma_f64 v[93:94], v[73:74], v[123:124], v[93:94]
	ds_read_b128 v[71:74], v2 offset:800
	v_add_f64 v[79:80], v[79:80], v[105:106]
	v_add_f64 v[3:4], v[3:4], v[99:100]
	s_waitcnt vmcnt(37) lgkmcnt(1)
	v_mul_f64 v[105:106], v[69:70], v[125:126]
	s_waitcnt vmcnt(36)
	v_fma_f64 v[103:104], v[63:64], v[121:122], -v[103:104]
	v_mul_f64 v[99:100], v[67:68], v[125:126]
	v_fma_f64 v[91:92], v[65:66], v[121:122], v[91:92]
	ds_read_b128 v[63:66], v2 offset:816
	v_add_f64 v[79:80], v[79:80], v[97:98]
	s_waitcnt vmcnt(35) lgkmcnt(1)
	v_mul_f64 v[97:98], v[73:74], v[127:128]
	v_add_f64 v[3:4], v[3:4], v[93:94]
	s_waitcnt vmcnt(33)
	v_fma_f64 v[105:106], v[67:68], v[131:132], -v[105:106]
	v_mul_f64 v[93:94], v[71:72], v[127:128]
	v_fma_f64 v[99:100], v[69:70], v[131:132], v[99:100]
	ds_read_b128 v[67:70], v2 offset:832
	v_add_f64 v[79:80], v[79:80], v[103:104]
	s_waitcnt vmcnt(29) lgkmcnt(1)
	v_mul_f64 v[103:104], v[65:66], v[135:136]
	v_add_f64 v[3:4], v[3:4], v[91:92]
	s_waitcnt vmcnt(28)
	v_fma_f64 v[97:98], v[71:72], v[129:130], -v[97:98]
	v_mul_f64 v[91:92], v[63:64], v[135:136]
	v_fma_f64 v[93:94], v[73:74], v[129:130], v[93:94]
	ds_read_b128 v[71:74], v2 offset:848
	v_add_f64 v[79:80], v[79:80], v[105:106]
	v_add_f64 v[3:4], v[3:4], v[99:100]
	s_waitcnt vmcnt(27) lgkmcnt(1)
	v_mul_f64 v[105:106], v[69:70], v[137:138]
	v_mul_f64 v[99:100], v[67:68], v[137:138]
	s_waitcnt vmcnt(25)
	v_fma_f64 v[103:104], v[63:64], v[77:78], -v[103:104]
	v_fma_f64 v[77:78], v[65:66], v[77:78], v[91:92]
	ds_read_b128 v[63:66], v2 offset:864
	s_waitcnt vmcnt(21) lgkmcnt(1)
	v_mul_f64 v[91:92], v[71:72], v[81:82]
	v_mul_f64 v[81:82], v[73:74], v[81:82]
	v_add_f64 v[79:80], v[79:80], v[97:98]
	v_add_f64 v[3:4], v[3:4], v[93:94]
	s_waitcnt vmcnt(20)
	v_fma_f64 v[93:94], v[67:68], v[139:140], -v[105:106]
	v_fma_f64 v[97:98], v[69:70], v[139:140], v[99:100]
	ds_read_b128 v[67:70], v2 offset:880
	v_add_f64 v[79:80], v[79:80], v[103:104]
	v_add_f64 v[3:4], v[3:4], v[77:78]
	s_waitcnt vmcnt(19) lgkmcnt(1)
	v_mul_f64 v[99:100], v[65:66], v[141:142]
	v_mul_f64 v[77:78], v[63:64], v[141:142]
	s_waitcnt vmcnt(17)
	v_fma_f64 v[81:82], v[71:72], v[75:76], -v[81:82]
	v_fma_f64 v[75:76], v[73:74], v[75:76], v[91:92]
	ds_read_b128 v[71:74], v2 offset:896
	v_add_f64 v[79:80], v[79:80], v[93:94]
	v_add_f64 v[3:4], v[3:4], v[97:98]
	s_waitcnt vmcnt(13) lgkmcnt(1)
	v_mul_f64 v[91:92], v[67:68], v[89:90]
	v_mul_f64 v[89:90], v[69:70], v[89:90]
	;; [unrolled: 9-line block ×3, first 2 shown]
	s_waitcnt vmcnt(9)
	v_fma_f64 v[67:68], v[67:68], v[87:88], -v[89:90]
	v_fma_f64 v[69:70], v[69:70], v[87:88], v[91:92]
	v_add_f64 v[79:80], v[79:80], v[93:94]
	v_add_f64 v[2:3], v[3:4], v[77:78]
	s_waitcnt vmcnt(7) lgkmcnt(0)
	v_mul_f64 v[77:78], v[63:64], v[83:84]
	v_mul_f64 v[83:84], v[65:66], v[83:84]
	s_waitcnt vmcnt(6)
	v_fma_f64 v[71:72], v[71:72], v[148:149], -v[81:82]
	v_fma_f64 v[73:74], v[73:74], v[148:149], v[75:76]
	v_add_f64 v[67:68], v[79:80], v[67:68]
	v_add_f64 v[2:3], v[2:3], v[69:70]
	s_waitcnt vmcnt(4)
	v_fma_f64 v[63:64], v[63:64], v[85:86], -v[83:84]
	v_fma_f64 v[65:66], v[65:66], v[85:86], v[77:78]
	v_add_f64 v[67:68], v[67:68], v[71:72]
	v_add_f64 v[2:3], v[2:3], v[73:74]
	;; [unrolled: 1-line block ×4, first 2 shown]
	s_waitcnt vmcnt(2)
	v_add_f64 v[63:64], v[95:96], -v[63:64]
	s_waitcnt vmcnt(0)
	v_add_f64 v[2:3], v[101:102], -v[2:3]
	buffer_store_dword v64, off, s[0:3], 0 offset:116
	buffer_store_dword v63, off, s[0:3], 0 offset:112
	;; [unrolled: 1-line block ×4, first 2 shown]
	v_cmpx_lt_u32_e32 5, v0
	s_cbranch_execz .LBB28_177
; %bb.176:
	v_mov_b32_e32 v2, s36
	s_clause 0x3
	buffer_load_dword v63, v2, s[0:3], 0 offen
	buffer_load_dword v64, v2, s[0:3], 0 offen offset:4
	buffer_load_dword v65, v2, s[0:3], 0 offen offset:8
	;; [unrolled: 1-line block ×3, first 2 shown]
	v_mov_b32_e32 v2, 0
	buffer_store_dword v2, off, s[0:3], 0 offset:96
	buffer_store_dword v2, off, s[0:3], 0 offset:100
	;; [unrolled: 1-line block ×4, first 2 shown]
	s_waitcnt vmcnt(0)
	ds_write_b128 v1, v[63:66]
.LBB28_177:
	s_or_b32 exec_lo, exec_lo, s4
	s_waitcnt lgkmcnt(0)
	s_waitcnt_vscnt null, 0x0
	s_barrier
	buffer_gl0_inv
	s_clause 0x37
	buffer_load_dword v3, off, s[0:3], 0 offset:120
	buffer_load_dword v4, off, s[0:3], 0 offset:124
	;; [unrolled: 1-line block ×56, first 2 shown]
	v_mov_b32_e32 v2, 0
	s_mov_b32 s4, exec_lo
	ds_read_b128 v[63:66], v2 offset:560
	s_clause 0x2
	buffer_load_dword v128, off, s[0:3], 0 offset:348
	buffer_load_dword v132, off, s[0:3], 0 offset:324
	;; [unrolled: 1-line block ×3, first 2 shown]
	ds_read_b128 v[67:70], v2 offset:576
	s_clause 0x4
	buffer_load_dword v136, off, s[0:3], 0 offset:364
	buffer_load_dword v137, off, s[0:3], 0 offset:376
	;; [unrolled: 1-line block ×5, first 2 shown]
	ds_read_b128 v[71:74], v2 offset:592
	s_waitcnt vmcnt(62) lgkmcnt(2)
	v_mul_f64 v[133:134], v[65:66], v[3:4]
	v_mul_f64 v[3:4], v[63:64], v[3:4]
	s_waitcnt vmcnt(60) lgkmcnt(1)
	v_mul_f64 v[140:141], v[69:70], v[75:76]
	v_mul_f64 v[75:76], v[67:68], v[75:76]
	;; [unrolled: 3-line block ×3, first 2 shown]
	v_fma_f64 v[133:134], v[63:64], v[77:78], -v[133:134]
	v_fma_f64 v[3:4], v[65:66], v[77:78], v[3:4]
	s_clause 0x2
	buffer_load_dword v138, off, s[0:3], 0 offset:380
	buffer_load_dword v78, off, s[0:3], 0 offset:356
	;; [unrolled: 1-line block ×3, first 2 shown]
	s_waitcnt vmcnt(57)
	v_fma_f64 v[144:145], v[67:68], v[81:82], -v[140:141]
	ds_read_b128 v[63:66], v2 offset:608
	v_fma_f64 v[75:76], v[69:70], v[81:82], v[75:76]
	s_clause 0x4
	buffer_load_dword v82, off, s[0:3], 0 offset:396
	buffer_load_dword v141, off, s[0:3], 0 offset:408
	;; [unrolled: 1-line block ×5, first 2 shown]
	s_waitcnt vmcnt(56)
	v_fma_f64 v[79:80], v[71:72], v[89:90], -v[79:80]
	ds_read_b128 v[67:70], v2 offset:624
	v_fma_f64 v[89:90], v[73:74], v[89:90], v[142:143]
	v_add_f64 v[133:134], v[133:134], 0
	v_add_f64 v[3:4], v[3:4], 0
	s_waitcnt lgkmcnt(1)
	v_mul_f64 v[147:148], v[63:64], v[83:84]
	v_mul_f64 v[83:84], v[65:66], v[83:84]
	v_add_f64 v[133:134], v[133:134], v[144:145]
	v_add_f64 v[3:4], v[3:4], v[75:76]
	s_clause 0x2
	buffer_load_dword v142, off, s[0:3], 0 offset:412
	buffer_load_dword v76, off, s[0:3], 0 offset:388
	;; [unrolled: 1-line block ×3, first 2 shown]
	s_waitcnt vmcnt(58) lgkmcnt(0)
	v_mul_f64 v[143:144], v[67:68], v[85:86]
	v_mul_f64 v[85:86], v[69:70], v[85:86]
	s_waitcnt vmcnt(56)
	v_fma_f64 v[83:84], v[63:64], v[91:92], -v[83:84]
	ds_read_b128 v[71:74], v2 offset:640
	v_fma_f64 v[91:92], v[65:66], v[91:92], v[147:148]
	v_add_f64 v[79:80], v[133:134], v[79:80]
	v_add_f64 v[3:4], v[3:4], v[89:90]
	s_clause 0x4
	buffer_load_dword v90, off, s[0:3], 0 offset:428
	buffer_load_dword v133, off, s[0:3], 0 offset:440
	buffer_load_dword v148, off, s[0:3], 0 offset:432
	buffer_load_dword v89, off, s[0:3], 0 offset:424
	buffer_load_dword v147, off, s[0:3], 0 offset:404
	ds_read_b128 v[63:66], v2 offset:656
	s_waitcnt vmcnt(57) lgkmcnt(1)
	v_mul_f64 v[149:150], v[71:72], v[93:94]
	v_mul_f64 v[93:94], v[73:74], v[93:94]
	s_waitcnt vmcnt(56)
	v_fma_f64 v[85:86], v[67:68], v[87:88], -v[85:86]
	v_add_f64 v[79:80], v[79:80], v[83:84]
	v_fma_f64 v[83:84], v[69:70], v[87:88], v[143:144]
	v_add_f64 v[3:4], v[3:4], v[91:92]
	s_clause 0x2
	buffer_load_dword v134, off, s[0:3], 0 offset:444
	buffer_load_dword v88, off, s[0:3], 0 offset:420
	;; [unrolled: 1-line block ×3, first 2 shown]
	s_waitcnt vmcnt(58) lgkmcnt(0)
	v_mul_f64 v[91:92], v[63:64], v[95:96]
	v_mul_f64 v[95:96], v[65:66], v[95:96]
	s_waitcnt vmcnt(56)
	v_fma_f64 v[93:94], v[71:72], v[99:100], -v[93:94]
	ds_read_b128 v[67:70], v2 offset:672
	v_add_f64 v[79:80], v[79:80], v[85:86]
	v_fma_f64 v[85:86], v[73:74], v[99:100], v[149:150]
	v_add_f64 v[3:4], v[3:4], v[83:84]
	s_clause 0x4
	buffer_load_dword v84, off, s[0:3], 0 offset:460
	buffer_load_dword v99, off, s[0:3], 0 offset:472
	;; [unrolled: 1-line block ×5, first 2 shown]
	ds_read_b128 v[71:74], v2 offset:688
	s_waitcnt vmcnt(57) lgkmcnt(1)
	v_mul_f64 v[144:145], v[67:68], v[101:102]
	v_mul_f64 v[101:102], v[69:70], v[101:102]
	s_waitcnt vmcnt(56)
	v_fma_f64 v[95:96], v[63:64], v[97:98], -v[95:96]
	v_fma_f64 v[91:92], v[65:66], v[97:98], v[91:92]
	v_add_f64 v[79:80], v[79:80], v[93:94]
	v_add_f64 v[3:4], v[3:4], v[85:86]
	s_clause 0x2
	buffer_load_dword v100, off, s[0:3], 0 offset:476
	buffer_load_dword v86, off, s[0:3], 0 offset:452
	buffer_load_dword v85, off, s[0:3], 0 offset:448
	s_waitcnt vmcnt(58) lgkmcnt(0)
	v_mul_f64 v[97:98], v[73:74], v[103:104]
	ds_read_b128 v[63:66], v2 offset:704
	s_waitcnt vmcnt(56)
	v_fma_f64 v[101:102], v[67:68], v[107:108], -v[101:102]
	v_mul_f64 v[93:94], v[71:72], v[103:104]
	v_add_f64 v[79:80], v[79:80], v[95:96]
	v_fma_f64 v[95:96], v[69:70], v[107:108], v[144:145]
	v_add_f64 v[3:4], v[3:4], v[91:92]
	buffer_load_dword v144, off, s[0:3], 0 offset:468
	ds_read_b128 v[67:70], v2 offset:720
	s_waitcnt vmcnt(53) lgkmcnt(1)
	v_mul_f64 v[103:104], v[65:66], v[109:110]
	s_waitcnt vmcnt(52)
	v_fma_f64 v[97:98], v[71:72], v[105:106], -v[97:98]
	v_mul_f64 v[91:92], v[63:64], v[109:110]
	v_fma_f64 v[93:94], v[73:74], v[105:106], v[93:94]
	ds_read_b128 v[71:74], v2 offset:736
	v_add_f64 v[79:80], v[79:80], v[101:102]
	v_add_f64 v[3:4], v[3:4], v[95:96]
	s_waitcnt vmcnt(51) lgkmcnt(1)
	v_mul_f64 v[101:102], v[69:70], v[111:112]
	v_mul_f64 v[95:96], v[67:68], v[111:112]
	s_waitcnt vmcnt(49)
	v_fma_f64 v[103:104], v[63:64], v[115:116], -v[103:104]
	v_fma_f64 v[91:92], v[65:66], v[115:116], v[91:92]
	s_waitcnt vmcnt(45) lgkmcnt(0)
	v_mul_f64 v[107:108], v[73:74], v[117:118]
	v_mul_f64 v[105:106], v[71:72], v[117:118]
	v_add_f64 v[79:80], v[79:80], v[97:98]
	v_add_f64 v[3:4], v[3:4], v[93:94]
	s_clause 0x3
	buffer_load_dword v93, off, s[0:3], 0 offset:96
	buffer_load_dword v94, off, s[0:3], 0 offset:100
	;; [unrolled: 1-line block ×4, first 2 shown]
	s_waitcnt vmcnt(48)
	v_fma_f64 v[101:102], v[67:68], v[113:114], -v[101:102]
	ds_read_b128 v[63:66], v2 offset:752
	v_fma_f64 v[95:96], v[69:70], v[113:114], v[95:96]
	ds_read_b128 v[67:70], v2 offset:768
	s_waitcnt vmcnt(45)
	v_fma_f64 v[107:108], v[71:72], v[123:124], -v[107:108]
	v_add_f64 v[79:80], v[79:80], v[103:104]
	v_add_f64 v[3:4], v[3:4], v[91:92]
	s_waitcnt lgkmcnt(1)
	v_mul_f64 v[103:104], v[65:66], v[119:120]
	v_mul_f64 v[91:92], v[63:64], v[119:120]
	v_add_f64 v[79:80], v[79:80], v[101:102]
	v_fma_f64 v[101:102], v[73:74], v[123:124], v[105:106]
	v_add_f64 v[3:4], v[3:4], v[95:96]
	s_waitcnt vmcnt(41) lgkmcnt(0)
	v_mul_f64 v[105:106], v[69:70], v[125:126]
	s_waitcnt vmcnt(40)
	v_fma_f64 v[103:104], v[63:64], v[121:122], -v[103:104]
	ds_read_b128 v[71:74], v2 offset:784
	v_mul_f64 v[95:96], v[67:68], v[125:126]
	v_fma_f64 v[91:92], v[65:66], v[121:122], v[91:92]
	ds_read_b128 v[63:66], v2 offset:800
	v_add_f64 v[79:80], v[79:80], v[107:108]
	v_add_f64 v[3:4], v[3:4], v[101:102]
	s_waitcnt vmcnt(39) lgkmcnt(1)
	v_mul_f64 v[107:108], v[73:74], v[127:128]
	s_waitcnt vmcnt(37)
	v_fma_f64 v[105:106], v[67:68], v[131:132], -v[105:106]
	v_mul_f64 v[101:102], v[71:72], v[127:128]
	v_fma_f64 v[95:96], v[69:70], v[131:132], v[95:96]
	ds_read_b128 v[67:70], v2 offset:816
	v_add_f64 v[79:80], v[79:80], v[103:104]
	s_waitcnt vmcnt(33) lgkmcnt(1)
	v_mul_f64 v[103:104], v[65:66], v[135:136]
	v_add_f64 v[3:4], v[3:4], v[91:92]
	s_waitcnt vmcnt(32)
	v_fma_f64 v[107:108], v[71:72], v[129:130], -v[107:108]
	v_mul_f64 v[91:92], v[63:64], v[135:136]
	v_fma_f64 v[101:102], v[73:74], v[129:130], v[101:102]
	ds_read_b128 v[71:74], v2 offset:832
	v_add_f64 v[79:80], v[79:80], v[105:106]
	v_add_f64 v[3:4], v[3:4], v[95:96]
	s_waitcnt vmcnt(31) lgkmcnt(1)
	v_mul_f64 v[105:106], v[69:70], v[137:138]
	v_mul_f64 v[95:96], v[67:68], v[137:138]
	s_waitcnt vmcnt(29)
	v_fma_f64 v[103:104], v[63:64], v[77:78], -v[103:104]
	v_fma_f64 v[77:78], v[65:66], v[77:78], v[91:92]
	ds_read_b128 v[63:66], v2 offset:848
	s_waitcnt vmcnt(25) lgkmcnt(1)
	v_mul_f64 v[91:92], v[71:72], v[81:82]
	v_mul_f64 v[81:82], v[73:74], v[81:82]
	v_add_f64 v[79:80], v[79:80], v[107:108]
	v_add_f64 v[3:4], v[3:4], v[101:102]
	s_waitcnt vmcnt(24)
	v_fma_f64 v[101:102], v[67:68], v[139:140], -v[105:106]
	v_fma_f64 v[95:96], v[69:70], v[139:140], v[95:96]
	ds_read_b128 v[67:70], v2 offset:864
	v_add_f64 v[79:80], v[79:80], v[103:104]
	v_add_f64 v[3:4], v[3:4], v[77:78]
	s_waitcnt vmcnt(23) lgkmcnt(1)
	v_mul_f64 v[103:104], v[65:66], v[141:142]
	v_mul_f64 v[77:78], v[63:64], v[141:142]
	s_waitcnt vmcnt(21)
	v_fma_f64 v[81:82], v[71:72], v[75:76], -v[81:82]
	v_fma_f64 v[75:76], v[73:74], v[75:76], v[91:92]
	ds_read_b128 v[71:74], v2 offset:880
	v_add_f64 v[79:80], v[79:80], v[101:102]
	v_add_f64 v[3:4], v[3:4], v[95:96]
	s_waitcnt vmcnt(17) lgkmcnt(1)
	v_mul_f64 v[91:92], v[67:68], v[89:90]
	v_mul_f64 v[89:90], v[69:70], v[89:90]
	;; [unrolled: 9-line block ×4, first 2 shown]
	s_waitcnt vmcnt(8)
	v_fma_f64 v[71:72], v[71:72], v[148:149], -v[81:82]
	v_fma_f64 v[73:74], v[73:74], v[148:149], v[75:76]
	v_add_f64 v[79:80], v[79:80], v[89:90]
	v_add_f64 v[3:4], v[3:4], v[87:88]
	s_waitcnt vmcnt(7) lgkmcnt(0)
	v_mul_f64 v[81:82], v[69:70], v[99:100]
	v_mul_f64 v[75:76], v[67:68], v[99:100]
	s_waitcnt vmcnt(5)
	v_fma_f64 v[63:64], v[63:64], v[85:86], -v[83:84]
	v_fma_f64 v[65:66], v[65:66], v[85:86], v[77:78]
	v_add_f64 v[71:72], v[79:80], v[71:72]
	v_add_f64 v[3:4], v[3:4], v[73:74]
	s_waitcnt vmcnt(4)
	v_fma_f64 v[67:68], v[67:68], v[143:144], -v[81:82]
	v_fma_f64 v[69:70], v[69:70], v[143:144], v[75:76]
	v_add_f64 v[63:64], v[71:72], v[63:64]
	v_add_f64 v[3:4], v[3:4], v[65:66]
	;; [unrolled: 1-line block ×4, first 2 shown]
	s_waitcnt vmcnt(2)
	v_add_f64 v[63:64], v[93:94], -v[63:64]
	s_waitcnt vmcnt(0)
	v_add_f64 v[3:4], v[97:98], -v[3:4]
	buffer_store_dword v64, off, s[0:3], 0 offset:100
	buffer_store_dword v63, off, s[0:3], 0 offset:96
	;; [unrolled: 1-line block ×4, first 2 shown]
	v_cmpx_lt_u32_e32 4, v0
	s_cbranch_execz .LBB28_179
; %bb.178:
	v_mov_b32_e32 v3, s38
	s_clause 0x3
	buffer_load_dword v63, v3, s[0:3], 0 offen
	buffer_load_dword v64, v3, s[0:3], 0 offen offset:4
	buffer_load_dword v65, v3, s[0:3], 0 offen offset:8
	;; [unrolled: 1-line block ×3, first 2 shown]
	buffer_store_dword v2, off, s[0:3], 0 offset:80
	buffer_store_dword v2, off, s[0:3], 0 offset:84
	;; [unrolled: 1-line block ×4, first 2 shown]
	s_waitcnt vmcnt(0)
	ds_write_b128 v1, v[63:66]
.LBB28_179:
	s_or_b32 exec_lo, exec_lo, s4
	s_waitcnt lgkmcnt(0)
	s_waitcnt_vscnt null, 0x0
	s_barrier
	buffer_gl0_inv
	s_clause 0x37
	buffer_load_dword v3, off, s[0:3], 0 offset:104
	buffer_load_dword v4, off, s[0:3], 0 offset:108
	;; [unrolled: 1-line block ×56, first 2 shown]
	ds_read_b128 v[63:66], v2 offset:544
	s_clause 0x2
	buffer_load_dword v128, off, s[0:3], 0 offset:332
	buffer_load_dword v132, off, s[0:3], 0 offset:308
	;; [unrolled: 1-line block ×3, first 2 shown]
	ds_read_b128 v[67:70], v2 offset:560
	s_clause 0x4
	buffer_load_dword v136, off, s[0:3], 0 offset:348
	buffer_load_dword v137, off, s[0:3], 0 offset:360
	;; [unrolled: 1-line block ×5, first 2 shown]
	ds_read_b128 v[71:74], v2 offset:576
	s_mov_b32 s4, exec_lo
	s_waitcnt vmcnt(62) lgkmcnt(2)
	v_mul_f64 v[133:134], v[65:66], v[3:4]
	v_mul_f64 v[3:4], v[63:64], v[3:4]
	s_waitcnt vmcnt(60) lgkmcnt(1)
	v_mul_f64 v[140:141], v[69:70], v[75:76]
	v_mul_f64 v[75:76], v[67:68], v[75:76]
	;; [unrolled: 3-line block ×3, first 2 shown]
	v_fma_f64 v[133:134], v[63:64], v[77:78], -v[133:134]
	v_fma_f64 v[3:4], v[65:66], v[77:78], v[3:4]
	s_clause 0x2
	buffer_load_dword v138, off, s[0:3], 0 offset:364
	buffer_load_dword v78, off, s[0:3], 0 offset:340
	;; [unrolled: 1-line block ×3, first 2 shown]
	s_waitcnt vmcnt(57)
	v_fma_f64 v[144:145], v[67:68], v[81:82], -v[140:141]
	ds_read_b128 v[63:66], v2 offset:592
	v_fma_f64 v[75:76], v[69:70], v[81:82], v[75:76]
	s_clause 0x4
	buffer_load_dword v82, off, s[0:3], 0 offset:380
	buffer_load_dword v141, off, s[0:3], 0 offset:392
	;; [unrolled: 1-line block ×5, first 2 shown]
	s_waitcnt vmcnt(56)
	v_fma_f64 v[79:80], v[71:72], v[89:90], -v[79:80]
	ds_read_b128 v[67:70], v2 offset:608
	v_fma_f64 v[89:90], v[73:74], v[89:90], v[142:143]
	v_add_f64 v[133:134], v[133:134], 0
	v_add_f64 v[3:4], v[3:4], 0
	s_waitcnt lgkmcnt(1)
	v_mul_f64 v[147:148], v[63:64], v[83:84]
	v_mul_f64 v[83:84], v[65:66], v[83:84]
	v_add_f64 v[133:134], v[133:134], v[144:145]
	v_add_f64 v[3:4], v[3:4], v[75:76]
	s_clause 0x2
	buffer_load_dword v142, off, s[0:3], 0 offset:396
	buffer_load_dword v76, off, s[0:3], 0 offset:372
	;; [unrolled: 1-line block ×3, first 2 shown]
	s_waitcnt vmcnt(58) lgkmcnt(0)
	v_mul_f64 v[143:144], v[67:68], v[85:86]
	v_mul_f64 v[85:86], v[69:70], v[85:86]
	s_waitcnt vmcnt(56)
	v_fma_f64 v[83:84], v[63:64], v[91:92], -v[83:84]
	ds_read_b128 v[71:74], v2 offset:624
	v_fma_f64 v[91:92], v[65:66], v[91:92], v[147:148]
	v_add_f64 v[79:80], v[133:134], v[79:80]
	v_add_f64 v[3:4], v[3:4], v[89:90]
	s_clause 0x4
	buffer_load_dword v90, off, s[0:3], 0 offset:412
	buffer_load_dword v133, off, s[0:3], 0 offset:424
	;; [unrolled: 1-line block ×5, first 2 shown]
	ds_read_b128 v[63:66], v2 offset:640
	s_waitcnt vmcnt(57) lgkmcnt(1)
	v_mul_f64 v[149:150], v[71:72], v[93:94]
	v_mul_f64 v[93:94], v[73:74], v[93:94]
	s_waitcnt vmcnt(56)
	v_fma_f64 v[85:86], v[67:68], v[87:88], -v[85:86]
	v_add_f64 v[79:80], v[79:80], v[83:84]
	v_fma_f64 v[83:84], v[69:70], v[87:88], v[143:144]
	v_add_f64 v[3:4], v[3:4], v[91:92]
	s_clause 0x2
	buffer_load_dword v134, off, s[0:3], 0 offset:428
	buffer_load_dword v88, off, s[0:3], 0 offset:404
	;; [unrolled: 1-line block ×3, first 2 shown]
	s_waitcnt vmcnt(58) lgkmcnt(0)
	v_mul_f64 v[91:92], v[63:64], v[95:96]
	v_mul_f64 v[95:96], v[65:66], v[95:96]
	s_waitcnt vmcnt(56)
	v_fma_f64 v[93:94], v[71:72], v[99:100], -v[93:94]
	ds_read_b128 v[67:70], v2 offset:656
	v_add_f64 v[79:80], v[79:80], v[85:86]
	v_fma_f64 v[85:86], v[73:74], v[99:100], v[149:150]
	v_add_f64 v[3:4], v[3:4], v[83:84]
	s_clause 0x4
	buffer_load_dword v84, off, s[0:3], 0 offset:444
	buffer_load_dword v99, off, s[0:3], 0 offset:456
	;; [unrolled: 1-line block ×5, first 2 shown]
	ds_read_b128 v[71:74], v2 offset:672
	s_waitcnt vmcnt(57) lgkmcnt(1)
	v_mul_f64 v[144:145], v[67:68], v[101:102]
	v_mul_f64 v[101:102], v[69:70], v[101:102]
	s_waitcnt vmcnt(56)
	v_fma_f64 v[95:96], v[63:64], v[97:98], -v[95:96]
	v_fma_f64 v[91:92], v[65:66], v[97:98], v[91:92]
	v_add_f64 v[79:80], v[79:80], v[93:94]
	v_add_f64 v[3:4], v[3:4], v[85:86]
	s_clause 0x2
	buffer_load_dword v100, off, s[0:3], 0 offset:460
	buffer_load_dword v86, off, s[0:3], 0 offset:436
	;; [unrolled: 1-line block ×3, first 2 shown]
	s_waitcnt vmcnt(58) lgkmcnt(0)
	v_mul_f64 v[97:98], v[73:74], v[103:104]
	ds_read_b128 v[63:66], v2 offset:688
	s_waitcnt vmcnt(56)
	v_fma_f64 v[101:102], v[67:68], v[107:108], -v[101:102]
	v_mul_f64 v[93:94], v[71:72], v[103:104]
	v_add_f64 v[79:80], v[79:80], v[95:96]
	v_fma_f64 v[95:96], v[69:70], v[107:108], v[144:145]
	v_add_f64 v[3:4], v[3:4], v[91:92]
	s_clause 0x2
	buffer_load_dword v92, off, s[0:3], 0 offset:476
	buffer_load_dword v91, off, s[0:3], 0 offset:472
	;; [unrolled: 1-line block ×3, first 2 shown]
	s_waitcnt vmcnt(55) lgkmcnt(0)
	v_mul_f64 v[107:108], v[65:66], v[109:110]
	s_waitcnt vmcnt(54)
	v_fma_f64 v[97:98], v[71:72], v[105:106], -v[97:98]
	ds_read_b128 v[67:70], v2 offset:704
	v_mul_f64 v[103:104], v[63:64], v[109:110]
	v_fma_f64 v[93:94], v[73:74], v[105:106], v[93:94]
	v_add_f64 v[79:80], v[79:80], v[101:102]
	v_add_f64 v[3:4], v[3:4], v[95:96]
	s_clause 0x1
	buffer_load_dword v96, off, s[0:3], 0 offset:468
	buffer_load_dword v95, off, s[0:3], 0 offset:464
	s_waitcnt vmcnt(55) lgkmcnt(0)
	v_mul_f64 v[105:106], v[69:70], v[111:112]
	s_waitcnt vmcnt(53)
	v_fma_f64 v[107:108], v[63:64], v[115:116], -v[107:108]
	ds_read_b128 v[71:74], v2 offset:720
	v_mul_f64 v[101:102], v[67:68], v[111:112]
	v_add_f64 v[79:80], v[79:80], v[97:98]
	v_fma_f64 v[97:98], v[65:66], v[115:116], v[103:104]
	v_add_f64 v[3:4], v[3:4], v[93:94]
	ds_read_b128 v[63:66], v2 offset:736
	s_waitcnt vmcnt(49) lgkmcnt(1)
	v_mul_f64 v[103:104], v[73:74], v[117:118]
	s_waitcnt vmcnt(48)
	v_fma_f64 v[105:106], v[67:68], v[113:114], -v[105:106]
	v_mul_f64 v[93:94], v[71:72], v[117:118]
	v_fma_f64 v[101:102], v[69:70], v[113:114], v[101:102]
	v_add_f64 v[79:80], v[79:80], v[107:108]
	s_waitcnt vmcnt(47) lgkmcnt(0)
	v_mul_f64 v[111:112], v[65:66], v[119:120]
	v_add_f64 v[3:4], v[3:4], v[97:98]
	s_clause 0x3
	buffer_load_dword v97, off, s[0:3], 0 offset:80
	buffer_load_dword v98, off, s[0:3], 0 offset:84
	;; [unrolled: 1-line block ×4, first 2 shown]
	s_waitcnt vmcnt(49)
	v_fma_f64 v[103:104], v[71:72], v[123:124], -v[103:104]
	ds_read_b128 v[67:70], v2 offset:752
	v_mul_f64 v[109:110], v[63:64], v[119:120]
	v_fma_f64 v[93:94], v[73:74], v[123:124], v[93:94]
	ds_read_b128 v[71:74], v2 offset:768
	v_add_f64 v[79:80], v[79:80], v[105:106]
	s_waitcnt vmcnt(44)
	v_fma_f64 v[111:112], v[63:64], v[121:122], -v[111:112]
	v_add_f64 v[3:4], v[3:4], v[101:102]
	s_waitcnt lgkmcnt(1)
	v_mul_f64 v[105:106], v[69:70], v[125:126]
	v_mul_f64 v[101:102], v[67:68], v[125:126]
	v_add_f64 v[79:80], v[79:80], v[103:104]
	v_fma_f64 v[103:104], v[65:66], v[121:122], v[109:110]
	v_add_f64 v[3:4], v[3:4], v[93:94]
	s_waitcnt vmcnt(43) lgkmcnt(0)
	v_mul_f64 v[109:110], v[73:74], v[127:128]
	s_waitcnt vmcnt(41)
	v_fma_f64 v[105:106], v[67:68], v[131:132], -v[105:106]
	ds_read_b128 v[63:66], v2 offset:784
	v_mul_f64 v[93:94], v[71:72], v[127:128]
	v_fma_f64 v[101:102], v[69:70], v[131:132], v[101:102]
	ds_read_b128 v[67:70], v2 offset:800
	v_add_f64 v[79:80], v[79:80], v[111:112]
	v_add_f64 v[3:4], v[3:4], v[103:104]
	s_waitcnt vmcnt(37) lgkmcnt(1)
	v_mul_f64 v[111:112], v[65:66], v[135:136]
	s_waitcnt vmcnt(36)
	v_fma_f64 v[109:110], v[71:72], v[129:130], -v[109:110]
	v_mul_f64 v[103:104], v[63:64], v[135:136]
	v_fma_f64 v[93:94], v[73:74], v[129:130], v[93:94]
	ds_read_b128 v[71:74], v2 offset:816
	v_add_f64 v[79:80], v[79:80], v[105:106]
	v_add_f64 v[3:4], v[3:4], v[101:102]
	s_waitcnt vmcnt(35) lgkmcnt(1)
	v_mul_f64 v[105:106], v[69:70], v[137:138]
	v_mul_f64 v[101:102], v[67:68], v[137:138]
	s_waitcnt vmcnt(33)
	v_fma_f64 v[111:112], v[63:64], v[77:78], -v[111:112]
	v_fma_f64 v[77:78], v[65:66], v[77:78], v[103:104]
	ds_read_b128 v[63:66], v2 offset:832
	v_add_f64 v[79:80], v[79:80], v[109:110]
	v_add_f64 v[3:4], v[3:4], v[93:94]
	s_waitcnt vmcnt(29) lgkmcnt(1)
	v_mul_f64 v[93:94], v[71:72], v[81:82]
	v_mul_f64 v[81:82], v[73:74], v[81:82]
	s_waitcnt vmcnt(28)
	v_fma_f64 v[103:104], v[67:68], v[139:140], -v[105:106]
	;; [unrolled: 9-line block ×7, first 2 shown]
	v_fma_f64 v[65:66], v[65:66], v[85:86], v[77:78]
	v_add_f64 v[79:80], v[79:80], v[81:82]
	v_add_f64 v[2:3], v[3:4], v[75:76]
	s_waitcnt vmcnt(7) lgkmcnt(0)
	v_mul_f64 v[77:78], v[73:74], v[91:92]
	s_waitcnt vmcnt(6)
	v_fma_f64 v[67:68], v[67:68], v[143:144], -v[89:90]
	v_mul_f64 v[75:76], v[71:72], v[91:92]
	v_fma_f64 v[69:70], v[69:70], v[143:144], v[87:88]
	v_add_f64 v[63:64], v[79:80], v[63:64]
	v_add_f64 v[2:3], v[2:3], v[65:66]
	s_waitcnt vmcnt(4)
	v_fma_f64 v[65:66], v[71:72], v[95:96], -v[77:78]
	v_add_f64 v[63:64], v[63:64], v[67:68]
	v_fma_f64 v[67:68], v[73:74], v[95:96], v[75:76]
	v_add_f64 v[2:3], v[2:3], v[69:70]
	v_add_f64 v[63:64], v[63:64], v[65:66]
	;; [unrolled: 1-line block ×3, first 2 shown]
	s_waitcnt vmcnt(2)
	v_add_f64 v[63:64], v[97:98], -v[63:64]
	s_waitcnt vmcnt(0)
	v_add_f64 v[2:3], v[107:108], -v[2:3]
	buffer_store_dword v64, off, s[0:3], 0 offset:84
	buffer_store_dword v63, off, s[0:3], 0 offset:80
	;; [unrolled: 1-line block ×4, first 2 shown]
	v_cmpx_lt_u32_e32 3, v0
	s_cbranch_execz .LBB28_181
; %bb.180:
	v_mov_b32_e32 v2, s39
	s_clause 0x3
	buffer_load_dword v63, v2, s[0:3], 0 offen
	buffer_load_dword v64, v2, s[0:3], 0 offen offset:4
	buffer_load_dword v65, v2, s[0:3], 0 offen offset:8
	;; [unrolled: 1-line block ×3, first 2 shown]
	v_mov_b32_e32 v2, 0
	buffer_store_dword v2, off, s[0:3], 0 offset:64
	buffer_store_dword v2, off, s[0:3], 0 offset:68
	;; [unrolled: 1-line block ×4, first 2 shown]
	s_waitcnt vmcnt(0)
	ds_write_b128 v1, v[63:66]
.LBB28_181:
	s_or_b32 exec_lo, exec_lo, s4
	s_waitcnt lgkmcnt(0)
	s_waitcnt_vscnt null, 0x0
	s_barrier
	buffer_gl0_inv
	s_clause 0x37
	buffer_load_dword v3, off, s[0:3], 0 offset:88
	buffer_load_dword v4, off, s[0:3], 0 offset:92
	;; [unrolled: 1-line block ×56, first 2 shown]
	v_mov_b32_e32 v2, 0
	s_mov_b32 s4, exec_lo
	ds_read_b128 v[63:66], v2 offset:528
	s_clause 0x2
	buffer_load_dword v128, off, s[0:3], 0 offset:316
	buffer_load_dword v132, off, s[0:3], 0 offset:292
	;; [unrolled: 1-line block ×3, first 2 shown]
	ds_read_b128 v[67:70], v2 offset:544
	s_clause 0x4
	buffer_load_dword v136, off, s[0:3], 0 offset:332
	buffer_load_dword v137, off, s[0:3], 0 offset:344
	;; [unrolled: 1-line block ×5, first 2 shown]
	ds_read_b128 v[71:74], v2 offset:560
	s_waitcnt vmcnt(62) lgkmcnt(2)
	v_mul_f64 v[133:134], v[65:66], v[3:4]
	v_mul_f64 v[3:4], v[63:64], v[3:4]
	s_waitcnt vmcnt(60) lgkmcnt(1)
	v_mul_f64 v[140:141], v[69:70], v[75:76]
	v_mul_f64 v[75:76], v[67:68], v[75:76]
	;; [unrolled: 3-line block ×3, first 2 shown]
	v_fma_f64 v[133:134], v[63:64], v[77:78], -v[133:134]
	v_fma_f64 v[3:4], v[65:66], v[77:78], v[3:4]
	s_clause 0x2
	buffer_load_dword v138, off, s[0:3], 0 offset:348
	buffer_load_dword v78, off, s[0:3], 0 offset:324
	;; [unrolled: 1-line block ×3, first 2 shown]
	s_waitcnt vmcnt(57)
	v_fma_f64 v[144:145], v[67:68], v[81:82], -v[140:141]
	ds_read_b128 v[63:66], v2 offset:576
	v_fma_f64 v[75:76], v[69:70], v[81:82], v[75:76]
	s_clause 0x4
	buffer_load_dword v82, off, s[0:3], 0 offset:364
	buffer_load_dword v141, off, s[0:3], 0 offset:376
	;; [unrolled: 1-line block ×5, first 2 shown]
	s_waitcnt vmcnt(56)
	v_fma_f64 v[79:80], v[71:72], v[89:90], -v[79:80]
	ds_read_b128 v[67:70], v2 offset:592
	v_fma_f64 v[89:90], v[73:74], v[89:90], v[142:143]
	v_add_f64 v[133:134], v[133:134], 0
	v_add_f64 v[3:4], v[3:4], 0
	s_waitcnt lgkmcnt(1)
	v_mul_f64 v[147:148], v[63:64], v[83:84]
	v_mul_f64 v[83:84], v[65:66], v[83:84]
	v_add_f64 v[133:134], v[133:134], v[144:145]
	v_add_f64 v[3:4], v[3:4], v[75:76]
	s_clause 0x2
	buffer_load_dword v142, off, s[0:3], 0 offset:380
	buffer_load_dword v76, off, s[0:3], 0 offset:356
	;; [unrolled: 1-line block ×3, first 2 shown]
	s_waitcnt vmcnt(58) lgkmcnt(0)
	v_mul_f64 v[143:144], v[67:68], v[85:86]
	v_mul_f64 v[85:86], v[69:70], v[85:86]
	s_waitcnt vmcnt(56)
	v_fma_f64 v[83:84], v[63:64], v[91:92], -v[83:84]
	ds_read_b128 v[71:74], v2 offset:608
	v_fma_f64 v[91:92], v[65:66], v[91:92], v[147:148]
	v_add_f64 v[79:80], v[133:134], v[79:80]
	v_add_f64 v[3:4], v[3:4], v[89:90]
	s_clause 0x4
	buffer_load_dword v90, off, s[0:3], 0 offset:396
	buffer_load_dword v133, off, s[0:3], 0 offset:408
	;; [unrolled: 1-line block ×5, first 2 shown]
	ds_read_b128 v[63:66], v2 offset:624
	s_waitcnt vmcnt(57) lgkmcnt(1)
	v_mul_f64 v[149:150], v[71:72], v[93:94]
	v_mul_f64 v[93:94], v[73:74], v[93:94]
	s_waitcnt vmcnt(56)
	v_fma_f64 v[85:86], v[67:68], v[87:88], -v[85:86]
	v_add_f64 v[79:80], v[79:80], v[83:84]
	v_fma_f64 v[83:84], v[69:70], v[87:88], v[143:144]
	v_add_f64 v[3:4], v[3:4], v[91:92]
	s_clause 0x2
	buffer_load_dword v134, off, s[0:3], 0 offset:412
	buffer_load_dword v88, off, s[0:3], 0 offset:388
	;; [unrolled: 1-line block ×3, first 2 shown]
	s_waitcnt vmcnt(58) lgkmcnt(0)
	v_mul_f64 v[91:92], v[63:64], v[95:96]
	v_mul_f64 v[95:96], v[65:66], v[95:96]
	s_waitcnt vmcnt(56)
	v_fma_f64 v[93:94], v[71:72], v[99:100], -v[93:94]
	ds_read_b128 v[67:70], v2 offset:640
	v_add_f64 v[79:80], v[79:80], v[85:86]
	v_fma_f64 v[85:86], v[73:74], v[99:100], v[149:150]
	v_add_f64 v[3:4], v[3:4], v[83:84]
	s_clause 0x4
	buffer_load_dword v84, off, s[0:3], 0 offset:428
	buffer_load_dword v99, off, s[0:3], 0 offset:440
	;; [unrolled: 1-line block ×5, first 2 shown]
	ds_read_b128 v[71:74], v2 offset:656
	s_waitcnt vmcnt(57) lgkmcnt(1)
	v_mul_f64 v[144:145], v[67:68], v[101:102]
	v_mul_f64 v[101:102], v[69:70], v[101:102]
	s_waitcnt vmcnt(56)
	v_fma_f64 v[95:96], v[63:64], v[97:98], -v[95:96]
	v_fma_f64 v[91:92], v[65:66], v[97:98], v[91:92]
	v_add_f64 v[79:80], v[79:80], v[93:94]
	v_add_f64 v[3:4], v[3:4], v[85:86]
	s_clause 0x2
	buffer_load_dword v100, off, s[0:3], 0 offset:444
	buffer_load_dword v86, off, s[0:3], 0 offset:420
	;; [unrolled: 1-line block ×3, first 2 shown]
	s_waitcnt vmcnt(58) lgkmcnt(0)
	v_mul_f64 v[97:98], v[73:74], v[103:104]
	ds_read_b128 v[63:66], v2 offset:672
	s_waitcnt vmcnt(56)
	v_fma_f64 v[101:102], v[67:68], v[107:108], -v[101:102]
	v_mul_f64 v[93:94], v[71:72], v[103:104]
	v_add_f64 v[79:80], v[79:80], v[95:96]
	v_fma_f64 v[95:96], v[69:70], v[107:108], v[144:145]
	v_add_f64 v[3:4], v[3:4], v[91:92]
	s_clause 0x4
	buffer_load_dword v92, off, s[0:3], 0 offset:460
	buffer_load_dword v103, off, s[0:3], 0 offset:472
	;; [unrolled: 1-line block ×5, first 2 shown]
	s_waitcnt vmcnt(57) lgkmcnt(0)
	v_mul_f64 v[150:151], v[63:64], v[109:110]
	v_mul_f64 v[108:109], v[65:66], v[109:110]
	s_waitcnt vmcnt(56)
	v_fma_f64 v[97:98], v[71:72], v[105:106], -v[97:98]
	ds_read_b128 v[67:70], v2 offset:688
	v_fma_f64 v[93:94], v[73:74], v[105:106], v[93:94]
	v_add_f64 v[79:80], v[79:80], v[101:102]
	v_add_f64 v[3:4], v[3:4], v[95:96]
	s_clause 0x2
	buffer_load_dword v104, off, s[0:3], 0 offset:476
	buffer_load_dword v96, off, s[0:3], 0 offset:452
	;; [unrolled: 1-line block ×3, first 2 shown]
	ds_read_b128 v[71:74], v2 offset:704
	s_waitcnt vmcnt(58) lgkmcnt(1)
	v_mul_f64 v[105:106], v[69:70], v[111:112]
	s_waitcnt vmcnt(56)
	v_fma_f64 v[109:110], v[63:64], v[115:116], -v[108:109]
	v_mul_f64 v[101:102], v[67:68], v[111:112]
	buffer_load_dword v108, off, s[0:3], 0 offset:468
	v_add_f64 v[79:80], v[79:80], v[97:98]
	v_fma_f64 v[97:98], v[65:66], v[115:116], v[150:151]
	v_add_f64 v[3:4], v[3:4], v[93:94]
	ds_read_b128 v[63:66], v2 offset:720
	s_waitcnt vmcnt(53) lgkmcnt(1)
	v_mul_f64 v[111:112], v[73:74], v[117:118]
	s_waitcnt vmcnt(52)
	v_fma_f64 v[105:106], v[67:68], v[113:114], -v[105:106]
	v_mul_f64 v[93:94], v[71:72], v[117:118]
	v_fma_f64 v[101:102], v[69:70], v[113:114], v[101:102]
	ds_read_b128 v[67:70], v2 offset:736
	v_add_f64 v[79:80], v[79:80], v[109:110]
	s_waitcnt vmcnt(51) lgkmcnt(1)
	v_mul_f64 v[109:110], v[65:66], v[119:120]
	v_add_f64 v[3:4], v[3:4], v[97:98]
	v_mul_f64 v[97:98], v[63:64], v[119:120]
	s_waitcnt vmcnt(49)
	v_fma_f64 v[111:112], v[71:72], v[123:124], -v[111:112]
	v_fma_f64 v[93:94], v[73:74], v[123:124], v[93:94]
	s_waitcnt vmcnt(45) lgkmcnt(0)
	v_mul_f64 v[115:116], v[69:70], v[125:126]
	v_mul_f64 v[113:114], v[67:68], v[125:126]
	v_add_f64 v[79:80], v[79:80], v[105:106]
	s_waitcnt vmcnt(44)
	v_fma_f64 v[109:110], v[63:64], v[121:122], -v[109:110]
	v_add_f64 v[3:4], v[3:4], v[101:102]
	s_clause 0x3
	buffer_load_dword v101, off, s[0:3], 0 offset:64
	buffer_load_dword v102, off, s[0:3], 0 offset:68
	;; [unrolled: 1-line block ×4, first 2 shown]
	ds_read_b128 v[71:74], v2 offset:752
	v_fma_f64 v[97:98], v[65:66], v[121:122], v[97:98]
	ds_read_b128 v[63:66], v2 offset:768
	s_waitcnt vmcnt(45)
	v_fma_f64 v[115:116], v[67:68], v[131:132], -v[115:116]
	v_add_f64 v[79:80], v[79:80], v[111:112]
	v_add_f64 v[3:4], v[3:4], v[93:94]
	s_waitcnt lgkmcnt(1)
	v_mul_f64 v[111:112], v[73:74], v[127:128]
	v_mul_f64 v[93:94], v[71:72], v[127:128]
	v_add_f64 v[79:80], v[79:80], v[109:110]
	v_fma_f64 v[109:110], v[69:70], v[131:132], v[113:114]
	v_add_f64 v[3:4], v[3:4], v[97:98]
	s_waitcnt vmcnt(41) lgkmcnt(0)
	v_mul_f64 v[113:114], v[65:66], v[135:136]
	s_waitcnt vmcnt(40)
	v_fma_f64 v[111:112], v[71:72], v[129:130], -v[111:112]
	ds_read_b128 v[67:70], v2 offset:784
	v_mul_f64 v[97:98], v[63:64], v[135:136]
	v_fma_f64 v[93:94], v[73:74], v[129:130], v[93:94]
	ds_read_b128 v[71:74], v2 offset:800
	v_add_f64 v[79:80], v[79:80], v[115:116]
	v_add_f64 v[3:4], v[3:4], v[109:110]
	s_waitcnt vmcnt(39) lgkmcnt(1)
	v_mul_f64 v[115:116], v[69:70], v[137:138]
	v_mul_f64 v[109:110], v[67:68], v[137:138]
	s_waitcnt vmcnt(37)
	v_fma_f64 v[113:114], v[63:64], v[77:78], -v[113:114]
	v_fma_f64 v[77:78], v[65:66], v[77:78], v[97:98]
	ds_read_b128 v[63:66], v2 offset:816
	v_add_f64 v[79:80], v[79:80], v[111:112]
	v_add_f64 v[3:4], v[3:4], v[93:94]
	s_waitcnt vmcnt(33) lgkmcnt(1)
	v_mul_f64 v[93:94], v[71:72], v[81:82]
	v_mul_f64 v[81:82], v[73:74], v[81:82]
	s_waitcnt vmcnt(32)
	v_fma_f64 v[97:98], v[67:68], v[139:140], -v[115:116]
	;; [unrolled: 9-line block ×7, first 2 shown]
	v_fma_f64 v[77:78], v[65:66], v[85:86], v[77:78]
	ds_read_b128 v[63:66], v2 offset:912
	v_add_f64 v[79:80], v[79:80], v[81:82]
	v_add_f64 v[3:4], v[3:4], v[75:76]
	s_waitcnt vmcnt(9) lgkmcnt(1)
	v_mul_f64 v[81:82], v[73:74], v[91:92]
	s_waitcnt vmcnt(8)
	v_fma_f64 v[67:68], v[67:68], v[143:144], -v[89:90]
	v_mul_f64 v[75:76], v[71:72], v[91:92]
	v_fma_f64 v[69:70], v[69:70], v[143:144], v[87:88]
	v_add_f64 v[79:80], v[79:80], v[83:84]
	v_add_f64 v[3:4], v[3:4], v[77:78]
	s_waitcnt vmcnt(7) lgkmcnt(0)
	v_mul_f64 v[83:84], v[65:66], v[103:104]
	v_mul_f64 v[77:78], v[63:64], v[103:104]
	s_waitcnt vmcnt(5)
	v_fma_f64 v[71:72], v[71:72], v[95:96], -v[81:82]
	v_fma_f64 v[73:74], v[73:74], v[95:96], v[75:76]
	v_add_f64 v[67:68], v[79:80], v[67:68]
	v_add_f64 v[3:4], v[3:4], v[69:70]
	s_waitcnt vmcnt(4)
	v_fma_f64 v[63:64], v[63:64], v[107:108], -v[83:84]
	v_fma_f64 v[65:66], v[65:66], v[107:108], v[77:78]
	v_add_f64 v[67:68], v[67:68], v[71:72]
	v_add_f64 v[3:4], v[3:4], v[73:74]
	;; [unrolled: 1-line block ×4, first 2 shown]
	s_waitcnt vmcnt(2)
	v_add_f64 v[63:64], v[101:102], -v[63:64]
	s_waitcnt vmcnt(0)
	v_add_f64 v[3:4], v[105:106], -v[3:4]
	buffer_store_dword v64, off, s[0:3], 0 offset:68
	buffer_store_dword v63, off, s[0:3], 0 offset:64
	;; [unrolled: 1-line block ×4, first 2 shown]
	v_cmpx_lt_u32_e32 2, v0
	s_cbranch_execz .LBB28_183
; %bb.182:
	v_mov_b32_e32 v3, s40
	s_clause 0x3
	buffer_load_dword v63, v3, s[0:3], 0 offen
	buffer_load_dword v64, v3, s[0:3], 0 offen offset:4
	buffer_load_dword v65, v3, s[0:3], 0 offen offset:8
	;; [unrolled: 1-line block ×3, first 2 shown]
	buffer_store_dword v2, off, s[0:3], 0 offset:48
	buffer_store_dword v2, off, s[0:3], 0 offset:52
	;; [unrolled: 1-line block ×4, first 2 shown]
	s_waitcnt vmcnt(0)
	ds_write_b128 v1, v[63:66]
.LBB28_183:
	s_or_b32 exec_lo, exec_lo, s4
	s_waitcnt lgkmcnt(0)
	s_waitcnt_vscnt null, 0x0
	s_barrier
	buffer_gl0_inv
	s_clause 0x37
	buffer_load_dword v3, off, s[0:3], 0 offset:72
	buffer_load_dword v4, off, s[0:3], 0 offset:76
	;; [unrolled: 1-line block ×56, first 2 shown]
	ds_read_b128 v[63:66], v2 offset:512
	s_clause 0x2
	buffer_load_dword v128, off, s[0:3], 0 offset:300
	buffer_load_dword v132, off, s[0:3], 0 offset:276
	;; [unrolled: 1-line block ×3, first 2 shown]
	ds_read_b128 v[67:70], v2 offset:528
	s_clause 0x4
	buffer_load_dword v136, off, s[0:3], 0 offset:316
	buffer_load_dword v137, off, s[0:3], 0 offset:328
	;; [unrolled: 1-line block ×5, first 2 shown]
	ds_read_b128 v[71:74], v2 offset:544
	s_mov_b32 s4, exec_lo
	s_waitcnt vmcnt(62) lgkmcnt(2)
	v_mul_f64 v[133:134], v[65:66], v[3:4]
	v_mul_f64 v[3:4], v[63:64], v[3:4]
	s_waitcnt vmcnt(60) lgkmcnt(1)
	v_mul_f64 v[140:141], v[69:70], v[75:76]
	v_mul_f64 v[75:76], v[67:68], v[75:76]
	;; [unrolled: 3-line block ×3, first 2 shown]
	v_fma_f64 v[133:134], v[63:64], v[77:78], -v[133:134]
	v_fma_f64 v[3:4], v[65:66], v[77:78], v[3:4]
	s_clause 0x2
	buffer_load_dword v138, off, s[0:3], 0 offset:332
	buffer_load_dword v78, off, s[0:3], 0 offset:308
	;; [unrolled: 1-line block ×3, first 2 shown]
	s_waitcnt vmcnt(57)
	v_fma_f64 v[144:145], v[67:68], v[81:82], -v[140:141]
	ds_read_b128 v[63:66], v2 offset:560
	v_fma_f64 v[75:76], v[69:70], v[81:82], v[75:76]
	s_clause 0x4
	buffer_load_dword v82, off, s[0:3], 0 offset:348
	buffer_load_dword v141, off, s[0:3], 0 offset:360
	;; [unrolled: 1-line block ×5, first 2 shown]
	s_waitcnt vmcnt(56)
	v_fma_f64 v[79:80], v[71:72], v[89:90], -v[79:80]
	ds_read_b128 v[67:70], v2 offset:576
	v_fma_f64 v[89:90], v[73:74], v[89:90], v[142:143]
	v_add_f64 v[133:134], v[133:134], 0
	v_add_f64 v[3:4], v[3:4], 0
	s_waitcnt lgkmcnt(1)
	v_mul_f64 v[147:148], v[63:64], v[83:84]
	v_mul_f64 v[83:84], v[65:66], v[83:84]
	v_add_f64 v[133:134], v[133:134], v[144:145]
	v_add_f64 v[3:4], v[3:4], v[75:76]
	s_clause 0x2
	buffer_load_dword v142, off, s[0:3], 0 offset:364
	buffer_load_dword v76, off, s[0:3], 0 offset:340
	;; [unrolled: 1-line block ×3, first 2 shown]
	s_waitcnt vmcnt(58) lgkmcnt(0)
	v_mul_f64 v[143:144], v[67:68], v[85:86]
	v_mul_f64 v[85:86], v[69:70], v[85:86]
	s_waitcnt vmcnt(56)
	v_fma_f64 v[83:84], v[63:64], v[91:92], -v[83:84]
	ds_read_b128 v[71:74], v2 offset:592
	v_fma_f64 v[91:92], v[65:66], v[91:92], v[147:148]
	v_add_f64 v[79:80], v[133:134], v[79:80]
	v_add_f64 v[3:4], v[3:4], v[89:90]
	s_clause 0x4
	buffer_load_dword v90, off, s[0:3], 0 offset:380
	buffer_load_dword v133, off, s[0:3], 0 offset:392
	;; [unrolled: 1-line block ×5, first 2 shown]
	ds_read_b128 v[63:66], v2 offset:608
	s_waitcnt vmcnt(57) lgkmcnt(1)
	v_mul_f64 v[149:150], v[71:72], v[93:94]
	v_mul_f64 v[93:94], v[73:74], v[93:94]
	s_waitcnt vmcnt(56)
	v_fma_f64 v[85:86], v[67:68], v[87:88], -v[85:86]
	v_add_f64 v[79:80], v[79:80], v[83:84]
	v_fma_f64 v[83:84], v[69:70], v[87:88], v[143:144]
	v_add_f64 v[3:4], v[3:4], v[91:92]
	s_clause 0x2
	buffer_load_dword v134, off, s[0:3], 0 offset:396
	buffer_load_dword v88, off, s[0:3], 0 offset:372
	;; [unrolled: 1-line block ×3, first 2 shown]
	s_waitcnt vmcnt(58) lgkmcnt(0)
	v_mul_f64 v[91:92], v[63:64], v[95:96]
	v_mul_f64 v[95:96], v[65:66], v[95:96]
	s_waitcnt vmcnt(56)
	v_fma_f64 v[93:94], v[71:72], v[99:100], -v[93:94]
	ds_read_b128 v[67:70], v2 offset:624
	v_add_f64 v[79:80], v[79:80], v[85:86]
	v_fma_f64 v[85:86], v[73:74], v[99:100], v[149:150]
	v_add_f64 v[3:4], v[3:4], v[83:84]
	s_clause 0x4
	buffer_load_dword v84, off, s[0:3], 0 offset:412
	buffer_load_dword v99, off, s[0:3], 0 offset:424
	;; [unrolled: 1-line block ×5, first 2 shown]
	ds_read_b128 v[71:74], v2 offset:640
	s_waitcnt vmcnt(57) lgkmcnt(1)
	v_mul_f64 v[144:145], v[67:68], v[101:102]
	v_mul_f64 v[101:102], v[69:70], v[101:102]
	s_waitcnt vmcnt(56)
	v_fma_f64 v[95:96], v[63:64], v[97:98], -v[95:96]
	v_fma_f64 v[91:92], v[65:66], v[97:98], v[91:92]
	v_add_f64 v[79:80], v[79:80], v[93:94]
	v_add_f64 v[3:4], v[3:4], v[85:86]
	s_clause 0x2
	buffer_load_dword v100, off, s[0:3], 0 offset:428
	buffer_load_dword v86, off, s[0:3], 0 offset:404
	;; [unrolled: 1-line block ×3, first 2 shown]
	s_waitcnt vmcnt(58) lgkmcnt(0)
	v_mul_f64 v[97:98], v[73:74], v[103:104]
	ds_read_b128 v[63:66], v2 offset:656
	s_waitcnt vmcnt(56)
	v_fma_f64 v[101:102], v[67:68], v[107:108], -v[101:102]
	v_mul_f64 v[93:94], v[71:72], v[103:104]
	v_add_f64 v[79:80], v[79:80], v[95:96]
	v_fma_f64 v[95:96], v[69:70], v[107:108], v[144:145]
	v_add_f64 v[3:4], v[3:4], v[91:92]
	s_clause 0x4
	buffer_load_dword v92, off, s[0:3], 0 offset:444
	buffer_load_dword v103, off, s[0:3], 0 offset:456
	;; [unrolled: 1-line block ×5, first 2 shown]
	s_waitcnt vmcnt(57) lgkmcnt(0)
	v_mul_f64 v[150:151], v[63:64], v[109:110]
	v_mul_f64 v[108:109], v[65:66], v[109:110]
	s_waitcnt vmcnt(56)
	v_fma_f64 v[97:98], v[71:72], v[105:106], -v[97:98]
	ds_read_b128 v[67:70], v2 offset:672
	v_fma_f64 v[93:94], v[73:74], v[105:106], v[93:94]
	v_add_f64 v[79:80], v[79:80], v[101:102]
	v_add_f64 v[3:4], v[3:4], v[95:96]
	s_clause 0x2
	buffer_load_dword v104, off, s[0:3], 0 offset:460
	buffer_load_dword v96, off, s[0:3], 0 offset:436
	;; [unrolled: 1-line block ×3, first 2 shown]
	ds_read_b128 v[71:74], v2 offset:688
	s_waitcnt vmcnt(58) lgkmcnt(1)
	v_mul_f64 v[105:106], v[69:70], v[111:112]
	s_waitcnt vmcnt(56)
	v_fma_f64 v[109:110], v[63:64], v[115:116], -v[108:109]
	v_mul_f64 v[101:102], v[67:68], v[111:112]
	v_add_f64 v[79:80], v[79:80], v[97:98]
	v_fma_f64 v[97:98], v[65:66], v[115:116], v[150:151]
	v_add_f64 v[3:4], v[3:4], v[93:94]
	s_clause 0x2
	buffer_load_dword v94, off, s[0:3], 0 offset:476
	buffer_load_dword v93, off, s[0:3], 0 offset:472
	;; [unrolled: 1-line block ×3, first 2 shown]
	s_waitcnt vmcnt(55) lgkmcnt(0)
	v_mul_f64 v[115:116], v[73:74], v[117:118]
	s_waitcnt vmcnt(54)
	v_fma_f64 v[105:106], v[67:68], v[113:114], -v[105:106]
	ds_read_b128 v[63:66], v2 offset:704
	v_mul_f64 v[111:112], v[71:72], v[117:118]
	v_fma_f64 v[101:102], v[69:70], v[113:114], v[101:102]
	v_add_f64 v[79:80], v[79:80], v[109:110]
	v_add_f64 v[3:4], v[3:4], v[97:98]
	s_clause 0x1
	buffer_load_dword v98, off, s[0:3], 0 offset:468
	buffer_load_dword v97, off, s[0:3], 0 offset:464
	s_waitcnt vmcnt(55) lgkmcnt(0)
	v_mul_f64 v[113:114], v[65:66], v[119:120]
	s_waitcnt vmcnt(53)
	v_fma_f64 v[115:116], v[71:72], v[123:124], -v[115:116]
	ds_read_b128 v[67:70], v2 offset:720
	v_mul_f64 v[109:110], v[63:64], v[119:120]
	v_add_f64 v[79:80], v[79:80], v[105:106]
	v_fma_f64 v[105:106], v[73:74], v[123:124], v[111:112]
	v_add_f64 v[3:4], v[3:4], v[101:102]
	ds_read_b128 v[71:74], v2 offset:736
	s_waitcnt vmcnt(49) lgkmcnt(1)
	v_mul_f64 v[111:112], v[69:70], v[125:126]
	s_waitcnt vmcnt(48)
	v_fma_f64 v[113:114], v[63:64], v[121:122], -v[113:114]
	v_mul_f64 v[101:102], v[67:68], v[125:126]
	v_fma_f64 v[109:110], v[65:66], v[121:122], v[109:110]
	v_add_f64 v[79:80], v[79:80], v[115:116]
	s_waitcnt vmcnt(47) lgkmcnt(0)
	v_mul_f64 v[119:120], v[73:74], v[127:128]
	v_add_f64 v[3:4], v[3:4], v[105:106]
	s_clause 0x3
	buffer_load_dword v105, off, s[0:3], 0 offset:48
	buffer_load_dword v106, off, s[0:3], 0 offset:52
	;; [unrolled: 1-line block ×4, first 2 shown]
	s_waitcnt vmcnt(49)
	v_fma_f64 v[111:112], v[67:68], v[131:132], -v[111:112]
	ds_read_b128 v[63:66], v2 offset:752
	v_mul_f64 v[117:118], v[71:72], v[127:128]
	v_fma_f64 v[101:102], v[69:70], v[131:132], v[101:102]
	ds_read_b128 v[67:70], v2 offset:768
	v_add_f64 v[79:80], v[79:80], v[113:114]
	s_waitcnt vmcnt(44)
	v_fma_f64 v[119:120], v[71:72], v[129:130], -v[119:120]
	v_add_f64 v[3:4], v[3:4], v[109:110]
	s_waitcnt lgkmcnt(1)
	v_mul_f64 v[113:114], v[65:66], v[135:136]
	v_mul_f64 v[109:110], v[63:64], v[135:136]
	v_add_f64 v[79:80], v[79:80], v[111:112]
	v_fma_f64 v[111:112], v[73:74], v[129:130], v[117:118]
	v_add_f64 v[3:4], v[3:4], v[101:102]
	ds_read_b128 v[71:74], v2 offset:784
	s_waitcnt vmcnt(43) lgkmcnt(1)
	v_mul_f64 v[117:118], v[69:70], v[137:138]
	v_mul_f64 v[101:102], v[67:68], v[137:138]
	s_waitcnt vmcnt(41)
	v_fma_f64 v[113:114], v[63:64], v[77:78], -v[113:114]
	v_fma_f64 v[77:78], v[65:66], v[77:78], v[109:110]
	ds_read_b128 v[63:66], v2 offset:800
	v_add_f64 v[79:80], v[79:80], v[119:120]
	s_waitcnt vmcnt(37) lgkmcnt(1)
	v_mul_f64 v[109:110], v[71:72], v[81:82]
	v_add_f64 v[3:4], v[3:4], v[111:112]
	v_mul_f64 v[81:82], v[73:74], v[81:82]
	s_waitcnt vmcnt(36)
	v_fma_f64 v[111:112], v[67:68], v[139:140], -v[117:118]
	v_fma_f64 v[101:102], v[69:70], v[139:140], v[101:102]
	ds_read_b128 v[67:70], v2 offset:816
	v_add_f64 v[79:80], v[79:80], v[113:114]
	v_add_f64 v[3:4], v[3:4], v[77:78]
	s_waitcnt vmcnt(35) lgkmcnt(1)
	v_mul_f64 v[113:114], v[65:66], v[141:142]
	v_mul_f64 v[77:78], v[63:64], v[141:142]
	s_waitcnt vmcnt(33)
	v_fma_f64 v[81:82], v[71:72], v[75:76], -v[81:82]
	v_fma_f64 v[75:76], v[73:74], v[75:76], v[109:110]
	ds_read_b128 v[71:74], v2 offset:832
	v_add_f64 v[79:80], v[79:80], v[111:112]
	v_add_f64 v[3:4], v[3:4], v[101:102]
	s_waitcnt vmcnt(29) lgkmcnt(1)
	v_mul_f64 v[101:102], v[67:68], v[89:90]
	;; [unrolled: 9-line block ×6, first 2 shown]
	s_waitcnt vmcnt(12)
	v_fma_f64 v[85:86], v[67:68], v[143:144], -v[89:90]
	v_mul_f64 v[75:76], v[71:72], v[91:92]
	v_add_f64 v[79:80], v[79:80], v[83:84]
	v_fma_f64 v[83:84], v[69:70], v[143:144], v[87:88]
	v_add_f64 v[3:4], v[3:4], v[77:78]
	ds_read_b128 v[67:70], v2 offset:912
	s_waitcnt vmcnt(11) lgkmcnt(1)
	v_mul_f64 v[87:88], v[65:66], v[103:104]
	v_mul_f64 v[77:78], v[63:64], v[103:104]
	s_waitcnt vmcnt(9)
	v_fma_f64 v[71:72], v[71:72], v[95:96], -v[81:82]
	v_fma_f64 v[73:74], v[73:74], v[95:96], v[75:76]
	v_add_f64 v[79:80], v[79:80], v[85:86]
	v_add_f64 v[2:3], v[3:4], v[83:84]
	s_waitcnt vmcnt(7) lgkmcnt(0)
	v_mul_f64 v[81:82], v[69:70], v[93:94]
	s_waitcnt vmcnt(6)
	v_fma_f64 v[63:64], v[63:64], v[107:108], -v[87:88]
	v_mul_f64 v[75:76], v[67:68], v[93:94]
	v_fma_f64 v[65:66], v[65:66], v[107:108], v[77:78]
	v_add_f64 v[71:72], v[79:80], v[71:72]
	v_add_f64 v[2:3], v[2:3], v[73:74]
	s_waitcnt vmcnt(4)
	v_fma_f64 v[67:68], v[67:68], v[97:98], -v[81:82]
	v_fma_f64 v[69:70], v[69:70], v[97:98], v[75:76]
	v_add_f64 v[63:64], v[71:72], v[63:64]
	v_add_f64 v[2:3], v[2:3], v[65:66]
	;; [unrolled: 1-line block ×4, first 2 shown]
	s_waitcnt vmcnt(2)
	v_add_f64 v[63:64], v[105:106], -v[63:64]
	s_waitcnt vmcnt(0)
	v_add_f64 v[2:3], v[115:116], -v[2:3]
	buffer_store_dword v64, off, s[0:3], 0 offset:52
	buffer_store_dword v63, off, s[0:3], 0 offset:48
	;; [unrolled: 1-line block ×4, first 2 shown]
	v_cmpx_lt_u32_e32 1, v0
	s_cbranch_execz .LBB28_185
; %bb.184:
	v_mov_b32_e32 v2, s41
	s_clause 0x3
	buffer_load_dword v63, v2, s[0:3], 0 offen
	buffer_load_dword v64, v2, s[0:3], 0 offen offset:4
	buffer_load_dword v65, v2, s[0:3], 0 offen offset:8
	;; [unrolled: 1-line block ×3, first 2 shown]
	v_mov_b32_e32 v2, 0
	buffer_store_dword v2, off, s[0:3], 0 offset:32
	buffer_store_dword v2, off, s[0:3], 0 offset:36
	;; [unrolled: 1-line block ×4, first 2 shown]
	s_waitcnt vmcnt(0)
	ds_write_b128 v1, v[63:66]
.LBB28_185:
	s_or_b32 exec_lo, exec_lo, s4
	s_waitcnt lgkmcnt(0)
	s_waitcnt_vscnt null, 0x0
	s_barrier
	buffer_gl0_inv
	s_clause 0x37
	buffer_load_dword v3, off, s[0:3], 0 offset:56
	buffer_load_dword v4, off, s[0:3], 0 offset:60
	;; [unrolled: 1-line block ×56, first 2 shown]
	v_mov_b32_e32 v2, 0
	s_mov_b32 s4, exec_lo
	ds_read_b128 v[63:66], v2 offset:496
	s_clause 0x2
	buffer_load_dword v128, off, s[0:3], 0 offset:284
	buffer_load_dword v132, off, s[0:3], 0 offset:260
	buffer_load_dword v131, off, s[0:3], 0 offset:256
	ds_read_b128 v[67:70], v2 offset:512
	s_clause 0x4
	buffer_load_dword v136, off, s[0:3], 0 offset:300
	buffer_load_dword v137, off, s[0:3], 0 offset:312
	buffer_load_dword v139, off, s[0:3], 0 offset:304
	buffer_load_dword v135, off, s[0:3], 0 offset:296
	buffer_load_dword v130, off, s[0:3], 0 offset:276
	ds_read_b128 v[71:74], v2 offset:528
	s_waitcnt vmcnt(62) lgkmcnt(2)
	v_mul_f64 v[133:134], v[65:66], v[3:4]
	v_mul_f64 v[3:4], v[63:64], v[3:4]
	s_waitcnt vmcnt(60) lgkmcnt(1)
	v_mul_f64 v[140:141], v[69:70], v[75:76]
	v_mul_f64 v[75:76], v[67:68], v[75:76]
	;; [unrolled: 3-line block ×3, first 2 shown]
	v_fma_f64 v[133:134], v[63:64], v[77:78], -v[133:134]
	v_fma_f64 v[3:4], v[65:66], v[77:78], v[3:4]
	s_clause 0x2
	buffer_load_dword v138, off, s[0:3], 0 offset:316
	buffer_load_dword v78, off, s[0:3], 0 offset:292
	;; [unrolled: 1-line block ×3, first 2 shown]
	s_waitcnt vmcnt(57)
	v_fma_f64 v[144:145], v[67:68], v[81:82], -v[140:141]
	ds_read_b128 v[63:66], v2 offset:544
	v_fma_f64 v[75:76], v[69:70], v[81:82], v[75:76]
	s_clause 0x4
	buffer_load_dword v82, off, s[0:3], 0 offset:332
	buffer_load_dword v141, off, s[0:3], 0 offset:344
	;; [unrolled: 1-line block ×5, first 2 shown]
	s_waitcnt vmcnt(56)
	v_fma_f64 v[79:80], v[71:72], v[89:90], -v[79:80]
	ds_read_b128 v[67:70], v2 offset:560
	v_fma_f64 v[89:90], v[73:74], v[89:90], v[142:143]
	v_add_f64 v[133:134], v[133:134], 0
	v_add_f64 v[3:4], v[3:4], 0
	s_waitcnt lgkmcnt(1)
	v_mul_f64 v[147:148], v[63:64], v[83:84]
	v_mul_f64 v[83:84], v[65:66], v[83:84]
	v_add_f64 v[133:134], v[133:134], v[144:145]
	v_add_f64 v[3:4], v[3:4], v[75:76]
	s_clause 0x2
	buffer_load_dword v142, off, s[0:3], 0 offset:348
	buffer_load_dword v76, off, s[0:3], 0 offset:324
	;; [unrolled: 1-line block ×3, first 2 shown]
	s_waitcnt vmcnt(58) lgkmcnt(0)
	v_mul_f64 v[143:144], v[67:68], v[85:86]
	v_mul_f64 v[85:86], v[69:70], v[85:86]
	s_waitcnt vmcnt(56)
	v_fma_f64 v[83:84], v[63:64], v[91:92], -v[83:84]
	ds_read_b128 v[71:74], v2 offset:576
	v_fma_f64 v[91:92], v[65:66], v[91:92], v[147:148]
	v_add_f64 v[79:80], v[133:134], v[79:80]
	v_add_f64 v[3:4], v[3:4], v[89:90]
	s_clause 0x4
	buffer_load_dword v90, off, s[0:3], 0 offset:364
	buffer_load_dword v133, off, s[0:3], 0 offset:376
	;; [unrolled: 1-line block ×5, first 2 shown]
	ds_read_b128 v[63:66], v2 offset:592
	s_waitcnt vmcnt(57) lgkmcnt(1)
	v_mul_f64 v[149:150], v[71:72], v[93:94]
	v_mul_f64 v[93:94], v[73:74], v[93:94]
	s_waitcnt vmcnt(56)
	v_fma_f64 v[85:86], v[67:68], v[87:88], -v[85:86]
	v_add_f64 v[79:80], v[79:80], v[83:84]
	v_fma_f64 v[83:84], v[69:70], v[87:88], v[143:144]
	v_add_f64 v[3:4], v[3:4], v[91:92]
	s_clause 0x2
	buffer_load_dword v134, off, s[0:3], 0 offset:380
	buffer_load_dword v88, off, s[0:3], 0 offset:356
	;; [unrolled: 1-line block ×3, first 2 shown]
	s_waitcnt vmcnt(58) lgkmcnt(0)
	v_mul_f64 v[91:92], v[63:64], v[95:96]
	v_mul_f64 v[95:96], v[65:66], v[95:96]
	s_waitcnt vmcnt(56)
	v_fma_f64 v[93:94], v[71:72], v[99:100], -v[93:94]
	ds_read_b128 v[67:70], v2 offset:608
	v_add_f64 v[79:80], v[79:80], v[85:86]
	v_fma_f64 v[85:86], v[73:74], v[99:100], v[149:150]
	v_add_f64 v[3:4], v[3:4], v[83:84]
	s_clause 0x4
	buffer_load_dword v84, off, s[0:3], 0 offset:396
	buffer_load_dword v99, off, s[0:3], 0 offset:408
	;; [unrolled: 1-line block ×5, first 2 shown]
	ds_read_b128 v[71:74], v2 offset:624
	s_waitcnt vmcnt(57) lgkmcnt(1)
	v_mul_f64 v[144:145], v[67:68], v[101:102]
	v_mul_f64 v[101:102], v[69:70], v[101:102]
	s_waitcnt vmcnt(56)
	v_fma_f64 v[95:96], v[63:64], v[97:98], -v[95:96]
	v_fma_f64 v[91:92], v[65:66], v[97:98], v[91:92]
	v_add_f64 v[79:80], v[79:80], v[93:94]
	v_add_f64 v[3:4], v[3:4], v[85:86]
	s_clause 0x2
	buffer_load_dword v100, off, s[0:3], 0 offset:412
	buffer_load_dword v86, off, s[0:3], 0 offset:388
	;; [unrolled: 1-line block ×3, first 2 shown]
	s_waitcnt vmcnt(58) lgkmcnt(0)
	v_mul_f64 v[97:98], v[73:74], v[103:104]
	ds_read_b128 v[63:66], v2 offset:640
	s_waitcnt vmcnt(56)
	v_fma_f64 v[101:102], v[67:68], v[107:108], -v[101:102]
	v_mul_f64 v[93:94], v[71:72], v[103:104]
	v_add_f64 v[79:80], v[79:80], v[95:96]
	v_fma_f64 v[95:96], v[69:70], v[107:108], v[144:145]
	v_add_f64 v[3:4], v[3:4], v[91:92]
	s_clause 0x4
	buffer_load_dword v92, off, s[0:3], 0 offset:428
	buffer_load_dword v103, off, s[0:3], 0 offset:440
	;; [unrolled: 1-line block ×5, first 2 shown]
	s_waitcnt vmcnt(57) lgkmcnt(0)
	v_mul_f64 v[150:151], v[63:64], v[109:110]
	v_mul_f64 v[108:109], v[65:66], v[109:110]
	s_waitcnt vmcnt(56)
	v_fma_f64 v[97:98], v[71:72], v[105:106], -v[97:98]
	ds_read_b128 v[67:70], v2 offset:656
	v_fma_f64 v[93:94], v[73:74], v[105:106], v[93:94]
	v_add_f64 v[79:80], v[79:80], v[101:102]
	v_add_f64 v[3:4], v[3:4], v[95:96]
	s_clause 0x2
	buffer_load_dword v104, off, s[0:3], 0 offset:444
	buffer_load_dword v96, off, s[0:3], 0 offset:420
	;; [unrolled: 1-line block ×3, first 2 shown]
	ds_read_b128 v[71:74], v2 offset:672
	s_waitcnt vmcnt(58) lgkmcnt(1)
	v_mul_f64 v[105:106], v[69:70], v[111:112]
	s_waitcnt vmcnt(56)
	v_fma_f64 v[109:110], v[63:64], v[115:116], -v[108:109]
	v_mul_f64 v[101:102], v[67:68], v[111:112]
	v_add_f64 v[79:80], v[79:80], v[97:98]
	v_fma_f64 v[97:98], v[65:66], v[115:116], v[150:151]
	v_add_f64 v[3:4], v[3:4], v[93:94]
	s_clause 0x4
	buffer_load_dword v94, off, s[0:3], 0 offset:460
	buffer_load_dword v111, off, s[0:3], 0 offset:472
	;; [unrolled: 1-line block ×5, first 2 shown]
	s_waitcnt vmcnt(57) lgkmcnt(0)
	v_mul_f64 v[150:151], v[71:72], v[117:118]
	v_mul_f64 v[116:117], v[73:74], v[117:118]
	s_waitcnt vmcnt(56)
	v_fma_f64 v[105:106], v[67:68], v[113:114], -v[105:106]
	ds_read_b128 v[63:66], v2 offset:688
	v_fma_f64 v[101:102], v[69:70], v[113:114], v[101:102]
	v_add_f64 v[79:80], v[79:80], v[109:110]
	v_add_f64 v[3:4], v[3:4], v[97:98]
	s_clause 0x2
	buffer_load_dword v112, off, s[0:3], 0 offset:476
	buffer_load_dword v98, off, s[0:3], 0 offset:452
	;; [unrolled: 1-line block ×3, first 2 shown]
	ds_read_b128 v[67:70], v2 offset:704
	s_waitcnt vmcnt(58) lgkmcnt(1)
	v_mul_f64 v[113:114], v[65:66], v[119:120]
	s_waitcnt vmcnt(56)
	v_fma_f64 v[117:118], v[71:72], v[123:124], -v[116:117]
	v_mul_f64 v[109:110], v[63:64], v[119:120]
	buffer_load_dword v116, off, s[0:3], 0 offset:468
	v_add_f64 v[79:80], v[79:80], v[105:106]
	v_fma_f64 v[105:106], v[73:74], v[123:124], v[150:151]
	v_add_f64 v[3:4], v[3:4], v[101:102]
	ds_read_b128 v[71:74], v2 offset:720
	s_waitcnt vmcnt(53) lgkmcnt(1)
	v_mul_f64 v[119:120], v[69:70], v[125:126]
	s_waitcnt vmcnt(52)
	v_fma_f64 v[113:114], v[63:64], v[121:122], -v[113:114]
	v_mul_f64 v[101:102], v[67:68], v[125:126]
	v_fma_f64 v[109:110], v[65:66], v[121:122], v[109:110]
	ds_read_b128 v[63:66], v2 offset:736
	v_add_f64 v[79:80], v[79:80], v[117:118]
	s_waitcnt vmcnt(51) lgkmcnt(1)
	v_mul_f64 v[117:118], v[73:74], v[127:128]
	v_add_f64 v[3:4], v[3:4], v[105:106]
	v_mul_f64 v[105:106], v[71:72], v[127:128]
	s_waitcnt vmcnt(49)
	v_fma_f64 v[119:120], v[67:68], v[131:132], -v[119:120]
	v_fma_f64 v[101:102], v[69:70], v[131:132], v[101:102]
	s_waitcnt vmcnt(45) lgkmcnt(0)
	v_mul_f64 v[123:124], v[65:66], v[135:136]
	v_mul_f64 v[121:122], v[63:64], v[135:136]
	v_add_f64 v[79:80], v[79:80], v[113:114]
	s_waitcnt vmcnt(44)
	v_fma_f64 v[117:118], v[71:72], v[129:130], -v[117:118]
	v_add_f64 v[3:4], v[3:4], v[109:110]
	s_clause 0x3
	buffer_load_dword v109, off, s[0:3], 0 offset:32
	buffer_load_dword v110, off, s[0:3], 0 offset:36
	;; [unrolled: 1-line block ×4, first 2 shown]
	ds_read_b128 v[67:70], v2 offset:752
	v_fma_f64 v[105:106], v[73:74], v[129:130], v[105:106]
	ds_read_b128 v[71:74], v2 offset:768
	v_add_f64 v[79:80], v[79:80], v[119:120]
	v_add_f64 v[3:4], v[3:4], v[101:102]
	s_waitcnt vmcnt(47) lgkmcnt(1)
	v_mul_f64 v[119:120], v[69:70], v[137:138]
	v_mul_f64 v[101:102], v[67:68], v[137:138]
	s_waitcnt vmcnt(45)
	v_fma_f64 v[123:124], v[63:64], v[77:78], -v[123:124]
	v_fma_f64 v[77:78], v[65:66], v[77:78], v[121:122]
	ds_read_b128 v[63:66], v2 offset:784
	v_add_f64 v[79:80], v[79:80], v[117:118]
	v_add_f64 v[3:4], v[3:4], v[105:106]
	s_waitcnt vmcnt(41) lgkmcnt(1)
	v_mul_f64 v[105:106], v[71:72], v[81:82]
	v_mul_f64 v[81:82], v[73:74], v[81:82]
	s_waitcnt vmcnt(40)
	v_fma_f64 v[117:118], v[67:68], v[139:140], -v[119:120]
	;; [unrolled: 9-line block ×7, first 2 shown]
	v_fma_f64 v[77:78], v[65:66], v[85:86], v[77:78]
	ds_read_b128 v[63:66], v2 offset:880
	v_add_f64 v[79:80], v[79:80], v[81:82]
	v_add_f64 v[3:4], v[3:4], v[75:76]
	s_waitcnt vmcnt(17) lgkmcnt(1)
	v_mul_f64 v[81:82], v[73:74], v[91:92]
	s_waitcnt vmcnt(16)
	v_fma_f64 v[85:86], v[67:68], v[143:144], -v[89:90]
	v_mul_f64 v[75:76], v[71:72], v[91:92]
	v_add_f64 v[79:80], v[79:80], v[83:84]
	v_fma_f64 v[83:84], v[69:70], v[143:144], v[87:88]
	v_add_f64 v[3:4], v[3:4], v[77:78]
	ds_read_b128 v[67:70], v2 offset:896
	s_waitcnt vmcnt(15) lgkmcnt(1)
	v_mul_f64 v[87:88], v[65:66], v[103:104]
	v_mul_f64 v[77:78], v[63:64], v[103:104]
	s_waitcnt vmcnt(13)
	v_fma_f64 v[81:82], v[71:72], v[95:96], -v[81:82]
	v_fma_f64 v[75:76], v[73:74], v[95:96], v[75:76]
	ds_read_b128 v[71:74], v2 offset:912
	v_add_f64 v[79:80], v[79:80], v[85:86]
	v_add_f64 v[3:4], v[3:4], v[83:84]
	s_waitcnt vmcnt(9) lgkmcnt(1)
	v_mul_f64 v[85:86], v[69:70], v[93:94]
	s_waitcnt vmcnt(8)
	v_fma_f64 v[63:64], v[63:64], v[107:108], -v[87:88]
	v_mul_f64 v[83:84], v[67:68], v[93:94]
	v_fma_f64 v[65:66], v[65:66], v[107:108], v[77:78]
	v_add_f64 v[79:80], v[79:80], v[81:82]
	v_add_f64 v[3:4], v[3:4], v[75:76]
	s_waitcnt vmcnt(7) lgkmcnt(0)
	v_mul_f64 v[77:78], v[73:74], v[111:112]
	v_mul_f64 v[75:76], v[71:72], v[111:112]
	s_waitcnt vmcnt(5)
	v_fma_f64 v[67:68], v[67:68], v[97:98], -v[85:86]
	v_fma_f64 v[69:70], v[69:70], v[97:98], v[83:84]
	v_add_f64 v[63:64], v[79:80], v[63:64]
	v_add_f64 v[3:4], v[3:4], v[65:66]
	s_waitcnt vmcnt(4)
	v_fma_f64 v[65:66], v[71:72], v[115:116], -v[77:78]
	v_add_f64 v[63:64], v[63:64], v[67:68]
	v_fma_f64 v[67:68], v[73:74], v[115:116], v[75:76]
	v_add_f64 v[3:4], v[3:4], v[69:70]
	v_add_f64 v[63:64], v[63:64], v[65:66]
	;; [unrolled: 1-line block ×3, first 2 shown]
	s_waitcnt vmcnt(2)
	v_add_f64 v[63:64], v[109:110], -v[63:64]
	s_waitcnt vmcnt(0)
	v_add_f64 v[3:4], v[113:114], -v[3:4]
	buffer_store_dword v64, off, s[0:3], 0 offset:36
	buffer_store_dword v63, off, s[0:3], 0 offset:32
	;; [unrolled: 1-line block ×4, first 2 shown]
	v_cmpx_ne_u32_e32 0, v0
	s_cbranch_execz .LBB28_187
; %bb.186:
	s_clause 0x3
	buffer_load_dword v63, off, s[0:3], 0 offset:16
	buffer_load_dword v64, off, s[0:3], 0 offset:20
	;; [unrolled: 1-line block ×4, first 2 shown]
	buffer_store_dword v2, off, s[0:3], 0 offset:16
	buffer_store_dword v2, off, s[0:3], 0 offset:20
	;; [unrolled: 1-line block ×4, first 2 shown]
	s_waitcnt vmcnt(0)
	ds_write_b128 v1, v[63:66]
.LBB28_187:
	s_or_b32 exec_lo, exec_lo, s4
	s_waitcnt lgkmcnt(0)
	s_waitcnt_vscnt null, 0x0
	s_barrier
	buffer_gl0_inv
	s_clause 0x37
	buffer_load_dword v0, off, s[0:3], 0 offset:40
	buffer_load_dword v1, off, s[0:3], 0 offset:44
	;; [unrolled: 1-line block ×56, first 2 shown]
	ds_read_b128 v[63:66], v2 offset:480
	s_clause 0x2
	buffer_load_dword v126, off, s[0:3], 0 offset:268
	buffer_load_dword v130, off, s[0:3], 0 offset:244
	;; [unrolled: 1-line block ×3, first 2 shown]
	ds_read_b128 v[67:70], v2 offset:496
	s_clause 0x4
	buffer_load_dword v134, off, s[0:3], 0 offset:284
	buffer_load_dword v135, off, s[0:3], 0 offset:296
	;; [unrolled: 1-line block ×5, first 2 shown]
	ds_read_b128 v[71:74], v2 offset:512
	s_and_b32 vcc_lo, exec_lo, s37
	s_waitcnt vmcnt(62) lgkmcnt(2)
	v_mul_f64 v[131:132], v[65:66], v[0:1]
	v_mul_f64 v[0:1], v[63:64], v[0:1]
	s_waitcnt vmcnt(60) lgkmcnt(1)
	v_mul_f64 v[138:139], v[69:70], v[3:4]
	v_mul_f64 v[3:4], v[67:68], v[3:4]
	;; [unrolled: 3-line block ×3, first 2 shown]
	v_fma_f64 v[131:132], v[63:64], v[75:76], -v[131:132]
	v_fma_f64 v[0:1], v[65:66], v[75:76], v[0:1]
	s_clause 0x2
	buffer_load_dword v136, off, s[0:3], 0 offset:300
	buffer_load_dword v76, off, s[0:3], 0 offset:276
	buffer_load_dword v75, off, s[0:3], 0 offset:272
	s_waitcnt vmcnt(57)
	v_fma_f64 v[142:143], v[67:68], v[79:80], -v[138:139]
	ds_read_b128 v[63:66], v2 offset:528
	v_fma_f64 v[3:4], v[69:70], v[79:80], v[3:4]
	s_clause 0x4
	buffer_load_dword v80, off, s[0:3], 0 offset:316
	buffer_load_dword v139, off, s[0:3], 0 offset:328
	;; [unrolled: 1-line block ×5, first 2 shown]
	s_waitcnt vmcnt(56)
	v_fma_f64 v[77:78], v[71:72], v[87:88], -v[77:78]
	ds_read_b128 v[67:70], v2 offset:544
	v_fma_f64 v[87:88], v[73:74], v[87:88], v[140:141]
	v_add_f64 v[131:132], v[131:132], 0
	v_add_f64 v[0:1], v[0:1], 0
	s_waitcnt lgkmcnt(1)
	v_mul_f64 v[145:146], v[63:64], v[81:82]
	v_mul_f64 v[81:82], v[65:66], v[81:82]
	v_add_f64 v[131:132], v[131:132], v[142:143]
	v_add_f64 v[0:1], v[0:1], v[3:4]
	s_clause 0x2
	buffer_load_dword v140, off, s[0:3], 0 offset:332
	buffer_load_dword v4, off, s[0:3], 0 offset:308
	;; [unrolled: 1-line block ×3, first 2 shown]
	s_waitcnt vmcnt(58) lgkmcnt(0)
	v_mul_f64 v[141:142], v[67:68], v[83:84]
	v_mul_f64 v[83:84], v[69:70], v[83:84]
	s_waitcnt vmcnt(56)
	v_fma_f64 v[81:82], v[63:64], v[89:90], -v[81:82]
	ds_read_b128 v[71:74], v2 offset:560
	v_fma_f64 v[89:90], v[65:66], v[89:90], v[145:146]
	v_add_f64 v[77:78], v[131:132], v[77:78]
	v_add_f64 v[0:1], v[0:1], v[87:88]
	s_clause 0x4
	buffer_load_dword v88, off, s[0:3], 0 offset:348
	buffer_load_dword v131, off, s[0:3], 0 offset:360
	;; [unrolled: 1-line block ×5, first 2 shown]
	ds_read_b128 v[63:66], v2 offset:576
	s_waitcnt vmcnt(57) lgkmcnt(1)
	v_mul_f64 v[147:148], v[71:72], v[91:92]
	v_mul_f64 v[91:92], v[73:74], v[91:92]
	s_waitcnt vmcnt(56)
	v_fma_f64 v[83:84], v[67:68], v[85:86], -v[83:84]
	v_add_f64 v[77:78], v[77:78], v[81:82]
	v_fma_f64 v[81:82], v[69:70], v[85:86], v[141:142]
	v_add_f64 v[0:1], v[0:1], v[89:90]
	s_clause 0x2
	buffer_load_dword v132, off, s[0:3], 0 offset:364
	buffer_load_dword v86, off, s[0:3], 0 offset:340
	;; [unrolled: 1-line block ×3, first 2 shown]
	s_waitcnt vmcnt(58) lgkmcnt(0)
	v_mul_f64 v[89:90], v[63:64], v[93:94]
	v_mul_f64 v[93:94], v[65:66], v[93:94]
	s_waitcnt vmcnt(56)
	v_fma_f64 v[91:92], v[71:72], v[97:98], -v[91:92]
	ds_read_b128 v[67:70], v2 offset:592
	v_add_f64 v[77:78], v[77:78], v[83:84]
	v_fma_f64 v[83:84], v[73:74], v[97:98], v[147:148]
	v_add_f64 v[0:1], v[0:1], v[81:82]
	s_clause 0x4
	buffer_load_dword v82, off, s[0:3], 0 offset:380
	buffer_load_dword v97, off, s[0:3], 0 offset:392
	;; [unrolled: 1-line block ×5, first 2 shown]
	ds_read_b128 v[71:74], v2 offset:608
	s_waitcnt vmcnt(57) lgkmcnt(1)
	v_mul_f64 v[142:143], v[67:68], v[99:100]
	v_mul_f64 v[99:100], v[69:70], v[99:100]
	s_waitcnt vmcnt(56)
	v_fma_f64 v[93:94], v[63:64], v[95:96], -v[93:94]
	v_fma_f64 v[89:90], v[65:66], v[95:96], v[89:90]
	v_add_f64 v[77:78], v[77:78], v[91:92]
	v_add_f64 v[0:1], v[0:1], v[83:84]
	s_clause 0x2
	buffer_load_dword v98, off, s[0:3], 0 offset:396
	buffer_load_dword v84, off, s[0:3], 0 offset:372
	;; [unrolled: 1-line block ×3, first 2 shown]
	s_waitcnt vmcnt(58) lgkmcnt(0)
	v_mul_f64 v[95:96], v[73:74], v[101:102]
	ds_read_b128 v[63:66], v2 offset:624
	s_waitcnt vmcnt(56)
	v_fma_f64 v[99:100], v[67:68], v[105:106], -v[99:100]
	v_mul_f64 v[91:92], v[71:72], v[101:102]
	v_add_f64 v[77:78], v[77:78], v[93:94]
	v_fma_f64 v[93:94], v[69:70], v[105:106], v[142:143]
	v_add_f64 v[0:1], v[0:1], v[89:90]
	s_clause 0x4
	buffer_load_dword v90, off, s[0:3], 0 offset:412
	buffer_load_dword v101, off, s[0:3], 0 offset:424
	;; [unrolled: 1-line block ×5, first 2 shown]
	s_waitcnt vmcnt(57) lgkmcnt(0)
	v_mul_f64 v[148:149], v[63:64], v[107:108]
	v_mul_f64 v[106:107], v[65:66], v[107:108]
	s_waitcnt vmcnt(56)
	v_fma_f64 v[95:96], v[71:72], v[103:104], -v[95:96]
	ds_read_b128 v[67:70], v2 offset:640
	v_fma_f64 v[91:92], v[73:74], v[103:104], v[91:92]
	v_add_f64 v[77:78], v[77:78], v[99:100]
	v_add_f64 v[0:1], v[0:1], v[93:94]
	s_clause 0x2
	buffer_load_dword v102, off, s[0:3], 0 offset:428
	buffer_load_dword v94, off, s[0:3], 0 offset:404
	;; [unrolled: 1-line block ×3, first 2 shown]
	ds_read_b128 v[71:74], v2 offset:656
	s_waitcnt vmcnt(58) lgkmcnt(1)
	v_mul_f64 v[103:104], v[69:70], v[109:110]
	s_waitcnt vmcnt(56)
	v_fma_f64 v[107:108], v[63:64], v[113:114], -v[106:107]
	v_mul_f64 v[99:100], v[67:68], v[109:110]
	v_add_f64 v[77:78], v[77:78], v[95:96]
	v_fma_f64 v[95:96], v[65:66], v[113:114], v[148:149]
	v_add_f64 v[0:1], v[0:1], v[91:92]
	s_clause 0x4
	buffer_load_dword v92, off, s[0:3], 0 offset:444
	buffer_load_dword v109, off, s[0:3], 0 offset:456
	;; [unrolled: 1-line block ×5, first 2 shown]
	s_waitcnt vmcnt(57) lgkmcnt(0)
	v_mul_f64 v[148:149], v[71:72], v[115:116]
	v_mul_f64 v[114:115], v[73:74], v[115:116]
	s_waitcnt vmcnt(56)
	v_fma_f64 v[103:104], v[67:68], v[111:112], -v[103:104]
	ds_read_b128 v[63:66], v2 offset:672
	v_fma_f64 v[99:100], v[69:70], v[111:112], v[99:100]
	v_add_f64 v[77:78], v[77:78], v[107:108]
	v_add_f64 v[0:1], v[0:1], v[95:96]
	s_clause 0x2
	buffer_load_dword v110, off, s[0:3], 0 offset:460
	buffer_load_dword v96, off, s[0:3], 0 offset:436
	;; [unrolled: 1-line block ×3, first 2 shown]
	ds_read_b128 v[67:70], v2 offset:688
	s_waitcnt vmcnt(58) lgkmcnt(1)
	v_mul_f64 v[111:112], v[65:66], v[117:118]
	s_waitcnt vmcnt(56)
	v_fma_f64 v[115:116], v[71:72], v[121:122], -v[114:115]
	v_mul_f64 v[107:108], v[63:64], v[117:118]
	v_add_f64 v[77:78], v[77:78], v[103:104]
	v_fma_f64 v[103:104], v[73:74], v[121:122], v[148:149]
	v_add_f64 v[0:1], v[0:1], v[99:100]
	s_clause 0x2
	buffer_load_dword v100, off, s[0:3], 0 offset:476
	buffer_load_dword v99, off, s[0:3], 0 offset:472
	;; [unrolled: 1-line block ×3, first 2 shown]
	s_waitcnt vmcnt(55) lgkmcnt(0)
	v_mul_f64 v[121:122], v[69:70], v[123:124]
	s_waitcnt vmcnt(54)
	v_fma_f64 v[111:112], v[63:64], v[119:120], -v[111:112]
	ds_read_b128 v[71:74], v2 offset:704
	v_mul_f64 v[117:118], v[67:68], v[123:124]
	v_fma_f64 v[107:108], v[65:66], v[119:120], v[107:108]
	v_add_f64 v[77:78], v[77:78], v[115:116]
	v_add_f64 v[0:1], v[0:1], v[103:104]
	s_clause 0x1
	buffer_load_dword v104, off, s[0:3], 0 offset:468
	buffer_load_dword v103, off, s[0:3], 0 offset:464
	s_waitcnt vmcnt(55) lgkmcnt(0)
	v_mul_f64 v[119:120], v[73:74], v[125:126]
	s_waitcnt vmcnt(53)
	v_fma_f64 v[121:122], v[67:68], v[129:130], -v[121:122]
	ds_read_b128 v[63:66], v2 offset:720
	v_mul_f64 v[115:116], v[71:72], v[125:126]
	v_add_f64 v[77:78], v[77:78], v[111:112]
	v_fma_f64 v[111:112], v[69:70], v[129:130], v[117:118]
	v_add_f64 v[0:1], v[0:1], v[107:108]
	ds_read_b128 v[67:70], v2 offset:736
	s_waitcnt vmcnt(49) lgkmcnt(1)
	v_mul_f64 v[117:118], v[65:66], v[133:134]
	s_waitcnt vmcnt(48)
	v_fma_f64 v[119:120], v[71:72], v[127:128], -v[119:120]
	v_mul_f64 v[107:108], v[63:64], v[133:134]
	v_fma_f64 v[115:116], v[73:74], v[127:128], v[115:116]
	v_add_f64 v[77:78], v[77:78], v[121:122]
	v_add_f64 v[0:1], v[0:1], v[111:112]
	s_clause 0x3
	buffer_load_dword v111, off, s[0:3], 0 offset:16
	buffer_load_dword v112, off, s[0:3], 0 offset:20
	;; [unrolled: 1-line block ×4, first 2 shown]
	ds_read_b128 v[71:74], v2 offset:752
	s_waitcnt vmcnt(51) lgkmcnt(1)
	v_mul_f64 v[125:126], v[69:70], v[135:136]
	v_mul_f64 v[123:124], v[67:68], v[135:136]
	s_waitcnt vmcnt(49)
	v_fma_f64 v[117:118], v[63:64], v[75:76], -v[117:118]
	v_fma_f64 v[75:76], v[65:66], v[75:76], v[107:108]
	ds_read_b128 v[63:66], v2 offset:768
	v_add_f64 v[77:78], v[77:78], v[119:120]
	v_add_f64 v[0:1], v[0:1], v[115:116]
	s_waitcnt vmcnt(45) lgkmcnt(1)
	v_mul_f64 v[107:108], v[71:72], v[79:80]
	v_mul_f64 v[79:80], v[73:74], v[79:80]
	s_waitcnt vmcnt(44)
	v_fma_f64 v[115:116], v[67:68], v[137:138], -v[125:126]
	v_add_f64 v[77:78], v[77:78], v[117:118]
	v_fma_f64 v[117:118], v[69:70], v[137:138], v[123:124]
	v_add_f64 v[0:1], v[0:1], v[75:76]
	ds_read_b128 v[67:70], v2 offset:784
	s_waitcnt vmcnt(43) lgkmcnt(1)
	v_mul_f64 v[119:120], v[65:66], v[139:140]
	v_mul_f64 v[75:76], v[63:64], v[139:140]
	s_waitcnt vmcnt(41)
	v_fma_f64 v[79:80], v[71:72], v[3:4], -v[79:80]
	v_fma_f64 v[3:4], v[73:74], v[3:4], v[107:108]
	ds_read_b128 v[71:74], v2 offset:800
	v_add_f64 v[77:78], v[77:78], v[115:116]
	v_add_f64 v[0:1], v[0:1], v[117:118]
	s_waitcnt vmcnt(37) lgkmcnt(1)
	v_mul_f64 v[107:108], v[67:68], v[87:88]
	v_mul_f64 v[87:88], v[69:70], v[87:88]
	s_waitcnt vmcnt(36)
	v_fma_f64 v[115:116], v[63:64], v[144:145], -v[119:120]
	v_fma_f64 v[75:76], v[65:66], v[144:145], v[75:76]
	ds_read_b128 v[63:66], v2 offset:816
	v_add_f64 v[77:78], v[77:78], v[79:80]
	v_add_f64 v[0:1], v[0:1], v[3:4]
	;; [unrolled: 9-line block ×5, first 2 shown]
	s_waitcnt vmcnt(21) lgkmcnt(1)
	v_mul_f64 v[79:80], v[73:74], v[89:90]
	s_waitcnt vmcnt(20)
	v_fma_f64 v[83:84], v[67:68], v[141:142], -v[87:88]
	v_mul_f64 v[3:4], v[71:72], v[89:90]
	v_add_f64 v[77:78], v[77:78], v[81:82]
	v_fma_f64 v[81:82], v[69:70], v[141:142], v[85:86]
	v_add_f64 v[0:1], v[0:1], v[75:76]
	ds_read_b128 v[67:70], v2 offset:880
	s_waitcnt vmcnt(19) lgkmcnt(1)
	v_mul_f64 v[85:86], v[65:66], v[101:102]
	v_mul_f64 v[75:76], v[63:64], v[101:102]
	s_waitcnt vmcnt(17)
	v_fma_f64 v[79:80], v[71:72], v[93:94], -v[79:80]
	v_fma_f64 v[3:4], v[73:74], v[93:94], v[3:4]
	ds_read_b128 v[71:74], v2 offset:896
	v_add_f64 v[77:78], v[77:78], v[83:84]
	v_add_f64 v[0:1], v[0:1], v[81:82]
	s_waitcnt vmcnt(13) lgkmcnt(1)
	v_mul_f64 v[83:84], v[69:70], v[91:92]
	s_waitcnt vmcnt(12)
	v_fma_f64 v[63:64], v[63:64], v[105:106], -v[85:86]
	v_mul_f64 v[81:82], v[67:68], v[91:92]
	v_fma_f64 v[65:66], v[65:66], v[105:106], v[75:76]
	v_add_f64 v[77:78], v[77:78], v[79:80]
	v_add_f64 v[75:76], v[0:1], v[3:4]
	ds_read_b128 v[0:3], v2 offset:912
	s_waitcnt vmcnt(11) lgkmcnt(1)
	v_mul_f64 v[85:86], v[73:74], v[109:110]
	v_mul_f64 v[79:80], v[71:72], v[109:110]
	s_waitcnt vmcnt(9)
	v_fma_f64 v[67:68], v[67:68], v[95:96], -v[83:84]
	v_fma_f64 v[69:70], v[69:70], v[95:96], v[81:82]
	v_add_f64 v[63:64], v[77:78], v[63:64]
	v_add_f64 v[65:66], v[75:76], v[65:66]
	s_waitcnt vmcnt(7) lgkmcnt(0)
	v_mul_f64 v[77:78], v[2:3], v[99:100]
	s_waitcnt vmcnt(6)
	v_fma_f64 v[71:72], v[71:72], v[113:114], -v[85:86]
	v_mul_f64 v[75:76], v[0:1], v[99:100]
	v_add_f64 v[63:64], v[63:64], v[67:68]
	v_fma_f64 v[67:68], v[73:74], v[113:114], v[79:80]
	v_add_f64 v[65:66], v[65:66], v[69:70]
	s_waitcnt vmcnt(4)
	v_fma_f64 v[0:1], v[0:1], v[103:104], -v[77:78]
	v_fma_f64 v[2:3], v[2:3], v[103:104], v[75:76]
	v_add_f64 v[63:64], v[63:64], v[71:72]
	v_add_f64 v[65:66], v[65:66], v[67:68]
	;; [unrolled: 1-line block ×4, first 2 shown]
	s_waitcnt vmcnt(2)
	v_add_f64 v[0:1], v[111:112], -v[0:1]
	s_waitcnt vmcnt(0)
	v_add_f64 v[2:3], v[121:122], -v[2:3]
	buffer_store_dword v1, off, s[0:3], 0 offset:20
	buffer_store_dword v0, off, s[0:3], 0 offset:16
	;; [unrolled: 1-line block ×4, first 2 shown]
	s_cbranch_vccz .LBB28_244
; %bb.188:
	v_mov_b32_e32 v0, 0
	global_load_dword v1, v0, s[20:21] offset:108
	s_waitcnt vmcnt(0)
	v_add_nc_u32_e32 v1, -1, v1
	v_cmp_ne_u32_e32 vcc_lo, 27, v1
	s_cbranch_vccz .LBB28_190
; %bb.189:
	v_lshlrev_b32_e32 v1, 4, v1
	v_mov_b32_e32 v2, s9
	v_add_nc_u32_e32 v1, 16, v1
	s_clause 0x7
	buffer_load_dword v3, v1, s[0:3], 0 offen
	buffer_load_dword v4, v1, s[0:3], 0 offen offset:4
	buffer_load_dword v63, v1, s[0:3], 0 offen offset:8
	;; [unrolled: 1-line block ×6, first 2 shown]
	buffer_load_dword v68, v2, s[0:3], 0 offen
	s_waitcnt vmcnt(7)
	buffer_store_dword v3, v2, s[0:3], 0 offen
	s_waitcnt vmcnt(6)
	buffer_store_dword v4, v2, s[0:3], 0 offen offset:4
	s_waitcnt vmcnt(5)
	buffer_store_dword v63, v2, s[0:3], 0 offen offset:8
	;; [unrolled: 2-line block ×6, first 2 shown]
	s_waitcnt vmcnt(0)
	buffer_store_dword v68, v1, s[0:3], 0 offen
.LBB28_190:
	global_load_dword v0, v0, s[20:21] offset:104
	s_waitcnt vmcnt(0)
	v_add_nc_u32_e32 v0, -1, v0
	v_cmp_eq_u32_e32 vcc_lo, 26, v0
	s_cbranch_vccnz .LBB28_192
; %bb.191:
	v_lshlrev_b32_e32 v0, 4, v0
	v_mov_b32_e32 v1, s12
	v_add_nc_u32_e32 v0, 16, v0
	s_clause 0x7
	buffer_load_dword v2, v0, s[0:3], 0 offen
	buffer_load_dword v3, v0, s[0:3], 0 offen offset:4
	buffer_load_dword v4, v0, s[0:3], 0 offen offset:8
	;; [unrolled: 1-line block ×6, first 2 shown]
	buffer_load_dword v67, v1, s[0:3], 0 offen
	s_waitcnt vmcnt(7)
	buffer_store_dword v2, v1, s[0:3], 0 offen
	s_waitcnt vmcnt(6)
	buffer_store_dword v3, v1, s[0:3], 0 offen offset:4
	s_waitcnt vmcnt(5)
	buffer_store_dword v4, v1, s[0:3], 0 offen offset:8
	s_waitcnt vmcnt(4)
	buffer_store_dword v63, v1, s[0:3], 0 offen offset:12
	s_waitcnt vmcnt(3)
	buffer_store_dword v64, v0, s[0:3], 0 offen offset:12
	s_waitcnt vmcnt(2)
	buffer_store_dword v65, v0, s[0:3], 0 offen offset:8
	s_waitcnt vmcnt(1)
	buffer_store_dword v66, v0, s[0:3], 0 offen offset:4
	s_waitcnt vmcnt(0)
	buffer_store_dword v67, v0, s[0:3], 0 offen
.LBB28_192:
	v_mov_b32_e32 v0, 0
	global_load_dword v1, v0, s[20:21] offset:100
	s_waitcnt vmcnt(0)
	v_add_nc_u32_e32 v1, -1, v1
	v_cmp_eq_u32_e32 vcc_lo, 25, v1
	s_cbranch_vccnz .LBB28_194
; %bb.193:
	v_lshlrev_b32_e32 v1, 4, v1
	v_mov_b32_e32 v2, s13
	v_add_nc_u32_e32 v1, 16, v1
	s_clause 0x7
	buffer_load_dword v3, v1, s[0:3], 0 offen
	buffer_load_dword v4, v1, s[0:3], 0 offen offset:4
	buffer_load_dword v63, v1, s[0:3], 0 offen offset:8
	;; [unrolled: 1-line block ×6, first 2 shown]
	buffer_load_dword v68, v2, s[0:3], 0 offen
	s_waitcnt vmcnt(7)
	buffer_store_dword v3, v2, s[0:3], 0 offen
	s_waitcnt vmcnt(6)
	buffer_store_dword v4, v2, s[0:3], 0 offen offset:4
	s_waitcnt vmcnt(5)
	buffer_store_dword v63, v2, s[0:3], 0 offen offset:8
	;; [unrolled: 2-line block ×6, first 2 shown]
	s_waitcnt vmcnt(0)
	buffer_store_dword v68, v1, s[0:3], 0 offen
.LBB28_194:
	global_load_dword v0, v0, s[20:21] offset:96
	s_waitcnt vmcnt(0)
	v_add_nc_u32_e32 v0, -1, v0
	v_cmp_eq_u32_e32 vcc_lo, 24, v0
	s_cbranch_vccnz .LBB28_196
; %bb.195:
	v_lshlrev_b32_e32 v0, 4, v0
	v_mov_b32_e32 v1, s14
	v_add_nc_u32_e32 v0, 16, v0
	s_clause 0x7
	buffer_load_dword v2, v0, s[0:3], 0 offen
	buffer_load_dword v3, v0, s[0:3], 0 offen offset:4
	buffer_load_dword v4, v0, s[0:3], 0 offen offset:8
	;; [unrolled: 1-line block ×6, first 2 shown]
	buffer_load_dword v67, v1, s[0:3], 0 offen
	s_waitcnt vmcnt(7)
	buffer_store_dword v2, v1, s[0:3], 0 offen
	s_waitcnt vmcnt(6)
	buffer_store_dword v3, v1, s[0:3], 0 offen offset:4
	s_waitcnt vmcnt(5)
	buffer_store_dword v4, v1, s[0:3], 0 offen offset:8
	;; [unrolled: 2-line block ×6, first 2 shown]
	s_waitcnt vmcnt(0)
	buffer_store_dword v67, v0, s[0:3], 0 offen
.LBB28_196:
	v_mov_b32_e32 v0, 0
	global_load_dword v1, v0, s[20:21] offset:92
	s_waitcnt vmcnt(0)
	v_add_nc_u32_e32 v1, -1, v1
	v_cmp_eq_u32_e32 vcc_lo, 23, v1
	s_cbranch_vccnz .LBB28_198
; %bb.197:
	v_lshlrev_b32_e32 v1, 4, v1
	v_mov_b32_e32 v2, s15
	v_add_nc_u32_e32 v1, 16, v1
	s_clause 0x7
	buffer_load_dword v3, v1, s[0:3], 0 offen
	buffer_load_dword v4, v1, s[0:3], 0 offen offset:4
	buffer_load_dword v63, v1, s[0:3], 0 offen offset:8
	;; [unrolled: 1-line block ×6, first 2 shown]
	buffer_load_dword v68, v2, s[0:3], 0 offen
	s_waitcnt vmcnt(7)
	buffer_store_dword v3, v2, s[0:3], 0 offen
	s_waitcnt vmcnt(6)
	buffer_store_dword v4, v2, s[0:3], 0 offen offset:4
	s_waitcnt vmcnt(5)
	buffer_store_dword v63, v2, s[0:3], 0 offen offset:8
	;; [unrolled: 2-line block ×6, first 2 shown]
	s_waitcnt vmcnt(0)
	buffer_store_dword v68, v1, s[0:3], 0 offen
.LBB28_198:
	global_load_dword v0, v0, s[20:21] offset:88
	s_waitcnt vmcnt(0)
	v_add_nc_u32_e32 v0, -1, v0
	v_cmp_eq_u32_e32 vcc_lo, 22, v0
	s_cbranch_vccnz .LBB28_200
; %bb.199:
	v_lshlrev_b32_e32 v0, 4, v0
	v_mov_b32_e32 v1, s16
	v_add_nc_u32_e32 v0, 16, v0
	s_clause 0x7
	buffer_load_dword v2, v0, s[0:3], 0 offen
	buffer_load_dword v3, v0, s[0:3], 0 offen offset:4
	buffer_load_dword v4, v0, s[0:3], 0 offen offset:8
	;; [unrolled: 1-line block ×6, first 2 shown]
	buffer_load_dword v67, v1, s[0:3], 0 offen
	s_waitcnt vmcnt(7)
	buffer_store_dword v2, v1, s[0:3], 0 offen
	s_waitcnt vmcnt(6)
	buffer_store_dword v3, v1, s[0:3], 0 offen offset:4
	s_waitcnt vmcnt(5)
	buffer_store_dword v4, v1, s[0:3], 0 offen offset:8
	;; [unrolled: 2-line block ×6, first 2 shown]
	s_waitcnt vmcnt(0)
	buffer_store_dword v67, v0, s[0:3], 0 offen
.LBB28_200:
	v_mov_b32_e32 v0, 0
	global_load_dword v1, v0, s[20:21] offset:84
	s_waitcnt vmcnt(0)
	v_add_nc_u32_e32 v1, -1, v1
	v_cmp_eq_u32_e32 vcc_lo, 21, v1
	s_cbranch_vccnz .LBB28_202
; %bb.201:
	v_lshlrev_b32_e32 v1, 4, v1
	v_mov_b32_e32 v2, s17
	v_add_nc_u32_e32 v1, 16, v1
	s_clause 0x7
	buffer_load_dword v3, v1, s[0:3], 0 offen
	buffer_load_dword v4, v1, s[0:3], 0 offen offset:4
	buffer_load_dword v63, v1, s[0:3], 0 offen offset:8
	;; [unrolled: 1-line block ×6, first 2 shown]
	buffer_load_dword v68, v2, s[0:3], 0 offen
	s_waitcnt vmcnt(7)
	buffer_store_dword v3, v2, s[0:3], 0 offen
	s_waitcnt vmcnt(6)
	buffer_store_dword v4, v2, s[0:3], 0 offen offset:4
	s_waitcnt vmcnt(5)
	buffer_store_dword v63, v2, s[0:3], 0 offen offset:8
	;; [unrolled: 2-line block ×6, first 2 shown]
	s_waitcnt vmcnt(0)
	buffer_store_dword v68, v1, s[0:3], 0 offen
.LBB28_202:
	global_load_dword v0, v0, s[20:21] offset:80
	s_waitcnt vmcnt(0)
	v_add_nc_u32_e32 v0, -1, v0
	v_cmp_eq_u32_e32 vcc_lo, 20, v0
	s_cbranch_vccnz .LBB28_204
; %bb.203:
	v_lshlrev_b32_e32 v0, 4, v0
	v_mov_b32_e32 v1, s18
	v_add_nc_u32_e32 v0, 16, v0
	s_clause 0x7
	buffer_load_dword v2, v0, s[0:3], 0 offen
	buffer_load_dword v3, v0, s[0:3], 0 offen offset:4
	buffer_load_dword v4, v0, s[0:3], 0 offen offset:8
	;; [unrolled: 1-line block ×6, first 2 shown]
	buffer_load_dword v67, v1, s[0:3], 0 offen
	s_waitcnt vmcnt(7)
	buffer_store_dword v2, v1, s[0:3], 0 offen
	s_waitcnt vmcnt(6)
	buffer_store_dword v3, v1, s[0:3], 0 offen offset:4
	s_waitcnt vmcnt(5)
	buffer_store_dword v4, v1, s[0:3], 0 offen offset:8
	;; [unrolled: 2-line block ×6, first 2 shown]
	s_waitcnt vmcnt(0)
	buffer_store_dword v67, v0, s[0:3], 0 offen
.LBB28_204:
	v_mov_b32_e32 v0, 0
	global_load_dword v1, v0, s[20:21] offset:76
	s_waitcnt vmcnt(0)
	v_add_nc_u32_e32 v1, -1, v1
	v_cmp_eq_u32_e32 vcc_lo, 19, v1
	s_cbranch_vccnz .LBB28_206
; %bb.205:
	v_lshlrev_b32_e32 v1, 4, v1
	v_mov_b32_e32 v2, s19
	v_add_nc_u32_e32 v1, 16, v1
	s_clause 0x7
	buffer_load_dword v3, v1, s[0:3], 0 offen
	buffer_load_dword v4, v1, s[0:3], 0 offen offset:4
	buffer_load_dword v63, v1, s[0:3], 0 offen offset:8
	;; [unrolled: 1-line block ×6, first 2 shown]
	buffer_load_dword v68, v2, s[0:3], 0 offen
	s_waitcnt vmcnt(7)
	buffer_store_dword v3, v2, s[0:3], 0 offen
	s_waitcnt vmcnt(6)
	buffer_store_dword v4, v2, s[0:3], 0 offen offset:4
	s_waitcnt vmcnt(5)
	buffer_store_dword v63, v2, s[0:3], 0 offen offset:8
	;; [unrolled: 2-line block ×6, first 2 shown]
	s_waitcnt vmcnt(0)
	buffer_store_dword v68, v1, s[0:3], 0 offen
.LBB28_206:
	global_load_dword v0, v0, s[20:21] offset:72
	s_waitcnt vmcnt(0)
	v_add_nc_u32_e32 v0, -1, v0
	v_cmp_eq_u32_e32 vcc_lo, 18, v0
	s_cbranch_vccnz .LBB28_208
; %bb.207:
	v_lshlrev_b32_e32 v0, 4, v0
	v_mov_b32_e32 v1, s22
	v_add_nc_u32_e32 v0, 16, v0
	s_clause 0x7
	buffer_load_dword v2, v0, s[0:3], 0 offen
	buffer_load_dword v3, v0, s[0:3], 0 offen offset:4
	buffer_load_dword v4, v0, s[0:3], 0 offen offset:8
	;; [unrolled: 1-line block ×6, first 2 shown]
	buffer_load_dword v67, v1, s[0:3], 0 offen
	s_waitcnt vmcnt(7)
	buffer_store_dword v2, v1, s[0:3], 0 offen
	s_waitcnt vmcnt(6)
	buffer_store_dword v3, v1, s[0:3], 0 offen offset:4
	s_waitcnt vmcnt(5)
	buffer_store_dword v4, v1, s[0:3], 0 offen offset:8
	;; [unrolled: 2-line block ×6, first 2 shown]
	s_waitcnt vmcnt(0)
	buffer_store_dword v67, v0, s[0:3], 0 offen
.LBB28_208:
	v_mov_b32_e32 v0, 0
	global_load_dword v1, v0, s[20:21] offset:68
	s_waitcnt vmcnt(0)
	v_add_nc_u32_e32 v1, -1, v1
	v_cmp_eq_u32_e32 vcc_lo, 17, v1
	s_cbranch_vccnz .LBB28_210
; %bb.209:
	v_lshlrev_b32_e32 v1, 4, v1
	v_mov_b32_e32 v2, s23
	v_add_nc_u32_e32 v1, 16, v1
	s_clause 0x7
	buffer_load_dword v3, v1, s[0:3], 0 offen
	buffer_load_dword v4, v1, s[0:3], 0 offen offset:4
	buffer_load_dword v63, v1, s[0:3], 0 offen offset:8
	;; [unrolled: 1-line block ×6, first 2 shown]
	buffer_load_dword v68, v2, s[0:3], 0 offen
	s_waitcnt vmcnt(7)
	buffer_store_dword v3, v2, s[0:3], 0 offen
	s_waitcnt vmcnt(6)
	buffer_store_dword v4, v2, s[0:3], 0 offen offset:4
	s_waitcnt vmcnt(5)
	buffer_store_dword v63, v2, s[0:3], 0 offen offset:8
	;; [unrolled: 2-line block ×6, first 2 shown]
	s_waitcnt vmcnt(0)
	buffer_store_dword v68, v1, s[0:3], 0 offen
.LBB28_210:
	global_load_dword v0, v0, s[20:21] offset:64
	s_waitcnt vmcnt(0)
	v_add_nc_u32_e32 v0, -1, v0
	v_cmp_eq_u32_e32 vcc_lo, 16, v0
	s_cbranch_vccnz .LBB28_212
; %bb.211:
	v_lshlrev_b32_e32 v0, 4, v0
	v_mov_b32_e32 v1, s24
	v_add_nc_u32_e32 v0, 16, v0
	s_clause 0x7
	buffer_load_dword v2, v0, s[0:3], 0 offen
	buffer_load_dword v3, v0, s[0:3], 0 offen offset:4
	buffer_load_dword v4, v0, s[0:3], 0 offen offset:8
	;; [unrolled: 1-line block ×6, first 2 shown]
	buffer_load_dword v67, v1, s[0:3], 0 offen
	s_waitcnt vmcnt(7)
	buffer_store_dword v2, v1, s[0:3], 0 offen
	s_waitcnt vmcnt(6)
	buffer_store_dword v3, v1, s[0:3], 0 offen offset:4
	s_waitcnt vmcnt(5)
	buffer_store_dword v4, v1, s[0:3], 0 offen offset:8
	;; [unrolled: 2-line block ×6, first 2 shown]
	s_waitcnt vmcnt(0)
	buffer_store_dword v67, v0, s[0:3], 0 offen
.LBB28_212:
	v_mov_b32_e32 v0, 0
	global_load_dword v1, v0, s[20:21] offset:60
	s_waitcnt vmcnt(0)
	v_add_nc_u32_e32 v1, -1, v1
	v_cmp_eq_u32_e32 vcc_lo, 15, v1
	s_cbranch_vccnz .LBB28_214
; %bb.213:
	v_lshlrev_b32_e32 v1, 4, v1
	v_mov_b32_e32 v2, s25
	v_add_nc_u32_e32 v1, 16, v1
	s_clause 0x7
	buffer_load_dword v3, v1, s[0:3], 0 offen
	buffer_load_dword v4, v1, s[0:3], 0 offen offset:4
	buffer_load_dword v63, v1, s[0:3], 0 offen offset:8
	;; [unrolled: 1-line block ×6, first 2 shown]
	buffer_load_dword v68, v2, s[0:3], 0 offen
	s_waitcnt vmcnt(7)
	buffer_store_dword v3, v2, s[0:3], 0 offen
	s_waitcnt vmcnt(6)
	buffer_store_dword v4, v2, s[0:3], 0 offen offset:4
	s_waitcnt vmcnt(5)
	buffer_store_dword v63, v2, s[0:3], 0 offen offset:8
	;; [unrolled: 2-line block ×6, first 2 shown]
	s_waitcnt vmcnt(0)
	buffer_store_dword v68, v1, s[0:3], 0 offen
.LBB28_214:
	global_load_dword v0, v0, s[20:21] offset:56
	s_waitcnt vmcnt(0)
	v_add_nc_u32_e32 v0, -1, v0
	v_cmp_eq_u32_e32 vcc_lo, 14, v0
	s_cbranch_vccnz .LBB28_216
; %bb.215:
	v_lshlrev_b32_e32 v0, 4, v0
	v_mov_b32_e32 v1, s26
	v_add_nc_u32_e32 v0, 16, v0
	s_clause 0x7
	buffer_load_dword v2, v0, s[0:3], 0 offen
	buffer_load_dword v3, v0, s[0:3], 0 offen offset:4
	buffer_load_dword v4, v0, s[0:3], 0 offen offset:8
	;; [unrolled: 1-line block ×6, first 2 shown]
	buffer_load_dword v67, v1, s[0:3], 0 offen
	s_waitcnt vmcnt(7)
	buffer_store_dword v2, v1, s[0:3], 0 offen
	s_waitcnt vmcnt(6)
	buffer_store_dword v3, v1, s[0:3], 0 offen offset:4
	s_waitcnt vmcnt(5)
	buffer_store_dword v4, v1, s[0:3], 0 offen offset:8
	;; [unrolled: 2-line block ×6, first 2 shown]
	s_waitcnt vmcnt(0)
	buffer_store_dword v67, v0, s[0:3], 0 offen
.LBB28_216:
	v_mov_b32_e32 v0, 0
	global_load_dword v1, v0, s[20:21] offset:52
	s_waitcnt vmcnt(0)
	v_add_nc_u32_e32 v1, -1, v1
	v_cmp_eq_u32_e32 vcc_lo, 13, v1
	s_cbranch_vccnz .LBB28_218
; %bb.217:
	v_lshlrev_b32_e32 v1, 4, v1
	v_mov_b32_e32 v2, s27
	v_add_nc_u32_e32 v1, 16, v1
	s_clause 0x7
	buffer_load_dword v3, v1, s[0:3], 0 offen
	buffer_load_dword v4, v1, s[0:3], 0 offen offset:4
	buffer_load_dword v63, v1, s[0:3], 0 offen offset:8
	;; [unrolled: 1-line block ×6, first 2 shown]
	buffer_load_dword v68, v2, s[0:3], 0 offen
	s_waitcnt vmcnt(7)
	buffer_store_dword v3, v2, s[0:3], 0 offen
	s_waitcnt vmcnt(6)
	buffer_store_dword v4, v2, s[0:3], 0 offen offset:4
	s_waitcnt vmcnt(5)
	buffer_store_dword v63, v2, s[0:3], 0 offen offset:8
	;; [unrolled: 2-line block ×6, first 2 shown]
	s_waitcnt vmcnt(0)
	buffer_store_dword v68, v1, s[0:3], 0 offen
.LBB28_218:
	global_load_dword v0, v0, s[20:21] offset:48
	s_waitcnt vmcnt(0)
	v_add_nc_u32_e32 v0, -1, v0
	v_cmp_eq_u32_e32 vcc_lo, 12, v0
	s_cbranch_vccnz .LBB28_220
; %bb.219:
	v_lshlrev_b32_e32 v0, 4, v0
	v_mov_b32_e32 v1, s28
	v_add_nc_u32_e32 v0, 16, v0
	s_clause 0x7
	buffer_load_dword v2, v0, s[0:3], 0 offen
	buffer_load_dword v3, v0, s[0:3], 0 offen offset:4
	buffer_load_dword v4, v0, s[0:3], 0 offen offset:8
	;; [unrolled: 1-line block ×6, first 2 shown]
	buffer_load_dword v67, v1, s[0:3], 0 offen
	s_waitcnt vmcnt(7)
	buffer_store_dword v2, v1, s[0:3], 0 offen
	s_waitcnt vmcnt(6)
	buffer_store_dword v3, v1, s[0:3], 0 offen offset:4
	s_waitcnt vmcnt(5)
	buffer_store_dword v4, v1, s[0:3], 0 offen offset:8
	;; [unrolled: 2-line block ×6, first 2 shown]
	s_waitcnt vmcnt(0)
	buffer_store_dword v67, v0, s[0:3], 0 offen
.LBB28_220:
	v_mov_b32_e32 v0, 0
	global_load_dword v1, v0, s[20:21] offset:44
	s_waitcnt vmcnt(0)
	v_add_nc_u32_e32 v1, -1, v1
	v_cmp_eq_u32_e32 vcc_lo, 11, v1
	s_cbranch_vccnz .LBB28_222
; %bb.221:
	v_lshlrev_b32_e32 v1, 4, v1
	v_mov_b32_e32 v2, s29
	v_add_nc_u32_e32 v1, 16, v1
	s_clause 0x7
	buffer_load_dword v3, v1, s[0:3], 0 offen
	buffer_load_dword v4, v1, s[0:3], 0 offen offset:4
	buffer_load_dword v63, v1, s[0:3], 0 offen offset:8
	;; [unrolled: 1-line block ×6, first 2 shown]
	buffer_load_dword v68, v2, s[0:3], 0 offen
	s_waitcnt vmcnt(7)
	buffer_store_dword v3, v2, s[0:3], 0 offen
	s_waitcnt vmcnt(6)
	buffer_store_dword v4, v2, s[0:3], 0 offen offset:4
	s_waitcnt vmcnt(5)
	buffer_store_dword v63, v2, s[0:3], 0 offen offset:8
	;; [unrolled: 2-line block ×6, first 2 shown]
	s_waitcnt vmcnt(0)
	buffer_store_dword v68, v1, s[0:3], 0 offen
.LBB28_222:
	global_load_dword v0, v0, s[20:21] offset:40
	s_waitcnt vmcnt(0)
	v_add_nc_u32_e32 v0, -1, v0
	v_cmp_eq_u32_e32 vcc_lo, 10, v0
	s_cbranch_vccnz .LBB28_224
; %bb.223:
	v_lshlrev_b32_e32 v0, 4, v0
	v_mov_b32_e32 v1, s30
	v_add_nc_u32_e32 v0, 16, v0
	s_clause 0x7
	buffer_load_dword v2, v0, s[0:3], 0 offen
	buffer_load_dword v3, v0, s[0:3], 0 offen offset:4
	buffer_load_dword v4, v0, s[0:3], 0 offen offset:8
	;; [unrolled: 1-line block ×6, first 2 shown]
	buffer_load_dword v67, v1, s[0:3], 0 offen
	s_waitcnt vmcnt(7)
	buffer_store_dword v2, v1, s[0:3], 0 offen
	s_waitcnt vmcnt(6)
	buffer_store_dword v3, v1, s[0:3], 0 offen offset:4
	s_waitcnt vmcnt(5)
	buffer_store_dword v4, v1, s[0:3], 0 offen offset:8
	;; [unrolled: 2-line block ×6, first 2 shown]
	s_waitcnt vmcnt(0)
	buffer_store_dword v67, v0, s[0:3], 0 offen
.LBB28_224:
	v_mov_b32_e32 v0, 0
	global_load_dword v1, v0, s[20:21] offset:36
	s_waitcnt vmcnt(0)
	v_add_nc_u32_e32 v1, -1, v1
	v_cmp_eq_u32_e32 vcc_lo, 9, v1
	s_cbranch_vccnz .LBB28_226
; %bb.225:
	v_lshlrev_b32_e32 v1, 4, v1
	v_mov_b32_e32 v2, s31
	v_add_nc_u32_e32 v1, 16, v1
	s_clause 0x7
	buffer_load_dword v3, v1, s[0:3], 0 offen
	buffer_load_dword v4, v1, s[0:3], 0 offen offset:4
	buffer_load_dword v63, v1, s[0:3], 0 offen offset:8
	;; [unrolled: 1-line block ×6, first 2 shown]
	buffer_load_dword v68, v2, s[0:3], 0 offen
	s_waitcnt vmcnt(7)
	buffer_store_dword v3, v2, s[0:3], 0 offen
	s_waitcnt vmcnt(6)
	buffer_store_dword v4, v2, s[0:3], 0 offen offset:4
	s_waitcnt vmcnt(5)
	buffer_store_dword v63, v2, s[0:3], 0 offen offset:8
	;; [unrolled: 2-line block ×6, first 2 shown]
	s_waitcnt vmcnt(0)
	buffer_store_dword v68, v1, s[0:3], 0 offen
.LBB28_226:
	global_load_dword v0, v0, s[20:21] offset:32
	s_waitcnt vmcnt(0)
	v_add_nc_u32_e32 v0, -1, v0
	v_cmp_eq_u32_e32 vcc_lo, 8, v0
	s_cbranch_vccnz .LBB28_228
; %bb.227:
	v_lshlrev_b32_e32 v0, 4, v0
	v_mov_b32_e32 v1, s33
	v_add_nc_u32_e32 v0, 16, v0
	s_clause 0x7
	buffer_load_dword v2, v0, s[0:3], 0 offen
	buffer_load_dword v3, v0, s[0:3], 0 offen offset:4
	buffer_load_dword v4, v0, s[0:3], 0 offen offset:8
	;; [unrolled: 1-line block ×6, first 2 shown]
	buffer_load_dword v67, v1, s[0:3], 0 offen
	s_waitcnt vmcnt(7)
	buffer_store_dword v2, v1, s[0:3], 0 offen
	s_waitcnt vmcnt(6)
	buffer_store_dword v3, v1, s[0:3], 0 offen offset:4
	s_waitcnt vmcnt(5)
	buffer_store_dword v4, v1, s[0:3], 0 offen offset:8
	s_waitcnt vmcnt(4)
	buffer_store_dword v63, v1, s[0:3], 0 offen offset:12
	s_waitcnt vmcnt(3)
	buffer_store_dword v64, v0, s[0:3], 0 offen offset:12
	s_waitcnt vmcnt(2)
	buffer_store_dword v65, v0, s[0:3], 0 offen offset:8
	s_waitcnt vmcnt(1)
	buffer_store_dword v66, v0, s[0:3], 0 offen offset:4
	s_waitcnt vmcnt(0)
	buffer_store_dword v67, v0, s[0:3], 0 offen
.LBB28_228:
	v_mov_b32_e32 v0, 0
	global_load_dword v1, v0, s[20:21] offset:28
	s_waitcnt vmcnt(0)
	v_add_nc_u32_e32 v1, -1, v1
	v_cmp_eq_u32_e32 vcc_lo, 7, v1
	s_cbranch_vccnz .LBB28_230
; %bb.229:
	v_lshlrev_b32_e32 v1, 4, v1
	v_mov_b32_e32 v2, s34
	v_add_nc_u32_e32 v1, 16, v1
	s_clause 0x7
	buffer_load_dword v3, v1, s[0:3], 0 offen
	buffer_load_dword v4, v1, s[0:3], 0 offen offset:4
	buffer_load_dword v63, v1, s[0:3], 0 offen offset:8
	;; [unrolled: 1-line block ×6, first 2 shown]
	buffer_load_dword v68, v2, s[0:3], 0 offen
	s_waitcnt vmcnt(7)
	buffer_store_dword v3, v2, s[0:3], 0 offen
	s_waitcnt vmcnt(6)
	buffer_store_dword v4, v2, s[0:3], 0 offen offset:4
	s_waitcnt vmcnt(5)
	buffer_store_dword v63, v2, s[0:3], 0 offen offset:8
	;; [unrolled: 2-line block ×6, first 2 shown]
	s_waitcnt vmcnt(0)
	buffer_store_dword v68, v1, s[0:3], 0 offen
.LBB28_230:
	global_load_dword v0, v0, s[20:21] offset:24
	s_waitcnt vmcnt(0)
	v_add_nc_u32_e32 v0, -1, v0
	v_cmp_eq_u32_e32 vcc_lo, 6, v0
	s_cbranch_vccnz .LBB28_232
; %bb.231:
	v_lshlrev_b32_e32 v0, 4, v0
	v_mov_b32_e32 v1, s35
	v_add_nc_u32_e32 v0, 16, v0
	s_clause 0x7
	buffer_load_dword v2, v0, s[0:3], 0 offen
	buffer_load_dword v3, v0, s[0:3], 0 offen offset:4
	buffer_load_dword v4, v0, s[0:3], 0 offen offset:8
	;; [unrolled: 1-line block ×6, first 2 shown]
	buffer_load_dword v67, v1, s[0:3], 0 offen
	s_waitcnt vmcnt(7)
	buffer_store_dword v2, v1, s[0:3], 0 offen
	s_waitcnt vmcnt(6)
	buffer_store_dword v3, v1, s[0:3], 0 offen offset:4
	s_waitcnt vmcnt(5)
	buffer_store_dword v4, v1, s[0:3], 0 offen offset:8
	;; [unrolled: 2-line block ×6, first 2 shown]
	s_waitcnt vmcnt(0)
	buffer_store_dword v67, v0, s[0:3], 0 offen
.LBB28_232:
	v_mov_b32_e32 v0, 0
	global_load_dword v1, v0, s[20:21] offset:20
	s_waitcnt vmcnt(0)
	v_add_nc_u32_e32 v1, -1, v1
	v_cmp_eq_u32_e32 vcc_lo, 5, v1
	s_cbranch_vccnz .LBB28_234
; %bb.233:
	v_lshlrev_b32_e32 v1, 4, v1
	v_mov_b32_e32 v2, s36
	v_add_nc_u32_e32 v1, 16, v1
	s_clause 0x7
	buffer_load_dword v3, v1, s[0:3], 0 offen
	buffer_load_dword v4, v1, s[0:3], 0 offen offset:4
	buffer_load_dword v63, v1, s[0:3], 0 offen offset:8
	;; [unrolled: 1-line block ×6, first 2 shown]
	buffer_load_dword v68, v2, s[0:3], 0 offen
	s_waitcnt vmcnt(7)
	buffer_store_dword v3, v2, s[0:3], 0 offen
	s_waitcnt vmcnt(6)
	buffer_store_dword v4, v2, s[0:3], 0 offen offset:4
	s_waitcnt vmcnt(5)
	buffer_store_dword v63, v2, s[0:3], 0 offen offset:8
	s_waitcnt vmcnt(4)
	buffer_store_dword v64, v2, s[0:3], 0 offen offset:12
	s_waitcnt vmcnt(3)
	buffer_store_dword v65, v1, s[0:3], 0 offen offset:12
	s_waitcnt vmcnt(2)
	buffer_store_dword v66, v1, s[0:3], 0 offen offset:8
	s_waitcnt vmcnt(1)
	buffer_store_dword v67, v1, s[0:3], 0 offen offset:4
	s_waitcnt vmcnt(0)
	buffer_store_dword v68, v1, s[0:3], 0 offen
.LBB28_234:
	global_load_dword v0, v0, s[20:21] offset:16
	s_waitcnt vmcnt(0)
	v_add_nc_u32_e32 v0, -1, v0
	v_cmp_eq_u32_e32 vcc_lo, 4, v0
	s_cbranch_vccnz .LBB28_236
; %bb.235:
	v_lshlrev_b32_e32 v0, 4, v0
	v_mov_b32_e32 v1, s38
	v_add_nc_u32_e32 v0, 16, v0
	s_clause 0x7
	buffer_load_dword v2, v0, s[0:3], 0 offen
	buffer_load_dword v3, v0, s[0:3], 0 offen offset:4
	buffer_load_dword v4, v0, s[0:3], 0 offen offset:8
	;; [unrolled: 1-line block ×6, first 2 shown]
	buffer_load_dword v67, v1, s[0:3], 0 offen
	s_waitcnt vmcnt(7)
	buffer_store_dword v2, v1, s[0:3], 0 offen
	s_waitcnt vmcnt(6)
	buffer_store_dword v3, v1, s[0:3], 0 offen offset:4
	s_waitcnt vmcnt(5)
	buffer_store_dword v4, v1, s[0:3], 0 offen offset:8
	;; [unrolled: 2-line block ×6, first 2 shown]
	s_waitcnt vmcnt(0)
	buffer_store_dword v67, v0, s[0:3], 0 offen
.LBB28_236:
	v_mov_b32_e32 v0, 0
	global_load_dword v1, v0, s[20:21] offset:12
	s_waitcnt vmcnt(0)
	v_add_nc_u32_e32 v1, -1, v1
	v_cmp_eq_u32_e32 vcc_lo, 3, v1
	s_cbranch_vccnz .LBB28_238
; %bb.237:
	v_lshlrev_b32_e32 v1, 4, v1
	v_mov_b32_e32 v2, s39
	v_add_nc_u32_e32 v1, 16, v1
	s_clause 0x7
	buffer_load_dword v3, v1, s[0:3], 0 offen
	buffer_load_dword v4, v1, s[0:3], 0 offen offset:4
	buffer_load_dword v63, v1, s[0:3], 0 offen offset:8
	;; [unrolled: 1-line block ×6, first 2 shown]
	buffer_load_dword v68, v2, s[0:3], 0 offen
	s_waitcnt vmcnt(7)
	buffer_store_dword v3, v2, s[0:3], 0 offen
	s_waitcnt vmcnt(6)
	buffer_store_dword v4, v2, s[0:3], 0 offen offset:4
	s_waitcnt vmcnt(5)
	buffer_store_dword v63, v2, s[0:3], 0 offen offset:8
	;; [unrolled: 2-line block ×6, first 2 shown]
	s_waitcnt vmcnt(0)
	buffer_store_dword v68, v1, s[0:3], 0 offen
.LBB28_238:
	global_load_dword v0, v0, s[20:21] offset:8
	s_waitcnt vmcnt(0)
	v_add_nc_u32_e32 v0, -1, v0
	v_cmp_eq_u32_e32 vcc_lo, 2, v0
	s_cbranch_vccnz .LBB28_240
; %bb.239:
	v_lshlrev_b32_e32 v0, 4, v0
	v_mov_b32_e32 v1, s40
	v_add_nc_u32_e32 v0, 16, v0
	s_clause 0x7
	buffer_load_dword v2, v0, s[0:3], 0 offen
	buffer_load_dword v3, v0, s[0:3], 0 offen offset:4
	buffer_load_dword v4, v0, s[0:3], 0 offen offset:8
	buffer_load_dword v63, v0, s[0:3], 0 offen offset:12
	buffer_load_dword v64, v1, s[0:3], 0 offen offset:12
	buffer_load_dword v65, v1, s[0:3], 0 offen offset:8
	buffer_load_dword v66, v1, s[0:3], 0 offen offset:4
	buffer_load_dword v67, v1, s[0:3], 0 offen
	s_waitcnt vmcnt(7)
	buffer_store_dword v2, v1, s[0:3], 0 offen
	s_waitcnt vmcnt(6)
	buffer_store_dword v3, v1, s[0:3], 0 offen offset:4
	s_waitcnt vmcnt(5)
	buffer_store_dword v4, v1, s[0:3], 0 offen offset:8
	;; [unrolled: 2-line block ×6, first 2 shown]
	s_waitcnt vmcnt(0)
	buffer_store_dword v67, v0, s[0:3], 0 offen
.LBB28_240:
	v_mov_b32_e32 v0, 0
	global_load_dword v1, v0, s[20:21] offset:4
	s_waitcnt vmcnt(0)
	v_add_nc_u32_e32 v1, -1, v1
	v_cmp_eq_u32_e32 vcc_lo, 1, v1
	s_cbranch_vccnz .LBB28_242
; %bb.241:
	v_lshlrev_b32_e32 v1, 4, v1
	v_mov_b32_e32 v2, s41
	v_add_nc_u32_e32 v1, 16, v1
	s_clause 0x7
	buffer_load_dword v3, v1, s[0:3], 0 offen
	buffer_load_dword v4, v1, s[0:3], 0 offen offset:4
	buffer_load_dword v63, v1, s[0:3], 0 offen offset:8
	;; [unrolled: 1-line block ×6, first 2 shown]
	buffer_load_dword v68, v2, s[0:3], 0 offen
	s_waitcnt vmcnt(7)
	buffer_store_dword v3, v2, s[0:3], 0 offen
	s_waitcnt vmcnt(6)
	buffer_store_dword v4, v2, s[0:3], 0 offen offset:4
	s_waitcnt vmcnt(5)
	buffer_store_dword v63, v2, s[0:3], 0 offen offset:8
	;; [unrolled: 2-line block ×6, first 2 shown]
	s_waitcnt vmcnt(0)
	buffer_store_dword v68, v1, s[0:3], 0 offen
.LBB28_242:
	global_load_dword v0, v0, s[20:21]
	s_waitcnt vmcnt(0)
	v_add_nc_u32_e32 v0, -1, v0
	v_cmp_eq_u32_e32 vcc_lo, 0, v0
	s_cbranch_vccnz .LBB28_244
; %bb.243:
	v_lshlrev_b32_e32 v0, 4, v0
	v_add_nc_u32_e32 v0, 16, v0
	s_clause 0x7
	buffer_load_dword v1, v0, s[0:3], 0 offen
	buffer_load_dword v2, v0, s[0:3], 0 offen offset:4
	buffer_load_dword v3, v0, s[0:3], 0 offen offset:8
	;; [unrolled: 1-line block ×3, first 2 shown]
	buffer_load_dword v63, off, s[0:3], 0 offset:28
	buffer_load_dword v64, off, s[0:3], 0 offset:24
	buffer_load_dword v65, off, s[0:3], 0 offset:20
	buffer_load_dword v66, off, s[0:3], 0 offset:16
	s_waitcnt vmcnt(7)
	buffer_store_dword v1, off, s[0:3], 0 offset:16
	s_waitcnt vmcnt(6)
	buffer_store_dword v2, off, s[0:3], 0 offset:20
	;; [unrolled: 2-line block ×4, first 2 shown]
	s_waitcnt vmcnt(3)
	buffer_store_dword v63, v0, s[0:3], 0 offen offset:12
	s_waitcnt vmcnt(2)
	buffer_store_dword v64, v0, s[0:3], 0 offen offset:8
	;; [unrolled: 2-line block ×3, first 2 shown]
	s_waitcnt vmcnt(0)
	buffer_store_dword v66, v0, s[0:3], 0 offen
.LBB28_244:
	v_mov_b32_e32 v4, s41
	s_clause 0x3
	buffer_load_dword v0, off, s[0:3], 0 offset:16
	buffer_load_dword v1, off, s[0:3], 0 offset:20
	buffer_load_dword v2, off, s[0:3], 0 offset:24
	buffer_load_dword v3, off, s[0:3], 0 offset:28
	v_mov_b32_e32 v147, s16
	v_mov_b32_e32 v151, s14
	;; [unrolled: 1-line block ×3, first 2 shown]
	s_clause 0x3
	buffer_load_dword v63, v4, s[0:3], 0 offen
	buffer_load_dword v64, v4, s[0:3], 0 offen offset:4
	buffer_load_dword v65, v4, s[0:3], 0 offen offset:8
	;; [unrolled: 1-line block ×3, first 2 shown]
	v_mov_b32_e32 v4, s40
	v_mov_b32_e32 v78, s38
	;; [unrolled: 1-line block ×4, first 2 shown]
	s_clause 0x3
	buffer_load_dword v67, v4, s[0:3], 0 offen
	buffer_load_dword v68, v4, s[0:3], 0 offen offset:4
	buffer_load_dword v69, v4, s[0:3], 0 offen offset:8
	;; [unrolled: 1-line block ×3, first 2 shown]
	v_mov_b32_e32 v4, s39
	v_mov_b32_e32 v90, s34
	;; [unrolled: 1-line block ×17, first 2 shown]
	s_clause 0x3e
	buffer_load_dword v71, v4, s[0:3], 0 offen
	buffer_load_dword v72, v4, s[0:3], 0 offen offset:4
	buffer_load_dword v73, v4, s[0:3], 0 offen offset:8
	buffer_load_dword v74, v4, s[0:3], 0 offen offset:12
	buffer_load_dword v75, v78, s[0:3], 0 offen
	buffer_load_dword v76, v78, s[0:3], 0 offen offset:4
	buffer_load_dword v77, v78, s[0:3], 0 offen offset:8
	buffer_load_dword v78, v78, s[0:3], 0 offen offset:12
	;; [unrolled: 4-line block ×15, first 2 shown]
	buffer_load_dword v131, v134, s[0:3], 0 offen
	buffer_load_dword v132, v134, s[0:3], 0 offen offset:4
	buffer_load_dword v133, v134, s[0:3], 0 offen offset:8
	s_clause 0xc
	buffer_load_dword v134, v134, s[0:3], 0 offen offset:12
	buffer_load_dword v135, v138, s[0:3], 0 offen
	buffer_load_dword v136, v138, s[0:3], 0 offen offset:4
	buffer_load_dword v137, v138, s[0:3], 0 offen offset:8
	buffer_load_dword v138, v138, s[0:3], 0 offen offset:12
	buffer_load_dword v139, v142, s[0:3], 0 offen
	buffer_load_dword v140, v142, s[0:3], 0 offen offset:4
	buffer_load_dword v141, v142, s[0:3], 0 offen offset:8
	;; [unrolled: 4-line block ×3, first 2 shown]
	buffer_load_dword v146, v146, s[0:3], 0 offen offset:12
	v_mov_b32_e32 v152, s13
	v_mov_b32_e32 v154, s9
	;; [unrolled: 1-line block ×3, first 2 shown]
	s_waitcnt vmcnt(62)
	global_store_dwordx4 v[5:6], v[0:3], off
	s_clause 0x7
	buffer_load_dword v0, v147, s[0:3], 0 offen
	buffer_load_dword v1, v147, s[0:3], 0 offen offset:4
	buffer_load_dword v2, v147, s[0:3], 0 offen offset:8
	buffer_load_dword v3, v147, s[0:3], 0 offen offset:12
	buffer_load_dword v147, v150, s[0:3], 0 offen
	buffer_load_dword v148, v150, s[0:3], 0 offen offset:4
	buffer_load_dword v149, v150, s[0:3], 0 offen offset:8
	buffer_load_dword v150, v150, s[0:3], 0 offen offset:12
	global_store_dwordx4 v[7:8], v[63:66], off
	s_clause 0x7
	buffer_load_dword v4, v151, s[0:3], 0 offen
	buffer_load_dword v5, v151, s[0:3], 0 offen offset:4
	buffer_load_dword v6, v151, s[0:3], 0 offen offset:8
	buffer_load_dword v7, v151, s[0:3], 0 offen offset:12
	buffer_load_dword v63, v152, s[0:3], 0 offen
	buffer_load_dword v64, v152, s[0:3], 0 offen offset:4
	buffer_load_dword v65, v152, s[0:3], 0 offen offset:8
	buffer_load_dword v66, v152, s[0:3], 0 offen offset:12
	;; [unrolled: 10-line block ×3, first 2 shown]
	buffer_load_dword v155, v158, s[0:3], 0 offen
	buffer_load_dword v156, v158, s[0:3], 0 offen offset:4
	buffer_load_dword v157, v158, s[0:3], 0 offen offset:8
	buffer_load_dword v158, v158, s[0:3], 0 offen offset:12
	global_store_dwordx4 v[11:12], v[71:74], off
	global_store_dwordx4 v[13:14], v[75:78], off
	;; [unrolled: 1-line block ×3, first 2 shown]
	s_waitcnt vmcnt(62)
	global_store_dwordx4 v[17:18], v[83:86], off
	global_store_dwordx4 v[19:20], v[87:90], off
	;; [unrolled: 1-line block ×7, first 2 shown]
	s_waitcnt vmcnt(60)
	global_store_dwordx4 v[31:32], v[111:114], off
	s_waitcnt vmcnt(56)
	global_store_dwordx4 v[33:34], v[115:118], off
	;; [unrolled: 2-line block ×16, first 2 shown]
	s_endpgm
	.section	.rodata,"a",@progbits
	.p2align	6, 0x0
	.amdhsa_kernel _ZN9rocsolver6v33100L18getri_kernel_smallILi29E19rocblas_complex_numIdEPS3_EEvT1_iilPiilS6_bb
		.amdhsa_group_segment_fixed_size 936
		.amdhsa_private_segment_fixed_size 496
		.amdhsa_kernarg_size 60
		.amdhsa_user_sgpr_count 6
		.amdhsa_user_sgpr_private_segment_buffer 1
		.amdhsa_user_sgpr_dispatch_ptr 0
		.amdhsa_user_sgpr_queue_ptr 0
		.amdhsa_user_sgpr_kernarg_segment_ptr 1
		.amdhsa_user_sgpr_dispatch_id 0
		.amdhsa_user_sgpr_flat_scratch_init 0
		.amdhsa_user_sgpr_private_segment_size 0
		.amdhsa_wavefront_size32 1
		.amdhsa_uses_dynamic_stack 0
		.amdhsa_system_sgpr_private_segment_wavefront_offset 1
		.amdhsa_system_sgpr_workgroup_id_x 1
		.amdhsa_system_sgpr_workgroup_id_y 0
		.amdhsa_system_sgpr_workgroup_id_z 0
		.amdhsa_system_sgpr_workgroup_info 0
		.amdhsa_system_vgpr_workitem_id 0
		.amdhsa_next_free_vgpr 159
		.amdhsa_next_free_sgpr 54
		.amdhsa_reserve_vcc 1
		.amdhsa_reserve_flat_scratch 0
		.amdhsa_float_round_mode_32 0
		.amdhsa_float_round_mode_16_64 0
		.amdhsa_float_denorm_mode_32 3
		.amdhsa_float_denorm_mode_16_64 3
		.amdhsa_dx10_clamp 1
		.amdhsa_ieee_mode 1
		.amdhsa_fp16_overflow 0
		.amdhsa_workgroup_processor_mode 1
		.amdhsa_memory_ordered 1
		.amdhsa_forward_progress 1
		.amdhsa_shared_vgpr_count 0
		.amdhsa_exception_fp_ieee_invalid_op 0
		.amdhsa_exception_fp_denorm_src 0
		.amdhsa_exception_fp_ieee_div_zero 0
		.amdhsa_exception_fp_ieee_overflow 0
		.amdhsa_exception_fp_ieee_underflow 0
		.amdhsa_exception_fp_ieee_inexact 0
		.amdhsa_exception_int_div_zero 0
	.end_amdhsa_kernel
	.section	.text._ZN9rocsolver6v33100L18getri_kernel_smallILi29E19rocblas_complex_numIdEPS3_EEvT1_iilPiilS6_bb,"axG",@progbits,_ZN9rocsolver6v33100L18getri_kernel_smallILi29E19rocblas_complex_numIdEPS3_EEvT1_iilPiilS6_bb,comdat
.Lfunc_end28:
	.size	_ZN9rocsolver6v33100L18getri_kernel_smallILi29E19rocblas_complex_numIdEPS3_EEvT1_iilPiilS6_bb, .Lfunc_end28-_ZN9rocsolver6v33100L18getri_kernel_smallILi29E19rocblas_complex_numIdEPS3_EEvT1_iilPiilS6_bb
                                        ; -- End function
	.set _ZN9rocsolver6v33100L18getri_kernel_smallILi29E19rocblas_complex_numIdEPS3_EEvT1_iilPiilS6_bb.num_vgpr, 159
	.set _ZN9rocsolver6v33100L18getri_kernel_smallILi29E19rocblas_complex_numIdEPS3_EEvT1_iilPiilS6_bb.num_agpr, 0
	.set _ZN9rocsolver6v33100L18getri_kernel_smallILi29E19rocblas_complex_numIdEPS3_EEvT1_iilPiilS6_bb.numbered_sgpr, 54
	.set _ZN9rocsolver6v33100L18getri_kernel_smallILi29E19rocblas_complex_numIdEPS3_EEvT1_iilPiilS6_bb.num_named_barrier, 0
	.set _ZN9rocsolver6v33100L18getri_kernel_smallILi29E19rocblas_complex_numIdEPS3_EEvT1_iilPiilS6_bb.private_seg_size, 496
	.set _ZN9rocsolver6v33100L18getri_kernel_smallILi29E19rocblas_complex_numIdEPS3_EEvT1_iilPiilS6_bb.uses_vcc, 1
	.set _ZN9rocsolver6v33100L18getri_kernel_smallILi29E19rocblas_complex_numIdEPS3_EEvT1_iilPiilS6_bb.uses_flat_scratch, 0
	.set _ZN9rocsolver6v33100L18getri_kernel_smallILi29E19rocblas_complex_numIdEPS3_EEvT1_iilPiilS6_bb.has_dyn_sized_stack, 0
	.set _ZN9rocsolver6v33100L18getri_kernel_smallILi29E19rocblas_complex_numIdEPS3_EEvT1_iilPiilS6_bb.has_recursion, 0
	.set _ZN9rocsolver6v33100L18getri_kernel_smallILi29E19rocblas_complex_numIdEPS3_EEvT1_iilPiilS6_bb.has_indirect_call, 0
	.section	.AMDGPU.csdata,"",@progbits
; Kernel info:
; codeLenInByte = 66712
; TotalNumSgprs: 56
; NumVgprs: 159
; ScratchSize: 496
; MemoryBound: 0
; FloatMode: 240
; IeeeMode: 1
; LDSByteSize: 936 bytes/workgroup (compile time only)
; SGPRBlocks: 0
; VGPRBlocks: 19
; NumSGPRsForWavesPerEU: 56
; NumVGPRsForWavesPerEU: 159
; Occupancy: 6
; WaveLimiterHint : 1
; COMPUTE_PGM_RSRC2:SCRATCH_EN: 1
; COMPUTE_PGM_RSRC2:USER_SGPR: 6
; COMPUTE_PGM_RSRC2:TRAP_HANDLER: 0
; COMPUTE_PGM_RSRC2:TGID_X_EN: 1
; COMPUTE_PGM_RSRC2:TGID_Y_EN: 0
; COMPUTE_PGM_RSRC2:TGID_Z_EN: 0
; COMPUTE_PGM_RSRC2:TIDIG_COMP_CNT: 0
	.section	.text._ZN9rocsolver6v33100L18getri_kernel_smallILi30E19rocblas_complex_numIdEPS3_EEvT1_iilPiilS6_bb,"axG",@progbits,_ZN9rocsolver6v33100L18getri_kernel_smallILi30E19rocblas_complex_numIdEPS3_EEvT1_iilPiilS6_bb,comdat
	.globl	_ZN9rocsolver6v33100L18getri_kernel_smallILi30E19rocblas_complex_numIdEPS3_EEvT1_iilPiilS6_bb ; -- Begin function _ZN9rocsolver6v33100L18getri_kernel_smallILi30E19rocblas_complex_numIdEPS3_EEvT1_iilPiilS6_bb
	.p2align	8
	.type	_ZN9rocsolver6v33100L18getri_kernel_smallILi30E19rocblas_complex_numIdEPS3_EEvT1_iilPiilS6_bb,@function
_ZN9rocsolver6v33100L18getri_kernel_smallILi30E19rocblas_complex_numIdEPS3_EEvT1_iilPiilS6_bb: ; @_ZN9rocsolver6v33100L18getri_kernel_smallILi30E19rocblas_complex_numIdEPS3_EEvT1_iilPiilS6_bb
; %bb.0:
	s_add_u32 s0, s0, s7
	s_addc_u32 s1, s1, 0
	s_mov_b32 s7, exec_lo
	v_cmpx_gt_u32_e32 30, v0
	s_cbranch_execz .LBB29_134
; %bb.1:
	s_clause 0x2
	s_load_dword s7, s[4:5], 0x38
	s_load_dwordx4 s[16:19], s[4:5], 0x10
	s_load_dwordx4 s[8:11], s[4:5], 0x28
                                        ; implicit-def: $sgpr20_sgpr21
	s_waitcnt lgkmcnt(0)
	s_bitcmp1_b32 s7, 8
	s_cselect_b32 s37, -1, 0
	s_bfe_u32 s12, s7, 0x10008
	s_ashr_i32 s7, s6, 31
	s_cmp_eq_u32 s12, 0
	s_cbranch_scc1 .LBB29_3
; %bb.2:
	s_load_dword s12, s[4:5], 0x20
	s_mul_i32 s13, s8, s7
	s_mul_hi_u32 s14, s8, s6
	s_mul_i32 s9, s9, s6
	s_add_i32 s13, s14, s13
	s_mul_i32 s8, s8, s6
	s_add_i32 s9, s13, s9
	s_lshl_b64 s[8:9], s[8:9], 2
	s_waitcnt lgkmcnt(0)
	s_ashr_i32 s13, s12, 31
	s_add_u32 s14, s18, s8
	s_addc_u32 s15, s19, s9
	s_lshl_b64 s[8:9], s[12:13], 2
	s_add_u32 s20, s14, s8
	s_addc_u32 s21, s15, s9
.LBB29_3:
	s_clause 0x1
	s_load_dwordx4 s[12:15], s[4:5], 0x0
	s_load_dword s43, s[4:5], 0x38
	s_mul_i32 s4, s16, s7
	s_mul_hi_u32 s5, s16, s6
	s_mul_i32 s8, s17, s6
	s_add_i32 s5, s5, s4
	s_mul_i32 s4, s16, s6
	s_add_i32 s5, s5, s8
	v_lshlrev_b32_e32 v71, 4, v0
	s_lshl_b64 s[4:5], s[4:5], 4
	s_movk_i32 s16, 0xc0
	s_movk_i32 s17, 0xd0
	;; [unrolled: 1-line block ×10, first 2 shown]
	s_waitcnt lgkmcnt(0)
	v_add3_u32 v9, s15, s15, v0
	s_ashr_i32 s9, s14, 31
	s_mov_b32 s8, s14
	s_add_u32 s12, s12, s4
	s_addc_u32 s13, s13, s5
	v_add_nc_u32_e32 v11, s15, v9
	s_lshl_b64 s[4:5], s[8:9], 4
	v_ashrrev_i32_e32 v10, 31, v9
	s_add_u32 s4, s12, s4
	s_addc_u32 s5, s13, s5
	v_ashrrev_i32_e32 v12, 31, v11
	v_add_co_u32 v5, s12, s4, v71
	s_mov_b32 s8, s15
	s_ashr_i32 s9, s15, 31
	v_add_nc_u32_e32 v13, s15, v11
	v_add_co_ci_u32_e64 v6, null, s5, 0, s12
	v_lshlrev_b64 v[9:10], 4, v[9:10]
	s_lshl_b64 s[8:9], s[8:9], 4
	v_lshlrev_b64 v[11:12], 4, v[11:12]
	v_add_co_u32 v7, vcc_lo, v5, s8
	v_add_nc_u32_e32 v17, s15, v13
	v_add_co_ci_u32_e64 v8, null, s9, v6, vcc_lo
	v_ashrrev_i32_e32 v14, 31, v13
	v_add_co_u32 v15, vcc_lo, s4, v9
	v_add_co_ci_u32_e64 v16, null, s5, v10, vcc_lo
	v_add_co_u32 v9, vcc_lo, s4, v11
	s_clause 0x1
	global_load_dwordx4 v[1:4], v71, s[4:5]
	global_load_dwordx4 v[57:60], v[7:8], off
	v_ashrrev_i32_e32 v18, 31, v17
	v_add_co_ci_u32_e64 v10, null, s5, v12, vcc_lo
	v_lshlrev_b64 v[11:12], 4, v[13:14]
	global_load_dwordx4 v[61:64], v[15:16], off
	v_lshlrev_b64 v[13:14], 4, v[17:18]
	global_load_dwordx4 v[65:68], v[9:10], off
	v_add_nc_u32_e32 v19, s15, v17
	s_movk_i32 s8, 0x60
	v_add_co_u32 v11, vcc_lo, s4, v11
	v_add_co_ci_u32_e64 v12, null, s5, v12, vcc_lo
	v_add_co_u32 v13, vcc_lo, s4, v13
	v_add_co_ci_u32_e64 v14, null, s5, v14, vcc_lo
	global_load_dwordx4 v[72:75], v[11:12], off
	v_ashrrev_i32_e32 v20, 31, v19
	s_movk_i32 s9, 0x70
	global_load_dwordx4 v[76:79], v[13:14], off
	s_movk_i32 s12, 0x80
	s_movk_i32 s13, 0x90
	v_lshlrev_b64 v[17:18], 4, v[19:20]
	v_add_nc_u32_e32 v19, s15, v19
	s_movk_i32 s14, 0xa0
	s_movk_i32 s48, 0x160
	;; [unrolled: 1-line block ×4, first 2 shown]
	v_add_co_u32 v17, vcc_lo, s4, v17
	v_add_co_ci_u32_e64 v18, null, s5, v18, vcc_lo
	v_add_nc_u32_e32 v21, s15, v19
	v_ashrrev_i32_e32 v20, 31, v19
	s_movk_i32 s51, 0x190
	global_load_dwordx4 v[80:83], v[17:18], off
	s_movk_i32 s52, 0x1a0
	v_add_nc_u32_e32 v23, s15, v21
	v_ashrrev_i32_e32 v22, 31, v21
	v_lshlrev_b64 v[19:20], 4, v[19:20]
	s_movk_i32 s53, 0x1b0
	s_movk_i32 s54, 0x1c0
	v_add_nc_u32_e32 v25, s15, v23
	v_ashrrev_i32_e32 v24, 31, v23
	v_lshlrev_b64 v[21:22], 4, v[21:22]
	v_add_co_u32 v19, vcc_lo, s4, v19
	v_add_nc_u32_e32 v27, s15, v25
	v_ashrrev_i32_e32 v26, 31, v25
	v_lshlrev_b64 v[23:24], 4, v[23:24]
	v_add_co_ci_u32_e64 v20, null, s5, v20, vcc_lo
	v_add_nc_u32_e32 v29, s15, v27
	v_ashrrev_i32_e32 v28, 31, v27
	v_lshlrev_b64 v[25:26], 4, v[25:26]
	v_add_co_u32 v21, vcc_lo, s4, v21
	v_add_nc_u32_e32 v31, s15, v29
	v_ashrrev_i32_e32 v30, 31, v29
	v_lshlrev_b64 v[27:28], 4, v[27:28]
	v_add_co_ci_u32_e64 v22, null, s5, v22, vcc_lo
	v_add_nc_u32_e32 v33, s15, v31
	v_ashrrev_i32_e32 v32, 31, v31
	v_add_co_u32 v23, vcc_lo, s4, v23
	v_lshlrev_b64 v[29:30], 4, v[29:30]
	v_add_nc_u32_e32 v35, s15, v33
	v_ashrrev_i32_e32 v34, 31, v33
	v_add_co_ci_u32_e64 v24, null, s5, v24, vcc_lo
	v_add_co_u32 v25, vcc_lo, s4, v25
	v_add_nc_u32_e32 v37, s15, v35
	v_ashrrev_i32_e32 v36, 31, v35
	v_lshlrev_b64 v[31:32], 4, v[31:32]
	v_add_co_ci_u32_e64 v26, null, s5, v26, vcc_lo
	v_add_nc_u32_e32 v39, s15, v37
	v_ashrrev_i32_e32 v38, 31, v37
	v_add_co_u32 v27, vcc_lo, s4, v27
	v_lshlrev_b64 v[33:34], 4, v[33:34]
	v_add_nc_u32_e32 v41, s15, v39
	v_ashrrev_i32_e32 v40, 31, v39
	v_add_co_ci_u32_e64 v28, null, s5, v28, vcc_lo
	v_add_co_u32 v29, vcc_lo, s4, v29
	v_add_nc_u32_e32 v43, s15, v41
	v_lshlrev_b64 v[35:36], 4, v[35:36]
	v_ashrrev_i32_e32 v42, 31, v41
	v_add_co_ci_u32_e64 v30, null, s5, v30, vcc_lo
	v_add_nc_u32_e32 v45, s15, v43
	v_add_co_u32 v31, vcc_lo, s4, v31
	v_lshlrev_b64 v[37:38], 4, v[37:38]
	v_ashrrev_i32_e32 v44, 31, v43
	v_add_nc_u32_e32 v47, s15, v45
	v_add_co_ci_u32_e64 v32, null, s5, v32, vcc_lo
	v_add_co_u32 v33, vcc_lo, s4, v33
	v_add_nc_u32_e32 v49, s15, v47
	v_lshlrev_b64 v[39:40], 4, v[39:40]
	v_ashrrev_i32_e32 v46, 31, v45
	v_add_co_ci_u32_e64 v34, null, s5, v34, vcc_lo
	v_add_nc_u32_e32 v51, s15, v49
	v_add_co_u32 v35, vcc_lo, s4, v35
	v_lshlrev_b64 v[41:42], 4, v[41:42]
	v_ashrrev_i32_e32 v48, 31, v47
	v_add_nc_u32_e32 v53, s15, v51
	v_add_co_ci_u32_e64 v36, null, s5, v36, vcc_lo
	v_add_co_u32 v37, vcc_lo, s4, v37
	v_add_nc_u32_e32 v55, s15, v53
	v_lshlrev_b64 v[43:44], 4, v[43:44]
	v_ashrrev_i32_e32 v50, 31, v49
	v_add_co_ci_u32_e64 v38, null, s5, v38, vcc_lo
	v_add_co_u32 v39, vcc_lo, s4, v39
	v_lshlrev_b64 v[45:46], 4, v[45:46]
	v_ashrrev_i32_e32 v52, 31, v51
	v_add_co_ci_u32_e64 v40, null, s5, v40, vcc_lo
	v_add_co_u32 v41, vcc_lo, s4, v41
	v_lshlrev_b64 v[47:48], 4, v[47:48]
	v_add_nc_u32_e32 v69, s15, v55
	v_ashrrev_i32_e32 v54, 31, v53
	v_add_co_ci_u32_e64 v42, null, s5, v42, vcc_lo
	v_add_co_u32 v43, vcc_lo, s4, v43
	v_lshlrev_b64 v[49:50], 4, v[49:50]
	v_add_co_ci_u32_e64 v44, null, s5, v44, vcc_lo
	v_add_co_u32 v45, vcc_lo, s4, v45
	v_lshlrev_b64 v[51:52], 4, v[51:52]
	v_ashrrev_i32_e32 v56, 31, v55
	v_add_nc_u32_e32 v152, s15, v69
	v_add_co_ci_u32_e64 v46, null, s5, v46, vcc_lo
	v_add_co_u32 v47, vcc_lo, s4, v47
	v_lshlrev_b64 v[53:54], 4, v[53:54]
	v_ashrrev_i32_e32 v70, 31, v69
	v_add_co_ci_u32_e64 v48, null, s5, v48, vcc_lo
	v_add_co_u32 v49, vcc_lo, s4, v49
	v_add_co_ci_u32_e64 v50, null, s5, v50, vcc_lo
	v_add_co_u32 v51, vcc_lo, s4, v51
	v_lshlrev_b64 v[55:56], 4, v[55:56]
	v_add_nc_u32_e32 v154, s15, v152
	v_add_co_ci_u32_e64 v52, null, s5, v52, vcc_lo
	v_add_co_u32 v53, vcc_lo, s4, v53
	v_lshlrev_b64 v[69:70], 4, v[69:70]
	v_ashrrev_i32_e32 v153, 31, v152
	v_add_co_ci_u32_e64 v54, null, s5, v54, vcc_lo
	v_ashrrev_i32_e32 v155, 31, v154
	v_add_co_u32 v55, vcc_lo, s4, v55
	s_clause 0xf
	global_load_dwordx4 v[84:87], v[19:20], off
	global_load_dwordx4 v[88:91], v[21:22], off
	;; [unrolled: 1-line block ×16, first 2 shown]
	v_add_co_ci_u32_e64 v56, null, s5, v56, vcc_lo
	v_lshlrev_b64 v[156:157], 4, v[152:153]
	v_add_nc_u32_e32 v158, s15, v154
	s_movk_i32 s15, 0xb0
	s_movk_i32 s55, 0x1d0
	s_add_i32 s36, s8, 16
	s_add_i32 s35, s9, 16
	v_ashrrev_i32_e32 v159, 31, v158
	s_add_i32 s34, s12, 16
	s_add_i32 s33, s13, 16
	;; [unrolled: 1-line block ×22, first 2 shown]
	s_mov_b32 s42, 32
	s_mov_b32 s41, 48
	;; [unrolled: 1-line block ×3, first 2 shown]
	s_movk_i32 s39, 0x50
	s_waitcnt vmcnt(22)
	buffer_store_dword v4, off, s[0:3], 0 offset:28
	buffer_store_dword v3, off, s[0:3], 0 offset:24
	buffer_store_dword v2, off, s[0:3], 0 offset:20
	buffer_store_dword v1, off, s[0:3], 0 offset:16
	s_clause 0x1
	global_load_dwordx4 v[1:4], v[51:52], off
	global_load_dwordx4 v[148:151], v[53:54], off
	s_waitcnt vmcnt(23)
	buffer_store_dword v60, off, s[0:3], 0 offset:44
	buffer_store_dword v59, off, s[0:3], 0 offset:40
	;; [unrolled: 1-line block ×4, first 2 shown]
	v_add_co_u32 v57, vcc_lo, s4, v69
	v_add_co_ci_u32_e64 v58, null, s5, v70, vcc_lo
	v_lshlrev_b64 v[69:70], 4, v[154:155]
	v_add_co_u32 v59, vcc_lo, s4, v156
	s_waitcnt vmcnt(22)
	buffer_store_dword v64, off, s[0:3], 0 offset:60
	buffer_store_dword v63, off, s[0:3], 0 offset:56
	;; [unrolled: 1-line block ×4, first 2 shown]
	s_waitcnt vmcnt(21)
	buffer_store_dword v68, off, s[0:3], 0 offset:76
	buffer_store_dword v67, off, s[0:3], 0 offset:72
	;; [unrolled: 1-line block ×4, first 2 shown]
	v_add_co_ci_u32_e64 v60, null, s5, v157, vcc_lo
	v_add_co_u32 v61, vcc_lo, s4, v69
	v_add_co_ci_u32_e64 v62, null, s5, v70, vcc_lo
	s_clause 0x1
	global_load_dwordx4 v[65:68], v[55:56], off
	global_load_dwordx4 v[152:155], v[57:58], off
	s_waitcnt vmcnt(22)
	buffer_store_dword v75, off, s[0:3], 0 offset:92
	buffer_store_dword v74, off, s[0:3], 0 offset:88
	;; [unrolled: 1-line block ×4, first 2 shown]
	s_waitcnt vmcnt(21)
	buffer_store_dword v79, off, s[0:3], 0 offset:108
	buffer_store_dword v78, off, s[0:3], 0 offset:104
	;; [unrolled: 1-line block ×4, first 2 shown]
	s_clause 0x1
	global_load_dwordx4 v[72:75], v[59:60], off
	global_load_dwordx4 v[76:79], v[61:62], off
	v_lshlrev_b64 v[63:64], 4, v[158:159]
	s_waitcnt vmcnt(22)
	buffer_store_dword v83, off, s[0:3], 0 offset:124
	buffer_store_dword v82, off, s[0:3], 0 offset:120
	;; [unrolled: 1-line block ×4, first 2 shown]
	v_add_co_u32 v63, vcc_lo, s4, v63
	v_add_co_ci_u32_e64 v64, null, s5, v64, vcc_lo
	s_movk_i32 s4, 0x50
	s_mov_b32 s5, -1
	s_add_i32 s38, s4, 16
	global_load_dwordx4 v[80:83], v[63:64], off
	s_bitcmp0_b32 s43, 0
	s_waitcnt vmcnt(22)
	buffer_store_dword v87, off, s[0:3], 0 offset:140
	buffer_store_dword v86, off, s[0:3], 0 offset:136
	buffer_store_dword v85, off, s[0:3], 0 offset:132
	buffer_store_dword v84, off, s[0:3], 0 offset:128
	s_waitcnt vmcnt(21)
	buffer_store_dword v91, off, s[0:3], 0 offset:156
	buffer_store_dword v90, off, s[0:3], 0 offset:152
	buffer_store_dword v89, off, s[0:3], 0 offset:148
	buffer_store_dword v88, off, s[0:3], 0 offset:144
	s_waitcnt vmcnt(20)
	buffer_store_dword v92, off, s[0:3], 0 offset:160
	buffer_store_dword v93, off, s[0:3], 0 offset:164
	buffer_store_dword v94, off, s[0:3], 0 offset:168
	buffer_store_dword v95, off, s[0:3], 0 offset:172
	s_waitcnt vmcnt(19)
	buffer_store_dword v96, off, s[0:3], 0 offset:176
	buffer_store_dword v97, off, s[0:3], 0 offset:180
	buffer_store_dword v98, off, s[0:3], 0 offset:184
	buffer_store_dword v99, off, s[0:3], 0 offset:188
	s_waitcnt vmcnt(18)
	buffer_store_dword v100, off, s[0:3], 0 offset:192
	buffer_store_dword v101, off, s[0:3], 0 offset:196
	buffer_store_dword v102, off, s[0:3], 0 offset:200
	buffer_store_dword v103, off, s[0:3], 0 offset:204
	s_waitcnt vmcnt(17)
	buffer_store_dword v107, off, s[0:3], 0 offset:220
	buffer_store_dword v106, off, s[0:3], 0 offset:216
	buffer_store_dword v105, off, s[0:3], 0 offset:212
	buffer_store_dword v104, off, s[0:3], 0 offset:208
	s_waitcnt vmcnt(16)
	buffer_store_dword v111, off, s[0:3], 0 offset:236
	buffer_store_dword v110, off, s[0:3], 0 offset:232
	buffer_store_dword v109, off, s[0:3], 0 offset:228
	buffer_store_dword v108, off, s[0:3], 0 offset:224
	s_waitcnt vmcnt(15)
	buffer_store_dword v115, off, s[0:3], 0 offset:252
	buffer_store_dword v114, off, s[0:3], 0 offset:248
	buffer_store_dword v113, off, s[0:3], 0 offset:244
	buffer_store_dword v112, off, s[0:3], 0 offset:240
	s_waitcnt vmcnt(14)
	buffer_store_dword v119, off, s[0:3], 0 offset:268
	buffer_store_dword v118, off, s[0:3], 0 offset:264
	buffer_store_dword v117, off, s[0:3], 0 offset:260
	buffer_store_dword v116, off, s[0:3], 0 offset:256
	s_waitcnt vmcnt(13)
	buffer_store_dword v123, off, s[0:3], 0 offset:284
	buffer_store_dword v122, off, s[0:3], 0 offset:280
	buffer_store_dword v121, off, s[0:3], 0 offset:276
	buffer_store_dword v120, off, s[0:3], 0 offset:272
	s_waitcnt vmcnt(12)
	buffer_store_dword v127, off, s[0:3], 0 offset:300
	buffer_store_dword v126, off, s[0:3], 0 offset:296
	buffer_store_dword v125, off, s[0:3], 0 offset:292
	buffer_store_dword v124, off, s[0:3], 0 offset:288
	s_waitcnt vmcnt(11)
	buffer_store_dword v131, off, s[0:3], 0 offset:316
	buffer_store_dword v130, off, s[0:3], 0 offset:312
	buffer_store_dword v129, off, s[0:3], 0 offset:308
	buffer_store_dword v128, off, s[0:3], 0 offset:304
	s_waitcnt vmcnt(10)
	buffer_store_dword v135, off, s[0:3], 0 offset:332
	buffer_store_dword v134, off, s[0:3], 0 offset:328
	buffer_store_dword v133, off, s[0:3], 0 offset:324
	buffer_store_dword v132, off, s[0:3], 0 offset:320
	s_waitcnt vmcnt(9)
	buffer_store_dword v139, off, s[0:3], 0 offset:348
	buffer_store_dword v138, off, s[0:3], 0 offset:344
	buffer_store_dword v137, off, s[0:3], 0 offset:340
	buffer_store_dword v136, off, s[0:3], 0 offset:336
	s_waitcnt vmcnt(8)
	buffer_store_dword v143, off, s[0:3], 0 offset:364
	buffer_store_dword v142, off, s[0:3], 0 offset:360
	buffer_store_dword v141, off, s[0:3], 0 offset:356
	buffer_store_dword v140, off, s[0:3], 0 offset:352
	s_waitcnt vmcnt(7)
	buffer_store_dword v147, off, s[0:3], 0 offset:380
	buffer_store_dword v146, off, s[0:3], 0 offset:376
	buffer_store_dword v145, off, s[0:3], 0 offset:372
	buffer_store_dword v144, off, s[0:3], 0 offset:368
	s_waitcnt vmcnt(6)
	buffer_store_dword v4, off, s[0:3], 0 offset:396
	buffer_store_dword v3, off, s[0:3], 0 offset:392
	buffer_store_dword v2, off, s[0:3], 0 offset:388
	buffer_store_dword v1, off, s[0:3], 0 offset:384
	s_waitcnt vmcnt(5)
	buffer_store_dword v151, off, s[0:3], 0 offset:412
	buffer_store_dword v150, off, s[0:3], 0 offset:408
	buffer_store_dword v149, off, s[0:3], 0 offset:404
	buffer_store_dword v148, off, s[0:3], 0 offset:400
	s_waitcnt vmcnt(4)
	buffer_store_dword v68, off, s[0:3], 0 offset:428
	buffer_store_dword v67, off, s[0:3], 0 offset:424
	buffer_store_dword v66, off, s[0:3], 0 offset:420
	buffer_store_dword v65, off, s[0:3], 0 offset:416
	s_waitcnt vmcnt(3)
	buffer_store_dword v155, off, s[0:3], 0 offset:444
	buffer_store_dword v154, off, s[0:3], 0 offset:440
	buffer_store_dword v153, off, s[0:3], 0 offset:436
	buffer_store_dword v152, off, s[0:3], 0 offset:432
	s_waitcnt vmcnt(2)
	buffer_store_dword v75, off, s[0:3], 0 offset:460
	buffer_store_dword v74, off, s[0:3], 0 offset:456
	buffer_store_dword v73, off, s[0:3], 0 offset:452
	buffer_store_dword v72, off, s[0:3], 0 offset:448
	s_waitcnt vmcnt(1)
	buffer_store_dword v79, off, s[0:3], 0 offset:476
	buffer_store_dword v78, off, s[0:3], 0 offset:472
	buffer_store_dword v77, off, s[0:3], 0 offset:468
	buffer_store_dword v76, off, s[0:3], 0 offset:464
	s_waitcnt vmcnt(0)
	buffer_store_dword v83, off, s[0:3], 0 offset:492
	buffer_store_dword v82, off, s[0:3], 0 offset:488
	buffer_store_dword v81, off, s[0:3], 0 offset:484
	buffer_store_dword v80, off, s[0:3], 0 offset:480
	s_cbranch_scc1 .LBB29_132
; %bb.4:
	v_cmp_eq_u32_e64 s4, 0, v0
	s_and_saveexec_b32 s5, s4
; %bb.5:
	v_mov_b32_e32 v1, 0
	ds_write_b32 v1, v1 offset:960
; %bb.6:
	s_or_b32 exec_lo, exec_lo, s5
	v_lshl_add_u32 v72, v0, 4, 16
	s_waitcnt lgkmcnt(0)
	s_waitcnt_vscnt null, 0x0
	s_barrier
	buffer_gl0_inv
	s_clause 0x3
	buffer_load_dword v1, v72, s[0:3], 0 offen
	buffer_load_dword v2, v72, s[0:3], 0 offen offset:4
	buffer_load_dword v3, v72, s[0:3], 0 offen offset:8
	;; [unrolled: 1-line block ×3, first 2 shown]
	s_waitcnt vmcnt(2)
	v_cmp_eq_f64_e32 vcc_lo, 0, v[1:2]
	s_waitcnt vmcnt(0)
	v_cmp_eq_f64_e64 s5, 0, v[3:4]
	s_and_b32 s5, vcc_lo, s5
	s_and_saveexec_b32 s43, s5
	s_cbranch_execz .LBB29_10
; %bb.7:
	v_mov_b32_e32 v1, 0
	s_mov_b32 s44, 0
	ds_read_b32 v2, v1 offset:960
	s_waitcnt lgkmcnt(0)
	v_readfirstlane_b32 s5, v2
	v_add_nc_u32_e32 v2, 1, v0
	s_cmp_eq_u32 s5, 0
	v_cmp_gt_i32_e32 vcc_lo, s5, v2
	s_cselect_b32 s45, -1, 0
	s_or_b32 s45, s45, vcc_lo
	s_and_b32 exec_lo, exec_lo, s45
	s_cbranch_execz .LBB29_10
; %bb.8:
	v_mov_b32_e32 v3, s5
.LBB29_9:                               ; =>This Inner Loop Header: Depth=1
	ds_cmpst_rtn_b32 v3, v1, v3, v2 offset:960
	s_waitcnt lgkmcnt(0)
	v_cmp_ne_u32_e32 vcc_lo, 0, v3
	v_cmp_le_i32_e64 s5, v3, v2
	s_and_b32 s5, vcc_lo, s5
	s_and_b32 s5, exec_lo, s5
	s_or_b32 s44, s5, s44
	s_andn2_b32 exec_lo, exec_lo, s44
	s_cbranch_execnz .LBB29_9
.LBB29_10:
	s_or_b32 exec_lo, exec_lo, s43
	v_mov_b32_e32 v1, 0
	s_barrier
	buffer_gl0_inv
	ds_read_b32 v2, v1 offset:960
	s_and_saveexec_b32 s5, s4
	s_cbranch_execz .LBB29_12
; %bb.11:
	s_lshl_b64 s[44:45], s[6:7], 2
	s_add_u32 s44, s10, s44
	s_addc_u32 s45, s11, s45
	s_waitcnt lgkmcnt(0)
	global_store_dword v1, v2, s[44:45]
.LBB29_12:
	s_or_b32 exec_lo, exec_lo, s5
	s_waitcnt lgkmcnt(0)
	v_cmp_ne_u32_e32 vcc_lo, 0, v2
	s_mov_b32 s5, 0
	s_cbranch_vccnz .LBB29_132
; %bb.13:
	s_clause 0x3
	buffer_load_dword v67, v72, s[0:3], 0 offen
	buffer_load_dword v68, v72, s[0:3], 0 offen offset:4
	buffer_load_dword v69, v72, s[0:3], 0 offen offset:8
	;; [unrolled: 1-line block ×3, first 2 shown]
                                        ; implicit-def: $vgpr65_vgpr66
                                        ; implicit-def: $vgpr3_vgpr4
	s_waitcnt vmcnt(0)
	v_cmp_ngt_f64_e64 s5, |v[67:68]|, |v[69:70]|
	s_and_saveexec_b32 s43, s5
	s_xor_b32 s5, exec_lo, s43
	s_cbranch_execz .LBB29_15
; %bb.14:
	v_div_scale_f64 v[1:2], null, v[69:70], v[69:70], v[67:68]
	v_div_scale_f64 v[73:74], vcc_lo, v[67:68], v[69:70], v[67:68]
	v_rcp_f64_e32 v[3:4], v[1:2]
	v_fma_f64 v[65:66], -v[1:2], v[3:4], 1.0
	v_fma_f64 v[3:4], v[3:4], v[65:66], v[3:4]
	v_fma_f64 v[65:66], -v[1:2], v[3:4], 1.0
	v_fma_f64 v[3:4], v[3:4], v[65:66], v[3:4]
	v_mul_f64 v[65:66], v[73:74], v[3:4]
	v_fma_f64 v[1:2], -v[1:2], v[65:66], v[73:74]
	v_div_fmas_f64 v[1:2], v[1:2], v[3:4], v[65:66]
	v_div_fixup_f64 v[1:2], v[1:2], v[69:70], v[67:68]
	v_fma_f64 v[3:4], v[67:68], v[1:2], v[69:70]
	v_div_scale_f64 v[65:66], null, v[3:4], v[3:4], 1.0
	v_div_scale_f64 v[73:74], vcc_lo, 1.0, v[3:4], 1.0
	v_rcp_f64_e32 v[67:68], v[65:66]
	v_fma_f64 v[69:70], -v[65:66], v[67:68], 1.0
	v_fma_f64 v[67:68], v[67:68], v[69:70], v[67:68]
	v_fma_f64 v[69:70], -v[65:66], v[67:68], 1.0
	v_fma_f64 v[67:68], v[67:68], v[69:70], v[67:68]
	v_mul_f64 v[69:70], v[73:74], v[67:68]
	v_fma_f64 v[65:66], -v[65:66], v[69:70], v[73:74]
	v_div_fmas_f64 v[65:66], v[65:66], v[67:68], v[69:70]
                                        ; implicit-def: $vgpr67_vgpr68
                                        ; implicit-def: $vgpr69_vgpr70
	v_div_fixup_f64 v[3:4], v[65:66], v[3:4], 1.0
	v_mul_f64 v[65:66], v[1:2], v[3:4]
	v_xor_b32_e32 v4, 0x80000000, v4
	v_xor_b32_e32 v2, 0x80000000, v66
	v_mov_b32_e32 v1, v65
.LBB29_15:
	s_andn2_saveexec_b32 s5, s5
	s_cbranch_execz .LBB29_17
; %bb.16:
	v_div_scale_f64 v[1:2], null, v[67:68], v[67:68], v[69:70]
	v_div_scale_f64 v[73:74], vcc_lo, v[69:70], v[67:68], v[69:70]
	v_rcp_f64_e32 v[3:4], v[1:2]
	v_fma_f64 v[65:66], -v[1:2], v[3:4], 1.0
	v_fma_f64 v[3:4], v[3:4], v[65:66], v[3:4]
	v_fma_f64 v[65:66], -v[1:2], v[3:4], 1.0
	v_fma_f64 v[3:4], v[3:4], v[65:66], v[3:4]
	v_mul_f64 v[65:66], v[73:74], v[3:4]
	v_fma_f64 v[1:2], -v[1:2], v[65:66], v[73:74]
	v_div_fmas_f64 v[1:2], v[1:2], v[3:4], v[65:66]
	v_div_fixup_f64 v[1:2], v[1:2], v[67:68], v[69:70]
	v_fma_f64 v[3:4], v[69:70], v[1:2], v[67:68]
	v_div_scale_f64 v[65:66], null, v[3:4], v[3:4], 1.0
	v_rcp_f64_e32 v[67:68], v[65:66]
	v_fma_f64 v[69:70], -v[65:66], v[67:68], 1.0
	v_fma_f64 v[67:68], v[67:68], v[69:70], v[67:68]
	v_fma_f64 v[69:70], -v[65:66], v[67:68], 1.0
	v_fma_f64 v[67:68], v[67:68], v[69:70], v[67:68]
	v_div_scale_f64 v[69:70], vcc_lo, 1.0, v[3:4], 1.0
	v_mul_f64 v[73:74], v[69:70], v[67:68]
	v_fma_f64 v[65:66], -v[65:66], v[73:74], v[69:70]
	v_div_fmas_f64 v[65:66], v[65:66], v[67:68], v[73:74]
	v_div_fixup_f64 v[65:66], v[65:66], v[3:4], 1.0
	v_mul_f64 v[3:4], v[1:2], -v[65:66]
	v_xor_b32_e32 v2, 0x80000000, v66
	v_mov_b32_e32 v1, v65
.LBB29_17:
	s_or_b32 exec_lo, exec_lo, s5
	v_mov_b32_e32 v70, s42
	buffer_store_dword v66, v72, s[0:3], 0 offen offset:4
	buffer_store_dword v65, v72, s[0:3], 0 offen
	buffer_store_dword v4, v72, s[0:3], 0 offen offset:12
	buffer_store_dword v3, v72, s[0:3], 0 offen offset:8
	v_xor_b32_e32 v4, 0x80000000, v4
	v_add_nc_u32_e32 v65, 0x1e0, v71
	s_clause 0x3
	buffer_load_dword v69, v70, s[0:3], 0 offen offset:12
	buffer_load_dword v68, v70, s[0:3], 0 offen offset:8
	;; [unrolled: 1-line block ×3, first 2 shown]
	buffer_load_dword v66, v70, s[0:3], 0 offen
	ds_write_b128 v71, v[1:4]
	s_waitcnt vmcnt(0)
	ds_write_b128 v71, v[66:69] offset:480
	s_waitcnt lgkmcnt(0)
	s_waitcnt_vscnt null, 0x0
	s_barrier
	buffer_gl0_inv
	s_and_saveexec_b32 s5, s4
	s_cbranch_execz .LBB29_19
; %bb.18:
	s_clause 0x3
	buffer_load_dword v73, v72, s[0:3], 0 offen offset:8
	buffer_load_dword v74, v72, s[0:3], 0 offen offset:12
	buffer_load_dword v75, v72, s[0:3], 0 offen
	buffer_load_dword v76, v72, s[0:3], 0 offen offset:4
	ds_read_b128 v[1:4], v65
	v_mov_b32_e32 v66, 0
	ds_read_b128 v[66:69], v66 offset:16
	s_waitcnt vmcnt(2) lgkmcnt(1)
	v_mul_f64 v[77:78], v[1:2], v[73:74]
	v_mul_f64 v[73:74], v[3:4], v[73:74]
	s_waitcnt vmcnt(0)
	v_fma_f64 v[3:4], v[3:4], v[75:76], v[77:78]
	v_fma_f64 v[1:2], v[1:2], v[75:76], -v[73:74]
	v_add_f64 v[3:4], v[3:4], 0
	v_add_f64 v[1:2], v[1:2], 0
	s_waitcnt lgkmcnt(0)
	v_mul_f64 v[73:74], v[3:4], v[68:69]
	v_mul_f64 v[68:69], v[1:2], v[68:69]
	v_fma_f64 v[1:2], v[1:2], v[66:67], -v[73:74]
	v_fma_f64 v[3:4], v[3:4], v[66:67], v[68:69]
	buffer_store_dword v1, off, s[0:3], 0 offset:32
	buffer_store_dword v2, off, s[0:3], 0 offset:36
	;; [unrolled: 1-line block ×4, first 2 shown]
.LBB29_19:
	s_or_b32 exec_lo, exec_lo, s5
	v_mov_b32_e32 v4, s41
	s_waitcnt_vscnt null, 0x0
	s_barrier
	buffer_gl0_inv
	s_mov_b32 s5, exec_lo
	s_clause 0x3
	buffer_load_dword v1, v4, s[0:3], 0 offen
	buffer_load_dword v2, v4, s[0:3], 0 offen offset:4
	buffer_load_dword v3, v4, s[0:3], 0 offen offset:8
	;; [unrolled: 1-line block ×3, first 2 shown]
	s_waitcnt vmcnt(0)
	ds_write_b128 v65, v[1:4]
	s_waitcnt lgkmcnt(0)
	s_barrier
	buffer_gl0_inv
	v_cmpx_gt_u32_e32 2, v0
	s_cbranch_execz .LBB29_23
; %bb.20:
	s_clause 0x3
	buffer_load_dword v66, v72, s[0:3], 0 offen offset:8
	buffer_load_dword v67, v72, s[0:3], 0 offen offset:12
	buffer_load_dword v68, v72, s[0:3], 0 offen
	buffer_load_dword v69, v72, s[0:3], 0 offen offset:4
	ds_read_b128 v[1:4], v65
	s_waitcnt vmcnt(2) lgkmcnt(0)
	v_mul_f64 v[72:73], v[3:4], v[66:67]
	v_mul_f64 v[66:67], v[1:2], v[66:67]
	s_waitcnt vmcnt(0)
	v_fma_f64 v[1:2], v[1:2], v[68:69], -v[72:73]
	v_fma_f64 v[3:4], v[3:4], v[68:69], v[66:67]
	v_add_f64 v[1:2], v[1:2], 0
	v_add_f64 v[3:4], v[3:4], 0
	s_and_saveexec_b32 s43, s4
	s_cbranch_execz .LBB29_22
; %bb.21:
	s_clause 0x3
	buffer_load_dword v72, off, s[0:3], 0 offset:40
	buffer_load_dword v73, off, s[0:3], 0 offset:44
	;; [unrolled: 1-line block ×4, first 2 shown]
	v_mov_b32_e32 v66, 0
	ds_read_b128 v[66:69], v66 offset:496
	s_waitcnt vmcnt(2) lgkmcnt(0)
	v_mul_f64 v[76:77], v[66:67], v[72:73]
	v_mul_f64 v[72:73], v[68:69], v[72:73]
	s_waitcnt vmcnt(0)
	v_fma_f64 v[68:69], v[68:69], v[74:75], v[76:77]
	v_fma_f64 v[66:67], v[66:67], v[74:75], -v[72:73]
	v_add_f64 v[3:4], v[3:4], v[68:69]
	v_add_f64 v[1:2], v[1:2], v[66:67]
.LBB29_22:
	s_or_b32 exec_lo, exec_lo, s43
	v_mov_b32_e32 v66, 0
	ds_read_b128 v[66:69], v66 offset:32
	s_waitcnt lgkmcnt(0)
	v_mul_f64 v[72:73], v[3:4], v[68:69]
	v_mul_f64 v[68:69], v[1:2], v[68:69]
	v_fma_f64 v[1:2], v[1:2], v[66:67], -v[72:73]
	v_fma_f64 v[3:4], v[3:4], v[66:67], v[68:69]
	buffer_store_dword v2, off, s[0:3], 0 offset:52
	buffer_store_dword v1, off, s[0:3], 0 offset:48
	;; [unrolled: 1-line block ×4, first 2 shown]
.LBB29_23:
	s_or_b32 exec_lo, exec_lo, s5
	v_mov_b32_e32 v4, s40
	s_waitcnt_vscnt null, 0x0
	s_barrier
	buffer_gl0_inv
	v_add_nc_u32_e32 v66, -1, v0
	s_clause 0x3
	buffer_load_dword v1, v4, s[0:3], 0 offen
	buffer_load_dword v2, v4, s[0:3], 0 offen offset:4
	buffer_load_dword v3, v4, s[0:3], 0 offen offset:8
	;; [unrolled: 1-line block ×3, first 2 shown]
	s_mov_b32 s4, exec_lo
	s_waitcnt vmcnt(0)
	ds_write_b128 v65, v[1:4]
	s_waitcnt lgkmcnt(0)
	s_barrier
	buffer_gl0_inv
	v_cmpx_gt_u32_e32 3, v0
	s_cbranch_execz .LBB29_27
; %bb.24:
	v_mov_b32_e32 v1, 0
	v_mov_b32_e32 v3, 0
	v_add_nc_u32_e32 v67, -1, v0
	v_add_nc_u32_e32 v68, 0x1e0, v71
	v_mov_b32_e32 v2, 0
	v_mov_b32_e32 v4, 0
	v_add_nc_u32_e32 v69, 16, v71
	s_mov_b32 s5, 0
	.p2align	6
.LBB29_25:                              ; =>This Inner Loop Header: Depth=1
	s_clause 0x3
	buffer_load_dword v76, v69, s[0:3], 0 offen offset:8
	buffer_load_dword v77, v69, s[0:3], 0 offen offset:12
	buffer_load_dword v78, v69, s[0:3], 0 offen
	buffer_load_dword v79, v69, s[0:3], 0 offen offset:4
	ds_read_b128 v[72:75], v68
	v_add_nc_u32_e32 v67, 1, v67
	v_add_nc_u32_e32 v68, 16, v68
	;; [unrolled: 1-line block ×3, first 2 shown]
	v_cmp_lt_u32_e32 vcc_lo, 1, v67
	s_or_b32 s5, vcc_lo, s5
	s_waitcnt vmcnt(2) lgkmcnt(0)
	v_mul_f64 v[80:81], v[74:75], v[76:77]
	v_mul_f64 v[76:77], v[72:73], v[76:77]
	s_waitcnt vmcnt(0)
	v_fma_f64 v[72:73], v[72:73], v[78:79], -v[80:81]
	v_fma_f64 v[74:75], v[74:75], v[78:79], v[76:77]
	v_add_f64 v[3:4], v[3:4], v[72:73]
	v_add_f64 v[1:2], v[1:2], v[74:75]
	s_andn2_b32 exec_lo, exec_lo, s5
	s_cbranch_execnz .LBB29_25
; %bb.26:
	s_or_b32 exec_lo, exec_lo, s5
	v_mov_b32_e32 v67, 0
	ds_read_b128 v[67:70], v67 offset:48
	s_waitcnt lgkmcnt(0)
	v_mul_f64 v[72:73], v[1:2], v[69:70]
	v_mul_f64 v[69:70], v[3:4], v[69:70]
	v_fma_f64 v[3:4], v[3:4], v[67:68], -v[72:73]
	v_fma_f64 v[1:2], v[1:2], v[67:68], v[69:70]
	buffer_store_dword v4, off, s[0:3], 0 offset:68
	buffer_store_dword v3, off, s[0:3], 0 offset:64
	;; [unrolled: 1-line block ×4, first 2 shown]
.LBB29_27:
	s_or_b32 exec_lo, exec_lo, s4
	v_mov_b32_e32 v4, s39
	s_waitcnt_vscnt null, 0x0
	s_barrier
	buffer_gl0_inv
	s_mov_b32 s4, exec_lo
	s_clause 0x3
	buffer_load_dword v1, v4, s[0:3], 0 offen
	buffer_load_dword v2, v4, s[0:3], 0 offen offset:4
	buffer_load_dword v3, v4, s[0:3], 0 offen offset:8
	buffer_load_dword v4, v4, s[0:3], 0 offen offset:12
	s_waitcnt vmcnt(0)
	ds_write_b128 v65, v[1:4]
	s_waitcnt lgkmcnt(0)
	s_barrier
	buffer_gl0_inv
	v_cmpx_gt_u32_e32 4, v0
	s_cbranch_execz .LBB29_31
; %bb.28:
	v_mov_b32_e32 v1, 0
	v_mov_b32_e32 v3, 0
	v_add_nc_u32_e32 v67, -1, v0
	v_add_nc_u32_e32 v68, 0x1e0, v71
	v_mov_b32_e32 v2, 0
	v_mov_b32_e32 v4, 0
	v_add_nc_u32_e32 v69, 16, v71
	s_mov_b32 s5, 0
	.p2align	6
.LBB29_29:                              ; =>This Inner Loop Header: Depth=1
	s_clause 0x3
	buffer_load_dword v76, v69, s[0:3], 0 offen offset:8
	buffer_load_dword v77, v69, s[0:3], 0 offen offset:12
	buffer_load_dword v78, v69, s[0:3], 0 offen
	buffer_load_dword v79, v69, s[0:3], 0 offen offset:4
	ds_read_b128 v[72:75], v68
	v_add_nc_u32_e32 v67, 1, v67
	v_add_nc_u32_e32 v68, 16, v68
	;; [unrolled: 1-line block ×3, first 2 shown]
	v_cmp_lt_u32_e32 vcc_lo, 2, v67
	s_or_b32 s5, vcc_lo, s5
	s_waitcnt vmcnt(2) lgkmcnt(0)
	v_mul_f64 v[80:81], v[74:75], v[76:77]
	v_mul_f64 v[76:77], v[72:73], v[76:77]
	s_waitcnt vmcnt(0)
	v_fma_f64 v[72:73], v[72:73], v[78:79], -v[80:81]
	v_fma_f64 v[74:75], v[74:75], v[78:79], v[76:77]
	v_add_f64 v[3:4], v[3:4], v[72:73]
	v_add_f64 v[1:2], v[1:2], v[74:75]
	s_andn2_b32 exec_lo, exec_lo, s5
	s_cbranch_execnz .LBB29_29
; %bb.30:
	s_or_b32 exec_lo, exec_lo, s5
	v_mov_b32_e32 v67, 0
	ds_read_b128 v[67:70], v67 offset:64
	s_waitcnt lgkmcnt(0)
	v_mul_f64 v[72:73], v[1:2], v[69:70]
	v_mul_f64 v[69:70], v[3:4], v[69:70]
	v_fma_f64 v[3:4], v[3:4], v[67:68], -v[72:73]
	v_fma_f64 v[1:2], v[1:2], v[67:68], v[69:70]
	buffer_store_dword v4, off, s[0:3], 0 offset:84
	buffer_store_dword v3, off, s[0:3], 0 offset:80
	;; [unrolled: 1-line block ×4, first 2 shown]
.LBB29_31:
	s_or_b32 exec_lo, exec_lo, s4
	v_mov_b32_e32 v4, s38
	s_waitcnt_vscnt null, 0x0
	s_barrier
	buffer_gl0_inv
	s_mov_b32 s4, exec_lo
	s_clause 0x3
	buffer_load_dword v1, v4, s[0:3], 0 offen
	buffer_load_dword v2, v4, s[0:3], 0 offen offset:4
	buffer_load_dword v3, v4, s[0:3], 0 offen offset:8
	;; [unrolled: 1-line block ×3, first 2 shown]
	s_waitcnt vmcnt(0)
	ds_write_b128 v65, v[1:4]
	s_waitcnt lgkmcnt(0)
	s_barrier
	buffer_gl0_inv
	v_cmpx_gt_u32_e32 5, v0
	s_cbranch_execz .LBB29_35
; %bb.32:
	v_mov_b32_e32 v1, 0
	v_mov_b32_e32 v3, 0
	v_add_nc_u32_e32 v67, -1, v0
	v_add_nc_u32_e32 v68, 0x1e0, v71
	v_mov_b32_e32 v2, 0
	v_mov_b32_e32 v4, 0
	v_add_nc_u32_e32 v69, 16, v71
	s_mov_b32 s5, 0
	.p2align	6
.LBB29_33:                              ; =>This Inner Loop Header: Depth=1
	s_clause 0x3
	buffer_load_dword v76, v69, s[0:3], 0 offen offset:8
	buffer_load_dword v77, v69, s[0:3], 0 offen offset:12
	buffer_load_dword v78, v69, s[0:3], 0 offen
	buffer_load_dword v79, v69, s[0:3], 0 offen offset:4
	ds_read_b128 v[72:75], v68
	v_add_nc_u32_e32 v67, 1, v67
	v_add_nc_u32_e32 v68, 16, v68
	;; [unrolled: 1-line block ×3, first 2 shown]
	v_cmp_lt_u32_e32 vcc_lo, 3, v67
	s_or_b32 s5, vcc_lo, s5
	s_waitcnt vmcnt(2) lgkmcnt(0)
	v_mul_f64 v[80:81], v[74:75], v[76:77]
	v_mul_f64 v[76:77], v[72:73], v[76:77]
	s_waitcnt vmcnt(0)
	v_fma_f64 v[72:73], v[72:73], v[78:79], -v[80:81]
	v_fma_f64 v[74:75], v[74:75], v[78:79], v[76:77]
	v_add_f64 v[3:4], v[3:4], v[72:73]
	v_add_f64 v[1:2], v[1:2], v[74:75]
	s_andn2_b32 exec_lo, exec_lo, s5
	s_cbranch_execnz .LBB29_33
; %bb.34:
	s_or_b32 exec_lo, exec_lo, s5
	v_mov_b32_e32 v67, 0
	ds_read_b128 v[67:70], v67 offset:80
	s_waitcnt lgkmcnt(0)
	v_mul_f64 v[72:73], v[1:2], v[69:70]
	v_mul_f64 v[69:70], v[3:4], v[69:70]
	v_fma_f64 v[3:4], v[3:4], v[67:68], -v[72:73]
	v_fma_f64 v[1:2], v[1:2], v[67:68], v[69:70]
	buffer_store_dword v4, off, s[0:3], 0 offset:100
	buffer_store_dword v3, off, s[0:3], 0 offset:96
	;; [unrolled: 1-line block ×4, first 2 shown]
.LBB29_35:
	s_or_b32 exec_lo, exec_lo, s4
	v_mov_b32_e32 v4, s36
	s_waitcnt_vscnt null, 0x0
	s_barrier
	buffer_gl0_inv
	s_mov_b32 s4, exec_lo
	s_clause 0x3
	buffer_load_dword v1, v4, s[0:3], 0 offen
	buffer_load_dword v2, v4, s[0:3], 0 offen offset:4
	buffer_load_dword v3, v4, s[0:3], 0 offen offset:8
	;; [unrolled: 1-line block ×3, first 2 shown]
	s_waitcnt vmcnt(0)
	ds_write_b128 v65, v[1:4]
	s_waitcnt lgkmcnt(0)
	s_barrier
	buffer_gl0_inv
	v_cmpx_gt_u32_e32 6, v0
	s_cbranch_execz .LBB29_39
; %bb.36:
	v_mov_b32_e32 v1, 0
	v_mov_b32_e32 v3, 0
	v_add_nc_u32_e32 v67, -1, v0
	v_add_nc_u32_e32 v68, 0x1e0, v71
	v_mov_b32_e32 v2, 0
	v_mov_b32_e32 v4, 0
	v_add_nc_u32_e32 v69, 16, v71
	s_mov_b32 s5, 0
	.p2align	6
.LBB29_37:                              ; =>This Inner Loop Header: Depth=1
	s_clause 0x3
	buffer_load_dword v76, v69, s[0:3], 0 offen offset:8
	buffer_load_dword v77, v69, s[0:3], 0 offen offset:12
	buffer_load_dword v78, v69, s[0:3], 0 offen
	buffer_load_dword v79, v69, s[0:3], 0 offen offset:4
	ds_read_b128 v[72:75], v68
	v_add_nc_u32_e32 v67, 1, v67
	v_add_nc_u32_e32 v68, 16, v68
	;; [unrolled: 1-line block ×3, first 2 shown]
	v_cmp_lt_u32_e32 vcc_lo, 4, v67
	s_or_b32 s5, vcc_lo, s5
	s_waitcnt vmcnt(2) lgkmcnt(0)
	v_mul_f64 v[80:81], v[74:75], v[76:77]
	v_mul_f64 v[76:77], v[72:73], v[76:77]
	s_waitcnt vmcnt(0)
	v_fma_f64 v[72:73], v[72:73], v[78:79], -v[80:81]
	v_fma_f64 v[74:75], v[74:75], v[78:79], v[76:77]
	v_add_f64 v[3:4], v[3:4], v[72:73]
	v_add_f64 v[1:2], v[1:2], v[74:75]
	s_andn2_b32 exec_lo, exec_lo, s5
	s_cbranch_execnz .LBB29_37
; %bb.38:
	s_or_b32 exec_lo, exec_lo, s5
	v_mov_b32_e32 v67, 0
	ds_read_b128 v[67:70], v67 offset:96
	s_waitcnt lgkmcnt(0)
	v_mul_f64 v[72:73], v[1:2], v[69:70]
	v_mul_f64 v[69:70], v[3:4], v[69:70]
	v_fma_f64 v[3:4], v[3:4], v[67:68], -v[72:73]
	v_fma_f64 v[1:2], v[1:2], v[67:68], v[69:70]
	buffer_store_dword v4, off, s[0:3], 0 offset:116
	buffer_store_dword v3, off, s[0:3], 0 offset:112
	;; [unrolled: 1-line block ×4, first 2 shown]
.LBB29_39:
	s_or_b32 exec_lo, exec_lo, s4
	v_mov_b32_e32 v4, s35
	s_waitcnt_vscnt null, 0x0
	s_barrier
	buffer_gl0_inv
	s_mov_b32 s4, exec_lo
	s_clause 0x3
	buffer_load_dword v1, v4, s[0:3], 0 offen
	buffer_load_dword v2, v4, s[0:3], 0 offen offset:4
	buffer_load_dword v3, v4, s[0:3], 0 offen offset:8
	buffer_load_dword v4, v4, s[0:3], 0 offen offset:12
	s_waitcnt vmcnt(0)
	ds_write_b128 v65, v[1:4]
	s_waitcnt lgkmcnt(0)
	s_barrier
	buffer_gl0_inv
	v_cmpx_gt_u32_e32 7, v0
	s_cbranch_execz .LBB29_43
; %bb.40:
	v_mov_b32_e32 v1, 0
	v_mov_b32_e32 v3, 0
	v_add_nc_u32_e32 v67, -1, v0
	v_add_nc_u32_e32 v68, 0x1e0, v71
	v_mov_b32_e32 v2, 0
	v_mov_b32_e32 v4, 0
	v_add_nc_u32_e32 v69, 16, v71
	s_mov_b32 s5, 0
	.p2align	6
.LBB29_41:                              ; =>This Inner Loop Header: Depth=1
	s_clause 0x3
	buffer_load_dword v76, v69, s[0:3], 0 offen offset:8
	buffer_load_dword v77, v69, s[0:3], 0 offen offset:12
	buffer_load_dword v78, v69, s[0:3], 0 offen
	buffer_load_dword v79, v69, s[0:3], 0 offen offset:4
	ds_read_b128 v[72:75], v68
	v_add_nc_u32_e32 v67, 1, v67
	v_add_nc_u32_e32 v68, 16, v68
	;; [unrolled: 1-line block ×3, first 2 shown]
	v_cmp_lt_u32_e32 vcc_lo, 5, v67
	s_or_b32 s5, vcc_lo, s5
	s_waitcnt vmcnt(2) lgkmcnt(0)
	v_mul_f64 v[80:81], v[74:75], v[76:77]
	v_mul_f64 v[76:77], v[72:73], v[76:77]
	s_waitcnt vmcnt(0)
	v_fma_f64 v[72:73], v[72:73], v[78:79], -v[80:81]
	v_fma_f64 v[74:75], v[74:75], v[78:79], v[76:77]
	v_add_f64 v[3:4], v[3:4], v[72:73]
	v_add_f64 v[1:2], v[1:2], v[74:75]
	s_andn2_b32 exec_lo, exec_lo, s5
	s_cbranch_execnz .LBB29_41
; %bb.42:
	s_or_b32 exec_lo, exec_lo, s5
	v_mov_b32_e32 v67, 0
	ds_read_b128 v[67:70], v67 offset:112
	s_waitcnt lgkmcnt(0)
	v_mul_f64 v[72:73], v[1:2], v[69:70]
	v_mul_f64 v[69:70], v[3:4], v[69:70]
	v_fma_f64 v[3:4], v[3:4], v[67:68], -v[72:73]
	v_fma_f64 v[1:2], v[1:2], v[67:68], v[69:70]
	buffer_store_dword v4, off, s[0:3], 0 offset:132
	buffer_store_dword v3, off, s[0:3], 0 offset:128
	;; [unrolled: 1-line block ×4, first 2 shown]
.LBB29_43:
	s_or_b32 exec_lo, exec_lo, s4
	v_mov_b32_e32 v4, s34
	s_waitcnt_vscnt null, 0x0
	s_barrier
	buffer_gl0_inv
	s_mov_b32 s4, exec_lo
	s_clause 0x3
	buffer_load_dword v1, v4, s[0:3], 0 offen
	buffer_load_dword v2, v4, s[0:3], 0 offen offset:4
	buffer_load_dword v3, v4, s[0:3], 0 offen offset:8
	;; [unrolled: 1-line block ×3, first 2 shown]
	s_waitcnt vmcnt(0)
	ds_write_b128 v65, v[1:4]
	s_waitcnt lgkmcnt(0)
	s_barrier
	buffer_gl0_inv
	v_cmpx_gt_u32_e32 8, v0
	s_cbranch_execz .LBB29_47
; %bb.44:
	v_mov_b32_e32 v1, 0
	v_mov_b32_e32 v3, 0
	v_add_nc_u32_e32 v67, -1, v0
	v_add_nc_u32_e32 v68, 0x1e0, v71
	v_mov_b32_e32 v2, 0
	v_mov_b32_e32 v4, 0
	v_add_nc_u32_e32 v69, 16, v71
	s_mov_b32 s5, 0
	.p2align	6
.LBB29_45:                              ; =>This Inner Loop Header: Depth=1
	s_clause 0x3
	buffer_load_dword v76, v69, s[0:3], 0 offen offset:8
	buffer_load_dword v77, v69, s[0:3], 0 offen offset:12
	buffer_load_dword v78, v69, s[0:3], 0 offen
	buffer_load_dword v79, v69, s[0:3], 0 offen offset:4
	ds_read_b128 v[72:75], v68
	v_add_nc_u32_e32 v67, 1, v67
	v_add_nc_u32_e32 v68, 16, v68
	;; [unrolled: 1-line block ×3, first 2 shown]
	v_cmp_lt_u32_e32 vcc_lo, 6, v67
	s_or_b32 s5, vcc_lo, s5
	s_waitcnt vmcnt(2) lgkmcnt(0)
	v_mul_f64 v[80:81], v[74:75], v[76:77]
	v_mul_f64 v[76:77], v[72:73], v[76:77]
	s_waitcnt vmcnt(0)
	v_fma_f64 v[72:73], v[72:73], v[78:79], -v[80:81]
	v_fma_f64 v[74:75], v[74:75], v[78:79], v[76:77]
	v_add_f64 v[3:4], v[3:4], v[72:73]
	v_add_f64 v[1:2], v[1:2], v[74:75]
	s_andn2_b32 exec_lo, exec_lo, s5
	s_cbranch_execnz .LBB29_45
; %bb.46:
	s_or_b32 exec_lo, exec_lo, s5
	v_mov_b32_e32 v67, 0
	ds_read_b128 v[67:70], v67 offset:128
	s_waitcnt lgkmcnt(0)
	v_mul_f64 v[72:73], v[1:2], v[69:70]
	v_mul_f64 v[69:70], v[3:4], v[69:70]
	v_fma_f64 v[3:4], v[3:4], v[67:68], -v[72:73]
	v_fma_f64 v[1:2], v[1:2], v[67:68], v[69:70]
	buffer_store_dword v4, off, s[0:3], 0 offset:148
	buffer_store_dword v3, off, s[0:3], 0 offset:144
	;; [unrolled: 1-line block ×4, first 2 shown]
.LBB29_47:
	s_or_b32 exec_lo, exec_lo, s4
	v_mov_b32_e32 v4, s33
	s_waitcnt_vscnt null, 0x0
	s_barrier
	buffer_gl0_inv
	s_mov_b32 s4, exec_lo
	s_clause 0x3
	buffer_load_dword v1, v4, s[0:3], 0 offen
	buffer_load_dword v2, v4, s[0:3], 0 offen offset:4
	buffer_load_dword v3, v4, s[0:3], 0 offen offset:8
	buffer_load_dword v4, v4, s[0:3], 0 offen offset:12
	s_waitcnt vmcnt(0)
	ds_write_b128 v65, v[1:4]
	s_waitcnt lgkmcnt(0)
	s_barrier
	buffer_gl0_inv
	v_cmpx_gt_u32_e32 9, v0
	s_cbranch_execz .LBB29_51
; %bb.48:
	v_mov_b32_e32 v1, 0
	v_mov_b32_e32 v3, 0
	v_add_nc_u32_e32 v67, -1, v0
	v_add_nc_u32_e32 v68, 0x1e0, v71
	v_mov_b32_e32 v2, 0
	v_mov_b32_e32 v4, 0
	v_add_nc_u32_e32 v69, 16, v71
	s_mov_b32 s5, 0
	.p2align	6
.LBB29_49:                              ; =>This Inner Loop Header: Depth=1
	s_clause 0x3
	buffer_load_dword v76, v69, s[0:3], 0 offen offset:8
	buffer_load_dword v77, v69, s[0:3], 0 offen offset:12
	buffer_load_dword v78, v69, s[0:3], 0 offen
	buffer_load_dword v79, v69, s[0:3], 0 offen offset:4
	ds_read_b128 v[72:75], v68
	v_add_nc_u32_e32 v67, 1, v67
	v_add_nc_u32_e32 v68, 16, v68
	;; [unrolled: 1-line block ×3, first 2 shown]
	v_cmp_lt_u32_e32 vcc_lo, 7, v67
	s_or_b32 s5, vcc_lo, s5
	s_waitcnt vmcnt(2) lgkmcnt(0)
	v_mul_f64 v[80:81], v[74:75], v[76:77]
	v_mul_f64 v[76:77], v[72:73], v[76:77]
	s_waitcnt vmcnt(0)
	v_fma_f64 v[72:73], v[72:73], v[78:79], -v[80:81]
	v_fma_f64 v[74:75], v[74:75], v[78:79], v[76:77]
	v_add_f64 v[3:4], v[3:4], v[72:73]
	v_add_f64 v[1:2], v[1:2], v[74:75]
	s_andn2_b32 exec_lo, exec_lo, s5
	s_cbranch_execnz .LBB29_49
; %bb.50:
	s_or_b32 exec_lo, exec_lo, s5
	v_mov_b32_e32 v67, 0
	ds_read_b128 v[67:70], v67 offset:144
	s_waitcnt lgkmcnt(0)
	v_mul_f64 v[72:73], v[1:2], v[69:70]
	v_mul_f64 v[69:70], v[3:4], v[69:70]
	v_fma_f64 v[3:4], v[3:4], v[67:68], -v[72:73]
	v_fma_f64 v[1:2], v[1:2], v[67:68], v[69:70]
	buffer_store_dword v4, off, s[0:3], 0 offset:164
	buffer_store_dword v3, off, s[0:3], 0 offset:160
	;; [unrolled: 1-line block ×4, first 2 shown]
.LBB29_51:
	s_or_b32 exec_lo, exec_lo, s4
	v_mov_b32_e32 v4, s31
	s_waitcnt_vscnt null, 0x0
	s_barrier
	buffer_gl0_inv
	s_mov_b32 s4, exec_lo
	s_clause 0x3
	buffer_load_dword v1, v4, s[0:3], 0 offen
	buffer_load_dword v2, v4, s[0:3], 0 offen offset:4
	buffer_load_dword v3, v4, s[0:3], 0 offen offset:8
	;; [unrolled: 1-line block ×3, first 2 shown]
	s_waitcnt vmcnt(0)
	ds_write_b128 v65, v[1:4]
	s_waitcnt lgkmcnt(0)
	s_barrier
	buffer_gl0_inv
	v_cmpx_gt_u32_e32 10, v0
	s_cbranch_execz .LBB29_55
; %bb.52:
	v_mov_b32_e32 v1, 0
	v_mov_b32_e32 v3, 0
	v_add_nc_u32_e32 v67, -1, v0
	v_add_nc_u32_e32 v68, 0x1e0, v71
	v_mov_b32_e32 v2, 0
	v_mov_b32_e32 v4, 0
	v_add_nc_u32_e32 v69, 16, v71
	s_mov_b32 s5, 0
	.p2align	6
.LBB29_53:                              ; =>This Inner Loop Header: Depth=1
	s_clause 0x3
	buffer_load_dword v76, v69, s[0:3], 0 offen offset:8
	buffer_load_dword v77, v69, s[0:3], 0 offen offset:12
	buffer_load_dword v78, v69, s[0:3], 0 offen
	buffer_load_dword v79, v69, s[0:3], 0 offen offset:4
	ds_read_b128 v[72:75], v68
	v_add_nc_u32_e32 v67, 1, v67
	v_add_nc_u32_e32 v68, 16, v68
	;; [unrolled: 1-line block ×3, first 2 shown]
	v_cmp_lt_u32_e32 vcc_lo, 8, v67
	s_or_b32 s5, vcc_lo, s5
	s_waitcnt vmcnt(2) lgkmcnt(0)
	v_mul_f64 v[80:81], v[74:75], v[76:77]
	v_mul_f64 v[76:77], v[72:73], v[76:77]
	s_waitcnt vmcnt(0)
	v_fma_f64 v[72:73], v[72:73], v[78:79], -v[80:81]
	v_fma_f64 v[74:75], v[74:75], v[78:79], v[76:77]
	v_add_f64 v[3:4], v[3:4], v[72:73]
	v_add_f64 v[1:2], v[1:2], v[74:75]
	s_andn2_b32 exec_lo, exec_lo, s5
	s_cbranch_execnz .LBB29_53
; %bb.54:
	s_or_b32 exec_lo, exec_lo, s5
	v_mov_b32_e32 v67, 0
	ds_read_b128 v[67:70], v67 offset:160
	s_waitcnt lgkmcnt(0)
	v_mul_f64 v[72:73], v[1:2], v[69:70]
	v_mul_f64 v[69:70], v[3:4], v[69:70]
	v_fma_f64 v[3:4], v[3:4], v[67:68], -v[72:73]
	v_fma_f64 v[1:2], v[1:2], v[67:68], v[69:70]
	buffer_store_dword v4, off, s[0:3], 0 offset:180
	buffer_store_dword v3, off, s[0:3], 0 offset:176
	;; [unrolled: 1-line block ×4, first 2 shown]
.LBB29_55:
	s_or_b32 exec_lo, exec_lo, s4
	v_mov_b32_e32 v4, s30
	s_waitcnt_vscnt null, 0x0
	s_barrier
	buffer_gl0_inv
	s_mov_b32 s4, exec_lo
	s_clause 0x3
	buffer_load_dword v1, v4, s[0:3], 0 offen
	buffer_load_dword v2, v4, s[0:3], 0 offen offset:4
	buffer_load_dword v3, v4, s[0:3], 0 offen offset:8
	;; [unrolled: 1-line block ×3, first 2 shown]
	s_waitcnt vmcnt(0)
	ds_write_b128 v65, v[1:4]
	s_waitcnt lgkmcnt(0)
	s_barrier
	buffer_gl0_inv
	v_cmpx_gt_u32_e32 11, v0
	s_cbranch_execz .LBB29_59
; %bb.56:
	v_mov_b32_e32 v1, 0
	v_mov_b32_e32 v3, 0
	v_add_nc_u32_e32 v67, -1, v0
	v_add_nc_u32_e32 v68, 0x1e0, v71
	v_mov_b32_e32 v2, 0
	v_mov_b32_e32 v4, 0
	v_add_nc_u32_e32 v69, 16, v71
	s_mov_b32 s5, 0
	.p2align	6
.LBB29_57:                              ; =>This Inner Loop Header: Depth=1
	s_clause 0x3
	buffer_load_dword v76, v69, s[0:3], 0 offen offset:8
	buffer_load_dword v77, v69, s[0:3], 0 offen offset:12
	buffer_load_dword v78, v69, s[0:3], 0 offen
	buffer_load_dword v79, v69, s[0:3], 0 offen offset:4
	ds_read_b128 v[72:75], v68
	v_add_nc_u32_e32 v67, 1, v67
	v_add_nc_u32_e32 v68, 16, v68
	;; [unrolled: 1-line block ×3, first 2 shown]
	v_cmp_lt_u32_e32 vcc_lo, 9, v67
	s_or_b32 s5, vcc_lo, s5
	s_waitcnt vmcnt(2) lgkmcnt(0)
	v_mul_f64 v[80:81], v[74:75], v[76:77]
	v_mul_f64 v[76:77], v[72:73], v[76:77]
	s_waitcnt vmcnt(0)
	v_fma_f64 v[72:73], v[72:73], v[78:79], -v[80:81]
	v_fma_f64 v[74:75], v[74:75], v[78:79], v[76:77]
	v_add_f64 v[3:4], v[3:4], v[72:73]
	v_add_f64 v[1:2], v[1:2], v[74:75]
	s_andn2_b32 exec_lo, exec_lo, s5
	s_cbranch_execnz .LBB29_57
; %bb.58:
	s_or_b32 exec_lo, exec_lo, s5
	v_mov_b32_e32 v67, 0
	ds_read_b128 v[67:70], v67 offset:176
	s_waitcnt lgkmcnt(0)
	v_mul_f64 v[72:73], v[1:2], v[69:70]
	v_mul_f64 v[69:70], v[3:4], v[69:70]
	v_fma_f64 v[3:4], v[3:4], v[67:68], -v[72:73]
	v_fma_f64 v[1:2], v[1:2], v[67:68], v[69:70]
	buffer_store_dword v4, off, s[0:3], 0 offset:196
	buffer_store_dword v3, off, s[0:3], 0 offset:192
	;; [unrolled: 1-line block ×4, first 2 shown]
.LBB29_59:
	s_or_b32 exec_lo, exec_lo, s4
	v_mov_b32_e32 v4, s29
	s_waitcnt_vscnt null, 0x0
	s_barrier
	buffer_gl0_inv
	s_mov_b32 s4, exec_lo
	s_clause 0x3
	buffer_load_dword v1, v4, s[0:3], 0 offen
	buffer_load_dword v2, v4, s[0:3], 0 offen offset:4
	buffer_load_dword v3, v4, s[0:3], 0 offen offset:8
	;; [unrolled: 1-line block ×3, first 2 shown]
	s_waitcnt vmcnt(0)
	ds_write_b128 v65, v[1:4]
	s_waitcnt lgkmcnt(0)
	s_barrier
	buffer_gl0_inv
	v_cmpx_gt_u32_e32 12, v0
	s_cbranch_execz .LBB29_63
; %bb.60:
	v_mov_b32_e32 v1, 0
	v_mov_b32_e32 v3, 0
	v_add_nc_u32_e32 v67, -1, v0
	v_add_nc_u32_e32 v68, 0x1e0, v71
	v_mov_b32_e32 v2, 0
	v_mov_b32_e32 v4, 0
	v_add_nc_u32_e32 v69, 16, v71
	s_mov_b32 s5, 0
	.p2align	6
.LBB29_61:                              ; =>This Inner Loop Header: Depth=1
	s_clause 0x3
	buffer_load_dword v76, v69, s[0:3], 0 offen offset:8
	buffer_load_dword v77, v69, s[0:3], 0 offen offset:12
	buffer_load_dword v78, v69, s[0:3], 0 offen
	buffer_load_dword v79, v69, s[0:3], 0 offen offset:4
	ds_read_b128 v[72:75], v68
	v_add_nc_u32_e32 v67, 1, v67
	v_add_nc_u32_e32 v68, 16, v68
	;; [unrolled: 1-line block ×3, first 2 shown]
	v_cmp_lt_u32_e32 vcc_lo, 10, v67
	s_or_b32 s5, vcc_lo, s5
	s_waitcnt vmcnt(2) lgkmcnt(0)
	v_mul_f64 v[80:81], v[74:75], v[76:77]
	v_mul_f64 v[76:77], v[72:73], v[76:77]
	s_waitcnt vmcnt(0)
	v_fma_f64 v[72:73], v[72:73], v[78:79], -v[80:81]
	v_fma_f64 v[74:75], v[74:75], v[78:79], v[76:77]
	v_add_f64 v[3:4], v[3:4], v[72:73]
	v_add_f64 v[1:2], v[1:2], v[74:75]
	s_andn2_b32 exec_lo, exec_lo, s5
	s_cbranch_execnz .LBB29_61
; %bb.62:
	s_or_b32 exec_lo, exec_lo, s5
	v_mov_b32_e32 v67, 0
	ds_read_b128 v[67:70], v67 offset:192
	s_waitcnt lgkmcnt(0)
	v_mul_f64 v[72:73], v[1:2], v[69:70]
	v_mul_f64 v[69:70], v[3:4], v[69:70]
	v_fma_f64 v[3:4], v[3:4], v[67:68], -v[72:73]
	v_fma_f64 v[1:2], v[1:2], v[67:68], v[69:70]
	buffer_store_dword v4, off, s[0:3], 0 offset:212
	buffer_store_dword v3, off, s[0:3], 0 offset:208
	buffer_store_dword v2, off, s[0:3], 0 offset:220
	buffer_store_dword v1, off, s[0:3], 0 offset:216
.LBB29_63:
	s_or_b32 exec_lo, exec_lo, s4
	v_mov_b32_e32 v4, s28
	s_waitcnt_vscnt null, 0x0
	s_barrier
	buffer_gl0_inv
	s_mov_b32 s4, exec_lo
	s_clause 0x3
	buffer_load_dword v1, v4, s[0:3], 0 offen
	buffer_load_dword v2, v4, s[0:3], 0 offen offset:4
	buffer_load_dword v3, v4, s[0:3], 0 offen offset:8
	;; [unrolled: 1-line block ×3, first 2 shown]
	s_waitcnt vmcnt(0)
	ds_write_b128 v65, v[1:4]
	s_waitcnt lgkmcnt(0)
	s_barrier
	buffer_gl0_inv
	v_cmpx_gt_u32_e32 13, v0
	s_cbranch_execz .LBB29_67
; %bb.64:
	v_mov_b32_e32 v1, 0
	v_mov_b32_e32 v3, 0
	v_add_nc_u32_e32 v67, -1, v0
	v_add_nc_u32_e32 v68, 0x1e0, v71
	v_mov_b32_e32 v2, 0
	v_mov_b32_e32 v4, 0
	v_add_nc_u32_e32 v69, 16, v71
	s_mov_b32 s5, 0
	.p2align	6
.LBB29_65:                              ; =>This Inner Loop Header: Depth=1
	s_clause 0x3
	buffer_load_dword v76, v69, s[0:3], 0 offen offset:8
	buffer_load_dword v77, v69, s[0:3], 0 offen offset:12
	buffer_load_dword v78, v69, s[0:3], 0 offen
	buffer_load_dword v79, v69, s[0:3], 0 offen offset:4
	ds_read_b128 v[72:75], v68
	v_add_nc_u32_e32 v67, 1, v67
	v_add_nc_u32_e32 v68, 16, v68
	;; [unrolled: 1-line block ×3, first 2 shown]
	v_cmp_lt_u32_e32 vcc_lo, 11, v67
	s_or_b32 s5, vcc_lo, s5
	s_waitcnt vmcnt(2) lgkmcnt(0)
	v_mul_f64 v[80:81], v[74:75], v[76:77]
	v_mul_f64 v[76:77], v[72:73], v[76:77]
	s_waitcnt vmcnt(0)
	v_fma_f64 v[72:73], v[72:73], v[78:79], -v[80:81]
	v_fma_f64 v[74:75], v[74:75], v[78:79], v[76:77]
	v_add_f64 v[3:4], v[3:4], v[72:73]
	v_add_f64 v[1:2], v[1:2], v[74:75]
	s_andn2_b32 exec_lo, exec_lo, s5
	s_cbranch_execnz .LBB29_65
; %bb.66:
	s_or_b32 exec_lo, exec_lo, s5
	v_mov_b32_e32 v67, 0
	ds_read_b128 v[67:70], v67 offset:208
	s_waitcnt lgkmcnt(0)
	v_mul_f64 v[72:73], v[1:2], v[69:70]
	v_mul_f64 v[69:70], v[3:4], v[69:70]
	v_fma_f64 v[3:4], v[3:4], v[67:68], -v[72:73]
	v_fma_f64 v[1:2], v[1:2], v[67:68], v[69:70]
	buffer_store_dword v4, off, s[0:3], 0 offset:228
	buffer_store_dword v3, off, s[0:3], 0 offset:224
	;; [unrolled: 1-line block ×4, first 2 shown]
.LBB29_67:
	s_or_b32 exec_lo, exec_lo, s4
	v_mov_b32_e32 v4, s27
	s_waitcnt_vscnt null, 0x0
	s_barrier
	buffer_gl0_inv
	s_mov_b32 s4, exec_lo
	s_clause 0x3
	buffer_load_dword v1, v4, s[0:3], 0 offen
	buffer_load_dword v2, v4, s[0:3], 0 offen offset:4
	buffer_load_dword v3, v4, s[0:3], 0 offen offset:8
	;; [unrolled: 1-line block ×3, first 2 shown]
	s_waitcnt vmcnt(0)
	ds_write_b128 v65, v[1:4]
	s_waitcnt lgkmcnt(0)
	s_barrier
	buffer_gl0_inv
	v_cmpx_gt_u32_e32 14, v0
	s_cbranch_execz .LBB29_71
; %bb.68:
	v_mov_b32_e32 v1, 0
	v_mov_b32_e32 v3, 0
	v_add_nc_u32_e32 v67, -1, v0
	v_add_nc_u32_e32 v68, 0x1e0, v71
	v_mov_b32_e32 v2, 0
	v_mov_b32_e32 v4, 0
	v_add_nc_u32_e32 v69, 16, v71
	s_mov_b32 s5, 0
	.p2align	6
.LBB29_69:                              ; =>This Inner Loop Header: Depth=1
	s_clause 0x3
	buffer_load_dword v76, v69, s[0:3], 0 offen offset:8
	buffer_load_dword v77, v69, s[0:3], 0 offen offset:12
	buffer_load_dword v78, v69, s[0:3], 0 offen
	buffer_load_dword v79, v69, s[0:3], 0 offen offset:4
	ds_read_b128 v[72:75], v68
	v_add_nc_u32_e32 v67, 1, v67
	v_add_nc_u32_e32 v68, 16, v68
	;; [unrolled: 1-line block ×3, first 2 shown]
	v_cmp_lt_u32_e32 vcc_lo, 12, v67
	s_or_b32 s5, vcc_lo, s5
	s_waitcnt vmcnt(2) lgkmcnt(0)
	v_mul_f64 v[80:81], v[74:75], v[76:77]
	v_mul_f64 v[76:77], v[72:73], v[76:77]
	s_waitcnt vmcnt(0)
	v_fma_f64 v[72:73], v[72:73], v[78:79], -v[80:81]
	v_fma_f64 v[74:75], v[74:75], v[78:79], v[76:77]
	v_add_f64 v[3:4], v[3:4], v[72:73]
	v_add_f64 v[1:2], v[1:2], v[74:75]
	s_andn2_b32 exec_lo, exec_lo, s5
	s_cbranch_execnz .LBB29_69
; %bb.70:
	s_or_b32 exec_lo, exec_lo, s5
	v_mov_b32_e32 v67, 0
	ds_read_b128 v[67:70], v67 offset:224
	s_waitcnt lgkmcnt(0)
	v_mul_f64 v[72:73], v[1:2], v[69:70]
	v_mul_f64 v[69:70], v[3:4], v[69:70]
	v_fma_f64 v[3:4], v[3:4], v[67:68], -v[72:73]
	v_fma_f64 v[1:2], v[1:2], v[67:68], v[69:70]
	buffer_store_dword v4, off, s[0:3], 0 offset:244
	buffer_store_dword v3, off, s[0:3], 0 offset:240
	;; [unrolled: 1-line block ×4, first 2 shown]
.LBB29_71:
	s_or_b32 exec_lo, exec_lo, s4
	v_mov_b32_e32 v4, s26
	s_waitcnt_vscnt null, 0x0
	s_barrier
	buffer_gl0_inv
	s_mov_b32 s4, exec_lo
	s_clause 0x3
	buffer_load_dword v1, v4, s[0:3], 0 offen
	buffer_load_dword v2, v4, s[0:3], 0 offen offset:4
	buffer_load_dword v3, v4, s[0:3], 0 offen offset:8
	;; [unrolled: 1-line block ×3, first 2 shown]
	s_waitcnt vmcnt(0)
	ds_write_b128 v65, v[1:4]
	s_waitcnt lgkmcnt(0)
	s_barrier
	buffer_gl0_inv
	v_cmpx_gt_u32_e32 15, v0
	s_cbranch_execz .LBB29_75
; %bb.72:
	v_mov_b32_e32 v1, 0
	v_mov_b32_e32 v3, 0
	v_add_nc_u32_e32 v67, -1, v0
	v_add_nc_u32_e32 v68, 0x1e0, v71
	v_mov_b32_e32 v2, 0
	v_mov_b32_e32 v4, 0
	v_add_nc_u32_e32 v69, 16, v71
	s_mov_b32 s5, 0
	.p2align	6
.LBB29_73:                              ; =>This Inner Loop Header: Depth=1
	s_clause 0x3
	buffer_load_dword v76, v69, s[0:3], 0 offen offset:8
	buffer_load_dword v77, v69, s[0:3], 0 offen offset:12
	buffer_load_dword v78, v69, s[0:3], 0 offen
	buffer_load_dword v79, v69, s[0:3], 0 offen offset:4
	ds_read_b128 v[72:75], v68
	v_add_nc_u32_e32 v67, 1, v67
	v_add_nc_u32_e32 v68, 16, v68
	;; [unrolled: 1-line block ×3, first 2 shown]
	v_cmp_lt_u32_e32 vcc_lo, 13, v67
	s_or_b32 s5, vcc_lo, s5
	s_waitcnt vmcnt(2) lgkmcnt(0)
	v_mul_f64 v[80:81], v[74:75], v[76:77]
	v_mul_f64 v[76:77], v[72:73], v[76:77]
	s_waitcnt vmcnt(0)
	v_fma_f64 v[72:73], v[72:73], v[78:79], -v[80:81]
	v_fma_f64 v[74:75], v[74:75], v[78:79], v[76:77]
	v_add_f64 v[3:4], v[3:4], v[72:73]
	v_add_f64 v[1:2], v[1:2], v[74:75]
	s_andn2_b32 exec_lo, exec_lo, s5
	s_cbranch_execnz .LBB29_73
; %bb.74:
	s_or_b32 exec_lo, exec_lo, s5
	v_mov_b32_e32 v67, 0
	ds_read_b128 v[67:70], v67 offset:240
	s_waitcnt lgkmcnt(0)
	v_mul_f64 v[72:73], v[1:2], v[69:70]
	v_mul_f64 v[69:70], v[3:4], v[69:70]
	v_fma_f64 v[3:4], v[3:4], v[67:68], -v[72:73]
	v_fma_f64 v[1:2], v[1:2], v[67:68], v[69:70]
	buffer_store_dword v4, off, s[0:3], 0 offset:260
	buffer_store_dword v3, off, s[0:3], 0 offset:256
	;; [unrolled: 1-line block ×4, first 2 shown]
.LBB29_75:
	s_or_b32 exec_lo, exec_lo, s4
	v_mov_b32_e32 v4, s25
	s_waitcnt_vscnt null, 0x0
	s_barrier
	buffer_gl0_inv
	s_mov_b32 s4, exec_lo
	s_clause 0x3
	buffer_load_dword v1, v4, s[0:3], 0 offen
	buffer_load_dword v2, v4, s[0:3], 0 offen offset:4
	buffer_load_dword v3, v4, s[0:3], 0 offen offset:8
	;; [unrolled: 1-line block ×3, first 2 shown]
	s_waitcnt vmcnt(0)
	ds_write_b128 v65, v[1:4]
	s_waitcnt lgkmcnt(0)
	s_barrier
	buffer_gl0_inv
	v_cmpx_gt_u32_e32 16, v0
	s_cbranch_execz .LBB29_79
; %bb.76:
	v_mov_b32_e32 v1, 0
	v_mov_b32_e32 v3, 0
	v_add_nc_u32_e32 v67, -1, v0
	v_add_nc_u32_e32 v68, 0x1e0, v71
	v_mov_b32_e32 v2, 0
	v_mov_b32_e32 v4, 0
	v_add_nc_u32_e32 v69, 16, v71
	s_mov_b32 s5, 0
	.p2align	6
.LBB29_77:                              ; =>This Inner Loop Header: Depth=1
	s_clause 0x3
	buffer_load_dword v76, v69, s[0:3], 0 offen offset:8
	buffer_load_dword v77, v69, s[0:3], 0 offen offset:12
	buffer_load_dword v78, v69, s[0:3], 0 offen
	buffer_load_dword v79, v69, s[0:3], 0 offen offset:4
	ds_read_b128 v[72:75], v68
	v_add_nc_u32_e32 v67, 1, v67
	v_add_nc_u32_e32 v68, 16, v68
	;; [unrolled: 1-line block ×3, first 2 shown]
	v_cmp_lt_u32_e32 vcc_lo, 14, v67
	s_or_b32 s5, vcc_lo, s5
	s_waitcnt vmcnt(2) lgkmcnt(0)
	v_mul_f64 v[80:81], v[74:75], v[76:77]
	v_mul_f64 v[76:77], v[72:73], v[76:77]
	s_waitcnt vmcnt(0)
	v_fma_f64 v[72:73], v[72:73], v[78:79], -v[80:81]
	v_fma_f64 v[74:75], v[74:75], v[78:79], v[76:77]
	v_add_f64 v[3:4], v[3:4], v[72:73]
	v_add_f64 v[1:2], v[1:2], v[74:75]
	s_andn2_b32 exec_lo, exec_lo, s5
	s_cbranch_execnz .LBB29_77
; %bb.78:
	s_or_b32 exec_lo, exec_lo, s5
	v_mov_b32_e32 v67, 0
	ds_read_b128 v[67:70], v67 offset:256
	s_waitcnt lgkmcnt(0)
	v_mul_f64 v[72:73], v[1:2], v[69:70]
	v_mul_f64 v[69:70], v[3:4], v[69:70]
	v_fma_f64 v[3:4], v[3:4], v[67:68], -v[72:73]
	v_fma_f64 v[1:2], v[1:2], v[67:68], v[69:70]
	buffer_store_dword v4, off, s[0:3], 0 offset:276
	buffer_store_dword v3, off, s[0:3], 0 offset:272
	;; [unrolled: 1-line block ×4, first 2 shown]
.LBB29_79:
	s_or_b32 exec_lo, exec_lo, s4
	v_mov_b32_e32 v4, s24
	s_waitcnt_vscnt null, 0x0
	s_barrier
	buffer_gl0_inv
	s_mov_b32 s4, exec_lo
	s_clause 0x3
	buffer_load_dword v1, v4, s[0:3], 0 offen
	buffer_load_dword v2, v4, s[0:3], 0 offen offset:4
	buffer_load_dword v3, v4, s[0:3], 0 offen offset:8
	;; [unrolled: 1-line block ×3, first 2 shown]
	s_waitcnt vmcnt(0)
	ds_write_b128 v65, v[1:4]
	s_waitcnt lgkmcnt(0)
	s_barrier
	buffer_gl0_inv
	v_cmpx_gt_u32_e32 17, v0
	s_cbranch_execz .LBB29_83
; %bb.80:
	v_mov_b32_e32 v1, 0
	v_mov_b32_e32 v3, 0
	v_add_nc_u32_e32 v67, -1, v0
	v_add_nc_u32_e32 v68, 0x1e0, v71
	v_mov_b32_e32 v2, 0
	v_mov_b32_e32 v4, 0
	v_add_nc_u32_e32 v69, 16, v71
	s_mov_b32 s5, 0
	.p2align	6
.LBB29_81:                              ; =>This Inner Loop Header: Depth=1
	s_clause 0x3
	buffer_load_dword v76, v69, s[0:3], 0 offen offset:8
	buffer_load_dword v77, v69, s[0:3], 0 offen offset:12
	buffer_load_dword v78, v69, s[0:3], 0 offen
	buffer_load_dword v79, v69, s[0:3], 0 offen offset:4
	ds_read_b128 v[72:75], v68
	v_add_nc_u32_e32 v67, 1, v67
	v_add_nc_u32_e32 v68, 16, v68
	;; [unrolled: 1-line block ×3, first 2 shown]
	v_cmp_lt_u32_e32 vcc_lo, 15, v67
	s_or_b32 s5, vcc_lo, s5
	s_waitcnt vmcnt(2) lgkmcnt(0)
	v_mul_f64 v[80:81], v[74:75], v[76:77]
	v_mul_f64 v[76:77], v[72:73], v[76:77]
	s_waitcnt vmcnt(0)
	v_fma_f64 v[72:73], v[72:73], v[78:79], -v[80:81]
	v_fma_f64 v[74:75], v[74:75], v[78:79], v[76:77]
	v_add_f64 v[3:4], v[3:4], v[72:73]
	v_add_f64 v[1:2], v[1:2], v[74:75]
	s_andn2_b32 exec_lo, exec_lo, s5
	s_cbranch_execnz .LBB29_81
; %bb.82:
	s_or_b32 exec_lo, exec_lo, s5
	v_mov_b32_e32 v67, 0
	ds_read_b128 v[67:70], v67 offset:272
	s_waitcnt lgkmcnt(0)
	v_mul_f64 v[72:73], v[1:2], v[69:70]
	v_mul_f64 v[69:70], v[3:4], v[69:70]
	v_fma_f64 v[3:4], v[3:4], v[67:68], -v[72:73]
	v_fma_f64 v[1:2], v[1:2], v[67:68], v[69:70]
	buffer_store_dword v4, off, s[0:3], 0 offset:292
	buffer_store_dword v3, off, s[0:3], 0 offset:288
	;; [unrolled: 1-line block ×4, first 2 shown]
.LBB29_83:
	s_or_b32 exec_lo, exec_lo, s4
	v_mov_b32_e32 v4, s23
	s_waitcnt_vscnt null, 0x0
	s_barrier
	buffer_gl0_inv
	s_mov_b32 s4, exec_lo
	s_clause 0x3
	buffer_load_dword v1, v4, s[0:3], 0 offen
	buffer_load_dword v2, v4, s[0:3], 0 offen offset:4
	buffer_load_dword v3, v4, s[0:3], 0 offen offset:8
	;; [unrolled: 1-line block ×3, first 2 shown]
	s_waitcnt vmcnt(0)
	ds_write_b128 v65, v[1:4]
	s_waitcnt lgkmcnt(0)
	s_barrier
	buffer_gl0_inv
	v_cmpx_gt_u32_e32 18, v0
	s_cbranch_execz .LBB29_87
; %bb.84:
	v_mov_b32_e32 v1, 0
	v_mov_b32_e32 v3, 0
	v_add_nc_u32_e32 v67, -1, v0
	v_add_nc_u32_e32 v68, 0x1e0, v71
	v_mov_b32_e32 v2, 0
	v_mov_b32_e32 v4, 0
	v_add_nc_u32_e32 v69, 16, v71
	s_mov_b32 s5, 0
	.p2align	6
.LBB29_85:                              ; =>This Inner Loop Header: Depth=1
	s_clause 0x3
	buffer_load_dword v76, v69, s[0:3], 0 offen offset:8
	buffer_load_dword v77, v69, s[0:3], 0 offen offset:12
	buffer_load_dword v78, v69, s[0:3], 0 offen
	buffer_load_dword v79, v69, s[0:3], 0 offen offset:4
	ds_read_b128 v[72:75], v68
	v_add_nc_u32_e32 v67, 1, v67
	v_add_nc_u32_e32 v68, 16, v68
	;; [unrolled: 1-line block ×3, first 2 shown]
	v_cmp_lt_u32_e32 vcc_lo, 16, v67
	s_or_b32 s5, vcc_lo, s5
	s_waitcnt vmcnt(2) lgkmcnt(0)
	v_mul_f64 v[80:81], v[74:75], v[76:77]
	v_mul_f64 v[76:77], v[72:73], v[76:77]
	s_waitcnt vmcnt(0)
	v_fma_f64 v[72:73], v[72:73], v[78:79], -v[80:81]
	v_fma_f64 v[74:75], v[74:75], v[78:79], v[76:77]
	v_add_f64 v[3:4], v[3:4], v[72:73]
	v_add_f64 v[1:2], v[1:2], v[74:75]
	s_andn2_b32 exec_lo, exec_lo, s5
	s_cbranch_execnz .LBB29_85
; %bb.86:
	s_or_b32 exec_lo, exec_lo, s5
	v_mov_b32_e32 v67, 0
	ds_read_b128 v[67:70], v67 offset:288
	s_waitcnt lgkmcnt(0)
	v_mul_f64 v[72:73], v[1:2], v[69:70]
	v_mul_f64 v[69:70], v[3:4], v[69:70]
	v_fma_f64 v[3:4], v[3:4], v[67:68], -v[72:73]
	v_fma_f64 v[1:2], v[1:2], v[67:68], v[69:70]
	buffer_store_dword v4, off, s[0:3], 0 offset:308
	buffer_store_dword v3, off, s[0:3], 0 offset:304
	;; [unrolled: 1-line block ×4, first 2 shown]
.LBB29_87:
	s_or_b32 exec_lo, exec_lo, s4
	v_mov_b32_e32 v4, s22
	s_waitcnt_vscnt null, 0x0
	s_barrier
	buffer_gl0_inv
	s_mov_b32 s4, exec_lo
	s_clause 0x3
	buffer_load_dword v1, v4, s[0:3], 0 offen
	buffer_load_dword v2, v4, s[0:3], 0 offen offset:4
	buffer_load_dword v3, v4, s[0:3], 0 offen offset:8
	;; [unrolled: 1-line block ×3, first 2 shown]
	s_waitcnt vmcnt(0)
	ds_write_b128 v65, v[1:4]
	s_waitcnt lgkmcnt(0)
	s_barrier
	buffer_gl0_inv
	v_cmpx_gt_u32_e32 19, v0
	s_cbranch_execz .LBB29_91
; %bb.88:
	v_mov_b32_e32 v1, 0
	v_mov_b32_e32 v3, 0
	v_add_nc_u32_e32 v67, -1, v0
	v_add_nc_u32_e32 v68, 0x1e0, v71
	v_mov_b32_e32 v2, 0
	v_mov_b32_e32 v4, 0
	v_add_nc_u32_e32 v69, 16, v71
	s_mov_b32 s5, 0
	.p2align	6
.LBB29_89:                              ; =>This Inner Loop Header: Depth=1
	s_clause 0x3
	buffer_load_dword v76, v69, s[0:3], 0 offen offset:8
	buffer_load_dword v77, v69, s[0:3], 0 offen offset:12
	buffer_load_dword v78, v69, s[0:3], 0 offen
	buffer_load_dword v79, v69, s[0:3], 0 offen offset:4
	ds_read_b128 v[72:75], v68
	v_add_nc_u32_e32 v67, 1, v67
	v_add_nc_u32_e32 v68, 16, v68
	;; [unrolled: 1-line block ×3, first 2 shown]
	v_cmp_lt_u32_e32 vcc_lo, 17, v67
	s_or_b32 s5, vcc_lo, s5
	s_waitcnt vmcnt(2) lgkmcnt(0)
	v_mul_f64 v[80:81], v[74:75], v[76:77]
	v_mul_f64 v[76:77], v[72:73], v[76:77]
	s_waitcnt vmcnt(0)
	v_fma_f64 v[72:73], v[72:73], v[78:79], -v[80:81]
	v_fma_f64 v[74:75], v[74:75], v[78:79], v[76:77]
	v_add_f64 v[3:4], v[3:4], v[72:73]
	v_add_f64 v[1:2], v[1:2], v[74:75]
	s_andn2_b32 exec_lo, exec_lo, s5
	s_cbranch_execnz .LBB29_89
; %bb.90:
	s_or_b32 exec_lo, exec_lo, s5
	v_mov_b32_e32 v67, 0
	ds_read_b128 v[67:70], v67 offset:304
	s_waitcnt lgkmcnt(0)
	v_mul_f64 v[72:73], v[1:2], v[69:70]
	v_mul_f64 v[69:70], v[3:4], v[69:70]
	v_fma_f64 v[3:4], v[3:4], v[67:68], -v[72:73]
	v_fma_f64 v[1:2], v[1:2], v[67:68], v[69:70]
	buffer_store_dword v4, off, s[0:3], 0 offset:324
	buffer_store_dword v3, off, s[0:3], 0 offset:320
	;; [unrolled: 1-line block ×4, first 2 shown]
.LBB29_91:
	s_or_b32 exec_lo, exec_lo, s4
	v_mov_b32_e32 v4, s19
	s_waitcnt_vscnt null, 0x0
	s_barrier
	buffer_gl0_inv
	s_mov_b32 s4, exec_lo
	s_clause 0x3
	buffer_load_dword v1, v4, s[0:3], 0 offen
	buffer_load_dword v2, v4, s[0:3], 0 offen offset:4
	buffer_load_dword v3, v4, s[0:3], 0 offen offset:8
	buffer_load_dword v4, v4, s[0:3], 0 offen offset:12
	s_waitcnt vmcnt(0)
	ds_write_b128 v65, v[1:4]
	s_waitcnt lgkmcnt(0)
	s_barrier
	buffer_gl0_inv
	v_cmpx_gt_u32_e32 20, v0
	s_cbranch_execz .LBB29_95
; %bb.92:
	v_mov_b32_e32 v1, 0
	v_mov_b32_e32 v3, 0
	v_add_nc_u32_e32 v67, -1, v0
	v_add_nc_u32_e32 v68, 0x1e0, v71
	v_mov_b32_e32 v2, 0
	v_mov_b32_e32 v4, 0
	v_add_nc_u32_e32 v69, 16, v71
	s_mov_b32 s5, 0
	.p2align	6
.LBB29_93:                              ; =>This Inner Loop Header: Depth=1
	s_clause 0x3
	buffer_load_dword v76, v69, s[0:3], 0 offen offset:8
	buffer_load_dword v77, v69, s[0:3], 0 offen offset:12
	buffer_load_dword v78, v69, s[0:3], 0 offen
	buffer_load_dword v79, v69, s[0:3], 0 offen offset:4
	ds_read_b128 v[72:75], v68
	v_add_nc_u32_e32 v67, 1, v67
	v_add_nc_u32_e32 v68, 16, v68
	;; [unrolled: 1-line block ×3, first 2 shown]
	v_cmp_lt_u32_e32 vcc_lo, 18, v67
	s_or_b32 s5, vcc_lo, s5
	s_waitcnt vmcnt(2) lgkmcnt(0)
	v_mul_f64 v[80:81], v[74:75], v[76:77]
	v_mul_f64 v[76:77], v[72:73], v[76:77]
	s_waitcnt vmcnt(0)
	v_fma_f64 v[72:73], v[72:73], v[78:79], -v[80:81]
	v_fma_f64 v[74:75], v[74:75], v[78:79], v[76:77]
	v_add_f64 v[3:4], v[3:4], v[72:73]
	v_add_f64 v[1:2], v[1:2], v[74:75]
	s_andn2_b32 exec_lo, exec_lo, s5
	s_cbranch_execnz .LBB29_93
; %bb.94:
	s_or_b32 exec_lo, exec_lo, s5
	v_mov_b32_e32 v67, 0
	ds_read_b128 v[67:70], v67 offset:320
	s_waitcnt lgkmcnt(0)
	v_mul_f64 v[72:73], v[1:2], v[69:70]
	v_mul_f64 v[69:70], v[3:4], v[69:70]
	v_fma_f64 v[3:4], v[3:4], v[67:68], -v[72:73]
	v_fma_f64 v[1:2], v[1:2], v[67:68], v[69:70]
	buffer_store_dword v4, off, s[0:3], 0 offset:340
	buffer_store_dword v3, off, s[0:3], 0 offset:336
	;; [unrolled: 1-line block ×4, first 2 shown]
.LBB29_95:
	s_or_b32 exec_lo, exec_lo, s4
	v_mov_b32_e32 v4, s18
	s_waitcnt_vscnt null, 0x0
	s_barrier
	buffer_gl0_inv
	s_mov_b32 s4, exec_lo
	s_clause 0x3
	buffer_load_dword v1, v4, s[0:3], 0 offen
	buffer_load_dword v2, v4, s[0:3], 0 offen offset:4
	buffer_load_dword v3, v4, s[0:3], 0 offen offset:8
	;; [unrolled: 1-line block ×3, first 2 shown]
	s_waitcnt vmcnt(0)
	ds_write_b128 v65, v[1:4]
	s_waitcnt lgkmcnt(0)
	s_barrier
	buffer_gl0_inv
	v_cmpx_gt_u32_e32 21, v0
	s_cbranch_execz .LBB29_99
; %bb.96:
	v_mov_b32_e32 v1, 0
	v_mov_b32_e32 v3, 0
	v_add_nc_u32_e32 v67, -1, v0
	v_add_nc_u32_e32 v68, 0x1e0, v71
	v_mov_b32_e32 v2, 0
	v_mov_b32_e32 v4, 0
	v_add_nc_u32_e32 v69, 16, v71
	s_mov_b32 s5, 0
	.p2align	6
.LBB29_97:                              ; =>This Inner Loop Header: Depth=1
	s_clause 0x3
	buffer_load_dword v76, v69, s[0:3], 0 offen offset:8
	buffer_load_dword v77, v69, s[0:3], 0 offen offset:12
	buffer_load_dword v78, v69, s[0:3], 0 offen
	buffer_load_dword v79, v69, s[0:3], 0 offen offset:4
	ds_read_b128 v[72:75], v68
	v_add_nc_u32_e32 v67, 1, v67
	v_add_nc_u32_e32 v68, 16, v68
	;; [unrolled: 1-line block ×3, first 2 shown]
	v_cmp_lt_u32_e32 vcc_lo, 19, v67
	s_or_b32 s5, vcc_lo, s5
	s_waitcnt vmcnt(2) lgkmcnt(0)
	v_mul_f64 v[80:81], v[74:75], v[76:77]
	v_mul_f64 v[76:77], v[72:73], v[76:77]
	s_waitcnt vmcnt(0)
	v_fma_f64 v[72:73], v[72:73], v[78:79], -v[80:81]
	v_fma_f64 v[74:75], v[74:75], v[78:79], v[76:77]
	v_add_f64 v[3:4], v[3:4], v[72:73]
	v_add_f64 v[1:2], v[1:2], v[74:75]
	s_andn2_b32 exec_lo, exec_lo, s5
	s_cbranch_execnz .LBB29_97
; %bb.98:
	s_or_b32 exec_lo, exec_lo, s5
	v_mov_b32_e32 v67, 0
	ds_read_b128 v[67:70], v67 offset:336
	s_waitcnt lgkmcnt(0)
	v_mul_f64 v[72:73], v[1:2], v[69:70]
	v_mul_f64 v[69:70], v[3:4], v[69:70]
	v_fma_f64 v[3:4], v[3:4], v[67:68], -v[72:73]
	v_fma_f64 v[1:2], v[1:2], v[67:68], v[69:70]
	buffer_store_dword v4, off, s[0:3], 0 offset:356
	buffer_store_dword v3, off, s[0:3], 0 offset:352
	;; [unrolled: 1-line block ×4, first 2 shown]
.LBB29_99:
	s_or_b32 exec_lo, exec_lo, s4
	v_mov_b32_e32 v4, s17
	s_waitcnt_vscnt null, 0x0
	s_barrier
	buffer_gl0_inv
	s_mov_b32 s4, exec_lo
	s_clause 0x3
	buffer_load_dword v1, v4, s[0:3], 0 offen
	buffer_load_dword v2, v4, s[0:3], 0 offen offset:4
	buffer_load_dword v3, v4, s[0:3], 0 offen offset:8
	;; [unrolled: 1-line block ×3, first 2 shown]
	s_waitcnt vmcnt(0)
	ds_write_b128 v65, v[1:4]
	s_waitcnt lgkmcnt(0)
	s_barrier
	buffer_gl0_inv
	v_cmpx_gt_u32_e32 22, v0
	s_cbranch_execz .LBB29_103
; %bb.100:
	v_mov_b32_e32 v1, 0
	v_mov_b32_e32 v3, 0
	v_add_nc_u32_e32 v67, -1, v0
	v_add_nc_u32_e32 v68, 0x1e0, v71
	v_mov_b32_e32 v2, 0
	v_mov_b32_e32 v4, 0
	v_add_nc_u32_e32 v69, 16, v71
	s_mov_b32 s5, 0
	.p2align	6
.LBB29_101:                             ; =>This Inner Loop Header: Depth=1
	s_clause 0x3
	buffer_load_dword v76, v69, s[0:3], 0 offen offset:8
	buffer_load_dword v77, v69, s[0:3], 0 offen offset:12
	buffer_load_dword v78, v69, s[0:3], 0 offen
	buffer_load_dword v79, v69, s[0:3], 0 offen offset:4
	ds_read_b128 v[72:75], v68
	v_add_nc_u32_e32 v67, 1, v67
	v_add_nc_u32_e32 v68, 16, v68
	;; [unrolled: 1-line block ×3, first 2 shown]
	v_cmp_lt_u32_e32 vcc_lo, 20, v67
	s_or_b32 s5, vcc_lo, s5
	s_waitcnt vmcnt(2) lgkmcnt(0)
	v_mul_f64 v[80:81], v[74:75], v[76:77]
	v_mul_f64 v[76:77], v[72:73], v[76:77]
	s_waitcnt vmcnt(0)
	v_fma_f64 v[72:73], v[72:73], v[78:79], -v[80:81]
	v_fma_f64 v[74:75], v[74:75], v[78:79], v[76:77]
	v_add_f64 v[3:4], v[3:4], v[72:73]
	v_add_f64 v[1:2], v[1:2], v[74:75]
	s_andn2_b32 exec_lo, exec_lo, s5
	s_cbranch_execnz .LBB29_101
; %bb.102:
	s_or_b32 exec_lo, exec_lo, s5
	v_mov_b32_e32 v67, 0
	ds_read_b128 v[67:70], v67 offset:352
	s_waitcnt lgkmcnt(0)
	v_mul_f64 v[72:73], v[1:2], v[69:70]
	v_mul_f64 v[69:70], v[3:4], v[69:70]
	v_fma_f64 v[3:4], v[3:4], v[67:68], -v[72:73]
	v_fma_f64 v[1:2], v[1:2], v[67:68], v[69:70]
	buffer_store_dword v4, off, s[0:3], 0 offset:372
	buffer_store_dword v3, off, s[0:3], 0 offset:368
	;; [unrolled: 1-line block ×4, first 2 shown]
.LBB29_103:
	s_or_b32 exec_lo, exec_lo, s4
	v_mov_b32_e32 v4, s16
	s_waitcnt_vscnt null, 0x0
	s_barrier
	buffer_gl0_inv
	s_mov_b32 s4, exec_lo
	s_clause 0x3
	buffer_load_dword v1, v4, s[0:3], 0 offen
	buffer_load_dword v2, v4, s[0:3], 0 offen offset:4
	buffer_load_dword v3, v4, s[0:3], 0 offen offset:8
	;; [unrolled: 1-line block ×3, first 2 shown]
	s_waitcnt vmcnt(0)
	ds_write_b128 v65, v[1:4]
	s_waitcnt lgkmcnt(0)
	s_barrier
	buffer_gl0_inv
	v_cmpx_gt_u32_e32 23, v0
	s_cbranch_execz .LBB29_107
; %bb.104:
	v_mov_b32_e32 v1, 0
	v_mov_b32_e32 v3, 0
	v_add_nc_u32_e32 v67, -1, v0
	v_add_nc_u32_e32 v68, 0x1e0, v71
	v_mov_b32_e32 v2, 0
	v_mov_b32_e32 v4, 0
	v_add_nc_u32_e32 v69, 16, v71
	s_mov_b32 s5, 0
	.p2align	6
.LBB29_105:                             ; =>This Inner Loop Header: Depth=1
	s_clause 0x3
	buffer_load_dword v76, v69, s[0:3], 0 offen offset:8
	buffer_load_dword v77, v69, s[0:3], 0 offen offset:12
	buffer_load_dword v78, v69, s[0:3], 0 offen
	buffer_load_dword v79, v69, s[0:3], 0 offen offset:4
	ds_read_b128 v[72:75], v68
	v_add_nc_u32_e32 v67, 1, v67
	v_add_nc_u32_e32 v68, 16, v68
	;; [unrolled: 1-line block ×3, first 2 shown]
	v_cmp_lt_u32_e32 vcc_lo, 21, v67
	s_or_b32 s5, vcc_lo, s5
	s_waitcnt vmcnt(2) lgkmcnt(0)
	v_mul_f64 v[80:81], v[74:75], v[76:77]
	v_mul_f64 v[76:77], v[72:73], v[76:77]
	s_waitcnt vmcnt(0)
	v_fma_f64 v[72:73], v[72:73], v[78:79], -v[80:81]
	v_fma_f64 v[74:75], v[74:75], v[78:79], v[76:77]
	v_add_f64 v[3:4], v[3:4], v[72:73]
	v_add_f64 v[1:2], v[1:2], v[74:75]
	s_andn2_b32 exec_lo, exec_lo, s5
	s_cbranch_execnz .LBB29_105
; %bb.106:
	s_or_b32 exec_lo, exec_lo, s5
	v_mov_b32_e32 v67, 0
	ds_read_b128 v[67:70], v67 offset:368
	s_waitcnt lgkmcnt(0)
	v_mul_f64 v[72:73], v[1:2], v[69:70]
	v_mul_f64 v[69:70], v[3:4], v[69:70]
	v_fma_f64 v[3:4], v[3:4], v[67:68], -v[72:73]
	v_fma_f64 v[1:2], v[1:2], v[67:68], v[69:70]
	buffer_store_dword v4, off, s[0:3], 0 offset:388
	buffer_store_dword v3, off, s[0:3], 0 offset:384
	;; [unrolled: 1-line block ×4, first 2 shown]
.LBB29_107:
	s_or_b32 exec_lo, exec_lo, s4
	v_mov_b32_e32 v4, s15
	s_waitcnt_vscnt null, 0x0
	s_barrier
	buffer_gl0_inv
	s_mov_b32 s4, exec_lo
	s_clause 0x3
	buffer_load_dword v1, v4, s[0:3], 0 offen
	buffer_load_dword v2, v4, s[0:3], 0 offen offset:4
	buffer_load_dword v3, v4, s[0:3], 0 offen offset:8
	buffer_load_dword v4, v4, s[0:3], 0 offen offset:12
	s_waitcnt vmcnt(0)
	ds_write_b128 v65, v[1:4]
	s_waitcnt lgkmcnt(0)
	s_barrier
	buffer_gl0_inv
	v_cmpx_gt_u32_e32 24, v0
	s_cbranch_execz .LBB29_111
; %bb.108:
	v_mov_b32_e32 v1, 0
	v_mov_b32_e32 v3, 0
	v_add_nc_u32_e32 v67, -1, v0
	v_add_nc_u32_e32 v68, 0x1e0, v71
	v_mov_b32_e32 v2, 0
	v_mov_b32_e32 v4, 0
	v_add_nc_u32_e32 v69, 16, v71
	s_mov_b32 s5, 0
	.p2align	6
.LBB29_109:                             ; =>This Inner Loop Header: Depth=1
	s_clause 0x3
	buffer_load_dword v76, v69, s[0:3], 0 offen offset:8
	buffer_load_dword v77, v69, s[0:3], 0 offen offset:12
	buffer_load_dword v78, v69, s[0:3], 0 offen
	buffer_load_dword v79, v69, s[0:3], 0 offen offset:4
	ds_read_b128 v[72:75], v68
	v_add_nc_u32_e32 v67, 1, v67
	v_add_nc_u32_e32 v68, 16, v68
	;; [unrolled: 1-line block ×3, first 2 shown]
	v_cmp_lt_u32_e32 vcc_lo, 22, v67
	s_or_b32 s5, vcc_lo, s5
	s_waitcnt vmcnt(2) lgkmcnt(0)
	v_mul_f64 v[80:81], v[74:75], v[76:77]
	v_mul_f64 v[76:77], v[72:73], v[76:77]
	s_waitcnt vmcnt(0)
	v_fma_f64 v[72:73], v[72:73], v[78:79], -v[80:81]
	v_fma_f64 v[74:75], v[74:75], v[78:79], v[76:77]
	v_add_f64 v[3:4], v[3:4], v[72:73]
	v_add_f64 v[1:2], v[1:2], v[74:75]
	s_andn2_b32 exec_lo, exec_lo, s5
	s_cbranch_execnz .LBB29_109
; %bb.110:
	s_or_b32 exec_lo, exec_lo, s5
	v_mov_b32_e32 v67, 0
	ds_read_b128 v[67:70], v67 offset:384
	s_waitcnt lgkmcnt(0)
	v_mul_f64 v[72:73], v[1:2], v[69:70]
	v_mul_f64 v[69:70], v[3:4], v[69:70]
	v_fma_f64 v[3:4], v[3:4], v[67:68], -v[72:73]
	v_fma_f64 v[1:2], v[1:2], v[67:68], v[69:70]
	buffer_store_dword v4, off, s[0:3], 0 offset:404
	buffer_store_dword v3, off, s[0:3], 0 offset:400
	;; [unrolled: 1-line block ×4, first 2 shown]
.LBB29_111:
	s_or_b32 exec_lo, exec_lo, s4
	v_mov_b32_e32 v4, s14
	s_waitcnt_vscnt null, 0x0
	s_barrier
	buffer_gl0_inv
	s_mov_b32 s4, exec_lo
	s_clause 0x3
	buffer_load_dword v1, v4, s[0:3], 0 offen
	buffer_load_dword v2, v4, s[0:3], 0 offen offset:4
	buffer_load_dword v3, v4, s[0:3], 0 offen offset:8
	;; [unrolled: 1-line block ×3, first 2 shown]
	s_waitcnt vmcnt(0)
	ds_write_b128 v65, v[1:4]
	s_waitcnt lgkmcnt(0)
	s_barrier
	buffer_gl0_inv
	v_cmpx_gt_u32_e32 25, v0
	s_cbranch_execz .LBB29_115
; %bb.112:
	v_mov_b32_e32 v1, 0
	v_mov_b32_e32 v3, 0
	v_add_nc_u32_e32 v67, -1, v0
	v_add_nc_u32_e32 v68, 0x1e0, v71
	v_mov_b32_e32 v2, 0
	v_mov_b32_e32 v4, 0
	v_add_nc_u32_e32 v69, 16, v71
	s_mov_b32 s5, 0
	.p2align	6
.LBB29_113:                             ; =>This Inner Loop Header: Depth=1
	s_clause 0x3
	buffer_load_dword v76, v69, s[0:3], 0 offen offset:8
	buffer_load_dword v77, v69, s[0:3], 0 offen offset:12
	buffer_load_dword v78, v69, s[0:3], 0 offen
	buffer_load_dword v79, v69, s[0:3], 0 offen offset:4
	ds_read_b128 v[72:75], v68
	v_add_nc_u32_e32 v67, 1, v67
	v_add_nc_u32_e32 v68, 16, v68
	;; [unrolled: 1-line block ×3, first 2 shown]
	v_cmp_lt_u32_e32 vcc_lo, 23, v67
	s_or_b32 s5, vcc_lo, s5
	s_waitcnt vmcnt(2) lgkmcnt(0)
	v_mul_f64 v[80:81], v[74:75], v[76:77]
	v_mul_f64 v[76:77], v[72:73], v[76:77]
	s_waitcnt vmcnt(0)
	v_fma_f64 v[72:73], v[72:73], v[78:79], -v[80:81]
	v_fma_f64 v[74:75], v[74:75], v[78:79], v[76:77]
	v_add_f64 v[3:4], v[3:4], v[72:73]
	v_add_f64 v[1:2], v[1:2], v[74:75]
	s_andn2_b32 exec_lo, exec_lo, s5
	s_cbranch_execnz .LBB29_113
; %bb.114:
	s_or_b32 exec_lo, exec_lo, s5
	v_mov_b32_e32 v67, 0
	ds_read_b128 v[67:70], v67 offset:400
	s_waitcnt lgkmcnt(0)
	v_mul_f64 v[72:73], v[1:2], v[69:70]
	v_mul_f64 v[69:70], v[3:4], v[69:70]
	v_fma_f64 v[3:4], v[3:4], v[67:68], -v[72:73]
	v_fma_f64 v[1:2], v[1:2], v[67:68], v[69:70]
	buffer_store_dword v4, off, s[0:3], 0 offset:420
	buffer_store_dword v3, off, s[0:3], 0 offset:416
	;; [unrolled: 1-line block ×4, first 2 shown]
.LBB29_115:
	s_or_b32 exec_lo, exec_lo, s4
	v_mov_b32_e32 v4, s13
	s_waitcnt_vscnt null, 0x0
	s_barrier
	buffer_gl0_inv
	s_mov_b32 s4, exec_lo
	s_clause 0x3
	buffer_load_dword v1, v4, s[0:3], 0 offen
	buffer_load_dword v2, v4, s[0:3], 0 offen offset:4
	buffer_load_dword v3, v4, s[0:3], 0 offen offset:8
	buffer_load_dword v4, v4, s[0:3], 0 offen offset:12
	s_waitcnt vmcnt(0)
	ds_write_b128 v65, v[1:4]
	s_waitcnt lgkmcnt(0)
	s_barrier
	buffer_gl0_inv
	v_cmpx_gt_u32_e32 26, v0
	s_cbranch_execz .LBB29_119
; %bb.116:
	v_mov_b32_e32 v1, 0
	v_mov_b32_e32 v3, 0
	v_add_nc_u32_e32 v67, -1, v0
	v_add_nc_u32_e32 v68, 0x1e0, v71
	v_mov_b32_e32 v2, 0
	v_mov_b32_e32 v4, 0
	v_add_nc_u32_e32 v69, 16, v71
	s_mov_b32 s5, 0
	.p2align	6
.LBB29_117:                             ; =>This Inner Loop Header: Depth=1
	s_clause 0x3
	buffer_load_dword v76, v69, s[0:3], 0 offen offset:8
	buffer_load_dword v77, v69, s[0:3], 0 offen offset:12
	buffer_load_dword v78, v69, s[0:3], 0 offen
	buffer_load_dword v79, v69, s[0:3], 0 offen offset:4
	ds_read_b128 v[72:75], v68
	v_add_nc_u32_e32 v67, 1, v67
	v_add_nc_u32_e32 v68, 16, v68
	;; [unrolled: 1-line block ×3, first 2 shown]
	v_cmp_lt_u32_e32 vcc_lo, 24, v67
	s_or_b32 s5, vcc_lo, s5
	s_waitcnt vmcnt(2) lgkmcnt(0)
	v_mul_f64 v[80:81], v[74:75], v[76:77]
	v_mul_f64 v[76:77], v[72:73], v[76:77]
	s_waitcnt vmcnt(0)
	v_fma_f64 v[72:73], v[72:73], v[78:79], -v[80:81]
	v_fma_f64 v[74:75], v[74:75], v[78:79], v[76:77]
	v_add_f64 v[3:4], v[3:4], v[72:73]
	v_add_f64 v[1:2], v[1:2], v[74:75]
	s_andn2_b32 exec_lo, exec_lo, s5
	s_cbranch_execnz .LBB29_117
; %bb.118:
	s_or_b32 exec_lo, exec_lo, s5
	v_mov_b32_e32 v67, 0
	ds_read_b128 v[67:70], v67 offset:416
	s_waitcnt lgkmcnt(0)
	v_mul_f64 v[72:73], v[1:2], v[69:70]
	v_mul_f64 v[69:70], v[3:4], v[69:70]
	v_fma_f64 v[3:4], v[3:4], v[67:68], -v[72:73]
	v_fma_f64 v[1:2], v[1:2], v[67:68], v[69:70]
	buffer_store_dword v4, off, s[0:3], 0 offset:436
	buffer_store_dword v3, off, s[0:3], 0 offset:432
	;; [unrolled: 1-line block ×4, first 2 shown]
.LBB29_119:
	s_or_b32 exec_lo, exec_lo, s4
	v_mov_b32_e32 v4, s12
	s_waitcnt_vscnt null, 0x0
	s_barrier
	buffer_gl0_inv
	s_mov_b32 s4, exec_lo
	s_clause 0x3
	buffer_load_dword v1, v4, s[0:3], 0 offen
	buffer_load_dword v2, v4, s[0:3], 0 offen offset:4
	buffer_load_dword v3, v4, s[0:3], 0 offen offset:8
	;; [unrolled: 1-line block ×3, first 2 shown]
	s_waitcnt vmcnt(0)
	ds_write_b128 v65, v[1:4]
	s_waitcnt lgkmcnt(0)
	s_barrier
	buffer_gl0_inv
	v_cmpx_gt_u32_e32 27, v0
	s_cbranch_execz .LBB29_123
; %bb.120:
	v_mov_b32_e32 v1, 0
	v_mov_b32_e32 v3, 0
	v_add_nc_u32_e32 v67, -1, v0
	v_add_nc_u32_e32 v68, 0x1e0, v71
	v_mov_b32_e32 v2, 0
	v_mov_b32_e32 v4, 0
	v_add_nc_u32_e32 v69, 16, v71
	s_mov_b32 s5, 0
	.p2align	6
.LBB29_121:                             ; =>This Inner Loop Header: Depth=1
	s_clause 0x3
	buffer_load_dword v76, v69, s[0:3], 0 offen offset:8
	buffer_load_dword v77, v69, s[0:3], 0 offen offset:12
	buffer_load_dword v78, v69, s[0:3], 0 offen
	buffer_load_dword v79, v69, s[0:3], 0 offen offset:4
	ds_read_b128 v[72:75], v68
	v_add_nc_u32_e32 v67, 1, v67
	v_add_nc_u32_e32 v68, 16, v68
	;; [unrolled: 1-line block ×3, first 2 shown]
	v_cmp_lt_u32_e32 vcc_lo, 25, v67
	s_or_b32 s5, vcc_lo, s5
	s_waitcnt vmcnt(2) lgkmcnt(0)
	v_mul_f64 v[80:81], v[74:75], v[76:77]
	v_mul_f64 v[76:77], v[72:73], v[76:77]
	s_waitcnt vmcnt(0)
	v_fma_f64 v[72:73], v[72:73], v[78:79], -v[80:81]
	v_fma_f64 v[74:75], v[74:75], v[78:79], v[76:77]
	v_add_f64 v[3:4], v[3:4], v[72:73]
	v_add_f64 v[1:2], v[1:2], v[74:75]
	s_andn2_b32 exec_lo, exec_lo, s5
	s_cbranch_execnz .LBB29_121
; %bb.122:
	s_or_b32 exec_lo, exec_lo, s5
	v_mov_b32_e32 v67, 0
	ds_read_b128 v[67:70], v67 offset:432
	s_waitcnt lgkmcnt(0)
	v_mul_f64 v[72:73], v[1:2], v[69:70]
	v_mul_f64 v[69:70], v[3:4], v[69:70]
	v_fma_f64 v[3:4], v[3:4], v[67:68], -v[72:73]
	v_fma_f64 v[1:2], v[1:2], v[67:68], v[69:70]
	buffer_store_dword v4, off, s[0:3], 0 offset:452
	buffer_store_dword v3, off, s[0:3], 0 offset:448
	;; [unrolled: 1-line block ×4, first 2 shown]
.LBB29_123:
	s_or_b32 exec_lo, exec_lo, s4
	v_mov_b32_e32 v4, s9
	s_waitcnt_vscnt null, 0x0
	s_barrier
	buffer_gl0_inv
	s_mov_b32 s4, exec_lo
	s_clause 0x3
	buffer_load_dword v1, v4, s[0:3], 0 offen
	buffer_load_dword v2, v4, s[0:3], 0 offen offset:4
	buffer_load_dword v3, v4, s[0:3], 0 offen offset:8
	;; [unrolled: 1-line block ×3, first 2 shown]
	s_waitcnt vmcnt(0)
	ds_write_b128 v65, v[1:4]
	s_waitcnt lgkmcnt(0)
	s_barrier
	buffer_gl0_inv
	v_cmpx_gt_u32_e32 28, v0
	s_cbranch_execz .LBB29_127
; %bb.124:
	v_mov_b32_e32 v1, 0
	v_mov_b32_e32 v3, 0
	v_add_nc_u32_e32 v67, -1, v0
	v_add_nc_u32_e32 v68, 0x1e0, v71
	v_mov_b32_e32 v2, 0
	v_mov_b32_e32 v4, 0
	v_add_nc_u32_e32 v69, 16, v71
	s_mov_b32 s5, 0
	.p2align	6
.LBB29_125:                             ; =>This Inner Loop Header: Depth=1
	s_clause 0x3
	buffer_load_dword v76, v69, s[0:3], 0 offen offset:8
	buffer_load_dword v77, v69, s[0:3], 0 offen offset:12
	buffer_load_dword v78, v69, s[0:3], 0 offen
	buffer_load_dword v79, v69, s[0:3], 0 offen offset:4
	ds_read_b128 v[72:75], v68
	v_add_nc_u32_e32 v67, 1, v67
	v_add_nc_u32_e32 v68, 16, v68
	;; [unrolled: 1-line block ×3, first 2 shown]
	v_cmp_lt_u32_e32 vcc_lo, 26, v67
	s_or_b32 s5, vcc_lo, s5
	s_waitcnt vmcnt(2) lgkmcnt(0)
	v_mul_f64 v[80:81], v[74:75], v[76:77]
	v_mul_f64 v[76:77], v[72:73], v[76:77]
	s_waitcnt vmcnt(0)
	v_fma_f64 v[72:73], v[72:73], v[78:79], -v[80:81]
	v_fma_f64 v[74:75], v[74:75], v[78:79], v[76:77]
	v_add_f64 v[3:4], v[3:4], v[72:73]
	v_add_f64 v[1:2], v[1:2], v[74:75]
	s_andn2_b32 exec_lo, exec_lo, s5
	s_cbranch_execnz .LBB29_125
; %bb.126:
	s_or_b32 exec_lo, exec_lo, s5
	v_mov_b32_e32 v67, 0
	ds_read_b128 v[67:70], v67 offset:448
	s_waitcnt lgkmcnt(0)
	v_mul_f64 v[72:73], v[1:2], v[69:70]
	v_mul_f64 v[69:70], v[3:4], v[69:70]
	v_fma_f64 v[3:4], v[3:4], v[67:68], -v[72:73]
	v_fma_f64 v[1:2], v[1:2], v[67:68], v[69:70]
	buffer_store_dword v4, off, s[0:3], 0 offset:468
	buffer_store_dword v3, off, s[0:3], 0 offset:464
	;; [unrolled: 1-line block ×4, first 2 shown]
.LBB29_127:
	s_or_b32 exec_lo, exec_lo, s4
	v_mov_b32_e32 v4, s8
	s_waitcnt_vscnt null, 0x0
	s_barrier
	buffer_gl0_inv
	s_mov_b32 s4, exec_lo
	s_clause 0x3
	buffer_load_dword v1, v4, s[0:3], 0 offen
	buffer_load_dword v2, v4, s[0:3], 0 offen offset:4
	buffer_load_dword v3, v4, s[0:3], 0 offen offset:8
	buffer_load_dword v4, v4, s[0:3], 0 offen offset:12
	s_waitcnt vmcnt(0)
	ds_write_b128 v65, v[1:4]
	s_waitcnt lgkmcnt(0)
	s_barrier
	buffer_gl0_inv
	v_cmpx_ne_u32_e32 29, v0
	s_cbranch_execz .LBB29_131
; %bb.128:
	v_mov_b32_e32 v1, 0
	v_mov_b32_e32 v3, 0
	;; [unrolled: 1-line block ×4, first 2 shown]
	v_add_nc_u32_e32 v67, 16, v71
	s_mov_b32 s5, 0
	.p2align	6
.LBB29_129:                             ; =>This Inner Loop Header: Depth=1
	s_clause 0x3
	buffer_load_dword v72, v67, s[0:3], 0 offen offset:8
	buffer_load_dword v73, v67, s[0:3], 0 offen offset:12
	buffer_load_dword v74, v67, s[0:3], 0 offen
	buffer_load_dword v75, v67, s[0:3], 0 offen offset:4
	ds_read_b128 v[68:71], v65
	v_add_nc_u32_e32 v66, 1, v66
	v_add_nc_u32_e32 v65, 16, v65
	;; [unrolled: 1-line block ×3, first 2 shown]
	v_cmp_lt_u32_e32 vcc_lo, 27, v66
	s_or_b32 s5, vcc_lo, s5
	s_waitcnt vmcnt(2) lgkmcnt(0)
	v_mul_f64 v[76:77], v[70:71], v[72:73]
	v_mul_f64 v[72:73], v[68:69], v[72:73]
	s_waitcnt vmcnt(0)
	v_fma_f64 v[68:69], v[68:69], v[74:75], -v[76:77]
	v_fma_f64 v[70:71], v[70:71], v[74:75], v[72:73]
	v_add_f64 v[3:4], v[3:4], v[68:69]
	v_add_f64 v[1:2], v[1:2], v[70:71]
	s_andn2_b32 exec_lo, exec_lo, s5
	s_cbranch_execnz .LBB29_129
; %bb.130:
	s_or_b32 exec_lo, exec_lo, s5
	v_mov_b32_e32 v65, 0
	ds_read_b128 v[65:68], v65 offset:464
	s_waitcnt lgkmcnt(0)
	v_mul_f64 v[69:70], v[1:2], v[67:68]
	v_mul_f64 v[67:68], v[3:4], v[67:68]
	v_fma_f64 v[3:4], v[3:4], v[65:66], -v[69:70]
	v_fma_f64 v[1:2], v[1:2], v[65:66], v[67:68]
	buffer_store_dword v4, off, s[0:3], 0 offset:484
	buffer_store_dword v3, off, s[0:3], 0 offset:480
	;; [unrolled: 1-line block ×4, first 2 shown]
.LBB29_131:
	s_or_b32 exec_lo, exec_lo, s4
	s_mov_b32 s5, -1
	s_waitcnt_vscnt null, 0x0
	s_barrier
	buffer_gl0_inv
.LBB29_132:
	s_and_b32 vcc_lo, exec_lo, s5
	s_cbranch_vccz .LBB29_134
; %bb.133:
	s_lshl_b64 s[4:5], s[6:7], 2
	v_mov_b32_e32 v1, 0
	s_add_u32 s4, s10, s4
	s_addc_u32 s5, s11, s5
	global_load_dword v1, v1, s[4:5]
	s_waitcnt vmcnt(0)
	v_cmp_ne_u32_e32 vcc_lo, 0, v1
	s_cbranch_vccz .LBB29_135
.LBB29_134:
	s_endpgm
.LBB29_135:
	v_lshl_add_u32 v1, v0, 4, 0x1e0
	s_mov_b32 s4, exec_lo
	v_cmpx_eq_u32_e32 29, v0
	s_cbranch_execz .LBB29_137
; %bb.136:
	v_mov_b32_e32 v2, s9
	s_clause 0x3
	buffer_load_dword v65, v2, s[0:3], 0 offen
	buffer_load_dword v66, v2, s[0:3], 0 offen offset:4
	buffer_load_dword v67, v2, s[0:3], 0 offen offset:8
	;; [unrolled: 1-line block ×3, first 2 shown]
	v_mov_b32_e32 v2, 0
	buffer_store_dword v2, off, s[0:3], 0 offset:464
	buffer_store_dword v2, off, s[0:3], 0 offset:468
	;; [unrolled: 1-line block ×4, first 2 shown]
	s_waitcnt vmcnt(0)
	ds_write_b128 v1, v[65:68]
.LBB29_137:
	s_or_b32 exec_lo, exec_lo, s4
	s_waitcnt lgkmcnt(0)
	s_waitcnt_vscnt null, 0x0
	s_barrier
	buffer_gl0_inv
	s_clause 0x7
	buffer_load_dword v3, off, s[0:3], 0 offset:488
	buffer_load_dword v4, off, s[0:3], 0 offset:492
	;; [unrolled: 1-line block ×8, first 2 shown]
	v_mov_b32_e32 v2, 0
	s_mov_b32 s4, exec_lo
	ds_read_b128 v[65:68], v2 offset:944
	s_waitcnt vmcnt(6) lgkmcnt(0)
	v_mul_f64 v[75:76], v[67:68], v[3:4]
	v_mul_f64 v[3:4], v[65:66], v[3:4]
	s_waitcnt vmcnt(4)
	v_fma_f64 v[65:66], v[65:66], v[69:70], -v[75:76]
	v_fma_f64 v[3:4], v[67:68], v[69:70], v[3:4]
	v_add_f64 v[65:66], v[65:66], 0
	v_add_f64 v[3:4], v[3:4], 0
	s_waitcnt vmcnt(2)
	v_add_f64 v[65:66], v[71:72], -v[65:66]
	s_waitcnt vmcnt(0)
	v_add_f64 v[3:4], v[73:74], -v[3:4]
	buffer_store_dword v65, off, s[0:3], 0 offset:464
	buffer_store_dword v66, off, s[0:3], 0 offset:468
	;; [unrolled: 1-line block ×4, first 2 shown]
	v_cmpx_lt_u32_e32 27, v0
	s_cbranch_execz .LBB29_139
; %bb.138:
	v_mov_b32_e32 v3, s12
	s_clause 0x3
	buffer_load_dword v65, v3, s[0:3], 0 offen
	buffer_load_dword v66, v3, s[0:3], 0 offen offset:4
	buffer_load_dword v67, v3, s[0:3], 0 offen offset:8
	;; [unrolled: 1-line block ×3, first 2 shown]
	buffer_store_dword v2, off, s[0:3], 0 offset:448
	buffer_store_dword v2, off, s[0:3], 0 offset:452
	;; [unrolled: 1-line block ×4, first 2 shown]
	s_waitcnt vmcnt(0)
	ds_write_b128 v1, v[65:68]
.LBB29_139:
	s_or_b32 exec_lo, exec_lo, s4
	s_waitcnt lgkmcnt(0)
	s_waitcnt_vscnt null, 0x0
	s_barrier
	buffer_gl0_inv
	s_clause 0xb
	buffer_load_dword v3, off, s[0:3], 0 offset:472
	buffer_load_dword v4, off, s[0:3], 0 offset:476
	buffer_load_dword v73, off, s[0:3], 0 offset:488
	buffer_load_dword v74, off, s[0:3], 0 offset:492
	buffer_load_dword v75, off, s[0:3], 0 offset:464
	buffer_load_dword v76, off, s[0:3], 0 offset:468
	buffer_load_dword v77, off, s[0:3], 0 offset:480
	buffer_load_dword v78, off, s[0:3], 0 offset:484
	buffer_load_dword v79, off, s[0:3], 0 offset:448
	buffer_load_dword v80, off, s[0:3], 0 offset:452
	buffer_load_dword v81, off, s[0:3], 0 offset:456
	buffer_load_dword v82, off, s[0:3], 0 offset:460
	ds_read_b128 v[65:68], v2 offset:928
	ds_read_b128 v[69:72], v2 offset:944
	s_mov_b32 s4, exec_lo
	s_waitcnt vmcnt(10) lgkmcnt(1)
	v_mul_f64 v[83:84], v[67:68], v[3:4]
	v_mul_f64 v[2:3], v[65:66], v[3:4]
	s_waitcnt vmcnt(8) lgkmcnt(0)
	v_mul_f64 v[85:86], v[71:72], v[73:74]
	v_mul_f64 v[73:74], v[69:70], v[73:74]
	s_waitcnt vmcnt(6)
	v_fma_f64 v[65:66], v[65:66], v[75:76], -v[83:84]
	v_fma_f64 v[2:3], v[67:68], v[75:76], v[2:3]
	s_waitcnt vmcnt(4)
	v_fma_f64 v[67:68], v[69:70], v[77:78], -v[85:86]
	v_fma_f64 v[69:70], v[71:72], v[77:78], v[73:74]
	v_add_f64 v[65:66], v[65:66], 0
	v_add_f64 v[2:3], v[2:3], 0
	;; [unrolled: 1-line block ×4, first 2 shown]
	s_waitcnt vmcnt(2)
	v_add_f64 v[65:66], v[79:80], -v[65:66]
	s_waitcnt vmcnt(0)
	v_add_f64 v[2:3], v[81:82], -v[2:3]
	buffer_store_dword v65, off, s[0:3], 0 offset:448
	buffer_store_dword v66, off, s[0:3], 0 offset:452
	;; [unrolled: 1-line block ×4, first 2 shown]
	v_cmpx_lt_u32_e32 26, v0
	s_cbranch_execz .LBB29_141
; %bb.140:
	v_mov_b32_e32 v2, s13
	s_clause 0x3
	buffer_load_dword v65, v2, s[0:3], 0 offen
	buffer_load_dword v66, v2, s[0:3], 0 offen offset:4
	buffer_load_dword v67, v2, s[0:3], 0 offen offset:8
	;; [unrolled: 1-line block ×3, first 2 shown]
	v_mov_b32_e32 v2, 0
	buffer_store_dword v2, off, s[0:3], 0 offset:432
	buffer_store_dword v2, off, s[0:3], 0 offset:436
	buffer_store_dword v2, off, s[0:3], 0 offset:440
	buffer_store_dword v2, off, s[0:3], 0 offset:444
	s_waitcnt vmcnt(0)
	ds_write_b128 v1, v[65:68]
.LBB29_141:
	s_or_b32 exec_lo, exec_lo, s4
	s_waitcnt lgkmcnt(0)
	s_waitcnt_vscnt null, 0x0
	s_barrier
	buffer_gl0_inv
	s_clause 0xf
	buffer_load_dword v3, off, s[0:3], 0 offset:456
	buffer_load_dword v4, off, s[0:3], 0 offset:460
	;; [unrolled: 1-line block ×16, first 2 shown]
	v_mov_b32_e32 v2, 0
	ds_read_b128 v[65:68], v2 offset:912
	ds_read_b128 v[69:72], v2 offset:928
	;; [unrolled: 1-line block ×3, first 2 shown]
	s_mov_b32 s4, exec_lo
	s_waitcnt vmcnt(14) lgkmcnt(2)
	v_mul_f64 v[91:92], v[67:68], v[3:4]
	v_mul_f64 v[3:4], v[65:66], v[3:4]
	s_waitcnt vmcnt(12) lgkmcnt(1)
	v_mul_f64 v[93:94], v[71:72], v[77:78]
	v_mul_f64 v[77:78], v[69:70], v[77:78]
	s_waitcnt vmcnt(10)
	v_fma_f64 v[65:66], v[65:66], v[79:80], -v[91:92]
	v_fma_f64 v[3:4], v[67:68], v[79:80], v[3:4]
	s_waitcnt vmcnt(8) lgkmcnt(0)
	v_mul_f64 v[79:80], v[75:76], v[81:82]
	s_waitcnt vmcnt(6)
	v_fma_f64 v[69:70], v[69:70], v[83:84], -v[93:94]
	v_mul_f64 v[67:68], v[73:74], v[81:82]
	v_fma_f64 v[71:72], v[71:72], v[83:84], v[77:78]
	v_add_f64 v[65:66], v[65:66], 0
	v_add_f64 v[3:4], v[3:4], 0
	s_waitcnt vmcnt(4)
	v_fma_f64 v[73:74], v[73:74], v[85:86], -v[79:80]
	v_fma_f64 v[67:68], v[75:76], v[85:86], v[67:68]
	v_add_f64 v[65:66], v[65:66], v[69:70]
	v_add_f64 v[3:4], v[3:4], v[71:72]
	;; [unrolled: 1-line block ×4, first 2 shown]
	s_waitcnt vmcnt(2)
	v_add_f64 v[65:66], v[87:88], -v[65:66]
	s_waitcnt vmcnt(0)
	v_add_f64 v[3:4], v[89:90], -v[3:4]
	buffer_store_dword v65, off, s[0:3], 0 offset:432
	buffer_store_dword v66, off, s[0:3], 0 offset:436
	;; [unrolled: 1-line block ×4, first 2 shown]
	v_cmpx_lt_u32_e32 25, v0
	s_cbranch_execz .LBB29_143
; %bb.142:
	v_mov_b32_e32 v3, s14
	s_clause 0x3
	buffer_load_dword v65, v3, s[0:3], 0 offen
	buffer_load_dword v66, v3, s[0:3], 0 offen offset:4
	buffer_load_dword v67, v3, s[0:3], 0 offen offset:8
	;; [unrolled: 1-line block ×3, first 2 shown]
	buffer_store_dword v2, off, s[0:3], 0 offset:416
	buffer_store_dword v2, off, s[0:3], 0 offset:420
	;; [unrolled: 1-line block ×4, first 2 shown]
	s_waitcnt vmcnt(0)
	ds_write_b128 v1, v[65:68]
.LBB29_143:
	s_or_b32 exec_lo, exec_lo, s4
	s_waitcnt lgkmcnt(0)
	s_waitcnt_vscnt null, 0x0
	s_barrier
	buffer_gl0_inv
	s_clause 0x13
	buffer_load_dword v3, off, s[0:3], 0 offset:440
	buffer_load_dword v4, off, s[0:3], 0 offset:444
	;; [unrolled: 1-line block ×20, first 2 shown]
	ds_read_b128 v[65:68], v2 offset:896
	ds_read_b128 v[69:72], v2 offset:912
	;; [unrolled: 1-line block ×3, first 2 shown]
	s_mov_b32 s4, exec_lo
	s_waitcnt vmcnt(18) lgkmcnt(2)
	v_mul_f64 v[95:96], v[67:68], v[3:4]
	v_mul_f64 v[3:4], v[65:66], v[3:4]
	s_waitcnt vmcnt(16) lgkmcnt(1)
	v_mul_f64 v[97:98], v[71:72], v[77:78]
	v_mul_f64 v[77:78], v[69:70], v[77:78]
	s_waitcnt vmcnt(14)
	v_fma_f64 v[95:96], v[65:66], v[79:80], -v[95:96]
	v_fma_f64 v[3:4], v[67:68], v[79:80], v[3:4]
	ds_read_b128 v[65:68], v2 offset:944
	s_waitcnt vmcnt(12) lgkmcnt(1)
	v_mul_f64 v[79:80], v[73:74], v[81:82]
	v_mul_f64 v[81:82], v[75:76], v[81:82]
	s_waitcnt vmcnt(10)
	v_fma_f64 v[69:70], v[69:70], v[83:84], -v[97:98]
	v_fma_f64 v[71:72], v[71:72], v[83:84], v[77:78]
	s_waitcnt vmcnt(8) lgkmcnt(0)
	v_mul_f64 v[83:84], v[67:68], v[85:86]
	v_add_f64 v[95:96], v[95:96], 0
	v_add_f64 v[2:3], v[3:4], 0
	v_mul_f64 v[77:78], v[65:66], v[85:86]
	s_waitcnt vmcnt(6)
	v_fma_f64 v[73:74], v[73:74], v[87:88], -v[81:82]
	v_fma_f64 v[75:76], v[75:76], v[87:88], v[79:80]
	s_waitcnt vmcnt(4)
	v_fma_f64 v[65:66], v[65:66], v[89:90], -v[83:84]
	v_add_f64 v[69:70], v[95:96], v[69:70]
	v_add_f64 v[2:3], v[2:3], v[71:72]
	v_fma_f64 v[67:68], v[67:68], v[89:90], v[77:78]
	v_add_f64 v[69:70], v[69:70], v[73:74]
	v_add_f64 v[2:3], v[2:3], v[75:76]
	;; [unrolled: 1-line block ×4, first 2 shown]
	s_waitcnt vmcnt(2)
	v_add_f64 v[65:66], v[91:92], -v[65:66]
	s_waitcnt vmcnt(0)
	v_add_f64 v[2:3], v[93:94], -v[2:3]
	buffer_store_dword v65, off, s[0:3], 0 offset:416
	buffer_store_dword v66, off, s[0:3], 0 offset:420
	;; [unrolled: 1-line block ×4, first 2 shown]
	v_cmpx_lt_u32_e32 24, v0
	s_cbranch_execz .LBB29_145
; %bb.144:
	v_mov_b32_e32 v2, s15
	s_clause 0x3
	buffer_load_dword v65, v2, s[0:3], 0 offen
	buffer_load_dword v66, v2, s[0:3], 0 offen offset:4
	buffer_load_dword v67, v2, s[0:3], 0 offen offset:8
	;; [unrolled: 1-line block ×3, first 2 shown]
	v_mov_b32_e32 v2, 0
	buffer_store_dword v2, off, s[0:3], 0 offset:400
	buffer_store_dword v2, off, s[0:3], 0 offset:404
	;; [unrolled: 1-line block ×4, first 2 shown]
	s_waitcnt vmcnt(0)
	ds_write_b128 v1, v[65:68]
.LBB29_145:
	s_or_b32 exec_lo, exec_lo, s4
	s_waitcnt lgkmcnt(0)
	s_waitcnt_vscnt null, 0x0
	s_barrier
	buffer_gl0_inv
	s_clause 0x17
	buffer_load_dword v3, off, s[0:3], 0 offset:424
	buffer_load_dword v4, off, s[0:3], 0 offset:428
	;; [unrolled: 1-line block ×24, first 2 shown]
	v_mov_b32_e32 v2, 0
	ds_read_b128 v[65:68], v2 offset:880
	ds_read_b128 v[69:72], v2 offset:896
	;; [unrolled: 1-line block ×3, first 2 shown]
	s_mov_b32 s4, exec_lo
	s_waitcnt vmcnt(22) lgkmcnt(2)
	v_mul_f64 v[99:100], v[67:68], v[3:4]
	v_mul_f64 v[3:4], v[65:66], v[3:4]
	s_waitcnt vmcnt(20) lgkmcnt(1)
	v_mul_f64 v[101:102], v[71:72], v[77:78]
	v_mul_f64 v[77:78], v[69:70], v[77:78]
	s_waitcnt vmcnt(18)
	v_fma_f64 v[99:100], v[65:66], v[79:80], -v[99:100]
	v_fma_f64 v[3:4], v[67:68], v[79:80], v[3:4]
	ds_read_b128 v[65:68], v2 offset:928
	s_waitcnt vmcnt(16) lgkmcnt(1)
	v_mul_f64 v[79:80], v[73:74], v[81:82]
	v_mul_f64 v[81:82], v[75:76], v[81:82]
	s_waitcnt vmcnt(14)
	v_fma_f64 v[101:102], v[69:70], v[83:84], -v[101:102]
	v_fma_f64 v[77:78], v[71:72], v[83:84], v[77:78]
	ds_read_b128 v[69:72], v2 offset:944
	s_waitcnt vmcnt(10) lgkmcnt(1)
	v_mul_f64 v[83:84], v[65:66], v[85:86]
	v_add_f64 v[99:100], v[99:100], 0
	v_add_f64 v[3:4], v[3:4], 0
	v_mul_f64 v[85:86], v[67:68], v[85:86]
	s_waitcnt vmcnt(8)
	v_fma_f64 v[73:74], v[73:74], v[91:92], -v[81:82]
	v_fma_f64 v[75:76], v[75:76], v[91:92], v[79:80]
	s_waitcnt vmcnt(7) lgkmcnt(0)
	v_mul_f64 v[79:80], v[71:72], v[87:88]
	s_waitcnt vmcnt(5)
	v_fma_f64 v[67:68], v[67:68], v[93:94], v[83:84]
	v_add_f64 v[81:82], v[99:100], v[101:102]
	v_add_f64 v[3:4], v[3:4], v[77:78]
	v_fma_f64 v[65:66], v[65:66], v[93:94], -v[85:86]
	v_mul_f64 v[77:78], v[69:70], v[87:88]
	s_waitcnt vmcnt(4)
	v_fma_f64 v[69:70], v[69:70], v[89:90], -v[79:80]
	v_add_f64 v[73:74], v[81:82], v[73:74]
	v_add_f64 v[3:4], v[3:4], v[75:76]
	v_fma_f64 v[71:72], v[71:72], v[89:90], v[77:78]
	v_add_f64 v[65:66], v[73:74], v[65:66]
	v_add_f64 v[3:4], v[3:4], v[67:68]
	;; [unrolled: 1-line block ×4, first 2 shown]
	s_waitcnt vmcnt(2)
	v_add_f64 v[65:66], v[95:96], -v[65:66]
	s_waitcnt vmcnt(0)
	v_add_f64 v[3:4], v[97:98], -v[3:4]
	buffer_store_dword v66, off, s[0:3], 0 offset:404
	buffer_store_dword v65, off, s[0:3], 0 offset:400
	;; [unrolled: 1-line block ×4, first 2 shown]
	v_cmpx_lt_u32_e32 23, v0
	s_cbranch_execz .LBB29_147
; %bb.146:
	v_mov_b32_e32 v3, s16
	s_clause 0x3
	buffer_load_dword v65, v3, s[0:3], 0 offen
	buffer_load_dword v66, v3, s[0:3], 0 offen offset:4
	buffer_load_dword v67, v3, s[0:3], 0 offen offset:8
	;; [unrolled: 1-line block ×3, first 2 shown]
	buffer_store_dword v2, off, s[0:3], 0 offset:384
	buffer_store_dword v2, off, s[0:3], 0 offset:388
	buffer_store_dword v2, off, s[0:3], 0 offset:392
	buffer_store_dword v2, off, s[0:3], 0 offset:396
	s_waitcnt vmcnt(0)
	ds_write_b128 v1, v[65:68]
.LBB29_147:
	s_or_b32 exec_lo, exec_lo, s4
	s_waitcnt lgkmcnt(0)
	s_waitcnt_vscnt null, 0x0
	s_barrier
	buffer_gl0_inv
	s_clause 0x1b
	buffer_load_dword v3, off, s[0:3], 0 offset:408
	buffer_load_dword v4, off, s[0:3], 0 offset:412
	;; [unrolled: 1-line block ×28, first 2 shown]
	ds_read_b128 v[65:68], v2 offset:864
	ds_read_b128 v[69:72], v2 offset:880
	;; [unrolled: 1-line block ×3, first 2 shown]
	s_mov_b32 s4, exec_lo
	s_waitcnt vmcnt(26) lgkmcnt(2)
	v_mul_f64 v[103:104], v[67:68], v[3:4]
	v_mul_f64 v[3:4], v[65:66], v[3:4]
	s_waitcnt vmcnt(24) lgkmcnt(1)
	v_mul_f64 v[105:106], v[71:72], v[77:78]
	v_mul_f64 v[77:78], v[69:70], v[77:78]
	s_waitcnt vmcnt(22)
	v_fma_f64 v[103:104], v[65:66], v[79:80], -v[103:104]
	v_fma_f64 v[3:4], v[67:68], v[79:80], v[3:4]
	ds_read_b128 v[65:68], v2 offset:912
	s_waitcnt vmcnt(20) lgkmcnt(1)
	v_mul_f64 v[79:80], v[73:74], v[81:82]
	v_mul_f64 v[81:82], v[75:76], v[81:82]
	s_waitcnt vmcnt(18)
	v_fma_f64 v[105:106], v[69:70], v[83:84], -v[105:106]
	v_fma_f64 v[77:78], v[71:72], v[83:84], v[77:78]
	ds_read_b128 v[69:72], v2 offset:928
	s_waitcnt vmcnt(14) lgkmcnt(1)
	v_mul_f64 v[83:84], v[65:66], v[85:86]
	v_add_f64 v[103:104], v[103:104], 0
	v_add_f64 v[3:4], v[3:4], 0
	v_mul_f64 v[85:86], v[67:68], v[85:86]
	s_waitcnt vmcnt(12)
	v_fma_f64 v[81:82], v[73:74], v[91:92], -v[81:82]
	v_fma_f64 v[79:80], v[75:76], v[91:92], v[79:80]
	ds_read_b128 v[73:76], v2 offset:944
	s_waitcnt vmcnt(9)
	v_fma_f64 v[67:68], v[67:68], v[93:94], v[83:84]
	v_add_f64 v[103:104], v[103:104], v[105:106]
	v_add_f64 v[3:4], v[3:4], v[77:78]
	s_waitcnt lgkmcnt(1)
	v_mul_f64 v[77:78], v[69:70], v[87:88]
	v_mul_f64 v[87:88], v[71:72], v[87:88]
	v_fma_f64 v[65:66], v[65:66], v[93:94], -v[85:86]
	s_waitcnt vmcnt(7) lgkmcnt(0)
	v_mul_f64 v[83:84], v[75:76], v[95:96]
	v_add_f64 v[81:82], v[103:104], v[81:82]
	v_add_f64 v[2:3], v[3:4], v[79:80]
	v_mul_f64 v[79:80], v[73:74], v[95:96]
	s_waitcnt vmcnt(6)
	v_fma_f64 v[69:70], v[69:70], v[89:90], -v[87:88]
	v_fma_f64 v[71:72], v[71:72], v[89:90], v[77:78]
	v_add_f64 v[65:66], v[81:82], v[65:66]
	v_add_f64 v[2:3], v[2:3], v[67:68]
	s_waitcnt vmcnt(4)
	v_fma_f64 v[67:68], v[73:74], v[97:98], -v[83:84]
	v_add_f64 v[65:66], v[65:66], v[69:70]
	v_fma_f64 v[69:70], v[75:76], v[97:98], v[79:80]
	v_add_f64 v[2:3], v[2:3], v[71:72]
	v_add_f64 v[65:66], v[65:66], v[67:68]
	;; [unrolled: 1-line block ×3, first 2 shown]
	s_waitcnt vmcnt(2)
	v_add_f64 v[65:66], v[99:100], -v[65:66]
	s_waitcnt vmcnt(0)
	v_add_f64 v[2:3], v[101:102], -v[2:3]
	buffer_store_dword v66, off, s[0:3], 0 offset:388
	buffer_store_dword v65, off, s[0:3], 0 offset:384
	;; [unrolled: 1-line block ×4, first 2 shown]
	v_cmpx_lt_u32_e32 22, v0
	s_cbranch_execz .LBB29_149
; %bb.148:
	v_mov_b32_e32 v2, s17
	s_clause 0x3
	buffer_load_dword v65, v2, s[0:3], 0 offen
	buffer_load_dword v66, v2, s[0:3], 0 offen offset:4
	buffer_load_dword v67, v2, s[0:3], 0 offen offset:8
	;; [unrolled: 1-line block ×3, first 2 shown]
	v_mov_b32_e32 v2, 0
	buffer_store_dword v2, off, s[0:3], 0 offset:368
	buffer_store_dword v2, off, s[0:3], 0 offset:372
	;; [unrolled: 1-line block ×4, first 2 shown]
	s_waitcnt vmcnt(0)
	ds_write_b128 v1, v[65:68]
.LBB29_149:
	s_or_b32 exec_lo, exec_lo, s4
	s_waitcnt lgkmcnt(0)
	s_waitcnt_vscnt null, 0x0
	s_barrier
	buffer_gl0_inv
	s_clause 0x1f
	buffer_load_dword v3, off, s[0:3], 0 offset:392
	buffer_load_dword v4, off, s[0:3], 0 offset:396
	;; [unrolled: 1-line block ×32, first 2 shown]
	v_mov_b32_e32 v2, 0
	ds_read_b128 v[65:68], v2 offset:848
	ds_read_b128 v[69:72], v2 offset:864
	;; [unrolled: 1-line block ×3, first 2 shown]
	s_mov_b32 s4, exec_lo
	s_waitcnt vmcnt(30) lgkmcnt(2)
	v_mul_f64 v[107:108], v[67:68], v[3:4]
	v_mul_f64 v[3:4], v[65:66], v[3:4]
	s_waitcnt vmcnt(28) lgkmcnt(1)
	v_mul_f64 v[109:110], v[71:72], v[77:78]
	v_mul_f64 v[77:78], v[69:70], v[77:78]
	s_waitcnt vmcnt(26)
	v_fma_f64 v[107:108], v[65:66], v[79:80], -v[107:108]
	v_fma_f64 v[3:4], v[67:68], v[79:80], v[3:4]
	ds_read_b128 v[65:68], v2 offset:896
	s_waitcnt vmcnt(24) lgkmcnt(1)
	v_mul_f64 v[79:80], v[73:74], v[81:82]
	v_mul_f64 v[81:82], v[75:76], v[81:82]
	s_waitcnt vmcnt(22)
	v_fma_f64 v[109:110], v[69:70], v[83:84], -v[109:110]
	v_fma_f64 v[77:78], v[71:72], v[83:84], v[77:78]
	ds_read_b128 v[69:72], v2 offset:912
	s_waitcnt vmcnt(18) lgkmcnt(1)
	v_mul_f64 v[83:84], v[65:66], v[85:86]
	v_add_f64 v[107:108], v[107:108], 0
	v_add_f64 v[3:4], v[3:4], 0
	v_mul_f64 v[85:86], v[67:68], v[85:86]
	s_waitcnt vmcnt(16)
	v_fma_f64 v[81:82], v[73:74], v[91:92], -v[81:82]
	v_fma_f64 v[79:80], v[75:76], v[91:92], v[79:80]
	ds_read_b128 v[73:76], v2 offset:928
	s_waitcnt vmcnt(13)
	v_fma_f64 v[83:84], v[67:68], v[93:94], v[83:84]
	v_add_f64 v[107:108], v[107:108], v[109:110]
	v_add_f64 v[3:4], v[3:4], v[77:78]
	s_waitcnt lgkmcnt(1)
	v_mul_f64 v[77:78], v[69:70], v[87:88]
	v_mul_f64 v[87:88], v[71:72], v[87:88]
	v_fma_f64 v[85:86], v[65:66], v[93:94], -v[85:86]
	s_waitcnt vmcnt(9) lgkmcnt(0)
	v_mul_f64 v[91:92], v[75:76], v[95:96]
	ds_read_b128 v[65:68], v2 offset:944
	v_add_f64 v[81:82], v[107:108], v[81:82]
	v_add_f64 v[3:4], v[3:4], v[79:80]
	v_mul_f64 v[79:80], v[73:74], v[95:96]
	s_waitcnt vmcnt(8)
	v_fma_f64 v[69:70], v[69:70], v[89:90], -v[87:88]
	v_fma_f64 v[71:72], v[71:72], v[89:90], v[77:78]
	s_waitcnt vmcnt(5)
	v_fma_f64 v[73:74], v[73:74], v[101:102], -v[91:92]
	s_waitcnt lgkmcnt(0)
	v_mul_f64 v[77:78], v[65:66], v[97:98]
	v_add_f64 v[81:82], v[81:82], v[85:86]
	v_add_f64 v[3:4], v[3:4], v[83:84]
	v_mul_f64 v[83:84], v[67:68], v[97:98]
	v_fma_f64 v[75:76], v[75:76], v[101:102], v[79:80]
	s_waitcnt vmcnt(4)
	v_fma_f64 v[67:68], v[67:68], v[99:100], v[77:78]
	v_add_f64 v[69:70], v[81:82], v[69:70]
	v_add_f64 v[3:4], v[3:4], v[71:72]
	v_fma_f64 v[65:66], v[65:66], v[99:100], -v[83:84]
	v_add_f64 v[69:70], v[69:70], v[73:74]
	v_add_f64 v[3:4], v[3:4], v[75:76]
	;; [unrolled: 1-line block ×4, first 2 shown]
	s_waitcnt vmcnt(2)
	v_add_f64 v[65:66], v[103:104], -v[65:66]
	s_waitcnt vmcnt(0)
	v_add_f64 v[3:4], v[105:106], -v[3:4]
	buffer_store_dword v66, off, s[0:3], 0 offset:372
	buffer_store_dword v65, off, s[0:3], 0 offset:368
	buffer_store_dword v4, off, s[0:3], 0 offset:380
	buffer_store_dword v3, off, s[0:3], 0 offset:376
	v_cmpx_lt_u32_e32 21, v0
	s_cbranch_execz .LBB29_151
; %bb.150:
	v_mov_b32_e32 v3, s18
	s_clause 0x3
	buffer_load_dword v65, v3, s[0:3], 0 offen
	buffer_load_dword v66, v3, s[0:3], 0 offen offset:4
	buffer_load_dword v67, v3, s[0:3], 0 offen offset:8
	buffer_load_dword v68, v3, s[0:3], 0 offen offset:12
	buffer_store_dword v2, off, s[0:3], 0 offset:352
	buffer_store_dword v2, off, s[0:3], 0 offset:356
	;; [unrolled: 1-line block ×4, first 2 shown]
	s_waitcnt vmcnt(0)
	ds_write_b128 v1, v[65:68]
.LBB29_151:
	s_or_b32 exec_lo, exec_lo, s4
	s_waitcnt lgkmcnt(0)
	s_waitcnt_vscnt null, 0x0
	s_barrier
	buffer_gl0_inv
	s_clause 0x23
	buffer_load_dword v3, off, s[0:3], 0 offset:376
	buffer_load_dword v4, off, s[0:3], 0 offset:380
	;; [unrolled: 1-line block ×36, first 2 shown]
	ds_read_b128 v[65:68], v2 offset:832
	ds_read_b128 v[69:72], v2 offset:848
	;; [unrolled: 1-line block ×3, first 2 shown]
	s_mov_b32 s4, exec_lo
	s_waitcnt vmcnt(34) lgkmcnt(2)
	v_mul_f64 v[111:112], v[67:68], v[3:4]
	v_mul_f64 v[3:4], v[65:66], v[3:4]
	s_waitcnt vmcnt(32) lgkmcnt(1)
	v_mul_f64 v[113:114], v[71:72], v[77:78]
	v_mul_f64 v[77:78], v[69:70], v[77:78]
	s_waitcnt vmcnt(30)
	v_fma_f64 v[111:112], v[65:66], v[79:80], -v[111:112]
	v_fma_f64 v[3:4], v[67:68], v[79:80], v[3:4]
	ds_read_b128 v[65:68], v2 offset:880
	s_waitcnt vmcnt(28) lgkmcnt(1)
	v_mul_f64 v[79:80], v[73:74], v[81:82]
	v_mul_f64 v[81:82], v[75:76], v[81:82]
	s_waitcnt vmcnt(26)
	v_fma_f64 v[113:114], v[69:70], v[83:84], -v[113:114]
	v_fma_f64 v[77:78], v[71:72], v[83:84], v[77:78]
	ds_read_b128 v[69:72], v2 offset:896
	s_waitcnt vmcnt(22) lgkmcnt(1)
	v_mul_f64 v[83:84], v[65:66], v[85:86]
	v_add_f64 v[111:112], v[111:112], 0
	v_add_f64 v[3:4], v[3:4], 0
	v_mul_f64 v[85:86], v[67:68], v[85:86]
	s_waitcnt vmcnt(20)
	v_fma_f64 v[81:82], v[73:74], v[91:92], -v[81:82]
	v_fma_f64 v[79:80], v[75:76], v[91:92], v[79:80]
	ds_read_b128 v[73:76], v2 offset:912
	s_waitcnt vmcnt(17)
	v_fma_f64 v[83:84], v[67:68], v[93:94], v[83:84]
	v_add_f64 v[111:112], v[111:112], v[113:114]
	v_add_f64 v[3:4], v[3:4], v[77:78]
	s_waitcnt lgkmcnt(1)
	v_mul_f64 v[77:78], v[69:70], v[87:88]
	v_mul_f64 v[87:88], v[71:72], v[87:88]
	v_fma_f64 v[85:86], v[65:66], v[93:94], -v[85:86]
	s_waitcnt vmcnt(13) lgkmcnt(0)
	v_mul_f64 v[91:92], v[75:76], v[95:96]
	ds_read_b128 v[65:68], v2 offset:928
	v_add_f64 v[81:82], v[111:112], v[81:82]
	v_add_f64 v[3:4], v[3:4], v[79:80]
	v_mul_f64 v[79:80], v[73:74], v[95:96]
	s_waitcnt vmcnt(12)
	v_fma_f64 v[87:88], v[69:70], v[89:90], -v[87:88]
	v_fma_f64 v[77:78], v[71:72], v[89:90], v[77:78]
	ds_read_b128 v[69:72], v2 offset:944
	s_waitcnt vmcnt(9)
	v_fma_f64 v[73:74], v[73:74], v[101:102], -v[91:92]
	v_add_f64 v[81:82], v[81:82], v[85:86]
	v_add_f64 v[3:4], v[3:4], v[83:84]
	s_waitcnt lgkmcnt(1)
	v_mul_f64 v[85:86], v[67:68], v[97:98]
	v_mul_f64 v[83:84], v[65:66], v[97:98]
	v_fma_f64 v[75:76], v[75:76], v[101:102], v[79:80]
	s_waitcnt vmcnt(7) lgkmcnt(0)
	v_mul_f64 v[79:80], v[71:72], v[103:104]
	v_add_f64 v[81:82], v[81:82], v[87:88]
	v_add_f64 v[2:3], v[3:4], v[77:78]
	s_waitcnt vmcnt(6)
	v_fma_f64 v[65:66], v[65:66], v[99:100], -v[85:86]
	v_mul_f64 v[77:78], v[69:70], v[103:104]
	v_fma_f64 v[67:68], v[67:68], v[99:100], v[83:84]
	s_waitcnt vmcnt(4)
	v_fma_f64 v[69:70], v[69:70], v[105:106], -v[79:80]
	v_add_f64 v[73:74], v[81:82], v[73:74]
	v_add_f64 v[2:3], v[2:3], v[75:76]
	v_fma_f64 v[71:72], v[71:72], v[105:106], v[77:78]
	v_add_f64 v[65:66], v[73:74], v[65:66]
	v_add_f64 v[2:3], v[2:3], v[67:68]
	;; [unrolled: 1-line block ×4, first 2 shown]
	s_waitcnt vmcnt(2)
	v_add_f64 v[65:66], v[107:108], -v[65:66]
	s_waitcnt vmcnt(0)
	v_add_f64 v[2:3], v[109:110], -v[2:3]
	buffer_store_dword v66, off, s[0:3], 0 offset:356
	buffer_store_dword v65, off, s[0:3], 0 offset:352
	;; [unrolled: 1-line block ×4, first 2 shown]
	v_cmpx_lt_u32_e32 20, v0
	s_cbranch_execz .LBB29_153
; %bb.152:
	v_mov_b32_e32 v2, s19
	s_clause 0x3
	buffer_load_dword v65, v2, s[0:3], 0 offen
	buffer_load_dword v66, v2, s[0:3], 0 offen offset:4
	buffer_load_dword v67, v2, s[0:3], 0 offen offset:8
	;; [unrolled: 1-line block ×3, first 2 shown]
	v_mov_b32_e32 v2, 0
	buffer_store_dword v2, off, s[0:3], 0 offset:336
	buffer_store_dword v2, off, s[0:3], 0 offset:340
	buffer_store_dword v2, off, s[0:3], 0 offset:344
	buffer_store_dword v2, off, s[0:3], 0 offset:348
	s_waitcnt vmcnt(0)
	ds_write_b128 v1, v[65:68]
.LBB29_153:
	s_or_b32 exec_lo, exec_lo, s4
	s_waitcnt lgkmcnt(0)
	s_waitcnt_vscnt null, 0x0
	s_barrier
	buffer_gl0_inv
	s_clause 0x27
	buffer_load_dword v3, off, s[0:3], 0 offset:360
	buffer_load_dword v4, off, s[0:3], 0 offset:364
	;; [unrolled: 1-line block ×40, first 2 shown]
	v_mov_b32_e32 v2, 0
	ds_read_b128 v[65:68], v2 offset:816
	ds_read_b128 v[69:72], v2 offset:832
	;; [unrolled: 1-line block ×3, first 2 shown]
	s_mov_b32 s4, exec_lo
	s_waitcnt vmcnt(38) lgkmcnt(2)
	v_mul_f64 v[115:116], v[67:68], v[3:4]
	v_mul_f64 v[3:4], v[65:66], v[3:4]
	s_waitcnt vmcnt(36) lgkmcnt(1)
	v_mul_f64 v[117:118], v[71:72], v[77:78]
	v_mul_f64 v[77:78], v[69:70], v[77:78]
	s_waitcnt vmcnt(34)
	v_fma_f64 v[115:116], v[65:66], v[79:80], -v[115:116]
	v_fma_f64 v[3:4], v[67:68], v[79:80], v[3:4]
	ds_read_b128 v[65:68], v2 offset:864
	s_waitcnt vmcnt(32) lgkmcnt(1)
	v_mul_f64 v[79:80], v[73:74], v[81:82]
	v_mul_f64 v[81:82], v[75:76], v[81:82]
	s_waitcnt vmcnt(30)
	v_fma_f64 v[117:118], v[69:70], v[83:84], -v[117:118]
	v_fma_f64 v[77:78], v[71:72], v[83:84], v[77:78]
	ds_read_b128 v[69:72], v2 offset:880
	s_waitcnt vmcnt(26) lgkmcnt(1)
	v_mul_f64 v[83:84], v[65:66], v[85:86]
	v_add_f64 v[115:116], v[115:116], 0
	v_add_f64 v[3:4], v[3:4], 0
	v_mul_f64 v[85:86], v[67:68], v[85:86]
	s_waitcnt vmcnt(24)
	v_fma_f64 v[81:82], v[73:74], v[91:92], -v[81:82]
	v_fma_f64 v[79:80], v[75:76], v[91:92], v[79:80]
	ds_read_b128 v[73:76], v2 offset:896
	s_waitcnt vmcnt(21)
	v_fma_f64 v[83:84], v[67:68], v[93:94], v[83:84]
	v_add_f64 v[115:116], v[115:116], v[117:118]
	v_add_f64 v[3:4], v[3:4], v[77:78]
	s_waitcnt lgkmcnt(1)
	v_mul_f64 v[77:78], v[69:70], v[87:88]
	v_mul_f64 v[87:88], v[71:72], v[87:88]
	v_fma_f64 v[85:86], v[65:66], v[93:94], -v[85:86]
	s_waitcnt vmcnt(17) lgkmcnt(0)
	v_mul_f64 v[91:92], v[75:76], v[95:96]
	ds_read_b128 v[65:68], v2 offset:912
	v_add_f64 v[81:82], v[115:116], v[81:82]
	v_add_f64 v[3:4], v[3:4], v[79:80]
	v_mul_f64 v[79:80], v[73:74], v[95:96]
	s_waitcnt vmcnt(16)
	v_fma_f64 v[87:88], v[69:70], v[89:90], -v[87:88]
	v_fma_f64 v[77:78], v[71:72], v[89:90], v[77:78]
	ds_read_b128 v[69:72], v2 offset:928
	s_waitcnt vmcnt(13)
	v_fma_f64 v[89:90], v[73:74], v[101:102], -v[91:92]
	v_add_f64 v[81:82], v[81:82], v[85:86]
	v_add_f64 v[3:4], v[3:4], v[83:84]
	s_waitcnt lgkmcnt(1)
	v_mul_f64 v[85:86], v[67:68], v[97:98]
	v_mul_f64 v[83:84], v[65:66], v[97:98]
	v_fma_f64 v[79:80], v[75:76], v[101:102], v[79:80]
	ds_read_b128 v[73:76], v2 offset:944
	v_add_f64 v[81:82], v[81:82], v[87:88]
	v_add_f64 v[3:4], v[3:4], v[77:78]
	s_waitcnt vmcnt(9) lgkmcnt(1)
	v_mul_f64 v[87:88], v[71:72], v[103:104]
	s_waitcnt vmcnt(8)
	v_fma_f64 v[65:66], v[65:66], v[99:100], -v[85:86]
	v_mul_f64 v[77:78], v[69:70], v[103:104]
	v_fma_f64 v[67:68], v[67:68], v[99:100], v[83:84]
	s_waitcnt vmcnt(7) lgkmcnt(0)
	v_mul_f64 v[83:84], v[75:76], v[105:106]
	v_add_f64 v[81:82], v[81:82], v[89:90]
	v_add_f64 v[3:4], v[3:4], v[79:80]
	s_waitcnt vmcnt(5)
	v_fma_f64 v[69:70], v[69:70], v[109:110], -v[87:88]
	v_mul_f64 v[79:80], v[73:74], v[105:106]
	v_fma_f64 v[71:72], v[71:72], v[109:110], v[77:78]
	v_add_f64 v[65:66], v[81:82], v[65:66]
	v_add_f64 v[3:4], v[3:4], v[67:68]
	s_waitcnt vmcnt(4)
	v_fma_f64 v[67:68], v[73:74], v[107:108], -v[83:84]
	v_add_f64 v[65:66], v[65:66], v[69:70]
	v_fma_f64 v[69:70], v[75:76], v[107:108], v[79:80]
	v_add_f64 v[3:4], v[3:4], v[71:72]
	v_add_f64 v[65:66], v[65:66], v[67:68]
	;; [unrolled: 1-line block ×3, first 2 shown]
	s_waitcnt vmcnt(2)
	v_add_f64 v[65:66], v[111:112], -v[65:66]
	s_waitcnt vmcnt(0)
	v_add_f64 v[3:4], v[113:114], -v[3:4]
	buffer_store_dword v66, off, s[0:3], 0 offset:340
	buffer_store_dword v65, off, s[0:3], 0 offset:336
	;; [unrolled: 1-line block ×4, first 2 shown]
	v_cmpx_lt_u32_e32 19, v0
	s_cbranch_execz .LBB29_155
; %bb.154:
	v_mov_b32_e32 v3, s22
	s_clause 0x3
	buffer_load_dword v65, v3, s[0:3], 0 offen
	buffer_load_dword v66, v3, s[0:3], 0 offen offset:4
	buffer_load_dword v67, v3, s[0:3], 0 offen offset:8
	;; [unrolled: 1-line block ×3, first 2 shown]
	buffer_store_dword v2, off, s[0:3], 0 offset:320
	buffer_store_dword v2, off, s[0:3], 0 offset:324
	;; [unrolled: 1-line block ×4, first 2 shown]
	s_waitcnt vmcnt(0)
	ds_write_b128 v1, v[65:68]
.LBB29_155:
	s_or_b32 exec_lo, exec_lo, s4
	s_waitcnt lgkmcnt(0)
	s_waitcnt_vscnt null, 0x0
	s_barrier
	buffer_gl0_inv
	s_clause 0x2b
	buffer_load_dword v3, off, s[0:3], 0 offset:344
	buffer_load_dword v4, off, s[0:3], 0 offset:348
	;; [unrolled: 1-line block ×44, first 2 shown]
	ds_read_b128 v[65:68], v2 offset:800
	ds_read_b128 v[69:72], v2 offset:816
	;; [unrolled: 1-line block ×3, first 2 shown]
	s_mov_b32 s4, exec_lo
	s_waitcnt vmcnt(42) lgkmcnt(2)
	v_mul_f64 v[119:120], v[67:68], v[3:4]
	v_mul_f64 v[3:4], v[65:66], v[3:4]
	s_waitcnt vmcnt(40) lgkmcnt(1)
	v_mul_f64 v[121:122], v[71:72], v[77:78]
	v_mul_f64 v[77:78], v[69:70], v[77:78]
	s_waitcnt vmcnt(38)
	v_fma_f64 v[119:120], v[65:66], v[79:80], -v[119:120]
	v_fma_f64 v[3:4], v[67:68], v[79:80], v[3:4]
	ds_read_b128 v[65:68], v2 offset:848
	s_waitcnt vmcnt(36) lgkmcnt(1)
	v_mul_f64 v[79:80], v[73:74], v[81:82]
	v_mul_f64 v[81:82], v[75:76], v[81:82]
	s_waitcnt vmcnt(34)
	v_fma_f64 v[121:122], v[69:70], v[83:84], -v[121:122]
	v_fma_f64 v[77:78], v[71:72], v[83:84], v[77:78]
	ds_read_b128 v[69:72], v2 offset:864
	s_waitcnt vmcnt(30) lgkmcnt(1)
	v_mul_f64 v[83:84], v[65:66], v[85:86]
	v_add_f64 v[119:120], v[119:120], 0
	v_add_f64 v[3:4], v[3:4], 0
	v_mul_f64 v[85:86], v[67:68], v[85:86]
	s_waitcnt vmcnt(28)
	v_fma_f64 v[81:82], v[73:74], v[91:92], -v[81:82]
	v_fma_f64 v[79:80], v[75:76], v[91:92], v[79:80]
	ds_read_b128 v[73:76], v2 offset:880
	s_waitcnt vmcnt(25)
	v_fma_f64 v[83:84], v[67:68], v[93:94], v[83:84]
	v_add_f64 v[119:120], v[119:120], v[121:122]
	v_add_f64 v[3:4], v[3:4], v[77:78]
	s_waitcnt lgkmcnt(1)
	v_mul_f64 v[77:78], v[69:70], v[87:88]
	v_mul_f64 v[87:88], v[71:72], v[87:88]
	v_fma_f64 v[85:86], v[65:66], v[93:94], -v[85:86]
	s_waitcnt vmcnt(21) lgkmcnt(0)
	v_mul_f64 v[91:92], v[75:76], v[95:96]
	ds_read_b128 v[65:68], v2 offset:896
	v_add_f64 v[81:82], v[119:120], v[81:82]
	v_add_f64 v[3:4], v[3:4], v[79:80]
	v_mul_f64 v[79:80], v[73:74], v[95:96]
	s_waitcnt vmcnt(20)
	v_fma_f64 v[87:88], v[69:70], v[89:90], -v[87:88]
	v_fma_f64 v[77:78], v[71:72], v[89:90], v[77:78]
	ds_read_b128 v[69:72], v2 offset:912
	s_waitcnt vmcnt(17)
	v_fma_f64 v[89:90], v[73:74], v[101:102], -v[91:92]
	v_add_f64 v[81:82], v[81:82], v[85:86]
	v_add_f64 v[3:4], v[3:4], v[83:84]
	s_waitcnt lgkmcnt(1)
	v_mul_f64 v[85:86], v[67:68], v[97:98]
	v_mul_f64 v[83:84], v[65:66], v[97:98]
	v_fma_f64 v[79:80], v[75:76], v[101:102], v[79:80]
	ds_read_b128 v[73:76], v2 offset:928
	v_add_f64 v[81:82], v[81:82], v[87:88]
	v_add_f64 v[3:4], v[3:4], v[77:78]
	s_waitcnt vmcnt(13) lgkmcnt(1)
	v_mul_f64 v[87:88], v[71:72], v[103:104]
	s_waitcnt vmcnt(12)
	v_fma_f64 v[85:86], v[65:66], v[99:100], -v[85:86]
	v_mul_f64 v[77:78], v[69:70], v[103:104]
	v_fma_f64 v[83:84], v[67:68], v[99:100], v[83:84]
	ds_read_b128 v[65:68], v2 offset:944
	v_add_f64 v[81:82], v[81:82], v[89:90]
	v_add_f64 v[3:4], v[3:4], v[79:80]
	s_waitcnt vmcnt(11) lgkmcnt(1)
	v_mul_f64 v[89:90], v[75:76], v[105:106]
	s_waitcnt vmcnt(9)
	v_fma_f64 v[69:70], v[69:70], v[109:110], -v[87:88]
	v_mul_f64 v[79:80], v[73:74], v[105:106]
	v_fma_f64 v[71:72], v[71:72], v[109:110], v[77:78]
	s_waitcnt vmcnt(7) lgkmcnt(0)
	v_mul_f64 v[77:78], v[65:66], v[111:112]
	v_add_f64 v[81:82], v[81:82], v[85:86]
	v_add_f64 v[2:3], v[3:4], v[83:84]
	v_mul_f64 v[83:84], v[67:68], v[111:112]
	s_waitcnt vmcnt(6)
	v_fma_f64 v[73:74], v[73:74], v[107:108], -v[89:90]
	v_fma_f64 v[75:76], v[75:76], v[107:108], v[79:80]
	s_waitcnt vmcnt(4)
	v_fma_f64 v[67:68], v[67:68], v[113:114], v[77:78]
	v_add_f64 v[69:70], v[81:82], v[69:70]
	v_add_f64 v[2:3], v[2:3], v[71:72]
	v_fma_f64 v[65:66], v[65:66], v[113:114], -v[83:84]
	v_add_f64 v[69:70], v[69:70], v[73:74]
	v_add_f64 v[2:3], v[2:3], v[75:76]
	;; [unrolled: 1-line block ×4, first 2 shown]
	s_waitcnt vmcnt(2)
	v_add_f64 v[65:66], v[115:116], -v[65:66]
	s_waitcnt vmcnt(0)
	v_add_f64 v[2:3], v[117:118], -v[2:3]
	buffer_store_dword v66, off, s[0:3], 0 offset:324
	buffer_store_dword v65, off, s[0:3], 0 offset:320
	buffer_store_dword v3, off, s[0:3], 0 offset:332
	buffer_store_dword v2, off, s[0:3], 0 offset:328
	v_cmpx_lt_u32_e32 18, v0
	s_cbranch_execz .LBB29_157
; %bb.156:
	v_mov_b32_e32 v2, s23
	s_clause 0x3
	buffer_load_dword v65, v2, s[0:3], 0 offen
	buffer_load_dword v66, v2, s[0:3], 0 offen offset:4
	buffer_load_dword v67, v2, s[0:3], 0 offen offset:8
	;; [unrolled: 1-line block ×3, first 2 shown]
	v_mov_b32_e32 v2, 0
	buffer_store_dword v2, off, s[0:3], 0 offset:304
	buffer_store_dword v2, off, s[0:3], 0 offset:308
	;; [unrolled: 1-line block ×4, first 2 shown]
	s_waitcnt vmcnt(0)
	ds_write_b128 v1, v[65:68]
.LBB29_157:
	s_or_b32 exec_lo, exec_lo, s4
	s_waitcnt lgkmcnt(0)
	s_waitcnt_vscnt null, 0x0
	s_barrier
	buffer_gl0_inv
	s_clause 0x2f
	buffer_load_dword v3, off, s[0:3], 0 offset:328
	buffer_load_dword v4, off, s[0:3], 0 offset:332
	;; [unrolled: 1-line block ×48, first 2 shown]
	v_mov_b32_e32 v2, 0
	ds_read_b128 v[65:68], v2 offset:784
	ds_read_b128 v[69:72], v2 offset:800
	;; [unrolled: 1-line block ×3, first 2 shown]
	s_mov_b32 s4, exec_lo
	s_waitcnt vmcnt(46) lgkmcnt(2)
	v_mul_f64 v[123:124], v[67:68], v[3:4]
	v_mul_f64 v[3:4], v[65:66], v[3:4]
	s_waitcnt vmcnt(44) lgkmcnt(1)
	v_mul_f64 v[125:126], v[71:72], v[77:78]
	v_mul_f64 v[77:78], v[69:70], v[77:78]
	s_waitcnt vmcnt(42)
	v_fma_f64 v[123:124], v[65:66], v[79:80], -v[123:124]
	v_fma_f64 v[3:4], v[67:68], v[79:80], v[3:4]
	ds_read_b128 v[65:68], v2 offset:832
	s_waitcnt vmcnt(40) lgkmcnt(1)
	v_mul_f64 v[79:80], v[73:74], v[81:82]
	v_mul_f64 v[81:82], v[75:76], v[81:82]
	s_waitcnt vmcnt(38)
	v_fma_f64 v[125:126], v[69:70], v[83:84], -v[125:126]
	v_fma_f64 v[77:78], v[71:72], v[83:84], v[77:78]
	ds_read_b128 v[69:72], v2 offset:848
	s_waitcnt vmcnt(34) lgkmcnt(1)
	v_mul_f64 v[83:84], v[65:66], v[85:86]
	v_add_f64 v[123:124], v[123:124], 0
	v_add_f64 v[3:4], v[3:4], 0
	v_mul_f64 v[85:86], v[67:68], v[85:86]
	s_waitcnt vmcnt(32)
	v_fma_f64 v[81:82], v[73:74], v[91:92], -v[81:82]
	v_fma_f64 v[79:80], v[75:76], v[91:92], v[79:80]
	ds_read_b128 v[73:76], v2 offset:864
	s_waitcnt vmcnt(29)
	v_fma_f64 v[83:84], v[67:68], v[93:94], v[83:84]
	v_add_f64 v[123:124], v[123:124], v[125:126]
	v_add_f64 v[3:4], v[3:4], v[77:78]
	s_waitcnt lgkmcnt(1)
	v_mul_f64 v[77:78], v[69:70], v[87:88]
	v_mul_f64 v[87:88], v[71:72], v[87:88]
	v_fma_f64 v[85:86], v[65:66], v[93:94], -v[85:86]
	s_waitcnt vmcnt(25) lgkmcnt(0)
	v_mul_f64 v[91:92], v[75:76], v[95:96]
	ds_read_b128 v[65:68], v2 offset:880
	v_add_f64 v[81:82], v[123:124], v[81:82]
	v_add_f64 v[3:4], v[3:4], v[79:80]
	v_mul_f64 v[79:80], v[73:74], v[95:96]
	s_waitcnt vmcnt(24)
	v_fma_f64 v[87:88], v[69:70], v[89:90], -v[87:88]
	v_fma_f64 v[77:78], v[71:72], v[89:90], v[77:78]
	ds_read_b128 v[69:72], v2 offset:896
	s_waitcnt vmcnt(21)
	v_fma_f64 v[89:90], v[73:74], v[101:102], -v[91:92]
	v_add_f64 v[81:82], v[81:82], v[85:86]
	v_add_f64 v[3:4], v[3:4], v[83:84]
	s_waitcnt lgkmcnt(1)
	v_mul_f64 v[85:86], v[67:68], v[97:98]
	v_mul_f64 v[83:84], v[65:66], v[97:98]
	v_fma_f64 v[79:80], v[75:76], v[101:102], v[79:80]
	ds_read_b128 v[73:76], v2 offset:912
	v_add_f64 v[81:82], v[81:82], v[87:88]
	v_add_f64 v[3:4], v[3:4], v[77:78]
	s_waitcnt vmcnt(17) lgkmcnt(1)
	v_mul_f64 v[87:88], v[71:72], v[103:104]
	s_waitcnt vmcnt(16)
	v_fma_f64 v[85:86], v[65:66], v[99:100], -v[85:86]
	v_mul_f64 v[77:78], v[69:70], v[103:104]
	v_fma_f64 v[83:84], v[67:68], v[99:100], v[83:84]
	ds_read_b128 v[65:68], v2 offset:928
	v_add_f64 v[81:82], v[81:82], v[89:90]
	v_add_f64 v[3:4], v[3:4], v[79:80]
	s_waitcnt vmcnt(15) lgkmcnt(1)
	v_mul_f64 v[89:90], v[75:76], v[105:106]
	s_waitcnt vmcnt(13)
	v_fma_f64 v[87:88], v[69:70], v[109:110], -v[87:88]
	;; [unrolled: 9-line block ×3, first 2 shown]
	v_mul_f64 v[83:84], v[65:66], v[111:112]
	v_fma_f64 v[75:76], v[75:76], v[107:108], v[79:80]
	s_waitcnt vmcnt(7) lgkmcnt(0)
	v_mul_f64 v[79:80], v[71:72], v[113:114]
	v_add_f64 v[81:82], v[81:82], v[87:88]
	v_add_f64 v[3:4], v[3:4], v[77:78]
	s_waitcnt vmcnt(5)
	v_fma_f64 v[65:66], v[65:66], v[117:118], -v[85:86]
	v_mul_f64 v[77:78], v[69:70], v[113:114]
	v_fma_f64 v[67:68], v[67:68], v[117:118], v[83:84]
	s_waitcnt vmcnt(4)
	v_fma_f64 v[69:70], v[69:70], v[115:116], -v[79:80]
	v_add_f64 v[73:74], v[81:82], v[73:74]
	v_add_f64 v[3:4], v[3:4], v[75:76]
	v_fma_f64 v[71:72], v[71:72], v[115:116], v[77:78]
	v_add_f64 v[65:66], v[73:74], v[65:66]
	v_add_f64 v[3:4], v[3:4], v[67:68]
	;; [unrolled: 1-line block ×4, first 2 shown]
	s_waitcnt vmcnt(2)
	v_add_f64 v[65:66], v[119:120], -v[65:66]
	s_waitcnt vmcnt(0)
	v_add_f64 v[3:4], v[121:122], -v[3:4]
	buffer_store_dword v66, off, s[0:3], 0 offset:308
	buffer_store_dword v65, off, s[0:3], 0 offset:304
	;; [unrolled: 1-line block ×4, first 2 shown]
	v_cmpx_lt_u32_e32 17, v0
	s_cbranch_execz .LBB29_159
; %bb.158:
	v_mov_b32_e32 v3, s24
	s_clause 0x3
	buffer_load_dword v65, v3, s[0:3], 0 offen
	buffer_load_dword v66, v3, s[0:3], 0 offen offset:4
	buffer_load_dword v67, v3, s[0:3], 0 offen offset:8
	buffer_load_dword v68, v3, s[0:3], 0 offen offset:12
	buffer_store_dword v2, off, s[0:3], 0 offset:288
	buffer_store_dword v2, off, s[0:3], 0 offset:292
	;; [unrolled: 1-line block ×4, first 2 shown]
	s_waitcnt vmcnt(0)
	ds_write_b128 v1, v[65:68]
.LBB29_159:
	s_or_b32 exec_lo, exec_lo, s4
	s_waitcnt lgkmcnt(0)
	s_waitcnt_vscnt null, 0x0
	s_barrier
	buffer_gl0_inv
	s_clause 0x2f
	buffer_load_dword v3, off, s[0:3], 0 offset:312
	buffer_load_dword v4, off, s[0:3], 0 offset:316
	;; [unrolled: 1-line block ×48, first 2 shown]
	ds_read_b128 v[65:68], v2 offset:768
	s_clause 0x3
	buffer_load_dword v123, off, s[0:3], 0 offset:288
	buffer_load_dword v124, off, s[0:3], 0 offset:292
	;; [unrolled: 1-line block ×4, first 2 shown]
	ds_read_b128 v[69:72], v2 offset:784
	ds_read_b128 v[73:76], v2 offset:800
	s_mov_b32 s4, exec_lo
	s_waitcnt vmcnt(50) lgkmcnt(2)
	v_mul_f64 v[127:128], v[67:68], v[3:4]
	v_mul_f64 v[3:4], v[65:66], v[3:4]
	s_waitcnt vmcnt(48) lgkmcnt(1)
	v_mul_f64 v[129:130], v[71:72], v[77:78]
	v_mul_f64 v[77:78], v[69:70], v[77:78]
	s_waitcnt vmcnt(46)
	v_fma_f64 v[127:128], v[65:66], v[79:80], -v[127:128]
	v_fma_f64 v[3:4], v[67:68], v[79:80], v[3:4]
	s_waitcnt vmcnt(44) lgkmcnt(0)
	v_mul_f64 v[79:80], v[73:74], v[81:82]
	v_mul_f64 v[81:82], v[75:76], v[81:82]
	s_waitcnt vmcnt(42)
	v_fma_f64 v[129:130], v[69:70], v[83:84], -v[129:130]
	ds_read_b128 v[65:68], v2 offset:816
	v_fma_f64 v[77:78], v[71:72], v[83:84], v[77:78]
	ds_read_b128 v[69:72], v2 offset:832
	v_add_f64 v[127:128], v[127:128], 0
	v_add_f64 v[3:4], v[3:4], 0
	s_waitcnt vmcnt(36)
	v_fma_f64 v[79:80], v[75:76], v[91:92], v[79:80]
	s_waitcnt lgkmcnt(1)
	v_mul_f64 v[83:84], v[65:66], v[85:86]
	v_mul_f64 v[85:86], v[67:68], v[85:86]
	v_fma_f64 v[81:82], v[73:74], v[91:92], -v[81:82]
	ds_read_b128 v[73:76], v2 offset:848
	v_add_f64 v[127:128], v[127:128], v[129:130]
	v_add_f64 v[3:4], v[3:4], v[77:78]
	s_waitcnt vmcnt(35) lgkmcnt(1)
	v_mul_f64 v[77:78], v[69:70], v[87:88]
	v_mul_f64 v[87:88], v[71:72], v[87:88]
	s_waitcnt vmcnt(33)
	v_fma_f64 v[85:86], v[65:66], v[93:94], -v[85:86]
	v_fma_f64 v[83:84], v[67:68], v[93:94], v[83:84]
	ds_read_b128 v[65:68], v2 offset:864
	s_waitcnt vmcnt(29) lgkmcnt(1)
	v_mul_f64 v[91:92], v[75:76], v[95:96]
	v_add_f64 v[81:82], v[127:128], v[81:82]
	v_add_f64 v[3:4], v[3:4], v[79:80]
	v_mul_f64 v[79:80], v[73:74], v[95:96]
	s_waitcnt vmcnt(28)
	v_fma_f64 v[87:88], v[69:70], v[89:90], -v[87:88]
	v_fma_f64 v[77:78], v[71:72], v[89:90], v[77:78]
	ds_read_b128 v[69:72], v2 offset:880
	s_waitcnt vmcnt(25)
	v_fma_f64 v[89:90], v[73:74], v[101:102], -v[91:92]
	v_add_f64 v[81:82], v[81:82], v[85:86]
	v_add_f64 v[3:4], v[3:4], v[83:84]
	s_waitcnt lgkmcnt(1)
	v_mul_f64 v[85:86], v[67:68], v[97:98]
	v_mul_f64 v[83:84], v[65:66], v[97:98]
	v_fma_f64 v[79:80], v[75:76], v[101:102], v[79:80]
	ds_read_b128 v[73:76], v2 offset:896
	v_add_f64 v[81:82], v[81:82], v[87:88]
	v_add_f64 v[3:4], v[3:4], v[77:78]
	s_waitcnt vmcnt(21) lgkmcnt(1)
	v_mul_f64 v[87:88], v[71:72], v[103:104]
	s_waitcnt vmcnt(20)
	v_fma_f64 v[85:86], v[65:66], v[99:100], -v[85:86]
	v_mul_f64 v[77:78], v[69:70], v[103:104]
	v_fma_f64 v[83:84], v[67:68], v[99:100], v[83:84]
	ds_read_b128 v[65:68], v2 offset:912
	v_add_f64 v[81:82], v[81:82], v[89:90]
	v_add_f64 v[3:4], v[3:4], v[79:80]
	s_waitcnt vmcnt(19) lgkmcnt(1)
	v_mul_f64 v[89:90], v[75:76], v[105:106]
	s_waitcnt vmcnt(17)
	v_fma_f64 v[87:88], v[69:70], v[109:110], -v[87:88]
	;; [unrolled: 9-line block ×4, first 2 shown]
	v_mul_f64 v[77:78], v[69:70], v[113:114]
	v_fma_f64 v[67:68], v[67:68], v[117:118], v[83:84]
	s_waitcnt vmcnt(7) lgkmcnt(0)
	v_mul_f64 v[83:84], v[75:76], v[119:120]
	v_add_f64 v[81:82], v[81:82], v[89:90]
	v_add_f64 v[2:3], v[3:4], v[79:80]
	s_waitcnt vmcnt(6)
	v_fma_f64 v[69:70], v[69:70], v[115:116], -v[87:88]
	v_mul_f64 v[79:80], v[73:74], v[119:120]
	v_fma_f64 v[71:72], v[71:72], v[115:116], v[77:78]
	v_add_f64 v[65:66], v[81:82], v[65:66]
	v_add_f64 v[2:3], v[2:3], v[67:68]
	s_waitcnt vmcnt(4)
	v_fma_f64 v[67:68], v[73:74], v[121:122], -v[83:84]
	v_add_f64 v[65:66], v[65:66], v[69:70]
	v_fma_f64 v[69:70], v[75:76], v[121:122], v[79:80]
	v_add_f64 v[2:3], v[2:3], v[71:72]
	v_add_f64 v[65:66], v[65:66], v[67:68]
	;; [unrolled: 1-line block ×3, first 2 shown]
	s_waitcnt vmcnt(2)
	v_add_f64 v[65:66], v[123:124], -v[65:66]
	s_waitcnt vmcnt(0)
	v_add_f64 v[2:3], v[125:126], -v[2:3]
	buffer_store_dword v66, off, s[0:3], 0 offset:292
	buffer_store_dword v65, off, s[0:3], 0 offset:288
	;; [unrolled: 1-line block ×4, first 2 shown]
	v_cmpx_lt_u32_e32 16, v0
	s_cbranch_execz .LBB29_161
; %bb.160:
	v_mov_b32_e32 v2, s25
	s_clause 0x3
	buffer_load_dword v65, v2, s[0:3], 0 offen
	buffer_load_dword v66, v2, s[0:3], 0 offen offset:4
	buffer_load_dword v67, v2, s[0:3], 0 offen offset:8
	;; [unrolled: 1-line block ×3, first 2 shown]
	v_mov_b32_e32 v2, 0
	buffer_store_dword v2, off, s[0:3], 0 offset:272
	buffer_store_dword v2, off, s[0:3], 0 offset:276
	;; [unrolled: 1-line block ×4, first 2 shown]
	s_waitcnt vmcnt(0)
	ds_write_b128 v1, v[65:68]
.LBB29_161:
	s_or_b32 exec_lo, exec_lo, s4
	s_waitcnt lgkmcnt(0)
	s_waitcnt_vscnt null, 0x0
	s_barrier
	buffer_gl0_inv
	s_clause 0x33
	buffer_load_dword v3, off, s[0:3], 0 offset:296
	buffer_load_dword v4, off, s[0:3], 0 offset:300
	;; [unrolled: 1-line block ×52, first 2 shown]
	v_mov_b32_e32 v2, 0
	ds_read_b128 v[65:68], v2 offset:752
	ds_read_b128 v[69:72], v2 offset:768
	s_clause 0x3
	buffer_load_dword v129, off, s[0:3], 0 offset:272
	buffer_load_dword v130, off, s[0:3], 0 offset:276
	;; [unrolled: 1-line block ×4, first 2 shown]
	ds_read_b128 v[73:76], v2 offset:784
	s_mov_b32 s4, exec_lo
	s_waitcnt vmcnt(54) lgkmcnt(2)
	v_mul_f64 v[127:128], v[67:68], v[3:4]
	v_mul_f64 v[3:4], v[65:66], v[3:4]
	s_waitcnt vmcnt(52) lgkmcnt(1)
	v_mul_f64 v[133:134], v[71:72], v[77:78]
	v_mul_f64 v[77:78], v[69:70], v[77:78]
	s_waitcnt vmcnt(50)
	v_fma_f64 v[127:128], v[65:66], v[79:80], -v[127:128]
	v_fma_f64 v[3:4], v[67:68], v[79:80], v[3:4]
	ds_read_b128 v[65:68], v2 offset:800
	s_waitcnt vmcnt(48) lgkmcnt(1)
	v_mul_f64 v[79:80], v[73:74], v[81:82]
	v_mul_f64 v[81:82], v[75:76], v[81:82]
	s_waitcnt vmcnt(46)
	v_fma_f64 v[133:134], v[69:70], v[83:84], -v[133:134]
	v_fma_f64 v[77:78], v[71:72], v[83:84], v[77:78]
	ds_read_b128 v[69:72], v2 offset:816
	s_waitcnt vmcnt(42) lgkmcnt(1)
	v_mul_f64 v[83:84], v[65:66], v[85:86]
	v_add_f64 v[127:128], v[127:128], 0
	v_add_f64 v[3:4], v[3:4], 0
	v_mul_f64 v[85:86], v[67:68], v[85:86]
	s_waitcnt vmcnt(40)
	v_fma_f64 v[81:82], v[73:74], v[91:92], -v[81:82]
	v_fma_f64 v[79:80], v[75:76], v[91:92], v[79:80]
	ds_read_b128 v[73:76], v2 offset:832
	s_waitcnt vmcnt(37)
	v_fma_f64 v[83:84], v[67:68], v[93:94], v[83:84]
	v_add_f64 v[127:128], v[127:128], v[133:134]
	v_add_f64 v[3:4], v[3:4], v[77:78]
	s_waitcnt lgkmcnt(1)
	v_mul_f64 v[77:78], v[69:70], v[87:88]
	v_mul_f64 v[87:88], v[71:72], v[87:88]
	v_fma_f64 v[85:86], v[65:66], v[93:94], -v[85:86]
	s_waitcnt vmcnt(33) lgkmcnt(0)
	v_mul_f64 v[91:92], v[75:76], v[95:96]
	ds_read_b128 v[65:68], v2 offset:848
	v_add_f64 v[81:82], v[127:128], v[81:82]
	v_add_f64 v[3:4], v[3:4], v[79:80]
	v_mul_f64 v[79:80], v[73:74], v[95:96]
	s_waitcnt vmcnt(32)
	v_fma_f64 v[87:88], v[69:70], v[89:90], -v[87:88]
	v_fma_f64 v[77:78], v[71:72], v[89:90], v[77:78]
	ds_read_b128 v[69:72], v2 offset:864
	s_waitcnt vmcnt(29)
	v_fma_f64 v[89:90], v[73:74], v[101:102], -v[91:92]
	v_add_f64 v[81:82], v[81:82], v[85:86]
	v_add_f64 v[3:4], v[3:4], v[83:84]
	s_waitcnt lgkmcnt(1)
	v_mul_f64 v[85:86], v[67:68], v[97:98]
	v_mul_f64 v[83:84], v[65:66], v[97:98]
	v_fma_f64 v[79:80], v[75:76], v[101:102], v[79:80]
	ds_read_b128 v[73:76], v2 offset:880
	v_add_f64 v[81:82], v[81:82], v[87:88]
	v_add_f64 v[3:4], v[3:4], v[77:78]
	s_waitcnt vmcnt(25) lgkmcnt(1)
	v_mul_f64 v[87:88], v[71:72], v[103:104]
	s_waitcnt vmcnt(24)
	v_fma_f64 v[85:86], v[65:66], v[99:100], -v[85:86]
	v_mul_f64 v[77:78], v[69:70], v[103:104]
	v_fma_f64 v[83:84], v[67:68], v[99:100], v[83:84]
	ds_read_b128 v[65:68], v2 offset:896
	v_add_f64 v[81:82], v[81:82], v[89:90]
	v_add_f64 v[3:4], v[3:4], v[79:80]
	s_waitcnt vmcnt(23) lgkmcnt(1)
	v_mul_f64 v[89:90], v[75:76], v[105:106]
	s_waitcnt vmcnt(21)
	v_fma_f64 v[87:88], v[69:70], v[109:110], -v[87:88]
	;; [unrolled: 9-line block ×5, first 2 shown]
	v_mul_f64 v[79:80], v[73:74], v[119:120]
	v_fma_f64 v[71:72], v[71:72], v[115:116], v[77:78]
	s_waitcnt vmcnt(7) lgkmcnt(0)
	v_mul_f64 v[77:78], v[65:66], v[121:122]
	v_add_f64 v[81:82], v[81:82], v[85:86]
	v_add_f64 v[3:4], v[3:4], v[83:84]
	v_mul_f64 v[83:84], v[67:68], v[121:122]
	s_waitcnt vmcnt(5)
	v_fma_f64 v[73:74], v[73:74], v[125:126], -v[89:90]
	v_fma_f64 v[75:76], v[75:76], v[125:126], v[79:80]
	s_waitcnt vmcnt(4)
	v_fma_f64 v[67:68], v[67:68], v[123:124], v[77:78]
	v_add_f64 v[69:70], v[81:82], v[69:70]
	v_add_f64 v[3:4], v[3:4], v[71:72]
	v_fma_f64 v[65:66], v[65:66], v[123:124], -v[83:84]
	v_add_f64 v[69:70], v[69:70], v[73:74]
	v_add_f64 v[3:4], v[3:4], v[75:76]
	;; [unrolled: 1-line block ×4, first 2 shown]
	s_waitcnt vmcnt(2)
	v_add_f64 v[65:66], v[129:130], -v[65:66]
	s_waitcnt vmcnt(0)
	v_add_f64 v[3:4], v[131:132], -v[3:4]
	buffer_store_dword v66, off, s[0:3], 0 offset:276
	buffer_store_dword v65, off, s[0:3], 0 offset:272
	;; [unrolled: 1-line block ×4, first 2 shown]
	v_cmpx_lt_u32_e32 15, v0
	s_cbranch_execz .LBB29_163
; %bb.162:
	v_mov_b32_e32 v3, s26
	s_clause 0x3
	buffer_load_dword v65, v3, s[0:3], 0 offen
	buffer_load_dword v66, v3, s[0:3], 0 offen offset:4
	buffer_load_dword v67, v3, s[0:3], 0 offen offset:8
	;; [unrolled: 1-line block ×3, first 2 shown]
	buffer_store_dword v2, off, s[0:3], 0 offset:256
	buffer_store_dword v2, off, s[0:3], 0 offset:260
	;; [unrolled: 1-line block ×4, first 2 shown]
	s_waitcnt vmcnt(0)
	ds_write_b128 v1, v[65:68]
.LBB29_163:
	s_or_b32 exec_lo, exec_lo, s4
	s_waitcnt lgkmcnt(0)
	s_waitcnt_vscnt null, 0x0
	s_barrier
	buffer_gl0_inv
	s_clause 0x35
	buffer_load_dword v3, off, s[0:3], 0 offset:280
	buffer_load_dword v4, off, s[0:3], 0 offset:284
	;; [unrolled: 1-line block ×54, first 2 shown]
	ds_read_b128 v[65:68], v2 offset:736
	s_clause 0x1
	buffer_load_dword v130, off, s[0:3], 0 offset:484
	buffer_load_dword v129, off, s[0:3], 0 offset:480
	ds_read_b128 v[69:72], v2 offset:752
	ds_read_b128 v[73:76], v2 offset:768
	s_mov_b32 s4, exec_lo
	s_waitcnt vmcnt(54) lgkmcnt(2)
	v_mul_f64 v[131:132], v[67:68], v[3:4]
	v_mul_f64 v[3:4], v[65:66], v[3:4]
	s_waitcnt vmcnt(52) lgkmcnt(1)
	v_mul_f64 v[133:134], v[71:72], v[77:78]
	v_mul_f64 v[77:78], v[69:70], v[77:78]
	;; [unrolled: 3-line block ×3, first 2 shown]
	v_fma_f64 v[131:132], v[65:66], v[79:80], -v[131:132]
	v_fma_f64 v[3:4], v[67:68], v[79:80], v[3:4]
	s_clause 0x3
	buffer_load_dword v79, off, s[0:3], 0 offset:256
	buffer_load_dword v80, off, s[0:3], 0 offset:260
	;; [unrolled: 1-line block ×4, first 2 shown]
	s_waitcnt vmcnt(50)
	v_fma_f64 v[133:134], v[69:70], v[83:84], -v[133:134]
	ds_read_b128 v[65:68], v2 offset:784
	v_fma_f64 v[77:78], v[71:72], v[83:84], v[77:78]
	ds_read_b128 v[69:72], v2 offset:800
	s_waitcnt vmcnt(44)
	v_fma_f64 v[81:82], v[73:74], v[91:92], -v[81:82]
	v_fma_f64 v[91:92], v[75:76], v[91:92], v[137:138]
	ds_read_b128 v[73:76], v2 offset:816
	v_add_f64 v[131:132], v[131:132], 0
	v_add_f64 v[3:4], v[3:4], 0
	s_waitcnt lgkmcnt(2)
	v_mul_f64 v[83:84], v[65:66], v[85:86]
	v_mul_f64 v[85:86], v[67:68], v[85:86]
	v_add_f64 v[131:132], v[131:132], v[133:134]
	v_add_f64 v[3:4], v[3:4], v[77:78]
	s_waitcnt vmcnt(43) lgkmcnt(1)
	v_mul_f64 v[77:78], v[69:70], v[87:88]
	v_mul_f64 v[87:88], v[71:72], v[87:88]
	s_waitcnt vmcnt(41)
	v_fma_f64 v[85:86], v[65:66], v[93:94], -v[85:86]
	v_fma_f64 v[83:84], v[67:68], v[93:94], v[83:84]
	ds_read_b128 v[65:68], v2 offset:832
	s_waitcnt vmcnt(37) lgkmcnt(1)
	v_mul_f64 v[93:94], v[75:76], v[95:96]
	v_add_f64 v[81:82], v[131:132], v[81:82]
	v_add_f64 v[3:4], v[3:4], v[91:92]
	v_mul_f64 v[91:92], v[73:74], v[95:96]
	s_waitcnt vmcnt(36)
	v_fma_f64 v[87:88], v[69:70], v[89:90], -v[87:88]
	v_fma_f64 v[77:78], v[71:72], v[89:90], v[77:78]
	ds_read_b128 v[69:72], v2 offset:848
	s_waitcnt vmcnt(33)
	v_fma_f64 v[89:90], v[73:74], v[101:102], -v[93:94]
	v_add_f64 v[81:82], v[81:82], v[85:86]
	v_add_f64 v[3:4], v[3:4], v[83:84]
	s_waitcnt lgkmcnt(1)
	v_mul_f64 v[85:86], v[67:68], v[97:98]
	v_mul_f64 v[83:84], v[65:66], v[97:98]
	v_add_f64 v[81:82], v[81:82], v[87:88]
	v_fma_f64 v[87:88], v[75:76], v[101:102], v[91:92]
	v_add_f64 v[3:4], v[3:4], v[77:78]
	ds_read_b128 v[73:76], v2 offset:864
	s_waitcnt vmcnt(29) lgkmcnt(1)
	v_mul_f64 v[91:92], v[71:72], v[103:104]
	s_waitcnt vmcnt(28)
	v_fma_f64 v[85:86], v[65:66], v[99:100], -v[85:86]
	v_mul_f64 v[77:78], v[69:70], v[103:104]
	v_fma_f64 v[83:84], v[67:68], v[99:100], v[83:84]
	ds_read_b128 v[65:68], v2 offset:880
	v_add_f64 v[81:82], v[81:82], v[89:90]
	s_waitcnt vmcnt(27) lgkmcnt(1)
	v_mul_f64 v[89:90], v[75:76], v[105:106]
	v_add_f64 v[3:4], v[3:4], v[87:88]
	v_mul_f64 v[87:88], v[73:74], v[105:106]
	s_waitcnt vmcnt(25)
	v_fma_f64 v[91:92], v[69:70], v[109:110], -v[91:92]
	v_fma_f64 v[77:78], v[71:72], v[109:110], v[77:78]
	ds_read_b128 v[69:72], v2 offset:896
	v_add_f64 v[81:82], v[81:82], v[85:86]
	s_waitcnt vmcnt(21) lgkmcnt(1)
	v_mul_f64 v[85:86], v[67:68], v[111:112]
	v_add_f64 v[3:4], v[3:4], v[83:84]
	s_waitcnt vmcnt(20)
	v_fma_f64 v[89:90], v[73:74], v[107:108], -v[89:90]
	v_mul_f64 v[83:84], v[65:66], v[111:112]
	v_fma_f64 v[87:88], v[75:76], v[107:108], v[87:88]
	ds_read_b128 v[73:76], v2 offset:912
	v_add_f64 v[81:82], v[81:82], v[91:92]
	s_waitcnt vmcnt(19) lgkmcnt(1)
	v_mul_f64 v[91:92], v[71:72], v[113:114]
	v_add_f64 v[3:4], v[3:4], v[77:78]
	s_waitcnt vmcnt(17)
	v_fma_f64 v[85:86], v[65:66], v[117:118], -v[85:86]
	v_mul_f64 v[77:78], v[69:70], v[113:114]
	v_fma_f64 v[83:84], v[67:68], v[117:118], v[83:84]
	ds_read_b128 v[65:68], v2 offset:928
	v_add_f64 v[81:82], v[81:82], v[89:90]
	s_waitcnt vmcnt(13) lgkmcnt(1)
	v_mul_f64 v[89:90], v[75:76], v[119:120]
	v_add_f64 v[3:4], v[3:4], v[87:88]
	s_waitcnt vmcnt(12)
	v_fma_f64 v[91:92], v[69:70], v[115:116], -v[91:92]
	v_mul_f64 v[87:88], v[73:74], v[119:120]
	v_fma_f64 v[77:78], v[71:72], v[115:116], v[77:78]
	ds_read_b128 v[69:72], v2 offset:944
	v_add_f64 v[81:82], v[81:82], v[85:86]
	s_waitcnt vmcnt(11) lgkmcnt(1)
	v_mul_f64 v[85:86], v[67:68], v[121:122]
	v_add_f64 v[3:4], v[3:4], v[83:84]
	s_waitcnt vmcnt(9)
	v_fma_f64 v[73:74], v[73:74], v[125:126], -v[89:90]
	v_mul_f64 v[83:84], v[65:66], v[121:122]
	v_fma_f64 v[75:76], v[75:76], v[125:126], v[87:88]
	s_waitcnt vmcnt(7) lgkmcnt(0)
	v_mul_f64 v[87:88], v[71:72], v[127:128]
	v_add_f64 v[81:82], v[81:82], v[91:92]
	s_waitcnt vmcnt(6)
	v_fma_f64 v[65:66], v[65:66], v[123:124], -v[85:86]
	v_add_f64 v[2:3], v[3:4], v[77:78]
	v_mul_f64 v[77:78], v[69:70], v[127:128]
	v_fma_f64 v[67:68], v[67:68], v[123:124], v[83:84]
	s_waitcnt vmcnt(4)
	v_fma_f64 v[69:70], v[69:70], v[129:130], -v[87:88]
	v_add_f64 v[73:74], v[81:82], v[73:74]
	v_add_f64 v[2:3], v[2:3], v[75:76]
	v_fma_f64 v[71:72], v[71:72], v[129:130], v[77:78]
	v_add_f64 v[65:66], v[73:74], v[65:66]
	v_add_f64 v[2:3], v[2:3], v[67:68]
	;; [unrolled: 1-line block ×4, first 2 shown]
	s_waitcnt vmcnt(2)
	v_add_f64 v[65:66], v[79:80], -v[65:66]
	s_waitcnt vmcnt(0)
	v_add_f64 v[2:3], v[135:136], -v[2:3]
	buffer_store_dword v66, off, s[0:3], 0 offset:260
	buffer_store_dword v65, off, s[0:3], 0 offset:256
	;; [unrolled: 1-line block ×4, first 2 shown]
	v_cmpx_lt_u32_e32 14, v0
	s_cbranch_execz .LBB29_165
; %bb.164:
	v_mov_b32_e32 v2, s27
	s_clause 0x3
	buffer_load_dword v65, v2, s[0:3], 0 offen
	buffer_load_dword v66, v2, s[0:3], 0 offen offset:4
	buffer_load_dword v67, v2, s[0:3], 0 offen offset:8
	;; [unrolled: 1-line block ×3, first 2 shown]
	v_mov_b32_e32 v2, 0
	buffer_store_dword v2, off, s[0:3], 0 offset:240
	buffer_store_dword v2, off, s[0:3], 0 offset:244
	;; [unrolled: 1-line block ×4, first 2 shown]
	s_waitcnt vmcnt(0)
	ds_write_b128 v1, v[65:68]
.LBB29_165:
	s_or_b32 exec_lo, exec_lo, s4
	s_waitcnt lgkmcnt(0)
	s_waitcnt_vscnt null, 0x0
	s_barrier
	buffer_gl0_inv
	s_clause 0x35
	buffer_load_dword v3, off, s[0:3], 0 offset:264
	buffer_load_dword v4, off, s[0:3], 0 offset:268
	;; [unrolled: 1-line block ×54, first 2 shown]
	v_mov_b32_e32 v2, 0
	s_mov_b32 s4, exec_lo
	ds_read_b128 v[65:68], v2 offset:720
	s_clause 0x3
	buffer_load_dword v129, off, s[0:3], 0 offset:488
	buffer_load_dword v130, off, s[0:3], 0 offset:492
	;; [unrolled: 1-line block ×4, first 2 shown]
	ds_read_b128 v[69:72], v2 offset:736
	s_clause 0x1
	buffer_load_dword v135, off, s[0:3], 0 offset:480
	buffer_load_dword v136, off, s[0:3], 0 offset:484
	ds_read_b128 v[73:76], v2 offset:752
	s_waitcnt vmcnt(58) lgkmcnt(2)
	v_mul_f64 v[133:134], v[67:68], v[3:4]
	v_mul_f64 v[3:4], v[65:66], v[3:4]
	s_waitcnt vmcnt(56) lgkmcnt(1)
	v_mul_f64 v[137:138], v[71:72], v[77:78]
	v_mul_f64 v[77:78], v[69:70], v[77:78]
	s_waitcnt vmcnt(54)
	v_fma_f64 v[133:134], v[65:66], v[79:80], -v[133:134]
	v_fma_f64 v[3:4], v[67:68], v[79:80], v[3:4]
	ds_read_b128 v[65:68], v2 offset:768
	s_waitcnt vmcnt(52) lgkmcnt(1)
	v_mul_f64 v[79:80], v[73:74], v[81:82]
	v_mul_f64 v[81:82], v[75:76], v[81:82]
	s_waitcnt vmcnt(50)
	v_fma_f64 v[137:138], v[69:70], v[83:84], -v[137:138]
	v_fma_f64 v[77:78], v[71:72], v[83:84], v[77:78]
	s_clause 0x3
	buffer_load_dword v83, off, s[0:3], 0 offset:240
	buffer_load_dword v84, off, s[0:3], 0 offset:244
	;; [unrolled: 1-line block ×4, first 2 shown]
	ds_read_b128 v[69:72], v2 offset:784
	s_waitcnt vmcnt(52) lgkmcnt(1)
	v_mul_f64 v[141:142], v[65:66], v[85:86]
	v_add_f64 v[133:134], v[133:134], 0
	v_add_f64 v[3:4], v[3:4], 0
	v_mul_f64 v[85:86], v[67:68], v[85:86]
	s_waitcnt vmcnt(50)
	v_fma_f64 v[81:82], v[73:74], v[87:88], -v[81:82]
	v_fma_f64 v[79:80], v[75:76], v[87:88], v[79:80]
	ds_read_b128 v[73:76], v2 offset:800
	s_waitcnt vmcnt(48) lgkmcnt(1)
	v_mul_f64 v[87:88], v[71:72], v[89:90]
	v_add_f64 v[133:134], v[133:134], v[137:138]
	v_add_f64 v[3:4], v[3:4], v[77:78]
	s_waitcnt vmcnt(46)
	v_fma_f64 v[85:86], v[65:66], v[91:92], -v[85:86]
	v_mul_f64 v[77:78], v[69:70], v[89:90]
	v_fma_f64 v[89:90], v[67:68], v[91:92], v[141:142]
	s_waitcnt vmcnt(44) lgkmcnt(0)
	v_mul_f64 v[91:92], v[75:76], v[93:94]
	s_waitcnt vmcnt(42)
	v_fma_f64 v[87:88], v[69:70], v[95:96], -v[87:88]
	ds_read_b128 v[65:68], v2 offset:816
	v_add_f64 v[81:82], v[133:134], v[81:82]
	v_add_f64 v[3:4], v[3:4], v[79:80]
	v_mul_f64 v[79:80], v[73:74], v[93:94]
	v_fma_f64 v[77:78], v[71:72], v[95:96], v[77:78]
	ds_read_b128 v[69:72], v2 offset:832
	s_waitcnt vmcnt(38)
	v_fma_f64 v[91:92], v[73:74], v[99:100], -v[91:92]
	v_add_f64 v[81:82], v[81:82], v[85:86]
	v_add_f64 v[3:4], v[3:4], v[89:90]
	s_waitcnt lgkmcnt(1)
	v_mul_f64 v[89:90], v[67:68], v[97:98]
	v_mul_f64 v[85:86], v[65:66], v[97:98]
	v_fma_f64 v[79:80], v[75:76], v[99:100], v[79:80]
	ds_read_b128 v[73:76], v2 offset:848
	v_add_f64 v[81:82], v[81:82], v[87:88]
	v_add_f64 v[3:4], v[3:4], v[77:78]
	s_waitcnt vmcnt(36) lgkmcnt(1)
	v_mul_f64 v[87:88], v[71:72], v[101:102]
	s_waitcnt vmcnt(34)
	v_fma_f64 v[89:90], v[65:66], v[103:104], -v[89:90]
	v_mul_f64 v[77:78], v[69:70], v[101:102]
	v_fma_f64 v[85:86], v[67:68], v[103:104], v[85:86]
	ds_read_b128 v[65:68], v2 offset:864
	v_add_f64 v[81:82], v[81:82], v[91:92]
	v_add_f64 v[3:4], v[3:4], v[79:80]
	s_waitcnt vmcnt(32) lgkmcnt(1)
	v_mul_f64 v[91:92], v[75:76], v[105:106]
	s_waitcnt vmcnt(30)
	v_fma_f64 v[87:88], v[69:70], v[107:108], -v[87:88]
	v_mul_f64 v[79:80], v[73:74], v[105:106]
	v_fma_f64 v[77:78], v[71:72], v[107:108], v[77:78]
	ds_read_b128 v[69:72], v2 offset:880
	v_add_f64 v[81:82], v[81:82], v[89:90]
	v_add_f64 v[3:4], v[3:4], v[85:86]
	s_waitcnt vmcnt(28) lgkmcnt(1)
	v_mul_f64 v[89:90], v[67:68], v[109:110]
	s_waitcnt vmcnt(26)
	v_fma_f64 v[91:92], v[73:74], v[111:112], -v[91:92]
	v_mul_f64 v[85:86], v[65:66], v[109:110]
	v_fma_f64 v[79:80], v[75:76], v[111:112], v[79:80]
	ds_read_b128 v[73:76], v2 offset:896
	v_add_f64 v[81:82], v[81:82], v[87:88]
	v_add_f64 v[3:4], v[3:4], v[77:78]
	s_waitcnt vmcnt(24) lgkmcnt(1)
	v_mul_f64 v[87:88], v[71:72], v[113:114]
	s_waitcnt vmcnt(22)
	v_fma_f64 v[89:90], v[65:66], v[115:116], -v[89:90]
	v_mul_f64 v[77:78], v[69:70], v[113:114]
	v_fma_f64 v[85:86], v[67:68], v[115:116], v[85:86]
	ds_read_b128 v[65:68], v2 offset:912
	v_add_f64 v[81:82], v[81:82], v[91:92]
	v_add_f64 v[3:4], v[3:4], v[79:80]
	s_waitcnt vmcnt(20) lgkmcnt(1)
	v_mul_f64 v[91:92], v[75:76], v[117:118]
	s_waitcnt vmcnt(18)
	v_fma_f64 v[87:88], v[69:70], v[119:120], -v[87:88]
	v_mul_f64 v[79:80], v[73:74], v[117:118]
	v_fma_f64 v[77:78], v[71:72], v[119:120], v[77:78]
	ds_read_b128 v[69:72], v2 offset:928
	v_add_f64 v[81:82], v[81:82], v[89:90]
	v_add_f64 v[3:4], v[3:4], v[85:86]
	s_waitcnt vmcnt(16) lgkmcnt(1)
	v_mul_f64 v[89:90], v[67:68], v[121:122]
	s_waitcnt vmcnt(14)
	v_fma_f64 v[91:92], v[73:74], v[123:124], -v[91:92]
	v_mul_f64 v[85:86], v[65:66], v[121:122]
	v_fma_f64 v[79:80], v[75:76], v[123:124], v[79:80]
	ds_read_b128 v[73:76], v2 offset:944
	v_add_f64 v[81:82], v[81:82], v[87:88]
	v_add_f64 v[3:4], v[3:4], v[77:78]
	s_waitcnt vmcnt(12) lgkmcnt(1)
	v_mul_f64 v[87:88], v[71:72], v[125:126]
	s_waitcnt vmcnt(10)
	v_fma_f64 v[65:66], v[65:66], v[127:128], -v[89:90]
	v_mul_f64 v[77:78], v[69:70], v[125:126]
	v_fma_f64 v[67:68], v[67:68], v[127:128], v[85:86]
	s_waitcnt vmcnt(8) lgkmcnt(0)
	v_mul_f64 v[85:86], v[75:76], v[129:130]
	v_add_f64 v[81:82], v[81:82], v[91:92]
	v_add_f64 v[3:4], v[3:4], v[79:80]
	s_waitcnt vmcnt(6)
	v_fma_f64 v[69:70], v[69:70], v[131:132], -v[87:88]
	v_mul_f64 v[79:80], v[73:74], v[129:130]
	v_fma_f64 v[71:72], v[71:72], v[131:132], v[77:78]
	v_add_f64 v[65:66], v[81:82], v[65:66]
	v_add_f64 v[3:4], v[3:4], v[67:68]
	s_waitcnt vmcnt(4)
	v_fma_f64 v[67:68], v[73:74], v[135:136], -v[85:86]
	v_add_f64 v[65:66], v[65:66], v[69:70]
	v_fma_f64 v[69:70], v[75:76], v[135:136], v[79:80]
	v_add_f64 v[3:4], v[3:4], v[71:72]
	v_add_f64 v[65:66], v[65:66], v[67:68]
	;; [unrolled: 1-line block ×3, first 2 shown]
	s_waitcnt vmcnt(2)
	v_add_f64 v[65:66], v[83:84], -v[65:66]
	s_waitcnt vmcnt(0)
	v_add_f64 v[3:4], v[139:140], -v[3:4]
	buffer_store_dword v66, off, s[0:3], 0 offset:244
	buffer_store_dword v65, off, s[0:3], 0 offset:240
	;; [unrolled: 1-line block ×4, first 2 shown]
	v_cmpx_lt_u32_e32 13, v0
	s_cbranch_execz .LBB29_167
; %bb.166:
	v_mov_b32_e32 v3, s28
	s_clause 0x3
	buffer_load_dword v65, v3, s[0:3], 0 offen
	buffer_load_dword v66, v3, s[0:3], 0 offen offset:4
	buffer_load_dword v67, v3, s[0:3], 0 offen offset:8
	;; [unrolled: 1-line block ×3, first 2 shown]
	buffer_store_dword v2, off, s[0:3], 0 offset:224
	buffer_store_dword v2, off, s[0:3], 0 offset:228
	;; [unrolled: 1-line block ×4, first 2 shown]
	s_waitcnt vmcnt(0)
	ds_write_b128 v1, v[65:68]
.LBB29_167:
	s_or_b32 exec_lo, exec_lo, s4
	s_waitcnt lgkmcnt(0)
	s_waitcnt_vscnt null, 0x0
	s_barrier
	buffer_gl0_inv
	s_clause 0x37
	buffer_load_dword v3, off, s[0:3], 0 offset:248
	buffer_load_dword v4, off, s[0:3], 0 offset:252
	;; [unrolled: 1-line block ×56, first 2 shown]
	ds_read_b128 v[65:68], v2 offset:704
	s_clause 0x2
	buffer_load_dword v130, off, s[0:3], 0 offset:476
	buffer_load_dword v134, off, s[0:3], 0 offset:452
	buffer_load_dword v133, off, s[0:3], 0 offset:448
	ds_read_b128 v[69:72], v2 offset:720
	s_clause 0x2
	buffer_load_dword v138, off, s[0:3], 0 offset:492
	buffer_load_dword v137, off, s[0:3], 0 offset:488
	;; [unrolled: 1-line block ×3, first 2 shown]
	ds_read_b128 v[73:76], v2 offset:736
	s_mov_b32 s4, exec_lo
	s_waitcnt vmcnt(60) lgkmcnt(2)
	v_mul_f64 v[135:136], v[67:68], v[3:4]
	v_mul_f64 v[3:4], v[65:66], v[3:4]
	s_waitcnt vmcnt(58) lgkmcnt(1)
	v_mul_f64 v[139:140], v[71:72], v[77:78]
	v_mul_f64 v[77:78], v[69:70], v[77:78]
	;; [unrolled: 3-line block ×3, first 2 shown]
	v_fma_f64 v[135:136], v[65:66], v[79:80], -v[135:136]
	v_fma_f64 v[3:4], v[67:68], v[79:80], v[3:4]
	s_clause 0x1
	buffer_load_dword v80, off, s[0:3], 0 offset:484
	buffer_load_dword v79, off, s[0:3], 0 offset:480
	s_waitcnt vmcnt(54)
	v_fma_f64 v[139:140], v[69:70], v[83:84], -v[139:140]
	ds_read_b128 v[65:68], v2 offset:752
	v_fma_f64 v[77:78], v[71:72], v[83:84], v[77:78]
	ds_read_b128 v[69:72], v2 offset:768
	s_waitcnt vmcnt(48)
	v_fma_f64 v[81:82], v[73:74], v[91:92], -v[81:82]
	v_fma_f64 v[91:92], v[75:76], v[91:92], v[141:142]
	v_add_f64 v[135:136], v[135:136], 0
	v_add_f64 v[3:4], v[3:4], 0
	s_waitcnt lgkmcnt(1)
	v_mul_f64 v[83:84], v[65:66], v[85:86]
	v_mul_f64 v[85:86], v[67:68], v[85:86]
	s_waitcnt vmcnt(47) lgkmcnt(0)
	v_mul_f64 v[141:142], v[69:70], v[87:88]
	v_mul_f64 v[87:88], v[71:72], v[87:88]
	v_add_f64 v[135:136], v[135:136], v[139:140]
	v_add_f64 v[3:4], v[3:4], v[77:78]
	s_clause 0x3
	buffer_load_dword v77, off, s[0:3], 0 offset:224
	buffer_load_dword v78, off, s[0:3], 0 offset:228
	;; [unrolled: 1-line block ×4, first 2 shown]
	s_waitcnt vmcnt(49)
	v_fma_f64 v[85:86], v[65:66], v[93:94], -v[85:86]
	ds_read_b128 v[73:76], v2 offset:784
	v_fma_f64 v[83:84], v[67:68], v[93:94], v[83:84]
	ds_read_b128 v[65:68], v2 offset:800
	s_waitcnt vmcnt(44)
	v_fma_f64 v[87:88], v[69:70], v[89:90], -v[87:88]
	v_add_f64 v[81:82], v[135:136], v[81:82]
	v_add_f64 v[3:4], v[3:4], v[91:92]
	s_waitcnt lgkmcnt(1)
	v_mul_f64 v[93:94], v[75:76], v[95:96]
	v_mul_f64 v[91:92], v[73:74], v[95:96]
	v_add_f64 v[81:82], v[81:82], v[85:86]
	v_fma_f64 v[85:86], v[71:72], v[89:90], v[141:142]
	v_add_f64 v[3:4], v[3:4], v[83:84]
	s_waitcnt vmcnt(43) lgkmcnt(0)
	v_mul_f64 v[89:90], v[67:68], v[97:98]
	s_waitcnt vmcnt(41)
	v_fma_f64 v[93:94], v[73:74], v[101:102], -v[93:94]
	ds_read_b128 v[69:72], v2 offset:816
	v_mul_f64 v[83:84], v[65:66], v[97:98]
	v_add_f64 v[81:82], v[81:82], v[87:88]
	v_fma_f64 v[87:88], v[75:76], v[101:102], v[91:92]
	v_add_f64 v[3:4], v[3:4], v[85:86]
	ds_read_b128 v[73:76], v2 offset:832
	s_waitcnt vmcnt(37) lgkmcnt(1)
	v_mul_f64 v[91:92], v[71:72], v[103:104]
	s_waitcnt vmcnt(36)
	v_fma_f64 v[89:90], v[65:66], v[99:100], -v[89:90]
	v_mul_f64 v[85:86], v[69:70], v[103:104]
	v_fma_f64 v[83:84], v[67:68], v[99:100], v[83:84]
	ds_read_b128 v[65:68], v2 offset:848
	v_add_f64 v[81:82], v[81:82], v[93:94]
	s_waitcnt vmcnt(35) lgkmcnt(1)
	v_mul_f64 v[93:94], v[75:76], v[105:106]
	v_add_f64 v[3:4], v[3:4], v[87:88]
	v_mul_f64 v[87:88], v[73:74], v[105:106]
	s_waitcnt vmcnt(33)
	v_fma_f64 v[91:92], v[69:70], v[109:110], -v[91:92]
	v_fma_f64 v[85:86], v[71:72], v[109:110], v[85:86]
	ds_read_b128 v[69:72], v2 offset:864
	v_add_f64 v[81:82], v[81:82], v[89:90]
	s_waitcnt vmcnt(29) lgkmcnt(1)
	v_mul_f64 v[89:90], v[67:68], v[111:112]
	v_add_f64 v[3:4], v[3:4], v[83:84]
	s_waitcnt vmcnt(28)
	v_fma_f64 v[93:94], v[73:74], v[107:108], -v[93:94]
	v_mul_f64 v[83:84], v[65:66], v[111:112]
	v_fma_f64 v[87:88], v[75:76], v[107:108], v[87:88]
	ds_read_b128 v[73:76], v2 offset:880
	v_add_f64 v[81:82], v[81:82], v[91:92]
	s_waitcnt vmcnt(27) lgkmcnt(1)
	v_mul_f64 v[91:92], v[71:72], v[113:114]
	v_add_f64 v[3:4], v[3:4], v[85:86]
	s_waitcnt vmcnt(25)
	v_fma_f64 v[89:90], v[65:66], v[117:118], -v[89:90]
	v_mul_f64 v[85:86], v[69:70], v[113:114]
	;; [unrolled: 9-line block ×6, first 2 shown]
	v_fma_f64 v[71:72], v[71:72], v[133:134], v[85:86]
	s_waitcnt vmcnt(7) lgkmcnt(0)
	v_mul_f64 v[85:86], v[67:68], v[137:138]
	v_add_f64 v[81:82], v[81:82], v[89:90]
	s_waitcnt vmcnt(6)
	v_fma_f64 v[73:74], v[73:74], v[131:132], -v[93:94]
	v_add_f64 v[2:3], v[3:4], v[83:84]
	v_mul_f64 v[83:84], v[65:66], v[137:138]
	v_fma_f64 v[75:76], v[75:76], v[131:132], v[87:88]
	v_add_f64 v[69:70], v[81:82], v[69:70]
	v_add_f64 v[2:3], v[2:3], v[71:72]
	s_waitcnt vmcnt(4)
	v_fma_f64 v[65:66], v[65:66], v[79:80], -v[85:86]
	v_fma_f64 v[67:68], v[67:68], v[79:80], v[83:84]
	v_add_f64 v[69:70], v[69:70], v[73:74]
	v_add_f64 v[2:3], v[2:3], v[75:76]
	;; [unrolled: 1-line block ×4, first 2 shown]
	s_waitcnt vmcnt(2)
	v_add_f64 v[65:66], v[77:78], -v[65:66]
	s_waitcnt vmcnt(0)
	v_add_f64 v[2:3], v[139:140], -v[2:3]
	buffer_store_dword v66, off, s[0:3], 0 offset:228
	buffer_store_dword v65, off, s[0:3], 0 offset:224
	;; [unrolled: 1-line block ×4, first 2 shown]
	v_cmpx_lt_u32_e32 12, v0
	s_cbranch_execz .LBB29_169
; %bb.168:
	v_mov_b32_e32 v2, s29
	s_clause 0x3
	buffer_load_dword v65, v2, s[0:3], 0 offen
	buffer_load_dword v66, v2, s[0:3], 0 offen offset:4
	buffer_load_dword v67, v2, s[0:3], 0 offen offset:8
	buffer_load_dword v68, v2, s[0:3], 0 offen offset:12
	v_mov_b32_e32 v2, 0
	buffer_store_dword v2, off, s[0:3], 0 offset:208
	buffer_store_dword v2, off, s[0:3], 0 offset:212
	;; [unrolled: 1-line block ×4, first 2 shown]
	s_waitcnt vmcnt(0)
	ds_write_b128 v1, v[65:68]
.LBB29_169:
	s_or_b32 exec_lo, exec_lo, s4
	s_waitcnt lgkmcnt(0)
	s_waitcnt_vscnt null, 0x0
	s_barrier
	buffer_gl0_inv
	s_clause 0x37
	buffer_load_dword v3, off, s[0:3], 0 offset:232
	buffer_load_dword v4, off, s[0:3], 0 offset:236
	;; [unrolled: 1-line block ×56, first 2 shown]
	v_mov_b32_e32 v2, 0
	s_mov_b32 s4, exec_lo
	ds_read_b128 v[65:68], v2 offset:688
	s_clause 0x2
	buffer_load_dword v130, off, s[0:3], 0 offset:460
	buffer_load_dword v134, off, s[0:3], 0 offset:436
	buffer_load_dword v133, off, s[0:3], 0 offset:432
	ds_read_b128 v[69:72], v2 offset:704
	s_clause 0x4
	buffer_load_dword v138, off, s[0:3], 0 offset:476
	buffer_load_dword v139, off, s[0:3], 0 offset:488
	;; [unrolled: 1-line block ×5, first 2 shown]
	ds_read_b128 v[73:76], v2 offset:720
	s_waitcnt vmcnt(62) lgkmcnt(2)
	v_mul_f64 v[135:136], v[67:68], v[3:4]
	v_mul_f64 v[3:4], v[65:66], v[3:4]
	s_waitcnt vmcnt(60) lgkmcnt(1)
	v_mul_f64 v[142:143], v[71:72], v[77:78]
	v_mul_f64 v[77:78], v[69:70], v[77:78]
	;; [unrolled: 3-line block ×3, first 2 shown]
	v_fma_f64 v[135:136], v[65:66], v[79:80], -v[135:136]
	v_fma_f64 v[3:4], v[67:68], v[79:80], v[3:4]
	s_clause 0x2
	buffer_load_dword v140, off, s[0:3], 0 offset:492
	buffer_load_dword v80, off, s[0:3], 0 offset:468
	;; [unrolled: 1-line block ×3, first 2 shown]
	s_waitcnt vmcnt(57)
	v_fma_f64 v[146:147], v[69:70], v[83:84], -v[142:143]
	ds_read_b128 v[65:68], v2 offset:736
	v_fma_f64 v[77:78], v[71:72], v[83:84], v[77:78]
	buffer_load_dword v142, off, s[0:3], 0 offset:484
	ds_read_b128 v[69:72], v2 offset:752
	s_waitcnt vmcnt(52)
	v_fma_f64 v[81:82], v[73:74], v[91:92], -v[81:82]
	v_fma_f64 v[91:92], v[75:76], v[91:92], v[144:145]
	ds_read_b128 v[73:76], v2 offset:768
	v_add_f64 v[135:136], v[135:136], 0
	v_add_f64 v[3:4], v[3:4], 0
	s_waitcnt lgkmcnt(2)
	v_mul_f64 v[83:84], v[65:66], v[85:86]
	v_mul_f64 v[85:86], v[67:68], v[85:86]
	v_add_f64 v[135:136], v[135:136], v[146:147]
	v_add_f64 v[3:4], v[3:4], v[77:78]
	s_waitcnt vmcnt(51) lgkmcnt(1)
	v_mul_f64 v[77:78], v[69:70], v[87:88]
	v_mul_f64 v[87:88], v[71:72], v[87:88]
	s_waitcnt vmcnt(49)
	v_fma_f64 v[85:86], v[65:66], v[93:94], -v[85:86]
	v_fma_f64 v[83:84], v[67:68], v[93:94], v[83:84]
	v_add_f64 v[81:82], v[135:136], v[81:82]
	v_add_f64 v[3:4], v[3:4], v[91:92]
	s_clause 0x3
	buffer_load_dword v91, off, s[0:3], 0 offset:208
	buffer_load_dword v92, off, s[0:3], 0 offset:212
	buffer_load_dword v93, off, s[0:3], 0 offset:216
	buffer_load_dword v94, off, s[0:3], 0 offset:220
	s_waitcnt vmcnt(49) lgkmcnt(0)
	v_mul_f64 v[135:136], v[73:74], v[95:96]
	v_mul_f64 v[95:96], v[75:76], v[95:96]
	s_waitcnt vmcnt(48)
	v_fma_f64 v[87:88], v[69:70], v[89:90], -v[87:88]
	ds_read_b128 v[65:68], v2 offset:784
	v_fma_f64 v[77:78], v[71:72], v[89:90], v[77:78]
	ds_read_b128 v[69:72], v2 offset:800
	v_add_f64 v[81:82], v[81:82], v[85:86]
	v_add_f64 v[3:4], v[3:4], v[83:84]
	s_waitcnt vmcnt(47) lgkmcnt(1)
	v_mul_f64 v[85:86], v[67:68], v[97:98]
	s_waitcnt vmcnt(45)
	v_fma_f64 v[89:90], v[73:74], v[101:102], -v[95:96]
	v_mul_f64 v[83:84], v[65:66], v[97:98]
	s_waitcnt vmcnt(41) lgkmcnt(0)
	v_mul_f64 v[95:96], v[71:72], v[103:104]
	v_add_f64 v[81:82], v[81:82], v[87:88]
	v_fma_f64 v[87:88], v[75:76], v[101:102], v[135:136]
	v_add_f64 v[3:4], v[3:4], v[77:78]
	ds_read_b128 v[73:76], v2 offset:816
	s_waitcnt vmcnt(40)
	v_fma_f64 v[85:86], v[65:66], v[99:100], -v[85:86]
	v_mul_f64 v[77:78], v[69:70], v[103:104]
	v_fma_f64 v[83:84], v[67:68], v[99:100], v[83:84]
	ds_read_b128 v[65:68], v2 offset:832
	s_waitcnt vmcnt(37)
	v_fma_f64 v[95:96], v[69:70], v[109:110], -v[95:96]
	v_add_f64 v[81:82], v[81:82], v[89:90]
	s_waitcnt lgkmcnt(1)
	v_mul_f64 v[89:90], v[75:76], v[105:106]
	v_add_f64 v[3:4], v[3:4], v[87:88]
	v_mul_f64 v[87:88], v[73:74], v[105:106]
	v_fma_f64 v[77:78], v[71:72], v[109:110], v[77:78]
	ds_read_b128 v[69:72], v2 offset:848
	v_add_f64 v[81:82], v[81:82], v[85:86]
	s_waitcnt vmcnt(33) lgkmcnt(1)
	v_mul_f64 v[85:86], v[67:68], v[111:112]
	v_add_f64 v[3:4], v[3:4], v[83:84]
	s_waitcnt vmcnt(32)
	v_fma_f64 v[89:90], v[73:74], v[107:108], -v[89:90]
	v_mul_f64 v[83:84], v[65:66], v[111:112]
	v_fma_f64 v[87:88], v[75:76], v[107:108], v[87:88]
	ds_read_b128 v[73:76], v2 offset:864
	v_add_f64 v[81:82], v[81:82], v[95:96]
	s_waitcnt vmcnt(31) lgkmcnt(1)
	v_mul_f64 v[95:96], v[71:72], v[113:114]
	v_add_f64 v[3:4], v[3:4], v[77:78]
	s_waitcnt vmcnt(29)
	v_fma_f64 v[85:86], v[65:66], v[117:118], -v[85:86]
	;; [unrolled: 9-line block ×7, first 2 shown]
	v_mul_f64 v[83:84], v[65:66], v[137:138]
	v_fma_f64 v[75:76], v[75:76], v[131:132], v[87:88]
	v_add_f64 v[81:82], v[81:82], v[95:96]
	v_add_f64 v[3:4], v[3:4], v[77:78]
	s_waitcnt vmcnt(7) lgkmcnt(0)
	v_mul_f64 v[87:88], v[71:72], v[139:140]
	v_mul_f64 v[77:78], v[69:70], v[139:140]
	s_waitcnt vmcnt(5)
	v_fma_f64 v[65:66], v[65:66], v[79:80], -v[85:86]
	v_fma_f64 v[67:68], v[67:68], v[79:80], v[83:84]
	v_add_f64 v[73:74], v[81:82], v[73:74]
	v_add_f64 v[3:4], v[3:4], v[75:76]
	s_waitcnt vmcnt(4)
	v_fma_f64 v[69:70], v[69:70], v[141:142], -v[87:88]
	v_fma_f64 v[71:72], v[71:72], v[141:142], v[77:78]
	v_add_f64 v[65:66], v[73:74], v[65:66]
	v_add_f64 v[3:4], v[3:4], v[67:68]
	;; [unrolled: 1-line block ×4, first 2 shown]
	s_waitcnt vmcnt(2)
	v_add_f64 v[65:66], v[91:92], -v[65:66]
	s_waitcnt vmcnt(0)
	v_add_f64 v[3:4], v[93:94], -v[3:4]
	buffer_store_dword v66, off, s[0:3], 0 offset:212
	buffer_store_dword v65, off, s[0:3], 0 offset:208
	;; [unrolled: 1-line block ×4, first 2 shown]
	v_cmpx_lt_u32_e32 11, v0
	s_cbranch_execz .LBB29_171
; %bb.170:
	v_mov_b32_e32 v3, s30
	s_clause 0x3
	buffer_load_dword v65, v3, s[0:3], 0 offen
	buffer_load_dword v66, v3, s[0:3], 0 offen offset:4
	buffer_load_dword v67, v3, s[0:3], 0 offen offset:8
	;; [unrolled: 1-line block ×3, first 2 shown]
	buffer_store_dword v2, off, s[0:3], 0 offset:192
	buffer_store_dword v2, off, s[0:3], 0 offset:196
	;; [unrolled: 1-line block ×4, first 2 shown]
	s_waitcnt vmcnt(0)
	ds_write_b128 v1, v[65:68]
.LBB29_171:
	s_or_b32 exec_lo, exec_lo, s4
	s_waitcnt lgkmcnt(0)
	s_waitcnt_vscnt null, 0x0
	s_barrier
	buffer_gl0_inv
	s_clause 0x37
	buffer_load_dword v3, off, s[0:3], 0 offset:216
	buffer_load_dword v4, off, s[0:3], 0 offset:220
	;; [unrolled: 1-line block ×56, first 2 shown]
	ds_read_b128 v[65:68], v2 offset:672
	s_clause 0x2
	buffer_load_dword v130, off, s[0:3], 0 offset:444
	buffer_load_dword v134, off, s[0:3], 0 offset:420
	;; [unrolled: 1-line block ×3, first 2 shown]
	ds_read_b128 v[69:72], v2 offset:688
	s_clause 0x4
	buffer_load_dword v138, off, s[0:3], 0 offset:460
	buffer_load_dword v139, off, s[0:3], 0 offset:472
	buffer_load_dword v141, off, s[0:3], 0 offset:464
	buffer_load_dword v137, off, s[0:3], 0 offset:456
	buffer_load_dword v132, off, s[0:3], 0 offset:436
	ds_read_b128 v[73:76], v2 offset:704
	s_mov_b32 s4, exec_lo
	s_waitcnt vmcnt(62) lgkmcnt(2)
	v_mul_f64 v[135:136], v[67:68], v[3:4]
	v_mul_f64 v[3:4], v[65:66], v[3:4]
	s_waitcnt vmcnt(60) lgkmcnt(1)
	v_mul_f64 v[142:143], v[71:72], v[77:78]
	v_mul_f64 v[77:78], v[69:70], v[77:78]
	s_waitcnt vmcnt(56) lgkmcnt(0)
	v_mul_f64 v[144:145], v[73:74], v[81:82]
	v_mul_f64 v[81:82], v[75:76], v[81:82]
	v_fma_f64 v[135:136], v[65:66], v[79:80], -v[135:136]
	v_fma_f64 v[3:4], v[67:68], v[79:80], v[3:4]
	s_clause 0x2
	buffer_load_dword v140, off, s[0:3], 0 offset:476
	buffer_load_dword v80, off, s[0:3], 0 offset:452
	buffer_load_dword v79, off, s[0:3], 0 offset:448
	s_waitcnt vmcnt(57)
	v_fma_f64 v[146:147], v[69:70], v[83:84], -v[142:143]
	ds_read_b128 v[65:68], v2 offset:720
	v_fma_f64 v[77:78], v[71:72], v[83:84], v[77:78]
	s_clause 0x2
	buffer_load_dword v84, off, s[0:3], 0 offset:492
	buffer_load_dword v83, off, s[0:3], 0 offset:488
	;; [unrolled: 1-line block ×3, first 2 shown]
	s_waitcnt vmcnt(54)
	v_fma_f64 v[81:82], v[73:74], v[91:92], -v[81:82]
	ds_read_b128 v[69:72], v2 offset:736
	v_fma_f64 v[91:92], v[75:76], v[91:92], v[144:145]
	v_add_f64 v[135:136], v[135:136], 0
	v_add_f64 v[3:4], v[3:4], 0
	s_waitcnt lgkmcnt(1)
	v_mul_f64 v[148:149], v[65:66], v[85:86]
	v_mul_f64 v[85:86], v[67:68], v[85:86]
	s_waitcnt vmcnt(53) lgkmcnt(0)
	v_mul_f64 v[143:144], v[69:70], v[87:88]
	v_mul_f64 v[87:88], v[71:72], v[87:88]
	v_add_f64 v[135:136], v[135:136], v[146:147]
	v_add_f64 v[3:4], v[3:4], v[77:78]
	s_clause 0x1
	buffer_load_dword v78, off, s[0:3], 0 offset:484
	buffer_load_dword v77, off, s[0:3], 0 offset:480
	s_waitcnt vmcnt(53)
	v_fma_f64 v[85:86], v[65:66], v[93:94], -v[85:86]
	ds_read_b128 v[73:76], v2 offset:752
	v_fma_f64 v[93:94], v[67:68], v[93:94], v[148:149]
	ds_read_b128 v[65:68], v2 offset:768
	s_waitcnt vmcnt(48)
	v_fma_f64 v[87:88], v[69:70], v[89:90], -v[87:88]
	v_add_f64 v[81:82], v[135:136], v[81:82]
	v_add_f64 v[3:4], v[3:4], v[91:92]
	s_waitcnt lgkmcnt(1)
	v_mul_f64 v[91:92], v[73:74], v[95:96]
	v_mul_f64 v[95:96], v[75:76], v[95:96]
	s_waitcnt vmcnt(47) lgkmcnt(0)
	v_mul_f64 v[135:136], v[65:66], v[97:98]
	v_mul_f64 v[97:98], v[67:68], v[97:98]
	v_add_f64 v[81:82], v[81:82], v[85:86]
	v_fma_f64 v[85:86], v[71:72], v[89:90], v[143:144]
	v_add_f64 v[3:4], v[3:4], v[93:94]
	s_clause 0x3
	buffer_load_dword v89, off, s[0:3], 0 offset:192
	buffer_load_dword v90, off, s[0:3], 0 offset:196
	;; [unrolled: 1-line block ×4, first 2 shown]
	s_waitcnt vmcnt(49)
	v_fma_f64 v[95:96], v[73:74], v[101:102], -v[95:96]
	ds_read_b128 v[69:72], v2 offset:784
	s_waitcnt vmcnt(44)
	v_fma_f64 v[97:98], v[65:66], v[99:100], -v[97:98]
	v_add_f64 v[81:82], v[81:82], v[87:88]
	v_fma_f64 v[87:88], v[75:76], v[101:102], v[91:92]
	v_add_f64 v[3:4], v[3:4], v[85:86]
	ds_read_b128 v[73:76], v2 offset:800
	s_waitcnt lgkmcnt(1)
	v_mul_f64 v[91:92], v[71:72], v[103:104]
	v_mul_f64 v[85:86], v[69:70], v[103:104]
	v_add_f64 v[81:82], v[81:82], v[95:96]
	v_fma_f64 v[95:96], v[67:68], v[99:100], v[135:136]
	v_add_f64 v[3:4], v[3:4], v[87:88]
	s_waitcnt vmcnt(43) lgkmcnt(0)
	v_mul_f64 v[99:100], v[75:76], v[105:106]
	s_waitcnt vmcnt(41)
	v_fma_f64 v[91:92], v[69:70], v[109:110], -v[91:92]
	ds_read_b128 v[65:68], v2 offset:816
	v_mul_f64 v[87:88], v[73:74], v[105:106]
	v_fma_f64 v[85:86], v[71:72], v[109:110], v[85:86]
	ds_read_b128 v[69:72], v2 offset:832
	v_add_f64 v[81:82], v[81:82], v[97:98]
	v_add_f64 v[3:4], v[3:4], v[95:96]
	s_waitcnt vmcnt(37) lgkmcnt(1)
	v_mul_f64 v[97:98], v[67:68], v[111:112]
	s_waitcnt vmcnt(36)
	v_fma_f64 v[99:100], v[73:74], v[107:108], -v[99:100]
	v_mul_f64 v[95:96], v[65:66], v[111:112]
	v_fma_f64 v[87:88], v[75:76], v[107:108], v[87:88]
	ds_read_b128 v[73:76], v2 offset:848
	v_add_f64 v[81:82], v[81:82], v[91:92]
	s_waitcnt vmcnt(35) lgkmcnt(1)
	v_mul_f64 v[91:92], v[71:72], v[113:114]
	v_add_f64 v[3:4], v[3:4], v[85:86]
	s_waitcnt vmcnt(33)
	v_fma_f64 v[97:98], v[65:66], v[117:118], -v[97:98]
	v_mul_f64 v[85:86], v[69:70], v[113:114]
	v_fma_f64 v[95:96], v[67:68], v[117:118], v[95:96]
	ds_read_b128 v[65:68], v2 offset:864
	v_add_f64 v[81:82], v[81:82], v[99:100]
	s_waitcnt vmcnt(29) lgkmcnt(1)
	v_mul_f64 v[99:100], v[75:76], v[119:120]
	v_add_f64 v[3:4], v[3:4], v[87:88]
	;; [unrolled: 9-line block ×6, first 2 shown]
	s_waitcnt vmcnt(12)
	v_fma_f64 v[99:100], v[73:74], v[131:132], -v[99:100]
	v_mul_f64 v[95:96], v[65:66], v[137:138]
	v_fma_f64 v[87:88], v[75:76], v[131:132], v[87:88]
	ds_read_b128 v[73:76], v2 offset:944
	v_add_f64 v[81:82], v[81:82], v[91:92]
	v_add_f64 v[3:4], v[3:4], v[85:86]
	s_waitcnt vmcnt(11) lgkmcnt(1)
	v_mul_f64 v[91:92], v[71:72], v[139:140]
	v_mul_f64 v[85:86], v[69:70], v[139:140]
	s_waitcnt vmcnt(9)
	v_fma_f64 v[65:66], v[65:66], v[79:80], -v[97:98]
	v_fma_f64 v[67:68], v[67:68], v[79:80], v[95:96]
	s_waitcnt vmcnt(7) lgkmcnt(0)
	v_mul_f64 v[79:80], v[73:74], v[83:84]
	v_mul_f64 v[83:84], v[75:76], v[83:84]
	v_add_f64 v[81:82], v[81:82], v[99:100]
	v_add_f64 v[2:3], v[3:4], v[87:88]
	s_waitcnt vmcnt(6)
	v_fma_f64 v[69:70], v[69:70], v[141:142], -v[91:92]
	v_fma_f64 v[71:72], v[71:72], v[141:142], v[85:86]
	v_add_f64 v[65:66], v[81:82], v[65:66]
	v_add_f64 v[2:3], v[2:3], v[67:68]
	s_waitcnt vmcnt(4)
	v_fma_f64 v[67:68], v[73:74], v[77:78], -v[83:84]
	v_add_f64 v[65:66], v[65:66], v[69:70]
	v_fma_f64 v[69:70], v[75:76], v[77:78], v[79:80]
	v_add_f64 v[2:3], v[2:3], v[71:72]
	v_add_f64 v[65:66], v[65:66], v[67:68]
	;; [unrolled: 1-line block ×3, first 2 shown]
	s_waitcnt vmcnt(2)
	v_add_f64 v[65:66], v[89:90], -v[65:66]
	s_waitcnt vmcnt(0)
	v_add_f64 v[2:3], v[93:94], -v[2:3]
	buffer_store_dword v66, off, s[0:3], 0 offset:196
	buffer_store_dword v65, off, s[0:3], 0 offset:192
	;; [unrolled: 1-line block ×4, first 2 shown]
	v_cmpx_lt_u32_e32 10, v0
	s_cbranch_execz .LBB29_173
; %bb.172:
	v_mov_b32_e32 v2, s31
	s_clause 0x3
	buffer_load_dword v65, v2, s[0:3], 0 offen
	buffer_load_dword v66, v2, s[0:3], 0 offen offset:4
	buffer_load_dword v67, v2, s[0:3], 0 offen offset:8
	;; [unrolled: 1-line block ×3, first 2 shown]
	v_mov_b32_e32 v2, 0
	buffer_store_dword v2, off, s[0:3], 0 offset:176
	buffer_store_dword v2, off, s[0:3], 0 offset:180
	;; [unrolled: 1-line block ×4, first 2 shown]
	s_waitcnt vmcnt(0)
	ds_write_b128 v1, v[65:68]
.LBB29_173:
	s_or_b32 exec_lo, exec_lo, s4
	s_waitcnt lgkmcnt(0)
	s_waitcnt_vscnt null, 0x0
	s_barrier
	buffer_gl0_inv
	s_clause 0x37
	buffer_load_dword v3, off, s[0:3], 0 offset:200
	buffer_load_dword v4, off, s[0:3], 0 offset:204
	;; [unrolled: 1-line block ×56, first 2 shown]
	v_mov_b32_e32 v2, 0
	s_mov_b32 s4, exec_lo
	ds_read_b128 v[65:68], v2 offset:656
	s_clause 0x2
	buffer_load_dword v130, off, s[0:3], 0 offset:428
	buffer_load_dword v134, off, s[0:3], 0 offset:404
	;; [unrolled: 1-line block ×3, first 2 shown]
	ds_read_b128 v[69:72], v2 offset:672
	s_clause 0x4
	buffer_load_dword v138, off, s[0:3], 0 offset:444
	buffer_load_dword v139, off, s[0:3], 0 offset:456
	;; [unrolled: 1-line block ×5, first 2 shown]
	ds_read_b128 v[73:76], v2 offset:688
	s_waitcnt vmcnt(62) lgkmcnt(2)
	v_mul_f64 v[135:136], v[67:68], v[3:4]
	v_mul_f64 v[3:4], v[65:66], v[3:4]
	s_waitcnt vmcnt(60) lgkmcnt(1)
	v_mul_f64 v[142:143], v[71:72], v[77:78]
	v_mul_f64 v[77:78], v[69:70], v[77:78]
	;; [unrolled: 3-line block ×3, first 2 shown]
	v_fma_f64 v[135:136], v[65:66], v[79:80], -v[135:136]
	v_fma_f64 v[3:4], v[67:68], v[79:80], v[3:4]
	s_clause 0x2
	buffer_load_dword v140, off, s[0:3], 0 offset:460
	buffer_load_dword v80, off, s[0:3], 0 offset:436
	;; [unrolled: 1-line block ×3, first 2 shown]
	s_waitcnt vmcnt(57)
	v_fma_f64 v[146:147], v[69:70], v[83:84], -v[142:143]
	ds_read_b128 v[65:68], v2 offset:704
	v_fma_f64 v[77:78], v[71:72], v[83:84], v[77:78]
	s_clause 0x4
	buffer_load_dword v84, off, s[0:3], 0 offset:476
	buffer_load_dword v143, off, s[0:3], 0 offset:488
	;; [unrolled: 1-line block ×5, first 2 shown]
	s_waitcnt vmcnt(56)
	v_fma_f64 v[81:82], v[73:74], v[91:92], -v[81:82]
	ds_read_b128 v[69:72], v2 offset:720
	v_fma_f64 v[91:92], v[75:76], v[91:92], v[144:145]
	v_add_f64 v[135:136], v[135:136], 0
	v_add_f64 v[3:4], v[3:4], 0
	s_waitcnt lgkmcnt(1)
	v_mul_f64 v[149:150], v[65:66], v[85:86]
	v_mul_f64 v[85:86], v[67:68], v[85:86]
	v_add_f64 v[135:136], v[135:136], v[146:147]
	v_add_f64 v[3:4], v[3:4], v[77:78]
	s_clause 0x2
	buffer_load_dword v144, off, s[0:3], 0 offset:492
	buffer_load_dword v78, off, s[0:3], 0 offset:468
	;; [unrolled: 1-line block ×3, first 2 shown]
	s_waitcnt vmcnt(58) lgkmcnt(0)
	v_mul_f64 v[145:146], v[69:70], v[87:88]
	v_mul_f64 v[87:88], v[71:72], v[87:88]
	s_waitcnt vmcnt(56)
	v_fma_f64 v[85:86], v[65:66], v[93:94], -v[85:86]
	ds_read_b128 v[73:76], v2 offset:736
	v_fma_f64 v[93:94], v[67:68], v[93:94], v[149:150]
	buffer_load_dword v149, off, s[0:3], 0 offset:484
	ds_read_b128 v[65:68], v2 offset:752
	v_add_f64 v[81:82], v[135:136], v[81:82]
	v_add_f64 v[3:4], v[3:4], v[91:92]
	s_waitcnt vmcnt(53) lgkmcnt(1)
	v_mul_f64 v[91:92], v[73:74], v[95:96]
	v_mul_f64 v[95:96], v[75:76], v[95:96]
	s_waitcnt vmcnt(52)
	v_fma_f64 v[87:88], v[69:70], v[89:90], -v[87:88]
	v_add_f64 v[81:82], v[81:82], v[85:86]
	v_fma_f64 v[85:86], v[71:72], v[89:90], v[145:146]
	v_add_f64 v[3:4], v[3:4], v[93:94]
	s_waitcnt vmcnt(51) lgkmcnt(0)
	v_mul_f64 v[93:94], v[67:68], v[97:98]
	ds_read_b128 v[69:72], v2 offset:768
	s_waitcnt vmcnt(49)
	v_fma_f64 v[95:96], v[73:74], v[101:102], -v[95:96]
	v_mul_f64 v[89:90], v[65:66], v[97:98]
	v_add_f64 v[81:82], v[81:82], v[87:88]
	v_fma_f64 v[87:88], v[75:76], v[101:102], v[91:92]
	v_add_f64 v[3:4], v[3:4], v[85:86]
	s_clause 0x3
	buffer_load_dword v85, off, s[0:3], 0 offset:176
	buffer_load_dword v86, off, s[0:3], 0 offset:180
	;; [unrolled: 1-line block ×4, first 2 shown]
	s_waitcnt vmcnt(49) lgkmcnt(0)
	v_mul_f64 v[101:102], v[71:72], v[103:104]
	s_waitcnt vmcnt(48)
	v_fma_f64 v[93:94], v[65:66], v[99:100], -v[93:94]
	ds_read_b128 v[73:76], v2 offset:784
	v_mul_f64 v[97:98], v[69:70], v[103:104]
	v_fma_f64 v[89:90], v[67:68], v[99:100], v[89:90]
	ds_read_b128 v[65:68], v2 offset:800
	v_add_f64 v[81:82], v[81:82], v[95:96]
	v_add_f64 v[3:4], v[3:4], v[87:88]
	s_waitcnt vmcnt(47) lgkmcnt(1)
	v_mul_f64 v[95:96], v[75:76], v[105:106]
	s_waitcnt vmcnt(45)
	v_fma_f64 v[99:100], v[69:70], v[109:110], -v[101:102]
	v_mul_f64 v[87:88], v[73:74], v[105:106]
	v_add_f64 v[81:82], v[81:82], v[93:94]
	v_fma_f64 v[93:94], v[71:72], v[109:110], v[97:98]
	v_add_f64 v[3:4], v[3:4], v[89:90]
	s_waitcnt vmcnt(41) lgkmcnt(0)
	v_mul_f64 v[97:98], v[67:68], v[111:112]
	s_waitcnt vmcnt(40)
	v_fma_f64 v[95:96], v[73:74], v[107:108], -v[95:96]
	ds_read_b128 v[69:72], v2 offset:816
	v_mul_f64 v[89:90], v[65:66], v[111:112]
	v_fma_f64 v[87:88], v[75:76], v[107:108], v[87:88]
	ds_read_b128 v[73:76], v2 offset:832
	v_add_f64 v[81:82], v[81:82], v[99:100]
	v_add_f64 v[3:4], v[3:4], v[93:94]
	s_waitcnt vmcnt(39) lgkmcnt(1)
	v_mul_f64 v[99:100], v[71:72], v[113:114]
	s_waitcnt vmcnt(37)
	v_fma_f64 v[97:98], v[65:66], v[117:118], -v[97:98]
	v_mul_f64 v[93:94], v[69:70], v[113:114]
	v_fma_f64 v[89:90], v[67:68], v[117:118], v[89:90]
	ds_read_b128 v[65:68], v2 offset:848
	v_add_f64 v[81:82], v[81:82], v[95:96]
	s_waitcnt vmcnt(33) lgkmcnt(1)
	v_mul_f64 v[95:96], v[75:76], v[119:120]
	v_add_f64 v[3:4], v[3:4], v[87:88]
	s_waitcnt vmcnt(32)
	v_fma_f64 v[99:100], v[69:70], v[115:116], -v[99:100]
	v_mul_f64 v[87:88], v[73:74], v[119:120]
	v_fma_f64 v[93:94], v[71:72], v[115:116], v[93:94]
	ds_read_b128 v[69:72], v2 offset:864
	v_add_f64 v[81:82], v[81:82], v[97:98]
	s_waitcnt vmcnt(31) lgkmcnt(1)
	v_mul_f64 v[97:98], v[67:68], v[121:122]
	v_add_f64 v[3:4], v[3:4], v[89:90]
	;; [unrolled: 9-line block ×5, first 2 shown]
	s_waitcnt vmcnt(16)
	v_fma_f64 v[95:96], v[73:74], v[131:132], -v[95:96]
	v_mul_f64 v[89:90], v[65:66], v[137:138]
	v_fma_f64 v[87:88], v[75:76], v[131:132], v[87:88]
	ds_read_b128 v[73:76], v2 offset:928
	v_add_f64 v[81:82], v[81:82], v[99:100]
	v_add_f64 v[3:4], v[3:4], v[93:94]
	s_waitcnt vmcnt(15) lgkmcnt(1)
	v_mul_f64 v[99:100], v[71:72], v[139:140]
	v_mul_f64 v[93:94], v[69:70], v[139:140]
	s_waitcnt vmcnt(13)
	v_fma_f64 v[97:98], v[65:66], v[79:80], -v[97:98]
	v_fma_f64 v[79:80], v[67:68], v[79:80], v[89:90]
	ds_read_b128 v[65:68], v2 offset:944
	v_add_f64 v[81:82], v[81:82], v[95:96]
	v_add_f64 v[3:4], v[3:4], v[87:88]
	s_waitcnt vmcnt(9) lgkmcnt(1)
	v_mul_f64 v[87:88], v[73:74], v[83:84]
	v_mul_f64 v[83:84], v[75:76], v[83:84]
	s_waitcnt vmcnt(8)
	v_fma_f64 v[69:70], v[69:70], v[141:142], -v[99:100]
	v_fma_f64 v[71:72], v[71:72], v[141:142], v[93:94]
	v_add_f64 v[81:82], v[81:82], v[97:98]
	v_add_f64 v[3:4], v[3:4], v[79:80]
	s_waitcnt vmcnt(7) lgkmcnt(0)
	v_mul_f64 v[89:90], v[67:68], v[143:144]
	v_mul_f64 v[79:80], v[65:66], v[143:144]
	s_waitcnt vmcnt(5)
	v_fma_f64 v[73:74], v[73:74], v[77:78], -v[83:84]
	v_fma_f64 v[75:76], v[75:76], v[77:78], v[87:88]
	v_add_f64 v[69:70], v[81:82], v[69:70]
	v_add_f64 v[3:4], v[3:4], v[71:72]
	s_waitcnt vmcnt(4)
	v_fma_f64 v[65:66], v[65:66], v[148:149], -v[89:90]
	v_fma_f64 v[67:68], v[67:68], v[148:149], v[79:80]
	v_add_f64 v[69:70], v[69:70], v[73:74]
	v_add_f64 v[3:4], v[3:4], v[75:76]
	;; [unrolled: 1-line block ×4, first 2 shown]
	s_waitcnt vmcnt(2)
	v_add_f64 v[65:66], v[85:86], -v[65:66]
	s_waitcnt vmcnt(0)
	v_add_f64 v[3:4], v[91:92], -v[3:4]
	buffer_store_dword v66, off, s[0:3], 0 offset:180
	buffer_store_dword v65, off, s[0:3], 0 offset:176
	;; [unrolled: 1-line block ×4, first 2 shown]
	v_cmpx_lt_u32_e32 9, v0
	s_cbranch_execz .LBB29_175
; %bb.174:
	v_mov_b32_e32 v3, s33
	s_clause 0x3
	buffer_load_dword v65, v3, s[0:3], 0 offen
	buffer_load_dword v66, v3, s[0:3], 0 offen offset:4
	buffer_load_dword v67, v3, s[0:3], 0 offen offset:8
	;; [unrolled: 1-line block ×3, first 2 shown]
	buffer_store_dword v2, off, s[0:3], 0 offset:160
	buffer_store_dword v2, off, s[0:3], 0 offset:164
	;; [unrolled: 1-line block ×4, first 2 shown]
	s_waitcnt vmcnt(0)
	ds_write_b128 v1, v[65:68]
.LBB29_175:
	s_or_b32 exec_lo, exec_lo, s4
	s_waitcnt lgkmcnt(0)
	s_waitcnt_vscnt null, 0x0
	s_barrier
	buffer_gl0_inv
	s_clause 0x37
	buffer_load_dword v3, off, s[0:3], 0 offset:184
	buffer_load_dword v4, off, s[0:3], 0 offset:188
	;; [unrolled: 1-line block ×56, first 2 shown]
	ds_read_b128 v[65:68], v2 offset:640
	s_clause 0x2
	buffer_load_dword v130, off, s[0:3], 0 offset:412
	buffer_load_dword v134, off, s[0:3], 0 offset:388
	;; [unrolled: 1-line block ×3, first 2 shown]
	ds_read_b128 v[69:72], v2 offset:656
	s_clause 0x4
	buffer_load_dword v138, off, s[0:3], 0 offset:428
	buffer_load_dword v139, off, s[0:3], 0 offset:440
	;; [unrolled: 1-line block ×5, first 2 shown]
	ds_read_b128 v[73:76], v2 offset:672
	s_mov_b32 s4, exec_lo
	s_waitcnt vmcnt(62) lgkmcnt(2)
	v_mul_f64 v[135:136], v[67:68], v[3:4]
	v_mul_f64 v[3:4], v[65:66], v[3:4]
	s_waitcnt vmcnt(60) lgkmcnt(1)
	v_mul_f64 v[142:143], v[71:72], v[77:78]
	v_mul_f64 v[77:78], v[69:70], v[77:78]
	;; [unrolled: 3-line block ×3, first 2 shown]
	v_fma_f64 v[135:136], v[65:66], v[79:80], -v[135:136]
	v_fma_f64 v[3:4], v[67:68], v[79:80], v[3:4]
	s_clause 0x2
	buffer_load_dword v140, off, s[0:3], 0 offset:444
	buffer_load_dword v80, off, s[0:3], 0 offset:420
	;; [unrolled: 1-line block ×3, first 2 shown]
	s_waitcnt vmcnt(57)
	v_fma_f64 v[146:147], v[69:70], v[83:84], -v[142:143]
	ds_read_b128 v[65:68], v2 offset:688
	v_fma_f64 v[77:78], v[71:72], v[83:84], v[77:78]
	s_clause 0x4
	buffer_load_dword v84, off, s[0:3], 0 offset:460
	buffer_load_dword v143, off, s[0:3], 0 offset:472
	;; [unrolled: 1-line block ×5, first 2 shown]
	s_waitcnt vmcnt(56)
	v_fma_f64 v[81:82], v[73:74], v[91:92], -v[81:82]
	ds_read_b128 v[69:72], v2 offset:704
	v_fma_f64 v[91:92], v[75:76], v[91:92], v[144:145]
	v_add_f64 v[135:136], v[135:136], 0
	v_add_f64 v[3:4], v[3:4], 0
	s_waitcnt lgkmcnt(1)
	v_mul_f64 v[149:150], v[65:66], v[85:86]
	v_mul_f64 v[85:86], v[67:68], v[85:86]
	v_add_f64 v[135:136], v[135:136], v[146:147]
	v_add_f64 v[3:4], v[3:4], v[77:78]
	s_clause 0x2
	buffer_load_dword v144, off, s[0:3], 0 offset:476
	buffer_load_dword v78, off, s[0:3], 0 offset:452
	;; [unrolled: 1-line block ×3, first 2 shown]
	s_waitcnt vmcnt(58) lgkmcnt(0)
	v_mul_f64 v[145:146], v[69:70], v[87:88]
	v_mul_f64 v[87:88], v[71:72], v[87:88]
	s_waitcnt vmcnt(56)
	v_fma_f64 v[85:86], v[65:66], v[93:94], -v[85:86]
	ds_read_b128 v[73:76], v2 offset:720
	v_fma_f64 v[93:94], v[67:68], v[93:94], v[149:150]
	v_add_f64 v[81:82], v[135:136], v[81:82]
	v_add_f64 v[3:4], v[3:4], v[91:92]
	s_clause 0x2
	buffer_load_dword v92, off, s[0:3], 0 offset:492
	buffer_load_dword v91, off, s[0:3], 0 offset:488
	;; [unrolled: 1-line block ×3, first 2 shown]
	ds_read_b128 v[65:68], v2 offset:736
	s_waitcnt vmcnt(55) lgkmcnt(1)
	v_mul_f64 v[135:136], v[73:74], v[95:96]
	v_mul_f64 v[95:96], v[75:76], v[95:96]
	s_waitcnt vmcnt(54)
	v_fma_f64 v[87:88], v[69:70], v[89:90], -v[87:88]
	v_add_f64 v[81:82], v[81:82], v[85:86]
	v_fma_f64 v[85:86], v[71:72], v[89:90], v[145:146]
	v_add_f64 v[3:4], v[3:4], v[93:94]
	s_clause 0x1
	buffer_load_dword v90, off, s[0:3], 0 offset:484
	buffer_load_dword v89, off, s[0:3], 0 offset:480
	s_waitcnt vmcnt(55) lgkmcnt(0)
	v_mul_f64 v[93:94], v[65:66], v[97:98]
	v_mul_f64 v[97:98], v[67:68], v[97:98]
	s_waitcnt vmcnt(53)
	v_fma_f64 v[95:96], v[73:74], v[101:102], -v[95:96]
	ds_read_b128 v[69:72], v2 offset:752
	v_add_f64 v[81:82], v[81:82], v[87:88]
	v_fma_f64 v[87:88], v[75:76], v[101:102], v[135:136]
	v_add_f64 v[3:4], v[3:4], v[85:86]
	ds_read_b128 v[73:76], v2 offset:768
	s_waitcnt vmcnt(48)
	v_fma_f64 v[93:94], v[67:68], v[99:100], v[93:94]
	s_waitcnt lgkmcnt(1)
	v_mul_f64 v[101:102], v[71:72], v[103:104]
	v_fma_f64 v[97:98], v[65:66], v[99:100], -v[97:98]
	v_mul_f64 v[85:86], v[69:70], v[103:104]
	v_add_f64 v[81:82], v[81:82], v[95:96]
	s_waitcnt vmcnt(47) lgkmcnt(0)
	v_mul_f64 v[103:104], v[75:76], v[105:106]
	v_add_f64 v[3:4], v[3:4], v[87:88]
	s_clause 0x3
	buffer_load_dword v87, off, s[0:3], 0 offset:160
	buffer_load_dword v88, off, s[0:3], 0 offset:164
	;; [unrolled: 1-line block ×4, first 2 shown]
	ds_read_b128 v[65:68], v2 offset:784
	s_waitcnt vmcnt(49)
	v_fma_f64 v[101:102], v[69:70], v[109:110], -v[101:102]
	v_mul_f64 v[99:100], v[73:74], v[105:106]
	v_fma_f64 v[85:86], v[71:72], v[109:110], v[85:86]
	ds_read_b128 v[69:72], v2 offset:800
	v_add_f64 v[81:82], v[81:82], v[97:98]
	s_waitcnt vmcnt(44)
	v_fma_f64 v[103:104], v[73:74], v[107:108], -v[103:104]
	v_add_f64 v[3:4], v[3:4], v[93:94]
	s_waitcnt lgkmcnt(1)
	v_mul_f64 v[97:98], v[67:68], v[111:112]
	v_mul_f64 v[93:94], v[65:66], v[111:112]
	v_fma_f64 v[99:100], v[75:76], v[107:108], v[99:100]
	ds_read_b128 v[73:76], v2 offset:816
	v_add_f64 v[81:82], v[81:82], v[101:102]
	s_waitcnt vmcnt(43) lgkmcnt(1)
	v_mul_f64 v[101:102], v[71:72], v[113:114]
	v_add_f64 v[3:4], v[3:4], v[85:86]
	s_waitcnt vmcnt(41)
	v_fma_f64 v[97:98], v[65:66], v[117:118], -v[97:98]
	v_mul_f64 v[85:86], v[69:70], v[113:114]
	v_fma_f64 v[93:94], v[67:68], v[117:118], v[93:94]
	ds_read_b128 v[65:68], v2 offset:832
	v_add_f64 v[81:82], v[81:82], v[103:104]
	s_waitcnt vmcnt(37) lgkmcnt(1)
	v_mul_f64 v[103:104], v[75:76], v[119:120]
	v_add_f64 v[3:4], v[3:4], v[99:100]
	s_waitcnt vmcnt(36)
	v_fma_f64 v[101:102], v[69:70], v[115:116], -v[101:102]
	;; [unrolled: 9-line block ×6, first 2 shown]
	v_mul_f64 v[93:94], v[65:66], v[137:138]
	v_fma_f64 v[99:100], v[75:76], v[131:132], v[99:100]
	ds_read_b128 v[73:76], v2 offset:912
	v_add_f64 v[81:82], v[81:82], v[101:102]
	v_add_f64 v[3:4], v[3:4], v[85:86]
	s_waitcnt vmcnt(19) lgkmcnt(1)
	v_mul_f64 v[101:102], v[71:72], v[139:140]
	v_mul_f64 v[85:86], v[69:70], v[139:140]
	s_waitcnt vmcnt(17)
	v_fma_f64 v[97:98], v[65:66], v[79:80], -v[97:98]
	v_fma_f64 v[79:80], v[67:68], v[79:80], v[93:94]
	ds_read_b128 v[65:68], v2 offset:928
	s_waitcnt vmcnt(13) lgkmcnt(1)
	v_mul_f64 v[93:94], v[73:74], v[83:84]
	v_mul_f64 v[83:84], v[75:76], v[83:84]
	v_add_f64 v[81:82], v[81:82], v[103:104]
	v_add_f64 v[3:4], v[3:4], v[99:100]
	s_waitcnt vmcnt(12)
	v_fma_f64 v[99:100], v[69:70], v[141:142], -v[101:102]
	v_fma_f64 v[85:86], v[71:72], v[141:142], v[85:86]
	ds_read_b128 v[69:72], v2 offset:944
	v_add_f64 v[81:82], v[81:82], v[97:98]
	v_add_f64 v[3:4], v[3:4], v[79:80]
	s_waitcnt vmcnt(11) lgkmcnt(1)
	v_mul_f64 v[97:98], v[67:68], v[143:144]
	v_mul_f64 v[79:80], v[65:66], v[143:144]
	s_waitcnt vmcnt(9)
	v_fma_f64 v[73:74], v[73:74], v[77:78], -v[83:84]
	v_fma_f64 v[75:76], v[75:76], v[77:78], v[93:94]
	v_add_f64 v[81:82], v[81:82], v[99:100]
	v_add_f64 v[2:3], v[3:4], v[85:86]
	s_waitcnt vmcnt(7) lgkmcnt(0)
	v_mul_f64 v[83:84], v[71:72], v[91:92]
	s_waitcnt vmcnt(6)
	v_fma_f64 v[65:66], v[65:66], v[148:149], -v[97:98]
	v_mul_f64 v[77:78], v[69:70], v[91:92]
	v_fma_f64 v[67:68], v[67:68], v[148:149], v[79:80]
	v_add_f64 v[73:74], v[81:82], v[73:74]
	v_add_f64 v[2:3], v[2:3], v[75:76]
	s_waitcnt vmcnt(4)
	v_fma_f64 v[69:70], v[69:70], v[89:90], -v[83:84]
	v_fma_f64 v[71:72], v[71:72], v[89:90], v[77:78]
	v_add_f64 v[65:66], v[73:74], v[65:66]
	v_add_f64 v[2:3], v[2:3], v[67:68]
	;; [unrolled: 1-line block ×4, first 2 shown]
	s_waitcnt vmcnt(2)
	v_add_f64 v[65:66], v[87:88], -v[65:66]
	s_waitcnt vmcnt(0)
	v_add_f64 v[2:3], v[95:96], -v[2:3]
	buffer_store_dword v66, off, s[0:3], 0 offset:164
	buffer_store_dword v65, off, s[0:3], 0 offset:160
	;; [unrolled: 1-line block ×4, first 2 shown]
	v_cmpx_lt_u32_e32 8, v0
	s_cbranch_execz .LBB29_177
; %bb.176:
	v_mov_b32_e32 v2, s34
	s_clause 0x3
	buffer_load_dword v65, v2, s[0:3], 0 offen
	buffer_load_dword v66, v2, s[0:3], 0 offen offset:4
	buffer_load_dword v67, v2, s[0:3], 0 offen offset:8
	;; [unrolled: 1-line block ×3, first 2 shown]
	v_mov_b32_e32 v2, 0
	buffer_store_dword v2, off, s[0:3], 0 offset:144
	buffer_store_dword v2, off, s[0:3], 0 offset:148
	;; [unrolled: 1-line block ×4, first 2 shown]
	s_waitcnt vmcnt(0)
	ds_write_b128 v1, v[65:68]
.LBB29_177:
	s_or_b32 exec_lo, exec_lo, s4
	s_waitcnt lgkmcnt(0)
	s_waitcnt_vscnt null, 0x0
	s_barrier
	buffer_gl0_inv
	s_clause 0x37
	buffer_load_dword v3, off, s[0:3], 0 offset:168
	buffer_load_dword v4, off, s[0:3], 0 offset:172
	;; [unrolled: 1-line block ×56, first 2 shown]
	v_mov_b32_e32 v2, 0
	s_mov_b32 s4, exec_lo
	ds_read_b128 v[65:68], v2 offset:624
	s_clause 0x2
	buffer_load_dword v130, off, s[0:3], 0 offset:396
	buffer_load_dword v134, off, s[0:3], 0 offset:372
	;; [unrolled: 1-line block ×3, first 2 shown]
	ds_read_b128 v[69:72], v2 offset:640
	s_clause 0x4
	buffer_load_dword v138, off, s[0:3], 0 offset:412
	buffer_load_dword v139, off, s[0:3], 0 offset:424
	;; [unrolled: 1-line block ×5, first 2 shown]
	ds_read_b128 v[73:76], v2 offset:656
	s_waitcnt vmcnt(62) lgkmcnt(2)
	v_mul_f64 v[135:136], v[67:68], v[3:4]
	v_mul_f64 v[3:4], v[65:66], v[3:4]
	s_waitcnt vmcnt(60) lgkmcnt(1)
	v_mul_f64 v[142:143], v[71:72], v[77:78]
	v_mul_f64 v[77:78], v[69:70], v[77:78]
	;; [unrolled: 3-line block ×3, first 2 shown]
	v_fma_f64 v[135:136], v[65:66], v[79:80], -v[135:136]
	v_fma_f64 v[3:4], v[67:68], v[79:80], v[3:4]
	s_clause 0x2
	buffer_load_dword v140, off, s[0:3], 0 offset:428
	buffer_load_dword v80, off, s[0:3], 0 offset:404
	;; [unrolled: 1-line block ×3, first 2 shown]
	s_waitcnt vmcnt(57)
	v_fma_f64 v[146:147], v[69:70], v[83:84], -v[142:143]
	ds_read_b128 v[65:68], v2 offset:672
	v_fma_f64 v[77:78], v[71:72], v[83:84], v[77:78]
	s_clause 0x4
	buffer_load_dword v84, off, s[0:3], 0 offset:444
	buffer_load_dword v143, off, s[0:3], 0 offset:456
	;; [unrolled: 1-line block ×5, first 2 shown]
	s_waitcnt vmcnt(56)
	v_fma_f64 v[81:82], v[73:74], v[91:92], -v[81:82]
	ds_read_b128 v[69:72], v2 offset:688
	v_fma_f64 v[91:92], v[75:76], v[91:92], v[144:145]
	v_add_f64 v[135:136], v[135:136], 0
	v_add_f64 v[3:4], v[3:4], 0
	s_waitcnt lgkmcnt(1)
	v_mul_f64 v[149:150], v[65:66], v[85:86]
	v_mul_f64 v[85:86], v[67:68], v[85:86]
	v_add_f64 v[135:136], v[135:136], v[146:147]
	v_add_f64 v[3:4], v[3:4], v[77:78]
	s_clause 0x2
	buffer_load_dword v144, off, s[0:3], 0 offset:460
	buffer_load_dword v78, off, s[0:3], 0 offset:436
	;; [unrolled: 1-line block ×3, first 2 shown]
	s_waitcnt vmcnt(58) lgkmcnt(0)
	v_mul_f64 v[145:146], v[69:70], v[87:88]
	v_mul_f64 v[87:88], v[71:72], v[87:88]
	s_waitcnt vmcnt(56)
	v_fma_f64 v[85:86], v[65:66], v[93:94], -v[85:86]
	ds_read_b128 v[73:76], v2 offset:704
	v_fma_f64 v[93:94], v[67:68], v[93:94], v[149:150]
	v_add_f64 v[81:82], v[135:136], v[81:82]
	v_add_f64 v[3:4], v[3:4], v[91:92]
	s_clause 0x4
	buffer_load_dword v92, off, s[0:3], 0 offset:476
	buffer_load_dword v135, off, s[0:3], 0 offset:488
	;; [unrolled: 1-line block ×5, first 2 shown]
	ds_read_b128 v[65:68], v2 offset:720
	s_waitcnt vmcnt(57) lgkmcnt(1)
	v_mul_f64 v[151:152], v[73:74], v[95:96]
	v_mul_f64 v[95:96], v[75:76], v[95:96]
	s_waitcnt vmcnt(56)
	v_fma_f64 v[87:88], v[69:70], v[89:90], -v[87:88]
	v_add_f64 v[81:82], v[81:82], v[85:86]
	v_fma_f64 v[85:86], v[71:72], v[89:90], v[145:146]
	v_add_f64 v[3:4], v[3:4], v[93:94]
	s_clause 0x2
	buffer_load_dword v136, off, s[0:3], 0 offset:492
	buffer_load_dword v90, off, s[0:3], 0 offset:468
	;; [unrolled: 1-line block ×3, first 2 shown]
	s_waitcnt vmcnt(58) lgkmcnt(0)
	v_mul_f64 v[93:94], v[65:66], v[97:98]
	v_mul_f64 v[97:98], v[67:68], v[97:98]
	s_waitcnt vmcnt(56)
	v_fma_f64 v[95:96], v[73:74], v[101:102], -v[95:96]
	ds_read_b128 v[69:72], v2 offset:736
	v_add_f64 v[81:82], v[81:82], v[87:88]
	v_fma_f64 v[87:88], v[75:76], v[101:102], v[151:152]
	v_add_f64 v[3:4], v[3:4], v[85:86]
	buffer_load_dword v151, off, s[0:3], 0 offset:484
	ds_read_b128 v[73:76], v2 offset:752
	s_waitcnt vmcnt(53) lgkmcnt(1)
	v_mul_f64 v[101:102], v[71:72], v[103:104]
	s_waitcnt vmcnt(52)
	v_fma_f64 v[97:98], v[65:66], v[99:100], -v[97:98]
	v_mul_f64 v[85:86], v[69:70], v[103:104]
	v_fma_f64 v[93:94], v[67:68], v[99:100], v[93:94]
	ds_read_b128 v[65:68], v2 offset:768
	v_add_f64 v[81:82], v[81:82], v[95:96]
	v_add_f64 v[3:4], v[3:4], v[87:88]
	s_waitcnt vmcnt(51) lgkmcnt(1)
	v_mul_f64 v[95:96], v[75:76], v[105:106]
	v_mul_f64 v[87:88], v[73:74], v[105:106]
	s_waitcnt vmcnt(49)
	v_fma_f64 v[99:100], v[69:70], v[109:110], -v[101:102]
	v_fma_f64 v[85:86], v[71:72], v[109:110], v[85:86]
	s_waitcnt vmcnt(45) lgkmcnt(0)
	v_mul_f64 v[103:104], v[67:68], v[111:112]
	v_mul_f64 v[101:102], v[65:66], v[111:112]
	v_add_f64 v[81:82], v[81:82], v[97:98]
	v_add_f64 v[3:4], v[3:4], v[93:94]
	s_clause 0x3
	buffer_load_dword v93, off, s[0:3], 0 offset:144
	buffer_load_dword v94, off, s[0:3], 0 offset:148
	;; [unrolled: 1-line block ×4, first 2 shown]
	s_waitcnt vmcnt(48)
	v_fma_f64 v[95:96], v[73:74], v[107:108], -v[95:96]
	ds_read_b128 v[69:72], v2 offset:784
	v_fma_f64 v[87:88], v[75:76], v[107:108], v[87:88]
	ds_read_b128 v[73:76], v2 offset:800
	s_waitcnt vmcnt(45)
	v_fma_f64 v[103:104], v[65:66], v[117:118], -v[103:104]
	v_add_f64 v[81:82], v[81:82], v[99:100]
	v_add_f64 v[3:4], v[3:4], v[85:86]
	s_waitcnt lgkmcnt(1)
	v_mul_f64 v[99:100], v[71:72], v[113:114]
	v_mul_f64 v[85:86], v[69:70], v[113:114]
	v_add_f64 v[81:82], v[81:82], v[95:96]
	v_fma_f64 v[95:96], v[67:68], v[117:118], v[101:102]
	v_add_f64 v[3:4], v[3:4], v[87:88]
	s_waitcnt vmcnt(41) lgkmcnt(0)
	v_mul_f64 v[101:102], v[75:76], v[119:120]
	s_waitcnt vmcnt(40)
	v_fma_f64 v[99:100], v[69:70], v[115:116], -v[99:100]
	ds_read_b128 v[65:68], v2 offset:816
	v_mul_f64 v[87:88], v[73:74], v[119:120]
	v_fma_f64 v[85:86], v[71:72], v[115:116], v[85:86]
	ds_read_b128 v[69:72], v2 offset:832
	v_add_f64 v[81:82], v[81:82], v[103:104]
	v_add_f64 v[3:4], v[3:4], v[95:96]
	s_waitcnt vmcnt(39) lgkmcnt(1)
	v_mul_f64 v[103:104], v[67:68], v[121:122]
	s_waitcnt vmcnt(37)
	v_fma_f64 v[101:102], v[73:74], v[125:126], -v[101:102]
	v_mul_f64 v[95:96], v[65:66], v[121:122]
	v_fma_f64 v[87:88], v[75:76], v[125:126], v[87:88]
	ds_read_b128 v[73:76], v2 offset:848
	v_add_f64 v[81:82], v[81:82], v[99:100]
	s_waitcnt vmcnt(33) lgkmcnt(1)
	v_mul_f64 v[99:100], v[71:72], v[127:128]
	v_add_f64 v[3:4], v[3:4], v[85:86]
	s_waitcnt vmcnt(32)
	v_fma_f64 v[103:104], v[65:66], v[123:124], -v[103:104]
	v_mul_f64 v[85:86], v[69:70], v[127:128]
	v_fma_f64 v[95:96], v[67:68], v[123:124], v[95:96]
	ds_read_b128 v[65:68], v2 offset:864
	v_add_f64 v[81:82], v[81:82], v[101:102]
	s_waitcnt vmcnt(31) lgkmcnt(1)
	v_mul_f64 v[101:102], v[75:76], v[129:130]
	v_add_f64 v[3:4], v[3:4], v[87:88]
	;; [unrolled: 9-line block ×3, first 2 shown]
	s_waitcnt vmcnt(24)
	v_fma_f64 v[101:102], v[73:74], v[131:132], -v[101:102]
	v_mul_f64 v[95:96], v[65:66], v[137:138]
	v_fma_f64 v[87:88], v[75:76], v[131:132], v[87:88]
	ds_read_b128 v[73:76], v2 offset:896
	v_add_f64 v[81:82], v[81:82], v[99:100]
	v_add_f64 v[3:4], v[3:4], v[85:86]
	s_waitcnt vmcnt(23) lgkmcnt(1)
	v_mul_f64 v[99:100], v[71:72], v[139:140]
	v_mul_f64 v[85:86], v[69:70], v[139:140]
	s_waitcnt vmcnt(21)
	v_fma_f64 v[103:104], v[65:66], v[79:80], -v[103:104]
	v_fma_f64 v[79:80], v[67:68], v[79:80], v[95:96]
	ds_read_b128 v[65:68], v2 offset:912
	v_add_f64 v[81:82], v[81:82], v[101:102]
	v_add_f64 v[3:4], v[3:4], v[87:88]
	s_waitcnt vmcnt(17) lgkmcnt(1)
	v_mul_f64 v[87:88], v[73:74], v[83:84]
	v_mul_f64 v[83:84], v[75:76], v[83:84]
	s_waitcnt vmcnt(16)
	v_fma_f64 v[95:96], v[69:70], v[141:142], -v[99:100]
	;; [unrolled: 9-line block ×3, first 2 shown]
	v_fma_f64 v[77:78], v[75:76], v[77:78], v[87:88]
	ds_read_b128 v[73:76], v2 offset:944
	v_add_f64 v[81:82], v[81:82], v[95:96]
	v_add_f64 v[3:4], v[3:4], v[85:86]
	s_waitcnt vmcnt(9) lgkmcnt(1)
	v_mul_f64 v[87:88], v[71:72], v[91:92]
	s_waitcnt vmcnt(8)
	v_fma_f64 v[65:66], v[65:66], v[148:149], -v[99:100]
	v_mul_f64 v[85:86], v[69:70], v[91:92]
	v_fma_f64 v[67:68], v[67:68], v[148:149], v[79:80]
	v_add_f64 v[81:82], v[81:82], v[83:84]
	v_add_f64 v[3:4], v[3:4], v[77:78]
	s_waitcnt vmcnt(7) lgkmcnt(0)
	v_mul_f64 v[79:80], v[75:76], v[135:136]
	v_mul_f64 v[77:78], v[73:74], v[135:136]
	s_waitcnt vmcnt(5)
	v_fma_f64 v[69:70], v[69:70], v[89:90], -v[87:88]
	v_fma_f64 v[71:72], v[71:72], v[89:90], v[85:86]
	v_add_f64 v[65:66], v[81:82], v[65:66]
	v_add_f64 v[3:4], v[3:4], v[67:68]
	s_waitcnt vmcnt(4)
	v_fma_f64 v[67:68], v[73:74], v[150:151], -v[79:80]
	v_add_f64 v[65:66], v[65:66], v[69:70]
	v_fma_f64 v[69:70], v[75:76], v[150:151], v[77:78]
	v_add_f64 v[3:4], v[3:4], v[71:72]
	v_add_f64 v[65:66], v[65:66], v[67:68]
	;; [unrolled: 1-line block ×3, first 2 shown]
	s_waitcnt vmcnt(2)
	v_add_f64 v[65:66], v[93:94], -v[65:66]
	s_waitcnt vmcnt(0)
	v_add_f64 v[3:4], v[97:98], -v[3:4]
	buffer_store_dword v66, off, s[0:3], 0 offset:148
	buffer_store_dword v65, off, s[0:3], 0 offset:144
	buffer_store_dword v4, off, s[0:3], 0 offset:156
	buffer_store_dword v3, off, s[0:3], 0 offset:152
	v_cmpx_lt_u32_e32 7, v0
	s_cbranch_execz .LBB29_179
; %bb.178:
	v_mov_b32_e32 v3, s35
	s_clause 0x3
	buffer_load_dword v65, v3, s[0:3], 0 offen
	buffer_load_dword v66, v3, s[0:3], 0 offen offset:4
	buffer_load_dword v67, v3, s[0:3], 0 offen offset:8
	;; [unrolled: 1-line block ×3, first 2 shown]
	buffer_store_dword v2, off, s[0:3], 0 offset:128
	buffer_store_dword v2, off, s[0:3], 0 offset:132
	;; [unrolled: 1-line block ×4, first 2 shown]
	s_waitcnt vmcnt(0)
	ds_write_b128 v1, v[65:68]
.LBB29_179:
	s_or_b32 exec_lo, exec_lo, s4
	s_waitcnt lgkmcnt(0)
	s_waitcnt_vscnt null, 0x0
	s_barrier
	buffer_gl0_inv
	s_clause 0x37
	buffer_load_dword v3, off, s[0:3], 0 offset:152
	buffer_load_dword v4, off, s[0:3], 0 offset:156
	;; [unrolled: 1-line block ×56, first 2 shown]
	ds_read_b128 v[65:68], v2 offset:608
	s_clause 0x2
	buffer_load_dword v130, off, s[0:3], 0 offset:380
	buffer_load_dword v134, off, s[0:3], 0 offset:356
	buffer_load_dword v133, off, s[0:3], 0 offset:352
	ds_read_b128 v[69:72], v2 offset:624
	s_clause 0x4
	buffer_load_dword v138, off, s[0:3], 0 offset:396
	buffer_load_dword v139, off, s[0:3], 0 offset:408
	;; [unrolled: 1-line block ×5, first 2 shown]
	ds_read_b128 v[73:76], v2 offset:640
	s_mov_b32 s4, exec_lo
	s_waitcnt vmcnt(62) lgkmcnt(2)
	v_mul_f64 v[135:136], v[67:68], v[3:4]
	v_mul_f64 v[3:4], v[65:66], v[3:4]
	s_waitcnt vmcnt(60) lgkmcnt(1)
	v_mul_f64 v[142:143], v[71:72], v[77:78]
	v_mul_f64 v[77:78], v[69:70], v[77:78]
	;; [unrolled: 3-line block ×3, first 2 shown]
	v_fma_f64 v[135:136], v[65:66], v[79:80], -v[135:136]
	v_fma_f64 v[3:4], v[67:68], v[79:80], v[3:4]
	s_clause 0x2
	buffer_load_dword v140, off, s[0:3], 0 offset:412
	buffer_load_dword v80, off, s[0:3], 0 offset:388
	;; [unrolled: 1-line block ×3, first 2 shown]
	s_waitcnt vmcnt(57)
	v_fma_f64 v[146:147], v[69:70], v[83:84], -v[142:143]
	ds_read_b128 v[65:68], v2 offset:656
	v_fma_f64 v[77:78], v[71:72], v[83:84], v[77:78]
	s_clause 0x4
	buffer_load_dword v84, off, s[0:3], 0 offset:428
	buffer_load_dword v143, off, s[0:3], 0 offset:440
	;; [unrolled: 1-line block ×5, first 2 shown]
	s_waitcnt vmcnt(56)
	v_fma_f64 v[81:82], v[73:74], v[91:92], -v[81:82]
	ds_read_b128 v[69:72], v2 offset:672
	v_fma_f64 v[91:92], v[75:76], v[91:92], v[144:145]
	v_add_f64 v[135:136], v[135:136], 0
	v_add_f64 v[3:4], v[3:4], 0
	s_waitcnt lgkmcnt(1)
	v_mul_f64 v[149:150], v[65:66], v[85:86]
	v_mul_f64 v[85:86], v[67:68], v[85:86]
	v_add_f64 v[135:136], v[135:136], v[146:147]
	v_add_f64 v[3:4], v[3:4], v[77:78]
	s_clause 0x2
	buffer_load_dword v144, off, s[0:3], 0 offset:444
	buffer_load_dword v78, off, s[0:3], 0 offset:420
	buffer_load_dword v77, off, s[0:3], 0 offset:416
	s_waitcnt vmcnt(58) lgkmcnt(0)
	v_mul_f64 v[145:146], v[69:70], v[87:88]
	v_mul_f64 v[87:88], v[71:72], v[87:88]
	s_waitcnt vmcnt(56)
	v_fma_f64 v[85:86], v[65:66], v[93:94], -v[85:86]
	ds_read_b128 v[73:76], v2 offset:688
	v_fma_f64 v[93:94], v[67:68], v[93:94], v[149:150]
	v_add_f64 v[81:82], v[135:136], v[81:82]
	v_add_f64 v[3:4], v[3:4], v[91:92]
	s_clause 0x4
	buffer_load_dword v92, off, s[0:3], 0 offset:460
	buffer_load_dword v135, off, s[0:3], 0 offset:472
	buffer_load_dword v150, off, s[0:3], 0 offset:464
	buffer_load_dword v91, off, s[0:3], 0 offset:456
	buffer_load_dword v149, off, s[0:3], 0 offset:436
	ds_read_b128 v[65:68], v2 offset:704
	s_waitcnt vmcnt(57) lgkmcnt(1)
	v_mul_f64 v[151:152], v[73:74], v[95:96]
	v_mul_f64 v[95:96], v[75:76], v[95:96]
	s_waitcnt vmcnt(56)
	v_fma_f64 v[87:88], v[69:70], v[89:90], -v[87:88]
	v_add_f64 v[81:82], v[81:82], v[85:86]
	v_fma_f64 v[85:86], v[71:72], v[89:90], v[145:146]
	v_add_f64 v[3:4], v[3:4], v[93:94]
	s_clause 0x2
	buffer_load_dword v136, off, s[0:3], 0 offset:476
	buffer_load_dword v90, off, s[0:3], 0 offset:452
	;; [unrolled: 1-line block ×3, first 2 shown]
	s_waitcnt vmcnt(58) lgkmcnt(0)
	v_mul_f64 v[93:94], v[65:66], v[97:98]
	v_mul_f64 v[97:98], v[67:68], v[97:98]
	s_waitcnt vmcnt(56)
	v_fma_f64 v[95:96], v[73:74], v[101:102], -v[95:96]
	ds_read_b128 v[69:72], v2 offset:720
	v_add_f64 v[81:82], v[81:82], v[87:88]
	v_fma_f64 v[87:88], v[75:76], v[101:102], v[151:152]
	v_add_f64 v[3:4], v[3:4], v[85:86]
	s_clause 0x2
	buffer_load_dword v86, off, s[0:3], 0 offset:492
	buffer_load_dword v85, off, s[0:3], 0 offset:488
	;; [unrolled: 1-line block ×3, first 2 shown]
	ds_read_b128 v[73:76], v2 offset:736
	s_waitcnt vmcnt(55) lgkmcnt(1)
	v_mul_f64 v[101:102], v[69:70], v[103:104]
	v_mul_f64 v[103:104], v[71:72], v[103:104]
	s_waitcnt vmcnt(54)
	v_fma_f64 v[97:98], v[65:66], v[99:100], -v[97:98]
	v_fma_f64 v[93:94], v[67:68], v[99:100], v[93:94]
	v_add_f64 v[81:82], v[81:82], v[95:96]
	v_add_f64 v[3:4], v[3:4], v[87:88]
	s_clause 0x1
	buffer_load_dword v88, off, s[0:3], 0 offset:484
	buffer_load_dword v87, off, s[0:3], 0 offset:480
	s_waitcnt vmcnt(55) lgkmcnt(0)
	v_mul_f64 v[99:100], v[75:76], v[105:106]
	ds_read_b128 v[65:68], v2 offset:752
	s_waitcnt vmcnt(53)
	v_fma_f64 v[103:104], v[69:70], v[109:110], -v[103:104]
	v_mul_f64 v[95:96], v[73:74], v[105:106]
	v_add_f64 v[81:82], v[81:82], v[97:98]
	v_fma_f64 v[97:98], v[71:72], v[109:110], v[101:102]
	v_add_f64 v[3:4], v[3:4], v[93:94]
	ds_read_b128 v[69:72], v2 offset:768
	s_waitcnt vmcnt(49) lgkmcnt(1)
	v_mul_f64 v[101:102], v[67:68], v[111:112]
	s_waitcnt vmcnt(48)
	v_fma_f64 v[99:100], v[73:74], v[107:108], -v[99:100]
	v_mul_f64 v[93:94], v[65:66], v[111:112]
	v_fma_f64 v[95:96], v[75:76], v[107:108], v[95:96]
	v_add_f64 v[81:82], v[81:82], v[103:104]
	s_waitcnt vmcnt(47) lgkmcnt(0)
	v_mul_f64 v[107:108], v[71:72], v[113:114]
	v_add_f64 v[3:4], v[3:4], v[97:98]
	s_clause 0x3
	buffer_load_dword v97, off, s[0:3], 0 offset:128
	buffer_load_dword v98, off, s[0:3], 0 offset:132
	;; [unrolled: 1-line block ×4, first 2 shown]
	s_waitcnt vmcnt(49)
	v_fma_f64 v[101:102], v[65:66], v[117:118], -v[101:102]
	ds_read_b128 v[73:76], v2 offset:784
	v_mul_f64 v[105:106], v[69:70], v[113:114]
	v_fma_f64 v[93:94], v[67:68], v[117:118], v[93:94]
	ds_read_b128 v[65:68], v2 offset:800
	v_add_f64 v[81:82], v[81:82], v[99:100]
	s_waitcnt vmcnt(44)
	v_fma_f64 v[107:108], v[69:70], v[115:116], -v[107:108]
	v_add_f64 v[3:4], v[3:4], v[95:96]
	s_waitcnt lgkmcnt(1)
	v_mul_f64 v[99:100], v[75:76], v[119:120]
	v_mul_f64 v[95:96], v[73:74], v[119:120]
	v_add_f64 v[81:82], v[81:82], v[101:102]
	v_fma_f64 v[101:102], v[71:72], v[115:116], v[105:106]
	v_add_f64 v[3:4], v[3:4], v[93:94]
	s_waitcnt vmcnt(43) lgkmcnt(0)
	v_mul_f64 v[105:106], v[67:68], v[121:122]
	s_waitcnt vmcnt(41)
	v_fma_f64 v[99:100], v[73:74], v[125:126], -v[99:100]
	ds_read_b128 v[69:72], v2 offset:816
	v_mul_f64 v[93:94], v[65:66], v[121:122]
	v_fma_f64 v[95:96], v[75:76], v[125:126], v[95:96]
	ds_read_b128 v[73:76], v2 offset:832
	v_add_f64 v[81:82], v[81:82], v[107:108]
	v_add_f64 v[3:4], v[3:4], v[101:102]
	s_waitcnt vmcnt(37) lgkmcnt(1)
	v_mul_f64 v[107:108], v[71:72], v[127:128]
	s_waitcnt vmcnt(36)
	v_fma_f64 v[105:106], v[65:66], v[123:124], -v[105:106]
	v_mul_f64 v[101:102], v[69:70], v[127:128]
	v_fma_f64 v[93:94], v[67:68], v[123:124], v[93:94]
	ds_read_b128 v[65:68], v2 offset:848
	v_add_f64 v[81:82], v[81:82], v[99:100]
	s_waitcnt vmcnt(35) lgkmcnt(1)
	v_mul_f64 v[99:100], v[75:76], v[129:130]
	v_add_f64 v[3:4], v[3:4], v[95:96]
	s_waitcnt vmcnt(33)
	v_fma_f64 v[107:108], v[69:70], v[133:134], -v[107:108]
	v_mul_f64 v[95:96], v[73:74], v[129:130]
	v_fma_f64 v[101:102], v[71:72], v[133:134], v[101:102]
	ds_read_b128 v[69:72], v2 offset:864
	v_add_f64 v[81:82], v[81:82], v[105:106]
	s_waitcnt vmcnt(29) lgkmcnt(1)
	v_mul_f64 v[105:106], v[67:68], v[137:138]
	v_add_f64 v[3:4], v[3:4], v[93:94]
	s_waitcnt vmcnt(28)
	v_fma_f64 v[99:100], v[73:74], v[131:132], -v[99:100]
	v_mul_f64 v[93:94], v[65:66], v[137:138]
	v_fma_f64 v[95:96], v[75:76], v[131:132], v[95:96]
	ds_read_b128 v[73:76], v2 offset:880
	v_add_f64 v[81:82], v[81:82], v[107:108]
	v_add_f64 v[3:4], v[3:4], v[101:102]
	s_waitcnt vmcnt(27) lgkmcnt(1)
	v_mul_f64 v[107:108], v[71:72], v[139:140]
	v_mul_f64 v[101:102], v[69:70], v[139:140]
	s_waitcnt vmcnt(25)
	v_fma_f64 v[105:106], v[65:66], v[79:80], -v[105:106]
	v_fma_f64 v[79:80], v[67:68], v[79:80], v[93:94]
	ds_read_b128 v[65:68], v2 offset:896
	s_waitcnt vmcnt(21) lgkmcnt(1)
	v_mul_f64 v[93:94], v[73:74], v[83:84]
	v_mul_f64 v[83:84], v[75:76], v[83:84]
	v_add_f64 v[81:82], v[81:82], v[99:100]
	v_add_f64 v[3:4], v[3:4], v[95:96]
	s_waitcnt vmcnt(20)
	v_fma_f64 v[95:96], v[69:70], v[141:142], -v[107:108]
	v_fma_f64 v[99:100], v[71:72], v[141:142], v[101:102]
	ds_read_b128 v[69:72], v2 offset:912
	v_add_f64 v[81:82], v[81:82], v[105:106]
	v_add_f64 v[3:4], v[3:4], v[79:80]
	s_waitcnt vmcnt(19) lgkmcnt(1)
	v_mul_f64 v[101:102], v[67:68], v[143:144]
	v_mul_f64 v[79:80], v[65:66], v[143:144]
	s_waitcnt vmcnt(17)
	v_fma_f64 v[83:84], v[73:74], v[77:78], -v[83:84]
	v_fma_f64 v[77:78], v[75:76], v[77:78], v[93:94]
	ds_read_b128 v[73:76], v2 offset:928
	v_add_f64 v[81:82], v[81:82], v[95:96]
	v_add_f64 v[3:4], v[3:4], v[99:100]
	s_waitcnt vmcnt(13) lgkmcnt(1)
	v_mul_f64 v[93:94], v[69:70], v[91:92]
	v_mul_f64 v[91:92], v[71:72], v[91:92]
	;; [unrolled: 9-line block ×3, first 2 shown]
	s_waitcnt vmcnt(9)
	v_fma_f64 v[69:70], v[69:70], v[89:90], -v[91:92]
	v_fma_f64 v[71:72], v[71:72], v[89:90], v[93:94]
	v_add_f64 v[81:82], v[81:82], v[95:96]
	v_add_f64 v[2:3], v[3:4], v[79:80]
	s_waitcnt vmcnt(7) lgkmcnt(0)
	v_mul_f64 v[79:80], v[65:66], v[85:86]
	v_mul_f64 v[85:86], v[67:68], v[85:86]
	s_waitcnt vmcnt(6)
	v_fma_f64 v[73:74], v[73:74], v[150:151], -v[83:84]
	v_fma_f64 v[75:76], v[75:76], v[150:151], v[77:78]
	v_add_f64 v[69:70], v[81:82], v[69:70]
	v_add_f64 v[2:3], v[2:3], v[71:72]
	s_waitcnt vmcnt(4)
	v_fma_f64 v[65:66], v[65:66], v[87:88], -v[85:86]
	v_fma_f64 v[67:68], v[67:68], v[87:88], v[79:80]
	v_add_f64 v[69:70], v[69:70], v[73:74]
	v_add_f64 v[2:3], v[2:3], v[75:76]
	;; [unrolled: 1-line block ×4, first 2 shown]
	s_waitcnt vmcnt(2)
	v_add_f64 v[65:66], v[97:98], -v[65:66]
	s_waitcnt vmcnt(0)
	v_add_f64 v[2:3], v[103:104], -v[2:3]
	buffer_store_dword v66, off, s[0:3], 0 offset:132
	buffer_store_dword v65, off, s[0:3], 0 offset:128
	;; [unrolled: 1-line block ×4, first 2 shown]
	v_cmpx_lt_u32_e32 6, v0
	s_cbranch_execz .LBB29_181
; %bb.180:
	v_mov_b32_e32 v2, s36
	s_clause 0x3
	buffer_load_dword v65, v2, s[0:3], 0 offen
	buffer_load_dword v66, v2, s[0:3], 0 offen offset:4
	buffer_load_dword v67, v2, s[0:3], 0 offen offset:8
	;; [unrolled: 1-line block ×3, first 2 shown]
	v_mov_b32_e32 v2, 0
	buffer_store_dword v2, off, s[0:3], 0 offset:112
	buffer_store_dword v2, off, s[0:3], 0 offset:116
	;; [unrolled: 1-line block ×4, first 2 shown]
	s_waitcnt vmcnt(0)
	ds_write_b128 v1, v[65:68]
.LBB29_181:
	s_or_b32 exec_lo, exec_lo, s4
	s_waitcnt lgkmcnt(0)
	s_waitcnt_vscnt null, 0x0
	s_barrier
	buffer_gl0_inv
	s_clause 0x37
	buffer_load_dword v3, off, s[0:3], 0 offset:136
	buffer_load_dword v4, off, s[0:3], 0 offset:140
	;; [unrolled: 1-line block ×56, first 2 shown]
	v_mov_b32_e32 v2, 0
	s_mov_b32 s4, exec_lo
	ds_read_b128 v[65:68], v2 offset:592
	s_clause 0x2
	buffer_load_dword v130, off, s[0:3], 0 offset:364
	buffer_load_dword v134, off, s[0:3], 0 offset:340
	buffer_load_dword v133, off, s[0:3], 0 offset:336
	ds_read_b128 v[69:72], v2 offset:608
	s_clause 0x4
	buffer_load_dword v138, off, s[0:3], 0 offset:380
	buffer_load_dword v139, off, s[0:3], 0 offset:392
	;; [unrolled: 1-line block ×5, first 2 shown]
	ds_read_b128 v[73:76], v2 offset:624
	s_waitcnt vmcnt(62) lgkmcnt(2)
	v_mul_f64 v[135:136], v[67:68], v[3:4]
	v_mul_f64 v[3:4], v[65:66], v[3:4]
	s_waitcnt vmcnt(60) lgkmcnt(1)
	v_mul_f64 v[142:143], v[71:72], v[77:78]
	v_mul_f64 v[77:78], v[69:70], v[77:78]
	s_waitcnt vmcnt(56) lgkmcnt(0)
	v_mul_f64 v[144:145], v[73:74], v[81:82]
	v_mul_f64 v[81:82], v[75:76], v[81:82]
	v_fma_f64 v[135:136], v[65:66], v[79:80], -v[135:136]
	v_fma_f64 v[3:4], v[67:68], v[79:80], v[3:4]
	s_clause 0x2
	buffer_load_dword v140, off, s[0:3], 0 offset:396
	buffer_load_dword v80, off, s[0:3], 0 offset:372
	;; [unrolled: 1-line block ×3, first 2 shown]
	s_waitcnt vmcnt(57)
	v_fma_f64 v[146:147], v[69:70], v[83:84], -v[142:143]
	ds_read_b128 v[65:68], v2 offset:640
	v_fma_f64 v[77:78], v[71:72], v[83:84], v[77:78]
	s_clause 0x4
	buffer_load_dword v84, off, s[0:3], 0 offset:412
	buffer_load_dword v143, off, s[0:3], 0 offset:424
	;; [unrolled: 1-line block ×5, first 2 shown]
	s_waitcnt vmcnt(56)
	v_fma_f64 v[81:82], v[73:74], v[91:92], -v[81:82]
	ds_read_b128 v[69:72], v2 offset:656
	v_fma_f64 v[91:92], v[75:76], v[91:92], v[144:145]
	v_add_f64 v[135:136], v[135:136], 0
	v_add_f64 v[3:4], v[3:4], 0
	s_waitcnt lgkmcnt(1)
	v_mul_f64 v[149:150], v[65:66], v[85:86]
	v_mul_f64 v[85:86], v[67:68], v[85:86]
	v_add_f64 v[135:136], v[135:136], v[146:147]
	v_add_f64 v[3:4], v[3:4], v[77:78]
	s_clause 0x2
	buffer_load_dword v144, off, s[0:3], 0 offset:428
	buffer_load_dword v78, off, s[0:3], 0 offset:404
	;; [unrolled: 1-line block ×3, first 2 shown]
	s_waitcnt vmcnt(58) lgkmcnt(0)
	v_mul_f64 v[145:146], v[69:70], v[87:88]
	v_mul_f64 v[87:88], v[71:72], v[87:88]
	s_waitcnt vmcnt(56)
	v_fma_f64 v[85:86], v[65:66], v[93:94], -v[85:86]
	ds_read_b128 v[73:76], v2 offset:672
	v_fma_f64 v[93:94], v[67:68], v[93:94], v[149:150]
	v_add_f64 v[81:82], v[135:136], v[81:82]
	v_add_f64 v[3:4], v[3:4], v[91:92]
	s_clause 0x4
	buffer_load_dword v92, off, s[0:3], 0 offset:444
	buffer_load_dword v135, off, s[0:3], 0 offset:456
	;; [unrolled: 1-line block ×5, first 2 shown]
	ds_read_b128 v[65:68], v2 offset:688
	s_waitcnt vmcnt(57) lgkmcnt(1)
	v_mul_f64 v[151:152], v[73:74], v[95:96]
	v_mul_f64 v[95:96], v[75:76], v[95:96]
	s_waitcnt vmcnt(56)
	v_fma_f64 v[87:88], v[69:70], v[89:90], -v[87:88]
	v_add_f64 v[81:82], v[81:82], v[85:86]
	v_fma_f64 v[85:86], v[71:72], v[89:90], v[145:146]
	v_add_f64 v[3:4], v[3:4], v[93:94]
	s_clause 0x2
	buffer_load_dword v136, off, s[0:3], 0 offset:460
	buffer_load_dword v90, off, s[0:3], 0 offset:436
	;; [unrolled: 1-line block ×3, first 2 shown]
	s_waitcnt vmcnt(58) lgkmcnt(0)
	v_mul_f64 v[93:94], v[65:66], v[97:98]
	v_mul_f64 v[97:98], v[67:68], v[97:98]
	s_waitcnt vmcnt(56)
	v_fma_f64 v[95:96], v[73:74], v[101:102], -v[95:96]
	ds_read_b128 v[69:72], v2 offset:704
	v_add_f64 v[81:82], v[81:82], v[87:88]
	v_fma_f64 v[87:88], v[75:76], v[101:102], v[151:152]
	v_add_f64 v[3:4], v[3:4], v[85:86]
	s_clause 0x4
	buffer_load_dword v86, off, s[0:3], 0 offset:476
	buffer_load_dword v101, off, s[0:3], 0 offset:488
	;; [unrolled: 1-line block ×5, first 2 shown]
	ds_read_b128 v[73:76], v2 offset:720
	s_waitcnt vmcnt(57) lgkmcnt(1)
	v_mul_f64 v[146:147], v[69:70], v[103:104]
	v_mul_f64 v[103:104], v[71:72], v[103:104]
	s_waitcnt vmcnt(56)
	v_fma_f64 v[97:98], v[65:66], v[99:100], -v[97:98]
	v_fma_f64 v[93:94], v[67:68], v[99:100], v[93:94]
	v_add_f64 v[81:82], v[81:82], v[95:96]
	v_add_f64 v[3:4], v[3:4], v[87:88]
	s_clause 0x2
	buffer_load_dword v102, off, s[0:3], 0 offset:492
	buffer_load_dword v88, off, s[0:3], 0 offset:468
	;; [unrolled: 1-line block ×3, first 2 shown]
	s_waitcnt vmcnt(58) lgkmcnt(0)
	v_mul_f64 v[99:100], v[75:76], v[105:106]
	ds_read_b128 v[65:68], v2 offset:736
	s_waitcnt vmcnt(56)
	v_fma_f64 v[103:104], v[69:70], v[109:110], -v[103:104]
	v_mul_f64 v[95:96], v[73:74], v[105:106]
	v_add_f64 v[81:82], v[81:82], v[97:98]
	v_fma_f64 v[97:98], v[71:72], v[109:110], v[146:147]
	v_add_f64 v[3:4], v[3:4], v[93:94]
	buffer_load_dword v146, off, s[0:3], 0 offset:484
	ds_read_b128 v[69:72], v2 offset:752
	s_waitcnt vmcnt(53) lgkmcnt(1)
	v_mul_f64 v[105:106], v[67:68], v[111:112]
	s_waitcnt vmcnt(52)
	v_fma_f64 v[99:100], v[73:74], v[107:108], -v[99:100]
	v_mul_f64 v[93:94], v[65:66], v[111:112]
	v_fma_f64 v[95:96], v[75:76], v[107:108], v[95:96]
	ds_read_b128 v[73:76], v2 offset:768
	v_add_f64 v[81:82], v[81:82], v[103:104]
	v_add_f64 v[3:4], v[3:4], v[97:98]
	s_waitcnt vmcnt(51) lgkmcnt(1)
	v_mul_f64 v[103:104], v[71:72], v[113:114]
	v_mul_f64 v[97:98], v[69:70], v[113:114]
	s_waitcnt vmcnt(49)
	v_fma_f64 v[105:106], v[65:66], v[117:118], -v[105:106]
	v_fma_f64 v[93:94], v[67:68], v[117:118], v[93:94]
	s_waitcnt vmcnt(45) lgkmcnt(0)
	v_mul_f64 v[109:110], v[75:76], v[119:120]
	v_mul_f64 v[107:108], v[73:74], v[119:120]
	v_add_f64 v[81:82], v[81:82], v[99:100]
	v_add_f64 v[3:4], v[3:4], v[95:96]
	s_clause 0x3
	buffer_load_dword v95, off, s[0:3], 0 offset:112
	buffer_load_dword v96, off, s[0:3], 0 offset:116
	;; [unrolled: 1-line block ×4, first 2 shown]
	s_waitcnt vmcnt(48)
	v_fma_f64 v[103:104], v[69:70], v[115:116], -v[103:104]
	ds_read_b128 v[65:68], v2 offset:784
	v_fma_f64 v[97:98], v[71:72], v[115:116], v[97:98]
	ds_read_b128 v[69:72], v2 offset:800
	s_waitcnt vmcnt(45)
	v_fma_f64 v[109:110], v[73:74], v[125:126], -v[109:110]
	v_add_f64 v[81:82], v[81:82], v[105:106]
	v_add_f64 v[3:4], v[3:4], v[93:94]
	s_waitcnt lgkmcnt(1)
	v_mul_f64 v[105:106], v[67:68], v[121:122]
	v_mul_f64 v[93:94], v[65:66], v[121:122]
	v_add_f64 v[81:82], v[81:82], v[103:104]
	v_fma_f64 v[103:104], v[75:76], v[125:126], v[107:108]
	v_add_f64 v[3:4], v[3:4], v[97:98]
	s_waitcnt vmcnt(41) lgkmcnt(0)
	v_mul_f64 v[107:108], v[71:72], v[127:128]
	s_waitcnt vmcnt(40)
	v_fma_f64 v[105:106], v[65:66], v[123:124], -v[105:106]
	ds_read_b128 v[73:76], v2 offset:816
	v_mul_f64 v[97:98], v[69:70], v[127:128]
	v_fma_f64 v[93:94], v[67:68], v[123:124], v[93:94]
	ds_read_b128 v[65:68], v2 offset:832
	v_add_f64 v[81:82], v[81:82], v[109:110]
	v_add_f64 v[3:4], v[3:4], v[103:104]
	s_waitcnt vmcnt(39) lgkmcnt(1)
	v_mul_f64 v[109:110], v[75:76], v[129:130]
	s_waitcnt vmcnt(37)
	v_fma_f64 v[107:108], v[69:70], v[133:134], -v[107:108]
	v_mul_f64 v[103:104], v[73:74], v[129:130]
	v_fma_f64 v[97:98], v[71:72], v[133:134], v[97:98]
	ds_read_b128 v[69:72], v2 offset:848
	v_add_f64 v[81:82], v[81:82], v[105:106]
	s_waitcnt vmcnt(33) lgkmcnt(1)
	v_mul_f64 v[105:106], v[67:68], v[137:138]
	v_add_f64 v[3:4], v[3:4], v[93:94]
	s_waitcnt vmcnt(32)
	v_fma_f64 v[109:110], v[73:74], v[131:132], -v[109:110]
	v_mul_f64 v[93:94], v[65:66], v[137:138]
	v_fma_f64 v[103:104], v[75:76], v[131:132], v[103:104]
	ds_read_b128 v[73:76], v2 offset:864
	v_add_f64 v[81:82], v[81:82], v[107:108]
	v_add_f64 v[3:4], v[3:4], v[97:98]
	s_waitcnt vmcnt(31) lgkmcnt(1)
	v_mul_f64 v[107:108], v[71:72], v[139:140]
	v_mul_f64 v[97:98], v[69:70], v[139:140]
	s_waitcnt vmcnt(29)
	v_fma_f64 v[105:106], v[65:66], v[79:80], -v[105:106]
	v_fma_f64 v[79:80], v[67:68], v[79:80], v[93:94]
	ds_read_b128 v[65:68], v2 offset:880
	s_waitcnt vmcnt(25) lgkmcnt(1)
	v_mul_f64 v[93:94], v[73:74], v[83:84]
	v_mul_f64 v[83:84], v[75:76], v[83:84]
	v_add_f64 v[81:82], v[81:82], v[109:110]
	v_add_f64 v[3:4], v[3:4], v[103:104]
	s_waitcnt vmcnt(24)
	v_fma_f64 v[103:104], v[69:70], v[141:142], -v[107:108]
	v_fma_f64 v[97:98], v[71:72], v[141:142], v[97:98]
	ds_read_b128 v[69:72], v2 offset:896
	v_add_f64 v[81:82], v[81:82], v[105:106]
	v_add_f64 v[3:4], v[3:4], v[79:80]
	s_waitcnt vmcnt(23) lgkmcnt(1)
	v_mul_f64 v[105:106], v[67:68], v[143:144]
	v_mul_f64 v[79:80], v[65:66], v[143:144]
	s_waitcnt vmcnt(21)
	v_fma_f64 v[83:84], v[73:74], v[77:78], -v[83:84]
	v_fma_f64 v[77:78], v[75:76], v[77:78], v[93:94]
	ds_read_b128 v[73:76], v2 offset:912
	v_add_f64 v[81:82], v[81:82], v[103:104]
	v_add_f64 v[3:4], v[3:4], v[97:98]
	s_waitcnt vmcnt(17) lgkmcnt(1)
	v_mul_f64 v[93:94], v[69:70], v[91:92]
	v_mul_f64 v[91:92], v[71:72], v[91:92]
	;; [unrolled: 9-line block ×4, first 2 shown]
	s_waitcnt vmcnt(8)
	v_fma_f64 v[73:74], v[73:74], v[150:151], -v[83:84]
	v_fma_f64 v[75:76], v[75:76], v[150:151], v[77:78]
	v_add_f64 v[81:82], v[81:82], v[91:92]
	v_add_f64 v[3:4], v[3:4], v[89:90]
	s_waitcnt vmcnt(7) lgkmcnt(0)
	v_mul_f64 v[83:84], v[71:72], v[101:102]
	v_mul_f64 v[77:78], v[69:70], v[101:102]
	s_waitcnt vmcnt(5)
	v_fma_f64 v[65:66], v[65:66], v[87:88], -v[85:86]
	v_fma_f64 v[67:68], v[67:68], v[87:88], v[79:80]
	v_add_f64 v[73:74], v[81:82], v[73:74]
	v_add_f64 v[3:4], v[3:4], v[75:76]
	s_waitcnt vmcnt(4)
	v_fma_f64 v[69:70], v[69:70], v[145:146], -v[83:84]
	v_fma_f64 v[71:72], v[71:72], v[145:146], v[77:78]
	v_add_f64 v[65:66], v[73:74], v[65:66]
	v_add_f64 v[3:4], v[3:4], v[67:68]
	;; [unrolled: 1-line block ×4, first 2 shown]
	s_waitcnt vmcnt(2)
	v_add_f64 v[65:66], v[95:96], -v[65:66]
	s_waitcnt vmcnt(0)
	v_add_f64 v[3:4], v[99:100], -v[3:4]
	buffer_store_dword v66, off, s[0:3], 0 offset:116
	buffer_store_dword v65, off, s[0:3], 0 offset:112
	;; [unrolled: 1-line block ×4, first 2 shown]
	v_cmpx_lt_u32_e32 5, v0
	s_cbranch_execz .LBB29_183
; %bb.182:
	v_mov_b32_e32 v3, s38
	s_clause 0x3
	buffer_load_dword v65, v3, s[0:3], 0 offen
	buffer_load_dword v66, v3, s[0:3], 0 offen offset:4
	buffer_load_dword v67, v3, s[0:3], 0 offen offset:8
	;; [unrolled: 1-line block ×3, first 2 shown]
	buffer_store_dword v2, off, s[0:3], 0 offset:96
	buffer_store_dword v2, off, s[0:3], 0 offset:100
	;; [unrolled: 1-line block ×4, first 2 shown]
	s_waitcnt vmcnt(0)
	ds_write_b128 v1, v[65:68]
.LBB29_183:
	s_or_b32 exec_lo, exec_lo, s4
	s_waitcnt lgkmcnt(0)
	s_waitcnt_vscnt null, 0x0
	s_barrier
	buffer_gl0_inv
	s_clause 0x37
	buffer_load_dword v3, off, s[0:3], 0 offset:120
	buffer_load_dword v4, off, s[0:3], 0 offset:124
	;; [unrolled: 1-line block ×56, first 2 shown]
	ds_read_b128 v[65:68], v2 offset:576
	s_clause 0x2
	buffer_load_dword v130, off, s[0:3], 0 offset:348
	buffer_load_dword v134, off, s[0:3], 0 offset:324
	;; [unrolled: 1-line block ×3, first 2 shown]
	ds_read_b128 v[69:72], v2 offset:592
	s_clause 0x4
	buffer_load_dword v138, off, s[0:3], 0 offset:364
	buffer_load_dword v139, off, s[0:3], 0 offset:376
	;; [unrolled: 1-line block ×5, first 2 shown]
	ds_read_b128 v[73:76], v2 offset:608
	s_mov_b32 s4, exec_lo
	s_waitcnt vmcnt(62) lgkmcnt(2)
	v_mul_f64 v[135:136], v[67:68], v[3:4]
	v_mul_f64 v[3:4], v[65:66], v[3:4]
	s_waitcnt vmcnt(60) lgkmcnt(1)
	v_mul_f64 v[142:143], v[71:72], v[77:78]
	v_mul_f64 v[77:78], v[69:70], v[77:78]
	;; [unrolled: 3-line block ×3, first 2 shown]
	v_fma_f64 v[135:136], v[65:66], v[79:80], -v[135:136]
	v_fma_f64 v[3:4], v[67:68], v[79:80], v[3:4]
	s_clause 0x2
	buffer_load_dword v140, off, s[0:3], 0 offset:380
	buffer_load_dword v80, off, s[0:3], 0 offset:356
	;; [unrolled: 1-line block ×3, first 2 shown]
	s_waitcnt vmcnt(57)
	v_fma_f64 v[146:147], v[69:70], v[83:84], -v[142:143]
	ds_read_b128 v[65:68], v2 offset:624
	v_fma_f64 v[77:78], v[71:72], v[83:84], v[77:78]
	s_clause 0x4
	buffer_load_dword v84, off, s[0:3], 0 offset:396
	buffer_load_dword v143, off, s[0:3], 0 offset:408
	;; [unrolled: 1-line block ×5, first 2 shown]
	s_waitcnt vmcnt(56)
	v_fma_f64 v[81:82], v[73:74], v[91:92], -v[81:82]
	ds_read_b128 v[69:72], v2 offset:640
	v_fma_f64 v[91:92], v[75:76], v[91:92], v[144:145]
	v_add_f64 v[135:136], v[135:136], 0
	v_add_f64 v[3:4], v[3:4], 0
	s_waitcnt lgkmcnt(1)
	v_mul_f64 v[149:150], v[65:66], v[85:86]
	v_mul_f64 v[85:86], v[67:68], v[85:86]
	v_add_f64 v[135:136], v[135:136], v[146:147]
	v_add_f64 v[3:4], v[3:4], v[77:78]
	s_clause 0x2
	buffer_load_dword v144, off, s[0:3], 0 offset:412
	buffer_load_dword v78, off, s[0:3], 0 offset:388
	;; [unrolled: 1-line block ×3, first 2 shown]
	s_waitcnt vmcnt(58) lgkmcnt(0)
	v_mul_f64 v[145:146], v[69:70], v[87:88]
	v_mul_f64 v[87:88], v[71:72], v[87:88]
	s_waitcnt vmcnt(56)
	v_fma_f64 v[85:86], v[65:66], v[93:94], -v[85:86]
	ds_read_b128 v[73:76], v2 offset:656
	v_fma_f64 v[93:94], v[67:68], v[93:94], v[149:150]
	v_add_f64 v[81:82], v[135:136], v[81:82]
	v_add_f64 v[3:4], v[3:4], v[91:92]
	s_clause 0x4
	buffer_load_dword v92, off, s[0:3], 0 offset:428
	buffer_load_dword v135, off, s[0:3], 0 offset:440
	;; [unrolled: 1-line block ×5, first 2 shown]
	ds_read_b128 v[65:68], v2 offset:672
	s_waitcnt vmcnt(57) lgkmcnt(1)
	v_mul_f64 v[151:152], v[73:74], v[95:96]
	v_mul_f64 v[95:96], v[75:76], v[95:96]
	s_waitcnt vmcnt(56)
	v_fma_f64 v[87:88], v[69:70], v[89:90], -v[87:88]
	v_add_f64 v[81:82], v[81:82], v[85:86]
	v_fma_f64 v[85:86], v[71:72], v[89:90], v[145:146]
	v_add_f64 v[3:4], v[3:4], v[93:94]
	s_clause 0x2
	buffer_load_dword v136, off, s[0:3], 0 offset:444
	buffer_load_dword v90, off, s[0:3], 0 offset:420
	;; [unrolled: 1-line block ×3, first 2 shown]
	s_waitcnt vmcnt(58) lgkmcnt(0)
	v_mul_f64 v[93:94], v[65:66], v[97:98]
	v_mul_f64 v[97:98], v[67:68], v[97:98]
	s_waitcnt vmcnt(56)
	v_fma_f64 v[95:96], v[73:74], v[101:102], -v[95:96]
	ds_read_b128 v[69:72], v2 offset:688
	v_add_f64 v[81:82], v[81:82], v[87:88]
	v_fma_f64 v[87:88], v[75:76], v[101:102], v[151:152]
	v_add_f64 v[3:4], v[3:4], v[85:86]
	s_clause 0x4
	buffer_load_dword v86, off, s[0:3], 0 offset:460
	buffer_load_dword v101, off, s[0:3], 0 offset:472
	;; [unrolled: 1-line block ×5, first 2 shown]
	ds_read_b128 v[73:76], v2 offset:704
	s_waitcnt vmcnt(57) lgkmcnt(1)
	v_mul_f64 v[146:147], v[69:70], v[103:104]
	v_mul_f64 v[103:104], v[71:72], v[103:104]
	s_waitcnt vmcnt(56)
	v_fma_f64 v[97:98], v[65:66], v[99:100], -v[97:98]
	v_fma_f64 v[93:94], v[67:68], v[99:100], v[93:94]
	v_add_f64 v[81:82], v[81:82], v[95:96]
	v_add_f64 v[3:4], v[3:4], v[87:88]
	s_clause 0x2
	buffer_load_dword v102, off, s[0:3], 0 offset:476
	buffer_load_dword v88, off, s[0:3], 0 offset:452
	;; [unrolled: 1-line block ×3, first 2 shown]
	s_waitcnt vmcnt(58) lgkmcnt(0)
	v_mul_f64 v[99:100], v[75:76], v[105:106]
	ds_read_b128 v[65:68], v2 offset:720
	s_waitcnt vmcnt(56)
	v_fma_f64 v[103:104], v[69:70], v[109:110], -v[103:104]
	v_mul_f64 v[95:96], v[73:74], v[105:106]
	v_add_f64 v[81:82], v[81:82], v[97:98]
	v_fma_f64 v[97:98], v[71:72], v[109:110], v[146:147]
	v_add_f64 v[3:4], v[3:4], v[93:94]
	s_clause 0x2
	buffer_load_dword v94, off, s[0:3], 0 offset:492
	buffer_load_dword v93, off, s[0:3], 0 offset:488
	;; [unrolled: 1-line block ×3, first 2 shown]
	s_waitcnt vmcnt(55) lgkmcnt(0)
	v_mul_f64 v[109:110], v[67:68], v[111:112]
	s_waitcnt vmcnt(54)
	v_fma_f64 v[99:100], v[73:74], v[107:108], -v[99:100]
	ds_read_b128 v[69:72], v2 offset:736
	v_mul_f64 v[105:106], v[65:66], v[111:112]
	v_fma_f64 v[95:96], v[75:76], v[107:108], v[95:96]
	v_add_f64 v[81:82], v[81:82], v[103:104]
	v_add_f64 v[3:4], v[3:4], v[97:98]
	s_clause 0x1
	buffer_load_dword v98, off, s[0:3], 0 offset:484
	buffer_load_dword v97, off, s[0:3], 0 offset:480
	s_waitcnt vmcnt(55) lgkmcnt(0)
	v_mul_f64 v[107:108], v[71:72], v[113:114]
	s_waitcnt vmcnt(53)
	v_fma_f64 v[109:110], v[65:66], v[117:118], -v[109:110]
	ds_read_b128 v[73:76], v2 offset:752
	v_mul_f64 v[103:104], v[69:70], v[113:114]
	v_add_f64 v[81:82], v[81:82], v[99:100]
	v_fma_f64 v[99:100], v[67:68], v[117:118], v[105:106]
	v_add_f64 v[3:4], v[3:4], v[95:96]
	ds_read_b128 v[65:68], v2 offset:768
	s_waitcnt vmcnt(49) lgkmcnt(1)
	v_mul_f64 v[105:106], v[75:76], v[119:120]
	s_waitcnt vmcnt(48)
	v_fma_f64 v[107:108], v[69:70], v[115:116], -v[107:108]
	v_mul_f64 v[95:96], v[73:74], v[119:120]
	v_fma_f64 v[103:104], v[71:72], v[115:116], v[103:104]
	v_add_f64 v[81:82], v[81:82], v[109:110]
	s_waitcnt vmcnt(47) lgkmcnt(0)
	v_mul_f64 v[113:114], v[67:68], v[121:122]
	v_add_f64 v[3:4], v[3:4], v[99:100]
	s_clause 0x3
	buffer_load_dword v99, off, s[0:3], 0 offset:96
	buffer_load_dword v100, off, s[0:3], 0 offset:100
	;; [unrolled: 1-line block ×4, first 2 shown]
	s_waitcnt vmcnt(49)
	v_fma_f64 v[105:106], v[73:74], v[125:126], -v[105:106]
	ds_read_b128 v[69:72], v2 offset:784
	v_mul_f64 v[111:112], v[65:66], v[121:122]
	v_fma_f64 v[95:96], v[75:76], v[125:126], v[95:96]
	ds_read_b128 v[73:76], v2 offset:800
	v_add_f64 v[81:82], v[81:82], v[107:108]
	s_waitcnt vmcnt(44)
	v_fma_f64 v[113:114], v[65:66], v[123:124], -v[113:114]
	v_add_f64 v[3:4], v[3:4], v[103:104]
	s_waitcnt lgkmcnt(1)
	v_mul_f64 v[107:108], v[71:72], v[127:128]
	v_mul_f64 v[103:104], v[69:70], v[127:128]
	v_add_f64 v[81:82], v[81:82], v[105:106]
	v_fma_f64 v[105:106], v[67:68], v[123:124], v[111:112]
	v_add_f64 v[3:4], v[3:4], v[95:96]
	s_waitcnt vmcnt(43) lgkmcnt(0)
	v_mul_f64 v[111:112], v[75:76], v[129:130]
	s_waitcnt vmcnt(41)
	v_fma_f64 v[107:108], v[69:70], v[133:134], -v[107:108]
	ds_read_b128 v[65:68], v2 offset:816
	v_mul_f64 v[95:96], v[73:74], v[129:130]
	v_fma_f64 v[103:104], v[71:72], v[133:134], v[103:104]
	ds_read_b128 v[69:72], v2 offset:832
	v_add_f64 v[81:82], v[81:82], v[113:114]
	v_add_f64 v[3:4], v[3:4], v[105:106]
	s_waitcnt vmcnt(37) lgkmcnt(1)
	v_mul_f64 v[113:114], v[67:68], v[137:138]
	s_waitcnt vmcnt(36)
	v_fma_f64 v[111:112], v[73:74], v[131:132], -v[111:112]
	v_mul_f64 v[105:106], v[65:66], v[137:138]
	v_fma_f64 v[95:96], v[75:76], v[131:132], v[95:96]
	ds_read_b128 v[73:76], v2 offset:848
	v_add_f64 v[81:82], v[81:82], v[107:108]
	v_add_f64 v[3:4], v[3:4], v[103:104]
	s_waitcnt vmcnt(35) lgkmcnt(1)
	v_mul_f64 v[107:108], v[71:72], v[139:140]
	v_mul_f64 v[103:104], v[69:70], v[139:140]
	s_waitcnt vmcnt(33)
	v_fma_f64 v[113:114], v[65:66], v[79:80], -v[113:114]
	v_fma_f64 v[79:80], v[67:68], v[79:80], v[105:106]
	ds_read_b128 v[65:68], v2 offset:864
	v_add_f64 v[81:82], v[81:82], v[111:112]
	v_add_f64 v[3:4], v[3:4], v[95:96]
	s_waitcnt vmcnt(29) lgkmcnt(1)
	v_mul_f64 v[95:96], v[73:74], v[83:84]
	v_mul_f64 v[83:84], v[75:76], v[83:84]
	s_waitcnt vmcnt(28)
	v_fma_f64 v[105:106], v[69:70], v[141:142], -v[107:108]
	;; [unrolled: 9-line block ×7, first 2 shown]
	v_fma_f64 v[67:68], v[67:68], v[87:88], v[79:80]
	v_add_f64 v[81:82], v[81:82], v[83:84]
	v_add_f64 v[2:3], v[3:4], v[77:78]
	s_waitcnt vmcnt(7) lgkmcnt(0)
	v_mul_f64 v[79:80], v[75:76], v[93:94]
	s_waitcnt vmcnt(6)
	v_fma_f64 v[69:70], v[69:70], v[145:146], -v[91:92]
	v_mul_f64 v[77:78], v[73:74], v[93:94]
	v_fma_f64 v[71:72], v[71:72], v[145:146], v[89:90]
	v_add_f64 v[65:66], v[81:82], v[65:66]
	v_add_f64 v[2:3], v[2:3], v[67:68]
	s_waitcnt vmcnt(4)
	v_fma_f64 v[67:68], v[73:74], v[97:98], -v[79:80]
	v_add_f64 v[65:66], v[65:66], v[69:70]
	v_fma_f64 v[69:70], v[75:76], v[97:98], v[77:78]
	v_add_f64 v[2:3], v[2:3], v[71:72]
	v_add_f64 v[65:66], v[65:66], v[67:68]
	;; [unrolled: 1-line block ×3, first 2 shown]
	s_waitcnt vmcnt(2)
	v_add_f64 v[65:66], v[99:100], -v[65:66]
	s_waitcnt vmcnt(0)
	v_add_f64 v[2:3], v[109:110], -v[2:3]
	buffer_store_dword v66, off, s[0:3], 0 offset:100
	buffer_store_dword v65, off, s[0:3], 0 offset:96
	;; [unrolled: 1-line block ×4, first 2 shown]
	v_cmpx_lt_u32_e32 4, v0
	s_cbranch_execz .LBB29_185
; %bb.184:
	v_mov_b32_e32 v2, s39
	s_clause 0x3
	buffer_load_dword v65, v2, s[0:3], 0 offen
	buffer_load_dword v66, v2, s[0:3], 0 offen offset:4
	buffer_load_dword v67, v2, s[0:3], 0 offen offset:8
	;; [unrolled: 1-line block ×3, first 2 shown]
	v_mov_b32_e32 v2, 0
	buffer_store_dword v2, off, s[0:3], 0 offset:80
	buffer_store_dword v2, off, s[0:3], 0 offset:84
	;; [unrolled: 1-line block ×4, first 2 shown]
	s_waitcnt vmcnt(0)
	ds_write_b128 v1, v[65:68]
.LBB29_185:
	s_or_b32 exec_lo, exec_lo, s4
	s_waitcnt lgkmcnt(0)
	s_waitcnt_vscnt null, 0x0
	s_barrier
	buffer_gl0_inv
	s_clause 0x37
	buffer_load_dword v3, off, s[0:3], 0 offset:104
	buffer_load_dword v4, off, s[0:3], 0 offset:108
	;; [unrolled: 1-line block ×56, first 2 shown]
	v_mov_b32_e32 v2, 0
	s_mov_b32 s4, exec_lo
	ds_read_b128 v[65:68], v2 offset:560
	s_clause 0x2
	buffer_load_dword v130, off, s[0:3], 0 offset:332
	buffer_load_dword v134, off, s[0:3], 0 offset:308
	buffer_load_dword v133, off, s[0:3], 0 offset:304
	ds_read_b128 v[69:72], v2 offset:576
	s_clause 0x4
	buffer_load_dword v138, off, s[0:3], 0 offset:348
	buffer_load_dword v139, off, s[0:3], 0 offset:360
	;; [unrolled: 1-line block ×5, first 2 shown]
	ds_read_b128 v[73:76], v2 offset:592
	s_waitcnt vmcnt(62) lgkmcnt(2)
	v_mul_f64 v[135:136], v[67:68], v[3:4]
	v_mul_f64 v[3:4], v[65:66], v[3:4]
	s_waitcnt vmcnt(60) lgkmcnt(1)
	v_mul_f64 v[142:143], v[71:72], v[77:78]
	v_mul_f64 v[77:78], v[69:70], v[77:78]
	;; [unrolled: 3-line block ×3, first 2 shown]
	v_fma_f64 v[135:136], v[65:66], v[79:80], -v[135:136]
	v_fma_f64 v[3:4], v[67:68], v[79:80], v[3:4]
	s_clause 0x2
	buffer_load_dword v140, off, s[0:3], 0 offset:364
	buffer_load_dword v80, off, s[0:3], 0 offset:340
	;; [unrolled: 1-line block ×3, first 2 shown]
	s_waitcnt vmcnt(57)
	v_fma_f64 v[146:147], v[69:70], v[83:84], -v[142:143]
	ds_read_b128 v[65:68], v2 offset:608
	v_fma_f64 v[77:78], v[71:72], v[83:84], v[77:78]
	s_clause 0x4
	buffer_load_dword v84, off, s[0:3], 0 offset:380
	buffer_load_dword v143, off, s[0:3], 0 offset:392
	;; [unrolled: 1-line block ×5, first 2 shown]
	s_waitcnt vmcnt(56)
	v_fma_f64 v[81:82], v[73:74], v[91:92], -v[81:82]
	ds_read_b128 v[69:72], v2 offset:624
	v_fma_f64 v[91:92], v[75:76], v[91:92], v[144:145]
	v_add_f64 v[135:136], v[135:136], 0
	v_add_f64 v[3:4], v[3:4], 0
	s_waitcnt lgkmcnt(1)
	v_mul_f64 v[149:150], v[65:66], v[85:86]
	v_mul_f64 v[85:86], v[67:68], v[85:86]
	v_add_f64 v[135:136], v[135:136], v[146:147]
	v_add_f64 v[3:4], v[3:4], v[77:78]
	s_clause 0x2
	buffer_load_dword v144, off, s[0:3], 0 offset:396
	buffer_load_dword v78, off, s[0:3], 0 offset:372
	;; [unrolled: 1-line block ×3, first 2 shown]
	s_waitcnt vmcnt(58) lgkmcnt(0)
	v_mul_f64 v[145:146], v[69:70], v[87:88]
	v_mul_f64 v[87:88], v[71:72], v[87:88]
	s_waitcnt vmcnt(56)
	v_fma_f64 v[85:86], v[65:66], v[93:94], -v[85:86]
	ds_read_b128 v[73:76], v2 offset:640
	v_fma_f64 v[93:94], v[67:68], v[93:94], v[149:150]
	v_add_f64 v[81:82], v[135:136], v[81:82]
	v_add_f64 v[3:4], v[3:4], v[91:92]
	s_clause 0x4
	buffer_load_dword v92, off, s[0:3], 0 offset:412
	buffer_load_dword v135, off, s[0:3], 0 offset:424
	;; [unrolled: 1-line block ×5, first 2 shown]
	ds_read_b128 v[65:68], v2 offset:656
	s_waitcnt vmcnt(57) lgkmcnt(1)
	v_mul_f64 v[151:152], v[73:74], v[95:96]
	v_mul_f64 v[95:96], v[75:76], v[95:96]
	s_waitcnt vmcnt(56)
	v_fma_f64 v[87:88], v[69:70], v[89:90], -v[87:88]
	v_add_f64 v[81:82], v[81:82], v[85:86]
	v_fma_f64 v[85:86], v[71:72], v[89:90], v[145:146]
	v_add_f64 v[3:4], v[3:4], v[93:94]
	s_clause 0x2
	buffer_load_dword v136, off, s[0:3], 0 offset:428
	buffer_load_dword v90, off, s[0:3], 0 offset:404
	;; [unrolled: 1-line block ×3, first 2 shown]
	s_waitcnt vmcnt(58) lgkmcnt(0)
	v_mul_f64 v[93:94], v[65:66], v[97:98]
	v_mul_f64 v[97:98], v[67:68], v[97:98]
	s_waitcnt vmcnt(56)
	v_fma_f64 v[95:96], v[73:74], v[101:102], -v[95:96]
	ds_read_b128 v[69:72], v2 offset:672
	v_add_f64 v[81:82], v[81:82], v[87:88]
	v_fma_f64 v[87:88], v[75:76], v[101:102], v[151:152]
	v_add_f64 v[3:4], v[3:4], v[85:86]
	s_clause 0x4
	buffer_load_dword v86, off, s[0:3], 0 offset:444
	buffer_load_dword v101, off, s[0:3], 0 offset:456
	;; [unrolled: 1-line block ×5, first 2 shown]
	ds_read_b128 v[73:76], v2 offset:688
	s_waitcnt vmcnt(57) lgkmcnt(1)
	v_mul_f64 v[146:147], v[69:70], v[103:104]
	v_mul_f64 v[103:104], v[71:72], v[103:104]
	s_waitcnt vmcnt(56)
	v_fma_f64 v[97:98], v[65:66], v[99:100], -v[97:98]
	v_fma_f64 v[93:94], v[67:68], v[99:100], v[93:94]
	v_add_f64 v[81:82], v[81:82], v[95:96]
	v_add_f64 v[3:4], v[3:4], v[87:88]
	s_clause 0x2
	buffer_load_dword v102, off, s[0:3], 0 offset:460
	buffer_load_dword v88, off, s[0:3], 0 offset:436
	;; [unrolled: 1-line block ×3, first 2 shown]
	s_waitcnt vmcnt(58) lgkmcnt(0)
	v_mul_f64 v[99:100], v[75:76], v[105:106]
	ds_read_b128 v[65:68], v2 offset:704
	s_waitcnt vmcnt(56)
	v_fma_f64 v[103:104], v[69:70], v[109:110], -v[103:104]
	v_mul_f64 v[95:96], v[73:74], v[105:106]
	v_add_f64 v[81:82], v[81:82], v[97:98]
	v_fma_f64 v[97:98], v[71:72], v[109:110], v[146:147]
	v_add_f64 v[3:4], v[3:4], v[93:94]
	s_clause 0x4
	buffer_load_dword v94, off, s[0:3], 0 offset:476
	buffer_load_dword v105, off, s[0:3], 0 offset:488
	;; [unrolled: 1-line block ×5, first 2 shown]
	s_waitcnt vmcnt(57) lgkmcnt(0)
	v_mul_f64 v[152:153], v[65:66], v[111:112]
	v_mul_f64 v[110:111], v[67:68], v[111:112]
	s_waitcnt vmcnt(56)
	v_fma_f64 v[99:100], v[73:74], v[107:108], -v[99:100]
	ds_read_b128 v[69:72], v2 offset:720
	v_fma_f64 v[95:96], v[75:76], v[107:108], v[95:96]
	v_add_f64 v[81:82], v[81:82], v[103:104]
	v_add_f64 v[3:4], v[3:4], v[97:98]
	s_clause 0x2
	buffer_load_dword v106, off, s[0:3], 0 offset:492
	buffer_load_dword v98, off, s[0:3], 0 offset:468
	buffer_load_dword v97, off, s[0:3], 0 offset:464
	ds_read_b128 v[73:76], v2 offset:736
	s_waitcnt vmcnt(58) lgkmcnt(1)
	v_mul_f64 v[107:108], v[71:72], v[113:114]
	s_waitcnt vmcnt(56)
	v_fma_f64 v[111:112], v[65:66], v[117:118], -v[110:111]
	v_mul_f64 v[103:104], v[69:70], v[113:114]
	buffer_load_dword v110, off, s[0:3], 0 offset:484
	v_add_f64 v[81:82], v[81:82], v[99:100]
	v_fma_f64 v[99:100], v[67:68], v[117:118], v[152:153]
	v_add_f64 v[3:4], v[3:4], v[95:96]
	ds_read_b128 v[65:68], v2 offset:752
	s_waitcnt vmcnt(53) lgkmcnt(1)
	v_mul_f64 v[113:114], v[75:76], v[119:120]
	s_waitcnt vmcnt(52)
	v_fma_f64 v[107:108], v[69:70], v[115:116], -v[107:108]
	v_mul_f64 v[95:96], v[73:74], v[119:120]
	v_fma_f64 v[103:104], v[71:72], v[115:116], v[103:104]
	ds_read_b128 v[69:72], v2 offset:768
	v_add_f64 v[81:82], v[81:82], v[111:112]
	s_waitcnt vmcnt(51) lgkmcnt(1)
	v_mul_f64 v[111:112], v[67:68], v[121:122]
	v_add_f64 v[3:4], v[3:4], v[99:100]
	v_mul_f64 v[99:100], v[65:66], v[121:122]
	s_waitcnt vmcnt(49)
	v_fma_f64 v[113:114], v[73:74], v[125:126], -v[113:114]
	v_fma_f64 v[95:96], v[75:76], v[125:126], v[95:96]
	s_waitcnt vmcnt(45) lgkmcnt(0)
	v_mul_f64 v[117:118], v[71:72], v[127:128]
	v_mul_f64 v[115:116], v[69:70], v[127:128]
	v_add_f64 v[81:82], v[81:82], v[107:108]
	s_waitcnt vmcnt(44)
	v_fma_f64 v[111:112], v[65:66], v[123:124], -v[111:112]
	v_add_f64 v[3:4], v[3:4], v[103:104]
	s_clause 0x3
	buffer_load_dword v103, off, s[0:3], 0 offset:80
	buffer_load_dword v104, off, s[0:3], 0 offset:84
	;; [unrolled: 1-line block ×4, first 2 shown]
	ds_read_b128 v[73:76], v2 offset:784
	v_fma_f64 v[99:100], v[67:68], v[123:124], v[99:100]
	ds_read_b128 v[65:68], v2 offset:800
	s_waitcnt vmcnt(45)
	v_fma_f64 v[117:118], v[69:70], v[133:134], -v[117:118]
	v_add_f64 v[81:82], v[81:82], v[113:114]
	v_add_f64 v[3:4], v[3:4], v[95:96]
	s_waitcnt lgkmcnt(1)
	v_mul_f64 v[113:114], v[75:76], v[129:130]
	v_mul_f64 v[95:96], v[73:74], v[129:130]
	v_add_f64 v[81:82], v[81:82], v[111:112]
	v_fma_f64 v[111:112], v[71:72], v[133:134], v[115:116]
	v_add_f64 v[3:4], v[3:4], v[99:100]
	s_waitcnt vmcnt(41) lgkmcnt(0)
	v_mul_f64 v[115:116], v[67:68], v[137:138]
	s_waitcnt vmcnt(40)
	v_fma_f64 v[113:114], v[73:74], v[131:132], -v[113:114]
	ds_read_b128 v[69:72], v2 offset:816
	v_mul_f64 v[99:100], v[65:66], v[137:138]
	v_fma_f64 v[95:96], v[75:76], v[131:132], v[95:96]
	ds_read_b128 v[73:76], v2 offset:832
	v_add_f64 v[81:82], v[81:82], v[117:118]
	v_add_f64 v[3:4], v[3:4], v[111:112]
	s_waitcnt vmcnt(39) lgkmcnt(1)
	v_mul_f64 v[117:118], v[71:72], v[139:140]
	v_mul_f64 v[111:112], v[69:70], v[139:140]
	s_waitcnt vmcnt(37)
	v_fma_f64 v[115:116], v[65:66], v[79:80], -v[115:116]
	v_fma_f64 v[79:80], v[67:68], v[79:80], v[99:100]
	ds_read_b128 v[65:68], v2 offset:848
	v_add_f64 v[81:82], v[81:82], v[113:114]
	v_add_f64 v[3:4], v[3:4], v[95:96]
	s_waitcnt vmcnt(33) lgkmcnt(1)
	v_mul_f64 v[95:96], v[73:74], v[83:84]
	v_mul_f64 v[83:84], v[75:76], v[83:84]
	s_waitcnt vmcnt(32)
	v_fma_f64 v[99:100], v[69:70], v[141:142], -v[117:118]
	;; [unrolled: 9-line block ×7, first 2 shown]
	v_fma_f64 v[79:80], v[67:68], v[87:88], v[79:80]
	ds_read_b128 v[65:68], v2 offset:944
	v_add_f64 v[81:82], v[81:82], v[83:84]
	v_add_f64 v[3:4], v[3:4], v[77:78]
	s_waitcnt vmcnt(9) lgkmcnt(1)
	v_mul_f64 v[83:84], v[75:76], v[93:94]
	s_waitcnt vmcnt(8)
	v_fma_f64 v[69:70], v[69:70], v[145:146], -v[91:92]
	v_mul_f64 v[77:78], v[73:74], v[93:94]
	v_fma_f64 v[71:72], v[71:72], v[145:146], v[89:90]
	v_add_f64 v[81:82], v[81:82], v[85:86]
	v_add_f64 v[3:4], v[3:4], v[79:80]
	s_waitcnt vmcnt(7) lgkmcnt(0)
	v_mul_f64 v[85:86], v[67:68], v[105:106]
	v_mul_f64 v[79:80], v[65:66], v[105:106]
	s_waitcnt vmcnt(5)
	v_fma_f64 v[73:74], v[73:74], v[97:98], -v[83:84]
	v_fma_f64 v[75:76], v[75:76], v[97:98], v[77:78]
	v_add_f64 v[69:70], v[81:82], v[69:70]
	v_add_f64 v[3:4], v[3:4], v[71:72]
	s_waitcnt vmcnt(4)
	v_fma_f64 v[65:66], v[65:66], v[109:110], -v[85:86]
	v_fma_f64 v[67:68], v[67:68], v[109:110], v[79:80]
	v_add_f64 v[69:70], v[69:70], v[73:74]
	v_add_f64 v[3:4], v[3:4], v[75:76]
	;; [unrolled: 1-line block ×4, first 2 shown]
	s_waitcnt vmcnt(2)
	v_add_f64 v[65:66], v[103:104], -v[65:66]
	s_waitcnt vmcnt(0)
	v_add_f64 v[3:4], v[107:108], -v[3:4]
	buffer_store_dword v66, off, s[0:3], 0 offset:84
	buffer_store_dword v65, off, s[0:3], 0 offset:80
	;; [unrolled: 1-line block ×4, first 2 shown]
	v_cmpx_lt_u32_e32 3, v0
	s_cbranch_execz .LBB29_187
; %bb.186:
	v_mov_b32_e32 v3, s40
	s_clause 0x3
	buffer_load_dword v65, v3, s[0:3], 0 offen
	buffer_load_dword v66, v3, s[0:3], 0 offen offset:4
	buffer_load_dword v67, v3, s[0:3], 0 offen offset:8
	;; [unrolled: 1-line block ×3, first 2 shown]
	buffer_store_dword v2, off, s[0:3], 0 offset:64
	buffer_store_dword v2, off, s[0:3], 0 offset:68
	;; [unrolled: 1-line block ×4, first 2 shown]
	s_waitcnt vmcnt(0)
	ds_write_b128 v1, v[65:68]
.LBB29_187:
	s_or_b32 exec_lo, exec_lo, s4
	s_waitcnt lgkmcnt(0)
	s_waitcnt_vscnt null, 0x0
	s_barrier
	buffer_gl0_inv
	s_clause 0x37
	buffer_load_dword v3, off, s[0:3], 0 offset:88
	buffer_load_dword v4, off, s[0:3], 0 offset:92
	;; [unrolled: 1-line block ×56, first 2 shown]
	ds_read_b128 v[65:68], v2 offset:544
	s_clause 0x2
	buffer_load_dword v130, off, s[0:3], 0 offset:316
	buffer_load_dword v134, off, s[0:3], 0 offset:292
	;; [unrolled: 1-line block ×3, first 2 shown]
	ds_read_b128 v[69:72], v2 offset:560
	s_clause 0x4
	buffer_load_dword v138, off, s[0:3], 0 offset:332
	buffer_load_dword v139, off, s[0:3], 0 offset:344
	buffer_load_dword v141, off, s[0:3], 0 offset:336
	buffer_load_dword v137, off, s[0:3], 0 offset:328
	buffer_load_dword v132, off, s[0:3], 0 offset:308
	ds_read_b128 v[73:76], v2 offset:576
	s_mov_b32 s4, exec_lo
	s_waitcnt vmcnt(62) lgkmcnt(2)
	v_mul_f64 v[135:136], v[67:68], v[3:4]
	v_mul_f64 v[3:4], v[65:66], v[3:4]
	s_waitcnt vmcnt(60) lgkmcnt(1)
	v_mul_f64 v[142:143], v[71:72], v[77:78]
	v_mul_f64 v[77:78], v[69:70], v[77:78]
	;; [unrolled: 3-line block ×3, first 2 shown]
	v_fma_f64 v[135:136], v[65:66], v[79:80], -v[135:136]
	v_fma_f64 v[3:4], v[67:68], v[79:80], v[3:4]
	s_clause 0x2
	buffer_load_dword v140, off, s[0:3], 0 offset:348
	buffer_load_dword v80, off, s[0:3], 0 offset:324
	buffer_load_dword v79, off, s[0:3], 0 offset:320
	s_waitcnt vmcnt(57)
	v_fma_f64 v[146:147], v[69:70], v[83:84], -v[142:143]
	ds_read_b128 v[65:68], v2 offset:592
	v_fma_f64 v[77:78], v[71:72], v[83:84], v[77:78]
	s_clause 0x4
	buffer_load_dword v84, off, s[0:3], 0 offset:364
	buffer_load_dword v143, off, s[0:3], 0 offset:376
	;; [unrolled: 1-line block ×5, first 2 shown]
	s_waitcnt vmcnt(56)
	v_fma_f64 v[81:82], v[73:74], v[91:92], -v[81:82]
	ds_read_b128 v[69:72], v2 offset:608
	v_fma_f64 v[91:92], v[75:76], v[91:92], v[144:145]
	v_add_f64 v[135:136], v[135:136], 0
	v_add_f64 v[3:4], v[3:4], 0
	s_waitcnt lgkmcnt(1)
	v_mul_f64 v[149:150], v[65:66], v[85:86]
	v_mul_f64 v[85:86], v[67:68], v[85:86]
	v_add_f64 v[135:136], v[135:136], v[146:147]
	v_add_f64 v[3:4], v[3:4], v[77:78]
	s_clause 0x2
	buffer_load_dword v144, off, s[0:3], 0 offset:380
	buffer_load_dword v78, off, s[0:3], 0 offset:356
	buffer_load_dword v77, off, s[0:3], 0 offset:352
	s_waitcnt vmcnt(58) lgkmcnt(0)
	v_mul_f64 v[145:146], v[69:70], v[87:88]
	v_mul_f64 v[87:88], v[71:72], v[87:88]
	s_waitcnt vmcnt(56)
	v_fma_f64 v[85:86], v[65:66], v[93:94], -v[85:86]
	ds_read_b128 v[73:76], v2 offset:624
	v_fma_f64 v[93:94], v[67:68], v[93:94], v[149:150]
	v_add_f64 v[81:82], v[135:136], v[81:82]
	v_add_f64 v[3:4], v[3:4], v[91:92]
	s_clause 0x4
	buffer_load_dword v92, off, s[0:3], 0 offset:396
	buffer_load_dword v135, off, s[0:3], 0 offset:408
	;; [unrolled: 1-line block ×5, first 2 shown]
	ds_read_b128 v[65:68], v2 offset:640
	s_waitcnt vmcnt(57) lgkmcnt(1)
	v_mul_f64 v[151:152], v[73:74], v[95:96]
	v_mul_f64 v[95:96], v[75:76], v[95:96]
	s_waitcnt vmcnt(56)
	v_fma_f64 v[87:88], v[69:70], v[89:90], -v[87:88]
	v_add_f64 v[81:82], v[81:82], v[85:86]
	v_fma_f64 v[85:86], v[71:72], v[89:90], v[145:146]
	v_add_f64 v[3:4], v[3:4], v[93:94]
	s_clause 0x2
	buffer_load_dword v136, off, s[0:3], 0 offset:412
	buffer_load_dword v90, off, s[0:3], 0 offset:388
	;; [unrolled: 1-line block ×3, first 2 shown]
	s_waitcnt vmcnt(58) lgkmcnt(0)
	v_mul_f64 v[93:94], v[65:66], v[97:98]
	v_mul_f64 v[97:98], v[67:68], v[97:98]
	s_waitcnt vmcnt(56)
	v_fma_f64 v[95:96], v[73:74], v[101:102], -v[95:96]
	ds_read_b128 v[69:72], v2 offset:656
	v_add_f64 v[81:82], v[81:82], v[87:88]
	v_fma_f64 v[87:88], v[75:76], v[101:102], v[151:152]
	v_add_f64 v[3:4], v[3:4], v[85:86]
	s_clause 0x4
	buffer_load_dword v86, off, s[0:3], 0 offset:428
	buffer_load_dword v101, off, s[0:3], 0 offset:440
	;; [unrolled: 1-line block ×5, first 2 shown]
	ds_read_b128 v[73:76], v2 offset:672
	s_waitcnt vmcnt(57) lgkmcnt(1)
	v_mul_f64 v[146:147], v[69:70], v[103:104]
	v_mul_f64 v[103:104], v[71:72], v[103:104]
	s_waitcnt vmcnt(56)
	v_fma_f64 v[97:98], v[65:66], v[99:100], -v[97:98]
	v_fma_f64 v[93:94], v[67:68], v[99:100], v[93:94]
	v_add_f64 v[81:82], v[81:82], v[95:96]
	v_add_f64 v[3:4], v[3:4], v[87:88]
	s_clause 0x2
	buffer_load_dword v102, off, s[0:3], 0 offset:444
	buffer_load_dword v88, off, s[0:3], 0 offset:420
	;; [unrolled: 1-line block ×3, first 2 shown]
	s_waitcnt vmcnt(58) lgkmcnt(0)
	v_mul_f64 v[99:100], v[75:76], v[105:106]
	ds_read_b128 v[65:68], v2 offset:688
	s_waitcnt vmcnt(56)
	v_fma_f64 v[103:104], v[69:70], v[109:110], -v[103:104]
	v_mul_f64 v[95:96], v[73:74], v[105:106]
	v_add_f64 v[81:82], v[81:82], v[97:98]
	v_fma_f64 v[97:98], v[71:72], v[109:110], v[146:147]
	v_add_f64 v[3:4], v[3:4], v[93:94]
	s_clause 0x4
	buffer_load_dword v94, off, s[0:3], 0 offset:460
	buffer_load_dword v105, off, s[0:3], 0 offset:472
	buffer_load_dword v109, off, s[0:3], 0 offset:464
	buffer_load_dword v93, off, s[0:3], 0 offset:456
	buffer_load_dword v146, off, s[0:3], 0 offset:436
	s_waitcnt vmcnt(57) lgkmcnt(0)
	v_mul_f64 v[152:153], v[65:66], v[111:112]
	v_mul_f64 v[110:111], v[67:68], v[111:112]
	s_waitcnt vmcnt(56)
	v_fma_f64 v[99:100], v[73:74], v[107:108], -v[99:100]
	ds_read_b128 v[69:72], v2 offset:704
	v_fma_f64 v[95:96], v[75:76], v[107:108], v[95:96]
	v_add_f64 v[81:82], v[81:82], v[103:104]
	v_add_f64 v[3:4], v[3:4], v[97:98]
	s_clause 0x2
	buffer_load_dword v106, off, s[0:3], 0 offset:476
	buffer_load_dword v98, off, s[0:3], 0 offset:452
	;; [unrolled: 1-line block ×3, first 2 shown]
	ds_read_b128 v[73:76], v2 offset:720
	s_waitcnt vmcnt(58) lgkmcnt(1)
	v_mul_f64 v[107:108], v[71:72], v[113:114]
	s_waitcnt vmcnt(56)
	v_fma_f64 v[111:112], v[65:66], v[117:118], -v[110:111]
	v_mul_f64 v[103:104], v[69:70], v[113:114]
	v_add_f64 v[81:82], v[81:82], v[99:100]
	v_fma_f64 v[99:100], v[67:68], v[117:118], v[152:153]
	v_add_f64 v[3:4], v[3:4], v[95:96]
	s_clause 0x2
	buffer_load_dword v96, off, s[0:3], 0 offset:492
	buffer_load_dword v95, off, s[0:3], 0 offset:488
	;; [unrolled: 1-line block ×3, first 2 shown]
	s_waitcnt vmcnt(55) lgkmcnt(0)
	v_mul_f64 v[117:118], v[75:76], v[119:120]
	s_waitcnt vmcnt(54)
	v_fma_f64 v[107:108], v[69:70], v[115:116], -v[107:108]
	ds_read_b128 v[65:68], v2 offset:736
	v_mul_f64 v[113:114], v[73:74], v[119:120]
	v_fma_f64 v[103:104], v[71:72], v[115:116], v[103:104]
	v_add_f64 v[81:82], v[81:82], v[111:112]
	v_add_f64 v[3:4], v[3:4], v[99:100]
	s_clause 0x1
	buffer_load_dword v100, off, s[0:3], 0 offset:484
	buffer_load_dword v99, off, s[0:3], 0 offset:480
	s_waitcnt vmcnt(55) lgkmcnt(0)
	v_mul_f64 v[115:116], v[67:68], v[121:122]
	s_waitcnt vmcnt(53)
	v_fma_f64 v[117:118], v[73:74], v[125:126], -v[117:118]
	ds_read_b128 v[69:72], v2 offset:752
	v_mul_f64 v[111:112], v[65:66], v[121:122]
	v_add_f64 v[81:82], v[81:82], v[107:108]
	v_fma_f64 v[107:108], v[75:76], v[125:126], v[113:114]
	v_add_f64 v[3:4], v[3:4], v[103:104]
	ds_read_b128 v[73:76], v2 offset:768
	s_waitcnt vmcnt(49) lgkmcnt(1)
	v_mul_f64 v[113:114], v[71:72], v[127:128]
	s_waitcnt vmcnt(48)
	v_fma_f64 v[115:116], v[65:66], v[123:124], -v[115:116]
	v_mul_f64 v[103:104], v[69:70], v[127:128]
	v_fma_f64 v[111:112], v[67:68], v[123:124], v[111:112]
	v_add_f64 v[81:82], v[81:82], v[117:118]
	s_waitcnt vmcnt(47) lgkmcnt(0)
	v_mul_f64 v[121:122], v[75:76], v[129:130]
	v_add_f64 v[3:4], v[3:4], v[107:108]
	s_clause 0x3
	buffer_load_dword v107, off, s[0:3], 0 offset:64
	buffer_load_dword v108, off, s[0:3], 0 offset:68
	;; [unrolled: 1-line block ×4, first 2 shown]
	s_waitcnt vmcnt(49)
	v_fma_f64 v[113:114], v[69:70], v[133:134], -v[113:114]
	ds_read_b128 v[65:68], v2 offset:784
	v_mul_f64 v[119:120], v[73:74], v[129:130]
	v_fma_f64 v[103:104], v[71:72], v[133:134], v[103:104]
	ds_read_b128 v[69:72], v2 offset:800
	v_add_f64 v[81:82], v[81:82], v[115:116]
	s_waitcnt vmcnt(44)
	v_fma_f64 v[121:122], v[73:74], v[131:132], -v[121:122]
	v_add_f64 v[3:4], v[3:4], v[111:112]
	s_waitcnt lgkmcnt(1)
	v_mul_f64 v[115:116], v[67:68], v[137:138]
	v_mul_f64 v[111:112], v[65:66], v[137:138]
	v_add_f64 v[81:82], v[81:82], v[113:114]
	v_fma_f64 v[113:114], v[75:76], v[131:132], v[119:120]
	v_add_f64 v[3:4], v[3:4], v[103:104]
	ds_read_b128 v[73:76], v2 offset:816
	s_waitcnt vmcnt(43) lgkmcnt(1)
	v_mul_f64 v[119:120], v[71:72], v[139:140]
	v_mul_f64 v[103:104], v[69:70], v[139:140]
	s_waitcnt vmcnt(41)
	v_fma_f64 v[115:116], v[65:66], v[79:80], -v[115:116]
	v_fma_f64 v[79:80], v[67:68], v[79:80], v[111:112]
	ds_read_b128 v[65:68], v2 offset:832
	v_add_f64 v[81:82], v[81:82], v[121:122]
	s_waitcnt vmcnt(37) lgkmcnt(1)
	v_mul_f64 v[111:112], v[73:74], v[83:84]
	v_add_f64 v[3:4], v[3:4], v[113:114]
	v_mul_f64 v[83:84], v[75:76], v[83:84]
	s_waitcnt vmcnt(36)
	v_fma_f64 v[113:114], v[69:70], v[141:142], -v[119:120]
	v_fma_f64 v[103:104], v[71:72], v[141:142], v[103:104]
	ds_read_b128 v[69:72], v2 offset:848
	v_add_f64 v[81:82], v[81:82], v[115:116]
	v_add_f64 v[3:4], v[3:4], v[79:80]
	s_waitcnt vmcnt(35) lgkmcnt(1)
	v_mul_f64 v[115:116], v[67:68], v[143:144]
	v_mul_f64 v[79:80], v[65:66], v[143:144]
	s_waitcnt vmcnt(33)
	v_fma_f64 v[83:84], v[73:74], v[77:78], -v[83:84]
	v_fma_f64 v[77:78], v[75:76], v[77:78], v[111:112]
	ds_read_b128 v[73:76], v2 offset:864
	v_add_f64 v[81:82], v[81:82], v[113:114]
	v_add_f64 v[3:4], v[3:4], v[103:104]
	s_waitcnt vmcnt(29) lgkmcnt(1)
	v_mul_f64 v[103:104], v[69:70], v[91:92]
	;; [unrolled: 9-line block ×6, first 2 shown]
	s_waitcnt vmcnt(12)
	v_fma_f64 v[87:88], v[69:70], v[145:146], -v[91:92]
	v_mul_f64 v[77:78], v[73:74], v[93:94]
	v_add_f64 v[81:82], v[81:82], v[85:86]
	v_fma_f64 v[85:86], v[71:72], v[145:146], v[89:90]
	v_add_f64 v[3:4], v[3:4], v[79:80]
	ds_read_b128 v[69:72], v2 offset:944
	s_waitcnt vmcnt(11) lgkmcnt(1)
	v_mul_f64 v[89:90], v[67:68], v[105:106]
	v_mul_f64 v[79:80], v[65:66], v[105:106]
	s_waitcnt vmcnt(9)
	v_fma_f64 v[73:74], v[73:74], v[97:98], -v[83:84]
	v_fma_f64 v[75:76], v[75:76], v[97:98], v[77:78]
	v_add_f64 v[81:82], v[81:82], v[87:88]
	v_add_f64 v[2:3], v[3:4], v[85:86]
	s_waitcnt vmcnt(7) lgkmcnt(0)
	v_mul_f64 v[83:84], v[71:72], v[95:96]
	s_waitcnt vmcnt(6)
	v_fma_f64 v[65:66], v[65:66], v[109:110], -v[89:90]
	v_mul_f64 v[77:78], v[69:70], v[95:96]
	v_fma_f64 v[67:68], v[67:68], v[109:110], v[79:80]
	v_add_f64 v[73:74], v[81:82], v[73:74]
	v_add_f64 v[2:3], v[2:3], v[75:76]
	s_waitcnt vmcnt(4)
	v_fma_f64 v[69:70], v[69:70], v[99:100], -v[83:84]
	v_fma_f64 v[71:72], v[71:72], v[99:100], v[77:78]
	v_add_f64 v[65:66], v[73:74], v[65:66]
	v_add_f64 v[2:3], v[2:3], v[67:68]
	;; [unrolled: 1-line block ×4, first 2 shown]
	s_waitcnt vmcnt(2)
	v_add_f64 v[65:66], v[107:108], -v[65:66]
	s_waitcnt vmcnt(0)
	v_add_f64 v[2:3], v[117:118], -v[2:3]
	buffer_store_dword v66, off, s[0:3], 0 offset:68
	buffer_store_dword v65, off, s[0:3], 0 offset:64
	;; [unrolled: 1-line block ×4, first 2 shown]
	v_cmpx_lt_u32_e32 2, v0
	s_cbranch_execz .LBB29_189
; %bb.188:
	v_mov_b32_e32 v2, s41
	s_clause 0x3
	buffer_load_dword v65, v2, s[0:3], 0 offen
	buffer_load_dword v66, v2, s[0:3], 0 offen offset:4
	buffer_load_dword v67, v2, s[0:3], 0 offen offset:8
	;; [unrolled: 1-line block ×3, first 2 shown]
	v_mov_b32_e32 v2, 0
	buffer_store_dword v2, off, s[0:3], 0 offset:48
	buffer_store_dword v2, off, s[0:3], 0 offset:52
	;; [unrolled: 1-line block ×4, first 2 shown]
	s_waitcnt vmcnt(0)
	ds_write_b128 v1, v[65:68]
.LBB29_189:
	s_or_b32 exec_lo, exec_lo, s4
	s_waitcnt lgkmcnt(0)
	s_waitcnt_vscnt null, 0x0
	s_barrier
	buffer_gl0_inv
	s_clause 0x37
	buffer_load_dword v3, off, s[0:3], 0 offset:72
	buffer_load_dword v4, off, s[0:3], 0 offset:76
	;; [unrolled: 1-line block ×56, first 2 shown]
	v_mov_b32_e32 v2, 0
	s_mov_b32 s4, exec_lo
	ds_read_b128 v[65:68], v2 offset:528
	s_clause 0x2
	buffer_load_dword v130, off, s[0:3], 0 offset:300
	buffer_load_dword v134, off, s[0:3], 0 offset:276
	buffer_load_dword v133, off, s[0:3], 0 offset:272
	ds_read_b128 v[69:72], v2 offset:544
	s_clause 0x4
	buffer_load_dword v138, off, s[0:3], 0 offset:316
	buffer_load_dword v139, off, s[0:3], 0 offset:328
	;; [unrolled: 1-line block ×5, first 2 shown]
	ds_read_b128 v[73:76], v2 offset:560
	s_waitcnt vmcnt(62) lgkmcnt(2)
	v_mul_f64 v[135:136], v[67:68], v[3:4]
	v_mul_f64 v[3:4], v[65:66], v[3:4]
	s_waitcnt vmcnt(60) lgkmcnt(1)
	v_mul_f64 v[142:143], v[71:72], v[77:78]
	v_mul_f64 v[77:78], v[69:70], v[77:78]
	;; [unrolled: 3-line block ×3, first 2 shown]
	v_fma_f64 v[135:136], v[65:66], v[79:80], -v[135:136]
	v_fma_f64 v[3:4], v[67:68], v[79:80], v[3:4]
	s_clause 0x2
	buffer_load_dword v140, off, s[0:3], 0 offset:332
	buffer_load_dword v80, off, s[0:3], 0 offset:308
	;; [unrolled: 1-line block ×3, first 2 shown]
	s_waitcnt vmcnt(57)
	v_fma_f64 v[146:147], v[69:70], v[83:84], -v[142:143]
	ds_read_b128 v[65:68], v2 offset:576
	v_fma_f64 v[77:78], v[71:72], v[83:84], v[77:78]
	s_clause 0x4
	buffer_load_dword v84, off, s[0:3], 0 offset:348
	buffer_load_dword v143, off, s[0:3], 0 offset:360
	;; [unrolled: 1-line block ×5, first 2 shown]
	s_waitcnt vmcnt(56)
	v_fma_f64 v[81:82], v[73:74], v[91:92], -v[81:82]
	ds_read_b128 v[69:72], v2 offset:592
	v_fma_f64 v[91:92], v[75:76], v[91:92], v[144:145]
	v_add_f64 v[135:136], v[135:136], 0
	v_add_f64 v[3:4], v[3:4], 0
	s_waitcnt lgkmcnt(1)
	v_mul_f64 v[149:150], v[65:66], v[85:86]
	v_mul_f64 v[85:86], v[67:68], v[85:86]
	v_add_f64 v[135:136], v[135:136], v[146:147]
	v_add_f64 v[3:4], v[3:4], v[77:78]
	s_clause 0x2
	buffer_load_dword v144, off, s[0:3], 0 offset:364
	buffer_load_dword v78, off, s[0:3], 0 offset:340
	;; [unrolled: 1-line block ×3, first 2 shown]
	s_waitcnt vmcnt(58) lgkmcnt(0)
	v_mul_f64 v[145:146], v[69:70], v[87:88]
	v_mul_f64 v[87:88], v[71:72], v[87:88]
	s_waitcnt vmcnt(56)
	v_fma_f64 v[85:86], v[65:66], v[93:94], -v[85:86]
	ds_read_b128 v[73:76], v2 offset:608
	v_fma_f64 v[93:94], v[67:68], v[93:94], v[149:150]
	v_add_f64 v[81:82], v[135:136], v[81:82]
	v_add_f64 v[3:4], v[3:4], v[91:92]
	s_clause 0x4
	buffer_load_dword v92, off, s[0:3], 0 offset:380
	buffer_load_dword v135, off, s[0:3], 0 offset:392
	;; [unrolled: 1-line block ×5, first 2 shown]
	ds_read_b128 v[65:68], v2 offset:624
	s_waitcnt vmcnt(57) lgkmcnt(1)
	v_mul_f64 v[151:152], v[73:74], v[95:96]
	v_mul_f64 v[95:96], v[75:76], v[95:96]
	s_waitcnt vmcnt(56)
	v_fma_f64 v[87:88], v[69:70], v[89:90], -v[87:88]
	v_add_f64 v[81:82], v[81:82], v[85:86]
	v_fma_f64 v[85:86], v[71:72], v[89:90], v[145:146]
	v_add_f64 v[3:4], v[3:4], v[93:94]
	s_clause 0x2
	buffer_load_dword v136, off, s[0:3], 0 offset:396
	buffer_load_dword v90, off, s[0:3], 0 offset:372
	;; [unrolled: 1-line block ×3, first 2 shown]
	s_waitcnt vmcnt(58) lgkmcnt(0)
	v_mul_f64 v[93:94], v[65:66], v[97:98]
	v_mul_f64 v[97:98], v[67:68], v[97:98]
	s_waitcnt vmcnt(56)
	v_fma_f64 v[95:96], v[73:74], v[101:102], -v[95:96]
	ds_read_b128 v[69:72], v2 offset:640
	v_add_f64 v[81:82], v[81:82], v[87:88]
	v_fma_f64 v[87:88], v[75:76], v[101:102], v[151:152]
	v_add_f64 v[3:4], v[3:4], v[85:86]
	s_clause 0x4
	buffer_load_dword v86, off, s[0:3], 0 offset:412
	buffer_load_dword v101, off, s[0:3], 0 offset:424
	;; [unrolled: 1-line block ×5, first 2 shown]
	ds_read_b128 v[73:76], v2 offset:656
	s_waitcnt vmcnt(57) lgkmcnt(1)
	v_mul_f64 v[146:147], v[69:70], v[103:104]
	v_mul_f64 v[103:104], v[71:72], v[103:104]
	s_waitcnt vmcnt(56)
	v_fma_f64 v[97:98], v[65:66], v[99:100], -v[97:98]
	v_fma_f64 v[93:94], v[67:68], v[99:100], v[93:94]
	v_add_f64 v[81:82], v[81:82], v[95:96]
	v_add_f64 v[3:4], v[3:4], v[87:88]
	s_clause 0x2
	buffer_load_dword v102, off, s[0:3], 0 offset:428
	buffer_load_dword v88, off, s[0:3], 0 offset:404
	;; [unrolled: 1-line block ×3, first 2 shown]
	s_waitcnt vmcnt(58) lgkmcnt(0)
	v_mul_f64 v[99:100], v[75:76], v[105:106]
	ds_read_b128 v[65:68], v2 offset:672
	s_waitcnt vmcnt(56)
	v_fma_f64 v[103:104], v[69:70], v[109:110], -v[103:104]
	v_mul_f64 v[95:96], v[73:74], v[105:106]
	v_add_f64 v[81:82], v[81:82], v[97:98]
	v_fma_f64 v[97:98], v[71:72], v[109:110], v[146:147]
	v_add_f64 v[3:4], v[3:4], v[93:94]
	s_clause 0x4
	buffer_load_dword v94, off, s[0:3], 0 offset:444
	buffer_load_dword v105, off, s[0:3], 0 offset:456
	buffer_load_dword v109, off, s[0:3], 0 offset:448
	buffer_load_dword v93, off, s[0:3], 0 offset:440
	buffer_load_dword v146, off, s[0:3], 0 offset:420
	s_waitcnt vmcnt(57) lgkmcnt(0)
	v_mul_f64 v[152:153], v[65:66], v[111:112]
	v_mul_f64 v[110:111], v[67:68], v[111:112]
	s_waitcnt vmcnt(56)
	v_fma_f64 v[99:100], v[73:74], v[107:108], -v[99:100]
	ds_read_b128 v[69:72], v2 offset:688
	v_fma_f64 v[95:96], v[75:76], v[107:108], v[95:96]
	v_add_f64 v[81:82], v[81:82], v[103:104]
	v_add_f64 v[3:4], v[3:4], v[97:98]
	s_clause 0x2
	buffer_load_dword v106, off, s[0:3], 0 offset:460
	buffer_load_dword v98, off, s[0:3], 0 offset:436
	;; [unrolled: 1-line block ×3, first 2 shown]
	ds_read_b128 v[73:76], v2 offset:704
	s_waitcnt vmcnt(58) lgkmcnt(1)
	v_mul_f64 v[107:108], v[71:72], v[113:114]
	s_waitcnt vmcnt(56)
	v_fma_f64 v[111:112], v[65:66], v[117:118], -v[110:111]
	v_mul_f64 v[103:104], v[69:70], v[113:114]
	v_add_f64 v[81:82], v[81:82], v[99:100]
	v_fma_f64 v[99:100], v[67:68], v[117:118], v[152:153]
	v_add_f64 v[3:4], v[3:4], v[95:96]
	s_clause 0x4
	buffer_load_dword v96, off, s[0:3], 0 offset:476
	buffer_load_dword v113, off, s[0:3], 0 offset:488
	;; [unrolled: 1-line block ×5, first 2 shown]
	s_waitcnt vmcnt(57) lgkmcnt(0)
	v_mul_f64 v[152:153], v[73:74], v[119:120]
	v_mul_f64 v[118:119], v[75:76], v[119:120]
	s_waitcnt vmcnt(56)
	v_fma_f64 v[107:108], v[69:70], v[115:116], -v[107:108]
	ds_read_b128 v[65:68], v2 offset:720
	v_fma_f64 v[103:104], v[71:72], v[115:116], v[103:104]
	v_add_f64 v[81:82], v[81:82], v[111:112]
	v_add_f64 v[3:4], v[3:4], v[99:100]
	s_clause 0x2
	buffer_load_dword v114, off, s[0:3], 0 offset:492
	buffer_load_dword v100, off, s[0:3], 0 offset:468
	;; [unrolled: 1-line block ×3, first 2 shown]
	ds_read_b128 v[69:72], v2 offset:736
	s_waitcnt vmcnt(58) lgkmcnt(1)
	v_mul_f64 v[115:116], v[67:68], v[121:122]
	s_waitcnt vmcnt(56)
	v_fma_f64 v[119:120], v[73:74], v[125:126], -v[118:119]
	v_mul_f64 v[111:112], v[65:66], v[121:122]
	buffer_load_dword v118, off, s[0:3], 0 offset:484
	v_add_f64 v[81:82], v[81:82], v[107:108]
	v_fma_f64 v[107:108], v[75:76], v[125:126], v[152:153]
	v_add_f64 v[3:4], v[3:4], v[103:104]
	ds_read_b128 v[73:76], v2 offset:752
	s_waitcnt vmcnt(53) lgkmcnt(1)
	v_mul_f64 v[121:122], v[71:72], v[127:128]
	s_waitcnt vmcnt(52)
	v_fma_f64 v[115:116], v[65:66], v[123:124], -v[115:116]
	v_mul_f64 v[103:104], v[69:70], v[127:128]
	v_fma_f64 v[111:112], v[67:68], v[123:124], v[111:112]
	ds_read_b128 v[65:68], v2 offset:768
	v_add_f64 v[81:82], v[81:82], v[119:120]
	s_waitcnt vmcnt(51) lgkmcnt(1)
	v_mul_f64 v[119:120], v[75:76], v[129:130]
	v_add_f64 v[3:4], v[3:4], v[107:108]
	v_mul_f64 v[107:108], v[73:74], v[129:130]
	s_waitcnt vmcnt(49)
	v_fma_f64 v[121:122], v[69:70], v[133:134], -v[121:122]
	v_fma_f64 v[103:104], v[71:72], v[133:134], v[103:104]
	s_waitcnt vmcnt(45) lgkmcnt(0)
	v_mul_f64 v[125:126], v[67:68], v[137:138]
	v_mul_f64 v[123:124], v[65:66], v[137:138]
	v_add_f64 v[81:82], v[81:82], v[115:116]
	s_waitcnt vmcnt(44)
	v_fma_f64 v[119:120], v[73:74], v[131:132], -v[119:120]
	v_add_f64 v[3:4], v[3:4], v[111:112]
	s_clause 0x3
	buffer_load_dword v111, off, s[0:3], 0 offset:48
	buffer_load_dword v112, off, s[0:3], 0 offset:52
	;; [unrolled: 1-line block ×4, first 2 shown]
	ds_read_b128 v[69:72], v2 offset:784
	v_fma_f64 v[107:108], v[75:76], v[131:132], v[107:108]
	ds_read_b128 v[73:76], v2 offset:800
	v_add_f64 v[81:82], v[81:82], v[121:122]
	v_add_f64 v[3:4], v[3:4], v[103:104]
	s_waitcnt vmcnt(47) lgkmcnt(1)
	v_mul_f64 v[121:122], v[71:72], v[139:140]
	v_mul_f64 v[103:104], v[69:70], v[139:140]
	s_waitcnt vmcnt(45)
	v_fma_f64 v[125:126], v[65:66], v[79:80], -v[125:126]
	v_fma_f64 v[79:80], v[67:68], v[79:80], v[123:124]
	ds_read_b128 v[65:68], v2 offset:816
	v_add_f64 v[81:82], v[81:82], v[119:120]
	v_add_f64 v[3:4], v[3:4], v[107:108]
	s_waitcnt vmcnt(41) lgkmcnt(1)
	v_mul_f64 v[107:108], v[73:74], v[83:84]
	v_mul_f64 v[83:84], v[75:76], v[83:84]
	s_waitcnt vmcnt(40)
	v_fma_f64 v[119:120], v[69:70], v[141:142], -v[121:122]
	;; [unrolled: 9-line block ×7, first 2 shown]
	v_fma_f64 v[79:80], v[67:68], v[87:88], v[79:80]
	ds_read_b128 v[65:68], v2 offset:912
	v_add_f64 v[81:82], v[81:82], v[83:84]
	v_add_f64 v[3:4], v[3:4], v[77:78]
	s_waitcnt vmcnt(17) lgkmcnt(1)
	v_mul_f64 v[83:84], v[75:76], v[93:94]
	s_waitcnt vmcnt(16)
	v_fma_f64 v[87:88], v[69:70], v[145:146], -v[91:92]
	v_mul_f64 v[77:78], v[73:74], v[93:94]
	v_add_f64 v[81:82], v[81:82], v[85:86]
	v_fma_f64 v[85:86], v[71:72], v[145:146], v[89:90]
	v_add_f64 v[3:4], v[3:4], v[79:80]
	ds_read_b128 v[69:72], v2 offset:928
	s_waitcnt vmcnt(15) lgkmcnt(1)
	v_mul_f64 v[89:90], v[67:68], v[105:106]
	v_mul_f64 v[79:80], v[65:66], v[105:106]
	s_waitcnt vmcnt(13)
	v_fma_f64 v[83:84], v[73:74], v[97:98], -v[83:84]
	v_fma_f64 v[77:78], v[75:76], v[97:98], v[77:78]
	ds_read_b128 v[73:76], v2 offset:944
	v_add_f64 v[81:82], v[81:82], v[87:88]
	v_add_f64 v[3:4], v[3:4], v[85:86]
	s_waitcnt vmcnt(9) lgkmcnt(1)
	v_mul_f64 v[87:88], v[71:72], v[95:96]
	s_waitcnt vmcnt(8)
	v_fma_f64 v[65:66], v[65:66], v[109:110], -v[89:90]
	v_mul_f64 v[85:86], v[69:70], v[95:96]
	v_fma_f64 v[67:68], v[67:68], v[109:110], v[79:80]
	v_add_f64 v[81:82], v[81:82], v[83:84]
	v_add_f64 v[3:4], v[3:4], v[77:78]
	s_waitcnt vmcnt(7) lgkmcnt(0)
	v_mul_f64 v[79:80], v[75:76], v[113:114]
	v_mul_f64 v[77:78], v[73:74], v[113:114]
	s_waitcnt vmcnt(5)
	v_fma_f64 v[69:70], v[69:70], v[99:100], -v[87:88]
	v_fma_f64 v[71:72], v[71:72], v[99:100], v[85:86]
	v_add_f64 v[65:66], v[81:82], v[65:66]
	v_add_f64 v[3:4], v[3:4], v[67:68]
	s_waitcnt vmcnt(4)
	v_fma_f64 v[67:68], v[73:74], v[117:118], -v[79:80]
	v_add_f64 v[65:66], v[65:66], v[69:70]
	v_fma_f64 v[69:70], v[75:76], v[117:118], v[77:78]
	v_add_f64 v[3:4], v[3:4], v[71:72]
	v_add_f64 v[65:66], v[65:66], v[67:68]
	;; [unrolled: 1-line block ×3, first 2 shown]
	s_waitcnt vmcnt(2)
	v_add_f64 v[65:66], v[111:112], -v[65:66]
	s_waitcnt vmcnt(0)
	v_add_f64 v[3:4], v[115:116], -v[3:4]
	buffer_store_dword v66, off, s[0:3], 0 offset:52
	buffer_store_dword v65, off, s[0:3], 0 offset:48
	;; [unrolled: 1-line block ×4, first 2 shown]
	v_cmpx_lt_u32_e32 1, v0
	s_cbranch_execz .LBB29_191
; %bb.190:
	v_mov_b32_e32 v3, s42
	s_clause 0x3
	buffer_load_dword v65, v3, s[0:3], 0 offen
	buffer_load_dword v66, v3, s[0:3], 0 offen offset:4
	buffer_load_dword v67, v3, s[0:3], 0 offen offset:8
	;; [unrolled: 1-line block ×3, first 2 shown]
	buffer_store_dword v2, off, s[0:3], 0 offset:32
	buffer_store_dword v2, off, s[0:3], 0 offset:36
	buffer_store_dword v2, off, s[0:3], 0 offset:40
	buffer_store_dword v2, off, s[0:3], 0 offset:44
	s_waitcnt vmcnt(0)
	ds_write_b128 v1, v[65:68]
.LBB29_191:
	s_or_b32 exec_lo, exec_lo, s4
	s_waitcnt lgkmcnt(0)
	s_waitcnt_vscnt null, 0x0
	s_barrier
	buffer_gl0_inv
	s_clause 0x37
	buffer_load_dword v3, off, s[0:3], 0 offset:56
	buffer_load_dword v4, off, s[0:3], 0 offset:60
	;; [unrolled: 1-line block ×56, first 2 shown]
	ds_read_b128 v[65:68], v2 offset:512
	s_clause 0x2
	buffer_load_dword v130, off, s[0:3], 0 offset:284
	buffer_load_dword v134, off, s[0:3], 0 offset:260
	;; [unrolled: 1-line block ×3, first 2 shown]
	ds_read_b128 v[69:72], v2 offset:528
	s_clause 0x4
	buffer_load_dword v138, off, s[0:3], 0 offset:300
	buffer_load_dword v139, off, s[0:3], 0 offset:312
	;; [unrolled: 1-line block ×5, first 2 shown]
	ds_read_b128 v[73:76], v2 offset:544
	s_mov_b32 s4, exec_lo
	s_waitcnt vmcnt(62) lgkmcnt(2)
	v_mul_f64 v[135:136], v[67:68], v[3:4]
	v_mul_f64 v[3:4], v[65:66], v[3:4]
	s_waitcnt vmcnt(60) lgkmcnt(1)
	v_mul_f64 v[142:143], v[71:72], v[77:78]
	v_mul_f64 v[77:78], v[69:70], v[77:78]
	;; [unrolled: 3-line block ×3, first 2 shown]
	v_fma_f64 v[135:136], v[65:66], v[79:80], -v[135:136]
	v_fma_f64 v[3:4], v[67:68], v[79:80], v[3:4]
	s_clause 0x2
	buffer_load_dword v140, off, s[0:3], 0 offset:316
	buffer_load_dword v80, off, s[0:3], 0 offset:292
	;; [unrolled: 1-line block ×3, first 2 shown]
	s_waitcnt vmcnt(57)
	v_fma_f64 v[146:147], v[69:70], v[83:84], -v[142:143]
	ds_read_b128 v[65:68], v2 offset:560
	v_fma_f64 v[77:78], v[71:72], v[83:84], v[77:78]
	s_clause 0x4
	buffer_load_dword v84, off, s[0:3], 0 offset:332
	buffer_load_dword v143, off, s[0:3], 0 offset:344
	;; [unrolled: 1-line block ×5, first 2 shown]
	s_waitcnt vmcnt(56)
	v_fma_f64 v[81:82], v[73:74], v[91:92], -v[81:82]
	ds_read_b128 v[69:72], v2 offset:576
	v_fma_f64 v[91:92], v[75:76], v[91:92], v[144:145]
	v_add_f64 v[135:136], v[135:136], 0
	v_add_f64 v[3:4], v[3:4], 0
	s_waitcnt lgkmcnt(1)
	v_mul_f64 v[149:150], v[65:66], v[85:86]
	v_mul_f64 v[85:86], v[67:68], v[85:86]
	v_add_f64 v[135:136], v[135:136], v[146:147]
	v_add_f64 v[3:4], v[3:4], v[77:78]
	s_clause 0x2
	buffer_load_dword v144, off, s[0:3], 0 offset:348
	buffer_load_dword v78, off, s[0:3], 0 offset:324
	;; [unrolled: 1-line block ×3, first 2 shown]
	s_waitcnt vmcnt(58) lgkmcnt(0)
	v_mul_f64 v[145:146], v[69:70], v[87:88]
	v_mul_f64 v[87:88], v[71:72], v[87:88]
	s_waitcnt vmcnt(56)
	v_fma_f64 v[85:86], v[65:66], v[93:94], -v[85:86]
	ds_read_b128 v[73:76], v2 offset:592
	v_fma_f64 v[93:94], v[67:68], v[93:94], v[149:150]
	v_add_f64 v[81:82], v[135:136], v[81:82]
	v_add_f64 v[3:4], v[3:4], v[91:92]
	s_clause 0x4
	buffer_load_dword v92, off, s[0:3], 0 offset:364
	buffer_load_dword v135, off, s[0:3], 0 offset:376
	;; [unrolled: 1-line block ×5, first 2 shown]
	ds_read_b128 v[65:68], v2 offset:608
	s_waitcnt vmcnt(57) lgkmcnt(1)
	v_mul_f64 v[151:152], v[73:74], v[95:96]
	v_mul_f64 v[95:96], v[75:76], v[95:96]
	s_waitcnt vmcnt(56)
	v_fma_f64 v[87:88], v[69:70], v[89:90], -v[87:88]
	v_add_f64 v[81:82], v[81:82], v[85:86]
	v_fma_f64 v[85:86], v[71:72], v[89:90], v[145:146]
	v_add_f64 v[3:4], v[3:4], v[93:94]
	s_clause 0x2
	buffer_load_dword v136, off, s[0:3], 0 offset:380
	buffer_load_dword v90, off, s[0:3], 0 offset:356
	;; [unrolled: 1-line block ×3, first 2 shown]
	s_waitcnt vmcnt(58) lgkmcnt(0)
	v_mul_f64 v[93:94], v[65:66], v[97:98]
	v_mul_f64 v[97:98], v[67:68], v[97:98]
	s_waitcnt vmcnt(56)
	v_fma_f64 v[95:96], v[73:74], v[101:102], -v[95:96]
	ds_read_b128 v[69:72], v2 offset:624
	v_add_f64 v[81:82], v[81:82], v[87:88]
	v_fma_f64 v[87:88], v[75:76], v[101:102], v[151:152]
	v_add_f64 v[3:4], v[3:4], v[85:86]
	s_clause 0x4
	buffer_load_dword v86, off, s[0:3], 0 offset:396
	buffer_load_dword v101, off, s[0:3], 0 offset:408
	;; [unrolled: 1-line block ×5, first 2 shown]
	ds_read_b128 v[73:76], v2 offset:640
	s_waitcnt vmcnt(57) lgkmcnt(1)
	v_mul_f64 v[146:147], v[69:70], v[103:104]
	v_mul_f64 v[103:104], v[71:72], v[103:104]
	s_waitcnt vmcnt(56)
	v_fma_f64 v[97:98], v[65:66], v[99:100], -v[97:98]
	v_fma_f64 v[93:94], v[67:68], v[99:100], v[93:94]
	v_add_f64 v[81:82], v[81:82], v[95:96]
	v_add_f64 v[3:4], v[3:4], v[87:88]
	s_clause 0x2
	buffer_load_dword v102, off, s[0:3], 0 offset:412
	buffer_load_dword v88, off, s[0:3], 0 offset:388
	buffer_load_dword v87, off, s[0:3], 0 offset:384
	s_waitcnt vmcnt(58) lgkmcnt(0)
	v_mul_f64 v[99:100], v[75:76], v[105:106]
	ds_read_b128 v[65:68], v2 offset:656
	s_waitcnt vmcnt(56)
	v_fma_f64 v[103:104], v[69:70], v[109:110], -v[103:104]
	v_mul_f64 v[95:96], v[73:74], v[105:106]
	v_add_f64 v[81:82], v[81:82], v[97:98]
	v_fma_f64 v[97:98], v[71:72], v[109:110], v[146:147]
	v_add_f64 v[3:4], v[3:4], v[93:94]
	s_clause 0x4
	buffer_load_dword v94, off, s[0:3], 0 offset:428
	buffer_load_dword v105, off, s[0:3], 0 offset:440
	;; [unrolled: 1-line block ×5, first 2 shown]
	s_waitcnt vmcnt(57) lgkmcnt(0)
	v_mul_f64 v[152:153], v[65:66], v[111:112]
	v_mul_f64 v[110:111], v[67:68], v[111:112]
	s_waitcnt vmcnt(56)
	v_fma_f64 v[99:100], v[73:74], v[107:108], -v[99:100]
	ds_read_b128 v[69:72], v2 offset:672
	v_fma_f64 v[95:96], v[75:76], v[107:108], v[95:96]
	v_add_f64 v[81:82], v[81:82], v[103:104]
	v_add_f64 v[3:4], v[3:4], v[97:98]
	s_clause 0x2
	buffer_load_dword v106, off, s[0:3], 0 offset:444
	buffer_load_dword v98, off, s[0:3], 0 offset:420
	;; [unrolled: 1-line block ×3, first 2 shown]
	ds_read_b128 v[73:76], v2 offset:688
	s_waitcnt vmcnt(58) lgkmcnt(1)
	v_mul_f64 v[107:108], v[71:72], v[113:114]
	s_waitcnt vmcnt(56)
	v_fma_f64 v[111:112], v[65:66], v[117:118], -v[110:111]
	v_mul_f64 v[103:104], v[69:70], v[113:114]
	v_add_f64 v[81:82], v[81:82], v[99:100]
	v_fma_f64 v[99:100], v[67:68], v[117:118], v[152:153]
	v_add_f64 v[3:4], v[3:4], v[95:96]
	s_clause 0x4
	buffer_load_dword v96, off, s[0:3], 0 offset:460
	buffer_load_dword v113, off, s[0:3], 0 offset:472
	;; [unrolled: 1-line block ×5, first 2 shown]
	s_waitcnt vmcnt(57) lgkmcnt(0)
	v_mul_f64 v[152:153], v[73:74], v[119:120]
	v_mul_f64 v[118:119], v[75:76], v[119:120]
	s_waitcnt vmcnt(56)
	v_fma_f64 v[107:108], v[69:70], v[115:116], -v[107:108]
	ds_read_b128 v[65:68], v2 offset:704
	v_fma_f64 v[103:104], v[71:72], v[115:116], v[103:104]
	v_add_f64 v[81:82], v[81:82], v[111:112]
	v_add_f64 v[3:4], v[3:4], v[99:100]
	s_clause 0x2
	buffer_load_dword v114, off, s[0:3], 0 offset:476
	buffer_load_dword v100, off, s[0:3], 0 offset:452
	;; [unrolled: 1-line block ×3, first 2 shown]
	ds_read_b128 v[69:72], v2 offset:720
	s_waitcnt vmcnt(58) lgkmcnt(1)
	v_mul_f64 v[115:116], v[67:68], v[121:122]
	s_waitcnt vmcnt(56)
	v_fma_f64 v[119:120], v[73:74], v[125:126], -v[118:119]
	v_mul_f64 v[111:112], v[65:66], v[121:122]
	v_add_f64 v[81:82], v[81:82], v[107:108]
	v_fma_f64 v[107:108], v[75:76], v[125:126], v[152:153]
	v_add_f64 v[3:4], v[3:4], v[103:104]
	s_clause 0x2
	buffer_load_dword v104, off, s[0:3], 0 offset:492
	buffer_load_dword v103, off, s[0:3], 0 offset:488
	;; [unrolled: 1-line block ×3, first 2 shown]
	s_waitcnt vmcnt(55) lgkmcnt(0)
	v_mul_f64 v[125:126], v[71:72], v[127:128]
	s_waitcnt vmcnt(54)
	v_fma_f64 v[115:116], v[65:66], v[123:124], -v[115:116]
	ds_read_b128 v[73:76], v2 offset:736
	v_mul_f64 v[121:122], v[69:70], v[127:128]
	v_fma_f64 v[111:112], v[67:68], v[123:124], v[111:112]
	v_add_f64 v[81:82], v[81:82], v[119:120]
	v_add_f64 v[3:4], v[3:4], v[107:108]
	s_clause 0x1
	buffer_load_dword v108, off, s[0:3], 0 offset:484
	buffer_load_dword v107, off, s[0:3], 0 offset:480
	s_waitcnt vmcnt(55) lgkmcnt(0)
	v_mul_f64 v[123:124], v[75:76], v[129:130]
	s_waitcnt vmcnt(53)
	v_fma_f64 v[125:126], v[69:70], v[133:134], -v[125:126]
	ds_read_b128 v[65:68], v2 offset:752
	v_mul_f64 v[119:120], v[73:74], v[129:130]
	v_add_f64 v[81:82], v[81:82], v[115:116]
	v_fma_f64 v[115:116], v[71:72], v[133:134], v[121:122]
	v_add_f64 v[3:4], v[3:4], v[111:112]
	ds_read_b128 v[69:72], v2 offset:768
	s_waitcnt vmcnt(49) lgkmcnt(1)
	v_mul_f64 v[121:122], v[67:68], v[137:138]
	s_waitcnt vmcnt(48)
	v_fma_f64 v[123:124], v[73:74], v[131:132], -v[123:124]
	v_mul_f64 v[111:112], v[65:66], v[137:138]
	v_fma_f64 v[119:120], v[75:76], v[131:132], v[119:120]
	v_add_f64 v[81:82], v[81:82], v[125:126]
	v_add_f64 v[3:4], v[3:4], v[115:116]
	s_clause 0x3
	buffer_load_dword v115, off, s[0:3], 0 offset:32
	buffer_load_dword v116, off, s[0:3], 0 offset:36
	;; [unrolled: 1-line block ×4, first 2 shown]
	ds_read_b128 v[73:76], v2 offset:784
	s_waitcnt vmcnt(51) lgkmcnt(1)
	v_mul_f64 v[129:130], v[71:72], v[139:140]
	v_mul_f64 v[127:128], v[69:70], v[139:140]
	s_waitcnt vmcnt(49)
	v_fma_f64 v[121:122], v[65:66], v[79:80], -v[121:122]
	v_fma_f64 v[79:80], v[67:68], v[79:80], v[111:112]
	ds_read_b128 v[65:68], v2 offset:800
	v_add_f64 v[81:82], v[81:82], v[123:124]
	v_add_f64 v[3:4], v[3:4], v[119:120]
	s_waitcnt vmcnt(45) lgkmcnt(1)
	v_mul_f64 v[111:112], v[73:74], v[83:84]
	v_mul_f64 v[83:84], v[75:76], v[83:84]
	s_waitcnt vmcnt(44)
	v_fma_f64 v[119:120], v[69:70], v[141:142], -v[129:130]
	v_add_f64 v[81:82], v[81:82], v[121:122]
	v_fma_f64 v[121:122], v[71:72], v[141:142], v[127:128]
	v_add_f64 v[3:4], v[3:4], v[79:80]
	ds_read_b128 v[69:72], v2 offset:816
	s_waitcnt vmcnt(43) lgkmcnt(1)
	v_mul_f64 v[123:124], v[67:68], v[143:144]
	v_mul_f64 v[79:80], v[65:66], v[143:144]
	s_waitcnt vmcnt(41)
	v_fma_f64 v[83:84], v[73:74], v[77:78], -v[83:84]
	v_fma_f64 v[77:78], v[75:76], v[77:78], v[111:112]
	ds_read_b128 v[73:76], v2 offset:832
	v_add_f64 v[81:82], v[81:82], v[119:120]
	v_add_f64 v[3:4], v[3:4], v[121:122]
	s_waitcnt vmcnt(37) lgkmcnt(1)
	v_mul_f64 v[111:112], v[69:70], v[91:92]
	v_mul_f64 v[91:92], v[71:72], v[91:92]
	s_waitcnt vmcnt(36)
	v_fma_f64 v[119:120], v[65:66], v[148:149], -v[123:124]
	v_fma_f64 v[79:80], v[67:68], v[148:149], v[79:80]
	ds_read_b128 v[65:68], v2 offset:848
	v_add_f64 v[81:82], v[81:82], v[83:84]
	v_add_f64 v[3:4], v[3:4], v[77:78]
	;; [unrolled: 9-line block ×5, first 2 shown]
	s_waitcnt vmcnt(21) lgkmcnt(1)
	v_mul_f64 v[83:84], v[75:76], v[93:94]
	s_waitcnt vmcnt(20)
	v_fma_f64 v[87:88], v[69:70], v[145:146], -v[91:92]
	v_mul_f64 v[77:78], v[73:74], v[93:94]
	v_add_f64 v[81:82], v[81:82], v[85:86]
	v_fma_f64 v[85:86], v[71:72], v[145:146], v[89:90]
	v_add_f64 v[3:4], v[3:4], v[79:80]
	ds_read_b128 v[69:72], v2 offset:912
	s_waitcnt vmcnt(19) lgkmcnt(1)
	v_mul_f64 v[89:90], v[67:68], v[105:106]
	v_mul_f64 v[79:80], v[65:66], v[105:106]
	s_waitcnt vmcnt(17)
	v_fma_f64 v[83:84], v[73:74], v[97:98], -v[83:84]
	v_fma_f64 v[77:78], v[75:76], v[97:98], v[77:78]
	ds_read_b128 v[73:76], v2 offset:928
	v_add_f64 v[81:82], v[81:82], v[87:88]
	v_add_f64 v[3:4], v[3:4], v[85:86]
	s_waitcnt vmcnt(13) lgkmcnt(1)
	v_mul_f64 v[87:88], v[71:72], v[95:96]
	s_waitcnt vmcnt(12)
	v_fma_f64 v[89:90], v[65:66], v[109:110], -v[89:90]
	v_mul_f64 v[85:86], v[69:70], v[95:96]
	v_fma_f64 v[79:80], v[67:68], v[109:110], v[79:80]
	ds_read_b128 v[65:68], v2 offset:944
	v_add_f64 v[81:82], v[81:82], v[83:84]
	v_add_f64 v[3:4], v[3:4], v[77:78]
	s_waitcnt vmcnt(11) lgkmcnt(1)
	v_mul_f64 v[83:84], v[75:76], v[113:114]
	v_mul_f64 v[77:78], v[73:74], v[113:114]
	s_waitcnt vmcnt(9)
	v_fma_f64 v[69:70], v[69:70], v[99:100], -v[87:88]
	v_fma_f64 v[71:72], v[71:72], v[99:100], v[85:86]
	v_add_f64 v[81:82], v[81:82], v[89:90]
	v_add_f64 v[2:3], v[3:4], v[79:80]
	s_waitcnt vmcnt(7) lgkmcnt(0)
	v_mul_f64 v[85:86], v[67:68], v[103:104]
	s_waitcnt vmcnt(6)
	v_fma_f64 v[73:74], v[73:74], v[117:118], -v[83:84]
	v_mul_f64 v[79:80], v[65:66], v[103:104]
	v_fma_f64 v[75:76], v[75:76], v[117:118], v[77:78]
	v_add_f64 v[69:70], v[81:82], v[69:70]
	v_add_f64 v[2:3], v[2:3], v[71:72]
	s_waitcnt vmcnt(4)
	v_fma_f64 v[65:66], v[65:66], v[107:108], -v[85:86]
	v_fma_f64 v[67:68], v[67:68], v[107:108], v[79:80]
	v_add_f64 v[69:70], v[69:70], v[73:74]
	v_add_f64 v[2:3], v[2:3], v[75:76]
	;; [unrolled: 1-line block ×4, first 2 shown]
	s_waitcnt vmcnt(2)
	v_add_f64 v[65:66], v[115:116], -v[65:66]
	s_waitcnt vmcnt(0)
	v_add_f64 v[2:3], v[125:126], -v[2:3]
	buffer_store_dword v66, off, s[0:3], 0 offset:36
	buffer_store_dword v65, off, s[0:3], 0 offset:32
	;; [unrolled: 1-line block ×4, first 2 shown]
	v_cmpx_ne_u32_e32 0, v0
	s_cbranch_execz .LBB29_193
; %bb.192:
	s_clause 0x3
	buffer_load_dword v65, off, s[0:3], 0 offset:16
	buffer_load_dword v66, off, s[0:3], 0 offset:20
	;; [unrolled: 1-line block ×4, first 2 shown]
	v_mov_b32_e32 v0, 0
	buffer_store_dword v0, off, s[0:3], 0 offset:16
	buffer_store_dword v0, off, s[0:3], 0 offset:20
	;; [unrolled: 1-line block ×4, first 2 shown]
	s_waitcnt vmcnt(0)
	ds_write_b128 v1, v[65:68]
.LBB29_193:
	s_or_b32 exec_lo, exec_lo, s4
	s_waitcnt lgkmcnt(0)
	s_waitcnt_vscnt null, 0x0
	s_barrier
	buffer_gl0_inv
	s_clause 0x37
	buffer_load_dword v73, off, s[0:3], 0 offset:40
	buffer_load_dword v74, off, s[0:3], 0 offset:44
	;; [unrolled: 1-line block ×56, first 2 shown]
	v_mov_b32_e32 v4, 0
	s_and_b32 vcc_lo, exec_lo, s37
	ds_read_b128 v[65:68], v4 offset:496
	s_clause 0x2
	buffer_load_dword v126, off, s[0:3], 0 offset:268
	buffer_load_dword v130, off, s[0:3], 0 offset:244
	;; [unrolled: 1-line block ×3, first 2 shown]
	ds_read_b128 v[69:72], v4 offset:512
	s_clause 0x4
	buffer_load_dword v136, off, s[0:3], 0 offset:284
	buffer_load_dword v137, off, s[0:3], 0 offset:296
	;; [unrolled: 1-line block ×5, first 2 shown]
	s_waitcnt vmcnt(62) lgkmcnt(1)
	v_mul_f64 v[131:132], v[67:68], v[73:74]
	v_mul_f64 v[133:134], v[65:66], v[73:74]
	s_waitcnt vmcnt(60) lgkmcnt(0)
	v_mul_f64 v[140:141], v[71:72], v[77:78]
	ds_read_b128 v[73:76], v4 offset:528
	v_mul_f64 v[77:78], v[69:70], v[77:78]
	s_waitcnt vmcnt(58)
	v_fma_f64 v[131:132], v[65:66], v[79:80], -v[131:132]
	v_fma_f64 v[79:80], v[67:68], v[79:80], v[133:134]
	s_clause 0x2
	buffer_load_dword v138, off, s[0:3], 0 offset:300
	buffer_load_dword v134, off, s[0:3], 0 offset:276
	;; [unrolled: 1-line block ×3, first 2 shown]
	s_waitcnt vmcnt(59) lgkmcnt(0)
	v_mul_f64 v[144:145], v[75:76], v[2:3]
	s_waitcnt vmcnt(57)
	v_fma_f64 v[69:70], v[69:70], v[0:1], -v[140:141]
	ds_read_b128 v[65:68], v4 offset:544
	v_mul_f64 v[142:143], v[73:74], v[2:3]
	v_fma_f64 v[71:72], v[71:72], v[0:1], v[77:78]
	v_add_f64 v[131:132], v[131:132], 0
	v_add_f64 v[77:78], v[79:80], 0
	s_clause 0x4
	buffer_load_dword v80, off, s[0:3], 0 offset:316
	buffer_load_dword v141, off, s[0:3], 0 offset:328
	;; [unrolled: 1-line block ×5, first 2 shown]
	s_waitcnt vmcnt(58) lgkmcnt(0)
	v_mul_f64 v[147:148], v[65:66], v[81:82]
	v_mul_f64 v[81:82], v[67:68], v[81:82]
	s_waitcnt vmcnt(56)
	v_fma_f64 v[73:74], v[73:74], v[87:88], -v[144:145]
	ds_read_b128 v[0:3], v4 offset:560
	v_fma_f64 v[75:76], v[75:76], v[87:88], v[142:143]
	s_clause 0x2
	buffer_load_dword v142, off, s[0:3], 0 offset:332
	buffer_load_dword v88, off, s[0:3], 0 offset:308
	;; [unrolled: 1-line block ×3, first 2 shown]
	v_add_f64 v[131:132], v[131:132], v[69:70]
	v_add_f64 v[77:78], v[77:78], v[71:72]
	ds_read_b128 v[69:72], v4 offset:576
	s_waitcnt vmcnt(58) lgkmcnt(1)
	v_mul_f64 v[143:144], v[0:1], v[83:84]
	v_mul_f64 v[83:84], v[2:3], v[83:84]
	s_waitcnt vmcnt(56)
	v_fma_f64 v[81:82], v[65:66], v[89:90], -v[81:82]
	v_fma_f64 v[89:90], v[67:68], v[89:90], v[147:148]
	s_waitcnt vmcnt(52) lgkmcnt(0)
	v_mul_f64 v[149:150], v[69:70], v[91:92]
	v_add_f64 v[73:74], v[131:132], v[73:74]
	v_add_f64 v[75:76], v[77:78], v[75:76]
	s_clause 0x4
	buffer_load_dword v78, off, s[0:3], 0 offset:348
	buffer_load_dword v131, off, s[0:3], 0 offset:360
	;; [unrolled: 1-line block ×5, first 2 shown]
	v_mul_f64 v[91:92], v[71:72], v[91:92]
	s_waitcnt vmcnt(56)
	v_fma_f64 v[83:84], v[0:1], v[85:86], -v[83:84]
	ds_read_b128 v[65:68], v4 offset:592
	v_add_f64 v[73:74], v[73:74], v[81:82]
	v_fma_f64 v[81:82], v[2:3], v[85:86], v[143:144]
	v_add_f64 v[75:76], v[75:76], v[89:90]
	s_clause 0x2
	buffer_load_dword v132, off, s[0:3], 0 offset:364
	buffer_load_dword v86, off, s[0:3], 0 offset:340
	;; [unrolled: 1-line block ×3, first 2 shown]
	s_waitcnt vmcnt(58) lgkmcnt(0)
	v_mul_f64 v[89:90], v[65:66], v[93:94]
	v_mul_f64 v[93:94], v[67:68], v[93:94]
	s_waitcnt vmcnt(56)
	v_fma_f64 v[91:92], v[69:70], v[97:98], -v[91:92]
	ds_read_b128 v[0:3], v4 offset:608
	v_add_f64 v[73:74], v[73:74], v[83:84]
	v_fma_f64 v[83:84], v[71:72], v[97:98], v[149:150]
	v_add_f64 v[75:76], v[75:76], v[81:82]
	s_clause 0x4
	buffer_load_dword v82, off, s[0:3], 0 offset:380
	buffer_load_dword v97, off, s[0:3], 0 offset:392
	;; [unrolled: 1-line block ×5, first 2 shown]
	ds_read_b128 v[69:72], v4 offset:624
	s_waitcnt vmcnt(57) lgkmcnt(1)
	v_mul_f64 v[144:145], v[0:1], v[99:100]
	v_mul_f64 v[99:100], v[2:3], v[99:100]
	s_waitcnt vmcnt(56)
	v_fma_f64 v[93:94], v[65:66], v[95:96], -v[93:94]
	v_fma_f64 v[89:90], v[67:68], v[95:96], v[89:90]
	v_add_f64 v[73:74], v[73:74], v[91:92]
	v_add_f64 v[75:76], v[75:76], v[83:84]
	s_clause 0x2
	buffer_load_dword v98, off, s[0:3], 0 offset:396
	buffer_load_dword v84, off, s[0:3], 0 offset:372
	;; [unrolled: 1-line block ×3, first 2 shown]
	s_waitcnt vmcnt(58) lgkmcnt(0)
	v_mul_f64 v[95:96], v[71:72], v[101:102]
	ds_read_b128 v[65:68], v4 offset:640
	s_waitcnt vmcnt(56)
	v_fma_f64 v[99:100], v[0:1], v[105:106], -v[99:100]
	v_mul_f64 v[91:92], v[69:70], v[101:102]
	v_add_f64 v[73:74], v[73:74], v[93:94]
	v_fma_f64 v[93:94], v[2:3], v[105:106], v[144:145]
	v_add_f64 v[75:76], v[75:76], v[89:90]
	s_clause 0x4
	buffer_load_dword v90, off, s[0:3], 0 offset:412
	buffer_load_dword v101, off, s[0:3], 0 offset:424
	buffer_load_dword v105, off, s[0:3], 0 offset:416
	buffer_load_dword v89, off, s[0:3], 0 offset:408
	buffer_load_dword v144, off, s[0:3], 0 offset:388
	s_waitcnt vmcnt(57) lgkmcnt(0)
	v_mul_f64 v[150:151], v[65:66], v[107:108]
	v_mul_f64 v[106:107], v[67:68], v[107:108]
	s_waitcnt vmcnt(56)
	v_fma_f64 v[95:96], v[69:70], v[103:104], -v[95:96]
	ds_read_b128 v[0:3], v4 offset:656
	v_fma_f64 v[91:92], v[71:72], v[103:104], v[91:92]
	v_add_f64 v[73:74], v[73:74], v[99:100]
	v_add_f64 v[75:76], v[75:76], v[93:94]
	s_clause 0x2
	buffer_load_dword v102, off, s[0:3], 0 offset:428
	buffer_load_dword v94, off, s[0:3], 0 offset:404
	buffer_load_dword v93, off, s[0:3], 0 offset:400
	ds_read_b128 v[69:72], v4 offset:672
	s_waitcnt vmcnt(58) lgkmcnt(1)
	v_mul_f64 v[103:104], v[2:3], v[109:110]
	s_waitcnt vmcnt(56)
	v_fma_f64 v[107:108], v[65:66], v[113:114], -v[106:107]
	v_mul_f64 v[99:100], v[0:1], v[109:110]
	v_add_f64 v[73:74], v[73:74], v[95:96]
	v_fma_f64 v[95:96], v[67:68], v[113:114], v[150:151]
	v_add_f64 v[75:76], v[75:76], v[91:92]
	s_clause 0x4
	buffer_load_dword v92, off, s[0:3], 0 offset:444
	buffer_load_dword v109, off, s[0:3], 0 offset:456
	buffer_load_dword v113, off, s[0:3], 0 offset:448
	buffer_load_dword v91, off, s[0:3], 0 offset:440
	buffer_load_dword v106, off, s[0:3], 0 offset:420
	s_waitcnt vmcnt(57) lgkmcnt(0)
	v_mul_f64 v[150:151], v[69:70], v[115:116]
	v_mul_f64 v[114:115], v[71:72], v[115:116]
	s_waitcnt vmcnt(56)
	v_fma_f64 v[103:104], v[0:1], v[111:112], -v[103:104]
	ds_read_b128 v[65:68], v4 offset:688
	v_fma_f64 v[99:100], v[2:3], v[111:112], v[99:100]
	v_add_f64 v[73:74], v[73:74], v[107:108]
	v_add_f64 v[75:76], v[75:76], v[95:96]
	s_clause 0x2
	buffer_load_dword v110, off, s[0:3], 0 offset:460
	buffer_load_dword v96, off, s[0:3], 0 offset:436
	buffer_load_dword v95, off, s[0:3], 0 offset:432
	ds_read_b128 v[0:3], v4 offset:704
	s_waitcnt vmcnt(58) lgkmcnt(1)
	v_mul_f64 v[111:112], v[67:68], v[117:118]
	;; [unrolled: 28-line block ×3, first 2 shown]
	s_waitcnt vmcnt(56)
	v_fma_f64 v[123:124], v[0:1], v[129:130], -v[122:123]
	v_mul_f64 v[115:116], v[69:70], v[125:126]
	buffer_load_dword v122, off, s[0:3], 0 offset:484
	v_add_f64 v[73:74], v[73:74], v[111:112]
	v_fma_f64 v[111:112], v[2:3], v[129:130], v[150:151]
	v_add_f64 v[75:76], v[75:76], v[107:108]
	ds_read_b128 v[0:3], v4 offset:752
	s_waitcnt vmcnt(53) lgkmcnt(1)
	v_mul_f64 v[125:126], v[67:68], v[135:136]
	s_waitcnt vmcnt(52)
	v_fma_f64 v[119:120], v[69:70], v[127:128], -v[119:120]
	v_mul_f64 v[107:108], v[65:66], v[135:136]
	v_fma_f64 v[115:116], v[71:72], v[127:128], v[115:116]
	ds_read_b128 v[69:72], v4 offset:768
	v_add_f64 v[73:74], v[73:74], v[123:124]
	v_add_f64 v[75:76], v[75:76], v[111:112]
	s_waitcnt vmcnt(51) lgkmcnt(1)
	v_mul_f64 v[123:124], v[2:3], v[137:138]
	v_mul_f64 v[111:112], v[0:1], v[137:138]
	s_waitcnt vmcnt(49)
	v_fma_f64 v[125:126], v[65:66], v[133:134], -v[125:126]
	v_fma_f64 v[107:108], v[67:68], v[133:134], v[107:108]
	v_add_f64 v[73:74], v[73:74], v[119:120]
	v_add_f64 v[75:76], v[75:76], v[115:116]
	s_clause 0x3
	buffer_load_dword v115, off, s[0:3], 0 offset:16
	buffer_load_dword v116, off, s[0:3], 0 offset:20
	;; [unrolled: 1-line block ×4, first 2 shown]
	ds_read_b128 v[65:68], v4 offset:784
	s_waitcnt vmcnt(49) lgkmcnt(1)
	v_mul_f64 v[127:128], v[69:70], v[79:80]
	v_mul_f64 v[79:80], v[71:72], v[79:80]
	s_waitcnt vmcnt(48)
	v_fma_f64 v[123:124], v[0:1], v[139:140], -v[123:124]
	v_fma_f64 v[111:112], v[2:3], v[139:140], v[111:112]
	ds_read_b128 v[0:3], v4 offset:800
	v_add_f64 v[73:74], v[73:74], v[125:126]
	v_add_f64 v[75:76], v[75:76], v[107:108]
	s_waitcnt vmcnt(47) lgkmcnt(1)
	v_mul_f64 v[125:126], v[67:68], v[141:142]
	v_mul_f64 v[107:108], v[65:66], v[141:142]
	s_waitcnt vmcnt(45)
	v_fma_f64 v[79:80], v[69:70], v[87:88], -v[79:80]
	v_fma_f64 v[87:88], v[71:72], v[87:88], v[127:128]
	ds_read_b128 v[69:72], v4 offset:816
	v_add_f64 v[73:74], v[73:74], v[123:124]
	v_add_f64 v[75:76], v[75:76], v[111:112]
	s_waitcnt vmcnt(41) lgkmcnt(1)
	v_mul_f64 v[111:112], v[0:1], v[77:78]
	v_mul_f64 v[77:78], v[2:3], v[77:78]
	s_waitcnt vmcnt(40)
	v_fma_f64 v[123:124], v[65:66], v[146:147], -v[125:126]
	v_add_f64 v[73:74], v[73:74], v[79:80]
	v_fma_f64 v[79:80], v[67:68], v[146:147], v[107:108]
	v_add_f64 v[75:76], v[75:76], v[87:88]
	ds_read_b128 v[65:68], v4 offset:832
	s_waitcnt vmcnt(39) lgkmcnt(1)
	v_mul_f64 v[107:108], v[71:72], v[131:132]
	v_mul_f64 v[87:88], v[69:70], v[131:132]
	s_waitcnt vmcnt(37)
	v_fma_f64 v[77:78], v[0:1], v[85:86], -v[77:78]
	v_fma_f64 v[85:86], v[2:3], v[85:86], v[111:112]
	ds_read_b128 v[0:3], v4 offset:848
	v_add_f64 v[73:74], v[73:74], v[123:124]
	v_add_f64 v[75:76], v[75:76], v[79:80]
	s_waitcnt vmcnt(33) lgkmcnt(1)
	v_mul_f64 v[79:80], v[65:66], v[81:82]
	v_mul_f64 v[81:82], v[67:68], v[81:82]
	s_waitcnt vmcnt(32)
	v_fma_f64 v[107:108], v[69:70], v[148:149], -v[107:108]
	v_add_f64 v[73:74], v[73:74], v[77:78]
	v_fma_f64 v[77:78], v[71:72], v[148:149], v[87:88]
	v_add_f64 v[75:76], v[75:76], v[85:86]
	ds_read_b128 v[69:72], v4 offset:864
	s_waitcnt vmcnt(31) lgkmcnt(1)
	v_mul_f64 v[87:88], v[2:3], v[97:98]
	v_mul_f64 v[85:86], v[0:1], v[97:98]
	s_waitcnt vmcnt(29)
	v_fma_f64 v[81:82], v[65:66], v[83:84], -v[81:82]
	v_fma_f64 v[79:80], v[67:68], v[83:84], v[79:80]
	ds_read_b128 v[65:68], v4 offset:880
	v_add_f64 v[73:74], v[73:74], v[107:108]
	v_add_f64 v[75:76], v[75:76], v[77:78]
	s_waitcnt vmcnt(25) lgkmcnt(1)
	v_mul_f64 v[83:84], v[71:72], v[89:90]
	s_waitcnt vmcnt(24)
	v_fma_f64 v[87:88], v[0:1], v[143:144], -v[87:88]
	v_mul_f64 v[77:78], v[69:70], v[89:90]
	v_add_f64 v[73:74], v[73:74], v[81:82]
	v_fma_f64 v[81:82], v[2:3], v[143:144], v[85:86]
	v_add_f64 v[75:76], v[75:76], v[79:80]
	ds_read_b128 v[0:3], v4 offset:896
	s_waitcnt vmcnt(23) lgkmcnt(1)
	v_mul_f64 v[85:86], v[67:68], v[101:102]
	v_mul_f64 v[79:80], v[65:66], v[101:102]
	s_waitcnt vmcnt(21)
	v_fma_f64 v[83:84], v[69:70], v[93:94], -v[83:84]
	v_fma_f64 v[77:78], v[71:72], v[93:94], v[77:78]
	ds_read_b128 v[69:72], v4 offset:912
	v_add_f64 v[73:74], v[73:74], v[87:88]
	v_add_f64 v[75:76], v[75:76], v[81:82]
	s_waitcnt vmcnt(17) lgkmcnt(1)
	v_mul_f64 v[87:88], v[2:3], v[91:92]
	s_waitcnt vmcnt(16)
	v_fma_f64 v[85:86], v[65:66], v[105:106], -v[85:86]
	v_mul_f64 v[81:82], v[0:1], v[91:92]
	v_fma_f64 v[79:80], v[67:68], v[105:106], v[79:80]
	ds_read_b128 v[65:68], v4 offset:928
	v_add_f64 v[73:74], v[73:74], v[83:84]
	v_add_f64 v[75:76], v[75:76], v[77:78]
	s_waitcnt vmcnt(15) lgkmcnt(1)
	v_mul_f64 v[83:84], v[71:72], v[109:110]
	v_mul_f64 v[77:78], v[69:70], v[109:110]
	s_waitcnt vmcnt(13)
	v_fma_f64 v[87:88], v[0:1], v[95:96], -v[87:88]
	v_fma_f64 v[81:82], v[2:3], v[95:96], v[81:82]
	ds_read_b128 v[0:3], v4 offset:944
	v_add_f64 v[73:74], v[73:74], v[85:86]
	v_add_f64 v[75:76], v[75:76], v[79:80]
	s_waitcnt vmcnt(9) lgkmcnt(1)
	v_mul_f64 v[85:86], v[67:68], v[99:100]
	s_waitcnt vmcnt(8)
	v_fma_f64 v[69:70], v[69:70], v[113:114], -v[83:84]
	v_mul_f64 v[79:80], v[65:66], v[99:100]
	v_fma_f64 v[71:72], v[71:72], v[113:114], v[77:78]
	v_add_f64 v[73:74], v[73:74], v[87:88]
	v_add_f64 v[75:76], v[75:76], v[81:82]
	s_waitcnt vmcnt(7) lgkmcnt(0)
	v_mul_f64 v[81:82], v[2:3], v[117:118]
	v_mul_f64 v[77:78], v[0:1], v[117:118]
	s_waitcnt vmcnt(5)
	v_fma_f64 v[65:66], v[65:66], v[103:104], -v[85:86]
	v_fma_f64 v[67:68], v[67:68], v[103:104], v[79:80]
	v_add_f64 v[69:70], v[73:74], v[69:70]
	v_add_f64 v[71:72], v[75:76], v[71:72]
	s_waitcnt vmcnt(4)
	v_fma_f64 v[0:1], v[0:1], v[121:122], -v[81:82]
	v_fma_f64 v[2:3], v[2:3], v[121:122], v[77:78]
	v_add_f64 v[65:66], v[69:70], v[65:66]
	v_add_f64 v[67:68], v[71:72], v[67:68]
	;; [unrolled: 1-line block ×4, first 2 shown]
	s_waitcnt vmcnt(2)
	v_add_f64 v[0:1], v[115:116], -v[0:1]
	s_waitcnt vmcnt(0)
	v_add_f64 v[2:3], v[119:120], -v[2:3]
	buffer_store_dword v1, off, s[0:3], 0 offset:20
	buffer_store_dword v0, off, s[0:3], 0 offset:16
	;; [unrolled: 1-line block ×4, first 2 shown]
	s_cbranch_vccz .LBB29_252
; %bb.194:
	global_load_dword v0, v4, s[20:21] offset:112
	s_waitcnt vmcnt(0)
	v_add_nc_u32_e32 v0, -1, v0
	v_cmp_ne_u32_e32 vcc_lo, 28, v0
	s_cbranch_vccz .LBB29_196
; %bb.195:
	v_lshlrev_b32_e32 v0, 4, v0
	v_mov_b32_e32 v1, s9
	v_add_nc_u32_e32 v0, 16, v0
	s_clause 0x7
	buffer_load_dword v2, v0, s[0:3], 0 offen
	buffer_load_dword v3, v0, s[0:3], 0 offen offset:4
	buffer_load_dword v4, v0, s[0:3], 0 offen offset:8
	;; [unrolled: 1-line block ×6, first 2 shown]
	buffer_load_dword v69, v1, s[0:3], 0 offen
	s_waitcnt vmcnt(7)
	buffer_store_dword v2, v1, s[0:3], 0 offen
	s_waitcnt vmcnt(6)
	buffer_store_dword v3, v1, s[0:3], 0 offen offset:4
	s_waitcnt vmcnt(5)
	buffer_store_dword v4, v1, s[0:3], 0 offen offset:8
	;; [unrolled: 2-line block ×6, first 2 shown]
	s_waitcnt vmcnt(0)
	buffer_store_dword v69, v0, s[0:3], 0 offen
.LBB29_196:
	v_mov_b32_e32 v0, 0
	global_load_dword v1, v0, s[20:21] offset:108
	s_waitcnt vmcnt(0)
	v_add_nc_u32_e32 v1, -1, v1
	v_cmp_eq_u32_e32 vcc_lo, 27, v1
	s_cbranch_vccnz .LBB29_198
; %bb.197:
	v_lshlrev_b32_e32 v1, 4, v1
	v_mov_b32_e32 v2, s12
	v_add_nc_u32_e32 v1, 16, v1
	s_clause 0x7
	buffer_load_dword v3, v1, s[0:3], 0 offen
	buffer_load_dword v4, v1, s[0:3], 0 offen offset:4
	buffer_load_dword v65, v1, s[0:3], 0 offen offset:8
	;; [unrolled: 1-line block ×6, first 2 shown]
	buffer_load_dword v70, v2, s[0:3], 0 offen
	s_waitcnt vmcnt(7)
	buffer_store_dword v3, v2, s[0:3], 0 offen
	s_waitcnt vmcnt(6)
	buffer_store_dword v4, v2, s[0:3], 0 offen offset:4
	s_waitcnt vmcnt(5)
	buffer_store_dword v65, v2, s[0:3], 0 offen offset:8
	s_waitcnt vmcnt(4)
	buffer_store_dword v66, v2, s[0:3], 0 offen offset:12
	s_waitcnt vmcnt(3)
	buffer_store_dword v67, v1, s[0:3], 0 offen offset:12
	s_waitcnt vmcnt(2)
	buffer_store_dword v68, v1, s[0:3], 0 offen offset:8
	s_waitcnt vmcnt(1)
	buffer_store_dword v69, v1, s[0:3], 0 offen offset:4
	s_waitcnt vmcnt(0)
	buffer_store_dword v70, v1, s[0:3], 0 offen
.LBB29_198:
	global_load_dword v0, v0, s[20:21] offset:104
	s_waitcnt vmcnt(0)
	v_add_nc_u32_e32 v0, -1, v0
	v_cmp_eq_u32_e32 vcc_lo, 26, v0
	s_cbranch_vccnz .LBB29_200
; %bb.199:
	v_lshlrev_b32_e32 v0, 4, v0
	v_mov_b32_e32 v1, s13
	v_add_nc_u32_e32 v0, 16, v0
	s_clause 0x7
	buffer_load_dword v2, v0, s[0:3], 0 offen
	buffer_load_dword v3, v0, s[0:3], 0 offen offset:4
	buffer_load_dword v4, v0, s[0:3], 0 offen offset:8
	;; [unrolled: 1-line block ×6, first 2 shown]
	buffer_load_dword v69, v1, s[0:3], 0 offen
	s_waitcnt vmcnt(7)
	buffer_store_dword v2, v1, s[0:3], 0 offen
	s_waitcnt vmcnt(6)
	buffer_store_dword v3, v1, s[0:3], 0 offen offset:4
	s_waitcnt vmcnt(5)
	buffer_store_dword v4, v1, s[0:3], 0 offen offset:8
	;; [unrolled: 2-line block ×6, first 2 shown]
	s_waitcnt vmcnt(0)
	buffer_store_dword v69, v0, s[0:3], 0 offen
.LBB29_200:
	v_mov_b32_e32 v0, 0
	global_load_dword v1, v0, s[20:21] offset:100
	s_waitcnt vmcnt(0)
	v_add_nc_u32_e32 v1, -1, v1
	v_cmp_eq_u32_e32 vcc_lo, 25, v1
	s_cbranch_vccnz .LBB29_202
; %bb.201:
	v_lshlrev_b32_e32 v1, 4, v1
	v_mov_b32_e32 v2, s14
	v_add_nc_u32_e32 v1, 16, v1
	s_clause 0x7
	buffer_load_dword v3, v1, s[0:3], 0 offen
	buffer_load_dword v4, v1, s[0:3], 0 offen offset:4
	buffer_load_dword v65, v1, s[0:3], 0 offen offset:8
	;; [unrolled: 1-line block ×6, first 2 shown]
	buffer_load_dword v70, v2, s[0:3], 0 offen
	s_waitcnt vmcnt(7)
	buffer_store_dword v3, v2, s[0:3], 0 offen
	s_waitcnt vmcnt(6)
	buffer_store_dword v4, v2, s[0:3], 0 offen offset:4
	s_waitcnt vmcnt(5)
	buffer_store_dword v65, v2, s[0:3], 0 offen offset:8
	;; [unrolled: 2-line block ×6, first 2 shown]
	s_waitcnt vmcnt(0)
	buffer_store_dword v70, v1, s[0:3], 0 offen
.LBB29_202:
	global_load_dword v0, v0, s[20:21] offset:96
	s_waitcnt vmcnt(0)
	v_add_nc_u32_e32 v0, -1, v0
	v_cmp_eq_u32_e32 vcc_lo, 24, v0
	s_cbranch_vccnz .LBB29_204
; %bb.203:
	v_lshlrev_b32_e32 v0, 4, v0
	v_mov_b32_e32 v1, s15
	v_add_nc_u32_e32 v0, 16, v0
	s_clause 0x7
	buffer_load_dword v2, v0, s[0:3], 0 offen
	buffer_load_dword v3, v0, s[0:3], 0 offen offset:4
	buffer_load_dword v4, v0, s[0:3], 0 offen offset:8
	;; [unrolled: 1-line block ×6, first 2 shown]
	buffer_load_dword v69, v1, s[0:3], 0 offen
	s_waitcnt vmcnt(7)
	buffer_store_dword v2, v1, s[0:3], 0 offen
	s_waitcnt vmcnt(6)
	buffer_store_dword v3, v1, s[0:3], 0 offen offset:4
	s_waitcnt vmcnt(5)
	buffer_store_dword v4, v1, s[0:3], 0 offen offset:8
	;; [unrolled: 2-line block ×6, first 2 shown]
	s_waitcnt vmcnt(0)
	buffer_store_dword v69, v0, s[0:3], 0 offen
.LBB29_204:
	v_mov_b32_e32 v0, 0
	global_load_dword v1, v0, s[20:21] offset:92
	s_waitcnt vmcnt(0)
	v_add_nc_u32_e32 v1, -1, v1
	v_cmp_eq_u32_e32 vcc_lo, 23, v1
	s_cbranch_vccnz .LBB29_206
; %bb.205:
	v_lshlrev_b32_e32 v1, 4, v1
	v_mov_b32_e32 v2, s16
	v_add_nc_u32_e32 v1, 16, v1
	s_clause 0x7
	buffer_load_dword v3, v1, s[0:3], 0 offen
	buffer_load_dword v4, v1, s[0:3], 0 offen offset:4
	buffer_load_dword v65, v1, s[0:3], 0 offen offset:8
	;; [unrolled: 1-line block ×6, first 2 shown]
	buffer_load_dword v70, v2, s[0:3], 0 offen
	s_waitcnt vmcnt(7)
	buffer_store_dword v3, v2, s[0:3], 0 offen
	s_waitcnt vmcnt(6)
	buffer_store_dword v4, v2, s[0:3], 0 offen offset:4
	s_waitcnt vmcnt(5)
	buffer_store_dword v65, v2, s[0:3], 0 offen offset:8
	;; [unrolled: 2-line block ×6, first 2 shown]
	s_waitcnt vmcnt(0)
	buffer_store_dword v70, v1, s[0:3], 0 offen
.LBB29_206:
	global_load_dword v0, v0, s[20:21] offset:88
	s_waitcnt vmcnt(0)
	v_add_nc_u32_e32 v0, -1, v0
	v_cmp_eq_u32_e32 vcc_lo, 22, v0
	s_cbranch_vccnz .LBB29_208
; %bb.207:
	v_lshlrev_b32_e32 v0, 4, v0
	v_mov_b32_e32 v1, s17
	v_add_nc_u32_e32 v0, 16, v0
	s_clause 0x7
	buffer_load_dword v2, v0, s[0:3], 0 offen
	buffer_load_dword v3, v0, s[0:3], 0 offen offset:4
	buffer_load_dword v4, v0, s[0:3], 0 offen offset:8
	;; [unrolled: 1-line block ×6, first 2 shown]
	buffer_load_dword v69, v1, s[0:3], 0 offen
	s_waitcnt vmcnt(7)
	buffer_store_dword v2, v1, s[0:3], 0 offen
	s_waitcnt vmcnt(6)
	buffer_store_dword v3, v1, s[0:3], 0 offen offset:4
	s_waitcnt vmcnt(5)
	buffer_store_dword v4, v1, s[0:3], 0 offen offset:8
	;; [unrolled: 2-line block ×6, first 2 shown]
	s_waitcnt vmcnt(0)
	buffer_store_dword v69, v0, s[0:3], 0 offen
.LBB29_208:
	v_mov_b32_e32 v0, 0
	global_load_dword v1, v0, s[20:21] offset:84
	s_waitcnt vmcnt(0)
	v_add_nc_u32_e32 v1, -1, v1
	v_cmp_eq_u32_e32 vcc_lo, 21, v1
	s_cbranch_vccnz .LBB29_210
; %bb.209:
	v_lshlrev_b32_e32 v1, 4, v1
	v_mov_b32_e32 v2, s18
	v_add_nc_u32_e32 v1, 16, v1
	s_clause 0x7
	buffer_load_dword v3, v1, s[0:3], 0 offen
	buffer_load_dword v4, v1, s[0:3], 0 offen offset:4
	buffer_load_dword v65, v1, s[0:3], 0 offen offset:8
	;; [unrolled: 1-line block ×6, first 2 shown]
	buffer_load_dword v70, v2, s[0:3], 0 offen
	s_waitcnt vmcnt(7)
	buffer_store_dword v3, v2, s[0:3], 0 offen
	s_waitcnt vmcnt(6)
	buffer_store_dword v4, v2, s[0:3], 0 offen offset:4
	s_waitcnt vmcnt(5)
	buffer_store_dword v65, v2, s[0:3], 0 offen offset:8
	;; [unrolled: 2-line block ×6, first 2 shown]
	s_waitcnt vmcnt(0)
	buffer_store_dword v70, v1, s[0:3], 0 offen
.LBB29_210:
	global_load_dword v0, v0, s[20:21] offset:80
	s_waitcnt vmcnt(0)
	v_add_nc_u32_e32 v0, -1, v0
	v_cmp_eq_u32_e32 vcc_lo, 20, v0
	s_cbranch_vccnz .LBB29_212
; %bb.211:
	v_lshlrev_b32_e32 v0, 4, v0
	v_mov_b32_e32 v1, s19
	v_add_nc_u32_e32 v0, 16, v0
	s_clause 0x7
	buffer_load_dword v2, v0, s[0:3], 0 offen
	buffer_load_dword v3, v0, s[0:3], 0 offen offset:4
	buffer_load_dword v4, v0, s[0:3], 0 offen offset:8
	;; [unrolled: 1-line block ×6, first 2 shown]
	buffer_load_dword v69, v1, s[0:3], 0 offen
	s_waitcnt vmcnt(7)
	buffer_store_dword v2, v1, s[0:3], 0 offen
	s_waitcnt vmcnt(6)
	buffer_store_dword v3, v1, s[0:3], 0 offen offset:4
	s_waitcnt vmcnt(5)
	buffer_store_dword v4, v1, s[0:3], 0 offen offset:8
	;; [unrolled: 2-line block ×6, first 2 shown]
	s_waitcnt vmcnt(0)
	buffer_store_dword v69, v0, s[0:3], 0 offen
.LBB29_212:
	v_mov_b32_e32 v0, 0
	global_load_dword v1, v0, s[20:21] offset:76
	s_waitcnt vmcnt(0)
	v_add_nc_u32_e32 v1, -1, v1
	v_cmp_eq_u32_e32 vcc_lo, 19, v1
	s_cbranch_vccnz .LBB29_214
; %bb.213:
	v_lshlrev_b32_e32 v1, 4, v1
	v_mov_b32_e32 v2, s22
	v_add_nc_u32_e32 v1, 16, v1
	s_clause 0x7
	buffer_load_dword v3, v1, s[0:3], 0 offen
	buffer_load_dword v4, v1, s[0:3], 0 offen offset:4
	buffer_load_dword v65, v1, s[0:3], 0 offen offset:8
	;; [unrolled: 1-line block ×6, first 2 shown]
	buffer_load_dword v70, v2, s[0:3], 0 offen
	s_waitcnt vmcnt(7)
	buffer_store_dword v3, v2, s[0:3], 0 offen
	s_waitcnt vmcnt(6)
	buffer_store_dword v4, v2, s[0:3], 0 offen offset:4
	s_waitcnt vmcnt(5)
	buffer_store_dword v65, v2, s[0:3], 0 offen offset:8
	;; [unrolled: 2-line block ×6, first 2 shown]
	s_waitcnt vmcnt(0)
	buffer_store_dword v70, v1, s[0:3], 0 offen
.LBB29_214:
	global_load_dword v0, v0, s[20:21] offset:72
	s_waitcnt vmcnt(0)
	v_add_nc_u32_e32 v0, -1, v0
	v_cmp_eq_u32_e32 vcc_lo, 18, v0
	s_cbranch_vccnz .LBB29_216
; %bb.215:
	v_lshlrev_b32_e32 v0, 4, v0
	v_mov_b32_e32 v1, s23
	v_add_nc_u32_e32 v0, 16, v0
	s_clause 0x7
	buffer_load_dword v2, v0, s[0:3], 0 offen
	buffer_load_dword v3, v0, s[0:3], 0 offen offset:4
	buffer_load_dword v4, v0, s[0:3], 0 offen offset:8
	;; [unrolled: 1-line block ×6, first 2 shown]
	buffer_load_dword v69, v1, s[0:3], 0 offen
	s_waitcnt vmcnt(7)
	buffer_store_dword v2, v1, s[0:3], 0 offen
	s_waitcnt vmcnt(6)
	buffer_store_dword v3, v1, s[0:3], 0 offen offset:4
	s_waitcnt vmcnt(5)
	buffer_store_dword v4, v1, s[0:3], 0 offen offset:8
	;; [unrolled: 2-line block ×6, first 2 shown]
	s_waitcnt vmcnt(0)
	buffer_store_dword v69, v0, s[0:3], 0 offen
.LBB29_216:
	v_mov_b32_e32 v0, 0
	global_load_dword v1, v0, s[20:21] offset:68
	s_waitcnt vmcnt(0)
	v_add_nc_u32_e32 v1, -1, v1
	v_cmp_eq_u32_e32 vcc_lo, 17, v1
	s_cbranch_vccnz .LBB29_218
; %bb.217:
	v_lshlrev_b32_e32 v1, 4, v1
	v_mov_b32_e32 v2, s24
	v_add_nc_u32_e32 v1, 16, v1
	s_clause 0x7
	buffer_load_dword v3, v1, s[0:3], 0 offen
	buffer_load_dword v4, v1, s[0:3], 0 offen offset:4
	buffer_load_dword v65, v1, s[0:3], 0 offen offset:8
	;; [unrolled: 1-line block ×6, first 2 shown]
	buffer_load_dword v70, v2, s[0:3], 0 offen
	s_waitcnt vmcnt(7)
	buffer_store_dword v3, v2, s[0:3], 0 offen
	s_waitcnt vmcnt(6)
	buffer_store_dword v4, v2, s[0:3], 0 offen offset:4
	s_waitcnt vmcnt(5)
	buffer_store_dword v65, v2, s[0:3], 0 offen offset:8
	;; [unrolled: 2-line block ×6, first 2 shown]
	s_waitcnt vmcnt(0)
	buffer_store_dword v70, v1, s[0:3], 0 offen
.LBB29_218:
	global_load_dword v0, v0, s[20:21] offset:64
	s_waitcnt vmcnt(0)
	v_add_nc_u32_e32 v0, -1, v0
	v_cmp_eq_u32_e32 vcc_lo, 16, v0
	s_cbranch_vccnz .LBB29_220
; %bb.219:
	v_lshlrev_b32_e32 v0, 4, v0
	v_mov_b32_e32 v1, s25
	v_add_nc_u32_e32 v0, 16, v0
	s_clause 0x7
	buffer_load_dword v2, v0, s[0:3], 0 offen
	buffer_load_dword v3, v0, s[0:3], 0 offen offset:4
	buffer_load_dword v4, v0, s[0:3], 0 offen offset:8
	;; [unrolled: 1-line block ×6, first 2 shown]
	buffer_load_dword v69, v1, s[0:3], 0 offen
	s_waitcnt vmcnt(7)
	buffer_store_dword v2, v1, s[0:3], 0 offen
	s_waitcnt vmcnt(6)
	buffer_store_dword v3, v1, s[0:3], 0 offen offset:4
	s_waitcnt vmcnt(5)
	buffer_store_dword v4, v1, s[0:3], 0 offen offset:8
	;; [unrolled: 2-line block ×6, first 2 shown]
	s_waitcnt vmcnt(0)
	buffer_store_dword v69, v0, s[0:3], 0 offen
.LBB29_220:
	v_mov_b32_e32 v0, 0
	global_load_dword v1, v0, s[20:21] offset:60
	s_waitcnt vmcnt(0)
	v_add_nc_u32_e32 v1, -1, v1
	v_cmp_eq_u32_e32 vcc_lo, 15, v1
	s_cbranch_vccnz .LBB29_222
; %bb.221:
	v_lshlrev_b32_e32 v1, 4, v1
	v_mov_b32_e32 v2, s26
	v_add_nc_u32_e32 v1, 16, v1
	s_clause 0x7
	buffer_load_dword v3, v1, s[0:3], 0 offen
	buffer_load_dword v4, v1, s[0:3], 0 offen offset:4
	buffer_load_dword v65, v1, s[0:3], 0 offen offset:8
	;; [unrolled: 1-line block ×6, first 2 shown]
	buffer_load_dword v70, v2, s[0:3], 0 offen
	s_waitcnt vmcnt(7)
	buffer_store_dword v3, v2, s[0:3], 0 offen
	s_waitcnt vmcnt(6)
	buffer_store_dword v4, v2, s[0:3], 0 offen offset:4
	s_waitcnt vmcnt(5)
	buffer_store_dword v65, v2, s[0:3], 0 offen offset:8
	;; [unrolled: 2-line block ×6, first 2 shown]
	s_waitcnt vmcnt(0)
	buffer_store_dword v70, v1, s[0:3], 0 offen
.LBB29_222:
	global_load_dword v0, v0, s[20:21] offset:56
	s_waitcnt vmcnt(0)
	v_add_nc_u32_e32 v0, -1, v0
	v_cmp_eq_u32_e32 vcc_lo, 14, v0
	s_cbranch_vccnz .LBB29_224
; %bb.223:
	v_lshlrev_b32_e32 v0, 4, v0
	v_mov_b32_e32 v1, s27
	v_add_nc_u32_e32 v0, 16, v0
	s_clause 0x7
	buffer_load_dword v2, v0, s[0:3], 0 offen
	buffer_load_dword v3, v0, s[0:3], 0 offen offset:4
	buffer_load_dword v4, v0, s[0:3], 0 offen offset:8
	;; [unrolled: 1-line block ×6, first 2 shown]
	buffer_load_dword v69, v1, s[0:3], 0 offen
	s_waitcnt vmcnt(7)
	buffer_store_dword v2, v1, s[0:3], 0 offen
	s_waitcnt vmcnt(6)
	buffer_store_dword v3, v1, s[0:3], 0 offen offset:4
	s_waitcnt vmcnt(5)
	buffer_store_dword v4, v1, s[0:3], 0 offen offset:8
	;; [unrolled: 2-line block ×6, first 2 shown]
	s_waitcnt vmcnt(0)
	buffer_store_dword v69, v0, s[0:3], 0 offen
.LBB29_224:
	v_mov_b32_e32 v0, 0
	global_load_dword v1, v0, s[20:21] offset:52
	s_waitcnt vmcnt(0)
	v_add_nc_u32_e32 v1, -1, v1
	v_cmp_eq_u32_e32 vcc_lo, 13, v1
	s_cbranch_vccnz .LBB29_226
; %bb.225:
	v_lshlrev_b32_e32 v1, 4, v1
	v_mov_b32_e32 v2, s28
	v_add_nc_u32_e32 v1, 16, v1
	s_clause 0x7
	buffer_load_dword v3, v1, s[0:3], 0 offen
	buffer_load_dword v4, v1, s[0:3], 0 offen offset:4
	buffer_load_dword v65, v1, s[0:3], 0 offen offset:8
	;; [unrolled: 1-line block ×6, first 2 shown]
	buffer_load_dword v70, v2, s[0:3], 0 offen
	s_waitcnt vmcnt(7)
	buffer_store_dword v3, v2, s[0:3], 0 offen
	s_waitcnt vmcnt(6)
	buffer_store_dword v4, v2, s[0:3], 0 offen offset:4
	s_waitcnt vmcnt(5)
	buffer_store_dword v65, v2, s[0:3], 0 offen offset:8
	;; [unrolled: 2-line block ×6, first 2 shown]
	s_waitcnt vmcnt(0)
	buffer_store_dword v70, v1, s[0:3], 0 offen
.LBB29_226:
	global_load_dword v0, v0, s[20:21] offset:48
	s_waitcnt vmcnt(0)
	v_add_nc_u32_e32 v0, -1, v0
	v_cmp_eq_u32_e32 vcc_lo, 12, v0
	s_cbranch_vccnz .LBB29_228
; %bb.227:
	v_lshlrev_b32_e32 v0, 4, v0
	v_mov_b32_e32 v1, s29
	v_add_nc_u32_e32 v0, 16, v0
	s_clause 0x7
	buffer_load_dword v2, v0, s[0:3], 0 offen
	buffer_load_dword v3, v0, s[0:3], 0 offen offset:4
	buffer_load_dword v4, v0, s[0:3], 0 offen offset:8
	;; [unrolled: 1-line block ×6, first 2 shown]
	buffer_load_dword v69, v1, s[0:3], 0 offen
	s_waitcnt vmcnt(7)
	buffer_store_dword v2, v1, s[0:3], 0 offen
	s_waitcnt vmcnt(6)
	buffer_store_dword v3, v1, s[0:3], 0 offen offset:4
	s_waitcnt vmcnt(5)
	buffer_store_dword v4, v1, s[0:3], 0 offen offset:8
	;; [unrolled: 2-line block ×6, first 2 shown]
	s_waitcnt vmcnt(0)
	buffer_store_dword v69, v0, s[0:3], 0 offen
.LBB29_228:
	v_mov_b32_e32 v0, 0
	global_load_dword v1, v0, s[20:21] offset:44
	s_waitcnt vmcnt(0)
	v_add_nc_u32_e32 v1, -1, v1
	v_cmp_eq_u32_e32 vcc_lo, 11, v1
	s_cbranch_vccnz .LBB29_230
; %bb.229:
	v_lshlrev_b32_e32 v1, 4, v1
	v_mov_b32_e32 v2, s30
	v_add_nc_u32_e32 v1, 16, v1
	s_clause 0x7
	buffer_load_dword v3, v1, s[0:3], 0 offen
	buffer_load_dword v4, v1, s[0:3], 0 offen offset:4
	buffer_load_dword v65, v1, s[0:3], 0 offen offset:8
	;; [unrolled: 1-line block ×6, first 2 shown]
	buffer_load_dword v70, v2, s[0:3], 0 offen
	s_waitcnt vmcnt(7)
	buffer_store_dword v3, v2, s[0:3], 0 offen
	s_waitcnt vmcnt(6)
	buffer_store_dword v4, v2, s[0:3], 0 offen offset:4
	s_waitcnt vmcnt(5)
	buffer_store_dword v65, v2, s[0:3], 0 offen offset:8
	;; [unrolled: 2-line block ×6, first 2 shown]
	s_waitcnt vmcnt(0)
	buffer_store_dword v70, v1, s[0:3], 0 offen
.LBB29_230:
	global_load_dword v0, v0, s[20:21] offset:40
	s_waitcnt vmcnt(0)
	v_add_nc_u32_e32 v0, -1, v0
	v_cmp_eq_u32_e32 vcc_lo, 10, v0
	s_cbranch_vccnz .LBB29_232
; %bb.231:
	v_lshlrev_b32_e32 v0, 4, v0
	v_mov_b32_e32 v1, s31
	v_add_nc_u32_e32 v0, 16, v0
	s_clause 0x7
	buffer_load_dword v2, v0, s[0:3], 0 offen
	buffer_load_dword v3, v0, s[0:3], 0 offen offset:4
	buffer_load_dword v4, v0, s[0:3], 0 offen offset:8
	;; [unrolled: 1-line block ×6, first 2 shown]
	buffer_load_dword v69, v1, s[0:3], 0 offen
	s_waitcnt vmcnt(7)
	buffer_store_dword v2, v1, s[0:3], 0 offen
	s_waitcnt vmcnt(6)
	buffer_store_dword v3, v1, s[0:3], 0 offen offset:4
	s_waitcnt vmcnt(5)
	buffer_store_dword v4, v1, s[0:3], 0 offen offset:8
	s_waitcnt vmcnt(4)
	buffer_store_dword v65, v1, s[0:3], 0 offen offset:12
	s_waitcnt vmcnt(3)
	buffer_store_dword v66, v0, s[0:3], 0 offen offset:12
	s_waitcnt vmcnt(2)
	buffer_store_dword v67, v0, s[0:3], 0 offen offset:8
	s_waitcnt vmcnt(1)
	buffer_store_dword v68, v0, s[0:3], 0 offen offset:4
	s_waitcnt vmcnt(0)
	buffer_store_dword v69, v0, s[0:3], 0 offen
.LBB29_232:
	v_mov_b32_e32 v0, 0
	global_load_dword v1, v0, s[20:21] offset:36
	s_waitcnt vmcnt(0)
	v_add_nc_u32_e32 v1, -1, v1
	v_cmp_eq_u32_e32 vcc_lo, 9, v1
	s_cbranch_vccnz .LBB29_234
; %bb.233:
	v_lshlrev_b32_e32 v1, 4, v1
	v_mov_b32_e32 v2, s33
	v_add_nc_u32_e32 v1, 16, v1
	s_clause 0x7
	buffer_load_dword v3, v1, s[0:3], 0 offen
	buffer_load_dword v4, v1, s[0:3], 0 offen offset:4
	buffer_load_dword v65, v1, s[0:3], 0 offen offset:8
	;; [unrolled: 1-line block ×6, first 2 shown]
	buffer_load_dword v70, v2, s[0:3], 0 offen
	s_waitcnt vmcnt(7)
	buffer_store_dword v3, v2, s[0:3], 0 offen
	s_waitcnt vmcnt(6)
	buffer_store_dword v4, v2, s[0:3], 0 offen offset:4
	s_waitcnt vmcnt(5)
	buffer_store_dword v65, v2, s[0:3], 0 offen offset:8
	s_waitcnt vmcnt(4)
	buffer_store_dword v66, v2, s[0:3], 0 offen offset:12
	s_waitcnt vmcnt(3)
	buffer_store_dword v67, v1, s[0:3], 0 offen offset:12
	s_waitcnt vmcnt(2)
	buffer_store_dword v68, v1, s[0:3], 0 offen offset:8
	s_waitcnt vmcnt(1)
	buffer_store_dword v69, v1, s[0:3], 0 offen offset:4
	s_waitcnt vmcnt(0)
	buffer_store_dword v70, v1, s[0:3], 0 offen
.LBB29_234:
	global_load_dword v0, v0, s[20:21] offset:32
	s_waitcnt vmcnt(0)
	v_add_nc_u32_e32 v0, -1, v0
	v_cmp_eq_u32_e32 vcc_lo, 8, v0
	s_cbranch_vccnz .LBB29_236
; %bb.235:
	v_lshlrev_b32_e32 v0, 4, v0
	v_mov_b32_e32 v1, s34
	v_add_nc_u32_e32 v0, 16, v0
	s_clause 0x7
	buffer_load_dword v2, v0, s[0:3], 0 offen
	buffer_load_dword v3, v0, s[0:3], 0 offen offset:4
	buffer_load_dword v4, v0, s[0:3], 0 offen offset:8
	buffer_load_dword v65, v0, s[0:3], 0 offen offset:12
	buffer_load_dword v66, v1, s[0:3], 0 offen offset:12
	buffer_load_dword v67, v1, s[0:3], 0 offen offset:8
	buffer_load_dword v68, v1, s[0:3], 0 offen offset:4
	buffer_load_dword v69, v1, s[0:3], 0 offen
	s_waitcnt vmcnt(7)
	buffer_store_dword v2, v1, s[0:3], 0 offen
	s_waitcnt vmcnt(6)
	buffer_store_dword v3, v1, s[0:3], 0 offen offset:4
	s_waitcnt vmcnt(5)
	buffer_store_dword v4, v1, s[0:3], 0 offen offset:8
	;; [unrolled: 2-line block ×6, first 2 shown]
	s_waitcnt vmcnt(0)
	buffer_store_dword v69, v0, s[0:3], 0 offen
.LBB29_236:
	v_mov_b32_e32 v0, 0
	global_load_dword v1, v0, s[20:21] offset:28
	s_waitcnt vmcnt(0)
	v_add_nc_u32_e32 v1, -1, v1
	v_cmp_eq_u32_e32 vcc_lo, 7, v1
	s_cbranch_vccnz .LBB29_238
; %bb.237:
	v_lshlrev_b32_e32 v1, 4, v1
	v_mov_b32_e32 v2, s35
	v_add_nc_u32_e32 v1, 16, v1
	s_clause 0x7
	buffer_load_dword v3, v1, s[0:3], 0 offen
	buffer_load_dword v4, v1, s[0:3], 0 offen offset:4
	buffer_load_dword v65, v1, s[0:3], 0 offen offset:8
	;; [unrolled: 1-line block ×6, first 2 shown]
	buffer_load_dword v70, v2, s[0:3], 0 offen
	s_waitcnt vmcnt(7)
	buffer_store_dword v3, v2, s[0:3], 0 offen
	s_waitcnt vmcnt(6)
	buffer_store_dword v4, v2, s[0:3], 0 offen offset:4
	s_waitcnt vmcnt(5)
	buffer_store_dword v65, v2, s[0:3], 0 offen offset:8
	;; [unrolled: 2-line block ×6, first 2 shown]
	s_waitcnt vmcnt(0)
	buffer_store_dword v70, v1, s[0:3], 0 offen
.LBB29_238:
	global_load_dword v0, v0, s[20:21] offset:24
	s_waitcnt vmcnt(0)
	v_add_nc_u32_e32 v0, -1, v0
	v_cmp_eq_u32_e32 vcc_lo, 6, v0
	s_cbranch_vccnz .LBB29_240
; %bb.239:
	v_lshlrev_b32_e32 v0, 4, v0
	v_mov_b32_e32 v1, s36
	v_add_nc_u32_e32 v0, 16, v0
	s_clause 0x7
	buffer_load_dword v2, v0, s[0:3], 0 offen
	buffer_load_dword v3, v0, s[0:3], 0 offen offset:4
	buffer_load_dword v4, v0, s[0:3], 0 offen offset:8
	buffer_load_dword v65, v0, s[0:3], 0 offen offset:12
	buffer_load_dword v66, v1, s[0:3], 0 offen offset:12
	buffer_load_dword v67, v1, s[0:3], 0 offen offset:8
	buffer_load_dword v68, v1, s[0:3], 0 offen offset:4
	buffer_load_dword v69, v1, s[0:3], 0 offen
	s_waitcnt vmcnt(7)
	buffer_store_dword v2, v1, s[0:3], 0 offen
	s_waitcnt vmcnt(6)
	buffer_store_dword v3, v1, s[0:3], 0 offen offset:4
	s_waitcnt vmcnt(5)
	buffer_store_dword v4, v1, s[0:3], 0 offen offset:8
	;; [unrolled: 2-line block ×6, first 2 shown]
	s_waitcnt vmcnt(0)
	buffer_store_dword v69, v0, s[0:3], 0 offen
.LBB29_240:
	v_mov_b32_e32 v0, 0
	global_load_dword v1, v0, s[20:21] offset:20
	s_waitcnt vmcnt(0)
	v_add_nc_u32_e32 v1, -1, v1
	v_cmp_eq_u32_e32 vcc_lo, 5, v1
	s_cbranch_vccnz .LBB29_242
; %bb.241:
	v_lshlrev_b32_e32 v1, 4, v1
	v_mov_b32_e32 v2, s38
	v_add_nc_u32_e32 v1, 16, v1
	s_clause 0x7
	buffer_load_dword v3, v1, s[0:3], 0 offen
	buffer_load_dword v4, v1, s[0:3], 0 offen offset:4
	buffer_load_dword v65, v1, s[0:3], 0 offen offset:8
	;; [unrolled: 1-line block ×6, first 2 shown]
	buffer_load_dword v70, v2, s[0:3], 0 offen
	s_waitcnt vmcnt(7)
	buffer_store_dword v3, v2, s[0:3], 0 offen
	s_waitcnt vmcnt(6)
	buffer_store_dword v4, v2, s[0:3], 0 offen offset:4
	s_waitcnt vmcnt(5)
	buffer_store_dword v65, v2, s[0:3], 0 offen offset:8
	;; [unrolled: 2-line block ×6, first 2 shown]
	s_waitcnt vmcnt(0)
	buffer_store_dword v70, v1, s[0:3], 0 offen
.LBB29_242:
	global_load_dword v0, v0, s[20:21] offset:16
	s_waitcnt vmcnt(0)
	v_add_nc_u32_e32 v0, -1, v0
	v_cmp_eq_u32_e32 vcc_lo, 4, v0
	s_cbranch_vccnz .LBB29_244
; %bb.243:
	v_lshlrev_b32_e32 v0, 4, v0
	v_mov_b32_e32 v1, s39
	v_add_nc_u32_e32 v0, 16, v0
	s_clause 0x7
	buffer_load_dword v2, v0, s[0:3], 0 offen
	buffer_load_dword v3, v0, s[0:3], 0 offen offset:4
	buffer_load_dword v4, v0, s[0:3], 0 offen offset:8
	;; [unrolled: 1-line block ×6, first 2 shown]
	buffer_load_dword v69, v1, s[0:3], 0 offen
	s_waitcnt vmcnt(7)
	buffer_store_dword v2, v1, s[0:3], 0 offen
	s_waitcnt vmcnt(6)
	buffer_store_dword v3, v1, s[0:3], 0 offen offset:4
	s_waitcnt vmcnt(5)
	buffer_store_dword v4, v1, s[0:3], 0 offen offset:8
	;; [unrolled: 2-line block ×6, first 2 shown]
	s_waitcnt vmcnt(0)
	buffer_store_dword v69, v0, s[0:3], 0 offen
.LBB29_244:
	v_mov_b32_e32 v0, 0
	global_load_dword v1, v0, s[20:21] offset:12
	s_waitcnt vmcnt(0)
	v_add_nc_u32_e32 v1, -1, v1
	v_cmp_eq_u32_e32 vcc_lo, 3, v1
	s_cbranch_vccnz .LBB29_246
; %bb.245:
	v_lshlrev_b32_e32 v1, 4, v1
	v_mov_b32_e32 v2, s40
	v_add_nc_u32_e32 v1, 16, v1
	s_clause 0x7
	buffer_load_dword v3, v1, s[0:3], 0 offen
	buffer_load_dword v4, v1, s[0:3], 0 offen offset:4
	buffer_load_dword v65, v1, s[0:3], 0 offen offset:8
	;; [unrolled: 1-line block ×6, first 2 shown]
	buffer_load_dword v70, v2, s[0:3], 0 offen
	s_waitcnt vmcnt(7)
	buffer_store_dword v3, v2, s[0:3], 0 offen
	s_waitcnt vmcnt(6)
	buffer_store_dword v4, v2, s[0:3], 0 offen offset:4
	s_waitcnt vmcnt(5)
	buffer_store_dword v65, v2, s[0:3], 0 offen offset:8
	;; [unrolled: 2-line block ×6, first 2 shown]
	s_waitcnt vmcnt(0)
	buffer_store_dword v70, v1, s[0:3], 0 offen
.LBB29_246:
	global_load_dword v0, v0, s[20:21] offset:8
	s_waitcnt vmcnt(0)
	v_add_nc_u32_e32 v0, -1, v0
	v_cmp_eq_u32_e32 vcc_lo, 2, v0
	s_cbranch_vccnz .LBB29_248
; %bb.247:
	v_lshlrev_b32_e32 v0, 4, v0
	v_mov_b32_e32 v1, s41
	v_add_nc_u32_e32 v0, 16, v0
	s_clause 0x7
	buffer_load_dword v2, v0, s[0:3], 0 offen
	buffer_load_dword v3, v0, s[0:3], 0 offen offset:4
	buffer_load_dword v4, v0, s[0:3], 0 offen offset:8
	;; [unrolled: 1-line block ×6, first 2 shown]
	buffer_load_dword v69, v1, s[0:3], 0 offen
	s_waitcnt vmcnt(7)
	buffer_store_dword v2, v1, s[0:3], 0 offen
	s_waitcnt vmcnt(6)
	buffer_store_dword v3, v1, s[0:3], 0 offen offset:4
	s_waitcnt vmcnt(5)
	buffer_store_dword v4, v1, s[0:3], 0 offen offset:8
	;; [unrolled: 2-line block ×6, first 2 shown]
	s_waitcnt vmcnt(0)
	buffer_store_dword v69, v0, s[0:3], 0 offen
.LBB29_248:
	v_mov_b32_e32 v0, 0
	global_load_dword v1, v0, s[20:21] offset:4
	s_waitcnt vmcnt(0)
	v_add_nc_u32_e32 v1, -1, v1
	v_cmp_eq_u32_e32 vcc_lo, 1, v1
	s_cbranch_vccnz .LBB29_250
; %bb.249:
	v_lshlrev_b32_e32 v1, 4, v1
	v_mov_b32_e32 v2, s42
	v_add_nc_u32_e32 v1, 16, v1
	s_clause 0x7
	buffer_load_dword v3, v1, s[0:3], 0 offen
	buffer_load_dword v4, v1, s[0:3], 0 offen offset:4
	buffer_load_dword v65, v1, s[0:3], 0 offen offset:8
	;; [unrolled: 1-line block ×6, first 2 shown]
	buffer_load_dword v70, v2, s[0:3], 0 offen
	s_waitcnt vmcnt(7)
	buffer_store_dword v3, v2, s[0:3], 0 offen
	s_waitcnt vmcnt(6)
	buffer_store_dword v4, v2, s[0:3], 0 offen offset:4
	s_waitcnt vmcnt(5)
	buffer_store_dword v65, v2, s[0:3], 0 offen offset:8
	;; [unrolled: 2-line block ×6, first 2 shown]
	s_waitcnt vmcnt(0)
	buffer_store_dword v70, v1, s[0:3], 0 offen
.LBB29_250:
	global_load_dword v0, v0, s[20:21]
	s_waitcnt vmcnt(0)
	v_add_nc_u32_e32 v0, -1, v0
	v_cmp_eq_u32_e32 vcc_lo, 0, v0
	s_cbranch_vccnz .LBB29_252
; %bb.251:
	v_lshlrev_b32_e32 v0, 4, v0
	v_add_nc_u32_e32 v0, 16, v0
	s_clause 0x7
	buffer_load_dword v1, v0, s[0:3], 0 offen
	buffer_load_dword v2, v0, s[0:3], 0 offen offset:4
	buffer_load_dword v3, v0, s[0:3], 0 offen offset:8
	;; [unrolled: 1-line block ×3, first 2 shown]
	buffer_load_dword v65, off, s[0:3], 0 offset:28
	buffer_load_dword v66, off, s[0:3], 0 offset:24
	;; [unrolled: 1-line block ×4, first 2 shown]
	s_waitcnt vmcnt(7)
	buffer_store_dword v1, off, s[0:3], 0 offset:16
	s_waitcnt vmcnt(6)
	buffer_store_dword v2, off, s[0:3], 0 offset:20
	;; [unrolled: 2-line block ×4, first 2 shown]
	s_waitcnt vmcnt(3)
	buffer_store_dword v65, v0, s[0:3], 0 offen offset:12
	s_waitcnt vmcnt(2)
	buffer_store_dword v66, v0, s[0:3], 0 offen offset:8
	;; [unrolled: 2-line block ×3, first 2 shown]
	s_waitcnt vmcnt(0)
	buffer_store_dword v68, v0, s[0:3], 0 offen
.LBB29_252:
	v_mov_b32_e32 v4, s42
	s_clause 0x3
	buffer_load_dword v0, off, s[0:3], 0 offset:16
	buffer_load_dword v1, off, s[0:3], 0 offset:20
	;; [unrolled: 1-line block ×4, first 2 shown]
	v_mov_b32_e32 v149, s17
	v_mov_b32_e32 v153, s15
	;; [unrolled: 1-line block ×3, first 2 shown]
	s_clause 0x3
	buffer_load_dword v65, v4, s[0:3], 0 offen
	buffer_load_dword v66, v4, s[0:3], 0 offen offset:4
	buffer_load_dword v67, v4, s[0:3], 0 offen offset:8
	;; [unrolled: 1-line block ×3, first 2 shown]
	v_mov_b32_e32 v4, s41
	v_mov_b32_e32 v84, s38
	;; [unrolled: 1-line block ×4, first 2 shown]
	s_clause 0x3
	buffer_load_dword v69, v4, s[0:3], 0 offen
	buffer_load_dword v70, v4, s[0:3], 0 offen offset:4
	buffer_load_dword v71, v4, s[0:3], 0 offen offset:8
	;; [unrolled: 1-line block ×3, first 2 shown]
	v_mov_b32_e32 v4, s40
	v_mov_b32_e32 v96, s34
	;; [unrolled: 1-line block ×3, first 2 shown]
	s_clause 0x3
	buffer_load_dword v73, v4, s[0:3], 0 offen
	buffer_load_dword v74, v4, s[0:3], 0 offen offset:4
	buffer_load_dword v75, v4, s[0:3], 0 offen offset:8
	;; [unrolled: 1-line block ×3, first 2 shown]
	v_mov_b32_e32 v4, s39
	v_mov_b32_e32 v104, s31
	v_mov_b32_e32 v108, s30
	v_mov_b32_e32 v112, s29
	v_mov_b32_e32 v116, s28
	v_mov_b32_e32 v120, s27
	v_mov_b32_e32 v124, s26
	v_mov_b32_e32 v128, s25
	v_mov_b32_e32 v132, s24
	v_mov_b32_e32 v136, s23
	v_mov_b32_e32 v140, s22
	v_mov_b32_e32 v144, s19
	v_mov_b32_e32 v148, s18
	v_mov_b32_e32 v157, s9
	v_mov_b32_e32 v152, s16
	s_clause 0x3e
	buffer_load_dword v77, v4, s[0:3], 0 offen
	buffer_load_dword v78, v4, s[0:3], 0 offen offset:4
	buffer_load_dword v79, v4, s[0:3], 0 offen offset:8
	buffer_load_dword v80, v4, s[0:3], 0 offen offset:12
	buffer_load_dword v81, v84, s[0:3], 0 offen
	buffer_load_dword v82, v84, s[0:3], 0 offen offset:4
	buffer_load_dword v83, v84, s[0:3], 0 offen offset:8
	buffer_load_dword v84, v84, s[0:3], 0 offen offset:12
	;; [unrolled: 4-line block ×15, first 2 shown]
	buffer_load_dword v137, v140, s[0:3], 0 offen
	buffer_load_dword v138, v140, s[0:3], 0 offen offset:4
	buffer_load_dword v139, v140, s[0:3], 0 offen offset:8
	s_clause 0x8
	buffer_load_dword v140, v140, s[0:3], 0 offen offset:12
	buffer_load_dword v141, v144, s[0:3], 0 offen
	buffer_load_dword v142, v144, s[0:3], 0 offen offset:4
	buffer_load_dword v143, v144, s[0:3], 0 offen offset:8
	;; [unrolled: 1-line block ×3, first 2 shown]
	buffer_load_dword v145, v148, s[0:3], 0 offen
	buffer_load_dword v146, v148, s[0:3], 0 offen offset:4
	buffer_load_dword v147, v148, s[0:3], 0 offen offset:8
	;; [unrolled: 1-line block ×3, first 2 shown]
	v_mov_b32_e32 v154, s14
	v_mov_b32_e32 v156, s12
	s_waitcnt vmcnt(62)
	global_store_dwordx4 v[5:6], v[0:3], off
	s_clause 0x7
	buffer_load_dword v0, v149, s[0:3], 0 offen
	buffer_load_dword v1, v149, s[0:3], 0 offen offset:4
	buffer_load_dword v2, v149, s[0:3], 0 offen offset:8
	;; [unrolled: 1-line block ×3, first 2 shown]
	buffer_load_dword v149, v152, s[0:3], 0 offen
	buffer_load_dword v150, v152, s[0:3], 0 offen offset:4
	buffer_load_dword v151, v152, s[0:3], 0 offen offset:8
	;; [unrolled: 1-line block ×3, first 2 shown]
	global_store_dwordx4 v[7:8], v[65:68], off
	s_clause 0x7
	buffer_load_dword v4, v153, s[0:3], 0 offen
	buffer_load_dword v5, v153, s[0:3], 0 offen offset:4
	buffer_load_dword v6, v153, s[0:3], 0 offen offset:8
	;; [unrolled: 1-line block ×3, first 2 shown]
	buffer_load_dword v65, v154, s[0:3], 0 offen
	buffer_load_dword v66, v154, s[0:3], 0 offen offset:4
	buffer_load_dword v67, v154, s[0:3], 0 offen offset:8
	buffer_load_dword v68, v154, s[0:3], 0 offen offset:12
	v_mov_b32_e32 v8, s8
	global_store_dwordx4 v[15:16], v[69:72], off
	s_clause 0x7
	buffer_load_dword v69, v155, s[0:3], 0 offen
	buffer_load_dword v70, v155, s[0:3], 0 offen offset:4
	buffer_load_dword v71, v155, s[0:3], 0 offen offset:8
	;; [unrolled: 1-line block ×3, first 2 shown]
	buffer_load_dword v153, v156, s[0:3], 0 offen
	buffer_load_dword v154, v156, s[0:3], 0 offen offset:4
	buffer_load_dword v155, v156, s[0:3], 0 offen offset:8
	;; [unrolled: 1-line block ×3, first 2 shown]
	global_store_dwordx4 v[9:10], v[73:76], off
	s_clause 0x7
	buffer_load_dword v73, v157, s[0:3], 0 offen
	buffer_load_dword v74, v157, s[0:3], 0 offen offset:4
	buffer_load_dword v75, v157, s[0:3], 0 offen offset:8
	;; [unrolled: 1-line block ×3, first 2 shown]
	buffer_load_dword v157, v8, s[0:3], 0 offen
	buffer_load_dword v158, v8, s[0:3], 0 offen offset:4
	buffer_load_dword v159, v8, s[0:3], 0 offen offset:8
	;; [unrolled: 1-line block ×3, first 2 shown]
	global_store_dwordx4 v[11:12], v[77:80], off
	global_store_dwordx4 v[13:14], v[81:84], off
	s_waitcnt vmcnt(62)
	global_store_dwordx4 v[17:18], v[85:88], off
	global_store_dwordx4 v[19:20], v[89:92], off
	;; [unrolled: 1-line block ×8, first 2 shown]
	s_waitcnt vmcnt(60)
	global_store_dwordx4 v[33:34], v[117:120], off
	s_waitcnt vmcnt(56)
	global_store_dwordx4 v[35:36], v[121:124], off
	;; [unrolled: 2-line block ×16, first 2 shown]
	s_endpgm
	.section	.rodata,"a",@progbits
	.p2align	6, 0x0
	.amdhsa_kernel _ZN9rocsolver6v33100L18getri_kernel_smallILi30E19rocblas_complex_numIdEPS3_EEvT1_iilPiilS6_bb
		.amdhsa_group_segment_fixed_size 968
		.amdhsa_private_segment_fixed_size 512
		.amdhsa_kernarg_size 60
		.amdhsa_user_sgpr_count 6
		.amdhsa_user_sgpr_private_segment_buffer 1
		.amdhsa_user_sgpr_dispatch_ptr 0
		.amdhsa_user_sgpr_queue_ptr 0
		.amdhsa_user_sgpr_kernarg_segment_ptr 1
		.amdhsa_user_sgpr_dispatch_id 0
		.amdhsa_user_sgpr_flat_scratch_init 0
		.amdhsa_user_sgpr_private_segment_size 0
		.amdhsa_wavefront_size32 1
		.amdhsa_uses_dynamic_stack 0
		.amdhsa_system_sgpr_private_segment_wavefront_offset 1
		.amdhsa_system_sgpr_workgroup_id_x 1
		.amdhsa_system_sgpr_workgroup_id_y 0
		.amdhsa_system_sgpr_workgroup_id_z 0
		.amdhsa_system_sgpr_workgroup_info 0
		.amdhsa_system_vgpr_workitem_id 0
		.amdhsa_next_free_vgpr 161
		.amdhsa_next_free_sgpr 56
		.amdhsa_reserve_vcc 1
		.amdhsa_reserve_flat_scratch 0
		.amdhsa_float_round_mode_32 0
		.amdhsa_float_round_mode_16_64 0
		.amdhsa_float_denorm_mode_32 3
		.amdhsa_float_denorm_mode_16_64 3
		.amdhsa_dx10_clamp 1
		.amdhsa_ieee_mode 1
		.amdhsa_fp16_overflow 0
		.amdhsa_workgroup_processor_mode 1
		.amdhsa_memory_ordered 1
		.amdhsa_forward_progress 1
		.amdhsa_shared_vgpr_count 0
		.amdhsa_exception_fp_ieee_invalid_op 0
		.amdhsa_exception_fp_denorm_src 0
		.amdhsa_exception_fp_ieee_div_zero 0
		.amdhsa_exception_fp_ieee_overflow 0
		.amdhsa_exception_fp_ieee_underflow 0
		.amdhsa_exception_fp_ieee_inexact 0
		.amdhsa_exception_int_div_zero 0
	.end_amdhsa_kernel
	.section	.text._ZN9rocsolver6v33100L18getri_kernel_smallILi30E19rocblas_complex_numIdEPS3_EEvT1_iilPiilS6_bb,"axG",@progbits,_ZN9rocsolver6v33100L18getri_kernel_smallILi30E19rocblas_complex_numIdEPS3_EEvT1_iilPiilS6_bb,comdat
.Lfunc_end29:
	.size	_ZN9rocsolver6v33100L18getri_kernel_smallILi30E19rocblas_complex_numIdEPS3_EEvT1_iilPiilS6_bb, .Lfunc_end29-_ZN9rocsolver6v33100L18getri_kernel_smallILi30E19rocblas_complex_numIdEPS3_EEvT1_iilPiilS6_bb
                                        ; -- End function
	.set _ZN9rocsolver6v33100L18getri_kernel_smallILi30E19rocblas_complex_numIdEPS3_EEvT1_iilPiilS6_bb.num_vgpr, 161
	.set _ZN9rocsolver6v33100L18getri_kernel_smallILi30E19rocblas_complex_numIdEPS3_EEvT1_iilPiilS6_bb.num_agpr, 0
	.set _ZN9rocsolver6v33100L18getri_kernel_smallILi30E19rocblas_complex_numIdEPS3_EEvT1_iilPiilS6_bb.numbered_sgpr, 56
	.set _ZN9rocsolver6v33100L18getri_kernel_smallILi30E19rocblas_complex_numIdEPS3_EEvT1_iilPiilS6_bb.num_named_barrier, 0
	.set _ZN9rocsolver6v33100L18getri_kernel_smallILi30E19rocblas_complex_numIdEPS3_EEvT1_iilPiilS6_bb.private_seg_size, 512
	.set _ZN9rocsolver6v33100L18getri_kernel_smallILi30E19rocblas_complex_numIdEPS3_EEvT1_iilPiilS6_bb.uses_vcc, 1
	.set _ZN9rocsolver6v33100L18getri_kernel_smallILi30E19rocblas_complex_numIdEPS3_EEvT1_iilPiilS6_bb.uses_flat_scratch, 0
	.set _ZN9rocsolver6v33100L18getri_kernel_smallILi30E19rocblas_complex_numIdEPS3_EEvT1_iilPiilS6_bb.has_dyn_sized_stack, 0
	.set _ZN9rocsolver6v33100L18getri_kernel_smallILi30E19rocblas_complex_numIdEPS3_EEvT1_iilPiilS6_bb.has_recursion, 0
	.set _ZN9rocsolver6v33100L18getri_kernel_smallILi30E19rocblas_complex_numIdEPS3_EEvT1_iilPiilS6_bb.has_indirect_call, 0
	.section	.AMDGPU.csdata,"",@progbits
; Kernel info:
; codeLenInByte = 70544
; TotalNumSgprs: 58
; NumVgprs: 161
; ScratchSize: 512
; MemoryBound: 0
; FloatMode: 240
; IeeeMode: 1
; LDSByteSize: 968 bytes/workgroup (compile time only)
; SGPRBlocks: 0
; VGPRBlocks: 20
; NumSGPRsForWavesPerEU: 58
; NumVGPRsForWavesPerEU: 161
; Occupancy: 5
; WaveLimiterHint : 1
; COMPUTE_PGM_RSRC2:SCRATCH_EN: 1
; COMPUTE_PGM_RSRC2:USER_SGPR: 6
; COMPUTE_PGM_RSRC2:TRAP_HANDLER: 0
; COMPUTE_PGM_RSRC2:TGID_X_EN: 1
; COMPUTE_PGM_RSRC2:TGID_Y_EN: 0
; COMPUTE_PGM_RSRC2:TGID_Z_EN: 0
; COMPUTE_PGM_RSRC2:TIDIG_COMP_CNT: 0
	.section	.text._ZN9rocsolver6v33100L18getri_kernel_smallILi31E19rocblas_complex_numIdEPS3_EEvT1_iilPiilS6_bb,"axG",@progbits,_ZN9rocsolver6v33100L18getri_kernel_smallILi31E19rocblas_complex_numIdEPS3_EEvT1_iilPiilS6_bb,comdat
	.globl	_ZN9rocsolver6v33100L18getri_kernel_smallILi31E19rocblas_complex_numIdEPS3_EEvT1_iilPiilS6_bb ; -- Begin function _ZN9rocsolver6v33100L18getri_kernel_smallILi31E19rocblas_complex_numIdEPS3_EEvT1_iilPiilS6_bb
	.p2align	8
	.type	_ZN9rocsolver6v33100L18getri_kernel_smallILi31E19rocblas_complex_numIdEPS3_EEvT1_iilPiilS6_bb,@function
_ZN9rocsolver6v33100L18getri_kernel_smallILi31E19rocblas_complex_numIdEPS3_EEvT1_iilPiilS6_bb: ; @_ZN9rocsolver6v33100L18getri_kernel_smallILi31E19rocblas_complex_numIdEPS3_EEvT1_iilPiilS6_bb
; %bb.0:
	s_add_u32 s0, s0, s7
	s_addc_u32 s1, s1, 0
	s_mov_b32 s7, exec_lo
	v_cmpx_gt_u32_e32 31, v0
	s_cbranch_execz .LBB30_138
; %bb.1:
	s_clause 0x2
	s_load_dword s7, s[4:5], 0x38
	s_load_dwordx4 s[16:19], s[4:5], 0x10
	s_load_dwordx4 s[8:11], s[4:5], 0x28
                                        ; implicit-def: $sgpr20_sgpr21
	s_waitcnt lgkmcnt(0)
	s_bitcmp1_b32 s7, 8
	s_cselect_b32 s40, -1, 0
	s_bfe_u32 s12, s7, 0x10008
	s_ashr_i32 s7, s6, 31
	s_cmp_eq_u32 s12, 0
	s_cbranch_scc1 .LBB30_3
; %bb.2:
	s_load_dword s12, s[4:5], 0x20
	s_mul_i32 s13, s8, s7
	s_mul_hi_u32 s14, s8, s6
	s_mul_i32 s9, s9, s6
	s_add_i32 s13, s14, s13
	s_mul_i32 s8, s8, s6
	s_add_i32 s9, s13, s9
	s_lshl_b64 s[8:9], s[8:9], 2
	s_waitcnt lgkmcnt(0)
	s_ashr_i32 s13, s12, 31
	s_add_u32 s14, s18, s8
	s_addc_u32 s15, s19, s9
	s_lshl_b64 s[8:9], s[12:13], 2
	s_add_u32 s20, s14, s8
	s_addc_u32 s21, s15, s9
.LBB30_3:
	s_clause 0x1
	s_load_dwordx4 s[12:15], s[4:5], 0x0
	s_load_dword s44, s[4:5], 0x38
	s_mul_i32 s4, s16, s7
	s_mul_hi_u32 s5, s16, s6
	s_mul_i32 s8, s17, s6
	s_add_i32 s5, s5, s4
	s_mul_i32 s4, s16, s6
	s_add_i32 s5, s5, s8
	v_lshlrev_b32_e32 v73, 4, v0
	s_lshl_b64 s[4:5], s[4:5], 4
	s_movk_i32 s16, 0xc0
	s_movk_i32 s17, 0xd0
	;; [unrolled: 1-line block ×10, first 2 shown]
	s_waitcnt lgkmcnt(0)
	v_add3_u32 v7, s15, s15, v0
	s_ashr_i32 s9, s14, 31
	s_mov_b32 s8, s14
	s_add_u32 s12, s12, s4
	s_addc_u32 s13, s13, s5
	v_add_nc_u32_e32 v9, s15, v7
	s_lshl_b64 s[4:5], s[8:9], 4
	v_ashrrev_i32_e32 v8, 31, v7
	s_add_u32 s4, s12, s4
	s_addc_u32 s5, s13, s5
	v_add_co_u32 v5, s12, s4, v73
	v_ashrrev_i32_e32 v10, 31, v9
	s_mov_b32 s8, s15
	s_ashr_i32 s9, s15, 31
	v_lshlrev_b64 v[11:12], 4, v[7:8]
	v_add_co_ci_u32_e64 v6, null, s5, 0, s12
	s_lshl_b64 s[8:9], s[8:9], 4
	v_lshlrev_b64 v[15:16], 4, v[9:10]
	v_add_co_u32 v7, vcc_lo, v5, s8
	v_add_nc_u32_e32 v13, s15, v9
	v_add_co_ci_u32_e64 v8, null, s9, v6, vcc_lo
	v_add_co_u32 v9, vcc_lo, s4, v11
	v_add_co_ci_u32_e64 v10, null, s5, v12, vcc_lo
	v_add_co_u32 v11, vcc_lo, s4, v15
	s_clause 0x1
	global_load_dwordx4 v[1:4], v73, s[4:5]
	global_load_dwordx4 v[67:70], v[7:8], off
	v_add_co_ci_u32_e64 v12, null, s5, v16, vcc_lo
	global_load_dwordx4 v[74:77], v[9:10], off
	v_add_nc_u32_e32 v17, s15, v13
	v_ashrrev_i32_e32 v14, 31, v13
	global_load_dwordx4 v[78:81], v[11:12], off
	s_movk_i32 s8, 0x60
	s_movk_i32 s9, 0x70
	v_add_nc_u32_e32 v19, s15, v17
	v_ashrrev_i32_e32 v18, 31, v17
	v_lshlrev_b64 v[13:14], 4, v[13:14]
	s_movk_i32 s12, 0x80
	s_movk_i32 s13, 0x90
	v_add_nc_u32_e32 v21, s15, v19
	v_ashrrev_i32_e32 v20, 31, v19
	v_lshlrev_b64 v[17:18], 4, v[17:18]
	v_add_co_u32 v15, vcc_lo, s4, v13
	v_ashrrev_i32_e32 v22, 31, v21
	v_add_co_ci_u32_e64 v16, null, s5, v14, vcc_lo
	v_lshlrev_b64 v[19:20], 4, v[19:20]
	v_add_co_u32 v13, vcc_lo, s4, v17
	v_lshlrev_b64 v[22:23], 4, v[21:22]
	v_add_co_ci_u32_e64 v14, null, s5, v18, vcc_lo
	global_load_dwordx4 v[82:85], v[15:16], off
	v_add_co_u32 v17, vcc_lo, s4, v19
	v_add_co_ci_u32_e64 v18, null, s5, v20, vcc_lo
	v_add_co_u32 v19, vcc_lo, s4, v22
	global_load_dwordx4 v[86:89], v[13:14], off
	v_add_co_ci_u32_e64 v20, null, s5, v23, vcc_lo
	s_clause 0x1
	global_load_dwordx4 v[90:93], v[17:18], off
	global_load_dwordx4 v[94:97], v[19:20], off
	v_add_nc_u32_e32 v21, s15, v21
	s_movk_i32 s14, 0xa0
	s_movk_i32 s48, 0x160
	;; [unrolled: 1-line block ×4, first 2 shown]
	v_add_nc_u32_e32 v23, s15, v21
	v_ashrrev_i32_e32 v22, 31, v21
	s_movk_i32 s51, 0x190
	s_movk_i32 s52, 0x1a0
	;; [unrolled: 1-line block ×3, first 2 shown]
	v_add_nc_u32_e32 v25, s15, v23
	v_ashrrev_i32_e32 v24, 31, v23
	v_lshlrev_b64 v[21:22], 4, v[21:22]
	s_movk_i32 s54, 0x1c0
	s_movk_i32 s55, 0x1d0
	v_add_nc_u32_e32 v27, s15, v25
	v_ashrrev_i32_e32 v26, 31, v25
	v_lshlrev_b64 v[23:24], 4, v[23:24]
	v_add_co_u32 v21, vcc_lo, s4, v21
	v_add_nc_u32_e32 v29, s15, v27
	v_ashrrev_i32_e32 v28, 31, v27
	v_lshlrev_b64 v[25:26], 4, v[25:26]
	v_add_co_ci_u32_e64 v22, null, s5, v22, vcc_lo
	v_add_nc_u32_e32 v31, s15, v29
	v_ashrrev_i32_e32 v30, 31, v29
	v_lshlrev_b64 v[27:28], 4, v[27:28]
	v_add_co_u32 v23, vcc_lo, s4, v23
	v_add_nc_u32_e32 v33, s15, v31
	v_ashrrev_i32_e32 v32, 31, v31
	v_lshlrev_b64 v[29:30], 4, v[29:30]
	v_add_co_ci_u32_e64 v24, null, s5, v24, vcc_lo
	v_add_nc_u32_e32 v35, s15, v33
	v_ashrrev_i32_e32 v34, 31, v33
	v_add_co_u32 v25, vcc_lo, s4, v25
	v_lshlrev_b64 v[31:32], 4, v[31:32]
	v_add_nc_u32_e32 v37, s15, v35
	v_ashrrev_i32_e32 v36, 31, v35
	v_add_co_ci_u32_e64 v26, null, s5, v26, vcc_lo
	v_add_co_u32 v27, vcc_lo, s4, v27
	v_add_nc_u32_e32 v39, s15, v37
	v_ashrrev_i32_e32 v38, 31, v37
	v_lshlrev_b64 v[33:34], 4, v[33:34]
	v_add_co_ci_u32_e64 v28, null, s5, v28, vcc_lo
	v_add_nc_u32_e32 v41, s15, v39
	v_ashrrev_i32_e32 v40, 31, v39
	v_add_co_u32 v29, vcc_lo, s4, v29
	v_lshlrev_b64 v[35:36], 4, v[35:36]
	v_add_nc_u32_e32 v43, s15, v41
	v_ashrrev_i32_e32 v42, 31, v41
	v_add_co_ci_u32_e64 v30, null, s5, v30, vcc_lo
	v_add_co_u32 v31, vcc_lo, s4, v31
	v_add_nc_u32_e32 v45, s15, v43
	v_lshlrev_b64 v[37:38], 4, v[37:38]
	v_ashrrev_i32_e32 v44, 31, v43
	v_add_co_ci_u32_e64 v32, null, s5, v32, vcc_lo
	v_add_nc_u32_e32 v47, s15, v45
	v_add_co_u32 v33, vcc_lo, s4, v33
	v_lshlrev_b64 v[39:40], 4, v[39:40]
	v_ashrrev_i32_e32 v46, 31, v45
	v_add_nc_u32_e32 v49, s15, v47
	v_add_co_ci_u32_e64 v34, null, s5, v34, vcc_lo
	v_add_co_u32 v35, vcc_lo, s4, v35
	v_add_nc_u32_e32 v51, s15, v49
	v_lshlrev_b64 v[41:42], 4, v[41:42]
	v_ashrrev_i32_e32 v48, 31, v47
	v_add_co_ci_u32_e64 v36, null, s5, v36, vcc_lo
	v_add_nc_u32_e32 v53, s15, v51
	v_add_co_u32 v37, vcc_lo, s4, v37
	v_lshlrev_b64 v[43:44], 4, v[43:44]
	v_ashrrev_i32_e32 v50, 31, v49
	v_add_nc_u32_e32 v55, s15, v53
	v_add_co_ci_u32_e64 v38, null, s5, v38, vcc_lo
	v_add_co_u32 v39, vcc_lo, s4, v39
	v_lshlrev_b64 v[45:46], 4, v[45:46]
	v_ashrrev_i32_e32 v52, 31, v51
	v_add_co_ci_u32_e64 v40, null, s5, v40, vcc_lo
	v_add_co_u32 v41, vcc_lo, s4, v41
	v_lshlrev_b64 v[47:48], 4, v[47:48]
	v_add_nc_u32_e32 v57, s15, v55
	v_ashrrev_i32_e32 v54, 31, v53
	v_add_co_ci_u32_e64 v42, null, s5, v42, vcc_lo
	v_add_co_u32 v43, vcc_lo, s4, v43
	v_lshlrev_b64 v[49:50], 4, v[49:50]
	v_ashrrev_i32_e32 v56, 31, v55
	v_add_co_ci_u32_e64 v44, null, s5, v44, vcc_lo
	v_add_co_u32 v45, vcc_lo, s4, v45
	v_lshlrev_b64 v[51:52], 4, v[51:52]
	v_ashrrev_i32_e32 v58, 31, v57
	v_add_co_ci_u32_e64 v46, null, s5, v46, vcc_lo
	v_add_co_u32 v47, vcc_lo, s4, v47
	v_lshlrev_b64 v[53:54], 4, v[53:54]
	v_add_co_ci_u32_e64 v48, null, s5, v48, vcc_lo
	v_add_co_u32 v49, vcc_lo, s4, v49
	v_lshlrev_b64 v[55:56], 4, v[55:56]
	v_add_co_ci_u32_e64 v50, null, s5, v50, vcc_lo
	v_add_co_u32 v51, vcc_lo, s4, v51
	v_add_nc_u32_e32 v59, s15, v57
	v_lshlrev_b64 v[57:58], 4, v[57:58]
	v_add_co_ci_u32_e64 v52, null, s5, v52, vcc_lo
	v_add_co_u32 v53, vcc_lo, s4, v53
	v_add_co_ci_u32_e64 v54, null, s5, v54, vcc_lo
	v_add_co_u32 v55, vcc_lo, s4, v55
	;; [unrolled: 2-line block ×3, first 2 shown]
	v_add_co_ci_u32_e64 v58, null, s5, v58, vcc_lo
	s_clause 0xe
	global_load_dwordx4 v[98:101], v[21:22], off
	global_load_dwordx4 v[102:105], v[23:24], off
	;; [unrolled: 1-line block ×15, first 2 shown]
	v_add_nc_u32_e32 v61, s15, v59
	v_ashrrev_i32_e32 v60, 31, v59
	s_movk_i32 s56, 0x1e0
	s_add_i32 s37, s8, 16
	s_add_i32 s36, s9, 16
	v_add_nc_u32_e32 v63, s15, v61
	v_ashrrev_i32_e32 v62, 31, v61
	v_lshlrev_b64 v[59:60], 4, v[59:60]
	s_add_i32 s35, s12, 16
	s_add_i32 s34, s13, 16
	v_add_nc_u32_e32 v65, s15, v63
	v_ashrrev_i32_e32 v64, 31, v63
	v_lshlrev_b64 v[61:62], 4, v[61:62]
	v_add_co_u32 v59, vcc_lo, s4, v59
	v_ashrrev_i32_e32 v66, 31, v65
	v_add_co_ci_u32_e64 v60, null, s5, v60, vcc_lo
	v_lshlrev_b64 v[63:64], 4, v[63:64]
	v_add_co_u32 v61, vcc_lo, s4, v61
	v_add_co_ci_u32_e64 v62, null, s5, v62, vcc_lo
	v_lshlrev_b64 v[71:72], 4, v[65:66]
	v_add_co_u32 v65, vcc_lo, s4, v63
	v_add_co_ci_u32_e64 v66, null, s5, v64, vcc_lo
	s_movk_i32 s15, 0xb0
	v_add_co_u32 v63, vcc_lo, s4, v71
	v_add_co_ci_u32_e64 v64, null, s5, v72, vcc_lo
	s_movk_i32 s4, 0x50
	s_add_i32 s33, s14, 16
	s_add_i32 s38, s4, 16
	;; [unrolled: 1-line block ×22, first 2 shown]
	s_mov_b32 s5, -1
	s_mov_b32 s43, 32
	s_mov_b32 s42, 48
	;; [unrolled: 1-line block ×3, first 2 shown]
	s_movk_i32 s39, 0x50
	s_bitcmp0_b32 s44, 0
	s_waitcnt vmcnt(22)
	buffer_store_dword v4, off, s[0:3], 0 offset:28
	buffer_store_dword v3, off, s[0:3], 0 offset:24
	;; [unrolled: 1-line block ×4, first 2 shown]
	s_waitcnt vmcnt(21)
	buffer_store_dword v70, off, s[0:3], 0 offset:44
	buffer_store_dword v69, off, s[0:3], 0 offset:40
	;; [unrolled: 1-line block ×4, first 2 shown]
	s_clause 0x1
	global_load_dwordx4 v[1:4], v[51:52], off
	global_load_dwordx4 v[67:70], v[53:54], off
	s_waitcnt vmcnt(22)
	buffer_store_dword v77, off, s[0:3], 0 offset:60
	buffer_store_dword v76, off, s[0:3], 0 offset:56
	;; [unrolled: 1-line block ×4, first 2 shown]
	s_waitcnt vmcnt(21)
	buffer_store_dword v81, off, s[0:3], 0 offset:76
	buffer_store_dword v80, off, s[0:3], 0 offset:72
	buffer_store_dword v79, off, s[0:3], 0 offset:68
	buffer_store_dword v78, off, s[0:3], 0 offset:64
	s_clause 0x1
	global_load_dwordx4 v[74:77], v[55:56], off
	global_load_dwordx4 v[78:81], v[57:58], off
	s_waitcnt vmcnt(22)
	buffer_store_dword v85, off, s[0:3], 0 offset:92
	buffer_store_dword v84, off, s[0:3], 0 offset:88
	buffer_store_dword v83, off, s[0:3], 0 offset:84
	buffer_store_dword v82, off, s[0:3], 0 offset:80
	global_load_dwordx4 v[82:85], v[59:60], off
	s_waitcnt vmcnt(22)
	buffer_store_dword v89, off, s[0:3], 0 offset:108
	buffer_store_dword v88, off, s[0:3], 0 offset:104
	buffer_store_dword v87, off, s[0:3], 0 offset:100
	buffer_store_dword v86, off, s[0:3], 0 offset:96
	;; [unrolled: 6-line block ×5, first 2 shown]
	s_waitcnt vmcnt(21)
	buffer_store_dword v102, off, s[0:3], 0 offset:160
	buffer_store_dword v103, off, s[0:3], 0 offset:164
	buffer_store_dword v104, off, s[0:3], 0 offset:168
	buffer_store_dword v105, off, s[0:3], 0 offset:172
	s_waitcnt vmcnt(20)
	buffer_store_dword v106, off, s[0:3], 0 offset:176
	buffer_store_dword v107, off, s[0:3], 0 offset:180
	buffer_store_dword v108, off, s[0:3], 0 offset:184
	buffer_store_dword v109, off, s[0:3], 0 offset:188
	;; [unrolled: 5-line block ×22, first 2 shown]
	s_cbranch_scc1 .LBB30_136
; %bb.4:
	v_cmp_eq_u32_e64 s4, 0, v0
	s_and_saveexec_b32 s5, s4
; %bb.5:
	v_mov_b32_e32 v1, 0
	ds_write_b32 v1, v1 offset:992
; %bb.6:
	s_or_b32 exec_lo, exec_lo, s5
	v_lshl_add_u32 v74, v0, 4, 16
	s_waitcnt lgkmcnt(0)
	s_waitcnt_vscnt null, 0x0
	s_barrier
	buffer_gl0_inv
	s_clause 0x3
	buffer_load_dword v1, v74, s[0:3], 0 offen
	buffer_load_dword v2, v74, s[0:3], 0 offen offset:4
	buffer_load_dword v3, v74, s[0:3], 0 offen offset:8
	;; [unrolled: 1-line block ×3, first 2 shown]
	s_waitcnt vmcnt(2)
	v_cmp_eq_f64_e32 vcc_lo, 0, v[1:2]
	s_waitcnt vmcnt(0)
	v_cmp_eq_f64_e64 s5, 0, v[3:4]
	s_and_b32 s5, vcc_lo, s5
	s_and_saveexec_b32 s44, s5
	s_cbranch_execz .LBB30_10
; %bb.7:
	v_mov_b32_e32 v1, 0
	s_mov_b32 s45, 0
	ds_read_b32 v2, v1 offset:992
	s_waitcnt lgkmcnt(0)
	v_readfirstlane_b32 s5, v2
	v_add_nc_u32_e32 v2, 1, v0
	s_cmp_eq_u32 s5, 0
	v_cmp_gt_i32_e32 vcc_lo, s5, v2
	s_cselect_b32 s46, -1, 0
	s_or_b32 s46, s46, vcc_lo
	s_and_b32 exec_lo, exec_lo, s46
	s_cbranch_execz .LBB30_10
; %bb.8:
	v_mov_b32_e32 v3, s5
.LBB30_9:                               ; =>This Inner Loop Header: Depth=1
	ds_cmpst_rtn_b32 v3, v1, v3, v2 offset:992
	s_waitcnt lgkmcnt(0)
	v_cmp_ne_u32_e32 vcc_lo, 0, v3
	v_cmp_le_i32_e64 s5, v3, v2
	s_and_b32 s5, vcc_lo, s5
	s_and_b32 s5, exec_lo, s5
	s_or_b32 s45, s5, s45
	s_andn2_b32 exec_lo, exec_lo, s45
	s_cbranch_execnz .LBB30_9
.LBB30_10:
	s_or_b32 exec_lo, exec_lo, s44
	v_mov_b32_e32 v1, 0
	s_barrier
	buffer_gl0_inv
	ds_read_b32 v2, v1 offset:992
	s_and_saveexec_b32 s5, s4
	s_cbranch_execz .LBB30_12
; %bb.11:
	s_lshl_b64 s[44:45], s[6:7], 2
	s_add_u32 s44, s10, s44
	s_addc_u32 s45, s11, s45
	s_waitcnt lgkmcnt(0)
	global_store_dword v1, v2, s[44:45]
.LBB30_12:
	s_or_b32 exec_lo, exec_lo, s5
	s_waitcnt lgkmcnt(0)
	v_cmp_ne_u32_e32 vcc_lo, 0, v2
	s_mov_b32 s5, 0
	s_cbranch_vccnz .LBB30_136
; %bb.13:
	s_clause 0x3
	buffer_load_dword v69, v74, s[0:3], 0 offen
	buffer_load_dword v70, v74, s[0:3], 0 offen offset:4
	buffer_load_dword v71, v74, s[0:3], 0 offen offset:8
	;; [unrolled: 1-line block ×3, first 2 shown]
                                        ; implicit-def: $vgpr67_vgpr68
                                        ; implicit-def: $vgpr3_vgpr4
	s_waitcnt vmcnt(0)
	v_cmp_ngt_f64_e64 s5, |v[69:70]|, |v[71:72]|
	s_and_saveexec_b32 s44, s5
	s_xor_b32 s5, exec_lo, s44
	s_cbranch_execz .LBB30_15
; %bb.14:
	v_div_scale_f64 v[1:2], null, v[71:72], v[71:72], v[69:70]
	v_div_scale_f64 v[75:76], vcc_lo, v[69:70], v[71:72], v[69:70]
	v_rcp_f64_e32 v[3:4], v[1:2]
	v_fma_f64 v[67:68], -v[1:2], v[3:4], 1.0
	v_fma_f64 v[3:4], v[3:4], v[67:68], v[3:4]
	v_fma_f64 v[67:68], -v[1:2], v[3:4], 1.0
	v_fma_f64 v[3:4], v[3:4], v[67:68], v[3:4]
	v_mul_f64 v[67:68], v[75:76], v[3:4]
	v_fma_f64 v[1:2], -v[1:2], v[67:68], v[75:76]
	v_div_fmas_f64 v[1:2], v[1:2], v[3:4], v[67:68]
	v_div_fixup_f64 v[1:2], v[1:2], v[71:72], v[69:70]
	v_fma_f64 v[3:4], v[69:70], v[1:2], v[71:72]
	v_div_scale_f64 v[67:68], null, v[3:4], v[3:4], 1.0
	v_div_scale_f64 v[75:76], vcc_lo, 1.0, v[3:4], 1.0
	v_rcp_f64_e32 v[69:70], v[67:68]
	v_fma_f64 v[71:72], -v[67:68], v[69:70], 1.0
	v_fma_f64 v[69:70], v[69:70], v[71:72], v[69:70]
	v_fma_f64 v[71:72], -v[67:68], v[69:70], 1.0
	v_fma_f64 v[69:70], v[69:70], v[71:72], v[69:70]
	v_mul_f64 v[71:72], v[75:76], v[69:70]
	v_fma_f64 v[67:68], -v[67:68], v[71:72], v[75:76]
	v_div_fmas_f64 v[67:68], v[67:68], v[69:70], v[71:72]
                                        ; implicit-def: $vgpr69_vgpr70
                                        ; implicit-def: $vgpr71_vgpr72
	v_div_fixup_f64 v[3:4], v[67:68], v[3:4], 1.0
	v_mul_f64 v[67:68], v[1:2], v[3:4]
	v_xor_b32_e32 v4, 0x80000000, v4
	v_xor_b32_e32 v2, 0x80000000, v68
	v_mov_b32_e32 v1, v67
.LBB30_15:
	s_andn2_saveexec_b32 s5, s5
	s_cbranch_execz .LBB30_17
; %bb.16:
	v_div_scale_f64 v[1:2], null, v[69:70], v[69:70], v[71:72]
	v_div_scale_f64 v[75:76], vcc_lo, v[71:72], v[69:70], v[71:72]
	v_rcp_f64_e32 v[3:4], v[1:2]
	v_fma_f64 v[67:68], -v[1:2], v[3:4], 1.0
	v_fma_f64 v[3:4], v[3:4], v[67:68], v[3:4]
	v_fma_f64 v[67:68], -v[1:2], v[3:4], 1.0
	v_fma_f64 v[3:4], v[3:4], v[67:68], v[3:4]
	v_mul_f64 v[67:68], v[75:76], v[3:4]
	v_fma_f64 v[1:2], -v[1:2], v[67:68], v[75:76]
	v_div_fmas_f64 v[1:2], v[1:2], v[3:4], v[67:68]
	v_div_fixup_f64 v[1:2], v[1:2], v[69:70], v[71:72]
	v_fma_f64 v[3:4], v[71:72], v[1:2], v[69:70]
	v_div_scale_f64 v[67:68], null, v[3:4], v[3:4], 1.0
	v_rcp_f64_e32 v[69:70], v[67:68]
	v_fma_f64 v[71:72], -v[67:68], v[69:70], 1.0
	v_fma_f64 v[69:70], v[69:70], v[71:72], v[69:70]
	v_fma_f64 v[71:72], -v[67:68], v[69:70], 1.0
	v_fma_f64 v[69:70], v[69:70], v[71:72], v[69:70]
	v_div_scale_f64 v[71:72], vcc_lo, 1.0, v[3:4], 1.0
	v_mul_f64 v[75:76], v[71:72], v[69:70]
	v_fma_f64 v[67:68], -v[67:68], v[75:76], v[71:72]
	v_div_fmas_f64 v[67:68], v[67:68], v[69:70], v[75:76]
	v_div_fixup_f64 v[67:68], v[67:68], v[3:4], 1.0
	v_mul_f64 v[3:4], v[1:2], -v[67:68]
	v_xor_b32_e32 v2, 0x80000000, v68
	v_mov_b32_e32 v1, v67
.LBB30_17:
	s_or_b32 exec_lo, exec_lo, s5
	v_mov_b32_e32 v72, s43
	buffer_store_dword v68, v74, s[0:3], 0 offen offset:4
	buffer_store_dword v67, v74, s[0:3], 0 offen
	buffer_store_dword v4, v74, s[0:3], 0 offen offset:12
	buffer_store_dword v3, v74, s[0:3], 0 offen offset:8
	v_xor_b32_e32 v4, 0x80000000, v4
	v_add_nc_u32_e32 v67, 0x1f0, v73
	s_clause 0x3
	buffer_load_dword v71, v72, s[0:3], 0 offen offset:12
	buffer_load_dword v70, v72, s[0:3], 0 offen offset:8
	;; [unrolled: 1-line block ×3, first 2 shown]
	buffer_load_dword v68, v72, s[0:3], 0 offen
	ds_write_b128 v73, v[1:4]
	s_waitcnt vmcnt(0)
	ds_write_b128 v73, v[68:71] offset:496
	s_waitcnt lgkmcnt(0)
	s_waitcnt_vscnt null, 0x0
	s_barrier
	buffer_gl0_inv
	s_and_saveexec_b32 s5, s4
	s_cbranch_execz .LBB30_19
; %bb.18:
	s_clause 0x3
	buffer_load_dword v75, v74, s[0:3], 0 offen offset:8
	buffer_load_dword v76, v74, s[0:3], 0 offen offset:12
	buffer_load_dword v77, v74, s[0:3], 0 offen
	buffer_load_dword v78, v74, s[0:3], 0 offen offset:4
	ds_read_b128 v[1:4], v67
	v_mov_b32_e32 v68, 0
	ds_read_b128 v[68:71], v68 offset:16
	s_waitcnt vmcnt(2) lgkmcnt(1)
	v_mul_f64 v[79:80], v[1:2], v[75:76]
	v_mul_f64 v[75:76], v[3:4], v[75:76]
	s_waitcnt vmcnt(0)
	v_fma_f64 v[3:4], v[3:4], v[77:78], v[79:80]
	v_fma_f64 v[1:2], v[1:2], v[77:78], -v[75:76]
	v_add_f64 v[3:4], v[3:4], 0
	v_add_f64 v[1:2], v[1:2], 0
	s_waitcnt lgkmcnt(0)
	v_mul_f64 v[75:76], v[3:4], v[70:71]
	v_mul_f64 v[70:71], v[1:2], v[70:71]
	v_fma_f64 v[1:2], v[1:2], v[68:69], -v[75:76]
	v_fma_f64 v[3:4], v[3:4], v[68:69], v[70:71]
	buffer_store_dword v1, off, s[0:3], 0 offset:32
	buffer_store_dword v2, off, s[0:3], 0 offset:36
	;; [unrolled: 1-line block ×4, first 2 shown]
.LBB30_19:
	s_or_b32 exec_lo, exec_lo, s5
	v_mov_b32_e32 v4, s42
	s_waitcnt_vscnt null, 0x0
	s_barrier
	buffer_gl0_inv
	s_mov_b32 s5, exec_lo
	s_clause 0x3
	buffer_load_dword v1, v4, s[0:3], 0 offen
	buffer_load_dword v2, v4, s[0:3], 0 offen offset:4
	buffer_load_dword v3, v4, s[0:3], 0 offen offset:8
	;; [unrolled: 1-line block ×3, first 2 shown]
	s_waitcnt vmcnt(0)
	ds_write_b128 v67, v[1:4]
	s_waitcnt lgkmcnt(0)
	s_barrier
	buffer_gl0_inv
	v_cmpx_gt_u32_e32 2, v0
	s_cbranch_execz .LBB30_23
; %bb.20:
	s_clause 0x3
	buffer_load_dword v68, v74, s[0:3], 0 offen offset:8
	buffer_load_dword v69, v74, s[0:3], 0 offen offset:12
	buffer_load_dword v70, v74, s[0:3], 0 offen
	buffer_load_dword v71, v74, s[0:3], 0 offen offset:4
	ds_read_b128 v[1:4], v67
	s_waitcnt vmcnt(2) lgkmcnt(0)
	v_mul_f64 v[74:75], v[3:4], v[68:69]
	v_mul_f64 v[68:69], v[1:2], v[68:69]
	s_waitcnt vmcnt(0)
	v_fma_f64 v[1:2], v[1:2], v[70:71], -v[74:75]
	v_fma_f64 v[3:4], v[3:4], v[70:71], v[68:69]
	v_add_f64 v[1:2], v[1:2], 0
	v_add_f64 v[3:4], v[3:4], 0
	s_and_saveexec_b32 s44, s4
	s_cbranch_execz .LBB30_22
; %bb.21:
	s_clause 0x3
	buffer_load_dword v74, off, s[0:3], 0 offset:40
	buffer_load_dword v75, off, s[0:3], 0 offset:44
	buffer_load_dword v76, off, s[0:3], 0 offset:32
	buffer_load_dword v77, off, s[0:3], 0 offset:36
	v_mov_b32_e32 v68, 0
	ds_read_b128 v[68:71], v68 offset:512
	s_waitcnt vmcnt(2) lgkmcnt(0)
	v_mul_f64 v[78:79], v[68:69], v[74:75]
	v_mul_f64 v[74:75], v[70:71], v[74:75]
	s_waitcnt vmcnt(0)
	v_fma_f64 v[70:71], v[70:71], v[76:77], v[78:79]
	v_fma_f64 v[68:69], v[68:69], v[76:77], -v[74:75]
	v_add_f64 v[3:4], v[3:4], v[70:71]
	v_add_f64 v[1:2], v[1:2], v[68:69]
.LBB30_22:
	s_or_b32 exec_lo, exec_lo, s44
	v_mov_b32_e32 v68, 0
	ds_read_b128 v[68:71], v68 offset:32
	s_waitcnt lgkmcnt(0)
	v_mul_f64 v[74:75], v[3:4], v[70:71]
	v_mul_f64 v[70:71], v[1:2], v[70:71]
	v_fma_f64 v[1:2], v[1:2], v[68:69], -v[74:75]
	v_fma_f64 v[3:4], v[3:4], v[68:69], v[70:71]
	buffer_store_dword v2, off, s[0:3], 0 offset:52
	buffer_store_dword v1, off, s[0:3], 0 offset:48
	;; [unrolled: 1-line block ×4, first 2 shown]
.LBB30_23:
	s_or_b32 exec_lo, exec_lo, s5
	v_mov_b32_e32 v4, s41
	s_waitcnt_vscnt null, 0x0
	s_barrier
	buffer_gl0_inv
	v_add_nc_u32_e32 v68, -1, v0
	s_clause 0x3
	buffer_load_dword v1, v4, s[0:3], 0 offen
	buffer_load_dword v2, v4, s[0:3], 0 offen offset:4
	buffer_load_dword v3, v4, s[0:3], 0 offen offset:8
	;; [unrolled: 1-line block ×3, first 2 shown]
	s_mov_b32 s4, exec_lo
	s_waitcnt vmcnt(0)
	ds_write_b128 v67, v[1:4]
	s_waitcnt lgkmcnt(0)
	s_barrier
	buffer_gl0_inv
	v_cmpx_gt_u32_e32 3, v0
	s_cbranch_execz .LBB30_27
; %bb.24:
	v_mov_b32_e32 v1, 0
	v_mov_b32_e32 v3, 0
	v_add_nc_u32_e32 v69, -1, v0
	v_add_nc_u32_e32 v70, 0x1f0, v73
	v_mov_b32_e32 v2, 0
	v_mov_b32_e32 v4, 0
	v_add_nc_u32_e32 v71, 16, v73
	s_mov_b32 s5, 0
	.p2align	6
.LBB30_25:                              ; =>This Inner Loop Header: Depth=1
	s_clause 0x3
	buffer_load_dword v78, v71, s[0:3], 0 offen offset:8
	buffer_load_dword v79, v71, s[0:3], 0 offen offset:12
	buffer_load_dword v80, v71, s[0:3], 0 offen
	buffer_load_dword v81, v71, s[0:3], 0 offen offset:4
	ds_read_b128 v[74:77], v70
	v_add_nc_u32_e32 v69, 1, v69
	v_add_nc_u32_e32 v70, 16, v70
	;; [unrolled: 1-line block ×3, first 2 shown]
	v_cmp_lt_u32_e32 vcc_lo, 1, v69
	s_or_b32 s5, vcc_lo, s5
	s_waitcnt vmcnt(2) lgkmcnt(0)
	v_mul_f64 v[82:83], v[76:77], v[78:79]
	v_mul_f64 v[78:79], v[74:75], v[78:79]
	s_waitcnt vmcnt(0)
	v_fma_f64 v[74:75], v[74:75], v[80:81], -v[82:83]
	v_fma_f64 v[76:77], v[76:77], v[80:81], v[78:79]
	v_add_f64 v[3:4], v[3:4], v[74:75]
	v_add_f64 v[1:2], v[1:2], v[76:77]
	s_andn2_b32 exec_lo, exec_lo, s5
	s_cbranch_execnz .LBB30_25
; %bb.26:
	s_or_b32 exec_lo, exec_lo, s5
	v_mov_b32_e32 v69, 0
	ds_read_b128 v[69:72], v69 offset:48
	s_waitcnt lgkmcnt(0)
	v_mul_f64 v[74:75], v[1:2], v[71:72]
	v_mul_f64 v[71:72], v[3:4], v[71:72]
	v_fma_f64 v[3:4], v[3:4], v[69:70], -v[74:75]
	v_fma_f64 v[1:2], v[1:2], v[69:70], v[71:72]
	buffer_store_dword v4, off, s[0:3], 0 offset:68
	buffer_store_dword v3, off, s[0:3], 0 offset:64
	;; [unrolled: 1-line block ×4, first 2 shown]
.LBB30_27:
	s_or_b32 exec_lo, exec_lo, s4
	v_mov_b32_e32 v4, s39
	s_waitcnt_vscnt null, 0x0
	s_barrier
	buffer_gl0_inv
	s_mov_b32 s4, exec_lo
	s_clause 0x3
	buffer_load_dword v1, v4, s[0:3], 0 offen
	buffer_load_dword v2, v4, s[0:3], 0 offen offset:4
	buffer_load_dword v3, v4, s[0:3], 0 offen offset:8
	;; [unrolled: 1-line block ×3, first 2 shown]
	s_waitcnt vmcnt(0)
	ds_write_b128 v67, v[1:4]
	s_waitcnt lgkmcnt(0)
	s_barrier
	buffer_gl0_inv
	v_cmpx_gt_u32_e32 4, v0
	s_cbranch_execz .LBB30_31
; %bb.28:
	v_mov_b32_e32 v1, 0
	v_mov_b32_e32 v3, 0
	v_add_nc_u32_e32 v69, -1, v0
	v_add_nc_u32_e32 v70, 0x1f0, v73
	v_mov_b32_e32 v2, 0
	v_mov_b32_e32 v4, 0
	v_add_nc_u32_e32 v71, 16, v73
	s_mov_b32 s5, 0
	.p2align	6
.LBB30_29:                              ; =>This Inner Loop Header: Depth=1
	s_clause 0x3
	buffer_load_dword v78, v71, s[0:3], 0 offen offset:8
	buffer_load_dword v79, v71, s[0:3], 0 offen offset:12
	buffer_load_dword v80, v71, s[0:3], 0 offen
	buffer_load_dword v81, v71, s[0:3], 0 offen offset:4
	ds_read_b128 v[74:77], v70
	v_add_nc_u32_e32 v69, 1, v69
	v_add_nc_u32_e32 v70, 16, v70
	;; [unrolled: 1-line block ×3, first 2 shown]
	v_cmp_lt_u32_e32 vcc_lo, 2, v69
	s_or_b32 s5, vcc_lo, s5
	s_waitcnt vmcnt(2) lgkmcnt(0)
	v_mul_f64 v[82:83], v[76:77], v[78:79]
	v_mul_f64 v[78:79], v[74:75], v[78:79]
	s_waitcnt vmcnt(0)
	v_fma_f64 v[74:75], v[74:75], v[80:81], -v[82:83]
	v_fma_f64 v[76:77], v[76:77], v[80:81], v[78:79]
	v_add_f64 v[3:4], v[3:4], v[74:75]
	v_add_f64 v[1:2], v[1:2], v[76:77]
	s_andn2_b32 exec_lo, exec_lo, s5
	s_cbranch_execnz .LBB30_29
; %bb.30:
	s_or_b32 exec_lo, exec_lo, s5
	v_mov_b32_e32 v69, 0
	ds_read_b128 v[69:72], v69 offset:64
	s_waitcnt lgkmcnt(0)
	v_mul_f64 v[74:75], v[1:2], v[71:72]
	v_mul_f64 v[71:72], v[3:4], v[71:72]
	v_fma_f64 v[3:4], v[3:4], v[69:70], -v[74:75]
	v_fma_f64 v[1:2], v[1:2], v[69:70], v[71:72]
	buffer_store_dword v4, off, s[0:3], 0 offset:84
	buffer_store_dword v3, off, s[0:3], 0 offset:80
	;; [unrolled: 1-line block ×4, first 2 shown]
.LBB30_31:
	s_or_b32 exec_lo, exec_lo, s4
	v_mov_b32_e32 v4, s38
	s_waitcnt_vscnt null, 0x0
	s_barrier
	buffer_gl0_inv
	s_mov_b32 s4, exec_lo
	s_clause 0x3
	buffer_load_dword v1, v4, s[0:3], 0 offen
	buffer_load_dword v2, v4, s[0:3], 0 offen offset:4
	buffer_load_dword v3, v4, s[0:3], 0 offen offset:8
	;; [unrolled: 1-line block ×3, first 2 shown]
	s_waitcnt vmcnt(0)
	ds_write_b128 v67, v[1:4]
	s_waitcnt lgkmcnt(0)
	s_barrier
	buffer_gl0_inv
	v_cmpx_gt_u32_e32 5, v0
	s_cbranch_execz .LBB30_35
; %bb.32:
	v_mov_b32_e32 v1, 0
	v_mov_b32_e32 v3, 0
	v_add_nc_u32_e32 v69, -1, v0
	v_add_nc_u32_e32 v70, 0x1f0, v73
	v_mov_b32_e32 v2, 0
	v_mov_b32_e32 v4, 0
	v_add_nc_u32_e32 v71, 16, v73
	s_mov_b32 s5, 0
	.p2align	6
.LBB30_33:                              ; =>This Inner Loop Header: Depth=1
	s_clause 0x3
	buffer_load_dword v78, v71, s[0:3], 0 offen offset:8
	buffer_load_dword v79, v71, s[0:3], 0 offen offset:12
	buffer_load_dword v80, v71, s[0:3], 0 offen
	buffer_load_dword v81, v71, s[0:3], 0 offen offset:4
	ds_read_b128 v[74:77], v70
	v_add_nc_u32_e32 v69, 1, v69
	v_add_nc_u32_e32 v70, 16, v70
	;; [unrolled: 1-line block ×3, first 2 shown]
	v_cmp_lt_u32_e32 vcc_lo, 3, v69
	s_or_b32 s5, vcc_lo, s5
	s_waitcnt vmcnt(2) lgkmcnt(0)
	v_mul_f64 v[82:83], v[76:77], v[78:79]
	v_mul_f64 v[78:79], v[74:75], v[78:79]
	s_waitcnt vmcnt(0)
	v_fma_f64 v[74:75], v[74:75], v[80:81], -v[82:83]
	v_fma_f64 v[76:77], v[76:77], v[80:81], v[78:79]
	v_add_f64 v[3:4], v[3:4], v[74:75]
	v_add_f64 v[1:2], v[1:2], v[76:77]
	s_andn2_b32 exec_lo, exec_lo, s5
	s_cbranch_execnz .LBB30_33
; %bb.34:
	s_or_b32 exec_lo, exec_lo, s5
	v_mov_b32_e32 v69, 0
	ds_read_b128 v[69:72], v69 offset:80
	s_waitcnt lgkmcnt(0)
	v_mul_f64 v[74:75], v[1:2], v[71:72]
	v_mul_f64 v[71:72], v[3:4], v[71:72]
	v_fma_f64 v[3:4], v[3:4], v[69:70], -v[74:75]
	v_fma_f64 v[1:2], v[1:2], v[69:70], v[71:72]
	buffer_store_dword v4, off, s[0:3], 0 offset:100
	buffer_store_dword v3, off, s[0:3], 0 offset:96
	;; [unrolled: 1-line block ×4, first 2 shown]
.LBB30_35:
	s_or_b32 exec_lo, exec_lo, s4
	v_mov_b32_e32 v4, s37
	s_waitcnt_vscnt null, 0x0
	s_barrier
	buffer_gl0_inv
	s_mov_b32 s4, exec_lo
	s_clause 0x3
	buffer_load_dword v1, v4, s[0:3], 0 offen
	buffer_load_dword v2, v4, s[0:3], 0 offen offset:4
	buffer_load_dword v3, v4, s[0:3], 0 offen offset:8
	buffer_load_dword v4, v4, s[0:3], 0 offen offset:12
	s_waitcnt vmcnt(0)
	ds_write_b128 v67, v[1:4]
	s_waitcnt lgkmcnt(0)
	s_barrier
	buffer_gl0_inv
	v_cmpx_gt_u32_e32 6, v0
	s_cbranch_execz .LBB30_39
; %bb.36:
	v_mov_b32_e32 v1, 0
	v_mov_b32_e32 v3, 0
	v_add_nc_u32_e32 v69, -1, v0
	v_add_nc_u32_e32 v70, 0x1f0, v73
	v_mov_b32_e32 v2, 0
	v_mov_b32_e32 v4, 0
	v_add_nc_u32_e32 v71, 16, v73
	s_mov_b32 s5, 0
	.p2align	6
.LBB30_37:                              ; =>This Inner Loop Header: Depth=1
	s_clause 0x3
	buffer_load_dword v78, v71, s[0:3], 0 offen offset:8
	buffer_load_dword v79, v71, s[0:3], 0 offen offset:12
	buffer_load_dword v80, v71, s[0:3], 0 offen
	buffer_load_dword v81, v71, s[0:3], 0 offen offset:4
	ds_read_b128 v[74:77], v70
	v_add_nc_u32_e32 v69, 1, v69
	v_add_nc_u32_e32 v70, 16, v70
	;; [unrolled: 1-line block ×3, first 2 shown]
	v_cmp_lt_u32_e32 vcc_lo, 4, v69
	s_or_b32 s5, vcc_lo, s5
	s_waitcnt vmcnt(2) lgkmcnt(0)
	v_mul_f64 v[82:83], v[76:77], v[78:79]
	v_mul_f64 v[78:79], v[74:75], v[78:79]
	s_waitcnt vmcnt(0)
	v_fma_f64 v[74:75], v[74:75], v[80:81], -v[82:83]
	v_fma_f64 v[76:77], v[76:77], v[80:81], v[78:79]
	v_add_f64 v[3:4], v[3:4], v[74:75]
	v_add_f64 v[1:2], v[1:2], v[76:77]
	s_andn2_b32 exec_lo, exec_lo, s5
	s_cbranch_execnz .LBB30_37
; %bb.38:
	s_or_b32 exec_lo, exec_lo, s5
	v_mov_b32_e32 v69, 0
	ds_read_b128 v[69:72], v69 offset:96
	s_waitcnt lgkmcnt(0)
	v_mul_f64 v[74:75], v[1:2], v[71:72]
	v_mul_f64 v[71:72], v[3:4], v[71:72]
	v_fma_f64 v[3:4], v[3:4], v[69:70], -v[74:75]
	v_fma_f64 v[1:2], v[1:2], v[69:70], v[71:72]
	buffer_store_dword v4, off, s[0:3], 0 offset:116
	buffer_store_dword v3, off, s[0:3], 0 offset:112
	buffer_store_dword v2, off, s[0:3], 0 offset:124
	buffer_store_dword v1, off, s[0:3], 0 offset:120
.LBB30_39:
	s_or_b32 exec_lo, exec_lo, s4
	v_mov_b32_e32 v4, s36
	s_waitcnt_vscnt null, 0x0
	s_barrier
	buffer_gl0_inv
	s_mov_b32 s4, exec_lo
	s_clause 0x3
	buffer_load_dword v1, v4, s[0:3], 0 offen
	buffer_load_dword v2, v4, s[0:3], 0 offen offset:4
	buffer_load_dword v3, v4, s[0:3], 0 offen offset:8
	;; [unrolled: 1-line block ×3, first 2 shown]
	s_waitcnt vmcnt(0)
	ds_write_b128 v67, v[1:4]
	s_waitcnt lgkmcnt(0)
	s_barrier
	buffer_gl0_inv
	v_cmpx_gt_u32_e32 7, v0
	s_cbranch_execz .LBB30_43
; %bb.40:
	v_mov_b32_e32 v1, 0
	v_mov_b32_e32 v3, 0
	v_add_nc_u32_e32 v69, -1, v0
	v_add_nc_u32_e32 v70, 0x1f0, v73
	v_mov_b32_e32 v2, 0
	v_mov_b32_e32 v4, 0
	v_add_nc_u32_e32 v71, 16, v73
	s_mov_b32 s5, 0
	.p2align	6
.LBB30_41:                              ; =>This Inner Loop Header: Depth=1
	s_clause 0x3
	buffer_load_dword v78, v71, s[0:3], 0 offen offset:8
	buffer_load_dword v79, v71, s[0:3], 0 offen offset:12
	buffer_load_dword v80, v71, s[0:3], 0 offen
	buffer_load_dword v81, v71, s[0:3], 0 offen offset:4
	ds_read_b128 v[74:77], v70
	v_add_nc_u32_e32 v69, 1, v69
	v_add_nc_u32_e32 v70, 16, v70
	;; [unrolled: 1-line block ×3, first 2 shown]
	v_cmp_lt_u32_e32 vcc_lo, 5, v69
	s_or_b32 s5, vcc_lo, s5
	s_waitcnt vmcnt(2) lgkmcnt(0)
	v_mul_f64 v[82:83], v[76:77], v[78:79]
	v_mul_f64 v[78:79], v[74:75], v[78:79]
	s_waitcnt vmcnt(0)
	v_fma_f64 v[74:75], v[74:75], v[80:81], -v[82:83]
	v_fma_f64 v[76:77], v[76:77], v[80:81], v[78:79]
	v_add_f64 v[3:4], v[3:4], v[74:75]
	v_add_f64 v[1:2], v[1:2], v[76:77]
	s_andn2_b32 exec_lo, exec_lo, s5
	s_cbranch_execnz .LBB30_41
; %bb.42:
	s_or_b32 exec_lo, exec_lo, s5
	v_mov_b32_e32 v69, 0
	ds_read_b128 v[69:72], v69 offset:112
	s_waitcnt lgkmcnt(0)
	v_mul_f64 v[74:75], v[1:2], v[71:72]
	v_mul_f64 v[71:72], v[3:4], v[71:72]
	v_fma_f64 v[3:4], v[3:4], v[69:70], -v[74:75]
	v_fma_f64 v[1:2], v[1:2], v[69:70], v[71:72]
	buffer_store_dword v4, off, s[0:3], 0 offset:132
	buffer_store_dword v3, off, s[0:3], 0 offset:128
	;; [unrolled: 1-line block ×4, first 2 shown]
.LBB30_43:
	s_or_b32 exec_lo, exec_lo, s4
	v_mov_b32_e32 v4, s35
	s_waitcnt_vscnt null, 0x0
	s_barrier
	buffer_gl0_inv
	s_mov_b32 s4, exec_lo
	s_clause 0x3
	buffer_load_dword v1, v4, s[0:3], 0 offen
	buffer_load_dword v2, v4, s[0:3], 0 offen offset:4
	buffer_load_dword v3, v4, s[0:3], 0 offen offset:8
	;; [unrolled: 1-line block ×3, first 2 shown]
	s_waitcnt vmcnt(0)
	ds_write_b128 v67, v[1:4]
	s_waitcnt lgkmcnt(0)
	s_barrier
	buffer_gl0_inv
	v_cmpx_gt_u32_e32 8, v0
	s_cbranch_execz .LBB30_47
; %bb.44:
	v_mov_b32_e32 v1, 0
	v_mov_b32_e32 v3, 0
	v_add_nc_u32_e32 v69, -1, v0
	v_add_nc_u32_e32 v70, 0x1f0, v73
	v_mov_b32_e32 v2, 0
	v_mov_b32_e32 v4, 0
	v_add_nc_u32_e32 v71, 16, v73
	s_mov_b32 s5, 0
	.p2align	6
.LBB30_45:                              ; =>This Inner Loop Header: Depth=1
	s_clause 0x3
	buffer_load_dword v78, v71, s[0:3], 0 offen offset:8
	buffer_load_dword v79, v71, s[0:3], 0 offen offset:12
	buffer_load_dword v80, v71, s[0:3], 0 offen
	buffer_load_dword v81, v71, s[0:3], 0 offen offset:4
	ds_read_b128 v[74:77], v70
	v_add_nc_u32_e32 v69, 1, v69
	v_add_nc_u32_e32 v70, 16, v70
	;; [unrolled: 1-line block ×3, first 2 shown]
	v_cmp_lt_u32_e32 vcc_lo, 6, v69
	s_or_b32 s5, vcc_lo, s5
	s_waitcnt vmcnt(2) lgkmcnt(0)
	v_mul_f64 v[82:83], v[76:77], v[78:79]
	v_mul_f64 v[78:79], v[74:75], v[78:79]
	s_waitcnt vmcnt(0)
	v_fma_f64 v[74:75], v[74:75], v[80:81], -v[82:83]
	v_fma_f64 v[76:77], v[76:77], v[80:81], v[78:79]
	v_add_f64 v[3:4], v[3:4], v[74:75]
	v_add_f64 v[1:2], v[1:2], v[76:77]
	s_andn2_b32 exec_lo, exec_lo, s5
	s_cbranch_execnz .LBB30_45
; %bb.46:
	s_or_b32 exec_lo, exec_lo, s5
	v_mov_b32_e32 v69, 0
	ds_read_b128 v[69:72], v69 offset:128
	s_waitcnt lgkmcnt(0)
	v_mul_f64 v[74:75], v[1:2], v[71:72]
	v_mul_f64 v[71:72], v[3:4], v[71:72]
	v_fma_f64 v[3:4], v[3:4], v[69:70], -v[74:75]
	v_fma_f64 v[1:2], v[1:2], v[69:70], v[71:72]
	buffer_store_dword v4, off, s[0:3], 0 offset:148
	buffer_store_dword v3, off, s[0:3], 0 offset:144
	;; [unrolled: 1-line block ×4, first 2 shown]
.LBB30_47:
	s_or_b32 exec_lo, exec_lo, s4
	v_mov_b32_e32 v4, s34
	s_waitcnt_vscnt null, 0x0
	s_barrier
	buffer_gl0_inv
	s_mov_b32 s4, exec_lo
	s_clause 0x3
	buffer_load_dword v1, v4, s[0:3], 0 offen
	buffer_load_dword v2, v4, s[0:3], 0 offen offset:4
	buffer_load_dword v3, v4, s[0:3], 0 offen offset:8
	;; [unrolled: 1-line block ×3, first 2 shown]
	s_waitcnt vmcnt(0)
	ds_write_b128 v67, v[1:4]
	s_waitcnt lgkmcnt(0)
	s_barrier
	buffer_gl0_inv
	v_cmpx_gt_u32_e32 9, v0
	s_cbranch_execz .LBB30_51
; %bb.48:
	v_mov_b32_e32 v1, 0
	v_mov_b32_e32 v3, 0
	v_add_nc_u32_e32 v69, -1, v0
	v_add_nc_u32_e32 v70, 0x1f0, v73
	v_mov_b32_e32 v2, 0
	v_mov_b32_e32 v4, 0
	v_add_nc_u32_e32 v71, 16, v73
	s_mov_b32 s5, 0
	.p2align	6
.LBB30_49:                              ; =>This Inner Loop Header: Depth=1
	s_clause 0x3
	buffer_load_dword v78, v71, s[0:3], 0 offen offset:8
	buffer_load_dword v79, v71, s[0:3], 0 offen offset:12
	buffer_load_dword v80, v71, s[0:3], 0 offen
	buffer_load_dword v81, v71, s[0:3], 0 offen offset:4
	ds_read_b128 v[74:77], v70
	v_add_nc_u32_e32 v69, 1, v69
	v_add_nc_u32_e32 v70, 16, v70
	;; [unrolled: 1-line block ×3, first 2 shown]
	v_cmp_lt_u32_e32 vcc_lo, 7, v69
	s_or_b32 s5, vcc_lo, s5
	s_waitcnt vmcnt(2) lgkmcnt(0)
	v_mul_f64 v[82:83], v[76:77], v[78:79]
	v_mul_f64 v[78:79], v[74:75], v[78:79]
	s_waitcnt vmcnt(0)
	v_fma_f64 v[74:75], v[74:75], v[80:81], -v[82:83]
	v_fma_f64 v[76:77], v[76:77], v[80:81], v[78:79]
	v_add_f64 v[3:4], v[3:4], v[74:75]
	v_add_f64 v[1:2], v[1:2], v[76:77]
	s_andn2_b32 exec_lo, exec_lo, s5
	s_cbranch_execnz .LBB30_49
; %bb.50:
	s_or_b32 exec_lo, exec_lo, s5
	v_mov_b32_e32 v69, 0
	ds_read_b128 v[69:72], v69 offset:144
	s_waitcnt lgkmcnt(0)
	v_mul_f64 v[74:75], v[1:2], v[71:72]
	v_mul_f64 v[71:72], v[3:4], v[71:72]
	v_fma_f64 v[3:4], v[3:4], v[69:70], -v[74:75]
	v_fma_f64 v[1:2], v[1:2], v[69:70], v[71:72]
	buffer_store_dword v4, off, s[0:3], 0 offset:164
	buffer_store_dword v3, off, s[0:3], 0 offset:160
	;; [unrolled: 1-line block ×4, first 2 shown]
.LBB30_51:
	s_or_b32 exec_lo, exec_lo, s4
	v_mov_b32_e32 v4, s33
	s_waitcnt_vscnt null, 0x0
	s_barrier
	buffer_gl0_inv
	s_mov_b32 s4, exec_lo
	s_clause 0x3
	buffer_load_dword v1, v4, s[0:3], 0 offen
	buffer_load_dword v2, v4, s[0:3], 0 offen offset:4
	buffer_load_dword v3, v4, s[0:3], 0 offen offset:8
	;; [unrolled: 1-line block ×3, first 2 shown]
	s_waitcnt vmcnt(0)
	ds_write_b128 v67, v[1:4]
	s_waitcnt lgkmcnt(0)
	s_barrier
	buffer_gl0_inv
	v_cmpx_gt_u32_e32 10, v0
	s_cbranch_execz .LBB30_55
; %bb.52:
	v_mov_b32_e32 v1, 0
	v_mov_b32_e32 v3, 0
	v_add_nc_u32_e32 v69, -1, v0
	v_add_nc_u32_e32 v70, 0x1f0, v73
	v_mov_b32_e32 v2, 0
	v_mov_b32_e32 v4, 0
	v_add_nc_u32_e32 v71, 16, v73
	s_mov_b32 s5, 0
	.p2align	6
.LBB30_53:                              ; =>This Inner Loop Header: Depth=1
	s_clause 0x3
	buffer_load_dword v78, v71, s[0:3], 0 offen offset:8
	buffer_load_dword v79, v71, s[0:3], 0 offen offset:12
	buffer_load_dword v80, v71, s[0:3], 0 offen
	buffer_load_dword v81, v71, s[0:3], 0 offen offset:4
	ds_read_b128 v[74:77], v70
	v_add_nc_u32_e32 v69, 1, v69
	v_add_nc_u32_e32 v70, 16, v70
	v_add_nc_u32_e32 v71, 16, v71
	v_cmp_lt_u32_e32 vcc_lo, 8, v69
	s_or_b32 s5, vcc_lo, s5
	s_waitcnt vmcnt(2) lgkmcnt(0)
	v_mul_f64 v[82:83], v[76:77], v[78:79]
	v_mul_f64 v[78:79], v[74:75], v[78:79]
	s_waitcnt vmcnt(0)
	v_fma_f64 v[74:75], v[74:75], v[80:81], -v[82:83]
	v_fma_f64 v[76:77], v[76:77], v[80:81], v[78:79]
	v_add_f64 v[3:4], v[3:4], v[74:75]
	v_add_f64 v[1:2], v[1:2], v[76:77]
	s_andn2_b32 exec_lo, exec_lo, s5
	s_cbranch_execnz .LBB30_53
; %bb.54:
	s_or_b32 exec_lo, exec_lo, s5
	v_mov_b32_e32 v69, 0
	ds_read_b128 v[69:72], v69 offset:160
	s_waitcnt lgkmcnt(0)
	v_mul_f64 v[74:75], v[1:2], v[71:72]
	v_mul_f64 v[71:72], v[3:4], v[71:72]
	v_fma_f64 v[3:4], v[3:4], v[69:70], -v[74:75]
	v_fma_f64 v[1:2], v[1:2], v[69:70], v[71:72]
	buffer_store_dword v4, off, s[0:3], 0 offset:180
	buffer_store_dword v3, off, s[0:3], 0 offset:176
	;; [unrolled: 1-line block ×4, first 2 shown]
.LBB30_55:
	s_or_b32 exec_lo, exec_lo, s4
	v_mov_b32_e32 v4, s31
	s_waitcnt_vscnt null, 0x0
	s_barrier
	buffer_gl0_inv
	s_mov_b32 s4, exec_lo
	s_clause 0x3
	buffer_load_dword v1, v4, s[0:3], 0 offen
	buffer_load_dword v2, v4, s[0:3], 0 offen offset:4
	buffer_load_dword v3, v4, s[0:3], 0 offen offset:8
	;; [unrolled: 1-line block ×3, first 2 shown]
	s_waitcnt vmcnt(0)
	ds_write_b128 v67, v[1:4]
	s_waitcnt lgkmcnt(0)
	s_barrier
	buffer_gl0_inv
	v_cmpx_gt_u32_e32 11, v0
	s_cbranch_execz .LBB30_59
; %bb.56:
	v_mov_b32_e32 v1, 0
	v_mov_b32_e32 v3, 0
	v_add_nc_u32_e32 v69, -1, v0
	v_add_nc_u32_e32 v70, 0x1f0, v73
	v_mov_b32_e32 v2, 0
	v_mov_b32_e32 v4, 0
	v_add_nc_u32_e32 v71, 16, v73
	s_mov_b32 s5, 0
	.p2align	6
.LBB30_57:                              ; =>This Inner Loop Header: Depth=1
	s_clause 0x3
	buffer_load_dword v78, v71, s[0:3], 0 offen offset:8
	buffer_load_dword v79, v71, s[0:3], 0 offen offset:12
	buffer_load_dword v80, v71, s[0:3], 0 offen
	buffer_load_dword v81, v71, s[0:3], 0 offen offset:4
	ds_read_b128 v[74:77], v70
	v_add_nc_u32_e32 v69, 1, v69
	v_add_nc_u32_e32 v70, 16, v70
	;; [unrolled: 1-line block ×3, first 2 shown]
	v_cmp_lt_u32_e32 vcc_lo, 9, v69
	s_or_b32 s5, vcc_lo, s5
	s_waitcnt vmcnt(2) lgkmcnt(0)
	v_mul_f64 v[82:83], v[76:77], v[78:79]
	v_mul_f64 v[78:79], v[74:75], v[78:79]
	s_waitcnt vmcnt(0)
	v_fma_f64 v[74:75], v[74:75], v[80:81], -v[82:83]
	v_fma_f64 v[76:77], v[76:77], v[80:81], v[78:79]
	v_add_f64 v[3:4], v[3:4], v[74:75]
	v_add_f64 v[1:2], v[1:2], v[76:77]
	s_andn2_b32 exec_lo, exec_lo, s5
	s_cbranch_execnz .LBB30_57
; %bb.58:
	s_or_b32 exec_lo, exec_lo, s5
	v_mov_b32_e32 v69, 0
	ds_read_b128 v[69:72], v69 offset:176
	s_waitcnt lgkmcnt(0)
	v_mul_f64 v[74:75], v[1:2], v[71:72]
	v_mul_f64 v[71:72], v[3:4], v[71:72]
	v_fma_f64 v[3:4], v[3:4], v[69:70], -v[74:75]
	v_fma_f64 v[1:2], v[1:2], v[69:70], v[71:72]
	buffer_store_dword v4, off, s[0:3], 0 offset:196
	buffer_store_dword v3, off, s[0:3], 0 offset:192
	;; [unrolled: 1-line block ×4, first 2 shown]
.LBB30_59:
	s_or_b32 exec_lo, exec_lo, s4
	v_mov_b32_e32 v4, s30
	s_waitcnt_vscnt null, 0x0
	s_barrier
	buffer_gl0_inv
	s_mov_b32 s4, exec_lo
	s_clause 0x3
	buffer_load_dword v1, v4, s[0:3], 0 offen
	buffer_load_dword v2, v4, s[0:3], 0 offen offset:4
	buffer_load_dword v3, v4, s[0:3], 0 offen offset:8
	;; [unrolled: 1-line block ×3, first 2 shown]
	s_waitcnt vmcnt(0)
	ds_write_b128 v67, v[1:4]
	s_waitcnt lgkmcnt(0)
	s_barrier
	buffer_gl0_inv
	v_cmpx_gt_u32_e32 12, v0
	s_cbranch_execz .LBB30_63
; %bb.60:
	v_mov_b32_e32 v1, 0
	v_mov_b32_e32 v3, 0
	v_add_nc_u32_e32 v69, -1, v0
	v_add_nc_u32_e32 v70, 0x1f0, v73
	v_mov_b32_e32 v2, 0
	v_mov_b32_e32 v4, 0
	v_add_nc_u32_e32 v71, 16, v73
	s_mov_b32 s5, 0
	.p2align	6
.LBB30_61:                              ; =>This Inner Loop Header: Depth=1
	s_clause 0x3
	buffer_load_dword v78, v71, s[0:3], 0 offen offset:8
	buffer_load_dword v79, v71, s[0:3], 0 offen offset:12
	buffer_load_dword v80, v71, s[0:3], 0 offen
	buffer_load_dword v81, v71, s[0:3], 0 offen offset:4
	ds_read_b128 v[74:77], v70
	v_add_nc_u32_e32 v69, 1, v69
	v_add_nc_u32_e32 v70, 16, v70
	v_add_nc_u32_e32 v71, 16, v71
	v_cmp_lt_u32_e32 vcc_lo, 10, v69
	s_or_b32 s5, vcc_lo, s5
	s_waitcnt vmcnt(2) lgkmcnt(0)
	v_mul_f64 v[82:83], v[76:77], v[78:79]
	v_mul_f64 v[78:79], v[74:75], v[78:79]
	s_waitcnt vmcnt(0)
	v_fma_f64 v[74:75], v[74:75], v[80:81], -v[82:83]
	v_fma_f64 v[76:77], v[76:77], v[80:81], v[78:79]
	v_add_f64 v[3:4], v[3:4], v[74:75]
	v_add_f64 v[1:2], v[1:2], v[76:77]
	s_andn2_b32 exec_lo, exec_lo, s5
	s_cbranch_execnz .LBB30_61
; %bb.62:
	s_or_b32 exec_lo, exec_lo, s5
	v_mov_b32_e32 v69, 0
	ds_read_b128 v[69:72], v69 offset:192
	s_waitcnt lgkmcnt(0)
	v_mul_f64 v[74:75], v[1:2], v[71:72]
	v_mul_f64 v[71:72], v[3:4], v[71:72]
	v_fma_f64 v[3:4], v[3:4], v[69:70], -v[74:75]
	v_fma_f64 v[1:2], v[1:2], v[69:70], v[71:72]
	buffer_store_dword v4, off, s[0:3], 0 offset:212
	buffer_store_dword v3, off, s[0:3], 0 offset:208
	;; [unrolled: 1-line block ×4, first 2 shown]
.LBB30_63:
	s_or_b32 exec_lo, exec_lo, s4
	v_mov_b32_e32 v4, s29
	s_waitcnt_vscnt null, 0x0
	s_barrier
	buffer_gl0_inv
	s_mov_b32 s4, exec_lo
	s_clause 0x3
	buffer_load_dword v1, v4, s[0:3], 0 offen
	buffer_load_dword v2, v4, s[0:3], 0 offen offset:4
	buffer_load_dword v3, v4, s[0:3], 0 offen offset:8
	;; [unrolled: 1-line block ×3, first 2 shown]
	s_waitcnt vmcnt(0)
	ds_write_b128 v67, v[1:4]
	s_waitcnt lgkmcnt(0)
	s_barrier
	buffer_gl0_inv
	v_cmpx_gt_u32_e32 13, v0
	s_cbranch_execz .LBB30_67
; %bb.64:
	v_mov_b32_e32 v1, 0
	v_mov_b32_e32 v3, 0
	v_add_nc_u32_e32 v69, -1, v0
	v_add_nc_u32_e32 v70, 0x1f0, v73
	v_mov_b32_e32 v2, 0
	v_mov_b32_e32 v4, 0
	v_add_nc_u32_e32 v71, 16, v73
	s_mov_b32 s5, 0
	.p2align	6
.LBB30_65:                              ; =>This Inner Loop Header: Depth=1
	s_clause 0x3
	buffer_load_dword v78, v71, s[0:3], 0 offen offset:8
	buffer_load_dword v79, v71, s[0:3], 0 offen offset:12
	buffer_load_dword v80, v71, s[0:3], 0 offen
	buffer_load_dword v81, v71, s[0:3], 0 offen offset:4
	ds_read_b128 v[74:77], v70
	v_add_nc_u32_e32 v69, 1, v69
	v_add_nc_u32_e32 v70, 16, v70
	;; [unrolled: 1-line block ×3, first 2 shown]
	v_cmp_lt_u32_e32 vcc_lo, 11, v69
	s_or_b32 s5, vcc_lo, s5
	s_waitcnt vmcnt(2) lgkmcnt(0)
	v_mul_f64 v[82:83], v[76:77], v[78:79]
	v_mul_f64 v[78:79], v[74:75], v[78:79]
	s_waitcnt vmcnt(0)
	v_fma_f64 v[74:75], v[74:75], v[80:81], -v[82:83]
	v_fma_f64 v[76:77], v[76:77], v[80:81], v[78:79]
	v_add_f64 v[3:4], v[3:4], v[74:75]
	v_add_f64 v[1:2], v[1:2], v[76:77]
	s_andn2_b32 exec_lo, exec_lo, s5
	s_cbranch_execnz .LBB30_65
; %bb.66:
	s_or_b32 exec_lo, exec_lo, s5
	v_mov_b32_e32 v69, 0
	ds_read_b128 v[69:72], v69 offset:208
	s_waitcnt lgkmcnt(0)
	v_mul_f64 v[74:75], v[1:2], v[71:72]
	v_mul_f64 v[71:72], v[3:4], v[71:72]
	v_fma_f64 v[3:4], v[3:4], v[69:70], -v[74:75]
	v_fma_f64 v[1:2], v[1:2], v[69:70], v[71:72]
	buffer_store_dword v4, off, s[0:3], 0 offset:228
	buffer_store_dword v3, off, s[0:3], 0 offset:224
	;; [unrolled: 1-line block ×4, first 2 shown]
.LBB30_67:
	s_or_b32 exec_lo, exec_lo, s4
	v_mov_b32_e32 v4, s28
	s_waitcnt_vscnt null, 0x0
	s_barrier
	buffer_gl0_inv
	s_mov_b32 s4, exec_lo
	s_clause 0x3
	buffer_load_dword v1, v4, s[0:3], 0 offen
	buffer_load_dword v2, v4, s[0:3], 0 offen offset:4
	buffer_load_dword v3, v4, s[0:3], 0 offen offset:8
	buffer_load_dword v4, v4, s[0:3], 0 offen offset:12
	s_waitcnt vmcnt(0)
	ds_write_b128 v67, v[1:4]
	s_waitcnt lgkmcnt(0)
	s_barrier
	buffer_gl0_inv
	v_cmpx_gt_u32_e32 14, v0
	s_cbranch_execz .LBB30_71
; %bb.68:
	v_mov_b32_e32 v1, 0
	v_mov_b32_e32 v3, 0
	v_add_nc_u32_e32 v69, -1, v0
	v_add_nc_u32_e32 v70, 0x1f0, v73
	v_mov_b32_e32 v2, 0
	v_mov_b32_e32 v4, 0
	v_add_nc_u32_e32 v71, 16, v73
	s_mov_b32 s5, 0
	.p2align	6
.LBB30_69:                              ; =>This Inner Loop Header: Depth=1
	s_clause 0x3
	buffer_load_dword v78, v71, s[0:3], 0 offen offset:8
	buffer_load_dword v79, v71, s[0:3], 0 offen offset:12
	buffer_load_dword v80, v71, s[0:3], 0 offen
	buffer_load_dword v81, v71, s[0:3], 0 offen offset:4
	ds_read_b128 v[74:77], v70
	v_add_nc_u32_e32 v69, 1, v69
	v_add_nc_u32_e32 v70, 16, v70
	;; [unrolled: 1-line block ×3, first 2 shown]
	v_cmp_lt_u32_e32 vcc_lo, 12, v69
	s_or_b32 s5, vcc_lo, s5
	s_waitcnt vmcnt(2) lgkmcnt(0)
	v_mul_f64 v[82:83], v[76:77], v[78:79]
	v_mul_f64 v[78:79], v[74:75], v[78:79]
	s_waitcnt vmcnt(0)
	v_fma_f64 v[74:75], v[74:75], v[80:81], -v[82:83]
	v_fma_f64 v[76:77], v[76:77], v[80:81], v[78:79]
	v_add_f64 v[3:4], v[3:4], v[74:75]
	v_add_f64 v[1:2], v[1:2], v[76:77]
	s_andn2_b32 exec_lo, exec_lo, s5
	s_cbranch_execnz .LBB30_69
; %bb.70:
	s_or_b32 exec_lo, exec_lo, s5
	v_mov_b32_e32 v69, 0
	ds_read_b128 v[69:72], v69 offset:224
	s_waitcnt lgkmcnt(0)
	v_mul_f64 v[74:75], v[1:2], v[71:72]
	v_mul_f64 v[71:72], v[3:4], v[71:72]
	v_fma_f64 v[3:4], v[3:4], v[69:70], -v[74:75]
	v_fma_f64 v[1:2], v[1:2], v[69:70], v[71:72]
	buffer_store_dword v4, off, s[0:3], 0 offset:244
	buffer_store_dword v3, off, s[0:3], 0 offset:240
	;; [unrolled: 1-line block ×4, first 2 shown]
.LBB30_71:
	s_or_b32 exec_lo, exec_lo, s4
	v_mov_b32_e32 v4, s27
	s_waitcnt_vscnt null, 0x0
	s_barrier
	buffer_gl0_inv
	s_mov_b32 s4, exec_lo
	s_clause 0x3
	buffer_load_dword v1, v4, s[0:3], 0 offen
	buffer_load_dword v2, v4, s[0:3], 0 offen offset:4
	buffer_load_dword v3, v4, s[0:3], 0 offen offset:8
	;; [unrolled: 1-line block ×3, first 2 shown]
	s_waitcnt vmcnt(0)
	ds_write_b128 v67, v[1:4]
	s_waitcnt lgkmcnt(0)
	s_barrier
	buffer_gl0_inv
	v_cmpx_gt_u32_e32 15, v0
	s_cbranch_execz .LBB30_75
; %bb.72:
	v_mov_b32_e32 v1, 0
	v_mov_b32_e32 v3, 0
	v_add_nc_u32_e32 v69, -1, v0
	v_add_nc_u32_e32 v70, 0x1f0, v73
	v_mov_b32_e32 v2, 0
	v_mov_b32_e32 v4, 0
	v_add_nc_u32_e32 v71, 16, v73
	s_mov_b32 s5, 0
	.p2align	6
.LBB30_73:                              ; =>This Inner Loop Header: Depth=1
	s_clause 0x3
	buffer_load_dword v78, v71, s[0:3], 0 offen offset:8
	buffer_load_dword v79, v71, s[0:3], 0 offen offset:12
	buffer_load_dword v80, v71, s[0:3], 0 offen
	buffer_load_dword v81, v71, s[0:3], 0 offen offset:4
	ds_read_b128 v[74:77], v70
	v_add_nc_u32_e32 v69, 1, v69
	v_add_nc_u32_e32 v70, 16, v70
	;; [unrolled: 1-line block ×3, first 2 shown]
	v_cmp_lt_u32_e32 vcc_lo, 13, v69
	s_or_b32 s5, vcc_lo, s5
	s_waitcnt vmcnt(2) lgkmcnt(0)
	v_mul_f64 v[82:83], v[76:77], v[78:79]
	v_mul_f64 v[78:79], v[74:75], v[78:79]
	s_waitcnt vmcnt(0)
	v_fma_f64 v[74:75], v[74:75], v[80:81], -v[82:83]
	v_fma_f64 v[76:77], v[76:77], v[80:81], v[78:79]
	v_add_f64 v[3:4], v[3:4], v[74:75]
	v_add_f64 v[1:2], v[1:2], v[76:77]
	s_andn2_b32 exec_lo, exec_lo, s5
	s_cbranch_execnz .LBB30_73
; %bb.74:
	s_or_b32 exec_lo, exec_lo, s5
	v_mov_b32_e32 v69, 0
	ds_read_b128 v[69:72], v69 offset:240
	s_waitcnt lgkmcnt(0)
	v_mul_f64 v[74:75], v[1:2], v[71:72]
	v_mul_f64 v[71:72], v[3:4], v[71:72]
	v_fma_f64 v[3:4], v[3:4], v[69:70], -v[74:75]
	v_fma_f64 v[1:2], v[1:2], v[69:70], v[71:72]
	buffer_store_dword v4, off, s[0:3], 0 offset:260
	buffer_store_dword v3, off, s[0:3], 0 offset:256
	;; [unrolled: 1-line block ×4, first 2 shown]
.LBB30_75:
	s_or_b32 exec_lo, exec_lo, s4
	v_mov_b32_e32 v4, s26
	s_waitcnt_vscnt null, 0x0
	s_barrier
	buffer_gl0_inv
	s_mov_b32 s4, exec_lo
	s_clause 0x3
	buffer_load_dword v1, v4, s[0:3], 0 offen
	buffer_load_dword v2, v4, s[0:3], 0 offen offset:4
	buffer_load_dword v3, v4, s[0:3], 0 offen offset:8
	;; [unrolled: 1-line block ×3, first 2 shown]
	s_waitcnt vmcnt(0)
	ds_write_b128 v67, v[1:4]
	s_waitcnt lgkmcnt(0)
	s_barrier
	buffer_gl0_inv
	v_cmpx_gt_u32_e32 16, v0
	s_cbranch_execz .LBB30_79
; %bb.76:
	v_mov_b32_e32 v1, 0
	v_mov_b32_e32 v3, 0
	v_add_nc_u32_e32 v69, -1, v0
	v_add_nc_u32_e32 v70, 0x1f0, v73
	v_mov_b32_e32 v2, 0
	v_mov_b32_e32 v4, 0
	v_add_nc_u32_e32 v71, 16, v73
	s_mov_b32 s5, 0
	.p2align	6
.LBB30_77:                              ; =>This Inner Loop Header: Depth=1
	s_clause 0x3
	buffer_load_dword v78, v71, s[0:3], 0 offen offset:8
	buffer_load_dword v79, v71, s[0:3], 0 offen offset:12
	buffer_load_dword v80, v71, s[0:3], 0 offen
	buffer_load_dword v81, v71, s[0:3], 0 offen offset:4
	ds_read_b128 v[74:77], v70
	v_add_nc_u32_e32 v69, 1, v69
	v_add_nc_u32_e32 v70, 16, v70
	v_add_nc_u32_e32 v71, 16, v71
	v_cmp_lt_u32_e32 vcc_lo, 14, v69
	s_or_b32 s5, vcc_lo, s5
	s_waitcnt vmcnt(2) lgkmcnt(0)
	v_mul_f64 v[82:83], v[76:77], v[78:79]
	v_mul_f64 v[78:79], v[74:75], v[78:79]
	s_waitcnt vmcnt(0)
	v_fma_f64 v[74:75], v[74:75], v[80:81], -v[82:83]
	v_fma_f64 v[76:77], v[76:77], v[80:81], v[78:79]
	v_add_f64 v[3:4], v[3:4], v[74:75]
	v_add_f64 v[1:2], v[1:2], v[76:77]
	s_andn2_b32 exec_lo, exec_lo, s5
	s_cbranch_execnz .LBB30_77
; %bb.78:
	s_or_b32 exec_lo, exec_lo, s5
	v_mov_b32_e32 v69, 0
	ds_read_b128 v[69:72], v69 offset:256
	s_waitcnt lgkmcnt(0)
	v_mul_f64 v[74:75], v[1:2], v[71:72]
	v_mul_f64 v[71:72], v[3:4], v[71:72]
	v_fma_f64 v[3:4], v[3:4], v[69:70], -v[74:75]
	v_fma_f64 v[1:2], v[1:2], v[69:70], v[71:72]
	buffer_store_dword v4, off, s[0:3], 0 offset:276
	buffer_store_dword v3, off, s[0:3], 0 offset:272
	buffer_store_dword v2, off, s[0:3], 0 offset:284
	buffer_store_dword v1, off, s[0:3], 0 offset:280
.LBB30_79:
	s_or_b32 exec_lo, exec_lo, s4
	v_mov_b32_e32 v4, s25
	s_waitcnt_vscnt null, 0x0
	s_barrier
	buffer_gl0_inv
	s_mov_b32 s4, exec_lo
	s_clause 0x3
	buffer_load_dword v1, v4, s[0:3], 0 offen
	buffer_load_dword v2, v4, s[0:3], 0 offen offset:4
	buffer_load_dword v3, v4, s[0:3], 0 offen offset:8
	;; [unrolled: 1-line block ×3, first 2 shown]
	s_waitcnt vmcnt(0)
	ds_write_b128 v67, v[1:4]
	s_waitcnt lgkmcnt(0)
	s_barrier
	buffer_gl0_inv
	v_cmpx_gt_u32_e32 17, v0
	s_cbranch_execz .LBB30_83
; %bb.80:
	v_mov_b32_e32 v1, 0
	v_mov_b32_e32 v3, 0
	v_add_nc_u32_e32 v69, -1, v0
	v_add_nc_u32_e32 v70, 0x1f0, v73
	v_mov_b32_e32 v2, 0
	v_mov_b32_e32 v4, 0
	v_add_nc_u32_e32 v71, 16, v73
	s_mov_b32 s5, 0
	.p2align	6
.LBB30_81:                              ; =>This Inner Loop Header: Depth=1
	s_clause 0x3
	buffer_load_dword v78, v71, s[0:3], 0 offen offset:8
	buffer_load_dword v79, v71, s[0:3], 0 offen offset:12
	buffer_load_dword v80, v71, s[0:3], 0 offen
	buffer_load_dword v81, v71, s[0:3], 0 offen offset:4
	ds_read_b128 v[74:77], v70
	v_add_nc_u32_e32 v69, 1, v69
	v_add_nc_u32_e32 v70, 16, v70
	;; [unrolled: 1-line block ×3, first 2 shown]
	v_cmp_lt_u32_e32 vcc_lo, 15, v69
	s_or_b32 s5, vcc_lo, s5
	s_waitcnt vmcnt(2) lgkmcnt(0)
	v_mul_f64 v[82:83], v[76:77], v[78:79]
	v_mul_f64 v[78:79], v[74:75], v[78:79]
	s_waitcnt vmcnt(0)
	v_fma_f64 v[74:75], v[74:75], v[80:81], -v[82:83]
	v_fma_f64 v[76:77], v[76:77], v[80:81], v[78:79]
	v_add_f64 v[3:4], v[3:4], v[74:75]
	v_add_f64 v[1:2], v[1:2], v[76:77]
	s_andn2_b32 exec_lo, exec_lo, s5
	s_cbranch_execnz .LBB30_81
; %bb.82:
	s_or_b32 exec_lo, exec_lo, s5
	v_mov_b32_e32 v69, 0
	ds_read_b128 v[69:72], v69 offset:272
	s_waitcnt lgkmcnt(0)
	v_mul_f64 v[74:75], v[1:2], v[71:72]
	v_mul_f64 v[71:72], v[3:4], v[71:72]
	v_fma_f64 v[3:4], v[3:4], v[69:70], -v[74:75]
	v_fma_f64 v[1:2], v[1:2], v[69:70], v[71:72]
	buffer_store_dword v4, off, s[0:3], 0 offset:292
	buffer_store_dword v3, off, s[0:3], 0 offset:288
	;; [unrolled: 1-line block ×4, first 2 shown]
.LBB30_83:
	s_or_b32 exec_lo, exec_lo, s4
	v_mov_b32_e32 v4, s24
	s_waitcnt_vscnt null, 0x0
	s_barrier
	buffer_gl0_inv
	s_mov_b32 s4, exec_lo
	s_clause 0x3
	buffer_load_dword v1, v4, s[0:3], 0 offen
	buffer_load_dword v2, v4, s[0:3], 0 offen offset:4
	buffer_load_dword v3, v4, s[0:3], 0 offen offset:8
	;; [unrolled: 1-line block ×3, first 2 shown]
	s_waitcnt vmcnt(0)
	ds_write_b128 v67, v[1:4]
	s_waitcnt lgkmcnt(0)
	s_barrier
	buffer_gl0_inv
	v_cmpx_gt_u32_e32 18, v0
	s_cbranch_execz .LBB30_87
; %bb.84:
	v_mov_b32_e32 v1, 0
	v_mov_b32_e32 v3, 0
	v_add_nc_u32_e32 v69, -1, v0
	v_add_nc_u32_e32 v70, 0x1f0, v73
	v_mov_b32_e32 v2, 0
	v_mov_b32_e32 v4, 0
	v_add_nc_u32_e32 v71, 16, v73
	s_mov_b32 s5, 0
	.p2align	6
.LBB30_85:                              ; =>This Inner Loop Header: Depth=1
	s_clause 0x3
	buffer_load_dword v78, v71, s[0:3], 0 offen offset:8
	buffer_load_dword v79, v71, s[0:3], 0 offen offset:12
	buffer_load_dword v80, v71, s[0:3], 0 offen
	buffer_load_dword v81, v71, s[0:3], 0 offen offset:4
	ds_read_b128 v[74:77], v70
	v_add_nc_u32_e32 v69, 1, v69
	v_add_nc_u32_e32 v70, 16, v70
	;; [unrolled: 1-line block ×3, first 2 shown]
	v_cmp_lt_u32_e32 vcc_lo, 16, v69
	s_or_b32 s5, vcc_lo, s5
	s_waitcnt vmcnt(2) lgkmcnt(0)
	v_mul_f64 v[82:83], v[76:77], v[78:79]
	v_mul_f64 v[78:79], v[74:75], v[78:79]
	s_waitcnt vmcnt(0)
	v_fma_f64 v[74:75], v[74:75], v[80:81], -v[82:83]
	v_fma_f64 v[76:77], v[76:77], v[80:81], v[78:79]
	v_add_f64 v[3:4], v[3:4], v[74:75]
	v_add_f64 v[1:2], v[1:2], v[76:77]
	s_andn2_b32 exec_lo, exec_lo, s5
	s_cbranch_execnz .LBB30_85
; %bb.86:
	s_or_b32 exec_lo, exec_lo, s5
	v_mov_b32_e32 v69, 0
	ds_read_b128 v[69:72], v69 offset:288
	s_waitcnt lgkmcnt(0)
	v_mul_f64 v[74:75], v[1:2], v[71:72]
	v_mul_f64 v[71:72], v[3:4], v[71:72]
	v_fma_f64 v[3:4], v[3:4], v[69:70], -v[74:75]
	v_fma_f64 v[1:2], v[1:2], v[69:70], v[71:72]
	buffer_store_dword v4, off, s[0:3], 0 offset:308
	buffer_store_dword v3, off, s[0:3], 0 offset:304
	;; [unrolled: 1-line block ×4, first 2 shown]
.LBB30_87:
	s_or_b32 exec_lo, exec_lo, s4
	v_mov_b32_e32 v4, s23
	s_waitcnt_vscnt null, 0x0
	s_barrier
	buffer_gl0_inv
	s_mov_b32 s4, exec_lo
	s_clause 0x3
	buffer_load_dword v1, v4, s[0:3], 0 offen
	buffer_load_dword v2, v4, s[0:3], 0 offen offset:4
	buffer_load_dword v3, v4, s[0:3], 0 offen offset:8
	;; [unrolled: 1-line block ×3, first 2 shown]
	s_waitcnt vmcnt(0)
	ds_write_b128 v67, v[1:4]
	s_waitcnt lgkmcnt(0)
	s_barrier
	buffer_gl0_inv
	v_cmpx_gt_u32_e32 19, v0
	s_cbranch_execz .LBB30_91
; %bb.88:
	v_mov_b32_e32 v1, 0
	v_mov_b32_e32 v3, 0
	v_add_nc_u32_e32 v69, -1, v0
	v_add_nc_u32_e32 v70, 0x1f0, v73
	v_mov_b32_e32 v2, 0
	v_mov_b32_e32 v4, 0
	v_add_nc_u32_e32 v71, 16, v73
	s_mov_b32 s5, 0
	.p2align	6
.LBB30_89:                              ; =>This Inner Loop Header: Depth=1
	s_clause 0x3
	buffer_load_dword v78, v71, s[0:3], 0 offen offset:8
	buffer_load_dword v79, v71, s[0:3], 0 offen offset:12
	buffer_load_dword v80, v71, s[0:3], 0 offen
	buffer_load_dword v81, v71, s[0:3], 0 offen offset:4
	ds_read_b128 v[74:77], v70
	v_add_nc_u32_e32 v69, 1, v69
	v_add_nc_u32_e32 v70, 16, v70
	;; [unrolled: 1-line block ×3, first 2 shown]
	v_cmp_lt_u32_e32 vcc_lo, 17, v69
	s_or_b32 s5, vcc_lo, s5
	s_waitcnt vmcnt(2) lgkmcnt(0)
	v_mul_f64 v[82:83], v[76:77], v[78:79]
	v_mul_f64 v[78:79], v[74:75], v[78:79]
	s_waitcnt vmcnt(0)
	v_fma_f64 v[74:75], v[74:75], v[80:81], -v[82:83]
	v_fma_f64 v[76:77], v[76:77], v[80:81], v[78:79]
	v_add_f64 v[3:4], v[3:4], v[74:75]
	v_add_f64 v[1:2], v[1:2], v[76:77]
	s_andn2_b32 exec_lo, exec_lo, s5
	s_cbranch_execnz .LBB30_89
; %bb.90:
	s_or_b32 exec_lo, exec_lo, s5
	v_mov_b32_e32 v69, 0
	ds_read_b128 v[69:72], v69 offset:304
	s_waitcnt lgkmcnt(0)
	v_mul_f64 v[74:75], v[1:2], v[71:72]
	v_mul_f64 v[71:72], v[3:4], v[71:72]
	v_fma_f64 v[3:4], v[3:4], v[69:70], -v[74:75]
	v_fma_f64 v[1:2], v[1:2], v[69:70], v[71:72]
	buffer_store_dword v4, off, s[0:3], 0 offset:324
	buffer_store_dword v3, off, s[0:3], 0 offset:320
	;; [unrolled: 1-line block ×4, first 2 shown]
.LBB30_91:
	s_or_b32 exec_lo, exec_lo, s4
	v_mov_b32_e32 v4, s22
	s_waitcnt_vscnt null, 0x0
	s_barrier
	buffer_gl0_inv
	s_mov_b32 s4, exec_lo
	s_clause 0x3
	buffer_load_dword v1, v4, s[0:3], 0 offen
	buffer_load_dword v2, v4, s[0:3], 0 offen offset:4
	buffer_load_dword v3, v4, s[0:3], 0 offen offset:8
	buffer_load_dword v4, v4, s[0:3], 0 offen offset:12
	s_waitcnt vmcnt(0)
	ds_write_b128 v67, v[1:4]
	s_waitcnt lgkmcnt(0)
	s_barrier
	buffer_gl0_inv
	v_cmpx_gt_u32_e32 20, v0
	s_cbranch_execz .LBB30_95
; %bb.92:
	v_mov_b32_e32 v1, 0
	v_mov_b32_e32 v3, 0
	v_add_nc_u32_e32 v69, -1, v0
	v_add_nc_u32_e32 v70, 0x1f0, v73
	v_mov_b32_e32 v2, 0
	v_mov_b32_e32 v4, 0
	v_add_nc_u32_e32 v71, 16, v73
	s_mov_b32 s5, 0
	.p2align	6
.LBB30_93:                              ; =>This Inner Loop Header: Depth=1
	s_clause 0x3
	buffer_load_dword v78, v71, s[0:3], 0 offen offset:8
	buffer_load_dword v79, v71, s[0:3], 0 offen offset:12
	buffer_load_dword v80, v71, s[0:3], 0 offen
	buffer_load_dword v81, v71, s[0:3], 0 offen offset:4
	ds_read_b128 v[74:77], v70
	v_add_nc_u32_e32 v69, 1, v69
	v_add_nc_u32_e32 v70, 16, v70
	;; [unrolled: 1-line block ×3, first 2 shown]
	v_cmp_lt_u32_e32 vcc_lo, 18, v69
	s_or_b32 s5, vcc_lo, s5
	s_waitcnt vmcnt(2) lgkmcnt(0)
	v_mul_f64 v[82:83], v[76:77], v[78:79]
	v_mul_f64 v[78:79], v[74:75], v[78:79]
	s_waitcnt vmcnt(0)
	v_fma_f64 v[74:75], v[74:75], v[80:81], -v[82:83]
	v_fma_f64 v[76:77], v[76:77], v[80:81], v[78:79]
	v_add_f64 v[3:4], v[3:4], v[74:75]
	v_add_f64 v[1:2], v[1:2], v[76:77]
	s_andn2_b32 exec_lo, exec_lo, s5
	s_cbranch_execnz .LBB30_93
; %bb.94:
	s_or_b32 exec_lo, exec_lo, s5
	v_mov_b32_e32 v69, 0
	ds_read_b128 v[69:72], v69 offset:320
	s_waitcnt lgkmcnt(0)
	v_mul_f64 v[74:75], v[1:2], v[71:72]
	v_mul_f64 v[71:72], v[3:4], v[71:72]
	v_fma_f64 v[3:4], v[3:4], v[69:70], -v[74:75]
	v_fma_f64 v[1:2], v[1:2], v[69:70], v[71:72]
	buffer_store_dword v4, off, s[0:3], 0 offset:340
	buffer_store_dword v3, off, s[0:3], 0 offset:336
	;; [unrolled: 1-line block ×4, first 2 shown]
.LBB30_95:
	s_or_b32 exec_lo, exec_lo, s4
	v_mov_b32_e32 v4, s19
	s_waitcnt_vscnt null, 0x0
	s_barrier
	buffer_gl0_inv
	s_mov_b32 s4, exec_lo
	s_clause 0x3
	buffer_load_dword v1, v4, s[0:3], 0 offen
	buffer_load_dword v2, v4, s[0:3], 0 offen offset:4
	buffer_load_dword v3, v4, s[0:3], 0 offen offset:8
	;; [unrolled: 1-line block ×3, first 2 shown]
	s_waitcnt vmcnt(0)
	ds_write_b128 v67, v[1:4]
	s_waitcnt lgkmcnt(0)
	s_barrier
	buffer_gl0_inv
	v_cmpx_gt_u32_e32 21, v0
	s_cbranch_execz .LBB30_99
; %bb.96:
	v_mov_b32_e32 v1, 0
	v_mov_b32_e32 v3, 0
	v_add_nc_u32_e32 v69, -1, v0
	v_add_nc_u32_e32 v70, 0x1f0, v73
	v_mov_b32_e32 v2, 0
	v_mov_b32_e32 v4, 0
	v_add_nc_u32_e32 v71, 16, v73
	s_mov_b32 s5, 0
	.p2align	6
.LBB30_97:                              ; =>This Inner Loop Header: Depth=1
	s_clause 0x3
	buffer_load_dword v78, v71, s[0:3], 0 offen offset:8
	buffer_load_dword v79, v71, s[0:3], 0 offen offset:12
	buffer_load_dword v80, v71, s[0:3], 0 offen
	buffer_load_dword v81, v71, s[0:3], 0 offen offset:4
	ds_read_b128 v[74:77], v70
	v_add_nc_u32_e32 v69, 1, v69
	v_add_nc_u32_e32 v70, 16, v70
	;; [unrolled: 1-line block ×3, first 2 shown]
	v_cmp_lt_u32_e32 vcc_lo, 19, v69
	s_or_b32 s5, vcc_lo, s5
	s_waitcnt vmcnt(2) lgkmcnt(0)
	v_mul_f64 v[82:83], v[76:77], v[78:79]
	v_mul_f64 v[78:79], v[74:75], v[78:79]
	s_waitcnt vmcnt(0)
	v_fma_f64 v[74:75], v[74:75], v[80:81], -v[82:83]
	v_fma_f64 v[76:77], v[76:77], v[80:81], v[78:79]
	v_add_f64 v[3:4], v[3:4], v[74:75]
	v_add_f64 v[1:2], v[1:2], v[76:77]
	s_andn2_b32 exec_lo, exec_lo, s5
	s_cbranch_execnz .LBB30_97
; %bb.98:
	s_or_b32 exec_lo, exec_lo, s5
	v_mov_b32_e32 v69, 0
	ds_read_b128 v[69:72], v69 offset:336
	s_waitcnt lgkmcnt(0)
	v_mul_f64 v[74:75], v[1:2], v[71:72]
	v_mul_f64 v[71:72], v[3:4], v[71:72]
	v_fma_f64 v[3:4], v[3:4], v[69:70], -v[74:75]
	v_fma_f64 v[1:2], v[1:2], v[69:70], v[71:72]
	buffer_store_dword v4, off, s[0:3], 0 offset:356
	buffer_store_dword v3, off, s[0:3], 0 offset:352
	buffer_store_dword v2, off, s[0:3], 0 offset:364
	buffer_store_dword v1, off, s[0:3], 0 offset:360
.LBB30_99:
	s_or_b32 exec_lo, exec_lo, s4
	v_mov_b32_e32 v4, s18
	s_waitcnt_vscnt null, 0x0
	s_barrier
	buffer_gl0_inv
	s_mov_b32 s4, exec_lo
	s_clause 0x3
	buffer_load_dword v1, v4, s[0:3], 0 offen
	buffer_load_dword v2, v4, s[0:3], 0 offen offset:4
	buffer_load_dword v3, v4, s[0:3], 0 offen offset:8
	buffer_load_dword v4, v4, s[0:3], 0 offen offset:12
	s_waitcnt vmcnt(0)
	ds_write_b128 v67, v[1:4]
	s_waitcnt lgkmcnt(0)
	s_barrier
	buffer_gl0_inv
	v_cmpx_gt_u32_e32 22, v0
	s_cbranch_execz .LBB30_103
; %bb.100:
	v_mov_b32_e32 v1, 0
	v_mov_b32_e32 v3, 0
	v_add_nc_u32_e32 v69, -1, v0
	v_add_nc_u32_e32 v70, 0x1f0, v73
	v_mov_b32_e32 v2, 0
	v_mov_b32_e32 v4, 0
	v_add_nc_u32_e32 v71, 16, v73
	s_mov_b32 s5, 0
	.p2align	6
.LBB30_101:                             ; =>This Inner Loop Header: Depth=1
	s_clause 0x3
	buffer_load_dword v78, v71, s[0:3], 0 offen offset:8
	buffer_load_dword v79, v71, s[0:3], 0 offen offset:12
	buffer_load_dword v80, v71, s[0:3], 0 offen
	buffer_load_dword v81, v71, s[0:3], 0 offen offset:4
	ds_read_b128 v[74:77], v70
	v_add_nc_u32_e32 v69, 1, v69
	v_add_nc_u32_e32 v70, 16, v70
	;; [unrolled: 1-line block ×3, first 2 shown]
	v_cmp_lt_u32_e32 vcc_lo, 20, v69
	s_or_b32 s5, vcc_lo, s5
	s_waitcnt vmcnt(2) lgkmcnt(0)
	v_mul_f64 v[82:83], v[76:77], v[78:79]
	v_mul_f64 v[78:79], v[74:75], v[78:79]
	s_waitcnt vmcnt(0)
	v_fma_f64 v[74:75], v[74:75], v[80:81], -v[82:83]
	v_fma_f64 v[76:77], v[76:77], v[80:81], v[78:79]
	v_add_f64 v[3:4], v[3:4], v[74:75]
	v_add_f64 v[1:2], v[1:2], v[76:77]
	s_andn2_b32 exec_lo, exec_lo, s5
	s_cbranch_execnz .LBB30_101
; %bb.102:
	s_or_b32 exec_lo, exec_lo, s5
	v_mov_b32_e32 v69, 0
	ds_read_b128 v[69:72], v69 offset:352
	s_waitcnt lgkmcnt(0)
	v_mul_f64 v[74:75], v[1:2], v[71:72]
	v_mul_f64 v[71:72], v[3:4], v[71:72]
	v_fma_f64 v[3:4], v[3:4], v[69:70], -v[74:75]
	v_fma_f64 v[1:2], v[1:2], v[69:70], v[71:72]
	buffer_store_dword v4, off, s[0:3], 0 offset:372
	buffer_store_dword v3, off, s[0:3], 0 offset:368
	;; [unrolled: 1-line block ×4, first 2 shown]
.LBB30_103:
	s_or_b32 exec_lo, exec_lo, s4
	v_mov_b32_e32 v4, s17
	s_waitcnt_vscnt null, 0x0
	s_barrier
	buffer_gl0_inv
	s_mov_b32 s4, exec_lo
	s_clause 0x3
	buffer_load_dword v1, v4, s[0:3], 0 offen
	buffer_load_dword v2, v4, s[0:3], 0 offen offset:4
	buffer_load_dword v3, v4, s[0:3], 0 offen offset:8
	;; [unrolled: 1-line block ×3, first 2 shown]
	s_waitcnt vmcnt(0)
	ds_write_b128 v67, v[1:4]
	s_waitcnt lgkmcnt(0)
	s_barrier
	buffer_gl0_inv
	v_cmpx_gt_u32_e32 23, v0
	s_cbranch_execz .LBB30_107
; %bb.104:
	v_mov_b32_e32 v1, 0
	v_mov_b32_e32 v3, 0
	v_add_nc_u32_e32 v69, -1, v0
	v_add_nc_u32_e32 v70, 0x1f0, v73
	v_mov_b32_e32 v2, 0
	v_mov_b32_e32 v4, 0
	v_add_nc_u32_e32 v71, 16, v73
	s_mov_b32 s5, 0
	.p2align	6
.LBB30_105:                             ; =>This Inner Loop Header: Depth=1
	s_clause 0x3
	buffer_load_dword v78, v71, s[0:3], 0 offen offset:8
	buffer_load_dword v79, v71, s[0:3], 0 offen offset:12
	buffer_load_dword v80, v71, s[0:3], 0 offen
	buffer_load_dword v81, v71, s[0:3], 0 offen offset:4
	ds_read_b128 v[74:77], v70
	v_add_nc_u32_e32 v69, 1, v69
	v_add_nc_u32_e32 v70, 16, v70
	;; [unrolled: 1-line block ×3, first 2 shown]
	v_cmp_lt_u32_e32 vcc_lo, 21, v69
	s_or_b32 s5, vcc_lo, s5
	s_waitcnt vmcnt(2) lgkmcnt(0)
	v_mul_f64 v[82:83], v[76:77], v[78:79]
	v_mul_f64 v[78:79], v[74:75], v[78:79]
	s_waitcnt vmcnt(0)
	v_fma_f64 v[74:75], v[74:75], v[80:81], -v[82:83]
	v_fma_f64 v[76:77], v[76:77], v[80:81], v[78:79]
	v_add_f64 v[3:4], v[3:4], v[74:75]
	v_add_f64 v[1:2], v[1:2], v[76:77]
	s_andn2_b32 exec_lo, exec_lo, s5
	s_cbranch_execnz .LBB30_105
; %bb.106:
	s_or_b32 exec_lo, exec_lo, s5
	v_mov_b32_e32 v69, 0
	ds_read_b128 v[69:72], v69 offset:368
	s_waitcnt lgkmcnt(0)
	v_mul_f64 v[74:75], v[1:2], v[71:72]
	v_mul_f64 v[71:72], v[3:4], v[71:72]
	v_fma_f64 v[3:4], v[3:4], v[69:70], -v[74:75]
	v_fma_f64 v[1:2], v[1:2], v[69:70], v[71:72]
	buffer_store_dword v4, off, s[0:3], 0 offset:388
	buffer_store_dword v3, off, s[0:3], 0 offset:384
	;; [unrolled: 1-line block ×4, first 2 shown]
.LBB30_107:
	s_or_b32 exec_lo, exec_lo, s4
	v_mov_b32_e32 v4, s16
	s_waitcnt_vscnt null, 0x0
	s_barrier
	buffer_gl0_inv
	s_mov_b32 s4, exec_lo
	s_clause 0x3
	buffer_load_dword v1, v4, s[0:3], 0 offen
	buffer_load_dword v2, v4, s[0:3], 0 offen offset:4
	buffer_load_dword v3, v4, s[0:3], 0 offen offset:8
	;; [unrolled: 1-line block ×3, first 2 shown]
	s_waitcnt vmcnt(0)
	ds_write_b128 v67, v[1:4]
	s_waitcnt lgkmcnt(0)
	s_barrier
	buffer_gl0_inv
	v_cmpx_gt_u32_e32 24, v0
	s_cbranch_execz .LBB30_111
; %bb.108:
	v_mov_b32_e32 v1, 0
	v_mov_b32_e32 v3, 0
	v_add_nc_u32_e32 v69, -1, v0
	v_add_nc_u32_e32 v70, 0x1f0, v73
	v_mov_b32_e32 v2, 0
	v_mov_b32_e32 v4, 0
	v_add_nc_u32_e32 v71, 16, v73
	s_mov_b32 s5, 0
	.p2align	6
.LBB30_109:                             ; =>This Inner Loop Header: Depth=1
	s_clause 0x3
	buffer_load_dword v78, v71, s[0:3], 0 offen offset:8
	buffer_load_dword v79, v71, s[0:3], 0 offen offset:12
	buffer_load_dword v80, v71, s[0:3], 0 offen
	buffer_load_dword v81, v71, s[0:3], 0 offen offset:4
	ds_read_b128 v[74:77], v70
	v_add_nc_u32_e32 v69, 1, v69
	v_add_nc_u32_e32 v70, 16, v70
	;; [unrolled: 1-line block ×3, first 2 shown]
	v_cmp_lt_u32_e32 vcc_lo, 22, v69
	s_or_b32 s5, vcc_lo, s5
	s_waitcnt vmcnt(2) lgkmcnt(0)
	v_mul_f64 v[82:83], v[76:77], v[78:79]
	v_mul_f64 v[78:79], v[74:75], v[78:79]
	s_waitcnt vmcnt(0)
	v_fma_f64 v[74:75], v[74:75], v[80:81], -v[82:83]
	v_fma_f64 v[76:77], v[76:77], v[80:81], v[78:79]
	v_add_f64 v[3:4], v[3:4], v[74:75]
	v_add_f64 v[1:2], v[1:2], v[76:77]
	s_andn2_b32 exec_lo, exec_lo, s5
	s_cbranch_execnz .LBB30_109
; %bb.110:
	s_or_b32 exec_lo, exec_lo, s5
	v_mov_b32_e32 v69, 0
	ds_read_b128 v[69:72], v69 offset:384
	s_waitcnt lgkmcnt(0)
	v_mul_f64 v[74:75], v[1:2], v[71:72]
	v_mul_f64 v[71:72], v[3:4], v[71:72]
	v_fma_f64 v[3:4], v[3:4], v[69:70], -v[74:75]
	v_fma_f64 v[1:2], v[1:2], v[69:70], v[71:72]
	buffer_store_dword v4, off, s[0:3], 0 offset:404
	buffer_store_dword v3, off, s[0:3], 0 offset:400
	;; [unrolled: 1-line block ×4, first 2 shown]
.LBB30_111:
	s_or_b32 exec_lo, exec_lo, s4
	v_mov_b32_e32 v4, s15
	s_waitcnt_vscnt null, 0x0
	s_barrier
	buffer_gl0_inv
	s_mov_b32 s4, exec_lo
	s_clause 0x3
	buffer_load_dword v1, v4, s[0:3], 0 offen
	buffer_load_dword v2, v4, s[0:3], 0 offen offset:4
	buffer_load_dword v3, v4, s[0:3], 0 offen offset:8
	;; [unrolled: 1-line block ×3, first 2 shown]
	s_waitcnt vmcnt(0)
	ds_write_b128 v67, v[1:4]
	s_waitcnt lgkmcnt(0)
	s_barrier
	buffer_gl0_inv
	v_cmpx_gt_u32_e32 25, v0
	s_cbranch_execz .LBB30_115
; %bb.112:
	v_mov_b32_e32 v1, 0
	v_mov_b32_e32 v3, 0
	v_add_nc_u32_e32 v69, -1, v0
	v_add_nc_u32_e32 v70, 0x1f0, v73
	v_mov_b32_e32 v2, 0
	v_mov_b32_e32 v4, 0
	v_add_nc_u32_e32 v71, 16, v73
	s_mov_b32 s5, 0
	.p2align	6
.LBB30_113:                             ; =>This Inner Loop Header: Depth=1
	s_clause 0x3
	buffer_load_dword v78, v71, s[0:3], 0 offen offset:8
	buffer_load_dword v79, v71, s[0:3], 0 offen offset:12
	buffer_load_dword v80, v71, s[0:3], 0 offen
	buffer_load_dword v81, v71, s[0:3], 0 offen offset:4
	ds_read_b128 v[74:77], v70
	v_add_nc_u32_e32 v69, 1, v69
	v_add_nc_u32_e32 v70, 16, v70
	;; [unrolled: 1-line block ×3, first 2 shown]
	v_cmp_lt_u32_e32 vcc_lo, 23, v69
	s_or_b32 s5, vcc_lo, s5
	s_waitcnt vmcnt(2) lgkmcnt(0)
	v_mul_f64 v[82:83], v[76:77], v[78:79]
	v_mul_f64 v[78:79], v[74:75], v[78:79]
	s_waitcnt vmcnt(0)
	v_fma_f64 v[74:75], v[74:75], v[80:81], -v[82:83]
	v_fma_f64 v[76:77], v[76:77], v[80:81], v[78:79]
	v_add_f64 v[3:4], v[3:4], v[74:75]
	v_add_f64 v[1:2], v[1:2], v[76:77]
	s_andn2_b32 exec_lo, exec_lo, s5
	s_cbranch_execnz .LBB30_113
; %bb.114:
	s_or_b32 exec_lo, exec_lo, s5
	v_mov_b32_e32 v69, 0
	ds_read_b128 v[69:72], v69 offset:400
	s_waitcnt lgkmcnt(0)
	v_mul_f64 v[74:75], v[1:2], v[71:72]
	v_mul_f64 v[71:72], v[3:4], v[71:72]
	v_fma_f64 v[3:4], v[3:4], v[69:70], -v[74:75]
	v_fma_f64 v[1:2], v[1:2], v[69:70], v[71:72]
	buffer_store_dword v4, off, s[0:3], 0 offset:420
	buffer_store_dword v3, off, s[0:3], 0 offset:416
	;; [unrolled: 1-line block ×4, first 2 shown]
.LBB30_115:
	s_or_b32 exec_lo, exec_lo, s4
	v_mov_b32_e32 v4, s14
	s_waitcnt_vscnt null, 0x0
	s_barrier
	buffer_gl0_inv
	s_mov_b32 s4, exec_lo
	s_clause 0x3
	buffer_load_dword v1, v4, s[0:3], 0 offen
	buffer_load_dword v2, v4, s[0:3], 0 offen offset:4
	buffer_load_dword v3, v4, s[0:3], 0 offen offset:8
	;; [unrolled: 1-line block ×3, first 2 shown]
	s_waitcnt vmcnt(0)
	ds_write_b128 v67, v[1:4]
	s_waitcnt lgkmcnt(0)
	s_barrier
	buffer_gl0_inv
	v_cmpx_gt_u32_e32 26, v0
	s_cbranch_execz .LBB30_119
; %bb.116:
	v_mov_b32_e32 v1, 0
	v_mov_b32_e32 v3, 0
	v_add_nc_u32_e32 v69, -1, v0
	v_add_nc_u32_e32 v70, 0x1f0, v73
	v_mov_b32_e32 v2, 0
	v_mov_b32_e32 v4, 0
	v_add_nc_u32_e32 v71, 16, v73
	s_mov_b32 s5, 0
	.p2align	6
.LBB30_117:                             ; =>This Inner Loop Header: Depth=1
	s_clause 0x3
	buffer_load_dword v78, v71, s[0:3], 0 offen offset:8
	buffer_load_dword v79, v71, s[0:3], 0 offen offset:12
	buffer_load_dword v80, v71, s[0:3], 0 offen
	buffer_load_dword v81, v71, s[0:3], 0 offen offset:4
	ds_read_b128 v[74:77], v70
	v_add_nc_u32_e32 v69, 1, v69
	v_add_nc_u32_e32 v70, 16, v70
	;; [unrolled: 1-line block ×3, first 2 shown]
	v_cmp_lt_u32_e32 vcc_lo, 24, v69
	s_or_b32 s5, vcc_lo, s5
	s_waitcnt vmcnt(2) lgkmcnt(0)
	v_mul_f64 v[82:83], v[76:77], v[78:79]
	v_mul_f64 v[78:79], v[74:75], v[78:79]
	s_waitcnt vmcnt(0)
	v_fma_f64 v[74:75], v[74:75], v[80:81], -v[82:83]
	v_fma_f64 v[76:77], v[76:77], v[80:81], v[78:79]
	v_add_f64 v[3:4], v[3:4], v[74:75]
	v_add_f64 v[1:2], v[1:2], v[76:77]
	s_andn2_b32 exec_lo, exec_lo, s5
	s_cbranch_execnz .LBB30_117
; %bb.118:
	s_or_b32 exec_lo, exec_lo, s5
	v_mov_b32_e32 v69, 0
	ds_read_b128 v[69:72], v69 offset:416
	s_waitcnt lgkmcnt(0)
	v_mul_f64 v[74:75], v[1:2], v[71:72]
	v_mul_f64 v[71:72], v[3:4], v[71:72]
	v_fma_f64 v[3:4], v[3:4], v[69:70], -v[74:75]
	v_fma_f64 v[1:2], v[1:2], v[69:70], v[71:72]
	buffer_store_dword v4, off, s[0:3], 0 offset:436
	buffer_store_dword v3, off, s[0:3], 0 offset:432
	;; [unrolled: 1-line block ×4, first 2 shown]
.LBB30_119:
	s_or_b32 exec_lo, exec_lo, s4
	v_mov_b32_e32 v4, s13
	s_waitcnt_vscnt null, 0x0
	s_barrier
	buffer_gl0_inv
	s_mov_b32 s4, exec_lo
	s_clause 0x3
	buffer_load_dword v1, v4, s[0:3], 0 offen
	buffer_load_dword v2, v4, s[0:3], 0 offen offset:4
	buffer_load_dword v3, v4, s[0:3], 0 offen offset:8
	;; [unrolled: 1-line block ×3, first 2 shown]
	s_waitcnt vmcnt(0)
	ds_write_b128 v67, v[1:4]
	s_waitcnt lgkmcnt(0)
	s_barrier
	buffer_gl0_inv
	v_cmpx_gt_u32_e32 27, v0
	s_cbranch_execz .LBB30_123
; %bb.120:
	v_mov_b32_e32 v1, 0
	v_mov_b32_e32 v3, 0
	v_add_nc_u32_e32 v69, -1, v0
	v_add_nc_u32_e32 v70, 0x1f0, v73
	v_mov_b32_e32 v2, 0
	v_mov_b32_e32 v4, 0
	v_add_nc_u32_e32 v71, 16, v73
	s_mov_b32 s5, 0
	.p2align	6
.LBB30_121:                             ; =>This Inner Loop Header: Depth=1
	s_clause 0x3
	buffer_load_dword v78, v71, s[0:3], 0 offen offset:8
	buffer_load_dword v79, v71, s[0:3], 0 offen offset:12
	buffer_load_dword v80, v71, s[0:3], 0 offen
	buffer_load_dword v81, v71, s[0:3], 0 offen offset:4
	ds_read_b128 v[74:77], v70
	v_add_nc_u32_e32 v69, 1, v69
	v_add_nc_u32_e32 v70, 16, v70
	;; [unrolled: 1-line block ×3, first 2 shown]
	v_cmp_lt_u32_e32 vcc_lo, 25, v69
	s_or_b32 s5, vcc_lo, s5
	s_waitcnt vmcnt(2) lgkmcnt(0)
	v_mul_f64 v[82:83], v[76:77], v[78:79]
	v_mul_f64 v[78:79], v[74:75], v[78:79]
	s_waitcnt vmcnt(0)
	v_fma_f64 v[74:75], v[74:75], v[80:81], -v[82:83]
	v_fma_f64 v[76:77], v[76:77], v[80:81], v[78:79]
	v_add_f64 v[3:4], v[3:4], v[74:75]
	v_add_f64 v[1:2], v[1:2], v[76:77]
	s_andn2_b32 exec_lo, exec_lo, s5
	s_cbranch_execnz .LBB30_121
; %bb.122:
	s_or_b32 exec_lo, exec_lo, s5
	v_mov_b32_e32 v69, 0
	ds_read_b128 v[69:72], v69 offset:432
	s_waitcnt lgkmcnt(0)
	v_mul_f64 v[74:75], v[1:2], v[71:72]
	v_mul_f64 v[71:72], v[3:4], v[71:72]
	v_fma_f64 v[3:4], v[3:4], v[69:70], -v[74:75]
	v_fma_f64 v[1:2], v[1:2], v[69:70], v[71:72]
	buffer_store_dword v4, off, s[0:3], 0 offset:452
	buffer_store_dword v3, off, s[0:3], 0 offset:448
	;; [unrolled: 1-line block ×4, first 2 shown]
.LBB30_123:
	s_or_b32 exec_lo, exec_lo, s4
	v_mov_b32_e32 v4, s12
	s_waitcnt_vscnt null, 0x0
	s_barrier
	buffer_gl0_inv
	s_mov_b32 s4, exec_lo
	s_clause 0x3
	buffer_load_dword v1, v4, s[0:3], 0 offen
	buffer_load_dword v2, v4, s[0:3], 0 offen offset:4
	buffer_load_dword v3, v4, s[0:3], 0 offen offset:8
	;; [unrolled: 1-line block ×3, first 2 shown]
	s_waitcnt vmcnt(0)
	ds_write_b128 v67, v[1:4]
	s_waitcnt lgkmcnt(0)
	s_barrier
	buffer_gl0_inv
	v_cmpx_gt_u32_e32 28, v0
	s_cbranch_execz .LBB30_127
; %bb.124:
	v_mov_b32_e32 v1, 0
	v_mov_b32_e32 v3, 0
	v_add_nc_u32_e32 v69, -1, v0
	v_add_nc_u32_e32 v70, 0x1f0, v73
	v_mov_b32_e32 v2, 0
	v_mov_b32_e32 v4, 0
	v_add_nc_u32_e32 v71, 16, v73
	s_mov_b32 s5, 0
	.p2align	6
.LBB30_125:                             ; =>This Inner Loop Header: Depth=1
	s_clause 0x3
	buffer_load_dword v78, v71, s[0:3], 0 offen offset:8
	buffer_load_dword v79, v71, s[0:3], 0 offen offset:12
	buffer_load_dword v80, v71, s[0:3], 0 offen
	buffer_load_dword v81, v71, s[0:3], 0 offen offset:4
	ds_read_b128 v[74:77], v70
	v_add_nc_u32_e32 v69, 1, v69
	v_add_nc_u32_e32 v70, 16, v70
	;; [unrolled: 1-line block ×3, first 2 shown]
	v_cmp_lt_u32_e32 vcc_lo, 26, v69
	s_or_b32 s5, vcc_lo, s5
	s_waitcnt vmcnt(2) lgkmcnt(0)
	v_mul_f64 v[82:83], v[76:77], v[78:79]
	v_mul_f64 v[78:79], v[74:75], v[78:79]
	s_waitcnt vmcnt(0)
	v_fma_f64 v[74:75], v[74:75], v[80:81], -v[82:83]
	v_fma_f64 v[76:77], v[76:77], v[80:81], v[78:79]
	v_add_f64 v[3:4], v[3:4], v[74:75]
	v_add_f64 v[1:2], v[1:2], v[76:77]
	s_andn2_b32 exec_lo, exec_lo, s5
	s_cbranch_execnz .LBB30_125
; %bb.126:
	s_or_b32 exec_lo, exec_lo, s5
	v_mov_b32_e32 v69, 0
	ds_read_b128 v[69:72], v69 offset:448
	s_waitcnt lgkmcnt(0)
	v_mul_f64 v[74:75], v[1:2], v[71:72]
	v_mul_f64 v[71:72], v[3:4], v[71:72]
	v_fma_f64 v[3:4], v[3:4], v[69:70], -v[74:75]
	v_fma_f64 v[1:2], v[1:2], v[69:70], v[71:72]
	buffer_store_dword v4, off, s[0:3], 0 offset:468
	buffer_store_dword v3, off, s[0:3], 0 offset:464
	;; [unrolled: 1-line block ×4, first 2 shown]
.LBB30_127:
	s_or_b32 exec_lo, exec_lo, s4
	v_mov_b32_e32 v4, s9
	s_waitcnt_vscnt null, 0x0
	s_barrier
	buffer_gl0_inv
	s_mov_b32 s4, exec_lo
	s_clause 0x3
	buffer_load_dword v1, v4, s[0:3], 0 offen
	buffer_load_dword v2, v4, s[0:3], 0 offen offset:4
	buffer_load_dword v3, v4, s[0:3], 0 offen offset:8
	;; [unrolled: 1-line block ×3, first 2 shown]
	s_waitcnt vmcnt(0)
	ds_write_b128 v67, v[1:4]
	s_waitcnt lgkmcnt(0)
	s_barrier
	buffer_gl0_inv
	v_cmpx_gt_u32_e32 29, v0
	s_cbranch_execz .LBB30_131
; %bb.128:
	v_mov_b32_e32 v1, 0
	v_mov_b32_e32 v3, 0
	v_add_nc_u32_e32 v69, -1, v0
	v_add_nc_u32_e32 v70, 0x1f0, v73
	v_mov_b32_e32 v2, 0
	v_mov_b32_e32 v4, 0
	v_add_nc_u32_e32 v71, 16, v73
	s_mov_b32 s5, 0
	.p2align	6
.LBB30_129:                             ; =>This Inner Loop Header: Depth=1
	s_clause 0x3
	buffer_load_dword v78, v71, s[0:3], 0 offen offset:8
	buffer_load_dword v79, v71, s[0:3], 0 offen offset:12
	buffer_load_dword v80, v71, s[0:3], 0 offen
	buffer_load_dword v81, v71, s[0:3], 0 offen offset:4
	ds_read_b128 v[74:77], v70
	v_add_nc_u32_e32 v69, 1, v69
	v_add_nc_u32_e32 v70, 16, v70
	;; [unrolled: 1-line block ×3, first 2 shown]
	v_cmp_lt_u32_e32 vcc_lo, 27, v69
	s_or_b32 s5, vcc_lo, s5
	s_waitcnt vmcnt(2) lgkmcnt(0)
	v_mul_f64 v[82:83], v[76:77], v[78:79]
	v_mul_f64 v[78:79], v[74:75], v[78:79]
	s_waitcnt vmcnt(0)
	v_fma_f64 v[74:75], v[74:75], v[80:81], -v[82:83]
	v_fma_f64 v[76:77], v[76:77], v[80:81], v[78:79]
	v_add_f64 v[3:4], v[3:4], v[74:75]
	v_add_f64 v[1:2], v[1:2], v[76:77]
	s_andn2_b32 exec_lo, exec_lo, s5
	s_cbranch_execnz .LBB30_129
; %bb.130:
	s_or_b32 exec_lo, exec_lo, s5
	v_mov_b32_e32 v69, 0
	ds_read_b128 v[69:72], v69 offset:464
	s_waitcnt lgkmcnt(0)
	v_mul_f64 v[74:75], v[1:2], v[71:72]
	v_mul_f64 v[71:72], v[3:4], v[71:72]
	v_fma_f64 v[3:4], v[3:4], v[69:70], -v[74:75]
	v_fma_f64 v[1:2], v[1:2], v[69:70], v[71:72]
	buffer_store_dword v4, off, s[0:3], 0 offset:484
	buffer_store_dword v3, off, s[0:3], 0 offset:480
	;; [unrolled: 1-line block ×4, first 2 shown]
.LBB30_131:
	s_or_b32 exec_lo, exec_lo, s4
	v_mov_b32_e32 v4, s8
	s_waitcnt_vscnt null, 0x0
	s_barrier
	buffer_gl0_inv
	s_mov_b32 s4, exec_lo
	s_clause 0x3
	buffer_load_dword v1, v4, s[0:3], 0 offen
	buffer_load_dword v2, v4, s[0:3], 0 offen offset:4
	buffer_load_dword v3, v4, s[0:3], 0 offen offset:8
	;; [unrolled: 1-line block ×3, first 2 shown]
	s_waitcnt vmcnt(0)
	ds_write_b128 v67, v[1:4]
	s_waitcnt lgkmcnt(0)
	s_barrier
	buffer_gl0_inv
	v_cmpx_ne_u32_e32 30, v0
	s_cbranch_execz .LBB30_135
; %bb.132:
	v_mov_b32_e32 v1, 0
	v_mov_b32_e32 v3, 0
	;; [unrolled: 1-line block ×4, first 2 shown]
	v_add_nc_u32_e32 v69, 16, v73
	s_mov_b32 s5, 0
	.p2align	6
.LBB30_133:                             ; =>This Inner Loop Header: Depth=1
	s_clause 0x3
	buffer_load_dword v74, v69, s[0:3], 0 offen offset:8
	buffer_load_dword v75, v69, s[0:3], 0 offen offset:12
	buffer_load_dword v76, v69, s[0:3], 0 offen
	buffer_load_dword v77, v69, s[0:3], 0 offen offset:4
	ds_read_b128 v[70:73], v67
	v_add_nc_u32_e32 v68, 1, v68
	v_add_nc_u32_e32 v67, 16, v67
	;; [unrolled: 1-line block ×3, first 2 shown]
	v_cmp_lt_u32_e32 vcc_lo, 28, v68
	s_or_b32 s5, vcc_lo, s5
	s_waitcnt vmcnt(2) lgkmcnt(0)
	v_mul_f64 v[78:79], v[72:73], v[74:75]
	v_mul_f64 v[74:75], v[70:71], v[74:75]
	s_waitcnt vmcnt(0)
	v_fma_f64 v[70:71], v[70:71], v[76:77], -v[78:79]
	v_fma_f64 v[72:73], v[72:73], v[76:77], v[74:75]
	v_add_f64 v[3:4], v[3:4], v[70:71]
	v_add_f64 v[1:2], v[1:2], v[72:73]
	s_andn2_b32 exec_lo, exec_lo, s5
	s_cbranch_execnz .LBB30_133
; %bb.134:
	s_or_b32 exec_lo, exec_lo, s5
	v_mov_b32_e32 v67, 0
	ds_read_b128 v[67:70], v67 offset:480
	s_waitcnt lgkmcnt(0)
	v_mul_f64 v[71:72], v[1:2], v[69:70]
	v_mul_f64 v[69:70], v[3:4], v[69:70]
	v_fma_f64 v[3:4], v[3:4], v[67:68], -v[71:72]
	v_fma_f64 v[1:2], v[1:2], v[67:68], v[69:70]
	buffer_store_dword v4, off, s[0:3], 0 offset:500
	buffer_store_dword v3, off, s[0:3], 0 offset:496
	;; [unrolled: 1-line block ×4, first 2 shown]
.LBB30_135:
	s_or_b32 exec_lo, exec_lo, s4
	s_mov_b32 s5, -1
	s_waitcnt_vscnt null, 0x0
	s_barrier
	buffer_gl0_inv
.LBB30_136:
	s_and_b32 vcc_lo, exec_lo, s5
	s_cbranch_vccz .LBB30_138
; %bb.137:
	s_lshl_b64 s[4:5], s[6:7], 2
	v_mov_b32_e32 v1, 0
	s_add_u32 s4, s10, s4
	s_addc_u32 s5, s11, s5
	global_load_dword v1, v1, s[4:5]
	s_waitcnt vmcnt(0)
	v_cmp_ne_u32_e32 vcc_lo, 0, v1
	s_cbranch_vccz .LBB30_139
.LBB30_138:
	s_endpgm
.LBB30_139:
	v_lshl_add_u32 v67, v0, 4, 0x1f0
	s_mov_b32 s4, exec_lo
	v_cmpx_eq_u32_e32 30, v0
	s_cbranch_execz .LBB30_141
; %bb.140:
	v_mov_b32_e32 v4, s9
	v_mov_b32_e32 v68, 0
	s_clause 0x3
	buffer_load_dword v1, v4, s[0:3], 0 offen
	buffer_load_dword v2, v4, s[0:3], 0 offen offset:4
	buffer_load_dword v3, v4, s[0:3], 0 offen offset:8
	;; [unrolled: 1-line block ×3, first 2 shown]
	buffer_store_dword v68, off, s[0:3], 0 offset:480
	buffer_store_dword v68, off, s[0:3], 0 offset:484
	;; [unrolled: 1-line block ×4, first 2 shown]
	s_waitcnt vmcnt(0)
	ds_write_b128 v67, v[1:4]
.LBB30_141:
	s_or_b32 exec_lo, exec_lo, s4
	s_waitcnt lgkmcnt(0)
	s_waitcnt_vscnt null, 0x0
	s_barrier
	buffer_gl0_inv
	s_clause 0x7
	buffer_load_dword v2, off, s[0:3], 0 offset:504
	buffer_load_dword v3, off, s[0:3], 0 offset:508
	;; [unrolled: 1-line block ×8, first 2 shown]
	v_mov_b32_e32 v1, 0
	s_mov_b32 s4, exec_lo
	ds_read_b128 v[68:71], v1 offset:976
	s_waitcnt vmcnt(6) lgkmcnt(0)
	v_mul_f64 v[78:79], v[70:71], v[2:3]
	v_mul_f64 v[2:3], v[68:69], v[2:3]
	s_waitcnt vmcnt(4)
	v_fma_f64 v[68:69], v[68:69], v[72:73], -v[78:79]
	v_fma_f64 v[2:3], v[70:71], v[72:73], v[2:3]
	v_add_f64 v[68:69], v[68:69], 0
	v_add_f64 v[2:3], v[2:3], 0
	s_waitcnt vmcnt(2)
	v_add_f64 v[68:69], v[74:75], -v[68:69]
	s_waitcnt vmcnt(0)
	v_add_f64 v[2:3], v[76:77], -v[2:3]
	buffer_store_dword v68, off, s[0:3], 0 offset:480
	buffer_store_dword v69, off, s[0:3], 0 offset:484
	;; [unrolled: 1-line block ×4, first 2 shown]
	v_cmpx_lt_u32_e32 28, v0
	s_cbranch_execz .LBB30_143
; %bb.142:
	v_mov_b32_e32 v2, s12
	s_clause 0x3
	buffer_load_dword v68, v2, s[0:3], 0 offen
	buffer_load_dword v69, v2, s[0:3], 0 offen offset:4
	buffer_load_dword v70, v2, s[0:3], 0 offen offset:8
	;; [unrolled: 1-line block ×3, first 2 shown]
	buffer_store_dword v1, off, s[0:3], 0 offset:464
	buffer_store_dword v1, off, s[0:3], 0 offset:468
	;; [unrolled: 1-line block ×4, first 2 shown]
	s_waitcnt vmcnt(0)
	ds_write_b128 v67, v[68:71]
.LBB30_143:
	s_or_b32 exec_lo, exec_lo, s4
	s_waitcnt lgkmcnt(0)
	s_waitcnt_vscnt null, 0x0
	s_barrier
	buffer_gl0_inv
	s_clause 0xb
	buffer_load_dword v72, off, s[0:3], 0 offset:488
	buffer_load_dword v73, off, s[0:3], 0 offset:492
	;; [unrolled: 1-line block ×12, first 2 shown]
	ds_read_b128 v[68:71], v1 offset:960
	ds_read_b128 v[1:4], v1 offset:976
	s_mov_b32 s4, exec_lo
	s_waitcnt vmcnt(10) lgkmcnt(1)
	v_mul_f64 v[84:85], v[70:71], v[72:73]
	v_mul_f64 v[72:73], v[68:69], v[72:73]
	s_waitcnt vmcnt(8) lgkmcnt(0)
	v_mul_f64 v[86:87], v[3:4], v[74:75]
	v_mul_f64 v[74:75], v[1:2], v[74:75]
	s_waitcnt vmcnt(6)
	v_fma_f64 v[68:69], v[68:69], v[76:77], -v[84:85]
	v_fma_f64 v[70:71], v[70:71], v[76:77], v[72:73]
	s_waitcnt vmcnt(4)
	v_fma_f64 v[1:2], v[1:2], v[78:79], -v[86:87]
	v_fma_f64 v[3:4], v[3:4], v[78:79], v[74:75]
	v_add_f64 v[68:69], v[68:69], 0
	v_add_f64 v[70:71], v[70:71], 0
	;; [unrolled: 1-line block ×4, first 2 shown]
	s_waitcnt vmcnt(2)
	v_add_f64 v[1:2], v[80:81], -v[1:2]
	s_waitcnt vmcnt(0)
	v_add_f64 v[3:4], v[82:83], -v[3:4]
	buffer_store_dword v1, off, s[0:3], 0 offset:464
	buffer_store_dword v2, off, s[0:3], 0 offset:468
	;; [unrolled: 1-line block ×4, first 2 shown]
	v_cmpx_lt_u32_e32 27, v0
	s_cbranch_execz .LBB30_145
; %bb.144:
	v_mov_b32_e32 v4, s13
	v_mov_b32_e32 v68, 0
	s_clause 0x3
	buffer_load_dword v1, v4, s[0:3], 0 offen
	buffer_load_dword v2, v4, s[0:3], 0 offen offset:4
	buffer_load_dword v3, v4, s[0:3], 0 offen offset:8
	;; [unrolled: 1-line block ×3, first 2 shown]
	buffer_store_dword v68, off, s[0:3], 0 offset:448
	buffer_store_dword v68, off, s[0:3], 0 offset:452
	;; [unrolled: 1-line block ×4, first 2 shown]
	s_waitcnt vmcnt(0)
	ds_write_b128 v67, v[1:4]
.LBB30_145:
	s_or_b32 exec_lo, exec_lo, s4
	s_waitcnt lgkmcnt(0)
	s_waitcnt_vscnt null, 0x0
	s_barrier
	buffer_gl0_inv
	s_clause 0xf
	buffer_load_dword v2, off, s[0:3], 0 offset:472
	buffer_load_dword v3, off, s[0:3], 0 offset:476
	;; [unrolled: 1-line block ×16, first 2 shown]
	v_mov_b32_e32 v1, 0
	ds_read_b128 v[68:71], v1 offset:944
	ds_read_b128 v[72:75], v1 offset:960
	;; [unrolled: 1-line block ×3, first 2 shown]
	s_mov_b32 s4, exec_lo
	s_waitcnt vmcnt(14) lgkmcnt(2)
	v_mul_f64 v[94:95], v[70:71], v[2:3]
	v_mul_f64 v[2:3], v[68:69], v[2:3]
	s_waitcnt vmcnt(12) lgkmcnt(1)
	v_mul_f64 v[96:97], v[74:75], v[80:81]
	v_mul_f64 v[80:81], v[72:73], v[80:81]
	s_waitcnt vmcnt(10)
	v_fma_f64 v[68:69], v[68:69], v[82:83], -v[94:95]
	v_fma_f64 v[2:3], v[70:71], v[82:83], v[2:3]
	s_waitcnt vmcnt(8) lgkmcnt(0)
	v_mul_f64 v[82:83], v[78:79], v[84:85]
	s_waitcnt vmcnt(6)
	v_fma_f64 v[72:73], v[72:73], v[86:87], -v[96:97]
	v_mul_f64 v[70:71], v[76:77], v[84:85]
	v_fma_f64 v[74:75], v[74:75], v[86:87], v[80:81]
	v_add_f64 v[68:69], v[68:69], 0
	v_add_f64 v[2:3], v[2:3], 0
	s_waitcnt vmcnt(4)
	v_fma_f64 v[76:77], v[76:77], v[88:89], -v[82:83]
	v_fma_f64 v[70:71], v[78:79], v[88:89], v[70:71]
	v_add_f64 v[68:69], v[68:69], v[72:73]
	v_add_f64 v[2:3], v[2:3], v[74:75]
	;; [unrolled: 1-line block ×4, first 2 shown]
	s_waitcnt vmcnt(2)
	v_add_f64 v[68:69], v[90:91], -v[68:69]
	s_waitcnt vmcnt(0)
	v_add_f64 v[2:3], v[92:93], -v[2:3]
	buffer_store_dword v68, off, s[0:3], 0 offset:448
	buffer_store_dword v69, off, s[0:3], 0 offset:452
	;; [unrolled: 1-line block ×4, first 2 shown]
	v_cmpx_lt_u32_e32 26, v0
	s_cbranch_execz .LBB30_147
; %bb.146:
	v_mov_b32_e32 v2, s14
	s_clause 0x3
	buffer_load_dword v68, v2, s[0:3], 0 offen
	buffer_load_dword v69, v2, s[0:3], 0 offen offset:4
	buffer_load_dword v70, v2, s[0:3], 0 offen offset:8
	;; [unrolled: 1-line block ×3, first 2 shown]
	buffer_store_dword v1, off, s[0:3], 0 offset:432
	buffer_store_dword v1, off, s[0:3], 0 offset:436
	;; [unrolled: 1-line block ×4, first 2 shown]
	s_waitcnt vmcnt(0)
	ds_write_b128 v67, v[68:71]
.LBB30_147:
	s_or_b32 exec_lo, exec_lo, s4
	s_waitcnt lgkmcnt(0)
	s_waitcnt_vscnt null, 0x0
	s_barrier
	buffer_gl0_inv
	s_clause 0x13
	buffer_load_dword v2, off, s[0:3], 0 offset:456
	buffer_load_dword v3, off, s[0:3], 0 offset:460
	buffer_load_dword v80, off, s[0:3], 0 offset:472
	buffer_load_dword v81, off, s[0:3], 0 offset:476
	buffer_load_dword v82, off, s[0:3], 0 offset:448
	buffer_load_dword v83, off, s[0:3], 0 offset:452
	buffer_load_dword v84, off, s[0:3], 0 offset:488
	buffer_load_dword v85, off, s[0:3], 0 offset:492
	buffer_load_dword v86, off, s[0:3], 0 offset:464
	buffer_load_dword v87, off, s[0:3], 0 offset:468
	buffer_load_dword v89, off, s[0:3], 0 offset:508
	buffer_load_dword v88, off, s[0:3], 0 offset:504
	buffer_load_dword v90, off, s[0:3], 0 offset:480
	buffer_load_dword v91, off, s[0:3], 0 offset:484
	buffer_load_dword v93, off, s[0:3], 0 offset:500
	buffer_load_dword v92, off, s[0:3], 0 offset:496
	buffer_load_dword v94, off, s[0:3], 0 offset:432
	buffer_load_dword v95, off, s[0:3], 0 offset:436
	buffer_load_dword v96, off, s[0:3], 0 offset:440
	buffer_load_dword v97, off, s[0:3], 0 offset:444
	ds_read_b128 v[68:71], v1 offset:928
	ds_read_b128 v[72:75], v1 offset:944
	;; [unrolled: 1-line block ×3, first 2 shown]
	s_mov_b32 s4, exec_lo
	s_waitcnt vmcnt(18) lgkmcnt(2)
	v_mul_f64 v[98:99], v[70:71], v[2:3]
	v_mul_f64 v[2:3], v[68:69], v[2:3]
	s_waitcnt vmcnt(16) lgkmcnt(1)
	v_mul_f64 v[100:101], v[74:75], v[80:81]
	v_mul_f64 v[80:81], v[72:73], v[80:81]
	s_waitcnt vmcnt(14)
	v_fma_f64 v[68:69], v[68:69], v[82:83], -v[98:99]
	v_fma_f64 v[70:71], v[70:71], v[82:83], v[2:3]
	s_waitcnt vmcnt(12) lgkmcnt(0)
	v_mul_f64 v[82:83], v[76:77], v[84:85]
	v_mul_f64 v[84:85], v[78:79], v[84:85]
	s_waitcnt vmcnt(10)
	v_fma_f64 v[72:73], v[72:73], v[86:87], -v[100:101]
	ds_read_b128 v[1:4], v1 offset:976
	v_fma_f64 v[74:75], v[74:75], v[86:87], v[80:81]
	v_add_f64 v[68:69], v[68:69], 0
	v_add_f64 v[70:71], v[70:71], 0
	s_waitcnt vmcnt(8) lgkmcnt(0)
	v_mul_f64 v[86:87], v[3:4], v[88:89]
	s_waitcnt vmcnt(6)
	v_fma_f64 v[76:77], v[76:77], v[90:91], -v[84:85]
	v_mul_f64 v[80:81], v[1:2], v[88:89]
	v_add_f64 v[68:69], v[68:69], v[72:73]
	v_fma_f64 v[72:73], v[78:79], v[90:91], v[82:83]
	v_add_f64 v[70:71], v[70:71], v[74:75]
	s_waitcnt vmcnt(4)
	v_fma_f64 v[1:2], v[1:2], v[92:93], -v[86:87]
	v_fma_f64 v[3:4], v[3:4], v[92:93], v[80:81]
	v_add_f64 v[68:69], v[68:69], v[76:77]
	v_add_f64 v[70:71], v[70:71], v[72:73]
	;; [unrolled: 1-line block ×4, first 2 shown]
	s_waitcnt vmcnt(2)
	v_add_f64 v[1:2], v[94:95], -v[1:2]
	s_waitcnt vmcnt(0)
	v_add_f64 v[3:4], v[96:97], -v[3:4]
	buffer_store_dword v1, off, s[0:3], 0 offset:432
	buffer_store_dword v2, off, s[0:3], 0 offset:436
	;; [unrolled: 1-line block ×4, first 2 shown]
	v_cmpx_lt_u32_e32 25, v0
	s_cbranch_execz .LBB30_149
; %bb.148:
	v_mov_b32_e32 v4, s15
	v_mov_b32_e32 v68, 0
	s_clause 0x3
	buffer_load_dword v1, v4, s[0:3], 0 offen
	buffer_load_dword v2, v4, s[0:3], 0 offen offset:4
	buffer_load_dword v3, v4, s[0:3], 0 offen offset:8
	;; [unrolled: 1-line block ×3, first 2 shown]
	buffer_store_dword v68, off, s[0:3], 0 offset:416
	buffer_store_dword v68, off, s[0:3], 0 offset:420
	;; [unrolled: 1-line block ×4, first 2 shown]
	s_waitcnt vmcnt(0)
	ds_write_b128 v67, v[1:4]
.LBB30_149:
	s_or_b32 exec_lo, exec_lo, s4
	s_waitcnt lgkmcnt(0)
	s_waitcnt_vscnt null, 0x0
	s_barrier
	buffer_gl0_inv
	s_clause 0x17
	buffer_load_dword v2, off, s[0:3], 0 offset:440
	buffer_load_dword v3, off, s[0:3], 0 offset:444
	;; [unrolled: 1-line block ×24, first 2 shown]
	v_mov_b32_e32 v1, 0
	ds_read_b128 v[68:71], v1 offset:912
	ds_read_b128 v[72:75], v1 offset:928
	;; [unrolled: 1-line block ×3, first 2 shown]
	s_mov_b32 s4, exec_lo
	s_waitcnt vmcnt(22) lgkmcnt(2)
	v_mul_f64 v[102:103], v[70:71], v[2:3]
	v_mul_f64 v[2:3], v[68:69], v[2:3]
	s_waitcnt vmcnt(20) lgkmcnt(1)
	v_mul_f64 v[104:105], v[74:75], v[80:81]
	v_mul_f64 v[80:81], v[72:73], v[80:81]
	s_waitcnt vmcnt(18)
	v_fma_f64 v[102:103], v[68:69], v[82:83], -v[102:103]
	v_fma_f64 v[2:3], v[70:71], v[82:83], v[2:3]
	ds_read_b128 v[68:71], v1 offset:960
	s_waitcnt vmcnt(16) lgkmcnt(1)
	v_mul_f64 v[82:83], v[76:77], v[84:85]
	v_mul_f64 v[84:85], v[78:79], v[84:85]
	s_waitcnt vmcnt(14)
	v_fma_f64 v[104:105], v[72:73], v[86:87], -v[104:105]
	v_fma_f64 v[80:81], v[74:75], v[86:87], v[80:81]
	ds_read_b128 v[72:75], v1 offset:976
	s_waitcnt vmcnt(10) lgkmcnt(1)
	v_mul_f64 v[86:87], v[68:69], v[88:89]
	v_add_f64 v[102:103], v[102:103], 0
	v_add_f64 v[2:3], v[2:3], 0
	v_mul_f64 v[88:89], v[70:71], v[88:89]
	s_waitcnt vmcnt(8)
	v_fma_f64 v[76:77], v[76:77], v[94:95], -v[84:85]
	v_fma_f64 v[78:79], v[78:79], v[94:95], v[82:83]
	s_waitcnt vmcnt(7) lgkmcnt(0)
	v_mul_f64 v[82:83], v[74:75], v[90:91]
	s_waitcnt vmcnt(5)
	v_fma_f64 v[70:71], v[70:71], v[96:97], v[86:87]
	v_add_f64 v[84:85], v[102:103], v[104:105]
	v_add_f64 v[2:3], v[2:3], v[80:81]
	v_fma_f64 v[68:69], v[68:69], v[96:97], -v[88:89]
	v_mul_f64 v[80:81], v[72:73], v[90:91]
	s_waitcnt vmcnt(4)
	v_fma_f64 v[72:73], v[72:73], v[92:93], -v[82:83]
	v_add_f64 v[76:77], v[84:85], v[76:77]
	v_add_f64 v[2:3], v[2:3], v[78:79]
	v_fma_f64 v[74:75], v[74:75], v[92:93], v[80:81]
	v_add_f64 v[68:69], v[76:77], v[68:69]
	v_add_f64 v[2:3], v[2:3], v[70:71]
	;; [unrolled: 1-line block ×4, first 2 shown]
	s_waitcnt vmcnt(2)
	v_add_f64 v[68:69], v[98:99], -v[68:69]
	s_waitcnt vmcnt(0)
	v_add_f64 v[2:3], v[100:101], -v[2:3]
	buffer_store_dword v69, off, s[0:3], 0 offset:420
	buffer_store_dword v68, off, s[0:3], 0 offset:416
	;; [unrolled: 1-line block ×4, first 2 shown]
	v_cmpx_lt_u32_e32 24, v0
	s_cbranch_execz .LBB30_151
; %bb.150:
	v_mov_b32_e32 v2, s16
	s_clause 0x3
	buffer_load_dword v68, v2, s[0:3], 0 offen
	buffer_load_dword v69, v2, s[0:3], 0 offen offset:4
	buffer_load_dword v70, v2, s[0:3], 0 offen offset:8
	;; [unrolled: 1-line block ×3, first 2 shown]
	buffer_store_dword v1, off, s[0:3], 0 offset:400
	buffer_store_dword v1, off, s[0:3], 0 offset:404
	;; [unrolled: 1-line block ×4, first 2 shown]
	s_waitcnt vmcnt(0)
	ds_write_b128 v67, v[68:71]
.LBB30_151:
	s_or_b32 exec_lo, exec_lo, s4
	s_waitcnt lgkmcnt(0)
	s_waitcnt_vscnt null, 0x0
	s_barrier
	buffer_gl0_inv
	s_clause 0x1b
	buffer_load_dword v2, off, s[0:3], 0 offset:424
	buffer_load_dword v3, off, s[0:3], 0 offset:428
	buffer_load_dword v80, off, s[0:3], 0 offset:440
	buffer_load_dword v81, off, s[0:3], 0 offset:444
	buffer_load_dword v82, off, s[0:3], 0 offset:416
	buffer_load_dword v83, off, s[0:3], 0 offset:420
	buffer_load_dword v84, off, s[0:3], 0 offset:456
	buffer_load_dword v85, off, s[0:3], 0 offset:460
	buffer_load_dword v86, off, s[0:3], 0 offset:432
	buffer_load_dword v87, off, s[0:3], 0 offset:436
	buffer_load_dword v89, off, s[0:3], 0 offset:476
	buffer_load_dword v90, off, s[0:3], 0 offset:488
	buffer_load_dword v92, off, s[0:3], 0 offset:480
	buffer_load_dword v88, off, s[0:3], 0 offset:472
	buffer_load_dword v94, off, s[0:3], 0 offset:448
	buffer_load_dword v95, off, s[0:3], 0 offset:452
	buffer_load_dword v91, off, s[0:3], 0 offset:492
	buffer_load_dword v97, off, s[0:3], 0 offset:468
	buffer_load_dword v96, off, s[0:3], 0 offset:464
	buffer_load_dword v99, off, s[0:3], 0 offset:508
	buffer_load_dword v98, off, s[0:3], 0 offset:504
	buffer_load_dword v93, off, s[0:3], 0 offset:484
	buffer_load_dword v101, off, s[0:3], 0 offset:500
	buffer_load_dword v100, off, s[0:3], 0 offset:496
	buffer_load_dword v102, off, s[0:3], 0 offset:400
	buffer_load_dword v103, off, s[0:3], 0 offset:404
	buffer_load_dword v104, off, s[0:3], 0 offset:408
	buffer_load_dword v105, off, s[0:3], 0 offset:412
	ds_read_b128 v[68:71], v1 offset:896
	ds_read_b128 v[72:75], v1 offset:912
	;; [unrolled: 1-line block ×3, first 2 shown]
	s_mov_b32 s4, exec_lo
	s_waitcnt vmcnt(26) lgkmcnt(2)
	v_mul_f64 v[106:107], v[70:71], v[2:3]
	v_mul_f64 v[2:3], v[68:69], v[2:3]
	s_waitcnt vmcnt(24) lgkmcnt(1)
	v_mul_f64 v[108:109], v[74:75], v[80:81]
	v_mul_f64 v[80:81], v[72:73], v[80:81]
	s_waitcnt vmcnt(22)
	v_fma_f64 v[106:107], v[68:69], v[82:83], -v[106:107]
	v_fma_f64 v[2:3], v[70:71], v[82:83], v[2:3]
	ds_read_b128 v[68:71], v1 offset:944
	s_waitcnt vmcnt(20) lgkmcnt(1)
	v_mul_f64 v[82:83], v[76:77], v[84:85]
	v_mul_f64 v[84:85], v[78:79], v[84:85]
	s_waitcnt vmcnt(18)
	v_fma_f64 v[108:109], v[72:73], v[86:87], -v[108:109]
	v_fma_f64 v[80:81], v[74:75], v[86:87], v[80:81]
	ds_read_b128 v[72:75], v1 offset:960
	s_waitcnt vmcnt(14) lgkmcnt(1)
	v_mul_f64 v[86:87], v[68:69], v[88:89]
	v_add_f64 v[106:107], v[106:107], 0
	v_add_f64 v[2:3], v[2:3], 0
	v_mul_f64 v[88:89], v[70:71], v[88:89]
	s_waitcnt vmcnt(12)
	v_fma_f64 v[76:77], v[76:77], v[94:95], -v[84:85]
	v_fma_f64 v[78:79], v[78:79], v[94:95], v[82:83]
	s_waitcnt vmcnt(11) lgkmcnt(0)
	v_mul_f64 v[82:83], v[72:73], v[90:91]
	v_mul_f64 v[90:91], v[74:75], v[90:91]
	s_waitcnt vmcnt(9)
	v_fma_f64 v[70:71], v[70:71], v[96:97], v[86:87]
	v_add_f64 v[84:85], v[106:107], v[108:109]
	v_add_f64 v[80:81], v[2:3], v[80:81]
	v_fma_f64 v[68:69], v[68:69], v[96:97], -v[88:89]
	ds_read_b128 v[1:4], v1 offset:976
	s_waitcnt vmcnt(6)
	v_fma_f64 v[74:75], v[74:75], v[92:93], v[82:83]
	v_fma_f64 v[72:73], v[72:73], v[92:93], -v[90:91]
	v_add_f64 v[76:77], v[84:85], v[76:77]
	v_add_f64 v[78:79], v[80:81], v[78:79]
	s_waitcnt lgkmcnt(0)
	v_mul_f64 v[84:85], v[3:4], v[98:99]
	v_mul_f64 v[80:81], v[1:2], v[98:99]
	v_add_f64 v[68:69], v[76:77], v[68:69]
	v_add_f64 v[70:71], v[78:79], v[70:71]
	s_waitcnt vmcnt(4)
	v_fma_f64 v[1:2], v[1:2], v[100:101], -v[84:85]
	v_fma_f64 v[3:4], v[3:4], v[100:101], v[80:81]
	v_add_f64 v[68:69], v[68:69], v[72:73]
	v_add_f64 v[70:71], v[70:71], v[74:75]
	;; [unrolled: 1-line block ×4, first 2 shown]
	s_waitcnt vmcnt(2)
	v_add_f64 v[1:2], v[102:103], -v[1:2]
	s_waitcnt vmcnt(0)
	v_add_f64 v[3:4], v[104:105], -v[3:4]
	buffer_store_dword v2, off, s[0:3], 0 offset:404
	buffer_store_dword v1, off, s[0:3], 0 offset:400
	;; [unrolled: 1-line block ×4, first 2 shown]
	v_cmpx_lt_u32_e32 23, v0
	s_cbranch_execz .LBB30_153
; %bb.152:
	v_mov_b32_e32 v4, s17
	v_mov_b32_e32 v68, 0
	s_clause 0x3
	buffer_load_dword v1, v4, s[0:3], 0 offen
	buffer_load_dword v2, v4, s[0:3], 0 offen offset:4
	buffer_load_dword v3, v4, s[0:3], 0 offen offset:8
	;; [unrolled: 1-line block ×3, first 2 shown]
	buffer_store_dword v68, off, s[0:3], 0 offset:384
	buffer_store_dword v68, off, s[0:3], 0 offset:388
	;; [unrolled: 1-line block ×4, first 2 shown]
	s_waitcnt vmcnt(0)
	ds_write_b128 v67, v[1:4]
.LBB30_153:
	s_or_b32 exec_lo, exec_lo, s4
	s_waitcnt lgkmcnt(0)
	s_waitcnt_vscnt null, 0x0
	s_barrier
	buffer_gl0_inv
	s_clause 0x1f
	buffer_load_dword v2, off, s[0:3], 0 offset:408
	buffer_load_dword v3, off, s[0:3], 0 offset:412
	;; [unrolled: 1-line block ×32, first 2 shown]
	v_mov_b32_e32 v1, 0
	ds_read_b128 v[68:71], v1 offset:880
	ds_read_b128 v[72:75], v1 offset:896
	;; [unrolled: 1-line block ×3, first 2 shown]
	s_mov_b32 s4, exec_lo
	s_waitcnt vmcnt(30) lgkmcnt(2)
	v_mul_f64 v[110:111], v[70:71], v[2:3]
	v_mul_f64 v[2:3], v[68:69], v[2:3]
	s_waitcnt vmcnt(28) lgkmcnt(1)
	v_mul_f64 v[112:113], v[74:75], v[80:81]
	v_mul_f64 v[80:81], v[72:73], v[80:81]
	s_waitcnt vmcnt(26)
	v_fma_f64 v[110:111], v[68:69], v[82:83], -v[110:111]
	v_fma_f64 v[2:3], v[70:71], v[82:83], v[2:3]
	ds_read_b128 v[68:71], v1 offset:928
	s_waitcnt vmcnt(24) lgkmcnt(1)
	v_mul_f64 v[82:83], v[76:77], v[84:85]
	v_mul_f64 v[84:85], v[78:79], v[84:85]
	s_waitcnt vmcnt(22)
	v_fma_f64 v[112:113], v[72:73], v[86:87], -v[112:113]
	v_fma_f64 v[80:81], v[74:75], v[86:87], v[80:81]
	ds_read_b128 v[72:75], v1 offset:944
	s_waitcnt vmcnt(18) lgkmcnt(1)
	v_mul_f64 v[86:87], v[68:69], v[88:89]
	v_add_f64 v[110:111], v[110:111], 0
	v_add_f64 v[2:3], v[2:3], 0
	v_mul_f64 v[88:89], v[70:71], v[88:89]
	s_waitcnt vmcnt(16)
	v_fma_f64 v[84:85], v[76:77], v[94:95], -v[84:85]
	v_fma_f64 v[82:83], v[78:79], v[94:95], v[82:83]
	ds_read_b128 v[76:79], v1 offset:960
	s_waitcnt vmcnt(13)
	v_fma_f64 v[86:87], v[70:71], v[96:97], v[86:87]
	v_add_f64 v[110:111], v[110:111], v[112:113]
	v_add_f64 v[2:3], v[2:3], v[80:81]
	s_waitcnt lgkmcnt(1)
	v_mul_f64 v[80:81], v[72:73], v[90:91]
	v_mul_f64 v[90:91], v[74:75], v[90:91]
	v_fma_f64 v[88:89], v[68:69], v[96:97], -v[88:89]
	s_waitcnt vmcnt(9) lgkmcnt(0)
	v_mul_f64 v[94:95], v[78:79], v[98:99]
	ds_read_b128 v[68:71], v1 offset:976
	v_add_f64 v[84:85], v[110:111], v[84:85]
	v_add_f64 v[2:3], v[2:3], v[82:83]
	v_mul_f64 v[82:83], v[76:77], v[98:99]
	s_waitcnt vmcnt(8)
	v_fma_f64 v[72:73], v[72:73], v[92:93], -v[90:91]
	v_fma_f64 v[74:75], v[74:75], v[92:93], v[80:81]
	s_waitcnt vmcnt(5)
	v_fma_f64 v[76:77], v[76:77], v[104:105], -v[94:95]
	s_waitcnt lgkmcnt(0)
	v_mul_f64 v[80:81], v[68:69], v[100:101]
	v_add_f64 v[84:85], v[84:85], v[88:89]
	v_add_f64 v[2:3], v[2:3], v[86:87]
	v_mul_f64 v[86:87], v[70:71], v[100:101]
	v_fma_f64 v[78:79], v[78:79], v[104:105], v[82:83]
	s_waitcnt vmcnt(4)
	v_fma_f64 v[70:71], v[70:71], v[102:103], v[80:81]
	v_add_f64 v[72:73], v[84:85], v[72:73]
	v_add_f64 v[2:3], v[2:3], v[74:75]
	v_fma_f64 v[68:69], v[68:69], v[102:103], -v[86:87]
	v_add_f64 v[72:73], v[72:73], v[76:77]
	v_add_f64 v[2:3], v[2:3], v[78:79]
	;; [unrolled: 1-line block ×4, first 2 shown]
	s_waitcnt vmcnt(2)
	v_add_f64 v[68:69], v[106:107], -v[68:69]
	s_waitcnt vmcnt(0)
	v_add_f64 v[2:3], v[108:109], -v[2:3]
	buffer_store_dword v69, off, s[0:3], 0 offset:388
	buffer_store_dword v68, off, s[0:3], 0 offset:384
	;; [unrolled: 1-line block ×4, first 2 shown]
	v_cmpx_lt_u32_e32 22, v0
	s_cbranch_execz .LBB30_155
; %bb.154:
	v_mov_b32_e32 v2, s18
	s_clause 0x3
	buffer_load_dword v68, v2, s[0:3], 0 offen
	buffer_load_dword v69, v2, s[0:3], 0 offen offset:4
	buffer_load_dword v70, v2, s[0:3], 0 offen offset:8
	;; [unrolled: 1-line block ×3, first 2 shown]
	buffer_store_dword v1, off, s[0:3], 0 offset:368
	buffer_store_dword v1, off, s[0:3], 0 offset:372
	;; [unrolled: 1-line block ×4, first 2 shown]
	s_waitcnt vmcnt(0)
	ds_write_b128 v67, v[68:71]
.LBB30_155:
	s_or_b32 exec_lo, exec_lo, s4
	s_waitcnt lgkmcnt(0)
	s_waitcnt_vscnt null, 0x0
	s_barrier
	buffer_gl0_inv
	s_clause 0x23
	buffer_load_dword v2, off, s[0:3], 0 offset:392
	buffer_load_dword v3, off, s[0:3], 0 offset:396
	;; [unrolled: 1-line block ×36, first 2 shown]
	ds_read_b128 v[68:71], v1 offset:864
	ds_read_b128 v[72:75], v1 offset:880
	;; [unrolled: 1-line block ×3, first 2 shown]
	s_mov_b32 s4, exec_lo
	s_waitcnt vmcnt(34) lgkmcnt(2)
	v_mul_f64 v[114:115], v[70:71], v[2:3]
	v_mul_f64 v[2:3], v[68:69], v[2:3]
	s_waitcnt vmcnt(32) lgkmcnt(1)
	v_mul_f64 v[116:117], v[74:75], v[80:81]
	v_mul_f64 v[80:81], v[72:73], v[80:81]
	s_waitcnt vmcnt(30)
	v_fma_f64 v[114:115], v[68:69], v[82:83], -v[114:115]
	v_fma_f64 v[2:3], v[70:71], v[82:83], v[2:3]
	ds_read_b128 v[68:71], v1 offset:912
	s_waitcnt vmcnt(28) lgkmcnt(1)
	v_mul_f64 v[82:83], v[76:77], v[84:85]
	v_mul_f64 v[84:85], v[78:79], v[84:85]
	s_waitcnt vmcnt(26)
	v_fma_f64 v[116:117], v[72:73], v[86:87], -v[116:117]
	v_fma_f64 v[80:81], v[74:75], v[86:87], v[80:81]
	ds_read_b128 v[72:75], v1 offset:928
	s_waitcnt vmcnt(22) lgkmcnt(1)
	v_mul_f64 v[86:87], v[68:69], v[88:89]
	v_add_f64 v[114:115], v[114:115], 0
	v_add_f64 v[2:3], v[2:3], 0
	v_mul_f64 v[88:89], v[70:71], v[88:89]
	s_waitcnt vmcnt(20)
	v_fma_f64 v[84:85], v[76:77], v[94:95], -v[84:85]
	v_fma_f64 v[82:83], v[78:79], v[94:95], v[82:83]
	ds_read_b128 v[76:79], v1 offset:944
	s_waitcnt vmcnt(17)
	v_fma_f64 v[86:87], v[70:71], v[96:97], v[86:87]
	v_add_f64 v[114:115], v[114:115], v[116:117]
	v_add_f64 v[2:3], v[2:3], v[80:81]
	s_waitcnt lgkmcnt(1)
	v_mul_f64 v[80:81], v[72:73], v[90:91]
	v_mul_f64 v[90:91], v[74:75], v[90:91]
	v_fma_f64 v[88:89], v[68:69], v[96:97], -v[88:89]
	s_waitcnt vmcnt(13) lgkmcnt(0)
	v_mul_f64 v[94:95], v[78:79], v[98:99]
	ds_read_b128 v[68:71], v1 offset:960
	v_add_f64 v[84:85], v[114:115], v[84:85]
	v_add_f64 v[2:3], v[2:3], v[82:83]
	v_mul_f64 v[82:83], v[76:77], v[98:99]
	s_waitcnt vmcnt(12)
	v_fma_f64 v[72:73], v[72:73], v[92:93], -v[90:91]
	v_fma_f64 v[74:75], v[74:75], v[92:93], v[80:81]
	s_waitcnt vmcnt(9)
	v_fma_f64 v[76:77], v[76:77], v[104:105], -v[94:95]
	v_add_f64 v[84:85], v[84:85], v[88:89]
	v_add_f64 v[80:81], v[2:3], v[86:87]
	s_waitcnt lgkmcnt(0)
	v_mul_f64 v[88:89], v[70:71], v[100:101]
	ds_read_b128 v[1:4], v1 offset:976
	v_mul_f64 v[86:87], v[68:69], v[100:101]
	v_fma_f64 v[78:79], v[78:79], v[104:105], v[82:83]
	v_add_f64 v[72:73], v[84:85], v[72:73]
	v_add_f64 v[74:75], v[80:81], v[74:75]
	s_waitcnt vmcnt(7) lgkmcnt(0)
	v_mul_f64 v[82:83], v[3:4], v[106:107]
	s_waitcnt vmcnt(6)
	v_fma_f64 v[68:69], v[68:69], v[102:103], -v[88:89]
	v_mul_f64 v[80:81], v[1:2], v[106:107]
	v_fma_f64 v[70:71], v[70:71], v[102:103], v[86:87]
	v_add_f64 v[72:73], v[72:73], v[76:77]
	v_add_f64 v[74:75], v[74:75], v[78:79]
	s_waitcnt vmcnt(4)
	v_fma_f64 v[1:2], v[1:2], v[108:109], -v[82:83]
	v_fma_f64 v[3:4], v[3:4], v[108:109], v[80:81]
	v_add_f64 v[68:69], v[72:73], v[68:69]
	v_add_f64 v[70:71], v[74:75], v[70:71]
	;; [unrolled: 1-line block ×4, first 2 shown]
	s_waitcnt vmcnt(2)
	v_add_f64 v[1:2], v[110:111], -v[1:2]
	s_waitcnt vmcnt(0)
	v_add_f64 v[3:4], v[112:113], -v[3:4]
	buffer_store_dword v2, off, s[0:3], 0 offset:372
	buffer_store_dword v1, off, s[0:3], 0 offset:368
	buffer_store_dword v4, off, s[0:3], 0 offset:380
	buffer_store_dword v3, off, s[0:3], 0 offset:376
	v_cmpx_lt_u32_e32 21, v0
	s_cbranch_execz .LBB30_157
; %bb.156:
	v_mov_b32_e32 v4, s19
	v_mov_b32_e32 v68, 0
	s_clause 0x3
	buffer_load_dword v1, v4, s[0:3], 0 offen
	buffer_load_dword v2, v4, s[0:3], 0 offen offset:4
	buffer_load_dword v3, v4, s[0:3], 0 offen offset:8
	;; [unrolled: 1-line block ×3, first 2 shown]
	buffer_store_dword v68, off, s[0:3], 0 offset:352
	buffer_store_dword v68, off, s[0:3], 0 offset:356
	;; [unrolled: 1-line block ×4, first 2 shown]
	s_waitcnt vmcnt(0)
	ds_write_b128 v67, v[1:4]
.LBB30_157:
	s_or_b32 exec_lo, exec_lo, s4
	s_waitcnt lgkmcnt(0)
	s_waitcnt_vscnt null, 0x0
	s_barrier
	buffer_gl0_inv
	s_clause 0x27
	buffer_load_dword v2, off, s[0:3], 0 offset:376
	buffer_load_dword v3, off, s[0:3], 0 offset:380
	;; [unrolled: 1-line block ×40, first 2 shown]
	v_mov_b32_e32 v1, 0
	ds_read_b128 v[68:71], v1 offset:848
	ds_read_b128 v[72:75], v1 offset:864
	;; [unrolled: 1-line block ×3, first 2 shown]
	s_mov_b32 s4, exec_lo
	s_waitcnt vmcnt(38) lgkmcnt(2)
	v_mul_f64 v[118:119], v[70:71], v[2:3]
	v_mul_f64 v[2:3], v[68:69], v[2:3]
	s_waitcnt vmcnt(36) lgkmcnt(1)
	v_mul_f64 v[120:121], v[74:75], v[80:81]
	v_mul_f64 v[80:81], v[72:73], v[80:81]
	s_waitcnt vmcnt(34)
	v_fma_f64 v[118:119], v[68:69], v[82:83], -v[118:119]
	v_fma_f64 v[2:3], v[70:71], v[82:83], v[2:3]
	ds_read_b128 v[68:71], v1 offset:896
	s_waitcnt vmcnt(32) lgkmcnt(1)
	v_mul_f64 v[82:83], v[76:77], v[84:85]
	v_mul_f64 v[84:85], v[78:79], v[84:85]
	s_waitcnt vmcnt(30)
	v_fma_f64 v[120:121], v[72:73], v[86:87], -v[120:121]
	v_fma_f64 v[80:81], v[74:75], v[86:87], v[80:81]
	ds_read_b128 v[72:75], v1 offset:912
	s_waitcnt vmcnt(26) lgkmcnt(1)
	v_mul_f64 v[86:87], v[68:69], v[88:89]
	v_add_f64 v[118:119], v[118:119], 0
	v_add_f64 v[2:3], v[2:3], 0
	v_mul_f64 v[88:89], v[70:71], v[88:89]
	s_waitcnt vmcnt(24)
	v_fma_f64 v[84:85], v[76:77], v[94:95], -v[84:85]
	v_fma_f64 v[82:83], v[78:79], v[94:95], v[82:83]
	ds_read_b128 v[76:79], v1 offset:928
	s_waitcnt vmcnt(21)
	v_fma_f64 v[86:87], v[70:71], v[96:97], v[86:87]
	v_add_f64 v[118:119], v[118:119], v[120:121]
	v_add_f64 v[2:3], v[2:3], v[80:81]
	s_waitcnt lgkmcnt(1)
	v_mul_f64 v[80:81], v[72:73], v[90:91]
	v_mul_f64 v[90:91], v[74:75], v[90:91]
	v_fma_f64 v[88:89], v[68:69], v[96:97], -v[88:89]
	s_waitcnt vmcnt(17) lgkmcnt(0)
	v_mul_f64 v[94:95], v[78:79], v[98:99]
	ds_read_b128 v[68:71], v1 offset:944
	v_add_f64 v[84:85], v[118:119], v[84:85]
	v_add_f64 v[2:3], v[2:3], v[82:83]
	v_mul_f64 v[82:83], v[76:77], v[98:99]
	s_waitcnt vmcnt(16)
	v_fma_f64 v[90:91], v[72:73], v[92:93], -v[90:91]
	v_fma_f64 v[80:81], v[74:75], v[92:93], v[80:81]
	ds_read_b128 v[72:75], v1 offset:960
	s_waitcnt vmcnt(13)
	v_fma_f64 v[92:93], v[76:77], v[104:105], -v[94:95]
	v_add_f64 v[84:85], v[84:85], v[88:89]
	v_add_f64 v[2:3], v[2:3], v[86:87]
	s_waitcnt lgkmcnt(1)
	v_mul_f64 v[88:89], v[70:71], v[100:101]
	v_mul_f64 v[86:87], v[68:69], v[100:101]
	v_fma_f64 v[82:83], v[78:79], v[104:105], v[82:83]
	ds_read_b128 v[76:79], v1 offset:976
	v_add_f64 v[84:85], v[84:85], v[90:91]
	v_add_f64 v[2:3], v[2:3], v[80:81]
	s_waitcnt vmcnt(9) lgkmcnt(1)
	v_mul_f64 v[90:91], v[74:75], v[106:107]
	s_waitcnt vmcnt(8)
	v_fma_f64 v[68:69], v[68:69], v[102:103], -v[88:89]
	v_mul_f64 v[80:81], v[72:73], v[106:107]
	v_fma_f64 v[70:71], v[70:71], v[102:103], v[86:87]
	s_waitcnt vmcnt(7) lgkmcnt(0)
	v_mul_f64 v[86:87], v[78:79], v[108:109]
	v_add_f64 v[84:85], v[84:85], v[92:93]
	v_add_f64 v[2:3], v[2:3], v[82:83]
	s_waitcnt vmcnt(5)
	v_fma_f64 v[72:73], v[72:73], v[112:113], -v[90:91]
	v_mul_f64 v[82:83], v[76:77], v[108:109]
	v_fma_f64 v[74:75], v[74:75], v[112:113], v[80:81]
	v_add_f64 v[68:69], v[84:85], v[68:69]
	v_add_f64 v[2:3], v[2:3], v[70:71]
	s_waitcnt vmcnt(4)
	v_fma_f64 v[70:71], v[76:77], v[110:111], -v[86:87]
	v_add_f64 v[68:69], v[68:69], v[72:73]
	v_fma_f64 v[72:73], v[78:79], v[110:111], v[82:83]
	v_add_f64 v[2:3], v[2:3], v[74:75]
	v_add_f64 v[68:69], v[68:69], v[70:71]
	;; [unrolled: 1-line block ×3, first 2 shown]
	s_waitcnt vmcnt(2)
	v_add_f64 v[68:69], v[114:115], -v[68:69]
	s_waitcnt vmcnt(0)
	v_add_f64 v[2:3], v[116:117], -v[2:3]
	buffer_store_dword v69, off, s[0:3], 0 offset:356
	buffer_store_dword v68, off, s[0:3], 0 offset:352
	;; [unrolled: 1-line block ×4, first 2 shown]
	v_cmpx_lt_u32_e32 20, v0
	s_cbranch_execz .LBB30_159
; %bb.158:
	v_mov_b32_e32 v2, s22
	s_clause 0x3
	buffer_load_dword v68, v2, s[0:3], 0 offen
	buffer_load_dword v69, v2, s[0:3], 0 offen offset:4
	buffer_load_dword v70, v2, s[0:3], 0 offen offset:8
	;; [unrolled: 1-line block ×3, first 2 shown]
	buffer_store_dword v1, off, s[0:3], 0 offset:336
	buffer_store_dword v1, off, s[0:3], 0 offset:340
	;; [unrolled: 1-line block ×4, first 2 shown]
	s_waitcnt vmcnt(0)
	ds_write_b128 v67, v[68:71]
.LBB30_159:
	s_or_b32 exec_lo, exec_lo, s4
	s_waitcnt lgkmcnt(0)
	s_waitcnt_vscnt null, 0x0
	s_barrier
	buffer_gl0_inv
	s_clause 0x2b
	buffer_load_dword v2, off, s[0:3], 0 offset:360
	buffer_load_dword v3, off, s[0:3], 0 offset:364
	;; [unrolled: 1-line block ×44, first 2 shown]
	ds_read_b128 v[68:71], v1 offset:832
	ds_read_b128 v[72:75], v1 offset:848
	;; [unrolled: 1-line block ×3, first 2 shown]
	s_mov_b32 s4, exec_lo
	s_waitcnt vmcnt(42) lgkmcnt(2)
	v_mul_f64 v[122:123], v[70:71], v[2:3]
	v_mul_f64 v[2:3], v[68:69], v[2:3]
	s_waitcnt vmcnt(40) lgkmcnt(1)
	v_mul_f64 v[124:125], v[74:75], v[80:81]
	v_mul_f64 v[80:81], v[72:73], v[80:81]
	s_waitcnt vmcnt(38)
	v_fma_f64 v[122:123], v[68:69], v[82:83], -v[122:123]
	v_fma_f64 v[2:3], v[70:71], v[82:83], v[2:3]
	ds_read_b128 v[68:71], v1 offset:880
	s_waitcnt vmcnt(36) lgkmcnt(1)
	v_mul_f64 v[82:83], v[76:77], v[84:85]
	v_mul_f64 v[84:85], v[78:79], v[84:85]
	s_waitcnt vmcnt(34)
	v_fma_f64 v[124:125], v[72:73], v[86:87], -v[124:125]
	v_fma_f64 v[80:81], v[74:75], v[86:87], v[80:81]
	ds_read_b128 v[72:75], v1 offset:896
	s_waitcnt vmcnt(30) lgkmcnt(1)
	v_mul_f64 v[86:87], v[68:69], v[88:89]
	v_add_f64 v[122:123], v[122:123], 0
	v_add_f64 v[2:3], v[2:3], 0
	v_mul_f64 v[88:89], v[70:71], v[88:89]
	s_waitcnt vmcnt(28)
	v_fma_f64 v[84:85], v[76:77], v[94:95], -v[84:85]
	v_fma_f64 v[82:83], v[78:79], v[94:95], v[82:83]
	ds_read_b128 v[76:79], v1 offset:912
	s_waitcnt vmcnt(25)
	v_fma_f64 v[86:87], v[70:71], v[96:97], v[86:87]
	v_add_f64 v[122:123], v[122:123], v[124:125]
	v_add_f64 v[2:3], v[2:3], v[80:81]
	s_waitcnt lgkmcnt(1)
	v_mul_f64 v[80:81], v[72:73], v[90:91]
	v_mul_f64 v[90:91], v[74:75], v[90:91]
	v_fma_f64 v[88:89], v[68:69], v[96:97], -v[88:89]
	s_waitcnt vmcnt(21) lgkmcnt(0)
	v_mul_f64 v[94:95], v[78:79], v[98:99]
	ds_read_b128 v[68:71], v1 offset:928
	v_add_f64 v[84:85], v[122:123], v[84:85]
	v_add_f64 v[2:3], v[2:3], v[82:83]
	v_mul_f64 v[82:83], v[76:77], v[98:99]
	s_waitcnt vmcnt(20)
	v_fma_f64 v[90:91], v[72:73], v[92:93], -v[90:91]
	v_fma_f64 v[80:81], v[74:75], v[92:93], v[80:81]
	ds_read_b128 v[72:75], v1 offset:944
	s_waitcnt vmcnt(17)
	v_fma_f64 v[92:93], v[76:77], v[104:105], -v[94:95]
	v_add_f64 v[84:85], v[84:85], v[88:89]
	v_add_f64 v[2:3], v[2:3], v[86:87]
	s_waitcnt lgkmcnt(1)
	v_mul_f64 v[88:89], v[70:71], v[100:101]
	v_mul_f64 v[86:87], v[68:69], v[100:101]
	v_fma_f64 v[82:83], v[78:79], v[104:105], v[82:83]
	ds_read_b128 v[76:79], v1 offset:960
	v_add_f64 v[84:85], v[84:85], v[90:91]
	v_add_f64 v[2:3], v[2:3], v[80:81]
	s_waitcnt vmcnt(13) lgkmcnt(1)
	v_mul_f64 v[90:91], v[74:75], v[106:107]
	s_waitcnt vmcnt(12)
	v_fma_f64 v[68:69], v[68:69], v[102:103], -v[88:89]
	v_mul_f64 v[80:81], v[72:73], v[106:107]
	v_fma_f64 v[70:71], v[70:71], v[102:103], v[86:87]
	s_waitcnt vmcnt(11) lgkmcnt(0)
	v_mul_f64 v[88:89], v[78:79], v[108:109]
	v_mul_f64 v[86:87], v[76:77], v[108:109]
	v_add_f64 v[84:85], v[84:85], v[92:93]
	v_add_f64 v[82:83], v[2:3], v[82:83]
	s_waitcnt vmcnt(9)
	v_fma_f64 v[72:73], v[72:73], v[112:113], -v[90:91]
	ds_read_b128 v[1:4], v1 offset:976
	v_fma_f64 v[74:75], v[74:75], v[112:113], v[80:81]
	s_waitcnt vmcnt(6)
	v_fma_f64 v[76:77], v[76:77], v[110:111], -v[88:89]
	v_add_f64 v[68:69], v[84:85], v[68:69]
	v_add_f64 v[70:71], v[82:83], v[70:71]
	s_waitcnt lgkmcnt(0)
	v_mul_f64 v[82:83], v[3:4], v[114:115]
	v_mul_f64 v[80:81], v[1:2], v[114:115]
	v_add_f64 v[68:69], v[68:69], v[72:73]
	v_fma_f64 v[72:73], v[78:79], v[110:111], v[86:87]
	v_add_f64 v[70:71], v[70:71], v[74:75]
	s_waitcnt vmcnt(4)
	v_fma_f64 v[1:2], v[1:2], v[116:117], -v[82:83]
	v_fma_f64 v[3:4], v[3:4], v[116:117], v[80:81]
	v_add_f64 v[68:69], v[68:69], v[76:77]
	v_add_f64 v[70:71], v[70:71], v[72:73]
	;; [unrolled: 1-line block ×4, first 2 shown]
	s_waitcnt vmcnt(2)
	v_add_f64 v[1:2], v[118:119], -v[1:2]
	s_waitcnt vmcnt(0)
	v_add_f64 v[3:4], v[120:121], -v[3:4]
	buffer_store_dword v2, off, s[0:3], 0 offset:340
	buffer_store_dword v1, off, s[0:3], 0 offset:336
	;; [unrolled: 1-line block ×4, first 2 shown]
	v_cmpx_lt_u32_e32 19, v0
	s_cbranch_execz .LBB30_161
; %bb.160:
	v_mov_b32_e32 v4, s23
	v_mov_b32_e32 v68, 0
	s_clause 0x3
	buffer_load_dword v1, v4, s[0:3], 0 offen
	buffer_load_dword v2, v4, s[0:3], 0 offen offset:4
	buffer_load_dword v3, v4, s[0:3], 0 offen offset:8
	;; [unrolled: 1-line block ×3, first 2 shown]
	buffer_store_dword v68, off, s[0:3], 0 offset:320
	buffer_store_dword v68, off, s[0:3], 0 offset:324
	;; [unrolled: 1-line block ×4, first 2 shown]
	s_waitcnt vmcnt(0)
	ds_write_b128 v67, v[1:4]
.LBB30_161:
	s_or_b32 exec_lo, exec_lo, s4
	s_waitcnt lgkmcnt(0)
	s_waitcnt_vscnt null, 0x0
	s_barrier
	buffer_gl0_inv
	s_clause 0x2f
	buffer_load_dword v2, off, s[0:3], 0 offset:344
	buffer_load_dword v3, off, s[0:3], 0 offset:348
	;; [unrolled: 1-line block ×48, first 2 shown]
	v_mov_b32_e32 v1, 0
	ds_read_b128 v[68:71], v1 offset:816
	ds_read_b128 v[72:75], v1 offset:832
	;; [unrolled: 1-line block ×3, first 2 shown]
	s_mov_b32 s4, exec_lo
	s_waitcnt vmcnt(46) lgkmcnt(2)
	v_mul_f64 v[126:127], v[70:71], v[2:3]
	v_mul_f64 v[2:3], v[68:69], v[2:3]
	s_waitcnt vmcnt(44) lgkmcnt(1)
	v_mul_f64 v[128:129], v[74:75], v[80:81]
	v_mul_f64 v[80:81], v[72:73], v[80:81]
	s_waitcnt vmcnt(42)
	v_fma_f64 v[126:127], v[68:69], v[82:83], -v[126:127]
	v_fma_f64 v[2:3], v[70:71], v[82:83], v[2:3]
	ds_read_b128 v[68:71], v1 offset:864
	s_waitcnt vmcnt(40) lgkmcnt(1)
	v_mul_f64 v[82:83], v[76:77], v[84:85]
	v_mul_f64 v[84:85], v[78:79], v[84:85]
	s_waitcnt vmcnt(38)
	v_fma_f64 v[128:129], v[72:73], v[86:87], -v[128:129]
	v_fma_f64 v[80:81], v[74:75], v[86:87], v[80:81]
	ds_read_b128 v[72:75], v1 offset:880
	s_waitcnt vmcnt(34) lgkmcnt(1)
	v_mul_f64 v[86:87], v[68:69], v[88:89]
	v_add_f64 v[126:127], v[126:127], 0
	v_add_f64 v[2:3], v[2:3], 0
	v_mul_f64 v[88:89], v[70:71], v[88:89]
	s_waitcnt vmcnt(32)
	v_fma_f64 v[84:85], v[76:77], v[94:95], -v[84:85]
	v_fma_f64 v[82:83], v[78:79], v[94:95], v[82:83]
	ds_read_b128 v[76:79], v1 offset:896
	s_waitcnt vmcnt(29)
	v_fma_f64 v[86:87], v[70:71], v[96:97], v[86:87]
	v_add_f64 v[126:127], v[126:127], v[128:129]
	v_add_f64 v[2:3], v[2:3], v[80:81]
	s_waitcnt lgkmcnt(1)
	v_mul_f64 v[80:81], v[72:73], v[90:91]
	v_mul_f64 v[90:91], v[74:75], v[90:91]
	v_fma_f64 v[88:89], v[68:69], v[96:97], -v[88:89]
	s_waitcnt vmcnt(25) lgkmcnt(0)
	v_mul_f64 v[94:95], v[78:79], v[98:99]
	ds_read_b128 v[68:71], v1 offset:912
	v_add_f64 v[84:85], v[126:127], v[84:85]
	v_add_f64 v[2:3], v[2:3], v[82:83]
	v_mul_f64 v[82:83], v[76:77], v[98:99]
	s_waitcnt vmcnt(24)
	v_fma_f64 v[90:91], v[72:73], v[92:93], -v[90:91]
	v_fma_f64 v[80:81], v[74:75], v[92:93], v[80:81]
	ds_read_b128 v[72:75], v1 offset:928
	s_waitcnt vmcnt(21)
	v_fma_f64 v[92:93], v[76:77], v[104:105], -v[94:95]
	v_add_f64 v[84:85], v[84:85], v[88:89]
	v_add_f64 v[2:3], v[2:3], v[86:87]
	s_waitcnt lgkmcnt(1)
	v_mul_f64 v[88:89], v[70:71], v[100:101]
	v_mul_f64 v[86:87], v[68:69], v[100:101]
	v_fma_f64 v[82:83], v[78:79], v[104:105], v[82:83]
	ds_read_b128 v[76:79], v1 offset:944
	v_add_f64 v[84:85], v[84:85], v[90:91]
	v_add_f64 v[2:3], v[2:3], v[80:81]
	s_waitcnt vmcnt(17) lgkmcnt(1)
	v_mul_f64 v[90:91], v[74:75], v[106:107]
	s_waitcnt vmcnt(16)
	v_fma_f64 v[88:89], v[68:69], v[102:103], -v[88:89]
	v_mul_f64 v[80:81], v[72:73], v[106:107]
	v_fma_f64 v[86:87], v[70:71], v[102:103], v[86:87]
	ds_read_b128 v[68:71], v1 offset:960
	v_add_f64 v[84:85], v[84:85], v[92:93]
	v_add_f64 v[2:3], v[2:3], v[82:83]
	s_waitcnt vmcnt(15) lgkmcnt(1)
	v_mul_f64 v[92:93], v[78:79], v[108:109]
	s_waitcnt vmcnt(13)
	v_fma_f64 v[90:91], v[72:73], v[112:113], -v[90:91]
	;; [unrolled: 9-line block ×3, first 2 shown]
	v_mul_f64 v[86:87], v[68:69], v[114:115]
	v_fma_f64 v[78:79], v[78:79], v[110:111], v[82:83]
	s_waitcnt vmcnt(7) lgkmcnt(0)
	v_mul_f64 v[82:83], v[74:75], v[116:117]
	v_add_f64 v[84:85], v[84:85], v[90:91]
	v_add_f64 v[2:3], v[2:3], v[80:81]
	s_waitcnt vmcnt(5)
	v_fma_f64 v[68:69], v[68:69], v[120:121], -v[88:89]
	v_mul_f64 v[80:81], v[72:73], v[116:117]
	v_fma_f64 v[70:71], v[70:71], v[120:121], v[86:87]
	s_waitcnt vmcnt(4)
	v_fma_f64 v[72:73], v[72:73], v[118:119], -v[82:83]
	v_add_f64 v[76:77], v[84:85], v[76:77]
	v_add_f64 v[2:3], v[2:3], v[78:79]
	v_fma_f64 v[74:75], v[74:75], v[118:119], v[80:81]
	v_add_f64 v[68:69], v[76:77], v[68:69]
	v_add_f64 v[2:3], v[2:3], v[70:71]
	;; [unrolled: 1-line block ×4, first 2 shown]
	s_waitcnt vmcnt(2)
	v_add_f64 v[68:69], v[122:123], -v[68:69]
	s_waitcnt vmcnt(0)
	v_add_f64 v[2:3], v[124:125], -v[2:3]
	buffer_store_dword v69, off, s[0:3], 0 offset:324
	buffer_store_dword v68, off, s[0:3], 0 offset:320
	;; [unrolled: 1-line block ×4, first 2 shown]
	v_cmpx_lt_u32_e32 18, v0
	s_cbranch_execz .LBB30_163
; %bb.162:
	v_mov_b32_e32 v2, s24
	s_clause 0x3
	buffer_load_dword v68, v2, s[0:3], 0 offen
	buffer_load_dword v69, v2, s[0:3], 0 offen offset:4
	buffer_load_dword v70, v2, s[0:3], 0 offen offset:8
	;; [unrolled: 1-line block ×3, first 2 shown]
	buffer_store_dword v1, off, s[0:3], 0 offset:304
	buffer_store_dword v1, off, s[0:3], 0 offset:308
	;; [unrolled: 1-line block ×4, first 2 shown]
	s_waitcnt vmcnt(0)
	ds_write_b128 v67, v[68:71]
.LBB30_163:
	s_or_b32 exec_lo, exec_lo, s4
	s_waitcnt lgkmcnt(0)
	s_waitcnt_vscnt null, 0x0
	s_barrier
	buffer_gl0_inv
	s_clause 0x2f
	buffer_load_dword v2, off, s[0:3], 0 offset:328
	buffer_load_dword v3, off, s[0:3], 0 offset:332
	;; [unrolled: 1-line block ×48, first 2 shown]
	ds_read_b128 v[68:71], v1 offset:800
	s_clause 0x3
	buffer_load_dword v126, off, s[0:3], 0 offset:304
	buffer_load_dword v127, off, s[0:3], 0 offset:308
	buffer_load_dword v128, off, s[0:3], 0 offset:312
	buffer_load_dword v129, off, s[0:3], 0 offset:316
	ds_read_b128 v[72:75], v1 offset:816
	ds_read_b128 v[76:79], v1 offset:832
	s_mov_b32 s4, exec_lo
	s_waitcnt vmcnt(50) lgkmcnt(2)
	v_mul_f64 v[130:131], v[70:71], v[2:3]
	v_mul_f64 v[2:3], v[68:69], v[2:3]
	s_waitcnt vmcnt(48) lgkmcnt(1)
	v_mul_f64 v[132:133], v[74:75], v[80:81]
	v_mul_f64 v[80:81], v[72:73], v[80:81]
	s_waitcnt vmcnt(46)
	v_fma_f64 v[130:131], v[68:69], v[82:83], -v[130:131]
	v_fma_f64 v[2:3], v[70:71], v[82:83], v[2:3]
	s_waitcnt vmcnt(44) lgkmcnt(0)
	v_mul_f64 v[82:83], v[76:77], v[84:85]
	v_mul_f64 v[84:85], v[78:79], v[84:85]
	s_waitcnt vmcnt(42)
	v_fma_f64 v[132:133], v[72:73], v[86:87], -v[132:133]
	ds_read_b128 v[68:71], v1 offset:848
	v_fma_f64 v[80:81], v[74:75], v[86:87], v[80:81]
	ds_read_b128 v[72:75], v1 offset:864
	v_add_f64 v[130:131], v[130:131], 0
	v_add_f64 v[2:3], v[2:3], 0
	s_waitcnt vmcnt(36)
	v_fma_f64 v[82:83], v[78:79], v[94:95], v[82:83]
	s_waitcnt lgkmcnt(1)
	v_mul_f64 v[86:87], v[68:69], v[88:89]
	v_mul_f64 v[88:89], v[70:71], v[88:89]
	v_fma_f64 v[84:85], v[76:77], v[94:95], -v[84:85]
	ds_read_b128 v[76:79], v1 offset:880
	v_add_f64 v[130:131], v[130:131], v[132:133]
	v_add_f64 v[2:3], v[2:3], v[80:81]
	s_waitcnt vmcnt(35) lgkmcnt(1)
	v_mul_f64 v[80:81], v[72:73], v[90:91]
	v_mul_f64 v[90:91], v[74:75], v[90:91]
	s_waitcnt vmcnt(33)
	v_fma_f64 v[88:89], v[68:69], v[96:97], -v[88:89]
	v_fma_f64 v[86:87], v[70:71], v[96:97], v[86:87]
	ds_read_b128 v[68:71], v1 offset:896
	s_waitcnt vmcnt(29) lgkmcnt(1)
	v_mul_f64 v[94:95], v[78:79], v[98:99]
	v_add_f64 v[84:85], v[130:131], v[84:85]
	v_add_f64 v[2:3], v[2:3], v[82:83]
	v_mul_f64 v[82:83], v[76:77], v[98:99]
	s_waitcnt vmcnt(28)
	v_fma_f64 v[90:91], v[72:73], v[92:93], -v[90:91]
	v_fma_f64 v[80:81], v[74:75], v[92:93], v[80:81]
	ds_read_b128 v[72:75], v1 offset:912
	s_waitcnt vmcnt(25)
	v_fma_f64 v[92:93], v[76:77], v[104:105], -v[94:95]
	v_add_f64 v[84:85], v[84:85], v[88:89]
	v_add_f64 v[2:3], v[2:3], v[86:87]
	s_waitcnt lgkmcnt(1)
	v_mul_f64 v[88:89], v[70:71], v[100:101]
	v_mul_f64 v[86:87], v[68:69], v[100:101]
	v_fma_f64 v[82:83], v[78:79], v[104:105], v[82:83]
	ds_read_b128 v[76:79], v1 offset:928
	v_add_f64 v[84:85], v[84:85], v[90:91]
	v_add_f64 v[2:3], v[2:3], v[80:81]
	s_waitcnt vmcnt(21) lgkmcnt(1)
	v_mul_f64 v[90:91], v[74:75], v[106:107]
	s_waitcnt vmcnt(20)
	v_fma_f64 v[88:89], v[68:69], v[102:103], -v[88:89]
	v_mul_f64 v[80:81], v[72:73], v[106:107]
	v_fma_f64 v[86:87], v[70:71], v[102:103], v[86:87]
	ds_read_b128 v[68:71], v1 offset:944
	v_add_f64 v[84:85], v[84:85], v[92:93]
	v_add_f64 v[2:3], v[2:3], v[82:83]
	s_waitcnt vmcnt(19) lgkmcnt(1)
	v_mul_f64 v[92:93], v[78:79], v[108:109]
	s_waitcnt vmcnt(17)
	v_fma_f64 v[90:91], v[72:73], v[112:113], -v[90:91]
	;; [unrolled: 9-line block ×3, first 2 shown]
	v_mul_f64 v[86:87], v[68:69], v[114:115]
	v_fma_f64 v[78:79], v[78:79], v[110:111], v[82:83]
	s_waitcnt vmcnt(11) lgkmcnt(0)
	v_mul_f64 v[82:83], v[72:73], v[116:117]
	v_add_f64 v[84:85], v[84:85], v[90:91]
	v_add_f64 v[80:81], v[2:3], v[80:81]
	v_mul_f64 v[90:91], v[74:75], v[116:117]
	s_waitcnt vmcnt(9)
	v_fma_f64 v[68:69], v[68:69], v[120:121], -v[88:89]
	ds_read_b128 v[1:4], v1 offset:976
	v_fma_f64 v[70:71], v[70:71], v[120:121], v[86:87]
	s_waitcnt vmcnt(6)
	v_fma_f64 v[74:75], v[74:75], v[118:119], v[82:83]
	v_add_f64 v[76:77], v[84:85], v[76:77]
	v_add_f64 v[78:79], v[80:81], v[78:79]
	s_waitcnt lgkmcnt(0)
	v_mul_f64 v[84:85], v[3:4], v[122:123]
	v_fma_f64 v[72:73], v[72:73], v[118:119], -v[90:91]
	v_mul_f64 v[80:81], v[1:2], v[122:123]
	v_add_f64 v[68:69], v[76:77], v[68:69]
	v_add_f64 v[70:71], v[78:79], v[70:71]
	s_waitcnt vmcnt(4)
	v_fma_f64 v[1:2], v[1:2], v[124:125], -v[84:85]
	v_fma_f64 v[3:4], v[3:4], v[124:125], v[80:81]
	v_add_f64 v[68:69], v[68:69], v[72:73]
	v_add_f64 v[70:71], v[70:71], v[74:75]
	;; [unrolled: 1-line block ×4, first 2 shown]
	s_waitcnt vmcnt(2)
	v_add_f64 v[1:2], v[126:127], -v[1:2]
	s_waitcnt vmcnt(0)
	v_add_f64 v[3:4], v[128:129], -v[3:4]
	buffer_store_dword v2, off, s[0:3], 0 offset:308
	buffer_store_dword v1, off, s[0:3], 0 offset:304
	;; [unrolled: 1-line block ×4, first 2 shown]
	v_cmpx_lt_u32_e32 17, v0
	s_cbranch_execz .LBB30_165
; %bb.164:
	v_mov_b32_e32 v4, s25
	v_mov_b32_e32 v68, 0
	s_clause 0x3
	buffer_load_dword v1, v4, s[0:3], 0 offen
	buffer_load_dword v2, v4, s[0:3], 0 offen offset:4
	buffer_load_dword v3, v4, s[0:3], 0 offen offset:8
	;; [unrolled: 1-line block ×3, first 2 shown]
	buffer_store_dword v68, off, s[0:3], 0 offset:288
	buffer_store_dword v68, off, s[0:3], 0 offset:292
	;; [unrolled: 1-line block ×4, first 2 shown]
	s_waitcnt vmcnt(0)
	ds_write_b128 v67, v[1:4]
.LBB30_165:
	s_or_b32 exec_lo, exec_lo, s4
	s_waitcnt lgkmcnt(0)
	s_waitcnt_vscnt null, 0x0
	s_barrier
	buffer_gl0_inv
	s_clause 0x33
	buffer_load_dword v2, off, s[0:3], 0 offset:312
	buffer_load_dword v3, off, s[0:3], 0 offset:316
	;; [unrolled: 1-line block ×52, first 2 shown]
	v_mov_b32_e32 v1, 0
	ds_read_b128 v[68:71], v1 offset:784
	ds_read_b128 v[72:75], v1 offset:800
	s_clause 0x3
	buffer_load_dword v132, off, s[0:3], 0 offset:288
	buffer_load_dword v133, off, s[0:3], 0 offset:292
	;; [unrolled: 1-line block ×4, first 2 shown]
	ds_read_b128 v[76:79], v1 offset:816
	s_mov_b32 s4, exec_lo
	s_waitcnt vmcnt(54) lgkmcnt(2)
	v_mul_f64 v[130:131], v[70:71], v[2:3]
	v_mul_f64 v[2:3], v[68:69], v[2:3]
	s_waitcnt vmcnt(52) lgkmcnt(1)
	v_mul_f64 v[136:137], v[74:75], v[80:81]
	v_mul_f64 v[80:81], v[72:73], v[80:81]
	s_waitcnt vmcnt(50)
	v_fma_f64 v[130:131], v[68:69], v[82:83], -v[130:131]
	v_fma_f64 v[2:3], v[70:71], v[82:83], v[2:3]
	ds_read_b128 v[68:71], v1 offset:832
	s_waitcnt vmcnt(48) lgkmcnt(1)
	v_mul_f64 v[82:83], v[76:77], v[84:85]
	v_mul_f64 v[84:85], v[78:79], v[84:85]
	s_waitcnt vmcnt(46)
	v_fma_f64 v[136:137], v[72:73], v[86:87], -v[136:137]
	v_fma_f64 v[80:81], v[74:75], v[86:87], v[80:81]
	ds_read_b128 v[72:75], v1 offset:848
	s_waitcnt vmcnt(42) lgkmcnt(1)
	v_mul_f64 v[86:87], v[68:69], v[88:89]
	v_add_f64 v[130:131], v[130:131], 0
	v_add_f64 v[2:3], v[2:3], 0
	v_mul_f64 v[88:89], v[70:71], v[88:89]
	s_waitcnt vmcnt(40)
	v_fma_f64 v[84:85], v[76:77], v[94:95], -v[84:85]
	v_fma_f64 v[82:83], v[78:79], v[94:95], v[82:83]
	ds_read_b128 v[76:79], v1 offset:864
	s_waitcnt vmcnt(37)
	v_fma_f64 v[86:87], v[70:71], v[96:97], v[86:87]
	v_add_f64 v[130:131], v[130:131], v[136:137]
	v_add_f64 v[2:3], v[2:3], v[80:81]
	s_waitcnt lgkmcnt(1)
	v_mul_f64 v[80:81], v[72:73], v[90:91]
	v_mul_f64 v[90:91], v[74:75], v[90:91]
	v_fma_f64 v[88:89], v[68:69], v[96:97], -v[88:89]
	s_waitcnt vmcnt(33) lgkmcnt(0)
	v_mul_f64 v[94:95], v[78:79], v[98:99]
	ds_read_b128 v[68:71], v1 offset:880
	v_add_f64 v[84:85], v[130:131], v[84:85]
	v_add_f64 v[2:3], v[2:3], v[82:83]
	v_mul_f64 v[82:83], v[76:77], v[98:99]
	s_waitcnt vmcnt(32)
	v_fma_f64 v[90:91], v[72:73], v[92:93], -v[90:91]
	v_fma_f64 v[80:81], v[74:75], v[92:93], v[80:81]
	ds_read_b128 v[72:75], v1 offset:896
	s_waitcnt vmcnt(29)
	v_fma_f64 v[92:93], v[76:77], v[104:105], -v[94:95]
	v_add_f64 v[84:85], v[84:85], v[88:89]
	v_add_f64 v[2:3], v[2:3], v[86:87]
	s_waitcnt lgkmcnt(1)
	v_mul_f64 v[88:89], v[70:71], v[100:101]
	v_mul_f64 v[86:87], v[68:69], v[100:101]
	v_fma_f64 v[82:83], v[78:79], v[104:105], v[82:83]
	ds_read_b128 v[76:79], v1 offset:912
	v_add_f64 v[84:85], v[84:85], v[90:91]
	v_add_f64 v[2:3], v[2:3], v[80:81]
	s_waitcnt vmcnt(25) lgkmcnt(1)
	v_mul_f64 v[90:91], v[74:75], v[106:107]
	s_waitcnt vmcnt(24)
	v_fma_f64 v[88:89], v[68:69], v[102:103], -v[88:89]
	v_mul_f64 v[80:81], v[72:73], v[106:107]
	v_fma_f64 v[86:87], v[70:71], v[102:103], v[86:87]
	ds_read_b128 v[68:71], v1 offset:928
	v_add_f64 v[84:85], v[84:85], v[92:93]
	v_add_f64 v[2:3], v[2:3], v[82:83]
	s_waitcnt vmcnt(23) lgkmcnt(1)
	v_mul_f64 v[92:93], v[78:79], v[108:109]
	s_waitcnt vmcnt(21)
	v_fma_f64 v[90:91], v[72:73], v[112:113], -v[90:91]
	;; [unrolled: 9-line block ×5, first 2 shown]
	v_mul_f64 v[82:83], v[76:77], v[122:123]
	v_fma_f64 v[74:75], v[74:75], v[118:119], v[80:81]
	s_waitcnt vmcnt(7) lgkmcnt(0)
	v_mul_f64 v[80:81], v[68:69], v[124:125]
	v_add_f64 v[84:85], v[84:85], v[88:89]
	v_add_f64 v[2:3], v[2:3], v[86:87]
	v_mul_f64 v[86:87], v[70:71], v[124:125]
	s_waitcnt vmcnt(5)
	v_fma_f64 v[76:77], v[76:77], v[128:129], -v[92:93]
	v_fma_f64 v[78:79], v[78:79], v[128:129], v[82:83]
	s_waitcnt vmcnt(4)
	v_fma_f64 v[70:71], v[70:71], v[126:127], v[80:81]
	v_add_f64 v[72:73], v[84:85], v[72:73]
	v_add_f64 v[2:3], v[2:3], v[74:75]
	v_fma_f64 v[68:69], v[68:69], v[126:127], -v[86:87]
	v_add_f64 v[72:73], v[72:73], v[76:77]
	v_add_f64 v[2:3], v[2:3], v[78:79]
	;; [unrolled: 1-line block ×4, first 2 shown]
	s_waitcnt vmcnt(2)
	v_add_f64 v[68:69], v[132:133], -v[68:69]
	s_waitcnt vmcnt(0)
	v_add_f64 v[2:3], v[134:135], -v[2:3]
	buffer_store_dword v69, off, s[0:3], 0 offset:292
	buffer_store_dword v68, off, s[0:3], 0 offset:288
	;; [unrolled: 1-line block ×4, first 2 shown]
	v_cmpx_lt_u32_e32 16, v0
	s_cbranch_execz .LBB30_167
; %bb.166:
	v_mov_b32_e32 v2, s26
	s_clause 0x3
	buffer_load_dword v68, v2, s[0:3], 0 offen
	buffer_load_dword v69, v2, s[0:3], 0 offen offset:4
	buffer_load_dword v70, v2, s[0:3], 0 offen offset:8
	;; [unrolled: 1-line block ×3, first 2 shown]
	buffer_store_dword v1, off, s[0:3], 0 offset:272
	buffer_store_dword v1, off, s[0:3], 0 offset:276
	;; [unrolled: 1-line block ×4, first 2 shown]
	s_waitcnt vmcnt(0)
	ds_write_b128 v67, v[68:71]
.LBB30_167:
	s_or_b32 exec_lo, exec_lo, s4
	s_waitcnt lgkmcnt(0)
	s_waitcnt_vscnt null, 0x0
	s_barrier
	buffer_gl0_inv
	s_clause 0x35
	buffer_load_dword v2, off, s[0:3], 0 offset:296
	buffer_load_dword v3, off, s[0:3], 0 offset:300
	;; [unrolled: 1-line block ×54, first 2 shown]
	ds_read_b128 v[68:71], v1 offset:768
	s_clause 0x1
	buffer_load_dword v133, off, s[0:3], 0 offset:500
	buffer_load_dword v132, off, s[0:3], 0 offset:496
	ds_read_b128 v[72:75], v1 offset:784
	ds_read_b128 v[76:79], v1 offset:800
	s_mov_b32 s4, exec_lo
	s_waitcnt vmcnt(54) lgkmcnt(2)
	v_mul_f64 v[134:135], v[70:71], v[2:3]
	v_mul_f64 v[2:3], v[68:69], v[2:3]
	s_waitcnt vmcnt(52) lgkmcnt(1)
	v_mul_f64 v[136:137], v[74:75], v[80:81]
	v_mul_f64 v[80:81], v[72:73], v[80:81]
	;; [unrolled: 3-line block ×3, first 2 shown]
	v_fma_f64 v[134:135], v[68:69], v[82:83], -v[134:135]
	v_fma_f64 v[2:3], v[70:71], v[82:83], v[2:3]
	s_clause 0x3
	buffer_load_dword v82, off, s[0:3], 0 offset:272
	buffer_load_dword v83, off, s[0:3], 0 offset:276
	;; [unrolled: 1-line block ×4, first 2 shown]
	s_waitcnt vmcnt(50)
	v_fma_f64 v[136:137], v[72:73], v[86:87], -v[136:137]
	ds_read_b128 v[68:71], v1 offset:816
	v_fma_f64 v[80:81], v[74:75], v[86:87], v[80:81]
	ds_read_b128 v[72:75], v1 offset:832
	s_waitcnt vmcnt(44)
	v_fma_f64 v[84:85], v[76:77], v[94:95], -v[84:85]
	v_fma_f64 v[94:95], v[78:79], v[94:95], v[140:141]
	ds_read_b128 v[76:79], v1 offset:848
	v_add_f64 v[134:135], v[134:135], 0
	v_add_f64 v[2:3], v[2:3], 0
	s_waitcnt lgkmcnt(2)
	v_mul_f64 v[86:87], v[68:69], v[88:89]
	v_mul_f64 v[88:89], v[70:71], v[88:89]
	v_add_f64 v[134:135], v[134:135], v[136:137]
	v_add_f64 v[2:3], v[2:3], v[80:81]
	s_waitcnt vmcnt(43) lgkmcnt(1)
	v_mul_f64 v[80:81], v[72:73], v[90:91]
	v_mul_f64 v[90:91], v[74:75], v[90:91]
	s_waitcnt vmcnt(41)
	v_fma_f64 v[88:89], v[68:69], v[96:97], -v[88:89]
	v_fma_f64 v[86:87], v[70:71], v[96:97], v[86:87]
	ds_read_b128 v[68:71], v1 offset:864
	s_waitcnt vmcnt(37) lgkmcnt(1)
	v_mul_f64 v[96:97], v[78:79], v[98:99]
	v_add_f64 v[84:85], v[134:135], v[84:85]
	v_add_f64 v[2:3], v[2:3], v[94:95]
	v_mul_f64 v[94:95], v[76:77], v[98:99]
	s_waitcnt vmcnt(36)
	v_fma_f64 v[90:91], v[72:73], v[92:93], -v[90:91]
	v_fma_f64 v[80:81], v[74:75], v[92:93], v[80:81]
	ds_read_b128 v[72:75], v1 offset:880
	s_waitcnt vmcnt(33)
	v_fma_f64 v[92:93], v[76:77], v[104:105], -v[96:97]
	v_add_f64 v[84:85], v[84:85], v[88:89]
	v_add_f64 v[2:3], v[2:3], v[86:87]
	s_waitcnt lgkmcnt(1)
	v_mul_f64 v[88:89], v[70:71], v[100:101]
	v_mul_f64 v[86:87], v[68:69], v[100:101]
	v_add_f64 v[84:85], v[84:85], v[90:91]
	v_fma_f64 v[90:91], v[78:79], v[104:105], v[94:95]
	v_add_f64 v[2:3], v[2:3], v[80:81]
	ds_read_b128 v[76:79], v1 offset:896
	s_waitcnt vmcnt(29) lgkmcnt(1)
	v_mul_f64 v[94:95], v[74:75], v[106:107]
	s_waitcnt vmcnt(28)
	v_fma_f64 v[88:89], v[68:69], v[102:103], -v[88:89]
	v_mul_f64 v[80:81], v[72:73], v[106:107]
	v_fma_f64 v[86:87], v[70:71], v[102:103], v[86:87]
	ds_read_b128 v[68:71], v1 offset:912
	v_add_f64 v[84:85], v[84:85], v[92:93]
	s_waitcnt vmcnt(27) lgkmcnt(1)
	v_mul_f64 v[92:93], v[78:79], v[108:109]
	v_add_f64 v[2:3], v[2:3], v[90:91]
	v_mul_f64 v[90:91], v[76:77], v[108:109]
	s_waitcnt vmcnt(25)
	v_fma_f64 v[94:95], v[72:73], v[112:113], -v[94:95]
	v_fma_f64 v[80:81], v[74:75], v[112:113], v[80:81]
	ds_read_b128 v[72:75], v1 offset:928
	v_add_f64 v[84:85], v[84:85], v[88:89]
	s_waitcnt vmcnt(21) lgkmcnt(1)
	v_mul_f64 v[88:89], v[70:71], v[114:115]
	v_add_f64 v[2:3], v[2:3], v[86:87]
	s_waitcnt vmcnt(20)
	v_fma_f64 v[92:93], v[76:77], v[110:111], -v[92:93]
	v_mul_f64 v[86:87], v[68:69], v[114:115]
	v_fma_f64 v[90:91], v[78:79], v[110:111], v[90:91]
	ds_read_b128 v[76:79], v1 offset:944
	v_add_f64 v[84:85], v[84:85], v[94:95]
	s_waitcnt vmcnt(19) lgkmcnt(1)
	v_mul_f64 v[94:95], v[74:75], v[116:117]
	v_add_f64 v[2:3], v[2:3], v[80:81]
	s_waitcnt vmcnt(17)
	v_fma_f64 v[88:89], v[68:69], v[120:121], -v[88:89]
	v_mul_f64 v[80:81], v[72:73], v[116:117]
	v_fma_f64 v[86:87], v[70:71], v[120:121], v[86:87]
	ds_read_b128 v[68:71], v1 offset:960
	v_add_f64 v[84:85], v[84:85], v[92:93]
	s_waitcnt vmcnt(13) lgkmcnt(1)
	v_mul_f64 v[92:93], v[78:79], v[122:123]
	v_add_f64 v[2:3], v[2:3], v[90:91]
	s_waitcnt vmcnt(12)
	v_fma_f64 v[72:73], v[72:73], v[118:119], -v[94:95]
	v_mul_f64 v[90:91], v[76:77], v[122:123]
	v_fma_f64 v[74:75], v[74:75], v[118:119], v[80:81]
	v_add_f64 v[84:85], v[84:85], v[88:89]
	s_waitcnt vmcnt(11) lgkmcnt(0)
	v_mul_f64 v[88:89], v[70:71], v[124:125]
	v_add_f64 v[80:81], v[2:3], v[86:87]
	s_waitcnt vmcnt(9)
	v_fma_f64 v[76:77], v[76:77], v[128:129], -v[92:93]
	ds_read_b128 v[1:4], v1 offset:976
	v_mul_f64 v[86:87], v[68:69], v[124:125]
	v_fma_f64 v[78:79], v[78:79], v[128:129], v[90:91]
	v_add_f64 v[72:73], v[84:85], v[72:73]
	s_waitcnt vmcnt(6)
	v_fma_f64 v[68:69], v[68:69], v[126:127], -v[88:89]
	v_add_f64 v[74:75], v[80:81], v[74:75]
	s_waitcnt lgkmcnt(0)
	v_mul_f64 v[84:85], v[3:4], v[130:131]
	v_mul_f64 v[80:81], v[1:2], v[130:131]
	v_fma_f64 v[70:71], v[70:71], v[126:127], v[86:87]
	v_add_f64 v[72:73], v[72:73], v[76:77]
	v_add_f64 v[74:75], v[74:75], v[78:79]
	s_waitcnt vmcnt(4)
	v_fma_f64 v[1:2], v[1:2], v[132:133], -v[84:85]
	v_fma_f64 v[3:4], v[3:4], v[132:133], v[80:81]
	v_add_f64 v[68:69], v[72:73], v[68:69]
	v_add_f64 v[70:71], v[74:75], v[70:71]
	;; [unrolled: 1-line block ×4, first 2 shown]
	s_waitcnt vmcnt(2)
	v_add_f64 v[1:2], v[82:83], -v[1:2]
	s_waitcnt vmcnt(0)
	v_add_f64 v[3:4], v[138:139], -v[3:4]
	buffer_store_dword v2, off, s[0:3], 0 offset:276
	buffer_store_dword v1, off, s[0:3], 0 offset:272
	;; [unrolled: 1-line block ×4, first 2 shown]
	v_cmpx_lt_u32_e32 15, v0
	s_cbranch_execz .LBB30_169
; %bb.168:
	v_mov_b32_e32 v4, s27
	v_mov_b32_e32 v68, 0
	s_clause 0x3
	buffer_load_dword v1, v4, s[0:3], 0 offen
	buffer_load_dword v2, v4, s[0:3], 0 offen offset:4
	buffer_load_dword v3, v4, s[0:3], 0 offen offset:8
	buffer_load_dword v4, v4, s[0:3], 0 offen offset:12
	buffer_store_dword v68, off, s[0:3], 0 offset:256
	buffer_store_dword v68, off, s[0:3], 0 offset:260
	;; [unrolled: 1-line block ×4, first 2 shown]
	s_waitcnt vmcnt(0)
	ds_write_b128 v67, v[1:4]
.LBB30_169:
	s_or_b32 exec_lo, exec_lo, s4
	s_waitcnt lgkmcnt(0)
	s_waitcnt_vscnt null, 0x0
	s_barrier
	buffer_gl0_inv
	s_clause 0x35
	buffer_load_dword v2, off, s[0:3], 0 offset:280
	buffer_load_dword v3, off, s[0:3], 0 offset:284
	;; [unrolled: 1-line block ×54, first 2 shown]
	v_mov_b32_e32 v1, 0
	s_mov_b32 s4, exec_lo
	ds_read_b128 v[68:71], v1 offset:752
	s_clause 0x3
	buffer_load_dword v132, off, s[0:3], 0 offset:504
	buffer_load_dword v133, off, s[0:3], 0 offset:508
	;; [unrolled: 1-line block ×4, first 2 shown]
	ds_read_b128 v[72:75], v1 offset:768
	s_clause 0x1
	buffer_load_dword v138, off, s[0:3], 0 offset:496
	buffer_load_dword v139, off, s[0:3], 0 offset:500
	ds_read_b128 v[76:79], v1 offset:784
	s_waitcnt vmcnt(58) lgkmcnt(2)
	v_mul_f64 v[136:137], v[70:71], v[2:3]
	v_mul_f64 v[2:3], v[68:69], v[2:3]
	s_waitcnt vmcnt(56) lgkmcnt(1)
	v_mul_f64 v[140:141], v[74:75], v[80:81]
	v_mul_f64 v[80:81], v[72:73], v[80:81]
	s_waitcnt vmcnt(54)
	v_fma_f64 v[136:137], v[68:69], v[82:83], -v[136:137]
	v_fma_f64 v[2:3], v[70:71], v[82:83], v[2:3]
	ds_read_b128 v[68:71], v1 offset:800
	s_waitcnt vmcnt(52) lgkmcnt(1)
	v_mul_f64 v[82:83], v[76:77], v[84:85]
	v_mul_f64 v[84:85], v[78:79], v[84:85]
	s_waitcnt vmcnt(50)
	v_fma_f64 v[140:141], v[72:73], v[86:87], -v[140:141]
	v_fma_f64 v[80:81], v[74:75], v[86:87], v[80:81]
	s_clause 0x3
	buffer_load_dword v86, off, s[0:3], 0 offset:256
	buffer_load_dword v87, off, s[0:3], 0 offset:260
	;; [unrolled: 1-line block ×4, first 2 shown]
	ds_read_b128 v[72:75], v1 offset:816
	s_waitcnt vmcnt(52) lgkmcnt(1)
	v_mul_f64 v[144:145], v[68:69], v[88:89]
	v_add_f64 v[136:137], v[136:137], 0
	v_add_f64 v[2:3], v[2:3], 0
	v_mul_f64 v[88:89], v[70:71], v[88:89]
	s_waitcnt vmcnt(50)
	v_fma_f64 v[84:85], v[76:77], v[90:91], -v[84:85]
	v_fma_f64 v[82:83], v[78:79], v[90:91], v[82:83]
	ds_read_b128 v[76:79], v1 offset:832
	s_waitcnt vmcnt(48) lgkmcnt(1)
	v_mul_f64 v[90:91], v[74:75], v[92:93]
	v_add_f64 v[136:137], v[136:137], v[140:141]
	v_add_f64 v[2:3], v[2:3], v[80:81]
	s_waitcnt vmcnt(46)
	v_fma_f64 v[88:89], v[68:69], v[94:95], -v[88:89]
	v_mul_f64 v[80:81], v[72:73], v[92:93]
	v_fma_f64 v[92:93], v[70:71], v[94:95], v[144:145]
	s_waitcnt vmcnt(44) lgkmcnt(0)
	v_mul_f64 v[94:95], v[78:79], v[96:97]
	s_waitcnt vmcnt(42)
	v_fma_f64 v[90:91], v[72:73], v[98:99], -v[90:91]
	ds_read_b128 v[68:71], v1 offset:848
	v_add_f64 v[84:85], v[136:137], v[84:85]
	v_add_f64 v[2:3], v[2:3], v[82:83]
	v_mul_f64 v[82:83], v[76:77], v[96:97]
	v_fma_f64 v[80:81], v[74:75], v[98:99], v[80:81]
	ds_read_b128 v[72:75], v1 offset:864
	s_waitcnt vmcnt(38)
	v_fma_f64 v[94:95], v[76:77], v[102:103], -v[94:95]
	v_add_f64 v[84:85], v[84:85], v[88:89]
	v_add_f64 v[2:3], v[2:3], v[92:93]
	s_waitcnt lgkmcnt(1)
	v_mul_f64 v[92:93], v[70:71], v[100:101]
	v_mul_f64 v[88:89], v[68:69], v[100:101]
	v_fma_f64 v[82:83], v[78:79], v[102:103], v[82:83]
	ds_read_b128 v[76:79], v1 offset:880
	v_add_f64 v[84:85], v[84:85], v[90:91]
	v_add_f64 v[2:3], v[2:3], v[80:81]
	s_waitcnt vmcnt(36) lgkmcnt(1)
	v_mul_f64 v[90:91], v[74:75], v[104:105]
	s_waitcnt vmcnt(34)
	v_fma_f64 v[92:93], v[68:69], v[106:107], -v[92:93]
	v_mul_f64 v[80:81], v[72:73], v[104:105]
	v_fma_f64 v[88:89], v[70:71], v[106:107], v[88:89]
	ds_read_b128 v[68:71], v1 offset:896
	v_add_f64 v[84:85], v[84:85], v[94:95]
	v_add_f64 v[2:3], v[2:3], v[82:83]
	s_waitcnt vmcnt(32) lgkmcnt(1)
	v_mul_f64 v[94:95], v[78:79], v[108:109]
	s_waitcnt vmcnt(30)
	v_fma_f64 v[90:91], v[72:73], v[110:111], -v[90:91]
	v_mul_f64 v[82:83], v[76:77], v[108:109]
	v_fma_f64 v[80:81], v[74:75], v[110:111], v[80:81]
	ds_read_b128 v[72:75], v1 offset:912
	v_add_f64 v[84:85], v[84:85], v[92:93]
	v_add_f64 v[2:3], v[2:3], v[88:89]
	s_waitcnt vmcnt(28) lgkmcnt(1)
	v_mul_f64 v[92:93], v[70:71], v[112:113]
	s_waitcnt vmcnt(26)
	v_fma_f64 v[94:95], v[76:77], v[114:115], -v[94:95]
	v_mul_f64 v[88:89], v[68:69], v[112:113]
	v_fma_f64 v[82:83], v[78:79], v[114:115], v[82:83]
	ds_read_b128 v[76:79], v1 offset:928
	v_add_f64 v[84:85], v[84:85], v[90:91]
	v_add_f64 v[2:3], v[2:3], v[80:81]
	s_waitcnt vmcnt(24) lgkmcnt(1)
	v_mul_f64 v[90:91], v[74:75], v[116:117]
	s_waitcnt vmcnt(22)
	v_fma_f64 v[92:93], v[68:69], v[118:119], -v[92:93]
	v_mul_f64 v[80:81], v[72:73], v[116:117]
	v_fma_f64 v[88:89], v[70:71], v[118:119], v[88:89]
	ds_read_b128 v[68:71], v1 offset:944
	v_add_f64 v[84:85], v[84:85], v[94:95]
	v_add_f64 v[2:3], v[2:3], v[82:83]
	s_waitcnt vmcnt(20) lgkmcnt(1)
	v_mul_f64 v[94:95], v[78:79], v[120:121]
	s_waitcnt vmcnt(18)
	v_fma_f64 v[90:91], v[72:73], v[122:123], -v[90:91]
	v_mul_f64 v[82:83], v[76:77], v[120:121]
	v_fma_f64 v[80:81], v[74:75], v[122:123], v[80:81]
	ds_read_b128 v[72:75], v1 offset:960
	v_add_f64 v[84:85], v[84:85], v[92:93]
	v_add_f64 v[2:3], v[2:3], v[88:89]
	s_waitcnt vmcnt(16) lgkmcnt(1)
	v_mul_f64 v[92:93], v[70:71], v[124:125]
	s_waitcnt vmcnt(14)
	v_fma_f64 v[94:95], v[76:77], v[126:127], -v[94:95]
	v_mul_f64 v[88:89], v[68:69], v[124:125]
	v_fma_f64 v[82:83], v[78:79], v[126:127], v[82:83]
	ds_read_b128 v[76:79], v1 offset:976
	v_add_f64 v[84:85], v[84:85], v[90:91]
	v_add_f64 v[2:3], v[2:3], v[80:81]
	s_waitcnt vmcnt(12) lgkmcnt(1)
	v_mul_f64 v[90:91], v[74:75], v[128:129]
	s_waitcnt vmcnt(10)
	v_fma_f64 v[68:69], v[68:69], v[130:131], -v[92:93]
	v_mul_f64 v[80:81], v[72:73], v[128:129]
	v_fma_f64 v[70:71], v[70:71], v[130:131], v[88:89]
	s_waitcnt vmcnt(8) lgkmcnt(0)
	v_mul_f64 v[88:89], v[78:79], v[132:133]
	v_add_f64 v[84:85], v[84:85], v[94:95]
	v_add_f64 v[2:3], v[2:3], v[82:83]
	s_waitcnt vmcnt(6)
	v_fma_f64 v[72:73], v[72:73], v[134:135], -v[90:91]
	v_mul_f64 v[82:83], v[76:77], v[132:133]
	v_fma_f64 v[74:75], v[74:75], v[134:135], v[80:81]
	v_add_f64 v[68:69], v[84:85], v[68:69]
	v_add_f64 v[2:3], v[2:3], v[70:71]
	s_waitcnt vmcnt(4)
	v_fma_f64 v[70:71], v[76:77], v[138:139], -v[88:89]
	v_add_f64 v[68:69], v[68:69], v[72:73]
	v_fma_f64 v[72:73], v[78:79], v[138:139], v[82:83]
	v_add_f64 v[2:3], v[2:3], v[74:75]
	v_add_f64 v[68:69], v[68:69], v[70:71]
	;; [unrolled: 1-line block ×3, first 2 shown]
	s_waitcnt vmcnt(2)
	v_add_f64 v[68:69], v[86:87], -v[68:69]
	s_waitcnt vmcnt(0)
	v_add_f64 v[2:3], v[142:143], -v[2:3]
	buffer_store_dword v69, off, s[0:3], 0 offset:260
	buffer_store_dword v68, off, s[0:3], 0 offset:256
	;; [unrolled: 1-line block ×4, first 2 shown]
	v_cmpx_lt_u32_e32 14, v0
	s_cbranch_execz .LBB30_171
; %bb.170:
	v_mov_b32_e32 v2, s28
	s_clause 0x3
	buffer_load_dword v68, v2, s[0:3], 0 offen
	buffer_load_dword v69, v2, s[0:3], 0 offen offset:4
	buffer_load_dword v70, v2, s[0:3], 0 offen offset:8
	buffer_load_dword v71, v2, s[0:3], 0 offen offset:12
	buffer_store_dword v1, off, s[0:3], 0 offset:240
	buffer_store_dword v1, off, s[0:3], 0 offset:244
	;; [unrolled: 1-line block ×4, first 2 shown]
	s_waitcnt vmcnt(0)
	ds_write_b128 v67, v[68:71]
.LBB30_171:
	s_or_b32 exec_lo, exec_lo, s4
	s_waitcnt lgkmcnt(0)
	s_waitcnt_vscnt null, 0x0
	s_barrier
	buffer_gl0_inv
	s_clause 0x37
	buffer_load_dword v2, off, s[0:3], 0 offset:264
	buffer_load_dword v3, off, s[0:3], 0 offset:268
	;; [unrolled: 1-line block ×56, first 2 shown]
	ds_read_b128 v[68:71], v1 offset:736
	s_clause 0x2
	buffer_load_dword v133, off, s[0:3], 0 offset:492
	buffer_load_dword v137, off, s[0:3], 0 offset:468
	;; [unrolled: 1-line block ×3, first 2 shown]
	ds_read_b128 v[72:75], v1 offset:752
	s_clause 0x2
	buffer_load_dword v141, off, s[0:3], 0 offset:508
	buffer_load_dword v140, off, s[0:3], 0 offset:504
	buffer_load_dword v135, off, s[0:3], 0 offset:484
	ds_read_b128 v[76:79], v1 offset:768
	s_mov_b32 s4, exec_lo
	s_waitcnt vmcnt(60) lgkmcnt(2)
	v_mul_f64 v[138:139], v[70:71], v[2:3]
	v_mul_f64 v[2:3], v[68:69], v[2:3]
	s_waitcnt vmcnt(58) lgkmcnt(1)
	v_mul_f64 v[142:143], v[74:75], v[80:81]
	v_mul_f64 v[80:81], v[72:73], v[80:81]
	s_waitcnt vmcnt(54) lgkmcnt(0)
	v_mul_f64 v[144:145], v[76:77], v[84:85]
	v_mul_f64 v[84:85], v[78:79], v[84:85]
	v_fma_f64 v[138:139], v[68:69], v[82:83], -v[138:139]
	v_fma_f64 v[2:3], v[70:71], v[82:83], v[2:3]
	s_clause 0x1
	buffer_load_dword v83, off, s[0:3], 0 offset:500
	buffer_load_dword v82, off, s[0:3], 0 offset:496
	s_waitcnt vmcnt(54)
	v_fma_f64 v[142:143], v[72:73], v[86:87], -v[142:143]
	ds_read_b128 v[68:71], v1 offset:784
	v_fma_f64 v[80:81], v[74:75], v[86:87], v[80:81]
	ds_read_b128 v[72:75], v1 offset:800
	s_waitcnt vmcnt(48)
	v_fma_f64 v[84:85], v[76:77], v[94:95], -v[84:85]
	v_fma_f64 v[94:95], v[78:79], v[94:95], v[144:145]
	v_add_f64 v[138:139], v[138:139], 0
	v_add_f64 v[2:3], v[2:3], 0
	s_waitcnt lgkmcnt(1)
	v_mul_f64 v[86:87], v[68:69], v[88:89]
	v_mul_f64 v[88:89], v[70:71], v[88:89]
	s_waitcnt vmcnt(47) lgkmcnt(0)
	v_mul_f64 v[144:145], v[72:73], v[90:91]
	v_mul_f64 v[90:91], v[74:75], v[90:91]
	v_add_f64 v[138:139], v[138:139], v[142:143]
	v_add_f64 v[2:3], v[2:3], v[80:81]
	s_clause 0x3
	buffer_load_dword v80, off, s[0:3], 0 offset:240
	buffer_load_dword v81, off, s[0:3], 0 offset:244
	;; [unrolled: 1-line block ×4, first 2 shown]
	s_waitcnt vmcnt(49)
	v_fma_f64 v[88:89], v[68:69], v[96:97], -v[88:89]
	ds_read_b128 v[76:79], v1 offset:816
	v_fma_f64 v[86:87], v[70:71], v[96:97], v[86:87]
	ds_read_b128 v[68:71], v1 offset:832
	s_waitcnt vmcnt(44)
	v_fma_f64 v[90:91], v[72:73], v[92:93], -v[90:91]
	v_add_f64 v[84:85], v[138:139], v[84:85]
	v_add_f64 v[2:3], v[2:3], v[94:95]
	s_waitcnt lgkmcnt(1)
	v_mul_f64 v[96:97], v[78:79], v[98:99]
	v_mul_f64 v[94:95], v[76:77], v[98:99]
	v_add_f64 v[84:85], v[84:85], v[88:89]
	v_fma_f64 v[88:89], v[74:75], v[92:93], v[144:145]
	v_add_f64 v[2:3], v[2:3], v[86:87]
	s_waitcnt vmcnt(43) lgkmcnt(0)
	v_mul_f64 v[92:93], v[70:71], v[100:101]
	s_waitcnt vmcnt(41)
	v_fma_f64 v[96:97], v[76:77], v[104:105], -v[96:97]
	ds_read_b128 v[72:75], v1 offset:848
	v_mul_f64 v[86:87], v[68:69], v[100:101]
	v_add_f64 v[84:85], v[84:85], v[90:91]
	v_fma_f64 v[90:91], v[78:79], v[104:105], v[94:95]
	v_add_f64 v[2:3], v[2:3], v[88:89]
	ds_read_b128 v[76:79], v1 offset:864
	s_waitcnt vmcnt(37) lgkmcnt(1)
	v_mul_f64 v[94:95], v[74:75], v[106:107]
	s_waitcnt vmcnt(36)
	v_fma_f64 v[92:93], v[68:69], v[102:103], -v[92:93]
	v_mul_f64 v[88:89], v[72:73], v[106:107]
	v_fma_f64 v[86:87], v[70:71], v[102:103], v[86:87]
	ds_read_b128 v[68:71], v1 offset:880
	v_add_f64 v[84:85], v[84:85], v[96:97]
	s_waitcnt vmcnt(35) lgkmcnt(1)
	v_mul_f64 v[96:97], v[78:79], v[108:109]
	v_add_f64 v[2:3], v[2:3], v[90:91]
	v_mul_f64 v[90:91], v[76:77], v[108:109]
	s_waitcnt vmcnt(33)
	v_fma_f64 v[94:95], v[72:73], v[112:113], -v[94:95]
	v_fma_f64 v[88:89], v[74:75], v[112:113], v[88:89]
	ds_read_b128 v[72:75], v1 offset:896
	v_add_f64 v[84:85], v[84:85], v[92:93]
	s_waitcnt vmcnt(29) lgkmcnt(1)
	v_mul_f64 v[92:93], v[70:71], v[114:115]
	v_add_f64 v[2:3], v[2:3], v[86:87]
	s_waitcnt vmcnt(28)
	v_fma_f64 v[96:97], v[76:77], v[110:111], -v[96:97]
	v_mul_f64 v[86:87], v[68:69], v[114:115]
	v_fma_f64 v[90:91], v[78:79], v[110:111], v[90:91]
	ds_read_b128 v[76:79], v1 offset:912
	v_add_f64 v[84:85], v[84:85], v[94:95]
	s_waitcnt vmcnt(27) lgkmcnt(1)
	v_mul_f64 v[94:95], v[74:75], v[116:117]
	v_add_f64 v[2:3], v[2:3], v[88:89]
	s_waitcnt vmcnt(25)
	v_fma_f64 v[92:93], v[68:69], v[120:121], -v[92:93]
	v_mul_f64 v[88:89], v[72:73], v[116:117]
	;; [unrolled: 9-line block ×5, first 2 shown]
	v_fma_f64 v[70:71], v[70:71], v[126:127], v[86:87]
	s_waitcnt vmcnt(11) lgkmcnt(0)
	v_mul_f64 v[92:93], v[78:79], v[132:133]
	v_add_f64 v[84:85], v[84:85], v[96:97]
	s_waitcnt vmcnt(9)
	v_fma_f64 v[72:73], v[72:73], v[136:137], -v[94:95]
	v_add_f64 v[86:87], v[2:3], v[90:91]
	ds_read_b128 v[1:4], v1 offset:976
	v_mul_f64 v[90:91], v[76:77], v[132:133]
	v_fma_f64 v[74:75], v[74:75], v[136:137], v[88:89]
	s_waitcnt vmcnt(6)
	v_fma_f64 v[76:77], v[76:77], v[134:135], -v[92:93]
	v_add_f64 v[68:69], v[84:85], v[68:69]
	s_waitcnt lgkmcnt(0)
	v_mul_f64 v[84:85], v[1:2], v[140:141]
	v_add_f64 v[70:71], v[86:87], v[70:71]
	v_mul_f64 v[86:87], v[3:4], v[140:141]
	v_add_f64 v[68:69], v[68:69], v[72:73]
	v_fma_f64 v[72:73], v[78:79], v[134:135], v[90:91]
	v_add_f64 v[70:71], v[70:71], v[74:75]
	s_waitcnt vmcnt(4)
	v_fma_f64 v[1:2], v[1:2], v[82:83], -v[86:87]
	v_fma_f64 v[3:4], v[3:4], v[82:83], v[84:85]
	v_add_f64 v[68:69], v[68:69], v[76:77]
	v_add_f64 v[70:71], v[70:71], v[72:73]
	;; [unrolled: 1-line block ×4, first 2 shown]
	s_waitcnt vmcnt(2)
	v_add_f64 v[1:2], v[80:81], -v[1:2]
	s_waitcnt vmcnt(0)
	v_add_f64 v[3:4], v[142:143], -v[3:4]
	buffer_store_dword v2, off, s[0:3], 0 offset:244
	buffer_store_dword v1, off, s[0:3], 0 offset:240
	;; [unrolled: 1-line block ×4, first 2 shown]
	v_cmpx_lt_u32_e32 13, v0
	s_cbranch_execz .LBB30_173
; %bb.172:
	v_mov_b32_e32 v4, s29
	v_mov_b32_e32 v68, 0
	s_clause 0x3
	buffer_load_dword v1, v4, s[0:3], 0 offen
	buffer_load_dword v2, v4, s[0:3], 0 offen offset:4
	buffer_load_dword v3, v4, s[0:3], 0 offen offset:8
	;; [unrolled: 1-line block ×3, first 2 shown]
	buffer_store_dword v68, off, s[0:3], 0 offset:224
	buffer_store_dword v68, off, s[0:3], 0 offset:228
	;; [unrolled: 1-line block ×4, first 2 shown]
	s_waitcnt vmcnt(0)
	ds_write_b128 v67, v[1:4]
.LBB30_173:
	s_or_b32 exec_lo, exec_lo, s4
	s_waitcnt lgkmcnt(0)
	s_waitcnt_vscnt null, 0x0
	s_barrier
	buffer_gl0_inv
	s_clause 0x37
	buffer_load_dword v2, off, s[0:3], 0 offset:248
	buffer_load_dword v3, off, s[0:3], 0 offset:252
	;; [unrolled: 1-line block ×56, first 2 shown]
	v_mov_b32_e32 v1, 0
	s_mov_b32 s4, exec_lo
	ds_read_b128 v[68:71], v1 offset:720
	s_clause 0x2
	buffer_load_dword v133, off, s[0:3], 0 offset:476
	buffer_load_dword v137, off, s[0:3], 0 offset:452
	;; [unrolled: 1-line block ×3, first 2 shown]
	ds_read_b128 v[72:75], v1 offset:736
	s_clause 0x4
	buffer_load_dword v141, off, s[0:3], 0 offset:492
	buffer_load_dword v142, off, s[0:3], 0 offset:504
	;; [unrolled: 1-line block ×5, first 2 shown]
	ds_read_b128 v[76:79], v1 offset:752
	s_waitcnt vmcnt(62) lgkmcnt(2)
	v_mul_f64 v[138:139], v[70:71], v[2:3]
	v_mul_f64 v[2:3], v[68:69], v[2:3]
	s_waitcnt vmcnt(60) lgkmcnt(1)
	v_mul_f64 v[145:146], v[74:75], v[80:81]
	v_mul_f64 v[80:81], v[72:73], v[80:81]
	;; [unrolled: 3-line block ×3, first 2 shown]
	v_fma_f64 v[138:139], v[68:69], v[82:83], -v[138:139]
	v_fma_f64 v[2:3], v[70:71], v[82:83], v[2:3]
	s_clause 0x2
	buffer_load_dword v143, off, s[0:3], 0 offset:508
	buffer_load_dword v83, off, s[0:3], 0 offset:484
	;; [unrolled: 1-line block ×3, first 2 shown]
	s_waitcnt vmcnt(57)
	v_fma_f64 v[149:150], v[72:73], v[86:87], -v[145:146]
	ds_read_b128 v[68:71], v1 offset:768
	v_fma_f64 v[80:81], v[74:75], v[86:87], v[80:81]
	buffer_load_dword v145, off, s[0:3], 0 offset:500
	ds_read_b128 v[72:75], v1 offset:784
	s_waitcnt vmcnt(52)
	v_fma_f64 v[84:85], v[76:77], v[94:95], -v[84:85]
	v_fma_f64 v[94:95], v[78:79], v[94:95], v[147:148]
	ds_read_b128 v[76:79], v1 offset:800
	v_add_f64 v[138:139], v[138:139], 0
	v_add_f64 v[2:3], v[2:3], 0
	s_waitcnt lgkmcnt(2)
	v_mul_f64 v[86:87], v[68:69], v[88:89]
	v_mul_f64 v[88:89], v[70:71], v[88:89]
	v_add_f64 v[138:139], v[138:139], v[149:150]
	v_add_f64 v[2:3], v[2:3], v[80:81]
	s_waitcnt vmcnt(51) lgkmcnt(1)
	v_mul_f64 v[80:81], v[72:73], v[90:91]
	v_mul_f64 v[90:91], v[74:75], v[90:91]
	s_waitcnt vmcnt(49)
	v_fma_f64 v[88:89], v[68:69], v[96:97], -v[88:89]
	v_fma_f64 v[86:87], v[70:71], v[96:97], v[86:87]
	v_add_f64 v[84:85], v[138:139], v[84:85]
	v_add_f64 v[2:3], v[2:3], v[94:95]
	s_clause 0x3
	buffer_load_dword v94, off, s[0:3], 0 offset:224
	buffer_load_dword v95, off, s[0:3], 0 offset:228
	;; [unrolled: 1-line block ×4, first 2 shown]
	s_waitcnt vmcnt(49) lgkmcnt(0)
	v_mul_f64 v[138:139], v[76:77], v[98:99]
	v_mul_f64 v[98:99], v[78:79], v[98:99]
	s_waitcnt vmcnt(48)
	v_fma_f64 v[90:91], v[72:73], v[92:93], -v[90:91]
	ds_read_b128 v[68:71], v1 offset:816
	v_fma_f64 v[80:81], v[74:75], v[92:93], v[80:81]
	ds_read_b128 v[72:75], v1 offset:832
	v_add_f64 v[84:85], v[84:85], v[88:89]
	v_add_f64 v[2:3], v[2:3], v[86:87]
	s_waitcnt vmcnt(47) lgkmcnt(1)
	v_mul_f64 v[88:89], v[70:71], v[100:101]
	s_waitcnt vmcnt(45)
	v_fma_f64 v[92:93], v[76:77], v[104:105], -v[98:99]
	v_mul_f64 v[86:87], v[68:69], v[100:101]
	s_waitcnt vmcnt(41) lgkmcnt(0)
	v_mul_f64 v[98:99], v[74:75], v[106:107]
	v_add_f64 v[84:85], v[84:85], v[90:91]
	v_fma_f64 v[90:91], v[78:79], v[104:105], v[138:139]
	v_add_f64 v[2:3], v[2:3], v[80:81]
	ds_read_b128 v[76:79], v1 offset:848
	s_waitcnt vmcnt(40)
	v_fma_f64 v[88:89], v[68:69], v[102:103], -v[88:89]
	v_mul_f64 v[80:81], v[72:73], v[106:107]
	v_fma_f64 v[86:87], v[70:71], v[102:103], v[86:87]
	ds_read_b128 v[68:71], v1 offset:864
	s_waitcnt vmcnt(37)
	v_fma_f64 v[98:99], v[72:73], v[112:113], -v[98:99]
	v_add_f64 v[84:85], v[84:85], v[92:93]
	s_waitcnt lgkmcnt(1)
	v_mul_f64 v[92:93], v[78:79], v[108:109]
	v_add_f64 v[2:3], v[2:3], v[90:91]
	v_mul_f64 v[90:91], v[76:77], v[108:109]
	v_fma_f64 v[80:81], v[74:75], v[112:113], v[80:81]
	ds_read_b128 v[72:75], v1 offset:880
	v_add_f64 v[84:85], v[84:85], v[88:89]
	s_waitcnt vmcnt(33) lgkmcnt(1)
	v_mul_f64 v[88:89], v[70:71], v[114:115]
	v_add_f64 v[2:3], v[2:3], v[86:87]
	s_waitcnt vmcnt(32)
	v_fma_f64 v[92:93], v[76:77], v[110:111], -v[92:93]
	v_mul_f64 v[86:87], v[68:69], v[114:115]
	v_fma_f64 v[90:91], v[78:79], v[110:111], v[90:91]
	ds_read_b128 v[76:79], v1 offset:896
	v_add_f64 v[84:85], v[84:85], v[98:99]
	s_waitcnt vmcnt(31) lgkmcnt(1)
	v_mul_f64 v[98:99], v[74:75], v[116:117]
	v_add_f64 v[2:3], v[2:3], v[80:81]
	s_waitcnt vmcnt(29)
	v_fma_f64 v[88:89], v[68:69], v[120:121], -v[88:89]
	;; [unrolled: 9-line block ×7, first 2 shown]
	v_mul_f64 v[86:87], v[68:69], v[140:141]
	v_fma_f64 v[78:79], v[78:79], v[134:135], v[90:91]
	v_add_f64 v[84:85], v[84:85], v[98:99]
	v_add_f64 v[2:3], v[2:3], v[80:81]
	s_waitcnt vmcnt(7) lgkmcnt(0)
	v_mul_f64 v[90:91], v[74:75], v[142:143]
	v_mul_f64 v[80:81], v[72:73], v[142:143]
	s_waitcnt vmcnt(5)
	v_fma_f64 v[68:69], v[68:69], v[82:83], -v[88:89]
	v_fma_f64 v[70:71], v[70:71], v[82:83], v[86:87]
	v_add_f64 v[76:77], v[84:85], v[76:77]
	v_add_f64 v[2:3], v[2:3], v[78:79]
	s_waitcnt vmcnt(4)
	v_fma_f64 v[72:73], v[72:73], v[144:145], -v[90:91]
	v_fma_f64 v[74:75], v[74:75], v[144:145], v[80:81]
	v_add_f64 v[68:69], v[76:77], v[68:69]
	v_add_f64 v[2:3], v[2:3], v[70:71]
	;; [unrolled: 1-line block ×4, first 2 shown]
	s_waitcnt vmcnt(2)
	v_add_f64 v[68:69], v[94:95], -v[68:69]
	s_waitcnt vmcnt(0)
	v_add_f64 v[2:3], v[96:97], -v[2:3]
	buffer_store_dword v69, off, s[0:3], 0 offset:228
	buffer_store_dword v68, off, s[0:3], 0 offset:224
	;; [unrolled: 1-line block ×4, first 2 shown]
	v_cmpx_lt_u32_e32 12, v0
	s_cbranch_execz .LBB30_175
; %bb.174:
	v_mov_b32_e32 v2, s30
	s_clause 0x3
	buffer_load_dword v68, v2, s[0:3], 0 offen
	buffer_load_dword v69, v2, s[0:3], 0 offen offset:4
	buffer_load_dword v70, v2, s[0:3], 0 offen offset:8
	;; [unrolled: 1-line block ×3, first 2 shown]
	buffer_store_dword v1, off, s[0:3], 0 offset:208
	buffer_store_dword v1, off, s[0:3], 0 offset:212
	;; [unrolled: 1-line block ×4, first 2 shown]
	s_waitcnt vmcnt(0)
	ds_write_b128 v67, v[68:71]
.LBB30_175:
	s_or_b32 exec_lo, exec_lo, s4
	s_waitcnt lgkmcnt(0)
	s_waitcnt_vscnt null, 0x0
	s_barrier
	buffer_gl0_inv
	s_clause 0x37
	buffer_load_dword v2, off, s[0:3], 0 offset:232
	buffer_load_dword v3, off, s[0:3], 0 offset:236
	;; [unrolled: 1-line block ×56, first 2 shown]
	ds_read_b128 v[68:71], v1 offset:704
	s_clause 0x2
	buffer_load_dword v133, off, s[0:3], 0 offset:460
	buffer_load_dword v137, off, s[0:3], 0 offset:436
	;; [unrolled: 1-line block ×3, first 2 shown]
	ds_read_b128 v[72:75], v1 offset:720
	s_clause 0x4
	buffer_load_dword v141, off, s[0:3], 0 offset:476
	buffer_load_dword v142, off, s[0:3], 0 offset:488
	;; [unrolled: 1-line block ×5, first 2 shown]
	ds_read_b128 v[76:79], v1 offset:736
	s_mov_b32 s4, exec_lo
	s_waitcnt vmcnt(62) lgkmcnt(2)
	v_mul_f64 v[138:139], v[70:71], v[2:3]
	v_mul_f64 v[2:3], v[68:69], v[2:3]
	s_waitcnt vmcnt(60) lgkmcnt(1)
	v_mul_f64 v[145:146], v[74:75], v[80:81]
	v_mul_f64 v[80:81], v[72:73], v[80:81]
	;; [unrolled: 3-line block ×3, first 2 shown]
	v_fma_f64 v[138:139], v[68:69], v[82:83], -v[138:139]
	v_fma_f64 v[2:3], v[70:71], v[82:83], v[2:3]
	s_clause 0x2
	buffer_load_dword v143, off, s[0:3], 0 offset:492
	buffer_load_dword v83, off, s[0:3], 0 offset:468
	;; [unrolled: 1-line block ×3, first 2 shown]
	s_waitcnt vmcnt(57)
	v_fma_f64 v[149:150], v[72:73], v[86:87], -v[145:146]
	ds_read_b128 v[68:71], v1 offset:752
	v_fma_f64 v[80:81], v[74:75], v[86:87], v[80:81]
	s_clause 0x2
	buffer_load_dword v87, off, s[0:3], 0 offset:508
	buffer_load_dword v86, off, s[0:3], 0 offset:504
	;; [unrolled: 1-line block ×3, first 2 shown]
	s_waitcnt vmcnt(54)
	v_fma_f64 v[84:85], v[76:77], v[94:95], -v[84:85]
	ds_read_b128 v[72:75], v1 offset:768
	v_fma_f64 v[94:95], v[78:79], v[94:95], v[147:148]
	v_add_f64 v[138:139], v[138:139], 0
	v_add_f64 v[2:3], v[2:3], 0
	s_waitcnt lgkmcnt(1)
	v_mul_f64 v[151:152], v[68:69], v[88:89]
	v_mul_f64 v[88:89], v[70:71], v[88:89]
	s_waitcnt vmcnt(53) lgkmcnt(0)
	v_mul_f64 v[146:147], v[72:73], v[90:91]
	v_mul_f64 v[90:91], v[74:75], v[90:91]
	v_add_f64 v[138:139], v[138:139], v[149:150]
	v_add_f64 v[2:3], v[2:3], v[80:81]
	s_clause 0x1
	buffer_load_dword v81, off, s[0:3], 0 offset:500
	buffer_load_dword v80, off, s[0:3], 0 offset:496
	s_waitcnt vmcnt(53)
	v_fma_f64 v[88:89], v[68:69], v[96:97], -v[88:89]
	ds_read_b128 v[76:79], v1 offset:784
	v_fma_f64 v[96:97], v[70:71], v[96:97], v[151:152]
	ds_read_b128 v[68:71], v1 offset:800
	s_waitcnt vmcnt(48)
	v_fma_f64 v[90:91], v[72:73], v[92:93], -v[90:91]
	v_add_f64 v[84:85], v[138:139], v[84:85]
	v_add_f64 v[2:3], v[2:3], v[94:95]
	s_waitcnt lgkmcnt(1)
	v_mul_f64 v[94:95], v[76:77], v[98:99]
	v_mul_f64 v[98:99], v[78:79], v[98:99]
	s_waitcnt vmcnt(47) lgkmcnt(0)
	v_mul_f64 v[138:139], v[68:69], v[100:101]
	v_mul_f64 v[100:101], v[70:71], v[100:101]
	v_add_f64 v[84:85], v[84:85], v[88:89]
	v_fma_f64 v[88:89], v[74:75], v[92:93], v[146:147]
	v_add_f64 v[2:3], v[2:3], v[96:97]
	s_clause 0x3
	buffer_load_dword v92, off, s[0:3], 0 offset:208
	buffer_load_dword v93, off, s[0:3], 0 offset:212
	;; [unrolled: 1-line block ×4, first 2 shown]
	s_waitcnt vmcnt(49)
	v_fma_f64 v[98:99], v[76:77], v[104:105], -v[98:99]
	ds_read_b128 v[72:75], v1 offset:816
	s_waitcnt vmcnt(44)
	v_fma_f64 v[100:101], v[68:69], v[102:103], -v[100:101]
	v_add_f64 v[84:85], v[84:85], v[90:91]
	v_fma_f64 v[90:91], v[78:79], v[104:105], v[94:95]
	v_add_f64 v[2:3], v[2:3], v[88:89]
	ds_read_b128 v[76:79], v1 offset:832
	s_waitcnt lgkmcnt(1)
	v_mul_f64 v[94:95], v[74:75], v[106:107]
	v_mul_f64 v[88:89], v[72:73], v[106:107]
	v_add_f64 v[84:85], v[84:85], v[98:99]
	v_fma_f64 v[98:99], v[70:71], v[102:103], v[138:139]
	v_add_f64 v[2:3], v[2:3], v[90:91]
	s_waitcnt vmcnt(43) lgkmcnt(0)
	v_mul_f64 v[102:103], v[78:79], v[108:109]
	s_waitcnt vmcnt(41)
	v_fma_f64 v[94:95], v[72:73], v[112:113], -v[94:95]
	ds_read_b128 v[68:71], v1 offset:848
	v_mul_f64 v[90:91], v[76:77], v[108:109]
	v_fma_f64 v[88:89], v[74:75], v[112:113], v[88:89]
	ds_read_b128 v[72:75], v1 offset:864
	v_add_f64 v[84:85], v[84:85], v[100:101]
	v_add_f64 v[2:3], v[2:3], v[98:99]
	s_waitcnt vmcnt(37) lgkmcnt(1)
	v_mul_f64 v[100:101], v[70:71], v[114:115]
	s_waitcnt vmcnt(36)
	v_fma_f64 v[102:103], v[76:77], v[110:111], -v[102:103]
	v_mul_f64 v[98:99], v[68:69], v[114:115]
	v_fma_f64 v[90:91], v[78:79], v[110:111], v[90:91]
	ds_read_b128 v[76:79], v1 offset:880
	v_add_f64 v[84:85], v[84:85], v[94:95]
	s_waitcnt vmcnt(35) lgkmcnt(1)
	v_mul_f64 v[94:95], v[74:75], v[116:117]
	v_add_f64 v[2:3], v[2:3], v[88:89]
	s_waitcnt vmcnt(33)
	v_fma_f64 v[100:101], v[68:69], v[120:121], -v[100:101]
	v_mul_f64 v[88:89], v[72:73], v[116:117]
	v_fma_f64 v[98:99], v[70:71], v[120:121], v[98:99]
	ds_read_b128 v[68:71], v1 offset:896
	v_add_f64 v[84:85], v[84:85], v[102:103]
	s_waitcnt vmcnt(29) lgkmcnt(1)
	v_mul_f64 v[102:103], v[78:79], v[122:123]
	v_add_f64 v[2:3], v[2:3], v[90:91]
	;; [unrolled: 9-line block ×6, first 2 shown]
	s_waitcnt vmcnt(12)
	v_fma_f64 v[76:77], v[76:77], v[134:135], -v[102:103]
	v_mul_f64 v[98:99], v[68:69], v[140:141]
	v_fma_f64 v[78:79], v[78:79], v[134:135], v[90:91]
	v_add_f64 v[84:85], v[84:85], v[94:95]
	v_add_f64 v[88:89], v[2:3], v[88:89]
	ds_read_b128 v[1:4], v1 offset:976
	s_waitcnt vmcnt(11) lgkmcnt(1)
	v_mul_f64 v[94:95], v[74:75], v[142:143]
	v_mul_f64 v[90:91], v[72:73], v[142:143]
	s_waitcnt vmcnt(9)
	v_fma_f64 v[68:69], v[68:69], v[82:83], -v[100:101]
	v_fma_f64 v[70:71], v[70:71], v[82:83], v[98:99]
	v_add_f64 v[76:77], v[84:85], v[76:77]
	s_waitcnt vmcnt(7) lgkmcnt(0)
	v_mul_f64 v[84:85], v[3:4], v[86:87]
	v_add_f64 v[78:79], v[88:89], v[78:79]
	v_mul_f64 v[82:83], v[1:2], v[86:87]
	s_waitcnt vmcnt(6)
	v_fma_f64 v[72:73], v[72:73], v[144:145], -v[94:95]
	v_fma_f64 v[74:75], v[74:75], v[144:145], v[90:91]
	v_add_f64 v[68:69], v[76:77], v[68:69]
	v_add_f64 v[70:71], v[78:79], v[70:71]
	s_waitcnt vmcnt(4)
	v_fma_f64 v[1:2], v[1:2], v[80:81], -v[84:85]
	v_fma_f64 v[3:4], v[3:4], v[80:81], v[82:83]
	v_add_f64 v[68:69], v[68:69], v[72:73]
	v_add_f64 v[70:71], v[70:71], v[74:75]
	;; [unrolled: 1-line block ×4, first 2 shown]
	s_waitcnt vmcnt(2)
	v_add_f64 v[1:2], v[92:93], -v[1:2]
	s_waitcnt vmcnt(0)
	v_add_f64 v[3:4], v[96:97], -v[3:4]
	buffer_store_dword v2, off, s[0:3], 0 offset:212
	buffer_store_dword v1, off, s[0:3], 0 offset:208
	;; [unrolled: 1-line block ×4, first 2 shown]
	v_cmpx_lt_u32_e32 11, v0
	s_cbranch_execz .LBB30_177
; %bb.176:
	v_mov_b32_e32 v4, s31
	v_mov_b32_e32 v68, 0
	s_clause 0x3
	buffer_load_dword v1, v4, s[0:3], 0 offen
	buffer_load_dword v2, v4, s[0:3], 0 offen offset:4
	buffer_load_dword v3, v4, s[0:3], 0 offen offset:8
	;; [unrolled: 1-line block ×3, first 2 shown]
	buffer_store_dword v68, off, s[0:3], 0 offset:192
	buffer_store_dword v68, off, s[0:3], 0 offset:196
	;; [unrolled: 1-line block ×4, first 2 shown]
	s_waitcnt vmcnt(0)
	ds_write_b128 v67, v[1:4]
.LBB30_177:
	s_or_b32 exec_lo, exec_lo, s4
	s_waitcnt lgkmcnt(0)
	s_waitcnt_vscnt null, 0x0
	s_barrier
	buffer_gl0_inv
	s_clause 0x37
	buffer_load_dword v2, off, s[0:3], 0 offset:216
	buffer_load_dword v3, off, s[0:3], 0 offset:220
	;; [unrolled: 1-line block ×56, first 2 shown]
	v_mov_b32_e32 v1, 0
	s_mov_b32 s4, exec_lo
	ds_read_b128 v[68:71], v1 offset:688
	s_clause 0x2
	buffer_load_dword v133, off, s[0:3], 0 offset:444
	buffer_load_dword v137, off, s[0:3], 0 offset:420
	;; [unrolled: 1-line block ×3, first 2 shown]
	ds_read_b128 v[72:75], v1 offset:704
	s_clause 0x4
	buffer_load_dword v141, off, s[0:3], 0 offset:460
	buffer_load_dword v142, off, s[0:3], 0 offset:472
	;; [unrolled: 1-line block ×5, first 2 shown]
	ds_read_b128 v[76:79], v1 offset:720
	s_waitcnt vmcnt(62) lgkmcnt(2)
	v_mul_f64 v[138:139], v[70:71], v[2:3]
	v_mul_f64 v[2:3], v[68:69], v[2:3]
	s_waitcnt vmcnt(60) lgkmcnt(1)
	v_mul_f64 v[145:146], v[74:75], v[80:81]
	v_mul_f64 v[80:81], v[72:73], v[80:81]
	;; [unrolled: 3-line block ×3, first 2 shown]
	v_fma_f64 v[138:139], v[68:69], v[82:83], -v[138:139]
	v_fma_f64 v[2:3], v[70:71], v[82:83], v[2:3]
	s_clause 0x2
	buffer_load_dword v143, off, s[0:3], 0 offset:476
	buffer_load_dword v83, off, s[0:3], 0 offset:452
	;; [unrolled: 1-line block ×3, first 2 shown]
	s_waitcnt vmcnt(57)
	v_fma_f64 v[149:150], v[72:73], v[86:87], -v[145:146]
	ds_read_b128 v[68:71], v1 offset:736
	v_fma_f64 v[80:81], v[74:75], v[86:87], v[80:81]
	s_clause 0x4
	buffer_load_dword v87, off, s[0:3], 0 offset:492
	buffer_load_dword v146, off, s[0:3], 0 offset:504
	;; [unrolled: 1-line block ×5, first 2 shown]
	s_waitcnt vmcnt(56)
	v_fma_f64 v[84:85], v[76:77], v[94:95], -v[84:85]
	ds_read_b128 v[72:75], v1 offset:752
	v_fma_f64 v[94:95], v[78:79], v[94:95], v[147:148]
	v_add_f64 v[138:139], v[138:139], 0
	v_add_f64 v[2:3], v[2:3], 0
	s_waitcnt lgkmcnt(1)
	v_mul_f64 v[152:153], v[68:69], v[88:89]
	v_mul_f64 v[88:89], v[70:71], v[88:89]
	v_add_f64 v[138:139], v[138:139], v[149:150]
	v_add_f64 v[2:3], v[2:3], v[80:81]
	s_clause 0x2
	buffer_load_dword v147, off, s[0:3], 0 offset:508
	buffer_load_dword v81, off, s[0:3], 0 offset:484
	;; [unrolled: 1-line block ×3, first 2 shown]
	s_waitcnt vmcnt(58) lgkmcnt(0)
	v_mul_f64 v[148:149], v[72:73], v[90:91]
	v_mul_f64 v[90:91], v[74:75], v[90:91]
	s_waitcnt vmcnt(56)
	v_fma_f64 v[88:89], v[68:69], v[96:97], -v[88:89]
	ds_read_b128 v[76:79], v1 offset:768
	v_fma_f64 v[96:97], v[70:71], v[96:97], v[152:153]
	buffer_load_dword v152, off, s[0:3], 0 offset:500
	ds_read_b128 v[68:71], v1 offset:784
	v_add_f64 v[84:85], v[138:139], v[84:85]
	v_add_f64 v[2:3], v[2:3], v[94:95]
	s_waitcnt vmcnt(53) lgkmcnt(1)
	v_mul_f64 v[94:95], v[76:77], v[98:99]
	v_mul_f64 v[98:99], v[78:79], v[98:99]
	s_waitcnt vmcnt(52)
	v_fma_f64 v[90:91], v[72:73], v[92:93], -v[90:91]
	v_add_f64 v[84:85], v[84:85], v[88:89]
	v_fma_f64 v[88:89], v[74:75], v[92:93], v[148:149]
	v_add_f64 v[2:3], v[2:3], v[96:97]
	s_waitcnt vmcnt(51) lgkmcnt(0)
	v_mul_f64 v[96:97], v[70:71], v[100:101]
	ds_read_b128 v[72:75], v1 offset:800
	s_waitcnt vmcnt(49)
	v_fma_f64 v[98:99], v[76:77], v[104:105], -v[98:99]
	v_mul_f64 v[92:93], v[68:69], v[100:101]
	v_add_f64 v[84:85], v[84:85], v[90:91]
	v_fma_f64 v[90:91], v[78:79], v[104:105], v[94:95]
	v_add_f64 v[2:3], v[2:3], v[88:89]
	s_clause 0x3
	buffer_load_dword v88, off, s[0:3], 0 offset:192
	buffer_load_dword v89, off, s[0:3], 0 offset:196
	;; [unrolled: 1-line block ×4, first 2 shown]
	s_waitcnt vmcnt(49) lgkmcnt(0)
	v_mul_f64 v[104:105], v[74:75], v[106:107]
	s_waitcnt vmcnt(48)
	v_fma_f64 v[96:97], v[68:69], v[102:103], -v[96:97]
	ds_read_b128 v[76:79], v1 offset:816
	v_mul_f64 v[100:101], v[72:73], v[106:107]
	v_fma_f64 v[92:93], v[70:71], v[102:103], v[92:93]
	ds_read_b128 v[68:71], v1 offset:832
	v_add_f64 v[84:85], v[84:85], v[98:99]
	v_add_f64 v[2:3], v[2:3], v[90:91]
	s_waitcnt vmcnt(47) lgkmcnt(1)
	v_mul_f64 v[98:99], v[78:79], v[108:109]
	s_waitcnt vmcnt(45)
	v_fma_f64 v[102:103], v[72:73], v[112:113], -v[104:105]
	v_mul_f64 v[90:91], v[76:77], v[108:109]
	v_add_f64 v[84:85], v[84:85], v[96:97]
	v_fma_f64 v[96:97], v[74:75], v[112:113], v[100:101]
	v_add_f64 v[2:3], v[2:3], v[92:93]
	s_waitcnt vmcnt(41) lgkmcnt(0)
	v_mul_f64 v[100:101], v[70:71], v[114:115]
	s_waitcnt vmcnt(40)
	v_fma_f64 v[98:99], v[76:77], v[110:111], -v[98:99]
	ds_read_b128 v[72:75], v1 offset:848
	v_mul_f64 v[92:93], v[68:69], v[114:115]
	v_fma_f64 v[90:91], v[78:79], v[110:111], v[90:91]
	ds_read_b128 v[76:79], v1 offset:864
	v_add_f64 v[84:85], v[84:85], v[102:103]
	v_add_f64 v[2:3], v[2:3], v[96:97]
	s_waitcnt vmcnt(39) lgkmcnt(1)
	v_mul_f64 v[102:103], v[74:75], v[116:117]
	s_waitcnt vmcnt(37)
	v_fma_f64 v[100:101], v[68:69], v[120:121], -v[100:101]
	v_mul_f64 v[96:97], v[72:73], v[116:117]
	v_fma_f64 v[92:93], v[70:71], v[120:121], v[92:93]
	ds_read_b128 v[68:71], v1 offset:880
	v_add_f64 v[84:85], v[84:85], v[98:99]
	s_waitcnt vmcnt(33) lgkmcnt(1)
	v_mul_f64 v[98:99], v[78:79], v[122:123]
	v_add_f64 v[2:3], v[2:3], v[90:91]
	s_waitcnt vmcnt(32)
	v_fma_f64 v[102:103], v[72:73], v[118:119], -v[102:103]
	v_mul_f64 v[90:91], v[76:77], v[122:123]
	v_fma_f64 v[96:97], v[74:75], v[118:119], v[96:97]
	ds_read_b128 v[72:75], v1 offset:896
	v_add_f64 v[84:85], v[84:85], v[100:101]
	s_waitcnt vmcnt(31) lgkmcnt(1)
	v_mul_f64 v[100:101], v[70:71], v[124:125]
	v_add_f64 v[2:3], v[2:3], v[92:93]
	;; [unrolled: 9-line block ×5, first 2 shown]
	s_waitcnt vmcnt(16)
	v_fma_f64 v[98:99], v[76:77], v[134:135], -v[98:99]
	v_mul_f64 v[92:93], v[68:69], v[140:141]
	v_fma_f64 v[90:91], v[78:79], v[134:135], v[90:91]
	ds_read_b128 v[76:79], v1 offset:960
	v_add_f64 v[84:85], v[84:85], v[102:103]
	v_add_f64 v[2:3], v[2:3], v[96:97]
	s_waitcnt vmcnt(15) lgkmcnt(1)
	v_mul_f64 v[102:103], v[74:75], v[142:143]
	v_mul_f64 v[96:97], v[72:73], v[142:143]
	s_waitcnt vmcnt(13)
	v_fma_f64 v[100:101], v[68:69], v[82:83], -v[100:101]
	v_fma_f64 v[82:83], v[70:71], v[82:83], v[92:93]
	ds_read_b128 v[68:71], v1 offset:976
	v_add_f64 v[84:85], v[84:85], v[98:99]
	v_add_f64 v[2:3], v[2:3], v[90:91]
	s_waitcnt vmcnt(9) lgkmcnt(1)
	v_mul_f64 v[90:91], v[76:77], v[86:87]
	v_mul_f64 v[86:87], v[78:79], v[86:87]
	s_waitcnt vmcnt(8)
	v_fma_f64 v[72:73], v[72:73], v[144:145], -v[102:103]
	v_fma_f64 v[74:75], v[74:75], v[144:145], v[96:97]
	v_add_f64 v[84:85], v[84:85], v[100:101]
	v_add_f64 v[2:3], v[2:3], v[82:83]
	s_waitcnt vmcnt(7) lgkmcnt(0)
	v_mul_f64 v[92:93], v[70:71], v[146:147]
	v_mul_f64 v[82:83], v[68:69], v[146:147]
	s_waitcnt vmcnt(5)
	v_fma_f64 v[76:77], v[76:77], v[80:81], -v[86:87]
	v_fma_f64 v[78:79], v[78:79], v[80:81], v[90:91]
	v_add_f64 v[72:73], v[84:85], v[72:73]
	v_add_f64 v[2:3], v[2:3], v[74:75]
	s_waitcnt vmcnt(4)
	v_fma_f64 v[68:69], v[68:69], v[151:152], -v[92:93]
	v_fma_f64 v[70:71], v[70:71], v[151:152], v[82:83]
	v_add_f64 v[72:73], v[72:73], v[76:77]
	v_add_f64 v[2:3], v[2:3], v[78:79]
	;; [unrolled: 1-line block ×4, first 2 shown]
	s_waitcnt vmcnt(2)
	v_add_f64 v[68:69], v[88:89], -v[68:69]
	s_waitcnt vmcnt(0)
	v_add_f64 v[2:3], v[94:95], -v[2:3]
	buffer_store_dword v69, off, s[0:3], 0 offset:196
	buffer_store_dword v68, off, s[0:3], 0 offset:192
	;; [unrolled: 1-line block ×4, first 2 shown]
	v_cmpx_lt_u32_e32 10, v0
	s_cbranch_execz .LBB30_179
; %bb.178:
	v_mov_b32_e32 v2, s33
	s_clause 0x3
	buffer_load_dword v68, v2, s[0:3], 0 offen
	buffer_load_dword v69, v2, s[0:3], 0 offen offset:4
	buffer_load_dword v70, v2, s[0:3], 0 offen offset:8
	buffer_load_dword v71, v2, s[0:3], 0 offen offset:12
	buffer_store_dword v1, off, s[0:3], 0 offset:176
	buffer_store_dword v1, off, s[0:3], 0 offset:180
	;; [unrolled: 1-line block ×4, first 2 shown]
	s_waitcnt vmcnt(0)
	ds_write_b128 v67, v[68:71]
.LBB30_179:
	s_or_b32 exec_lo, exec_lo, s4
	s_waitcnt lgkmcnt(0)
	s_waitcnt_vscnt null, 0x0
	s_barrier
	buffer_gl0_inv
	s_clause 0x37
	buffer_load_dword v2, off, s[0:3], 0 offset:200
	buffer_load_dword v3, off, s[0:3], 0 offset:204
	;; [unrolled: 1-line block ×56, first 2 shown]
	ds_read_b128 v[68:71], v1 offset:672
	s_clause 0x2
	buffer_load_dword v133, off, s[0:3], 0 offset:428
	buffer_load_dword v137, off, s[0:3], 0 offset:404
	;; [unrolled: 1-line block ×3, first 2 shown]
	ds_read_b128 v[72:75], v1 offset:688
	s_clause 0x4
	buffer_load_dword v141, off, s[0:3], 0 offset:444
	buffer_load_dword v142, off, s[0:3], 0 offset:456
	;; [unrolled: 1-line block ×5, first 2 shown]
	ds_read_b128 v[76:79], v1 offset:704
	s_mov_b32 s4, exec_lo
	s_waitcnt vmcnt(62) lgkmcnt(2)
	v_mul_f64 v[138:139], v[70:71], v[2:3]
	v_mul_f64 v[2:3], v[68:69], v[2:3]
	s_waitcnt vmcnt(60) lgkmcnt(1)
	v_mul_f64 v[145:146], v[74:75], v[80:81]
	v_mul_f64 v[80:81], v[72:73], v[80:81]
	;; [unrolled: 3-line block ×3, first 2 shown]
	v_fma_f64 v[138:139], v[68:69], v[82:83], -v[138:139]
	v_fma_f64 v[2:3], v[70:71], v[82:83], v[2:3]
	s_clause 0x2
	buffer_load_dword v143, off, s[0:3], 0 offset:460
	buffer_load_dword v83, off, s[0:3], 0 offset:436
	;; [unrolled: 1-line block ×3, first 2 shown]
	s_waitcnt vmcnt(57)
	v_fma_f64 v[149:150], v[72:73], v[86:87], -v[145:146]
	ds_read_b128 v[68:71], v1 offset:720
	v_fma_f64 v[80:81], v[74:75], v[86:87], v[80:81]
	s_clause 0x4
	buffer_load_dword v87, off, s[0:3], 0 offset:476
	buffer_load_dword v146, off, s[0:3], 0 offset:488
	;; [unrolled: 1-line block ×5, first 2 shown]
	s_waitcnt vmcnt(56)
	v_fma_f64 v[84:85], v[76:77], v[94:95], -v[84:85]
	ds_read_b128 v[72:75], v1 offset:736
	v_fma_f64 v[94:95], v[78:79], v[94:95], v[147:148]
	v_add_f64 v[138:139], v[138:139], 0
	v_add_f64 v[2:3], v[2:3], 0
	s_waitcnt lgkmcnt(1)
	v_mul_f64 v[152:153], v[68:69], v[88:89]
	v_mul_f64 v[88:89], v[70:71], v[88:89]
	v_add_f64 v[138:139], v[138:139], v[149:150]
	v_add_f64 v[2:3], v[2:3], v[80:81]
	s_clause 0x2
	buffer_load_dword v147, off, s[0:3], 0 offset:492
	buffer_load_dword v81, off, s[0:3], 0 offset:468
	;; [unrolled: 1-line block ×3, first 2 shown]
	s_waitcnt vmcnt(58) lgkmcnt(0)
	v_mul_f64 v[148:149], v[72:73], v[90:91]
	v_mul_f64 v[90:91], v[74:75], v[90:91]
	s_waitcnt vmcnt(56)
	v_fma_f64 v[88:89], v[68:69], v[96:97], -v[88:89]
	ds_read_b128 v[76:79], v1 offset:752
	v_fma_f64 v[96:97], v[70:71], v[96:97], v[152:153]
	v_add_f64 v[84:85], v[138:139], v[84:85]
	v_add_f64 v[2:3], v[2:3], v[94:95]
	s_clause 0x2
	buffer_load_dword v95, off, s[0:3], 0 offset:508
	buffer_load_dword v94, off, s[0:3], 0 offset:504
	;; [unrolled: 1-line block ×3, first 2 shown]
	ds_read_b128 v[68:71], v1 offset:768
	s_waitcnt vmcnt(55) lgkmcnt(1)
	v_mul_f64 v[138:139], v[76:77], v[98:99]
	v_mul_f64 v[98:99], v[78:79], v[98:99]
	s_waitcnt vmcnt(54)
	v_fma_f64 v[90:91], v[72:73], v[92:93], -v[90:91]
	v_add_f64 v[84:85], v[84:85], v[88:89]
	v_fma_f64 v[88:89], v[74:75], v[92:93], v[148:149]
	v_add_f64 v[2:3], v[2:3], v[96:97]
	s_clause 0x1
	buffer_load_dword v93, off, s[0:3], 0 offset:500
	buffer_load_dword v92, off, s[0:3], 0 offset:496
	s_waitcnt vmcnt(55) lgkmcnt(0)
	v_mul_f64 v[96:97], v[68:69], v[100:101]
	v_mul_f64 v[100:101], v[70:71], v[100:101]
	s_waitcnt vmcnt(53)
	v_fma_f64 v[98:99], v[76:77], v[104:105], -v[98:99]
	ds_read_b128 v[72:75], v1 offset:784
	v_add_f64 v[84:85], v[84:85], v[90:91]
	v_fma_f64 v[90:91], v[78:79], v[104:105], v[138:139]
	v_add_f64 v[2:3], v[2:3], v[88:89]
	ds_read_b128 v[76:79], v1 offset:800
	s_waitcnt vmcnt(48)
	v_fma_f64 v[96:97], v[70:71], v[102:103], v[96:97]
	s_waitcnt lgkmcnt(1)
	v_mul_f64 v[104:105], v[74:75], v[106:107]
	v_fma_f64 v[100:101], v[68:69], v[102:103], -v[100:101]
	v_mul_f64 v[88:89], v[72:73], v[106:107]
	v_add_f64 v[84:85], v[84:85], v[98:99]
	s_waitcnt vmcnt(47) lgkmcnt(0)
	v_mul_f64 v[106:107], v[78:79], v[108:109]
	v_add_f64 v[2:3], v[2:3], v[90:91]
	s_clause 0x3
	buffer_load_dword v90, off, s[0:3], 0 offset:176
	buffer_load_dword v91, off, s[0:3], 0 offset:180
	;; [unrolled: 1-line block ×4, first 2 shown]
	ds_read_b128 v[68:71], v1 offset:816
	s_waitcnt vmcnt(49)
	v_fma_f64 v[104:105], v[72:73], v[112:113], -v[104:105]
	v_mul_f64 v[102:103], v[76:77], v[108:109]
	v_fma_f64 v[88:89], v[74:75], v[112:113], v[88:89]
	ds_read_b128 v[72:75], v1 offset:832
	v_add_f64 v[84:85], v[84:85], v[100:101]
	s_waitcnt vmcnt(44)
	v_fma_f64 v[106:107], v[76:77], v[110:111], -v[106:107]
	v_add_f64 v[2:3], v[2:3], v[96:97]
	s_waitcnt lgkmcnt(1)
	v_mul_f64 v[100:101], v[70:71], v[114:115]
	v_mul_f64 v[96:97], v[68:69], v[114:115]
	v_fma_f64 v[102:103], v[78:79], v[110:111], v[102:103]
	ds_read_b128 v[76:79], v1 offset:848
	v_add_f64 v[84:85], v[84:85], v[104:105]
	s_waitcnt vmcnt(43) lgkmcnt(1)
	v_mul_f64 v[104:105], v[74:75], v[116:117]
	v_add_f64 v[2:3], v[2:3], v[88:89]
	s_waitcnt vmcnt(41)
	v_fma_f64 v[100:101], v[68:69], v[120:121], -v[100:101]
	v_mul_f64 v[88:89], v[72:73], v[116:117]
	v_fma_f64 v[96:97], v[70:71], v[120:121], v[96:97]
	ds_read_b128 v[68:71], v1 offset:864
	v_add_f64 v[84:85], v[84:85], v[106:107]
	s_waitcnt vmcnt(37) lgkmcnt(1)
	v_mul_f64 v[106:107], v[78:79], v[122:123]
	v_add_f64 v[2:3], v[2:3], v[102:103]
	s_waitcnt vmcnt(36)
	v_fma_f64 v[104:105], v[72:73], v[118:119], -v[104:105]
	;; [unrolled: 9-line block ×6, first 2 shown]
	v_mul_f64 v[96:97], v[68:69], v[140:141]
	v_fma_f64 v[102:103], v[78:79], v[134:135], v[102:103]
	ds_read_b128 v[76:79], v1 offset:944
	v_add_f64 v[84:85], v[84:85], v[104:105]
	v_add_f64 v[2:3], v[2:3], v[88:89]
	s_waitcnt vmcnt(19) lgkmcnt(1)
	v_mul_f64 v[104:105], v[74:75], v[142:143]
	v_mul_f64 v[88:89], v[72:73], v[142:143]
	s_waitcnt vmcnt(17)
	v_fma_f64 v[100:101], v[68:69], v[82:83], -v[100:101]
	v_fma_f64 v[82:83], v[70:71], v[82:83], v[96:97]
	ds_read_b128 v[68:71], v1 offset:960
	s_waitcnt vmcnt(13) lgkmcnt(1)
	v_mul_f64 v[96:97], v[76:77], v[86:87]
	v_mul_f64 v[86:87], v[78:79], v[86:87]
	v_add_f64 v[84:85], v[84:85], v[106:107]
	v_add_f64 v[2:3], v[2:3], v[102:103]
	s_waitcnt vmcnt(12)
	v_fma_f64 v[72:73], v[72:73], v[144:145], -v[104:105]
	v_fma_f64 v[74:75], v[74:75], v[144:145], v[88:89]
	v_add_f64 v[84:85], v[84:85], v[100:101]
	v_add_f64 v[82:83], v[2:3], v[82:83]
	ds_read_b128 v[1:4], v1 offset:976
	s_waitcnt vmcnt(11) lgkmcnt(1)
	v_mul_f64 v[100:101], v[70:71], v[146:147]
	v_mul_f64 v[88:89], v[68:69], v[146:147]
	s_waitcnt vmcnt(9)
	v_fma_f64 v[76:77], v[76:77], v[80:81], -v[86:87]
	v_fma_f64 v[78:79], v[78:79], v[80:81], v[96:97]
	v_add_f64 v[72:73], v[84:85], v[72:73]
	v_add_f64 v[74:75], v[82:83], v[74:75]
	s_waitcnt vmcnt(7) lgkmcnt(0)
	v_mul_f64 v[82:83], v[3:4], v[94:95]
	s_waitcnt vmcnt(6)
	v_fma_f64 v[68:69], v[68:69], v[151:152], -v[100:101]
	v_mul_f64 v[80:81], v[1:2], v[94:95]
	v_fma_f64 v[70:71], v[70:71], v[151:152], v[88:89]
	v_add_f64 v[72:73], v[72:73], v[76:77]
	v_add_f64 v[74:75], v[74:75], v[78:79]
	s_waitcnt vmcnt(4)
	v_fma_f64 v[1:2], v[1:2], v[92:93], -v[82:83]
	v_fma_f64 v[3:4], v[3:4], v[92:93], v[80:81]
	v_add_f64 v[68:69], v[72:73], v[68:69]
	v_add_f64 v[70:71], v[74:75], v[70:71]
	;; [unrolled: 1-line block ×4, first 2 shown]
	s_waitcnt vmcnt(2)
	v_add_f64 v[1:2], v[90:91], -v[1:2]
	s_waitcnt vmcnt(0)
	v_add_f64 v[3:4], v[98:99], -v[3:4]
	buffer_store_dword v2, off, s[0:3], 0 offset:180
	buffer_store_dword v1, off, s[0:3], 0 offset:176
	;; [unrolled: 1-line block ×4, first 2 shown]
	v_cmpx_lt_u32_e32 9, v0
	s_cbranch_execz .LBB30_181
; %bb.180:
	v_mov_b32_e32 v4, s34
	v_mov_b32_e32 v68, 0
	s_clause 0x3
	buffer_load_dword v1, v4, s[0:3], 0 offen
	buffer_load_dword v2, v4, s[0:3], 0 offen offset:4
	buffer_load_dword v3, v4, s[0:3], 0 offen offset:8
	;; [unrolled: 1-line block ×3, first 2 shown]
	buffer_store_dword v68, off, s[0:3], 0 offset:160
	buffer_store_dword v68, off, s[0:3], 0 offset:164
	buffer_store_dword v68, off, s[0:3], 0 offset:168
	buffer_store_dword v68, off, s[0:3], 0 offset:172
	s_waitcnt vmcnt(0)
	ds_write_b128 v67, v[1:4]
.LBB30_181:
	s_or_b32 exec_lo, exec_lo, s4
	s_waitcnt lgkmcnt(0)
	s_waitcnt_vscnt null, 0x0
	s_barrier
	buffer_gl0_inv
	s_clause 0x37
	buffer_load_dword v2, off, s[0:3], 0 offset:184
	buffer_load_dword v3, off, s[0:3], 0 offset:188
	;; [unrolled: 1-line block ×56, first 2 shown]
	v_mov_b32_e32 v1, 0
	s_mov_b32 s4, exec_lo
	ds_read_b128 v[68:71], v1 offset:656
	s_clause 0x2
	buffer_load_dword v133, off, s[0:3], 0 offset:412
	buffer_load_dword v137, off, s[0:3], 0 offset:388
	;; [unrolled: 1-line block ×3, first 2 shown]
	ds_read_b128 v[72:75], v1 offset:672
	s_clause 0x4
	buffer_load_dword v141, off, s[0:3], 0 offset:428
	buffer_load_dword v142, off, s[0:3], 0 offset:440
	;; [unrolled: 1-line block ×5, first 2 shown]
	ds_read_b128 v[76:79], v1 offset:688
	s_waitcnt vmcnt(62) lgkmcnt(2)
	v_mul_f64 v[138:139], v[70:71], v[2:3]
	v_mul_f64 v[2:3], v[68:69], v[2:3]
	s_waitcnt vmcnt(60) lgkmcnt(1)
	v_mul_f64 v[145:146], v[74:75], v[80:81]
	v_mul_f64 v[80:81], v[72:73], v[80:81]
	;; [unrolled: 3-line block ×3, first 2 shown]
	v_fma_f64 v[138:139], v[68:69], v[82:83], -v[138:139]
	v_fma_f64 v[2:3], v[70:71], v[82:83], v[2:3]
	s_clause 0x2
	buffer_load_dword v143, off, s[0:3], 0 offset:444
	buffer_load_dword v83, off, s[0:3], 0 offset:420
	buffer_load_dword v82, off, s[0:3], 0 offset:416
	s_waitcnt vmcnt(57)
	v_fma_f64 v[149:150], v[72:73], v[86:87], -v[145:146]
	ds_read_b128 v[68:71], v1 offset:704
	v_fma_f64 v[80:81], v[74:75], v[86:87], v[80:81]
	s_clause 0x4
	buffer_load_dword v87, off, s[0:3], 0 offset:460
	buffer_load_dword v146, off, s[0:3], 0 offset:472
	;; [unrolled: 1-line block ×5, first 2 shown]
	s_waitcnt vmcnt(56)
	v_fma_f64 v[84:85], v[76:77], v[94:95], -v[84:85]
	ds_read_b128 v[72:75], v1 offset:720
	v_fma_f64 v[94:95], v[78:79], v[94:95], v[147:148]
	v_add_f64 v[138:139], v[138:139], 0
	v_add_f64 v[2:3], v[2:3], 0
	s_waitcnt lgkmcnt(1)
	v_mul_f64 v[152:153], v[68:69], v[88:89]
	v_mul_f64 v[88:89], v[70:71], v[88:89]
	v_add_f64 v[138:139], v[138:139], v[149:150]
	v_add_f64 v[2:3], v[2:3], v[80:81]
	s_clause 0x2
	buffer_load_dword v147, off, s[0:3], 0 offset:476
	buffer_load_dword v81, off, s[0:3], 0 offset:452
	;; [unrolled: 1-line block ×3, first 2 shown]
	s_waitcnt vmcnt(58) lgkmcnt(0)
	v_mul_f64 v[148:149], v[72:73], v[90:91]
	v_mul_f64 v[90:91], v[74:75], v[90:91]
	s_waitcnt vmcnt(56)
	v_fma_f64 v[88:89], v[68:69], v[96:97], -v[88:89]
	ds_read_b128 v[76:79], v1 offset:736
	v_fma_f64 v[96:97], v[70:71], v[96:97], v[152:153]
	v_add_f64 v[84:85], v[138:139], v[84:85]
	v_add_f64 v[2:3], v[2:3], v[94:95]
	s_clause 0x4
	buffer_load_dword v95, off, s[0:3], 0 offset:492
	buffer_load_dword v138, off, s[0:3], 0 offset:504
	;; [unrolled: 1-line block ×5, first 2 shown]
	ds_read_b128 v[68:71], v1 offset:752
	s_waitcnt vmcnt(57) lgkmcnt(1)
	v_mul_f64 v[154:155], v[76:77], v[98:99]
	v_mul_f64 v[98:99], v[78:79], v[98:99]
	s_waitcnt vmcnt(56)
	v_fma_f64 v[90:91], v[72:73], v[92:93], -v[90:91]
	v_add_f64 v[84:85], v[84:85], v[88:89]
	v_fma_f64 v[88:89], v[74:75], v[92:93], v[148:149]
	v_add_f64 v[2:3], v[2:3], v[96:97]
	s_clause 0x2
	buffer_load_dword v139, off, s[0:3], 0 offset:508
	buffer_load_dword v93, off, s[0:3], 0 offset:484
	;; [unrolled: 1-line block ×3, first 2 shown]
	s_waitcnt vmcnt(58) lgkmcnt(0)
	v_mul_f64 v[96:97], v[68:69], v[100:101]
	v_mul_f64 v[100:101], v[70:71], v[100:101]
	s_waitcnt vmcnt(56)
	v_fma_f64 v[98:99], v[76:77], v[104:105], -v[98:99]
	ds_read_b128 v[72:75], v1 offset:768
	v_add_f64 v[84:85], v[84:85], v[90:91]
	v_fma_f64 v[90:91], v[78:79], v[104:105], v[154:155]
	v_add_f64 v[2:3], v[2:3], v[88:89]
	buffer_load_dword v154, off, s[0:3], 0 offset:500
	ds_read_b128 v[76:79], v1 offset:784
	s_waitcnt vmcnt(53) lgkmcnt(1)
	v_mul_f64 v[104:105], v[74:75], v[106:107]
	s_waitcnt vmcnt(52)
	v_fma_f64 v[100:101], v[68:69], v[102:103], -v[100:101]
	v_mul_f64 v[88:89], v[72:73], v[106:107]
	v_fma_f64 v[96:97], v[70:71], v[102:103], v[96:97]
	ds_read_b128 v[68:71], v1 offset:800
	v_add_f64 v[84:85], v[84:85], v[98:99]
	v_add_f64 v[2:3], v[2:3], v[90:91]
	s_waitcnt vmcnt(51) lgkmcnt(1)
	v_mul_f64 v[98:99], v[78:79], v[108:109]
	v_mul_f64 v[90:91], v[76:77], v[108:109]
	s_waitcnt vmcnt(49)
	v_fma_f64 v[102:103], v[72:73], v[112:113], -v[104:105]
	v_fma_f64 v[88:89], v[74:75], v[112:113], v[88:89]
	s_waitcnt vmcnt(45) lgkmcnt(0)
	v_mul_f64 v[106:107], v[70:71], v[114:115]
	v_mul_f64 v[104:105], v[68:69], v[114:115]
	v_add_f64 v[84:85], v[84:85], v[100:101]
	v_add_f64 v[2:3], v[2:3], v[96:97]
	s_clause 0x3
	buffer_load_dword v96, off, s[0:3], 0 offset:160
	buffer_load_dword v97, off, s[0:3], 0 offset:164
	;; [unrolled: 1-line block ×4, first 2 shown]
	s_waitcnt vmcnt(48)
	v_fma_f64 v[98:99], v[76:77], v[110:111], -v[98:99]
	ds_read_b128 v[72:75], v1 offset:816
	v_fma_f64 v[90:91], v[78:79], v[110:111], v[90:91]
	ds_read_b128 v[76:79], v1 offset:832
	s_waitcnt vmcnt(45)
	v_fma_f64 v[106:107], v[68:69], v[120:121], -v[106:107]
	v_add_f64 v[84:85], v[84:85], v[102:103]
	v_add_f64 v[2:3], v[2:3], v[88:89]
	s_waitcnt lgkmcnt(1)
	v_mul_f64 v[102:103], v[74:75], v[116:117]
	v_mul_f64 v[88:89], v[72:73], v[116:117]
	v_add_f64 v[84:85], v[84:85], v[98:99]
	v_fma_f64 v[98:99], v[70:71], v[120:121], v[104:105]
	v_add_f64 v[2:3], v[2:3], v[90:91]
	s_waitcnt vmcnt(41) lgkmcnt(0)
	v_mul_f64 v[104:105], v[78:79], v[122:123]
	s_waitcnt vmcnt(40)
	v_fma_f64 v[102:103], v[72:73], v[118:119], -v[102:103]
	ds_read_b128 v[68:71], v1 offset:848
	v_mul_f64 v[90:91], v[76:77], v[122:123]
	v_fma_f64 v[88:89], v[74:75], v[118:119], v[88:89]
	ds_read_b128 v[72:75], v1 offset:864
	v_add_f64 v[84:85], v[84:85], v[106:107]
	v_add_f64 v[2:3], v[2:3], v[98:99]
	s_waitcnt vmcnt(39) lgkmcnt(1)
	v_mul_f64 v[106:107], v[70:71], v[124:125]
	s_waitcnt vmcnt(37)
	v_fma_f64 v[104:105], v[76:77], v[128:129], -v[104:105]
	v_mul_f64 v[98:99], v[68:69], v[124:125]
	v_fma_f64 v[90:91], v[78:79], v[128:129], v[90:91]
	ds_read_b128 v[76:79], v1 offset:880
	v_add_f64 v[84:85], v[84:85], v[102:103]
	s_waitcnt vmcnt(33) lgkmcnt(1)
	v_mul_f64 v[102:103], v[74:75], v[130:131]
	v_add_f64 v[2:3], v[2:3], v[88:89]
	s_waitcnt vmcnt(32)
	v_fma_f64 v[106:107], v[68:69], v[126:127], -v[106:107]
	v_mul_f64 v[88:89], v[72:73], v[130:131]
	v_fma_f64 v[98:99], v[70:71], v[126:127], v[98:99]
	ds_read_b128 v[68:71], v1 offset:896
	v_add_f64 v[84:85], v[84:85], v[104:105]
	s_waitcnt vmcnt(31) lgkmcnt(1)
	v_mul_f64 v[104:105], v[78:79], v[132:133]
	v_add_f64 v[2:3], v[2:3], v[90:91]
	;; [unrolled: 9-line block ×3, first 2 shown]
	s_waitcnt vmcnt(24)
	v_fma_f64 v[104:105], v[76:77], v[134:135], -v[104:105]
	v_mul_f64 v[98:99], v[68:69], v[140:141]
	v_fma_f64 v[90:91], v[78:79], v[134:135], v[90:91]
	ds_read_b128 v[76:79], v1 offset:928
	v_add_f64 v[84:85], v[84:85], v[102:103]
	v_add_f64 v[2:3], v[2:3], v[88:89]
	s_waitcnt vmcnt(23) lgkmcnt(1)
	v_mul_f64 v[102:103], v[74:75], v[142:143]
	v_mul_f64 v[88:89], v[72:73], v[142:143]
	s_waitcnt vmcnt(21)
	v_fma_f64 v[106:107], v[68:69], v[82:83], -v[106:107]
	v_fma_f64 v[82:83], v[70:71], v[82:83], v[98:99]
	ds_read_b128 v[68:71], v1 offset:944
	v_add_f64 v[84:85], v[84:85], v[104:105]
	v_add_f64 v[2:3], v[2:3], v[90:91]
	s_waitcnt vmcnt(17) lgkmcnt(1)
	v_mul_f64 v[90:91], v[76:77], v[86:87]
	v_mul_f64 v[86:87], v[78:79], v[86:87]
	s_waitcnt vmcnt(16)
	v_fma_f64 v[98:99], v[72:73], v[144:145], -v[102:103]
	;; [unrolled: 9-line block ×3, first 2 shown]
	v_fma_f64 v[80:81], v[78:79], v[80:81], v[90:91]
	ds_read_b128 v[76:79], v1 offset:976
	v_add_f64 v[84:85], v[84:85], v[98:99]
	v_add_f64 v[2:3], v[2:3], v[88:89]
	s_waitcnt vmcnt(9) lgkmcnt(1)
	v_mul_f64 v[90:91], v[74:75], v[94:95]
	s_waitcnt vmcnt(8)
	v_fma_f64 v[68:69], v[68:69], v[151:152], -v[102:103]
	v_mul_f64 v[88:89], v[72:73], v[94:95]
	v_fma_f64 v[70:71], v[70:71], v[151:152], v[82:83]
	v_add_f64 v[84:85], v[84:85], v[86:87]
	v_add_f64 v[2:3], v[2:3], v[80:81]
	s_waitcnt vmcnt(7) lgkmcnt(0)
	v_mul_f64 v[82:83], v[78:79], v[138:139]
	v_mul_f64 v[80:81], v[76:77], v[138:139]
	s_waitcnt vmcnt(5)
	v_fma_f64 v[72:73], v[72:73], v[92:93], -v[90:91]
	v_fma_f64 v[74:75], v[74:75], v[92:93], v[88:89]
	v_add_f64 v[68:69], v[84:85], v[68:69]
	v_add_f64 v[2:3], v[2:3], v[70:71]
	s_waitcnt vmcnt(4)
	v_fma_f64 v[70:71], v[76:77], v[153:154], -v[82:83]
	v_add_f64 v[68:69], v[68:69], v[72:73]
	v_fma_f64 v[72:73], v[78:79], v[153:154], v[80:81]
	v_add_f64 v[2:3], v[2:3], v[74:75]
	v_add_f64 v[68:69], v[68:69], v[70:71]
	;; [unrolled: 1-line block ×3, first 2 shown]
	s_waitcnt vmcnt(2)
	v_add_f64 v[68:69], v[96:97], -v[68:69]
	s_waitcnt vmcnt(0)
	v_add_f64 v[2:3], v[100:101], -v[2:3]
	buffer_store_dword v69, off, s[0:3], 0 offset:164
	buffer_store_dword v68, off, s[0:3], 0 offset:160
	;; [unrolled: 1-line block ×4, first 2 shown]
	v_cmpx_lt_u32_e32 8, v0
	s_cbranch_execz .LBB30_183
; %bb.182:
	v_mov_b32_e32 v2, s35
	s_clause 0x3
	buffer_load_dword v68, v2, s[0:3], 0 offen
	buffer_load_dword v69, v2, s[0:3], 0 offen offset:4
	buffer_load_dword v70, v2, s[0:3], 0 offen offset:8
	;; [unrolled: 1-line block ×3, first 2 shown]
	buffer_store_dword v1, off, s[0:3], 0 offset:144
	buffer_store_dword v1, off, s[0:3], 0 offset:148
	;; [unrolled: 1-line block ×4, first 2 shown]
	s_waitcnt vmcnt(0)
	ds_write_b128 v67, v[68:71]
.LBB30_183:
	s_or_b32 exec_lo, exec_lo, s4
	s_waitcnt lgkmcnt(0)
	s_waitcnt_vscnt null, 0x0
	s_barrier
	buffer_gl0_inv
	s_clause 0x37
	buffer_load_dword v2, off, s[0:3], 0 offset:168
	buffer_load_dword v3, off, s[0:3], 0 offset:172
	;; [unrolled: 1-line block ×56, first 2 shown]
	ds_read_b128 v[68:71], v1 offset:640
	s_clause 0x2
	buffer_load_dword v133, off, s[0:3], 0 offset:396
	buffer_load_dword v137, off, s[0:3], 0 offset:372
	;; [unrolled: 1-line block ×3, first 2 shown]
	ds_read_b128 v[72:75], v1 offset:656
	s_clause 0x4
	buffer_load_dword v141, off, s[0:3], 0 offset:412
	buffer_load_dword v142, off, s[0:3], 0 offset:424
	;; [unrolled: 1-line block ×5, first 2 shown]
	ds_read_b128 v[76:79], v1 offset:672
	s_mov_b32 s4, exec_lo
	s_waitcnt vmcnt(62) lgkmcnt(2)
	v_mul_f64 v[138:139], v[70:71], v[2:3]
	v_mul_f64 v[2:3], v[68:69], v[2:3]
	s_waitcnt vmcnt(60) lgkmcnt(1)
	v_mul_f64 v[145:146], v[74:75], v[80:81]
	v_mul_f64 v[80:81], v[72:73], v[80:81]
	;; [unrolled: 3-line block ×3, first 2 shown]
	v_fma_f64 v[138:139], v[68:69], v[82:83], -v[138:139]
	v_fma_f64 v[2:3], v[70:71], v[82:83], v[2:3]
	s_clause 0x2
	buffer_load_dword v143, off, s[0:3], 0 offset:428
	buffer_load_dword v83, off, s[0:3], 0 offset:404
	;; [unrolled: 1-line block ×3, first 2 shown]
	s_waitcnt vmcnt(57)
	v_fma_f64 v[149:150], v[72:73], v[86:87], -v[145:146]
	ds_read_b128 v[68:71], v1 offset:688
	v_fma_f64 v[80:81], v[74:75], v[86:87], v[80:81]
	s_clause 0x4
	buffer_load_dword v87, off, s[0:3], 0 offset:444
	buffer_load_dword v146, off, s[0:3], 0 offset:456
	;; [unrolled: 1-line block ×5, first 2 shown]
	s_waitcnt vmcnt(56)
	v_fma_f64 v[84:85], v[76:77], v[94:95], -v[84:85]
	ds_read_b128 v[72:75], v1 offset:704
	v_fma_f64 v[94:95], v[78:79], v[94:95], v[147:148]
	v_add_f64 v[138:139], v[138:139], 0
	v_add_f64 v[2:3], v[2:3], 0
	s_waitcnt lgkmcnt(1)
	v_mul_f64 v[152:153], v[68:69], v[88:89]
	v_mul_f64 v[88:89], v[70:71], v[88:89]
	v_add_f64 v[138:139], v[138:139], v[149:150]
	v_add_f64 v[2:3], v[2:3], v[80:81]
	s_clause 0x2
	buffer_load_dword v147, off, s[0:3], 0 offset:460
	buffer_load_dword v81, off, s[0:3], 0 offset:436
	;; [unrolled: 1-line block ×3, first 2 shown]
	s_waitcnt vmcnt(58) lgkmcnt(0)
	v_mul_f64 v[148:149], v[72:73], v[90:91]
	v_mul_f64 v[90:91], v[74:75], v[90:91]
	s_waitcnt vmcnt(56)
	v_fma_f64 v[88:89], v[68:69], v[96:97], -v[88:89]
	ds_read_b128 v[76:79], v1 offset:720
	v_fma_f64 v[96:97], v[70:71], v[96:97], v[152:153]
	v_add_f64 v[84:85], v[138:139], v[84:85]
	v_add_f64 v[2:3], v[2:3], v[94:95]
	s_clause 0x4
	buffer_load_dword v95, off, s[0:3], 0 offset:476
	buffer_load_dword v138, off, s[0:3], 0 offset:488
	;; [unrolled: 1-line block ×5, first 2 shown]
	ds_read_b128 v[68:71], v1 offset:736
	s_waitcnt vmcnt(57) lgkmcnt(1)
	v_mul_f64 v[154:155], v[76:77], v[98:99]
	v_mul_f64 v[98:99], v[78:79], v[98:99]
	s_waitcnt vmcnt(56)
	v_fma_f64 v[90:91], v[72:73], v[92:93], -v[90:91]
	v_add_f64 v[84:85], v[84:85], v[88:89]
	v_fma_f64 v[88:89], v[74:75], v[92:93], v[148:149]
	v_add_f64 v[2:3], v[2:3], v[96:97]
	s_clause 0x2
	buffer_load_dword v139, off, s[0:3], 0 offset:492
	buffer_load_dword v93, off, s[0:3], 0 offset:468
	;; [unrolled: 1-line block ×3, first 2 shown]
	s_waitcnt vmcnt(58) lgkmcnt(0)
	v_mul_f64 v[96:97], v[68:69], v[100:101]
	v_mul_f64 v[100:101], v[70:71], v[100:101]
	s_waitcnt vmcnt(56)
	v_fma_f64 v[98:99], v[76:77], v[104:105], -v[98:99]
	ds_read_b128 v[72:75], v1 offset:752
	v_add_f64 v[84:85], v[84:85], v[90:91]
	v_fma_f64 v[90:91], v[78:79], v[104:105], v[154:155]
	v_add_f64 v[2:3], v[2:3], v[88:89]
	s_clause 0x2
	buffer_load_dword v89, off, s[0:3], 0 offset:508
	buffer_load_dword v88, off, s[0:3], 0 offset:504
	;; [unrolled: 1-line block ×3, first 2 shown]
	ds_read_b128 v[76:79], v1 offset:768
	s_waitcnt vmcnt(55) lgkmcnt(1)
	v_mul_f64 v[104:105], v[72:73], v[106:107]
	v_mul_f64 v[106:107], v[74:75], v[106:107]
	s_waitcnt vmcnt(54)
	v_fma_f64 v[100:101], v[68:69], v[102:103], -v[100:101]
	v_fma_f64 v[96:97], v[70:71], v[102:103], v[96:97]
	v_add_f64 v[84:85], v[84:85], v[98:99]
	v_add_f64 v[2:3], v[2:3], v[90:91]
	s_clause 0x1
	buffer_load_dword v91, off, s[0:3], 0 offset:500
	buffer_load_dword v90, off, s[0:3], 0 offset:496
	s_waitcnt vmcnt(55) lgkmcnt(0)
	v_mul_f64 v[102:103], v[78:79], v[108:109]
	ds_read_b128 v[68:71], v1 offset:784
	s_waitcnt vmcnt(53)
	v_fma_f64 v[106:107], v[72:73], v[112:113], -v[106:107]
	v_mul_f64 v[98:99], v[76:77], v[108:109]
	v_add_f64 v[84:85], v[84:85], v[100:101]
	v_fma_f64 v[100:101], v[74:75], v[112:113], v[104:105]
	v_add_f64 v[2:3], v[2:3], v[96:97]
	ds_read_b128 v[72:75], v1 offset:800
	s_waitcnt vmcnt(49) lgkmcnt(1)
	v_mul_f64 v[104:105], v[70:71], v[114:115]
	s_waitcnt vmcnt(48)
	v_fma_f64 v[102:103], v[76:77], v[110:111], -v[102:103]
	v_mul_f64 v[96:97], v[68:69], v[114:115]
	v_fma_f64 v[98:99], v[78:79], v[110:111], v[98:99]
	v_add_f64 v[84:85], v[84:85], v[106:107]
	s_waitcnt vmcnt(47) lgkmcnt(0)
	v_mul_f64 v[110:111], v[74:75], v[116:117]
	v_add_f64 v[2:3], v[2:3], v[100:101]
	s_clause 0x3
	buffer_load_dword v100, off, s[0:3], 0 offset:144
	buffer_load_dword v101, off, s[0:3], 0 offset:148
	;; [unrolled: 1-line block ×4, first 2 shown]
	s_waitcnt vmcnt(49)
	v_fma_f64 v[104:105], v[68:69], v[120:121], -v[104:105]
	ds_read_b128 v[76:79], v1 offset:816
	v_mul_f64 v[108:109], v[72:73], v[116:117]
	v_fma_f64 v[96:97], v[70:71], v[120:121], v[96:97]
	ds_read_b128 v[68:71], v1 offset:832
	v_add_f64 v[84:85], v[84:85], v[102:103]
	s_waitcnt vmcnt(44)
	v_fma_f64 v[110:111], v[72:73], v[118:119], -v[110:111]
	v_add_f64 v[2:3], v[2:3], v[98:99]
	s_waitcnt lgkmcnt(1)
	v_mul_f64 v[102:103], v[78:79], v[122:123]
	v_mul_f64 v[98:99], v[76:77], v[122:123]
	v_add_f64 v[84:85], v[84:85], v[104:105]
	v_fma_f64 v[104:105], v[74:75], v[118:119], v[108:109]
	v_add_f64 v[2:3], v[2:3], v[96:97]
	s_waitcnt vmcnt(43) lgkmcnt(0)
	v_mul_f64 v[108:109], v[70:71], v[124:125]
	s_waitcnt vmcnt(41)
	v_fma_f64 v[102:103], v[76:77], v[128:129], -v[102:103]
	ds_read_b128 v[72:75], v1 offset:848
	v_mul_f64 v[96:97], v[68:69], v[124:125]
	v_fma_f64 v[98:99], v[78:79], v[128:129], v[98:99]
	ds_read_b128 v[76:79], v1 offset:864
	v_add_f64 v[84:85], v[84:85], v[110:111]
	v_add_f64 v[2:3], v[2:3], v[104:105]
	s_waitcnt vmcnt(37) lgkmcnt(1)
	v_mul_f64 v[110:111], v[74:75], v[130:131]
	s_waitcnt vmcnt(36)
	v_fma_f64 v[108:109], v[68:69], v[126:127], -v[108:109]
	v_mul_f64 v[104:105], v[72:73], v[130:131]
	v_fma_f64 v[96:97], v[70:71], v[126:127], v[96:97]
	ds_read_b128 v[68:71], v1 offset:880
	v_add_f64 v[84:85], v[84:85], v[102:103]
	s_waitcnt vmcnt(35) lgkmcnt(1)
	v_mul_f64 v[102:103], v[78:79], v[132:133]
	v_add_f64 v[2:3], v[2:3], v[98:99]
	s_waitcnt vmcnt(33)
	v_fma_f64 v[110:111], v[72:73], v[136:137], -v[110:111]
	v_mul_f64 v[98:99], v[76:77], v[132:133]
	v_fma_f64 v[104:105], v[74:75], v[136:137], v[104:105]
	ds_read_b128 v[72:75], v1 offset:896
	v_add_f64 v[84:85], v[84:85], v[108:109]
	s_waitcnt vmcnt(29) lgkmcnt(1)
	v_mul_f64 v[108:109], v[70:71], v[140:141]
	v_add_f64 v[2:3], v[2:3], v[96:97]
	s_waitcnt vmcnt(28)
	v_fma_f64 v[102:103], v[76:77], v[134:135], -v[102:103]
	v_mul_f64 v[96:97], v[68:69], v[140:141]
	v_fma_f64 v[98:99], v[78:79], v[134:135], v[98:99]
	ds_read_b128 v[76:79], v1 offset:912
	v_add_f64 v[84:85], v[84:85], v[110:111]
	v_add_f64 v[2:3], v[2:3], v[104:105]
	s_waitcnt vmcnt(27) lgkmcnt(1)
	v_mul_f64 v[110:111], v[74:75], v[142:143]
	v_mul_f64 v[104:105], v[72:73], v[142:143]
	s_waitcnt vmcnt(25)
	v_fma_f64 v[108:109], v[68:69], v[82:83], -v[108:109]
	v_fma_f64 v[82:83], v[70:71], v[82:83], v[96:97]
	ds_read_b128 v[68:71], v1 offset:928
	s_waitcnt vmcnt(21) lgkmcnt(1)
	v_mul_f64 v[96:97], v[76:77], v[86:87]
	v_mul_f64 v[86:87], v[78:79], v[86:87]
	v_add_f64 v[84:85], v[84:85], v[102:103]
	v_add_f64 v[2:3], v[2:3], v[98:99]
	s_waitcnt vmcnt(20)
	v_fma_f64 v[98:99], v[72:73], v[144:145], -v[110:111]
	v_fma_f64 v[102:103], v[74:75], v[144:145], v[104:105]
	ds_read_b128 v[72:75], v1 offset:944
	v_add_f64 v[84:85], v[84:85], v[108:109]
	v_add_f64 v[2:3], v[2:3], v[82:83]
	s_waitcnt vmcnt(19) lgkmcnt(1)
	v_mul_f64 v[104:105], v[70:71], v[146:147]
	v_mul_f64 v[82:83], v[68:69], v[146:147]
	s_waitcnt vmcnt(17)
	v_fma_f64 v[86:87], v[76:77], v[80:81], -v[86:87]
	v_fma_f64 v[80:81], v[78:79], v[80:81], v[96:97]
	ds_read_b128 v[76:79], v1 offset:960
	v_add_f64 v[84:85], v[84:85], v[98:99]
	v_add_f64 v[2:3], v[2:3], v[102:103]
	s_waitcnt vmcnt(13) lgkmcnt(1)
	v_mul_f64 v[96:97], v[72:73], v[94:95]
	v_mul_f64 v[94:95], v[74:75], v[94:95]
	s_waitcnt vmcnt(12)
	v_fma_f64 v[68:69], v[68:69], v[151:152], -v[104:105]
	v_fma_f64 v[70:71], v[70:71], v[151:152], v[82:83]
	v_add_f64 v[84:85], v[84:85], v[86:87]
	v_add_f64 v[80:81], v[2:3], v[80:81]
	ds_read_b128 v[1:4], v1 offset:976
	s_waitcnt vmcnt(11) lgkmcnt(1)
	v_mul_f64 v[86:87], v[78:79], v[138:139]
	v_mul_f64 v[82:83], v[76:77], v[138:139]
	s_waitcnt vmcnt(9)
	v_fma_f64 v[72:73], v[72:73], v[92:93], -v[94:95]
	v_fma_f64 v[74:75], v[74:75], v[92:93], v[96:97]
	v_add_f64 v[68:69], v[84:85], v[68:69]
	v_add_f64 v[70:71], v[80:81], v[70:71]
	s_waitcnt vmcnt(7) lgkmcnt(0)
	v_mul_f64 v[84:85], v[3:4], v[88:89]
	s_waitcnt vmcnt(6)
	v_fma_f64 v[76:77], v[76:77], v[153:154], -v[86:87]
	v_mul_f64 v[80:81], v[1:2], v[88:89]
	v_add_f64 v[68:69], v[68:69], v[72:73]
	v_fma_f64 v[72:73], v[78:79], v[153:154], v[82:83]
	v_add_f64 v[70:71], v[70:71], v[74:75]
	s_waitcnt vmcnt(4)
	v_fma_f64 v[1:2], v[1:2], v[90:91], -v[84:85]
	v_fma_f64 v[3:4], v[3:4], v[90:91], v[80:81]
	v_add_f64 v[68:69], v[68:69], v[76:77]
	v_add_f64 v[70:71], v[70:71], v[72:73]
	;; [unrolled: 1-line block ×4, first 2 shown]
	s_waitcnt vmcnt(2)
	v_add_f64 v[1:2], v[100:101], -v[1:2]
	s_waitcnt vmcnt(0)
	v_add_f64 v[3:4], v[106:107], -v[3:4]
	buffer_store_dword v2, off, s[0:3], 0 offset:148
	buffer_store_dword v1, off, s[0:3], 0 offset:144
	;; [unrolled: 1-line block ×4, first 2 shown]
	v_cmpx_lt_u32_e32 7, v0
	s_cbranch_execz .LBB30_185
; %bb.184:
	v_mov_b32_e32 v4, s36
	v_mov_b32_e32 v68, 0
	s_clause 0x3
	buffer_load_dword v1, v4, s[0:3], 0 offen
	buffer_load_dword v2, v4, s[0:3], 0 offen offset:4
	buffer_load_dword v3, v4, s[0:3], 0 offen offset:8
	;; [unrolled: 1-line block ×3, first 2 shown]
	buffer_store_dword v68, off, s[0:3], 0 offset:128
	buffer_store_dword v68, off, s[0:3], 0 offset:132
	;; [unrolled: 1-line block ×4, first 2 shown]
	s_waitcnt vmcnt(0)
	ds_write_b128 v67, v[1:4]
.LBB30_185:
	s_or_b32 exec_lo, exec_lo, s4
	s_waitcnt lgkmcnt(0)
	s_waitcnt_vscnt null, 0x0
	s_barrier
	buffer_gl0_inv
	s_clause 0x37
	buffer_load_dword v2, off, s[0:3], 0 offset:152
	buffer_load_dword v3, off, s[0:3], 0 offset:156
	;; [unrolled: 1-line block ×56, first 2 shown]
	v_mov_b32_e32 v1, 0
	s_mov_b32 s4, exec_lo
	ds_read_b128 v[68:71], v1 offset:624
	s_clause 0x2
	buffer_load_dword v133, off, s[0:3], 0 offset:380
	buffer_load_dword v137, off, s[0:3], 0 offset:356
	;; [unrolled: 1-line block ×3, first 2 shown]
	ds_read_b128 v[72:75], v1 offset:640
	s_clause 0x4
	buffer_load_dword v141, off, s[0:3], 0 offset:396
	buffer_load_dword v142, off, s[0:3], 0 offset:408
	buffer_load_dword v144, off, s[0:3], 0 offset:400
	buffer_load_dword v140, off, s[0:3], 0 offset:392
	buffer_load_dword v135, off, s[0:3], 0 offset:372
	ds_read_b128 v[76:79], v1 offset:656
	s_waitcnt vmcnt(62) lgkmcnt(2)
	v_mul_f64 v[138:139], v[70:71], v[2:3]
	v_mul_f64 v[2:3], v[68:69], v[2:3]
	s_waitcnt vmcnt(60) lgkmcnt(1)
	v_mul_f64 v[145:146], v[74:75], v[80:81]
	v_mul_f64 v[80:81], v[72:73], v[80:81]
	;; [unrolled: 3-line block ×3, first 2 shown]
	v_fma_f64 v[138:139], v[68:69], v[82:83], -v[138:139]
	v_fma_f64 v[2:3], v[70:71], v[82:83], v[2:3]
	s_clause 0x2
	buffer_load_dword v143, off, s[0:3], 0 offset:412
	buffer_load_dword v83, off, s[0:3], 0 offset:388
	;; [unrolled: 1-line block ×3, first 2 shown]
	s_waitcnt vmcnt(57)
	v_fma_f64 v[149:150], v[72:73], v[86:87], -v[145:146]
	ds_read_b128 v[68:71], v1 offset:672
	v_fma_f64 v[80:81], v[74:75], v[86:87], v[80:81]
	s_clause 0x4
	buffer_load_dword v87, off, s[0:3], 0 offset:428
	buffer_load_dword v146, off, s[0:3], 0 offset:440
	;; [unrolled: 1-line block ×5, first 2 shown]
	s_waitcnt vmcnt(56)
	v_fma_f64 v[84:85], v[76:77], v[94:95], -v[84:85]
	ds_read_b128 v[72:75], v1 offset:688
	v_fma_f64 v[94:95], v[78:79], v[94:95], v[147:148]
	v_add_f64 v[138:139], v[138:139], 0
	v_add_f64 v[2:3], v[2:3], 0
	s_waitcnt lgkmcnt(1)
	v_mul_f64 v[152:153], v[68:69], v[88:89]
	v_mul_f64 v[88:89], v[70:71], v[88:89]
	v_add_f64 v[138:139], v[138:139], v[149:150]
	v_add_f64 v[2:3], v[2:3], v[80:81]
	s_clause 0x2
	buffer_load_dword v147, off, s[0:3], 0 offset:444
	buffer_load_dword v81, off, s[0:3], 0 offset:420
	buffer_load_dword v80, off, s[0:3], 0 offset:416
	s_waitcnt vmcnt(58) lgkmcnt(0)
	v_mul_f64 v[148:149], v[72:73], v[90:91]
	v_mul_f64 v[90:91], v[74:75], v[90:91]
	s_waitcnt vmcnt(56)
	v_fma_f64 v[88:89], v[68:69], v[96:97], -v[88:89]
	ds_read_b128 v[76:79], v1 offset:704
	v_fma_f64 v[96:97], v[70:71], v[96:97], v[152:153]
	v_add_f64 v[84:85], v[138:139], v[84:85]
	v_add_f64 v[2:3], v[2:3], v[94:95]
	s_clause 0x4
	buffer_load_dword v95, off, s[0:3], 0 offset:460
	buffer_load_dword v138, off, s[0:3], 0 offset:472
	;; [unrolled: 1-line block ×5, first 2 shown]
	ds_read_b128 v[68:71], v1 offset:720
	s_waitcnt vmcnt(57) lgkmcnt(1)
	v_mul_f64 v[154:155], v[76:77], v[98:99]
	v_mul_f64 v[98:99], v[78:79], v[98:99]
	s_waitcnt vmcnt(56)
	v_fma_f64 v[90:91], v[72:73], v[92:93], -v[90:91]
	v_add_f64 v[84:85], v[84:85], v[88:89]
	v_fma_f64 v[88:89], v[74:75], v[92:93], v[148:149]
	v_add_f64 v[2:3], v[2:3], v[96:97]
	s_clause 0x2
	buffer_load_dword v139, off, s[0:3], 0 offset:476
	buffer_load_dword v93, off, s[0:3], 0 offset:452
	;; [unrolled: 1-line block ×3, first 2 shown]
	s_waitcnt vmcnt(58) lgkmcnt(0)
	v_mul_f64 v[96:97], v[68:69], v[100:101]
	v_mul_f64 v[100:101], v[70:71], v[100:101]
	s_waitcnt vmcnt(56)
	v_fma_f64 v[98:99], v[76:77], v[104:105], -v[98:99]
	ds_read_b128 v[72:75], v1 offset:736
	v_add_f64 v[84:85], v[84:85], v[90:91]
	v_fma_f64 v[90:91], v[78:79], v[104:105], v[154:155]
	v_add_f64 v[2:3], v[2:3], v[88:89]
	s_clause 0x4
	buffer_load_dword v89, off, s[0:3], 0 offset:492
	buffer_load_dword v104, off, s[0:3], 0 offset:504
	;; [unrolled: 1-line block ×5, first 2 shown]
	ds_read_b128 v[76:79], v1 offset:752
	s_waitcnt vmcnt(57) lgkmcnt(1)
	v_mul_f64 v[149:150], v[72:73], v[106:107]
	v_mul_f64 v[106:107], v[74:75], v[106:107]
	s_waitcnt vmcnt(56)
	v_fma_f64 v[100:101], v[68:69], v[102:103], -v[100:101]
	v_fma_f64 v[96:97], v[70:71], v[102:103], v[96:97]
	v_add_f64 v[84:85], v[84:85], v[98:99]
	v_add_f64 v[2:3], v[2:3], v[90:91]
	s_clause 0x2
	buffer_load_dword v105, off, s[0:3], 0 offset:508
	buffer_load_dword v91, off, s[0:3], 0 offset:484
	;; [unrolled: 1-line block ×3, first 2 shown]
	s_waitcnt vmcnt(58) lgkmcnt(0)
	v_mul_f64 v[102:103], v[78:79], v[108:109]
	ds_read_b128 v[68:71], v1 offset:768
	s_waitcnt vmcnt(56)
	v_fma_f64 v[106:107], v[72:73], v[112:113], -v[106:107]
	v_mul_f64 v[98:99], v[76:77], v[108:109]
	v_add_f64 v[84:85], v[84:85], v[100:101]
	v_fma_f64 v[100:101], v[74:75], v[112:113], v[149:150]
	v_add_f64 v[2:3], v[2:3], v[96:97]
	buffer_load_dword v149, off, s[0:3], 0 offset:500
	ds_read_b128 v[72:75], v1 offset:784
	s_waitcnt vmcnt(53) lgkmcnt(1)
	v_mul_f64 v[108:109], v[70:71], v[114:115]
	s_waitcnt vmcnt(52)
	v_fma_f64 v[102:103], v[76:77], v[110:111], -v[102:103]
	v_mul_f64 v[96:97], v[68:69], v[114:115]
	v_fma_f64 v[98:99], v[78:79], v[110:111], v[98:99]
	ds_read_b128 v[76:79], v1 offset:800
	v_add_f64 v[84:85], v[84:85], v[106:107]
	v_add_f64 v[2:3], v[2:3], v[100:101]
	s_waitcnt vmcnt(51) lgkmcnt(1)
	v_mul_f64 v[106:107], v[74:75], v[116:117]
	v_mul_f64 v[100:101], v[72:73], v[116:117]
	s_waitcnt vmcnt(49)
	v_fma_f64 v[108:109], v[68:69], v[120:121], -v[108:109]
	v_fma_f64 v[96:97], v[70:71], v[120:121], v[96:97]
	s_waitcnt vmcnt(45) lgkmcnt(0)
	v_mul_f64 v[112:113], v[78:79], v[122:123]
	v_mul_f64 v[110:111], v[76:77], v[122:123]
	v_add_f64 v[84:85], v[84:85], v[102:103]
	v_add_f64 v[2:3], v[2:3], v[98:99]
	s_clause 0x3
	buffer_load_dword v98, off, s[0:3], 0 offset:128
	buffer_load_dword v99, off, s[0:3], 0 offset:132
	;; [unrolled: 1-line block ×4, first 2 shown]
	s_waitcnt vmcnt(48)
	v_fma_f64 v[106:107], v[72:73], v[118:119], -v[106:107]
	ds_read_b128 v[68:71], v1 offset:816
	v_fma_f64 v[100:101], v[74:75], v[118:119], v[100:101]
	ds_read_b128 v[72:75], v1 offset:832
	s_waitcnt vmcnt(45)
	v_fma_f64 v[112:113], v[76:77], v[128:129], -v[112:113]
	v_add_f64 v[84:85], v[84:85], v[108:109]
	v_add_f64 v[2:3], v[2:3], v[96:97]
	s_waitcnt lgkmcnt(1)
	v_mul_f64 v[108:109], v[70:71], v[124:125]
	v_mul_f64 v[96:97], v[68:69], v[124:125]
	v_add_f64 v[84:85], v[84:85], v[106:107]
	v_fma_f64 v[106:107], v[78:79], v[128:129], v[110:111]
	v_add_f64 v[2:3], v[2:3], v[100:101]
	s_waitcnt vmcnt(41) lgkmcnt(0)
	v_mul_f64 v[110:111], v[74:75], v[130:131]
	s_waitcnt vmcnt(40)
	v_fma_f64 v[108:109], v[68:69], v[126:127], -v[108:109]
	ds_read_b128 v[76:79], v1 offset:848
	v_mul_f64 v[100:101], v[72:73], v[130:131]
	v_fma_f64 v[96:97], v[70:71], v[126:127], v[96:97]
	ds_read_b128 v[68:71], v1 offset:864
	v_add_f64 v[84:85], v[84:85], v[112:113]
	v_add_f64 v[2:3], v[2:3], v[106:107]
	s_waitcnt vmcnt(39) lgkmcnt(1)
	v_mul_f64 v[112:113], v[78:79], v[132:133]
	s_waitcnt vmcnt(37)
	v_fma_f64 v[110:111], v[72:73], v[136:137], -v[110:111]
	v_mul_f64 v[106:107], v[76:77], v[132:133]
	v_fma_f64 v[100:101], v[74:75], v[136:137], v[100:101]
	ds_read_b128 v[72:75], v1 offset:880
	v_add_f64 v[84:85], v[84:85], v[108:109]
	s_waitcnt vmcnt(33) lgkmcnt(1)
	v_mul_f64 v[108:109], v[70:71], v[140:141]
	v_add_f64 v[2:3], v[2:3], v[96:97]
	s_waitcnt vmcnt(32)
	v_fma_f64 v[112:113], v[76:77], v[134:135], -v[112:113]
	v_mul_f64 v[96:97], v[68:69], v[140:141]
	v_fma_f64 v[106:107], v[78:79], v[134:135], v[106:107]
	ds_read_b128 v[76:79], v1 offset:896
	v_add_f64 v[84:85], v[84:85], v[110:111]
	v_add_f64 v[2:3], v[2:3], v[100:101]
	s_waitcnt vmcnt(31) lgkmcnt(1)
	v_mul_f64 v[110:111], v[74:75], v[142:143]
	v_mul_f64 v[100:101], v[72:73], v[142:143]
	s_waitcnt vmcnt(29)
	v_fma_f64 v[108:109], v[68:69], v[82:83], -v[108:109]
	v_fma_f64 v[82:83], v[70:71], v[82:83], v[96:97]
	ds_read_b128 v[68:71], v1 offset:912
	s_waitcnt vmcnt(25) lgkmcnt(1)
	v_mul_f64 v[96:97], v[76:77], v[86:87]
	v_mul_f64 v[86:87], v[78:79], v[86:87]
	v_add_f64 v[84:85], v[84:85], v[112:113]
	v_add_f64 v[2:3], v[2:3], v[106:107]
	s_waitcnt vmcnt(24)
	v_fma_f64 v[106:107], v[72:73], v[144:145], -v[110:111]
	v_fma_f64 v[100:101], v[74:75], v[144:145], v[100:101]
	ds_read_b128 v[72:75], v1 offset:928
	v_add_f64 v[84:85], v[84:85], v[108:109]
	v_add_f64 v[2:3], v[2:3], v[82:83]
	s_waitcnt vmcnt(23) lgkmcnt(1)
	v_mul_f64 v[108:109], v[70:71], v[146:147]
	v_mul_f64 v[82:83], v[68:69], v[146:147]
	s_waitcnt vmcnt(21)
	v_fma_f64 v[86:87], v[76:77], v[80:81], -v[86:87]
	v_fma_f64 v[80:81], v[78:79], v[80:81], v[96:97]
	ds_read_b128 v[76:79], v1 offset:944
	v_add_f64 v[84:85], v[84:85], v[106:107]
	v_add_f64 v[2:3], v[2:3], v[100:101]
	s_waitcnt vmcnt(17) lgkmcnt(1)
	v_mul_f64 v[96:97], v[72:73], v[94:95]
	v_mul_f64 v[94:95], v[74:75], v[94:95]
	;; [unrolled: 9-line block ×4, first 2 shown]
	s_waitcnt vmcnt(8)
	v_fma_f64 v[76:77], v[76:77], v[153:154], -v[86:87]
	v_fma_f64 v[78:79], v[78:79], v[153:154], v[80:81]
	v_add_f64 v[84:85], v[84:85], v[94:95]
	v_add_f64 v[2:3], v[2:3], v[92:93]
	s_waitcnt vmcnt(7) lgkmcnt(0)
	v_mul_f64 v[86:87], v[74:75], v[104:105]
	v_mul_f64 v[80:81], v[72:73], v[104:105]
	s_waitcnt vmcnt(5)
	v_fma_f64 v[68:69], v[68:69], v[90:91], -v[88:89]
	v_fma_f64 v[70:71], v[70:71], v[90:91], v[82:83]
	v_add_f64 v[76:77], v[84:85], v[76:77]
	v_add_f64 v[2:3], v[2:3], v[78:79]
	s_waitcnt vmcnt(4)
	v_fma_f64 v[72:73], v[72:73], v[148:149], -v[86:87]
	v_fma_f64 v[74:75], v[74:75], v[148:149], v[80:81]
	v_add_f64 v[68:69], v[76:77], v[68:69]
	v_add_f64 v[2:3], v[2:3], v[70:71]
	;; [unrolled: 1-line block ×4, first 2 shown]
	s_waitcnt vmcnt(2)
	v_add_f64 v[68:69], v[98:99], -v[68:69]
	s_waitcnt vmcnt(0)
	v_add_f64 v[2:3], v[102:103], -v[2:3]
	buffer_store_dword v69, off, s[0:3], 0 offset:132
	buffer_store_dword v68, off, s[0:3], 0 offset:128
	;; [unrolled: 1-line block ×4, first 2 shown]
	v_cmpx_lt_u32_e32 6, v0
	s_cbranch_execz .LBB30_187
; %bb.186:
	v_mov_b32_e32 v2, s37
	s_clause 0x3
	buffer_load_dword v68, v2, s[0:3], 0 offen
	buffer_load_dword v69, v2, s[0:3], 0 offen offset:4
	buffer_load_dword v70, v2, s[0:3], 0 offen offset:8
	;; [unrolled: 1-line block ×3, first 2 shown]
	buffer_store_dword v1, off, s[0:3], 0 offset:112
	buffer_store_dword v1, off, s[0:3], 0 offset:116
	;; [unrolled: 1-line block ×4, first 2 shown]
	s_waitcnt vmcnt(0)
	ds_write_b128 v67, v[68:71]
.LBB30_187:
	s_or_b32 exec_lo, exec_lo, s4
	s_waitcnt lgkmcnt(0)
	s_waitcnt_vscnt null, 0x0
	s_barrier
	buffer_gl0_inv
	s_clause 0x37
	buffer_load_dword v2, off, s[0:3], 0 offset:136
	buffer_load_dword v3, off, s[0:3], 0 offset:140
	;; [unrolled: 1-line block ×56, first 2 shown]
	ds_read_b128 v[68:71], v1 offset:608
	s_clause 0x2
	buffer_load_dword v133, off, s[0:3], 0 offset:364
	buffer_load_dword v137, off, s[0:3], 0 offset:340
	buffer_load_dword v136, off, s[0:3], 0 offset:336
	ds_read_b128 v[72:75], v1 offset:624
	s_clause 0x4
	buffer_load_dword v141, off, s[0:3], 0 offset:380
	buffer_load_dword v142, off, s[0:3], 0 offset:392
	;; [unrolled: 1-line block ×5, first 2 shown]
	ds_read_b128 v[76:79], v1 offset:640
	s_mov_b32 s4, exec_lo
	s_waitcnt vmcnt(62) lgkmcnt(2)
	v_mul_f64 v[138:139], v[70:71], v[2:3]
	v_mul_f64 v[2:3], v[68:69], v[2:3]
	s_waitcnt vmcnt(60) lgkmcnt(1)
	v_mul_f64 v[145:146], v[74:75], v[80:81]
	v_mul_f64 v[80:81], v[72:73], v[80:81]
	s_waitcnt vmcnt(56) lgkmcnt(0)
	v_mul_f64 v[147:148], v[76:77], v[84:85]
	v_mul_f64 v[84:85], v[78:79], v[84:85]
	v_fma_f64 v[138:139], v[68:69], v[82:83], -v[138:139]
	v_fma_f64 v[2:3], v[70:71], v[82:83], v[2:3]
	s_clause 0x2
	buffer_load_dword v143, off, s[0:3], 0 offset:396
	buffer_load_dword v83, off, s[0:3], 0 offset:372
	;; [unrolled: 1-line block ×3, first 2 shown]
	s_waitcnt vmcnt(57)
	v_fma_f64 v[149:150], v[72:73], v[86:87], -v[145:146]
	ds_read_b128 v[68:71], v1 offset:656
	v_fma_f64 v[80:81], v[74:75], v[86:87], v[80:81]
	s_clause 0x4
	buffer_load_dword v87, off, s[0:3], 0 offset:412
	buffer_load_dword v146, off, s[0:3], 0 offset:424
	;; [unrolled: 1-line block ×5, first 2 shown]
	s_waitcnt vmcnt(56)
	v_fma_f64 v[84:85], v[76:77], v[94:95], -v[84:85]
	ds_read_b128 v[72:75], v1 offset:672
	v_fma_f64 v[94:95], v[78:79], v[94:95], v[147:148]
	v_add_f64 v[138:139], v[138:139], 0
	v_add_f64 v[2:3], v[2:3], 0
	s_waitcnt lgkmcnt(1)
	v_mul_f64 v[152:153], v[68:69], v[88:89]
	v_mul_f64 v[88:89], v[70:71], v[88:89]
	v_add_f64 v[138:139], v[138:139], v[149:150]
	v_add_f64 v[2:3], v[2:3], v[80:81]
	s_clause 0x2
	buffer_load_dword v147, off, s[0:3], 0 offset:428
	buffer_load_dword v81, off, s[0:3], 0 offset:404
	;; [unrolled: 1-line block ×3, first 2 shown]
	s_waitcnt vmcnt(58) lgkmcnt(0)
	v_mul_f64 v[148:149], v[72:73], v[90:91]
	v_mul_f64 v[90:91], v[74:75], v[90:91]
	s_waitcnt vmcnt(56)
	v_fma_f64 v[88:89], v[68:69], v[96:97], -v[88:89]
	ds_read_b128 v[76:79], v1 offset:688
	v_fma_f64 v[96:97], v[70:71], v[96:97], v[152:153]
	v_add_f64 v[84:85], v[138:139], v[84:85]
	v_add_f64 v[2:3], v[2:3], v[94:95]
	s_clause 0x4
	buffer_load_dword v95, off, s[0:3], 0 offset:444
	buffer_load_dword v138, off, s[0:3], 0 offset:456
	;; [unrolled: 1-line block ×5, first 2 shown]
	ds_read_b128 v[68:71], v1 offset:704
	s_waitcnt vmcnt(57) lgkmcnt(1)
	v_mul_f64 v[154:155], v[76:77], v[98:99]
	v_mul_f64 v[98:99], v[78:79], v[98:99]
	s_waitcnt vmcnt(56)
	v_fma_f64 v[90:91], v[72:73], v[92:93], -v[90:91]
	v_add_f64 v[84:85], v[84:85], v[88:89]
	v_fma_f64 v[88:89], v[74:75], v[92:93], v[148:149]
	v_add_f64 v[2:3], v[2:3], v[96:97]
	s_clause 0x2
	buffer_load_dword v139, off, s[0:3], 0 offset:460
	buffer_load_dword v93, off, s[0:3], 0 offset:436
	;; [unrolled: 1-line block ×3, first 2 shown]
	s_waitcnt vmcnt(58) lgkmcnt(0)
	v_mul_f64 v[96:97], v[68:69], v[100:101]
	v_mul_f64 v[100:101], v[70:71], v[100:101]
	s_waitcnt vmcnt(56)
	v_fma_f64 v[98:99], v[76:77], v[104:105], -v[98:99]
	ds_read_b128 v[72:75], v1 offset:720
	v_add_f64 v[84:85], v[84:85], v[90:91]
	v_fma_f64 v[90:91], v[78:79], v[104:105], v[154:155]
	v_add_f64 v[2:3], v[2:3], v[88:89]
	s_clause 0x4
	buffer_load_dword v89, off, s[0:3], 0 offset:476
	buffer_load_dword v104, off, s[0:3], 0 offset:488
	;; [unrolled: 1-line block ×5, first 2 shown]
	ds_read_b128 v[76:79], v1 offset:736
	s_waitcnt vmcnt(57) lgkmcnt(1)
	v_mul_f64 v[149:150], v[72:73], v[106:107]
	v_mul_f64 v[106:107], v[74:75], v[106:107]
	s_waitcnt vmcnt(56)
	v_fma_f64 v[100:101], v[68:69], v[102:103], -v[100:101]
	v_fma_f64 v[96:97], v[70:71], v[102:103], v[96:97]
	v_add_f64 v[84:85], v[84:85], v[98:99]
	v_add_f64 v[2:3], v[2:3], v[90:91]
	s_clause 0x2
	buffer_load_dword v105, off, s[0:3], 0 offset:492
	buffer_load_dword v91, off, s[0:3], 0 offset:468
	;; [unrolled: 1-line block ×3, first 2 shown]
	s_waitcnt vmcnt(58) lgkmcnt(0)
	v_mul_f64 v[102:103], v[78:79], v[108:109]
	ds_read_b128 v[68:71], v1 offset:752
	s_waitcnt vmcnt(56)
	v_fma_f64 v[106:107], v[72:73], v[112:113], -v[106:107]
	v_mul_f64 v[98:99], v[76:77], v[108:109]
	v_add_f64 v[84:85], v[84:85], v[100:101]
	v_fma_f64 v[100:101], v[74:75], v[112:113], v[149:150]
	v_add_f64 v[2:3], v[2:3], v[96:97]
	s_clause 0x2
	buffer_load_dword v97, off, s[0:3], 0 offset:508
	buffer_load_dword v96, off, s[0:3], 0 offset:504
	;; [unrolled: 1-line block ×3, first 2 shown]
	s_waitcnt vmcnt(55) lgkmcnt(0)
	v_mul_f64 v[112:113], v[70:71], v[114:115]
	s_waitcnt vmcnt(54)
	v_fma_f64 v[102:103], v[76:77], v[110:111], -v[102:103]
	ds_read_b128 v[72:75], v1 offset:768
	v_mul_f64 v[108:109], v[68:69], v[114:115]
	v_fma_f64 v[98:99], v[78:79], v[110:111], v[98:99]
	v_add_f64 v[84:85], v[84:85], v[106:107]
	v_add_f64 v[2:3], v[2:3], v[100:101]
	s_clause 0x1
	buffer_load_dword v101, off, s[0:3], 0 offset:500
	buffer_load_dword v100, off, s[0:3], 0 offset:496
	s_waitcnt vmcnt(55) lgkmcnt(0)
	v_mul_f64 v[110:111], v[74:75], v[116:117]
	s_waitcnt vmcnt(53)
	v_fma_f64 v[112:113], v[68:69], v[120:121], -v[112:113]
	ds_read_b128 v[76:79], v1 offset:784
	v_mul_f64 v[106:107], v[72:73], v[116:117]
	v_add_f64 v[84:85], v[84:85], v[102:103]
	v_fma_f64 v[102:103], v[70:71], v[120:121], v[108:109]
	v_add_f64 v[2:3], v[2:3], v[98:99]
	ds_read_b128 v[68:71], v1 offset:800
	s_waitcnt vmcnt(49) lgkmcnt(1)
	v_mul_f64 v[108:109], v[78:79], v[122:123]
	s_waitcnt vmcnt(48)
	v_fma_f64 v[110:111], v[72:73], v[118:119], -v[110:111]
	v_mul_f64 v[98:99], v[76:77], v[122:123]
	v_fma_f64 v[106:107], v[74:75], v[118:119], v[106:107]
	v_add_f64 v[84:85], v[84:85], v[112:113]
	s_waitcnt vmcnt(47) lgkmcnt(0)
	v_mul_f64 v[116:117], v[70:71], v[124:125]
	v_add_f64 v[2:3], v[2:3], v[102:103]
	s_clause 0x3
	buffer_load_dword v102, off, s[0:3], 0 offset:112
	buffer_load_dword v103, off, s[0:3], 0 offset:116
	;; [unrolled: 1-line block ×4, first 2 shown]
	s_waitcnt vmcnt(49)
	v_fma_f64 v[108:109], v[76:77], v[128:129], -v[108:109]
	ds_read_b128 v[72:75], v1 offset:816
	v_mul_f64 v[114:115], v[68:69], v[124:125]
	v_fma_f64 v[98:99], v[78:79], v[128:129], v[98:99]
	ds_read_b128 v[76:79], v1 offset:832
	v_add_f64 v[84:85], v[84:85], v[110:111]
	s_waitcnt vmcnt(44)
	v_fma_f64 v[116:117], v[68:69], v[126:127], -v[116:117]
	v_add_f64 v[2:3], v[2:3], v[106:107]
	s_waitcnt lgkmcnt(1)
	v_mul_f64 v[110:111], v[74:75], v[130:131]
	v_mul_f64 v[106:107], v[72:73], v[130:131]
	v_add_f64 v[84:85], v[84:85], v[108:109]
	v_fma_f64 v[108:109], v[70:71], v[126:127], v[114:115]
	v_add_f64 v[2:3], v[2:3], v[98:99]
	s_waitcnt vmcnt(43) lgkmcnt(0)
	v_mul_f64 v[114:115], v[78:79], v[132:133]
	s_waitcnt vmcnt(41)
	v_fma_f64 v[110:111], v[72:73], v[136:137], -v[110:111]
	ds_read_b128 v[68:71], v1 offset:848
	v_mul_f64 v[98:99], v[76:77], v[132:133]
	v_fma_f64 v[106:107], v[74:75], v[136:137], v[106:107]
	ds_read_b128 v[72:75], v1 offset:864
	v_add_f64 v[84:85], v[84:85], v[116:117]
	v_add_f64 v[2:3], v[2:3], v[108:109]
	s_waitcnt vmcnt(37) lgkmcnt(1)
	v_mul_f64 v[116:117], v[70:71], v[140:141]
	s_waitcnt vmcnt(36)
	v_fma_f64 v[114:115], v[76:77], v[134:135], -v[114:115]
	v_mul_f64 v[108:109], v[68:69], v[140:141]
	v_fma_f64 v[98:99], v[78:79], v[134:135], v[98:99]
	ds_read_b128 v[76:79], v1 offset:880
	v_add_f64 v[84:85], v[84:85], v[110:111]
	v_add_f64 v[2:3], v[2:3], v[106:107]
	s_waitcnt vmcnt(35) lgkmcnt(1)
	v_mul_f64 v[110:111], v[74:75], v[142:143]
	v_mul_f64 v[106:107], v[72:73], v[142:143]
	s_waitcnt vmcnt(33)
	v_fma_f64 v[116:117], v[68:69], v[82:83], -v[116:117]
	v_fma_f64 v[82:83], v[70:71], v[82:83], v[108:109]
	ds_read_b128 v[68:71], v1 offset:896
	v_add_f64 v[84:85], v[84:85], v[114:115]
	v_add_f64 v[2:3], v[2:3], v[98:99]
	s_waitcnt vmcnt(29) lgkmcnt(1)
	v_mul_f64 v[98:99], v[76:77], v[86:87]
	v_mul_f64 v[86:87], v[78:79], v[86:87]
	s_waitcnt vmcnt(28)
	v_fma_f64 v[108:109], v[72:73], v[144:145], -v[110:111]
	;; [unrolled: 9-line block ×6, first 2 shown]
	v_fma_f64 v[78:79], v[78:79], v[153:154], v[80:81]
	v_add_f64 v[84:85], v[84:85], v[94:95]
	v_add_f64 v[80:81], v[2:3], v[92:93]
	ds_read_b128 v[1:4], v1 offset:976
	s_waitcnt vmcnt(11) lgkmcnt(1)
	v_mul_f64 v[92:93], v[74:75], v[104:105]
	v_mul_f64 v[86:87], v[72:73], v[104:105]
	s_waitcnt vmcnt(9)
	v_fma_f64 v[68:69], v[68:69], v[90:91], -v[88:89]
	v_fma_f64 v[70:71], v[70:71], v[90:91], v[82:83]
	v_add_f64 v[76:77], v[84:85], v[76:77]
	v_add_f64 v[78:79], v[80:81], v[78:79]
	s_waitcnt vmcnt(7) lgkmcnt(0)
	v_mul_f64 v[82:83], v[3:4], v[96:97]
	s_waitcnt vmcnt(6)
	v_fma_f64 v[72:73], v[72:73], v[148:149], -v[92:93]
	v_mul_f64 v[80:81], v[1:2], v[96:97]
	v_fma_f64 v[74:75], v[74:75], v[148:149], v[86:87]
	v_add_f64 v[68:69], v[76:77], v[68:69]
	v_add_f64 v[70:71], v[78:79], v[70:71]
	s_waitcnt vmcnt(4)
	v_fma_f64 v[1:2], v[1:2], v[100:101], -v[82:83]
	v_fma_f64 v[3:4], v[3:4], v[100:101], v[80:81]
	v_add_f64 v[68:69], v[68:69], v[72:73]
	v_add_f64 v[70:71], v[70:71], v[74:75]
	;; [unrolled: 1-line block ×4, first 2 shown]
	s_waitcnt vmcnt(2)
	v_add_f64 v[1:2], v[102:103], -v[1:2]
	s_waitcnt vmcnt(0)
	v_add_f64 v[3:4], v[112:113], -v[3:4]
	buffer_store_dword v2, off, s[0:3], 0 offset:116
	buffer_store_dword v1, off, s[0:3], 0 offset:112
	buffer_store_dword v4, off, s[0:3], 0 offset:124
	buffer_store_dword v3, off, s[0:3], 0 offset:120
	v_cmpx_lt_u32_e32 5, v0
	s_cbranch_execz .LBB30_189
; %bb.188:
	v_mov_b32_e32 v4, s38
	v_mov_b32_e32 v68, 0
	s_clause 0x3
	buffer_load_dword v1, v4, s[0:3], 0 offen
	buffer_load_dword v2, v4, s[0:3], 0 offen offset:4
	buffer_load_dword v3, v4, s[0:3], 0 offen offset:8
	;; [unrolled: 1-line block ×3, first 2 shown]
	buffer_store_dword v68, off, s[0:3], 0 offset:96
	buffer_store_dword v68, off, s[0:3], 0 offset:100
	buffer_store_dword v68, off, s[0:3], 0 offset:104
	buffer_store_dword v68, off, s[0:3], 0 offset:108
	s_waitcnt vmcnt(0)
	ds_write_b128 v67, v[1:4]
.LBB30_189:
	s_or_b32 exec_lo, exec_lo, s4
	s_waitcnt lgkmcnt(0)
	s_waitcnt_vscnt null, 0x0
	s_barrier
	buffer_gl0_inv
	s_clause 0x37
	buffer_load_dword v2, off, s[0:3], 0 offset:120
	buffer_load_dword v3, off, s[0:3], 0 offset:124
	;; [unrolled: 1-line block ×56, first 2 shown]
	v_mov_b32_e32 v1, 0
	s_mov_b32 s4, exec_lo
	ds_read_b128 v[68:71], v1 offset:592
	s_clause 0x2
	buffer_load_dword v133, off, s[0:3], 0 offset:348
	buffer_load_dword v137, off, s[0:3], 0 offset:324
	;; [unrolled: 1-line block ×3, first 2 shown]
	ds_read_b128 v[72:75], v1 offset:608
	s_clause 0x4
	buffer_load_dword v141, off, s[0:3], 0 offset:364
	buffer_load_dword v142, off, s[0:3], 0 offset:376
	;; [unrolled: 1-line block ×5, first 2 shown]
	ds_read_b128 v[76:79], v1 offset:624
	s_waitcnt vmcnt(62) lgkmcnt(2)
	v_mul_f64 v[138:139], v[70:71], v[2:3]
	v_mul_f64 v[2:3], v[68:69], v[2:3]
	s_waitcnt vmcnt(60) lgkmcnt(1)
	v_mul_f64 v[145:146], v[74:75], v[80:81]
	v_mul_f64 v[80:81], v[72:73], v[80:81]
	;; [unrolled: 3-line block ×3, first 2 shown]
	v_fma_f64 v[138:139], v[68:69], v[82:83], -v[138:139]
	v_fma_f64 v[2:3], v[70:71], v[82:83], v[2:3]
	s_clause 0x2
	buffer_load_dword v143, off, s[0:3], 0 offset:380
	buffer_load_dword v83, off, s[0:3], 0 offset:356
	;; [unrolled: 1-line block ×3, first 2 shown]
	s_waitcnt vmcnt(57)
	v_fma_f64 v[149:150], v[72:73], v[86:87], -v[145:146]
	ds_read_b128 v[68:71], v1 offset:640
	v_fma_f64 v[80:81], v[74:75], v[86:87], v[80:81]
	s_clause 0x4
	buffer_load_dword v87, off, s[0:3], 0 offset:396
	buffer_load_dword v146, off, s[0:3], 0 offset:408
	;; [unrolled: 1-line block ×5, first 2 shown]
	s_waitcnt vmcnt(56)
	v_fma_f64 v[84:85], v[76:77], v[94:95], -v[84:85]
	ds_read_b128 v[72:75], v1 offset:656
	v_fma_f64 v[94:95], v[78:79], v[94:95], v[147:148]
	v_add_f64 v[138:139], v[138:139], 0
	v_add_f64 v[2:3], v[2:3], 0
	s_waitcnt lgkmcnt(1)
	v_mul_f64 v[152:153], v[68:69], v[88:89]
	v_mul_f64 v[88:89], v[70:71], v[88:89]
	v_add_f64 v[138:139], v[138:139], v[149:150]
	v_add_f64 v[2:3], v[2:3], v[80:81]
	s_clause 0x2
	buffer_load_dword v147, off, s[0:3], 0 offset:412
	buffer_load_dword v81, off, s[0:3], 0 offset:388
	;; [unrolled: 1-line block ×3, first 2 shown]
	s_waitcnt vmcnt(58) lgkmcnt(0)
	v_mul_f64 v[148:149], v[72:73], v[90:91]
	v_mul_f64 v[90:91], v[74:75], v[90:91]
	s_waitcnt vmcnt(56)
	v_fma_f64 v[88:89], v[68:69], v[96:97], -v[88:89]
	ds_read_b128 v[76:79], v1 offset:672
	v_fma_f64 v[96:97], v[70:71], v[96:97], v[152:153]
	v_add_f64 v[84:85], v[138:139], v[84:85]
	v_add_f64 v[2:3], v[2:3], v[94:95]
	s_clause 0x4
	buffer_load_dword v95, off, s[0:3], 0 offset:428
	buffer_load_dword v138, off, s[0:3], 0 offset:440
	;; [unrolled: 1-line block ×5, first 2 shown]
	ds_read_b128 v[68:71], v1 offset:688
	s_waitcnt vmcnt(57) lgkmcnt(1)
	v_mul_f64 v[154:155], v[76:77], v[98:99]
	v_mul_f64 v[98:99], v[78:79], v[98:99]
	s_waitcnt vmcnt(56)
	v_fma_f64 v[90:91], v[72:73], v[92:93], -v[90:91]
	v_add_f64 v[84:85], v[84:85], v[88:89]
	v_fma_f64 v[88:89], v[74:75], v[92:93], v[148:149]
	v_add_f64 v[2:3], v[2:3], v[96:97]
	s_clause 0x2
	buffer_load_dword v139, off, s[0:3], 0 offset:444
	buffer_load_dword v93, off, s[0:3], 0 offset:420
	;; [unrolled: 1-line block ×3, first 2 shown]
	s_waitcnt vmcnt(58) lgkmcnt(0)
	v_mul_f64 v[96:97], v[68:69], v[100:101]
	v_mul_f64 v[100:101], v[70:71], v[100:101]
	s_waitcnt vmcnt(56)
	v_fma_f64 v[98:99], v[76:77], v[104:105], -v[98:99]
	ds_read_b128 v[72:75], v1 offset:704
	v_add_f64 v[84:85], v[84:85], v[90:91]
	v_fma_f64 v[90:91], v[78:79], v[104:105], v[154:155]
	v_add_f64 v[2:3], v[2:3], v[88:89]
	s_clause 0x4
	buffer_load_dword v89, off, s[0:3], 0 offset:460
	buffer_load_dword v104, off, s[0:3], 0 offset:472
	;; [unrolled: 1-line block ×5, first 2 shown]
	ds_read_b128 v[76:79], v1 offset:720
	s_waitcnt vmcnt(57) lgkmcnt(1)
	v_mul_f64 v[149:150], v[72:73], v[106:107]
	v_mul_f64 v[106:107], v[74:75], v[106:107]
	s_waitcnt vmcnt(56)
	v_fma_f64 v[100:101], v[68:69], v[102:103], -v[100:101]
	v_fma_f64 v[96:97], v[70:71], v[102:103], v[96:97]
	v_add_f64 v[84:85], v[84:85], v[98:99]
	v_add_f64 v[2:3], v[2:3], v[90:91]
	s_clause 0x2
	buffer_load_dword v105, off, s[0:3], 0 offset:476
	buffer_load_dword v91, off, s[0:3], 0 offset:452
	;; [unrolled: 1-line block ×3, first 2 shown]
	s_waitcnt vmcnt(58) lgkmcnt(0)
	v_mul_f64 v[102:103], v[78:79], v[108:109]
	ds_read_b128 v[68:71], v1 offset:736
	s_waitcnt vmcnt(56)
	v_fma_f64 v[106:107], v[72:73], v[112:113], -v[106:107]
	v_mul_f64 v[98:99], v[76:77], v[108:109]
	v_add_f64 v[84:85], v[84:85], v[100:101]
	v_fma_f64 v[100:101], v[74:75], v[112:113], v[149:150]
	v_add_f64 v[2:3], v[2:3], v[96:97]
	s_clause 0x4
	buffer_load_dword v97, off, s[0:3], 0 offset:492
	buffer_load_dword v108, off, s[0:3], 0 offset:504
	;; [unrolled: 1-line block ×5, first 2 shown]
	s_waitcnt vmcnt(57) lgkmcnt(0)
	v_mul_f64 v[155:156], v[68:69], v[114:115]
	v_mul_f64 v[113:114], v[70:71], v[114:115]
	s_waitcnt vmcnt(56)
	v_fma_f64 v[102:103], v[76:77], v[110:111], -v[102:103]
	ds_read_b128 v[72:75], v1 offset:752
	v_fma_f64 v[98:99], v[78:79], v[110:111], v[98:99]
	v_add_f64 v[84:85], v[84:85], v[106:107]
	v_add_f64 v[2:3], v[2:3], v[100:101]
	s_clause 0x2
	buffer_load_dword v109, off, s[0:3], 0 offset:508
	buffer_load_dword v101, off, s[0:3], 0 offset:484
	;; [unrolled: 1-line block ×3, first 2 shown]
	ds_read_b128 v[76:79], v1 offset:768
	s_waitcnt vmcnt(58) lgkmcnt(1)
	v_mul_f64 v[110:111], v[74:75], v[116:117]
	s_waitcnt vmcnt(56)
	v_fma_f64 v[114:115], v[68:69], v[120:121], -v[113:114]
	v_mul_f64 v[106:107], v[72:73], v[116:117]
	buffer_load_dword v113, off, s[0:3], 0 offset:500
	v_add_f64 v[84:85], v[84:85], v[102:103]
	v_fma_f64 v[102:103], v[70:71], v[120:121], v[155:156]
	v_add_f64 v[2:3], v[2:3], v[98:99]
	ds_read_b128 v[68:71], v1 offset:784
	s_waitcnt vmcnt(53) lgkmcnt(1)
	v_mul_f64 v[116:117], v[78:79], v[122:123]
	s_waitcnt vmcnt(52)
	v_fma_f64 v[110:111], v[72:73], v[118:119], -v[110:111]
	v_mul_f64 v[98:99], v[76:77], v[122:123]
	v_fma_f64 v[106:107], v[74:75], v[118:119], v[106:107]
	ds_read_b128 v[72:75], v1 offset:800
	v_add_f64 v[84:85], v[84:85], v[114:115]
	s_waitcnt vmcnt(51) lgkmcnt(1)
	v_mul_f64 v[114:115], v[70:71], v[124:125]
	v_add_f64 v[2:3], v[2:3], v[102:103]
	v_mul_f64 v[102:103], v[68:69], v[124:125]
	s_waitcnt vmcnt(49)
	v_fma_f64 v[116:117], v[76:77], v[128:129], -v[116:117]
	v_fma_f64 v[98:99], v[78:79], v[128:129], v[98:99]
	s_waitcnt vmcnt(45) lgkmcnt(0)
	v_mul_f64 v[120:121], v[74:75], v[130:131]
	v_mul_f64 v[118:119], v[72:73], v[130:131]
	v_add_f64 v[84:85], v[84:85], v[110:111]
	s_waitcnt vmcnt(44)
	v_fma_f64 v[114:115], v[68:69], v[126:127], -v[114:115]
	v_add_f64 v[2:3], v[2:3], v[106:107]
	s_clause 0x3
	buffer_load_dword v106, off, s[0:3], 0 offset:96
	buffer_load_dword v107, off, s[0:3], 0 offset:100
	;; [unrolled: 1-line block ×4, first 2 shown]
	ds_read_b128 v[76:79], v1 offset:816
	v_fma_f64 v[102:103], v[70:71], v[126:127], v[102:103]
	ds_read_b128 v[68:71], v1 offset:832
	s_waitcnt vmcnt(45)
	v_fma_f64 v[120:121], v[72:73], v[136:137], -v[120:121]
	v_add_f64 v[84:85], v[84:85], v[116:117]
	v_add_f64 v[2:3], v[2:3], v[98:99]
	s_waitcnt lgkmcnt(1)
	v_mul_f64 v[116:117], v[78:79], v[132:133]
	v_mul_f64 v[98:99], v[76:77], v[132:133]
	v_add_f64 v[84:85], v[84:85], v[114:115]
	v_fma_f64 v[114:115], v[74:75], v[136:137], v[118:119]
	v_add_f64 v[2:3], v[2:3], v[102:103]
	s_waitcnt vmcnt(41) lgkmcnt(0)
	v_mul_f64 v[118:119], v[70:71], v[140:141]
	s_waitcnt vmcnt(40)
	v_fma_f64 v[116:117], v[76:77], v[134:135], -v[116:117]
	ds_read_b128 v[72:75], v1 offset:848
	v_mul_f64 v[102:103], v[68:69], v[140:141]
	v_fma_f64 v[98:99], v[78:79], v[134:135], v[98:99]
	ds_read_b128 v[76:79], v1 offset:864
	v_add_f64 v[84:85], v[84:85], v[120:121]
	v_add_f64 v[2:3], v[2:3], v[114:115]
	s_waitcnt vmcnt(39) lgkmcnt(1)
	v_mul_f64 v[120:121], v[74:75], v[142:143]
	v_mul_f64 v[114:115], v[72:73], v[142:143]
	s_waitcnt vmcnt(37)
	v_fma_f64 v[118:119], v[68:69], v[82:83], -v[118:119]
	v_fma_f64 v[82:83], v[70:71], v[82:83], v[102:103]
	ds_read_b128 v[68:71], v1 offset:880
	v_add_f64 v[84:85], v[84:85], v[116:117]
	v_add_f64 v[2:3], v[2:3], v[98:99]
	s_waitcnt vmcnt(33) lgkmcnt(1)
	v_mul_f64 v[98:99], v[76:77], v[86:87]
	v_mul_f64 v[86:87], v[78:79], v[86:87]
	s_waitcnt vmcnt(32)
	v_fma_f64 v[102:103], v[72:73], v[144:145], -v[120:121]
	;; [unrolled: 9-line block ×7, first 2 shown]
	v_fma_f64 v[82:83], v[70:71], v[90:91], v[82:83]
	ds_read_b128 v[68:71], v1 offset:976
	v_add_f64 v[84:85], v[84:85], v[86:87]
	v_add_f64 v[2:3], v[2:3], v[80:81]
	s_waitcnt vmcnt(9) lgkmcnt(1)
	v_mul_f64 v[86:87], v[78:79], v[96:97]
	s_waitcnt vmcnt(8)
	v_fma_f64 v[72:73], v[72:73], v[148:149], -v[94:95]
	v_mul_f64 v[80:81], v[76:77], v[96:97]
	v_fma_f64 v[74:75], v[74:75], v[148:149], v[92:93]
	v_add_f64 v[84:85], v[84:85], v[88:89]
	v_add_f64 v[2:3], v[2:3], v[82:83]
	s_waitcnt vmcnt(7) lgkmcnt(0)
	v_mul_f64 v[88:89], v[70:71], v[108:109]
	v_mul_f64 v[82:83], v[68:69], v[108:109]
	s_waitcnt vmcnt(5)
	v_fma_f64 v[76:77], v[76:77], v[100:101], -v[86:87]
	v_fma_f64 v[78:79], v[78:79], v[100:101], v[80:81]
	v_add_f64 v[72:73], v[84:85], v[72:73]
	v_add_f64 v[2:3], v[2:3], v[74:75]
	s_waitcnt vmcnt(4)
	v_fma_f64 v[68:69], v[68:69], v[112:113], -v[88:89]
	v_fma_f64 v[70:71], v[70:71], v[112:113], v[82:83]
	v_add_f64 v[72:73], v[72:73], v[76:77]
	v_add_f64 v[2:3], v[2:3], v[78:79]
	;; [unrolled: 1-line block ×4, first 2 shown]
	s_waitcnt vmcnt(2)
	v_add_f64 v[68:69], v[106:107], -v[68:69]
	s_waitcnt vmcnt(0)
	v_add_f64 v[2:3], v[110:111], -v[2:3]
	buffer_store_dword v69, off, s[0:3], 0 offset:100
	buffer_store_dword v68, off, s[0:3], 0 offset:96
	;; [unrolled: 1-line block ×4, first 2 shown]
	v_cmpx_lt_u32_e32 4, v0
	s_cbranch_execz .LBB30_191
; %bb.190:
	v_mov_b32_e32 v2, s39
	s_clause 0x3
	buffer_load_dword v68, v2, s[0:3], 0 offen
	buffer_load_dword v69, v2, s[0:3], 0 offen offset:4
	buffer_load_dword v70, v2, s[0:3], 0 offen offset:8
	buffer_load_dword v71, v2, s[0:3], 0 offen offset:12
	buffer_store_dword v1, off, s[0:3], 0 offset:80
	buffer_store_dword v1, off, s[0:3], 0 offset:84
	;; [unrolled: 1-line block ×4, first 2 shown]
	s_waitcnt vmcnt(0)
	ds_write_b128 v67, v[68:71]
.LBB30_191:
	s_or_b32 exec_lo, exec_lo, s4
	s_waitcnt lgkmcnt(0)
	s_waitcnt_vscnt null, 0x0
	s_barrier
	buffer_gl0_inv
	s_clause 0x37
	buffer_load_dword v2, off, s[0:3], 0 offset:104
	buffer_load_dword v3, off, s[0:3], 0 offset:108
	;; [unrolled: 1-line block ×56, first 2 shown]
	ds_read_b128 v[68:71], v1 offset:576
	s_clause 0x2
	buffer_load_dword v133, off, s[0:3], 0 offset:332
	buffer_load_dword v137, off, s[0:3], 0 offset:308
	;; [unrolled: 1-line block ×3, first 2 shown]
	ds_read_b128 v[72:75], v1 offset:592
	s_clause 0x4
	buffer_load_dword v141, off, s[0:3], 0 offset:348
	buffer_load_dword v142, off, s[0:3], 0 offset:360
	;; [unrolled: 1-line block ×5, first 2 shown]
	ds_read_b128 v[76:79], v1 offset:608
	s_mov_b32 s4, exec_lo
	s_waitcnt vmcnt(62) lgkmcnt(2)
	v_mul_f64 v[138:139], v[70:71], v[2:3]
	v_mul_f64 v[2:3], v[68:69], v[2:3]
	s_waitcnt vmcnt(60) lgkmcnt(1)
	v_mul_f64 v[145:146], v[74:75], v[80:81]
	v_mul_f64 v[80:81], v[72:73], v[80:81]
	;; [unrolled: 3-line block ×3, first 2 shown]
	v_fma_f64 v[138:139], v[68:69], v[82:83], -v[138:139]
	v_fma_f64 v[2:3], v[70:71], v[82:83], v[2:3]
	s_clause 0x2
	buffer_load_dword v143, off, s[0:3], 0 offset:364
	buffer_load_dword v83, off, s[0:3], 0 offset:340
	;; [unrolled: 1-line block ×3, first 2 shown]
	s_waitcnt vmcnt(57)
	v_fma_f64 v[149:150], v[72:73], v[86:87], -v[145:146]
	ds_read_b128 v[68:71], v1 offset:624
	v_fma_f64 v[80:81], v[74:75], v[86:87], v[80:81]
	s_clause 0x4
	buffer_load_dword v87, off, s[0:3], 0 offset:380
	buffer_load_dword v146, off, s[0:3], 0 offset:392
	;; [unrolled: 1-line block ×5, first 2 shown]
	s_waitcnt vmcnt(56)
	v_fma_f64 v[84:85], v[76:77], v[94:95], -v[84:85]
	ds_read_b128 v[72:75], v1 offset:640
	v_fma_f64 v[94:95], v[78:79], v[94:95], v[147:148]
	v_add_f64 v[138:139], v[138:139], 0
	v_add_f64 v[2:3], v[2:3], 0
	s_waitcnt lgkmcnt(1)
	v_mul_f64 v[152:153], v[68:69], v[88:89]
	v_mul_f64 v[88:89], v[70:71], v[88:89]
	v_add_f64 v[138:139], v[138:139], v[149:150]
	v_add_f64 v[2:3], v[2:3], v[80:81]
	s_clause 0x2
	buffer_load_dword v147, off, s[0:3], 0 offset:396
	buffer_load_dword v81, off, s[0:3], 0 offset:372
	;; [unrolled: 1-line block ×3, first 2 shown]
	s_waitcnt vmcnt(58) lgkmcnt(0)
	v_mul_f64 v[148:149], v[72:73], v[90:91]
	v_mul_f64 v[90:91], v[74:75], v[90:91]
	s_waitcnt vmcnt(56)
	v_fma_f64 v[88:89], v[68:69], v[96:97], -v[88:89]
	ds_read_b128 v[76:79], v1 offset:656
	v_fma_f64 v[96:97], v[70:71], v[96:97], v[152:153]
	v_add_f64 v[84:85], v[138:139], v[84:85]
	v_add_f64 v[2:3], v[2:3], v[94:95]
	s_clause 0x4
	buffer_load_dword v95, off, s[0:3], 0 offset:412
	buffer_load_dword v138, off, s[0:3], 0 offset:424
	;; [unrolled: 1-line block ×5, first 2 shown]
	ds_read_b128 v[68:71], v1 offset:672
	s_waitcnt vmcnt(57) lgkmcnt(1)
	v_mul_f64 v[154:155], v[76:77], v[98:99]
	v_mul_f64 v[98:99], v[78:79], v[98:99]
	s_waitcnt vmcnt(56)
	v_fma_f64 v[90:91], v[72:73], v[92:93], -v[90:91]
	v_add_f64 v[84:85], v[84:85], v[88:89]
	v_fma_f64 v[88:89], v[74:75], v[92:93], v[148:149]
	v_add_f64 v[2:3], v[2:3], v[96:97]
	s_clause 0x2
	buffer_load_dword v139, off, s[0:3], 0 offset:428
	buffer_load_dword v93, off, s[0:3], 0 offset:404
	;; [unrolled: 1-line block ×3, first 2 shown]
	s_waitcnt vmcnt(58) lgkmcnt(0)
	v_mul_f64 v[96:97], v[68:69], v[100:101]
	v_mul_f64 v[100:101], v[70:71], v[100:101]
	s_waitcnt vmcnt(56)
	v_fma_f64 v[98:99], v[76:77], v[104:105], -v[98:99]
	ds_read_b128 v[72:75], v1 offset:688
	v_add_f64 v[84:85], v[84:85], v[90:91]
	v_fma_f64 v[90:91], v[78:79], v[104:105], v[154:155]
	v_add_f64 v[2:3], v[2:3], v[88:89]
	s_clause 0x4
	buffer_load_dword v89, off, s[0:3], 0 offset:444
	buffer_load_dword v104, off, s[0:3], 0 offset:456
	;; [unrolled: 1-line block ×5, first 2 shown]
	ds_read_b128 v[76:79], v1 offset:704
	s_waitcnt vmcnt(57) lgkmcnt(1)
	v_mul_f64 v[149:150], v[72:73], v[106:107]
	v_mul_f64 v[106:107], v[74:75], v[106:107]
	s_waitcnt vmcnt(56)
	v_fma_f64 v[100:101], v[68:69], v[102:103], -v[100:101]
	v_fma_f64 v[96:97], v[70:71], v[102:103], v[96:97]
	v_add_f64 v[84:85], v[84:85], v[98:99]
	v_add_f64 v[2:3], v[2:3], v[90:91]
	s_clause 0x2
	buffer_load_dword v105, off, s[0:3], 0 offset:460
	buffer_load_dword v91, off, s[0:3], 0 offset:436
	;; [unrolled: 1-line block ×3, first 2 shown]
	s_waitcnt vmcnt(58) lgkmcnt(0)
	v_mul_f64 v[102:103], v[78:79], v[108:109]
	ds_read_b128 v[68:71], v1 offset:720
	s_waitcnt vmcnt(56)
	v_fma_f64 v[106:107], v[72:73], v[112:113], -v[106:107]
	v_mul_f64 v[98:99], v[76:77], v[108:109]
	v_add_f64 v[84:85], v[84:85], v[100:101]
	v_fma_f64 v[100:101], v[74:75], v[112:113], v[149:150]
	v_add_f64 v[2:3], v[2:3], v[96:97]
	s_clause 0x4
	buffer_load_dword v97, off, s[0:3], 0 offset:476
	buffer_load_dword v108, off, s[0:3], 0 offset:488
	;; [unrolled: 1-line block ×5, first 2 shown]
	s_waitcnt vmcnt(57) lgkmcnt(0)
	v_mul_f64 v[155:156], v[68:69], v[114:115]
	v_mul_f64 v[113:114], v[70:71], v[114:115]
	s_waitcnt vmcnt(56)
	v_fma_f64 v[102:103], v[76:77], v[110:111], -v[102:103]
	ds_read_b128 v[72:75], v1 offset:736
	v_fma_f64 v[98:99], v[78:79], v[110:111], v[98:99]
	v_add_f64 v[84:85], v[84:85], v[106:107]
	v_add_f64 v[2:3], v[2:3], v[100:101]
	s_clause 0x2
	buffer_load_dword v109, off, s[0:3], 0 offset:492
	buffer_load_dword v101, off, s[0:3], 0 offset:468
	;; [unrolled: 1-line block ×3, first 2 shown]
	ds_read_b128 v[76:79], v1 offset:752
	s_waitcnt vmcnt(58) lgkmcnt(1)
	v_mul_f64 v[110:111], v[74:75], v[116:117]
	s_waitcnt vmcnt(56)
	v_fma_f64 v[114:115], v[68:69], v[120:121], -v[113:114]
	v_mul_f64 v[106:107], v[72:73], v[116:117]
	v_add_f64 v[84:85], v[84:85], v[102:103]
	v_fma_f64 v[102:103], v[70:71], v[120:121], v[155:156]
	v_add_f64 v[2:3], v[2:3], v[98:99]
	s_clause 0x2
	buffer_load_dword v99, off, s[0:3], 0 offset:508
	buffer_load_dword v98, off, s[0:3], 0 offset:504
	;; [unrolled: 1-line block ×3, first 2 shown]
	s_waitcnt vmcnt(55) lgkmcnt(0)
	v_mul_f64 v[120:121], v[78:79], v[122:123]
	s_waitcnt vmcnt(54)
	v_fma_f64 v[110:111], v[72:73], v[118:119], -v[110:111]
	ds_read_b128 v[68:71], v1 offset:768
	v_mul_f64 v[116:117], v[76:77], v[122:123]
	v_fma_f64 v[106:107], v[74:75], v[118:119], v[106:107]
	v_add_f64 v[84:85], v[84:85], v[114:115]
	v_add_f64 v[2:3], v[2:3], v[102:103]
	s_clause 0x1
	buffer_load_dword v103, off, s[0:3], 0 offset:500
	buffer_load_dword v102, off, s[0:3], 0 offset:496
	s_waitcnt vmcnt(55) lgkmcnt(0)
	v_mul_f64 v[118:119], v[70:71], v[124:125]
	s_waitcnt vmcnt(53)
	v_fma_f64 v[120:121], v[76:77], v[128:129], -v[120:121]
	ds_read_b128 v[72:75], v1 offset:784
	v_mul_f64 v[114:115], v[68:69], v[124:125]
	v_add_f64 v[84:85], v[84:85], v[110:111]
	v_fma_f64 v[110:111], v[78:79], v[128:129], v[116:117]
	v_add_f64 v[2:3], v[2:3], v[106:107]
	ds_read_b128 v[76:79], v1 offset:800
	s_waitcnt vmcnt(49) lgkmcnt(1)
	v_mul_f64 v[116:117], v[74:75], v[130:131]
	s_waitcnt vmcnt(48)
	v_fma_f64 v[118:119], v[68:69], v[126:127], -v[118:119]
	v_mul_f64 v[106:107], v[72:73], v[130:131]
	v_fma_f64 v[114:115], v[70:71], v[126:127], v[114:115]
	v_add_f64 v[84:85], v[84:85], v[120:121]
	s_waitcnt vmcnt(47) lgkmcnt(0)
	v_mul_f64 v[124:125], v[78:79], v[132:133]
	v_add_f64 v[2:3], v[2:3], v[110:111]
	s_clause 0x3
	buffer_load_dword v110, off, s[0:3], 0 offset:80
	buffer_load_dword v111, off, s[0:3], 0 offset:84
	;; [unrolled: 1-line block ×4, first 2 shown]
	s_waitcnt vmcnt(49)
	v_fma_f64 v[116:117], v[72:73], v[136:137], -v[116:117]
	ds_read_b128 v[68:71], v1 offset:816
	v_mul_f64 v[122:123], v[76:77], v[132:133]
	v_fma_f64 v[106:107], v[74:75], v[136:137], v[106:107]
	ds_read_b128 v[72:75], v1 offset:832
	v_add_f64 v[84:85], v[84:85], v[118:119]
	s_waitcnt vmcnt(44)
	v_fma_f64 v[124:125], v[76:77], v[134:135], -v[124:125]
	v_add_f64 v[2:3], v[2:3], v[114:115]
	s_waitcnt lgkmcnt(1)
	v_mul_f64 v[118:119], v[70:71], v[140:141]
	v_mul_f64 v[114:115], v[68:69], v[140:141]
	v_add_f64 v[84:85], v[84:85], v[116:117]
	v_fma_f64 v[116:117], v[78:79], v[134:135], v[122:123]
	v_add_f64 v[2:3], v[2:3], v[106:107]
	ds_read_b128 v[76:79], v1 offset:848
	s_waitcnt vmcnt(43) lgkmcnt(1)
	v_mul_f64 v[122:123], v[74:75], v[142:143]
	v_mul_f64 v[106:107], v[72:73], v[142:143]
	s_waitcnt vmcnt(41)
	v_fma_f64 v[118:119], v[68:69], v[82:83], -v[118:119]
	v_fma_f64 v[82:83], v[70:71], v[82:83], v[114:115]
	ds_read_b128 v[68:71], v1 offset:864
	v_add_f64 v[84:85], v[84:85], v[124:125]
	s_waitcnt vmcnt(37) lgkmcnt(1)
	v_mul_f64 v[114:115], v[76:77], v[86:87]
	v_add_f64 v[2:3], v[2:3], v[116:117]
	v_mul_f64 v[86:87], v[78:79], v[86:87]
	s_waitcnt vmcnt(36)
	v_fma_f64 v[116:117], v[72:73], v[144:145], -v[122:123]
	v_fma_f64 v[106:107], v[74:75], v[144:145], v[106:107]
	ds_read_b128 v[72:75], v1 offset:880
	v_add_f64 v[84:85], v[84:85], v[118:119]
	v_add_f64 v[2:3], v[2:3], v[82:83]
	s_waitcnt vmcnt(35) lgkmcnt(1)
	v_mul_f64 v[118:119], v[70:71], v[146:147]
	v_mul_f64 v[82:83], v[68:69], v[146:147]
	s_waitcnt vmcnt(33)
	v_fma_f64 v[86:87], v[76:77], v[80:81], -v[86:87]
	v_fma_f64 v[80:81], v[78:79], v[80:81], v[114:115]
	ds_read_b128 v[76:79], v1 offset:896
	v_add_f64 v[84:85], v[84:85], v[116:117]
	v_add_f64 v[2:3], v[2:3], v[106:107]
	s_waitcnt vmcnt(29) lgkmcnt(1)
	v_mul_f64 v[106:107], v[72:73], v[94:95]
	;; [unrolled: 9-line block ×6, first 2 shown]
	s_waitcnt vmcnt(12)
	v_fma_f64 v[72:73], v[72:73], v[148:149], -v[94:95]
	v_mul_f64 v[80:81], v[76:77], v[96:97]
	v_fma_f64 v[74:75], v[74:75], v[148:149], v[92:93]
	v_add_f64 v[84:85], v[84:85], v[88:89]
	v_add_f64 v[82:83], v[2:3], v[82:83]
	ds_read_b128 v[1:4], v1 offset:976
	s_waitcnt vmcnt(11) lgkmcnt(1)
	v_mul_f64 v[90:91], v[70:71], v[108:109]
	v_mul_f64 v[88:89], v[68:69], v[108:109]
	s_waitcnt vmcnt(9)
	v_fma_f64 v[76:77], v[76:77], v[100:101], -v[86:87]
	v_fma_f64 v[78:79], v[78:79], v[100:101], v[80:81]
	v_add_f64 v[72:73], v[84:85], v[72:73]
	v_add_f64 v[74:75], v[82:83], v[74:75]
	s_waitcnt vmcnt(7) lgkmcnt(0)
	v_mul_f64 v[82:83], v[3:4], v[98:99]
	s_waitcnt vmcnt(6)
	v_fma_f64 v[68:69], v[68:69], v[112:113], -v[90:91]
	v_mul_f64 v[80:81], v[1:2], v[98:99]
	v_fma_f64 v[70:71], v[70:71], v[112:113], v[88:89]
	v_add_f64 v[72:73], v[72:73], v[76:77]
	v_add_f64 v[74:75], v[74:75], v[78:79]
	s_waitcnt vmcnt(4)
	v_fma_f64 v[1:2], v[1:2], v[102:103], -v[82:83]
	v_fma_f64 v[3:4], v[3:4], v[102:103], v[80:81]
	v_add_f64 v[68:69], v[72:73], v[68:69]
	v_add_f64 v[70:71], v[74:75], v[70:71]
	v_add_f64 v[1:2], v[68:69], v[1:2]
	v_add_f64 v[3:4], v[70:71], v[3:4]
	s_waitcnt vmcnt(2)
	v_add_f64 v[1:2], v[110:111], -v[1:2]
	s_waitcnt vmcnt(0)
	v_add_f64 v[3:4], v[120:121], -v[3:4]
	buffer_store_dword v2, off, s[0:3], 0 offset:84
	buffer_store_dword v1, off, s[0:3], 0 offset:80
	;; [unrolled: 1-line block ×4, first 2 shown]
	v_cmpx_lt_u32_e32 3, v0
	s_cbranch_execz .LBB30_193
; %bb.192:
	v_mov_b32_e32 v4, s41
	v_mov_b32_e32 v68, 0
	s_clause 0x3
	buffer_load_dword v1, v4, s[0:3], 0 offen
	buffer_load_dword v2, v4, s[0:3], 0 offen offset:4
	buffer_load_dword v3, v4, s[0:3], 0 offen offset:8
	;; [unrolled: 1-line block ×3, first 2 shown]
	buffer_store_dword v68, off, s[0:3], 0 offset:64
	buffer_store_dword v68, off, s[0:3], 0 offset:68
	;; [unrolled: 1-line block ×4, first 2 shown]
	s_waitcnt vmcnt(0)
	ds_write_b128 v67, v[1:4]
.LBB30_193:
	s_or_b32 exec_lo, exec_lo, s4
	s_waitcnt lgkmcnt(0)
	s_waitcnt_vscnt null, 0x0
	s_barrier
	buffer_gl0_inv
	s_clause 0x37
	buffer_load_dword v2, off, s[0:3], 0 offset:88
	buffer_load_dword v3, off, s[0:3], 0 offset:92
	;; [unrolled: 1-line block ×56, first 2 shown]
	v_mov_b32_e32 v1, 0
	s_mov_b32 s4, exec_lo
	ds_read_b128 v[68:71], v1 offset:560
	s_clause 0x2
	buffer_load_dword v133, off, s[0:3], 0 offset:316
	buffer_load_dword v137, off, s[0:3], 0 offset:292
	buffer_load_dword v136, off, s[0:3], 0 offset:288
	ds_read_b128 v[72:75], v1 offset:576
	s_clause 0x4
	buffer_load_dword v141, off, s[0:3], 0 offset:332
	buffer_load_dword v142, off, s[0:3], 0 offset:344
	;; [unrolled: 1-line block ×5, first 2 shown]
	ds_read_b128 v[76:79], v1 offset:592
	s_waitcnt vmcnt(62) lgkmcnt(2)
	v_mul_f64 v[138:139], v[70:71], v[2:3]
	v_mul_f64 v[2:3], v[68:69], v[2:3]
	s_waitcnt vmcnt(60) lgkmcnt(1)
	v_mul_f64 v[145:146], v[74:75], v[80:81]
	v_mul_f64 v[80:81], v[72:73], v[80:81]
	;; [unrolled: 3-line block ×3, first 2 shown]
	v_fma_f64 v[138:139], v[68:69], v[82:83], -v[138:139]
	v_fma_f64 v[2:3], v[70:71], v[82:83], v[2:3]
	s_clause 0x2
	buffer_load_dword v143, off, s[0:3], 0 offset:348
	buffer_load_dword v83, off, s[0:3], 0 offset:324
	;; [unrolled: 1-line block ×3, first 2 shown]
	s_waitcnt vmcnt(57)
	v_fma_f64 v[149:150], v[72:73], v[86:87], -v[145:146]
	ds_read_b128 v[68:71], v1 offset:608
	v_fma_f64 v[80:81], v[74:75], v[86:87], v[80:81]
	s_clause 0x4
	buffer_load_dword v87, off, s[0:3], 0 offset:364
	buffer_load_dword v146, off, s[0:3], 0 offset:376
	;; [unrolled: 1-line block ×5, first 2 shown]
	s_waitcnt vmcnt(56)
	v_fma_f64 v[84:85], v[76:77], v[94:95], -v[84:85]
	ds_read_b128 v[72:75], v1 offset:624
	v_fma_f64 v[94:95], v[78:79], v[94:95], v[147:148]
	v_add_f64 v[138:139], v[138:139], 0
	v_add_f64 v[2:3], v[2:3], 0
	s_waitcnt lgkmcnt(1)
	v_mul_f64 v[152:153], v[68:69], v[88:89]
	v_mul_f64 v[88:89], v[70:71], v[88:89]
	v_add_f64 v[138:139], v[138:139], v[149:150]
	v_add_f64 v[2:3], v[2:3], v[80:81]
	s_clause 0x2
	buffer_load_dword v147, off, s[0:3], 0 offset:380
	buffer_load_dword v81, off, s[0:3], 0 offset:356
	;; [unrolled: 1-line block ×3, first 2 shown]
	s_waitcnt vmcnt(58) lgkmcnt(0)
	v_mul_f64 v[148:149], v[72:73], v[90:91]
	v_mul_f64 v[90:91], v[74:75], v[90:91]
	s_waitcnt vmcnt(56)
	v_fma_f64 v[88:89], v[68:69], v[96:97], -v[88:89]
	ds_read_b128 v[76:79], v1 offset:640
	v_fma_f64 v[96:97], v[70:71], v[96:97], v[152:153]
	v_add_f64 v[84:85], v[138:139], v[84:85]
	v_add_f64 v[2:3], v[2:3], v[94:95]
	s_clause 0x4
	buffer_load_dword v95, off, s[0:3], 0 offset:396
	buffer_load_dword v138, off, s[0:3], 0 offset:408
	;; [unrolled: 1-line block ×5, first 2 shown]
	ds_read_b128 v[68:71], v1 offset:656
	s_waitcnt vmcnt(57) lgkmcnt(1)
	v_mul_f64 v[154:155], v[76:77], v[98:99]
	v_mul_f64 v[98:99], v[78:79], v[98:99]
	s_waitcnt vmcnt(56)
	v_fma_f64 v[90:91], v[72:73], v[92:93], -v[90:91]
	v_add_f64 v[84:85], v[84:85], v[88:89]
	v_fma_f64 v[88:89], v[74:75], v[92:93], v[148:149]
	v_add_f64 v[2:3], v[2:3], v[96:97]
	s_clause 0x2
	buffer_load_dword v139, off, s[0:3], 0 offset:412
	buffer_load_dword v93, off, s[0:3], 0 offset:388
	;; [unrolled: 1-line block ×3, first 2 shown]
	s_waitcnt vmcnt(58) lgkmcnt(0)
	v_mul_f64 v[96:97], v[68:69], v[100:101]
	v_mul_f64 v[100:101], v[70:71], v[100:101]
	s_waitcnt vmcnt(56)
	v_fma_f64 v[98:99], v[76:77], v[104:105], -v[98:99]
	ds_read_b128 v[72:75], v1 offset:672
	v_add_f64 v[84:85], v[84:85], v[90:91]
	v_fma_f64 v[90:91], v[78:79], v[104:105], v[154:155]
	v_add_f64 v[2:3], v[2:3], v[88:89]
	s_clause 0x4
	buffer_load_dword v89, off, s[0:3], 0 offset:428
	buffer_load_dword v104, off, s[0:3], 0 offset:440
	;; [unrolled: 1-line block ×5, first 2 shown]
	ds_read_b128 v[76:79], v1 offset:688
	s_waitcnt vmcnt(57) lgkmcnt(1)
	v_mul_f64 v[149:150], v[72:73], v[106:107]
	v_mul_f64 v[106:107], v[74:75], v[106:107]
	s_waitcnt vmcnt(56)
	v_fma_f64 v[100:101], v[68:69], v[102:103], -v[100:101]
	v_fma_f64 v[96:97], v[70:71], v[102:103], v[96:97]
	v_add_f64 v[84:85], v[84:85], v[98:99]
	v_add_f64 v[2:3], v[2:3], v[90:91]
	s_clause 0x2
	buffer_load_dword v105, off, s[0:3], 0 offset:444
	buffer_load_dword v91, off, s[0:3], 0 offset:420
	;; [unrolled: 1-line block ×3, first 2 shown]
	s_waitcnt vmcnt(58) lgkmcnt(0)
	v_mul_f64 v[102:103], v[78:79], v[108:109]
	ds_read_b128 v[68:71], v1 offset:704
	s_waitcnt vmcnt(56)
	v_fma_f64 v[106:107], v[72:73], v[112:113], -v[106:107]
	v_mul_f64 v[98:99], v[76:77], v[108:109]
	v_add_f64 v[84:85], v[84:85], v[100:101]
	v_fma_f64 v[100:101], v[74:75], v[112:113], v[149:150]
	v_add_f64 v[2:3], v[2:3], v[96:97]
	s_clause 0x4
	buffer_load_dword v97, off, s[0:3], 0 offset:460
	buffer_load_dword v108, off, s[0:3], 0 offset:472
	;; [unrolled: 1-line block ×5, first 2 shown]
	s_waitcnt vmcnt(57) lgkmcnt(0)
	v_mul_f64 v[155:156], v[68:69], v[114:115]
	v_mul_f64 v[113:114], v[70:71], v[114:115]
	s_waitcnt vmcnt(56)
	v_fma_f64 v[102:103], v[76:77], v[110:111], -v[102:103]
	ds_read_b128 v[72:75], v1 offset:720
	v_fma_f64 v[98:99], v[78:79], v[110:111], v[98:99]
	v_add_f64 v[84:85], v[84:85], v[106:107]
	v_add_f64 v[2:3], v[2:3], v[100:101]
	s_clause 0x2
	buffer_load_dword v109, off, s[0:3], 0 offset:476
	buffer_load_dword v101, off, s[0:3], 0 offset:452
	;; [unrolled: 1-line block ×3, first 2 shown]
	ds_read_b128 v[76:79], v1 offset:736
	s_waitcnt vmcnt(58) lgkmcnt(1)
	v_mul_f64 v[110:111], v[74:75], v[116:117]
	s_waitcnt vmcnt(56)
	v_fma_f64 v[114:115], v[68:69], v[120:121], -v[113:114]
	v_mul_f64 v[106:107], v[72:73], v[116:117]
	v_add_f64 v[84:85], v[84:85], v[102:103]
	v_fma_f64 v[102:103], v[70:71], v[120:121], v[155:156]
	v_add_f64 v[2:3], v[2:3], v[98:99]
	s_clause 0x4
	buffer_load_dword v99, off, s[0:3], 0 offset:492
	buffer_load_dword v116, off, s[0:3], 0 offset:504
	;; [unrolled: 1-line block ×5, first 2 shown]
	s_waitcnt vmcnt(57) lgkmcnt(0)
	v_mul_f64 v[155:156], v[76:77], v[122:123]
	v_mul_f64 v[121:122], v[78:79], v[122:123]
	s_waitcnt vmcnt(56)
	v_fma_f64 v[110:111], v[72:73], v[118:119], -v[110:111]
	ds_read_b128 v[68:71], v1 offset:752
	v_fma_f64 v[106:107], v[74:75], v[118:119], v[106:107]
	v_add_f64 v[84:85], v[84:85], v[114:115]
	v_add_f64 v[2:3], v[2:3], v[102:103]
	s_clause 0x2
	buffer_load_dword v117, off, s[0:3], 0 offset:508
	buffer_load_dword v103, off, s[0:3], 0 offset:484
	;; [unrolled: 1-line block ×3, first 2 shown]
	ds_read_b128 v[72:75], v1 offset:768
	s_waitcnt vmcnt(58) lgkmcnt(1)
	v_mul_f64 v[118:119], v[70:71], v[124:125]
	s_waitcnt vmcnt(56)
	v_fma_f64 v[122:123], v[76:77], v[128:129], -v[121:122]
	v_mul_f64 v[114:115], v[68:69], v[124:125]
	buffer_load_dword v121, off, s[0:3], 0 offset:500
	v_add_f64 v[84:85], v[84:85], v[110:111]
	v_fma_f64 v[110:111], v[78:79], v[128:129], v[155:156]
	v_add_f64 v[2:3], v[2:3], v[106:107]
	ds_read_b128 v[76:79], v1 offset:784
	s_waitcnt vmcnt(53) lgkmcnt(1)
	v_mul_f64 v[124:125], v[74:75], v[130:131]
	s_waitcnt vmcnt(52)
	v_fma_f64 v[118:119], v[68:69], v[126:127], -v[118:119]
	v_mul_f64 v[106:107], v[72:73], v[130:131]
	v_fma_f64 v[114:115], v[70:71], v[126:127], v[114:115]
	ds_read_b128 v[68:71], v1 offset:800
	v_add_f64 v[84:85], v[84:85], v[122:123]
	s_waitcnt vmcnt(51) lgkmcnt(1)
	v_mul_f64 v[122:123], v[78:79], v[132:133]
	v_add_f64 v[2:3], v[2:3], v[110:111]
	v_mul_f64 v[110:111], v[76:77], v[132:133]
	s_waitcnt vmcnt(49)
	v_fma_f64 v[124:125], v[72:73], v[136:137], -v[124:125]
	v_fma_f64 v[106:107], v[74:75], v[136:137], v[106:107]
	s_waitcnt vmcnt(45) lgkmcnt(0)
	v_mul_f64 v[128:129], v[70:71], v[140:141]
	v_mul_f64 v[126:127], v[68:69], v[140:141]
	v_add_f64 v[84:85], v[84:85], v[118:119]
	s_waitcnt vmcnt(44)
	v_fma_f64 v[122:123], v[76:77], v[134:135], -v[122:123]
	v_add_f64 v[2:3], v[2:3], v[114:115]
	s_clause 0x3
	buffer_load_dword v114, off, s[0:3], 0 offset:64
	buffer_load_dword v115, off, s[0:3], 0 offset:68
	;; [unrolled: 1-line block ×4, first 2 shown]
	ds_read_b128 v[72:75], v1 offset:816
	v_fma_f64 v[110:111], v[78:79], v[134:135], v[110:111]
	ds_read_b128 v[76:79], v1 offset:832
	v_add_f64 v[84:85], v[84:85], v[124:125]
	v_add_f64 v[2:3], v[2:3], v[106:107]
	s_waitcnt vmcnt(47) lgkmcnt(1)
	v_mul_f64 v[124:125], v[74:75], v[142:143]
	v_mul_f64 v[106:107], v[72:73], v[142:143]
	s_waitcnt vmcnt(45)
	v_fma_f64 v[128:129], v[68:69], v[82:83], -v[128:129]
	v_fma_f64 v[82:83], v[70:71], v[82:83], v[126:127]
	ds_read_b128 v[68:71], v1 offset:848
	v_add_f64 v[84:85], v[84:85], v[122:123]
	v_add_f64 v[2:3], v[2:3], v[110:111]
	s_waitcnt vmcnt(41) lgkmcnt(1)
	v_mul_f64 v[110:111], v[76:77], v[86:87]
	v_mul_f64 v[86:87], v[78:79], v[86:87]
	s_waitcnt vmcnt(40)
	v_fma_f64 v[122:123], v[72:73], v[144:145], -v[124:125]
	v_fma_f64 v[106:107], v[74:75], v[144:145], v[106:107]
	ds_read_b128 v[72:75], v1 offset:864
	v_add_f64 v[84:85], v[84:85], v[128:129]
	v_add_f64 v[2:3], v[2:3], v[82:83]
	s_waitcnt vmcnt(39) lgkmcnt(1)
	v_mul_f64 v[124:125], v[70:71], v[146:147]
	v_mul_f64 v[82:83], v[68:69], v[146:147]
	s_waitcnt vmcnt(37)
	v_fma_f64 v[86:87], v[76:77], v[80:81], -v[86:87]
	v_fma_f64 v[80:81], v[78:79], v[80:81], v[110:111]
	ds_read_b128 v[76:79], v1 offset:880
	v_add_f64 v[84:85], v[84:85], v[122:123]
	v_add_f64 v[2:3], v[2:3], v[106:107]
	s_waitcnt vmcnt(33) lgkmcnt(1)
	v_mul_f64 v[106:107], v[72:73], v[94:95]
	v_mul_f64 v[94:95], v[74:75], v[94:95]
	s_waitcnt vmcnt(32)
	v_fma_f64 v[110:111], v[68:69], v[151:152], -v[124:125]
	v_fma_f64 v[82:83], v[70:71], v[151:152], v[82:83]
	ds_read_b128 v[68:71], v1 offset:896
	v_add_f64 v[84:85], v[84:85], v[86:87]
	v_add_f64 v[2:3], v[2:3], v[80:81]
	s_waitcnt vmcnt(31) lgkmcnt(1)
	v_mul_f64 v[86:87], v[78:79], v[138:139]
	v_mul_f64 v[80:81], v[76:77], v[138:139]
	s_waitcnt vmcnt(29)
	v_fma_f64 v[94:95], v[72:73], v[92:93], -v[94:95]
	v_fma_f64 v[92:93], v[74:75], v[92:93], v[106:107]
	ds_read_b128 v[72:75], v1 offset:912
	v_add_f64 v[84:85], v[84:85], v[110:111]
	v_add_f64 v[2:3], v[2:3], v[82:83]
	s_waitcnt vmcnt(25) lgkmcnt(1)
	v_mul_f64 v[82:83], v[68:69], v[88:89]
	v_mul_f64 v[88:89], v[70:71], v[88:89]
	s_waitcnt vmcnt(24)
	v_fma_f64 v[86:87], v[76:77], v[153:154], -v[86:87]
	v_fma_f64 v[80:81], v[78:79], v[153:154], v[80:81]
	ds_read_b128 v[76:79], v1 offset:928
	v_add_f64 v[84:85], v[84:85], v[94:95]
	v_add_f64 v[2:3], v[2:3], v[92:93]
	s_waitcnt vmcnt(23) lgkmcnt(1)
	v_mul_f64 v[94:95], v[74:75], v[104:105]
	v_mul_f64 v[92:93], v[72:73], v[104:105]
	s_waitcnt vmcnt(21)
	v_fma_f64 v[88:89], v[68:69], v[90:91], -v[88:89]
	v_fma_f64 v[82:83], v[70:71], v[90:91], v[82:83]
	ds_read_b128 v[68:71], v1 offset:944
	v_add_f64 v[84:85], v[84:85], v[86:87]
	v_add_f64 v[2:3], v[2:3], v[80:81]
	s_waitcnt vmcnt(17) lgkmcnt(1)
	v_mul_f64 v[86:87], v[78:79], v[96:97]
	s_waitcnt vmcnt(16)
	v_fma_f64 v[90:91], v[72:73], v[148:149], -v[94:95]
	v_mul_f64 v[80:81], v[76:77], v[96:97]
	v_add_f64 v[84:85], v[84:85], v[88:89]
	v_fma_f64 v[88:89], v[74:75], v[148:149], v[92:93]
	v_add_f64 v[2:3], v[2:3], v[82:83]
	ds_read_b128 v[72:75], v1 offset:960
	s_waitcnt vmcnt(15) lgkmcnt(1)
	v_mul_f64 v[92:93], v[70:71], v[108:109]
	v_mul_f64 v[82:83], v[68:69], v[108:109]
	s_waitcnt vmcnt(13)
	v_fma_f64 v[86:87], v[76:77], v[100:101], -v[86:87]
	v_fma_f64 v[80:81], v[78:79], v[100:101], v[80:81]
	ds_read_b128 v[76:79], v1 offset:976
	v_add_f64 v[84:85], v[84:85], v[90:91]
	v_add_f64 v[2:3], v[2:3], v[88:89]
	s_waitcnt vmcnt(9) lgkmcnt(1)
	v_mul_f64 v[90:91], v[74:75], v[98:99]
	s_waitcnt vmcnt(8)
	v_fma_f64 v[68:69], v[68:69], v[112:113], -v[92:93]
	v_mul_f64 v[88:89], v[72:73], v[98:99]
	v_fma_f64 v[70:71], v[70:71], v[112:113], v[82:83]
	v_add_f64 v[84:85], v[84:85], v[86:87]
	v_add_f64 v[2:3], v[2:3], v[80:81]
	s_waitcnt vmcnt(7) lgkmcnt(0)
	v_mul_f64 v[82:83], v[78:79], v[116:117]
	v_mul_f64 v[80:81], v[76:77], v[116:117]
	s_waitcnt vmcnt(5)
	v_fma_f64 v[72:73], v[72:73], v[102:103], -v[90:91]
	v_fma_f64 v[74:75], v[74:75], v[102:103], v[88:89]
	v_add_f64 v[68:69], v[84:85], v[68:69]
	v_add_f64 v[2:3], v[2:3], v[70:71]
	s_waitcnt vmcnt(4)
	v_fma_f64 v[70:71], v[76:77], v[120:121], -v[82:83]
	v_add_f64 v[68:69], v[68:69], v[72:73]
	v_fma_f64 v[72:73], v[78:79], v[120:121], v[80:81]
	v_add_f64 v[2:3], v[2:3], v[74:75]
	v_add_f64 v[68:69], v[68:69], v[70:71]
	;; [unrolled: 1-line block ×3, first 2 shown]
	s_waitcnt vmcnt(2)
	v_add_f64 v[68:69], v[114:115], -v[68:69]
	s_waitcnt vmcnt(0)
	v_add_f64 v[2:3], v[118:119], -v[2:3]
	buffer_store_dword v69, off, s[0:3], 0 offset:68
	buffer_store_dword v68, off, s[0:3], 0 offset:64
	;; [unrolled: 1-line block ×4, first 2 shown]
	v_cmpx_lt_u32_e32 2, v0
	s_cbranch_execz .LBB30_195
; %bb.194:
	v_mov_b32_e32 v2, s42
	s_clause 0x3
	buffer_load_dword v68, v2, s[0:3], 0 offen
	buffer_load_dword v69, v2, s[0:3], 0 offen offset:4
	buffer_load_dword v70, v2, s[0:3], 0 offen offset:8
	;; [unrolled: 1-line block ×3, first 2 shown]
	buffer_store_dword v1, off, s[0:3], 0 offset:48
	buffer_store_dword v1, off, s[0:3], 0 offset:52
	;; [unrolled: 1-line block ×4, first 2 shown]
	s_waitcnt vmcnt(0)
	ds_write_b128 v67, v[68:71]
.LBB30_195:
	s_or_b32 exec_lo, exec_lo, s4
	s_waitcnt lgkmcnt(0)
	s_waitcnt_vscnt null, 0x0
	s_barrier
	buffer_gl0_inv
	s_clause 0x37
	buffer_load_dword v2, off, s[0:3], 0 offset:72
	buffer_load_dword v3, off, s[0:3], 0 offset:76
	;; [unrolled: 1-line block ×56, first 2 shown]
	ds_read_b128 v[68:71], v1 offset:544
	s_clause 0x2
	buffer_load_dword v133, off, s[0:3], 0 offset:300
	buffer_load_dword v137, off, s[0:3], 0 offset:276
	;; [unrolled: 1-line block ×3, first 2 shown]
	ds_read_b128 v[72:75], v1 offset:560
	s_clause 0x4
	buffer_load_dword v141, off, s[0:3], 0 offset:316
	buffer_load_dword v142, off, s[0:3], 0 offset:328
	;; [unrolled: 1-line block ×5, first 2 shown]
	ds_read_b128 v[76:79], v1 offset:576
	s_mov_b32 s4, exec_lo
	s_waitcnt vmcnt(62) lgkmcnt(2)
	v_mul_f64 v[138:139], v[70:71], v[2:3]
	v_mul_f64 v[2:3], v[68:69], v[2:3]
	s_waitcnt vmcnt(60) lgkmcnt(1)
	v_mul_f64 v[145:146], v[74:75], v[80:81]
	v_mul_f64 v[80:81], v[72:73], v[80:81]
	;; [unrolled: 3-line block ×3, first 2 shown]
	v_fma_f64 v[138:139], v[68:69], v[82:83], -v[138:139]
	v_fma_f64 v[2:3], v[70:71], v[82:83], v[2:3]
	s_clause 0x2
	buffer_load_dword v143, off, s[0:3], 0 offset:332
	buffer_load_dword v83, off, s[0:3], 0 offset:308
	;; [unrolled: 1-line block ×3, first 2 shown]
	s_waitcnt vmcnt(57)
	v_fma_f64 v[149:150], v[72:73], v[86:87], -v[145:146]
	ds_read_b128 v[68:71], v1 offset:592
	v_fma_f64 v[80:81], v[74:75], v[86:87], v[80:81]
	s_clause 0x4
	buffer_load_dword v87, off, s[0:3], 0 offset:348
	buffer_load_dword v146, off, s[0:3], 0 offset:360
	;; [unrolled: 1-line block ×5, first 2 shown]
	s_waitcnt vmcnt(56)
	v_fma_f64 v[84:85], v[76:77], v[94:95], -v[84:85]
	ds_read_b128 v[72:75], v1 offset:608
	v_fma_f64 v[94:95], v[78:79], v[94:95], v[147:148]
	v_add_f64 v[138:139], v[138:139], 0
	v_add_f64 v[2:3], v[2:3], 0
	s_waitcnt lgkmcnt(1)
	v_mul_f64 v[152:153], v[68:69], v[88:89]
	v_mul_f64 v[88:89], v[70:71], v[88:89]
	v_add_f64 v[138:139], v[138:139], v[149:150]
	v_add_f64 v[2:3], v[2:3], v[80:81]
	s_clause 0x2
	buffer_load_dword v147, off, s[0:3], 0 offset:364
	buffer_load_dword v81, off, s[0:3], 0 offset:340
	;; [unrolled: 1-line block ×3, first 2 shown]
	s_waitcnt vmcnt(58) lgkmcnt(0)
	v_mul_f64 v[148:149], v[72:73], v[90:91]
	v_mul_f64 v[90:91], v[74:75], v[90:91]
	s_waitcnt vmcnt(56)
	v_fma_f64 v[88:89], v[68:69], v[96:97], -v[88:89]
	ds_read_b128 v[76:79], v1 offset:624
	v_fma_f64 v[96:97], v[70:71], v[96:97], v[152:153]
	v_add_f64 v[84:85], v[138:139], v[84:85]
	v_add_f64 v[2:3], v[2:3], v[94:95]
	s_clause 0x4
	buffer_load_dword v95, off, s[0:3], 0 offset:380
	buffer_load_dword v138, off, s[0:3], 0 offset:392
	;; [unrolled: 1-line block ×5, first 2 shown]
	ds_read_b128 v[68:71], v1 offset:640
	s_waitcnt vmcnt(57) lgkmcnt(1)
	v_mul_f64 v[154:155], v[76:77], v[98:99]
	v_mul_f64 v[98:99], v[78:79], v[98:99]
	s_waitcnt vmcnt(56)
	v_fma_f64 v[90:91], v[72:73], v[92:93], -v[90:91]
	v_add_f64 v[84:85], v[84:85], v[88:89]
	v_fma_f64 v[88:89], v[74:75], v[92:93], v[148:149]
	v_add_f64 v[2:3], v[2:3], v[96:97]
	s_clause 0x2
	buffer_load_dword v139, off, s[0:3], 0 offset:396
	buffer_load_dword v93, off, s[0:3], 0 offset:372
	;; [unrolled: 1-line block ×3, first 2 shown]
	s_waitcnt vmcnt(58) lgkmcnt(0)
	v_mul_f64 v[96:97], v[68:69], v[100:101]
	v_mul_f64 v[100:101], v[70:71], v[100:101]
	s_waitcnt vmcnt(56)
	v_fma_f64 v[98:99], v[76:77], v[104:105], -v[98:99]
	ds_read_b128 v[72:75], v1 offset:656
	v_add_f64 v[84:85], v[84:85], v[90:91]
	v_fma_f64 v[90:91], v[78:79], v[104:105], v[154:155]
	v_add_f64 v[2:3], v[2:3], v[88:89]
	s_clause 0x4
	buffer_load_dword v89, off, s[0:3], 0 offset:412
	buffer_load_dword v104, off, s[0:3], 0 offset:424
	;; [unrolled: 1-line block ×5, first 2 shown]
	ds_read_b128 v[76:79], v1 offset:672
	s_waitcnt vmcnt(57) lgkmcnt(1)
	v_mul_f64 v[149:150], v[72:73], v[106:107]
	v_mul_f64 v[106:107], v[74:75], v[106:107]
	s_waitcnt vmcnt(56)
	v_fma_f64 v[100:101], v[68:69], v[102:103], -v[100:101]
	v_fma_f64 v[96:97], v[70:71], v[102:103], v[96:97]
	v_add_f64 v[84:85], v[84:85], v[98:99]
	v_add_f64 v[2:3], v[2:3], v[90:91]
	s_clause 0x2
	buffer_load_dword v105, off, s[0:3], 0 offset:428
	buffer_load_dword v91, off, s[0:3], 0 offset:404
	;; [unrolled: 1-line block ×3, first 2 shown]
	s_waitcnt vmcnt(58) lgkmcnt(0)
	v_mul_f64 v[102:103], v[78:79], v[108:109]
	ds_read_b128 v[68:71], v1 offset:688
	s_waitcnt vmcnt(56)
	v_fma_f64 v[106:107], v[72:73], v[112:113], -v[106:107]
	v_mul_f64 v[98:99], v[76:77], v[108:109]
	v_add_f64 v[84:85], v[84:85], v[100:101]
	v_fma_f64 v[100:101], v[74:75], v[112:113], v[149:150]
	v_add_f64 v[2:3], v[2:3], v[96:97]
	s_clause 0x4
	buffer_load_dword v97, off, s[0:3], 0 offset:444
	buffer_load_dword v108, off, s[0:3], 0 offset:456
	;; [unrolled: 1-line block ×5, first 2 shown]
	s_waitcnt vmcnt(57) lgkmcnt(0)
	v_mul_f64 v[155:156], v[68:69], v[114:115]
	v_mul_f64 v[113:114], v[70:71], v[114:115]
	s_waitcnt vmcnt(56)
	v_fma_f64 v[102:103], v[76:77], v[110:111], -v[102:103]
	ds_read_b128 v[72:75], v1 offset:704
	v_fma_f64 v[98:99], v[78:79], v[110:111], v[98:99]
	v_add_f64 v[84:85], v[84:85], v[106:107]
	v_add_f64 v[2:3], v[2:3], v[100:101]
	s_clause 0x2
	buffer_load_dword v109, off, s[0:3], 0 offset:460
	buffer_load_dword v101, off, s[0:3], 0 offset:436
	;; [unrolled: 1-line block ×3, first 2 shown]
	ds_read_b128 v[76:79], v1 offset:720
	s_waitcnt vmcnt(58) lgkmcnt(1)
	v_mul_f64 v[110:111], v[74:75], v[116:117]
	s_waitcnt vmcnt(56)
	v_fma_f64 v[114:115], v[68:69], v[120:121], -v[113:114]
	v_mul_f64 v[106:107], v[72:73], v[116:117]
	v_add_f64 v[84:85], v[84:85], v[102:103]
	v_fma_f64 v[102:103], v[70:71], v[120:121], v[155:156]
	v_add_f64 v[2:3], v[2:3], v[98:99]
	s_clause 0x4
	buffer_load_dword v99, off, s[0:3], 0 offset:476
	buffer_load_dword v116, off, s[0:3], 0 offset:488
	buffer_load_dword v120, off, s[0:3], 0 offset:480
	buffer_load_dword v98, off, s[0:3], 0 offset:472
	buffer_load_dword v113, off, s[0:3], 0 offset:452
	s_waitcnt vmcnt(57) lgkmcnt(0)
	v_mul_f64 v[155:156], v[76:77], v[122:123]
	v_mul_f64 v[121:122], v[78:79], v[122:123]
	s_waitcnt vmcnt(56)
	v_fma_f64 v[110:111], v[72:73], v[118:119], -v[110:111]
	ds_read_b128 v[68:71], v1 offset:736
	v_fma_f64 v[106:107], v[74:75], v[118:119], v[106:107]
	v_add_f64 v[84:85], v[84:85], v[114:115]
	v_add_f64 v[2:3], v[2:3], v[102:103]
	s_clause 0x2
	buffer_load_dword v117, off, s[0:3], 0 offset:492
	buffer_load_dword v103, off, s[0:3], 0 offset:468
	buffer_load_dword v102, off, s[0:3], 0 offset:464
	ds_read_b128 v[72:75], v1 offset:752
	s_waitcnt vmcnt(58) lgkmcnt(1)
	v_mul_f64 v[118:119], v[70:71], v[124:125]
	s_waitcnt vmcnt(56)
	v_fma_f64 v[122:123], v[76:77], v[128:129], -v[121:122]
	v_mul_f64 v[114:115], v[68:69], v[124:125]
	v_add_f64 v[84:85], v[84:85], v[110:111]
	v_fma_f64 v[110:111], v[78:79], v[128:129], v[155:156]
	v_add_f64 v[2:3], v[2:3], v[106:107]
	s_clause 0x2
	buffer_load_dword v107, off, s[0:3], 0 offset:508
	buffer_load_dword v106, off, s[0:3], 0 offset:504
	;; [unrolled: 1-line block ×3, first 2 shown]
	s_waitcnt vmcnt(55) lgkmcnt(0)
	v_mul_f64 v[128:129], v[74:75], v[130:131]
	s_waitcnt vmcnt(54)
	v_fma_f64 v[118:119], v[68:69], v[126:127], -v[118:119]
	ds_read_b128 v[76:79], v1 offset:768
	v_mul_f64 v[124:125], v[72:73], v[130:131]
	v_fma_f64 v[114:115], v[70:71], v[126:127], v[114:115]
	v_add_f64 v[84:85], v[84:85], v[122:123]
	v_add_f64 v[2:3], v[2:3], v[110:111]
	s_clause 0x1
	buffer_load_dword v111, off, s[0:3], 0 offset:500
	buffer_load_dword v110, off, s[0:3], 0 offset:496
	s_waitcnt vmcnt(55) lgkmcnt(0)
	v_mul_f64 v[126:127], v[78:79], v[132:133]
	s_waitcnt vmcnt(53)
	v_fma_f64 v[128:129], v[72:73], v[136:137], -v[128:129]
	ds_read_b128 v[68:71], v1 offset:784
	v_mul_f64 v[122:123], v[76:77], v[132:133]
	v_add_f64 v[84:85], v[84:85], v[118:119]
	v_fma_f64 v[118:119], v[74:75], v[136:137], v[124:125]
	v_add_f64 v[2:3], v[2:3], v[114:115]
	ds_read_b128 v[72:75], v1 offset:800
	s_waitcnt vmcnt(49) lgkmcnt(1)
	v_mul_f64 v[124:125], v[70:71], v[140:141]
	s_waitcnt vmcnt(48)
	v_fma_f64 v[126:127], v[76:77], v[134:135], -v[126:127]
	v_mul_f64 v[114:115], v[68:69], v[140:141]
	v_fma_f64 v[122:123], v[78:79], v[134:135], v[122:123]
	v_add_f64 v[84:85], v[84:85], v[128:129]
	v_add_f64 v[2:3], v[2:3], v[118:119]
	s_clause 0x3
	buffer_load_dword v118, off, s[0:3], 0 offset:48
	buffer_load_dword v119, off, s[0:3], 0 offset:52
	;; [unrolled: 1-line block ×4, first 2 shown]
	ds_read_b128 v[76:79], v1 offset:816
	s_waitcnt vmcnt(51) lgkmcnt(1)
	v_mul_f64 v[132:133], v[74:75], v[142:143]
	v_mul_f64 v[130:131], v[72:73], v[142:143]
	s_waitcnt vmcnt(49)
	v_fma_f64 v[124:125], v[68:69], v[82:83], -v[124:125]
	v_fma_f64 v[82:83], v[70:71], v[82:83], v[114:115]
	ds_read_b128 v[68:71], v1 offset:832
	v_add_f64 v[84:85], v[84:85], v[126:127]
	v_add_f64 v[2:3], v[2:3], v[122:123]
	s_waitcnt vmcnt(45) lgkmcnt(1)
	v_mul_f64 v[114:115], v[76:77], v[86:87]
	v_mul_f64 v[86:87], v[78:79], v[86:87]
	s_waitcnt vmcnt(44)
	v_fma_f64 v[122:123], v[72:73], v[144:145], -v[132:133]
	v_add_f64 v[84:85], v[84:85], v[124:125]
	v_fma_f64 v[124:125], v[74:75], v[144:145], v[130:131]
	v_add_f64 v[2:3], v[2:3], v[82:83]
	ds_read_b128 v[72:75], v1 offset:848
	s_waitcnt vmcnt(43) lgkmcnt(1)
	v_mul_f64 v[126:127], v[70:71], v[146:147]
	v_mul_f64 v[82:83], v[68:69], v[146:147]
	s_waitcnt vmcnt(41)
	v_fma_f64 v[86:87], v[76:77], v[80:81], -v[86:87]
	v_fma_f64 v[80:81], v[78:79], v[80:81], v[114:115]
	ds_read_b128 v[76:79], v1 offset:864
	v_add_f64 v[84:85], v[84:85], v[122:123]
	v_add_f64 v[2:3], v[2:3], v[124:125]
	s_waitcnt vmcnt(37) lgkmcnt(1)
	v_mul_f64 v[114:115], v[72:73], v[94:95]
	v_mul_f64 v[94:95], v[74:75], v[94:95]
	s_waitcnt vmcnt(36)
	v_fma_f64 v[122:123], v[68:69], v[151:152], -v[126:127]
	v_fma_f64 v[82:83], v[70:71], v[151:152], v[82:83]
	ds_read_b128 v[68:71], v1 offset:880
	v_add_f64 v[84:85], v[84:85], v[86:87]
	v_add_f64 v[2:3], v[2:3], v[80:81]
	;; [unrolled: 9-line block ×5, first 2 shown]
	s_waitcnt vmcnt(21) lgkmcnt(1)
	v_mul_f64 v[86:87], v[78:79], v[96:97]
	s_waitcnt vmcnt(20)
	v_fma_f64 v[90:91], v[72:73], v[148:149], -v[94:95]
	v_mul_f64 v[80:81], v[76:77], v[96:97]
	v_add_f64 v[84:85], v[84:85], v[88:89]
	v_fma_f64 v[88:89], v[74:75], v[148:149], v[92:93]
	v_add_f64 v[2:3], v[2:3], v[82:83]
	ds_read_b128 v[72:75], v1 offset:944
	s_waitcnt vmcnt(19) lgkmcnt(1)
	v_mul_f64 v[92:93], v[70:71], v[108:109]
	v_mul_f64 v[82:83], v[68:69], v[108:109]
	s_waitcnt vmcnt(17)
	v_fma_f64 v[86:87], v[76:77], v[100:101], -v[86:87]
	v_fma_f64 v[80:81], v[78:79], v[100:101], v[80:81]
	ds_read_b128 v[76:79], v1 offset:960
	v_add_f64 v[84:85], v[84:85], v[90:91]
	v_add_f64 v[2:3], v[2:3], v[88:89]
	s_waitcnt vmcnt(13) lgkmcnt(1)
	v_mul_f64 v[90:91], v[74:75], v[98:99]
	s_waitcnt vmcnt(12)
	v_fma_f64 v[68:69], v[68:69], v[112:113], -v[92:93]
	v_mul_f64 v[88:89], v[72:73], v[98:99]
	v_fma_f64 v[70:71], v[70:71], v[112:113], v[82:83]
	v_add_f64 v[84:85], v[84:85], v[86:87]
	v_add_f64 v[80:81], v[2:3], v[80:81]
	ds_read_b128 v[1:4], v1 offset:976
	s_waitcnt vmcnt(11) lgkmcnt(1)
	v_mul_f64 v[86:87], v[78:79], v[116:117]
	v_mul_f64 v[82:83], v[76:77], v[116:117]
	s_waitcnt vmcnt(9)
	v_fma_f64 v[72:73], v[72:73], v[102:103], -v[90:91]
	v_fma_f64 v[74:75], v[74:75], v[102:103], v[88:89]
	v_add_f64 v[68:69], v[84:85], v[68:69]
	v_add_f64 v[70:71], v[80:81], v[70:71]
	s_waitcnt vmcnt(7) lgkmcnt(0)
	v_mul_f64 v[84:85], v[3:4], v[106:107]
	s_waitcnt vmcnt(6)
	v_fma_f64 v[76:77], v[76:77], v[120:121], -v[86:87]
	v_mul_f64 v[80:81], v[1:2], v[106:107]
	v_add_f64 v[68:69], v[68:69], v[72:73]
	v_fma_f64 v[72:73], v[78:79], v[120:121], v[82:83]
	v_add_f64 v[70:71], v[70:71], v[74:75]
	s_waitcnt vmcnt(4)
	v_fma_f64 v[1:2], v[1:2], v[110:111], -v[84:85]
	v_fma_f64 v[3:4], v[3:4], v[110:111], v[80:81]
	v_add_f64 v[68:69], v[68:69], v[76:77]
	v_add_f64 v[70:71], v[70:71], v[72:73]
	;; [unrolled: 1-line block ×4, first 2 shown]
	s_waitcnt vmcnt(2)
	v_add_f64 v[1:2], v[118:119], -v[1:2]
	s_waitcnt vmcnt(0)
	v_add_f64 v[3:4], v[128:129], -v[3:4]
	buffer_store_dword v2, off, s[0:3], 0 offset:52
	buffer_store_dword v1, off, s[0:3], 0 offset:48
	;; [unrolled: 1-line block ×4, first 2 shown]
	v_cmpx_lt_u32_e32 1, v0
	s_cbranch_execz .LBB30_197
; %bb.196:
	v_mov_b32_e32 v4, s43
	v_mov_b32_e32 v68, 0
	s_clause 0x3
	buffer_load_dword v1, v4, s[0:3], 0 offen
	buffer_load_dword v2, v4, s[0:3], 0 offen offset:4
	buffer_load_dword v3, v4, s[0:3], 0 offen offset:8
	;; [unrolled: 1-line block ×3, first 2 shown]
	buffer_store_dword v68, off, s[0:3], 0 offset:32
	buffer_store_dword v68, off, s[0:3], 0 offset:36
	;; [unrolled: 1-line block ×4, first 2 shown]
	s_waitcnt vmcnt(0)
	ds_write_b128 v67, v[1:4]
.LBB30_197:
	s_or_b32 exec_lo, exec_lo, s4
	s_waitcnt lgkmcnt(0)
	s_waitcnt_vscnt null, 0x0
	s_barrier
	buffer_gl0_inv
	s_clause 0x37
	buffer_load_dword v78, off, s[0:3], 0 offset:56
	buffer_load_dword v79, off, s[0:3], 0 offset:60
	;; [unrolled: 1-line block ×56, first 2 shown]
	v_mov_b32_e32 v73, 0
	s_mov_b32 s4, exec_lo
	ds_read_b128 v[68:71], v73 offset:528
	s_clause 0x2
	buffer_load_dword v131, off, s[0:3], 0 offset:284
	buffer_load_dword v135, off, s[0:3], 0 offset:260
	;; [unrolled: 1-line block ×3, first 2 shown]
	ds_read_b128 v[74:77], v73 offset:544
	s_clause 0x4
	buffer_load_dword v141, off, s[0:3], 0 offset:300
	buffer_load_dword v142, off, s[0:3], 0 offset:312
	;; [unrolled: 1-line block ×5, first 2 shown]
	s_waitcnt vmcnt(62) lgkmcnt(1)
	v_mul_f64 v[136:137], v[70:71], v[78:79]
	v_mul_f64 v[138:139], v[68:69], v[78:79]
	s_waitcnt vmcnt(60) lgkmcnt(0)
	v_mul_f64 v[145:146], v[76:77], v[82:83]
	ds_read_b128 v[78:81], v73 offset:560
	v_mul_f64 v[82:83], v[74:75], v[82:83]
	s_waitcnt vmcnt(58)
	v_fma_f64 v[136:137], v[68:69], v[84:85], -v[136:137]
	v_fma_f64 v[84:85], v[70:71], v[84:85], v[138:139]
	s_clause 0x2
	buffer_load_dword v143, off, s[0:3], 0 offset:316
	buffer_load_dword v139, off, s[0:3], 0 offset:292
	;; [unrolled: 1-line block ×3, first 2 shown]
	s_waitcnt vmcnt(59) lgkmcnt(0)
	v_mul_f64 v[149:150], v[80:81], v[3:4]
	s_waitcnt vmcnt(57)
	v_fma_f64 v[74:75], v[74:75], v[1:2], -v[145:146]
	ds_read_b128 v[68:71], v73 offset:576
	v_mul_f64 v[147:148], v[78:79], v[3:4]
	v_fma_f64 v[76:77], v[76:77], v[1:2], v[82:83]
	v_add_f64 v[136:137], v[136:137], 0
	v_add_f64 v[82:83], v[84:85], 0
	s_clause 0x4
	buffer_load_dword v85, off, s[0:3], 0 offset:332
	buffer_load_dword v146, off, s[0:3], 0 offset:344
	;; [unrolled: 1-line block ×5, first 2 shown]
	s_waitcnt vmcnt(58) lgkmcnt(0)
	v_mul_f64 v[152:153], v[68:69], v[86:87]
	v_mul_f64 v[86:87], v[70:71], v[86:87]
	s_waitcnt vmcnt(56)
	v_fma_f64 v[78:79], v[78:79], v[92:93], -v[149:150]
	ds_read_b128 v[1:4], v73 offset:592
	v_fma_f64 v[80:81], v[80:81], v[92:93], v[147:148]
	s_clause 0x2
	buffer_load_dword v147, off, s[0:3], 0 offset:348
	buffer_load_dword v93, off, s[0:3], 0 offset:324
	buffer_load_dword v92, off, s[0:3], 0 offset:320
	v_add_f64 v[136:137], v[136:137], v[74:75]
	v_add_f64 v[82:83], v[82:83], v[76:77]
	ds_read_b128 v[74:77], v73 offset:608
	s_waitcnt vmcnt(58) lgkmcnt(1)
	v_mul_f64 v[148:149], v[1:2], v[88:89]
	v_mul_f64 v[88:89], v[3:4], v[88:89]
	s_waitcnt vmcnt(56)
	v_fma_f64 v[86:87], v[68:69], v[94:95], -v[86:87]
	v_fma_f64 v[94:95], v[70:71], v[94:95], v[152:153]
	s_waitcnt vmcnt(52) lgkmcnt(0)
	v_mul_f64 v[154:155], v[74:75], v[96:97]
	v_add_f64 v[78:79], v[136:137], v[78:79]
	v_add_f64 v[80:81], v[82:83], v[80:81]
	s_clause 0x4
	buffer_load_dword v83, off, s[0:3], 0 offset:364
	buffer_load_dword v136, off, s[0:3], 0 offset:376
	;; [unrolled: 1-line block ×5, first 2 shown]
	v_mul_f64 v[96:97], v[76:77], v[96:97]
	s_waitcnt vmcnt(56)
	v_fma_f64 v[88:89], v[1:2], v[90:91], -v[88:89]
	ds_read_b128 v[68:71], v73 offset:624
	v_add_f64 v[78:79], v[78:79], v[86:87]
	v_fma_f64 v[86:87], v[3:4], v[90:91], v[148:149]
	v_add_f64 v[80:81], v[80:81], v[94:95]
	s_clause 0x2
	buffer_load_dword v137, off, s[0:3], 0 offset:380
	buffer_load_dword v91, off, s[0:3], 0 offset:356
	;; [unrolled: 1-line block ×3, first 2 shown]
	s_waitcnt vmcnt(58) lgkmcnt(0)
	v_mul_f64 v[94:95], v[68:69], v[98:99]
	v_mul_f64 v[98:99], v[70:71], v[98:99]
	s_waitcnt vmcnt(56)
	v_fma_f64 v[96:97], v[74:75], v[102:103], -v[96:97]
	ds_read_b128 v[1:4], v73 offset:640
	v_add_f64 v[78:79], v[78:79], v[88:89]
	v_fma_f64 v[88:89], v[76:77], v[102:103], v[154:155]
	v_add_f64 v[80:81], v[80:81], v[86:87]
	s_clause 0x4
	buffer_load_dword v87, off, s[0:3], 0 offset:396
	buffer_load_dword v102, off, s[0:3], 0 offset:408
	;; [unrolled: 1-line block ×5, first 2 shown]
	ds_read_b128 v[74:77], v73 offset:656
	s_waitcnt vmcnt(57) lgkmcnt(1)
	v_mul_f64 v[149:150], v[1:2], v[104:105]
	v_mul_f64 v[104:105], v[3:4], v[104:105]
	s_waitcnt vmcnt(56)
	v_fma_f64 v[98:99], v[68:69], v[100:101], -v[98:99]
	v_fma_f64 v[94:95], v[70:71], v[100:101], v[94:95]
	v_add_f64 v[78:79], v[78:79], v[96:97]
	v_add_f64 v[80:81], v[80:81], v[88:89]
	s_clause 0x2
	buffer_load_dword v103, off, s[0:3], 0 offset:412
	buffer_load_dword v89, off, s[0:3], 0 offset:388
	buffer_load_dword v88, off, s[0:3], 0 offset:384
	s_waitcnt vmcnt(58) lgkmcnt(0)
	v_mul_f64 v[100:101], v[76:77], v[106:107]
	ds_read_b128 v[68:71], v73 offset:672
	s_waitcnt vmcnt(56)
	v_fma_f64 v[104:105], v[1:2], v[110:111], -v[104:105]
	v_mul_f64 v[96:97], v[74:75], v[106:107]
	v_add_f64 v[78:79], v[78:79], v[98:99]
	v_fma_f64 v[98:99], v[3:4], v[110:111], v[149:150]
	v_add_f64 v[80:81], v[80:81], v[94:95]
	s_clause 0x4
	buffer_load_dword v95, off, s[0:3], 0 offset:428
	buffer_load_dword v106, off, s[0:3], 0 offset:440
	buffer_load_dword v110, off, s[0:3], 0 offset:432
	buffer_load_dword v94, off, s[0:3], 0 offset:424
	buffer_load_dword v149, off, s[0:3], 0 offset:404
	s_waitcnt vmcnt(57) lgkmcnt(0)
	v_mul_f64 v[155:156], v[68:69], v[112:113]
	v_mul_f64 v[111:112], v[70:71], v[112:113]
	s_waitcnt vmcnt(56)
	v_fma_f64 v[100:101], v[74:75], v[108:109], -v[100:101]
	ds_read_b128 v[1:4], v73 offset:688
	v_fma_f64 v[96:97], v[76:77], v[108:109], v[96:97]
	v_add_f64 v[78:79], v[78:79], v[104:105]
	v_add_f64 v[80:81], v[80:81], v[98:99]
	s_clause 0x2
	buffer_load_dword v107, off, s[0:3], 0 offset:444
	buffer_load_dword v99, off, s[0:3], 0 offset:420
	buffer_load_dword v98, off, s[0:3], 0 offset:416
	ds_read_b128 v[74:77], v73 offset:704
	s_waitcnt vmcnt(58) lgkmcnt(1)
	v_mul_f64 v[108:109], v[3:4], v[114:115]
	s_waitcnt vmcnt(56)
	v_fma_f64 v[112:113], v[68:69], v[118:119], -v[111:112]
	v_mul_f64 v[104:105], v[1:2], v[114:115]
	v_add_f64 v[78:79], v[78:79], v[100:101]
	v_fma_f64 v[100:101], v[70:71], v[118:119], v[155:156]
	v_add_f64 v[80:81], v[80:81], v[96:97]
	s_clause 0x4
	buffer_load_dword v97, off, s[0:3], 0 offset:460
	buffer_load_dword v114, off, s[0:3], 0 offset:472
	buffer_load_dword v118, off, s[0:3], 0 offset:464
	buffer_load_dword v96, off, s[0:3], 0 offset:456
	buffer_load_dword v111, off, s[0:3], 0 offset:436
	s_waitcnt vmcnt(57) lgkmcnt(0)
	v_mul_f64 v[155:156], v[74:75], v[120:121]
	v_mul_f64 v[119:120], v[76:77], v[120:121]
	s_waitcnt vmcnt(56)
	v_fma_f64 v[108:109], v[1:2], v[116:117], -v[108:109]
	ds_read_b128 v[68:71], v73 offset:720
	v_fma_f64 v[104:105], v[3:4], v[116:117], v[104:105]
	v_add_f64 v[78:79], v[78:79], v[112:113]
	v_add_f64 v[80:81], v[80:81], v[100:101]
	s_clause 0x2
	buffer_load_dword v115, off, s[0:3], 0 offset:476
	buffer_load_dword v101, off, s[0:3], 0 offset:452
	buffer_load_dword v100, off, s[0:3], 0 offset:448
	ds_read_b128 v[1:4], v73 offset:736
	s_waitcnt vmcnt(58) lgkmcnt(1)
	v_mul_f64 v[116:117], v[70:71], v[122:123]
	;; [unrolled: 28-line block ×3, first 2 shown]
	s_waitcnt vmcnt(56)
	v_fma_f64 v[128:129], v[1:2], v[134:135], -v[127:128]
	v_mul_f64 v[120:121], v[74:75], v[130:131]
	buffer_load_dword v127, off, s[0:3], 0 offset:500
	v_add_f64 v[78:79], v[78:79], v[116:117]
	v_fma_f64 v[116:117], v[3:4], v[134:135], v[155:156]
	v_add_f64 v[80:81], v[80:81], v[112:113]
	ds_read_b128 v[1:4], v73 offset:784
	s_waitcnt vmcnt(53) lgkmcnt(1)
	v_mul_f64 v[130:131], v[70:71], v[140:141]
	s_waitcnt vmcnt(52)
	v_fma_f64 v[124:125], v[74:75], v[132:133], -v[124:125]
	v_mul_f64 v[112:113], v[68:69], v[140:141]
	v_fma_f64 v[120:121], v[76:77], v[132:133], v[120:121]
	ds_read_b128 v[74:77], v73 offset:800
	v_add_f64 v[78:79], v[78:79], v[128:129]
	v_add_f64 v[80:81], v[80:81], v[116:117]
	s_waitcnt vmcnt(51) lgkmcnt(1)
	v_mul_f64 v[128:129], v[3:4], v[142:143]
	v_mul_f64 v[116:117], v[1:2], v[142:143]
	s_waitcnt vmcnt(49)
	v_fma_f64 v[130:131], v[68:69], v[138:139], -v[130:131]
	v_fma_f64 v[112:113], v[70:71], v[138:139], v[112:113]
	v_add_f64 v[78:79], v[78:79], v[124:125]
	v_add_f64 v[80:81], v[80:81], v[120:121]
	s_clause 0x3
	buffer_load_dword v120, off, s[0:3], 0 offset:32
	buffer_load_dword v121, off, s[0:3], 0 offset:36
	;; [unrolled: 1-line block ×4, first 2 shown]
	ds_read_b128 v[68:71], v73 offset:816
	s_waitcnt vmcnt(49) lgkmcnt(1)
	v_mul_f64 v[132:133], v[74:75], v[84:85]
	v_mul_f64 v[84:85], v[76:77], v[84:85]
	s_waitcnt vmcnt(48)
	v_fma_f64 v[128:129], v[1:2], v[144:145], -v[128:129]
	v_fma_f64 v[116:117], v[3:4], v[144:145], v[116:117]
	ds_read_b128 v[1:4], v73 offset:832
	v_add_f64 v[78:79], v[78:79], v[130:131]
	v_add_f64 v[80:81], v[80:81], v[112:113]
	s_waitcnt vmcnt(47) lgkmcnt(1)
	v_mul_f64 v[130:131], v[70:71], v[146:147]
	v_mul_f64 v[112:113], v[68:69], v[146:147]
	s_waitcnt vmcnt(45)
	v_fma_f64 v[84:85], v[74:75], v[92:93], -v[84:85]
	v_fma_f64 v[92:93], v[76:77], v[92:93], v[132:133]
	ds_read_b128 v[74:77], v73 offset:848
	v_add_f64 v[78:79], v[78:79], v[128:129]
	v_add_f64 v[80:81], v[80:81], v[116:117]
	s_waitcnt vmcnt(41) lgkmcnt(1)
	v_mul_f64 v[116:117], v[1:2], v[82:83]
	v_mul_f64 v[82:83], v[3:4], v[82:83]
	s_waitcnt vmcnt(40)
	v_fma_f64 v[128:129], v[68:69], v[151:152], -v[130:131]
	v_add_f64 v[78:79], v[78:79], v[84:85]
	v_fma_f64 v[84:85], v[70:71], v[151:152], v[112:113]
	v_add_f64 v[80:81], v[80:81], v[92:93]
	ds_read_b128 v[68:71], v73 offset:864
	s_waitcnt vmcnt(39) lgkmcnt(1)
	v_mul_f64 v[112:113], v[76:77], v[136:137]
	v_mul_f64 v[92:93], v[74:75], v[136:137]
	s_waitcnt vmcnt(37)
	v_fma_f64 v[82:83], v[1:2], v[90:91], -v[82:83]
	v_fma_f64 v[90:91], v[3:4], v[90:91], v[116:117]
	ds_read_b128 v[1:4], v73 offset:880
	v_add_f64 v[78:79], v[78:79], v[128:129]
	v_add_f64 v[80:81], v[80:81], v[84:85]
	s_waitcnt vmcnt(33) lgkmcnt(1)
	v_mul_f64 v[84:85], v[68:69], v[86:87]
	v_mul_f64 v[86:87], v[70:71], v[86:87]
	s_waitcnt vmcnt(32)
	v_fma_f64 v[112:113], v[74:75], v[153:154], -v[112:113]
	v_add_f64 v[78:79], v[78:79], v[82:83]
	v_fma_f64 v[82:83], v[76:77], v[153:154], v[92:93]
	v_add_f64 v[80:81], v[80:81], v[90:91]
	ds_read_b128 v[74:77], v73 offset:896
	s_waitcnt vmcnt(31) lgkmcnt(1)
	v_mul_f64 v[92:93], v[3:4], v[102:103]
	v_mul_f64 v[90:91], v[1:2], v[102:103]
	s_waitcnt vmcnt(29)
	v_fma_f64 v[86:87], v[68:69], v[88:89], -v[86:87]
	v_fma_f64 v[84:85], v[70:71], v[88:89], v[84:85]
	ds_read_b128 v[68:71], v73 offset:912
	v_add_f64 v[78:79], v[78:79], v[112:113]
	v_add_f64 v[80:81], v[80:81], v[82:83]
	s_waitcnt vmcnt(25) lgkmcnt(1)
	v_mul_f64 v[88:89], v[76:77], v[94:95]
	s_waitcnt vmcnt(24)
	v_fma_f64 v[92:93], v[1:2], v[148:149], -v[92:93]
	v_mul_f64 v[82:83], v[74:75], v[94:95]
	v_add_f64 v[78:79], v[78:79], v[86:87]
	v_fma_f64 v[86:87], v[3:4], v[148:149], v[90:91]
	v_add_f64 v[80:81], v[80:81], v[84:85]
	ds_read_b128 v[1:4], v73 offset:928
	s_waitcnt vmcnt(23) lgkmcnt(1)
	v_mul_f64 v[90:91], v[70:71], v[106:107]
	v_mul_f64 v[84:85], v[68:69], v[106:107]
	s_waitcnt vmcnt(21)
	v_fma_f64 v[88:89], v[74:75], v[98:99], -v[88:89]
	v_fma_f64 v[82:83], v[76:77], v[98:99], v[82:83]
	ds_read_b128 v[74:77], v73 offset:944
	v_add_f64 v[78:79], v[78:79], v[92:93]
	v_add_f64 v[80:81], v[80:81], v[86:87]
	s_waitcnt vmcnt(17) lgkmcnt(1)
	v_mul_f64 v[92:93], v[3:4], v[96:97]
	s_waitcnt vmcnt(16)
	v_fma_f64 v[90:91], v[68:69], v[110:111], -v[90:91]
	v_mul_f64 v[86:87], v[1:2], v[96:97]
	v_fma_f64 v[84:85], v[70:71], v[110:111], v[84:85]
	ds_read_b128 v[68:71], v73 offset:960
	v_add_f64 v[78:79], v[78:79], v[88:89]
	v_add_f64 v[80:81], v[80:81], v[82:83]
	s_waitcnt vmcnt(15) lgkmcnt(1)
	v_mul_f64 v[88:89], v[76:77], v[114:115]
	v_mul_f64 v[82:83], v[74:75], v[114:115]
	s_waitcnt vmcnt(13)
	v_fma_f64 v[92:93], v[1:2], v[100:101], -v[92:93]
	v_fma_f64 v[86:87], v[3:4], v[100:101], v[86:87]
	ds_read_b128 v[1:4], v73 offset:976
	v_add_f64 v[78:79], v[78:79], v[90:91]
	v_add_f64 v[80:81], v[80:81], v[84:85]
	s_waitcnt vmcnt(9) lgkmcnt(1)
	v_mul_f64 v[90:91], v[70:71], v[104:105]
	s_waitcnt vmcnt(8)
	v_fma_f64 v[74:75], v[74:75], v[118:119], -v[88:89]
	v_mul_f64 v[84:85], v[68:69], v[104:105]
	v_fma_f64 v[76:77], v[76:77], v[118:119], v[82:83]
	v_add_f64 v[78:79], v[78:79], v[92:93]
	v_add_f64 v[80:81], v[80:81], v[86:87]
	s_waitcnt vmcnt(7) lgkmcnt(0)
	v_mul_f64 v[86:87], v[3:4], v[122:123]
	v_mul_f64 v[82:83], v[1:2], v[122:123]
	s_waitcnt vmcnt(5)
	v_fma_f64 v[68:69], v[68:69], v[108:109], -v[90:91]
	v_fma_f64 v[70:71], v[70:71], v[108:109], v[84:85]
	v_add_f64 v[74:75], v[78:79], v[74:75]
	v_add_f64 v[76:77], v[80:81], v[76:77]
	s_waitcnt vmcnt(4)
	v_fma_f64 v[1:2], v[1:2], v[126:127], -v[86:87]
	v_fma_f64 v[3:4], v[3:4], v[126:127], v[82:83]
	v_add_f64 v[68:69], v[74:75], v[68:69]
	v_add_f64 v[70:71], v[76:77], v[70:71]
	;; [unrolled: 1-line block ×4, first 2 shown]
	s_waitcnt vmcnt(2)
	v_add_f64 v[1:2], v[120:121], -v[1:2]
	s_waitcnt vmcnt(0)
	v_add_f64 v[3:4], v[124:125], -v[3:4]
	buffer_store_dword v2, off, s[0:3], 0 offset:36
	buffer_store_dword v1, off, s[0:3], 0 offset:32
	;; [unrolled: 1-line block ×4, first 2 shown]
	v_cmpx_ne_u32_e32 0, v0
	s_cbranch_execz .LBB30_199
; %bb.198:
	s_clause 0x3
	buffer_load_dword v0, off, s[0:3], 0 offset:16
	buffer_load_dword v1, off, s[0:3], 0 offset:20
	;; [unrolled: 1-line block ×4, first 2 shown]
	buffer_store_dword v73, off, s[0:3], 0 offset:16
	buffer_store_dword v73, off, s[0:3], 0 offset:20
	;; [unrolled: 1-line block ×4, first 2 shown]
	s_waitcnt vmcnt(0)
	ds_write_b128 v67, v[0:3]
.LBB30_199:
	s_or_b32 exec_lo, exec_lo, s4
	s_waitcnt lgkmcnt(0)
	s_waitcnt_vscnt null, 0x0
	s_barrier
	buffer_gl0_inv
	s_clause 0x37
	buffer_load_dword v71, off, s[0:3], 0 offset:40
	buffer_load_dword v72, off, s[0:3], 0 offset:44
	;; [unrolled: 1-line block ×56, first 2 shown]
	ds_read_b128 v[74:77], v73 offset:512
	s_clause 0x2
	buffer_load_dword v131, off, s[0:3], 0 offset:268
	buffer_load_dword v135, off, s[0:3], 0 offset:244
	;; [unrolled: 1-line block ×3, first 2 shown]
	ds_read_b128 v[78:81], v73 offset:528
	s_clause 0x4
	buffer_load_dword v139, off, s[0:3], 0 offset:284
	buffer_load_dword v140, off, s[0:3], 0 offset:296
	;; [unrolled: 1-line block ×5, first 2 shown]
	ds_read_b128 v[82:85], v73 offset:544
	s_clause 0x2
	buffer_load_dword v141, off, s[0:3], 0 offset:300
	buffer_load_dword v146, off, s[0:3], 0 offset:276
	;; [unrolled: 1-line block ×3, first 2 shown]
	s_and_b32 vcc_lo, exec_lo, s40
	s_waitcnt vmcnt(62) lgkmcnt(2)
	v_mul_f64 v[136:137], v[76:77], v[71:72]
	v_mul_f64 v[71:72], v[74:75], v[71:72]
	s_waitcnt lgkmcnt(1)
	v_mul_f64 v[143:144], v[80:81], v[67:68]
	s_waitcnt vmcnt(59) lgkmcnt(0)
	v_mul_f64 v[147:148], v[84:85], v[2:3]
	v_fma_f64 v[74:75], v[74:75], v[69:70], -v[136:137]
	v_mul_f64 v[136:137], v[78:79], v[67:68]
	v_fma_f64 v[71:72], v[76:77], v[69:70], v[71:72]
	s_waitcnt vmcnt(57)
	v_fma_f64 v[78:79], v[78:79], v[0:1], -v[143:144]
	ds_read_b128 v[67:70], v73 offset:560
	v_mul_f64 v[76:77], v[82:83], v[2:3]
	s_waitcnt vmcnt(51)
	v_fma_f64 v[82:83], v[82:83], v[92:93], -v[147:148]
	v_add_f64 v[74:75], v[74:75], 0
	v_fma_f64 v[80:81], v[80:81], v[0:1], v[136:137]
	v_add_f64 v[71:72], v[71:72], 0
	s_clause 0x4
	buffer_load_dword v137, off, s[0:3], 0 offset:316
	buffer_load_dword v149, off, s[0:3], 0 offset:328
	;; [unrolled: 1-line block ×5, first 2 shown]
	s_waitcnt lgkmcnt(0)
	v_mul_f64 v[152:153], v[67:68], v[86:87]
	v_mul_f64 v[86:87], v[69:70], v[86:87]
	ds_read_b128 v[0:3], v73 offset:576
	v_fma_f64 v[84:85], v[84:85], v[92:93], v[76:77]
	v_add_f64 v[78:79], v[74:75], v[78:79]
	v_add_f64 v[71:72], v[71:72], v[80:81]
	s_clause 0x2
	buffer_load_dword v150, off, s[0:3], 0 offset:332
	buffer_load_dword v81, off, s[0:3], 0 offset:308
	;; [unrolled: 1-line block ×3, first 2 shown]
	s_waitcnt vmcnt(58) lgkmcnt(0)
	v_mul_f64 v[92:93], v[0:1], v[88:89]
	v_mul_f64 v[88:89], v[2:3], v[88:89]
	s_waitcnt vmcnt(56)
	v_fma_f64 v[86:87], v[67:68], v[94:95], -v[86:87]
	ds_read_b128 v[74:77], v73 offset:592
	v_add_f64 v[78:79], v[78:79], v[82:83]
	v_fma_f64 v[82:83], v[69:70], v[94:95], v[152:153]
	v_add_f64 v[71:72], v[71:72], v[84:85]
	s_clause 0x4
	buffer_load_dword v85, off, s[0:3], 0 offset:348
	buffer_load_dword v94, off, s[0:3], 0 offset:360
	;; [unrolled: 1-line block ×5, first 2 shown]
	ds_read_b128 v[67:70], v73 offset:608
	s_waitcnt vmcnt(57) lgkmcnt(1)
	v_mul_f64 v[153:154], v[74:75], v[96:97]
	v_mul_f64 v[96:97], v[76:77], v[96:97]
	s_waitcnt vmcnt(56)
	v_fma_f64 v[88:89], v[0:1], v[90:91], -v[88:89]
	v_add_f64 v[78:79], v[78:79], v[86:87]
	v_fma_f64 v[86:87], v[2:3], v[90:91], v[92:93]
	v_add_f64 v[71:72], v[71:72], v[82:83]
	s_clause 0x2
	buffer_load_dword v95, off, s[0:3], 0 offset:364
	buffer_load_dword v83, off, s[0:3], 0 offset:340
	;; [unrolled: 1-line block ×3, first 2 shown]
	s_waitcnt vmcnt(58) lgkmcnt(0)
	v_mul_f64 v[92:93], v[69:70], v[98:99]
	ds_read_b128 v[0:3], v73 offset:624
	s_waitcnt vmcnt(56)
	v_fma_f64 v[96:97], v[74:75], v[102:103], -v[96:97]
	v_mul_f64 v[90:91], v[67:68], v[98:99]
	v_add_f64 v[78:79], v[78:79], v[88:89]
	v_fma_f64 v[88:89], v[76:77], v[102:103], v[153:154]
	v_add_f64 v[71:72], v[71:72], v[86:87]
	s_clause 0x4
	buffer_load_dword v87, off, s[0:3], 0 offset:380
	buffer_load_dword v98, off, s[0:3], 0 offset:392
	buffer_load_dword v102, off, s[0:3], 0 offset:384
	buffer_load_dword v86, off, s[0:3], 0 offset:376
	buffer_load_dword v148, off, s[0:3], 0 offset:356
	s_waitcnt vmcnt(57) lgkmcnt(0)
	v_mul_f64 v[153:154], v[0:1], v[104:105]
	v_mul_f64 v[103:104], v[2:3], v[104:105]
	s_waitcnt vmcnt(56)
	v_fma_f64 v[92:93], v[67:68], v[100:101], -v[92:93]
	ds_read_b128 v[74:77], v73 offset:640
	v_fma_f64 v[90:91], v[69:70], v[100:101], v[90:91]
	v_add_f64 v[78:79], v[78:79], v[96:97]
	v_add_f64 v[71:72], v[71:72], v[88:89]
	s_clause 0x2
	buffer_load_dword v99, off, s[0:3], 0 offset:396
	buffer_load_dword v89, off, s[0:3], 0 offset:372
	buffer_load_dword v88, off, s[0:3], 0 offset:368
	ds_read_b128 v[67:70], v73 offset:656
	s_waitcnt vmcnt(58) lgkmcnt(1)
	v_mul_f64 v[100:101], v[76:77], v[106:107]
	s_waitcnt vmcnt(56)
	v_fma_f64 v[104:105], v[0:1], v[110:111], -v[103:104]
	v_mul_f64 v[96:97], v[74:75], v[106:107]
	v_add_f64 v[78:79], v[78:79], v[92:93]
	v_fma_f64 v[92:93], v[2:3], v[110:111], v[153:154]
	v_add_f64 v[71:72], v[71:72], v[90:91]
	s_clause 0x4
	buffer_load_dword v91, off, s[0:3], 0 offset:412
	buffer_load_dword v106, off, s[0:3], 0 offset:424
	buffer_load_dword v110, off, s[0:3], 0 offset:416
	buffer_load_dword v90, off, s[0:3], 0 offset:408
	buffer_load_dword v103, off, s[0:3], 0 offset:388
	s_waitcnt vmcnt(57) lgkmcnt(0)
	v_mul_f64 v[153:154], v[67:68], v[112:113]
	v_mul_f64 v[111:112], v[69:70], v[112:113]
	s_waitcnt vmcnt(56)
	v_fma_f64 v[100:101], v[74:75], v[108:109], -v[100:101]
	ds_read_b128 v[0:3], v73 offset:672
	v_fma_f64 v[96:97], v[76:77], v[108:109], v[96:97]
	v_add_f64 v[78:79], v[78:79], v[104:105]
	v_add_f64 v[71:72], v[71:72], v[92:93]
	s_clause 0x2
	buffer_load_dword v107, off, s[0:3], 0 offset:428
	buffer_load_dword v93, off, s[0:3], 0 offset:404
	buffer_load_dword v92, off, s[0:3], 0 offset:400
	ds_read_b128 v[74:77], v73 offset:688
	s_waitcnt vmcnt(58) lgkmcnt(1)
	v_mul_f64 v[108:109], v[2:3], v[114:115]
	;; [unrolled: 28-line block ×4, first 2 shown]
	s_waitcnt vmcnt(56)
	v_fma_f64 v[128:129], v[0:1], v[134:135], -v[127:128]
	v_mul_f64 v[120:121], v[74:75], v[130:131]
	v_add_f64 v[78:79], v[78:79], v[116:117]
	v_fma_f64 v[116:117], v[2:3], v[134:135], v[153:154]
	v_add_f64 v[71:72], v[71:72], v[112:113]
	s_clause 0x2
	buffer_load_dword v113, off, s[0:3], 0 offset:508
	buffer_load_dword v112, off, s[0:3], 0 offset:504
	;; [unrolled: 1-line block ×3, first 2 shown]
	s_waitcnt vmcnt(55) lgkmcnt(0)
	v_mul_f64 v[134:135], v[69:70], v[138:139]
	s_waitcnt vmcnt(54)
	v_fma_f64 v[124:125], v[74:75], v[132:133], -v[124:125]
	ds_read_b128 v[0:3], v73 offset:768
	v_mul_f64 v[130:131], v[67:68], v[138:139]
	v_fma_f64 v[120:121], v[76:77], v[132:133], v[120:121]
	v_add_f64 v[78:79], v[78:79], v[128:129]
	v_add_f64 v[71:72], v[71:72], v[116:117]
	s_clause 0x1
	buffer_load_dword v117, off, s[0:3], 0 offset:500
	buffer_load_dword v116, off, s[0:3], 0 offset:496
	s_waitcnt vmcnt(55) lgkmcnt(0)
	v_mul_f64 v[132:133], v[2:3], v[140:141]
	s_waitcnt vmcnt(53)
	v_fma_f64 v[134:135], v[67:68], v[145:146], -v[134:135]
	ds_read_b128 v[74:77], v73 offset:784
	v_mul_f64 v[128:129], v[0:1], v[140:141]
	v_add_f64 v[78:79], v[78:79], v[124:125]
	v_fma_f64 v[124:125], v[69:70], v[145:146], v[130:131]
	v_add_f64 v[71:72], v[71:72], v[120:121]
	ds_read_b128 v[67:70], v73 offset:800
	s_waitcnt vmcnt(49) lgkmcnt(1)
	v_mul_f64 v[130:131], v[76:77], v[136:137]
	s_waitcnt vmcnt(48)
	v_fma_f64 v[132:133], v[0:1], v[142:143], -v[132:133]
	v_mul_f64 v[120:121], v[74:75], v[136:137]
	v_fma_f64 v[128:129], v[2:3], v[142:143], v[128:129]
	v_add_f64 v[78:79], v[78:79], v[134:135]
	v_add_f64 v[71:72], v[71:72], v[124:125]
	s_clause 0x3
	buffer_load_dword v124, off, s[0:3], 0 offset:16
	buffer_load_dword v125, off, s[0:3], 0 offset:20
	;; [unrolled: 1-line block ×4, first 2 shown]
	ds_read_b128 v[0:3], v73 offset:816
	s_waitcnt vmcnt(51) lgkmcnt(1)
	v_mul_f64 v[138:139], v[69:70], v[149:150]
	v_mul_f64 v[136:137], v[67:68], v[149:150]
	s_waitcnt vmcnt(49)
	v_fma_f64 v[130:131], v[74:75], v[80:81], -v[130:131]
	v_fma_f64 v[80:81], v[76:77], v[80:81], v[120:121]
	ds_read_b128 v[74:77], v73 offset:832
	v_add_f64 v[78:79], v[78:79], v[132:133]
	v_add_f64 v[71:72], v[71:72], v[128:129]
	s_waitcnt vmcnt(45) lgkmcnt(1)
	v_mul_f64 v[120:121], v[0:1], v[84:85]
	v_mul_f64 v[84:85], v[2:3], v[84:85]
	s_waitcnt vmcnt(44)
	v_fma_f64 v[128:129], v[67:68], v[151:152], -v[138:139]
	v_add_f64 v[78:79], v[78:79], v[130:131]
	v_fma_f64 v[130:131], v[69:70], v[151:152], v[136:137]
	v_add_f64 v[71:72], v[71:72], v[80:81]
	ds_read_b128 v[67:70], v73 offset:848
	s_waitcnt vmcnt(43) lgkmcnt(1)
	v_mul_f64 v[80:81], v[74:75], v[94:95]
	v_mul_f64 v[94:95], v[76:77], v[94:95]
	s_waitcnt vmcnt(41)
	v_fma_f64 v[84:85], v[0:1], v[82:83], -v[84:85]
	v_fma_f64 v[82:83], v[2:3], v[82:83], v[120:121]
	ds_read_b128 v[0:3], v73 offset:864
	v_add_f64 v[78:79], v[78:79], v[128:129]
	v_add_f64 v[71:72], v[71:72], v[130:131]
	s_waitcnt vmcnt(37) lgkmcnt(1)
	v_mul_f64 v[120:121], v[67:68], v[86:87]
	v_mul_f64 v[86:87], v[69:70], v[86:87]
	s_waitcnt vmcnt(36)
	v_fma_f64 v[94:95], v[74:75], v[147:148], -v[94:95]
	v_fma_f64 v[80:81], v[76:77], v[147:148], v[80:81]
	ds_read_b128 v[74:77], v73 offset:880
	v_add_f64 v[78:79], v[78:79], v[84:85]
	v_add_f64 v[71:72], v[71:72], v[82:83]
	;; [unrolled: 9-line block ×5, first 2 shown]
	s_waitcnt vmcnt(21) lgkmcnt(1)
	v_mul_f64 v[84:85], v[2:3], v[96:97]
	s_waitcnt vmcnt(20)
	v_fma_f64 v[88:89], v[67:68], v[110:111], -v[88:89]
	v_mul_f64 v[82:83], v[0:1], v[96:97]
	v_fma_f64 v[86:87], v[69:70], v[110:111], v[86:87]
	ds_read_b128 v[67:70], v73 offset:944
	v_add_f64 v[78:79], v[78:79], v[90:91]
	v_add_f64 v[71:72], v[71:72], v[80:81]
	s_waitcnt vmcnt(19) lgkmcnt(1)
	v_mul_f64 v[90:91], v[76:77], v[114:115]
	v_mul_f64 v[80:81], v[74:75], v[114:115]
	s_waitcnt vmcnt(17)
	v_fma_f64 v[84:85], v[0:1], v[100:101], -v[84:85]
	v_fma_f64 v[82:83], v[2:3], v[100:101], v[82:83]
	ds_read_b128 v[0:3], v73 offset:960
	v_add_f64 v[78:79], v[78:79], v[88:89]
	v_add_f64 v[71:72], v[71:72], v[86:87]
	s_waitcnt vmcnt(13) lgkmcnt(1)
	v_mul_f64 v[88:89], v[69:70], v[104:105]
	s_waitcnt vmcnt(12)
	v_fma_f64 v[90:91], v[74:75], v[118:119], -v[90:91]
	v_mul_f64 v[86:87], v[67:68], v[104:105]
	v_fma_f64 v[75:76], v[76:77], v[118:119], v[80:81]
	v_add_f64 v[78:79], v[78:79], v[84:85]
	v_add_f64 v[80:81], v[71:72], v[82:83]
	ds_read_b128 v[71:74], v73 offset:976
	s_waitcnt vmcnt(11) lgkmcnt(1)
	v_mul_f64 v[84:85], v[2:3], v[122:123]
	v_mul_f64 v[82:83], v[0:1], v[122:123]
	s_waitcnt vmcnt(9)
	v_fma_f64 v[67:68], v[67:68], v[108:109], -v[88:89]
	v_fma_f64 v[69:70], v[69:70], v[108:109], v[86:87]
	v_add_f64 v[77:78], v[78:79], v[90:91]
	v_add_f64 v[75:76], v[80:81], v[75:76]
	s_waitcnt vmcnt(7) lgkmcnt(0)
	v_mul_f64 v[86:87], v[73:74], v[112:113]
	s_waitcnt vmcnt(6)
	v_fma_f64 v[0:1], v[0:1], v[126:127], -v[84:85]
	v_mul_f64 v[79:80], v[71:72], v[112:113]
	v_fma_f64 v[2:3], v[2:3], v[126:127], v[82:83]
	v_add_f64 v[67:68], v[77:78], v[67:68]
	v_add_f64 v[69:70], v[75:76], v[69:70]
	s_waitcnt vmcnt(4)
	v_fma_f64 v[71:72], v[71:72], v[116:117], -v[86:87]
	v_add_f64 v[0:1], v[67:68], v[0:1]
	v_fma_f64 v[67:68], v[73:74], v[116:117], v[79:80]
	v_add_f64 v[2:3], v[69:70], v[2:3]
	v_add_f64 v[0:1], v[0:1], v[71:72]
	v_add_f64 v[2:3], v[2:3], v[67:68]
	s_waitcnt vmcnt(2)
	v_add_f64 v[0:1], v[124:125], -v[0:1]
	s_waitcnt vmcnt(0)
	v_add_f64 v[2:3], v[134:135], -v[2:3]
	buffer_store_dword v1, off, s[0:3], 0 offset:20
	buffer_store_dword v0, off, s[0:3], 0 offset:16
	;; [unrolled: 1-line block ×4, first 2 shown]
	s_cbranch_vccz .LBB30_260
; %bb.200:
	v_mov_b32_e32 v0, 0
	global_load_dword v1, v0, s[20:21] offset:116
	s_waitcnt vmcnt(0)
	v_add_nc_u32_e32 v1, -1, v1
	v_cmp_ne_u32_e32 vcc_lo, 29, v1
	s_cbranch_vccz .LBB30_202
; %bb.201:
	v_lshlrev_b32_e32 v1, 4, v1
	v_mov_b32_e32 v2, s9
	v_add_nc_u32_e32 v1, 16, v1
	s_clause 0x7
	buffer_load_dword v3, v1, s[0:3], 0 offen
	buffer_load_dword v4, v1, s[0:3], 0 offen offset:4
	buffer_load_dword v67, v1, s[0:3], 0 offen offset:8
	;; [unrolled: 1-line block ×6, first 2 shown]
	buffer_load_dword v72, v2, s[0:3], 0 offen
	s_waitcnt vmcnt(7)
	buffer_store_dword v3, v2, s[0:3], 0 offen
	s_waitcnt vmcnt(6)
	buffer_store_dword v4, v2, s[0:3], 0 offen offset:4
	s_waitcnt vmcnt(5)
	buffer_store_dword v67, v2, s[0:3], 0 offen offset:8
	;; [unrolled: 2-line block ×6, first 2 shown]
	s_waitcnt vmcnt(0)
	buffer_store_dword v72, v1, s[0:3], 0 offen
.LBB30_202:
	global_load_dword v0, v0, s[20:21] offset:112
	s_waitcnt vmcnt(0)
	v_add_nc_u32_e32 v0, -1, v0
	v_cmp_eq_u32_e32 vcc_lo, 28, v0
	s_cbranch_vccnz .LBB30_204
; %bb.203:
	v_lshlrev_b32_e32 v0, 4, v0
	v_mov_b32_e32 v1, s12
	v_add_nc_u32_e32 v0, 16, v0
	s_clause 0x7
	buffer_load_dword v2, v0, s[0:3], 0 offen
	buffer_load_dword v3, v0, s[0:3], 0 offen offset:4
	buffer_load_dword v4, v0, s[0:3], 0 offen offset:8
	;; [unrolled: 1-line block ×6, first 2 shown]
	buffer_load_dword v71, v1, s[0:3], 0 offen
	s_waitcnt vmcnt(7)
	buffer_store_dword v2, v1, s[0:3], 0 offen
	s_waitcnt vmcnt(6)
	buffer_store_dword v3, v1, s[0:3], 0 offen offset:4
	s_waitcnt vmcnt(5)
	buffer_store_dword v4, v1, s[0:3], 0 offen offset:8
	;; [unrolled: 2-line block ×6, first 2 shown]
	s_waitcnt vmcnt(0)
	buffer_store_dword v71, v0, s[0:3], 0 offen
.LBB30_204:
	v_mov_b32_e32 v0, 0
	global_load_dword v1, v0, s[20:21] offset:108
	s_waitcnt vmcnt(0)
	v_add_nc_u32_e32 v1, -1, v1
	v_cmp_eq_u32_e32 vcc_lo, 27, v1
	s_cbranch_vccnz .LBB30_206
; %bb.205:
	v_lshlrev_b32_e32 v1, 4, v1
	v_mov_b32_e32 v2, s13
	v_add_nc_u32_e32 v1, 16, v1
	s_clause 0x7
	buffer_load_dword v3, v1, s[0:3], 0 offen
	buffer_load_dword v4, v1, s[0:3], 0 offen offset:4
	buffer_load_dword v67, v1, s[0:3], 0 offen offset:8
	;; [unrolled: 1-line block ×6, first 2 shown]
	buffer_load_dword v72, v2, s[0:3], 0 offen
	s_waitcnt vmcnt(7)
	buffer_store_dword v3, v2, s[0:3], 0 offen
	s_waitcnt vmcnt(6)
	buffer_store_dword v4, v2, s[0:3], 0 offen offset:4
	s_waitcnt vmcnt(5)
	buffer_store_dword v67, v2, s[0:3], 0 offen offset:8
	;; [unrolled: 2-line block ×6, first 2 shown]
	s_waitcnt vmcnt(0)
	buffer_store_dword v72, v1, s[0:3], 0 offen
.LBB30_206:
	global_load_dword v0, v0, s[20:21] offset:104
	s_waitcnt vmcnt(0)
	v_add_nc_u32_e32 v0, -1, v0
	v_cmp_eq_u32_e32 vcc_lo, 26, v0
	s_cbranch_vccnz .LBB30_208
; %bb.207:
	v_lshlrev_b32_e32 v0, 4, v0
	v_mov_b32_e32 v1, s14
	v_add_nc_u32_e32 v0, 16, v0
	s_clause 0x7
	buffer_load_dword v2, v0, s[0:3], 0 offen
	buffer_load_dword v3, v0, s[0:3], 0 offen offset:4
	buffer_load_dword v4, v0, s[0:3], 0 offen offset:8
	;; [unrolled: 1-line block ×6, first 2 shown]
	buffer_load_dword v71, v1, s[0:3], 0 offen
	s_waitcnt vmcnt(7)
	buffer_store_dword v2, v1, s[0:3], 0 offen
	s_waitcnt vmcnt(6)
	buffer_store_dword v3, v1, s[0:3], 0 offen offset:4
	s_waitcnt vmcnt(5)
	buffer_store_dword v4, v1, s[0:3], 0 offen offset:8
	;; [unrolled: 2-line block ×6, first 2 shown]
	s_waitcnt vmcnt(0)
	buffer_store_dword v71, v0, s[0:3], 0 offen
.LBB30_208:
	v_mov_b32_e32 v0, 0
	global_load_dword v1, v0, s[20:21] offset:100
	s_waitcnt vmcnt(0)
	v_add_nc_u32_e32 v1, -1, v1
	v_cmp_eq_u32_e32 vcc_lo, 25, v1
	s_cbranch_vccnz .LBB30_210
; %bb.209:
	v_lshlrev_b32_e32 v1, 4, v1
	v_mov_b32_e32 v2, s15
	v_add_nc_u32_e32 v1, 16, v1
	s_clause 0x7
	buffer_load_dword v3, v1, s[0:3], 0 offen
	buffer_load_dword v4, v1, s[0:3], 0 offen offset:4
	buffer_load_dword v67, v1, s[0:3], 0 offen offset:8
	;; [unrolled: 1-line block ×6, first 2 shown]
	buffer_load_dword v72, v2, s[0:3], 0 offen
	s_waitcnt vmcnt(7)
	buffer_store_dword v3, v2, s[0:3], 0 offen
	s_waitcnt vmcnt(6)
	buffer_store_dword v4, v2, s[0:3], 0 offen offset:4
	s_waitcnt vmcnt(5)
	buffer_store_dword v67, v2, s[0:3], 0 offen offset:8
	;; [unrolled: 2-line block ×6, first 2 shown]
	s_waitcnt vmcnt(0)
	buffer_store_dword v72, v1, s[0:3], 0 offen
.LBB30_210:
	global_load_dword v0, v0, s[20:21] offset:96
	s_waitcnt vmcnt(0)
	v_add_nc_u32_e32 v0, -1, v0
	v_cmp_eq_u32_e32 vcc_lo, 24, v0
	s_cbranch_vccnz .LBB30_212
; %bb.211:
	v_lshlrev_b32_e32 v0, 4, v0
	v_mov_b32_e32 v1, s16
	v_add_nc_u32_e32 v0, 16, v0
	s_clause 0x7
	buffer_load_dword v2, v0, s[0:3], 0 offen
	buffer_load_dword v3, v0, s[0:3], 0 offen offset:4
	buffer_load_dword v4, v0, s[0:3], 0 offen offset:8
	;; [unrolled: 1-line block ×6, first 2 shown]
	buffer_load_dword v71, v1, s[0:3], 0 offen
	s_waitcnt vmcnt(7)
	buffer_store_dword v2, v1, s[0:3], 0 offen
	s_waitcnt vmcnt(6)
	buffer_store_dword v3, v1, s[0:3], 0 offen offset:4
	s_waitcnt vmcnt(5)
	buffer_store_dword v4, v1, s[0:3], 0 offen offset:8
	s_waitcnt vmcnt(4)
	buffer_store_dword v67, v1, s[0:3], 0 offen offset:12
	s_waitcnt vmcnt(3)
	buffer_store_dword v68, v0, s[0:3], 0 offen offset:12
	s_waitcnt vmcnt(2)
	buffer_store_dword v69, v0, s[0:3], 0 offen offset:8
	s_waitcnt vmcnt(1)
	buffer_store_dword v70, v0, s[0:3], 0 offen offset:4
	s_waitcnt vmcnt(0)
	buffer_store_dword v71, v0, s[0:3], 0 offen
.LBB30_212:
	v_mov_b32_e32 v0, 0
	global_load_dword v1, v0, s[20:21] offset:92
	s_waitcnt vmcnt(0)
	v_add_nc_u32_e32 v1, -1, v1
	v_cmp_eq_u32_e32 vcc_lo, 23, v1
	s_cbranch_vccnz .LBB30_214
; %bb.213:
	v_lshlrev_b32_e32 v1, 4, v1
	v_mov_b32_e32 v2, s17
	v_add_nc_u32_e32 v1, 16, v1
	s_clause 0x7
	buffer_load_dword v3, v1, s[0:3], 0 offen
	buffer_load_dword v4, v1, s[0:3], 0 offen offset:4
	buffer_load_dword v67, v1, s[0:3], 0 offen offset:8
	;; [unrolled: 1-line block ×6, first 2 shown]
	buffer_load_dword v72, v2, s[0:3], 0 offen
	s_waitcnt vmcnt(7)
	buffer_store_dword v3, v2, s[0:3], 0 offen
	s_waitcnt vmcnt(6)
	buffer_store_dword v4, v2, s[0:3], 0 offen offset:4
	s_waitcnt vmcnt(5)
	buffer_store_dword v67, v2, s[0:3], 0 offen offset:8
	;; [unrolled: 2-line block ×6, first 2 shown]
	s_waitcnt vmcnt(0)
	buffer_store_dword v72, v1, s[0:3], 0 offen
.LBB30_214:
	global_load_dword v0, v0, s[20:21] offset:88
	s_waitcnt vmcnt(0)
	v_add_nc_u32_e32 v0, -1, v0
	v_cmp_eq_u32_e32 vcc_lo, 22, v0
	s_cbranch_vccnz .LBB30_216
; %bb.215:
	v_lshlrev_b32_e32 v0, 4, v0
	v_mov_b32_e32 v1, s18
	v_add_nc_u32_e32 v0, 16, v0
	s_clause 0x7
	buffer_load_dword v2, v0, s[0:3], 0 offen
	buffer_load_dword v3, v0, s[0:3], 0 offen offset:4
	buffer_load_dword v4, v0, s[0:3], 0 offen offset:8
	;; [unrolled: 1-line block ×6, first 2 shown]
	buffer_load_dword v71, v1, s[0:3], 0 offen
	s_waitcnt vmcnt(7)
	buffer_store_dword v2, v1, s[0:3], 0 offen
	s_waitcnt vmcnt(6)
	buffer_store_dword v3, v1, s[0:3], 0 offen offset:4
	s_waitcnt vmcnt(5)
	buffer_store_dword v4, v1, s[0:3], 0 offen offset:8
	;; [unrolled: 2-line block ×6, first 2 shown]
	s_waitcnt vmcnt(0)
	buffer_store_dword v71, v0, s[0:3], 0 offen
.LBB30_216:
	v_mov_b32_e32 v0, 0
	global_load_dword v1, v0, s[20:21] offset:84
	s_waitcnt vmcnt(0)
	v_add_nc_u32_e32 v1, -1, v1
	v_cmp_eq_u32_e32 vcc_lo, 21, v1
	s_cbranch_vccnz .LBB30_218
; %bb.217:
	v_lshlrev_b32_e32 v1, 4, v1
	v_mov_b32_e32 v2, s19
	v_add_nc_u32_e32 v1, 16, v1
	s_clause 0x7
	buffer_load_dword v3, v1, s[0:3], 0 offen
	buffer_load_dword v4, v1, s[0:3], 0 offen offset:4
	buffer_load_dword v67, v1, s[0:3], 0 offen offset:8
	;; [unrolled: 1-line block ×6, first 2 shown]
	buffer_load_dword v72, v2, s[0:3], 0 offen
	s_waitcnt vmcnt(7)
	buffer_store_dword v3, v2, s[0:3], 0 offen
	s_waitcnt vmcnt(6)
	buffer_store_dword v4, v2, s[0:3], 0 offen offset:4
	s_waitcnt vmcnt(5)
	buffer_store_dword v67, v2, s[0:3], 0 offen offset:8
	;; [unrolled: 2-line block ×6, first 2 shown]
	s_waitcnt vmcnt(0)
	buffer_store_dword v72, v1, s[0:3], 0 offen
.LBB30_218:
	global_load_dword v0, v0, s[20:21] offset:80
	s_waitcnt vmcnt(0)
	v_add_nc_u32_e32 v0, -1, v0
	v_cmp_eq_u32_e32 vcc_lo, 20, v0
	s_cbranch_vccnz .LBB30_220
; %bb.219:
	v_lshlrev_b32_e32 v0, 4, v0
	v_mov_b32_e32 v1, s22
	v_add_nc_u32_e32 v0, 16, v0
	s_clause 0x7
	buffer_load_dword v2, v0, s[0:3], 0 offen
	buffer_load_dword v3, v0, s[0:3], 0 offen offset:4
	buffer_load_dword v4, v0, s[0:3], 0 offen offset:8
	;; [unrolled: 1-line block ×6, first 2 shown]
	buffer_load_dword v71, v1, s[0:3], 0 offen
	s_waitcnt vmcnt(7)
	buffer_store_dword v2, v1, s[0:3], 0 offen
	s_waitcnt vmcnt(6)
	buffer_store_dword v3, v1, s[0:3], 0 offen offset:4
	s_waitcnt vmcnt(5)
	buffer_store_dword v4, v1, s[0:3], 0 offen offset:8
	;; [unrolled: 2-line block ×6, first 2 shown]
	s_waitcnt vmcnt(0)
	buffer_store_dword v71, v0, s[0:3], 0 offen
.LBB30_220:
	v_mov_b32_e32 v0, 0
	global_load_dword v1, v0, s[20:21] offset:76
	s_waitcnt vmcnt(0)
	v_add_nc_u32_e32 v1, -1, v1
	v_cmp_eq_u32_e32 vcc_lo, 19, v1
	s_cbranch_vccnz .LBB30_222
; %bb.221:
	v_lshlrev_b32_e32 v1, 4, v1
	v_mov_b32_e32 v2, s23
	v_add_nc_u32_e32 v1, 16, v1
	s_clause 0x7
	buffer_load_dword v3, v1, s[0:3], 0 offen
	buffer_load_dword v4, v1, s[0:3], 0 offen offset:4
	buffer_load_dword v67, v1, s[0:3], 0 offen offset:8
	;; [unrolled: 1-line block ×6, first 2 shown]
	buffer_load_dword v72, v2, s[0:3], 0 offen
	s_waitcnt vmcnt(7)
	buffer_store_dword v3, v2, s[0:3], 0 offen
	s_waitcnt vmcnt(6)
	buffer_store_dword v4, v2, s[0:3], 0 offen offset:4
	s_waitcnt vmcnt(5)
	buffer_store_dword v67, v2, s[0:3], 0 offen offset:8
	;; [unrolled: 2-line block ×6, first 2 shown]
	s_waitcnt vmcnt(0)
	buffer_store_dword v72, v1, s[0:3], 0 offen
.LBB30_222:
	global_load_dword v0, v0, s[20:21] offset:72
	s_waitcnt vmcnt(0)
	v_add_nc_u32_e32 v0, -1, v0
	v_cmp_eq_u32_e32 vcc_lo, 18, v0
	s_cbranch_vccnz .LBB30_224
; %bb.223:
	v_lshlrev_b32_e32 v0, 4, v0
	v_mov_b32_e32 v1, s24
	v_add_nc_u32_e32 v0, 16, v0
	s_clause 0x7
	buffer_load_dword v2, v0, s[0:3], 0 offen
	buffer_load_dword v3, v0, s[0:3], 0 offen offset:4
	buffer_load_dword v4, v0, s[0:3], 0 offen offset:8
	;; [unrolled: 1-line block ×6, first 2 shown]
	buffer_load_dword v71, v1, s[0:3], 0 offen
	s_waitcnt vmcnt(7)
	buffer_store_dword v2, v1, s[0:3], 0 offen
	s_waitcnt vmcnt(6)
	buffer_store_dword v3, v1, s[0:3], 0 offen offset:4
	s_waitcnt vmcnt(5)
	buffer_store_dword v4, v1, s[0:3], 0 offen offset:8
	;; [unrolled: 2-line block ×6, first 2 shown]
	s_waitcnt vmcnt(0)
	buffer_store_dword v71, v0, s[0:3], 0 offen
.LBB30_224:
	v_mov_b32_e32 v0, 0
	global_load_dword v1, v0, s[20:21] offset:68
	s_waitcnt vmcnt(0)
	v_add_nc_u32_e32 v1, -1, v1
	v_cmp_eq_u32_e32 vcc_lo, 17, v1
	s_cbranch_vccnz .LBB30_226
; %bb.225:
	v_lshlrev_b32_e32 v1, 4, v1
	v_mov_b32_e32 v2, s25
	v_add_nc_u32_e32 v1, 16, v1
	s_clause 0x7
	buffer_load_dword v3, v1, s[0:3], 0 offen
	buffer_load_dword v4, v1, s[0:3], 0 offen offset:4
	buffer_load_dword v67, v1, s[0:3], 0 offen offset:8
	;; [unrolled: 1-line block ×6, first 2 shown]
	buffer_load_dword v72, v2, s[0:3], 0 offen
	s_waitcnt vmcnt(7)
	buffer_store_dword v3, v2, s[0:3], 0 offen
	s_waitcnt vmcnt(6)
	buffer_store_dword v4, v2, s[0:3], 0 offen offset:4
	s_waitcnt vmcnt(5)
	buffer_store_dword v67, v2, s[0:3], 0 offen offset:8
	;; [unrolled: 2-line block ×6, first 2 shown]
	s_waitcnt vmcnt(0)
	buffer_store_dword v72, v1, s[0:3], 0 offen
.LBB30_226:
	global_load_dword v0, v0, s[20:21] offset:64
	s_waitcnt vmcnt(0)
	v_add_nc_u32_e32 v0, -1, v0
	v_cmp_eq_u32_e32 vcc_lo, 16, v0
	s_cbranch_vccnz .LBB30_228
; %bb.227:
	v_lshlrev_b32_e32 v0, 4, v0
	v_mov_b32_e32 v1, s26
	v_add_nc_u32_e32 v0, 16, v0
	s_clause 0x7
	buffer_load_dword v2, v0, s[0:3], 0 offen
	buffer_load_dword v3, v0, s[0:3], 0 offen offset:4
	buffer_load_dword v4, v0, s[0:3], 0 offen offset:8
	;; [unrolled: 1-line block ×6, first 2 shown]
	buffer_load_dword v71, v1, s[0:3], 0 offen
	s_waitcnt vmcnt(7)
	buffer_store_dword v2, v1, s[0:3], 0 offen
	s_waitcnt vmcnt(6)
	buffer_store_dword v3, v1, s[0:3], 0 offen offset:4
	s_waitcnt vmcnt(5)
	buffer_store_dword v4, v1, s[0:3], 0 offen offset:8
	;; [unrolled: 2-line block ×6, first 2 shown]
	s_waitcnt vmcnt(0)
	buffer_store_dword v71, v0, s[0:3], 0 offen
.LBB30_228:
	v_mov_b32_e32 v0, 0
	global_load_dword v1, v0, s[20:21] offset:60
	s_waitcnt vmcnt(0)
	v_add_nc_u32_e32 v1, -1, v1
	v_cmp_eq_u32_e32 vcc_lo, 15, v1
	s_cbranch_vccnz .LBB30_230
; %bb.229:
	v_lshlrev_b32_e32 v1, 4, v1
	v_mov_b32_e32 v2, s27
	v_add_nc_u32_e32 v1, 16, v1
	s_clause 0x7
	buffer_load_dword v3, v1, s[0:3], 0 offen
	buffer_load_dword v4, v1, s[0:3], 0 offen offset:4
	buffer_load_dword v67, v1, s[0:3], 0 offen offset:8
	;; [unrolled: 1-line block ×6, first 2 shown]
	buffer_load_dword v72, v2, s[0:3], 0 offen
	s_waitcnt vmcnt(7)
	buffer_store_dword v3, v2, s[0:3], 0 offen
	s_waitcnt vmcnt(6)
	buffer_store_dword v4, v2, s[0:3], 0 offen offset:4
	s_waitcnt vmcnt(5)
	buffer_store_dword v67, v2, s[0:3], 0 offen offset:8
	;; [unrolled: 2-line block ×6, first 2 shown]
	s_waitcnt vmcnt(0)
	buffer_store_dword v72, v1, s[0:3], 0 offen
.LBB30_230:
	global_load_dword v0, v0, s[20:21] offset:56
	s_waitcnt vmcnt(0)
	v_add_nc_u32_e32 v0, -1, v0
	v_cmp_eq_u32_e32 vcc_lo, 14, v0
	s_cbranch_vccnz .LBB30_232
; %bb.231:
	v_lshlrev_b32_e32 v0, 4, v0
	v_mov_b32_e32 v1, s28
	v_add_nc_u32_e32 v0, 16, v0
	s_clause 0x7
	buffer_load_dword v2, v0, s[0:3], 0 offen
	buffer_load_dword v3, v0, s[0:3], 0 offen offset:4
	buffer_load_dword v4, v0, s[0:3], 0 offen offset:8
	;; [unrolled: 1-line block ×6, first 2 shown]
	buffer_load_dword v71, v1, s[0:3], 0 offen
	s_waitcnt vmcnt(7)
	buffer_store_dword v2, v1, s[0:3], 0 offen
	s_waitcnt vmcnt(6)
	buffer_store_dword v3, v1, s[0:3], 0 offen offset:4
	s_waitcnt vmcnt(5)
	buffer_store_dword v4, v1, s[0:3], 0 offen offset:8
	;; [unrolled: 2-line block ×6, first 2 shown]
	s_waitcnt vmcnt(0)
	buffer_store_dword v71, v0, s[0:3], 0 offen
.LBB30_232:
	v_mov_b32_e32 v0, 0
	global_load_dword v1, v0, s[20:21] offset:52
	s_waitcnt vmcnt(0)
	v_add_nc_u32_e32 v1, -1, v1
	v_cmp_eq_u32_e32 vcc_lo, 13, v1
	s_cbranch_vccnz .LBB30_234
; %bb.233:
	v_lshlrev_b32_e32 v1, 4, v1
	v_mov_b32_e32 v2, s29
	v_add_nc_u32_e32 v1, 16, v1
	s_clause 0x7
	buffer_load_dword v3, v1, s[0:3], 0 offen
	buffer_load_dword v4, v1, s[0:3], 0 offen offset:4
	buffer_load_dword v67, v1, s[0:3], 0 offen offset:8
	;; [unrolled: 1-line block ×6, first 2 shown]
	buffer_load_dword v72, v2, s[0:3], 0 offen
	s_waitcnt vmcnt(7)
	buffer_store_dword v3, v2, s[0:3], 0 offen
	s_waitcnt vmcnt(6)
	buffer_store_dword v4, v2, s[0:3], 0 offen offset:4
	s_waitcnt vmcnt(5)
	buffer_store_dword v67, v2, s[0:3], 0 offen offset:8
	;; [unrolled: 2-line block ×6, first 2 shown]
	s_waitcnt vmcnt(0)
	buffer_store_dword v72, v1, s[0:3], 0 offen
.LBB30_234:
	global_load_dword v0, v0, s[20:21] offset:48
	s_waitcnt vmcnt(0)
	v_add_nc_u32_e32 v0, -1, v0
	v_cmp_eq_u32_e32 vcc_lo, 12, v0
	s_cbranch_vccnz .LBB30_236
; %bb.235:
	v_lshlrev_b32_e32 v0, 4, v0
	v_mov_b32_e32 v1, s30
	v_add_nc_u32_e32 v0, 16, v0
	s_clause 0x7
	buffer_load_dword v2, v0, s[0:3], 0 offen
	buffer_load_dword v3, v0, s[0:3], 0 offen offset:4
	buffer_load_dword v4, v0, s[0:3], 0 offen offset:8
	;; [unrolled: 1-line block ×6, first 2 shown]
	buffer_load_dword v71, v1, s[0:3], 0 offen
	s_waitcnt vmcnt(7)
	buffer_store_dword v2, v1, s[0:3], 0 offen
	s_waitcnt vmcnt(6)
	buffer_store_dword v3, v1, s[0:3], 0 offen offset:4
	s_waitcnt vmcnt(5)
	buffer_store_dword v4, v1, s[0:3], 0 offen offset:8
	s_waitcnt vmcnt(4)
	buffer_store_dword v67, v1, s[0:3], 0 offen offset:12
	s_waitcnt vmcnt(3)
	buffer_store_dword v68, v0, s[0:3], 0 offen offset:12
	s_waitcnt vmcnt(2)
	buffer_store_dword v69, v0, s[0:3], 0 offen offset:8
	s_waitcnt vmcnt(1)
	buffer_store_dword v70, v0, s[0:3], 0 offen offset:4
	s_waitcnt vmcnt(0)
	buffer_store_dword v71, v0, s[0:3], 0 offen
.LBB30_236:
	v_mov_b32_e32 v0, 0
	global_load_dword v1, v0, s[20:21] offset:44
	s_waitcnt vmcnt(0)
	v_add_nc_u32_e32 v1, -1, v1
	v_cmp_eq_u32_e32 vcc_lo, 11, v1
	s_cbranch_vccnz .LBB30_238
; %bb.237:
	v_lshlrev_b32_e32 v1, 4, v1
	v_mov_b32_e32 v2, s31
	v_add_nc_u32_e32 v1, 16, v1
	s_clause 0x7
	buffer_load_dword v3, v1, s[0:3], 0 offen
	buffer_load_dword v4, v1, s[0:3], 0 offen offset:4
	buffer_load_dword v67, v1, s[0:3], 0 offen offset:8
	;; [unrolled: 1-line block ×6, first 2 shown]
	buffer_load_dword v72, v2, s[0:3], 0 offen
	s_waitcnt vmcnt(7)
	buffer_store_dword v3, v2, s[0:3], 0 offen
	s_waitcnt vmcnt(6)
	buffer_store_dword v4, v2, s[0:3], 0 offen offset:4
	s_waitcnt vmcnt(5)
	buffer_store_dword v67, v2, s[0:3], 0 offen offset:8
	s_waitcnt vmcnt(4)
	buffer_store_dword v68, v2, s[0:3], 0 offen offset:12
	s_waitcnt vmcnt(3)
	buffer_store_dword v69, v1, s[0:3], 0 offen offset:12
	s_waitcnt vmcnt(2)
	buffer_store_dword v70, v1, s[0:3], 0 offen offset:8
	s_waitcnt vmcnt(1)
	buffer_store_dword v71, v1, s[0:3], 0 offen offset:4
	s_waitcnt vmcnt(0)
	buffer_store_dword v72, v1, s[0:3], 0 offen
.LBB30_238:
	global_load_dword v0, v0, s[20:21] offset:40
	s_waitcnt vmcnt(0)
	v_add_nc_u32_e32 v0, -1, v0
	v_cmp_eq_u32_e32 vcc_lo, 10, v0
	s_cbranch_vccnz .LBB30_240
; %bb.239:
	v_lshlrev_b32_e32 v0, 4, v0
	v_mov_b32_e32 v1, s33
	v_add_nc_u32_e32 v0, 16, v0
	s_clause 0x7
	buffer_load_dword v2, v0, s[0:3], 0 offen
	buffer_load_dword v3, v0, s[0:3], 0 offen offset:4
	buffer_load_dword v4, v0, s[0:3], 0 offen offset:8
	;; [unrolled: 1-line block ×6, first 2 shown]
	buffer_load_dword v71, v1, s[0:3], 0 offen
	s_waitcnt vmcnt(7)
	buffer_store_dword v2, v1, s[0:3], 0 offen
	s_waitcnt vmcnt(6)
	buffer_store_dword v3, v1, s[0:3], 0 offen offset:4
	s_waitcnt vmcnt(5)
	buffer_store_dword v4, v1, s[0:3], 0 offen offset:8
	;; [unrolled: 2-line block ×6, first 2 shown]
	s_waitcnt vmcnt(0)
	buffer_store_dword v71, v0, s[0:3], 0 offen
.LBB30_240:
	v_mov_b32_e32 v0, 0
	global_load_dword v1, v0, s[20:21] offset:36
	s_waitcnt vmcnt(0)
	v_add_nc_u32_e32 v1, -1, v1
	v_cmp_eq_u32_e32 vcc_lo, 9, v1
	s_cbranch_vccnz .LBB30_242
; %bb.241:
	v_lshlrev_b32_e32 v1, 4, v1
	v_mov_b32_e32 v2, s34
	v_add_nc_u32_e32 v1, 16, v1
	s_clause 0x7
	buffer_load_dword v3, v1, s[0:3], 0 offen
	buffer_load_dword v4, v1, s[0:3], 0 offen offset:4
	buffer_load_dword v67, v1, s[0:3], 0 offen offset:8
	;; [unrolled: 1-line block ×6, first 2 shown]
	buffer_load_dword v72, v2, s[0:3], 0 offen
	s_waitcnt vmcnt(7)
	buffer_store_dword v3, v2, s[0:3], 0 offen
	s_waitcnt vmcnt(6)
	buffer_store_dword v4, v2, s[0:3], 0 offen offset:4
	s_waitcnt vmcnt(5)
	buffer_store_dword v67, v2, s[0:3], 0 offen offset:8
	;; [unrolled: 2-line block ×6, first 2 shown]
	s_waitcnt vmcnt(0)
	buffer_store_dword v72, v1, s[0:3], 0 offen
.LBB30_242:
	global_load_dword v0, v0, s[20:21] offset:32
	s_waitcnt vmcnt(0)
	v_add_nc_u32_e32 v0, -1, v0
	v_cmp_eq_u32_e32 vcc_lo, 8, v0
	s_cbranch_vccnz .LBB30_244
; %bb.243:
	v_lshlrev_b32_e32 v0, 4, v0
	v_mov_b32_e32 v1, s35
	v_add_nc_u32_e32 v0, 16, v0
	s_clause 0x7
	buffer_load_dword v2, v0, s[0:3], 0 offen
	buffer_load_dword v3, v0, s[0:3], 0 offen offset:4
	buffer_load_dword v4, v0, s[0:3], 0 offen offset:8
	buffer_load_dword v67, v0, s[0:3], 0 offen offset:12
	buffer_load_dword v68, v1, s[0:3], 0 offen offset:12
	buffer_load_dword v69, v1, s[0:3], 0 offen offset:8
	buffer_load_dword v70, v1, s[0:3], 0 offen offset:4
	buffer_load_dword v71, v1, s[0:3], 0 offen
	s_waitcnt vmcnt(7)
	buffer_store_dword v2, v1, s[0:3], 0 offen
	s_waitcnt vmcnt(6)
	buffer_store_dword v3, v1, s[0:3], 0 offen offset:4
	s_waitcnt vmcnt(5)
	buffer_store_dword v4, v1, s[0:3], 0 offen offset:8
	;; [unrolled: 2-line block ×6, first 2 shown]
	s_waitcnt vmcnt(0)
	buffer_store_dword v71, v0, s[0:3], 0 offen
.LBB30_244:
	v_mov_b32_e32 v0, 0
	global_load_dword v1, v0, s[20:21] offset:28
	s_waitcnt vmcnt(0)
	v_add_nc_u32_e32 v1, -1, v1
	v_cmp_eq_u32_e32 vcc_lo, 7, v1
	s_cbranch_vccnz .LBB30_246
; %bb.245:
	v_lshlrev_b32_e32 v1, 4, v1
	v_mov_b32_e32 v2, s36
	v_add_nc_u32_e32 v1, 16, v1
	s_clause 0x7
	buffer_load_dword v3, v1, s[0:3], 0 offen
	buffer_load_dword v4, v1, s[0:3], 0 offen offset:4
	buffer_load_dword v67, v1, s[0:3], 0 offen offset:8
	;; [unrolled: 1-line block ×6, first 2 shown]
	buffer_load_dword v72, v2, s[0:3], 0 offen
	s_waitcnt vmcnt(7)
	buffer_store_dword v3, v2, s[0:3], 0 offen
	s_waitcnt vmcnt(6)
	buffer_store_dword v4, v2, s[0:3], 0 offen offset:4
	s_waitcnt vmcnt(5)
	buffer_store_dword v67, v2, s[0:3], 0 offen offset:8
	;; [unrolled: 2-line block ×6, first 2 shown]
	s_waitcnt vmcnt(0)
	buffer_store_dword v72, v1, s[0:3], 0 offen
.LBB30_246:
	global_load_dword v0, v0, s[20:21] offset:24
	s_waitcnt vmcnt(0)
	v_add_nc_u32_e32 v0, -1, v0
	v_cmp_eq_u32_e32 vcc_lo, 6, v0
	s_cbranch_vccnz .LBB30_248
; %bb.247:
	v_lshlrev_b32_e32 v0, 4, v0
	v_mov_b32_e32 v1, s37
	v_add_nc_u32_e32 v0, 16, v0
	s_clause 0x7
	buffer_load_dword v2, v0, s[0:3], 0 offen
	buffer_load_dword v3, v0, s[0:3], 0 offen offset:4
	buffer_load_dword v4, v0, s[0:3], 0 offen offset:8
	;; [unrolled: 1-line block ×6, first 2 shown]
	buffer_load_dword v71, v1, s[0:3], 0 offen
	s_waitcnt vmcnt(7)
	buffer_store_dword v2, v1, s[0:3], 0 offen
	s_waitcnt vmcnt(6)
	buffer_store_dword v3, v1, s[0:3], 0 offen offset:4
	s_waitcnt vmcnt(5)
	buffer_store_dword v4, v1, s[0:3], 0 offen offset:8
	;; [unrolled: 2-line block ×6, first 2 shown]
	s_waitcnt vmcnt(0)
	buffer_store_dword v71, v0, s[0:3], 0 offen
.LBB30_248:
	v_mov_b32_e32 v0, 0
	global_load_dword v1, v0, s[20:21] offset:20
	s_waitcnt vmcnt(0)
	v_add_nc_u32_e32 v1, -1, v1
	v_cmp_eq_u32_e32 vcc_lo, 5, v1
	s_cbranch_vccnz .LBB30_250
; %bb.249:
	v_lshlrev_b32_e32 v1, 4, v1
	v_mov_b32_e32 v2, s38
	v_add_nc_u32_e32 v1, 16, v1
	s_clause 0x7
	buffer_load_dword v3, v1, s[0:3], 0 offen
	buffer_load_dword v4, v1, s[0:3], 0 offen offset:4
	buffer_load_dword v67, v1, s[0:3], 0 offen offset:8
	;; [unrolled: 1-line block ×6, first 2 shown]
	buffer_load_dword v72, v2, s[0:3], 0 offen
	s_waitcnt vmcnt(7)
	buffer_store_dword v3, v2, s[0:3], 0 offen
	s_waitcnt vmcnt(6)
	buffer_store_dword v4, v2, s[0:3], 0 offen offset:4
	s_waitcnt vmcnt(5)
	buffer_store_dword v67, v2, s[0:3], 0 offen offset:8
	s_waitcnt vmcnt(4)
	buffer_store_dword v68, v2, s[0:3], 0 offen offset:12
	s_waitcnt vmcnt(3)
	buffer_store_dword v69, v1, s[0:3], 0 offen offset:12
	s_waitcnt vmcnt(2)
	buffer_store_dword v70, v1, s[0:3], 0 offen offset:8
	s_waitcnt vmcnt(1)
	buffer_store_dword v71, v1, s[0:3], 0 offen offset:4
	s_waitcnt vmcnt(0)
	buffer_store_dword v72, v1, s[0:3], 0 offen
.LBB30_250:
	global_load_dword v0, v0, s[20:21] offset:16
	s_waitcnt vmcnt(0)
	v_add_nc_u32_e32 v0, -1, v0
	v_cmp_eq_u32_e32 vcc_lo, 4, v0
	s_cbranch_vccnz .LBB30_252
; %bb.251:
	v_lshlrev_b32_e32 v0, 4, v0
	v_mov_b32_e32 v1, s39
	v_add_nc_u32_e32 v0, 16, v0
	s_clause 0x7
	buffer_load_dword v2, v0, s[0:3], 0 offen
	buffer_load_dword v3, v0, s[0:3], 0 offen offset:4
	buffer_load_dword v4, v0, s[0:3], 0 offen offset:8
	;; [unrolled: 1-line block ×6, first 2 shown]
	buffer_load_dword v71, v1, s[0:3], 0 offen
	s_waitcnt vmcnt(7)
	buffer_store_dword v2, v1, s[0:3], 0 offen
	s_waitcnt vmcnt(6)
	buffer_store_dword v3, v1, s[0:3], 0 offen offset:4
	s_waitcnt vmcnt(5)
	buffer_store_dword v4, v1, s[0:3], 0 offen offset:8
	;; [unrolled: 2-line block ×6, first 2 shown]
	s_waitcnt vmcnt(0)
	buffer_store_dword v71, v0, s[0:3], 0 offen
.LBB30_252:
	v_mov_b32_e32 v0, 0
	global_load_dword v1, v0, s[20:21] offset:12
	s_waitcnt vmcnt(0)
	v_add_nc_u32_e32 v1, -1, v1
	v_cmp_eq_u32_e32 vcc_lo, 3, v1
	s_cbranch_vccnz .LBB30_254
; %bb.253:
	v_lshlrev_b32_e32 v1, 4, v1
	v_mov_b32_e32 v2, s41
	v_add_nc_u32_e32 v1, 16, v1
	s_clause 0x7
	buffer_load_dword v3, v1, s[0:3], 0 offen
	buffer_load_dword v4, v1, s[0:3], 0 offen offset:4
	buffer_load_dword v67, v1, s[0:3], 0 offen offset:8
	;; [unrolled: 1-line block ×6, first 2 shown]
	buffer_load_dword v72, v2, s[0:3], 0 offen
	s_waitcnt vmcnt(7)
	buffer_store_dword v3, v2, s[0:3], 0 offen
	s_waitcnt vmcnt(6)
	buffer_store_dword v4, v2, s[0:3], 0 offen offset:4
	s_waitcnt vmcnt(5)
	buffer_store_dword v67, v2, s[0:3], 0 offen offset:8
	;; [unrolled: 2-line block ×6, first 2 shown]
	s_waitcnt vmcnt(0)
	buffer_store_dword v72, v1, s[0:3], 0 offen
.LBB30_254:
	global_load_dword v0, v0, s[20:21] offset:8
	s_waitcnt vmcnt(0)
	v_add_nc_u32_e32 v0, -1, v0
	v_cmp_eq_u32_e32 vcc_lo, 2, v0
	s_cbranch_vccnz .LBB30_256
; %bb.255:
	v_lshlrev_b32_e32 v0, 4, v0
	v_mov_b32_e32 v1, s42
	v_add_nc_u32_e32 v0, 16, v0
	s_clause 0x7
	buffer_load_dword v2, v0, s[0:3], 0 offen
	buffer_load_dword v3, v0, s[0:3], 0 offen offset:4
	buffer_load_dword v4, v0, s[0:3], 0 offen offset:8
	;; [unrolled: 1-line block ×6, first 2 shown]
	buffer_load_dword v71, v1, s[0:3], 0 offen
	s_waitcnt vmcnt(7)
	buffer_store_dword v2, v1, s[0:3], 0 offen
	s_waitcnt vmcnt(6)
	buffer_store_dword v3, v1, s[0:3], 0 offen offset:4
	s_waitcnt vmcnt(5)
	buffer_store_dword v4, v1, s[0:3], 0 offen offset:8
	;; [unrolled: 2-line block ×6, first 2 shown]
	s_waitcnt vmcnt(0)
	buffer_store_dword v71, v0, s[0:3], 0 offen
.LBB30_256:
	v_mov_b32_e32 v0, 0
	global_load_dword v1, v0, s[20:21] offset:4
	s_waitcnt vmcnt(0)
	v_add_nc_u32_e32 v1, -1, v1
	v_cmp_eq_u32_e32 vcc_lo, 1, v1
	s_cbranch_vccnz .LBB30_258
; %bb.257:
	v_lshlrev_b32_e32 v1, 4, v1
	v_mov_b32_e32 v2, s43
	v_add_nc_u32_e32 v1, 16, v1
	s_clause 0x7
	buffer_load_dword v3, v1, s[0:3], 0 offen
	buffer_load_dword v4, v1, s[0:3], 0 offen offset:4
	buffer_load_dword v67, v1, s[0:3], 0 offen offset:8
	;; [unrolled: 1-line block ×6, first 2 shown]
	buffer_load_dword v72, v2, s[0:3], 0 offen
	s_waitcnt vmcnt(7)
	buffer_store_dword v3, v2, s[0:3], 0 offen
	s_waitcnt vmcnt(6)
	buffer_store_dword v4, v2, s[0:3], 0 offen offset:4
	s_waitcnt vmcnt(5)
	buffer_store_dword v67, v2, s[0:3], 0 offen offset:8
	;; [unrolled: 2-line block ×6, first 2 shown]
	s_waitcnt vmcnt(0)
	buffer_store_dword v72, v1, s[0:3], 0 offen
.LBB30_258:
	global_load_dword v0, v0, s[20:21]
	s_waitcnt vmcnt(0)
	v_add_nc_u32_e32 v0, -1, v0
	v_cmp_eq_u32_e32 vcc_lo, 0, v0
	s_cbranch_vccnz .LBB30_260
; %bb.259:
	v_lshlrev_b32_e32 v0, 4, v0
	v_add_nc_u32_e32 v0, 16, v0
	s_clause 0x7
	buffer_load_dword v1, v0, s[0:3], 0 offen
	buffer_load_dword v2, v0, s[0:3], 0 offen offset:4
	buffer_load_dword v3, v0, s[0:3], 0 offen offset:8
	;; [unrolled: 1-line block ×3, first 2 shown]
	buffer_load_dword v67, off, s[0:3], 0 offset:28
	buffer_load_dword v68, off, s[0:3], 0 offset:24
	;; [unrolled: 1-line block ×4, first 2 shown]
	s_waitcnt vmcnt(7)
	buffer_store_dword v1, off, s[0:3], 0 offset:16
	s_waitcnt vmcnt(6)
	buffer_store_dword v2, off, s[0:3], 0 offset:20
	s_waitcnt vmcnt(5)
	buffer_store_dword v3, off, s[0:3], 0 offset:24
	s_waitcnt vmcnt(4)
	buffer_store_dword v4, off, s[0:3], 0 offset:28
	s_waitcnt vmcnt(3)
	buffer_store_dword v67, v0, s[0:3], 0 offen offset:12
	s_waitcnt vmcnt(2)
	buffer_store_dword v68, v0, s[0:3], 0 offen offset:8
	;; [unrolled: 2-line block ×3, first 2 shown]
	s_waitcnt vmcnt(0)
	buffer_store_dword v70, v0, s[0:3], 0 offen
.LBB30_260:
	v_mov_b32_e32 v4, s43
	s_clause 0x3
	buffer_load_dword v0, off, s[0:3], 0 offset:16
	buffer_load_dword v1, off, s[0:3], 0 offset:20
	buffer_load_dword v2, off, s[0:3], 0 offset:24
	buffer_load_dword v3, off, s[0:3], 0 offset:28
	v_mov_b32_e32 v143, s22
	v_mov_b32_e32 v147, s18
	;; [unrolled: 1-line block ×3, first 2 shown]
	s_clause 0x3
	buffer_load_dword v67, v4, s[0:3], 0 offen
	buffer_load_dword v68, v4, s[0:3], 0 offen offset:4
	buffer_load_dword v69, v4, s[0:3], 0 offen offset:8
	;; [unrolled: 1-line block ×3, first 2 shown]
	v_mov_b32_e32 v4, s42
	v_mov_b32_e32 v90, s37
	;; [unrolled: 1-line block ×4, first 2 shown]
	s_clause 0x3
	buffer_load_dword v71, v4, s[0:3], 0 offen
	buffer_load_dword v72, v4, s[0:3], 0 offen offset:4
	buffer_load_dword v73, v4, s[0:3], 0 offen offset:8
	;; [unrolled: 1-line block ×3, first 2 shown]
	v_mov_b32_e32 v4, s41
	v_mov_b32_e32 v102, s34
	;; [unrolled: 1-line block ×3, first 2 shown]
	s_clause 0x3
	buffer_load_dword v75, v4, s[0:3], 0 offen
	buffer_load_dword v76, v4, s[0:3], 0 offen offset:4
	buffer_load_dword v77, v4, s[0:3], 0 offen offset:8
	;; [unrolled: 1-line block ×3, first 2 shown]
	v_mov_b32_e32 v4, s39
	v_mov_b32_e32 v110, s31
	s_clause 0x3
	buffer_load_dword v79, v4, s[0:3], 0 offen
	buffer_load_dword v80, v4, s[0:3], 0 offen offset:4
	buffer_load_dword v81, v4, s[0:3], 0 offen offset:8
	;; [unrolled: 1-line block ×3, first 2 shown]
	v_mov_b32_e32 v4, s38
	v_mov_b32_e32 v114, s30
	v_mov_b32_e32 v118, s29
	v_mov_b32_e32 v122, s28
	v_mov_b32_e32 v126, s27
	v_mov_b32_e32 v130, s26
	v_mov_b32_e32 v134, s25
	v_mov_b32_e32 v138, s24
	v_mov_b32_e32 v142, s23
	v_mov_b32_e32 v151, s14
	v_mov_b32_e32 v146, s19
	v_mov_b32_e32 v153, s12
	s_clause 0x3b
	buffer_load_dword v83, v4, s[0:3], 0 offen
	buffer_load_dword v84, v4, s[0:3], 0 offen offset:4
	buffer_load_dword v85, v4, s[0:3], 0 offen offset:8
	buffer_load_dword v86, v4, s[0:3], 0 offen offset:12
	buffer_load_dword v87, v90, s[0:3], 0 offen
	buffer_load_dword v88, v90, s[0:3], 0 offen offset:4
	buffer_load_dword v89, v90, s[0:3], 0 offen offset:8
	buffer_load_dword v90, v90, s[0:3], 0 offen offset:12
	;; [unrolled: 4-line block ×15, first 2 shown]
	v_mov_b32_e32 v148, s17
	v_mov_b32_e32 v150, s15
	;; [unrolled: 1-line block ×5, first 2 shown]
	s_waitcnt vmcnt(62)
	global_store_dwordx4 v[5:6], v[0:3], off
	s_clause 0x7
	buffer_load_dword v0, v143, s[0:3], 0 offen
	buffer_load_dword v1, v143, s[0:3], 0 offen offset:4
	buffer_load_dword v2, v143, s[0:3], 0 offen offset:8
	buffer_load_dword v3, v143, s[0:3], 0 offen offset:12
	buffer_load_dword v143, v146, s[0:3], 0 offen
	buffer_load_dword v144, v146, s[0:3], 0 offen offset:4
	buffer_load_dword v145, v146, s[0:3], 0 offen offset:8
	buffer_load_dword v146, v146, s[0:3], 0 offen offset:12
	global_store_dwordx4 v[7:8], v[67:70], off
	s_clause 0x7
	buffer_load_dword v4, v147, s[0:3], 0 offen
	buffer_load_dword v5, v147, s[0:3], 0 offen offset:4
	buffer_load_dword v6, v147, s[0:3], 0 offen offset:8
	buffer_load_dword v7, v147, s[0:3], 0 offen offset:12
	buffer_load_dword v67, v148, s[0:3], 0 offen
	buffer_load_dword v68, v148, s[0:3], 0 offen offset:4
	buffer_load_dword v69, v148, s[0:3], 0 offen offset:8
	buffer_load_dword v70, v148, s[0:3], 0 offen offset:12
	;; [unrolled: 10-line block ×4, first 2 shown]
	s_waitcnt vmcnt(62)
	global_store_dwordx4 v[15:16], v[79:82], off
	s_clause 0xb
	buffer_load_dword v79, v153, s[0:3], 0 offen
	buffer_load_dword v80, v153, s[0:3], 0 offen offset:4
	buffer_load_dword v81, v153, s[0:3], 0 offen offset:8
	buffer_load_dword v82, v153, s[0:3], 0 offen offset:12
	buffer_load_dword v151, v154, s[0:3], 0 offen
	buffer_load_dword v152, v154, s[0:3], 0 offen offset:4
	buffer_load_dword v153, v154, s[0:3], 0 offen offset:8
	buffer_load_dword v154, v154, s[0:3], 0 offen offset:12
	;; [unrolled: 4-line block ×3, first 2 shown]
	global_store_dwordx4 v[13:14], v[83:86], off
	global_store_dwordx4 v[17:18], v[87:90], off
	;; [unrolled: 1-line block ×7, first 2 shown]
	s_waitcnt vmcnt(62)
	global_store_dwordx4 v[29:30], v[111:114], off
	global_store_dwordx4 v[31:32], v[115:118], off
	;; [unrolled: 1-line block ×3, first 2 shown]
	s_waitcnt vmcnt(60)
	global_store_dwordx4 v[35:36], v[123:126], off
	s_waitcnt vmcnt(56)
	global_store_dwordx4 v[37:38], v[127:130], off
	s_waitcnt vmcnt(52)
	global_store_dwordx4 v[39:40], v[131:134], off
	s_waitcnt vmcnt(48)
	global_store_dwordx4 v[41:42], v[135:138], off
	s_waitcnt vmcnt(44)
	global_store_dwordx4 v[43:44], v[139:142], off
	s_waitcnt vmcnt(40)
	global_store_dwordx4 v[45:46], v[0:3], off
	s_waitcnt vmcnt(36)
	global_store_dwordx4 v[47:48], v[143:146], off
	s_waitcnt vmcnt(32)
	global_store_dwordx4 v[49:50], v[4:7], off
	s_waitcnt vmcnt(28)
	global_store_dwordx4 v[51:52], v[67:70], off
	s_waitcnt vmcnt(24)
	global_store_dwordx4 v[53:54], v[71:74], off
	s_waitcnt vmcnt(20)
	global_store_dwordx4 v[55:56], v[147:150], off
	s_waitcnt vmcnt(16)
	global_store_dwordx4 v[57:58], v[8:11], off
	s_waitcnt vmcnt(12)
	global_store_dwordx4 v[59:60], v[75:78], off
	s_waitcnt vmcnt(8)
	global_store_dwordx4 v[61:62], v[79:82], off
	s_waitcnt vmcnt(4)
	global_store_dwordx4 v[65:66], v[151:154], off
	s_waitcnt vmcnt(0)
	global_store_dwordx4 v[63:64], v[155:158], off
	s_endpgm
	.section	.rodata,"a",@progbits
	.p2align	6, 0x0
	.amdhsa_kernel _ZN9rocsolver6v33100L18getri_kernel_smallILi31E19rocblas_complex_numIdEPS3_EEvT1_iilPiilS6_bb
		.amdhsa_group_segment_fixed_size 1000
		.amdhsa_private_segment_fixed_size 528
		.amdhsa_kernarg_size 60
		.amdhsa_user_sgpr_count 6
		.amdhsa_user_sgpr_private_segment_buffer 1
		.amdhsa_user_sgpr_dispatch_ptr 0
		.amdhsa_user_sgpr_queue_ptr 0
		.amdhsa_user_sgpr_kernarg_segment_ptr 1
		.amdhsa_user_sgpr_dispatch_id 0
		.amdhsa_user_sgpr_flat_scratch_init 0
		.amdhsa_user_sgpr_private_segment_size 0
		.amdhsa_wavefront_size32 1
		.amdhsa_uses_dynamic_stack 0
		.amdhsa_system_sgpr_private_segment_wavefront_offset 1
		.amdhsa_system_sgpr_workgroup_id_x 1
		.amdhsa_system_sgpr_workgroup_id_y 0
		.amdhsa_system_sgpr_workgroup_id_z 0
		.amdhsa_system_sgpr_workgroup_info 0
		.amdhsa_system_vgpr_workitem_id 0
		.amdhsa_next_free_vgpr 159
		.amdhsa_next_free_sgpr 57
		.amdhsa_reserve_vcc 1
		.amdhsa_reserve_flat_scratch 0
		.amdhsa_float_round_mode_32 0
		.amdhsa_float_round_mode_16_64 0
		.amdhsa_float_denorm_mode_32 3
		.amdhsa_float_denorm_mode_16_64 3
		.amdhsa_dx10_clamp 1
		.amdhsa_ieee_mode 1
		.amdhsa_fp16_overflow 0
		.amdhsa_workgroup_processor_mode 1
		.amdhsa_memory_ordered 1
		.amdhsa_forward_progress 1
		.amdhsa_shared_vgpr_count 0
		.amdhsa_exception_fp_ieee_invalid_op 0
		.amdhsa_exception_fp_denorm_src 0
		.amdhsa_exception_fp_ieee_div_zero 0
		.amdhsa_exception_fp_ieee_overflow 0
		.amdhsa_exception_fp_ieee_underflow 0
		.amdhsa_exception_fp_ieee_inexact 0
		.amdhsa_exception_int_div_zero 0
	.end_amdhsa_kernel
	.section	.text._ZN9rocsolver6v33100L18getri_kernel_smallILi31E19rocblas_complex_numIdEPS3_EEvT1_iilPiilS6_bb,"axG",@progbits,_ZN9rocsolver6v33100L18getri_kernel_smallILi31E19rocblas_complex_numIdEPS3_EEvT1_iilPiilS6_bb,comdat
.Lfunc_end30:
	.size	_ZN9rocsolver6v33100L18getri_kernel_smallILi31E19rocblas_complex_numIdEPS3_EEvT1_iilPiilS6_bb, .Lfunc_end30-_ZN9rocsolver6v33100L18getri_kernel_smallILi31E19rocblas_complex_numIdEPS3_EEvT1_iilPiilS6_bb
                                        ; -- End function
	.set _ZN9rocsolver6v33100L18getri_kernel_smallILi31E19rocblas_complex_numIdEPS3_EEvT1_iilPiilS6_bb.num_vgpr, 159
	.set _ZN9rocsolver6v33100L18getri_kernel_smallILi31E19rocblas_complex_numIdEPS3_EEvT1_iilPiilS6_bb.num_agpr, 0
	.set _ZN9rocsolver6v33100L18getri_kernel_smallILi31E19rocblas_complex_numIdEPS3_EEvT1_iilPiilS6_bb.numbered_sgpr, 57
	.set _ZN9rocsolver6v33100L18getri_kernel_smallILi31E19rocblas_complex_numIdEPS3_EEvT1_iilPiilS6_bb.num_named_barrier, 0
	.set _ZN9rocsolver6v33100L18getri_kernel_smallILi31E19rocblas_complex_numIdEPS3_EEvT1_iilPiilS6_bb.private_seg_size, 528
	.set _ZN9rocsolver6v33100L18getri_kernel_smallILi31E19rocblas_complex_numIdEPS3_EEvT1_iilPiilS6_bb.uses_vcc, 1
	.set _ZN9rocsolver6v33100L18getri_kernel_smallILi31E19rocblas_complex_numIdEPS3_EEvT1_iilPiilS6_bb.uses_flat_scratch, 0
	.set _ZN9rocsolver6v33100L18getri_kernel_smallILi31E19rocblas_complex_numIdEPS3_EEvT1_iilPiilS6_bb.has_dyn_sized_stack, 0
	.set _ZN9rocsolver6v33100L18getri_kernel_smallILi31E19rocblas_complex_numIdEPS3_EEvT1_iilPiilS6_bb.has_recursion, 0
	.set _ZN9rocsolver6v33100L18getri_kernel_smallILi31E19rocblas_complex_numIdEPS3_EEvT1_iilPiilS6_bb.has_indirect_call, 0
	.section	.AMDGPU.csdata,"",@progbits
; Kernel info:
; codeLenInByte = 74408
; TotalNumSgprs: 59
; NumVgprs: 159
; ScratchSize: 528
; MemoryBound: 0
; FloatMode: 240
; IeeeMode: 1
; LDSByteSize: 1000 bytes/workgroup (compile time only)
; SGPRBlocks: 0
; VGPRBlocks: 19
; NumSGPRsForWavesPerEU: 59
; NumVGPRsForWavesPerEU: 159
; Occupancy: 6
; WaveLimiterHint : 1
; COMPUTE_PGM_RSRC2:SCRATCH_EN: 1
; COMPUTE_PGM_RSRC2:USER_SGPR: 6
; COMPUTE_PGM_RSRC2:TRAP_HANDLER: 0
; COMPUTE_PGM_RSRC2:TGID_X_EN: 1
; COMPUTE_PGM_RSRC2:TGID_Y_EN: 0
; COMPUTE_PGM_RSRC2:TGID_Z_EN: 0
; COMPUTE_PGM_RSRC2:TIDIG_COMP_CNT: 0
	.section	.text._ZN9rocsolver6v33100L18getri_kernel_smallILi32E19rocblas_complex_numIdEPS3_EEvT1_iilPiilS6_bb,"axG",@progbits,_ZN9rocsolver6v33100L18getri_kernel_smallILi32E19rocblas_complex_numIdEPS3_EEvT1_iilPiilS6_bb,comdat
	.globl	_ZN9rocsolver6v33100L18getri_kernel_smallILi32E19rocblas_complex_numIdEPS3_EEvT1_iilPiilS6_bb ; -- Begin function _ZN9rocsolver6v33100L18getri_kernel_smallILi32E19rocblas_complex_numIdEPS3_EEvT1_iilPiilS6_bb
	.p2align	8
	.type	_ZN9rocsolver6v33100L18getri_kernel_smallILi32E19rocblas_complex_numIdEPS3_EEvT1_iilPiilS6_bb,@function
_ZN9rocsolver6v33100L18getri_kernel_smallILi32E19rocblas_complex_numIdEPS3_EEvT1_iilPiilS6_bb: ; @_ZN9rocsolver6v33100L18getri_kernel_smallILi32E19rocblas_complex_numIdEPS3_EEvT1_iilPiilS6_bb
; %bb.0:
	s_add_u32 s0, s0, s7
	s_addc_u32 s1, s1, 0
	s_mov_b32 s7, exec_lo
	v_cmpx_gt_u32_e32 32, v0
	s_cbranch_execz .LBB31_142
; %bb.1:
	s_clause 0x2
	s_load_dword s7, s[4:5], 0x38
	s_load_dwordx4 s[16:19], s[4:5], 0x10
	s_load_dwordx4 s[8:11], s[4:5], 0x28
                                        ; implicit-def: $sgpr20_sgpr21
	s_waitcnt lgkmcnt(0)
	s_bitcmp1_b32 s7, 8
	s_cselect_b32 s40, -1, 0
	s_bfe_u32 s12, s7, 0x10008
	s_ashr_i32 s7, s6, 31
	s_cmp_eq_u32 s12, 0
	s_cbranch_scc1 .LBB31_3
; %bb.2:
	s_load_dword s12, s[4:5], 0x20
	s_mul_i32 s13, s8, s7
	s_mul_hi_u32 s14, s8, s6
	s_mul_i32 s9, s9, s6
	s_add_i32 s13, s14, s13
	s_mul_i32 s8, s8, s6
	s_add_i32 s9, s13, s9
	s_lshl_b64 s[8:9], s[8:9], 2
	s_waitcnt lgkmcnt(0)
	s_ashr_i32 s13, s12, 31
	s_add_u32 s14, s18, s8
	s_addc_u32 s15, s19, s9
	s_lshl_b64 s[8:9], s[12:13], 2
	s_add_u32 s20, s14, s8
	s_addc_u32 s21, s15, s9
.LBB31_3:
	s_clause 0x1
	s_load_dwordx4 s[12:15], s[4:5], 0x0
	s_load_dword s45, s[4:5], 0x38
	s_mul_i32 s4, s16, s7
	s_mul_hi_u32 s5, s16, s6
	s_mul_i32 s8, s17, s6
	s_add_i32 s5, s5, s4
	s_mul_i32 s4, s16, s6
	s_add_i32 s5, s5, s8
	v_lshlrev_b32_e32 v75, 4, v0
	s_lshl_b64 s[4:5], s[4:5], 4
	s_movk_i32 s16, 0xc0
	s_movk_i32 s17, 0xd0
	;; [unrolled: 1-line block ×10, first 2 shown]
	s_waitcnt lgkmcnt(0)
	v_add3_u32 v9, s15, s15, v0
	s_ashr_i32 s9, s14, 31
	s_mov_b32 s8, s14
	s_add_u32 s12, s12, s4
	s_addc_u32 s13, s13, s5
	v_add_nc_u32_e32 v11, s15, v9
	s_lshl_b64 s[4:5], s[8:9], 4
	v_ashrrev_i32_e32 v10, 31, v9
	s_add_u32 s4, s12, s4
	s_addc_u32 s5, s13, s5
	v_ashrrev_i32_e32 v12, 31, v11
	v_add_nc_u32_e32 v15, s15, v11
	v_add_co_u32 v5, s12, s4, v75
	s_mov_b32 s8, s15
	s_ashr_i32 s9, s15, 31
	v_lshlrev_b64 v[9:10], 4, v[9:10]
	v_add_co_ci_u32_e64 v6, null, s5, 0, s12
	s_lshl_b64 s[8:9], s[8:9], 4
	v_lshlrev_b64 v[11:12], 4, v[11:12]
	v_ashrrev_i32_e32 v16, 31, v15
	v_add_nc_u32_e32 v19, s15, v15
	v_add_co_u32 v7, vcc_lo, v5, s8
	v_add_co_ci_u32_e64 v8, null, s9, v6, vcc_lo
	v_add_co_u32 v17, vcc_lo, s4, v9
	v_add_co_ci_u32_e64 v18, null, s5, v10, vcc_lo
	v_add_co_u32 v13, vcc_lo, s4, v11
	v_lshlrev_b64 v[9:10], 4, v[15:16]
	v_add_nc_u32_e32 v11, s15, v19
	v_ashrrev_i32_e32 v20, 31, v19
	v_add_co_ci_u32_e64 v14, null, s5, v12, vcc_lo
	s_clause 0x1
	global_load_dwordx4 v[1:4], v75, s[4:5]
	global_load_dwordx4 v[57:60], v[7:8], off
	v_ashrrev_i32_e32 v12, 31, v11
	v_add_co_u32 v15, vcc_lo, s4, v9
	v_add_nc_u32_e32 v21, s15, v11
	v_add_co_ci_u32_e64 v16, null, s5, v10, vcc_lo
	v_lshlrev_b64 v[9:10], 4, v[19:20]
	v_lshlrev_b64 v[19:20], 4, v[11:12]
	v_add_nc_u32_e32 v23, s15, v21
	v_ashrrev_i32_e32 v22, 31, v21
	s_clause 0x2
	global_load_dwordx4 v[61:64], v[17:18], off
	global_load_dwordx4 v[65:68], v[13:14], off
	;; [unrolled: 1-line block ×3, first 2 shown]
	v_add_co_u32 v11, vcc_lo, s4, v9
	v_add_co_ci_u32_e64 v12, null, s5, v10, vcc_lo
	v_add_co_u32 v9, vcc_lo, s4, v19
	v_ashrrev_i32_e32 v24, 31, v23
	v_add_co_ci_u32_e64 v10, null, s5, v20, vcc_lo
	v_lshlrev_b64 v[19:20], 4, v[21:22]
	global_load_dwordx4 v[76:79], v[11:12], off
	v_lshlrev_b64 v[21:22], 4, v[23:24]
	global_load_dwordx4 v[80:83], v[9:10], off
	v_add_nc_u32_e32 v25, s15, v23
	s_movk_i32 s8, 0x60
	v_add_co_u32 v19, vcc_lo, s4, v19
	v_add_co_ci_u32_e64 v20, null, s5, v20, vcc_lo
	v_add_co_u32 v21, vcc_lo, s4, v21
	v_add_co_ci_u32_e64 v22, null, s5, v22, vcc_lo
	global_load_dwordx4 v[84:87], v[19:20], off
	v_ashrrev_i32_e32 v26, 31, v25
	s_movk_i32 s9, 0x70
	global_load_dwordx4 v[88:91], v[21:22], off
	s_movk_i32 s12, 0x80
	s_movk_i32 s13, 0x90
	v_lshlrev_b64 v[23:24], 4, v[25:26]
	v_add_nc_u32_e32 v25, s15, v25
	s_movk_i32 s14, 0xa0
	s_movk_i32 s49, 0x160
	;; [unrolled: 1-line block ×4, first 2 shown]
	v_add_co_u32 v23, vcc_lo, s4, v23
	v_add_co_ci_u32_e64 v24, null, s5, v24, vcc_lo
	v_add_nc_u32_e32 v27, s15, v25
	v_ashrrev_i32_e32 v26, 31, v25
	s_movk_i32 s52, 0x190
	global_load_dwordx4 v[92:95], v[23:24], off
	s_movk_i32 s53, 0x1a0
	v_add_nc_u32_e32 v29, s15, v27
	v_ashrrev_i32_e32 v28, 31, v27
	v_lshlrev_b64 v[25:26], 4, v[25:26]
	s_movk_i32 s54, 0x1b0
	s_movk_i32 s55, 0x1c0
	v_add_nc_u32_e32 v31, s15, v29
	v_ashrrev_i32_e32 v30, 31, v29
	v_lshlrev_b64 v[27:28], 4, v[27:28]
	v_add_co_u32 v25, vcc_lo, s4, v25
	v_add_nc_u32_e32 v33, s15, v31
	v_ashrrev_i32_e32 v32, 31, v31
	v_lshlrev_b64 v[29:30], 4, v[29:30]
	v_add_co_ci_u32_e64 v26, null, s5, v26, vcc_lo
	v_add_nc_u32_e32 v35, s15, v33
	v_ashrrev_i32_e32 v34, 31, v33
	v_lshlrev_b64 v[31:32], 4, v[31:32]
	v_add_co_u32 v27, vcc_lo, s4, v27
	v_add_nc_u32_e32 v37, s15, v35
	v_ashrrev_i32_e32 v36, 31, v35
	v_lshlrev_b64 v[33:34], 4, v[33:34]
	v_add_co_ci_u32_e64 v28, null, s5, v28, vcc_lo
	v_add_nc_u32_e32 v39, s15, v37
	v_ashrrev_i32_e32 v38, 31, v37
	v_add_co_u32 v29, vcc_lo, s4, v29
	v_lshlrev_b64 v[35:36], 4, v[35:36]
	v_add_nc_u32_e32 v41, s15, v39
	v_ashrrev_i32_e32 v40, 31, v39
	v_add_co_ci_u32_e64 v30, null, s5, v30, vcc_lo
	v_add_co_u32 v31, vcc_lo, s4, v31
	v_add_nc_u32_e32 v43, s15, v41
	v_ashrrev_i32_e32 v42, 31, v41
	v_lshlrev_b64 v[37:38], 4, v[37:38]
	v_add_co_ci_u32_e64 v32, null, s5, v32, vcc_lo
	v_add_nc_u32_e32 v45, s15, v43
	v_ashrrev_i32_e32 v44, 31, v43
	v_add_co_u32 v33, vcc_lo, s4, v33
	v_lshlrev_b64 v[39:40], 4, v[39:40]
	v_add_nc_u32_e32 v47, s15, v45
	v_ashrrev_i32_e32 v46, 31, v45
	v_add_co_ci_u32_e64 v34, null, s5, v34, vcc_lo
	v_add_co_u32 v35, vcc_lo, s4, v35
	v_add_nc_u32_e32 v49, s15, v47
	v_lshlrev_b64 v[41:42], 4, v[41:42]
	v_ashrrev_i32_e32 v48, 31, v47
	v_add_co_ci_u32_e64 v36, null, s5, v36, vcc_lo
	v_add_nc_u32_e32 v51, s15, v49
	v_add_co_u32 v37, vcc_lo, s4, v37
	v_lshlrev_b64 v[43:44], 4, v[43:44]
	v_ashrrev_i32_e32 v50, 31, v49
	v_add_nc_u32_e32 v53, s15, v51
	v_add_co_ci_u32_e64 v38, null, s5, v38, vcc_lo
	v_add_co_u32 v39, vcc_lo, s4, v39
	v_add_nc_u32_e32 v55, s15, v53
	v_lshlrev_b64 v[45:46], 4, v[45:46]
	v_ashrrev_i32_e32 v52, 31, v51
	v_add_co_ci_u32_e64 v40, null, s5, v40, vcc_lo
	v_add_nc_u32_e32 v73, s15, v55
	v_add_co_u32 v41, vcc_lo, s4, v41
	v_lshlrev_b64 v[47:48], 4, v[47:48]
	v_ashrrev_i32_e32 v54, 31, v53
	v_add_nc_u32_e32 v152, s15, v73
	v_add_co_ci_u32_e64 v42, null, s5, v42, vcc_lo
	v_add_co_u32 v43, vcc_lo, s4, v43
	v_lshlrev_b64 v[49:50], 4, v[49:50]
	v_add_co_ci_u32_e64 v44, null, s5, v44, vcc_lo
	v_add_co_u32 v45, vcc_lo, s4, v45
	v_lshlrev_b64 v[51:52], 4, v[51:52]
	v_add_nc_u32_e32 v154, s15, v152
	v_ashrrev_i32_e32 v56, 31, v55
	v_add_co_ci_u32_e64 v46, null, s5, v46, vcc_lo
	v_add_co_u32 v47, vcc_lo, s4, v47
	v_lshlrev_b64 v[53:54], 4, v[53:54]
	v_ashrrev_i32_e32 v74, 31, v73
	v_add_co_ci_u32_e64 v48, null, s5, v48, vcc_lo
	v_add_co_u32 v49, vcc_lo, s4, v49
	v_add_nc_u32_e32 v160, s15, v154
	v_add_co_ci_u32_e64 v50, null, s5, v50, vcc_lo
	v_add_co_u32 v51, vcc_lo, s4, v51
	v_lshlrev_b64 v[55:56], 4, v[55:56]
	v_add_co_ci_u32_e64 v52, null, s5, v52, vcc_lo
	v_add_co_u32 v53, vcc_lo, s4, v53
	v_lshlrev_b64 v[73:74], 4, v[73:74]
	v_ashrrev_i32_e32 v153, 31, v152
	v_add_co_ci_u32_e64 v54, null, s5, v54, vcc_lo
	v_add_nc_u32_e32 v162, s15, v160
	v_ashrrev_i32_e32 v155, 31, v154
	v_add_co_u32 v55, vcc_lo, s4, v55
	s_clause 0xc
	global_load_dwordx4 v[96:99], v[25:26], off
	global_load_dwordx4 v[100:103], v[27:28], off
	;; [unrolled: 1-line block ×13, first 2 shown]
	v_ashrrev_i32_e32 v161, 31, v160
	v_add_co_ci_u32_e64 v56, null, s5, v56, vcc_lo
	v_lshlrev_b64 v[152:153], 4, v[152:153]
	v_ashrrev_i32_e32 v163, 31, v162
	s_movk_i32 s56, 0x1d0
	s_movk_i32 s57, 0x1e0
	;; [unrolled: 1-line block ×3, first 2 shown]
	s_add_i32 s38, s8, 16
	s_add_i32 s37, s9, 16
	;; [unrolled: 1-line block ×24, first 2 shown]
	s_mov_b32 s44, 32
	s_mov_b32 s43, 48
	;; [unrolled: 1-line block ×3, first 2 shown]
	s_movk_i32 s41, 0x50
	s_waitcnt vmcnt(22)
	buffer_store_dword v4, off, s[0:3], 0 offset:28
	buffer_store_dword v3, off, s[0:3], 0 offset:24
	;; [unrolled: 1-line block ×4, first 2 shown]
	s_clause 0x1
	global_load_dwordx4 v[1:4], v[51:52], off
	global_load_dwordx4 v[148:151], v[53:54], off
	s_waitcnt vmcnt(23)
	buffer_store_dword v60, off, s[0:3], 0 offset:44
	buffer_store_dword v59, off, s[0:3], 0 offset:40
	;; [unrolled: 1-line block ×4, first 2 shown]
	v_add_co_u32 v57, vcc_lo, s4, v73
	v_add_co_ci_u32_e64 v58, null, s5, v74, vcc_lo
	v_lshlrev_b64 v[73:74], 4, v[154:155]
	s_waitcnt vmcnt(22)
	buffer_store_dword v64, off, s[0:3], 0 offset:60
	buffer_store_dword v63, off, s[0:3], 0 offset:56
	;; [unrolled: 1-line block ×4, first 2 shown]
	s_waitcnt vmcnt(21)
	buffer_store_dword v68, off, s[0:3], 0 offset:76
	buffer_store_dword v67, off, s[0:3], 0 offset:72
	;; [unrolled: 1-line block ×4, first 2 shown]
	v_add_nc_u32_e32 v65, s15, v162
	v_lshlrev_b64 v[63:64], 4, v[160:161]
	v_add_co_u32 v59, vcc_lo, s4, v152
	v_lshlrev_b64 v[67:68], 4, v[162:163]
	v_ashrrev_i32_e32 v66, 31, v65
	v_add_co_ci_u32_e64 v60, null, s5, v153, vcc_lo
	v_add_co_u32 v61, vcc_lo, s4, v73
	v_add_co_ci_u32_e64 v62, null, s5, v74, vcc_lo
	v_add_co_u32 v63, vcc_lo, s4, v63
	v_add_co_ci_u32_e64 v64, null, s5, v64, vcc_lo
	v_lshlrev_b64 v[73:74], 4, v[65:66]
	v_add_co_u32 v65, vcc_lo, s4, v67
	v_add_co_ci_u32_e64 v66, null, s5, v68, vcc_lo
	s_clause 0x1
	global_load_dwordx4 v[152:155], v[55:56], off
	global_load_dwordx4 v[156:159], v[57:58], off
	s_waitcnt vmcnt(22)
	buffer_store_dword v72, off, s[0:3], 0 offset:92
	buffer_store_dword v71, off, s[0:3], 0 offset:88
	buffer_store_dword v70, off, s[0:3], 0 offset:84
	buffer_store_dword v69, off, s[0:3], 0 offset:80
	s_waitcnt vmcnt(21)
	buffer_store_dword v79, off, s[0:3], 0 offset:108
	buffer_store_dword v78, off, s[0:3], 0 offset:104
	buffer_store_dword v77, off, s[0:3], 0 offset:100
	buffer_store_dword v76, off, s[0:3], 0 offset:96
	;; [unrolled: 5-line block ×3, first 2 shown]
	s_clause 0x1
	global_load_dwordx4 v[69:72], v[59:60], off
	global_load_dwordx4 v[76:79], v[61:62], off
	s_waitcnt vmcnt(21)
	buffer_store_dword v87, off, s[0:3], 0 offset:140
	buffer_store_dword v86, off, s[0:3], 0 offset:136
	;; [unrolled: 1-line block ×4, first 2 shown]
	s_waitcnt vmcnt(20)
	buffer_store_dword v91, off, s[0:3], 0 offset:156
	buffer_store_dword v90, off, s[0:3], 0 offset:152
	;; [unrolled: 1-line block ×4, first 2 shown]
	s_clause 0x1
	global_load_dwordx4 v[80:83], v[63:64], off
	global_load_dwordx4 v[84:87], v[65:66], off
	v_add_co_u32 v67, vcc_lo, s4, v73
	v_add_co_ci_u32_e64 v68, null, s5, v74, vcc_lo
	s_waitcnt vmcnt(21)
	buffer_store_dword v92, off, s[0:3], 0 offset:160
	buffer_store_dword v93, off, s[0:3], 0 offset:164
	;; [unrolled: 1-line block ×4, first 2 shown]
	global_load_dwordx4 v[88:91], v[67:68], off
	s_movk_i32 s4, 0x50
	s_movk_i32 s15, 0xb0
	s_add_i32 s39, s4, 16
	s_add_i32 s33, s15, 16
	;; [unrolled: 1-line block ×3, first 2 shown]
	s_mov_b32 s5, -1
	s_bitcmp0_b32 s45, 0
	s_waitcnt vmcnt(21)
	buffer_store_dword v96, off, s[0:3], 0 offset:176
	buffer_store_dword v97, off, s[0:3], 0 offset:180
	buffer_store_dword v98, off, s[0:3], 0 offset:184
	buffer_store_dword v99, off, s[0:3], 0 offset:188
	s_waitcnt vmcnt(20)
	buffer_store_dword v100, off, s[0:3], 0 offset:192
	buffer_store_dword v101, off, s[0:3], 0 offset:196
	buffer_store_dword v102, off, s[0:3], 0 offset:200
	buffer_store_dword v103, off, s[0:3], 0 offset:204
	;; [unrolled: 5-line block ×22, first 2 shown]
	s_cbranch_scc1 .LBB31_140
; %bb.4:
	v_cmp_eq_u32_e64 s4, 0, v0
	s_and_saveexec_b32 s5, s4
; %bb.5:
	v_mov_b32_e32 v1, 0
	ds_write_b32 v1, v1 offset:1024
; %bb.6:
	s_or_b32 exec_lo, exec_lo, s5
	v_lshl_add_u32 v76, v0, 4, 16
	s_waitcnt lgkmcnt(0)
	s_waitcnt_vscnt null, 0x0
	s_barrier
	buffer_gl0_inv
	s_clause 0x3
	buffer_load_dword v1, v76, s[0:3], 0 offen
	buffer_load_dword v2, v76, s[0:3], 0 offen offset:4
	buffer_load_dword v3, v76, s[0:3], 0 offen offset:8
	;; [unrolled: 1-line block ×3, first 2 shown]
	s_waitcnt vmcnt(2)
	v_cmp_eq_f64_e32 vcc_lo, 0, v[1:2]
	s_waitcnt vmcnt(0)
	v_cmp_eq_f64_e64 s5, 0, v[3:4]
	s_and_b32 s5, vcc_lo, s5
	s_and_saveexec_b32 s45, s5
	s_cbranch_execz .LBB31_10
; %bb.7:
	v_mov_b32_e32 v1, 0
	s_mov_b32 s46, 0
	ds_read_b32 v2, v1 offset:1024
	s_waitcnt lgkmcnt(0)
	v_readfirstlane_b32 s5, v2
	v_add_nc_u32_e32 v2, 1, v0
	s_cmp_eq_u32 s5, 0
	v_cmp_gt_i32_e32 vcc_lo, s5, v2
	s_cselect_b32 s47, -1, 0
	s_or_b32 s47, s47, vcc_lo
	s_and_b32 exec_lo, exec_lo, s47
	s_cbranch_execz .LBB31_10
; %bb.8:
	v_mov_b32_e32 v3, s5
.LBB31_9:                               ; =>This Inner Loop Header: Depth=1
	ds_cmpst_rtn_b32 v3, v1, v3, v2 offset:1024
	s_waitcnt lgkmcnt(0)
	v_cmp_ne_u32_e32 vcc_lo, 0, v3
	v_cmp_le_i32_e64 s5, v3, v2
	s_and_b32 s5, vcc_lo, s5
	s_and_b32 s5, exec_lo, s5
	s_or_b32 s46, s5, s46
	s_andn2_b32 exec_lo, exec_lo, s46
	s_cbranch_execnz .LBB31_9
.LBB31_10:
	s_or_b32 exec_lo, exec_lo, s45
	v_mov_b32_e32 v1, 0
	s_barrier
	buffer_gl0_inv
	ds_read_b32 v2, v1 offset:1024
	s_and_saveexec_b32 s5, s4
	s_cbranch_execz .LBB31_12
; %bb.11:
	s_lshl_b64 s[46:47], s[6:7], 2
	s_add_u32 s46, s10, s46
	s_addc_u32 s47, s11, s47
	s_waitcnt lgkmcnt(0)
	global_store_dword v1, v2, s[46:47]
.LBB31_12:
	s_or_b32 exec_lo, exec_lo, s5
	s_waitcnt lgkmcnt(0)
	v_cmp_ne_u32_e32 vcc_lo, 0, v2
	s_mov_b32 s5, 0
	s_cbranch_vccnz .LBB31_140
; %bb.13:
	s_clause 0x3
	buffer_load_dword v71, v76, s[0:3], 0 offen
	buffer_load_dword v72, v76, s[0:3], 0 offen offset:4
	buffer_load_dword v73, v76, s[0:3], 0 offen offset:8
	;; [unrolled: 1-line block ×3, first 2 shown]
                                        ; implicit-def: $vgpr69_vgpr70
                                        ; implicit-def: $vgpr3_vgpr4
	s_waitcnt vmcnt(0)
	v_cmp_ngt_f64_e64 s5, |v[71:72]|, |v[73:74]|
	s_and_saveexec_b32 s45, s5
	s_xor_b32 s5, exec_lo, s45
	s_cbranch_execz .LBB31_15
; %bb.14:
	v_div_scale_f64 v[1:2], null, v[73:74], v[73:74], v[71:72]
	v_div_scale_f64 v[77:78], vcc_lo, v[71:72], v[73:74], v[71:72]
	v_rcp_f64_e32 v[3:4], v[1:2]
	v_fma_f64 v[69:70], -v[1:2], v[3:4], 1.0
	v_fma_f64 v[3:4], v[3:4], v[69:70], v[3:4]
	v_fma_f64 v[69:70], -v[1:2], v[3:4], 1.0
	v_fma_f64 v[3:4], v[3:4], v[69:70], v[3:4]
	v_mul_f64 v[69:70], v[77:78], v[3:4]
	v_fma_f64 v[1:2], -v[1:2], v[69:70], v[77:78]
	v_div_fmas_f64 v[1:2], v[1:2], v[3:4], v[69:70]
	v_div_fixup_f64 v[1:2], v[1:2], v[73:74], v[71:72]
	v_fma_f64 v[3:4], v[71:72], v[1:2], v[73:74]
	v_div_scale_f64 v[69:70], null, v[3:4], v[3:4], 1.0
	v_div_scale_f64 v[77:78], vcc_lo, 1.0, v[3:4], 1.0
	v_rcp_f64_e32 v[71:72], v[69:70]
	v_fma_f64 v[73:74], -v[69:70], v[71:72], 1.0
	v_fma_f64 v[71:72], v[71:72], v[73:74], v[71:72]
	v_fma_f64 v[73:74], -v[69:70], v[71:72], 1.0
	v_fma_f64 v[71:72], v[71:72], v[73:74], v[71:72]
	v_mul_f64 v[73:74], v[77:78], v[71:72]
	v_fma_f64 v[69:70], -v[69:70], v[73:74], v[77:78]
	v_div_fmas_f64 v[69:70], v[69:70], v[71:72], v[73:74]
                                        ; implicit-def: $vgpr71_vgpr72
                                        ; implicit-def: $vgpr73_vgpr74
	v_div_fixup_f64 v[3:4], v[69:70], v[3:4], 1.0
	v_mul_f64 v[69:70], v[1:2], v[3:4]
	v_xor_b32_e32 v4, 0x80000000, v4
	v_xor_b32_e32 v2, 0x80000000, v70
	v_mov_b32_e32 v1, v69
.LBB31_15:
	s_andn2_saveexec_b32 s5, s5
	s_cbranch_execz .LBB31_17
; %bb.16:
	v_div_scale_f64 v[1:2], null, v[71:72], v[71:72], v[73:74]
	v_div_scale_f64 v[77:78], vcc_lo, v[73:74], v[71:72], v[73:74]
	v_rcp_f64_e32 v[3:4], v[1:2]
	v_fma_f64 v[69:70], -v[1:2], v[3:4], 1.0
	v_fma_f64 v[3:4], v[3:4], v[69:70], v[3:4]
	v_fma_f64 v[69:70], -v[1:2], v[3:4], 1.0
	v_fma_f64 v[3:4], v[3:4], v[69:70], v[3:4]
	v_mul_f64 v[69:70], v[77:78], v[3:4]
	v_fma_f64 v[1:2], -v[1:2], v[69:70], v[77:78]
	v_div_fmas_f64 v[1:2], v[1:2], v[3:4], v[69:70]
	v_div_fixup_f64 v[1:2], v[1:2], v[71:72], v[73:74]
	v_fma_f64 v[3:4], v[73:74], v[1:2], v[71:72]
	v_div_scale_f64 v[69:70], null, v[3:4], v[3:4], 1.0
	v_rcp_f64_e32 v[71:72], v[69:70]
	v_fma_f64 v[73:74], -v[69:70], v[71:72], 1.0
	v_fma_f64 v[71:72], v[71:72], v[73:74], v[71:72]
	v_fma_f64 v[73:74], -v[69:70], v[71:72], 1.0
	v_fma_f64 v[71:72], v[71:72], v[73:74], v[71:72]
	v_div_scale_f64 v[73:74], vcc_lo, 1.0, v[3:4], 1.0
	v_mul_f64 v[77:78], v[73:74], v[71:72]
	v_fma_f64 v[69:70], -v[69:70], v[77:78], v[73:74]
	v_div_fmas_f64 v[69:70], v[69:70], v[71:72], v[77:78]
	v_div_fixup_f64 v[69:70], v[69:70], v[3:4], 1.0
	v_mul_f64 v[3:4], v[1:2], -v[69:70]
	v_xor_b32_e32 v2, 0x80000000, v70
	v_mov_b32_e32 v1, v69
.LBB31_17:
	s_or_b32 exec_lo, exec_lo, s5
	v_mov_b32_e32 v74, s44
	buffer_store_dword v70, v76, s[0:3], 0 offen offset:4
	buffer_store_dword v69, v76, s[0:3], 0 offen
	buffer_store_dword v4, v76, s[0:3], 0 offen offset:12
	buffer_store_dword v3, v76, s[0:3], 0 offen offset:8
	v_xor_b32_e32 v4, 0x80000000, v4
	v_add_nc_u32_e32 v69, 0x200, v75
	s_clause 0x3
	buffer_load_dword v73, v74, s[0:3], 0 offen offset:12
	buffer_load_dword v72, v74, s[0:3], 0 offen offset:8
	;; [unrolled: 1-line block ×3, first 2 shown]
	buffer_load_dword v70, v74, s[0:3], 0 offen
	ds_write_b128 v75, v[1:4]
	s_waitcnt vmcnt(0)
	ds_write_b128 v75, v[70:73] offset:512
	s_waitcnt lgkmcnt(0)
	s_waitcnt_vscnt null, 0x0
	s_barrier
	buffer_gl0_inv
	s_and_saveexec_b32 s5, s4
	s_cbranch_execz .LBB31_19
; %bb.18:
	s_clause 0x3
	buffer_load_dword v77, v76, s[0:3], 0 offen offset:8
	buffer_load_dword v78, v76, s[0:3], 0 offen offset:12
	buffer_load_dword v79, v76, s[0:3], 0 offen
	buffer_load_dword v80, v76, s[0:3], 0 offen offset:4
	ds_read_b128 v[1:4], v69
	v_mov_b32_e32 v70, 0
	ds_read_b128 v[70:73], v70 offset:16
	s_waitcnt vmcnt(2) lgkmcnt(1)
	v_mul_f64 v[81:82], v[1:2], v[77:78]
	v_mul_f64 v[77:78], v[3:4], v[77:78]
	s_waitcnt vmcnt(0)
	v_fma_f64 v[3:4], v[3:4], v[79:80], v[81:82]
	v_fma_f64 v[1:2], v[1:2], v[79:80], -v[77:78]
	v_add_f64 v[3:4], v[3:4], 0
	v_add_f64 v[1:2], v[1:2], 0
	s_waitcnt lgkmcnt(0)
	v_mul_f64 v[77:78], v[3:4], v[72:73]
	v_mul_f64 v[72:73], v[1:2], v[72:73]
	v_fma_f64 v[1:2], v[1:2], v[70:71], -v[77:78]
	v_fma_f64 v[3:4], v[3:4], v[70:71], v[72:73]
	buffer_store_dword v1, off, s[0:3], 0 offset:32
	buffer_store_dword v2, off, s[0:3], 0 offset:36
	;; [unrolled: 1-line block ×4, first 2 shown]
.LBB31_19:
	s_or_b32 exec_lo, exec_lo, s5
	v_mov_b32_e32 v4, s43
	s_waitcnt_vscnt null, 0x0
	s_barrier
	buffer_gl0_inv
	s_mov_b32 s5, exec_lo
	s_clause 0x3
	buffer_load_dword v1, v4, s[0:3], 0 offen
	buffer_load_dword v2, v4, s[0:3], 0 offen offset:4
	buffer_load_dword v3, v4, s[0:3], 0 offen offset:8
	;; [unrolled: 1-line block ×3, first 2 shown]
	s_waitcnt vmcnt(0)
	ds_write_b128 v69, v[1:4]
	s_waitcnt lgkmcnt(0)
	s_barrier
	buffer_gl0_inv
	v_cmpx_gt_u32_e32 2, v0
	s_cbranch_execz .LBB31_23
; %bb.20:
	s_clause 0x3
	buffer_load_dword v70, v76, s[0:3], 0 offen offset:8
	buffer_load_dword v71, v76, s[0:3], 0 offen offset:12
	buffer_load_dword v72, v76, s[0:3], 0 offen
	buffer_load_dword v73, v76, s[0:3], 0 offen offset:4
	ds_read_b128 v[1:4], v69
	s_waitcnt vmcnt(2) lgkmcnt(0)
	v_mul_f64 v[76:77], v[3:4], v[70:71]
	v_mul_f64 v[70:71], v[1:2], v[70:71]
	s_waitcnt vmcnt(0)
	v_fma_f64 v[1:2], v[1:2], v[72:73], -v[76:77]
	v_fma_f64 v[3:4], v[3:4], v[72:73], v[70:71]
	v_add_f64 v[1:2], v[1:2], 0
	v_add_f64 v[3:4], v[3:4], 0
	s_and_saveexec_b32 s45, s4
	s_cbranch_execz .LBB31_22
; %bb.21:
	s_clause 0x3
	buffer_load_dword v76, off, s[0:3], 0 offset:40
	buffer_load_dword v77, off, s[0:3], 0 offset:44
	;; [unrolled: 1-line block ×4, first 2 shown]
	v_mov_b32_e32 v70, 0
	ds_read_b128 v[70:73], v70 offset:528
	s_waitcnt vmcnt(2) lgkmcnt(0)
	v_mul_f64 v[80:81], v[70:71], v[76:77]
	v_mul_f64 v[76:77], v[72:73], v[76:77]
	s_waitcnt vmcnt(0)
	v_fma_f64 v[72:73], v[72:73], v[78:79], v[80:81]
	v_fma_f64 v[70:71], v[70:71], v[78:79], -v[76:77]
	v_add_f64 v[3:4], v[3:4], v[72:73]
	v_add_f64 v[1:2], v[1:2], v[70:71]
.LBB31_22:
	s_or_b32 exec_lo, exec_lo, s45
	v_mov_b32_e32 v70, 0
	ds_read_b128 v[70:73], v70 offset:32
	s_waitcnt lgkmcnt(0)
	v_mul_f64 v[76:77], v[3:4], v[72:73]
	v_mul_f64 v[72:73], v[1:2], v[72:73]
	v_fma_f64 v[1:2], v[1:2], v[70:71], -v[76:77]
	v_fma_f64 v[3:4], v[3:4], v[70:71], v[72:73]
	buffer_store_dword v2, off, s[0:3], 0 offset:52
	buffer_store_dword v1, off, s[0:3], 0 offset:48
	;; [unrolled: 1-line block ×4, first 2 shown]
.LBB31_23:
	s_or_b32 exec_lo, exec_lo, s5
	v_mov_b32_e32 v4, s42
	s_waitcnt_vscnt null, 0x0
	s_barrier
	buffer_gl0_inv
	v_add_nc_u32_e32 v70, -1, v0
	s_clause 0x3
	buffer_load_dword v1, v4, s[0:3], 0 offen
	buffer_load_dword v2, v4, s[0:3], 0 offen offset:4
	buffer_load_dword v3, v4, s[0:3], 0 offen offset:8
	;; [unrolled: 1-line block ×3, first 2 shown]
	s_mov_b32 s4, exec_lo
	s_waitcnt vmcnt(0)
	ds_write_b128 v69, v[1:4]
	s_waitcnt lgkmcnt(0)
	s_barrier
	buffer_gl0_inv
	v_cmpx_gt_u32_e32 3, v0
	s_cbranch_execz .LBB31_27
; %bb.24:
	v_mov_b32_e32 v1, 0
	v_mov_b32_e32 v3, 0
	v_add_nc_u32_e32 v71, -1, v0
	v_add_nc_u32_e32 v72, 0x200, v75
	v_mov_b32_e32 v2, 0
	v_mov_b32_e32 v4, 0
	v_add_nc_u32_e32 v73, 16, v75
	s_mov_b32 s5, 0
	.p2align	6
.LBB31_25:                              ; =>This Inner Loop Header: Depth=1
	s_clause 0x3
	buffer_load_dword v80, v73, s[0:3], 0 offen offset:8
	buffer_load_dword v81, v73, s[0:3], 0 offen offset:12
	buffer_load_dword v82, v73, s[0:3], 0 offen
	buffer_load_dword v83, v73, s[0:3], 0 offen offset:4
	ds_read_b128 v[76:79], v72
	v_add_nc_u32_e32 v71, 1, v71
	v_add_nc_u32_e32 v72, 16, v72
	;; [unrolled: 1-line block ×3, first 2 shown]
	v_cmp_lt_u32_e32 vcc_lo, 1, v71
	s_or_b32 s5, vcc_lo, s5
	s_waitcnt vmcnt(2) lgkmcnt(0)
	v_mul_f64 v[84:85], v[78:79], v[80:81]
	v_mul_f64 v[80:81], v[76:77], v[80:81]
	s_waitcnt vmcnt(0)
	v_fma_f64 v[76:77], v[76:77], v[82:83], -v[84:85]
	v_fma_f64 v[78:79], v[78:79], v[82:83], v[80:81]
	v_add_f64 v[3:4], v[3:4], v[76:77]
	v_add_f64 v[1:2], v[1:2], v[78:79]
	s_andn2_b32 exec_lo, exec_lo, s5
	s_cbranch_execnz .LBB31_25
; %bb.26:
	s_or_b32 exec_lo, exec_lo, s5
	v_mov_b32_e32 v71, 0
	ds_read_b128 v[71:74], v71 offset:48
	s_waitcnt lgkmcnt(0)
	v_mul_f64 v[76:77], v[1:2], v[73:74]
	v_mul_f64 v[73:74], v[3:4], v[73:74]
	v_fma_f64 v[3:4], v[3:4], v[71:72], -v[76:77]
	v_fma_f64 v[1:2], v[1:2], v[71:72], v[73:74]
	buffer_store_dword v4, off, s[0:3], 0 offset:68
	buffer_store_dword v3, off, s[0:3], 0 offset:64
	;; [unrolled: 1-line block ×4, first 2 shown]
.LBB31_27:
	s_or_b32 exec_lo, exec_lo, s4
	v_mov_b32_e32 v4, s41
	s_waitcnt_vscnt null, 0x0
	s_barrier
	buffer_gl0_inv
	s_mov_b32 s4, exec_lo
	s_clause 0x3
	buffer_load_dword v1, v4, s[0:3], 0 offen
	buffer_load_dword v2, v4, s[0:3], 0 offen offset:4
	buffer_load_dword v3, v4, s[0:3], 0 offen offset:8
	;; [unrolled: 1-line block ×3, first 2 shown]
	s_waitcnt vmcnt(0)
	ds_write_b128 v69, v[1:4]
	s_waitcnt lgkmcnt(0)
	s_barrier
	buffer_gl0_inv
	v_cmpx_gt_u32_e32 4, v0
	s_cbranch_execz .LBB31_31
; %bb.28:
	v_mov_b32_e32 v1, 0
	v_mov_b32_e32 v3, 0
	v_add_nc_u32_e32 v71, -1, v0
	v_add_nc_u32_e32 v72, 0x200, v75
	v_mov_b32_e32 v2, 0
	v_mov_b32_e32 v4, 0
	v_add_nc_u32_e32 v73, 16, v75
	s_mov_b32 s5, 0
	.p2align	6
.LBB31_29:                              ; =>This Inner Loop Header: Depth=1
	s_clause 0x3
	buffer_load_dword v80, v73, s[0:3], 0 offen offset:8
	buffer_load_dword v81, v73, s[0:3], 0 offen offset:12
	buffer_load_dword v82, v73, s[0:3], 0 offen
	buffer_load_dword v83, v73, s[0:3], 0 offen offset:4
	ds_read_b128 v[76:79], v72
	v_add_nc_u32_e32 v71, 1, v71
	v_add_nc_u32_e32 v72, 16, v72
	;; [unrolled: 1-line block ×3, first 2 shown]
	v_cmp_lt_u32_e32 vcc_lo, 2, v71
	s_or_b32 s5, vcc_lo, s5
	s_waitcnt vmcnt(2) lgkmcnt(0)
	v_mul_f64 v[84:85], v[78:79], v[80:81]
	v_mul_f64 v[80:81], v[76:77], v[80:81]
	s_waitcnt vmcnt(0)
	v_fma_f64 v[76:77], v[76:77], v[82:83], -v[84:85]
	v_fma_f64 v[78:79], v[78:79], v[82:83], v[80:81]
	v_add_f64 v[3:4], v[3:4], v[76:77]
	v_add_f64 v[1:2], v[1:2], v[78:79]
	s_andn2_b32 exec_lo, exec_lo, s5
	s_cbranch_execnz .LBB31_29
; %bb.30:
	s_or_b32 exec_lo, exec_lo, s5
	v_mov_b32_e32 v71, 0
	ds_read_b128 v[71:74], v71 offset:64
	s_waitcnt lgkmcnt(0)
	v_mul_f64 v[76:77], v[1:2], v[73:74]
	v_mul_f64 v[73:74], v[3:4], v[73:74]
	v_fma_f64 v[3:4], v[3:4], v[71:72], -v[76:77]
	v_fma_f64 v[1:2], v[1:2], v[71:72], v[73:74]
	buffer_store_dword v4, off, s[0:3], 0 offset:84
	buffer_store_dword v3, off, s[0:3], 0 offset:80
	buffer_store_dword v2, off, s[0:3], 0 offset:92
	buffer_store_dword v1, off, s[0:3], 0 offset:88
.LBB31_31:
	s_or_b32 exec_lo, exec_lo, s4
	v_mov_b32_e32 v4, s39
	s_waitcnt_vscnt null, 0x0
	s_barrier
	buffer_gl0_inv
	s_mov_b32 s4, exec_lo
	s_clause 0x3
	buffer_load_dword v1, v4, s[0:3], 0 offen
	buffer_load_dword v2, v4, s[0:3], 0 offen offset:4
	buffer_load_dword v3, v4, s[0:3], 0 offen offset:8
	;; [unrolled: 1-line block ×3, first 2 shown]
	s_waitcnt vmcnt(0)
	ds_write_b128 v69, v[1:4]
	s_waitcnt lgkmcnt(0)
	s_barrier
	buffer_gl0_inv
	v_cmpx_gt_u32_e32 5, v0
	s_cbranch_execz .LBB31_35
; %bb.32:
	v_mov_b32_e32 v1, 0
	v_mov_b32_e32 v3, 0
	v_add_nc_u32_e32 v71, -1, v0
	v_add_nc_u32_e32 v72, 0x200, v75
	v_mov_b32_e32 v2, 0
	v_mov_b32_e32 v4, 0
	v_add_nc_u32_e32 v73, 16, v75
	s_mov_b32 s5, 0
	.p2align	6
.LBB31_33:                              ; =>This Inner Loop Header: Depth=1
	s_clause 0x3
	buffer_load_dword v80, v73, s[0:3], 0 offen offset:8
	buffer_load_dword v81, v73, s[0:3], 0 offen offset:12
	buffer_load_dword v82, v73, s[0:3], 0 offen
	buffer_load_dword v83, v73, s[0:3], 0 offen offset:4
	ds_read_b128 v[76:79], v72
	v_add_nc_u32_e32 v71, 1, v71
	v_add_nc_u32_e32 v72, 16, v72
	;; [unrolled: 1-line block ×3, first 2 shown]
	v_cmp_lt_u32_e32 vcc_lo, 3, v71
	s_or_b32 s5, vcc_lo, s5
	s_waitcnt vmcnt(2) lgkmcnt(0)
	v_mul_f64 v[84:85], v[78:79], v[80:81]
	v_mul_f64 v[80:81], v[76:77], v[80:81]
	s_waitcnt vmcnt(0)
	v_fma_f64 v[76:77], v[76:77], v[82:83], -v[84:85]
	v_fma_f64 v[78:79], v[78:79], v[82:83], v[80:81]
	v_add_f64 v[3:4], v[3:4], v[76:77]
	v_add_f64 v[1:2], v[1:2], v[78:79]
	s_andn2_b32 exec_lo, exec_lo, s5
	s_cbranch_execnz .LBB31_33
; %bb.34:
	s_or_b32 exec_lo, exec_lo, s5
	v_mov_b32_e32 v71, 0
	ds_read_b128 v[71:74], v71 offset:80
	s_waitcnt lgkmcnt(0)
	v_mul_f64 v[76:77], v[1:2], v[73:74]
	v_mul_f64 v[73:74], v[3:4], v[73:74]
	v_fma_f64 v[3:4], v[3:4], v[71:72], -v[76:77]
	v_fma_f64 v[1:2], v[1:2], v[71:72], v[73:74]
	buffer_store_dword v4, off, s[0:3], 0 offset:100
	buffer_store_dword v3, off, s[0:3], 0 offset:96
	;; [unrolled: 1-line block ×4, first 2 shown]
.LBB31_35:
	s_or_b32 exec_lo, exec_lo, s4
	v_mov_b32_e32 v4, s38
	s_waitcnt_vscnt null, 0x0
	s_barrier
	buffer_gl0_inv
	s_mov_b32 s4, exec_lo
	s_clause 0x3
	buffer_load_dword v1, v4, s[0:3], 0 offen
	buffer_load_dword v2, v4, s[0:3], 0 offen offset:4
	buffer_load_dword v3, v4, s[0:3], 0 offen offset:8
	;; [unrolled: 1-line block ×3, first 2 shown]
	s_waitcnt vmcnt(0)
	ds_write_b128 v69, v[1:4]
	s_waitcnt lgkmcnt(0)
	s_barrier
	buffer_gl0_inv
	v_cmpx_gt_u32_e32 6, v0
	s_cbranch_execz .LBB31_39
; %bb.36:
	v_mov_b32_e32 v1, 0
	v_mov_b32_e32 v3, 0
	v_add_nc_u32_e32 v71, -1, v0
	v_add_nc_u32_e32 v72, 0x200, v75
	v_mov_b32_e32 v2, 0
	v_mov_b32_e32 v4, 0
	v_add_nc_u32_e32 v73, 16, v75
	s_mov_b32 s5, 0
	.p2align	6
.LBB31_37:                              ; =>This Inner Loop Header: Depth=1
	s_clause 0x3
	buffer_load_dword v80, v73, s[0:3], 0 offen offset:8
	buffer_load_dword v81, v73, s[0:3], 0 offen offset:12
	buffer_load_dword v82, v73, s[0:3], 0 offen
	buffer_load_dword v83, v73, s[0:3], 0 offen offset:4
	ds_read_b128 v[76:79], v72
	v_add_nc_u32_e32 v71, 1, v71
	v_add_nc_u32_e32 v72, 16, v72
	;; [unrolled: 1-line block ×3, first 2 shown]
	v_cmp_lt_u32_e32 vcc_lo, 4, v71
	s_or_b32 s5, vcc_lo, s5
	s_waitcnt vmcnt(2) lgkmcnt(0)
	v_mul_f64 v[84:85], v[78:79], v[80:81]
	v_mul_f64 v[80:81], v[76:77], v[80:81]
	s_waitcnt vmcnt(0)
	v_fma_f64 v[76:77], v[76:77], v[82:83], -v[84:85]
	v_fma_f64 v[78:79], v[78:79], v[82:83], v[80:81]
	v_add_f64 v[3:4], v[3:4], v[76:77]
	v_add_f64 v[1:2], v[1:2], v[78:79]
	s_andn2_b32 exec_lo, exec_lo, s5
	s_cbranch_execnz .LBB31_37
; %bb.38:
	s_or_b32 exec_lo, exec_lo, s5
	v_mov_b32_e32 v71, 0
	ds_read_b128 v[71:74], v71 offset:96
	s_waitcnt lgkmcnt(0)
	v_mul_f64 v[76:77], v[1:2], v[73:74]
	v_mul_f64 v[73:74], v[3:4], v[73:74]
	v_fma_f64 v[3:4], v[3:4], v[71:72], -v[76:77]
	v_fma_f64 v[1:2], v[1:2], v[71:72], v[73:74]
	buffer_store_dword v4, off, s[0:3], 0 offset:116
	buffer_store_dword v3, off, s[0:3], 0 offset:112
	;; [unrolled: 1-line block ×4, first 2 shown]
.LBB31_39:
	s_or_b32 exec_lo, exec_lo, s4
	v_mov_b32_e32 v4, s37
	s_waitcnt_vscnt null, 0x0
	s_barrier
	buffer_gl0_inv
	s_mov_b32 s4, exec_lo
	s_clause 0x3
	buffer_load_dword v1, v4, s[0:3], 0 offen
	buffer_load_dword v2, v4, s[0:3], 0 offen offset:4
	buffer_load_dword v3, v4, s[0:3], 0 offen offset:8
	;; [unrolled: 1-line block ×3, first 2 shown]
	s_waitcnt vmcnt(0)
	ds_write_b128 v69, v[1:4]
	s_waitcnt lgkmcnt(0)
	s_barrier
	buffer_gl0_inv
	v_cmpx_gt_u32_e32 7, v0
	s_cbranch_execz .LBB31_43
; %bb.40:
	v_mov_b32_e32 v1, 0
	v_mov_b32_e32 v3, 0
	v_add_nc_u32_e32 v71, -1, v0
	v_add_nc_u32_e32 v72, 0x200, v75
	v_mov_b32_e32 v2, 0
	v_mov_b32_e32 v4, 0
	v_add_nc_u32_e32 v73, 16, v75
	s_mov_b32 s5, 0
	.p2align	6
.LBB31_41:                              ; =>This Inner Loop Header: Depth=1
	s_clause 0x3
	buffer_load_dword v80, v73, s[0:3], 0 offen offset:8
	buffer_load_dword v81, v73, s[0:3], 0 offen offset:12
	buffer_load_dword v82, v73, s[0:3], 0 offen
	buffer_load_dword v83, v73, s[0:3], 0 offen offset:4
	ds_read_b128 v[76:79], v72
	v_add_nc_u32_e32 v71, 1, v71
	v_add_nc_u32_e32 v72, 16, v72
	;; [unrolled: 1-line block ×3, first 2 shown]
	v_cmp_lt_u32_e32 vcc_lo, 5, v71
	s_or_b32 s5, vcc_lo, s5
	s_waitcnt vmcnt(2) lgkmcnt(0)
	v_mul_f64 v[84:85], v[78:79], v[80:81]
	v_mul_f64 v[80:81], v[76:77], v[80:81]
	s_waitcnt vmcnt(0)
	v_fma_f64 v[76:77], v[76:77], v[82:83], -v[84:85]
	v_fma_f64 v[78:79], v[78:79], v[82:83], v[80:81]
	v_add_f64 v[3:4], v[3:4], v[76:77]
	v_add_f64 v[1:2], v[1:2], v[78:79]
	s_andn2_b32 exec_lo, exec_lo, s5
	s_cbranch_execnz .LBB31_41
; %bb.42:
	s_or_b32 exec_lo, exec_lo, s5
	v_mov_b32_e32 v71, 0
	ds_read_b128 v[71:74], v71 offset:112
	s_waitcnt lgkmcnt(0)
	v_mul_f64 v[76:77], v[1:2], v[73:74]
	v_mul_f64 v[73:74], v[3:4], v[73:74]
	v_fma_f64 v[3:4], v[3:4], v[71:72], -v[76:77]
	v_fma_f64 v[1:2], v[1:2], v[71:72], v[73:74]
	buffer_store_dword v4, off, s[0:3], 0 offset:132
	buffer_store_dword v3, off, s[0:3], 0 offset:128
	;; [unrolled: 1-line block ×4, first 2 shown]
.LBB31_43:
	s_or_b32 exec_lo, exec_lo, s4
	v_mov_b32_e32 v4, s36
	s_waitcnt_vscnt null, 0x0
	s_barrier
	buffer_gl0_inv
	s_mov_b32 s4, exec_lo
	s_clause 0x3
	buffer_load_dword v1, v4, s[0:3], 0 offen
	buffer_load_dword v2, v4, s[0:3], 0 offen offset:4
	buffer_load_dword v3, v4, s[0:3], 0 offen offset:8
	;; [unrolled: 1-line block ×3, first 2 shown]
	s_waitcnt vmcnt(0)
	ds_write_b128 v69, v[1:4]
	s_waitcnt lgkmcnt(0)
	s_barrier
	buffer_gl0_inv
	v_cmpx_gt_u32_e32 8, v0
	s_cbranch_execz .LBB31_47
; %bb.44:
	v_mov_b32_e32 v1, 0
	v_mov_b32_e32 v3, 0
	v_add_nc_u32_e32 v71, -1, v0
	v_add_nc_u32_e32 v72, 0x200, v75
	v_mov_b32_e32 v2, 0
	v_mov_b32_e32 v4, 0
	v_add_nc_u32_e32 v73, 16, v75
	s_mov_b32 s5, 0
	.p2align	6
.LBB31_45:                              ; =>This Inner Loop Header: Depth=1
	s_clause 0x3
	buffer_load_dword v80, v73, s[0:3], 0 offen offset:8
	buffer_load_dword v81, v73, s[0:3], 0 offen offset:12
	buffer_load_dword v82, v73, s[0:3], 0 offen
	buffer_load_dword v83, v73, s[0:3], 0 offen offset:4
	ds_read_b128 v[76:79], v72
	v_add_nc_u32_e32 v71, 1, v71
	v_add_nc_u32_e32 v72, 16, v72
	;; [unrolled: 1-line block ×3, first 2 shown]
	v_cmp_lt_u32_e32 vcc_lo, 6, v71
	s_or_b32 s5, vcc_lo, s5
	s_waitcnt vmcnt(2) lgkmcnt(0)
	v_mul_f64 v[84:85], v[78:79], v[80:81]
	v_mul_f64 v[80:81], v[76:77], v[80:81]
	s_waitcnt vmcnt(0)
	v_fma_f64 v[76:77], v[76:77], v[82:83], -v[84:85]
	v_fma_f64 v[78:79], v[78:79], v[82:83], v[80:81]
	v_add_f64 v[3:4], v[3:4], v[76:77]
	v_add_f64 v[1:2], v[1:2], v[78:79]
	s_andn2_b32 exec_lo, exec_lo, s5
	s_cbranch_execnz .LBB31_45
; %bb.46:
	s_or_b32 exec_lo, exec_lo, s5
	v_mov_b32_e32 v71, 0
	ds_read_b128 v[71:74], v71 offset:128
	s_waitcnt lgkmcnt(0)
	v_mul_f64 v[76:77], v[1:2], v[73:74]
	v_mul_f64 v[73:74], v[3:4], v[73:74]
	v_fma_f64 v[3:4], v[3:4], v[71:72], -v[76:77]
	v_fma_f64 v[1:2], v[1:2], v[71:72], v[73:74]
	buffer_store_dword v4, off, s[0:3], 0 offset:148
	buffer_store_dword v3, off, s[0:3], 0 offset:144
	;; [unrolled: 1-line block ×4, first 2 shown]
.LBB31_47:
	s_or_b32 exec_lo, exec_lo, s4
	v_mov_b32_e32 v4, s35
	s_waitcnt_vscnt null, 0x0
	s_barrier
	buffer_gl0_inv
	s_mov_b32 s4, exec_lo
	s_clause 0x3
	buffer_load_dword v1, v4, s[0:3], 0 offen
	buffer_load_dword v2, v4, s[0:3], 0 offen offset:4
	buffer_load_dword v3, v4, s[0:3], 0 offen offset:8
	;; [unrolled: 1-line block ×3, first 2 shown]
	s_waitcnt vmcnt(0)
	ds_write_b128 v69, v[1:4]
	s_waitcnt lgkmcnt(0)
	s_barrier
	buffer_gl0_inv
	v_cmpx_gt_u32_e32 9, v0
	s_cbranch_execz .LBB31_51
; %bb.48:
	v_mov_b32_e32 v1, 0
	v_mov_b32_e32 v3, 0
	v_add_nc_u32_e32 v71, -1, v0
	v_add_nc_u32_e32 v72, 0x200, v75
	v_mov_b32_e32 v2, 0
	v_mov_b32_e32 v4, 0
	v_add_nc_u32_e32 v73, 16, v75
	s_mov_b32 s5, 0
	.p2align	6
.LBB31_49:                              ; =>This Inner Loop Header: Depth=1
	s_clause 0x3
	buffer_load_dword v80, v73, s[0:3], 0 offen offset:8
	buffer_load_dword v81, v73, s[0:3], 0 offen offset:12
	buffer_load_dword v82, v73, s[0:3], 0 offen
	buffer_load_dword v83, v73, s[0:3], 0 offen offset:4
	ds_read_b128 v[76:79], v72
	v_add_nc_u32_e32 v71, 1, v71
	v_add_nc_u32_e32 v72, 16, v72
	;; [unrolled: 1-line block ×3, first 2 shown]
	v_cmp_lt_u32_e32 vcc_lo, 7, v71
	s_or_b32 s5, vcc_lo, s5
	s_waitcnt vmcnt(2) lgkmcnt(0)
	v_mul_f64 v[84:85], v[78:79], v[80:81]
	v_mul_f64 v[80:81], v[76:77], v[80:81]
	s_waitcnt vmcnt(0)
	v_fma_f64 v[76:77], v[76:77], v[82:83], -v[84:85]
	v_fma_f64 v[78:79], v[78:79], v[82:83], v[80:81]
	v_add_f64 v[3:4], v[3:4], v[76:77]
	v_add_f64 v[1:2], v[1:2], v[78:79]
	s_andn2_b32 exec_lo, exec_lo, s5
	s_cbranch_execnz .LBB31_49
; %bb.50:
	s_or_b32 exec_lo, exec_lo, s5
	v_mov_b32_e32 v71, 0
	ds_read_b128 v[71:74], v71 offset:144
	s_waitcnt lgkmcnt(0)
	v_mul_f64 v[76:77], v[1:2], v[73:74]
	v_mul_f64 v[73:74], v[3:4], v[73:74]
	v_fma_f64 v[3:4], v[3:4], v[71:72], -v[76:77]
	v_fma_f64 v[1:2], v[1:2], v[71:72], v[73:74]
	buffer_store_dword v4, off, s[0:3], 0 offset:164
	buffer_store_dword v3, off, s[0:3], 0 offset:160
	;; [unrolled: 1-line block ×4, first 2 shown]
.LBB31_51:
	s_or_b32 exec_lo, exec_lo, s4
	v_mov_b32_e32 v4, s34
	s_waitcnt_vscnt null, 0x0
	s_barrier
	buffer_gl0_inv
	s_mov_b32 s4, exec_lo
	s_clause 0x3
	buffer_load_dword v1, v4, s[0:3], 0 offen
	buffer_load_dword v2, v4, s[0:3], 0 offen offset:4
	buffer_load_dword v3, v4, s[0:3], 0 offen offset:8
	;; [unrolled: 1-line block ×3, first 2 shown]
	s_waitcnt vmcnt(0)
	ds_write_b128 v69, v[1:4]
	s_waitcnt lgkmcnt(0)
	s_barrier
	buffer_gl0_inv
	v_cmpx_gt_u32_e32 10, v0
	s_cbranch_execz .LBB31_55
; %bb.52:
	v_mov_b32_e32 v1, 0
	v_mov_b32_e32 v3, 0
	v_add_nc_u32_e32 v71, -1, v0
	v_add_nc_u32_e32 v72, 0x200, v75
	v_mov_b32_e32 v2, 0
	v_mov_b32_e32 v4, 0
	v_add_nc_u32_e32 v73, 16, v75
	s_mov_b32 s5, 0
	.p2align	6
.LBB31_53:                              ; =>This Inner Loop Header: Depth=1
	s_clause 0x3
	buffer_load_dword v80, v73, s[0:3], 0 offen offset:8
	buffer_load_dword v81, v73, s[0:3], 0 offen offset:12
	buffer_load_dword v82, v73, s[0:3], 0 offen
	buffer_load_dword v83, v73, s[0:3], 0 offen offset:4
	ds_read_b128 v[76:79], v72
	v_add_nc_u32_e32 v71, 1, v71
	v_add_nc_u32_e32 v72, 16, v72
	;; [unrolled: 1-line block ×3, first 2 shown]
	v_cmp_lt_u32_e32 vcc_lo, 8, v71
	s_or_b32 s5, vcc_lo, s5
	s_waitcnt vmcnt(2) lgkmcnt(0)
	v_mul_f64 v[84:85], v[78:79], v[80:81]
	v_mul_f64 v[80:81], v[76:77], v[80:81]
	s_waitcnt vmcnt(0)
	v_fma_f64 v[76:77], v[76:77], v[82:83], -v[84:85]
	v_fma_f64 v[78:79], v[78:79], v[82:83], v[80:81]
	v_add_f64 v[3:4], v[3:4], v[76:77]
	v_add_f64 v[1:2], v[1:2], v[78:79]
	s_andn2_b32 exec_lo, exec_lo, s5
	s_cbranch_execnz .LBB31_53
; %bb.54:
	s_or_b32 exec_lo, exec_lo, s5
	v_mov_b32_e32 v71, 0
	ds_read_b128 v[71:74], v71 offset:160
	s_waitcnt lgkmcnt(0)
	v_mul_f64 v[76:77], v[1:2], v[73:74]
	v_mul_f64 v[73:74], v[3:4], v[73:74]
	v_fma_f64 v[3:4], v[3:4], v[71:72], -v[76:77]
	v_fma_f64 v[1:2], v[1:2], v[71:72], v[73:74]
	buffer_store_dword v4, off, s[0:3], 0 offset:180
	buffer_store_dword v3, off, s[0:3], 0 offset:176
	;; [unrolled: 1-line block ×4, first 2 shown]
.LBB31_55:
	s_or_b32 exec_lo, exec_lo, s4
	v_mov_b32_e32 v4, s33
	s_waitcnt_vscnt null, 0x0
	s_barrier
	buffer_gl0_inv
	s_mov_b32 s4, exec_lo
	s_clause 0x3
	buffer_load_dword v1, v4, s[0:3], 0 offen
	buffer_load_dword v2, v4, s[0:3], 0 offen offset:4
	buffer_load_dword v3, v4, s[0:3], 0 offen offset:8
	;; [unrolled: 1-line block ×3, first 2 shown]
	s_waitcnt vmcnt(0)
	ds_write_b128 v69, v[1:4]
	s_waitcnt lgkmcnt(0)
	s_barrier
	buffer_gl0_inv
	v_cmpx_gt_u32_e32 11, v0
	s_cbranch_execz .LBB31_59
; %bb.56:
	v_mov_b32_e32 v1, 0
	v_mov_b32_e32 v3, 0
	v_add_nc_u32_e32 v71, -1, v0
	v_add_nc_u32_e32 v72, 0x200, v75
	v_mov_b32_e32 v2, 0
	v_mov_b32_e32 v4, 0
	v_add_nc_u32_e32 v73, 16, v75
	s_mov_b32 s5, 0
	.p2align	6
.LBB31_57:                              ; =>This Inner Loop Header: Depth=1
	s_clause 0x3
	buffer_load_dword v80, v73, s[0:3], 0 offen offset:8
	buffer_load_dword v81, v73, s[0:3], 0 offen offset:12
	buffer_load_dword v82, v73, s[0:3], 0 offen
	buffer_load_dword v83, v73, s[0:3], 0 offen offset:4
	ds_read_b128 v[76:79], v72
	v_add_nc_u32_e32 v71, 1, v71
	v_add_nc_u32_e32 v72, 16, v72
	;; [unrolled: 1-line block ×3, first 2 shown]
	v_cmp_lt_u32_e32 vcc_lo, 9, v71
	s_or_b32 s5, vcc_lo, s5
	s_waitcnt vmcnt(2) lgkmcnt(0)
	v_mul_f64 v[84:85], v[78:79], v[80:81]
	v_mul_f64 v[80:81], v[76:77], v[80:81]
	s_waitcnt vmcnt(0)
	v_fma_f64 v[76:77], v[76:77], v[82:83], -v[84:85]
	v_fma_f64 v[78:79], v[78:79], v[82:83], v[80:81]
	v_add_f64 v[3:4], v[3:4], v[76:77]
	v_add_f64 v[1:2], v[1:2], v[78:79]
	s_andn2_b32 exec_lo, exec_lo, s5
	s_cbranch_execnz .LBB31_57
; %bb.58:
	s_or_b32 exec_lo, exec_lo, s5
	v_mov_b32_e32 v71, 0
	ds_read_b128 v[71:74], v71 offset:176
	s_waitcnt lgkmcnt(0)
	v_mul_f64 v[76:77], v[1:2], v[73:74]
	v_mul_f64 v[73:74], v[3:4], v[73:74]
	v_fma_f64 v[3:4], v[3:4], v[71:72], -v[76:77]
	v_fma_f64 v[1:2], v[1:2], v[71:72], v[73:74]
	buffer_store_dword v4, off, s[0:3], 0 offset:196
	buffer_store_dword v3, off, s[0:3], 0 offset:192
	;; [unrolled: 1-line block ×4, first 2 shown]
.LBB31_59:
	s_or_b32 exec_lo, exec_lo, s4
	v_mov_b32_e32 v4, s31
	s_waitcnt_vscnt null, 0x0
	s_barrier
	buffer_gl0_inv
	s_mov_b32 s4, exec_lo
	s_clause 0x3
	buffer_load_dword v1, v4, s[0:3], 0 offen
	buffer_load_dword v2, v4, s[0:3], 0 offen offset:4
	buffer_load_dword v3, v4, s[0:3], 0 offen offset:8
	;; [unrolled: 1-line block ×3, first 2 shown]
	s_waitcnt vmcnt(0)
	ds_write_b128 v69, v[1:4]
	s_waitcnt lgkmcnt(0)
	s_barrier
	buffer_gl0_inv
	v_cmpx_gt_u32_e32 12, v0
	s_cbranch_execz .LBB31_63
; %bb.60:
	v_mov_b32_e32 v1, 0
	v_mov_b32_e32 v3, 0
	v_add_nc_u32_e32 v71, -1, v0
	v_add_nc_u32_e32 v72, 0x200, v75
	v_mov_b32_e32 v2, 0
	v_mov_b32_e32 v4, 0
	v_add_nc_u32_e32 v73, 16, v75
	s_mov_b32 s5, 0
	.p2align	6
.LBB31_61:                              ; =>This Inner Loop Header: Depth=1
	s_clause 0x3
	buffer_load_dword v80, v73, s[0:3], 0 offen offset:8
	buffer_load_dword v81, v73, s[0:3], 0 offen offset:12
	buffer_load_dword v82, v73, s[0:3], 0 offen
	buffer_load_dword v83, v73, s[0:3], 0 offen offset:4
	ds_read_b128 v[76:79], v72
	v_add_nc_u32_e32 v71, 1, v71
	v_add_nc_u32_e32 v72, 16, v72
	;; [unrolled: 1-line block ×3, first 2 shown]
	v_cmp_lt_u32_e32 vcc_lo, 10, v71
	s_or_b32 s5, vcc_lo, s5
	s_waitcnt vmcnt(2) lgkmcnt(0)
	v_mul_f64 v[84:85], v[78:79], v[80:81]
	v_mul_f64 v[80:81], v[76:77], v[80:81]
	s_waitcnt vmcnt(0)
	v_fma_f64 v[76:77], v[76:77], v[82:83], -v[84:85]
	v_fma_f64 v[78:79], v[78:79], v[82:83], v[80:81]
	v_add_f64 v[3:4], v[3:4], v[76:77]
	v_add_f64 v[1:2], v[1:2], v[78:79]
	s_andn2_b32 exec_lo, exec_lo, s5
	s_cbranch_execnz .LBB31_61
; %bb.62:
	s_or_b32 exec_lo, exec_lo, s5
	v_mov_b32_e32 v71, 0
	ds_read_b128 v[71:74], v71 offset:192
	s_waitcnt lgkmcnt(0)
	v_mul_f64 v[76:77], v[1:2], v[73:74]
	v_mul_f64 v[73:74], v[3:4], v[73:74]
	v_fma_f64 v[3:4], v[3:4], v[71:72], -v[76:77]
	v_fma_f64 v[1:2], v[1:2], v[71:72], v[73:74]
	buffer_store_dword v4, off, s[0:3], 0 offset:212
	buffer_store_dword v3, off, s[0:3], 0 offset:208
	;; [unrolled: 1-line block ×4, first 2 shown]
.LBB31_63:
	s_or_b32 exec_lo, exec_lo, s4
	v_mov_b32_e32 v4, s30
	s_waitcnt_vscnt null, 0x0
	s_barrier
	buffer_gl0_inv
	s_mov_b32 s4, exec_lo
	s_clause 0x3
	buffer_load_dword v1, v4, s[0:3], 0 offen
	buffer_load_dword v2, v4, s[0:3], 0 offen offset:4
	buffer_load_dword v3, v4, s[0:3], 0 offen offset:8
	;; [unrolled: 1-line block ×3, first 2 shown]
	s_waitcnt vmcnt(0)
	ds_write_b128 v69, v[1:4]
	s_waitcnt lgkmcnt(0)
	s_barrier
	buffer_gl0_inv
	v_cmpx_gt_u32_e32 13, v0
	s_cbranch_execz .LBB31_67
; %bb.64:
	v_mov_b32_e32 v1, 0
	v_mov_b32_e32 v3, 0
	v_add_nc_u32_e32 v71, -1, v0
	v_add_nc_u32_e32 v72, 0x200, v75
	v_mov_b32_e32 v2, 0
	v_mov_b32_e32 v4, 0
	v_add_nc_u32_e32 v73, 16, v75
	s_mov_b32 s5, 0
	.p2align	6
.LBB31_65:                              ; =>This Inner Loop Header: Depth=1
	s_clause 0x3
	buffer_load_dword v80, v73, s[0:3], 0 offen offset:8
	buffer_load_dword v81, v73, s[0:3], 0 offen offset:12
	buffer_load_dword v82, v73, s[0:3], 0 offen
	buffer_load_dword v83, v73, s[0:3], 0 offen offset:4
	ds_read_b128 v[76:79], v72
	v_add_nc_u32_e32 v71, 1, v71
	v_add_nc_u32_e32 v72, 16, v72
	;; [unrolled: 1-line block ×3, first 2 shown]
	v_cmp_lt_u32_e32 vcc_lo, 11, v71
	s_or_b32 s5, vcc_lo, s5
	s_waitcnt vmcnt(2) lgkmcnt(0)
	v_mul_f64 v[84:85], v[78:79], v[80:81]
	v_mul_f64 v[80:81], v[76:77], v[80:81]
	s_waitcnt vmcnt(0)
	v_fma_f64 v[76:77], v[76:77], v[82:83], -v[84:85]
	v_fma_f64 v[78:79], v[78:79], v[82:83], v[80:81]
	v_add_f64 v[3:4], v[3:4], v[76:77]
	v_add_f64 v[1:2], v[1:2], v[78:79]
	s_andn2_b32 exec_lo, exec_lo, s5
	s_cbranch_execnz .LBB31_65
; %bb.66:
	s_or_b32 exec_lo, exec_lo, s5
	v_mov_b32_e32 v71, 0
	ds_read_b128 v[71:74], v71 offset:208
	s_waitcnt lgkmcnt(0)
	v_mul_f64 v[76:77], v[1:2], v[73:74]
	v_mul_f64 v[73:74], v[3:4], v[73:74]
	v_fma_f64 v[3:4], v[3:4], v[71:72], -v[76:77]
	v_fma_f64 v[1:2], v[1:2], v[71:72], v[73:74]
	buffer_store_dword v4, off, s[0:3], 0 offset:228
	buffer_store_dword v3, off, s[0:3], 0 offset:224
	;; [unrolled: 1-line block ×4, first 2 shown]
.LBB31_67:
	s_or_b32 exec_lo, exec_lo, s4
	v_mov_b32_e32 v4, s29
	s_waitcnt_vscnt null, 0x0
	s_barrier
	buffer_gl0_inv
	s_mov_b32 s4, exec_lo
	s_clause 0x3
	buffer_load_dword v1, v4, s[0:3], 0 offen
	buffer_load_dword v2, v4, s[0:3], 0 offen offset:4
	buffer_load_dword v3, v4, s[0:3], 0 offen offset:8
	;; [unrolled: 1-line block ×3, first 2 shown]
	s_waitcnt vmcnt(0)
	ds_write_b128 v69, v[1:4]
	s_waitcnt lgkmcnt(0)
	s_barrier
	buffer_gl0_inv
	v_cmpx_gt_u32_e32 14, v0
	s_cbranch_execz .LBB31_71
; %bb.68:
	v_mov_b32_e32 v1, 0
	v_mov_b32_e32 v3, 0
	v_add_nc_u32_e32 v71, -1, v0
	v_add_nc_u32_e32 v72, 0x200, v75
	v_mov_b32_e32 v2, 0
	v_mov_b32_e32 v4, 0
	v_add_nc_u32_e32 v73, 16, v75
	s_mov_b32 s5, 0
	.p2align	6
.LBB31_69:                              ; =>This Inner Loop Header: Depth=1
	s_clause 0x3
	buffer_load_dword v80, v73, s[0:3], 0 offen offset:8
	buffer_load_dword v81, v73, s[0:3], 0 offen offset:12
	buffer_load_dword v82, v73, s[0:3], 0 offen
	buffer_load_dword v83, v73, s[0:3], 0 offen offset:4
	ds_read_b128 v[76:79], v72
	v_add_nc_u32_e32 v71, 1, v71
	v_add_nc_u32_e32 v72, 16, v72
	;; [unrolled: 1-line block ×3, first 2 shown]
	v_cmp_lt_u32_e32 vcc_lo, 12, v71
	s_or_b32 s5, vcc_lo, s5
	s_waitcnt vmcnt(2) lgkmcnt(0)
	v_mul_f64 v[84:85], v[78:79], v[80:81]
	v_mul_f64 v[80:81], v[76:77], v[80:81]
	s_waitcnt vmcnt(0)
	v_fma_f64 v[76:77], v[76:77], v[82:83], -v[84:85]
	v_fma_f64 v[78:79], v[78:79], v[82:83], v[80:81]
	v_add_f64 v[3:4], v[3:4], v[76:77]
	v_add_f64 v[1:2], v[1:2], v[78:79]
	s_andn2_b32 exec_lo, exec_lo, s5
	s_cbranch_execnz .LBB31_69
; %bb.70:
	s_or_b32 exec_lo, exec_lo, s5
	v_mov_b32_e32 v71, 0
	ds_read_b128 v[71:74], v71 offset:224
	s_waitcnt lgkmcnt(0)
	v_mul_f64 v[76:77], v[1:2], v[73:74]
	v_mul_f64 v[73:74], v[3:4], v[73:74]
	v_fma_f64 v[3:4], v[3:4], v[71:72], -v[76:77]
	v_fma_f64 v[1:2], v[1:2], v[71:72], v[73:74]
	buffer_store_dword v4, off, s[0:3], 0 offset:244
	buffer_store_dword v3, off, s[0:3], 0 offset:240
	;; [unrolled: 1-line block ×4, first 2 shown]
.LBB31_71:
	s_or_b32 exec_lo, exec_lo, s4
	v_mov_b32_e32 v4, s28
	s_waitcnt_vscnt null, 0x0
	s_barrier
	buffer_gl0_inv
	s_mov_b32 s4, exec_lo
	s_clause 0x3
	buffer_load_dword v1, v4, s[0:3], 0 offen
	buffer_load_dword v2, v4, s[0:3], 0 offen offset:4
	buffer_load_dword v3, v4, s[0:3], 0 offen offset:8
	;; [unrolled: 1-line block ×3, first 2 shown]
	s_waitcnt vmcnt(0)
	ds_write_b128 v69, v[1:4]
	s_waitcnt lgkmcnt(0)
	s_barrier
	buffer_gl0_inv
	v_cmpx_gt_u32_e32 15, v0
	s_cbranch_execz .LBB31_75
; %bb.72:
	v_mov_b32_e32 v1, 0
	v_mov_b32_e32 v3, 0
	v_add_nc_u32_e32 v71, -1, v0
	v_add_nc_u32_e32 v72, 0x200, v75
	v_mov_b32_e32 v2, 0
	v_mov_b32_e32 v4, 0
	v_add_nc_u32_e32 v73, 16, v75
	s_mov_b32 s5, 0
	.p2align	6
.LBB31_73:                              ; =>This Inner Loop Header: Depth=1
	s_clause 0x3
	buffer_load_dword v80, v73, s[0:3], 0 offen offset:8
	buffer_load_dword v81, v73, s[0:3], 0 offen offset:12
	buffer_load_dword v82, v73, s[0:3], 0 offen
	buffer_load_dword v83, v73, s[0:3], 0 offen offset:4
	ds_read_b128 v[76:79], v72
	v_add_nc_u32_e32 v71, 1, v71
	v_add_nc_u32_e32 v72, 16, v72
	;; [unrolled: 1-line block ×3, first 2 shown]
	v_cmp_lt_u32_e32 vcc_lo, 13, v71
	s_or_b32 s5, vcc_lo, s5
	s_waitcnt vmcnt(2) lgkmcnt(0)
	v_mul_f64 v[84:85], v[78:79], v[80:81]
	v_mul_f64 v[80:81], v[76:77], v[80:81]
	s_waitcnt vmcnt(0)
	v_fma_f64 v[76:77], v[76:77], v[82:83], -v[84:85]
	v_fma_f64 v[78:79], v[78:79], v[82:83], v[80:81]
	v_add_f64 v[3:4], v[3:4], v[76:77]
	v_add_f64 v[1:2], v[1:2], v[78:79]
	s_andn2_b32 exec_lo, exec_lo, s5
	s_cbranch_execnz .LBB31_73
; %bb.74:
	s_or_b32 exec_lo, exec_lo, s5
	v_mov_b32_e32 v71, 0
	ds_read_b128 v[71:74], v71 offset:240
	s_waitcnt lgkmcnt(0)
	v_mul_f64 v[76:77], v[1:2], v[73:74]
	v_mul_f64 v[73:74], v[3:4], v[73:74]
	v_fma_f64 v[3:4], v[3:4], v[71:72], -v[76:77]
	v_fma_f64 v[1:2], v[1:2], v[71:72], v[73:74]
	buffer_store_dword v4, off, s[0:3], 0 offset:260
	buffer_store_dword v3, off, s[0:3], 0 offset:256
	;; [unrolled: 1-line block ×4, first 2 shown]
.LBB31_75:
	s_or_b32 exec_lo, exec_lo, s4
	v_mov_b32_e32 v4, s27
	s_waitcnt_vscnt null, 0x0
	s_barrier
	buffer_gl0_inv
	s_mov_b32 s4, exec_lo
	s_clause 0x3
	buffer_load_dword v1, v4, s[0:3], 0 offen
	buffer_load_dword v2, v4, s[0:3], 0 offen offset:4
	buffer_load_dword v3, v4, s[0:3], 0 offen offset:8
	;; [unrolled: 1-line block ×3, first 2 shown]
	s_waitcnt vmcnt(0)
	ds_write_b128 v69, v[1:4]
	s_waitcnt lgkmcnt(0)
	s_barrier
	buffer_gl0_inv
	v_cmpx_gt_u32_e32 16, v0
	s_cbranch_execz .LBB31_79
; %bb.76:
	v_mov_b32_e32 v1, 0
	v_mov_b32_e32 v3, 0
	v_add_nc_u32_e32 v71, -1, v0
	v_add_nc_u32_e32 v72, 0x200, v75
	v_mov_b32_e32 v2, 0
	v_mov_b32_e32 v4, 0
	v_add_nc_u32_e32 v73, 16, v75
	s_mov_b32 s5, 0
	.p2align	6
.LBB31_77:                              ; =>This Inner Loop Header: Depth=1
	s_clause 0x3
	buffer_load_dword v80, v73, s[0:3], 0 offen offset:8
	buffer_load_dword v81, v73, s[0:3], 0 offen offset:12
	buffer_load_dword v82, v73, s[0:3], 0 offen
	buffer_load_dword v83, v73, s[0:3], 0 offen offset:4
	ds_read_b128 v[76:79], v72
	v_add_nc_u32_e32 v71, 1, v71
	v_add_nc_u32_e32 v72, 16, v72
	;; [unrolled: 1-line block ×3, first 2 shown]
	v_cmp_lt_u32_e32 vcc_lo, 14, v71
	s_or_b32 s5, vcc_lo, s5
	s_waitcnt vmcnt(2) lgkmcnt(0)
	v_mul_f64 v[84:85], v[78:79], v[80:81]
	v_mul_f64 v[80:81], v[76:77], v[80:81]
	s_waitcnt vmcnt(0)
	v_fma_f64 v[76:77], v[76:77], v[82:83], -v[84:85]
	v_fma_f64 v[78:79], v[78:79], v[82:83], v[80:81]
	v_add_f64 v[3:4], v[3:4], v[76:77]
	v_add_f64 v[1:2], v[1:2], v[78:79]
	s_andn2_b32 exec_lo, exec_lo, s5
	s_cbranch_execnz .LBB31_77
; %bb.78:
	s_or_b32 exec_lo, exec_lo, s5
	v_mov_b32_e32 v71, 0
	ds_read_b128 v[71:74], v71 offset:256
	s_waitcnt lgkmcnt(0)
	v_mul_f64 v[76:77], v[1:2], v[73:74]
	v_mul_f64 v[73:74], v[3:4], v[73:74]
	v_fma_f64 v[3:4], v[3:4], v[71:72], -v[76:77]
	v_fma_f64 v[1:2], v[1:2], v[71:72], v[73:74]
	buffer_store_dword v4, off, s[0:3], 0 offset:276
	buffer_store_dword v3, off, s[0:3], 0 offset:272
	;; [unrolled: 1-line block ×4, first 2 shown]
.LBB31_79:
	s_or_b32 exec_lo, exec_lo, s4
	v_mov_b32_e32 v4, s26
	s_waitcnt_vscnt null, 0x0
	s_barrier
	buffer_gl0_inv
	s_mov_b32 s4, exec_lo
	s_clause 0x3
	buffer_load_dword v1, v4, s[0:3], 0 offen
	buffer_load_dword v2, v4, s[0:3], 0 offen offset:4
	buffer_load_dword v3, v4, s[0:3], 0 offen offset:8
	buffer_load_dword v4, v4, s[0:3], 0 offen offset:12
	s_waitcnt vmcnt(0)
	ds_write_b128 v69, v[1:4]
	s_waitcnt lgkmcnt(0)
	s_barrier
	buffer_gl0_inv
	v_cmpx_gt_u32_e32 17, v0
	s_cbranch_execz .LBB31_83
; %bb.80:
	v_mov_b32_e32 v1, 0
	v_mov_b32_e32 v3, 0
	v_add_nc_u32_e32 v71, -1, v0
	v_add_nc_u32_e32 v72, 0x200, v75
	v_mov_b32_e32 v2, 0
	v_mov_b32_e32 v4, 0
	v_add_nc_u32_e32 v73, 16, v75
	s_mov_b32 s5, 0
	.p2align	6
.LBB31_81:                              ; =>This Inner Loop Header: Depth=1
	s_clause 0x3
	buffer_load_dword v80, v73, s[0:3], 0 offen offset:8
	buffer_load_dword v81, v73, s[0:3], 0 offen offset:12
	buffer_load_dword v82, v73, s[0:3], 0 offen
	buffer_load_dword v83, v73, s[0:3], 0 offen offset:4
	ds_read_b128 v[76:79], v72
	v_add_nc_u32_e32 v71, 1, v71
	v_add_nc_u32_e32 v72, 16, v72
	;; [unrolled: 1-line block ×3, first 2 shown]
	v_cmp_lt_u32_e32 vcc_lo, 15, v71
	s_or_b32 s5, vcc_lo, s5
	s_waitcnt vmcnt(2) lgkmcnt(0)
	v_mul_f64 v[84:85], v[78:79], v[80:81]
	v_mul_f64 v[80:81], v[76:77], v[80:81]
	s_waitcnt vmcnt(0)
	v_fma_f64 v[76:77], v[76:77], v[82:83], -v[84:85]
	v_fma_f64 v[78:79], v[78:79], v[82:83], v[80:81]
	v_add_f64 v[3:4], v[3:4], v[76:77]
	v_add_f64 v[1:2], v[1:2], v[78:79]
	s_andn2_b32 exec_lo, exec_lo, s5
	s_cbranch_execnz .LBB31_81
; %bb.82:
	s_or_b32 exec_lo, exec_lo, s5
	v_mov_b32_e32 v71, 0
	ds_read_b128 v[71:74], v71 offset:272
	s_waitcnt lgkmcnt(0)
	v_mul_f64 v[76:77], v[1:2], v[73:74]
	v_mul_f64 v[73:74], v[3:4], v[73:74]
	v_fma_f64 v[3:4], v[3:4], v[71:72], -v[76:77]
	v_fma_f64 v[1:2], v[1:2], v[71:72], v[73:74]
	buffer_store_dword v4, off, s[0:3], 0 offset:292
	buffer_store_dword v3, off, s[0:3], 0 offset:288
	;; [unrolled: 1-line block ×4, first 2 shown]
.LBB31_83:
	s_or_b32 exec_lo, exec_lo, s4
	v_mov_b32_e32 v4, s25
	s_waitcnt_vscnt null, 0x0
	s_barrier
	buffer_gl0_inv
	s_mov_b32 s4, exec_lo
	s_clause 0x3
	buffer_load_dword v1, v4, s[0:3], 0 offen
	buffer_load_dword v2, v4, s[0:3], 0 offen offset:4
	buffer_load_dword v3, v4, s[0:3], 0 offen offset:8
	;; [unrolled: 1-line block ×3, first 2 shown]
	s_waitcnt vmcnt(0)
	ds_write_b128 v69, v[1:4]
	s_waitcnt lgkmcnt(0)
	s_barrier
	buffer_gl0_inv
	v_cmpx_gt_u32_e32 18, v0
	s_cbranch_execz .LBB31_87
; %bb.84:
	v_mov_b32_e32 v1, 0
	v_mov_b32_e32 v3, 0
	v_add_nc_u32_e32 v71, -1, v0
	v_add_nc_u32_e32 v72, 0x200, v75
	v_mov_b32_e32 v2, 0
	v_mov_b32_e32 v4, 0
	v_add_nc_u32_e32 v73, 16, v75
	s_mov_b32 s5, 0
	.p2align	6
.LBB31_85:                              ; =>This Inner Loop Header: Depth=1
	s_clause 0x3
	buffer_load_dword v80, v73, s[0:3], 0 offen offset:8
	buffer_load_dword v81, v73, s[0:3], 0 offen offset:12
	buffer_load_dword v82, v73, s[0:3], 0 offen
	buffer_load_dword v83, v73, s[0:3], 0 offen offset:4
	ds_read_b128 v[76:79], v72
	v_add_nc_u32_e32 v71, 1, v71
	v_add_nc_u32_e32 v72, 16, v72
	;; [unrolled: 1-line block ×3, first 2 shown]
	v_cmp_lt_u32_e32 vcc_lo, 16, v71
	s_or_b32 s5, vcc_lo, s5
	s_waitcnt vmcnt(2) lgkmcnt(0)
	v_mul_f64 v[84:85], v[78:79], v[80:81]
	v_mul_f64 v[80:81], v[76:77], v[80:81]
	s_waitcnt vmcnt(0)
	v_fma_f64 v[76:77], v[76:77], v[82:83], -v[84:85]
	v_fma_f64 v[78:79], v[78:79], v[82:83], v[80:81]
	v_add_f64 v[3:4], v[3:4], v[76:77]
	v_add_f64 v[1:2], v[1:2], v[78:79]
	s_andn2_b32 exec_lo, exec_lo, s5
	s_cbranch_execnz .LBB31_85
; %bb.86:
	s_or_b32 exec_lo, exec_lo, s5
	v_mov_b32_e32 v71, 0
	ds_read_b128 v[71:74], v71 offset:288
	s_waitcnt lgkmcnt(0)
	v_mul_f64 v[76:77], v[1:2], v[73:74]
	v_mul_f64 v[73:74], v[3:4], v[73:74]
	v_fma_f64 v[3:4], v[3:4], v[71:72], -v[76:77]
	v_fma_f64 v[1:2], v[1:2], v[71:72], v[73:74]
	buffer_store_dword v4, off, s[0:3], 0 offset:308
	buffer_store_dword v3, off, s[0:3], 0 offset:304
	;; [unrolled: 1-line block ×4, first 2 shown]
.LBB31_87:
	s_or_b32 exec_lo, exec_lo, s4
	v_mov_b32_e32 v4, s24
	s_waitcnt_vscnt null, 0x0
	s_barrier
	buffer_gl0_inv
	s_mov_b32 s4, exec_lo
	s_clause 0x3
	buffer_load_dword v1, v4, s[0:3], 0 offen
	buffer_load_dword v2, v4, s[0:3], 0 offen offset:4
	buffer_load_dword v3, v4, s[0:3], 0 offen offset:8
	;; [unrolled: 1-line block ×3, first 2 shown]
	s_waitcnt vmcnt(0)
	ds_write_b128 v69, v[1:4]
	s_waitcnt lgkmcnt(0)
	s_barrier
	buffer_gl0_inv
	v_cmpx_gt_u32_e32 19, v0
	s_cbranch_execz .LBB31_91
; %bb.88:
	v_mov_b32_e32 v1, 0
	v_mov_b32_e32 v3, 0
	v_add_nc_u32_e32 v71, -1, v0
	v_add_nc_u32_e32 v72, 0x200, v75
	v_mov_b32_e32 v2, 0
	v_mov_b32_e32 v4, 0
	v_add_nc_u32_e32 v73, 16, v75
	s_mov_b32 s5, 0
	.p2align	6
.LBB31_89:                              ; =>This Inner Loop Header: Depth=1
	s_clause 0x3
	buffer_load_dword v80, v73, s[0:3], 0 offen offset:8
	buffer_load_dword v81, v73, s[0:3], 0 offen offset:12
	buffer_load_dword v82, v73, s[0:3], 0 offen
	buffer_load_dword v83, v73, s[0:3], 0 offen offset:4
	ds_read_b128 v[76:79], v72
	v_add_nc_u32_e32 v71, 1, v71
	v_add_nc_u32_e32 v72, 16, v72
	;; [unrolled: 1-line block ×3, first 2 shown]
	v_cmp_lt_u32_e32 vcc_lo, 17, v71
	s_or_b32 s5, vcc_lo, s5
	s_waitcnt vmcnt(2) lgkmcnt(0)
	v_mul_f64 v[84:85], v[78:79], v[80:81]
	v_mul_f64 v[80:81], v[76:77], v[80:81]
	s_waitcnt vmcnt(0)
	v_fma_f64 v[76:77], v[76:77], v[82:83], -v[84:85]
	v_fma_f64 v[78:79], v[78:79], v[82:83], v[80:81]
	v_add_f64 v[3:4], v[3:4], v[76:77]
	v_add_f64 v[1:2], v[1:2], v[78:79]
	s_andn2_b32 exec_lo, exec_lo, s5
	s_cbranch_execnz .LBB31_89
; %bb.90:
	s_or_b32 exec_lo, exec_lo, s5
	v_mov_b32_e32 v71, 0
	ds_read_b128 v[71:74], v71 offset:304
	s_waitcnt lgkmcnt(0)
	v_mul_f64 v[76:77], v[1:2], v[73:74]
	v_mul_f64 v[73:74], v[3:4], v[73:74]
	v_fma_f64 v[3:4], v[3:4], v[71:72], -v[76:77]
	v_fma_f64 v[1:2], v[1:2], v[71:72], v[73:74]
	buffer_store_dword v4, off, s[0:3], 0 offset:324
	buffer_store_dword v3, off, s[0:3], 0 offset:320
	;; [unrolled: 1-line block ×4, first 2 shown]
.LBB31_91:
	s_or_b32 exec_lo, exec_lo, s4
	v_mov_b32_e32 v4, s23
	s_waitcnt_vscnt null, 0x0
	s_barrier
	buffer_gl0_inv
	s_mov_b32 s4, exec_lo
	s_clause 0x3
	buffer_load_dword v1, v4, s[0:3], 0 offen
	buffer_load_dword v2, v4, s[0:3], 0 offen offset:4
	buffer_load_dword v3, v4, s[0:3], 0 offen offset:8
	;; [unrolled: 1-line block ×3, first 2 shown]
	s_waitcnt vmcnt(0)
	ds_write_b128 v69, v[1:4]
	s_waitcnt lgkmcnt(0)
	s_barrier
	buffer_gl0_inv
	v_cmpx_gt_u32_e32 20, v0
	s_cbranch_execz .LBB31_95
; %bb.92:
	v_mov_b32_e32 v1, 0
	v_mov_b32_e32 v3, 0
	v_add_nc_u32_e32 v71, -1, v0
	v_add_nc_u32_e32 v72, 0x200, v75
	v_mov_b32_e32 v2, 0
	v_mov_b32_e32 v4, 0
	v_add_nc_u32_e32 v73, 16, v75
	s_mov_b32 s5, 0
	.p2align	6
.LBB31_93:                              ; =>This Inner Loop Header: Depth=1
	s_clause 0x3
	buffer_load_dword v80, v73, s[0:3], 0 offen offset:8
	buffer_load_dword v81, v73, s[0:3], 0 offen offset:12
	buffer_load_dword v82, v73, s[0:3], 0 offen
	buffer_load_dword v83, v73, s[0:3], 0 offen offset:4
	ds_read_b128 v[76:79], v72
	v_add_nc_u32_e32 v71, 1, v71
	v_add_nc_u32_e32 v72, 16, v72
	;; [unrolled: 1-line block ×3, first 2 shown]
	v_cmp_lt_u32_e32 vcc_lo, 18, v71
	s_or_b32 s5, vcc_lo, s5
	s_waitcnt vmcnt(2) lgkmcnt(0)
	v_mul_f64 v[84:85], v[78:79], v[80:81]
	v_mul_f64 v[80:81], v[76:77], v[80:81]
	s_waitcnt vmcnt(0)
	v_fma_f64 v[76:77], v[76:77], v[82:83], -v[84:85]
	v_fma_f64 v[78:79], v[78:79], v[82:83], v[80:81]
	v_add_f64 v[3:4], v[3:4], v[76:77]
	v_add_f64 v[1:2], v[1:2], v[78:79]
	s_andn2_b32 exec_lo, exec_lo, s5
	s_cbranch_execnz .LBB31_93
; %bb.94:
	s_or_b32 exec_lo, exec_lo, s5
	v_mov_b32_e32 v71, 0
	ds_read_b128 v[71:74], v71 offset:320
	s_waitcnt lgkmcnt(0)
	v_mul_f64 v[76:77], v[1:2], v[73:74]
	v_mul_f64 v[73:74], v[3:4], v[73:74]
	v_fma_f64 v[3:4], v[3:4], v[71:72], -v[76:77]
	v_fma_f64 v[1:2], v[1:2], v[71:72], v[73:74]
	buffer_store_dword v4, off, s[0:3], 0 offset:340
	buffer_store_dword v3, off, s[0:3], 0 offset:336
	;; [unrolled: 1-line block ×4, first 2 shown]
.LBB31_95:
	s_or_b32 exec_lo, exec_lo, s4
	v_mov_b32_e32 v4, s22
	s_waitcnt_vscnt null, 0x0
	s_barrier
	buffer_gl0_inv
	s_mov_b32 s4, exec_lo
	s_clause 0x3
	buffer_load_dword v1, v4, s[0:3], 0 offen
	buffer_load_dword v2, v4, s[0:3], 0 offen offset:4
	buffer_load_dword v3, v4, s[0:3], 0 offen offset:8
	;; [unrolled: 1-line block ×3, first 2 shown]
	s_waitcnt vmcnt(0)
	ds_write_b128 v69, v[1:4]
	s_waitcnt lgkmcnt(0)
	s_barrier
	buffer_gl0_inv
	v_cmpx_gt_u32_e32 21, v0
	s_cbranch_execz .LBB31_99
; %bb.96:
	v_mov_b32_e32 v1, 0
	v_mov_b32_e32 v3, 0
	v_add_nc_u32_e32 v71, -1, v0
	v_add_nc_u32_e32 v72, 0x200, v75
	v_mov_b32_e32 v2, 0
	v_mov_b32_e32 v4, 0
	v_add_nc_u32_e32 v73, 16, v75
	s_mov_b32 s5, 0
	.p2align	6
.LBB31_97:                              ; =>This Inner Loop Header: Depth=1
	s_clause 0x3
	buffer_load_dword v80, v73, s[0:3], 0 offen offset:8
	buffer_load_dword v81, v73, s[0:3], 0 offen offset:12
	buffer_load_dword v82, v73, s[0:3], 0 offen
	buffer_load_dword v83, v73, s[0:3], 0 offen offset:4
	ds_read_b128 v[76:79], v72
	v_add_nc_u32_e32 v71, 1, v71
	v_add_nc_u32_e32 v72, 16, v72
	;; [unrolled: 1-line block ×3, first 2 shown]
	v_cmp_lt_u32_e32 vcc_lo, 19, v71
	s_or_b32 s5, vcc_lo, s5
	s_waitcnt vmcnt(2) lgkmcnt(0)
	v_mul_f64 v[84:85], v[78:79], v[80:81]
	v_mul_f64 v[80:81], v[76:77], v[80:81]
	s_waitcnt vmcnt(0)
	v_fma_f64 v[76:77], v[76:77], v[82:83], -v[84:85]
	v_fma_f64 v[78:79], v[78:79], v[82:83], v[80:81]
	v_add_f64 v[3:4], v[3:4], v[76:77]
	v_add_f64 v[1:2], v[1:2], v[78:79]
	s_andn2_b32 exec_lo, exec_lo, s5
	s_cbranch_execnz .LBB31_97
; %bb.98:
	s_or_b32 exec_lo, exec_lo, s5
	v_mov_b32_e32 v71, 0
	ds_read_b128 v[71:74], v71 offset:336
	s_waitcnt lgkmcnt(0)
	v_mul_f64 v[76:77], v[1:2], v[73:74]
	v_mul_f64 v[73:74], v[3:4], v[73:74]
	v_fma_f64 v[3:4], v[3:4], v[71:72], -v[76:77]
	v_fma_f64 v[1:2], v[1:2], v[71:72], v[73:74]
	buffer_store_dword v4, off, s[0:3], 0 offset:356
	buffer_store_dword v3, off, s[0:3], 0 offset:352
	;; [unrolled: 1-line block ×4, first 2 shown]
.LBB31_99:
	s_or_b32 exec_lo, exec_lo, s4
	v_mov_b32_e32 v4, s19
	s_waitcnt_vscnt null, 0x0
	s_barrier
	buffer_gl0_inv
	s_mov_b32 s4, exec_lo
	s_clause 0x3
	buffer_load_dword v1, v4, s[0:3], 0 offen
	buffer_load_dword v2, v4, s[0:3], 0 offen offset:4
	buffer_load_dword v3, v4, s[0:3], 0 offen offset:8
	;; [unrolled: 1-line block ×3, first 2 shown]
	s_waitcnt vmcnt(0)
	ds_write_b128 v69, v[1:4]
	s_waitcnt lgkmcnt(0)
	s_barrier
	buffer_gl0_inv
	v_cmpx_gt_u32_e32 22, v0
	s_cbranch_execz .LBB31_103
; %bb.100:
	v_mov_b32_e32 v1, 0
	v_mov_b32_e32 v3, 0
	v_add_nc_u32_e32 v71, -1, v0
	v_add_nc_u32_e32 v72, 0x200, v75
	v_mov_b32_e32 v2, 0
	v_mov_b32_e32 v4, 0
	v_add_nc_u32_e32 v73, 16, v75
	s_mov_b32 s5, 0
	.p2align	6
.LBB31_101:                             ; =>This Inner Loop Header: Depth=1
	s_clause 0x3
	buffer_load_dword v80, v73, s[0:3], 0 offen offset:8
	buffer_load_dword v81, v73, s[0:3], 0 offen offset:12
	buffer_load_dword v82, v73, s[0:3], 0 offen
	buffer_load_dword v83, v73, s[0:3], 0 offen offset:4
	ds_read_b128 v[76:79], v72
	v_add_nc_u32_e32 v71, 1, v71
	v_add_nc_u32_e32 v72, 16, v72
	;; [unrolled: 1-line block ×3, first 2 shown]
	v_cmp_lt_u32_e32 vcc_lo, 20, v71
	s_or_b32 s5, vcc_lo, s5
	s_waitcnt vmcnt(2) lgkmcnt(0)
	v_mul_f64 v[84:85], v[78:79], v[80:81]
	v_mul_f64 v[80:81], v[76:77], v[80:81]
	s_waitcnt vmcnt(0)
	v_fma_f64 v[76:77], v[76:77], v[82:83], -v[84:85]
	v_fma_f64 v[78:79], v[78:79], v[82:83], v[80:81]
	v_add_f64 v[3:4], v[3:4], v[76:77]
	v_add_f64 v[1:2], v[1:2], v[78:79]
	s_andn2_b32 exec_lo, exec_lo, s5
	s_cbranch_execnz .LBB31_101
; %bb.102:
	s_or_b32 exec_lo, exec_lo, s5
	v_mov_b32_e32 v71, 0
	ds_read_b128 v[71:74], v71 offset:352
	s_waitcnt lgkmcnt(0)
	v_mul_f64 v[76:77], v[1:2], v[73:74]
	v_mul_f64 v[73:74], v[3:4], v[73:74]
	v_fma_f64 v[3:4], v[3:4], v[71:72], -v[76:77]
	v_fma_f64 v[1:2], v[1:2], v[71:72], v[73:74]
	buffer_store_dword v4, off, s[0:3], 0 offset:372
	buffer_store_dword v3, off, s[0:3], 0 offset:368
	;; [unrolled: 1-line block ×4, first 2 shown]
.LBB31_103:
	s_or_b32 exec_lo, exec_lo, s4
	v_mov_b32_e32 v4, s18
	s_waitcnt_vscnt null, 0x0
	s_barrier
	buffer_gl0_inv
	s_mov_b32 s4, exec_lo
	s_clause 0x3
	buffer_load_dword v1, v4, s[0:3], 0 offen
	buffer_load_dword v2, v4, s[0:3], 0 offen offset:4
	buffer_load_dword v3, v4, s[0:3], 0 offen offset:8
	;; [unrolled: 1-line block ×3, first 2 shown]
	s_waitcnt vmcnt(0)
	ds_write_b128 v69, v[1:4]
	s_waitcnt lgkmcnt(0)
	s_barrier
	buffer_gl0_inv
	v_cmpx_gt_u32_e32 23, v0
	s_cbranch_execz .LBB31_107
; %bb.104:
	v_mov_b32_e32 v1, 0
	v_mov_b32_e32 v3, 0
	v_add_nc_u32_e32 v71, -1, v0
	v_add_nc_u32_e32 v72, 0x200, v75
	v_mov_b32_e32 v2, 0
	v_mov_b32_e32 v4, 0
	v_add_nc_u32_e32 v73, 16, v75
	s_mov_b32 s5, 0
	.p2align	6
.LBB31_105:                             ; =>This Inner Loop Header: Depth=1
	s_clause 0x3
	buffer_load_dword v80, v73, s[0:3], 0 offen offset:8
	buffer_load_dword v81, v73, s[0:3], 0 offen offset:12
	buffer_load_dword v82, v73, s[0:3], 0 offen
	buffer_load_dword v83, v73, s[0:3], 0 offen offset:4
	ds_read_b128 v[76:79], v72
	v_add_nc_u32_e32 v71, 1, v71
	v_add_nc_u32_e32 v72, 16, v72
	v_add_nc_u32_e32 v73, 16, v73
	v_cmp_lt_u32_e32 vcc_lo, 21, v71
	s_or_b32 s5, vcc_lo, s5
	s_waitcnt vmcnt(2) lgkmcnt(0)
	v_mul_f64 v[84:85], v[78:79], v[80:81]
	v_mul_f64 v[80:81], v[76:77], v[80:81]
	s_waitcnt vmcnt(0)
	v_fma_f64 v[76:77], v[76:77], v[82:83], -v[84:85]
	v_fma_f64 v[78:79], v[78:79], v[82:83], v[80:81]
	v_add_f64 v[3:4], v[3:4], v[76:77]
	v_add_f64 v[1:2], v[1:2], v[78:79]
	s_andn2_b32 exec_lo, exec_lo, s5
	s_cbranch_execnz .LBB31_105
; %bb.106:
	s_or_b32 exec_lo, exec_lo, s5
	v_mov_b32_e32 v71, 0
	ds_read_b128 v[71:74], v71 offset:368
	s_waitcnt lgkmcnt(0)
	v_mul_f64 v[76:77], v[1:2], v[73:74]
	v_mul_f64 v[73:74], v[3:4], v[73:74]
	v_fma_f64 v[3:4], v[3:4], v[71:72], -v[76:77]
	v_fma_f64 v[1:2], v[1:2], v[71:72], v[73:74]
	buffer_store_dword v4, off, s[0:3], 0 offset:388
	buffer_store_dword v3, off, s[0:3], 0 offset:384
	buffer_store_dword v2, off, s[0:3], 0 offset:396
	buffer_store_dword v1, off, s[0:3], 0 offset:392
.LBB31_107:
	s_or_b32 exec_lo, exec_lo, s4
	v_mov_b32_e32 v4, s17
	s_waitcnt_vscnt null, 0x0
	s_barrier
	buffer_gl0_inv
	s_mov_b32 s4, exec_lo
	s_clause 0x3
	buffer_load_dword v1, v4, s[0:3], 0 offen
	buffer_load_dword v2, v4, s[0:3], 0 offen offset:4
	buffer_load_dword v3, v4, s[0:3], 0 offen offset:8
	;; [unrolled: 1-line block ×3, first 2 shown]
	s_waitcnt vmcnt(0)
	ds_write_b128 v69, v[1:4]
	s_waitcnt lgkmcnt(0)
	s_barrier
	buffer_gl0_inv
	v_cmpx_gt_u32_e32 24, v0
	s_cbranch_execz .LBB31_111
; %bb.108:
	v_mov_b32_e32 v1, 0
	v_mov_b32_e32 v3, 0
	v_add_nc_u32_e32 v71, -1, v0
	v_add_nc_u32_e32 v72, 0x200, v75
	v_mov_b32_e32 v2, 0
	v_mov_b32_e32 v4, 0
	v_add_nc_u32_e32 v73, 16, v75
	s_mov_b32 s5, 0
	.p2align	6
.LBB31_109:                             ; =>This Inner Loop Header: Depth=1
	s_clause 0x3
	buffer_load_dword v80, v73, s[0:3], 0 offen offset:8
	buffer_load_dword v81, v73, s[0:3], 0 offen offset:12
	buffer_load_dword v82, v73, s[0:3], 0 offen
	buffer_load_dword v83, v73, s[0:3], 0 offen offset:4
	ds_read_b128 v[76:79], v72
	v_add_nc_u32_e32 v71, 1, v71
	v_add_nc_u32_e32 v72, 16, v72
	;; [unrolled: 1-line block ×3, first 2 shown]
	v_cmp_lt_u32_e32 vcc_lo, 22, v71
	s_or_b32 s5, vcc_lo, s5
	s_waitcnt vmcnt(2) lgkmcnt(0)
	v_mul_f64 v[84:85], v[78:79], v[80:81]
	v_mul_f64 v[80:81], v[76:77], v[80:81]
	s_waitcnt vmcnt(0)
	v_fma_f64 v[76:77], v[76:77], v[82:83], -v[84:85]
	v_fma_f64 v[78:79], v[78:79], v[82:83], v[80:81]
	v_add_f64 v[3:4], v[3:4], v[76:77]
	v_add_f64 v[1:2], v[1:2], v[78:79]
	s_andn2_b32 exec_lo, exec_lo, s5
	s_cbranch_execnz .LBB31_109
; %bb.110:
	s_or_b32 exec_lo, exec_lo, s5
	v_mov_b32_e32 v71, 0
	ds_read_b128 v[71:74], v71 offset:384
	s_waitcnt lgkmcnt(0)
	v_mul_f64 v[76:77], v[1:2], v[73:74]
	v_mul_f64 v[73:74], v[3:4], v[73:74]
	v_fma_f64 v[3:4], v[3:4], v[71:72], -v[76:77]
	v_fma_f64 v[1:2], v[1:2], v[71:72], v[73:74]
	buffer_store_dword v4, off, s[0:3], 0 offset:404
	buffer_store_dword v3, off, s[0:3], 0 offset:400
	buffer_store_dword v2, off, s[0:3], 0 offset:412
	buffer_store_dword v1, off, s[0:3], 0 offset:408
.LBB31_111:
	s_or_b32 exec_lo, exec_lo, s4
	v_mov_b32_e32 v4, s16
	s_waitcnt_vscnt null, 0x0
	s_barrier
	buffer_gl0_inv
	s_mov_b32 s4, exec_lo
	s_clause 0x3
	buffer_load_dword v1, v4, s[0:3], 0 offen
	buffer_load_dword v2, v4, s[0:3], 0 offen offset:4
	buffer_load_dword v3, v4, s[0:3], 0 offen offset:8
	;; [unrolled: 1-line block ×3, first 2 shown]
	s_waitcnt vmcnt(0)
	ds_write_b128 v69, v[1:4]
	s_waitcnt lgkmcnt(0)
	s_barrier
	buffer_gl0_inv
	v_cmpx_gt_u32_e32 25, v0
	s_cbranch_execz .LBB31_115
; %bb.112:
	v_mov_b32_e32 v1, 0
	v_mov_b32_e32 v3, 0
	v_add_nc_u32_e32 v71, -1, v0
	v_add_nc_u32_e32 v72, 0x200, v75
	v_mov_b32_e32 v2, 0
	v_mov_b32_e32 v4, 0
	v_add_nc_u32_e32 v73, 16, v75
	s_mov_b32 s5, 0
	.p2align	6
.LBB31_113:                             ; =>This Inner Loop Header: Depth=1
	s_clause 0x3
	buffer_load_dword v80, v73, s[0:3], 0 offen offset:8
	buffer_load_dword v81, v73, s[0:3], 0 offen offset:12
	buffer_load_dword v82, v73, s[0:3], 0 offen
	buffer_load_dword v83, v73, s[0:3], 0 offen offset:4
	ds_read_b128 v[76:79], v72
	v_add_nc_u32_e32 v71, 1, v71
	v_add_nc_u32_e32 v72, 16, v72
	;; [unrolled: 1-line block ×3, first 2 shown]
	v_cmp_lt_u32_e32 vcc_lo, 23, v71
	s_or_b32 s5, vcc_lo, s5
	s_waitcnt vmcnt(2) lgkmcnt(0)
	v_mul_f64 v[84:85], v[78:79], v[80:81]
	v_mul_f64 v[80:81], v[76:77], v[80:81]
	s_waitcnt vmcnt(0)
	v_fma_f64 v[76:77], v[76:77], v[82:83], -v[84:85]
	v_fma_f64 v[78:79], v[78:79], v[82:83], v[80:81]
	v_add_f64 v[3:4], v[3:4], v[76:77]
	v_add_f64 v[1:2], v[1:2], v[78:79]
	s_andn2_b32 exec_lo, exec_lo, s5
	s_cbranch_execnz .LBB31_113
; %bb.114:
	s_or_b32 exec_lo, exec_lo, s5
	v_mov_b32_e32 v71, 0
	ds_read_b128 v[71:74], v71 offset:400
	s_waitcnt lgkmcnt(0)
	v_mul_f64 v[76:77], v[1:2], v[73:74]
	v_mul_f64 v[73:74], v[3:4], v[73:74]
	v_fma_f64 v[3:4], v[3:4], v[71:72], -v[76:77]
	v_fma_f64 v[1:2], v[1:2], v[71:72], v[73:74]
	buffer_store_dword v4, off, s[0:3], 0 offset:420
	buffer_store_dword v3, off, s[0:3], 0 offset:416
	;; [unrolled: 1-line block ×4, first 2 shown]
.LBB31_115:
	s_or_b32 exec_lo, exec_lo, s4
	v_mov_b32_e32 v4, s15
	s_waitcnt_vscnt null, 0x0
	s_barrier
	buffer_gl0_inv
	s_mov_b32 s4, exec_lo
	s_clause 0x3
	buffer_load_dword v1, v4, s[0:3], 0 offen
	buffer_load_dword v2, v4, s[0:3], 0 offen offset:4
	buffer_load_dword v3, v4, s[0:3], 0 offen offset:8
	;; [unrolled: 1-line block ×3, first 2 shown]
	s_waitcnt vmcnt(0)
	ds_write_b128 v69, v[1:4]
	s_waitcnt lgkmcnt(0)
	s_barrier
	buffer_gl0_inv
	v_cmpx_gt_u32_e32 26, v0
	s_cbranch_execz .LBB31_119
; %bb.116:
	v_mov_b32_e32 v1, 0
	v_mov_b32_e32 v3, 0
	v_add_nc_u32_e32 v71, -1, v0
	v_add_nc_u32_e32 v72, 0x200, v75
	v_mov_b32_e32 v2, 0
	v_mov_b32_e32 v4, 0
	v_add_nc_u32_e32 v73, 16, v75
	s_mov_b32 s5, 0
	.p2align	6
.LBB31_117:                             ; =>This Inner Loop Header: Depth=1
	s_clause 0x3
	buffer_load_dword v80, v73, s[0:3], 0 offen offset:8
	buffer_load_dword v81, v73, s[0:3], 0 offen offset:12
	buffer_load_dword v82, v73, s[0:3], 0 offen
	buffer_load_dword v83, v73, s[0:3], 0 offen offset:4
	ds_read_b128 v[76:79], v72
	v_add_nc_u32_e32 v71, 1, v71
	v_add_nc_u32_e32 v72, 16, v72
	;; [unrolled: 1-line block ×3, first 2 shown]
	v_cmp_lt_u32_e32 vcc_lo, 24, v71
	s_or_b32 s5, vcc_lo, s5
	s_waitcnt vmcnt(2) lgkmcnt(0)
	v_mul_f64 v[84:85], v[78:79], v[80:81]
	v_mul_f64 v[80:81], v[76:77], v[80:81]
	s_waitcnt vmcnt(0)
	v_fma_f64 v[76:77], v[76:77], v[82:83], -v[84:85]
	v_fma_f64 v[78:79], v[78:79], v[82:83], v[80:81]
	v_add_f64 v[3:4], v[3:4], v[76:77]
	v_add_f64 v[1:2], v[1:2], v[78:79]
	s_andn2_b32 exec_lo, exec_lo, s5
	s_cbranch_execnz .LBB31_117
; %bb.118:
	s_or_b32 exec_lo, exec_lo, s5
	v_mov_b32_e32 v71, 0
	ds_read_b128 v[71:74], v71 offset:416
	s_waitcnt lgkmcnt(0)
	v_mul_f64 v[76:77], v[1:2], v[73:74]
	v_mul_f64 v[73:74], v[3:4], v[73:74]
	v_fma_f64 v[3:4], v[3:4], v[71:72], -v[76:77]
	v_fma_f64 v[1:2], v[1:2], v[71:72], v[73:74]
	buffer_store_dword v4, off, s[0:3], 0 offset:436
	buffer_store_dword v3, off, s[0:3], 0 offset:432
	;; [unrolled: 1-line block ×4, first 2 shown]
.LBB31_119:
	s_or_b32 exec_lo, exec_lo, s4
	v_mov_b32_e32 v4, s14
	s_waitcnt_vscnt null, 0x0
	s_barrier
	buffer_gl0_inv
	s_mov_b32 s4, exec_lo
	s_clause 0x3
	buffer_load_dword v1, v4, s[0:3], 0 offen
	buffer_load_dword v2, v4, s[0:3], 0 offen offset:4
	buffer_load_dword v3, v4, s[0:3], 0 offen offset:8
	;; [unrolled: 1-line block ×3, first 2 shown]
	s_waitcnt vmcnt(0)
	ds_write_b128 v69, v[1:4]
	s_waitcnt lgkmcnt(0)
	s_barrier
	buffer_gl0_inv
	v_cmpx_gt_u32_e32 27, v0
	s_cbranch_execz .LBB31_123
; %bb.120:
	v_mov_b32_e32 v1, 0
	v_mov_b32_e32 v3, 0
	v_add_nc_u32_e32 v71, -1, v0
	v_add_nc_u32_e32 v72, 0x200, v75
	v_mov_b32_e32 v2, 0
	v_mov_b32_e32 v4, 0
	v_add_nc_u32_e32 v73, 16, v75
	s_mov_b32 s5, 0
	.p2align	6
.LBB31_121:                             ; =>This Inner Loop Header: Depth=1
	s_clause 0x3
	buffer_load_dword v80, v73, s[0:3], 0 offen offset:8
	buffer_load_dword v81, v73, s[0:3], 0 offen offset:12
	buffer_load_dword v82, v73, s[0:3], 0 offen
	buffer_load_dword v83, v73, s[0:3], 0 offen offset:4
	ds_read_b128 v[76:79], v72
	v_add_nc_u32_e32 v71, 1, v71
	v_add_nc_u32_e32 v72, 16, v72
	;; [unrolled: 1-line block ×3, first 2 shown]
	v_cmp_lt_u32_e32 vcc_lo, 25, v71
	s_or_b32 s5, vcc_lo, s5
	s_waitcnt vmcnt(2) lgkmcnt(0)
	v_mul_f64 v[84:85], v[78:79], v[80:81]
	v_mul_f64 v[80:81], v[76:77], v[80:81]
	s_waitcnt vmcnt(0)
	v_fma_f64 v[76:77], v[76:77], v[82:83], -v[84:85]
	v_fma_f64 v[78:79], v[78:79], v[82:83], v[80:81]
	v_add_f64 v[3:4], v[3:4], v[76:77]
	v_add_f64 v[1:2], v[1:2], v[78:79]
	s_andn2_b32 exec_lo, exec_lo, s5
	s_cbranch_execnz .LBB31_121
; %bb.122:
	s_or_b32 exec_lo, exec_lo, s5
	v_mov_b32_e32 v71, 0
	ds_read_b128 v[71:74], v71 offset:432
	s_waitcnt lgkmcnt(0)
	v_mul_f64 v[76:77], v[1:2], v[73:74]
	v_mul_f64 v[73:74], v[3:4], v[73:74]
	v_fma_f64 v[3:4], v[3:4], v[71:72], -v[76:77]
	v_fma_f64 v[1:2], v[1:2], v[71:72], v[73:74]
	buffer_store_dword v4, off, s[0:3], 0 offset:452
	buffer_store_dword v3, off, s[0:3], 0 offset:448
	;; [unrolled: 1-line block ×4, first 2 shown]
.LBB31_123:
	s_or_b32 exec_lo, exec_lo, s4
	v_mov_b32_e32 v4, s13
	s_waitcnt_vscnt null, 0x0
	s_barrier
	buffer_gl0_inv
	s_mov_b32 s4, exec_lo
	s_clause 0x3
	buffer_load_dword v1, v4, s[0:3], 0 offen
	buffer_load_dword v2, v4, s[0:3], 0 offen offset:4
	buffer_load_dword v3, v4, s[0:3], 0 offen offset:8
	;; [unrolled: 1-line block ×3, first 2 shown]
	s_waitcnt vmcnt(0)
	ds_write_b128 v69, v[1:4]
	s_waitcnt lgkmcnt(0)
	s_barrier
	buffer_gl0_inv
	v_cmpx_gt_u32_e32 28, v0
	s_cbranch_execz .LBB31_127
; %bb.124:
	v_mov_b32_e32 v1, 0
	v_mov_b32_e32 v3, 0
	v_add_nc_u32_e32 v71, -1, v0
	v_add_nc_u32_e32 v72, 0x200, v75
	v_mov_b32_e32 v2, 0
	v_mov_b32_e32 v4, 0
	v_add_nc_u32_e32 v73, 16, v75
	s_mov_b32 s5, 0
	.p2align	6
.LBB31_125:                             ; =>This Inner Loop Header: Depth=1
	s_clause 0x3
	buffer_load_dword v80, v73, s[0:3], 0 offen offset:8
	buffer_load_dword v81, v73, s[0:3], 0 offen offset:12
	buffer_load_dword v82, v73, s[0:3], 0 offen
	buffer_load_dword v83, v73, s[0:3], 0 offen offset:4
	ds_read_b128 v[76:79], v72
	v_add_nc_u32_e32 v71, 1, v71
	v_add_nc_u32_e32 v72, 16, v72
	v_add_nc_u32_e32 v73, 16, v73
	v_cmp_lt_u32_e32 vcc_lo, 26, v71
	s_or_b32 s5, vcc_lo, s5
	s_waitcnt vmcnt(2) lgkmcnt(0)
	v_mul_f64 v[84:85], v[78:79], v[80:81]
	v_mul_f64 v[80:81], v[76:77], v[80:81]
	s_waitcnt vmcnt(0)
	v_fma_f64 v[76:77], v[76:77], v[82:83], -v[84:85]
	v_fma_f64 v[78:79], v[78:79], v[82:83], v[80:81]
	v_add_f64 v[3:4], v[3:4], v[76:77]
	v_add_f64 v[1:2], v[1:2], v[78:79]
	s_andn2_b32 exec_lo, exec_lo, s5
	s_cbranch_execnz .LBB31_125
; %bb.126:
	s_or_b32 exec_lo, exec_lo, s5
	v_mov_b32_e32 v71, 0
	ds_read_b128 v[71:74], v71 offset:448
	s_waitcnt lgkmcnt(0)
	v_mul_f64 v[76:77], v[1:2], v[73:74]
	v_mul_f64 v[73:74], v[3:4], v[73:74]
	v_fma_f64 v[3:4], v[3:4], v[71:72], -v[76:77]
	v_fma_f64 v[1:2], v[1:2], v[71:72], v[73:74]
	buffer_store_dword v4, off, s[0:3], 0 offset:468
	buffer_store_dword v3, off, s[0:3], 0 offset:464
	;; [unrolled: 1-line block ×4, first 2 shown]
.LBB31_127:
	s_or_b32 exec_lo, exec_lo, s4
	v_mov_b32_e32 v4, s12
	s_waitcnt_vscnt null, 0x0
	s_barrier
	buffer_gl0_inv
	s_mov_b32 s4, exec_lo
	s_clause 0x3
	buffer_load_dword v1, v4, s[0:3], 0 offen
	buffer_load_dword v2, v4, s[0:3], 0 offen offset:4
	buffer_load_dword v3, v4, s[0:3], 0 offen offset:8
	;; [unrolled: 1-line block ×3, first 2 shown]
	s_waitcnt vmcnt(0)
	ds_write_b128 v69, v[1:4]
	s_waitcnt lgkmcnt(0)
	s_barrier
	buffer_gl0_inv
	v_cmpx_gt_u32_e32 29, v0
	s_cbranch_execz .LBB31_131
; %bb.128:
	v_mov_b32_e32 v1, 0
	v_mov_b32_e32 v3, 0
	v_add_nc_u32_e32 v71, -1, v0
	v_add_nc_u32_e32 v72, 0x200, v75
	v_mov_b32_e32 v2, 0
	v_mov_b32_e32 v4, 0
	v_add_nc_u32_e32 v73, 16, v75
	s_mov_b32 s5, 0
	.p2align	6
.LBB31_129:                             ; =>This Inner Loop Header: Depth=1
	s_clause 0x3
	buffer_load_dword v80, v73, s[0:3], 0 offen offset:8
	buffer_load_dword v81, v73, s[0:3], 0 offen offset:12
	buffer_load_dword v82, v73, s[0:3], 0 offen
	buffer_load_dword v83, v73, s[0:3], 0 offen offset:4
	ds_read_b128 v[76:79], v72
	v_add_nc_u32_e32 v71, 1, v71
	v_add_nc_u32_e32 v72, 16, v72
	;; [unrolled: 1-line block ×3, first 2 shown]
	v_cmp_lt_u32_e32 vcc_lo, 27, v71
	s_or_b32 s5, vcc_lo, s5
	s_waitcnt vmcnt(2) lgkmcnt(0)
	v_mul_f64 v[84:85], v[78:79], v[80:81]
	v_mul_f64 v[80:81], v[76:77], v[80:81]
	s_waitcnt vmcnt(0)
	v_fma_f64 v[76:77], v[76:77], v[82:83], -v[84:85]
	v_fma_f64 v[78:79], v[78:79], v[82:83], v[80:81]
	v_add_f64 v[3:4], v[3:4], v[76:77]
	v_add_f64 v[1:2], v[1:2], v[78:79]
	s_andn2_b32 exec_lo, exec_lo, s5
	s_cbranch_execnz .LBB31_129
; %bb.130:
	s_or_b32 exec_lo, exec_lo, s5
	v_mov_b32_e32 v71, 0
	ds_read_b128 v[71:74], v71 offset:464
	s_waitcnt lgkmcnt(0)
	v_mul_f64 v[76:77], v[1:2], v[73:74]
	v_mul_f64 v[73:74], v[3:4], v[73:74]
	v_fma_f64 v[3:4], v[3:4], v[71:72], -v[76:77]
	v_fma_f64 v[1:2], v[1:2], v[71:72], v[73:74]
	buffer_store_dword v4, off, s[0:3], 0 offset:484
	buffer_store_dword v3, off, s[0:3], 0 offset:480
	;; [unrolled: 1-line block ×4, first 2 shown]
.LBB31_131:
	s_or_b32 exec_lo, exec_lo, s4
	v_mov_b32_e32 v4, s9
	s_waitcnt_vscnt null, 0x0
	s_barrier
	buffer_gl0_inv
	s_mov_b32 s4, exec_lo
	s_clause 0x3
	buffer_load_dword v1, v4, s[0:3], 0 offen
	buffer_load_dword v2, v4, s[0:3], 0 offen offset:4
	buffer_load_dword v3, v4, s[0:3], 0 offen offset:8
	;; [unrolled: 1-line block ×3, first 2 shown]
	s_waitcnt vmcnt(0)
	ds_write_b128 v69, v[1:4]
	s_waitcnt lgkmcnt(0)
	s_barrier
	buffer_gl0_inv
	v_cmpx_gt_u32_e32 30, v0
	s_cbranch_execz .LBB31_135
; %bb.132:
	v_mov_b32_e32 v1, 0
	v_mov_b32_e32 v3, 0
	v_add_nc_u32_e32 v71, -1, v0
	v_add_nc_u32_e32 v72, 0x200, v75
	v_mov_b32_e32 v2, 0
	v_mov_b32_e32 v4, 0
	v_add_nc_u32_e32 v73, 16, v75
	s_mov_b32 s5, 0
	.p2align	6
.LBB31_133:                             ; =>This Inner Loop Header: Depth=1
	s_clause 0x3
	buffer_load_dword v80, v73, s[0:3], 0 offen offset:8
	buffer_load_dword v81, v73, s[0:3], 0 offen offset:12
	buffer_load_dword v82, v73, s[0:3], 0 offen
	buffer_load_dword v83, v73, s[0:3], 0 offen offset:4
	ds_read_b128 v[76:79], v72
	v_add_nc_u32_e32 v71, 1, v71
	v_add_nc_u32_e32 v72, 16, v72
	;; [unrolled: 1-line block ×3, first 2 shown]
	v_cmp_lt_u32_e32 vcc_lo, 28, v71
	s_or_b32 s5, vcc_lo, s5
	s_waitcnt vmcnt(2) lgkmcnt(0)
	v_mul_f64 v[84:85], v[78:79], v[80:81]
	v_mul_f64 v[80:81], v[76:77], v[80:81]
	s_waitcnt vmcnt(0)
	v_fma_f64 v[76:77], v[76:77], v[82:83], -v[84:85]
	v_fma_f64 v[78:79], v[78:79], v[82:83], v[80:81]
	v_add_f64 v[3:4], v[3:4], v[76:77]
	v_add_f64 v[1:2], v[1:2], v[78:79]
	s_andn2_b32 exec_lo, exec_lo, s5
	s_cbranch_execnz .LBB31_133
; %bb.134:
	s_or_b32 exec_lo, exec_lo, s5
	v_mov_b32_e32 v71, 0
	ds_read_b128 v[71:74], v71 offset:480
	s_waitcnt lgkmcnt(0)
	v_mul_f64 v[76:77], v[1:2], v[73:74]
	v_mul_f64 v[73:74], v[3:4], v[73:74]
	v_fma_f64 v[3:4], v[3:4], v[71:72], -v[76:77]
	v_fma_f64 v[1:2], v[1:2], v[71:72], v[73:74]
	buffer_store_dword v4, off, s[0:3], 0 offset:500
	buffer_store_dword v3, off, s[0:3], 0 offset:496
	;; [unrolled: 1-line block ×4, first 2 shown]
.LBB31_135:
	s_or_b32 exec_lo, exec_lo, s4
	v_mov_b32_e32 v4, s8
	s_waitcnt_vscnt null, 0x0
	s_barrier
	buffer_gl0_inv
	s_mov_b32 s4, exec_lo
	s_clause 0x3
	buffer_load_dword v1, v4, s[0:3], 0 offen
	buffer_load_dword v2, v4, s[0:3], 0 offen offset:4
	buffer_load_dword v3, v4, s[0:3], 0 offen offset:8
	;; [unrolled: 1-line block ×3, first 2 shown]
	s_waitcnt vmcnt(0)
	ds_write_b128 v69, v[1:4]
	s_waitcnt lgkmcnt(0)
	s_barrier
	buffer_gl0_inv
	v_cmpx_ne_u32_e32 31, v0
	s_cbranch_execz .LBB31_139
; %bb.136:
	v_mov_b32_e32 v1, 0
	v_mov_b32_e32 v3, 0
	;; [unrolled: 1-line block ×4, first 2 shown]
	v_add_nc_u32_e32 v71, 16, v75
	s_mov_b32 s5, 0
	.p2align	6
.LBB31_137:                             ; =>This Inner Loop Header: Depth=1
	s_clause 0x3
	buffer_load_dword v76, v71, s[0:3], 0 offen offset:8
	buffer_load_dword v77, v71, s[0:3], 0 offen offset:12
	buffer_load_dword v78, v71, s[0:3], 0 offen
	buffer_load_dword v79, v71, s[0:3], 0 offen offset:4
	ds_read_b128 v[72:75], v69
	v_add_nc_u32_e32 v70, 1, v70
	v_add_nc_u32_e32 v69, 16, v69
	;; [unrolled: 1-line block ×3, first 2 shown]
	v_cmp_lt_u32_e32 vcc_lo, 29, v70
	s_or_b32 s5, vcc_lo, s5
	s_waitcnt vmcnt(2) lgkmcnt(0)
	v_mul_f64 v[80:81], v[74:75], v[76:77]
	v_mul_f64 v[76:77], v[72:73], v[76:77]
	s_waitcnt vmcnt(0)
	v_fma_f64 v[72:73], v[72:73], v[78:79], -v[80:81]
	v_fma_f64 v[74:75], v[74:75], v[78:79], v[76:77]
	v_add_f64 v[3:4], v[3:4], v[72:73]
	v_add_f64 v[1:2], v[1:2], v[74:75]
	s_andn2_b32 exec_lo, exec_lo, s5
	s_cbranch_execnz .LBB31_137
; %bb.138:
	s_or_b32 exec_lo, exec_lo, s5
	v_mov_b32_e32 v69, 0
	ds_read_b128 v[69:72], v69 offset:496
	s_waitcnt lgkmcnt(0)
	v_mul_f64 v[73:74], v[1:2], v[71:72]
	v_mul_f64 v[71:72], v[3:4], v[71:72]
	v_fma_f64 v[3:4], v[3:4], v[69:70], -v[73:74]
	v_fma_f64 v[1:2], v[1:2], v[69:70], v[71:72]
	buffer_store_dword v4, off, s[0:3], 0 offset:516
	buffer_store_dword v3, off, s[0:3], 0 offset:512
	;; [unrolled: 1-line block ×4, first 2 shown]
.LBB31_139:
	s_or_b32 exec_lo, exec_lo, s4
	s_mov_b32 s5, -1
	s_waitcnt_vscnt null, 0x0
	s_barrier
	buffer_gl0_inv
.LBB31_140:
	s_and_b32 vcc_lo, exec_lo, s5
	s_cbranch_vccz .LBB31_142
; %bb.141:
	s_lshl_b64 s[4:5], s[6:7], 2
	v_mov_b32_e32 v1, 0
	s_add_u32 s4, s10, s4
	s_addc_u32 s5, s11, s5
	global_load_dword v1, v1, s[4:5]
	s_waitcnt vmcnt(0)
	v_cmp_ne_u32_e32 vcc_lo, 0, v1
	s_cbranch_vccz .LBB31_143
.LBB31_142:
	s_endpgm
.LBB31_143:
	v_lshl_add_u32 v75, v0, 4, 0x200
	s_mov_b32 s4, exec_lo
	v_cmpx_eq_u32_e32 31, v0
	s_cbranch_execz .LBB31_145
; %bb.144:
	v_mov_b32_e32 v4, s9
	v_mov_b32_e32 v69, 0
	s_clause 0x3
	buffer_load_dword v1, v4, s[0:3], 0 offen
	buffer_load_dword v2, v4, s[0:3], 0 offen offset:4
	buffer_load_dword v3, v4, s[0:3], 0 offen offset:8
	;; [unrolled: 1-line block ×3, first 2 shown]
	buffer_store_dword v69, off, s[0:3], 0 offset:496
	buffer_store_dword v69, off, s[0:3], 0 offset:500
	;; [unrolled: 1-line block ×4, first 2 shown]
	s_waitcnt vmcnt(0)
	ds_write_b128 v75, v[1:4]
.LBB31_145:
	s_or_b32 exec_lo, exec_lo, s4
	s_waitcnt lgkmcnt(0)
	s_waitcnt_vscnt null, 0x0
	s_barrier
	buffer_gl0_inv
	s_clause 0x7
	buffer_load_dword v2, off, s[0:3], 0 offset:520
	buffer_load_dword v3, off, s[0:3], 0 offset:524
	;; [unrolled: 1-line block ×8, first 2 shown]
	v_mov_b32_e32 v1, 0
	s_mov_b32 s4, exec_lo
	ds_read_b128 v[69:72], v1 offset:1008
	s_waitcnt vmcnt(6) lgkmcnt(0)
	v_mul_f64 v[80:81], v[71:72], v[2:3]
	v_mul_f64 v[2:3], v[69:70], v[2:3]
	s_waitcnt vmcnt(4)
	v_fma_f64 v[69:70], v[69:70], v[73:74], -v[80:81]
	v_fma_f64 v[2:3], v[71:72], v[73:74], v[2:3]
	v_add_f64 v[69:70], v[69:70], 0
	v_add_f64 v[2:3], v[2:3], 0
	s_waitcnt vmcnt(2)
	v_add_f64 v[69:70], v[76:77], -v[69:70]
	s_waitcnt vmcnt(0)
	v_add_f64 v[2:3], v[78:79], -v[2:3]
	buffer_store_dword v69, off, s[0:3], 0 offset:496
	buffer_store_dword v70, off, s[0:3], 0 offset:500
	;; [unrolled: 1-line block ×4, first 2 shown]
	v_cmpx_lt_u32_e32 29, v0
	s_cbranch_execz .LBB31_147
; %bb.146:
	v_mov_b32_e32 v2, s12
	s_clause 0x3
	buffer_load_dword v69, v2, s[0:3], 0 offen
	buffer_load_dword v70, v2, s[0:3], 0 offen offset:4
	buffer_load_dword v71, v2, s[0:3], 0 offen offset:8
	;; [unrolled: 1-line block ×3, first 2 shown]
	buffer_store_dword v1, off, s[0:3], 0 offset:480
	buffer_store_dword v1, off, s[0:3], 0 offset:484
	;; [unrolled: 1-line block ×4, first 2 shown]
	s_waitcnt vmcnt(0)
	ds_write_b128 v75, v[69:72]
.LBB31_147:
	s_or_b32 exec_lo, exec_lo, s4
	s_waitcnt lgkmcnt(0)
	s_waitcnt_vscnt null, 0x0
	s_barrier
	buffer_gl0_inv
	s_clause 0xb
	buffer_load_dword v73, off, s[0:3], 0 offset:504
	buffer_load_dword v74, off, s[0:3], 0 offset:508
	;; [unrolled: 1-line block ×12, first 2 shown]
	ds_read_b128 v[69:72], v1 offset:992
	ds_read_b128 v[1:4], v1 offset:1008
	s_mov_b32 s4, exec_lo
	s_waitcnt vmcnt(10) lgkmcnt(1)
	v_mul_f64 v[86:87], v[71:72], v[73:74]
	v_mul_f64 v[73:74], v[69:70], v[73:74]
	s_waitcnt vmcnt(8) lgkmcnt(0)
	v_mul_f64 v[88:89], v[3:4], v[76:77]
	v_mul_f64 v[76:77], v[1:2], v[76:77]
	s_waitcnt vmcnt(6)
	v_fma_f64 v[69:70], v[69:70], v[78:79], -v[86:87]
	v_fma_f64 v[71:72], v[71:72], v[78:79], v[73:74]
	s_waitcnt vmcnt(4)
	v_fma_f64 v[1:2], v[1:2], v[80:81], -v[88:89]
	v_fma_f64 v[3:4], v[3:4], v[80:81], v[76:77]
	v_add_f64 v[69:70], v[69:70], 0
	v_add_f64 v[71:72], v[71:72], 0
	;; [unrolled: 1-line block ×4, first 2 shown]
	s_waitcnt vmcnt(2)
	v_add_f64 v[1:2], v[82:83], -v[1:2]
	s_waitcnt vmcnt(0)
	v_add_f64 v[3:4], v[84:85], -v[3:4]
	buffer_store_dword v1, off, s[0:3], 0 offset:480
	buffer_store_dword v2, off, s[0:3], 0 offset:484
	;; [unrolled: 1-line block ×4, first 2 shown]
	v_cmpx_lt_u32_e32 28, v0
	s_cbranch_execz .LBB31_149
; %bb.148:
	v_mov_b32_e32 v4, s13
	v_mov_b32_e32 v69, 0
	s_clause 0x3
	buffer_load_dword v1, v4, s[0:3], 0 offen
	buffer_load_dword v2, v4, s[0:3], 0 offen offset:4
	buffer_load_dword v3, v4, s[0:3], 0 offen offset:8
	;; [unrolled: 1-line block ×3, first 2 shown]
	buffer_store_dword v69, off, s[0:3], 0 offset:464
	buffer_store_dword v69, off, s[0:3], 0 offset:468
	;; [unrolled: 1-line block ×4, first 2 shown]
	s_waitcnt vmcnt(0)
	ds_write_b128 v75, v[1:4]
.LBB31_149:
	s_or_b32 exec_lo, exec_lo, s4
	s_waitcnt lgkmcnt(0)
	s_waitcnt_vscnt null, 0x0
	s_barrier
	buffer_gl0_inv
	s_clause 0xf
	buffer_load_dword v2, off, s[0:3], 0 offset:488
	buffer_load_dword v3, off, s[0:3], 0 offset:492
	;; [unrolled: 1-line block ×16, first 2 shown]
	v_mov_b32_e32 v1, 0
	ds_read_b128 v[69:72], v1 offset:976
	ds_read_b128 v[76:79], v1 offset:992
	;; [unrolled: 1-line block ×3, first 2 shown]
	s_mov_b32 s4, exec_lo
	s_waitcnt vmcnt(14) lgkmcnt(2)
	v_mul_f64 v[96:97], v[71:72], v[2:3]
	v_mul_f64 v[2:3], v[69:70], v[2:3]
	s_waitcnt vmcnt(12) lgkmcnt(1)
	v_mul_f64 v[98:99], v[78:79], v[73:74]
	v_mul_f64 v[73:74], v[76:77], v[73:74]
	s_waitcnt vmcnt(10)
	v_fma_f64 v[69:70], v[69:70], v[84:85], -v[96:97]
	v_fma_f64 v[2:3], v[71:72], v[84:85], v[2:3]
	s_waitcnt vmcnt(8) lgkmcnt(0)
	v_mul_f64 v[84:85], v[82:83], v[86:87]
	s_waitcnt vmcnt(6)
	v_fma_f64 v[76:77], v[76:77], v[88:89], -v[98:99]
	v_mul_f64 v[71:72], v[80:81], v[86:87]
	v_fma_f64 v[73:74], v[78:79], v[88:89], v[73:74]
	v_add_f64 v[69:70], v[69:70], 0
	v_add_f64 v[2:3], v[2:3], 0
	s_waitcnt vmcnt(4)
	v_fma_f64 v[78:79], v[80:81], v[90:91], -v[84:85]
	v_fma_f64 v[71:72], v[82:83], v[90:91], v[71:72]
	v_add_f64 v[69:70], v[69:70], v[76:77]
	v_add_f64 v[2:3], v[2:3], v[73:74]
	;; [unrolled: 1-line block ×4, first 2 shown]
	s_waitcnt vmcnt(2)
	v_add_f64 v[69:70], v[92:93], -v[69:70]
	s_waitcnt vmcnt(0)
	v_add_f64 v[2:3], v[94:95], -v[2:3]
	buffer_store_dword v69, off, s[0:3], 0 offset:464
	buffer_store_dword v70, off, s[0:3], 0 offset:468
	;; [unrolled: 1-line block ×4, first 2 shown]
	v_cmpx_lt_u32_e32 27, v0
	s_cbranch_execz .LBB31_151
; %bb.150:
	v_mov_b32_e32 v2, s14
	s_clause 0x3
	buffer_load_dword v69, v2, s[0:3], 0 offen
	buffer_load_dword v70, v2, s[0:3], 0 offen offset:4
	buffer_load_dword v71, v2, s[0:3], 0 offen offset:8
	;; [unrolled: 1-line block ×3, first 2 shown]
	buffer_store_dword v1, off, s[0:3], 0 offset:448
	buffer_store_dword v1, off, s[0:3], 0 offset:452
	;; [unrolled: 1-line block ×4, first 2 shown]
	s_waitcnt vmcnt(0)
	ds_write_b128 v75, v[69:72]
.LBB31_151:
	s_or_b32 exec_lo, exec_lo, s4
	s_waitcnt lgkmcnt(0)
	s_waitcnt_vscnt null, 0x0
	s_barrier
	buffer_gl0_inv
	s_clause 0x13
	buffer_load_dword v2, off, s[0:3], 0 offset:472
	buffer_load_dword v3, off, s[0:3], 0 offset:476
	;; [unrolled: 1-line block ×20, first 2 shown]
	ds_read_b128 v[69:72], v1 offset:960
	ds_read_b128 v[76:79], v1 offset:976
	;; [unrolled: 1-line block ×3, first 2 shown]
	s_mov_b32 s4, exec_lo
	s_waitcnt vmcnt(18) lgkmcnt(2)
	v_mul_f64 v[100:101], v[71:72], v[2:3]
	v_mul_f64 v[2:3], v[69:70], v[2:3]
	s_waitcnt vmcnt(16) lgkmcnt(1)
	v_mul_f64 v[102:103], v[78:79], v[73:74]
	v_mul_f64 v[73:74], v[76:77], v[73:74]
	s_waitcnt vmcnt(14)
	v_fma_f64 v[69:70], v[69:70], v[84:85], -v[100:101]
	v_fma_f64 v[71:72], v[71:72], v[84:85], v[2:3]
	s_waitcnt vmcnt(12) lgkmcnt(0)
	v_mul_f64 v[84:85], v[80:81], v[86:87]
	v_mul_f64 v[86:87], v[82:83], v[86:87]
	s_waitcnt vmcnt(10)
	v_fma_f64 v[76:77], v[76:77], v[88:89], -v[102:103]
	ds_read_b128 v[1:4], v1 offset:1008
	v_fma_f64 v[73:74], v[78:79], v[88:89], v[73:74]
	v_add_f64 v[69:70], v[69:70], 0
	v_add_f64 v[71:72], v[71:72], 0
	s_waitcnt vmcnt(8) lgkmcnt(0)
	v_mul_f64 v[88:89], v[3:4], v[90:91]
	s_waitcnt vmcnt(6)
	v_fma_f64 v[80:81], v[80:81], v[92:93], -v[86:87]
	v_mul_f64 v[78:79], v[1:2], v[90:91]
	v_add_f64 v[69:70], v[69:70], v[76:77]
	v_fma_f64 v[76:77], v[82:83], v[92:93], v[84:85]
	v_add_f64 v[71:72], v[71:72], v[73:74]
	s_waitcnt vmcnt(4)
	v_fma_f64 v[1:2], v[1:2], v[94:95], -v[88:89]
	v_fma_f64 v[3:4], v[3:4], v[94:95], v[78:79]
	v_add_f64 v[69:70], v[69:70], v[80:81]
	v_add_f64 v[71:72], v[71:72], v[76:77]
	;; [unrolled: 1-line block ×4, first 2 shown]
	s_waitcnt vmcnt(2)
	v_add_f64 v[1:2], v[96:97], -v[1:2]
	s_waitcnt vmcnt(0)
	v_add_f64 v[3:4], v[98:99], -v[3:4]
	buffer_store_dword v1, off, s[0:3], 0 offset:448
	buffer_store_dword v2, off, s[0:3], 0 offset:452
	;; [unrolled: 1-line block ×4, first 2 shown]
	v_cmpx_lt_u32_e32 26, v0
	s_cbranch_execz .LBB31_153
; %bb.152:
	v_mov_b32_e32 v4, s15
	v_mov_b32_e32 v69, 0
	s_clause 0x3
	buffer_load_dword v1, v4, s[0:3], 0 offen
	buffer_load_dword v2, v4, s[0:3], 0 offen offset:4
	buffer_load_dword v3, v4, s[0:3], 0 offen offset:8
	;; [unrolled: 1-line block ×3, first 2 shown]
	buffer_store_dword v69, off, s[0:3], 0 offset:432
	buffer_store_dword v69, off, s[0:3], 0 offset:436
	;; [unrolled: 1-line block ×4, first 2 shown]
	s_waitcnt vmcnt(0)
	ds_write_b128 v75, v[1:4]
.LBB31_153:
	s_or_b32 exec_lo, exec_lo, s4
	s_waitcnt lgkmcnt(0)
	s_waitcnt_vscnt null, 0x0
	s_barrier
	buffer_gl0_inv
	s_clause 0x17
	buffer_load_dword v2, off, s[0:3], 0 offset:456
	buffer_load_dword v3, off, s[0:3], 0 offset:460
	buffer_load_dword v73, off, s[0:3], 0 offset:472
	buffer_load_dword v74, off, s[0:3], 0 offset:476
	buffer_load_dword v84, off, s[0:3], 0 offset:448
	buffer_load_dword v85, off, s[0:3], 0 offset:452
	buffer_load_dword v86, off, s[0:3], 0 offset:488
	buffer_load_dword v87, off, s[0:3], 0 offset:492
	buffer_load_dword v88, off, s[0:3], 0 offset:464
	buffer_load_dword v89, off, s[0:3], 0 offset:468
	buffer_load_dword v91, off, s[0:3], 0 offset:508
	buffer_load_dword v92, off, s[0:3], 0 offset:520
	buffer_load_dword v94, off, s[0:3], 0 offset:512
	buffer_load_dword v90, off, s[0:3], 0 offset:504
	buffer_load_dword v96, off, s[0:3], 0 offset:480
	buffer_load_dword v97, off, s[0:3], 0 offset:484
	buffer_load_dword v93, off, s[0:3], 0 offset:524
	buffer_load_dword v99, off, s[0:3], 0 offset:500
	buffer_load_dword v98, off, s[0:3], 0 offset:496
	buffer_load_dword v95, off, s[0:3], 0 offset:516
	buffer_load_dword v100, off, s[0:3], 0 offset:432
	buffer_load_dword v101, off, s[0:3], 0 offset:436
	buffer_load_dword v102, off, s[0:3], 0 offset:440
	buffer_load_dword v103, off, s[0:3], 0 offset:444
	v_mov_b32_e32 v1, 0
	ds_read_b128 v[69:72], v1 offset:944
	ds_read_b128 v[76:79], v1 offset:960
	ds_read_b128 v[80:83], v1 offset:976
	s_mov_b32 s4, exec_lo
	s_waitcnt vmcnt(22) lgkmcnt(2)
	v_mul_f64 v[104:105], v[71:72], v[2:3]
	v_mul_f64 v[2:3], v[69:70], v[2:3]
	s_waitcnt vmcnt(20) lgkmcnt(1)
	v_mul_f64 v[106:107], v[78:79], v[73:74]
	v_mul_f64 v[73:74], v[76:77], v[73:74]
	s_waitcnt vmcnt(18)
	v_fma_f64 v[104:105], v[69:70], v[84:85], -v[104:105]
	v_fma_f64 v[2:3], v[71:72], v[84:85], v[2:3]
	ds_read_b128 v[69:72], v1 offset:992
	s_waitcnt vmcnt(16) lgkmcnt(1)
	v_mul_f64 v[84:85], v[80:81], v[86:87]
	v_mul_f64 v[86:87], v[82:83], v[86:87]
	s_waitcnt vmcnt(14)
	v_fma_f64 v[106:107], v[76:77], v[88:89], -v[106:107]
	v_fma_f64 v[73:74], v[78:79], v[88:89], v[73:74]
	ds_read_b128 v[76:79], v1 offset:1008
	s_waitcnt vmcnt(10) lgkmcnt(1)
	v_mul_f64 v[88:89], v[69:70], v[90:91]
	v_add_f64 v[104:105], v[104:105], 0
	v_add_f64 v[2:3], v[2:3], 0
	v_mul_f64 v[90:91], v[71:72], v[90:91]
	s_waitcnt vmcnt(8)
	v_fma_f64 v[80:81], v[80:81], v[96:97], -v[86:87]
	v_fma_f64 v[82:83], v[82:83], v[96:97], v[84:85]
	s_waitcnt vmcnt(7) lgkmcnt(0)
	v_mul_f64 v[84:85], v[78:79], v[92:93]
	s_waitcnt vmcnt(5)
	v_fma_f64 v[71:72], v[71:72], v[98:99], v[88:89]
	v_add_f64 v[86:87], v[104:105], v[106:107]
	v_add_f64 v[2:3], v[2:3], v[73:74]
	v_fma_f64 v[69:70], v[69:70], v[98:99], -v[90:91]
	v_mul_f64 v[73:74], v[76:77], v[92:93]
	s_waitcnt vmcnt(4)
	v_fma_f64 v[76:77], v[76:77], v[94:95], -v[84:85]
	v_add_f64 v[80:81], v[86:87], v[80:81]
	v_add_f64 v[2:3], v[2:3], v[82:83]
	v_fma_f64 v[73:74], v[78:79], v[94:95], v[73:74]
	v_add_f64 v[69:70], v[80:81], v[69:70]
	v_add_f64 v[2:3], v[2:3], v[71:72]
	;; [unrolled: 1-line block ×4, first 2 shown]
	s_waitcnt vmcnt(2)
	v_add_f64 v[69:70], v[100:101], -v[69:70]
	s_waitcnt vmcnt(0)
	v_add_f64 v[2:3], v[102:103], -v[2:3]
	buffer_store_dword v70, off, s[0:3], 0 offset:436
	buffer_store_dword v69, off, s[0:3], 0 offset:432
	;; [unrolled: 1-line block ×4, first 2 shown]
	v_cmpx_lt_u32_e32 25, v0
	s_cbranch_execz .LBB31_155
; %bb.154:
	v_mov_b32_e32 v2, s16
	s_clause 0x3
	buffer_load_dword v69, v2, s[0:3], 0 offen
	buffer_load_dword v70, v2, s[0:3], 0 offen offset:4
	buffer_load_dword v71, v2, s[0:3], 0 offen offset:8
	buffer_load_dword v72, v2, s[0:3], 0 offen offset:12
	buffer_store_dword v1, off, s[0:3], 0 offset:416
	buffer_store_dword v1, off, s[0:3], 0 offset:420
	;; [unrolled: 1-line block ×4, first 2 shown]
	s_waitcnt vmcnt(0)
	ds_write_b128 v75, v[69:72]
.LBB31_155:
	s_or_b32 exec_lo, exec_lo, s4
	s_waitcnt lgkmcnt(0)
	s_waitcnt_vscnt null, 0x0
	s_barrier
	buffer_gl0_inv
	s_clause 0x1b
	buffer_load_dword v2, off, s[0:3], 0 offset:440
	buffer_load_dword v3, off, s[0:3], 0 offset:444
	;; [unrolled: 1-line block ×28, first 2 shown]
	ds_read_b128 v[69:72], v1 offset:928
	ds_read_b128 v[76:79], v1 offset:944
	;; [unrolled: 1-line block ×3, first 2 shown]
	s_mov_b32 s4, exec_lo
	s_waitcnt vmcnt(26) lgkmcnt(2)
	v_mul_f64 v[108:109], v[71:72], v[2:3]
	v_mul_f64 v[2:3], v[69:70], v[2:3]
	s_waitcnt vmcnt(24) lgkmcnt(1)
	v_mul_f64 v[110:111], v[78:79], v[73:74]
	v_mul_f64 v[73:74], v[76:77], v[73:74]
	s_waitcnt vmcnt(22)
	v_fma_f64 v[108:109], v[69:70], v[84:85], -v[108:109]
	v_fma_f64 v[2:3], v[71:72], v[84:85], v[2:3]
	ds_read_b128 v[69:72], v1 offset:976
	s_waitcnt vmcnt(20) lgkmcnt(1)
	v_mul_f64 v[84:85], v[80:81], v[86:87]
	v_mul_f64 v[86:87], v[82:83], v[86:87]
	s_waitcnt vmcnt(18)
	v_fma_f64 v[110:111], v[76:77], v[88:89], -v[110:111]
	v_fma_f64 v[73:74], v[78:79], v[88:89], v[73:74]
	ds_read_b128 v[76:79], v1 offset:992
	s_waitcnt vmcnt(14) lgkmcnt(1)
	v_mul_f64 v[88:89], v[69:70], v[90:91]
	v_add_f64 v[108:109], v[108:109], 0
	v_add_f64 v[2:3], v[2:3], 0
	v_mul_f64 v[90:91], v[71:72], v[90:91]
	s_waitcnt vmcnt(12)
	v_fma_f64 v[80:81], v[80:81], v[96:97], -v[86:87]
	v_fma_f64 v[82:83], v[82:83], v[96:97], v[84:85]
	s_waitcnt vmcnt(11) lgkmcnt(0)
	v_mul_f64 v[84:85], v[76:77], v[92:93]
	v_mul_f64 v[92:93], v[78:79], v[92:93]
	s_waitcnt vmcnt(9)
	v_fma_f64 v[71:72], v[71:72], v[98:99], v[88:89]
	v_add_f64 v[86:87], v[108:109], v[110:111]
	v_add_f64 v[73:74], v[2:3], v[73:74]
	v_fma_f64 v[69:70], v[69:70], v[98:99], -v[90:91]
	ds_read_b128 v[1:4], v1 offset:1008
	s_waitcnt vmcnt(6)
	v_fma_f64 v[78:79], v[78:79], v[94:95], v[84:85]
	v_fma_f64 v[76:77], v[76:77], v[94:95], -v[92:93]
	v_add_f64 v[80:81], v[86:87], v[80:81]
	v_add_f64 v[73:74], v[73:74], v[82:83]
	s_waitcnt lgkmcnt(0)
	v_mul_f64 v[86:87], v[3:4], v[100:101]
	v_mul_f64 v[82:83], v[1:2], v[100:101]
	v_add_f64 v[69:70], v[80:81], v[69:70]
	v_add_f64 v[71:72], v[73:74], v[71:72]
	s_waitcnt vmcnt(4)
	v_fma_f64 v[1:2], v[1:2], v[102:103], -v[86:87]
	v_fma_f64 v[3:4], v[3:4], v[102:103], v[82:83]
	v_add_f64 v[69:70], v[69:70], v[76:77]
	v_add_f64 v[71:72], v[71:72], v[78:79]
	;; [unrolled: 1-line block ×4, first 2 shown]
	s_waitcnt vmcnt(2)
	v_add_f64 v[1:2], v[104:105], -v[1:2]
	s_waitcnt vmcnt(0)
	v_add_f64 v[3:4], v[106:107], -v[3:4]
	buffer_store_dword v2, off, s[0:3], 0 offset:420
	buffer_store_dword v1, off, s[0:3], 0 offset:416
	;; [unrolled: 1-line block ×4, first 2 shown]
	v_cmpx_lt_u32_e32 24, v0
	s_cbranch_execz .LBB31_157
; %bb.156:
	v_mov_b32_e32 v4, s17
	v_mov_b32_e32 v69, 0
	s_clause 0x3
	buffer_load_dword v1, v4, s[0:3], 0 offen
	buffer_load_dword v2, v4, s[0:3], 0 offen offset:4
	buffer_load_dword v3, v4, s[0:3], 0 offen offset:8
	;; [unrolled: 1-line block ×3, first 2 shown]
	buffer_store_dword v69, off, s[0:3], 0 offset:400
	buffer_store_dword v69, off, s[0:3], 0 offset:404
	;; [unrolled: 1-line block ×4, first 2 shown]
	s_waitcnt vmcnt(0)
	ds_write_b128 v75, v[1:4]
.LBB31_157:
	s_or_b32 exec_lo, exec_lo, s4
	s_waitcnt lgkmcnt(0)
	s_waitcnt_vscnt null, 0x0
	s_barrier
	buffer_gl0_inv
	s_clause 0x1f
	buffer_load_dword v2, off, s[0:3], 0 offset:424
	buffer_load_dword v3, off, s[0:3], 0 offset:428
	;; [unrolled: 1-line block ×32, first 2 shown]
	v_mov_b32_e32 v1, 0
	ds_read_b128 v[69:72], v1 offset:912
	ds_read_b128 v[76:79], v1 offset:928
	;; [unrolled: 1-line block ×3, first 2 shown]
	s_mov_b32 s4, exec_lo
	s_waitcnt vmcnt(30) lgkmcnt(2)
	v_mul_f64 v[112:113], v[71:72], v[2:3]
	v_mul_f64 v[2:3], v[69:70], v[2:3]
	s_waitcnt vmcnt(28) lgkmcnt(1)
	v_mul_f64 v[114:115], v[78:79], v[73:74]
	v_mul_f64 v[73:74], v[76:77], v[73:74]
	s_waitcnt vmcnt(26)
	v_fma_f64 v[112:113], v[69:70], v[84:85], -v[112:113]
	v_fma_f64 v[2:3], v[71:72], v[84:85], v[2:3]
	ds_read_b128 v[69:72], v1 offset:960
	s_waitcnt vmcnt(24) lgkmcnt(1)
	v_mul_f64 v[84:85], v[80:81], v[86:87]
	v_mul_f64 v[86:87], v[82:83], v[86:87]
	s_waitcnt vmcnt(22)
	v_fma_f64 v[114:115], v[76:77], v[88:89], -v[114:115]
	v_fma_f64 v[73:74], v[78:79], v[88:89], v[73:74]
	ds_read_b128 v[76:79], v1 offset:976
	s_waitcnt vmcnt(18) lgkmcnt(1)
	v_mul_f64 v[88:89], v[69:70], v[90:91]
	v_add_f64 v[112:113], v[112:113], 0
	v_add_f64 v[2:3], v[2:3], 0
	v_mul_f64 v[90:91], v[71:72], v[90:91]
	s_waitcnt vmcnt(16)
	v_fma_f64 v[86:87], v[80:81], v[96:97], -v[86:87]
	v_fma_f64 v[84:85], v[82:83], v[96:97], v[84:85]
	ds_read_b128 v[80:83], v1 offset:992
	s_waitcnt vmcnt(13)
	v_fma_f64 v[88:89], v[71:72], v[98:99], v[88:89]
	v_add_f64 v[112:113], v[112:113], v[114:115]
	v_add_f64 v[2:3], v[2:3], v[73:74]
	s_waitcnt lgkmcnt(1)
	v_mul_f64 v[73:74], v[76:77], v[92:93]
	v_mul_f64 v[92:93], v[78:79], v[92:93]
	v_fma_f64 v[90:91], v[69:70], v[98:99], -v[90:91]
	s_waitcnt vmcnt(9) lgkmcnt(0)
	v_mul_f64 v[96:97], v[82:83], v[100:101]
	ds_read_b128 v[69:72], v1 offset:1008
	v_add_f64 v[86:87], v[112:113], v[86:87]
	v_add_f64 v[2:3], v[2:3], v[84:85]
	v_mul_f64 v[84:85], v[80:81], v[100:101]
	s_waitcnt vmcnt(8)
	v_fma_f64 v[76:77], v[76:77], v[94:95], -v[92:93]
	v_fma_f64 v[73:74], v[78:79], v[94:95], v[73:74]
	s_waitcnt vmcnt(5)
	v_fma_f64 v[80:81], v[80:81], v[106:107], -v[96:97]
	s_waitcnt lgkmcnt(0)
	v_mul_f64 v[78:79], v[69:70], v[102:103]
	v_add_f64 v[86:87], v[86:87], v[90:91]
	v_add_f64 v[2:3], v[2:3], v[88:89]
	v_mul_f64 v[88:89], v[71:72], v[102:103]
	v_fma_f64 v[82:83], v[82:83], v[106:107], v[84:85]
	s_waitcnt vmcnt(4)
	v_fma_f64 v[71:72], v[71:72], v[104:105], v[78:79]
	v_add_f64 v[76:77], v[86:87], v[76:77]
	v_add_f64 v[2:3], v[2:3], v[73:74]
	v_fma_f64 v[69:70], v[69:70], v[104:105], -v[88:89]
	v_add_f64 v[73:74], v[76:77], v[80:81]
	v_add_f64 v[2:3], v[2:3], v[82:83]
	v_add_f64 v[69:70], v[73:74], v[69:70]
	v_add_f64 v[2:3], v[2:3], v[71:72]
	s_waitcnt vmcnt(2)
	v_add_f64 v[69:70], v[108:109], -v[69:70]
	s_waitcnt vmcnt(0)
	v_add_f64 v[2:3], v[110:111], -v[2:3]
	buffer_store_dword v70, off, s[0:3], 0 offset:404
	buffer_store_dword v69, off, s[0:3], 0 offset:400
	;; [unrolled: 1-line block ×4, first 2 shown]
	v_cmpx_lt_u32_e32 23, v0
	s_cbranch_execz .LBB31_159
; %bb.158:
	v_mov_b32_e32 v2, s18
	s_clause 0x3
	buffer_load_dword v69, v2, s[0:3], 0 offen
	buffer_load_dword v70, v2, s[0:3], 0 offen offset:4
	buffer_load_dword v71, v2, s[0:3], 0 offen offset:8
	;; [unrolled: 1-line block ×3, first 2 shown]
	buffer_store_dword v1, off, s[0:3], 0 offset:384
	buffer_store_dword v1, off, s[0:3], 0 offset:388
	;; [unrolled: 1-line block ×4, first 2 shown]
	s_waitcnt vmcnt(0)
	ds_write_b128 v75, v[69:72]
.LBB31_159:
	s_or_b32 exec_lo, exec_lo, s4
	s_waitcnt lgkmcnt(0)
	s_waitcnt_vscnt null, 0x0
	s_barrier
	buffer_gl0_inv
	s_clause 0x23
	buffer_load_dword v2, off, s[0:3], 0 offset:408
	buffer_load_dword v3, off, s[0:3], 0 offset:412
	;; [unrolled: 1-line block ×36, first 2 shown]
	ds_read_b128 v[69:72], v1 offset:896
	ds_read_b128 v[76:79], v1 offset:912
	;; [unrolled: 1-line block ×3, first 2 shown]
	s_mov_b32 s4, exec_lo
	s_waitcnt vmcnt(34) lgkmcnt(2)
	v_mul_f64 v[116:117], v[71:72], v[2:3]
	v_mul_f64 v[2:3], v[69:70], v[2:3]
	s_waitcnt vmcnt(32) lgkmcnt(1)
	v_mul_f64 v[118:119], v[78:79], v[73:74]
	v_mul_f64 v[73:74], v[76:77], v[73:74]
	s_waitcnt vmcnt(30)
	v_fma_f64 v[116:117], v[69:70], v[84:85], -v[116:117]
	v_fma_f64 v[2:3], v[71:72], v[84:85], v[2:3]
	ds_read_b128 v[69:72], v1 offset:944
	s_waitcnt vmcnt(28) lgkmcnt(1)
	v_mul_f64 v[84:85], v[80:81], v[86:87]
	v_mul_f64 v[86:87], v[82:83], v[86:87]
	s_waitcnt vmcnt(26)
	v_fma_f64 v[118:119], v[76:77], v[88:89], -v[118:119]
	v_fma_f64 v[73:74], v[78:79], v[88:89], v[73:74]
	ds_read_b128 v[76:79], v1 offset:960
	s_waitcnt vmcnt(22) lgkmcnt(1)
	v_mul_f64 v[88:89], v[69:70], v[90:91]
	v_add_f64 v[116:117], v[116:117], 0
	v_add_f64 v[2:3], v[2:3], 0
	v_mul_f64 v[90:91], v[71:72], v[90:91]
	s_waitcnt vmcnt(20)
	v_fma_f64 v[86:87], v[80:81], v[96:97], -v[86:87]
	v_fma_f64 v[84:85], v[82:83], v[96:97], v[84:85]
	ds_read_b128 v[80:83], v1 offset:976
	s_waitcnt vmcnt(17)
	v_fma_f64 v[88:89], v[71:72], v[98:99], v[88:89]
	v_add_f64 v[116:117], v[116:117], v[118:119]
	v_add_f64 v[2:3], v[2:3], v[73:74]
	s_waitcnt lgkmcnt(1)
	v_mul_f64 v[73:74], v[76:77], v[92:93]
	v_mul_f64 v[92:93], v[78:79], v[92:93]
	v_fma_f64 v[90:91], v[69:70], v[98:99], -v[90:91]
	s_waitcnt vmcnt(13) lgkmcnt(0)
	v_mul_f64 v[96:97], v[82:83], v[100:101]
	ds_read_b128 v[69:72], v1 offset:992
	v_add_f64 v[86:87], v[116:117], v[86:87]
	v_add_f64 v[2:3], v[2:3], v[84:85]
	v_mul_f64 v[84:85], v[80:81], v[100:101]
	s_waitcnt vmcnt(12)
	v_fma_f64 v[76:77], v[76:77], v[94:95], -v[92:93]
	v_fma_f64 v[73:74], v[78:79], v[94:95], v[73:74]
	s_waitcnt vmcnt(9)
	v_fma_f64 v[80:81], v[80:81], v[106:107], -v[96:97]
	v_add_f64 v[86:87], v[86:87], v[90:91]
	v_add_f64 v[78:79], v[2:3], v[88:89]
	s_waitcnt lgkmcnt(0)
	v_mul_f64 v[90:91], v[71:72], v[102:103]
	ds_read_b128 v[1:4], v1 offset:1008
	v_mul_f64 v[88:89], v[69:70], v[102:103]
	v_fma_f64 v[82:83], v[82:83], v[106:107], v[84:85]
	v_add_f64 v[76:77], v[86:87], v[76:77]
	v_add_f64 v[73:74], v[78:79], v[73:74]
	s_waitcnt vmcnt(7) lgkmcnt(0)
	v_mul_f64 v[84:85], v[3:4], v[108:109]
	s_waitcnt vmcnt(6)
	v_fma_f64 v[69:70], v[69:70], v[104:105], -v[90:91]
	v_mul_f64 v[78:79], v[1:2], v[108:109]
	v_fma_f64 v[71:72], v[71:72], v[104:105], v[88:89]
	v_add_f64 v[76:77], v[76:77], v[80:81]
	v_add_f64 v[73:74], v[73:74], v[82:83]
	s_waitcnt vmcnt(4)
	v_fma_f64 v[1:2], v[1:2], v[110:111], -v[84:85]
	v_fma_f64 v[3:4], v[3:4], v[110:111], v[78:79]
	v_add_f64 v[69:70], v[76:77], v[69:70]
	v_add_f64 v[71:72], v[73:74], v[71:72]
	;; [unrolled: 1-line block ×4, first 2 shown]
	s_waitcnt vmcnt(2)
	v_add_f64 v[1:2], v[112:113], -v[1:2]
	s_waitcnt vmcnt(0)
	v_add_f64 v[3:4], v[114:115], -v[3:4]
	buffer_store_dword v2, off, s[0:3], 0 offset:388
	buffer_store_dword v1, off, s[0:3], 0 offset:384
	;; [unrolled: 1-line block ×4, first 2 shown]
	v_cmpx_lt_u32_e32 22, v0
	s_cbranch_execz .LBB31_161
; %bb.160:
	v_mov_b32_e32 v4, s19
	v_mov_b32_e32 v69, 0
	s_clause 0x3
	buffer_load_dword v1, v4, s[0:3], 0 offen
	buffer_load_dword v2, v4, s[0:3], 0 offen offset:4
	buffer_load_dword v3, v4, s[0:3], 0 offen offset:8
	;; [unrolled: 1-line block ×3, first 2 shown]
	buffer_store_dword v69, off, s[0:3], 0 offset:368
	buffer_store_dword v69, off, s[0:3], 0 offset:372
	;; [unrolled: 1-line block ×4, first 2 shown]
	s_waitcnt vmcnt(0)
	ds_write_b128 v75, v[1:4]
.LBB31_161:
	s_or_b32 exec_lo, exec_lo, s4
	s_waitcnt lgkmcnt(0)
	s_waitcnt_vscnt null, 0x0
	s_barrier
	buffer_gl0_inv
	s_clause 0x27
	buffer_load_dword v2, off, s[0:3], 0 offset:392
	buffer_load_dword v3, off, s[0:3], 0 offset:396
	;; [unrolled: 1-line block ×40, first 2 shown]
	v_mov_b32_e32 v1, 0
	ds_read_b128 v[69:72], v1 offset:880
	ds_read_b128 v[76:79], v1 offset:896
	;; [unrolled: 1-line block ×3, first 2 shown]
	s_mov_b32 s4, exec_lo
	s_waitcnt vmcnt(38) lgkmcnt(2)
	v_mul_f64 v[120:121], v[71:72], v[2:3]
	v_mul_f64 v[2:3], v[69:70], v[2:3]
	s_waitcnt vmcnt(36) lgkmcnt(1)
	v_mul_f64 v[122:123], v[78:79], v[73:74]
	v_mul_f64 v[73:74], v[76:77], v[73:74]
	s_waitcnt vmcnt(34)
	v_fma_f64 v[120:121], v[69:70], v[84:85], -v[120:121]
	v_fma_f64 v[2:3], v[71:72], v[84:85], v[2:3]
	ds_read_b128 v[69:72], v1 offset:928
	s_waitcnt vmcnt(32) lgkmcnt(1)
	v_mul_f64 v[84:85], v[80:81], v[86:87]
	v_mul_f64 v[86:87], v[82:83], v[86:87]
	s_waitcnt vmcnt(30)
	v_fma_f64 v[122:123], v[76:77], v[88:89], -v[122:123]
	v_fma_f64 v[73:74], v[78:79], v[88:89], v[73:74]
	ds_read_b128 v[76:79], v1 offset:944
	s_waitcnt vmcnt(26) lgkmcnt(1)
	v_mul_f64 v[88:89], v[69:70], v[90:91]
	v_add_f64 v[120:121], v[120:121], 0
	v_add_f64 v[2:3], v[2:3], 0
	v_mul_f64 v[90:91], v[71:72], v[90:91]
	s_waitcnt vmcnt(24)
	v_fma_f64 v[86:87], v[80:81], v[96:97], -v[86:87]
	v_fma_f64 v[84:85], v[82:83], v[96:97], v[84:85]
	ds_read_b128 v[80:83], v1 offset:960
	s_waitcnt vmcnt(21)
	v_fma_f64 v[88:89], v[71:72], v[98:99], v[88:89]
	v_add_f64 v[120:121], v[120:121], v[122:123]
	v_add_f64 v[2:3], v[2:3], v[73:74]
	s_waitcnt lgkmcnt(1)
	v_mul_f64 v[73:74], v[76:77], v[92:93]
	v_mul_f64 v[92:93], v[78:79], v[92:93]
	v_fma_f64 v[90:91], v[69:70], v[98:99], -v[90:91]
	s_waitcnt vmcnt(17) lgkmcnt(0)
	v_mul_f64 v[96:97], v[82:83], v[100:101]
	ds_read_b128 v[69:72], v1 offset:976
	v_add_f64 v[86:87], v[120:121], v[86:87]
	v_add_f64 v[2:3], v[2:3], v[84:85]
	v_mul_f64 v[84:85], v[80:81], v[100:101]
	s_waitcnt vmcnt(16)
	v_fma_f64 v[92:93], v[76:77], v[94:95], -v[92:93]
	v_fma_f64 v[73:74], v[78:79], v[94:95], v[73:74]
	ds_read_b128 v[76:79], v1 offset:992
	s_waitcnt vmcnt(13)
	v_fma_f64 v[94:95], v[80:81], v[106:107], -v[96:97]
	v_add_f64 v[86:87], v[86:87], v[90:91]
	v_add_f64 v[2:3], v[2:3], v[88:89]
	s_waitcnt lgkmcnt(1)
	v_mul_f64 v[90:91], v[71:72], v[102:103]
	v_mul_f64 v[88:89], v[69:70], v[102:103]
	v_fma_f64 v[84:85], v[82:83], v[106:107], v[84:85]
	ds_read_b128 v[80:83], v1 offset:1008
	v_add_f64 v[86:87], v[86:87], v[92:93]
	v_add_f64 v[2:3], v[2:3], v[73:74]
	s_waitcnt vmcnt(9) lgkmcnt(1)
	v_mul_f64 v[92:93], v[78:79], v[108:109]
	s_waitcnt vmcnt(8)
	v_fma_f64 v[69:70], v[69:70], v[104:105], -v[90:91]
	v_mul_f64 v[73:74], v[76:77], v[108:109]
	v_fma_f64 v[71:72], v[71:72], v[104:105], v[88:89]
	s_waitcnt vmcnt(7) lgkmcnt(0)
	v_mul_f64 v[88:89], v[82:83], v[110:111]
	v_add_f64 v[86:87], v[86:87], v[94:95]
	v_add_f64 v[2:3], v[2:3], v[84:85]
	s_waitcnt vmcnt(5)
	v_fma_f64 v[76:77], v[76:77], v[114:115], -v[92:93]
	v_mul_f64 v[84:85], v[80:81], v[110:111]
	v_fma_f64 v[73:74], v[78:79], v[114:115], v[73:74]
	v_add_f64 v[69:70], v[86:87], v[69:70]
	v_add_f64 v[2:3], v[2:3], v[71:72]
	s_waitcnt vmcnt(4)
	v_fma_f64 v[71:72], v[80:81], v[112:113], -v[88:89]
	v_add_f64 v[69:70], v[69:70], v[76:77]
	v_fma_f64 v[76:77], v[82:83], v[112:113], v[84:85]
	v_add_f64 v[2:3], v[2:3], v[73:74]
	v_add_f64 v[69:70], v[69:70], v[71:72]
	;; [unrolled: 1-line block ×3, first 2 shown]
	s_waitcnt vmcnt(2)
	v_add_f64 v[69:70], v[116:117], -v[69:70]
	s_waitcnt vmcnt(0)
	v_add_f64 v[2:3], v[118:119], -v[2:3]
	buffer_store_dword v70, off, s[0:3], 0 offset:372
	buffer_store_dword v69, off, s[0:3], 0 offset:368
	;; [unrolled: 1-line block ×4, first 2 shown]
	v_cmpx_lt_u32_e32 21, v0
	s_cbranch_execz .LBB31_163
; %bb.162:
	v_mov_b32_e32 v2, s22
	s_clause 0x3
	buffer_load_dword v69, v2, s[0:3], 0 offen
	buffer_load_dword v70, v2, s[0:3], 0 offen offset:4
	buffer_load_dword v71, v2, s[0:3], 0 offen offset:8
	;; [unrolled: 1-line block ×3, first 2 shown]
	buffer_store_dword v1, off, s[0:3], 0 offset:352
	buffer_store_dword v1, off, s[0:3], 0 offset:356
	;; [unrolled: 1-line block ×4, first 2 shown]
	s_waitcnt vmcnt(0)
	ds_write_b128 v75, v[69:72]
.LBB31_163:
	s_or_b32 exec_lo, exec_lo, s4
	s_waitcnt lgkmcnt(0)
	s_waitcnt_vscnt null, 0x0
	s_barrier
	buffer_gl0_inv
	s_clause 0x2b
	buffer_load_dword v2, off, s[0:3], 0 offset:376
	buffer_load_dword v3, off, s[0:3], 0 offset:380
	;; [unrolled: 1-line block ×44, first 2 shown]
	ds_read_b128 v[69:72], v1 offset:864
	ds_read_b128 v[76:79], v1 offset:880
	;; [unrolled: 1-line block ×3, first 2 shown]
	s_mov_b32 s4, exec_lo
	s_waitcnt vmcnt(42) lgkmcnt(2)
	v_mul_f64 v[124:125], v[71:72], v[2:3]
	v_mul_f64 v[2:3], v[69:70], v[2:3]
	s_waitcnt vmcnt(40) lgkmcnt(1)
	v_mul_f64 v[126:127], v[78:79], v[73:74]
	v_mul_f64 v[73:74], v[76:77], v[73:74]
	s_waitcnt vmcnt(38)
	v_fma_f64 v[124:125], v[69:70], v[84:85], -v[124:125]
	v_fma_f64 v[2:3], v[71:72], v[84:85], v[2:3]
	ds_read_b128 v[69:72], v1 offset:912
	s_waitcnt vmcnt(36) lgkmcnt(1)
	v_mul_f64 v[84:85], v[80:81], v[86:87]
	v_mul_f64 v[86:87], v[82:83], v[86:87]
	s_waitcnt vmcnt(34)
	v_fma_f64 v[126:127], v[76:77], v[88:89], -v[126:127]
	v_fma_f64 v[73:74], v[78:79], v[88:89], v[73:74]
	ds_read_b128 v[76:79], v1 offset:928
	s_waitcnt vmcnt(30) lgkmcnt(1)
	v_mul_f64 v[88:89], v[69:70], v[90:91]
	v_add_f64 v[124:125], v[124:125], 0
	v_add_f64 v[2:3], v[2:3], 0
	v_mul_f64 v[90:91], v[71:72], v[90:91]
	s_waitcnt vmcnt(28)
	v_fma_f64 v[86:87], v[80:81], v[96:97], -v[86:87]
	v_fma_f64 v[84:85], v[82:83], v[96:97], v[84:85]
	ds_read_b128 v[80:83], v1 offset:944
	s_waitcnt vmcnt(25)
	v_fma_f64 v[88:89], v[71:72], v[98:99], v[88:89]
	v_add_f64 v[124:125], v[124:125], v[126:127]
	v_add_f64 v[2:3], v[2:3], v[73:74]
	s_waitcnt lgkmcnt(1)
	v_mul_f64 v[73:74], v[76:77], v[92:93]
	v_mul_f64 v[92:93], v[78:79], v[92:93]
	v_fma_f64 v[90:91], v[69:70], v[98:99], -v[90:91]
	s_waitcnt vmcnt(21) lgkmcnt(0)
	v_mul_f64 v[96:97], v[82:83], v[100:101]
	ds_read_b128 v[69:72], v1 offset:960
	v_add_f64 v[86:87], v[124:125], v[86:87]
	v_add_f64 v[2:3], v[2:3], v[84:85]
	v_mul_f64 v[84:85], v[80:81], v[100:101]
	s_waitcnt vmcnt(20)
	v_fma_f64 v[92:93], v[76:77], v[94:95], -v[92:93]
	v_fma_f64 v[73:74], v[78:79], v[94:95], v[73:74]
	ds_read_b128 v[76:79], v1 offset:976
	s_waitcnt vmcnt(17)
	v_fma_f64 v[94:95], v[80:81], v[106:107], -v[96:97]
	v_add_f64 v[86:87], v[86:87], v[90:91]
	v_add_f64 v[2:3], v[2:3], v[88:89]
	s_waitcnt lgkmcnt(1)
	v_mul_f64 v[90:91], v[71:72], v[102:103]
	v_mul_f64 v[88:89], v[69:70], v[102:103]
	v_fma_f64 v[84:85], v[82:83], v[106:107], v[84:85]
	ds_read_b128 v[80:83], v1 offset:992
	v_add_f64 v[86:87], v[86:87], v[92:93]
	v_add_f64 v[2:3], v[2:3], v[73:74]
	s_waitcnt vmcnt(13) lgkmcnt(1)
	v_mul_f64 v[92:93], v[78:79], v[108:109]
	s_waitcnt vmcnt(12)
	v_fma_f64 v[69:70], v[69:70], v[104:105], -v[90:91]
	v_mul_f64 v[73:74], v[76:77], v[108:109]
	v_fma_f64 v[71:72], v[71:72], v[104:105], v[88:89]
	s_waitcnt vmcnt(11) lgkmcnt(0)
	v_mul_f64 v[90:91], v[82:83], v[110:111]
	v_mul_f64 v[88:89], v[80:81], v[110:111]
	v_add_f64 v[86:87], v[86:87], v[94:95]
	v_add_f64 v[84:85], v[2:3], v[84:85]
	s_waitcnt vmcnt(9)
	v_fma_f64 v[76:77], v[76:77], v[114:115], -v[92:93]
	ds_read_b128 v[1:4], v1 offset:1008
	v_fma_f64 v[73:74], v[78:79], v[114:115], v[73:74]
	s_waitcnt vmcnt(6)
	v_fma_f64 v[80:81], v[80:81], v[112:113], -v[90:91]
	v_add_f64 v[69:70], v[86:87], v[69:70]
	v_add_f64 v[71:72], v[84:85], v[71:72]
	s_waitcnt lgkmcnt(0)
	v_mul_f64 v[84:85], v[3:4], v[116:117]
	v_mul_f64 v[78:79], v[1:2], v[116:117]
	v_add_f64 v[69:70], v[69:70], v[76:77]
	v_fma_f64 v[76:77], v[82:83], v[112:113], v[88:89]
	v_add_f64 v[71:72], v[71:72], v[73:74]
	s_waitcnt vmcnt(4)
	v_fma_f64 v[1:2], v[1:2], v[118:119], -v[84:85]
	v_fma_f64 v[3:4], v[3:4], v[118:119], v[78:79]
	v_add_f64 v[69:70], v[69:70], v[80:81]
	v_add_f64 v[71:72], v[71:72], v[76:77]
	v_add_f64 v[1:2], v[69:70], v[1:2]
	v_add_f64 v[3:4], v[71:72], v[3:4]
	s_waitcnt vmcnt(2)
	v_add_f64 v[1:2], v[120:121], -v[1:2]
	s_waitcnt vmcnt(0)
	v_add_f64 v[3:4], v[122:123], -v[3:4]
	buffer_store_dword v2, off, s[0:3], 0 offset:356
	buffer_store_dword v1, off, s[0:3], 0 offset:352
	buffer_store_dword v4, off, s[0:3], 0 offset:364
	buffer_store_dword v3, off, s[0:3], 0 offset:360
	v_cmpx_lt_u32_e32 20, v0
	s_cbranch_execz .LBB31_165
; %bb.164:
	v_mov_b32_e32 v4, s23
	v_mov_b32_e32 v69, 0
	s_clause 0x3
	buffer_load_dword v1, v4, s[0:3], 0 offen
	buffer_load_dword v2, v4, s[0:3], 0 offen offset:4
	buffer_load_dword v3, v4, s[0:3], 0 offen offset:8
	;; [unrolled: 1-line block ×3, first 2 shown]
	buffer_store_dword v69, off, s[0:3], 0 offset:336
	buffer_store_dword v69, off, s[0:3], 0 offset:340
	;; [unrolled: 1-line block ×4, first 2 shown]
	s_waitcnt vmcnt(0)
	ds_write_b128 v75, v[1:4]
.LBB31_165:
	s_or_b32 exec_lo, exec_lo, s4
	s_waitcnt lgkmcnt(0)
	s_waitcnt_vscnt null, 0x0
	s_barrier
	buffer_gl0_inv
	s_clause 0x2f
	buffer_load_dword v2, off, s[0:3], 0 offset:360
	buffer_load_dword v3, off, s[0:3], 0 offset:364
	;; [unrolled: 1-line block ×48, first 2 shown]
	v_mov_b32_e32 v1, 0
	ds_read_b128 v[69:72], v1 offset:848
	ds_read_b128 v[76:79], v1 offset:864
	;; [unrolled: 1-line block ×3, first 2 shown]
	s_mov_b32 s4, exec_lo
	s_waitcnt vmcnt(46) lgkmcnt(2)
	v_mul_f64 v[128:129], v[71:72], v[2:3]
	v_mul_f64 v[2:3], v[69:70], v[2:3]
	s_waitcnt vmcnt(44) lgkmcnt(1)
	v_mul_f64 v[130:131], v[78:79], v[73:74]
	v_mul_f64 v[73:74], v[76:77], v[73:74]
	s_waitcnt vmcnt(42)
	v_fma_f64 v[128:129], v[69:70], v[84:85], -v[128:129]
	v_fma_f64 v[2:3], v[71:72], v[84:85], v[2:3]
	ds_read_b128 v[69:72], v1 offset:896
	s_waitcnt vmcnt(40) lgkmcnt(1)
	v_mul_f64 v[84:85], v[80:81], v[86:87]
	v_mul_f64 v[86:87], v[82:83], v[86:87]
	s_waitcnt vmcnt(38)
	v_fma_f64 v[130:131], v[76:77], v[88:89], -v[130:131]
	v_fma_f64 v[73:74], v[78:79], v[88:89], v[73:74]
	ds_read_b128 v[76:79], v1 offset:912
	s_waitcnt vmcnt(34) lgkmcnt(1)
	v_mul_f64 v[88:89], v[69:70], v[90:91]
	v_add_f64 v[128:129], v[128:129], 0
	v_add_f64 v[2:3], v[2:3], 0
	v_mul_f64 v[90:91], v[71:72], v[90:91]
	s_waitcnt vmcnt(32)
	v_fma_f64 v[86:87], v[80:81], v[96:97], -v[86:87]
	v_fma_f64 v[84:85], v[82:83], v[96:97], v[84:85]
	ds_read_b128 v[80:83], v1 offset:928
	s_waitcnt vmcnt(29)
	v_fma_f64 v[88:89], v[71:72], v[98:99], v[88:89]
	v_add_f64 v[128:129], v[128:129], v[130:131]
	v_add_f64 v[2:3], v[2:3], v[73:74]
	s_waitcnt lgkmcnt(1)
	v_mul_f64 v[73:74], v[76:77], v[92:93]
	v_mul_f64 v[92:93], v[78:79], v[92:93]
	v_fma_f64 v[90:91], v[69:70], v[98:99], -v[90:91]
	s_waitcnt vmcnt(25) lgkmcnt(0)
	v_mul_f64 v[96:97], v[82:83], v[100:101]
	ds_read_b128 v[69:72], v1 offset:944
	v_add_f64 v[86:87], v[128:129], v[86:87]
	v_add_f64 v[2:3], v[2:3], v[84:85]
	v_mul_f64 v[84:85], v[80:81], v[100:101]
	s_waitcnt vmcnt(24)
	v_fma_f64 v[92:93], v[76:77], v[94:95], -v[92:93]
	v_fma_f64 v[73:74], v[78:79], v[94:95], v[73:74]
	ds_read_b128 v[76:79], v1 offset:960
	s_waitcnt vmcnt(21)
	v_fma_f64 v[94:95], v[80:81], v[106:107], -v[96:97]
	v_add_f64 v[86:87], v[86:87], v[90:91]
	v_add_f64 v[2:3], v[2:3], v[88:89]
	s_waitcnt lgkmcnt(1)
	v_mul_f64 v[90:91], v[71:72], v[102:103]
	v_mul_f64 v[88:89], v[69:70], v[102:103]
	v_fma_f64 v[84:85], v[82:83], v[106:107], v[84:85]
	ds_read_b128 v[80:83], v1 offset:976
	v_add_f64 v[86:87], v[86:87], v[92:93]
	v_add_f64 v[2:3], v[2:3], v[73:74]
	s_waitcnt vmcnt(17) lgkmcnt(1)
	v_mul_f64 v[92:93], v[78:79], v[108:109]
	s_waitcnt vmcnt(16)
	v_fma_f64 v[90:91], v[69:70], v[104:105], -v[90:91]
	v_mul_f64 v[73:74], v[76:77], v[108:109]
	v_fma_f64 v[88:89], v[71:72], v[104:105], v[88:89]
	ds_read_b128 v[69:72], v1 offset:992
	v_add_f64 v[86:87], v[86:87], v[94:95]
	v_add_f64 v[2:3], v[2:3], v[84:85]
	s_waitcnt vmcnt(15) lgkmcnt(1)
	v_mul_f64 v[94:95], v[82:83], v[110:111]
	s_waitcnt vmcnt(13)
	v_fma_f64 v[92:93], v[76:77], v[114:115], -v[92:93]
	;; [unrolled: 9-line block ×3, first 2 shown]
	v_mul_f64 v[88:89], v[69:70], v[116:117]
	v_fma_f64 v[82:83], v[82:83], v[112:113], v[84:85]
	s_waitcnt vmcnt(7) lgkmcnt(0)
	v_mul_f64 v[84:85], v[78:79], v[118:119]
	v_add_f64 v[86:87], v[86:87], v[92:93]
	v_add_f64 v[2:3], v[2:3], v[73:74]
	s_waitcnt vmcnt(5)
	v_fma_f64 v[69:70], v[69:70], v[122:123], -v[90:91]
	v_mul_f64 v[73:74], v[76:77], v[118:119]
	v_fma_f64 v[71:72], v[71:72], v[122:123], v[88:89]
	s_waitcnt vmcnt(4)
	v_fma_f64 v[76:77], v[76:77], v[120:121], -v[84:85]
	v_add_f64 v[80:81], v[86:87], v[80:81]
	v_add_f64 v[2:3], v[2:3], v[82:83]
	v_fma_f64 v[73:74], v[78:79], v[120:121], v[73:74]
	v_add_f64 v[69:70], v[80:81], v[69:70]
	v_add_f64 v[2:3], v[2:3], v[71:72]
	;; [unrolled: 1-line block ×4, first 2 shown]
	s_waitcnt vmcnt(2)
	v_add_f64 v[69:70], v[124:125], -v[69:70]
	s_waitcnt vmcnt(0)
	v_add_f64 v[2:3], v[126:127], -v[2:3]
	buffer_store_dword v70, off, s[0:3], 0 offset:340
	buffer_store_dword v69, off, s[0:3], 0 offset:336
	;; [unrolled: 1-line block ×4, first 2 shown]
	v_cmpx_lt_u32_e32 19, v0
	s_cbranch_execz .LBB31_167
; %bb.166:
	v_mov_b32_e32 v2, s24
	s_clause 0x3
	buffer_load_dword v69, v2, s[0:3], 0 offen
	buffer_load_dword v70, v2, s[0:3], 0 offen offset:4
	buffer_load_dword v71, v2, s[0:3], 0 offen offset:8
	;; [unrolled: 1-line block ×3, first 2 shown]
	buffer_store_dword v1, off, s[0:3], 0 offset:320
	buffer_store_dword v1, off, s[0:3], 0 offset:324
	;; [unrolled: 1-line block ×4, first 2 shown]
	s_waitcnt vmcnt(0)
	ds_write_b128 v75, v[69:72]
.LBB31_167:
	s_or_b32 exec_lo, exec_lo, s4
	s_waitcnt lgkmcnt(0)
	s_waitcnt_vscnt null, 0x0
	s_barrier
	buffer_gl0_inv
	s_clause 0x2f
	buffer_load_dword v2, off, s[0:3], 0 offset:344
	buffer_load_dword v3, off, s[0:3], 0 offset:348
	buffer_load_dword v73, off, s[0:3], 0 offset:360
	buffer_load_dword v74, off, s[0:3], 0 offset:364
	buffer_load_dword v84, off, s[0:3], 0 offset:336
	buffer_load_dword v85, off, s[0:3], 0 offset:340
	buffer_load_dword v86, off, s[0:3], 0 offset:376
	buffer_load_dword v87, off, s[0:3], 0 offset:380
	buffer_load_dword v88, off, s[0:3], 0 offset:352
	buffer_load_dword v89, off, s[0:3], 0 offset:356
	buffer_load_dword v91, off, s[0:3], 0 offset:396
	buffer_load_dword v92, off, s[0:3], 0 offset:408
	buffer_load_dword v94, off, s[0:3], 0 offset:400
	buffer_load_dword v90, off, s[0:3], 0 offset:392
	buffer_load_dword v96, off, s[0:3], 0 offset:368
	buffer_load_dword v97, off, s[0:3], 0 offset:372
	buffer_load_dword v93, off, s[0:3], 0 offset:412
	buffer_load_dword v99, off, s[0:3], 0 offset:388
	buffer_load_dword v98, off, s[0:3], 0 offset:384
	buffer_load_dword v101, off, s[0:3], 0 offset:428
	buffer_load_dword v102, off, s[0:3], 0 offset:440
	buffer_load_dword v104, off, s[0:3], 0 offset:432
	buffer_load_dword v100, off, s[0:3], 0 offset:424
	buffer_load_dword v95, off, s[0:3], 0 offset:404
	buffer_load_dword v103, off, s[0:3], 0 offset:444
	buffer_load_dword v107, off, s[0:3], 0 offset:420
	buffer_load_dword v106, off, s[0:3], 0 offset:416
	buffer_load_dword v109, off, s[0:3], 0 offset:460
	buffer_load_dword v110, off, s[0:3], 0 offset:472
	buffer_load_dword v112, off, s[0:3], 0 offset:464
	buffer_load_dword v108, off, s[0:3], 0 offset:456
	buffer_load_dword v105, off, s[0:3], 0 offset:436
	buffer_load_dword v111, off, s[0:3], 0 offset:476
	buffer_load_dword v115, off, s[0:3], 0 offset:452
	buffer_load_dword v114, off, s[0:3], 0 offset:448
	buffer_load_dword v117, off, s[0:3], 0 offset:492
	buffer_load_dword v118, off, s[0:3], 0 offset:504
	buffer_load_dword v120, off, s[0:3], 0 offset:496
	buffer_load_dword v116, off, s[0:3], 0 offset:488
	buffer_load_dword v113, off, s[0:3], 0 offset:468
	buffer_load_dword v119, off, s[0:3], 0 offset:508
	buffer_load_dword v123, off, s[0:3], 0 offset:484
	buffer_load_dword v122, off, s[0:3], 0 offset:480
	buffer_load_dword v125, off, s[0:3], 0 offset:524
	buffer_load_dword v124, off, s[0:3], 0 offset:520
	buffer_load_dword v121, off, s[0:3], 0 offset:500
	buffer_load_dword v127, off, s[0:3], 0 offset:516
	buffer_load_dword v126, off, s[0:3], 0 offset:512
	ds_read_b128 v[69:72], v1 offset:832
	s_clause 0x3
	buffer_load_dword v128, off, s[0:3], 0 offset:320
	buffer_load_dword v129, off, s[0:3], 0 offset:324
	;; [unrolled: 1-line block ×4, first 2 shown]
	ds_read_b128 v[76:79], v1 offset:848
	ds_read_b128 v[80:83], v1 offset:864
	s_mov_b32 s4, exec_lo
	s_waitcnt vmcnt(50) lgkmcnt(2)
	v_mul_f64 v[132:133], v[71:72], v[2:3]
	v_mul_f64 v[2:3], v[69:70], v[2:3]
	s_waitcnt vmcnt(48) lgkmcnt(1)
	v_mul_f64 v[134:135], v[78:79], v[73:74]
	v_mul_f64 v[73:74], v[76:77], v[73:74]
	s_waitcnt vmcnt(46)
	v_fma_f64 v[132:133], v[69:70], v[84:85], -v[132:133]
	v_fma_f64 v[2:3], v[71:72], v[84:85], v[2:3]
	s_waitcnt vmcnt(44) lgkmcnt(0)
	v_mul_f64 v[84:85], v[80:81], v[86:87]
	v_mul_f64 v[86:87], v[82:83], v[86:87]
	s_waitcnt vmcnt(42)
	v_fma_f64 v[134:135], v[76:77], v[88:89], -v[134:135]
	ds_read_b128 v[69:72], v1 offset:880
	v_fma_f64 v[73:74], v[78:79], v[88:89], v[73:74]
	ds_read_b128 v[76:79], v1 offset:896
	v_add_f64 v[132:133], v[132:133], 0
	v_add_f64 v[2:3], v[2:3], 0
	s_waitcnt vmcnt(36)
	v_fma_f64 v[84:85], v[82:83], v[96:97], v[84:85]
	s_waitcnt lgkmcnt(1)
	v_mul_f64 v[88:89], v[69:70], v[90:91]
	v_mul_f64 v[90:91], v[71:72], v[90:91]
	v_fma_f64 v[86:87], v[80:81], v[96:97], -v[86:87]
	ds_read_b128 v[80:83], v1 offset:912
	v_add_f64 v[132:133], v[132:133], v[134:135]
	v_add_f64 v[2:3], v[2:3], v[73:74]
	s_waitcnt vmcnt(35) lgkmcnt(1)
	v_mul_f64 v[73:74], v[76:77], v[92:93]
	v_mul_f64 v[92:93], v[78:79], v[92:93]
	s_waitcnt vmcnt(33)
	v_fma_f64 v[90:91], v[69:70], v[98:99], -v[90:91]
	v_fma_f64 v[88:89], v[71:72], v[98:99], v[88:89]
	ds_read_b128 v[69:72], v1 offset:928
	s_waitcnt vmcnt(29) lgkmcnt(1)
	v_mul_f64 v[96:97], v[82:83], v[100:101]
	v_add_f64 v[86:87], v[132:133], v[86:87]
	v_add_f64 v[2:3], v[2:3], v[84:85]
	v_mul_f64 v[84:85], v[80:81], v[100:101]
	s_waitcnt vmcnt(28)
	v_fma_f64 v[92:93], v[76:77], v[94:95], -v[92:93]
	v_fma_f64 v[73:74], v[78:79], v[94:95], v[73:74]
	ds_read_b128 v[76:79], v1 offset:944
	s_waitcnt vmcnt(25)
	v_fma_f64 v[94:95], v[80:81], v[106:107], -v[96:97]
	v_add_f64 v[86:87], v[86:87], v[90:91]
	v_add_f64 v[2:3], v[2:3], v[88:89]
	s_waitcnt lgkmcnt(1)
	v_mul_f64 v[90:91], v[71:72], v[102:103]
	v_mul_f64 v[88:89], v[69:70], v[102:103]
	v_fma_f64 v[84:85], v[82:83], v[106:107], v[84:85]
	ds_read_b128 v[80:83], v1 offset:960
	v_add_f64 v[86:87], v[86:87], v[92:93]
	v_add_f64 v[2:3], v[2:3], v[73:74]
	s_waitcnt vmcnt(21) lgkmcnt(1)
	v_mul_f64 v[92:93], v[78:79], v[108:109]
	s_waitcnt vmcnt(20)
	v_fma_f64 v[90:91], v[69:70], v[104:105], -v[90:91]
	v_mul_f64 v[73:74], v[76:77], v[108:109]
	v_fma_f64 v[88:89], v[71:72], v[104:105], v[88:89]
	ds_read_b128 v[69:72], v1 offset:976
	v_add_f64 v[86:87], v[86:87], v[94:95]
	v_add_f64 v[2:3], v[2:3], v[84:85]
	s_waitcnt vmcnt(19) lgkmcnt(1)
	v_mul_f64 v[94:95], v[82:83], v[110:111]
	s_waitcnt vmcnt(17)
	v_fma_f64 v[92:93], v[76:77], v[114:115], -v[92:93]
	;; [unrolled: 9-line block ×3, first 2 shown]
	v_mul_f64 v[88:89], v[69:70], v[116:117]
	v_fma_f64 v[82:83], v[82:83], v[112:113], v[84:85]
	s_waitcnt vmcnt(11) lgkmcnt(0)
	v_mul_f64 v[84:85], v[76:77], v[118:119]
	v_add_f64 v[86:87], v[86:87], v[92:93]
	v_add_f64 v[73:74], v[2:3], v[73:74]
	v_mul_f64 v[92:93], v[78:79], v[118:119]
	s_waitcnt vmcnt(9)
	v_fma_f64 v[69:70], v[69:70], v[122:123], -v[90:91]
	ds_read_b128 v[1:4], v1 offset:1008
	v_fma_f64 v[71:72], v[71:72], v[122:123], v[88:89]
	s_waitcnt vmcnt(6)
	v_fma_f64 v[78:79], v[78:79], v[120:121], v[84:85]
	v_add_f64 v[80:81], v[86:87], v[80:81]
	v_add_f64 v[73:74], v[73:74], v[82:83]
	s_waitcnt lgkmcnt(0)
	v_mul_f64 v[86:87], v[3:4], v[124:125]
	v_fma_f64 v[76:77], v[76:77], v[120:121], -v[92:93]
	v_mul_f64 v[82:83], v[1:2], v[124:125]
	v_add_f64 v[69:70], v[80:81], v[69:70]
	v_add_f64 v[71:72], v[73:74], v[71:72]
	s_waitcnt vmcnt(4)
	v_fma_f64 v[1:2], v[1:2], v[126:127], -v[86:87]
	v_fma_f64 v[3:4], v[3:4], v[126:127], v[82:83]
	v_add_f64 v[69:70], v[69:70], v[76:77]
	v_add_f64 v[71:72], v[71:72], v[78:79]
	;; [unrolled: 1-line block ×4, first 2 shown]
	s_waitcnt vmcnt(2)
	v_add_f64 v[1:2], v[128:129], -v[1:2]
	s_waitcnt vmcnt(0)
	v_add_f64 v[3:4], v[130:131], -v[3:4]
	buffer_store_dword v2, off, s[0:3], 0 offset:324
	buffer_store_dword v1, off, s[0:3], 0 offset:320
	;; [unrolled: 1-line block ×4, first 2 shown]
	v_cmpx_lt_u32_e32 18, v0
	s_cbranch_execz .LBB31_169
; %bb.168:
	v_mov_b32_e32 v4, s25
	v_mov_b32_e32 v69, 0
	s_clause 0x3
	buffer_load_dword v1, v4, s[0:3], 0 offen
	buffer_load_dword v2, v4, s[0:3], 0 offen offset:4
	buffer_load_dword v3, v4, s[0:3], 0 offen offset:8
	;; [unrolled: 1-line block ×3, first 2 shown]
	buffer_store_dword v69, off, s[0:3], 0 offset:304
	buffer_store_dword v69, off, s[0:3], 0 offset:308
	;; [unrolled: 1-line block ×4, first 2 shown]
	s_waitcnt vmcnt(0)
	ds_write_b128 v75, v[1:4]
.LBB31_169:
	s_or_b32 exec_lo, exec_lo, s4
	s_waitcnt lgkmcnt(0)
	s_waitcnt_vscnt null, 0x0
	s_barrier
	buffer_gl0_inv
	s_clause 0x33
	buffer_load_dword v2, off, s[0:3], 0 offset:328
	buffer_load_dword v3, off, s[0:3], 0 offset:332
	;; [unrolled: 1-line block ×52, first 2 shown]
	v_mov_b32_e32 v1, 0
	ds_read_b128 v[69:72], v1 offset:816
	ds_read_b128 v[76:79], v1 offset:832
	s_clause 0x3
	buffer_load_dword v134, off, s[0:3], 0 offset:304
	buffer_load_dword v135, off, s[0:3], 0 offset:308
	;; [unrolled: 1-line block ×4, first 2 shown]
	ds_read_b128 v[80:83], v1 offset:848
	s_mov_b32 s4, exec_lo
	s_waitcnt vmcnt(54) lgkmcnt(2)
	v_mul_f64 v[132:133], v[71:72], v[2:3]
	v_mul_f64 v[2:3], v[69:70], v[2:3]
	s_waitcnt vmcnt(52) lgkmcnt(1)
	v_mul_f64 v[138:139], v[78:79], v[73:74]
	v_mul_f64 v[73:74], v[76:77], v[73:74]
	s_waitcnt vmcnt(50)
	v_fma_f64 v[132:133], v[69:70], v[84:85], -v[132:133]
	v_fma_f64 v[2:3], v[71:72], v[84:85], v[2:3]
	ds_read_b128 v[69:72], v1 offset:864
	s_waitcnt vmcnt(48) lgkmcnt(1)
	v_mul_f64 v[84:85], v[80:81], v[86:87]
	v_mul_f64 v[86:87], v[82:83], v[86:87]
	s_waitcnt vmcnt(46)
	v_fma_f64 v[138:139], v[76:77], v[88:89], -v[138:139]
	v_fma_f64 v[73:74], v[78:79], v[88:89], v[73:74]
	ds_read_b128 v[76:79], v1 offset:880
	s_waitcnt vmcnt(42) lgkmcnt(1)
	v_mul_f64 v[88:89], v[69:70], v[90:91]
	v_add_f64 v[132:133], v[132:133], 0
	v_add_f64 v[2:3], v[2:3], 0
	v_mul_f64 v[90:91], v[71:72], v[90:91]
	s_waitcnt vmcnt(40)
	v_fma_f64 v[86:87], v[80:81], v[96:97], -v[86:87]
	v_fma_f64 v[84:85], v[82:83], v[96:97], v[84:85]
	ds_read_b128 v[80:83], v1 offset:896
	s_waitcnt vmcnt(37)
	v_fma_f64 v[88:89], v[71:72], v[98:99], v[88:89]
	v_add_f64 v[132:133], v[132:133], v[138:139]
	v_add_f64 v[2:3], v[2:3], v[73:74]
	s_waitcnt lgkmcnt(1)
	v_mul_f64 v[73:74], v[76:77], v[92:93]
	v_mul_f64 v[92:93], v[78:79], v[92:93]
	v_fma_f64 v[90:91], v[69:70], v[98:99], -v[90:91]
	s_waitcnt vmcnt(33) lgkmcnt(0)
	v_mul_f64 v[96:97], v[82:83], v[100:101]
	ds_read_b128 v[69:72], v1 offset:912
	v_add_f64 v[86:87], v[132:133], v[86:87]
	v_add_f64 v[2:3], v[2:3], v[84:85]
	v_mul_f64 v[84:85], v[80:81], v[100:101]
	s_waitcnt vmcnt(32)
	v_fma_f64 v[92:93], v[76:77], v[94:95], -v[92:93]
	v_fma_f64 v[73:74], v[78:79], v[94:95], v[73:74]
	ds_read_b128 v[76:79], v1 offset:928
	s_waitcnt vmcnt(29)
	v_fma_f64 v[94:95], v[80:81], v[106:107], -v[96:97]
	v_add_f64 v[86:87], v[86:87], v[90:91]
	v_add_f64 v[2:3], v[2:3], v[88:89]
	s_waitcnt lgkmcnt(1)
	v_mul_f64 v[90:91], v[71:72], v[102:103]
	v_mul_f64 v[88:89], v[69:70], v[102:103]
	v_fma_f64 v[84:85], v[82:83], v[106:107], v[84:85]
	ds_read_b128 v[80:83], v1 offset:944
	v_add_f64 v[86:87], v[86:87], v[92:93]
	v_add_f64 v[2:3], v[2:3], v[73:74]
	s_waitcnt vmcnt(25) lgkmcnt(1)
	v_mul_f64 v[92:93], v[78:79], v[108:109]
	s_waitcnt vmcnt(24)
	v_fma_f64 v[90:91], v[69:70], v[104:105], -v[90:91]
	v_mul_f64 v[73:74], v[76:77], v[108:109]
	v_fma_f64 v[88:89], v[71:72], v[104:105], v[88:89]
	ds_read_b128 v[69:72], v1 offset:960
	v_add_f64 v[86:87], v[86:87], v[94:95]
	v_add_f64 v[2:3], v[2:3], v[84:85]
	s_waitcnt vmcnt(23) lgkmcnt(1)
	v_mul_f64 v[94:95], v[82:83], v[110:111]
	s_waitcnt vmcnt(21)
	v_fma_f64 v[92:93], v[76:77], v[114:115], -v[92:93]
	;; [unrolled: 9-line block ×5, first 2 shown]
	v_mul_f64 v[84:85], v[80:81], v[124:125]
	v_fma_f64 v[73:74], v[78:79], v[120:121], v[73:74]
	s_waitcnt vmcnt(7) lgkmcnt(0)
	v_mul_f64 v[78:79], v[69:70], v[126:127]
	v_add_f64 v[86:87], v[86:87], v[90:91]
	v_add_f64 v[2:3], v[2:3], v[88:89]
	v_mul_f64 v[88:89], v[71:72], v[126:127]
	s_waitcnt vmcnt(5)
	v_fma_f64 v[80:81], v[80:81], v[130:131], -v[94:95]
	v_fma_f64 v[82:83], v[82:83], v[130:131], v[84:85]
	s_waitcnt vmcnt(4)
	v_fma_f64 v[71:72], v[71:72], v[128:129], v[78:79]
	v_add_f64 v[76:77], v[86:87], v[76:77]
	v_add_f64 v[2:3], v[2:3], v[73:74]
	v_fma_f64 v[69:70], v[69:70], v[128:129], -v[88:89]
	v_add_f64 v[73:74], v[76:77], v[80:81]
	v_add_f64 v[2:3], v[2:3], v[82:83]
	;; [unrolled: 1-line block ×4, first 2 shown]
	s_waitcnt vmcnt(2)
	v_add_f64 v[69:70], v[134:135], -v[69:70]
	s_waitcnt vmcnt(0)
	v_add_f64 v[2:3], v[136:137], -v[2:3]
	buffer_store_dword v70, off, s[0:3], 0 offset:308
	buffer_store_dword v69, off, s[0:3], 0 offset:304
	;; [unrolled: 1-line block ×4, first 2 shown]
	v_cmpx_lt_u32_e32 17, v0
	s_cbranch_execz .LBB31_171
; %bb.170:
	v_mov_b32_e32 v2, s26
	s_clause 0x3
	buffer_load_dword v69, v2, s[0:3], 0 offen
	buffer_load_dword v70, v2, s[0:3], 0 offen offset:4
	buffer_load_dword v71, v2, s[0:3], 0 offen offset:8
	;; [unrolled: 1-line block ×3, first 2 shown]
	buffer_store_dword v1, off, s[0:3], 0 offset:288
	buffer_store_dword v1, off, s[0:3], 0 offset:292
	;; [unrolled: 1-line block ×4, first 2 shown]
	s_waitcnt vmcnt(0)
	ds_write_b128 v75, v[69:72]
.LBB31_171:
	s_or_b32 exec_lo, exec_lo, s4
	s_waitcnt lgkmcnt(0)
	s_waitcnt_vscnt null, 0x0
	s_barrier
	buffer_gl0_inv
	s_clause 0x35
	buffer_load_dword v2, off, s[0:3], 0 offset:312
	buffer_load_dword v3, off, s[0:3], 0 offset:316
	;; [unrolled: 1-line block ×54, first 2 shown]
	ds_read_b128 v[69:72], v1 offset:800
	s_clause 0x1
	buffer_load_dword v135, off, s[0:3], 0 offset:516
	buffer_load_dword v134, off, s[0:3], 0 offset:512
	ds_read_b128 v[76:79], v1 offset:816
	ds_read_b128 v[80:83], v1 offset:832
	s_mov_b32 s4, exec_lo
	s_waitcnt vmcnt(54) lgkmcnt(2)
	v_mul_f64 v[136:137], v[71:72], v[2:3]
	v_mul_f64 v[2:3], v[69:70], v[2:3]
	s_waitcnt vmcnt(52) lgkmcnt(1)
	v_mul_f64 v[138:139], v[78:79], v[73:74]
	v_mul_f64 v[73:74], v[76:77], v[73:74]
	;; [unrolled: 3-line block ×3, first 2 shown]
	v_fma_f64 v[136:137], v[69:70], v[84:85], -v[136:137]
	v_fma_f64 v[2:3], v[71:72], v[84:85], v[2:3]
	s_clause 0x3
	buffer_load_dword v84, off, s[0:3], 0 offset:288
	buffer_load_dword v85, off, s[0:3], 0 offset:292
	;; [unrolled: 1-line block ×4, first 2 shown]
	s_waitcnt vmcnt(50)
	v_fma_f64 v[138:139], v[76:77], v[88:89], -v[138:139]
	ds_read_b128 v[69:72], v1 offset:848
	v_fma_f64 v[73:74], v[78:79], v[88:89], v[73:74]
	ds_read_b128 v[76:79], v1 offset:864
	s_waitcnt vmcnt(46)
	v_fma_f64 v[86:87], v[80:81], v[92:93], -v[86:87]
	v_fma_f64 v[92:93], v[82:83], v[92:93], v[142:143]
	ds_read_b128 v[80:83], v1 offset:880
	v_add_f64 v[136:137], v[136:137], 0
	v_add_f64 v[2:3], v[2:3], 0
	s_waitcnt lgkmcnt(2)
	v_mul_f64 v[88:89], v[69:70], v[90:91]
	v_mul_f64 v[90:91], v[71:72], v[90:91]
	v_add_f64 v[136:137], v[136:137], v[138:139]
	v_add_f64 v[2:3], v[2:3], v[73:74]
	s_waitcnt vmcnt(44) lgkmcnt(1)
	v_mul_f64 v[73:74], v[76:77], v[94:95]
	v_mul_f64 v[94:95], v[78:79], v[94:95]
	s_waitcnt vmcnt(42)
	v_fma_f64 v[90:91], v[69:70], v[96:97], -v[90:91]
	v_fma_f64 v[88:89], v[71:72], v[96:97], v[88:89]
	ds_read_b128 v[69:72], v1 offset:896
	s_waitcnt vmcnt(40) lgkmcnt(1)
	v_mul_f64 v[96:97], v[82:83], v[98:99]
	v_add_f64 v[86:87], v[136:137], v[86:87]
	v_add_f64 v[2:3], v[2:3], v[92:93]
	v_mul_f64 v[92:93], v[80:81], v[98:99]
	s_waitcnt vmcnt(38)
	v_fma_f64 v[94:95], v[76:77], v[100:101], -v[94:95]
	v_fma_f64 v[73:74], v[78:79], v[100:101], v[73:74]
	ds_read_b128 v[76:79], v1 offset:912
	s_waitcnt vmcnt(34)
	v_fma_f64 v[96:97], v[80:81], v[104:105], -v[96:97]
	v_add_f64 v[86:87], v[86:87], v[90:91]
	v_add_f64 v[2:3], v[2:3], v[88:89]
	s_waitcnt lgkmcnt(1)
	v_mul_f64 v[90:91], v[71:72], v[102:103]
	v_mul_f64 v[88:89], v[69:70], v[102:103]
	v_fma_f64 v[92:93], v[82:83], v[104:105], v[92:93]
	ds_read_b128 v[80:83], v1 offset:928
	v_add_f64 v[86:87], v[86:87], v[94:95]
	v_add_f64 v[2:3], v[2:3], v[73:74]
	s_waitcnt vmcnt(32) lgkmcnt(1)
	v_mul_f64 v[94:95], v[78:79], v[106:107]
	s_waitcnt vmcnt(30)
	v_fma_f64 v[90:91], v[69:70], v[108:109], -v[90:91]
	v_mul_f64 v[73:74], v[76:77], v[106:107]
	v_fma_f64 v[88:89], v[71:72], v[108:109], v[88:89]
	ds_read_b128 v[69:72], v1 offset:944
	v_add_f64 v[86:87], v[86:87], v[96:97]
	v_add_f64 v[2:3], v[2:3], v[92:93]
	s_waitcnt vmcnt(28) lgkmcnt(1)
	v_mul_f64 v[96:97], v[82:83], v[110:111]
	s_waitcnt vmcnt(26)
	v_fma_f64 v[94:95], v[76:77], v[112:113], -v[94:95]
	;; [unrolled: 9-line block ×5, first 2 shown]
	v_mul_f64 v[92:93], v[80:81], v[122:123]
	v_fma_f64 v[73:74], v[78:79], v[124:125], v[73:74]
	v_add_f64 v[86:87], v[86:87], v[90:91]
	v_add_f64 v[78:79], v[2:3], v[88:89]
	s_waitcnt vmcnt(12) lgkmcnt(0)
	v_mul_f64 v[90:91], v[71:72], v[126:127]
	s_waitcnt vmcnt(10)
	v_fma_f64 v[80:81], v[80:81], v[128:129], -v[96:97]
	ds_read_b128 v[1:4], v1 offset:1008
	v_mul_f64 v[88:89], v[69:70], v[126:127]
	v_fma_f64 v[82:83], v[82:83], v[128:129], v[92:93]
	v_add_f64 v[76:77], v[86:87], v[76:77]
	v_add_f64 v[73:74], v[78:79], v[73:74]
	s_waitcnt vmcnt(8) lgkmcnt(0)
	v_mul_f64 v[86:87], v[3:4], v[130:131]
	s_waitcnt vmcnt(6)
	v_fma_f64 v[69:70], v[69:70], v[132:133], -v[90:91]
	v_mul_f64 v[78:79], v[1:2], v[130:131]
	v_fma_f64 v[71:72], v[71:72], v[132:133], v[88:89]
	v_add_f64 v[76:77], v[76:77], v[80:81]
	v_add_f64 v[73:74], v[73:74], v[82:83]
	s_waitcnt vmcnt(4)
	v_fma_f64 v[1:2], v[1:2], v[134:135], -v[86:87]
	v_fma_f64 v[3:4], v[3:4], v[134:135], v[78:79]
	v_add_f64 v[69:70], v[76:77], v[69:70]
	v_add_f64 v[71:72], v[73:74], v[71:72]
	;; [unrolled: 1-line block ×4, first 2 shown]
	s_waitcnt vmcnt(2)
	v_add_f64 v[1:2], v[84:85], -v[1:2]
	s_waitcnt vmcnt(0)
	v_add_f64 v[3:4], v[140:141], -v[3:4]
	buffer_store_dword v2, off, s[0:3], 0 offset:292
	buffer_store_dword v1, off, s[0:3], 0 offset:288
	;; [unrolled: 1-line block ×4, first 2 shown]
	v_cmpx_lt_u32_e32 16, v0
	s_cbranch_execz .LBB31_173
; %bb.172:
	v_mov_b32_e32 v4, s27
	v_mov_b32_e32 v69, 0
	s_clause 0x3
	buffer_load_dword v1, v4, s[0:3], 0 offen
	buffer_load_dword v2, v4, s[0:3], 0 offen offset:4
	buffer_load_dword v3, v4, s[0:3], 0 offen offset:8
	;; [unrolled: 1-line block ×3, first 2 shown]
	buffer_store_dword v69, off, s[0:3], 0 offset:272
	buffer_store_dword v69, off, s[0:3], 0 offset:276
	;; [unrolled: 1-line block ×4, first 2 shown]
	s_waitcnt vmcnt(0)
	ds_write_b128 v75, v[1:4]
.LBB31_173:
	s_or_b32 exec_lo, exec_lo, s4
	s_waitcnt lgkmcnt(0)
	s_waitcnt_vscnt null, 0x0
	s_barrier
	buffer_gl0_inv
	s_clause 0x37
	buffer_load_dword v2, off, s[0:3], 0 offset:296
	buffer_load_dword v3, off, s[0:3], 0 offset:300
	;; [unrolled: 1-line block ×56, first 2 shown]
	v_mov_b32_e32 v1, 0
	s_mov_b32 s4, exec_lo
	ds_read_b128 v[69:72], v1 offset:784
	s_clause 0x2
	buffer_load_dword v135, off, s[0:3], 0 offset:524
	buffer_load_dword v139, off, s[0:3], 0 offset:500
	;; [unrolled: 1-line block ×3, first 2 shown]
	ds_read_b128 v[76:79], v1 offset:800
	ds_read_b128 v[80:83], v1 offset:816
	buffer_load_dword v137, off, s[0:3], 0 offset:516
	s_waitcnt vmcnt(58) lgkmcnt(2)
	v_mul_f64 v[140:141], v[71:72], v[2:3]
	v_mul_f64 v[2:3], v[69:70], v[2:3]
	s_waitcnt vmcnt(56) lgkmcnt(1)
	v_mul_f64 v[142:143], v[78:79], v[73:74]
	v_mul_f64 v[73:74], v[76:77], v[73:74]
	s_waitcnt vmcnt(54)
	v_fma_f64 v[140:141], v[69:70], v[84:85], -v[140:141]
	v_fma_f64 v[2:3], v[71:72], v[84:85], v[2:3]
	s_waitcnt vmcnt(52) lgkmcnt(0)
	v_mul_f64 v[84:85], v[80:81], v[86:87]
	v_mul_f64 v[86:87], v[82:83], v[86:87]
	s_waitcnt vmcnt(50)
	v_fma_f64 v[142:143], v[76:77], v[88:89], -v[142:143]
	ds_read_b128 v[69:72], v1 offset:832
	v_fma_f64 v[73:74], v[78:79], v[88:89], v[73:74]
	s_clause 0x3
	buffer_load_dword v88, off, s[0:3], 0 offset:272
	buffer_load_dword v89, off, s[0:3], 0 offset:276
	buffer_load_dword v144, off, s[0:3], 0 offset:280
	buffer_load_dword v145, off, s[0:3], 0 offset:284
	ds_read_b128 v[76:79], v1 offset:848
	v_add_f64 v[140:141], v[140:141], 0
	v_add_f64 v[2:3], v[2:3], 0
	s_waitcnt vmcnt(48)
	v_fma_f64 v[84:85], v[82:83], v[96:97], v[84:85]
	s_waitcnt lgkmcnt(1)
	v_mul_f64 v[146:147], v[69:70], v[90:91]
	v_mul_f64 v[90:91], v[71:72], v[90:91]
	v_fma_f64 v[86:87], v[80:81], v[96:97], -v[86:87]
	ds_read_b128 v[80:83], v1 offset:864
	v_add_f64 v[140:141], v[140:141], v[142:143]
	v_add_f64 v[2:3], v[2:3], v[73:74]
	s_waitcnt vmcnt(47) lgkmcnt(1)
	v_mul_f64 v[73:74], v[76:77], v[92:93]
	v_mul_f64 v[92:93], v[78:79], v[92:93]
	s_waitcnt vmcnt(45)
	v_fma_f64 v[90:91], v[69:70], v[98:99], -v[90:91]
	v_fma_f64 v[96:97], v[71:72], v[98:99], v[146:147]
	s_waitcnt vmcnt(41) lgkmcnt(0)
	v_mul_f64 v[98:99], v[82:83], v[100:101]
	ds_read_b128 v[69:72], v1 offset:880
	v_add_f64 v[86:87], v[140:141], v[86:87]
	v_add_f64 v[2:3], v[2:3], v[84:85]
	v_mul_f64 v[84:85], v[80:81], v[100:101]
	s_waitcnt vmcnt(40)
	v_fma_f64 v[92:93], v[76:77], v[94:95], -v[92:93]
	v_fma_f64 v[73:74], v[78:79], v[94:95], v[73:74]
	ds_read_b128 v[76:79], v1 offset:896
	s_waitcnt vmcnt(39) lgkmcnt(1)
	v_mul_f64 v[94:95], v[71:72], v[102:103]
	v_add_f64 v[86:87], v[86:87], v[90:91]
	v_add_f64 v[2:3], v[2:3], v[96:97]
	s_waitcnt vmcnt(37)
	v_fma_f64 v[96:97], v[80:81], v[106:107], -v[98:99]
	v_mul_f64 v[90:91], v[69:70], v[102:103]
	v_fma_f64 v[84:85], v[82:83], v[106:107], v[84:85]
	ds_read_b128 v[80:83], v1 offset:912
	s_waitcnt vmcnt(32)
	v_fma_f64 v[94:95], v[69:70], v[104:105], -v[94:95]
	v_add_f64 v[86:87], v[86:87], v[92:93]
	v_add_f64 v[2:3], v[2:3], v[73:74]
	s_waitcnt lgkmcnt(1)
	v_mul_f64 v[92:93], v[78:79], v[108:109]
	v_mul_f64 v[73:74], v[76:77], v[108:109]
	v_fma_f64 v[90:91], v[71:72], v[104:105], v[90:91]
	ds_read_b128 v[69:72], v1 offset:928
	v_add_f64 v[86:87], v[86:87], v[96:97]
	v_add_f64 v[2:3], v[2:3], v[84:85]
	s_waitcnt vmcnt(31) lgkmcnt(1)
	v_mul_f64 v[96:97], v[82:83], v[110:111]
	s_waitcnt vmcnt(29)
	v_fma_f64 v[92:93], v[76:77], v[114:115], -v[92:93]
	v_mul_f64 v[84:85], v[80:81], v[110:111]
	v_fma_f64 v[73:74], v[78:79], v[114:115], v[73:74]
	ds_read_b128 v[76:79], v1 offset:944
	v_add_f64 v[86:87], v[86:87], v[94:95]
	v_add_f64 v[2:3], v[2:3], v[90:91]
	s_waitcnt vmcnt(25) lgkmcnt(1)
	v_mul_f64 v[94:95], v[71:72], v[116:117]
	s_waitcnt vmcnt(24)
	v_fma_f64 v[96:97], v[80:81], v[112:113], -v[96:97]
	;; [unrolled: 9-line block ×6, first 2 shown]
	v_mul_f64 v[73:74], v[76:77], v[132:133]
	v_fma_f64 v[71:72], v[71:72], v[128:129], v[90:91]
	s_waitcnt vmcnt(7) lgkmcnt(0)
	v_mul_f64 v[90:91], v[82:83], v[134:135]
	v_add_f64 v[86:87], v[86:87], v[96:97]
	v_add_f64 v[2:3], v[2:3], v[84:85]
	s_waitcnt vmcnt(5)
	v_fma_f64 v[76:77], v[76:77], v[138:139], -v[92:93]
	v_mul_f64 v[84:85], v[80:81], v[134:135]
	v_fma_f64 v[73:74], v[78:79], v[138:139], v[73:74]
	v_add_f64 v[69:70], v[86:87], v[69:70]
	v_add_f64 v[2:3], v[2:3], v[71:72]
	s_waitcnt vmcnt(4)
	v_fma_f64 v[71:72], v[80:81], v[136:137], -v[90:91]
	v_add_f64 v[69:70], v[69:70], v[76:77]
	v_fma_f64 v[76:77], v[82:83], v[136:137], v[84:85]
	v_add_f64 v[2:3], v[2:3], v[73:74]
	v_add_f64 v[69:70], v[69:70], v[71:72]
	;; [unrolled: 1-line block ×3, first 2 shown]
	s_waitcnt vmcnt(2)
	v_add_f64 v[69:70], v[88:89], -v[69:70]
	s_waitcnt vmcnt(0)
	v_add_f64 v[2:3], v[144:145], -v[2:3]
	buffer_store_dword v70, off, s[0:3], 0 offset:276
	buffer_store_dword v69, off, s[0:3], 0 offset:272
	;; [unrolled: 1-line block ×4, first 2 shown]
	v_cmpx_lt_u32_e32 15, v0
	s_cbranch_execz .LBB31_175
; %bb.174:
	v_mov_b32_e32 v2, s28
	s_clause 0x3
	buffer_load_dword v69, v2, s[0:3], 0 offen
	buffer_load_dword v70, v2, s[0:3], 0 offen offset:4
	buffer_load_dword v71, v2, s[0:3], 0 offen offset:8
	;; [unrolled: 1-line block ×3, first 2 shown]
	buffer_store_dword v1, off, s[0:3], 0 offset:256
	buffer_store_dword v1, off, s[0:3], 0 offset:260
	;; [unrolled: 1-line block ×4, first 2 shown]
	s_waitcnt vmcnt(0)
	ds_write_b128 v75, v[69:72]
.LBB31_175:
	s_or_b32 exec_lo, exec_lo, s4
	s_waitcnt lgkmcnt(0)
	s_waitcnt_vscnt null, 0x0
	s_barrier
	buffer_gl0_inv
	s_clause 0x37
	buffer_load_dword v2, off, s[0:3], 0 offset:280
	buffer_load_dword v3, off, s[0:3], 0 offset:284
	;; [unrolled: 1-line block ×56, first 2 shown]
	ds_read_b128 v[69:72], v1 offset:768
	s_clause 0x2
	buffer_load_dword v135, off, s[0:3], 0 offset:508
	buffer_load_dword v139, off, s[0:3], 0 offset:484
	buffer_load_dword v138, off, s[0:3], 0 offset:480
	ds_read_b128 v[76:79], v1 offset:784
	s_clause 0x2
	buffer_load_dword v143, off, s[0:3], 0 offset:524
	buffer_load_dword v142, off, s[0:3], 0 offset:520
	;; [unrolled: 1-line block ×3, first 2 shown]
	ds_read_b128 v[80:83], v1 offset:800
	s_mov_b32 s4, exec_lo
	s_waitcnt vmcnt(60) lgkmcnt(2)
	v_mul_f64 v[140:141], v[71:72], v[2:3]
	v_mul_f64 v[2:3], v[69:70], v[2:3]
	s_waitcnt vmcnt(58) lgkmcnt(1)
	v_mul_f64 v[144:145], v[78:79], v[73:74]
	v_mul_f64 v[73:74], v[76:77], v[73:74]
	s_waitcnt vmcnt(54) lgkmcnt(0)
	v_mul_f64 v[146:147], v[80:81], v[86:87]
	v_mul_f64 v[86:87], v[82:83], v[86:87]
	v_fma_f64 v[140:141], v[69:70], v[84:85], -v[140:141]
	v_fma_f64 v[2:3], v[71:72], v[84:85], v[2:3]
	s_clause 0x1
	buffer_load_dword v85, off, s[0:3], 0 offset:516
	buffer_load_dword v84, off, s[0:3], 0 offset:512
	s_waitcnt vmcnt(54)
	v_fma_f64 v[144:145], v[76:77], v[88:89], -v[144:145]
	ds_read_b128 v[69:72], v1 offset:816
	v_fma_f64 v[73:74], v[78:79], v[88:89], v[73:74]
	ds_read_b128 v[76:79], v1 offset:832
	s_waitcnt vmcnt(48)
	v_fma_f64 v[86:87], v[80:81], v[96:97], -v[86:87]
	v_fma_f64 v[96:97], v[82:83], v[96:97], v[146:147]
	v_add_f64 v[140:141], v[140:141], 0
	v_add_f64 v[2:3], v[2:3], 0
	s_waitcnt lgkmcnt(1)
	v_mul_f64 v[88:89], v[69:70], v[90:91]
	v_mul_f64 v[90:91], v[71:72], v[90:91]
	s_waitcnt vmcnt(47) lgkmcnt(0)
	v_mul_f64 v[146:147], v[76:77], v[92:93]
	v_mul_f64 v[92:93], v[78:79], v[92:93]
	v_add_f64 v[140:141], v[140:141], v[144:145]
	v_add_f64 v[2:3], v[2:3], v[73:74]
	s_clause 0x3
	buffer_load_dword v73, off, s[0:3], 0 offset:256
	buffer_load_dword v74, off, s[0:3], 0 offset:260
	;; [unrolled: 1-line block ×4, first 2 shown]
	s_waitcnt vmcnt(49)
	v_fma_f64 v[90:91], v[69:70], v[98:99], -v[90:91]
	ds_read_b128 v[80:83], v1 offset:848
	v_fma_f64 v[88:89], v[71:72], v[98:99], v[88:89]
	ds_read_b128 v[69:72], v1 offset:864
	s_waitcnt vmcnt(44)
	v_fma_f64 v[92:93], v[76:77], v[94:95], -v[92:93]
	v_add_f64 v[86:87], v[140:141], v[86:87]
	v_add_f64 v[2:3], v[2:3], v[96:97]
	s_waitcnt lgkmcnt(1)
	v_mul_f64 v[98:99], v[82:83], v[100:101]
	v_mul_f64 v[96:97], v[80:81], v[100:101]
	v_add_f64 v[86:87], v[86:87], v[90:91]
	v_fma_f64 v[90:91], v[78:79], v[94:95], v[146:147]
	v_add_f64 v[2:3], v[2:3], v[88:89]
	s_waitcnt vmcnt(43) lgkmcnt(0)
	v_mul_f64 v[94:95], v[71:72], v[102:103]
	s_waitcnt vmcnt(41)
	v_fma_f64 v[98:99], v[80:81], v[106:107], -v[98:99]
	ds_read_b128 v[76:79], v1 offset:880
	v_mul_f64 v[88:89], v[69:70], v[102:103]
	v_add_f64 v[86:87], v[86:87], v[92:93]
	v_fma_f64 v[92:93], v[82:83], v[106:107], v[96:97]
	v_add_f64 v[2:3], v[2:3], v[90:91]
	ds_read_b128 v[80:83], v1 offset:896
	s_waitcnt vmcnt(37) lgkmcnt(1)
	v_mul_f64 v[96:97], v[78:79], v[108:109]
	s_waitcnt vmcnt(36)
	v_fma_f64 v[94:95], v[69:70], v[104:105], -v[94:95]
	v_mul_f64 v[90:91], v[76:77], v[108:109]
	v_fma_f64 v[88:89], v[71:72], v[104:105], v[88:89]
	ds_read_b128 v[69:72], v1 offset:912
	v_add_f64 v[86:87], v[86:87], v[98:99]
	s_waitcnt vmcnt(35) lgkmcnt(1)
	v_mul_f64 v[98:99], v[82:83], v[110:111]
	v_add_f64 v[2:3], v[2:3], v[92:93]
	v_mul_f64 v[92:93], v[80:81], v[110:111]
	s_waitcnt vmcnt(33)
	v_fma_f64 v[96:97], v[76:77], v[114:115], -v[96:97]
	v_fma_f64 v[90:91], v[78:79], v[114:115], v[90:91]
	ds_read_b128 v[76:79], v1 offset:928
	v_add_f64 v[86:87], v[86:87], v[94:95]
	s_waitcnt vmcnt(29) lgkmcnt(1)
	v_mul_f64 v[94:95], v[71:72], v[116:117]
	v_add_f64 v[2:3], v[2:3], v[88:89]
	s_waitcnt vmcnt(28)
	v_fma_f64 v[98:99], v[80:81], v[112:113], -v[98:99]
	v_mul_f64 v[88:89], v[69:70], v[116:117]
	v_fma_f64 v[92:93], v[82:83], v[112:113], v[92:93]
	ds_read_b128 v[80:83], v1 offset:944
	v_add_f64 v[86:87], v[86:87], v[96:97]
	s_waitcnt vmcnt(27) lgkmcnt(1)
	v_mul_f64 v[96:97], v[78:79], v[118:119]
	v_add_f64 v[2:3], v[2:3], v[90:91]
	s_waitcnt vmcnt(25)
	v_fma_f64 v[94:95], v[69:70], v[122:123], -v[94:95]
	v_mul_f64 v[90:91], v[76:77], v[118:119]
	;; [unrolled: 9-line block ×5, first 2 shown]
	v_fma_f64 v[71:72], v[71:72], v[128:129], v[88:89]
	s_waitcnt vmcnt(11) lgkmcnt(0)
	v_mul_f64 v[94:95], v[82:83], v[134:135]
	v_add_f64 v[86:87], v[86:87], v[98:99]
	s_waitcnt vmcnt(9)
	v_fma_f64 v[76:77], v[76:77], v[138:139], -v[96:97]
	v_add_f64 v[88:89], v[2:3], v[92:93]
	ds_read_b128 v[1:4], v1 offset:1008
	v_mul_f64 v[92:93], v[80:81], v[134:135]
	v_fma_f64 v[78:79], v[78:79], v[138:139], v[90:91]
	s_waitcnt vmcnt(6)
	v_fma_f64 v[80:81], v[80:81], v[136:137], -v[94:95]
	v_add_f64 v[69:70], v[86:87], v[69:70]
	s_waitcnt lgkmcnt(0)
	v_mul_f64 v[86:87], v[1:2], v[142:143]
	v_add_f64 v[71:72], v[88:89], v[71:72]
	v_mul_f64 v[88:89], v[3:4], v[142:143]
	v_add_f64 v[69:70], v[69:70], v[76:77]
	v_fma_f64 v[76:77], v[82:83], v[136:137], v[92:93]
	v_add_f64 v[71:72], v[71:72], v[78:79]
	s_waitcnt vmcnt(4)
	v_fma_f64 v[1:2], v[1:2], v[84:85], -v[88:89]
	v_fma_f64 v[3:4], v[3:4], v[84:85], v[86:87]
	v_add_f64 v[69:70], v[69:70], v[80:81]
	v_add_f64 v[71:72], v[71:72], v[76:77]
	;; [unrolled: 1-line block ×4, first 2 shown]
	s_waitcnt vmcnt(2)
	v_add_f64 v[1:2], v[73:74], -v[1:2]
	s_waitcnt vmcnt(0)
	v_add_f64 v[3:4], v[144:145], -v[3:4]
	buffer_store_dword v2, off, s[0:3], 0 offset:260
	buffer_store_dword v1, off, s[0:3], 0 offset:256
	;; [unrolled: 1-line block ×4, first 2 shown]
	v_cmpx_lt_u32_e32 14, v0
	s_cbranch_execz .LBB31_177
; %bb.176:
	v_mov_b32_e32 v4, s29
	v_mov_b32_e32 v69, 0
	s_clause 0x3
	buffer_load_dword v1, v4, s[0:3], 0 offen
	buffer_load_dword v2, v4, s[0:3], 0 offen offset:4
	buffer_load_dword v3, v4, s[0:3], 0 offen offset:8
	;; [unrolled: 1-line block ×3, first 2 shown]
	buffer_store_dword v69, off, s[0:3], 0 offset:240
	buffer_store_dword v69, off, s[0:3], 0 offset:244
	;; [unrolled: 1-line block ×4, first 2 shown]
	s_waitcnt vmcnt(0)
	ds_write_b128 v75, v[1:4]
.LBB31_177:
	s_or_b32 exec_lo, exec_lo, s4
	s_waitcnt lgkmcnt(0)
	s_waitcnt_vscnt null, 0x0
	s_barrier
	buffer_gl0_inv
	s_clause 0x37
	buffer_load_dword v2, off, s[0:3], 0 offset:264
	buffer_load_dword v3, off, s[0:3], 0 offset:268
	;; [unrolled: 1-line block ×56, first 2 shown]
	v_mov_b32_e32 v1, 0
	s_mov_b32 s4, exec_lo
	ds_read_b128 v[69:72], v1 offset:752
	s_clause 0x2
	buffer_load_dword v135, off, s[0:3], 0 offset:492
	buffer_load_dword v139, off, s[0:3], 0 offset:468
	;; [unrolled: 1-line block ×3, first 2 shown]
	ds_read_b128 v[76:79], v1 offset:768
	s_clause 0x4
	buffer_load_dword v143, off, s[0:3], 0 offset:508
	buffer_load_dword v144, off, s[0:3], 0 offset:520
	;; [unrolled: 1-line block ×5, first 2 shown]
	ds_read_b128 v[80:83], v1 offset:784
	s_waitcnt vmcnt(62) lgkmcnt(2)
	v_mul_f64 v[140:141], v[71:72], v[2:3]
	v_mul_f64 v[2:3], v[69:70], v[2:3]
	s_waitcnt vmcnt(60) lgkmcnt(1)
	v_mul_f64 v[147:148], v[78:79], v[73:74]
	v_mul_f64 v[73:74], v[76:77], v[73:74]
	s_waitcnt vmcnt(56) lgkmcnt(0)
	v_mul_f64 v[149:150], v[80:81], v[86:87]
	v_mul_f64 v[86:87], v[82:83], v[86:87]
	v_fma_f64 v[140:141], v[69:70], v[84:85], -v[140:141]
	v_fma_f64 v[2:3], v[71:72], v[84:85], v[2:3]
	s_clause 0x2
	buffer_load_dword v145, off, s[0:3], 0 offset:524
	buffer_load_dword v85, off, s[0:3], 0 offset:500
	;; [unrolled: 1-line block ×3, first 2 shown]
	s_waitcnt vmcnt(57)
	v_fma_f64 v[151:152], v[76:77], v[88:89], -v[147:148]
	ds_read_b128 v[69:72], v1 offset:800
	v_fma_f64 v[73:74], v[78:79], v[88:89], v[73:74]
	buffer_load_dword v147, off, s[0:3], 0 offset:516
	ds_read_b128 v[76:79], v1 offset:816
	s_waitcnt vmcnt(52)
	v_fma_f64 v[86:87], v[80:81], v[96:97], -v[86:87]
	v_fma_f64 v[96:97], v[82:83], v[96:97], v[149:150]
	ds_read_b128 v[80:83], v1 offset:832
	v_add_f64 v[140:141], v[140:141], 0
	v_add_f64 v[2:3], v[2:3], 0
	s_waitcnt lgkmcnt(2)
	v_mul_f64 v[88:89], v[69:70], v[90:91]
	v_mul_f64 v[90:91], v[71:72], v[90:91]
	v_add_f64 v[140:141], v[140:141], v[151:152]
	v_add_f64 v[2:3], v[2:3], v[73:74]
	s_waitcnt vmcnt(51) lgkmcnt(1)
	v_mul_f64 v[73:74], v[76:77], v[92:93]
	v_mul_f64 v[92:93], v[78:79], v[92:93]
	s_waitcnt vmcnt(49)
	v_fma_f64 v[90:91], v[69:70], v[98:99], -v[90:91]
	v_fma_f64 v[88:89], v[71:72], v[98:99], v[88:89]
	v_add_f64 v[86:87], v[140:141], v[86:87]
	v_add_f64 v[2:3], v[2:3], v[96:97]
	s_clause 0x3
	buffer_load_dword v96, off, s[0:3], 0 offset:240
	buffer_load_dword v97, off, s[0:3], 0 offset:244
	;; [unrolled: 1-line block ×4, first 2 shown]
	s_waitcnt vmcnt(49) lgkmcnt(0)
	v_mul_f64 v[140:141], v[80:81], v[100:101]
	v_mul_f64 v[100:101], v[82:83], v[100:101]
	s_waitcnt vmcnt(48)
	v_fma_f64 v[92:93], v[76:77], v[94:95], -v[92:93]
	ds_read_b128 v[69:72], v1 offset:848
	v_fma_f64 v[73:74], v[78:79], v[94:95], v[73:74]
	ds_read_b128 v[76:79], v1 offset:864
	v_add_f64 v[86:87], v[86:87], v[90:91]
	v_add_f64 v[2:3], v[2:3], v[88:89]
	s_waitcnt vmcnt(47) lgkmcnt(1)
	v_mul_f64 v[90:91], v[71:72], v[102:103]
	s_waitcnt vmcnt(45)
	v_fma_f64 v[94:95], v[80:81], v[106:107], -v[100:101]
	v_mul_f64 v[88:89], v[69:70], v[102:103]
	s_waitcnt vmcnt(41) lgkmcnt(0)
	v_mul_f64 v[100:101], v[78:79], v[108:109]
	v_add_f64 v[86:87], v[86:87], v[92:93]
	v_fma_f64 v[92:93], v[82:83], v[106:107], v[140:141]
	v_add_f64 v[2:3], v[2:3], v[73:74]
	ds_read_b128 v[80:83], v1 offset:880
	s_waitcnt vmcnt(40)
	v_fma_f64 v[90:91], v[69:70], v[104:105], -v[90:91]
	v_mul_f64 v[73:74], v[76:77], v[108:109]
	v_fma_f64 v[88:89], v[71:72], v[104:105], v[88:89]
	ds_read_b128 v[69:72], v1 offset:896
	s_waitcnt vmcnt(37)
	v_fma_f64 v[100:101], v[76:77], v[114:115], -v[100:101]
	v_add_f64 v[86:87], v[86:87], v[94:95]
	s_waitcnt lgkmcnt(1)
	v_mul_f64 v[94:95], v[82:83], v[110:111]
	v_add_f64 v[2:3], v[2:3], v[92:93]
	v_mul_f64 v[92:93], v[80:81], v[110:111]
	v_fma_f64 v[73:74], v[78:79], v[114:115], v[73:74]
	ds_read_b128 v[76:79], v1 offset:912
	v_add_f64 v[86:87], v[86:87], v[90:91]
	s_waitcnt vmcnt(33) lgkmcnt(1)
	v_mul_f64 v[90:91], v[71:72], v[116:117]
	v_add_f64 v[2:3], v[2:3], v[88:89]
	s_waitcnt vmcnt(32)
	v_fma_f64 v[94:95], v[80:81], v[112:113], -v[94:95]
	v_mul_f64 v[88:89], v[69:70], v[116:117]
	v_fma_f64 v[92:93], v[82:83], v[112:113], v[92:93]
	ds_read_b128 v[80:83], v1 offset:928
	v_add_f64 v[86:87], v[86:87], v[100:101]
	s_waitcnt vmcnt(31) lgkmcnt(1)
	v_mul_f64 v[100:101], v[78:79], v[118:119]
	v_add_f64 v[2:3], v[2:3], v[73:74]
	s_waitcnt vmcnt(29)
	v_fma_f64 v[90:91], v[69:70], v[122:123], -v[90:91]
	;; [unrolled: 9-line block ×7, first 2 shown]
	v_mul_f64 v[88:89], v[69:70], v[142:143]
	v_fma_f64 v[82:83], v[82:83], v[136:137], v[92:93]
	v_add_f64 v[86:87], v[86:87], v[100:101]
	v_add_f64 v[2:3], v[2:3], v[73:74]
	s_waitcnt vmcnt(7) lgkmcnt(0)
	v_mul_f64 v[92:93], v[78:79], v[144:145]
	v_mul_f64 v[73:74], v[76:77], v[144:145]
	s_waitcnt vmcnt(5)
	v_fma_f64 v[69:70], v[69:70], v[84:85], -v[90:91]
	v_fma_f64 v[71:72], v[71:72], v[84:85], v[88:89]
	v_add_f64 v[80:81], v[86:87], v[80:81]
	v_add_f64 v[2:3], v[2:3], v[82:83]
	s_waitcnt vmcnt(4)
	v_fma_f64 v[76:77], v[76:77], v[146:147], -v[92:93]
	v_fma_f64 v[73:74], v[78:79], v[146:147], v[73:74]
	v_add_f64 v[69:70], v[80:81], v[69:70]
	v_add_f64 v[2:3], v[2:3], v[71:72]
	;; [unrolled: 1-line block ×4, first 2 shown]
	s_waitcnt vmcnt(2)
	v_add_f64 v[69:70], v[96:97], -v[69:70]
	s_waitcnt vmcnt(0)
	v_add_f64 v[2:3], v[98:99], -v[2:3]
	buffer_store_dword v70, off, s[0:3], 0 offset:244
	buffer_store_dword v69, off, s[0:3], 0 offset:240
	;; [unrolled: 1-line block ×4, first 2 shown]
	v_cmpx_lt_u32_e32 13, v0
	s_cbranch_execz .LBB31_179
; %bb.178:
	v_mov_b32_e32 v2, s30
	s_clause 0x3
	buffer_load_dword v69, v2, s[0:3], 0 offen
	buffer_load_dword v70, v2, s[0:3], 0 offen offset:4
	buffer_load_dword v71, v2, s[0:3], 0 offen offset:8
	buffer_load_dword v72, v2, s[0:3], 0 offen offset:12
	buffer_store_dword v1, off, s[0:3], 0 offset:224
	buffer_store_dword v1, off, s[0:3], 0 offset:228
	;; [unrolled: 1-line block ×4, first 2 shown]
	s_waitcnt vmcnt(0)
	ds_write_b128 v75, v[69:72]
.LBB31_179:
	s_or_b32 exec_lo, exec_lo, s4
	s_waitcnt lgkmcnt(0)
	s_waitcnt_vscnt null, 0x0
	s_barrier
	buffer_gl0_inv
	s_clause 0x37
	buffer_load_dword v2, off, s[0:3], 0 offset:248
	buffer_load_dword v3, off, s[0:3], 0 offset:252
	;; [unrolled: 1-line block ×56, first 2 shown]
	ds_read_b128 v[69:72], v1 offset:736
	s_clause 0x2
	buffer_load_dword v135, off, s[0:3], 0 offset:476
	buffer_load_dword v139, off, s[0:3], 0 offset:452
	;; [unrolled: 1-line block ×3, first 2 shown]
	ds_read_b128 v[76:79], v1 offset:752
	s_clause 0x4
	buffer_load_dword v143, off, s[0:3], 0 offset:492
	buffer_load_dword v144, off, s[0:3], 0 offset:504
	;; [unrolled: 1-line block ×5, first 2 shown]
	ds_read_b128 v[80:83], v1 offset:768
	s_mov_b32 s4, exec_lo
	s_waitcnt vmcnt(62) lgkmcnt(2)
	v_mul_f64 v[140:141], v[71:72], v[2:3]
	v_mul_f64 v[2:3], v[69:70], v[2:3]
	s_waitcnt vmcnt(60) lgkmcnt(1)
	v_mul_f64 v[147:148], v[78:79], v[73:74]
	v_mul_f64 v[73:74], v[76:77], v[73:74]
	;; [unrolled: 3-line block ×3, first 2 shown]
	v_fma_f64 v[140:141], v[69:70], v[84:85], -v[140:141]
	v_fma_f64 v[2:3], v[71:72], v[84:85], v[2:3]
	s_clause 0x2
	buffer_load_dword v145, off, s[0:3], 0 offset:508
	buffer_load_dword v85, off, s[0:3], 0 offset:484
	;; [unrolled: 1-line block ×3, first 2 shown]
	s_waitcnt vmcnt(57)
	v_fma_f64 v[151:152], v[76:77], v[88:89], -v[147:148]
	ds_read_b128 v[69:72], v1 offset:784
	v_fma_f64 v[73:74], v[78:79], v[88:89], v[73:74]
	s_clause 0x2
	buffer_load_dword v89, off, s[0:3], 0 offset:524
	buffer_load_dword v88, off, s[0:3], 0 offset:520
	;; [unrolled: 1-line block ×3, first 2 shown]
	s_waitcnt vmcnt(54)
	v_fma_f64 v[86:87], v[80:81], v[96:97], -v[86:87]
	ds_read_b128 v[76:79], v1 offset:800
	v_fma_f64 v[96:97], v[82:83], v[96:97], v[149:150]
	v_add_f64 v[140:141], v[140:141], 0
	v_add_f64 v[2:3], v[2:3], 0
	s_waitcnt lgkmcnt(1)
	v_mul_f64 v[153:154], v[69:70], v[90:91]
	v_mul_f64 v[90:91], v[71:72], v[90:91]
	s_waitcnt vmcnt(53) lgkmcnt(0)
	v_mul_f64 v[148:149], v[76:77], v[92:93]
	v_mul_f64 v[92:93], v[78:79], v[92:93]
	v_add_f64 v[140:141], v[140:141], v[151:152]
	v_add_f64 v[2:3], v[2:3], v[73:74]
	s_clause 0x1
	buffer_load_dword v74, off, s[0:3], 0 offset:516
	buffer_load_dword v73, off, s[0:3], 0 offset:512
	s_waitcnt vmcnt(53)
	v_fma_f64 v[90:91], v[69:70], v[98:99], -v[90:91]
	ds_read_b128 v[80:83], v1 offset:816
	v_fma_f64 v[98:99], v[71:72], v[98:99], v[153:154]
	ds_read_b128 v[69:72], v1 offset:832
	s_waitcnt vmcnt(48)
	v_fma_f64 v[92:93], v[76:77], v[94:95], -v[92:93]
	v_add_f64 v[86:87], v[140:141], v[86:87]
	v_add_f64 v[2:3], v[2:3], v[96:97]
	s_waitcnt lgkmcnt(1)
	v_mul_f64 v[96:97], v[80:81], v[100:101]
	v_mul_f64 v[100:101], v[82:83], v[100:101]
	s_waitcnt vmcnt(47) lgkmcnt(0)
	v_mul_f64 v[140:141], v[69:70], v[102:103]
	v_mul_f64 v[102:103], v[71:72], v[102:103]
	v_add_f64 v[86:87], v[86:87], v[90:91]
	v_fma_f64 v[90:91], v[78:79], v[94:95], v[148:149]
	v_add_f64 v[2:3], v[2:3], v[98:99]
	s_clause 0x3
	buffer_load_dword v94, off, s[0:3], 0 offset:224
	buffer_load_dword v95, off, s[0:3], 0 offset:228
	;; [unrolled: 1-line block ×4, first 2 shown]
	s_waitcnt vmcnt(49)
	v_fma_f64 v[100:101], v[80:81], v[106:107], -v[100:101]
	ds_read_b128 v[76:79], v1 offset:848
	s_waitcnt vmcnt(44)
	v_fma_f64 v[102:103], v[69:70], v[104:105], -v[102:103]
	v_add_f64 v[86:87], v[86:87], v[92:93]
	v_fma_f64 v[92:93], v[82:83], v[106:107], v[96:97]
	v_add_f64 v[2:3], v[2:3], v[90:91]
	ds_read_b128 v[80:83], v1 offset:864
	s_waitcnt lgkmcnt(1)
	v_mul_f64 v[96:97], v[78:79], v[108:109]
	v_mul_f64 v[90:91], v[76:77], v[108:109]
	v_add_f64 v[86:87], v[86:87], v[100:101]
	v_fma_f64 v[100:101], v[71:72], v[104:105], v[140:141]
	v_add_f64 v[2:3], v[2:3], v[92:93]
	s_waitcnt vmcnt(43) lgkmcnt(0)
	v_mul_f64 v[104:105], v[82:83], v[110:111]
	s_waitcnt vmcnt(41)
	v_fma_f64 v[96:97], v[76:77], v[114:115], -v[96:97]
	ds_read_b128 v[69:72], v1 offset:880
	v_mul_f64 v[92:93], v[80:81], v[110:111]
	v_fma_f64 v[90:91], v[78:79], v[114:115], v[90:91]
	ds_read_b128 v[76:79], v1 offset:896
	v_add_f64 v[86:87], v[86:87], v[102:103]
	v_add_f64 v[2:3], v[2:3], v[100:101]
	s_waitcnt vmcnt(37) lgkmcnt(1)
	v_mul_f64 v[102:103], v[71:72], v[116:117]
	s_waitcnt vmcnt(36)
	v_fma_f64 v[104:105], v[80:81], v[112:113], -v[104:105]
	v_mul_f64 v[100:101], v[69:70], v[116:117]
	v_fma_f64 v[92:93], v[82:83], v[112:113], v[92:93]
	ds_read_b128 v[80:83], v1 offset:912
	v_add_f64 v[86:87], v[86:87], v[96:97]
	s_waitcnt vmcnt(35) lgkmcnt(1)
	v_mul_f64 v[96:97], v[78:79], v[118:119]
	v_add_f64 v[2:3], v[2:3], v[90:91]
	s_waitcnt vmcnt(33)
	v_fma_f64 v[102:103], v[69:70], v[122:123], -v[102:103]
	v_mul_f64 v[90:91], v[76:77], v[118:119]
	v_fma_f64 v[100:101], v[71:72], v[122:123], v[100:101]
	ds_read_b128 v[69:72], v1 offset:928
	v_add_f64 v[86:87], v[86:87], v[104:105]
	s_waitcnt vmcnt(29) lgkmcnt(1)
	v_mul_f64 v[104:105], v[82:83], v[124:125]
	v_add_f64 v[2:3], v[2:3], v[92:93]
	;; [unrolled: 9-line block ×6, first 2 shown]
	s_waitcnt vmcnt(12)
	v_fma_f64 v[80:81], v[80:81], v[136:137], -v[104:105]
	v_mul_f64 v[100:101], v[69:70], v[142:143]
	v_fma_f64 v[82:83], v[82:83], v[136:137], v[92:93]
	v_add_f64 v[86:87], v[86:87], v[96:97]
	v_add_f64 v[90:91], v[2:3], v[90:91]
	ds_read_b128 v[1:4], v1 offset:1008
	s_waitcnt vmcnt(11) lgkmcnt(1)
	v_mul_f64 v[96:97], v[78:79], v[144:145]
	v_mul_f64 v[92:93], v[76:77], v[144:145]
	s_waitcnt vmcnt(9)
	v_fma_f64 v[69:70], v[69:70], v[84:85], -v[102:103]
	v_fma_f64 v[71:72], v[71:72], v[84:85], v[100:101]
	v_add_f64 v[80:81], v[86:87], v[80:81]
	s_waitcnt vmcnt(7) lgkmcnt(0)
	v_mul_f64 v[86:87], v[3:4], v[88:89]
	v_add_f64 v[82:83], v[90:91], v[82:83]
	v_mul_f64 v[84:85], v[1:2], v[88:89]
	s_waitcnt vmcnt(6)
	v_fma_f64 v[76:77], v[76:77], v[146:147], -v[96:97]
	v_fma_f64 v[78:79], v[78:79], v[146:147], v[92:93]
	v_add_f64 v[69:70], v[80:81], v[69:70]
	v_add_f64 v[71:72], v[82:83], v[71:72]
	s_waitcnt vmcnt(4)
	v_fma_f64 v[1:2], v[1:2], v[73:74], -v[86:87]
	v_fma_f64 v[3:4], v[3:4], v[73:74], v[84:85]
	v_add_f64 v[69:70], v[69:70], v[76:77]
	v_add_f64 v[71:72], v[71:72], v[78:79]
	;; [unrolled: 1-line block ×4, first 2 shown]
	s_waitcnt vmcnt(2)
	v_add_f64 v[1:2], v[94:95], -v[1:2]
	s_waitcnt vmcnt(0)
	v_add_f64 v[3:4], v[98:99], -v[3:4]
	buffer_store_dword v2, off, s[0:3], 0 offset:228
	buffer_store_dword v1, off, s[0:3], 0 offset:224
	;; [unrolled: 1-line block ×4, first 2 shown]
	v_cmpx_lt_u32_e32 12, v0
	s_cbranch_execz .LBB31_181
; %bb.180:
	v_mov_b32_e32 v4, s31
	v_mov_b32_e32 v69, 0
	s_clause 0x3
	buffer_load_dword v1, v4, s[0:3], 0 offen
	buffer_load_dword v2, v4, s[0:3], 0 offen offset:4
	buffer_load_dword v3, v4, s[0:3], 0 offen offset:8
	;; [unrolled: 1-line block ×3, first 2 shown]
	buffer_store_dword v69, off, s[0:3], 0 offset:208
	buffer_store_dword v69, off, s[0:3], 0 offset:212
	;; [unrolled: 1-line block ×4, first 2 shown]
	s_waitcnt vmcnt(0)
	ds_write_b128 v75, v[1:4]
.LBB31_181:
	s_or_b32 exec_lo, exec_lo, s4
	s_waitcnt lgkmcnt(0)
	s_waitcnt_vscnt null, 0x0
	s_barrier
	buffer_gl0_inv
	s_clause 0x37
	buffer_load_dword v2, off, s[0:3], 0 offset:232
	buffer_load_dword v3, off, s[0:3], 0 offset:236
	buffer_load_dword v73, off, s[0:3], 0 offset:248
	buffer_load_dword v74, off, s[0:3], 0 offset:252
	buffer_load_dword v84, off, s[0:3], 0 offset:224
	buffer_load_dword v85, off, s[0:3], 0 offset:228
	buffer_load_dword v86, off, s[0:3], 0 offset:264
	buffer_load_dword v87, off, s[0:3], 0 offset:268
	buffer_load_dword v88, off, s[0:3], 0 offset:240
	buffer_load_dword v89, off, s[0:3], 0 offset:244
	buffer_load_dword v91, off, s[0:3], 0 offset:284
	buffer_load_dword v92, off, s[0:3], 0 offset:296
	buffer_load_dword v94, off, s[0:3], 0 offset:288
	buffer_load_dword v90, off, s[0:3], 0 offset:280
	buffer_load_dword v96, off, s[0:3], 0 offset:256
	buffer_load_dword v97, off, s[0:3], 0 offset:260
	buffer_load_dword v93, off, s[0:3], 0 offset:300
	buffer_load_dword v99, off, s[0:3], 0 offset:276
	buffer_load_dword v98, off, s[0:3], 0 offset:272
	buffer_load_dword v101, off, s[0:3], 0 offset:316
	buffer_load_dword v102, off, s[0:3], 0 offset:328
	buffer_load_dword v104, off, s[0:3], 0 offset:320
	buffer_load_dword v100, off, s[0:3], 0 offset:312
	buffer_load_dword v95, off, s[0:3], 0 offset:292
	buffer_load_dword v103, off, s[0:3], 0 offset:332
	buffer_load_dword v107, off, s[0:3], 0 offset:308
	buffer_load_dword v106, off, s[0:3], 0 offset:304
	buffer_load_dword v109, off, s[0:3], 0 offset:348
	buffer_load_dword v110, off, s[0:3], 0 offset:360
	buffer_load_dword v112, off, s[0:3], 0 offset:352
	buffer_load_dword v108, off, s[0:3], 0 offset:344
	buffer_load_dword v105, off, s[0:3], 0 offset:324
	buffer_load_dword v111, off, s[0:3], 0 offset:364
	buffer_load_dword v115, off, s[0:3], 0 offset:340
	buffer_load_dword v114, off, s[0:3], 0 offset:336
	buffer_load_dword v117, off, s[0:3], 0 offset:380
	buffer_load_dword v118, off, s[0:3], 0 offset:392
	buffer_load_dword v120, off, s[0:3], 0 offset:384
	buffer_load_dword v116, off, s[0:3], 0 offset:376
	buffer_load_dword v113, off, s[0:3], 0 offset:356
	buffer_load_dword v119, off, s[0:3], 0 offset:396
	buffer_load_dword v123, off, s[0:3], 0 offset:372
	buffer_load_dword v122, off, s[0:3], 0 offset:368
	buffer_load_dword v125, off, s[0:3], 0 offset:412
	buffer_load_dword v126, off, s[0:3], 0 offset:424
	buffer_load_dword v128, off, s[0:3], 0 offset:416
	buffer_load_dword v124, off, s[0:3], 0 offset:408
	buffer_load_dword v121, off, s[0:3], 0 offset:388
	buffer_load_dword v127, off, s[0:3], 0 offset:428
	buffer_load_dword v131, off, s[0:3], 0 offset:404
	buffer_load_dword v130, off, s[0:3], 0 offset:400
	buffer_load_dword v133, off, s[0:3], 0 offset:444
	buffer_load_dword v134, off, s[0:3], 0 offset:456
	buffer_load_dword v136, off, s[0:3], 0 offset:448
	buffer_load_dword v132, off, s[0:3], 0 offset:440
	buffer_load_dword v129, off, s[0:3], 0 offset:420
	v_mov_b32_e32 v1, 0
	s_mov_b32 s4, exec_lo
	ds_read_b128 v[69:72], v1 offset:720
	s_clause 0x2
	buffer_load_dword v135, off, s[0:3], 0 offset:460
	buffer_load_dword v139, off, s[0:3], 0 offset:436
	;; [unrolled: 1-line block ×3, first 2 shown]
	ds_read_b128 v[76:79], v1 offset:736
	s_clause 0x4
	buffer_load_dword v143, off, s[0:3], 0 offset:476
	buffer_load_dword v144, off, s[0:3], 0 offset:488
	;; [unrolled: 1-line block ×5, first 2 shown]
	ds_read_b128 v[80:83], v1 offset:752
	s_waitcnt vmcnt(62) lgkmcnt(2)
	v_mul_f64 v[140:141], v[71:72], v[2:3]
	v_mul_f64 v[2:3], v[69:70], v[2:3]
	s_waitcnt vmcnt(60) lgkmcnt(1)
	v_mul_f64 v[147:148], v[78:79], v[73:74]
	v_mul_f64 v[73:74], v[76:77], v[73:74]
	;; [unrolled: 3-line block ×3, first 2 shown]
	v_fma_f64 v[140:141], v[69:70], v[84:85], -v[140:141]
	v_fma_f64 v[2:3], v[71:72], v[84:85], v[2:3]
	s_clause 0x2
	buffer_load_dword v145, off, s[0:3], 0 offset:492
	buffer_load_dword v85, off, s[0:3], 0 offset:468
	;; [unrolled: 1-line block ×3, first 2 shown]
	s_waitcnt vmcnt(57)
	v_fma_f64 v[151:152], v[76:77], v[88:89], -v[147:148]
	ds_read_b128 v[69:72], v1 offset:768
	v_fma_f64 v[73:74], v[78:79], v[88:89], v[73:74]
	s_clause 0x4
	buffer_load_dword v89, off, s[0:3], 0 offset:508
	buffer_load_dword v148, off, s[0:3], 0 offset:520
	;; [unrolled: 1-line block ×5, first 2 shown]
	s_waitcnt vmcnt(56)
	v_fma_f64 v[86:87], v[80:81], v[96:97], -v[86:87]
	ds_read_b128 v[76:79], v1 offset:784
	v_fma_f64 v[96:97], v[82:83], v[96:97], v[149:150]
	v_add_f64 v[140:141], v[140:141], 0
	v_add_f64 v[2:3], v[2:3], 0
	s_waitcnt lgkmcnt(1)
	v_mul_f64 v[154:155], v[69:70], v[90:91]
	v_mul_f64 v[90:91], v[71:72], v[90:91]
	v_add_f64 v[140:141], v[140:141], v[151:152]
	v_add_f64 v[2:3], v[2:3], v[73:74]
	s_clause 0x2
	buffer_load_dword v149, off, s[0:3], 0 offset:524
	buffer_load_dword v74, off, s[0:3], 0 offset:500
	;; [unrolled: 1-line block ×3, first 2 shown]
	s_waitcnt vmcnt(58) lgkmcnt(0)
	v_mul_f64 v[150:151], v[76:77], v[92:93]
	v_mul_f64 v[92:93], v[78:79], v[92:93]
	s_waitcnt vmcnt(56)
	v_fma_f64 v[90:91], v[69:70], v[98:99], -v[90:91]
	ds_read_b128 v[80:83], v1 offset:800
	v_fma_f64 v[98:99], v[71:72], v[98:99], v[154:155]
	buffer_load_dword v154, off, s[0:3], 0 offset:516
	ds_read_b128 v[69:72], v1 offset:816
	v_add_f64 v[86:87], v[140:141], v[86:87]
	v_add_f64 v[2:3], v[2:3], v[96:97]
	s_waitcnt vmcnt(53) lgkmcnt(1)
	v_mul_f64 v[96:97], v[80:81], v[100:101]
	v_mul_f64 v[100:101], v[82:83], v[100:101]
	s_waitcnt vmcnt(52)
	v_fma_f64 v[92:93], v[76:77], v[94:95], -v[92:93]
	v_add_f64 v[86:87], v[86:87], v[90:91]
	v_fma_f64 v[90:91], v[78:79], v[94:95], v[150:151]
	v_add_f64 v[2:3], v[2:3], v[98:99]
	s_waitcnt vmcnt(51) lgkmcnt(0)
	v_mul_f64 v[98:99], v[71:72], v[102:103]
	ds_read_b128 v[76:79], v1 offset:832
	s_waitcnt vmcnt(49)
	v_fma_f64 v[100:101], v[80:81], v[106:107], -v[100:101]
	v_mul_f64 v[94:95], v[69:70], v[102:103]
	v_add_f64 v[86:87], v[86:87], v[92:93]
	v_fma_f64 v[92:93], v[82:83], v[106:107], v[96:97]
	v_add_f64 v[2:3], v[2:3], v[90:91]
	s_clause 0x3
	buffer_load_dword v90, off, s[0:3], 0 offset:208
	buffer_load_dword v91, off, s[0:3], 0 offset:212
	;; [unrolled: 1-line block ×4, first 2 shown]
	s_waitcnt vmcnt(49) lgkmcnt(0)
	v_mul_f64 v[106:107], v[78:79], v[108:109]
	s_waitcnt vmcnt(48)
	v_fma_f64 v[98:99], v[69:70], v[104:105], -v[98:99]
	ds_read_b128 v[80:83], v1 offset:848
	v_mul_f64 v[102:103], v[76:77], v[108:109]
	v_fma_f64 v[94:95], v[71:72], v[104:105], v[94:95]
	ds_read_b128 v[69:72], v1 offset:864
	v_add_f64 v[86:87], v[86:87], v[100:101]
	v_add_f64 v[2:3], v[2:3], v[92:93]
	s_waitcnt vmcnt(47) lgkmcnt(1)
	v_mul_f64 v[100:101], v[82:83], v[110:111]
	s_waitcnt vmcnt(45)
	v_fma_f64 v[104:105], v[76:77], v[114:115], -v[106:107]
	v_mul_f64 v[92:93], v[80:81], v[110:111]
	v_add_f64 v[86:87], v[86:87], v[98:99]
	v_fma_f64 v[98:99], v[78:79], v[114:115], v[102:103]
	v_add_f64 v[2:3], v[2:3], v[94:95]
	s_waitcnt vmcnt(41) lgkmcnt(0)
	v_mul_f64 v[102:103], v[71:72], v[116:117]
	s_waitcnt vmcnt(40)
	v_fma_f64 v[100:101], v[80:81], v[112:113], -v[100:101]
	ds_read_b128 v[76:79], v1 offset:880
	v_mul_f64 v[94:95], v[69:70], v[116:117]
	v_fma_f64 v[92:93], v[82:83], v[112:113], v[92:93]
	ds_read_b128 v[80:83], v1 offset:896
	v_add_f64 v[86:87], v[86:87], v[104:105]
	v_add_f64 v[2:3], v[2:3], v[98:99]
	s_waitcnt vmcnt(39) lgkmcnt(1)
	v_mul_f64 v[104:105], v[78:79], v[118:119]
	s_waitcnt vmcnt(37)
	v_fma_f64 v[102:103], v[69:70], v[122:123], -v[102:103]
	v_mul_f64 v[98:99], v[76:77], v[118:119]
	v_fma_f64 v[94:95], v[71:72], v[122:123], v[94:95]
	ds_read_b128 v[69:72], v1 offset:912
	v_add_f64 v[86:87], v[86:87], v[100:101]
	s_waitcnt vmcnt(33) lgkmcnt(1)
	v_mul_f64 v[100:101], v[82:83], v[124:125]
	v_add_f64 v[2:3], v[2:3], v[92:93]
	s_waitcnt vmcnt(32)
	v_fma_f64 v[104:105], v[76:77], v[120:121], -v[104:105]
	v_mul_f64 v[92:93], v[80:81], v[124:125]
	v_fma_f64 v[98:99], v[78:79], v[120:121], v[98:99]
	ds_read_b128 v[76:79], v1 offset:928
	v_add_f64 v[86:87], v[86:87], v[102:103]
	s_waitcnt vmcnt(31) lgkmcnt(1)
	v_mul_f64 v[102:103], v[71:72], v[126:127]
	v_add_f64 v[2:3], v[2:3], v[94:95]
	s_waitcnt vmcnt(29)
	v_fma_f64 v[100:101], v[80:81], v[130:131], -v[100:101]
	v_mul_f64 v[94:95], v[69:70], v[126:127]
	v_fma_f64 v[92:93], v[82:83], v[130:131], v[92:93]
	ds_read_b128 v[80:83], v1 offset:944
	v_add_f64 v[86:87], v[86:87], v[104:105]
	s_waitcnt vmcnt(25) lgkmcnt(1)
	v_mul_f64 v[104:105], v[78:79], v[132:133]
	v_add_f64 v[2:3], v[2:3], v[98:99]
	s_waitcnt vmcnt(24)
	v_fma_f64 v[102:103], v[69:70], v[128:129], -v[102:103]
	v_mul_f64 v[98:99], v[76:77], v[132:133]
	v_fma_f64 v[94:95], v[71:72], v[128:129], v[94:95]
	ds_read_b128 v[69:72], v1 offset:960
	v_add_f64 v[86:87], v[86:87], v[100:101]
	s_waitcnt vmcnt(23) lgkmcnt(1)
	v_mul_f64 v[100:101], v[82:83], v[134:135]
	v_add_f64 v[2:3], v[2:3], v[92:93]
	s_waitcnt vmcnt(21)
	v_fma_f64 v[104:105], v[76:77], v[138:139], -v[104:105]
	v_mul_f64 v[92:93], v[80:81], v[134:135]
	v_fma_f64 v[98:99], v[78:79], v[138:139], v[98:99]
	ds_read_b128 v[76:79], v1 offset:976
	v_add_f64 v[86:87], v[86:87], v[102:103]
	s_waitcnt vmcnt(17) lgkmcnt(1)
	v_mul_f64 v[102:103], v[71:72], v[142:143]
	v_add_f64 v[2:3], v[2:3], v[94:95]
	s_waitcnt vmcnt(16)
	v_fma_f64 v[100:101], v[80:81], v[136:137], -v[100:101]
	v_mul_f64 v[94:95], v[69:70], v[142:143]
	v_fma_f64 v[92:93], v[82:83], v[136:137], v[92:93]
	ds_read_b128 v[80:83], v1 offset:992
	v_add_f64 v[86:87], v[86:87], v[104:105]
	v_add_f64 v[2:3], v[2:3], v[98:99]
	s_waitcnt vmcnt(15) lgkmcnt(1)
	v_mul_f64 v[104:105], v[78:79], v[144:145]
	v_mul_f64 v[98:99], v[76:77], v[144:145]
	s_waitcnt vmcnt(13)
	v_fma_f64 v[102:103], v[69:70], v[84:85], -v[102:103]
	v_fma_f64 v[84:85], v[71:72], v[84:85], v[94:95]
	ds_read_b128 v[69:72], v1 offset:1008
	v_add_f64 v[86:87], v[86:87], v[100:101]
	v_add_f64 v[2:3], v[2:3], v[92:93]
	s_waitcnt vmcnt(9) lgkmcnt(1)
	v_mul_f64 v[92:93], v[80:81], v[88:89]
	v_mul_f64 v[88:89], v[82:83], v[88:89]
	s_waitcnt vmcnt(8)
	v_fma_f64 v[76:77], v[76:77], v[146:147], -v[104:105]
	v_fma_f64 v[78:79], v[78:79], v[146:147], v[98:99]
	v_add_f64 v[86:87], v[86:87], v[102:103]
	v_add_f64 v[2:3], v[2:3], v[84:85]
	s_waitcnt vmcnt(7) lgkmcnt(0)
	v_mul_f64 v[94:95], v[71:72], v[148:149]
	v_mul_f64 v[84:85], v[69:70], v[148:149]
	s_waitcnt vmcnt(5)
	v_fma_f64 v[80:81], v[80:81], v[73:74], -v[88:89]
	v_fma_f64 v[73:74], v[82:83], v[73:74], v[92:93]
	v_add_f64 v[76:77], v[86:87], v[76:77]
	v_add_f64 v[2:3], v[2:3], v[78:79]
	s_waitcnt vmcnt(4)
	v_fma_f64 v[69:70], v[69:70], v[153:154], -v[94:95]
	v_fma_f64 v[71:72], v[71:72], v[153:154], v[84:85]
	v_add_f64 v[76:77], v[76:77], v[80:81]
	v_add_f64 v[2:3], v[2:3], v[73:74]
	;; [unrolled: 1-line block ×4, first 2 shown]
	s_waitcnt vmcnt(2)
	v_add_f64 v[69:70], v[90:91], -v[69:70]
	s_waitcnt vmcnt(0)
	v_add_f64 v[2:3], v[96:97], -v[2:3]
	buffer_store_dword v70, off, s[0:3], 0 offset:212
	buffer_store_dword v69, off, s[0:3], 0 offset:208
	;; [unrolled: 1-line block ×4, first 2 shown]
	v_cmpx_lt_u32_e32 11, v0
	s_cbranch_execz .LBB31_183
; %bb.182:
	v_mov_b32_e32 v2, s33
	s_clause 0x3
	buffer_load_dword v69, v2, s[0:3], 0 offen
	buffer_load_dword v70, v2, s[0:3], 0 offen offset:4
	buffer_load_dword v71, v2, s[0:3], 0 offen offset:8
	;; [unrolled: 1-line block ×3, first 2 shown]
	buffer_store_dword v1, off, s[0:3], 0 offset:192
	buffer_store_dword v1, off, s[0:3], 0 offset:196
	;; [unrolled: 1-line block ×4, first 2 shown]
	s_waitcnt vmcnt(0)
	ds_write_b128 v75, v[69:72]
.LBB31_183:
	s_or_b32 exec_lo, exec_lo, s4
	s_waitcnt lgkmcnt(0)
	s_waitcnt_vscnt null, 0x0
	s_barrier
	buffer_gl0_inv
	s_clause 0x37
	buffer_load_dword v2, off, s[0:3], 0 offset:216
	buffer_load_dword v3, off, s[0:3], 0 offset:220
	;; [unrolled: 1-line block ×56, first 2 shown]
	ds_read_b128 v[69:72], v1 offset:704
	s_clause 0x2
	buffer_load_dword v135, off, s[0:3], 0 offset:444
	buffer_load_dword v139, off, s[0:3], 0 offset:420
	;; [unrolled: 1-line block ×3, first 2 shown]
	ds_read_b128 v[76:79], v1 offset:720
	s_clause 0x4
	buffer_load_dword v143, off, s[0:3], 0 offset:460
	buffer_load_dword v144, off, s[0:3], 0 offset:472
	;; [unrolled: 1-line block ×5, first 2 shown]
	ds_read_b128 v[80:83], v1 offset:736
	s_mov_b32 s4, exec_lo
	s_waitcnt vmcnt(62) lgkmcnt(2)
	v_mul_f64 v[140:141], v[71:72], v[2:3]
	v_mul_f64 v[2:3], v[69:70], v[2:3]
	s_waitcnt vmcnt(60) lgkmcnt(1)
	v_mul_f64 v[147:148], v[78:79], v[73:74]
	v_mul_f64 v[73:74], v[76:77], v[73:74]
	;; [unrolled: 3-line block ×3, first 2 shown]
	v_fma_f64 v[140:141], v[69:70], v[84:85], -v[140:141]
	v_fma_f64 v[2:3], v[71:72], v[84:85], v[2:3]
	s_clause 0x2
	buffer_load_dword v145, off, s[0:3], 0 offset:476
	buffer_load_dword v85, off, s[0:3], 0 offset:452
	;; [unrolled: 1-line block ×3, first 2 shown]
	s_waitcnt vmcnt(57)
	v_fma_f64 v[151:152], v[76:77], v[88:89], -v[147:148]
	ds_read_b128 v[69:72], v1 offset:752
	v_fma_f64 v[73:74], v[78:79], v[88:89], v[73:74]
	s_clause 0x4
	buffer_load_dword v89, off, s[0:3], 0 offset:492
	buffer_load_dword v148, off, s[0:3], 0 offset:504
	;; [unrolled: 1-line block ×5, first 2 shown]
	s_waitcnt vmcnt(56)
	v_fma_f64 v[86:87], v[80:81], v[96:97], -v[86:87]
	ds_read_b128 v[76:79], v1 offset:768
	v_fma_f64 v[96:97], v[82:83], v[96:97], v[149:150]
	v_add_f64 v[140:141], v[140:141], 0
	v_add_f64 v[2:3], v[2:3], 0
	s_waitcnt lgkmcnt(1)
	v_mul_f64 v[154:155], v[69:70], v[90:91]
	v_mul_f64 v[90:91], v[71:72], v[90:91]
	v_add_f64 v[140:141], v[140:141], v[151:152]
	v_add_f64 v[2:3], v[2:3], v[73:74]
	s_clause 0x2
	buffer_load_dword v149, off, s[0:3], 0 offset:508
	buffer_load_dword v74, off, s[0:3], 0 offset:484
	;; [unrolled: 1-line block ×3, first 2 shown]
	s_waitcnt vmcnt(58) lgkmcnt(0)
	v_mul_f64 v[150:151], v[76:77], v[92:93]
	v_mul_f64 v[92:93], v[78:79], v[92:93]
	s_waitcnt vmcnt(56)
	v_fma_f64 v[90:91], v[69:70], v[98:99], -v[90:91]
	ds_read_b128 v[80:83], v1 offset:784
	v_fma_f64 v[98:99], v[71:72], v[98:99], v[154:155]
	v_add_f64 v[86:87], v[140:141], v[86:87]
	v_add_f64 v[2:3], v[2:3], v[96:97]
	s_clause 0x2
	buffer_load_dword v97, off, s[0:3], 0 offset:524
	buffer_load_dword v96, off, s[0:3], 0 offset:520
	;; [unrolled: 1-line block ×3, first 2 shown]
	ds_read_b128 v[69:72], v1 offset:800
	s_waitcnt vmcnt(55) lgkmcnt(1)
	v_mul_f64 v[140:141], v[80:81], v[100:101]
	v_mul_f64 v[100:101], v[82:83], v[100:101]
	s_waitcnt vmcnt(54)
	v_fma_f64 v[92:93], v[76:77], v[94:95], -v[92:93]
	v_add_f64 v[86:87], v[86:87], v[90:91]
	v_fma_f64 v[90:91], v[78:79], v[94:95], v[150:151]
	v_add_f64 v[2:3], v[2:3], v[98:99]
	s_clause 0x1
	buffer_load_dword v95, off, s[0:3], 0 offset:516
	buffer_load_dword v94, off, s[0:3], 0 offset:512
	s_waitcnt vmcnt(55) lgkmcnt(0)
	v_mul_f64 v[98:99], v[69:70], v[102:103]
	v_mul_f64 v[102:103], v[71:72], v[102:103]
	s_waitcnt vmcnt(53)
	v_fma_f64 v[100:101], v[80:81], v[106:107], -v[100:101]
	ds_read_b128 v[76:79], v1 offset:816
	v_add_f64 v[86:87], v[86:87], v[92:93]
	v_fma_f64 v[92:93], v[82:83], v[106:107], v[140:141]
	v_add_f64 v[2:3], v[2:3], v[90:91]
	ds_read_b128 v[80:83], v1 offset:832
	s_waitcnt vmcnt(48)
	v_fma_f64 v[98:99], v[71:72], v[104:105], v[98:99]
	s_waitcnt lgkmcnt(1)
	v_mul_f64 v[106:107], v[78:79], v[108:109]
	v_fma_f64 v[102:103], v[69:70], v[104:105], -v[102:103]
	v_mul_f64 v[90:91], v[76:77], v[108:109]
	v_add_f64 v[86:87], v[86:87], v[100:101]
	s_waitcnt vmcnt(47) lgkmcnt(0)
	v_mul_f64 v[108:109], v[82:83], v[110:111]
	v_add_f64 v[2:3], v[2:3], v[92:93]
	s_clause 0x3
	buffer_load_dword v92, off, s[0:3], 0 offset:192
	buffer_load_dword v93, off, s[0:3], 0 offset:196
	;; [unrolled: 1-line block ×4, first 2 shown]
	ds_read_b128 v[69:72], v1 offset:848
	s_waitcnt vmcnt(49)
	v_fma_f64 v[106:107], v[76:77], v[114:115], -v[106:107]
	v_mul_f64 v[104:105], v[80:81], v[110:111]
	v_fma_f64 v[90:91], v[78:79], v[114:115], v[90:91]
	ds_read_b128 v[76:79], v1 offset:864
	v_add_f64 v[86:87], v[86:87], v[102:103]
	s_waitcnt vmcnt(44)
	v_fma_f64 v[108:109], v[80:81], v[112:113], -v[108:109]
	v_add_f64 v[2:3], v[2:3], v[98:99]
	s_waitcnt lgkmcnt(1)
	v_mul_f64 v[102:103], v[71:72], v[116:117]
	v_mul_f64 v[98:99], v[69:70], v[116:117]
	v_fma_f64 v[104:105], v[82:83], v[112:113], v[104:105]
	ds_read_b128 v[80:83], v1 offset:880
	v_add_f64 v[86:87], v[86:87], v[106:107]
	s_waitcnt vmcnt(43) lgkmcnt(1)
	v_mul_f64 v[106:107], v[78:79], v[118:119]
	v_add_f64 v[2:3], v[2:3], v[90:91]
	s_waitcnt vmcnt(41)
	v_fma_f64 v[102:103], v[69:70], v[122:123], -v[102:103]
	v_mul_f64 v[90:91], v[76:77], v[118:119]
	v_fma_f64 v[98:99], v[71:72], v[122:123], v[98:99]
	ds_read_b128 v[69:72], v1 offset:896
	v_add_f64 v[86:87], v[86:87], v[108:109]
	s_waitcnt vmcnt(37) lgkmcnt(1)
	v_mul_f64 v[108:109], v[82:83], v[124:125]
	v_add_f64 v[2:3], v[2:3], v[104:105]
	s_waitcnt vmcnt(36)
	v_fma_f64 v[106:107], v[76:77], v[120:121], -v[106:107]
	;; [unrolled: 9-line block ×6, first 2 shown]
	v_mul_f64 v[98:99], v[69:70], v[142:143]
	v_fma_f64 v[104:105], v[82:83], v[136:137], v[104:105]
	ds_read_b128 v[80:83], v1 offset:976
	v_add_f64 v[86:87], v[86:87], v[106:107]
	v_add_f64 v[2:3], v[2:3], v[90:91]
	s_waitcnt vmcnt(19) lgkmcnt(1)
	v_mul_f64 v[106:107], v[78:79], v[144:145]
	v_mul_f64 v[90:91], v[76:77], v[144:145]
	s_waitcnt vmcnt(17)
	v_fma_f64 v[102:103], v[69:70], v[84:85], -v[102:103]
	v_fma_f64 v[84:85], v[71:72], v[84:85], v[98:99]
	ds_read_b128 v[69:72], v1 offset:992
	s_waitcnt vmcnt(13) lgkmcnt(1)
	v_mul_f64 v[98:99], v[80:81], v[88:89]
	v_mul_f64 v[88:89], v[82:83], v[88:89]
	v_add_f64 v[86:87], v[86:87], v[108:109]
	v_add_f64 v[2:3], v[2:3], v[104:105]
	s_waitcnt vmcnt(12)
	v_fma_f64 v[76:77], v[76:77], v[146:147], -v[106:107]
	v_fma_f64 v[78:79], v[78:79], v[146:147], v[90:91]
	v_add_f64 v[86:87], v[86:87], v[102:103]
	v_add_f64 v[84:85], v[2:3], v[84:85]
	ds_read_b128 v[1:4], v1 offset:1008
	s_waitcnt vmcnt(11) lgkmcnt(1)
	v_mul_f64 v[102:103], v[71:72], v[148:149]
	v_mul_f64 v[90:91], v[69:70], v[148:149]
	s_waitcnt vmcnt(9)
	v_fma_f64 v[80:81], v[80:81], v[73:74], -v[88:89]
	v_fma_f64 v[73:74], v[82:83], v[73:74], v[98:99]
	v_add_f64 v[76:77], v[86:87], v[76:77]
	v_add_f64 v[78:79], v[84:85], v[78:79]
	s_waitcnt vmcnt(7) lgkmcnt(0)
	v_mul_f64 v[84:85], v[3:4], v[96:97]
	s_waitcnt vmcnt(6)
	v_fma_f64 v[69:70], v[69:70], v[153:154], -v[102:103]
	v_mul_f64 v[82:83], v[1:2], v[96:97]
	v_fma_f64 v[71:72], v[71:72], v[153:154], v[90:91]
	v_add_f64 v[76:77], v[76:77], v[80:81]
	v_add_f64 v[73:74], v[78:79], v[73:74]
	s_waitcnt vmcnt(4)
	v_fma_f64 v[1:2], v[1:2], v[94:95], -v[84:85]
	v_fma_f64 v[3:4], v[3:4], v[94:95], v[82:83]
	v_add_f64 v[69:70], v[76:77], v[69:70]
	v_add_f64 v[71:72], v[73:74], v[71:72]
	;; [unrolled: 1-line block ×4, first 2 shown]
	s_waitcnt vmcnt(2)
	v_add_f64 v[1:2], v[92:93], -v[1:2]
	s_waitcnt vmcnt(0)
	v_add_f64 v[3:4], v[100:101], -v[3:4]
	buffer_store_dword v2, off, s[0:3], 0 offset:196
	buffer_store_dword v1, off, s[0:3], 0 offset:192
	buffer_store_dword v4, off, s[0:3], 0 offset:204
	buffer_store_dword v3, off, s[0:3], 0 offset:200
	v_cmpx_lt_u32_e32 10, v0
	s_cbranch_execz .LBB31_185
; %bb.184:
	v_mov_b32_e32 v4, s34
	v_mov_b32_e32 v69, 0
	s_clause 0x3
	buffer_load_dword v1, v4, s[0:3], 0 offen
	buffer_load_dword v2, v4, s[0:3], 0 offen offset:4
	buffer_load_dword v3, v4, s[0:3], 0 offen offset:8
	;; [unrolled: 1-line block ×3, first 2 shown]
	buffer_store_dword v69, off, s[0:3], 0 offset:176
	buffer_store_dword v69, off, s[0:3], 0 offset:180
	;; [unrolled: 1-line block ×4, first 2 shown]
	s_waitcnt vmcnt(0)
	ds_write_b128 v75, v[1:4]
.LBB31_185:
	s_or_b32 exec_lo, exec_lo, s4
	s_waitcnt lgkmcnt(0)
	s_waitcnt_vscnt null, 0x0
	s_barrier
	buffer_gl0_inv
	s_clause 0x37
	buffer_load_dword v2, off, s[0:3], 0 offset:200
	buffer_load_dword v3, off, s[0:3], 0 offset:204
	;; [unrolled: 1-line block ×56, first 2 shown]
	v_mov_b32_e32 v1, 0
	s_mov_b32 s4, exec_lo
	ds_read_b128 v[69:72], v1 offset:688
	s_clause 0x2
	buffer_load_dword v135, off, s[0:3], 0 offset:428
	buffer_load_dword v139, off, s[0:3], 0 offset:404
	;; [unrolled: 1-line block ×3, first 2 shown]
	ds_read_b128 v[76:79], v1 offset:704
	s_clause 0x4
	buffer_load_dword v143, off, s[0:3], 0 offset:444
	buffer_load_dword v144, off, s[0:3], 0 offset:456
	;; [unrolled: 1-line block ×5, first 2 shown]
	ds_read_b128 v[80:83], v1 offset:720
	s_waitcnt vmcnt(62) lgkmcnt(2)
	v_mul_f64 v[140:141], v[71:72], v[2:3]
	v_mul_f64 v[2:3], v[69:70], v[2:3]
	s_waitcnt vmcnt(60) lgkmcnt(1)
	v_mul_f64 v[147:148], v[78:79], v[73:74]
	v_mul_f64 v[73:74], v[76:77], v[73:74]
	;; [unrolled: 3-line block ×3, first 2 shown]
	v_fma_f64 v[140:141], v[69:70], v[84:85], -v[140:141]
	v_fma_f64 v[2:3], v[71:72], v[84:85], v[2:3]
	s_clause 0x2
	buffer_load_dword v145, off, s[0:3], 0 offset:460
	buffer_load_dword v85, off, s[0:3], 0 offset:436
	;; [unrolled: 1-line block ×3, first 2 shown]
	s_waitcnt vmcnt(57)
	v_fma_f64 v[151:152], v[76:77], v[88:89], -v[147:148]
	ds_read_b128 v[69:72], v1 offset:736
	v_fma_f64 v[73:74], v[78:79], v[88:89], v[73:74]
	s_clause 0x4
	buffer_load_dword v89, off, s[0:3], 0 offset:476
	buffer_load_dword v148, off, s[0:3], 0 offset:488
	;; [unrolled: 1-line block ×5, first 2 shown]
	s_waitcnt vmcnt(56)
	v_fma_f64 v[86:87], v[80:81], v[96:97], -v[86:87]
	ds_read_b128 v[76:79], v1 offset:752
	v_fma_f64 v[96:97], v[82:83], v[96:97], v[149:150]
	v_add_f64 v[140:141], v[140:141], 0
	v_add_f64 v[2:3], v[2:3], 0
	s_waitcnt lgkmcnt(1)
	v_mul_f64 v[154:155], v[69:70], v[90:91]
	v_mul_f64 v[90:91], v[71:72], v[90:91]
	v_add_f64 v[140:141], v[140:141], v[151:152]
	v_add_f64 v[2:3], v[2:3], v[73:74]
	s_clause 0x2
	buffer_load_dword v149, off, s[0:3], 0 offset:492
	buffer_load_dword v74, off, s[0:3], 0 offset:468
	;; [unrolled: 1-line block ×3, first 2 shown]
	s_waitcnt vmcnt(58) lgkmcnt(0)
	v_mul_f64 v[150:151], v[76:77], v[92:93]
	v_mul_f64 v[92:93], v[78:79], v[92:93]
	s_waitcnt vmcnt(56)
	v_fma_f64 v[90:91], v[69:70], v[98:99], -v[90:91]
	ds_read_b128 v[80:83], v1 offset:768
	v_fma_f64 v[98:99], v[71:72], v[98:99], v[154:155]
	v_add_f64 v[86:87], v[140:141], v[86:87]
	v_add_f64 v[2:3], v[2:3], v[96:97]
	s_clause 0x4
	buffer_load_dword v97, off, s[0:3], 0 offset:508
	buffer_load_dword v140, off, s[0:3], 0 offset:520
	;; [unrolled: 1-line block ×5, first 2 shown]
	ds_read_b128 v[69:72], v1 offset:784
	s_waitcnt vmcnt(57) lgkmcnt(1)
	v_mul_f64 v[156:157], v[80:81], v[100:101]
	v_mul_f64 v[100:101], v[82:83], v[100:101]
	s_waitcnt vmcnt(56)
	v_fma_f64 v[92:93], v[76:77], v[94:95], -v[92:93]
	v_add_f64 v[86:87], v[86:87], v[90:91]
	v_fma_f64 v[90:91], v[78:79], v[94:95], v[150:151]
	v_add_f64 v[2:3], v[2:3], v[98:99]
	s_clause 0x2
	buffer_load_dword v141, off, s[0:3], 0 offset:524
	buffer_load_dword v95, off, s[0:3], 0 offset:500
	;; [unrolled: 1-line block ×3, first 2 shown]
	s_waitcnt vmcnt(58) lgkmcnt(0)
	v_mul_f64 v[98:99], v[69:70], v[102:103]
	v_mul_f64 v[102:103], v[71:72], v[102:103]
	s_waitcnt vmcnt(56)
	v_fma_f64 v[100:101], v[80:81], v[106:107], -v[100:101]
	ds_read_b128 v[76:79], v1 offset:800
	v_add_f64 v[86:87], v[86:87], v[92:93]
	v_fma_f64 v[92:93], v[82:83], v[106:107], v[156:157]
	v_add_f64 v[2:3], v[2:3], v[90:91]
	buffer_load_dword v156, off, s[0:3], 0 offset:516
	ds_read_b128 v[80:83], v1 offset:816
	s_waitcnt vmcnt(53) lgkmcnt(1)
	v_mul_f64 v[106:107], v[78:79], v[108:109]
	s_waitcnt vmcnt(52)
	v_fma_f64 v[102:103], v[69:70], v[104:105], -v[102:103]
	v_mul_f64 v[90:91], v[76:77], v[108:109]
	v_fma_f64 v[98:99], v[71:72], v[104:105], v[98:99]
	ds_read_b128 v[69:72], v1 offset:832
	v_add_f64 v[86:87], v[86:87], v[100:101]
	v_add_f64 v[2:3], v[2:3], v[92:93]
	s_waitcnt vmcnt(51) lgkmcnt(1)
	v_mul_f64 v[100:101], v[82:83], v[110:111]
	v_mul_f64 v[92:93], v[80:81], v[110:111]
	s_waitcnt vmcnt(49)
	v_fma_f64 v[104:105], v[76:77], v[114:115], -v[106:107]
	v_fma_f64 v[90:91], v[78:79], v[114:115], v[90:91]
	s_waitcnt vmcnt(45) lgkmcnt(0)
	v_mul_f64 v[108:109], v[71:72], v[116:117]
	v_mul_f64 v[106:107], v[69:70], v[116:117]
	v_add_f64 v[86:87], v[86:87], v[102:103]
	v_add_f64 v[2:3], v[2:3], v[98:99]
	s_clause 0x3
	buffer_load_dword v98, off, s[0:3], 0 offset:176
	buffer_load_dword v99, off, s[0:3], 0 offset:180
	;; [unrolled: 1-line block ×4, first 2 shown]
	s_waitcnt vmcnt(48)
	v_fma_f64 v[100:101], v[80:81], v[112:113], -v[100:101]
	ds_read_b128 v[76:79], v1 offset:848
	v_fma_f64 v[92:93], v[82:83], v[112:113], v[92:93]
	ds_read_b128 v[80:83], v1 offset:864
	s_waitcnt vmcnt(45)
	v_fma_f64 v[108:109], v[69:70], v[122:123], -v[108:109]
	v_add_f64 v[86:87], v[86:87], v[104:105]
	v_add_f64 v[2:3], v[2:3], v[90:91]
	s_waitcnt lgkmcnt(1)
	v_mul_f64 v[104:105], v[78:79], v[118:119]
	v_mul_f64 v[90:91], v[76:77], v[118:119]
	v_add_f64 v[86:87], v[86:87], v[100:101]
	v_fma_f64 v[100:101], v[71:72], v[122:123], v[106:107]
	v_add_f64 v[2:3], v[2:3], v[92:93]
	s_waitcnt vmcnt(41) lgkmcnt(0)
	v_mul_f64 v[106:107], v[82:83], v[124:125]
	s_waitcnt vmcnt(40)
	v_fma_f64 v[104:105], v[76:77], v[120:121], -v[104:105]
	ds_read_b128 v[69:72], v1 offset:880
	v_mul_f64 v[92:93], v[80:81], v[124:125]
	v_fma_f64 v[90:91], v[78:79], v[120:121], v[90:91]
	ds_read_b128 v[76:79], v1 offset:896
	v_add_f64 v[86:87], v[86:87], v[108:109]
	v_add_f64 v[2:3], v[2:3], v[100:101]
	s_waitcnt vmcnt(39) lgkmcnt(1)
	v_mul_f64 v[108:109], v[71:72], v[126:127]
	s_waitcnt vmcnt(37)
	v_fma_f64 v[106:107], v[80:81], v[130:131], -v[106:107]
	v_mul_f64 v[100:101], v[69:70], v[126:127]
	v_fma_f64 v[92:93], v[82:83], v[130:131], v[92:93]
	ds_read_b128 v[80:83], v1 offset:912
	v_add_f64 v[86:87], v[86:87], v[104:105]
	s_waitcnt vmcnt(33) lgkmcnt(1)
	v_mul_f64 v[104:105], v[78:79], v[132:133]
	v_add_f64 v[2:3], v[2:3], v[90:91]
	s_waitcnt vmcnt(32)
	v_fma_f64 v[108:109], v[69:70], v[128:129], -v[108:109]
	v_mul_f64 v[90:91], v[76:77], v[132:133]
	v_fma_f64 v[100:101], v[71:72], v[128:129], v[100:101]
	ds_read_b128 v[69:72], v1 offset:928
	v_add_f64 v[86:87], v[86:87], v[106:107]
	s_waitcnt vmcnt(31) lgkmcnt(1)
	v_mul_f64 v[106:107], v[82:83], v[134:135]
	v_add_f64 v[2:3], v[2:3], v[92:93]
	;; [unrolled: 9-line block ×3, first 2 shown]
	s_waitcnt vmcnt(24)
	v_fma_f64 v[106:107], v[80:81], v[136:137], -v[106:107]
	v_mul_f64 v[100:101], v[69:70], v[142:143]
	v_fma_f64 v[92:93], v[82:83], v[136:137], v[92:93]
	ds_read_b128 v[80:83], v1 offset:960
	v_add_f64 v[86:87], v[86:87], v[104:105]
	v_add_f64 v[2:3], v[2:3], v[90:91]
	s_waitcnt vmcnt(23) lgkmcnt(1)
	v_mul_f64 v[104:105], v[78:79], v[144:145]
	v_mul_f64 v[90:91], v[76:77], v[144:145]
	s_waitcnt vmcnt(21)
	v_fma_f64 v[108:109], v[69:70], v[84:85], -v[108:109]
	v_fma_f64 v[84:85], v[71:72], v[84:85], v[100:101]
	ds_read_b128 v[69:72], v1 offset:976
	v_add_f64 v[86:87], v[86:87], v[106:107]
	v_add_f64 v[2:3], v[2:3], v[92:93]
	s_waitcnt vmcnt(17) lgkmcnt(1)
	v_mul_f64 v[92:93], v[80:81], v[88:89]
	v_mul_f64 v[88:89], v[82:83], v[88:89]
	s_waitcnt vmcnt(16)
	v_fma_f64 v[100:101], v[76:77], v[146:147], -v[104:105]
	;; [unrolled: 9-line block ×3, first 2 shown]
	v_fma_f64 v[73:74], v[82:83], v[73:74], v[92:93]
	ds_read_b128 v[80:83], v1 offset:1008
	v_add_f64 v[86:87], v[86:87], v[100:101]
	v_add_f64 v[2:3], v[2:3], v[90:91]
	s_waitcnt vmcnt(9) lgkmcnt(1)
	v_mul_f64 v[92:93], v[78:79], v[96:97]
	s_waitcnt vmcnt(8)
	v_fma_f64 v[69:70], v[69:70], v[153:154], -v[104:105]
	v_mul_f64 v[90:91], v[76:77], v[96:97]
	v_fma_f64 v[71:72], v[71:72], v[153:154], v[84:85]
	v_add_f64 v[86:87], v[86:87], v[88:89]
	v_add_f64 v[2:3], v[2:3], v[73:74]
	s_waitcnt vmcnt(7) lgkmcnt(0)
	v_mul_f64 v[84:85], v[82:83], v[140:141]
	v_mul_f64 v[73:74], v[80:81], v[140:141]
	s_waitcnt vmcnt(5)
	v_fma_f64 v[76:77], v[76:77], v[94:95], -v[92:93]
	v_fma_f64 v[78:79], v[78:79], v[94:95], v[90:91]
	v_add_f64 v[69:70], v[86:87], v[69:70]
	v_add_f64 v[2:3], v[2:3], v[71:72]
	s_waitcnt vmcnt(4)
	v_fma_f64 v[71:72], v[80:81], v[155:156], -v[84:85]
	v_fma_f64 v[73:74], v[82:83], v[155:156], v[73:74]
	v_add_f64 v[69:70], v[69:70], v[76:77]
	v_add_f64 v[2:3], v[2:3], v[78:79]
	;; [unrolled: 1-line block ×4, first 2 shown]
	s_waitcnt vmcnt(2)
	v_add_f64 v[69:70], v[98:99], -v[69:70]
	s_waitcnt vmcnt(0)
	v_add_f64 v[2:3], v[102:103], -v[2:3]
	buffer_store_dword v70, off, s[0:3], 0 offset:180
	buffer_store_dword v69, off, s[0:3], 0 offset:176
	;; [unrolled: 1-line block ×4, first 2 shown]
	v_cmpx_lt_u32_e32 9, v0
	s_cbranch_execz .LBB31_187
; %bb.186:
	v_mov_b32_e32 v2, s35
	s_clause 0x3
	buffer_load_dword v69, v2, s[0:3], 0 offen
	buffer_load_dword v70, v2, s[0:3], 0 offen offset:4
	buffer_load_dword v71, v2, s[0:3], 0 offen offset:8
	;; [unrolled: 1-line block ×3, first 2 shown]
	buffer_store_dword v1, off, s[0:3], 0 offset:160
	buffer_store_dword v1, off, s[0:3], 0 offset:164
	;; [unrolled: 1-line block ×4, first 2 shown]
	s_waitcnt vmcnt(0)
	ds_write_b128 v75, v[69:72]
.LBB31_187:
	s_or_b32 exec_lo, exec_lo, s4
	s_waitcnt lgkmcnt(0)
	s_waitcnt_vscnt null, 0x0
	s_barrier
	buffer_gl0_inv
	s_clause 0x37
	buffer_load_dword v2, off, s[0:3], 0 offset:184
	buffer_load_dword v3, off, s[0:3], 0 offset:188
	;; [unrolled: 1-line block ×56, first 2 shown]
	ds_read_b128 v[69:72], v1 offset:672
	s_clause 0x2
	buffer_load_dword v135, off, s[0:3], 0 offset:412
	buffer_load_dword v139, off, s[0:3], 0 offset:388
	;; [unrolled: 1-line block ×3, first 2 shown]
	ds_read_b128 v[76:79], v1 offset:688
	s_clause 0x4
	buffer_load_dword v143, off, s[0:3], 0 offset:428
	buffer_load_dword v144, off, s[0:3], 0 offset:440
	;; [unrolled: 1-line block ×5, first 2 shown]
	ds_read_b128 v[80:83], v1 offset:704
	s_mov_b32 s4, exec_lo
	s_waitcnt vmcnt(62) lgkmcnt(2)
	v_mul_f64 v[140:141], v[71:72], v[2:3]
	v_mul_f64 v[2:3], v[69:70], v[2:3]
	s_waitcnt vmcnt(60) lgkmcnt(1)
	v_mul_f64 v[147:148], v[78:79], v[73:74]
	v_mul_f64 v[73:74], v[76:77], v[73:74]
	;; [unrolled: 3-line block ×3, first 2 shown]
	v_fma_f64 v[140:141], v[69:70], v[84:85], -v[140:141]
	v_fma_f64 v[2:3], v[71:72], v[84:85], v[2:3]
	s_clause 0x2
	buffer_load_dword v145, off, s[0:3], 0 offset:444
	buffer_load_dword v85, off, s[0:3], 0 offset:420
	;; [unrolled: 1-line block ×3, first 2 shown]
	s_waitcnt vmcnt(57)
	v_fma_f64 v[151:152], v[76:77], v[88:89], -v[147:148]
	ds_read_b128 v[69:72], v1 offset:720
	v_fma_f64 v[73:74], v[78:79], v[88:89], v[73:74]
	s_clause 0x4
	buffer_load_dword v89, off, s[0:3], 0 offset:460
	buffer_load_dword v148, off, s[0:3], 0 offset:472
	;; [unrolled: 1-line block ×5, first 2 shown]
	s_waitcnt vmcnt(56)
	v_fma_f64 v[86:87], v[80:81], v[96:97], -v[86:87]
	ds_read_b128 v[76:79], v1 offset:736
	v_fma_f64 v[96:97], v[82:83], v[96:97], v[149:150]
	v_add_f64 v[140:141], v[140:141], 0
	v_add_f64 v[2:3], v[2:3], 0
	s_waitcnt lgkmcnt(1)
	v_mul_f64 v[154:155], v[69:70], v[90:91]
	v_mul_f64 v[90:91], v[71:72], v[90:91]
	v_add_f64 v[140:141], v[140:141], v[151:152]
	v_add_f64 v[2:3], v[2:3], v[73:74]
	s_clause 0x2
	buffer_load_dword v149, off, s[0:3], 0 offset:476
	buffer_load_dword v74, off, s[0:3], 0 offset:452
	;; [unrolled: 1-line block ×3, first 2 shown]
	s_waitcnt vmcnt(58) lgkmcnt(0)
	v_mul_f64 v[150:151], v[76:77], v[92:93]
	v_mul_f64 v[92:93], v[78:79], v[92:93]
	s_waitcnt vmcnt(56)
	v_fma_f64 v[90:91], v[69:70], v[98:99], -v[90:91]
	ds_read_b128 v[80:83], v1 offset:752
	v_fma_f64 v[98:99], v[71:72], v[98:99], v[154:155]
	v_add_f64 v[86:87], v[140:141], v[86:87]
	v_add_f64 v[2:3], v[2:3], v[96:97]
	s_clause 0x4
	buffer_load_dword v97, off, s[0:3], 0 offset:492
	buffer_load_dword v140, off, s[0:3], 0 offset:504
	;; [unrolled: 1-line block ×5, first 2 shown]
	ds_read_b128 v[69:72], v1 offset:768
	s_waitcnt vmcnt(57) lgkmcnt(1)
	v_mul_f64 v[156:157], v[80:81], v[100:101]
	v_mul_f64 v[100:101], v[82:83], v[100:101]
	s_waitcnt vmcnt(56)
	v_fma_f64 v[92:93], v[76:77], v[94:95], -v[92:93]
	v_add_f64 v[86:87], v[86:87], v[90:91]
	v_fma_f64 v[90:91], v[78:79], v[94:95], v[150:151]
	v_add_f64 v[2:3], v[2:3], v[98:99]
	s_clause 0x2
	buffer_load_dword v141, off, s[0:3], 0 offset:508
	buffer_load_dword v95, off, s[0:3], 0 offset:484
	;; [unrolled: 1-line block ×3, first 2 shown]
	s_waitcnt vmcnt(58) lgkmcnt(0)
	v_mul_f64 v[98:99], v[69:70], v[102:103]
	v_mul_f64 v[102:103], v[71:72], v[102:103]
	s_waitcnt vmcnt(56)
	v_fma_f64 v[100:101], v[80:81], v[106:107], -v[100:101]
	ds_read_b128 v[76:79], v1 offset:784
	v_add_f64 v[86:87], v[86:87], v[92:93]
	v_fma_f64 v[92:93], v[82:83], v[106:107], v[156:157]
	v_add_f64 v[2:3], v[2:3], v[90:91]
	s_clause 0x2
	buffer_load_dword v91, off, s[0:3], 0 offset:524
	buffer_load_dword v90, off, s[0:3], 0 offset:520
	;; [unrolled: 1-line block ×3, first 2 shown]
	ds_read_b128 v[80:83], v1 offset:800
	s_waitcnt vmcnt(55) lgkmcnt(1)
	v_mul_f64 v[106:107], v[76:77], v[108:109]
	v_mul_f64 v[108:109], v[78:79], v[108:109]
	s_waitcnt vmcnt(54)
	v_fma_f64 v[102:103], v[69:70], v[104:105], -v[102:103]
	v_fma_f64 v[98:99], v[71:72], v[104:105], v[98:99]
	v_add_f64 v[86:87], v[86:87], v[100:101]
	v_add_f64 v[2:3], v[2:3], v[92:93]
	s_clause 0x1
	buffer_load_dword v93, off, s[0:3], 0 offset:516
	buffer_load_dword v92, off, s[0:3], 0 offset:512
	s_waitcnt vmcnt(55) lgkmcnt(0)
	v_mul_f64 v[104:105], v[82:83], v[110:111]
	ds_read_b128 v[69:72], v1 offset:816
	s_waitcnt vmcnt(53)
	v_fma_f64 v[108:109], v[76:77], v[114:115], -v[108:109]
	v_mul_f64 v[100:101], v[80:81], v[110:111]
	v_add_f64 v[86:87], v[86:87], v[102:103]
	v_fma_f64 v[102:103], v[78:79], v[114:115], v[106:107]
	v_add_f64 v[2:3], v[2:3], v[98:99]
	ds_read_b128 v[76:79], v1 offset:832
	s_waitcnt vmcnt(49) lgkmcnt(1)
	v_mul_f64 v[106:107], v[71:72], v[116:117]
	s_waitcnt vmcnt(48)
	v_fma_f64 v[104:105], v[80:81], v[112:113], -v[104:105]
	v_mul_f64 v[98:99], v[69:70], v[116:117]
	v_fma_f64 v[100:101], v[82:83], v[112:113], v[100:101]
	v_add_f64 v[86:87], v[86:87], v[108:109]
	s_waitcnt vmcnt(47) lgkmcnt(0)
	v_mul_f64 v[112:113], v[78:79], v[118:119]
	v_add_f64 v[2:3], v[2:3], v[102:103]
	s_clause 0x3
	buffer_load_dword v102, off, s[0:3], 0 offset:160
	buffer_load_dword v103, off, s[0:3], 0 offset:164
	;; [unrolled: 1-line block ×4, first 2 shown]
	s_waitcnt vmcnt(49)
	v_fma_f64 v[106:107], v[69:70], v[122:123], -v[106:107]
	ds_read_b128 v[80:83], v1 offset:848
	v_mul_f64 v[110:111], v[76:77], v[118:119]
	v_fma_f64 v[98:99], v[71:72], v[122:123], v[98:99]
	ds_read_b128 v[69:72], v1 offset:864
	v_add_f64 v[86:87], v[86:87], v[104:105]
	s_waitcnt vmcnt(44)
	v_fma_f64 v[112:113], v[76:77], v[120:121], -v[112:113]
	v_add_f64 v[2:3], v[2:3], v[100:101]
	s_waitcnt lgkmcnt(1)
	v_mul_f64 v[104:105], v[82:83], v[124:125]
	v_mul_f64 v[100:101], v[80:81], v[124:125]
	v_add_f64 v[86:87], v[86:87], v[106:107]
	v_fma_f64 v[106:107], v[78:79], v[120:121], v[110:111]
	v_add_f64 v[2:3], v[2:3], v[98:99]
	s_waitcnt vmcnt(43) lgkmcnt(0)
	v_mul_f64 v[110:111], v[71:72], v[126:127]
	s_waitcnt vmcnt(41)
	v_fma_f64 v[104:105], v[80:81], v[130:131], -v[104:105]
	ds_read_b128 v[76:79], v1 offset:880
	v_mul_f64 v[98:99], v[69:70], v[126:127]
	v_fma_f64 v[100:101], v[82:83], v[130:131], v[100:101]
	ds_read_b128 v[80:83], v1 offset:896
	v_add_f64 v[86:87], v[86:87], v[112:113]
	v_add_f64 v[2:3], v[2:3], v[106:107]
	s_waitcnt vmcnt(37) lgkmcnt(1)
	v_mul_f64 v[112:113], v[78:79], v[132:133]
	s_waitcnt vmcnt(36)
	v_fma_f64 v[110:111], v[69:70], v[128:129], -v[110:111]
	v_mul_f64 v[106:107], v[76:77], v[132:133]
	v_fma_f64 v[98:99], v[71:72], v[128:129], v[98:99]
	ds_read_b128 v[69:72], v1 offset:912
	v_add_f64 v[86:87], v[86:87], v[104:105]
	s_waitcnt vmcnt(35) lgkmcnt(1)
	v_mul_f64 v[104:105], v[82:83], v[134:135]
	v_add_f64 v[2:3], v[2:3], v[100:101]
	s_waitcnt vmcnt(33)
	v_fma_f64 v[112:113], v[76:77], v[138:139], -v[112:113]
	v_mul_f64 v[100:101], v[80:81], v[134:135]
	v_fma_f64 v[106:107], v[78:79], v[138:139], v[106:107]
	ds_read_b128 v[76:79], v1 offset:928
	v_add_f64 v[86:87], v[86:87], v[110:111]
	s_waitcnt vmcnt(29) lgkmcnt(1)
	v_mul_f64 v[110:111], v[71:72], v[142:143]
	v_add_f64 v[2:3], v[2:3], v[98:99]
	s_waitcnt vmcnt(28)
	v_fma_f64 v[104:105], v[80:81], v[136:137], -v[104:105]
	v_mul_f64 v[98:99], v[69:70], v[142:143]
	v_fma_f64 v[100:101], v[82:83], v[136:137], v[100:101]
	ds_read_b128 v[80:83], v1 offset:944
	v_add_f64 v[86:87], v[86:87], v[112:113]
	v_add_f64 v[2:3], v[2:3], v[106:107]
	s_waitcnt vmcnt(27) lgkmcnt(1)
	v_mul_f64 v[112:113], v[78:79], v[144:145]
	v_mul_f64 v[106:107], v[76:77], v[144:145]
	s_waitcnt vmcnt(25)
	v_fma_f64 v[110:111], v[69:70], v[84:85], -v[110:111]
	v_fma_f64 v[84:85], v[71:72], v[84:85], v[98:99]
	ds_read_b128 v[69:72], v1 offset:960
	s_waitcnt vmcnt(21) lgkmcnt(1)
	v_mul_f64 v[98:99], v[80:81], v[88:89]
	v_mul_f64 v[88:89], v[82:83], v[88:89]
	v_add_f64 v[86:87], v[86:87], v[104:105]
	v_add_f64 v[2:3], v[2:3], v[100:101]
	s_waitcnt vmcnt(20)
	v_fma_f64 v[100:101], v[76:77], v[146:147], -v[112:113]
	v_fma_f64 v[104:105], v[78:79], v[146:147], v[106:107]
	ds_read_b128 v[76:79], v1 offset:976
	v_add_f64 v[86:87], v[86:87], v[110:111]
	v_add_f64 v[2:3], v[2:3], v[84:85]
	s_waitcnt vmcnt(19) lgkmcnt(1)
	v_mul_f64 v[106:107], v[71:72], v[148:149]
	v_mul_f64 v[84:85], v[69:70], v[148:149]
	s_waitcnt vmcnt(17)
	v_fma_f64 v[88:89], v[80:81], v[73:74], -v[88:89]
	v_fma_f64 v[73:74], v[82:83], v[73:74], v[98:99]
	ds_read_b128 v[80:83], v1 offset:992
	v_add_f64 v[86:87], v[86:87], v[100:101]
	v_add_f64 v[2:3], v[2:3], v[104:105]
	s_waitcnt vmcnt(13) lgkmcnt(1)
	v_mul_f64 v[98:99], v[76:77], v[96:97]
	v_mul_f64 v[96:97], v[78:79], v[96:97]
	s_waitcnt vmcnt(12)
	v_fma_f64 v[69:70], v[69:70], v[153:154], -v[106:107]
	v_fma_f64 v[71:72], v[71:72], v[153:154], v[84:85]
	v_add_f64 v[86:87], v[86:87], v[88:89]
	v_add_f64 v[73:74], v[2:3], v[73:74]
	ds_read_b128 v[1:4], v1 offset:1008
	s_waitcnt vmcnt(11) lgkmcnt(1)
	v_mul_f64 v[88:89], v[82:83], v[140:141]
	v_mul_f64 v[84:85], v[80:81], v[140:141]
	s_waitcnt vmcnt(9)
	v_fma_f64 v[76:77], v[76:77], v[94:95], -v[96:97]
	v_fma_f64 v[78:79], v[78:79], v[94:95], v[98:99]
	v_add_f64 v[69:70], v[86:87], v[69:70]
	v_add_f64 v[71:72], v[73:74], v[71:72]
	s_waitcnt vmcnt(7) lgkmcnt(0)
	v_mul_f64 v[86:87], v[3:4], v[90:91]
	s_waitcnt vmcnt(6)
	v_fma_f64 v[80:81], v[80:81], v[155:156], -v[88:89]
	v_mul_f64 v[73:74], v[1:2], v[90:91]
	v_add_f64 v[69:70], v[69:70], v[76:77]
	v_fma_f64 v[76:77], v[82:83], v[155:156], v[84:85]
	v_add_f64 v[71:72], v[71:72], v[78:79]
	s_waitcnt vmcnt(4)
	v_fma_f64 v[1:2], v[1:2], v[92:93], -v[86:87]
	v_fma_f64 v[3:4], v[3:4], v[92:93], v[73:74]
	v_add_f64 v[69:70], v[69:70], v[80:81]
	v_add_f64 v[71:72], v[71:72], v[76:77]
	;; [unrolled: 1-line block ×4, first 2 shown]
	s_waitcnt vmcnt(2)
	v_add_f64 v[1:2], v[102:103], -v[1:2]
	s_waitcnt vmcnt(0)
	v_add_f64 v[3:4], v[108:109], -v[3:4]
	buffer_store_dword v2, off, s[0:3], 0 offset:164
	buffer_store_dword v1, off, s[0:3], 0 offset:160
	;; [unrolled: 1-line block ×4, first 2 shown]
	v_cmpx_lt_u32_e32 8, v0
	s_cbranch_execz .LBB31_189
; %bb.188:
	v_mov_b32_e32 v4, s36
	v_mov_b32_e32 v69, 0
	s_clause 0x3
	buffer_load_dword v1, v4, s[0:3], 0 offen
	buffer_load_dword v2, v4, s[0:3], 0 offen offset:4
	buffer_load_dword v3, v4, s[0:3], 0 offen offset:8
	;; [unrolled: 1-line block ×3, first 2 shown]
	buffer_store_dword v69, off, s[0:3], 0 offset:144
	buffer_store_dword v69, off, s[0:3], 0 offset:148
	;; [unrolled: 1-line block ×4, first 2 shown]
	s_waitcnt vmcnt(0)
	ds_write_b128 v75, v[1:4]
.LBB31_189:
	s_or_b32 exec_lo, exec_lo, s4
	s_waitcnt lgkmcnt(0)
	s_waitcnt_vscnt null, 0x0
	s_barrier
	buffer_gl0_inv
	s_clause 0x37
	buffer_load_dword v2, off, s[0:3], 0 offset:168
	buffer_load_dword v3, off, s[0:3], 0 offset:172
	buffer_load_dword v73, off, s[0:3], 0 offset:184
	buffer_load_dword v74, off, s[0:3], 0 offset:188
	buffer_load_dword v84, off, s[0:3], 0 offset:160
	buffer_load_dword v85, off, s[0:3], 0 offset:164
	buffer_load_dword v86, off, s[0:3], 0 offset:200
	buffer_load_dword v87, off, s[0:3], 0 offset:204
	buffer_load_dword v88, off, s[0:3], 0 offset:176
	buffer_load_dword v89, off, s[0:3], 0 offset:180
	buffer_load_dword v91, off, s[0:3], 0 offset:220
	buffer_load_dword v92, off, s[0:3], 0 offset:232
	buffer_load_dword v94, off, s[0:3], 0 offset:224
	buffer_load_dword v90, off, s[0:3], 0 offset:216
	buffer_load_dword v96, off, s[0:3], 0 offset:192
	buffer_load_dword v97, off, s[0:3], 0 offset:196
	buffer_load_dword v93, off, s[0:3], 0 offset:236
	buffer_load_dword v99, off, s[0:3], 0 offset:212
	buffer_load_dword v98, off, s[0:3], 0 offset:208
	buffer_load_dword v101, off, s[0:3], 0 offset:252
	buffer_load_dword v102, off, s[0:3], 0 offset:264
	buffer_load_dword v104, off, s[0:3], 0 offset:256
	buffer_load_dword v100, off, s[0:3], 0 offset:248
	buffer_load_dword v95, off, s[0:3], 0 offset:228
	buffer_load_dword v103, off, s[0:3], 0 offset:268
	buffer_load_dword v107, off, s[0:3], 0 offset:244
	buffer_load_dword v106, off, s[0:3], 0 offset:240
	buffer_load_dword v109, off, s[0:3], 0 offset:284
	buffer_load_dword v110, off, s[0:3], 0 offset:296
	buffer_load_dword v112, off, s[0:3], 0 offset:288
	buffer_load_dword v108, off, s[0:3], 0 offset:280
	buffer_load_dword v105, off, s[0:3], 0 offset:260
	buffer_load_dword v111, off, s[0:3], 0 offset:300
	buffer_load_dword v115, off, s[0:3], 0 offset:276
	buffer_load_dword v114, off, s[0:3], 0 offset:272
	buffer_load_dword v117, off, s[0:3], 0 offset:316
	buffer_load_dword v118, off, s[0:3], 0 offset:328
	buffer_load_dword v120, off, s[0:3], 0 offset:320
	buffer_load_dword v116, off, s[0:3], 0 offset:312
	buffer_load_dword v113, off, s[0:3], 0 offset:292
	buffer_load_dword v119, off, s[0:3], 0 offset:332
	buffer_load_dword v123, off, s[0:3], 0 offset:308
	buffer_load_dword v122, off, s[0:3], 0 offset:304
	buffer_load_dword v125, off, s[0:3], 0 offset:348
	buffer_load_dword v126, off, s[0:3], 0 offset:360
	buffer_load_dword v128, off, s[0:3], 0 offset:352
	buffer_load_dword v124, off, s[0:3], 0 offset:344
	buffer_load_dword v121, off, s[0:3], 0 offset:324
	buffer_load_dword v127, off, s[0:3], 0 offset:364
	buffer_load_dword v131, off, s[0:3], 0 offset:340
	buffer_load_dword v130, off, s[0:3], 0 offset:336
	buffer_load_dword v133, off, s[0:3], 0 offset:380
	buffer_load_dword v134, off, s[0:3], 0 offset:392
	buffer_load_dword v136, off, s[0:3], 0 offset:384
	buffer_load_dword v132, off, s[0:3], 0 offset:376
	buffer_load_dword v129, off, s[0:3], 0 offset:356
	v_mov_b32_e32 v1, 0
	s_mov_b32 s4, exec_lo
	ds_read_b128 v[69:72], v1 offset:656
	s_clause 0x2
	buffer_load_dword v135, off, s[0:3], 0 offset:396
	buffer_load_dword v139, off, s[0:3], 0 offset:372
	;; [unrolled: 1-line block ×3, first 2 shown]
	ds_read_b128 v[76:79], v1 offset:672
	s_clause 0x4
	buffer_load_dword v143, off, s[0:3], 0 offset:412
	buffer_load_dword v144, off, s[0:3], 0 offset:424
	;; [unrolled: 1-line block ×5, first 2 shown]
	ds_read_b128 v[80:83], v1 offset:688
	s_waitcnt vmcnt(62) lgkmcnt(2)
	v_mul_f64 v[140:141], v[71:72], v[2:3]
	v_mul_f64 v[2:3], v[69:70], v[2:3]
	s_waitcnt vmcnt(60) lgkmcnt(1)
	v_mul_f64 v[147:148], v[78:79], v[73:74]
	v_mul_f64 v[73:74], v[76:77], v[73:74]
	;; [unrolled: 3-line block ×3, first 2 shown]
	v_fma_f64 v[140:141], v[69:70], v[84:85], -v[140:141]
	v_fma_f64 v[2:3], v[71:72], v[84:85], v[2:3]
	s_clause 0x2
	buffer_load_dword v145, off, s[0:3], 0 offset:428
	buffer_load_dword v85, off, s[0:3], 0 offset:404
	buffer_load_dword v84, off, s[0:3], 0 offset:400
	s_waitcnt vmcnt(57)
	v_fma_f64 v[151:152], v[76:77], v[88:89], -v[147:148]
	ds_read_b128 v[69:72], v1 offset:704
	v_fma_f64 v[73:74], v[78:79], v[88:89], v[73:74]
	s_clause 0x4
	buffer_load_dword v89, off, s[0:3], 0 offset:444
	buffer_load_dword v148, off, s[0:3], 0 offset:456
	;; [unrolled: 1-line block ×5, first 2 shown]
	s_waitcnt vmcnt(56)
	v_fma_f64 v[86:87], v[80:81], v[96:97], -v[86:87]
	ds_read_b128 v[76:79], v1 offset:720
	v_fma_f64 v[96:97], v[82:83], v[96:97], v[149:150]
	v_add_f64 v[140:141], v[140:141], 0
	v_add_f64 v[2:3], v[2:3], 0
	s_waitcnt lgkmcnt(1)
	v_mul_f64 v[154:155], v[69:70], v[90:91]
	v_mul_f64 v[90:91], v[71:72], v[90:91]
	v_add_f64 v[140:141], v[140:141], v[151:152]
	v_add_f64 v[2:3], v[2:3], v[73:74]
	s_clause 0x2
	buffer_load_dword v149, off, s[0:3], 0 offset:460
	buffer_load_dword v74, off, s[0:3], 0 offset:436
	;; [unrolled: 1-line block ×3, first 2 shown]
	s_waitcnt vmcnt(58) lgkmcnt(0)
	v_mul_f64 v[150:151], v[76:77], v[92:93]
	v_mul_f64 v[92:93], v[78:79], v[92:93]
	s_waitcnt vmcnt(56)
	v_fma_f64 v[90:91], v[69:70], v[98:99], -v[90:91]
	ds_read_b128 v[80:83], v1 offset:736
	v_fma_f64 v[98:99], v[71:72], v[98:99], v[154:155]
	v_add_f64 v[86:87], v[140:141], v[86:87]
	v_add_f64 v[2:3], v[2:3], v[96:97]
	s_clause 0x4
	buffer_load_dword v97, off, s[0:3], 0 offset:476
	buffer_load_dword v140, off, s[0:3], 0 offset:488
	;; [unrolled: 1-line block ×5, first 2 shown]
	ds_read_b128 v[69:72], v1 offset:752
	s_waitcnt vmcnt(57) lgkmcnt(1)
	v_mul_f64 v[156:157], v[80:81], v[100:101]
	v_mul_f64 v[100:101], v[82:83], v[100:101]
	s_waitcnt vmcnt(56)
	v_fma_f64 v[92:93], v[76:77], v[94:95], -v[92:93]
	v_add_f64 v[86:87], v[86:87], v[90:91]
	v_fma_f64 v[90:91], v[78:79], v[94:95], v[150:151]
	v_add_f64 v[2:3], v[2:3], v[98:99]
	s_clause 0x2
	buffer_load_dword v141, off, s[0:3], 0 offset:492
	buffer_load_dword v95, off, s[0:3], 0 offset:468
	;; [unrolled: 1-line block ×3, first 2 shown]
	s_waitcnt vmcnt(58) lgkmcnt(0)
	v_mul_f64 v[98:99], v[69:70], v[102:103]
	v_mul_f64 v[102:103], v[71:72], v[102:103]
	s_waitcnt vmcnt(56)
	v_fma_f64 v[100:101], v[80:81], v[106:107], -v[100:101]
	ds_read_b128 v[76:79], v1 offset:768
	v_add_f64 v[86:87], v[86:87], v[92:93]
	v_fma_f64 v[92:93], v[82:83], v[106:107], v[156:157]
	v_add_f64 v[2:3], v[2:3], v[90:91]
	s_clause 0x4
	buffer_load_dword v91, off, s[0:3], 0 offset:508
	buffer_load_dword v106, off, s[0:3], 0 offset:520
	;; [unrolled: 1-line block ×5, first 2 shown]
	ds_read_b128 v[80:83], v1 offset:784
	s_waitcnt vmcnt(57) lgkmcnt(1)
	v_mul_f64 v[151:152], v[76:77], v[108:109]
	v_mul_f64 v[108:109], v[78:79], v[108:109]
	s_waitcnt vmcnt(56)
	v_fma_f64 v[102:103], v[69:70], v[104:105], -v[102:103]
	v_fma_f64 v[98:99], v[71:72], v[104:105], v[98:99]
	v_add_f64 v[86:87], v[86:87], v[100:101]
	v_add_f64 v[2:3], v[2:3], v[92:93]
	s_clause 0x2
	buffer_load_dword v107, off, s[0:3], 0 offset:524
	buffer_load_dword v93, off, s[0:3], 0 offset:500
	buffer_load_dword v92, off, s[0:3], 0 offset:496
	s_waitcnt vmcnt(58) lgkmcnt(0)
	v_mul_f64 v[104:105], v[82:83], v[110:111]
	ds_read_b128 v[69:72], v1 offset:800
	s_waitcnt vmcnt(56)
	v_fma_f64 v[108:109], v[76:77], v[114:115], -v[108:109]
	v_mul_f64 v[100:101], v[80:81], v[110:111]
	v_add_f64 v[86:87], v[86:87], v[102:103]
	v_fma_f64 v[102:103], v[78:79], v[114:115], v[151:152]
	v_add_f64 v[2:3], v[2:3], v[98:99]
	buffer_load_dword v151, off, s[0:3], 0 offset:516
	ds_read_b128 v[76:79], v1 offset:816
	s_waitcnt vmcnt(53) lgkmcnt(1)
	v_mul_f64 v[110:111], v[71:72], v[116:117]
	s_waitcnt vmcnt(52)
	v_fma_f64 v[104:105], v[80:81], v[112:113], -v[104:105]
	v_mul_f64 v[98:99], v[69:70], v[116:117]
	v_fma_f64 v[100:101], v[82:83], v[112:113], v[100:101]
	ds_read_b128 v[80:83], v1 offset:832
	v_add_f64 v[86:87], v[86:87], v[108:109]
	v_add_f64 v[2:3], v[2:3], v[102:103]
	s_waitcnt vmcnt(51) lgkmcnt(1)
	v_mul_f64 v[108:109], v[78:79], v[118:119]
	v_mul_f64 v[102:103], v[76:77], v[118:119]
	s_waitcnt vmcnt(49)
	v_fma_f64 v[110:111], v[69:70], v[122:123], -v[110:111]
	v_fma_f64 v[98:99], v[71:72], v[122:123], v[98:99]
	s_waitcnt vmcnt(45) lgkmcnt(0)
	v_mul_f64 v[114:115], v[82:83], v[124:125]
	v_mul_f64 v[112:113], v[80:81], v[124:125]
	v_add_f64 v[86:87], v[86:87], v[104:105]
	v_add_f64 v[2:3], v[2:3], v[100:101]
	s_clause 0x3
	buffer_load_dword v100, off, s[0:3], 0 offset:144
	buffer_load_dword v101, off, s[0:3], 0 offset:148
	;; [unrolled: 1-line block ×4, first 2 shown]
	s_waitcnt vmcnt(48)
	v_fma_f64 v[108:109], v[76:77], v[120:121], -v[108:109]
	ds_read_b128 v[69:72], v1 offset:848
	v_fma_f64 v[102:103], v[78:79], v[120:121], v[102:103]
	ds_read_b128 v[76:79], v1 offset:864
	s_waitcnt vmcnt(45)
	v_fma_f64 v[114:115], v[80:81], v[130:131], -v[114:115]
	v_add_f64 v[86:87], v[86:87], v[110:111]
	v_add_f64 v[2:3], v[2:3], v[98:99]
	s_waitcnt lgkmcnt(1)
	v_mul_f64 v[110:111], v[71:72], v[126:127]
	v_mul_f64 v[98:99], v[69:70], v[126:127]
	v_add_f64 v[86:87], v[86:87], v[108:109]
	v_fma_f64 v[108:109], v[82:83], v[130:131], v[112:113]
	v_add_f64 v[2:3], v[2:3], v[102:103]
	s_waitcnt vmcnt(41) lgkmcnt(0)
	v_mul_f64 v[112:113], v[78:79], v[132:133]
	s_waitcnt vmcnt(40)
	v_fma_f64 v[110:111], v[69:70], v[128:129], -v[110:111]
	ds_read_b128 v[80:83], v1 offset:880
	v_mul_f64 v[102:103], v[76:77], v[132:133]
	v_fma_f64 v[98:99], v[71:72], v[128:129], v[98:99]
	ds_read_b128 v[69:72], v1 offset:896
	v_add_f64 v[86:87], v[86:87], v[114:115]
	v_add_f64 v[2:3], v[2:3], v[108:109]
	s_waitcnt vmcnt(39) lgkmcnt(1)
	v_mul_f64 v[114:115], v[82:83], v[134:135]
	s_waitcnt vmcnt(37)
	v_fma_f64 v[112:113], v[76:77], v[138:139], -v[112:113]
	v_mul_f64 v[108:109], v[80:81], v[134:135]
	v_fma_f64 v[102:103], v[78:79], v[138:139], v[102:103]
	ds_read_b128 v[76:79], v1 offset:912
	v_add_f64 v[86:87], v[86:87], v[110:111]
	s_waitcnt vmcnt(33) lgkmcnt(1)
	v_mul_f64 v[110:111], v[71:72], v[142:143]
	v_add_f64 v[2:3], v[2:3], v[98:99]
	s_waitcnt vmcnt(32)
	v_fma_f64 v[114:115], v[80:81], v[136:137], -v[114:115]
	v_mul_f64 v[98:99], v[69:70], v[142:143]
	v_fma_f64 v[108:109], v[82:83], v[136:137], v[108:109]
	ds_read_b128 v[80:83], v1 offset:928
	v_add_f64 v[86:87], v[86:87], v[112:113]
	v_add_f64 v[2:3], v[2:3], v[102:103]
	s_waitcnt vmcnt(31) lgkmcnt(1)
	v_mul_f64 v[112:113], v[78:79], v[144:145]
	v_mul_f64 v[102:103], v[76:77], v[144:145]
	s_waitcnt vmcnt(29)
	v_fma_f64 v[110:111], v[69:70], v[84:85], -v[110:111]
	v_fma_f64 v[84:85], v[71:72], v[84:85], v[98:99]
	ds_read_b128 v[69:72], v1 offset:944
	s_waitcnt vmcnt(25) lgkmcnt(1)
	v_mul_f64 v[98:99], v[80:81], v[88:89]
	v_mul_f64 v[88:89], v[82:83], v[88:89]
	v_add_f64 v[86:87], v[86:87], v[114:115]
	v_add_f64 v[2:3], v[2:3], v[108:109]
	s_waitcnt vmcnt(24)
	v_fma_f64 v[108:109], v[76:77], v[146:147], -v[112:113]
	v_fma_f64 v[102:103], v[78:79], v[146:147], v[102:103]
	ds_read_b128 v[76:79], v1 offset:960
	v_add_f64 v[86:87], v[86:87], v[110:111]
	v_add_f64 v[2:3], v[2:3], v[84:85]
	s_waitcnt vmcnt(23) lgkmcnt(1)
	v_mul_f64 v[110:111], v[71:72], v[148:149]
	v_mul_f64 v[84:85], v[69:70], v[148:149]
	s_waitcnt vmcnt(21)
	v_fma_f64 v[88:89], v[80:81], v[73:74], -v[88:89]
	v_fma_f64 v[73:74], v[82:83], v[73:74], v[98:99]
	ds_read_b128 v[80:83], v1 offset:976
	v_add_f64 v[86:87], v[86:87], v[108:109]
	v_add_f64 v[2:3], v[2:3], v[102:103]
	s_waitcnt vmcnt(17) lgkmcnt(1)
	v_mul_f64 v[98:99], v[76:77], v[96:97]
	v_mul_f64 v[96:97], v[78:79], v[96:97]
	;; [unrolled: 9-line block ×4, first 2 shown]
	s_waitcnt vmcnt(8)
	v_fma_f64 v[80:81], v[80:81], v[155:156], -v[88:89]
	v_fma_f64 v[73:74], v[82:83], v[155:156], v[73:74]
	v_add_f64 v[86:87], v[86:87], v[96:97]
	v_add_f64 v[2:3], v[2:3], v[94:95]
	s_waitcnt vmcnt(7) lgkmcnt(0)
	v_mul_f64 v[88:89], v[78:79], v[106:107]
	v_mul_f64 v[82:83], v[76:77], v[106:107]
	s_waitcnt vmcnt(5)
	v_fma_f64 v[69:70], v[69:70], v[92:93], -v[90:91]
	v_fma_f64 v[71:72], v[71:72], v[92:93], v[84:85]
	v_add_f64 v[80:81], v[86:87], v[80:81]
	v_add_f64 v[2:3], v[2:3], v[73:74]
	s_waitcnt vmcnt(4)
	v_fma_f64 v[73:74], v[76:77], v[150:151], -v[88:89]
	v_fma_f64 v[76:77], v[78:79], v[150:151], v[82:83]
	v_add_f64 v[69:70], v[80:81], v[69:70]
	v_add_f64 v[2:3], v[2:3], v[71:72]
	v_add_f64 v[69:70], v[69:70], v[73:74]
	v_add_f64 v[2:3], v[2:3], v[76:77]
	s_waitcnt vmcnt(2)
	v_add_f64 v[69:70], v[100:101], -v[69:70]
	s_waitcnt vmcnt(0)
	v_add_f64 v[2:3], v[104:105], -v[2:3]
	buffer_store_dword v70, off, s[0:3], 0 offset:148
	buffer_store_dword v69, off, s[0:3], 0 offset:144
	;; [unrolled: 1-line block ×4, first 2 shown]
	v_cmpx_lt_u32_e32 7, v0
	s_cbranch_execz .LBB31_191
; %bb.190:
	v_mov_b32_e32 v2, s37
	s_clause 0x3
	buffer_load_dword v69, v2, s[0:3], 0 offen
	buffer_load_dword v70, v2, s[0:3], 0 offen offset:4
	buffer_load_dword v71, v2, s[0:3], 0 offen offset:8
	;; [unrolled: 1-line block ×3, first 2 shown]
	buffer_store_dword v1, off, s[0:3], 0 offset:128
	buffer_store_dword v1, off, s[0:3], 0 offset:132
	buffer_store_dword v1, off, s[0:3], 0 offset:136
	buffer_store_dword v1, off, s[0:3], 0 offset:140
	s_waitcnt vmcnt(0)
	ds_write_b128 v75, v[69:72]
.LBB31_191:
	s_or_b32 exec_lo, exec_lo, s4
	s_waitcnt lgkmcnt(0)
	s_waitcnt_vscnt null, 0x0
	s_barrier
	buffer_gl0_inv
	s_clause 0x37
	buffer_load_dword v2, off, s[0:3], 0 offset:152
	buffer_load_dword v3, off, s[0:3], 0 offset:156
	;; [unrolled: 1-line block ×56, first 2 shown]
	ds_read_b128 v[69:72], v1 offset:640
	s_clause 0x2
	buffer_load_dword v135, off, s[0:3], 0 offset:380
	buffer_load_dword v139, off, s[0:3], 0 offset:356
	buffer_load_dword v138, off, s[0:3], 0 offset:352
	ds_read_b128 v[76:79], v1 offset:656
	s_clause 0x4
	buffer_load_dword v143, off, s[0:3], 0 offset:396
	buffer_load_dword v144, off, s[0:3], 0 offset:408
	;; [unrolled: 1-line block ×5, first 2 shown]
	ds_read_b128 v[80:83], v1 offset:672
	s_mov_b32 s4, exec_lo
	s_waitcnt vmcnt(62) lgkmcnt(2)
	v_mul_f64 v[140:141], v[71:72], v[2:3]
	v_mul_f64 v[2:3], v[69:70], v[2:3]
	s_waitcnt vmcnt(60) lgkmcnt(1)
	v_mul_f64 v[147:148], v[78:79], v[73:74]
	v_mul_f64 v[73:74], v[76:77], v[73:74]
	;; [unrolled: 3-line block ×3, first 2 shown]
	v_fma_f64 v[140:141], v[69:70], v[84:85], -v[140:141]
	v_fma_f64 v[2:3], v[71:72], v[84:85], v[2:3]
	s_clause 0x2
	buffer_load_dword v145, off, s[0:3], 0 offset:412
	buffer_load_dword v85, off, s[0:3], 0 offset:388
	buffer_load_dword v84, off, s[0:3], 0 offset:384
	s_waitcnt vmcnt(57)
	v_fma_f64 v[151:152], v[76:77], v[88:89], -v[147:148]
	ds_read_b128 v[69:72], v1 offset:688
	v_fma_f64 v[73:74], v[78:79], v[88:89], v[73:74]
	s_clause 0x4
	buffer_load_dword v89, off, s[0:3], 0 offset:428
	buffer_load_dword v148, off, s[0:3], 0 offset:440
	buffer_load_dword v153, off, s[0:3], 0 offset:432
	buffer_load_dword v88, off, s[0:3], 0 offset:424
	buffer_load_dword v147, off, s[0:3], 0 offset:404
	s_waitcnt vmcnt(56)
	v_fma_f64 v[86:87], v[80:81], v[96:97], -v[86:87]
	ds_read_b128 v[76:79], v1 offset:704
	v_fma_f64 v[96:97], v[82:83], v[96:97], v[149:150]
	v_add_f64 v[140:141], v[140:141], 0
	v_add_f64 v[2:3], v[2:3], 0
	s_waitcnt lgkmcnt(1)
	v_mul_f64 v[154:155], v[69:70], v[90:91]
	v_mul_f64 v[90:91], v[71:72], v[90:91]
	v_add_f64 v[140:141], v[140:141], v[151:152]
	v_add_f64 v[2:3], v[2:3], v[73:74]
	s_clause 0x2
	buffer_load_dword v149, off, s[0:3], 0 offset:444
	buffer_load_dword v74, off, s[0:3], 0 offset:420
	;; [unrolled: 1-line block ×3, first 2 shown]
	s_waitcnt vmcnt(58) lgkmcnt(0)
	v_mul_f64 v[150:151], v[76:77], v[92:93]
	v_mul_f64 v[92:93], v[78:79], v[92:93]
	s_waitcnt vmcnt(56)
	v_fma_f64 v[90:91], v[69:70], v[98:99], -v[90:91]
	ds_read_b128 v[80:83], v1 offset:720
	v_fma_f64 v[98:99], v[71:72], v[98:99], v[154:155]
	v_add_f64 v[86:87], v[140:141], v[86:87]
	v_add_f64 v[2:3], v[2:3], v[96:97]
	s_clause 0x4
	buffer_load_dword v97, off, s[0:3], 0 offset:460
	buffer_load_dword v140, off, s[0:3], 0 offset:472
	;; [unrolled: 1-line block ×5, first 2 shown]
	ds_read_b128 v[69:72], v1 offset:736
	s_waitcnt vmcnt(57) lgkmcnt(1)
	v_mul_f64 v[156:157], v[80:81], v[100:101]
	v_mul_f64 v[100:101], v[82:83], v[100:101]
	s_waitcnt vmcnt(56)
	v_fma_f64 v[92:93], v[76:77], v[94:95], -v[92:93]
	v_add_f64 v[86:87], v[86:87], v[90:91]
	v_fma_f64 v[90:91], v[78:79], v[94:95], v[150:151]
	v_add_f64 v[2:3], v[2:3], v[98:99]
	s_clause 0x2
	buffer_load_dword v141, off, s[0:3], 0 offset:476
	buffer_load_dword v95, off, s[0:3], 0 offset:452
	;; [unrolled: 1-line block ×3, first 2 shown]
	s_waitcnt vmcnt(58) lgkmcnt(0)
	v_mul_f64 v[98:99], v[69:70], v[102:103]
	v_mul_f64 v[102:103], v[71:72], v[102:103]
	s_waitcnt vmcnt(56)
	v_fma_f64 v[100:101], v[80:81], v[106:107], -v[100:101]
	ds_read_b128 v[76:79], v1 offset:752
	v_add_f64 v[86:87], v[86:87], v[92:93]
	v_fma_f64 v[92:93], v[82:83], v[106:107], v[156:157]
	v_add_f64 v[2:3], v[2:3], v[90:91]
	s_clause 0x4
	buffer_load_dword v91, off, s[0:3], 0 offset:492
	buffer_load_dword v106, off, s[0:3], 0 offset:504
	;; [unrolled: 1-line block ×5, first 2 shown]
	ds_read_b128 v[80:83], v1 offset:768
	s_waitcnt vmcnt(57) lgkmcnt(1)
	v_mul_f64 v[151:152], v[76:77], v[108:109]
	v_mul_f64 v[108:109], v[78:79], v[108:109]
	s_waitcnt vmcnt(56)
	v_fma_f64 v[102:103], v[69:70], v[104:105], -v[102:103]
	v_fma_f64 v[98:99], v[71:72], v[104:105], v[98:99]
	v_add_f64 v[86:87], v[86:87], v[100:101]
	v_add_f64 v[2:3], v[2:3], v[92:93]
	s_clause 0x2
	buffer_load_dword v107, off, s[0:3], 0 offset:508
	buffer_load_dword v93, off, s[0:3], 0 offset:484
	;; [unrolled: 1-line block ×3, first 2 shown]
	s_waitcnt vmcnt(58) lgkmcnt(0)
	v_mul_f64 v[104:105], v[82:83], v[110:111]
	ds_read_b128 v[69:72], v1 offset:784
	s_waitcnt vmcnt(56)
	v_fma_f64 v[108:109], v[76:77], v[114:115], -v[108:109]
	v_mul_f64 v[100:101], v[80:81], v[110:111]
	v_add_f64 v[86:87], v[86:87], v[102:103]
	v_fma_f64 v[102:103], v[78:79], v[114:115], v[151:152]
	v_add_f64 v[2:3], v[2:3], v[98:99]
	s_clause 0x2
	buffer_load_dword v99, off, s[0:3], 0 offset:524
	buffer_load_dword v98, off, s[0:3], 0 offset:520
	;; [unrolled: 1-line block ×3, first 2 shown]
	s_waitcnt vmcnt(55) lgkmcnt(0)
	v_mul_f64 v[114:115], v[71:72], v[116:117]
	s_waitcnt vmcnt(54)
	v_fma_f64 v[104:105], v[80:81], v[112:113], -v[104:105]
	ds_read_b128 v[76:79], v1 offset:800
	v_mul_f64 v[110:111], v[69:70], v[116:117]
	v_fma_f64 v[100:101], v[82:83], v[112:113], v[100:101]
	v_add_f64 v[86:87], v[86:87], v[108:109]
	v_add_f64 v[2:3], v[2:3], v[102:103]
	s_clause 0x1
	buffer_load_dword v103, off, s[0:3], 0 offset:516
	buffer_load_dword v102, off, s[0:3], 0 offset:512
	s_waitcnt vmcnt(55) lgkmcnt(0)
	v_mul_f64 v[112:113], v[78:79], v[118:119]
	s_waitcnt vmcnt(53)
	v_fma_f64 v[114:115], v[69:70], v[122:123], -v[114:115]
	ds_read_b128 v[80:83], v1 offset:816
	v_mul_f64 v[108:109], v[76:77], v[118:119]
	v_add_f64 v[86:87], v[86:87], v[104:105]
	v_fma_f64 v[104:105], v[71:72], v[122:123], v[110:111]
	v_add_f64 v[2:3], v[2:3], v[100:101]
	ds_read_b128 v[69:72], v1 offset:832
	s_waitcnt vmcnt(49) lgkmcnt(1)
	v_mul_f64 v[110:111], v[82:83], v[124:125]
	s_waitcnt vmcnt(48)
	v_fma_f64 v[112:113], v[76:77], v[120:121], -v[112:113]
	v_mul_f64 v[100:101], v[80:81], v[124:125]
	v_fma_f64 v[108:109], v[78:79], v[120:121], v[108:109]
	v_add_f64 v[86:87], v[86:87], v[114:115]
	s_waitcnt vmcnt(47) lgkmcnt(0)
	v_mul_f64 v[118:119], v[71:72], v[126:127]
	v_add_f64 v[2:3], v[2:3], v[104:105]
	s_clause 0x3
	buffer_load_dword v104, off, s[0:3], 0 offset:128
	buffer_load_dword v105, off, s[0:3], 0 offset:132
	;; [unrolled: 1-line block ×4, first 2 shown]
	s_waitcnt vmcnt(49)
	v_fma_f64 v[110:111], v[80:81], v[130:131], -v[110:111]
	ds_read_b128 v[76:79], v1 offset:848
	v_mul_f64 v[116:117], v[69:70], v[126:127]
	v_fma_f64 v[100:101], v[82:83], v[130:131], v[100:101]
	ds_read_b128 v[80:83], v1 offset:864
	v_add_f64 v[86:87], v[86:87], v[112:113]
	s_waitcnt vmcnt(44)
	v_fma_f64 v[118:119], v[69:70], v[128:129], -v[118:119]
	v_add_f64 v[2:3], v[2:3], v[108:109]
	s_waitcnt lgkmcnt(1)
	v_mul_f64 v[112:113], v[78:79], v[132:133]
	v_mul_f64 v[108:109], v[76:77], v[132:133]
	v_add_f64 v[86:87], v[86:87], v[110:111]
	v_fma_f64 v[110:111], v[71:72], v[128:129], v[116:117]
	v_add_f64 v[2:3], v[2:3], v[100:101]
	s_waitcnt vmcnt(43) lgkmcnt(0)
	v_mul_f64 v[116:117], v[82:83], v[134:135]
	s_waitcnt vmcnt(41)
	v_fma_f64 v[112:113], v[76:77], v[138:139], -v[112:113]
	ds_read_b128 v[69:72], v1 offset:880
	v_mul_f64 v[100:101], v[80:81], v[134:135]
	v_fma_f64 v[108:109], v[78:79], v[138:139], v[108:109]
	ds_read_b128 v[76:79], v1 offset:896
	v_add_f64 v[86:87], v[86:87], v[118:119]
	v_add_f64 v[2:3], v[2:3], v[110:111]
	s_waitcnt vmcnt(37) lgkmcnt(1)
	v_mul_f64 v[118:119], v[71:72], v[142:143]
	s_waitcnt vmcnt(36)
	v_fma_f64 v[116:117], v[80:81], v[136:137], -v[116:117]
	v_mul_f64 v[110:111], v[69:70], v[142:143]
	v_fma_f64 v[100:101], v[82:83], v[136:137], v[100:101]
	ds_read_b128 v[80:83], v1 offset:912
	v_add_f64 v[86:87], v[86:87], v[112:113]
	v_add_f64 v[2:3], v[2:3], v[108:109]
	s_waitcnt vmcnt(35) lgkmcnt(1)
	v_mul_f64 v[112:113], v[78:79], v[144:145]
	v_mul_f64 v[108:109], v[76:77], v[144:145]
	s_waitcnt vmcnt(33)
	v_fma_f64 v[118:119], v[69:70], v[84:85], -v[118:119]
	v_fma_f64 v[84:85], v[71:72], v[84:85], v[110:111]
	ds_read_b128 v[69:72], v1 offset:928
	v_add_f64 v[86:87], v[86:87], v[116:117]
	v_add_f64 v[2:3], v[2:3], v[100:101]
	s_waitcnt vmcnt(29) lgkmcnt(1)
	v_mul_f64 v[100:101], v[80:81], v[88:89]
	v_mul_f64 v[88:89], v[82:83], v[88:89]
	s_waitcnt vmcnt(28)
	v_fma_f64 v[110:111], v[76:77], v[146:147], -v[112:113]
	v_fma_f64 v[108:109], v[78:79], v[146:147], v[108:109]
	ds_read_b128 v[76:79], v1 offset:944
	v_add_f64 v[86:87], v[86:87], v[118:119]
	v_add_f64 v[2:3], v[2:3], v[84:85]
	s_waitcnt vmcnt(27) lgkmcnt(1)
	v_mul_f64 v[112:113], v[71:72], v[148:149]
	v_mul_f64 v[84:85], v[69:70], v[148:149]
	s_waitcnt vmcnt(25)
	v_fma_f64 v[88:89], v[80:81], v[73:74], -v[88:89]
	v_fma_f64 v[73:74], v[82:83], v[73:74], v[100:101]
	ds_read_b128 v[80:83], v1 offset:960
	v_add_f64 v[86:87], v[86:87], v[110:111]
	v_add_f64 v[2:3], v[2:3], v[108:109]
	s_waitcnt vmcnt(21) lgkmcnt(1)
	v_mul_f64 v[100:101], v[76:77], v[96:97]
	v_mul_f64 v[96:97], v[78:79], v[96:97]
	s_waitcnt vmcnt(20)
	v_fma_f64 v[108:109], v[69:70], v[153:154], -v[112:113]
	v_fma_f64 v[84:85], v[71:72], v[153:154], v[84:85]
	ds_read_b128 v[69:72], v1 offset:976
	v_add_f64 v[86:87], v[86:87], v[88:89]
	v_add_f64 v[2:3], v[2:3], v[73:74]
	s_waitcnt vmcnt(19) lgkmcnt(1)
	v_mul_f64 v[88:89], v[82:83], v[140:141]
	v_mul_f64 v[73:74], v[80:81], v[140:141]
	s_waitcnt vmcnt(17)
	v_fma_f64 v[96:97], v[76:77], v[94:95], -v[96:97]
	v_fma_f64 v[94:95], v[78:79], v[94:95], v[100:101]
	ds_read_b128 v[76:79], v1 offset:992
	v_add_f64 v[86:87], v[86:87], v[108:109]
	v_add_f64 v[2:3], v[2:3], v[84:85]
	s_waitcnt vmcnt(13) lgkmcnt(1)
	v_mul_f64 v[84:85], v[69:70], v[90:91]
	v_mul_f64 v[90:91], v[71:72], v[90:91]
	s_waitcnt vmcnt(12)
	v_fma_f64 v[80:81], v[80:81], v[155:156], -v[88:89]
	v_fma_f64 v[73:74], v[82:83], v[155:156], v[73:74]
	v_add_f64 v[86:87], v[86:87], v[96:97]
	v_add_f64 v[82:83], v[2:3], v[94:95]
	ds_read_b128 v[1:4], v1 offset:1008
	s_waitcnt vmcnt(11) lgkmcnt(1)
	v_mul_f64 v[94:95], v[78:79], v[106:107]
	v_mul_f64 v[88:89], v[76:77], v[106:107]
	s_waitcnt vmcnt(9)
	v_fma_f64 v[69:70], v[69:70], v[92:93], -v[90:91]
	v_fma_f64 v[71:72], v[71:72], v[92:93], v[84:85]
	v_add_f64 v[80:81], v[86:87], v[80:81]
	v_add_f64 v[73:74], v[82:83], v[73:74]
	s_waitcnt vmcnt(7) lgkmcnt(0)
	v_mul_f64 v[84:85], v[3:4], v[98:99]
	s_waitcnt vmcnt(6)
	v_fma_f64 v[76:77], v[76:77], v[150:151], -v[94:95]
	v_mul_f64 v[82:83], v[1:2], v[98:99]
	v_fma_f64 v[78:79], v[78:79], v[150:151], v[88:89]
	v_add_f64 v[69:70], v[80:81], v[69:70]
	v_add_f64 v[71:72], v[73:74], v[71:72]
	s_waitcnt vmcnt(4)
	v_fma_f64 v[1:2], v[1:2], v[102:103], -v[84:85]
	v_fma_f64 v[3:4], v[3:4], v[102:103], v[82:83]
	v_add_f64 v[69:70], v[69:70], v[76:77]
	v_add_f64 v[71:72], v[71:72], v[78:79]
	;; [unrolled: 1-line block ×4, first 2 shown]
	s_waitcnt vmcnt(2)
	v_add_f64 v[1:2], v[104:105], -v[1:2]
	s_waitcnt vmcnt(0)
	v_add_f64 v[3:4], v[114:115], -v[3:4]
	buffer_store_dword v2, off, s[0:3], 0 offset:132
	buffer_store_dword v1, off, s[0:3], 0 offset:128
	buffer_store_dword v4, off, s[0:3], 0 offset:140
	buffer_store_dword v3, off, s[0:3], 0 offset:136
	v_cmpx_lt_u32_e32 6, v0
	s_cbranch_execz .LBB31_193
; %bb.192:
	v_mov_b32_e32 v4, s38
	v_mov_b32_e32 v69, 0
	s_clause 0x3
	buffer_load_dword v1, v4, s[0:3], 0 offen
	buffer_load_dword v2, v4, s[0:3], 0 offen offset:4
	buffer_load_dword v3, v4, s[0:3], 0 offen offset:8
	buffer_load_dword v4, v4, s[0:3], 0 offen offset:12
	buffer_store_dword v69, off, s[0:3], 0 offset:112
	buffer_store_dword v69, off, s[0:3], 0 offset:116
	;; [unrolled: 1-line block ×4, first 2 shown]
	s_waitcnt vmcnt(0)
	ds_write_b128 v75, v[1:4]
.LBB31_193:
	s_or_b32 exec_lo, exec_lo, s4
	s_waitcnt lgkmcnt(0)
	s_waitcnt_vscnt null, 0x0
	s_barrier
	buffer_gl0_inv
	s_clause 0x37
	buffer_load_dword v2, off, s[0:3], 0 offset:136
	buffer_load_dword v3, off, s[0:3], 0 offset:140
	;; [unrolled: 1-line block ×56, first 2 shown]
	v_mov_b32_e32 v1, 0
	s_mov_b32 s4, exec_lo
	ds_read_b128 v[69:72], v1 offset:624
	s_clause 0x2
	buffer_load_dword v135, off, s[0:3], 0 offset:364
	buffer_load_dword v139, off, s[0:3], 0 offset:340
	;; [unrolled: 1-line block ×3, first 2 shown]
	ds_read_b128 v[76:79], v1 offset:640
	s_clause 0x4
	buffer_load_dword v143, off, s[0:3], 0 offset:380
	buffer_load_dword v144, off, s[0:3], 0 offset:392
	;; [unrolled: 1-line block ×5, first 2 shown]
	ds_read_b128 v[80:83], v1 offset:656
	s_waitcnt vmcnt(62) lgkmcnt(2)
	v_mul_f64 v[140:141], v[71:72], v[2:3]
	v_mul_f64 v[2:3], v[69:70], v[2:3]
	s_waitcnt vmcnt(60) lgkmcnt(1)
	v_mul_f64 v[147:148], v[78:79], v[73:74]
	v_mul_f64 v[73:74], v[76:77], v[73:74]
	;; [unrolled: 3-line block ×3, first 2 shown]
	v_fma_f64 v[140:141], v[69:70], v[84:85], -v[140:141]
	v_fma_f64 v[2:3], v[71:72], v[84:85], v[2:3]
	s_clause 0x2
	buffer_load_dword v145, off, s[0:3], 0 offset:396
	buffer_load_dword v85, off, s[0:3], 0 offset:372
	buffer_load_dword v84, off, s[0:3], 0 offset:368
	s_waitcnt vmcnt(57)
	v_fma_f64 v[151:152], v[76:77], v[88:89], -v[147:148]
	ds_read_b128 v[69:72], v1 offset:672
	v_fma_f64 v[73:74], v[78:79], v[88:89], v[73:74]
	s_clause 0x4
	buffer_load_dword v89, off, s[0:3], 0 offset:412
	buffer_load_dword v148, off, s[0:3], 0 offset:424
	;; [unrolled: 1-line block ×5, first 2 shown]
	s_waitcnt vmcnt(56)
	v_fma_f64 v[86:87], v[80:81], v[96:97], -v[86:87]
	ds_read_b128 v[76:79], v1 offset:688
	v_fma_f64 v[96:97], v[82:83], v[96:97], v[149:150]
	v_add_f64 v[140:141], v[140:141], 0
	v_add_f64 v[2:3], v[2:3], 0
	s_waitcnt lgkmcnt(1)
	v_mul_f64 v[154:155], v[69:70], v[90:91]
	v_mul_f64 v[90:91], v[71:72], v[90:91]
	v_add_f64 v[140:141], v[140:141], v[151:152]
	v_add_f64 v[2:3], v[2:3], v[73:74]
	s_clause 0x2
	buffer_load_dword v149, off, s[0:3], 0 offset:428
	buffer_load_dword v74, off, s[0:3], 0 offset:404
	;; [unrolled: 1-line block ×3, first 2 shown]
	s_waitcnt vmcnt(58) lgkmcnt(0)
	v_mul_f64 v[150:151], v[76:77], v[92:93]
	v_mul_f64 v[92:93], v[78:79], v[92:93]
	s_waitcnt vmcnt(56)
	v_fma_f64 v[90:91], v[69:70], v[98:99], -v[90:91]
	ds_read_b128 v[80:83], v1 offset:704
	v_fma_f64 v[98:99], v[71:72], v[98:99], v[154:155]
	v_add_f64 v[86:87], v[140:141], v[86:87]
	v_add_f64 v[2:3], v[2:3], v[96:97]
	s_clause 0x4
	buffer_load_dword v97, off, s[0:3], 0 offset:444
	buffer_load_dword v140, off, s[0:3], 0 offset:456
	;; [unrolled: 1-line block ×5, first 2 shown]
	ds_read_b128 v[69:72], v1 offset:720
	s_waitcnt vmcnt(57) lgkmcnt(1)
	v_mul_f64 v[156:157], v[80:81], v[100:101]
	v_mul_f64 v[100:101], v[82:83], v[100:101]
	s_waitcnt vmcnt(56)
	v_fma_f64 v[92:93], v[76:77], v[94:95], -v[92:93]
	v_add_f64 v[86:87], v[86:87], v[90:91]
	v_fma_f64 v[90:91], v[78:79], v[94:95], v[150:151]
	v_add_f64 v[2:3], v[2:3], v[98:99]
	s_clause 0x2
	buffer_load_dword v141, off, s[0:3], 0 offset:460
	buffer_load_dword v95, off, s[0:3], 0 offset:436
	;; [unrolled: 1-line block ×3, first 2 shown]
	s_waitcnt vmcnt(58) lgkmcnt(0)
	v_mul_f64 v[98:99], v[69:70], v[102:103]
	v_mul_f64 v[102:103], v[71:72], v[102:103]
	s_waitcnt vmcnt(56)
	v_fma_f64 v[100:101], v[80:81], v[106:107], -v[100:101]
	ds_read_b128 v[76:79], v1 offset:736
	v_add_f64 v[86:87], v[86:87], v[92:93]
	v_fma_f64 v[92:93], v[82:83], v[106:107], v[156:157]
	v_add_f64 v[2:3], v[2:3], v[90:91]
	s_clause 0x4
	buffer_load_dword v91, off, s[0:3], 0 offset:476
	buffer_load_dword v106, off, s[0:3], 0 offset:488
	;; [unrolled: 1-line block ×5, first 2 shown]
	ds_read_b128 v[80:83], v1 offset:752
	s_waitcnt vmcnt(57) lgkmcnt(1)
	v_mul_f64 v[151:152], v[76:77], v[108:109]
	v_mul_f64 v[108:109], v[78:79], v[108:109]
	s_waitcnt vmcnt(56)
	v_fma_f64 v[102:103], v[69:70], v[104:105], -v[102:103]
	v_fma_f64 v[98:99], v[71:72], v[104:105], v[98:99]
	v_add_f64 v[86:87], v[86:87], v[100:101]
	v_add_f64 v[2:3], v[2:3], v[92:93]
	s_clause 0x2
	buffer_load_dword v107, off, s[0:3], 0 offset:492
	buffer_load_dword v93, off, s[0:3], 0 offset:468
	;; [unrolled: 1-line block ×3, first 2 shown]
	s_waitcnt vmcnt(58) lgkmcnt(0)
	v_mul_f64 v[104:105], v[82:83], v[110:111]
	ds_read_b128 v[69:72], v1 offset:768
	s_waitcnt vmcnt(56)
	v_fma_f64 v[108:109], v[76:77], v[114:115], -v[108:109]
	v_mul_f64 v[100:101], v[80:81], v[110:111]
	v_add_f64 v[86:87], v[86:87], v[102:103]
	v_fma_f64 v[102:103], v[78:79], v[114:115], v[151:152]
	v_add_f64 v[2:3], v[2:3], v[98:99]
	s_clause 0x4
	buffer_load_dword v99, off, s[0:3], 0 offset:508
	buffer_load_dword v110, off, s[0:3], 0 offset:520
	;; [unrolled: 1-line block ×5, first 2 shown]
	s_waitcnt vmcnt(57) lgkmcnt(0)
	v_mul_f64 v[157:158], v[69:70], v[116:117]
	v_mul_f64 v[115:116], v[71:72], v[116:117]
	s_waitcnt vmcnt(56)
	v_fma_f64 v[104:105], v[80:81], v[112:113], -v[104:105]
	ds_read_b128 v[76:79], v1 offset:784
	v_fma_f64 v[100:101], v[82:83], v[112:113], v[100:101]
	v_add_f64 v[86:87], v[86:87], v[108:109]
	v_add_f64 v[2:3], v[2:3], v[102:103]
	s_clause 0x2
	buffer_load_dword v111, off, s[0:3], 0 offset:524
	buffer_load_dword v103, off, s[0:3], 0 offset:500
	;; [unrolled: 1-line block ×3, first 2 shown]
	ds_read_b128 v[80:83], v1 offset:800
	s_waitcnt vmcnt(58) lgkmcnt(1)
	v_mul_f64 v[112:113], v[78:79], v[118:119]
	s_waitcnt vmcnt(56)
	v_fma_f64 v[116:117], v[69:70], v[122:123], -v[115:116]
	v_mul_f64 v[108:109], v[76:77], v[118:119]
	buffer_load_dword v115, off, s[0:3], 0 offset:516
	v_add_f64 v[86:87], v[86:87], v[104:105]
	v_fma_f64 v[104:105], v[71:72], v[122:123], v[157:158]
	v_add_f64 v[2:3], v[2:3], v[100:101]
	ds_read_b128 v[69:72], v1 offset:816
	s_waitcnt vmcnt(53) lgkmcnt(1)
	v_mul_f64 v[118:119], v[82:83], v[124:125]
	s_waitcnt vmcnt(52)
	v_fma_f64 v[112:113], v[76:77], v[120:121], -v[112:113]
	v_mul_f64 v[100:101], v[80:81], v[124:125]
	v_fma_f64 v[108:109], v[78:79], v[120:121], v[108:109]
	ds_read_b128 v[76:79], v1 offset:832
	v_add_f64 v[86:87], v[86:87], v[116:117]
	s_waitcnt vmcnt(51) lgkmcnt(1)
	v_mul_f64 v[116:117], v[71:72], v[126:127]
	v_add_f64 v[2:3], v[2:3], v[104:105]
	v_mul_f64 v[104:105], v[69:70], v[126:127]
	s_waitcnt vmcnt(49)
	v_fma_f64 v[118:119], v[80:81], v[130:131], -v[118:119]
	v_fma_f64 v[100:101], v[82:83], v[130:131], v[100:101]
	s_waitcnt vmcnt(45) lgkmcnt(0)
	v_mul_f64 v[122:123], v[78:79], v[132:133]
	v_mul_f64 v[120:121], v[76:77], v[132:133]
	v_add_f64 v[86:87], v[86:87], v[112:113]
	s_waitcnt vmcnt(44)
	v_fma_f64 v[116:117], v[69:70], v[128:129], -v[116:117]
	v_add_f64 v[2:3], v[2:3], v[108:109]
	s_clause 0x3
	buffer_load_dword v108, off, s[0:3], 0 offset:112
	buffer_load_dword v109, off, s[0:3], 0 offset:116
	;; [unrolled: 1-line block ×4, first 2 shown]
	ds_read_b128 v[80:83], v1 offset:848
	v_fma_f64 v[104:105], v[71:72], v[128:129], v[104:105]
	ds_read_b128 v[69:72], v1 offset:864
	s_waitcnt vmcnt(45)
	v_fma_f64 v[122:123], v[76:77], v[138:139], -v[122:123]
	v_add_f64 v[86:87], v[86:87], v[118:119]
	v_add_f64 v[2:3], v[2:3], v[100:101]
	s_waitcnt lgkmcnt(1)
	v_mul_f64 v[118:119], v[82:83], v[134:135]
	v_mul_f64 v[100:101], v[80:81], v[134:135]
	v_add_f64 v[86:87], v[86:87], v[116:117]
	v_fma_f64 v[116:117], v[78:79], v[138:139], v[120:121]
	v_add_f64 v[2:3], v[2:3], v[104:105]
	s_waitcnt vmcnt(41) lgkmcnt(0)
	v_mul_f64 v[120:121], v[71:72], v[142:143]
	s_waitcnt vmcnt(40)
	v_fma_f64 v[118:119], v[80:81], v[136:137], -v[118:119]
	ds_read_b128 v[76:79], v1 offset:880
	v_mul_f64 v[104:105], v[69:70], v[142:143]
	v_fma_f64 v[100:101], v[82:83], v[136:137], v[100:101]
	ds_read_b128 v[80:83], v1 offset:896
	v_add_f64 v[86:87], v[86:87], v[122:123]
	v_add_f64 v[2:3], v[2:3], v[116:117]
	s_waitcnt vmcnt(39) lgkmcnt(1)
	v_mul_f64 v[122:123], v[78:79], v[144:145]
	v_mul_f64 v[116:117], v[76:77], v[144:145]
	s_waitcnt vmcnt(37)
	v_fma_f64 v[120:121], v[69:70], v[84:85], -v[120:121]
	v_fma_f64 v[84:85], v[71:72], v[84:85], v[104:105]
	ds_read_b128 v[69:72], v1 offset:912
	v_add_f64 v[86:87], v[86:87], v[118:119]
	v_add_f64 v[2:3], v[2:3], v[100:101]
	s_waitcnt vmcnt(33) lgkmcnt(1)
	v_mul_f64 v[100:101], v[80:81], v[88:89]
	v_mul_f64 v[88:89], v[82:83], v[88:89]
	s_waitcnt vmcnt(32)
	v_fma_f64 v[104:105], v[76:77], v[146:147], -v[122:123]
	;; [unrolled: 9-line block ×7, first 2 shown]
	v_fma_f64 v[84:85], v[71:72], v[92:93], v[84:85]
	ds_read_b128 v[69:72], v1 offset:1008
	v_add_f64 v[86:87], v[86:87], v[88:89]
	v_add_f64 v[2:3], v[2:3], v[73:74]
	s_waitcnt vmcnt(9) lgkmcnt(1)
	v_mul_f64 v[88:89], v[82:83], v[98:99]
	s_waitcnt vmcnt(8)
	v_fma_f64 v[76:77], v[76:77], v[150:151], -v[96:97]
	v_mul_f64 v[73:74], v[80:81], v[98:99]
	v_fma_f64 v[78:79], v[78:79], v[150:151], v[94:95]
	v_add_f64 v[86:87], v[86:87], v[90:91]
	v_add_f64 v[2:3], v[2:3], v[84:85]
	s_waitcnt vmcnt(7) lgkmcnt(0)
	v_mul_f64 v[90:91], v[71:72], v[110:111]
	v_mul_f64 v[84:85], v[69:70], v[110:111]
	s_waitcnt vmcnt(5)
	v_fma_f64 v[80:81], v[80:81], v[102:103], -v[88:89]
	v_fma_f64 v[73:74], v[82:83], v[102:103], v[73:74]
	v_add_f64 v[76:77], v[86:87], v[76:77]
	v_add_f64 v[2:3], v[2:3], v[78:79]
	s_waitcnt vmcnt(4)
	v_fma_f64 v[69:70], v[69:70], v[114:115], -v[90:91]
	v_fma_f64 v[71:72], v[71:72], v[114:115], v[84:85]
	v_add_f64 v[76:77], v[76:77], v[80:81]
	v_add_f64 v[2:3], v[2:3], v[73:74]
	;; [unrolled: 1-line block ×4, first 2 shown]
	s_waitcnt vmcnt(2)
	v_add_f64 v[69:70], v[108:109], -v[69:70]
	s_waitcnt vmcnt(0)
	v_add_f64 v[2:3], v[112:113], -v[2:3]
	buffer_store_dword v70, off, s[0:3], 0 offset:116
	buffer_store_dword v69, off, s[0:3], 0 offset:112
	;; [unrolled: 1-line block ×4, first 2 shown]
	v_cmpx_lt_u32_e32 5, v0
	s_cbranch_execz .LBB31_195
; %bb.194:
	v_mov_b32_e32 v2, s39
	s_clause 0x3
	buffer_load_dword v69, v2, s[0:3], 0 offen
	buffer_load_dword v70, v2, s[0:3], 0 offen offset:4
	buffer_load_dword v71, v2, s[0:3], 0 offen offset:8
	;; [unrolled: 1-line block ×3, first 2 shown]
	buffer_store_dword v1, off, s[0:3], 0 offset:96
	buffer_store_dword v1, off, s[0:3], 0 offset:100
	;; [unrolled: 1-line block ×4, first 2 shown]
	s_waitcnt vmcnt(0)
	ds_write_b128 v75, v[69:72]
.LBB31_195:
	s_or_b32 exec_lo, exec_lo, s4
	s_waitcnt lgkmcnt(0)
	s_waitcnt_vscnt null, 0x0
	s_barrier
	buffer_gl0_inv
	s_clause 0x37
	buffer_load_dword v2, off, s[0:3], 0 offset:120
	buffer_load_dword v3, off, s[0:3], 0 offset:124
	;; [unrolled: 1-line block ×56, first 2 shown]
	ds_read_b128 v[69:72], v1 offset:608
	s_clause 0x2
	buffer_load_dword v135, off, s[0:3], 0 offset:348
	buffer_load_dword v139, off, s[0:3], 0 offset:324
	;; [unrolled: 1-line block ×3, first 2 shown]
	ds_read_b128 v[76:79], v1 offset:624
	s_clause 0x4
	buffer_load_dword v143, off, s[0:3], 0 offset:364
	buffer_load_dword v144, off, s[0:3], 0 offset:376
	;; [unrolled: 1-line block ×5, first 2 shown]
	ds_read_b128 v[80:83], v1 offset:640
	s_mov_b32 s4, exec_lo
	s_waitcnt vmcnt(62) lgkmcnt(2)
	v_mul_f64 v[140:141], v[71:72], v[2:3]
	v_mul_f64 v[2:3], v[69:70], v[2:3]
	s_waitcnt vmcnt(60) lgkmcnt(1)
	v_mul_f64 v[147:148], v[78:79], v[73:74]
	v_mul_f64 v[73:74], v[76:77], v[73:74]
	;; [unrolled: 3-line block ×3, first 2 shown]
	v_fma_f64 v[140:141], v[69:70], v[84:85], -v[140:141]
	v_fma_f64 v[2:3], v[71:72], v[84:85], v[2:3]
	s_clause 0x2
	buffer_load_dword v145, off, s[0:3], 0 offset:380
	buffer_load_dword v85, off, s[0:3], 0 offset:356
	;; [unrolled: 1-line block ×3, first 2 shown]
	s_waitcnt vmcnt(57)
	v_fma_f64 v[151:152], v[76:77], v[88:89], -v[147:148]
	ds_read_b128 v[69:72], v1 offset:656
	v_fma_f64 v[73:74], v[78:79], v[88:89], v[73:74]
	s_clause 0x4
	buffer_load_dword v89, off, s[0:3], 0 offset:396
	buffer_load_dword v148, off, s[0:3], 0 offset:408
	;; [unrolled: 1-line block ×5, first 2 shown]
	s_waitcnt vmcnt(56)
	v_fma_f64 v[86:87], v[80:81], v[96:97], -v[86:87]
	ds_read_b128 v[76:79], v1 offset:672
	v_fma_f64 v[96:97], v[82:83], v[96:97], v[149:150]
	v_add_f64 v[140:141], v[140:141], 0
	v_add_f64 v[2:3], v[2:3], 0
	s_waitcnt lgkmcnt(1)
	v_mul_f64 v[154:155], v[69:70], v[90:91]
	v_mul_f64 v[90:91], v[71:72], v[90:91]
	v_add_f64 v[140:141], v[140:141], v[151:152]
	v_add_f64 v[2:3], v[2:3], v[73:74]
	s_clause 0x2
	buffer_load_dword v149, off, s[0:3], 0 offset:412
	buffer_load_dword v74, off, s[0:3], 0 offset:388
	;; [unrolled: 1-line block ×3, first 2 shown]
	s_waitcnt vmcnt(58) lgkmcnt(0)
	v_mul_f64 v[150:151], v[76:77], v[92:93]
	v_mul_f64 v[92:93], v[78:79], v[92:93]
	s_waitcnt vmcnt(56)
	v_fma_f64 v[90:91], v[69:70], v[98:99], -v[90:91]
	ds_read_b128 v[80:83], v1 offset:688
	v_fma_f64 v[98:99], v[71:72], v[98:99], v[154:155]
	v_add_f64 v[86:87], v[140:141], v[86:87]
	v_add_f64 v[2:3], v[2:3], v[96:97]
	s_clause 0x4
	buffer_load_dword v97, off, s[0:3], 0 offset:428
	buffer_load_dword v140, off, s[0:3], 0 offset:440
	;; [unrolled: 1-line block ×5, first 2 shown]
	ds_read_b128 v[69:72], v1 offset:704
	s_waitcnt vmcnt(57) lgkmcnt(1)
	v_mul_f64 v[156:157], v[80:81], v[100:101]
	v_mul_f64 v[100:101], v[82:83], v[100:101]
	s_waitcnt vmcnt(56)
	v_fma_f64 v[92:93], v[76:77], v[94:95], -v[92:93]
	v_add_f64 v[86:87], v[86:87], v[90:91]
	v_fma_f64 v[90:91], v[78:79], v[94:95], v[150:151]
	v_add_f64 v[2:3], v[2:3], v[98:99]
	s_clause 0x2
	buffer_load_dword v141, off, s[0:3], 0 offset:444
	buffer_load_dword v95, off, s[0:3], 0 offset:420
	;; [unrolled: 1-line block ×3, first 2 shown]
	s_waitcnt vmcnt(58) lgkmcnt(0)
	v_mul_f64 v[98:99], v[69:70], v[102:103]
	v_mul_f64 v[102:103], v[71:72], v[102:103]
	s_waitcnt vmcnt(56)
	v_fma_f64 v[100:101], v[80:81], v[106:107], -v[100:101]
	ds_read_b128 v[76:79], v1 offset:720
	v_add_f64 v[86:87], v[86:87], v[92:93]
	v_fma_f64 v[92:93], v[82:83], v[106:107], v[156:157]
	v_add_f64 v[2:3], v[2:3], v[90:91]
	s_clause 0x4
	buffer_load_dword v91, off, s[0:3], 0 offset:460
	buffer_load_dword v106, off, s[0:3], 0 offset:472
	;; [unrolled: 1-line block ×5, first 2 shown]
	ds_read_b128 v[80:83], v1 offset:736
	s_waitcnt vmcnt(57) lgkmcnt(1)
	v_mul_f64 v[151:152], v[76:77], v[108:109]
	v_mul_f64 v[108:109], v[78:79], v[108:109]
	s_waitcnt vmcnt(56)
	v_fma_f64 v[102:103], v[69:70], v[104:105], -v[102:103]
	v_fma_f64 v[98:99], v[71:72], v[104:105], v[98:99]
	v_add_f64 v[86:87], v[86:87], v[100:101]
	v_add_f64 v[2:3], v[2:3], v[92:93]
	s_clause 0x2
	buffer_load_dword v107, off, s[0:3], 0 offset:476
	buffer_load_dword v93, off, s[0:3], 0 offset:452
	;; [unrolled: 1-line block ×3, first 2 shown]
	s_waitcnt vmcnt(58) lgkmcnt(0)
	v_mul_f64 v[104:105], v[82:83], v[110:111]
	ds_read_b128 v[69:72], v1 offset:752
	s_waitcnt vmcnt(56)
	v_fma_f64 v[108:109], v[76:77], v[114:115], -v[108:109]
	v_mul_f64 v[100:101], v[80:81], v[110:111]
	v_add_f64 v[86:87], v[86:87], v[102:103]
	v_fma_f64 v[102:103], v[78:79], v[114:115], v[151:152]
	v_add_f64 v[2:3], v[2:3], v[98:99]
	s_clause 0x4
	buffer_load_dword v99, off, s[0:3], 0 offset:492
	buffer_load_dword v110, off, s[0:3], 0 offset:504
	;; [unrolled: 1-line block ×5, first 2 shown]
	s_waitcnt vmcnt(57) lgkmcnt(0)
	v_mul_f64 v[157:158], v[69:70], v[116:117]
	v_mul_f64 v[115:116], v[71:72], v[116:117]
	s_waitcnt vmcnt(56)
	v_fma_f64 v[104:105], v[80:81], v[112:113], -v[104:105]
	ds_read_b128 v[76:79], v1 offset:768
	v_fma_f64 v[100:101], v[82:83], v[112:113], v[100:101]
	v_add_f64 v[86:87], v[86:87], v[108:109]
	v_add_f64 v[2:3], v[2:3], v[102:103]
	s_clause 0x2
	buffer_load_dword v111, off, s[0:3], 0 offset:508
	buffer_load_dword v103, off, s[0:3], 0 offset:484
	;; [unrolled: 1-line block ×3, first 2 shown]
	ds_read_b128 v[80:83], v1 offset:784
	s_waitcnt vmcnt(58) lgkmcnt(1)
	v_mul_f64 v[112:113], v[78:79], v[118:119]
	s_waitcnt vmcnt(56)
	v_fma_f64 v[116:117], v[69:70], v[122:123], -v[115:116]
	v_mul_f64 v[108:109], v[76:77], v[118:119]
	v_add_f64 v[86:87], v[86:87], v[104:105]
	v_fma_f64 v[104:105], v[71:72], v[122:123], v[157:158]
	v_add_f64 v[2:3], v[2:3], v[100:101]
	s_clause 0x2
	buffer_load_dword v101, off, s[0:3], 0 offset:524
	buffer_load_dword v100, off, s[0:3], 0 offset:520
	;; [unrolled: 1-line block ×3, first 2 shown]
	s_waitcnt vmcnt(55) lgkmcnt(0)
	v_mul_f64 v[122:123], v[82:83], v[124:125]
	s_waitcnt vmcnt(54)
	v_fma_f64 v[112:113], v[76:77], v[120:121], -v[112:113]
	ds_read_b128 v[69:72], v1 offset:800
	v_mul_f64 v[118:119], v[80:81], v[124:125]
	v_fma_f64 v[108:109], v[78:79], v[120:121], v[108:109]
	v_add_f64 v[86:87], v[86:87], v[116:117]
	v_add_f64 v[2:3], v[2:3], v[104:105]
	s_clause 0x1
	buffer_load_dword v105, off, s[0:3], 0 offset:516
	buffer_load_dword v104, off, s[0:3], 0 offset:512
	s_waitcnt vmcnt(55) lgkmcnt(0)
	v_mul_f64 v[120:121], v[71:72], v[126:127]
	s_waitcnt vmcnt(53)
	v_fma_f64 v[122:123], v[80:81], v[130:131], -v[122:123]
	ds_read_b128 v[76:79], v1 offset:816
	v_mul_f64 v[116:117], v[69:70], v[126:127]
	v_add_f64 v[86:87], v[86:87], v[112:113]
	v_fma_f64 v[112:113], v[82:83], v[130:131], v[118:119]
	v_add_f64 v[2:3], v[2:3], v[108:109]
	ds_read_b128 v[80:83], v1 offset:832
	s_waitcnt vmcnt(49) lgkmcnt(1)
	v_mul_f64 v[118:119], v[78:79], v[132:133]
	s_waitcnt vmcnt(48)
	v_fma_f64 v[120:121], v[69:70], v[128:129], -v[120:121]
	v_mul_f64 v[108:109], v[76:77], v[132:133]
	v_fma_f64 v[116:117], v[71:72], v[128:129], v[116:117]
	v_add_f64 v[86:87], v[86:87], v[122:123]
	s_waitcnt vmcnt(47) lgkmcnt(0)
	v_mul_f64 v[126:127], v[82:83], v[134:135]
	v_add_f64 v[2:3], v[2:3], v[112:113]
	s_clause 0x3
	buffer_load_dword v112, off, s[0:3], 0 offset:96
	buffer_load_dword v113, off, s[0:3], 0 offset:100
	;; [unrolled: 1-line block ×4, first 2 shown]
	s_waitcnt vmcnt(49)
	v_fma_f64 v[118:119], v[76:77], v[138:139], -v[118:119]
	ds_read_b128 v[69:72], v1 offset:848
	v_mul_f64 v[124:125], v[80:81], v[134:135]
	v_fma_f64 v[108:109], v[78:79], v[138:139], v[108:109]
	ds_read_b128 v[76:79], v1 offset:864
	v_add_f64 v[86:87], v[86:87], v[120:121]
	s_waitcnt vmcnt(44)
	v_fma_f64 v[126:127], v[80:81], v[136:137], -v[126:127]
	v_add_f64 v[2:3], v[2:3], v[116:117]
	s_waitcnt lgkmcnt(1)
	v_mul_f64 v[120:121], v[71:72], v[142:143]
	v_mul_f64 v[116:117], v[69:70], v[142:143]
	v_add_f64 v[86:87], v[86:87], v[118:119]
	v_fma_f64 v[118:119], v[82:83], v[136:137], v[124:125]
	v_add_f64 v[2:3], v[2:3], v[108:109]
	ds_read_b128 v[80:83], v1 offset:880
	s_waitcnt vmcnt(43) lgkmcnt(1)
	v_mul_f64 v[124:125], v[78:79], v[144:145]
	v_mul_f64 v[108:109], v[76:77], v[144:145]
	s_waitcnt vmcnt(41)
	v_fma_f64 v[120:121], v[69:70], v[84:85], -v[120:121]
	v_fma_f64 v[84:85], v[71:72], v[84:85], v[116:117]
	ds_read_b128 v[69:72], v1 offset:896
	v_add_f64 v[86:87], v[86:87], v[126:127]
	s_waitcnt vmcnt(37) lgkmcnt(1)
	v_mul_f64 v[116:117], v[80:81], v[88:89]
	v_add_f64 v[2:3], v[2:3], v[118:119]
	v_mul_f64 v[88:89], v[82:83], v[88:89]
	s_waitcnt vmcnt(36)
	v_fma_f64 v[118:119], v[76:77], v[146:147], -v[124:125]
	v_fma_f64 v[108:109], v[78:79], v[146:147], v[108:109]
	ds_read_b128 v[76:79], v1 offset:912
	v_add_f64 v[86:87], v[86:87], v[120:121]
	v_add_f64 v[2:3], v[2:3], v[84:85]
	s_waitcnt vmcnt(35) lgkmcnt(1)
	v_mul_f64 v[120:121], v[71:72], v[148:149]
	v_mul_f64 v[84:85], v[69:70], v[148:149]
	s_waitcnt vmcnt(33)
	v_fma_f64 v[88:89], v[80:81], v[73:74], -v[88:89]
	v_fma_f64 v[73:74], v[82:83], v[73:74], v[116:117]
	ds_read_b128 v[80:83], v1 offset:928
	v_add_f64 v[86:87], v[86:87], v[118:119]
	v_add_f64 v[2:3], v[2:3], v[108:109]
	s_waitcnt vmcnt(29) lgkmcnt(1)
	v_mul_f64 v[108:109], v[76:77], v[96:97]
	;; [unrolled: 9-line block ×6, first 2 shown]
	s_waitcnt vmcnt(12)
	v_fma_f64 v[76:77], v[76:77], v[150:151], -v[96:97]
	v_mul_f64 v[73:74], v[80:81], v[98:99]
	v_fma_f64 v[78:79], v[78:79], v[150:151], v[94:95]
	v_add_f64 v[86:87], v[86:87], v[90:91]
	v_add_f64 v[84:85], v[2:3], v[84:85]
	ds_read_b128 v[1:4], v1 offset:1008
	s_waitcnt vmcnt(11) lgkmcnt(1)
	v_mul_f64 v[92:93], v[71:72], v[110:111]
	v_mul_f64 v[90:91], v[69:70], v[110:111]
	s_waitcnt vmcnt(9)
	v_fma_f64 v[80:81], v[80:81], v[102:103], -v[88:89]
	v_fma_f64 v[73:74], v[82:83], v[102:103], v[73:74]
	v_add_f64 v[76:77], v[86:87], v[76:77]
	v_add_f64 v[78:79], v[84:85], v[78:79]
	s_waitcnt vmcnt(7) lgkmcnt(0)
	v_mul_f64 v[84:85], v[3:4], v[100:101]
	s_waitcnt vmcnt(6)
	v_fma_f64 v[69:70], v[69:70], v[114:115], -v[92:93]
	v_mul_f64 v[82:83], v[1:2], v[100:101]
	v_fma_f64 v[71:72], v[71:72], v[114:115], v[90:91]
	v_add_f64 v[76:77], v[76:77], v[80:81]
	v_add_f64 v[73:74], v[78:79], v[73:74]
	s_waitcnt vmcnt(4)
	v_fma_f64 v[1:2], v[1:2], v[104:105], -v[84:85]
	v_fma_f64 v[3:4], v[3:4], v[104:105], v[82:83]
	v_add_f64 v[69:70], v[76:77], v[69:70]
	v_add_f64 v[71:72], v[73:74], v[71:72]
	;; [unrolled: 1-line block ×4, first 2 shown]
	s_waitcnt vmcnt(2)
	v_add_f64 v[1:2], v[112:113], -v[1:2]
	s_waitcnt vmcnt(0)
	v_add_f64 v[3:4], v[122:123], -v[3:4]
	buffer_store_dword v2, off, s[0:3], 0 offset:100
	buffer_store_dword v1, off, s[0:3], 0 offset:96
	;; [unrolled: 1-line block ×4, first 2 shown]
	v_cmpx_lt_u32_e32 4, v0
	s_cbranch_execz .LBB31_197
; %bb.196:
	v_mov_b32_e32 v4, s41
	v_mov_b32_e32 v69, 0
	s_clause 0x3
	buffer_load_dword v1, v4, s[0:3], 0 offen
	buffer_load_dword v2, v4, s[0:3], 0 offen offset:4
	buffer_load_dword v3, v4, s[0:3], 0 offen offset:8
	;; [unrolled: 1-line block ×3, first 2 shown]
	buffer_store_dword v69, off, s[0:3], 0 offset:80
	buffer_store_dword v69, off, s[0:3], 0 offset:84
	;; [unrolled: 1-line block ×4, first 2 shown]
	s_waitcnt vmcnt(0)
	ds_write_b128 v75, v[1:4]
.LBB31_197:
	s_or_b32 exec_lo, exec_lo, s4
	s_waitcnt lgkmcnt(0)
	s_waitcnt_vscnt null, 0x0
	s_barrier
	buffer_gl0_inv
	s_clause 0x37
	buffer_load_dword v2, off, s[0:3], 0 offset:104
	buffer_load_dword v3, off, s[0:3], 0 offset:108
	;; [unrolled: 1-line block ×56, first 2 shown]
	v_mov_b32_e32 v1, 0
	s_mov_b32 s4, exec_lo
	ds_read_b128 v[69:72], v1 offset:592
	s_clause 0x2
	buffer_load_dword v135, off, s[0:3], 0 offset:332
	buffer_load_dword v139, off, s[0:3], 0 offset:308
	;; [unrolled: 1-line block ×3, first 2 shown]
	ds_read_b128 v[76:79], v1 offset:608
	s_clause 0x4
	buffer_load_dword v143, off, s[0:3], 0 offset:348
	buffer_load_dword v144, off, s[0:3], 0 offset:360
	;; [unrolled: 1-line block ×5, first 2 shown]
	ds_read_b128 v[80:83], v1 offset:624
	s_waitcnt vmcnt(62) lgkmcnt(2)
	v_mul_f64 v[140:141], v[71:72], v[2:3]
	v_mul_f64 v[2:3], v[69:70], v[2:3]
	s_waitcnt vmcnt(60) lgkmcnt(1)
	v_mul_f64 v[147:148], v[78:79], v[73:74]
	v_mul_f64 v[73:74], v[76:77], v[73:74]
	;; [unrolled: 3-line block ×3, first 2 shown]
	v_fma_f64 v[140:141], v[69:70], v[84:85], -v[140:141]
	v_fma_f64 v[2:3], v[71:72], v[84:85], v[2:3]
	s_clause 0x2
	buffer_load_dword v145, off, s[0:3], 0 offset:364
	buffer_load_dword v85, off, s[0:3], 0 offset:340
	;; [unrolled: 1-line block ×3, first 2 shown]
	s_waitcnt vmcnt(57)
	v_fma_f64 v[151:152], v[76:77], v[88:89], -v[147:148]
	ds_read_b128 v[69:72], v1 offset:640
	v_fma_f64 v[73:74], v[78:79], v[88:89], v[73:74]
	s_clause 0x4
	buffer_load_dword v89, off, s[0:3], 0 offset:380
	buffer_load_dword v148, off, s[0:3], 0 offset:392
	;; [unrolled: 1-line block ×5, first 2 shown]
	s_waitcnt vmcnt(56)
	v_fma_f64 v[86:87], v[80:81], v[96:97], -v[86:87]
	ds_read_b128 v[76:79], v1 offset:656
	v_fma_f64 v[96:97], v[82:83], v[96:97], v[149:150]
	v_add_f64 v[140:141], v[140:141], 0
	v_add_f64 v[2:3], v[2:3], 0
	s_waitcnt lgkmcnt(1)
	v_mul_f64 v[154:155], v[69:70], v[90:91]
	v_mul_f64 v[90:91], v[71:72], v[90:91]
	v_add_f64 v[140:141], v[140:141], v[151:152]
	v_add_f64 v[2:3], v[2:3], v[73:74]
	s_clause 0x2
	buffer_load_dword v149, off, s[0:3], 0 offset:396
	buffer_load_dword v74, off, s[0:3], 0 offset:372
	;; [unrolled: 1-line block ×3, first 2 shown]
	s_waitcnt vmcnt(58) lgkmcnt(0)
	v_mul_f64 v[150:151], v[76:77], v[92:93]
	v_mul_f64 v[92:93], v[78:79], v[92:93]
	s_waitcnt vmcnt(56)
	v_fma_f64 v[90:91], v[69:70], v[98:99], -v[90:91]
	ds_read_b128 v[80:83], v1 offset:672
	v_fma_f64 v[98:99], v[71:72], v[98:99], v[154:155]
	v_add_f64 v[86:87], v[140:141], v[86:87]
	v_add_f64 v[2:3], v[2:3], v[96:97]
	s_clause 0x4
	buffer_load_dword v97, off, s[0:3], 0 offset:412
	buffer_load_dword v140, off, s[0:3], 0 offset:424
	;; [unrolled: 1-line block ×5, first 2 shown]
	ds_read_b128 v[69:72], v1 offset:688
	s_waitcnt vmcnt(57) lgkmcnt(1)
	v_mul_f64 v[156:157], v[80:81], v[100:101]
	v_mul_f64 v[100:101], v[82:83], v[100:101]
	s_waitcnt vmcnt(56)
	v_fma_f64 v[92:93], v[76:77], v[94:95], -v[92:93]
	v_add_f64 v[86:87], v[86:87], v[90:91]
	v_fma_f64 v[90:91], v[78:79], v[94:95], v[150:151]
	v_add_f64 v[2:3], v[2:3], v[98:99]
	s_clause 0x2
	buffer_load_dword v141, off, s[0:3], 0 offset:428
	buffer_load_dword v95, off, s[0:3], 0 offset:404
	;; [unrolled: 1-line block ×3, first 2 shown]
	s_waitcnt vmcnt(58) lgkmcnt(0)
	v_mul_f64 v[98:99], v[69:70], v[102:103]
	v_mul_f64 v[102:103], v[71:72], v[102:103]
	s_waitcnt vmcnt(56)
	v_fma_f64 v[100:101], v[80:81], v[106:107], -v[100:101]
	ds_read_b128 v[76:79], v1 offset:704
	v_add_f64 v[86:87], v[86:87], v[92:93]
	v_fma_f64 v[92:93], v[82:83], v[106:107], v[156:157]
	v_add_f64 v[2:3], v[2:3], v[90:91]
	s_clause 0x4
	buffer_load_dword v91, off, s[0:3], 0 offset:444
	buffer_load_dword v106, off, s[0:3], 0 offset:456
	;; [unrolled: 1-line block ×5, first 2 shown]
	ds_read_b128 v[80:83], v1 offset:720
	s_waitcnt vmcnt(57) lgkmcnt(1)
	v_mul_f64 v[151:152], v[76:77], v[108:109]
	v_mul_f64 v[108:109], v[78:79], v[108:109]
	s_waitcnt vmcnt(56)
	v_fma_f64 v[102:103], v[69:70], v[104:105], -v[102:103]
	v_fma_f64 v[98:99], v[71:72], v[104:105], v[98:99]
	v_add_f64 v[86:87], v[86:87], v[100:101]
	v_add_f64 v[2:3], v[2:3], v[92:93]
	s_clause 0x2
	buffer_load_dword v107, off, s[0:3], 0 offset:460
	buffer_load_dword v93, off, s[0:3], 0 offset:436
	;; [unrolled: 1-line block ×3, first 2 shown]
	s_waitcnt vmcnt(58) lgkmcnt(0)
	v_mul_f64 v[104:105], v[82:83], v[110:111]
	ds_read_b128 v[69:72], v1 offset:736
	s_waitcnt vmcnt(56)
	v_fma_f64 v[108:109], v[76:77], v[114:115], -v[108:109]
	v_mul_f64 v[100:101], v[80:81], v[110:111]
	v_add_f64 v[86:87], v[86:87], v[102:103]
	v_fma_f64 v[102:103], v[78:79], v[114:115], v[151:152]
	v_add_f64 v[2:3], v[2:3], v[98:99]
	s_clause 0x4
	buffer_load_dword v99, off, s[0:3], 0 offset:476
	buffer_load_dword v110, off, s[0:3], 0 offset:488
	;; [unrolled: 1-line block ×5, first 2 shown]
	s_waitcnt vmcnt(57) lgkmcnt(0)
	v_mul_f64 v[157:158], v[69:70], v[116:117]
	v_mul_f64 v[115:116], v[71:72], v[116:117]
	s_waitcnt vmcnt(56)
	v_fma_f64 v[104:105], v[80:81], v[112:113], -v[104:105]
	ds_read_b128 v[76:79], v1 offset:752
	v_fma_f64 v[100:101], v[82:83], v[112:113], v[100:101]
	v_add_f64 v[86:87], v[86:87], v[108:109]
	v_add_f64 v[2:3], v[2:3], v[102:103]
	s_clause 0x2
	buffer_load_dword v111, off, s[0:3], 0 offset:492
	buffer_load_dword v103, off, s[0:3], 0 offset:468
	;; [unrolled: 1-line block ×3, first 2 shown]
	ds_read_b128 v[80:83], v1 offset:768
	s_waitcnt vmcnt(58) lgkmcnt(1)
	v_mul_f64 v[112:113], v[78:79], v[118:119]
	s_waitcnt vmcnt(56)
	v_fma_f64 v[116:117], v[69:70], v[122:123], -v[115:116]
	v_mul_f64 v[108:109], v[76:77], v[118:119]
	v_add_f64 v[86:87], v[86:87], v[104:105]
	v_fma_f64 v[104:105], v[71:72], v[122:123], v[157:158]
	v_add_f64 v[2:3], v[2:3], v[100:101]
	s_clause 0x4
	buffer_load_dword v101, off, s[0:3], 0 offset:508
	buffer_load_dword v118, off, s[0:3], 0 offset:520
	;; [unrolled: 1-line block ×5, first 2 shown]
	s_waitcnt vmcnt(57) lgkmcnt(0)
	v_mul_f64 v[157:158], v[80:81], v[124:125]
	v_mul_f64 v[123:124], v[82:83], v[124:125]
	s_waitcnt vmcnt(56)
	v_fma_f64 v[112:113], v[76:77], v[120:121], -v[112:113]
	ds_read_b128 v[69:72], v1 offset:784
	v_fma_f64 v[108:109], v[78:79], v[120:121], v[108:109]
	v_add_f64 v[86:87], v[86:87], v[116:117]
	v_add_f64 v[2:3], v[2:3], v[104:105]
	s_clause 0x2
	buffer_load_dword v119, off, s[0:3], 0 offset:524
	buffer_load_dword v105, off, s[0:3], 0 offset:500
	;; [unrolled: 1-line block ×3, first 2 shown]
	ds_read_b128 v[76:79], v1 offset:800
	s_waitcnt vmcnt(58) lgkmcnt(1)
	v_mul_f64 v[120:121], v[71:72], v[126:127]
	s_waitcnt vmcnt(56)
	v_fma_f64 v[124:125], v[80:81], v[130:131], -v[123:124]
	v_mul_f64 v[116:117], v[69:70], v[126:127]
	buffer_load_dword v123, off, s[0:3], 0 offset:516
	v_add_f64 v[86:87], v[86:87], v[112:113]
	v_fma_f64 v[112:113], v[82:83], v[130:131], v[157:158]
	v_add_f64 v[2:3], v[2:3], v[108:109]
	ds_read_b128 v[80:83], v1 offset:816
	s_waitcnt vmcnt(53) lgkmcnt(1)
	v_mul_f64 v[126:127], v[78:79], v[132:133]
	s_waitcnt vmcnt(52)
	v_fma_f64 v[120:121], v[69:70], v[128:129], -v[120:121]
	v_mul_f64 v[108:109], v[76:77], v[132:133]
	v_fma_f64 v[116:117], v[71:72], v[128:129], v[116:117]
	ds_read_b128 v[69:72], v1 offset:832
	v_add_f64 v[86:87], v[86:87], v[124:125]
	s_waitcnt vmcnt(51) lgkmcnt(1)
	v_mul_f64 v[124:125], v[82:83], v[134:135]
	v_add_f64 v[2:3], v[2:3], v[112:113]
	v_mul_f64 v[112:113], v[80:81], v[134:135]
	s_waitcnt vmcnt(49)
	v_fma_f64 v[126:127], v[76:77], v[138:139], -v[126:127]
	v_fma_f64 v[108:109], v[78:79], v[138:139], v[108:109]
	s_waitcnt vmcnt(45) lgkmcnt(0)
	v_mul_f64 v[130:131], v[71:72], v[142:143]
	v_mul_f64 v[128:129], v[69:70], v[142:143]
	v_add_f64 v[86:87], v[86:87], v[120:121]
	s_waitcnt vmcnt(44)
	v_fma_f64 v[124:125], v[80:81], v[136:137], -v[124:125]
	v_add_f64 v[2:3], v[2:3], v[116:117]
	s_clause 0x3
	buffer_load_dword v116, off, s[0:3], 0 offset:80
	buffer_load_dword v117, off, s[0:3], 0 offset:84
	;; [unrolled: 1-line block ×4, first 2 shown]
	ds_read_b128 v[76:79], v1 offset:848
	v_fma_f64 v[112:113], v[82:83], v[136:137], v[112:113]
	ds_read_b128 v[80:83], v1 offset:864
	v_add_f64 v[86:87], v[86:87], v[126:127]
	v_add_f64 v[2:3], v[2:3], v[108:109]
	s_waitcnt vmcnt(47) lgkmcnt(1)
	v_mul_f64 v[126:127], v[78:79], v[144:145]
	v_mul_f64 v[108:109], v[76:77], v[144:145]
	s_waitcnt vmcnt(45)
	v_fma_f64 v[130:131], v[69:70], v[84:85], -v[130:131]
	v_fma_f64 v[84:85], v[71:72], v[84:85], v[128:129]
	ds_read_b128 v[69:72], v1 offset:880
	v_add_f64 v[86:87], v[86:87], v[124:125]
	v_add_f64 v[2:3], v[2:3], v[112:113]
	s_waitcnt vmcnt(41) lgkmcnt(1)
	v_mul_f64 v[112:113], v[80:81], v[88:89]
	v_mul_f64 v[88:89], v[82:83], v[88:89]
	s_waitcnt vmcnt(40)
	v_fma_f64 v[124:125], v[76:77], v[146:147], -v[126:127]
	;; [unrolled: 9-line block ×7, first 2 shown]
	v_fma_f64 v[84:85], v[71:72], v[92:93], v[84:85]
	ds_read_b128 v[69:72], v1 offset:976
	v_add_f64 v[86:87], v[86:87], v[88:89]
	v_add_f64 v[2:3], v[2:3], v[73:74]
	s_waitcnt vmcnt(17) lgkmcnt(1)
	v_mul_f64 v[88:89], v[82:83], v[98:99]
	s_waitcnt vmcnt(16)
	v_fma_f64 v[92:93], v[76:77], v[150:151], -v[96:97]
	v_mul_f64 v[73:74], v[80:81], v[98:99]
	v_add_f64 v[86:87], v[86:87], v[90:91]
	v_fma_f64 v[90:91], v[78:79], v[150:151], v[94:95]
	v_add_f64 v[2:3], v[2:3], v[84:85]
	ds_read_b128 v[76:79], v1 offset:992
	s_waitcnt vmcnt(15) lgkmcnt(1)
	v_mul_f64 v[94:95], v[71:72], v[110:111]
	v_mul_f64 v[84:85], v[69:70], v[110:111]
	s_waitcnt vmcnt(13)
	v_fma_f64 v[88:89], v[80:81], v[102:103], -v[88:89]
	v_fma_f64 v[73:74], v[82:83], v[102:103], v[73:74]
	ds_read_b128 v[80:83], v1 offset:1008
	v_add_f64 v[86:87], v[86:87], v[92:93]
	v_add_f64 v[2:3], v[2:3], v[90:91]
	s_waitcnt vmcnt(9) lgkmcnt(1)
	v_mul_f64 v[92:93], v[78:79], v[100:101]
	s_waitcnt vmcnt(8)
	v_fma_f64 v[69:70], v[69:70], v[114:115], -v[94:95]
	v_mul_f64 v[90:91], v[76:77], v[100:101]
	v_fma_f64 v[71:72], v[71:72], v[114:115], v[84:85]
	v_add_f64 v[86:87], v[86:87], v[88:89]
	v_add_f64 v[2:3], v[2:3], v[73:74]
	s_waitcnt vmcnt(7) lgkmcnt(0)
	v_mul_f64 v[84:85], v[82:83], v[118:119]
	v_mul_f64 v[73:74], v[80:81], v[118:119]
	s_waitcnt vmcnt(5)
	v_fma_f64 v[76:77], v[76:77], v[104:105], -v[92:93]
	v_fma_f64 v[78:79], v[78:79], v[104:105], v[90:91]
	v_add_f64 v[69:70], v[86:87], v[69:70]
	v_add_f64 v[2:3], v[2:3], v[71:72]
	s_waitcnt vmcnt(4)
	v_fma_f64 v[71:72], v[80:81], v[122:123], -v[84:85]
	v_fma_f64 v[73:74], v[82:83], v[122:123], v[73:74]
	v_add_f64 v[69:70], v[69:70], v[76:77]
	v_add_f64 v[2:3], v[2:3], v[78:79]
	;; [unrolled: 1-line block ×4, first 2 shown]
	s_waitcnt vmcnt(2)
	v_add_f64 v[69:70], v[116:117], -v[69:70]
	s_waitcnt vmcnt(0)
	v_add_f64 v[2:3], v[120:121], -v[2:3]
	buffer_store_dword v70, off, s[0:3], 0 offset:84
	buffer_store_dword v69, off, s[0:3], 0 offset:80
	;; [unrolled: 1-line block ×4, first 2 shown]
	v_cmpx_lt_u32_e32 3, v0
	s_cbranch_execz .LBB31_199
; %bb.198:
	v_mov_b32_e32 v2, s42
	s_clause 0x3
	buffer_load_dword v69, v2, s[0:3], 0 offen
	buffer_load_dword v70, v2, s[0:3], 0 offen offset:4
	buffer_load_dword v71, v2, s[0:3], 0 offen offset:8
	;; [unrolled: 1-line block ×3, first 2 shown]
	buffer_store_dword v1, off, s[0:3], 0 offset:64
	buffer_store_dword v1, off, s[0:3], 0 offset:68
	;; [unrolled: 1-line block ×4, first 2 shown]
	s_waitcnt vmcnt(0)
	ds_write_b128 v75, v[69:72]
.LBB31_199:
	s_or_b32 exec_lo, exec_lo, s4
	s_waitcnt lgkmcnt(0)
	s_waitcnt_vscnt null, 0x0
	s_barrier
	buffer_gl0_inv
	s_clause 0x37
	buffer_load_dword v2, off, s[0:3], 0 offset:88
	buffer_load_dword v3, off, s[0:3], 0 offset:92
	;; [unrolled: 1-line block ×56, first 2 shown]
	ds_read_b128 v[69:72], v1 offset:576
	s_clause 0x2
	buffer_load_dword v135, off, s[0:3], 0 offset:316
	buffer_load_dword v139, off, s[0:3], 0 offset:292
	buffer_load_dword v138, off, s[0:3], 0 offset:288
	ds_read_b128 v[76:79], v1 offset:592
	s_clause 0x4
	buffer_load_dword v143, off, s[0:3], 0 offset:332
	buffer_load_dword v144, off, s[0:3], 0 offset:344
	;; [unrolled: 1-line block ×5, first 2 shown]
	ds_read_b128 v[80:83], v1 offset:608
	s_mov_b32 s4, exec_lo
	s_waitcnt vmcnt(62) lgkmcnt(2)
	v_mul_f64 v[140:141], v[71:72], v[2:3]
	v_mul_f64 v[2:3], v[69:70], v[2:3]
	s_waitcnt vmcnt(60) lgkmcnt(1)
	v_mul_f64 v[147:148], v[78:79], v[73:74]
	v_mul_f64 v[73:74], v[76:77], v[73:74]
	s_waitcnt vmcnt(56) lgkmcnt(0)
	v_mul_f64 v[149:150], v[80:81], v[86:87]
	v_mul_f64 v[86:87], v[82:83], v[86:87]
	v_fma_f64 v[140:141], v[69:70], v[84:85], -v[140:141]
	v_fma_f64 v[2:3], v[71:72], v[84:85], v[2:3]
	s_clause 0x2
	buffer_load_dword v145, off, s[0:3], 0 offset:348
	buffer_load_dword v85, off, s[0:3], 0 offset:324
	;; [unrolled: 1-line block ×3, first 2 shown]
	s_waitcnt vmcnt(57)
	v_fma_f64 v[151:152], v[76:77], v[88:89], -v[147:148]
	ds_read_b128 v[69:72], v1 offset:624
	v_fma_f64 v[73:74], v[78:79], v[88:89], v[73:74]
	s_clause 0x4
	buffer_load_dword v89, off, s[0:3], 0 offset:364
	buffer_load_dword v148, off, s[0:3], 0 offset:376
	;; [unrolled: 1-line block ×5, first 2 shown]
	s_waitcnt vmcnt(56)
	v_fma_f64 v[86:87], v[80:81], v[96:97], -v[86:87]
	ds_read_b128 v[76:79], v1 offset:640
	v_fma_f64 v[96:97], v[82:83], v[96:97], v[149:150]
	v_add_f64 v[140:141], v[140:141], 0
	v_add_f64 v[2:3], v[2:3], 0
	s_waitcnt lgkmcnt(1)
	v_mul_f64 v[154:155], v[69:70], v[90:91]
	v_mul_f64 v[90:91], v[71:72], v[90:91]
	v_add_f64 v[140:141], v[140:141], v[151:152]
	v_add_f64 v[2:3], v[2:3], v[73:74]
	s_clause 0x2
	buffer_load_dword v149, off, s[0:3], 0 offset:380
	buffer_load_dword v74, off, s[0:3], 0 offset:356
	;; [unrolled: 1-line block ×3, first 2 shown]
	s_waitcnt vmcnt(58) lgkmcnt(0)
	v_mul_f64 v[150:151], v[76:77], v[92:93]
	v_mul_f64 v[92:93], v[78:79], v[92:93]
	s_waitcnt vmcnt(56)
	v_fma_f64 v[90:91], v[69:70], v[98:99], -v[90:91]
	ds_read_b128 v[80:83], v1 offset:656
	v_fma_f64 v[98:99], v[71:72], v[98:99], v[154:155]
	v_add_f64 v[86:87], v[140:141], v[86:87]
	v_add_f64 v[2:3], v[2:3], v[96:97]
	s_clause 0x4
	buffer_load_dword v97, off, s[0:3], 0 offset:396
	buffer_load_dword v140, off, s[0:3], 0 offset:408
	;; [unrolled: 1-line block ×5, first 2 shown]
	ds_read_b128 v[69:72], v1 offset:672
	s_waitcnt vmcnt(57) lgkmcnt(1)
	v_mul_f64 v[156:157], v[80:81], v[100:101]
	v_mul_f64 v[100:101], v[82:83], v[100:101]
	s_waitcnt vmcnt(56)
	v_fma_f64 v[92:93], v[76:77], v[94:95], -v[92:93]
	v_add_f64 v[86:87], v[86:87], v[90:91]
	v_fma_f64 v[90:91], v[78:79], v[94:95], v[150:151]
	v_add_f64 v[2:3], v[2:3], v[98:99]
	s_clause 0x2
	buffer_load_dword v141, off, s[0:3], 0 offset:412
	buffer_load_dword v95, off, s[0:3], 0 offset:388
	;; [unrolled: 1-line block ×3, first 2 shown]
	s_waitcnt vmcnt(58) lgkmcnt(0)
	v_mul_f64 v[98:99], v[69:70], v[102:103]
	v_mul_f64 v[102:103], v[71:72], v[102:103]
	s_waitcnt vmcnt(56)
	v_fma_f64 v[100:101], v[80:81], v[106:107], -v[100:101]
	ds_read_b128 v[76:79], v1 offset:688
	v_add_f64 v[86:87], v[86:87], v[92:93]
	v_fma_f64 v[92:93], v[82:83], v[106:107], v[156:157]
	v_add_f64 v[2:3], v[2:3], v[90:91]
	s_clause 0x4
	buffer_load_dword v91, off, s[0:3], 0 offset:428
	buffer_load_dword v106, off, s[0:3], 0 offset:440
	;; [unrolled: 1-line block ×5, first 2 shown]
	ds_read_b128 v[80:83], v1 offset:704
	s_waitcnt vmcnt(57) lgkmcnt(1)
	v_mul_f64 v[151:152], v[76:77], v[108:109]
	v_mul_f64 v[108:109], v[78:79], v[108:109]
	s_waitcnt vmcnt(56)
	v_fma_f64 v[102:103], v[69:70], v[104:105], -v[102:103]
	v_fma_f64 v[98:99], v[71:72], v[104:105], v[98:99]
	v_add_f64 v[86:87], v[86:87], v[100:101]
	v_add_f64 v[2:3], v[2:3], v[92:93]
	s_clause 0x2
	buffer_load_dword v107, off, s[0:3], 0 offset:444
	buffer_load_dword v93, off, s[0:3], 0 offset:420
	buffer_load_dword v92, off, s[0:3], 0 offset:416
	s_waitcnt vmcnt(58) lgkmcnt(0)
	v_mul_f64 v[104:105], v[82:83], v[110:111]
	ds_read_b128 v[69:72], v1 offset:720
	s_waitcnt vmcnt(56)
	v_fma_f64 v[108:109], v[76:77], v[114:115], -v[108:109]
	v_mul_f64 v[100:101], v[80:81], v[110:111]
	v_add_f64 v[86:87], v[86:87], v[102:103]
	v_fma_f64 v[102:103], v[78:79], v[114:115], v[151:152]
	v_add_f64 v[2:3], v[2:3], v[98:99]
	s_clause 0x4
	buffer_load_dword v99, off, s[0:3], 0 offset:460
	buffer_load_dword v110, off, s[0:3], 0 offset:472
	;; [unrolled: 1-line block ×5, first 2 shown]
	s_waitcnt vmcnt(57) lgkmcnt(0)
	v_mul_f64 v[157:158], v[69:70], v[116:117]
	v_mul_f64 v[115:116], v[71:72], v[116:117]
	s_waitcnt vmcnt(56)
	v_fma_f64 v[104:105], v[80:81], v[112:113], -v[104:105]
	ds_read_b128 v[76:79], v1 offset:736
	v_fma_f64 v[100:101], v[82:83], v[112:113], v[100:101]
	v_add_f64 v[86:87], v[86:87], v[108:109]
	v_add_f64 v[2:3], v[2:3], v[102:103]
	s_clause 0x2
	buffer_load_dword v111, off, s[0:3], 0 offset:476
	buffer_load_dword v103, off, s[0:3], 0 offset:452
	;; [unrolled: 1-line block ×3, first 2 shown]
	ds_read_b128 v[80:83], v1 offset:752
	s_waitcnt vmcnt(58) lgkmcnt(1)
	v_mul_f64 v[112:113], v[78:79], v[118:119]
	s_waitcnt vmcnt(56)
	v_fma_f64 v[116:117], v[69:70], v[122:123], -v[115:116]
	v_mul_f64 v[108:109], v[76:77], v[118:119]
	v_add_f64 v[86:87], v[86:87], v[104:105]
	v_fma_f64 v[104:105], v[71:72], v[122:123], v[157:158]
	v_add_f64 v[2:3], v[2:3], v[100:101]
	s_clause 0x4
	buffer_load_dword v101, off, s[0:3], 0 offset:492
	buffer_load_dword v118, off, s[0:3], 0 offset:504
	;; [unrolled: 1-line block ×5, first 2 shown]
	s_waitcnt vmcnt(57) lgkmcnt(0)
	v_mul_f64 v[157:158], v[80:81], v[124:125]
	v_mul_f64 v[123:124], v[82:83], v[124:125]
	s_waitcnt vmcnt(56)
	v_fma_f64 v[112:113], v[76:77], v[120:121], -v[112:113]
	ds_read_b128 v[69:72], v1 offset:768
	v_fma_f64 v[108:109], v[78:79], v[120:121], v[108:109]
	v_add_f64 v[86:87], v[86:87], v[116:117]
	v_add_f64 v[2:3], v[2:3], v[104:105]
	s_clause 0x2
	buffer_load_dword v119, off, s[0:3], 0 offset:508
	buffer_load_dword v105, off, s[0:3], 0 offset:484
	;; [unrolled: 1-line block ×3, first 2 shown]
	ds_read_b128 v[76:79], v1 offset:784
	s_waitcnt vmcnt(58) lgkmcnt(1)
	v_mul_f64 v[120:121], v[71:72], v[126:127]
	s_waitcnt vmcnt(56)
	v_fma_f64 v[124:125], v[80:81], v[130:131], -v[123:124]
	v_mul_f64 v[116:117], v[69:70], v[126:127]
	v_add_f64 v[86:87], v[86:87], v[112:113]
	v_fma_f64 v[112:113], v[82:83], v[130:131], v[157:158]
	v_add_f64 v[2:3], v[2:3], v[108:109]
	s_clause 0x2
	buffer_load_dword v109, off, s[0:3], 0 offset:524
	buffer_load_dword v108, off, s[0:3], 0 offset:520
	;; [unrolled: 1-line block ×3, first 2 shown]
	s_waitcnt vmcnt(55) lgkmcnt(0)
	v_mul_f64 v[130:131], v[78:79], v[132:133]
	s_waitcnt vmcnt(54)
	v_fma_f64 v[120:121], v[69:70], v[128:129], -v[120:121]
	ds_read_b128 v[80:83], v1 offset:800
	v_mul_f64 v[126:127], v[76:77], v[132:133]
	v_fma_f64 v[116:117], v[71:72], v[128:129], v[116:117]
	v_add_f64 v[86:87], v[86:87], v[124:125]
	v_add_f64 v[2:3], v[2:3], v[112:113]
	s_clause 0x1
	buffer_load_dword v113, off, s[0:3], 0 offset:516
	buffer_load_dword v112, off, s[0:3], 0 offset:512
	s_waitcnt vmcnt(55) lgkmcnt(0)
	v_mul_f64 v[128:129], v[82:83], v[134:135]
	s_waitcnt vmcnt(53)
	v_fma_f64 v[130:131], v[76:77], v[138:139], -v[130:131]
	ds_read_b128 v[69:72], v1 offset:816
	v_mul_f64 v[124:125], v[80:81], v[134:135]
	v_add_f64 v[86:87], v[86:87], v[120:121]
	v_fma_f64 v[120:121], v[78:79], v[138:139], v[126:127]
	v_add_f64 v[2:3], v[2:3], v[116:117]
	ds_read_b128 v[76:79], v1 offset:832
	s_waitcnt vmcnt(49) lgkmcnt(1)
	v_mul_f64 v[126:127], v[71:72], v[142:143]
	s_waitcnt vmcnt(48)
	v_fma_f64 v[128:129], v[80:81], v[136:137], -v[128:129]
	v_mul_f64 v[116:117], v[69:70], v[142:143]
	v_fma_f64 v[124:125], v[82:83], v[136:137], v[124:125]
	v_add_f64 v[86:87], v[86:87], v[130:131]
	v_add_f64 v[2:3], v[2:3], v[120:121]
	s_clause 0x3
	buffer_load_dword v120, off, s[0:3], 0 offset:64
	buffer_load_dword v121, off, s[0:3], 0 offset:68
	;; [unrolled: 1-line block ×4, first 2 shown]
	ds_read_b128 v[80:83], v1 offset:848
	s_waitcnt vmcnt(51) lgkmcnt(1)
	v_mul_f64 v[134:135], v[78:79], v[144:145]
	v_mul_f64 v[132:133], v[76:77], v[144:145]
	s_waitcnt vmcnt(49)
	v_fma_f64 v[126:127], v[69:70], v[84:85], -v[126:127]
	v_fma_f64 v[84:85], v[71:72], v[84:85], v[116:117]
	ds_read_b128 v[69:72], v1 offset:864
	v_add_f64 v[86:87], v[86:87], v[128:129]
	v_add_f64 v[2:3], v[2:3], v[124:125]
	s_waitcnt vmcnt(45) lgkmcnt(1)
	v_mul_f64 v[116:117], v[80:81], v[88:89]
	v_mul_f64 v[88:89], v[82:83], v[88:89]
	s_waitcnt vmcnt(44)
	v_fma_f64 v[124:125], v[76:77], v[146:147], -v[134:135]
	v_add_f64 v[86:87], v[86:87], v[126:127]
	v_fma_f64 v[126:127], v[78:79], v[146:147], v[132:133]
	v_add_f64 v[2:3], v[2:3], v[84:85]
	ds_read_b128 v[76:79], v1 offset:880
	s_waitcnt vmcnt(43) lgkmcnt(1)
	v_mul_f64 v[128:129], v[71:72], v[148:149]
	v_mul_f64 v[84:85], v[69:70], v[148:149]
	s_waitcnt vmcnt(41)
	v_fma_f64 v[88:89], v[80:81], v[73:74], -v[88:89]
	v_fma_f64 v[73:74], v[82:83], v[73:74], v[116:117]
	ds_read_b128 v[80:83], v1 offset:896
	v_add_f64 v[86:87], v[86:87], v[124:125]
	v_add_f64 v[2:3], v[2:3], v[126:127]
	s_waitcnt vmcnt(37) lgkmcnt(1)
	v_mul_f64 v[116:117], v[76:77], v[96:97]
	v_mul_f64 v[96:97], v[78:79], v[96:97]
	s_waitcnt vmcnt(36)
	v_fma_f64 v[124:125], v[69:70], v[153:154], -v[128:129]
	v_fma_f64 v[84:85], v[71:72], v[153:154], v[84:85]
	ds_read_b128 v[69:72], v1 offset:912
	v_add_f64 v[86:87], v[86:87], v[88:89]
	v_add_f64 v[2:3], v[2:3], v[73:74]
	;; [unrolled: 9-line block ×5, first 2 shown]
	s_waitcnt vmcnt(21) lgkmcnt(1)
	v_mul_f64 v[88:89], v[82:83], v[98:99]
	s_waitcnt vmcnt(20)
	v_fma_f64 v[92:93], v[76:77], v[150:151], -v[96:97]
	v_mul_f64 v[73:74], v[80:81], v[98:99]
	v_add_f64 v[86:87], v[86:87], v[90:91]
	v_fma_f64 v[90:91], v[78:79], v[150:151], v[94:95]
	v_add_f64 v[2:3], v[2:3], v[84:85]
	ds_read_b128 v[76:79], v1 offset:976
	s_waitcnt vmcnt(19) lgkmcnt(1)
	v_mul_f64 v[94:95], v[71:72], v[110:111]
	v_mul_f64 v[84:85], v[69:70], v[110:111]
	s_waitcnt vmcnt(17)
	v_fma_f64 v[88:89], v[80:81], v[102:103], -v[88:89]
	v_fma_f64 v[73:74], v[82:83], v[102:103], v[73:74]
	ds_read_b128 v[80:83], v1 offset:992
	v_add_f64 v[86:87], v[86:87], v[92:93]
	v_add_f64 v[2:3], v[2:3], v[90:91]
	s_waitcnt vmcnt(13) lgkmcnt(1)
	v_mul_f64 v[92:93], v[78:79], v[100:101]
	s_waitcnt vmcnt(12)
	v_fma_f64 v[69:70], v[69:70], v[114:115], -v[94:95]
	v_mul_f64 v[90:91], v[76:77], v[100:101]
	v_fma_f64 v[71:72], v[71:72], v[114:115], v[84:85]
	v_add_f64 v[86:87], v[86:87], v[88:89]
	v_add_f64 v[73:74], v[2:3], v[73:74]
	ds_read_b128 v[1:4], v1 offset:1008
	s_waitcnt vmcnt(11) lgkmcnt(1)
	v_mul_f64 v[88:89], v[82:83], v[118:119]
	v_mul_f64 v[84:85], v[80:81], v[118:119]
	s_waitcnt vmcnt(9)
	v_fma_f64 v[76:77], v[76:77], v[104:105], -v[92:93]
	v_fma_f64 v[78:79], v[78:79], v[104:105], v[90:91]
	v_add_f64 v[69:70], v[86:87], v[69:70]
	v_add_f64 v[71:72], v[73:74], v[71:72]
	s_waitcnt vmcnt(7) lgkmcnt(0)
	v_mul_f64 v[86:87], v[3:4], v[108:109]
	s_waitcnt vmcnt(6)
	v_fma_f64 v[80:81], v[80:81], v[122:123], -v[88:89]
	v_mul_f64 v[73:74], v[1:2], v[108:109]
	v_add_f64 v[69:70], v[69:70], v[76:77]
	v_fma_f64 v[76:77], v[82:83], v[122:123], v[84:85]
	v_add_f64 v[71:72], v[71:72], v[78:79]
	s_waitcnt vmcnt(4)
	v_fma_f64 v[1:2], v[1:2], v[112:113], -v[86:87]
	v_fma_f64 v[3:4], v[3:4], v[112:113], v[73:74]
	v_add_f64 v[69:70], v[69:70], v[80:81]
	v_add_f64 v[71:72], v[71:72], v[76:77]
	;; [unrolled: 1-line block ×4, first 2 shown]
	s_waitcnt vmcnt(2)
	v_add_f64 v[1:2], v[120:121], -v[1:2]
	s_waitcnt vmcnt(0)
	v_add_f64 v[3:4], v[130:131], -v[3:4]
	buffer_store_dword v2, off, s[0:3], 0 offset:68
	buffer_store_dword v1, off, s[0:3], 0 offset:64
	;; [unrolled: 1-line block ×4, first 2 shown]
	v_cmpx_lt_u32_e32 2, v0
	s_cbranch_execz .LBB31_201
; %bb.200:
	v_mov_b32_e32 v4, s43
	v_mov_b32_e32 v69, 0
	s_clause 0x3
	buffer_load_dword v1, v4, s[0:3], 0 offen
	buffer_load_dword v2, v4, s[0:3], 0 offen offset:4
	buffer_load_dword v3, v4, s[0:3], 0 offen offset:8
	;; [unrolled: 1-line block ×3, first 2 shown]
	buffer_store_dword v69, off, s[0:3], 0 offset:48
	buffer_store_dword v69, off, s[0:3], 0 offset:52
	;; [unrolled: 1-line block ×4, first 2 shown]
	s_waitcnt vmcnt(0)
	ds_write_b128 v75, v[1:4]
.LBB31_201:
	s_or_b32 exec_lo, exec_lo, s4
	s_waitcnt lgkmcnt(0)
	s_waitcnt_vscnt null, 0x0
	s_barrier
	buffer_gl0_inv
	s_clause 0x37
	buffer_load_dword v73, off, s[0:3], 0 offset:72
	buffer_load_dword v74, off, s[0:3], 0 offset:76
	;; [unrolled: 1-line block ×56, first 2 shown]
	v_mov_b32_e32 v76, 0
	s_mov_b32 s4, exec_lo
	ds_read_b128 v[69:72], v76 offset:560
	s_clause 0x2
	buffer_load_dword v134, off, s[0:3], 0 offset:300
	buffer_load_dword v138, off, s[0:3], 0 offset:276
	;; [unrolled: 1-line block ×3, first 2 shown]
	ds_read_b128 v[77:80], v76 offset:576
	s_clause 0x4
	buffer_load_dword v142, off, s[0:3], 0 offset:316
	buffer_load_dword v143, off, s[0:3], 0 offset:328
	;; [unrolled: 1-line block ×5, first 2 shown]
	ds_read_b128 v[81:84], v76 offset:592
	s_waitcnt vmcnt(62) lgkmcnt(2)
	v_mul_f64 v[139:140], v[71:72], v[73:74]
	v_mul_f64 v[73:74], v[69:70], v[73:74]
	s_waitcnt vmcnt(60) lgkmcnt(1)
	v_mul_f64 v[146:147], v[79:80], v[85:86]
	v_mul_f64 v[85:86], v[77:78], v[85:86]
	;; [unrolled: 3-line block ×3, first 2 shown]
	v_fma_f64 v[139:140], v[69:70], v[87:88], -v[139:140]
	v_fma_f64 v[73:74], v[71:72], v[87:88], v[73:74]
	s_clause 0x2
	buffer_load_dword v144, off, s[0:3], 0 offset:332
	buffer_load_dword v88, off, s[0:3], 0 offset:308
	;; [unrolled: 1-line block ×3, first 2 shown]
	s_waitcnt vmcnt(57)
	v_fma_f64 v[77:78], v[77:78], v[1:2], -v[146:147]
	ds_read_b128 v[69:72], v76 offset:608
	v_fma_f64 v[79:80], v[79:80], v[1:2], v[85:86]
	s_clause 0x4
	buffer_load_dword v86, off, s[0:3], 0 offset:348
	buffer_load_dword v147, off, s[0:3], 0 offset:360
	;; [unrolled: 1-line block ×5, first 2 shown]
	s_waitcnt vmcnt(56)
	v_fma_f64 v[81:82], v[81:82], v[95:96], -v[150:151]
	ds_read_b128 v[1:4], v76 offset:624
	v_fma_f64 v[83:84], v[83:84], v[95:96], v[148:149]
	s_clause 0x2
	buffer_load_dword v148, off, s[0:3], 0 offset:364
	buffer_load_dword v96, off, s[0:3], 0 offset:340
	;; [unrolled: 1-line block ×3, first 2 shown]
	v_add_f64 v[139:140], v[139:140], 0
	v_add_f64 v[73:74], v[73:74], 0
	s_waitcnt lgkmcnt(1)
	v_mul_f64 v[153:154], v[69:70], v[89:90]
	v_mul_f64 v[89:90], v[71:72], v[89:90]
	s_waitcnt vmcnt(58) lgkmcnt(0)
	v_mul_f64 v[149:150], v[1:2], v[91:92]
	v_mul_f64 v[91:92], v[3:4], v[91:92]
	v_add_f64 v[139:140], v[139:140], v[77:78]
	v_add_f64 v[73:74], v[73:74], v[79:80]
	ds_read_b128 v[77:80], v76 offset:640
	s_waitcnt vmcnt(56)
	v_fma_f64 v[89:90], v[69:70], v[97:98], -v[89:90]
	v_fma_f64 v[97:98], v[71:72], v[97:98], v[153:154]
	s_waitcnt vmcnt(51)
	v_fma_f64 v[91:92], v[1:2], v[93:94], -v[91:92]
	s_waitcnt lgkmcnt(0)
	v_mul_f64 v[155:156], v[77:78], v[99:100]
	v_add_f64 v[81:82], v[139:140], v[81:82]
	v_add_f64 v[73:74], v[73:74], v[83:84]
	s_clause 0x4
	buffer_load_dword v84, off, s[0:3], 0 offset:380
	buffer_load_dword v139, off, s[0:3], 0 offset:392
	;; [unrolled: 1-line block ×5, first 2 shown]
	v_mul_f64 v[99:100], v[79:80], v[99:100]
	ds_read_b128 v[69:72], v76 offset:656
	v_add_f64 v[81:82], v[81:82], v[89:90]
	v_fma_f64 v[89:90], v[3:4], v[93:94], v[149:150]
	v_add_f64 v[73:74], v[73:74], v[97:98]
	s_clause 0x2
	buffer_load_dword v140, off, s[0:3], 0 offset:396
	buffer_load_dword v94, off, s[0:3], 0 offset:372
	;; [unrolled: 1-line block ×3, first 2 shown]
	s_waitcnt vmcnt(58) lgkmcnt(0)
	v_mul_f64 v[97:98], v[69:70], v[101:102]
	v_mul_f64 v[101:102], v[71:72], v[101:102]
	s_waitcnt vmcnt(56)
	v_fma_f64 v[99:100], v[77:78], v[105:106], -v[99:100]
	ds_read_b128 v[1:4], v76 offset:672
	v_add_f64 v[81:82], v[81:82], v[91:92]
	v_fma_f64 v[91:92], v[79:80], v[105:106], v[155:156]
	v_add_f64 v[73:74], v[73:74], v[89:90]
	s_clause 0x4
	buffer_load_dword v90, off, s[0:3], 0 offset:412
	buffer_load_dword v105, off, s[0:3], 0 offset:424
	;; [unrolled: 1-line block ×5, first 2 shown]
	ds_read_b128 v[77:80], v76 offset:688
	s_waitcnt vmcnt(57) lgkmcnt(1)
	v_mul_f64 v[150:151], v[1:2], v[107:108]
	v_mul_f64 v[107:108], v[3:4], v[107:108]
	s_waitcnt vmcnt(56)
	v_fma_f64 v[101:102], v[69:70], v[103:104], -v[101:102]
	v_fma_f64 v[97:98], v[71:72], v[103:104], v[97:98]
	v_add_f64 v[81:82], v[81:82], v[99:100]
	v_add_f64 v[73:74], v[73:74], v[91:92]
	s_clause 0x2
	buffer_load_dword v106, off, s[0:3], 0 offset:428
	buffer_load_dword v92, off, s[0:3], 0 offset:404
	;; [unrolled: 1-line block ×3, first 2 shown]
	s_waitcnt vmcnt(58) lgkmcnt(0)
	v_mul_f64 v[103:104], v[79:80], v[109:110]
	ds_read_b128 v[69:72], v76 offset:704
	s_waitcnt vmcnt(56)
	v_fma_f64 v[107:108], v[1:2], v[113:114], -v[107:108]
	v_mul_f64 v[99:100], v[77:78], v[109:110]
	v_add_f64 v[81:82], v[81:82], v[101:102]
	v_fma_f64 v[101:102], v[3:4], v[113:114], v[150:151]
	v_add_f64 v[73:74], v[73:74], v[97:98]
	s_clause 0x4
	buffer_load_dword v98, off, s[0:3], 0 offset:444
	buffer_load_dword v109, off, s[0:3], 0 offset:456
	buffer_load_dword v113, off, s[0:3], 0 offset:448
	buffer_load_dword v97, off, s[0:3], 0 offset:440
	buffer_load_dword v150, off, s[0:3], 0 offset:420
	s_waitcnt vmcnt(57) lgkmcnt(0)
	v_mul_f64 v[156:157], v[69:70], v[115:116]
	v_mul_f64 v[114:115], v[71:72], v[115:116]
	s_waitcnt vmcnt(56)
	v_fma_f64 v[103:104], v[77:78], v[111:112], -v[103:104]
	ds_read_b128 v[1:4], v76 offset:720
	v_fma_f64 v[99:100], v[79:80], v[111:112], v[99:100]
	v_add_f64 v[81:82], v[81:82], v[107:108]
	v_add_f64 v[73:74], v[73:74], v[101:102]
	s_clause 0x2
	buffer_load_dword v110, off, s[0:3], 0 offset:460
	buffer_load_dword v102, off, s[0:3], 0 offset:436
	buffer_load_dword v101, off, s[0:3], 0 offset:432
	ds_read_b128 v[77:80], v76 offset:736
	s_waitcnt vmcnt(58) lgkmcnt(1)
	v_mul_f64 v[111:112], v[3:4], v[117:118]
	s_waitcnt vmcnt(56)
	v_fma_f64 v[115:116], v[69:70], v[121:122], -v[114:115]
	v_mul_f64 v[107:108], v[1:2], v[117:118]
	v_add_f64 v[81:82], v[81:82], v[103:104]
	v_fma_f64 v[103:104], v[71:72], v[121:122], v[156:157]
	v_add_f64 v[73:74], v[73:74], v[99:100]
	s_clause 0x4
	buffer_load_dword v100, off, s[0:3], 0 offset:476
	buffer_load_dword v117, off, s[0:3], 0 offset:488
	buffer_load_dword v121, off, s[0:3], 0 offset:480
	buffer_load_dword v99, off, s[0:3], 0 offset:472
	buffer_load_dword v114, off, s[0:3], 0 offset:452
	s_waitcnt vmcnt(57) lgkmcnt(0)
	v_mul_f64 v[156:157], v[77:78], v[123:124]
	v_mul_f64 v[122:123], v[79:80], v[123:124]
	s_waitcnt vmcnt(56)
	v_fma_f64 v[111:112], v[1:2], v[119:120], -v[111:112]
	ds_read_b128 v[69:72], v76 offset:752
	v_fma_f64 v[107:108], v[3:4], v[119:120], v[107:108]
	v_add_f64 v[81:82], v[81:82], v[115:116]
	v_add_f64 v[73:74], v[73:74], v[103:104]
	s_clause 0x2
	buffer_load_dword v118, off, s[0:3], 0 offset:492
	buffer_load_dword v104, off, s[0:3], 0 offset:468
	buffer_load_dword v103, off, s[0:3], 0 offset:464
	ds_read_b128 v[1:4], v76 offset:768
	s_waitcnt vmcnt(58) lgkmcnt(1)
	v_mul_f64 v[119:120], v[71:72], v[125:126]
	;; [unrolled: 28-line block ×3, first 2 shown]
	s_waitcnt vmcnt(56)
	v_fma_f64 v[131:132], v[1:2], v[137:138], -v[130:131]
	v_mul_f64 v[123:124], v[77:78], v[133:134]
	buffer_load_dword v130, off, s[0:3], 0 offset:516
	v_add_f64 v[81:82], v[81:82], v[119:120]
	v_fma_f64 v[119:120], v[3:4], v[137:138], v[156:157]
	v_add_f64 v[73:74], v[73:74], v[115:116]
	ds_read_b128 v[1:4], v76 offset:816
	s_waitcnt vmcnt(53) lgkmcnt(1)
	v_mul_f64 v[133:134], v[71:72], v[141:142]
	s_waitcnt vmcnt(52)
	v_fma_f64 v[127:128], v[77:78], v[135:136], -v[127:128]
	v_mul_f64 v[115:116], v[69:70], v[141:142]
	v_fma_f64 v[123:124], v[79:80], v[135:136], v[123:124]
	ds_read_b128 v[77:80], v76 offset:832
	v_add_f64 v[81:82], v[81:82], v[131:132]
	v_add_f64 v[73:74], v[73:74], v[119:120]
	s_waitcnt vmcnt(51) lgkmcnt(1)
	v_mul_f64 v[131:132], v[3:4], v[143:144]
	v_mul_f64 v[119:120], v[1:2], v[143:144]
	s_waitcnt vmcnt(49)
	v_fma_f64 v[133:134], v[69:70], v[87:88], -v[133:134]
	v_fma_f64 v[87:88], v[71:72], v[87:88], v[115:116]
	v_add_f64 v[81:82], v[81:82], v[127:128]
	s_waitcnt vmcnt(45) lgkmcnt(0)
	v_mul_f64 v[127:128], v[77:78], v[85:86]
	v_add_f64 v[73:74], v[73:74], v[123:124]
	s_clause 0x3
	buffer_load_dword v115, off, s[0:3], 0 offset:48
	buffer_load_dword v116, off, s[0:3], 0 offset:52
	buffer_load_dword v123, off, s[0:3], 0 offset:56
	buffer_load_dword v124, off, s[0:3], 0 offset:60
	v_mul_f64 v[85:86], v[79:80], v[85:86]
	ds_read_b128 v[69:72], v76 offset:848
	s_waitcnt vmcnt(48)
	v_fma_f64 v[131:132], v[1:2], v[145:146], -v[131:132]
	v_fma_f64 v[119:120], v[3:4], v[145:146], v[119:120]
	ds_read_b128 v[1:4], v76 offset:864
	v_add_f64 v[81:82], v[81:82], v[133:134]
	v_add_f64 v[73:74], v[73:74], v[87:88]
	s_waitcnt vmcnt(47) lgkmcnt(1)
	v_mul_f64 v[133:134], v[71:72], v[147:148]
	s_waitcnt vmcnt(45)
	v_fma_f64 v[85:86], v[77:78], v[95:96], -v[85:86]
	v_mul_f64 v[87:88], v[69:70], v[147:148]
	v_fma_f64 v[95:96], v[79:80], v[95:96], v[127:128]
	ds_read_b128 v[77:80], v76 offset:880
	v_add_f64 v[81:82], v[81:82], v[131:132]
	v_add_f64 v[73:74], v[73:74], v[119:120]
	s_waitcnt vmcnt(41) lgkmcnt(1)
	v_mul_f64 v[119:120], v[1:2], v[83:84]
	v_mul_f64 v[83:84], v[3:4], v[83:84]
	s_waitcnt vmcnt(40)
	v_fma_f64 v[127:128], v[69:70], v[152:153], -v[133:134]
	v_add_f64 v[81:82], v[81:82], v[85:86]
	v_fma_f64 v[85:86], v[71:72], v[152:153], v[87:88]
	v_add_f64 v[73:74], v[73:74], v[95:96]
	ds_read_b128 v[69:72], v76 offset:896
	s_waitcnt vmcnt(39) lgkmcnt(1)
	v_mul_f64 v[95:96], v[79:80], v[139:140]
	v_mul_f64 v[87:88], v[77:78], v[139:140]
	s_waitcnt vmcnt(37)
	v_fma_f64 v[83:84], v[1:2], v[93:94], -v[83:84]
	v_fma_f64 v[93:94], v[3:4], v[93:94], v[119:120]
	ds_read_b128 v[1:4], v76 offset:912
	v_add_f64 v[81:82], v[81:82], v[127:128]
	v_add_f64 v[73:74], v[73:74], v[85:86]
	s_waitcnt vmcnt(33) lgkmcnt(1)
	v_mul_f64 v[85:86], v[69:70], v[89:90]
	v_mul_f64 v[89:90], v[71:72], v[89:90]
	s_waitcnt vmcnt(32)
	v_fma_f64 v[95:96], v[77:78], v[154:155], -v[95:96]
	v_add_f64 v[81:82], v[81:82], v[83:84]
	v_fma_f64 v[83:84], v[79:80], v[154:155], v[87:88]
	v_add_f64 v[73:74], v[73:74], v[93:94]
	ds_read_b128 v[77:80], v76 offset:928
	s_waitcnt vmcnt(31) lgkmcnt(1)
	v_mul_f64 v[93:94], v[3:4], v[105:106]
	v_mul_f64 v[87:88], v[1:2], v[105:106]
	s_waitcnt vmcnt(29)
	v_fma_f64 v[89:90], v[69:70], v[91:92], -v[89:90]
	v_fma_f64 v[85:86], v[71:72], v[91:92], v[85:86]
	ds_read_b128 v[69:72], v76 offset:944
	v_add_f64 v[81:82], v[81:82], v[95:96]
	v_add_f64 v[73:74], v[73:74], v[83:84]
	s_waitcnt vmcnt(25) lgkmcnt(1)
	v_mul_f64 v[91:92], v[79:80], v[97:98]
	s_waitcnt vmcnt(24)
	v_fma_f64 v[93:94], v[1:2], v[149:150], -v[93:94]
	v_mul_f64 v[83:84], v[77:78], v[97:98]
	v_fma_f64 v[87:88], v[3:4], v[149:150], v[87:88]
	ds_read_b128 v[1:4], v76 offset:960
	v_add_f64 v[81:82], v[81:82], v[89:90]
	v_add_f64 v[73:74], v[73:74], v[85:86]
	s_waitcnt vmcnt(23) lgkmcnt(1)
	v_mul_f64 v[89:90], v[71:72], v[109:110]
	v_mul_f64 v[85:86], v[69:70], v[109:110]
	s_waitcnt vmcnt(21)
	v_fma_f64 v[91:92], v[77:78], v[101:102], -v[91:92]
	v_fma_f64 v[83:84], v[79:80], v[101:102], v[83:84]
	ds_read_b128 v[77:80], v76 offset:976
	v_add_f64 v[81:82], v[81:82], v[93:94]
	v_add_f64 v[73:74], v[73:74], v[87:88]
	s_waitcnt vmcnt(17) lgkmcnt(1)
	v_mul_f64 v[93:94], v[3:4], v[99:100]
	s_waitcnt vmcnt(16)
	v_fma_f64 v[89:90], v[69:70], v[113:114], -v[89:90]
	v_mul_f64 v[87:88], v[1:2], v[99:100]
	v_fma_f64 v[85:86], v[71:72], v[113:114], v[85:86]
	ds_read_b128 v[69:72], v76 offset:992
	v_add_f64 v[81:82], v[81:82], v[91:92]
	v_add_f64 v[73:74], v[73:74], v[83:84]
	s_waitcnt vmcnt(15) lgkmcnt(1)
	v_mul_f64 v[91:92], v[79:80], v[117:118]
	v_mul_f64 v[83:84], v[77:78], v[117:118]
	s_waitcnt vmcnt(13)
	v_fma_f64 v[93:94], v[1:2], v[103:104], -v[93:94]
	v_fma_f64 v[87:88], v[3:4], v[103:104], v[87:88]
	ds_read_b128 v[1:4], v76 offset:1008
	v_add_f64 v[81:82], v[81:82], v[89:90]
	v_add_f64 v[73:74], v[73:74], v[85:86]
	s_waitcnt vmcnt(9) lgkmcnt(1)
	v_mul_f64 v[89:90], v[71:72], v[107:108]
	s_waitcnt vmcnt(8)
	v_fma_f64 v[77:78], v[77:78], v[121:122], -v[91:92]
	v_mul_f64 v[85:86], v[69:70], v[107:108]
	v_fma_f64 v[79:80], v[79:80], v[121:122], v[83:84]
	v_add_f64 v[81:82], v[81:82], v[93:94]
	v_add_f64 v[73:74], v[73:74], v[87:88]
	s_waitcnt vmcnt(7) lgkmcnt(0)
	v_mul_f64 v[87:88], v[3:4], v[125:126]
	v_mul_f64 v[83:84], v[1:2], v[125:126]
	s_waitcnt vmcnt(5)
	v_fma_f64 v[69:70], v[69:70], v[111:112], -v[89:90]
	v_fma_f64 v[71:72], v[71:72], v[111:112], v[85:86]
	v_add_f64 v[77:78], v[81:82], v[77:78]
	v_add_f64 v[73:74], v[73:74], v[79:80]
	s_waitcnt vmcnt(4)
	v_fma_f64 v[1:2], v[1:2], v[129:130], -v[87:88]
	v_fma_f64 v[3:4], v[3:4], v[129:130], v[83:84]
	v_add_f64 v[69:70], v[77:78], v[69:70]
	v_add_f64 v[71:72], v[73:74], v[71:72]
	;; [unrolled: 1-line block ×4, first 2 shown]
	s_waitcnt vmcnt(2)
	v_add_f64 v[1:2], v[115:116], -v[1:2]
	s_waitcnt vmcnt(0)
	v_add_f64 v[3:4], v[123:124], -v[3:4]
	buffer_store_dword v2, off, s[0:3], 0 offset:52
	buffer_store_dword v1, off, s[0:3], 0 offset:48
	;; [unrolled: 1-line block ×4, first 2 shown]
	v_cmpx_lt_u32_e32 1, v0
	s_cbranch_execz .LBB31_203
; %bb.202:
	v_mov_b32_e32 v4, s44
	s_clause 0x3
	buffer_load_dword v1, v4, s[0:3], 0 offen
	buffer_load_dword v2, v4, s[0:3], 0 offen offset:4
	buffer_load_dword v3, v4, s[0:3], 0 offen offset:8
	;; [unrolled: 1-line block ×3, first 2 shown]
	buffer_store_dword v76, off, s[0:3], 0 offset:32
	buffer_store_dword v76, off, s[0:3], 0 offset:36
	;; [unrolled: 1-line block ×4, first 2 shown]
	s_waitcnt vmcnt(0)
	ds_write_b128 v75, v[1:4]
.LBB31_203:
	s_or_b32 exec_lo, exec_lo, s4
	s_waitcnt lgkmcnt(0)
	s_waitcnt_vscnt null, 0x0
	s_barrier
	buffer_gl0_inv
	s_clause 0x37
	buffer_load_dword v73, off, s[0:3], 0 offset:56
	buffer_load_dword v74, off, s[0:3], 0 offset:60
	;; [unrolled: 1-line block ×56, first 2 shown]
	ds_read_b128 v[77:80], v76 offset:544
	s_clause 0x2
	buffer_load_dword v134, off, s[0:3], 0 offset:284
	buffer_load_dword v138, off, s[0:3], 0 offset:260
	;; [unrolled: 1-line block ×3, first 2 shown]
	ds_read_b128 v[81:84], v76 offset:560
	s_clause 0x4
	buffer_load_dword v142, off, s[0:3], 0 offset:300
	buffer_load_dword v143, off, s[0:3], 0 offset:312
	;; [unrolled: 1-line block ×5, first 2 shown]
	ds_read_b128 v[85:88], v76 offset:576
	s_clause 0x2
	buffer_load_dword v144, off, s[0:3], 0 offset:316
	buffer_load_dword v149, off, s[0:3], 0 offset:292
	;; [unrolled: 1-line block ×3, first 2 shown]
	s_mov_b32 s4, exec_lo
	s_waitcnt vmcnt(62) lgkmcnt(2)
	v_mul_f64 v[139:140], v[79:80], v[73:74]
	v_mul_f64 v[73:74], v[77:78], v[73:74]
	s_waitcnt lgkmcnt(1)
	v_mul_f64 v[146:147], v[83:84], v[69:70]
	s_waitcnt vmcnt(59) lgkmcnt(0)
	v_mul_f64 v[150:151], v[87:88], v[3:4]
	v_fma_f64 v[77:78], v[77:78], v[71:72], -v[139:140]
	v_mul_f64 v[139:140], v[81:82], v[69:70]
	v_fma_f64 v[73:74], v[79:80], v[71:72], v[73:74]
	s_waitcnt vmcnt(57)
	v_fma_f64 v[81:82], v[81:82], v[1:2], -v[146:147]
	ds_read_b128 v[69:72], v76 offset:592
	v_mul_f64 v[79:80], v[85:86], v[3:4]
	s_waitcnt vmcnt(51)
	v_fma_f64 v[85:86], v[85:86], v[95:96], -v[150:151]
	v_add_f64 v[77:78], v[77:78], 0
	v_fma_f64 v[83:84], v[83:84], v[1:2], v[139:140]
	v_add_f64 v[73:74], v[73:74], 0
	s_clause 0x4
	buffer_load_dword v140, off, s[0:3], 0 offset:332
	buffer_load_dword v152, off, s[0:3], 0 offset:344
	;; [unrolled: 1-line block ×5, first 2 shown]
	s_waitcnt lgkmcnt(0)
	v_mul_f64 v[155:156], v[69:70], v[89:90]
	v_mul_f64 v[89:90], v[71:72], v[89:90]
	ds_read_b128 v[1:4], v76 offset:608
	v_fma_f64 v[87:88], v[87:88], v[95:96], v[79:80]
	v_add_f64 v[81:82], v[77:78], v[81:82]
	v_add_f64 v[73:74], v[73:74], v[83:84]
	s_clause 0x2
	buffer_load_dword v153, off, s[0:3], 0 offset:348
	buffer_load_dword v84, off, s[0:3], 0 offset:324
	;; [unrolled: 1-line block ×3, first 2 shown]
	s_waitcnt vmcnt(58) lgkmcnt(0)
	v_mul_f64 v[95:96], v[1:2], v[91:92]
	v_mul_f64 v[91:92], v[3:4], v[91:92]
	s_waitcnt vmcnt(56)
	v_fma_f64 v[89:90], v[69:70], v[97:98], -v[89:90]
	ds_read_b128 v[77:80], v76 offset:624
	v_add_f64 v[81:82], v[81:82], v[85:86]
	v_fma_f64 v[85:86], v[71:72], v[97:98], v[155:156]
	v_add_f64 v[73:74], v[73:74], v[87:88]
	s_clause 0x4
	buffer_load_dword v88, off, s[0:3], 0 offset:364
	buffer_load_dword v97, off, s[0:3], 0 offset:376
	;; [unrolled: 1-line block ×5, first 2 shown]
	ds_read_b128 v[69:72], v76 offset:640
	s_waitcnt vmcnt(57) lgkmcnt(1)
	v_mul_f64 v[156:157], v[77:78], v[99:100]
	v_mul_f64 v[99:100], v[79:80], v[99:100]
	s_waitcnt vmcnt(56)
	v_fma_f64 v[91:92], v[1:2], v[93:94], -v[91:92]
	v_add_f64 v[81:82], v[81:82], v[89:90]
	v_fma_f64 v[89:90], v[3:4], v[93:94], v[95:96]
	v_add_f64 v[73:74], v[73:74], v[85:86]
	s_clause 0x2
	buffer_load_dword v98, off, s[0:3], 0 offset:380
	buffer_load_dword v86, off, s[0:3], 0 offset:356
	;; [unrolled: 1-line block ×3, first 2 shown]
	s_waitcnt vmcnt(58) lgkmcnt(0)
	v_mul_f64 v[95:96], v[71:72], v[101:102]
	ds_read_b128 v[1:4], v76 offset:656
	s_waitcnt vmcnt(56)
	v_fma_f64 v[99:100], v[77:78], v[105:106], -v[99:100]
	v_mul_f64 v[93:94], v[69:70], v[101:102]
	v_add_f64 v[81:82], v[81:82], v[91:92]
	v_fma_f64 v[91:92], v[79:80], v[105:106], v[156:157]
	v_add_f64 v[73:74], v[73:74], v[89:90]
	s_clause 0x4
	buffer_load_dword v90, off, s[0:3], 0 offset:396
	buffer_load_dword v101, off, s[0:3], 0 offset:408
	buffer_load_dword v105, off, s[0:3], 0 offset:400
	buffer_load_dword v89, off, s[0:3], 0 offset:392
	buffer_load_dword v151, off, s[0:3], 0 offset:372
	s_waitcnt vmcnt(57) lgkmcnt(0)
	v_mul_f64 v[156:157], v[1:2], v[107:108]
	v_mul_f64 v[106:107], v[3:4], v[107:108]
	s_waitcnt vmcnt(56)
	v_fma_f64 v[95:96], v[69:70], v[103:104], -v[95:96]
	ds_read_b128 v[77:80], v76 offset:672
	v_fma_f64 v[93:94], v[71:72], v[103:104], v[93:94]
	v_add_f64 v[81:82], v[81:82], v[99:100]
	v_add_f64 v[73:74], v[73:74], v[91:92]
	s_clause 0x2
	buffer_load_dword v102, off, s[0:3], 0 offset:412
	buffer_load_dword v92, off, s[0:3], 0 offset:388
	buffer_load_dword v91, off, s[0:3], 0 offset:384
	ds_read_b128 v[69:72], v76 offset:688
	s_waitcnt vmcnt(58) lgkmcnt(1)
	v_mul_f64 v[103:104], v[79:80], v[109:110]
	s_waitcnt vmcnt(56)
	v_fma_f64 v[107:108], v[1:2], v[113:114], -v[106:107]
	v_mul_f64 v[99:100], v[77:78], v[109:110]
	v_add_f64 v[81:82], v[81:82], v[95:96]
	v_fma_f64 v[95:96], v[3:4], v[113:114], v[156:157]
	v_add_f64 v[73:74], v[73:74], v[93:94]
	s_clause 0x4
	buffer_load_dword v94, off, s[0:3], 0 offset:428
	buffer_load_dword v109, off, s[0:3], 0 offset:440
	buffer_load_dword v113, off, s[0:3], 0 offset:432
	buffer_load_dword v93, off, s[0:3], 0 offset:424
	buffer_load_dword v106, off, s[0:3], 0 offset:404
	s_waitcnt vmcnt(57) lgkmcnt(0)
	v_mul_f64 v[156:157], v[69:70], v[115:116]
	v_mul_f64 v[114:115], v[71:72], v[115:116]
	s_waitcnt vmcnt(56)
	v_fma_f64 v[103:104], v[77:78], v[111:112], -v[103:104]
	ds_read_b128 v[1:4], v76 offset:704
	v_fma_f64 v[99:100], v[79:80], v[111:112], v[99:100]
	v_add_f64 v[81:82], v[81:82], v[107:108]
	v_add_f64 v[73:74], v[73:74], v[95:96]
	s_clause 0x2
	buffer_load_dword v110, off, s[0:3], 0 offset:444
	buffer_load_dword v96, off, s[0:3], 0 offset:420
	buffer_load_dword v95, off, s[0:3], 0 offset:416
	ds_read_b128 v[77:80], v76 offset:720
	s_waitcnt vmcnt(58) lgkmcnt(1)
	v_mul_f64 v[111:112], v[3:4], v[117:118]
	;; [unrolled: 28-line block ×4, first 2 shown]
	s_waitcnt vmcnt(56)
	v_fma_f64 v[131:132], v[1:2], v[137:138], -v[130:131]
	v_mul_f64 v[123:124], v[77:78], v[133:134]
	v_add_f64 v[81:82], v[81:82], v[119:120]
	v_fma_f64 v[119:120], v[3:4], v[137:138], v[156:157]
	v_add_f64 v[73:74], v[73:74], v[115:116]
	s_clause 0x2
	buffer_load_dword v116, off, s[0:3], 0 offset:524
	buffer_load_dword v115, off, s[0:3], 0 offset:520
	;; [unrolled: 1-line block ×3, first 2 shown]
	s_waitcnt vmcnt(55) lgkmcnt(0)
	v_mul_f64 v[137:138], v[71:72], v[141:142]
	s_waitcnt vmcnt(54)
	v_fma_f64 v[127:128], v[77:78], v[135:136], -v[127:128]
	ds_read_b128 v[1:4], v76 offset:800
	v_mul_f64 v[133:134], v[69:70], v[141:142]
	v_fma_f64 v[123:124], v[79:80], v[135:136], v[123:124]
	v_add_f64 v[81:82], v[81:82], v[131:132]
	v_add_f64 v[73:74], v[73:74], v[119:120]
	s_clause 0x1
	buffer_load_dword v120, off, s[0:3], 0 offset:516
	buffer_load_dword v119, off, s[0:3], 0 offset:512
	s_waitcnt vmcnt(55) lgkmcnt(0)
	v_mul_f64 v[135:136], v[3:4], v[143:144]
	s_waitcnt vmcnt(53)
	v_fma_f64 v[137:138], v[69:70], v[148:149], -v[137:138]
	ds_read_b128 v[77:80], v76 offset:816
	v_mul_f64 v[131:132], v[1:2], v[143:144]
	v_add_f64 v[81:82], v[81:82], v[127:128]
	v_fma_f64 v[127:128], v[71:72], v[148:149], v[133:134]
	v_add_f64 v[73:74], v[73:74], v[123:124]
	ds_read_b128 v[69:72], v76 offset:832
	s_waitcnt vmcnt(49) lgkmcnt(1)
	v_mul_f64 v[133:134], v[79:80], v[139:140]
	s_waitcnt vmcnt(48)
	v_fma_f64 v[135:136], v[1:2], v[145:146], -v[135:136]
	v_mul_f64 v[123:124], v[77:78], v[139:140]
	v_fma_f64 v[131:132], v[3:4], v[145:146], v[131:132]
	v_add_f64 v[81:82], v[81:82], v[137:138]
	v_add_f64 v[73:74], v[73:74], v[127:128]
	s_clause 0x3
	buffer_load_dword v127, off, s[0:3], 0 offset:32
	buffer_load_dword v128, off, s[0:3], 0 offset:36
	;; [unrolled: 1-line block ×4, first 2 shown]
	ds_read_b128 v[1:4], v76 offset:848
	s_waitcnt vmcnt(51) lgkmcnt(1)
	v_mul_f64 v[141:142], v[71:72], v[152:153]
	v_mul_f64 v[139:140], v[69:70], v[152:153]
	s_waitcnt vmcnt(49)
	v_fma_f64 v[133:134], v[77:78], v[83:84], -v[133:134]
	v_fma_f64 v[83:84], v[79:80], v[83:84], v[123:124]
	ds_read_b128 v[77:80], v76 offset:864
	v_add_f64 v[81:82], v[81:82], v[135:136]
	v_add_f64 v[73:74], v[73:74], v[131:132]
	s_waitcnt vmcnt(45) lgkmcnt(1)
	v_mul_f64 v[123:124], v[1:2], v[87:88]
	v_mul_f64 v[87:88], v[3:4], v[87:88]
	s_waitcnt vmcnt(44)
	v_fma_f64 v[131:132], v[69:70], v[154:155], -v[141:142]
	v_add_f64 v[81:82], v[81:82], v[133:134]
	v_fma_f64 v[133:134], v[71:72], v[154:155], v[139:140]
	v_add_f64 v[73:74], v[73:74], v[83:84]
	ds_read_b128 v[69:72], v76 offset:880
	s_waitcnt vmcnt(43) lgkmcnt(1)
	v_mul_f64 v[83:84], v[77:78], v[97:98]
	v_mul_f64 v[97:98], v[79:80], v[97:98]
	s_waitcnt vmcnt(41)
	v_fma_f64 v[87:88], v[1:2], v[85:86], -v[87:88]
	v_fma_f64 v[85:86], v[3:4], v[85:86], v[123:124]
	ds_read_b128 v[1:4], v76 offset:896
	v_add_f64 v[81:82], v[81:82], v[131:132]
	v_add_f64 v[73:74], v[73:74], v[133:134]
	s_waitcnt vmcnt(37) lgkmcnt(1)
	v_mul_f64 v[123:124], v[69:70], v[89:90]
	v_mul_f64 v[89:90], v[71:72], v[89:90]
	s_waitcnt vmcnt(36)
	v_fma_f64 v[97:98], v[77:78], v[150:151], -v[97:98]
	v_fma_f64 v[83:84], v[79:80], v[150:151], v[83:84]
	ds_read_b128 v[77:80], v76 offset:912
	v_add_f64 v[81:82], v[81:82], v[87:88]
	v_add_f64 v[73:74], v[73:74], v[85:86]
	;; [unrolled: 9-line block ×5, first 2 shown]
	s_waitcnt vmcnt(21) lgkmcnt(1)
	v_mul_f64 v[87:88], v[3:4], v[99:100]
	s_waitcnt vmcnt(20)
	v_fma_f64 v[91:92], v[69:70], v[113:114], -v[91:92]
	v_mul_f64 v[85:86], v[1:2], v[99:100]
	v_fma_f64 v[89:90], v[71:72], v[113:114], v[89:90]
	ds_read_b128 v[69:72], v76 offset:976
	v_add_f64 v[81:82], v[81:82], v[93:94]
	v_add_f64 v[73:74], v[73:74], v[83:84]
	s_waitcnt vmcnt(19) lgkmcnt(1)
	v_mul_f64 v[93:94], v[79:80], v[117:118]
	v_mul_f64 v[83:84], v[77:78], v[117:118]
	s_waitcnt vmcnt(17)
	v_fma_f64 v[87:88], v[1:2], v[103:104], -v[87:88]
	v_fma_f64 v[85:86], v[3:4], v[103:104], v[85:86]
	ds_read_b128 v[1:4], v76 offset:992
	v_add_f64 v[81:82], v[81:82], v[91:92]
	v_add_f64 v[73:74], v[73:74], v[89:90]
	s_waitcnt vmcnt(13) lgkmcnt(1)
	v_mul_f64 v[91:92], v[71:72], v[107:108]
	s_waitcnt vmcnt(12)
	v_fma_f64 v[93:94], v[77:78], v[121:122], -v[93:94]
	v_mul_f64 v[89:90], v[69:70], v[107:108]
	v_fma_f64 v[83:84], v[79:80], v[121:122], v[83:84]
	ds_read_b128 v[76:79], v76 offset:1008
	v_add_f64 v[81:82], v[81:82], v[87:88]
	v_add_f64 v[73:74], v[73:74], v[85:86]
	s_waitcnt vmcnt(11) lgkmcnt(1)
	v_mul_f64 v[87:88], v[3:4], v[125:126]
	v_mul_f64 v[85:86], v[1:2], v[125:126]
	s_waitcnt vmcnt(9)
	v_fma_f64 v[69:70], v[69:70], v[111:112], -v[91:92]
	v_fma_f64 v[71:72], v[71:72], v[111:112], v[89:90]
	v_add_f64 v[80:81], v[81:82], v[93:94]
	v_add_f64 v[73:74], v[73:74], v[83:84]
	s_waitcnt vmcnt(7) lgkmcnt(0)
	v_mul_f64 v[89:90], v[78:79], v[115:116]
	s_waitcnt vmcnt(6)
	v_fma_f64 v[1:2], v[1:2], v[129:130], -v[87:88]
	v_mul_f64 v[82:83], v[76:77], v[115:116]
	v_fma_f64 v[3:4], v[3:4], v[129:130], v[85:86]
	v_add_f64 v[69:70], v[80:81], v[69:70]
	v_add_f64 v[71:72], v[73:74], v[71:72]
	s_waitcnt vmcnt(4)
	v_fma_f64 v[73:74], v[76:77], v[119:120], -v[89:90]
	v_add_f64 v[1:2], v[69:70], v[1:2]
	v_fma_f64 v[69:70], v[78:79], v[119:120], v[82:83]
	v_add_f64 v[3:4], v[71:72], v[3:4]
	v_add_f64 v[1:2], v[1:2], v[73:74]
	;; [unrolled: 1-line block ×3, first 2 shown]
	s_waitcnt vmcnt(2)
	v_add_f64 v[1:2], v[127:128], -v[1:2]
	s_waitcnt vmcnt(0)
	v_add_f64 v[3:4], v[137:138], -v[3:4]
	buffer_store_dword v2, off, s[0:3], 0 offset:36
	buffer_store_dword v1, off, s[0:3], 0 offset:32
	;; [unrolled: 1-line block ×4, first 2 shown]
	v_cmpx_ne_u32_e32 0, v0
	s_cbranch_execz .LBB31_205
; %bb.204:
	s_clause 0x3
	buffer_load_dword v0, off, s[0:3], 0 offset:16
	buffer_load_dword v1, off, s[0:3], 0 offset:20
	;; [unrolled: 1-line block ×4, first 2 shown]
	v_mov_b32_e32 v4, 0
	buffer_store_dword v4, off, s[0:3], 0 offset:16
	buffer_store_dword v4, off, s[0:3], 0 offset:20
	;; [unrolled: 1-line block ×4, first 2 shown]
	s_waitcnt vmcnt(0)
	ds_write_b128 v75, v[0:3]
.LBB31_205:
	s_or_b32 exec_lo, exec_lo, s4
	s_waitcnt lgkmcnt(0)
	s_waitcnt_vscnt null, 0x0
	s_barrier
	buffer_gl0_inv
	s_clause 0x37
	buffer_load_dword v73, off, s[0:3], 0 offset:40
	buffer_load_dword v74, off, s[0:3], 0 offset:44
	;; [unrolled: 1-line block ×56, first 2 shown]
	v_mov_b32_e32 v4, 0
	s_and_b32 vcc_lo, exec_lo, s40
	ds_read_b128 v[81:84], v4 offset:528
	s_clause 0x2
	buffer_load_dword v132, off, s[0:3], 0 offset:268
	buffer_load_dword v136, off, s[0:3], 0 offset:244
	;; [unrolled: 1-line block ×3, first 2 shown]
	ds_read_b128 v[85:88], v4 offset:544
	s_clause 0x4
	buffer_load_dword v140, off, s[0:3], 0 offset:284
	buffer_load_dword v141, off, s[0:3], 0 offset:296
	;; [unrolled: 1-line block ×5, first 2 shown]
	ds_read_b128 v[89:92], v4 offset:560
	s_clause 0x2
	buffer_load_dword v142, off, s[0:3], 0 offset:300
	buffer_load_dword v147, off, s[0:3], 0 offset:276
	;; [unrolled: 1-line block ×3, first 2 shown]
	s_waitcnt vmcnt(62) lgkmcnt(2)
	v_mul_f64 v[137:138], v[83:84], v[73:74]
	v_mul_f64 v[73:74], v[81:82], v[73:74]
	s_waitcnt lgkmcnt(1)
	v_mul_f64 v[144:145], v[87:88], v[69:70]
	s_waitcnt vmcnt(59) lgkmcnt(0)
	v_mul_f64 v[148:149], v[91:92], v[2:3]
	v_fma_f64 v[81:82], v[81:82], v[71:72], -v[137:138]
	v_mul_f64 v[137:138], v[85:86], v[69:70]
	v_fma_f64 v[73:74], v[83:84], v[71:72], v[73:74]
	s_waitcnt vmcnt(57)
	v_fma_f64 v[85:86], v[85:86], v[0:1], -v[144:145]
	ds_read_b128 v[69:72], v4 offset:576
	v_mul_f64 v[83:84], v[89:90], v[2:3]
	s_waitcnt vmcnt(51)
	v_fma_f64 v[89:90], v[89:90], v[95:96], -v[148:149]
	v_add_f64 v[81:82], v[81:82], 0
	v_fma_f64 v[87:88], v[87:88], v[0:1], v[137:138]
	v_add_f64 v[73:74], v[73:74], 0
	s_clause 0x4
	buffer_load_dword v138, off, s[0:3], 0 offset:316
	buffer_load_dword v150, off, s[0:3], 0 offset:328
	;; [unrolled: 1-line block ×5, first 2 shown]
	s_waitcnt lgkmcnt(0)
	v_mul_f64 v[153:154], v[69:70], v[77:78]
	v_mul_f64 v[77:78], v[71:72], v[77:78]
	ds_read_b128 v[0:3], v4 offset:592
	v_fma_f64 v[91:92], v[91:92], v[95:96], v[83:84]
	v_add_f64 v[85:86], v[81:82], v[85:86]
	v_add_f64 v[73:74], v[73:74], v[87:88]
	s_clause 0x2
	buffer_load_dword v151, off, s[0:3], 0 offset:332
	buffer_load_dword v88, off, s[0:3], 0 offset:308
	;; [unrolled: 1-line block ×3, first 2 shown]
	s_waitcnt vmcnt(58) lgkmcnt(0)
	v_mul_f64 v[95:96], v[0:1], v[93:94]
	v_mul_f64 v[93:94], v[2:3], v[93:94]
	s_waitcnt vmcnt(56)
	v_fma_f64 v[77:78], v[69:70], v[97:98], -v[77:78]
	ds_read_b128 v[81:84], v4 offset:608
	v_add_f64 v[85:86], v[85:86], v[89:90]
	v_fma_f64 v[89:90], v[71:72], v[97:98], v[153:154]
	v_add_f64 v[73:74], v[73:74], v[91:92]
	s_clause 0x4
	buffer_load_dword v92, off, s[0:3], 0 offset:348
	buffer_load_dword v97, off, s[0:3], 0 offset:360
	;; [unrolled: 1-line block ×5, first 2 shown]
	ds_read_b128 v[69:72], v4 offset:624
	s_waitcnt vmcnt(57) lgkmcnt(1)
	v_mul_f64 v[154:155], v[81:82], v[99:100]
	v_mul_f64 v[99:100], v[83:84], v[99:100]
	s_waitcnt vmcnt(56)
	v_fma_f64 v[93:94], v[0:1], v[75:76], -v[93:94]
	v_fma_f64 v[75:76], v[2:3], v[75:76], v[95:96]
	v_add_f64 v[77:78], v[85:86], v[77:78]
	s_clause 0x2
	buffer_load_dword v98, off, s[0:3], 0 offset:364
	buffer_load_dword v86, off, s[0:3], 0 offset:340
	buffer_load_dword v85, off, s[0:3], 0 offset:336
	v_add_f64 v[73:74], v[73:74], v[89:90]
	s_waitcnt vmcnt(58) lgkmcnt(0)
	v_mul_f64 v[95:96], v[71:72], v[101:102]
	ds_read_b128 v[0:3], v4 offset:640
	v_mul_f64 v[89:90], v[69:70], v[101:102]
	s_waitcnt vmcnt(56)
	v_fma_f64 v[81:82], v[81:82], v[103:104], -v[99:100]
	v_fma_f64 v[83:84], v[83:84], v[103:104], v[154:155]
	s_clause 0x4
	buffer_load_dword v100, off, s[0:3], 0 offset:380
	buffer_load_dword v101, off, s[0:3], 0 offset:392
	;; [unrolled: 1-line block ×5, first 2 shown]
	v_add_f64 v[77:78], v[77:78], v[93:94]
	v_add_f64 v[93:94], v[73:74], v[75:76]
	s_waitcnt vmcnt(57) lgkmcnt(0)
	v_mul_f64 v[154:155], v[0:1], v[105:106]
	v_mul_f64 v[104:105], v[2:3], v[105:106]
	s_waitcnt vmcnt(56)
	v_fma_f64 v[95:96], v[69:70], v[79:80], -v[95:96]
	ds_read_b128 v[73:76], v4 offset:656
	v_fma_f64 v[79:80], v[71:72], v[79:80], v[89:90]
	v_add_f64 v[77:78], v[77:78], v[81:82]
	v_add_f64 v[81:82], v[93:94], v[83:84]
	s_clause 0x2
	buffer_load_dword v102, off, s[0:3], 0 offset:396
	buffer_load_dword v84, off, s[0:3], 0 offset:372
	;; [unrolled: 1-line block ×3, first 2 shown]
	s_waitcnt vmcnt(58) lgkmcnt(0)
	v_mul_f64 v[93:94], v[75:76], v[107:108]
	s_waitcnt vmcnt(56)
	v_fma_f64 v[105:106], v[0:1], v[111:112], -v[104:105]
	ds_read_b128 v[69:72], v4 offset:672
	v_mul_f64 v[89:90], v[73:74], v[107:108]
	v_add_f64 v[77:78], v[77:78], v[95:96]
	v_fma_f64 v[95:96], v[2:3], v[111:112], v[154:155]
	v_add_f64 v[79:80], v[81:82], v[79:80]
	s_clause 0x4
	buffer_load_dword v82, off, s[0:3], 0 offset:412
	buffer_load_dword v107, off, s[0:3], 0 offset:424
	buffer_load_dword v111, off, s[0:3], 0 offset:416
	buffer_load_dword v81, off, s[0:3], 0 offset:408
	buffer_load_dword v104, off, s[0:3], 0 offset:388
	s_waitcnt vmcnt(57) lgkmcnt(0)
	v_mul_f64 v[154:155], v[69:70], v[113:114]
	v_mul_f64 v[112:113], v[71:72], v[113:114]
	s_waitcnt vmcnt(56)
	v_fma_f64 v[93:94], v[73:74], v[109:110], -v[93:94]
	ds_read_b128 v[0:3], v4 offset:688
	v_fma_f64 v[89:90], v[75:76], v[109:110], v[89:90]
	v_add_f64 v[77:78], v[77:78], v[105:106]
	v_add_f64 v[79:80], v[79:80], v[95:96]
	s_clause 0x2
	buffer_load_dword v108, off, s[0:3], 0 offset:428
	buffer_load_dword v96, off, s[0:3], 0 offset:404
	buffer_load_dword v95, off, s[0:3], 0 offset:400
	ds_read_b128 v[73:76], v4 offset:704
	s_waitcnt vmcnt(58) lgkmcnt(1)
	v_mul_f64 v[109:110], v[2:3], v[115:116]
	s_waitcnt vmcnt(56)
	v_fma_f64 v[113:114], v[69:70], v[119:120], -v[112:113]
	v_mul_f64 v[105:106], v[0:1], v[115:116]
	v_add_f64 v[77:78], v[77:78], v[93:94]
	v_fma_f64 v[93:94], v[71:72], v[119:120], v[154:155]
	v_add_f64 v[79:80], v[79:80], v[89:90]
	s_clause 0x4
	buffer_load_dword v90, off, s[0:3], 0 offset:444
	buffer_load_dword v115, off, s[0:3], 0 offset:456
	buffer_load_dword v119, off, s[0:3], 0 offset:448
	buffer_load_dword v89, off, s[0:3], 0 offset:440
	buffer_load_dword v112, off, s[0:3], 0 offset:420
	s_waitcnt vmcnt(57) lgkmcnt(0)
	v_mul_f64 v[154:155], v[73:74], v[121:122]
	v_mul_f64 v[120:121], v[75:76], v[121:122]
	s_waitcnt vmcnt(56)
	v_fma_f64 v[109:110], v[0:1], v[117:118], -v[109:110]
	ds_read_b128 v[69:72], v4 offset:720
	v_fma_f64 v[105:106], v[2:3], v[117:118], v[105:106]
	v_add_f64 v[77:78], v[77:78], v[113:114]
	v_add_f64 v[79:80], v[79:80], v[93:94]
	s_clause 0x2
	buffer_load_dword v116, off, s[0:3], 0 offset:460
	buffer_load_dword v94, off, s[0:3], 0 offset:436
	buffer_load_dword v93, off, s[0:3], 0 offset:432
	ds_read_b128 v[0:3], v4 offset:736
	s_waitcnt vmcnt(58) lgkmcnt(1)
	v_mul_f64 v[117:118], v[71:72], v[123:124]
	s_waitcnt vmcnt(56)
	v_fma_f64 v[121:122], v[73:74], v[127:128], -v[120:121]
	;; [unrolled: 28-line block ×4, first 2 shown]
	v_mul_f64 v[129:130], v[0:1], v[141:142]
	buffer_load_dword v136, off, s[0:3], 0 offset:516
	v_add_f64 v[77:78], v[77:78], v[125:126]
	v_fma_f64 v[125:126], v[71:72], v[146:147], v[154:155]
	v_add_f64 v[79:80], v[79:80], v[121:122]
	ds_read_b128 v[69:72], v4 offset:816
	s_waitcnt vmcnt(53) lgkmcnt(1)
	v_mul_f64 v[121:122], v[73:74], v[137:138]
	v_mul_f64 v[137:138], v[75:76], v[137:138]
	s_waitcnt vmcnt(52)
	v_fma_f64 v[133:134], v[0:1], v[143:144], -v[133:134]
	v_fma_f64 v[129:130], v[2:3], v[143:144], v[129:130]
	ds_read_b128 v[0:3], v4 offset:832
	v_add_f64 v[77:78], v[77:78], v[139:140]
	v_add_f64 v[79:80], v[79:80], v[125:126]
	s_waitcnt vmcnt(51) lgkmcnt(1)
	v_mul_f64 v[139:140], v[71:72], v[150:151]
	v_mul_f64 v[125:126], v[69:70], v[150:151]
	s_waitcnt vmcnt(49)
	v_fma_f64 v[137:138], v[73:74], v[87:88], -v[137:138]
	v_fma_f64 v[87:88], v[75:76], v[87:88], v[121:122]
	v_add_f64 v[77:78], v[77:78], v[133:134]
	v_add_f64 v[79:80], v[79:80], v[129:130]
	s_clause 0x3
	buffer_load_dword v121, off, s[0:3], 0 offset:16
	buffer_load_dword v122, off, s[0:3], 0 offset:20
	;; [unrolled: 1-line block ×4, first 2 shown]
	ds_read_b128 v[73:76], v4 offset:848
	s_waitcnt vmcnt(49) lgkmcnt(1)
	v_mul_f64 v[133:134], v[0:1], v[91:92]
	v_mul_f64 v[91:92], v[2:3], v[91:92]
	s_waitcnt vmcnt(48)
	v_fma_f64 v[139:140], v[69:70], v[152:153], -v[139:140]
	v_fma_f64 v[125:126], v[71:72], v[152:153], v[125:126]
	ds_read_b128 v[69:72], v4 offset:864
	v_add_f64 v[77:78], v[77:78], v[137:138]
	v_add_f64 v[79:80], v[79:80], v[87:88]
	s_waitcnt vmcnt(47) lgkmcnt(1)
	v_mul_f64 v[87:88], v[73:74], v[97:98]
	v_mul_f64 v[97:98], v[75:76], v[97:98]
	s_waitcnt vmcnt(45)
	v_fma_f64 v[91:92], v[0:1], v[85:86], -v[91:92]
	v_fma_f64 v[85:86], v[2:3], v[85:86], v[133:134]
	ds_read_b128 v[0:3], v4 offset:880
	v_add_f64 v[77:78], v[77:78], v[139:140]
	v_add_f64 v[79:80], v[79:80], v[125:126]
	s_waitcnt vmcnt(41) lgkmcnt(1)
	v_mul_f64 v[125:126], v[69:70], v[99:100]
	v_mul_f64 v[99:100], v[71:72], v[99:100]
	s_waitcnt vmcnt(40)
	v_fma_f64 v[87:88], v[75:76], v[148:149], v[87:88]
	v_fma_f64 v[97:98], v[73:74], v[148:149], -v[97:98]
	ds_read_b128 v[73:76], v4 offset:896
	v_add_f64 v[77:78], v[77:78], v[91:92]
	v_add_f64 v[79:80], v[79:80], v[85:86]
	s_waitcnt vmcnt(39) lgkmcnt(1)
	v_mul_f64 v[91:92], v[2:3], v[101:102]
	v_mul_f64 v[85:86], v[0:1], v[101:102]
	s_waitcnt vmcnt(37)
	v_fma_f64 v[99:100], v[69:70], v[83:84], -v[99:100]
	v_fma_f64 v[83:84], v[71:72], v[83:84], v[125:126]
	ds_read_b128 v[69:72], v4 offset:912
	v_add_f64 v[77:78], v[77:78], v[97:98]
	v_add_f64 v[79:80], v[79:80], v[87:88]
	s_waitcnt vmcnt(33) lgkmcnt(1)
	v_mul_f64 v[87:88], v[73:74], v[81:82]
	v_mul_f64 v[81:82], v[75:76], v[81:82]
	s_waitcnt vmcnt(32)
	v_fma_f64 v[91:92], v[0:1], v[103:104], -v[91:92]
	v_fma_f64 v[85:86], v[2:3], v[103:104], v[85:86]
	;; [unrolled: 9-line block ×3, first 2 shown]
	ds_read_b128 v[73:76], v4 offset:944
	v_add_f64 v[77:78], v[77:78], v[91:92]
	v_add_f64 v[79:80], v[79:80], v[85:86]
	s_waitcnt vmcnt(25) lgkmcnt(1)
	v_mul_f64 v[85:86], v[0:1], v[89:90]
	v_mul_f64 v[89:90], v[2:3], v[89:90]
	s_waitcnt vmcnt(24)
	v_fma_f64 v[91:92], v[69:70], v[111:112], -v[97:98]
	v_add_f64 v[77:78], v[77:78], v[81:82]
	v_fma_f64 v[81:82], v[71:72], v[111:112], v[83:84]
	v_add_f64 v[79:80], v[79:80], v[87:88]
	ds_read_b128 v[69:72], v4 offset:960
	s_waitcnt vmcnt(23) lgkmcnt(1)
	v_mul_f64 v[87:88], v[75:76], v[115:116]
	v_mul_f64 v[83:84], v[73:74], v[115:116]
	s_waitcnt vmcnt(21)
	v_fma_f64 v[89:90], v[0:1], v[93:94], -v[89:90]
	v_fma_f64 v[85:86], v[2:3], v[93:94], v[85:86]
	ds_read_b128 v[0:3], v4 offset:976
	v_add_f64 v[77:78], v[77:78], v[91:92]
	v_add_f64 v[79:80], v[79:80], v[81:82]
	s_waitcnt vmcnt(17) lgkmcnt(1)
	v_mul_f64 v[91:92], v[71:72], v[105:106]
	s_waitcnt vmcnt(16)
	v_fma_f64 v[87:88], v[73:74], v[119:120], -v[87:88]
	v_mul_f64 v[81:82], v[69:70], v[105:106]
	v_fma_f64 v[83:84], v[75:76], v[119:120], v[83:84]
	ds_read_b128 v[73:76], v4 offset:992
	v_add_f64 v[77:78], v[77:78], v[89:90]
	v_add_f64 v[79:80], v[79:80], v[85:86]
	s_waitcnt vmcnt(15) lgkmcnt(1)
	v_mul_f64 v[89:90], v[2:3], v[123:124]
	v_mul_f64 v[85:86], v[0:1], v[123:124]
	s_waitcnt vmcnt(13)
	v_fma_f64 v[91:92], v[69:70], v[109:110], -v[91:92]
	v_fma_f64 v[81:82], v[71:72], v[109:110], v[81:82]
	ds_read_b128 v[69:72], v4 offset:1008
	v_add_f64 v[77:78], v[77:78], v[87:88]
	v_add_f64 v[79:80], v[79:80], v[83:84]
	s_waitcnt vmcnt(9) lgkmcnt(1)
	v_mul_f64 v[87:88], v[75:76], v[113:114]
	s_waitcnt vmcnt(8)
	v_fma_f64 v[0:1], v[0:1], v[127:128], -v[89:90]
	v_mul_f64 v[83:84], v[73:74], v[113:114]
	v_fma_f64 v[2:3], v[2:3], v[127:128], v[85:86]
	v_add_f64 v[77:78], v[77:78], v[91:92]
	v_add_f64 v[79:80], v[79:80], v[81:82]
	s_waitcnt vmcnt(7) lgkmcnt(0)
	v_mul_f64 v[85:86], v[71:72], v[131:132]
	v_mul_f64 v[81:82], v[69:70], v[131:132]
	s_waitcnt vmcnt(5)
	v_fma_f64 v[73:74], v[73:74], v[117:118], -v[87:88]
	v_fma_f64 v[75:76], v[75:76], v[117:118], v[83:84]
	v_add_f64 v[0:1], v[77:78], v[0:1]
	v_add_f64 v[2:3], v[79:80], v[2:3]
	s_waitcnt vmcnt(4)
	v_fma_f64 v[69:70], v[69:70], v[135:136], -v[85:86]
	v_fma_f64 v[71:72], v[71:72], v[135:136], v[81:82]
	v_add_f64 v[0:1], v[0:1], v[73:74]
	v_add_f64 v[2:3], v[2:3], v[75:76]
	v_add_f64 v[0:1], v[0:1], v[69:70]
	v_add_f64 v[2:3], v[2:3], v[71:72]
	s_waitcnt vmcnt(2)
	v_add_f64 v[0:1], v[121:122], -v[0:1]
	s_waitcnt vmcnt(0)
	v_add_f64 v[2:3], v[129:130], -v[2:3]
	buffer_store_dword v1, off, s[0:3], 0 offset:20
	buffer_store_dword v0, off, s[0:3], 0 offset:16
	;; [unrolled: 1-line block ×4, first 2 shown]
	s_cbranch_vccz .LBB31_268
; %bb.206:
	global_load_dword v0, v4, s[20:21] offset:120
	s_waitcnt vmcnt(0)
	v_add_nc_u32_e32 v0, -1, v0
	v_cmp_ne_u32_e32 vcc_lo, 30, v0
	s_cbranch_vccz .LBB31_208
; %bb.207:
	v_lshlrev_b32_e32 v0, 4, v0
	v_mov_b32_e32 v1, s9
	v_add_nc_u32_e32 v0, 16, v0
	s_clause 0x7
	buffer_load_dword v2, v0, s[0:3], 0 offen
	buffer_load_dword v3, v0, s[0:3], 0 offen offset:4
	buffer_load_dword v4, v0, s[0:3], 0 offen offset:8
	;; [unrolled: 1-line block ×6, first 2 shown]
	buffer_load_dword v73, v1, s[0:3], 0 offen
	s_waitcnt vmcnt(7)
	buffer_store_dword v2, v1, s[0:3], 0 offen
	s_waitcnt vmcnt(6)
	buffer_store_dword v3, v1, s[0:3], 0 offen offset:4
	s_waitcnt vmcnt(5)
	buffer_store_dword v4, v1, s[0:3], 0 offen offset:8
	;; [unrolled: 2-line block ×6, first 2 shown]
	s_waitcnt vmcnt(0)
	buffer_store_dword v73, v0, s[0:3], 0 offen
.LBB31_208:
	v_mov_b32_e32 v0, 0
	global_load_dword v1, v0, s[20:21] offset:116
	s_waitcnt vmcnt(0)
	v_add_nc_u32_e32 v1, -1, v1
	v_cmp_eq_u32_e32 vcc_lo, 29, v1
	s_cbranch_vccnz .LBB31_210
; %bb.209:
	v_lshlrev_b32_e32 v1, 4, v1
	v_mov_b32_e32 v2, s12
	v_add_nc_u32_e32 v1, 16, v1
	s_clause 0x7
	buffer_load_dword v3, v1, s[0:3], 0 offen
	buffer_load_dword v4, v1, s[0:3], 0 offen offset:4
	buffer_load_dword v69, v1, s[0:3], 0 offen offset:8
	;; [unrolled: 1-line block ×6, first 2 shown]
	buffer_load_dword v74, v2, s[0:3], 0 offen
	s_waitcnt vmcnt(7)
	buffer_store_dword v3, v2, s[0:3], 0 offen
	s_waitcnt vmcnt(6)
	buffer_store_dword v4, v2, s[0:3], 0 offen offset:4
	s_waitcnt vmcnt(5)
	buffer_store_dword v69, v2, s[0:3], 0 offen offset:8
	;; [unrolled: 2-line block ×6, first 2 shown]
	s_waitcnt vmcnt(0)
	buffer_store_dword v74, v1, s[0:3], 0 offen
.LBB31_210:
	global_load_dword v0, v0, s[20:21] offset:112
	s_waitcnt vmcnt(0)
	v_add_nc_u32_e32 v0, -1, v0
	v_cmp_eq_u32_e32 vcc_lo, 28, v0
	s_cbranch_vccnz .LBB31_212
; %bb.211:
	v_lshlrev_b32_e32 v0, 4, v0
	v_mov_b32_e32 v1, s13
	v_add_nc_u32_e32 v0, 16, v0
	s_clause 0x7
	buffer_load_dword v2, v0, s[0:3], 0 offen
	buffer_load_dword v3, v0, s[0:3], 0 offen offset:4
	buffer_load_dword v4, v0, s[0:3], 0 offen offset:8
	;; [unrolled: 1-line block ×6, first 2 shown]
	buffer_load_dword v73, v1, s[0:3], 0 offen
	s_waitcnt vmcnt(7)
	buffer_store_dword v2, v1, s[0:3], 0 offen
	s_waitcnt vmcnt(6)
	buffer_store_dword v3, v1, s[0:3], 0 offen offset:4
	s_waitcnt vmcnt(5)
	buffer_store_dword v4, v1, s[0:3], 0 offen offset:8
	;; [unrolled: 2-line block ×6, first 2 shown]
	s_waitcnt vmcnt(0)
	buffer_store_dword v73, v0, s[0:3], 0 offen
.LBB31_212:
	v_mov_b32_e32 v0, 0
	global_load_dword v1, v0, s[20:21] offset:108
	s_waitcnt vmcnt(0)
	v_add_nc_u32_e32 v1, -1, v1
	v_cmp_eq_u32_e32 vcc_lo, 27, v1
	s_cbranch_vccnz .LBB31_214
; %bb.213:
	v_lshlrev_b32_e32 v1, 4, v1
	v_mov_b32_e32 v2, s14
	v_add_nc_u32_e32 v1, 16, v1
	s_clause 0x7
	buffer_load_dword v3, v1, s[0:3], 0 offen
	buffer_load_dword v4, v1, s[0:3], 0 offen offset:4
	buffer_load_dword v69, v1, s[0:3], 0 offen offset:8
	;; [unrolled: 1-line block ×6, first 2 shown]
	buffer_load_dword v74, v2, s[0:3], 0 offen
	s_waitcnt vmcnt(7)
	buffer_store_dword v3, v2, s[0:3], 0 offen
	s_waitcnt vmcnt(6)
	buffer_store_dword v4, v2, s[0:3], 0 offen offset:4
	s_waitcnt vmcnt(5)
	buffer_store_dword v69, v2, s[0:3], 0 offen offset:8
	;; [unrolled: 2-line block ×6, first 2 shown]
	s_waitcnt vmcnt(0)
	buffer_store_dword v74, v1, s[0:3], 0 offen
.LBB31_214:
	global_load_dword v0, v0, s[20:21] offset:104
	s_waitcnt vmcnt(0)
	v_add_nc_u32_e32 v0, -1, v0
	v_cmp_eq_u32_e32 vcc_lo, 26, v0
	s_cbranch_vccnz .LBB31_216
; %bb.215:
	v_lshlrev_b32_e32 v0, 4, v0
	v_mov_b32_e32 v1, s15
	v_add_nc_u32_e32 v0, 16, v0
	s_clause 0x7
	buffer_load_dword v2, v0, s[0:3], 0 offen
	buffer_load_dword v3, v0, s[0:3], 0 offen offset:4
	buffer_load_dword v4, v0, s[0:3], 0 offen offset:8
	;; [unrolled: 1-line block ×6, first 2 shown]
	buffer_load_dword v73, v1, s[0:3], 0 offen
	s_waitcnt vmcnt(7)
	buffer_store_dword v2, v1, s[0:3], 0 offen
	s_waitcnt vmcnt(6)
	buffer_store_dword v3, v1, s[0:3], 0 offen offset:4
	s_waitcnt vmcnt(5)
	buffer_store_dword v4, v1, s[0:3], 0 offen offset:8
	;; [unrolled: 2-line block ×6, first 2 shown]
	s_waitcnt vmcnt(0)
	buffer_store_dword v73, v0, s[0:3], 0 offen
.LBB31_216:
	v_mov_b32_e32 v0, 0
	global_load_dword v1, v0, s[20:21] offset:100
	s_waitcnt vmcnt(0)
	v_add_nc_u32_e32 v1, -1, v1
	v_cmp_eq_u32_e32 vcc_lo, 25, v1
	s_cbranch_vccnz .LBB31_218
; %bb.217:
	v_lshlrev_b32_e32 v1, 4, v1
	v_mov_b32_e32 v2, s16
	v_add_nc_u32_e32 v1, 16, v1
	s_clause 0x7
	buffer_load_dword v3, v1, s[0:3], 0 offen
	buffer_load_dword v4, v1, s[0:3], 0 offen offset:4
	buffer_load_dword v69, v1, s[0:3], 0 offen offset:8
	;; [unrolled: 1-line block ×6, first 2 shown]
	buffer_load_dword v74, v2, s[0:3], 0 offen
	s_waitcnt vmcnt(7)
	buffer_store_dword v3, v2, s[0:3], 0 offen
	s_waitcnt vmcnt(6)
	buffer_store_dword v4, v2, s[0:3], 0 offen offset:4
	s_waitcnt vmcnt(5)
	buffer_store_dword v69, v2, s[0:3], 0 offen offset:8
	;; [unrolled: 2-line block ×6, first 2 shown]
	s_waitcnt vmcnt(0)
	buffer_store_dword v74, v1, s[0:3], 0 offen
.LBB31_218:
	global_load_dword v0, v0, s[20:21] offset:96
	s_waitcnt vmcnt(0)
	v_add_nc_u32_e32 v0, -1, v0
	v_cmp_eq_u32_e32 vcc_lo, 24, v0
	s_cbranch_vccnz .LBB31_220
; %bb.219:
	v_lshlrev_b32_e32 v0, 4, v0
	v_mov_b32_e32 v1, s17
	v_add_nc_u32_e32 v0, 16, v0
	s_clause 0x7
	buffer_load_dword v2, v0, s[0:3], 0 offen
	buffer_load_dword v3, v0, s[0:3], 0 offen offset:4
	buffer_load_dword v4, v0, s[0:3], 0 offen offset:8
	;; [unrolled: 1-line block ×6, first 2 shown]
	buffer_load_dword v73, v1, s[0:3], 0 offen
	s_waitcnt vmcnt(7)
	buffer_store_dword v2, v1, s[0:3], 0 offen
	s_waitcnt vmcnt(6)
	buffer_store_dword v3, v1, s[0:3], 0 offen offset:4
	s_waitcnt vmcnt(5)
	buffer_store_dword v4, v1, s[0:3], 0 offen offset:8
	;; [unrolled: 2-line block ×6, first 2 shown]
	s_waitcnt vmcnt(0)
	buffer_store_dword v73, v0, s[0:3], 0 offen
.LBB31_220:
	v_mov_b32_e32 v0, 0
	global_load_dword v1, v0, s[20:21] offset:92
	s_waitcnt vmcnt(0)
	v_add_nc_u32_e32 v1, -1, v1
	v_cmp_eq_u32_e32 vcc_lo, 23, v1
	s_cbranch_vccnz .LBB31_222
; %bb.221:
	v_lshlrev_b32_e32 v1, 4, v1
	v_mov_b32_e32 v2, s18
	v_add_nc_u32_e32 v1, 16, v1
	s_clause 0x7
	buffer_load_dword v3, v1, s[0:3], 0 offen
	buffer_load_dword v4, v1, s[0:3], 0 offen offset:4
	buffer_load_dword v69, v1, s[0:3], 0 offen offset:8
	;; [unrolled: 1-line block ×6, first 2 shown]
	buffer_load_dword v74, v2, s[0:3], 0 offen
	s_waitcnt vmcnt(7)
	buffer_store_dword v3, v2, s[0:3], 0 offen
	s_waitcnt vmcnt(6)
	buffer_store_dword v4, v2, s[0:3], 0 offen offset:4
	s_waitcnt vmcnt(5)
	buffer_store_dword v69, v2, s[0:3], 0 offen offset:8
	;; [unrolled: 2-line block ×6, first 2 shown]
	s_waitcnt vmcnt(0)
	buffer_store_dword v74, v1, s[0:3], 0 offen
.LBB31_222:
	global_load_dword v0, v0, s[20:21] offset:88
	s_waitcnt vmcnt(0)
	v_add_nc_u32_e32 v0, -1, v0
	v_cmp_eq_u32_e32 vcc_lo, 22, v0
	s_cbranch_vccnz .LBB31_224
; %bb.223:
	v_lshlrev_b32_e32 v0, 4, v0
	v_mov_b32_e32 v1, s19
	v_add_nc_u32_e32 v0, 16, v0
	s_clause 0x7
	buffer_load_dword v2, v0, s[0:3], 0 offen
	buffer_load_dword v3, v0, s[0:3], 0 offen offset:4
	buffer_load_dword v4, v0, s[0:3], 0 offen offset:8
	;; [unrolled: 1-line block ×6, first 2 shown]
	buffer_load_dword v73, v1, s[0:3], 0 offen
	s_waitcnt vmcnt(7)
	buffer_store_dword v2, v1, s[0:3], 0 offen
	s_waitcnt vmcnt(6)
	buffer_store_dword v3, v1, s[0:3], 0 offen offset:4
	s_waitcnt vmcnt(5)
	buffer_store_dword v4, v1, s[0:3], 0 offen offset:8
	;; [unrolled: 2-line block ×6, first 2 shown]
	s_waitcnt vmcnt(0)
	buffer_store_dword v73, v0, s[0:3], 0 offen
.LBB31_224:
	v_mov_b32_e32 v0, 0
	global_load_dword v1, v0, s[20:21] offset:84
	s_waitcnt vmcnt(0)
	v_add_nc_u32_e32 v1, -1, v1
	v_cmp_eq_u32_e32 vcc_lo, 21, v1
	s_cbranch_vccnz .LBB31_226
; %bb.225:
	v_lshlrev_b32_e32 v1, 4, v1
	v_mov_b32_e32 v2, s22
	v_add_nc_u32_e32 v1, 16, v1
	s_clause 0x7
	buffer_load_dword v3, v1, s[0:3], 0 offen
	buffer_load_dword v4, v1, s[0:3], 0 offen offset:4
	buffer_load_dword v69, v1, s[0:3], 0 offen offset:8
	;; [unrolled: 1-line block ×6, first 2 shown]
	buffer_load_dword v74, v2, s[0:3], 0 offen
	s_waitcnt vmcnt(7)
	buffer_store_dword v3, v2, s[0:3], 0 offen
	s_waitcnt vmcnt(6)
	buffer_store_dword v4, v2, s[0:3], 0 offen offset:4
	s_waitcnt vmcnt(5)
	buffer_store_dword v69, v2, s[0:3], 0 offen offset:8
	;; [unrolled: 2-line block ×6, first 2 shown]
	s_waitcnt vmcnt(0)
	buffer_store_dword v74, v1, s[0:3], 0 offen
.LBB31_226:
	global_load_dword v0, v0, s[20:21] offset:80
	s_waitcnt vmcnt(0)
	v_add_nc_u32_e32 v0, -1, v0
	v_cmp_eq_u32_e32 vcc_lo, 20, v0
	s_cbranch_vccnz .LBB31_228
; %bb.227:
	v_lshlrev_b32_e32 v0, 4, v0
	v_mov_b32_e32 v1, s23
	v_add_nc_u32_e32 v0, 16, v0
	s_clause 0x7
	buffer_load_dword v2, v0, s[0:3], 0 offen
	buffer_load_dword v3, v0, s[0:3], 0 offen offset:4
	buffer_load_dword v4, v0, s[0:3], 0 offen offset:8
	buffer_load_dword v69, v0, s[0:3], 0 offen offset:12
	buffer_load_dword v70, v1, s[0:3], 0 offen offset:12
	buffer_load_dword v71, v1, s[0:3], 0 offen offset:8
	buffer_load_dword v72, v1, s[0:3], 0 offen offset:4
	buffer_load_dword v73, v1, s[0:3], 0 offen
	s_waitcnt vmcnt(7)
	buffer_store_dword v2, v1, s[0:3], 0 offen
	s_waitcnt vmcnt(6)
	buffer_store_dword v3, v1, s[0:3], 0 offen offset:4
	s_waitcnt vmcnt(5)
	buffer_store_dword v4, v1, s[0:3], 0 offen offset:8
	;; [unrolled: 2-line block ×6, first 2 shown]
	s_waitcnt vmcnt(0)
	buffer_store_dword v73, v0, s[0:3], 0 offen
.LBB31_228:
	v_mov_b32_e32 v0, 0
	global_load_dword v1, v0, s[20:21] offset:76
	s_waitcnt vmcnt(0)
	v_add_nc_u32_e32 v1, -1, v1
	v_cmp_eq_u32_e32 vcc_lo, 19, v1
	s_cbranch_vccnz .LBB31_230
; %bb.229:
	v_lshlrev_b32_e32 v1, 4, v1
	v_mov_b32_e32 v2, s24
	v_add_nc_u32_e32 v1, 16, v1
	s_clause 0x7
	buffer_load_dword v3, v1, s[0:3], 0 offen
	buffer_load_dword v4, v1, s[0:3], 0 offen offset:4
	buffer_load_dword v69, v1, s[0:3], 0 offen offset:8
	;; [unrolled: 1-line block ×6, first 2 shown]
	buffer_load_dword v74, v2, s[0:3], 0 offen
	s_waitcnt vmcnt(7)
	buffer_store_dword v3, v2, s[0:3], 0 offen
	s_waitcnt vmcnt(6)
	buffer_store_dword v4, v2, s[0:3], 0 offen offset:4
	s_waitcnt vmcnt(5)
	buffer_store_dword v69, v2, s[0:3], 0 offen offset:8
	;; [unrolled: 2-line block ×6, first 2 shown]
	s_waitcnt vmcnt(0)
	buffer_store_dword v74, v1, s[0:3], 0 offen
.LBB31_230:
	global_load_dword v0, v0, s[20:21] offset:72
	s_waitcnt vmcnt(0)
	v_add_nc_u32_e32 v0, -1, v0
	v_cmp_eq_u32_e32 vcc_lo, 18, v0
	s_cbranch_vccnz .LBB31_232
; %bb.231:
	v_lshlrev_b32_e32 v0, 4, v0
	v_mov_b32_e32 v1, s25
	v_add_nc_u32_e32 v0, 16, v0
	s_clause 0x7
	buffer_load_dword v2, v0, s[0:3], 0 offen
	buffer_load_dword v3, v0, s[0:3], 0 offen offset:4
	buffer_load_dword v4, v0, s[0:3], 0 offen offset:8
	;; [unrolled: 1-line block ×6, first 2 shown]
	buffer_load_dword v73, v1, s[0:3], 0 offen
	s_waitcnt vmcnt(7)
	buffer_store_dword v2, v1, s[0:3], 0 offen
	s_waitcnt vmcnt(6)
	buffer_store_dword v3, v1, s[0:3], 0 offen offset:4
	s_waitcnt vmcnt(5)
	buffer_store_dword v4, v1, s[0:3], 0 offen offset:8
	;; [unrolled: 2-line block ×6, first 2 shown]
	s_waitcnt vmcnt(0)
	buffer_store_dword v73, v0, s[0:3], 0 offen
.LBB31_232:
	v_mov_b32_e32 v0, 0
	global_load_dword v1, v0, s[20:21] offset:68
	s_waitcnt vmcnt(0)
	v_add_nc_u32_e32 v1, -1, v1
	v_cmp_eq_u32_e32 vcc_lo, 17, v1
	s_cbranch_vccnz .LBB31_234
; %bb.233:
	v_lshlrev_b32_e32 v1, 4, v1
	v_mov_b32_e32 v2, s26
	v_add_nc_u32_e32 v1, 16, v1
	s_clause 0x7
	buffer_load_dword v3, v1, s[0:3], 0 offen
	buffer_load_dword v4, v1, s[0:3], 0 offen offset:4
	buffer_load_dword v69, v1, s[0:3], 0 offen offset:8
	;; [unrolled: 1-line block ×6, first 2 shown]
	buffer_load_dword v74, v2, s[0:3], 0 offen
	s_waitcnt vmcnt(7)
	buffer_store_dword v3, v2, s[0:3], 0 offen
	s_waitcnt vmcnt(6)
	buffer_store_dword v4, v2, s[0:3], 0 offen offset:4
	s_waitcnt vmcnt(5)
	buffer_store_dword v69, v2, s[0:3], 0 offen offset:8
	;; [unrolled: 2-line block ×6, first 2 shown]
	s_waitcnt vmcnt(0)
	buffer_store_dword v74, v1, s[0:3], 0 offen
.LBB31_234:
	global_load_dword v0, v0, s[20:21] offset:64
	s_waitcnt vmcnt(0)
	v_add_nc_u32_e32 v0, -1, v0
	v_cmp_eq_u32_e32 vcc_lo, 16, v0
	s_cbranch_vccnz .LBB31_236
; %bb.235:
	v_lshlrev_b32_e32 v0, 4, v0
	v_mov_b32_e32 v1, s27
	v_add_nc_u32_e32 v0, 16, v0
	s_clause 0x7
	buffer_load_dword v2, v0, s[0:3], 0 offen
	buffer_load_dword v3, v0, s[0:3], 0 offen offset:4
	buffer_load_dword v4, v0, s[0:3], 0 offen offset:8
	buffer_load_dword v69, v0, s[0:3], 0 offen offset:12
	buffer_load_dword v70, v1, s[0:3], 0 offen offset:12
	buffer_load_dword v71, v1, s[0:3], 0 offen offset:8
	buffer_load_dword v72, v1, s[0:3], 0 offen offset:4
	buffer_load_dword v73, v1, s[0:3], 0 offen
	s_waitcnt vmcnt(7)
	buffer_store_dword v2, v1, s[0:3], 0 offen
	s_waitcnt vmcnt(6)
	buffer_store_dword v3, v1, s[0:3], 0 offen offset:4
	s_waitcnt vmcnt(5)
	buffer_store_dword v4, v1, s[0:3], 0 offen offset:8
	;; [unrolled: 2-line block ×6, first 2 shown]
	s_waitcnt vmcnt(0)
	buffer_store_dword v73, v0, s[0:3], 0 offen
.LBB31_236:
	v_mov_b32_e32 v0, 0
	global_load_dword v1, v0, s[20:21] offset:60
	s_waitcnt vmcnt(0)
	v_add_nc_u32_e32 v1, -1, v1
	v_cmp_eq_u32_e32 vcc_lo, 15, v1
	s_cbranch_vccnz .LBB31_238
; %bb.237:
	v_lshlrev_b32_e32 v1, 4, v1
	v_mov_b32_e32 v2, s28
	v_add_nc_u32_e32 v1, 16, v1
	s_clause 0x7
	buffer_load_dword v3, v1, s[0:3], 0 offen
	buffer_load_dword v4, v1, s[0:3], 0 offen offset:4
	buffer_load_dword v69, v1, s[0:3], 0 offen offset:8
	;; [unrolled: 1-line block ×6, first 2 shown]
	buffer_load_dword v74, v2, s[0:3], 0 offen
	s_waitcnt vmcnt(7)
	buffer_store_dword v3, v2, s[0:3], 0 offen
	s_waitcnt vmcnt(6)
	buffer_store_dword v4, v2, s[0:3], 0 offen offset:4
	s_waitcnt vmcnt(5)
	buffer_store_dword v69, v2, s[0:3], 0 offen offset:8
	;; [unrolled: 2-line block ×6, first 2 shown]
	s_waitcnt vmcnt(0)
	buffer_store_dword v74, v1, s[0:3], 0 offen
.LBB31_238:
	global_load_dword v0, v0, s[20:21] offset:56
	s_waitcnt vmcnt(0)
	v_add_nc_u32_e32 v0, -1, v0
	v_cmp_eq_u32_e32 vcc_lo, 14, v0
	s_cbranch_vccnz .LBB31_240
; %bb.239:
	v_lshlrev_b32_e32 v0, 4, v0
	v_mov_b32_e32 v1, s29
	v_add_nc_u32_e32 v0, 16, v0
	s_clause 0x7
	buffer_load_dword v2, v0, s[0:3], 0 offen
	buffer_load_dword v3, v0, s[0:3], 0 offen offset:4
	buffer_load_dword v4, v0, s[0:3], 0 offen offset:8
	;; [unrolled: 1-line block ×6, first 2 shown]
	buffer_load_dword v73, v1, s[0:3], 0 offen
	s_waitcnt vmcnt(7)
	buffer_store_dword v2, v1, s[0:3], 0 offen
	s_waitcnt vmcnt(6)
	buffer_store_dword v3, v1, s[0:3], 0 offen offset:4
	s_waitcnt vmcnt(5)
	buffer_store_dword v4, v1, s[0:3], 0 offen offset:8
	;; [unrolled: 2-line block ×6, first 2 shown]
	s_waitcnt vmcnt(0)
	buffer_store_dword v73, v0, s[0:3], 0 offen
.LBB31_240:
	v_mov_b32_e32 v0, 0
	global_load_dword v1, v0, s[20:21] offset:52
	s_waitcnt vmcnt(0)
	v_add_nc_u32_e32 v1, -1, v1
	v_cmp_eq_u32_e32 vcc_lo, 13, v1
	s_cbranch_vccnz .LBB31_242
; %bb.241:
	v_lshlrev_b32_e32 v1, 4, v1
	v_mov_b32_e32 v2, s30
	v_add_nc_u32_e32 v1, 16, v1
	s_clause 0x7
	buffer_load_dword v3, v1, s[0:3], 0 offen
	buffer_load_dword v4, v1, s[0:3], 0 offen offset:4
	buffer_load_dword v69, v1, s[0:3], 0 offen offset:8
	;; [unrolled: 1-line block ×6, first 2 shown]
	buffer_load_dword v74, v2, s[0:3], 0 offen
	s_waitcnt vmcnt(7)
	buffer_store_dword v3, v2, s[0:3], 0 offen
	s_waitcnt vmcnt(6)
	buffer_store_dword v4, v2, s[0:3], 0 offen offset:4
	s_waitcnt vmcnt(5)
	buffer_store_dword v69, v2, s[0:3], 0 offen offset:8
	;; [unrolled: 2-line block ×6, first 2 shown]
	s_waitcnt vmcnt(0)
	buffer_store_dword v74, v1, s[0:3], 0 offen
.LBB31_242:
	global_load_dword v0, v0, s[20:21] offset:48
	s_waitcnt vmcnt(0)
	v_add_nc_u32_e32 v0, -1, v0
	v_cmp_eq_u32_e32 vcc_lo, 12, v0
	s_cbranch_vccnz .LBB31_244
; %bb.243:
	v_lshlrev_b32_e32 v0, 4, v0
	v_mov_b32_e32 v1, s31
	v_add_nc_u32_e32 v0, 16, v0
	s_clause 0x7
	buffer_load_dword v2, v0, s[0:3], 0 offen
	buffer_load_dword v3, v0, s[0:3], 0 offen offset:4
	buffer_load_dword v4, v0, s[0:3], 0 offen offset:8
	buffer_load_dword v69, v0, s[0:3], 0 offen offset:12
	buffer_load_dword v70, v1, s[0:3], 0 offen offset:12
	buffer_load_dword v71, v1, s[0:3], 0 offen offset:8
	buffer_load_dword v72, v1, s[0:3], 0 offen offset:4
	buffer_load_dword v73, v1, s[0:3], 0 offen
	s_waitcnt vmcnt(7)
	buffer_store_dword v2, v1, s[0:3], 0 offen
	s_waitcnt vmcnt(6)
	buffer_store_dword v3, v1, s[0:3], 0 offen offset:4
	s_waitcnt vmcnt(5)
	buffer_store_dword v4, v1, s[0:3], 0 offen offset:8
	;; [unrolled: 2-line block ×6, first 2 shown]
	s_waitcnt vmcnt(0)
	buffer_store_dword v73, v0, s[0:3], 0 offen
.LBB31_244:
	v_mov_b32_e32 v0, 0
	global_load_dword v1, v0, s[20:21] offset:44
	s_waitcnt vmcnt(0)
	v_add_nc_u32_e32 v1, -1, v1
	v_cmp_eq_u32_e32 vcc_lo, 11, v1
	s_cbranch_vccnz .LBB31_246
; %bb.245:
	v_lshlrev_b32_e32 v1, 4, v1
	v_mov_b32_e32 v2, s33
	v_add_nc_u32_e32 v1, 16, v1
	s_clause 0x7
	buffer_load_dword v3, v1, s[0:3], 0 offen
	buffer_load_dword v4, v1, s[0:3], 0 offen offset:4
	buffer_load_dword v69, v1, s[0:3], 0 offen offset:8
	buffer_load_dword v70, v1, s[0:3], 0 offen offset:12
	buffer_load_dword v71, v2, s[0:3], 0 offen offset:12
	buffer_load_dword v72, v2, s[0:3], 0 offen offset:8
	buffer_load_dword v73, v2, s[0:3], 0 offen offset:4
	buffer_load_dword v74, v2, s[0:3], 0 offen
	s_waitcnt vmcnt(7)
	buffer_store_dword v3, v2, s[0:3], 0 offen
	s_waitcnt vmcnt(6)
	buffer_store_dword v4, v2, s[0:3], 0 offen offset:4
	s_waitcnt vmcnt(5)
	buffer_store_dword v69, v2, s[0:3], 0 offen offset:8
	;; [unrolled: 2-line block ×6, first 2 shown]
	s_waitcnt vmcnt(0)
	buffer_store_dword v74, v1, s[0:3], 0 offen
.LBB31_246:
	global_load_dword v0, v0, s[20:21] offset:40
	s_waitcnt vmcnt(0)
	v_add_nc_u32_e32 v0, -1, v0
	v_cmp_eq_u32_e32 vcc_lo, 10, v0
	s_cbranch_vccnz .LBB31_248
; %bb.247:
	v_lshlrev_b32_e32 v0, 4, v0
	v_mov_b32_e32 v1, s34
	v_add_nc_u32_e32 v0, 16, v0
	s_clause 0x7
	buffer_load_dword v2, v0, s[0:3], 0 offen
	buffer_load_dword v3, v0, s[0:3], 0 offen offset:4
	buffer_load_dword v4, v0, s[0:3], 0 offen offset:8
	;; [unrolled: 1-line block ×6, first 2 shown]
	buffer_load_dword v73, v1, s[0:3], 0 offen
	s_waitcnt vmcnt(7)
	buffer_store_dword v2, v1, s[0:3], 0 offen
	s_waitcnt vmcnt(6)
	buffer_store_dword v3, v1, s[0:3], 0 offen offset:4
	s_waitcnt vmcnt(5)
	buffer_store_dword v4, v1, s[0:3], 0 offen offset:8
	;; [unrolled: 2-line block ×6, first 2 shown]
	s_waitcnt vmcnt(0)
	buffer_store_dword v73, v0, s[0:3], 0 offen
.LBB31_248:
	v_mov_b32_e32 v0, 0
	global_load_dword v1, v0, s[20:21] offset:36
	s_waitcnt vmcnt(0)
	v_add_nc_u32_e32 v1, -1, v1
	v_cmp_eq_u32_e32 vcc_lo, 9, v1
	s_cbranch_vccnz .LBB31_250
; %bb.249:
	v_lshlrev_b32_e32 v1, 4, v1
	v_mov_b32_e32 v2, s35
	v_add_nc_u32_e32 v1, 16, v1
	s_clause 0x7
	buffer_load_dword v3, v1, s[0:3], 0 offen
	buffer_load_dword v4, v1, s[0:3], 0 offen offset:4
	buffer_load_dword v69, v1, s[0:3], 0 offen offset:8
	;; [unrolled: 1-line block ×6, first 2 shown]
	buffer_load_dword v74, v2, s[0:3], 0 offen
	s_waitcnt vmcnt(7)
	buffer_store_dword v3, v2, s[0:3], 0 offen
	s_waitcnt vmcnt(6)
	buffer_store_dword v4, v2, s[0:3], 0 offen offset:4
	s_waitcnt vmcnt(5)
	buffer_store_dword v69, v2, s[0:3], 0 offen offset:8
	;; [unrolled: 2-line block ×6, first 2 shown]
	s_waitcnt vmcnt(0)
	buffer_store_dword v74, v1, s[0:3], 0 offen
.LBB31_250:
	global_load_dword v0, v0, s[20:21] offset:32
	s_waitcnt vmcnt(0)
	v_add_nc_u32_e32 v0, -1, v0
	v_cmp_eq_u32_e32 vcc_lo, 8, v0
	s_cbranch_vccnz .LBB31_252
; %bb.251:
	v_lshlrev_b32_e32 v0, 4, v0
	v_mov_b32_e32 v1, s36
	v_add_nc_u32_e32 v0, 16, v0
	s_clause 0x7
	buffer_load_dword v2, v0, s[0:3], 0 offen
	buffer_load_dword v3, v0, s[0:3], 0 offen offset:4
	buffer_load_dword v4, v0, s[0:3], 0 offen offset:8
	;; [unrolled: 1-line block ×6, first 2 shown]
	buffer_load_dword v73, v1, s[0:3], 0 offen
	s_waitcnt vmcnt(7)
	buffer_store_dword v2, v1, s[0:3], 0 offen
	s_waitcnt vmcnt(6)
	buffer_store_dword v3, v1, s[0:3], 0 offen offset:4
	s_waitcnt vmcnt(5)
	buffer_store_dword v4, v1, s[0:3], 0 offen offset:8
	;; [unrolled: 2-line block ×6, first 2 shown]
	s_waitcnt vmcnt(0)
	buffer_store_dword v73, v0, s[0:3], 0 offen
.LBB31_252:
	v_mov_b32_e32 v0, 0
	global_load_dword v1, v0, s[20:21] offset:28
	s_waitcnt vmcnt(0)
	v_add_nc_u32_e32 v1, -1, v1
	v_cmp_eq_u32_e32 vcc_lo, 7, v1
	s_cbranch_vccnz .LBB31_254
; %bb.253:
	v_lshlrev_b32_e32 v1, 4, v1
	v_mov_b32_e32 v2, s37
	v_add_nc_u32_e32 v1, 16, v1
	s_clause 0x7
	buffer_load_dword v3, v1, s[0:3], 0 offen
	buffer_load_dword v4, v1, s[0:3], 0 offen offset:4
	buffer_load_dword v69, v1, s[0:3], 0 offen offset:8
	;; [unrolled: 1-line block ×6, first 2 shown]
	buffer_load_dword v74, v2, s[0:3], 0 offen
	s_waitcnt vmcnt(7)
	buffer_store_dword v3, v2, s[0:3], 0 offen
	s_waitcnt vmcnt(6)
	buffer_store_dword v4, v2, s[0:3], 0 offen offset:4
	s_waitcnt vmcnt(5)
	buffer_store_dword v69, v2, s[0:3], 0 offen offset:8
	;; [unrolled: 2-line block ×6, first 2 shown]
	s_waitcnt vmcnt(0)
	buffer_store_dword v74, v1, s[0:3], 0 offen
.LBB31_254:
	global_load_dword v0, v0, s[20:21] offset:24
	s_waitcnt vmcnt(0)
	v_add_nc_u32_e32 v0, -1, v0
	v_cmp_eq_u32_e32 vcc_lo, 6, v0
	s_cbranch_vccnz .LBB31_256
; %bb.255:
	v_lshlrev_b32_e32 v0, 4, v0
	v_mov_b32_e32 v1, s38
	v_add_nc_u32_e32 v0, 16, v0
	s_clause 0x7
	buffer_load_dword v2, v0, s[0:3], 0 offen
	buffer_load_dword v3, v0, s[0:3], 0 offen offset:4
	buffer_load_dword v4, v0, s[0:3], 0 offen offset:8
	;; [unrolled: 1-line block ×6, first 2 shown]
	buffer_load_dword v73, v1, s[0:3], 0 offen
	s_waitcnt vmcnt(7)
	buffer_store_dword v2, v1, s[0:3], 0 offen
	s_waitcnt vmcnt(6)
	buffer_store_dword v3, v1, s[0:3], 0 offen offset:4
	s_waitcnt vmcnt(5)
	buffer_store_dword v4, v1, s[0:3], 0 offen offset:8
	;; [unrolled: 2-line block ×6, first 2 shown]
	s_waitcnt vmcnt(0)
	buffer_store_dword v73, v0, s[0:3], 0 offen
.LBB31_256:
	v_mov_b32_e32 v0, 0
	global_load_dword v1, v0, s[20:21] offset:20
	s_waitcnt vmcnt(0)
	v_add_nc_u32_e32 v1, -1, v1
	v_cmp_eq_u32_e32 vcc_lo, 5, v1
	s_cbranch_vccnz .LBB31_258
; %bb.257:
	v_lshlrev_b32_e32 v1, 4, v1
	v_mov_b32_e32 v2, s39
	v_add_nc_u32_e32 v1, 16, v1
	s_clause 0x7
	buffer_load_dword v3, v1, s[0:3], 0 offen
	buffer_load_dword v4, v1, s[0:3], 0 offen offset:4
	buffer_load_dword v69, v1, s[0:3], 0 offen offset:8
	;; [unrolled: 1-line block ×6, first 2 shown]
	buffer_load_dword v74, v2, s[0:3], 0 offen
	s_waitcnt vmcnt(7)
	buffer_store_dword v3, v2, s[0:3], 0 offen
	s_waitcnt vmcnt(6)
	buffer_store_dword v4, v2, s[0:3], 0 offen offset:4
	s_waitcnt vmcnt(5)
	buffer_store_dword v69, v2, s[0:3], 0 offen offset:8
	;; [unrolled: 2-line block ×6, first 2 shown]
	s_waitcnt vmcnt(0)
	buffer_store_dword v74, v1, s[0:3], 0 offen
.LBB31_258:
	global_load_dword v0, v0, s[20:21] offset:16
	s_waitcnt vmcnt(0)
	v_add_nc_u32_e32 v0, -1, v0
	v_cmp_eq_u32_e32 vcc_lo, 4, v0
	s_cbranch_vccnz .LBB31_260
; %bb.259:
	v_lshlrev_b32_e32 v0, 4, v0
	v_mov_b32_e32 v1, s41
	v_add_nc_u32_e32 v0, 16, v0
	s_clause 0x7
	buffer_load_dword v2, v0, s[0:3], 0 offen
	buffer_load_dword v3, v0, s[0:3], 0 offen offset:4
	buffer_load_dword v4, v0, s[0:3], 0 offen offset:8
	buffer_load_dword v69, v0, s[0:3], 0 offen offset:12
	buffer_load_dword v70, v1, s[0:3], 0 offen offset:12
	buffer_load_dword v71, v1, s[0:3], 0 offen offset:8
	buffer_load_dword v72, v1, s[0:3], 0 offen offset:4
	buffer_load_dword v73, v1, s[0:3], 0 offen
	s_waitcnt vmcnt(7)
	buffer_store_dword v2, v1, s[0:3], 0 offen
	s_waitcnt vmcnt(6)
	buffer_store_dword v3, v1, s[0:3], 0 offen offset:4
	s_waitcnt vmcnt(5)
	buffer_store_dword v4, v1, s[0:3], 0 offen offset:8
	;; [unrolled: 2-line block ×6, first 2 shown]
	s_waitcnt vmcnt(0)
	buffer_store_dword v73, v0, s[0:3], 0 offen
.LBB31_260:
	v_mov_b32_e32 v0, 0
	global_load_dword v1, v0, s[20:21] offset:12
	s_waitcnt vmcnt(0)
	v_add_nc_u32_e32 v1, -1, v1
	v_cmp_eq_u32_e32 vcc_lo, 3, v1
	s_cbranch_vccnz .LBB31_262
; %bb.261:
	v_lshlrev_b32_e32 v1, 4, v1
	v_mov_b32_e32 v2, s42
	v_add_nc_u32_e32 v1, 16, v1
	s_clause 0x7
	buffer_load_dword v3, v1, s[0:3], 0 offen
	buffer_load_dword v4, v1, s[0:3], 0 offen offset:4
	buffer_load_dword v69, v1, s[0:3], 0 offen offset:8
	;; [unrolled: 1-line block ×6, first 2 shown]
	buffer_load_dword v74, v2, s[0:3], 0 offen
	s_waitcnt vmcnt(7)
	buffer_store_dword v3, v2, s[0:3], 0 offen
	s_waitcnt vmcnt(6)
	buffer_store_dword v4, v2, s[0:3], 0 offen offset:4
	s_waitcnt vmcnt(5)
	buffer_store_dword v69, v2, s[0:3], 0 offen offset:8
	;; [unrolled: 2-line block ×6, first 2 shown]
	s_waitcnt vmcnt(0)
	buffer_store_dword v74, v1, s[0:3], 0 offen
.LBB31_262:
	global_load_dword v0, v0, s[20:21] offset:8
	s_waitcnt vmcnt(0)
	v_add_nc_u32_e32 v0, -1, v0
	v_cmp_eq_u32_e32 vcc_lo, 2, v0
	s_cbranch_vccnz .LBB31_264
; %bb.263:
	v_lshlrev_b32_e32 v0, 4, v0
	v_mov_b32_e32 v1, s43
	v_add_nc_u32_e32 v0, 16, v0
	s_clause 0x7
	buffer_load_dword v2, v0, s[0:3], 0 offen
	buffer_load_dword v3, v0, s[0:3], 0 offen offset:4
	buffer_load_dword v4, v0, s[0:3], 0 offen offset:8
	buffer_load_dword v69, v0, s[0:3], 0 offen offset:12
	buffer_load_dword v70, v1, s[0:3], 0 offen offset:12
	buffer_load_dword v71, v1, s[0:3], 0 offen offset:8
	buffer_load_dword v72, v1, s[0:3], 0 offen offset:4
	buffer_load_dword v73, v1, s[0:3], 0 offen
	s_waitcnt vmcnt(7)
	buffer_store_dword v2, v1, s[0:3], 0 offen
	s_waitcnt vmcnt(6)
	buffer_store_dword v3, v1, s[0:3], 0 offen offset:4
	s_waitcnt vmcnt(5)
	buffer_store_dword v4, v1, s[0:3], 0 offen offset:8
	;; [unrolled: 2-line block ×6, first 2 shown]
	s_waitcnt vmcnt(0)
	buffer_store_dword v73, v0, s[0:3], 0 offen
.LBB31_264:
	v_mov_b32_e32 v0, 0
	global_load_dword v1, v0, s[20:21] offset:4
	s_waitcnt vmcnt(0)
	v_add_nc_u32_e32 v1, -1, v1
	v_cmp_eq_u32_e32 vcc_lo, 1, v1
	s_cbranch_vccnz .LBB31_266
; %bb.265:
	v_lshlrev_b32_e32 v1, 4, v1
	v_mov_b32_e32 v2, s44
	v_add_nc_u32_e32 v1, 16, v1
	s_clause 0x7
	buffer_load_dword v3, v1, s[0:3], 0 offen
	buffer_load_dword v4, v1, s[0:3], 0 offen offset:4
	buffer_load_dword v69, v1, s[0:3], 0 offen offset:8
	;; [unrolled: 1-line block ×6, first 2 shown]
	buffer_load_dword v74, v2, s[0:3], 0 offen
	s_waitcnt vmcnt(7)
	buffer_store_dword v3, v2, s[0:3], 0 offen
	s_waitcnt vmcnt(6)
	buffer_store_dword v4, v2, s[0:3], 0 offen offset:4
	s_waitcnt vmcnt(5)
	buffer_store_dword v69, v2, s[0:3], 0 offen offset:8
	;; [unrolled: 2-line block ×6, first 2 shown]
	s_waitcnt vmcnt(0)
	buffer_store_dword v74, v1, s[0:3], 0 offen
.LBB31_266:
	global_load_dword v0, v0, s[20:21]
	s_waitcnt vmcnt(0)
	v_add_nc_u32_e32 v0, -1, v0
	v_cmp_eq_u32_e32 vcc_lo, 0, v0
	s_cbranch_vccnz .LBB31_268
; %bb.267:
	v_lshlrev_b32_e32 v0, 4, v0
	v_add_nc_u32_e32 v0, 16, v0
	s_clause 0x7
	buffer_load_dword v1, v0, s[0:3], 0 offen
	buffer_load_dword v2, v0, s[0:3], 0 offen offset:4
	buffer_load_dword v3, v0, s[0:3], 0 offen offset:8
	;; [unrolled: 1-line block ×3, first 2 shown]
	buffer_load_dword v69, off, s[0:3], 0 offset:28
	buffer_load_dword v70, off, s[0:3], 0 offset:24
	buffer_load_dword v71, off, s[0:3], 0 offset:20
	buffer_load_dword v72, off, s[0:3], 0 offset:16
	s_waitcnt vmcnt(7)
	buffer_store_dword v1, off, s[0:3], 0 offset:16
	s_waitcnt vmcnt(6)
	buffer_store_dword v2, off, s[0:3], 0 offset:20
	;; [unrolled: 2-line block ×4, first 2 shown]
	s_waitcnt vmcnt(3)
	buffer_store_dword v69, v0, s[0:3], 0 offen offset:12
	s_waitcnt vmcnt(2)
	buffer_store_dword v70, v0, s[0:3], 0 offen offset:8
	;; [unrolled: 2-line block ×3, first 2 shown]
	s_waitcnt vmcnt(0)
	buffer_store_dword v72, v0, s[0:3], 0 offen
.LBB31_268:
	v_mov_b32_e32 v4, s44
	s_clause 0x3
	buffer_load_dword v0, off, s[0:3], 0 offset:16
	buffer_load_dword v1, off, s[0:3], 0 offset:20
	;; [unrolled: 1-line block ×4, first 2 shown]
	v_mov_b32_e32 v145, s23
	v_mov_b32_e32 v149, s19
	;; [unrolled: 1-line block ×3, first 2 shown]
	s_clause 0x3
	buffer_load_dword v69, v4, s[0:3], 0 offen
	buffer_load_dword v70, v4, s[0:3], 0 offen offset:4
	buffer_load_dword v71, v4, s[0:3], 0 offen offset:8
	;; [unrolled: 1-line block ×3, first 2 shown]
	v_mov_b32_e32 v4, s43
	v_mov_b32_e32 v96, s37
	;; [unrolled: 1-line block ×4, first 2 shown]
	s_clause 0x3
	buffer_load_dword v73, v4, s[0:3], 0 offen
	buffer_load_dword v74, v4, s[0:3], 0 offen offset:4
	buffer_load_dword v75, v4, s[0:3], 0 offen offset:8
	;; [unrolled: 1-line block ×3, first 2 shown]
	v_mov_b32_e32 v4, s42
	v_mov_b32_e32 v108, s34
	;; [unrolled: 1-line block ×3, first 2 shown]
	s_clause 0x3
	buffer_load_dword v77, v4, s[0:3], 0 offen
	buffer_load_dword v78, v4, s[0:3], 0 offen offset:4
	buffer_load_dword v79, v4, s[0:3], 0 offen offset:8
	;; [unrolled: 1-line block ×3, first 2 shown]
	v_mov_b32_e32 v4, s41
	v_mov_b32_e32 v116, s31
	s_clause 0x3
	buffer_load_dword v81, v4, s[0:3], 0 offen
	buffer_load_dword v82, v4, s[0:3], 0 offen offset:4
	buffer_load_dword v83, v4, s[0:3], 0 offen offset:8
	;; [unrolled: 1-line block ×3, first 2 shown]
	v_mov_b32_e32 v4, s39
	s_clause 0x3
	buffer_load_dword v85, v4, s[0:3], 0 offen
	buffer_load_dword v86, v4, s[0:3], 0 offen offset:4
	buffer_load_dword v87, v4, s[0:3], 0 offen offset:8
	;; [unrolled: 1-line block ×3, first 2 shown]
	v_mov_b32_e32 v4, s38
	v_mov_b32_e32 v120, s30
	;; [unrolled: 1-line block ×11, first 2 shown]
	s_clause 0x37
	buffer_load_dword v89, v4, s[0:3], 0 offen
	buffer_load_dword v90, v4, s[0:3], 0 offen offset:4
	buffer_load_dword v91, v4, s[0:3], 0 offen offset:8
	buffer_load_dword v92, v4, s[0:3], 0 offen offset:12
	buffer_load_dword v93, v96, s[0:3], 0 offen
	buffer_load_dword v94, v96, s[0:3], 0 offen offset:4
	buffer_load_dword v95, v96, s[0:3], 0 offen offset:8
	buffer_load_dword v96, v96, s[0:3], 0 offen offset:12
	;; [unrolled: 4-line block ×14, first 2 shown]
	v_mov_b32_e32 v150, s18
	v_mov_b32_e32 v159, s9
	;; [unrolled: 1-line block ×5, first 2 shown]
	s_waitcnt vmcnt(62)
	global_store_dwordx4 v[5:6], v[0:3], off
	s_clause 0x7
	buffer_load_dword v0, v145, s[0:3], 0 offen
	buffer_load_dword v1, v145, s[0:3], 0 offen offset:4
	buffer_load_dword v2, v145, s[0:3], 0 offen offset:8
	;; [unrolled: 1-line block ×3, first 2 shown]
	buffer_load_dword v145, v148, s[0:3], 0 offen
	buffer_load_dword v146, v148, s[0:3], 0 offen offset:4
	buffer_load_dword v147, v148, s[0:3], 0 offen offset:8
	;; [unrolled: 1-line block ×3, first 2 shown]
	global_store_dwordx4 v[7:8], v[69:72], off
	s_clause 0x7
	buffer_load_dword v4, v149, s[0:3], 0 offen
	buffer_load_dword v5, v149, s[0:3], 0 offen offset:4
	buffer_load_dword v6, v149, s[0:3], 0 offen offset:8
	;; [unrolled: 1-line block ×3, first 2 shown]
	buffer_load_dword v69, v150, s[0:3], 0 offen
	buffer_load_dword v70, v150, s[0:3], 0 offen offset:4
	buffer_load_dword v71, v150, s[0:3], 0 offen offset:8
	;; [unrolled: 1-line block ×3, first 2 shown]
	v_mov_b32_e32 v8, s8
	global_store_dwordx4 v[17:18], v[73:76], off
	s_clause 0x7
	buffer_load_dword v73, v151, s[0:3], 0 offen
	buffer_load_dword v74, v151, s[0:3], 0 offen offset:4
	buffer_load_dword v75, v151, s[0:3], 0 offen offset:8
	;; [unrolled: 1-line block ×3, first 2 shown]
	buffer_load_dword v149, v152, s[0:3], 0 offen
	buffer_load_dword v150, v152, s[0:3], 0 offen offset:4
	buffer_load_dword v151, v152, s[0:3], 0 offen offset:8
	;; [unrolled: 1-line block ×3, first 2 shown]
	global_store_dwordx4 v[13:14], v[77:80], off
	s_clause 0x7
	buffer_load_dword v77, v153, s[0:3], 0 offen
	buffer_load_dword v78, v153, s[0:3], 0 offen offset:4
	buffer_load_dword v79, v153, s[0:3], 0 offen offset:8
	buffer_load_dword v80, v153, s[0:3], 0 offen offset:12
	buffer_load_dword v153, v156, s[0:3], 0 offen
	buffer_load_dword v154, v156, s[0:3], 0 offen offset:4
	buffer_load_dword v155, v156, s[0:3], 0 offen offset:8
	;; [unrolled: 1-line block ×3, first 2 shown]
	s_waitcnt vmcnt(62)
	global_store_dwordx4 v[15:16], v[81:84], off
	s_clause 0x7
	buffer_load_dword v13, v157, s[0:3], 0 offen
	buffer_load_dword v14, v157, s[0:3], 0 offen offset:4
	buffer_load_dword v15, v157, s[0:3], 0 offen offset:8
	;; [unrolled: 1-line block ×3, first 2 shown]
	buffer_load_dword v81, v158, s[0:3], 0 offen
	buffer_load_dword v82, v158, s[0:3], 0 offen offset:4
	buffer_load_dword v83, v158, s[0:3], 0 offen offset:8
	;; [unrolled: 1-line block ×3, first 2 shown]
	global_store_dwordx4 v[11:12], v[85:88], off
	s_clause 0x7
	buffer_load_dword v85, v159, s[0:3], 0 offen
	buffer_load_dword v86, v159, s[0:3], 0 offen offset:4
	buffer_load_dword v87, v159, s[0:3], 0 offen offset:8
	;; [unrolled: 1-line block ×3, first 2 shown]
	buffer_load_dword v157, v8, s[0:3], 0 offen
	buffer_load_dword v158, v8, s[0:3], 0 offen offset:4
	buffer_load_dword v159, v8, s[0:3], 0 offen offset:8
	;; [unrolled: 1-line block ×3, first 2 shown]
	global_store_dwordx4 v[9:10], v[89:92], off
	global_store_dwordx4 v[19:20], v[93:96], off
	;; [unrolled: 1-line block ×6, first 2 shown]
	s_waitcnt vmcnt(62)
	global_store_dwordx4 v[29:30], v[113:116], off
	global_store_dwordx4 v[31:32], v[117:120], off
	;; [unrolled: 1-line block ×4, first 2 shown]
	s_waitcnt vmcnt(60)
	global_store_dwordx4 v[37:38], v[129:132], off
	s_waitcnt vmcnt(56)
	global_store_dwordx4 v[39:40], v[133:136], off
	;; [unrolled: 2-line block ×16, first 2 shown]
	s_endpgm
	.section	.rodata,"a",@progbits
	.p2align	6, 0x0
	.amdhsa_kernel _ZN9rocsolver6v33100L18getri_kernel_smallILi32E19rocblas_complex_numIdEPS3_EEvT1_iilPiilS6_bb
		.amdhsa_group_segment_fixed_size 1032
		.amdhsa_private_segment_fixed_size 544
		.amdhsa_kernarg_size 60
		.amdhsa_user_sgpr_count 6
		.amdhsa_user_sgpr_private_segment_buffer 1
		.amdhsa_user_sgpr_dispatch_ptr 0
		.amdhsa_user_sgpr_queue_ptr 0
		.amdhsa_user_sgpr_kernarg_segment_ptr 1
		.amdhsa_user_sgpr_dispatch_id 0
		.amdhsa_user_sgpr_flat_scratch_init 0
		.amdhsa_user_sgpr_private_segment_size 0
		.amdhsa_wavefront_size32 1
		.amdhsa_uses_dynamic_stack 0
		.amdhsa_system_sgpr_private_segment_wavefront_offset 1
		.amdhsa_system_sgpr_workgroup_id_x 1
		.amdhsa_system_sgpr_workgroup_id_y 0
		.amdhsa_system_sgpr_workgroup_id_z 0
		.amdhsa_system_sgpr_workgroup_info 0
		.amdhsa_system_vgpr_workitem_id 0
		.amdhsa_next_free_vgpr 164
		.amdhsa_next_free_sgpr 59
		.amdhsa_reserve_vcc 1
		.amdhsa_reserve_flat_scratch 0
		.amdhsa_float_round_mode_32 0
		.amdhsa_float_round_mode_16_64 0
		.amdhsa_float_denorm_mode_32 3
		.amdhsa_float_denorm_mode_16_64 3
		.amdhsa_dx10_clamp 1
		.amdhsa_ieee_mode 1
		.amdhsa_fp16_overflow 0
		.amdhsa_workgroup_processor_mode 1
		.amdhsa_memory_ordered 1
		.amdhsa_forward_progress 1
		.amdhsa_shared_vgpr_count 0
		.amdhsa_exception_fp_ieee_invalid_op 0
		.amdhsa_exception_fp_denorm_src 0
		.amdhsa_exception_fp_ieee_div_zero 0
		.amdhsa_exception_fp_ieee_overflow 0
		.amdhsa_exception_fp_ieee_underflow 0
		.amdhsa_exception_fp_ieee_inexact 0
		.amdhsa_exception_int_div_zero 0
	.end_amdhsa_kernel
	.section	.text._ZN9rocsolver6v33100L18getri_kernel_smallILi32E19rocblas_complex_numIdEPS3_EEvT1_iilPiilS6_bb,"axG",@progbits,_ZN9rocsolver6v33100L18getri_kernel_smallILi32E19rocblas_complex_numIdEPS3_EEvT1_iilPiilS6_bb,comdat
.Lfunc_end31:
	.size	_ZN9rocsolver6v33100L18getri_kernel_smallILi32E19rocblas_complex_numIdEPS3_EEvT1_iilPiilS6_bb, .Lfunc_end31-_ZN9rocsolver6v33100L18getri_kernel_smallILi32E19rocblas_complex_numIdEPS3_EEvT1_iilPiilS6_bb
                                        ; -- End function
	.set _ZN9rocsolver6v33100L18getri_kernel_smallILi32E19rocblas_complex_numIdEPS3_EEvT1_iilPiilS6_bb.num_vgpr, 164
	.set _ZN9rocsolver6v33100L18getri_kernel_smallILi32E19rocblas_complex_numIdEPS3_EEvT1_iilPiilS6_bb.num_agpr, 0
	.set _ZN9rocsolver6v33100L18getri_kernel_smallILi32E19rocblas_complex_numIdEPS3_EEvT1_iilPiilS6_bb.numbered_sgpr, 59
	.set _ZN9rocsolver6v33100L18getri_kernel_smallILi32E19rocblas_complex_numIdEPS3_EEvT1_iilPiilS6_bb.num_named_barrier, 0
	.set _ZN9rocsolver6v33100L18getri_kernel_smallILi32E19rocblas_complex_numIdEPS3_EEvT1_iilPiilS6_bb.private_seg_size, 544
	.set _ZN9rocsolver6v33100L18getri_kernel_smallILi32E19rocblas_complex_numIdEPS3_EEvT1_iilPiilS6_bb.uses_vcc, 1
	.set _ZN9rocsolver6v33100L18getri_kernel_smallILi32E19rocblas_complex_numIdEPS3_EEvT1_iilPiilS6_bb.uses_flat_scratch, 0
	.set _ZN9rocsolver6v33100L18getri_kernel_smallILi32E19rocblas_complex_numIdEPS3_EEvT1_iilPiilS6_bb.has_dyn_sized_stack, 0
	.set _ZN9rocsolver6v33100L18getri_kernel_smallILi32E19rocblas_complex_numIdEPS3_EEvT1_iilPiilS6_bb.has_recursion, 0
	.set _ZN9rocsolver6v33100L18getri_kernel_smallILi32E19rocblas_complex_numIdEPS3_EEvT1_iilPiilS6_bb.has_indirect_call, 0
	.section	.AMDGPU.csdata,"",@progbits
; Kernel info:
; codeLenInByte = 78364
; TotalNumSgprs: 61
; NumVgprs: 164
; ScratchSize: 544
; MemoryBound: 0
; FloatMode: 240
; IeeeMode: 1
; LDSByteSize: 1032 bytes/workgroup (compile time only)
; SGPRBlocks: 0
; VGPRBlocks: 20
; NumSGPRsForWavesPerEU: 61
; NumVGPRsForWavesPerEU: 164
; Occupancy: 5
; WaveLimiterHint : 1
; COMPUTE_PGM_RSRC2:SCRATCH_EN: 1
; COMPUTE_PGM_RSRC2:USER_SGPR: 6
; COMPUTE_PGM_RSRC2:TRAP_HANDLER: 0
; COMPUTE_PGM_RSRC2:TGID_X_EN: 1
; COMPUTE_PGM_RSRC2:TGID_Y_EN: 0
; COMPUTE_PGM_RSRC2:TGID_Z_EN: 0
; COMPUTE_PGM_RSRC2:TIDIG_COMP_CNT: 0
	.section	.text._ZN9rocsolver6v33100L18getri_kernel_smallILi33E19rocblas_complex_numIdEPS3_EEvT1_iilPiilS6_bb,"axG",@progbits,_ZN9rocsolver6v33100L18getri_kernel_smallILi33E19rocblas_complex_numIdEPS3_EEvT1_iilPiilS6_bb,comdat
	.globl	_ZN9rocsolver6v33100L18getri_kernel_smallILi33E19rocblas_complex_numIdEPS3_EEvT1_iilPiilS6_bb ; -- Begin function _ZN9rocsolver6v33100L18getri_kernel_smallILi33E19rocblas_complex_numIdEPS3_EEvT1_iilPiilS6_bb
	.p2align	8
	.type	_ZN9rocsolver6v33100L18getri_kernel_smallILi33E19rocblas_complex_numIdEPS3_EEvT1_iilPiilS6_bb,@function
_ZN9rocsolver6v33100L18getri_kernel_smallILi33E19rocblas_complex_numIdEPS3_EEvT1_iilPiilS6_bb: ; @_ZN9rocsolver6v33100L18getri_kernel_smallILi33E19rocblas_complex_numIdEPS3_EEvT1_iilPiilS6_bb
; %bb.0:
	s_add_u32 s0, s0, s7
	s_addc_u32 s1, s1, 0
	s_mov_b32 s7, exec_lo
	v_cmpx_gt_u32_e32 33, v0
	s_cbranch_execz .LBB32_146
; %bb.1:
	s_clause 0x2
	s_load_dword s7, s[4:5], 0x38
	s_load_dwordx4 s[16:19], s[4:5], 0x10
	s_load_dwordx4 s[8:11], s[4:5], 0x28
                                        ; implicit-def: $sgpr20_sgpr21
	s_waitcnt lgkmcnt(0)
	s_bitcmp1_b32 s7, 8
	s_cselect_b32 s43, -1, 0
	s_bfe_u32 s12, s7, 0x10008
	s_ashr_i32 s7, s6, 31
	s_cmp_eq_u32 s12, 0
	s_cbranch_scc1 .LBB32_3
; %bb.2:
	s_load_dword s12, s[4:5], 0x20
	s_mul_i32 s13, s8, s7
	s_mul_hi_u32 s14, s8, s6
	s_mul_i32 s9, s9, s6
	s_add_i32 s13, s14, s13
	s_mul_i32 s8, s8, s6
	s_add_i32 s9, s13, s9
	s_lshl_b64 s[8:9], s[8:9], 2
	s_waitcnt lgkmcnt(0)
	s_ashr_i32 s13, s12, 31
	s_add_u32 s14, s18, s8
	s_addc_u32 s15, s19, s9
	s_lshl_b64 s[8:9], s[12:13], 2
	s_add_u32 s20, s14, s8
	s_addc_u32 s21, s15, s9
.LBB32_3:
	s_clause 0x1
	s_load_dwordx4 s[12:15], s[4:5], 0x0
	s_load_dword s46, s[4:5], 0x38
	s_mul_i32 s4, s16, s7
	s_mul_hi_u32 s5, s16, s6
	s_mul_i32 s8, s17, s6
	s_add_i32 s5, s5, s4
	s_mul_i32 s4, s16, s6
	s_add_i32 s5, s5, s8
	v_lshlrev_b32_e32 v77, 4, v0
	s_lshl_b64 s[4:5], s[4:5], 4
	s_movk_i32 s16, 0xc0
	s_movk_i32 s17, 0xd0
	;; [unrolled: 1-line block ×10, first 2 shown]
	s_waitcnt lgkmcnt(0)
	v_add3_u32 v7, s15, s15, v0
	s_ashr_i32 s9, s14, 31
	s_mov_b32 s8, s14
	s_add_u32 s12, s12, s4
	s_addc_u32 s13, s13, s5
	v_add_nc_u32_e32 v9, s15, v7
	s_lshl_b64 s[4:5], s[8:9], 4
	v_ashrrev_i32_e32 v8, 31, v7
	s_add_u32 s4, s12, s4
	s_addc_u32 s5, s13, s5
	v_add_nc_u32_e32 v13, s15, v9
	v_ashrrev_i32_e32 v10, 31, v9
	v_add_co_u32 v5, s12, s4, v77
	s_mov_b32 s8, s15
	v_add_nc_u32_e32 v17, s15, v13
	s_ashr_i32 s9, s15, 31
	v_lshlrev_b64 v[11:12], 4, v[7:8]
	v_add_co_ci_u32_e64 v6, null, s5, 0, s12
	s_lshl_b64 s[8:9], s[8:9], 4
	v_lshlrev_b64 v[15:16], 4, v[9:10]
	v_ashrrev_i32_e32 v14, 31, v13
	v_add_co_u32 v7, vcc_lo, v5, s8
	v_add_nc_u32_e32 v19, s15, v17
	v_ashrrev_i32_e32 v18, 31, v17
	v_add_co_ci_u32_e64 v8, null, s9, v6, vcc_lo
	v_add_co_u32 v9, vcc_lo, s4, v11
	v_add_co_ci_u32_e64 v10, null, s5, v12, vcc_lo
	v_lshlrev_b64 v[13:14], 4, v[13:14]
	v_add_co_u32 v11, vcc_lo, s4, v15
	v_ashrrev_i32_e32 v20, 31, v19
	v_add_co_ci_u32_e64 v12, null, s5, v16, vcc_lo
	v_lshlrev_b64 v[15:16], 4, v[17:18]
	v_add_nc_u32_e32 v17, s15, v19
	v_add_co_u32 v13, vcc_lo, s4, v13
	v_lshlrev_b64 v[19:20], 4, v[19:20]
	v_add_co_ci_u32_e64 v14, null, s5, v14, vcc_lo
	v_ashrrev_i32_e32 v18, 31, v17
	v_add_co_u32 v15, vcc_lo, s4, v15
	v_add_co_ci_u32_e64 v16, null, s5, v16, vcc_lo
	s_clause 0x1
	global_load_dwordx4 v[1:4], v77, s[4:5]
	global_load_dwordx4 v[71:74], v[7:8], off
	v_add_nc_u32_e32 v21, s15, v17
	v_lshlrev_b64 v[23:24], 4, v[17:18]
	v_add_co_u32 v17, vcc_lo, s4, v19
	s_clause 0x1
	global_load_dwordx4 v[78:81], v[9:10], off
	global_load_dwordx4 v[82:85], v[11:12], off
	v_add_co_ci_u32_e64 v18, null, s5, v20, vcc_lo
	s_clause 0x1
	global_load_dwordx4 v[86:89], v[13:14], off
	global_load_dwordx4 v[90:93], v[15:16], off
	v_add_nc_u32_e32 v25, s15, v21
	global_load_dwordx4 v[94:97], v[17:18], off
	v_ashrrev_i32_e32 v22, 31, v21
	v_add_co_u32 v19, vcc_lo, s4, v23
	v_add_nc_u32_e32 v27, s15, v25
	v_ashrrev_i32_e32 v26, 31, v25
	v_lshlrev_b64 v[21:22], 4, v[21:22]
	v_add_co_ci_u32_e64 v20, null, s5, v24, vcc_lo
	v_ashrrev_i32_e32 v28, 31, v27
	v_lshlrev_b64 v[23:24], 4, v[25:26]
	s_movk_i32 s8, 0x60
	v_add_co_u32 v21, vcc_lo, s4, v21
	v_lshlrev_b64 v[25:26], 4, v[27:28]
	v_add_co_ci_u32_e64 v22, null, s5, v22, vcc_lo
	global_load_dwordx4 v[98:101], v[19:20], off
	v_add_co_u32 v23, vcc_lo, s4, v23
	v_add_co_ci_u32_e64 v24, null, s5, v24, vcc_lo
	v_add_co_u32 v25, vcc_lo, s4, v25
	global_load_dwordx4 v[102:105], v[21:22], off
	v_add_co_ci_u32_e64 v26, null, s5, v26, vcc_lo
	s_clause 0x1
	global_load_dwordx4 v[106:109], v[23:24], off
	global_load_dwordx4 v[110:113], v[25:26], off
	v_add_nc_u32_e32 v27, s15, v27
	s_movk_i32 s9, 0x70
	s_movk_i32 s12, 0x80
	;; [unrolled: 1-line block ×4, first 2 shown]
	v_add_nc_u32_e32 v29, s15, v27
	v_ashrrev_i32_e32 v28, 31, v27
	s_movk_i32 s49, 0x160
	s_movk_i32 s50, 0x170
	;; [unrolled: 1-line block ×3, first 2 shown]
	v_add_nc_u32_e32 v31, s15, v29
	v_ashrrev_i32_e32 v30, 31, v29
	v_lshlrev_b64 v[27:28], 4, v[27:28]
	s_movk_i32 s52, 0x190
	s_movk_i32 s53, 0x1a0
	v_add_nc_u32_e32 v33, s15, v31
	v_ashrrev_i32_e32 v32, 31, v31
	v_lshlrev_b64 v[29:30], 4, v[29:30]
	v_add_co_u32 v27, vcc_lo, s4, v27
	v_add_nc_u32_e32 v35, s15, v33
	v_ashrrev_i32_e32 v34, 31, v33
	v_lshlrev_b64 v[31:32], 4, v[31:32]
	v_add_co_ci_u32_e64 v28, null, s5, v28, vcc_lo
	v_add_nc_u32_e32 v37, s15, v35
	v_ashrrev_i32_e32 v36, 31, v35
	v_lshlrev_b64 v[33:34], 4, v[33:34]
	v_add_co_u32 v29, vcc_lo, s4, v29
	v_add_nc_u32_e32 v39, s15, v37
	v_ashrrev_i32_e32 v38, 31, v37
	v_lshlrev_b64 v[35:36], 4, v[35:36]
	v_add_co_ci_u32_e64 v30, null, s5, v30, vcc_lo
	v_add_nc_u32_e32 v41, s15, v39
	v_ashrrev_i32_e32 v40, 31, v39
	v_add_co_u32 v31, vcc_lo, s4, v31
	v_lshlrev_b64 v[37:38], 4, v[37:38]
	v_add_nc_u32_e32 v43, s15, v41
	v_ashrrev_i32_e32 v42, 31, v41
	v_add_co_ci_u32_e64 v32, null, s5, v32, vcc_lo
	v_add_co_u32 v33, vcc_lo, s4, v33
	v_add_nc_u32_e32 v45, s15, v43
	v_ashrrev_i32_e32 v44, 31, v43
	v_lshlrev_b64 v[39:40], 4, v[39:40]
	v_add_co_ci_u32_e64 v34, null, s5, v34, vcc_lo
	v_add_nc_u32_e32 v47, s15, v45
	v_ashrrev_i32_e32 v46, 31, v45
	v_add_co_u32 v35, vcc_lo, s4, v35
	v_lshlrev_b64 v[41:42], 4, v[41:42]
	v_add_nc_u32_e32 v49, s15, v47
	v_ashrrev_i32_e32 v48, 31, v47
	v_add_co_ci_u32_e64 v36, null, s5, v36, vcc_lo
	v_add_co_u32 v37, vcc_lo, s4, v37
	v_add_nc_u32_e32 v51, s15, v49
	v_lshlrev_b64 v[43:44], 4, v[43:44]
	v_ashrrev_i32_e32 v50, 31, v49
	v_add_co_ci_u32_e64 v38, null, s5, v38, vcc_lo
	v_add_nc_u32_e32 v53, s15, v51
	v_add_co_u32 v39, vcc_lo, s4, v39
	v_lshlrev_b64 v[45:46], 4, v[45:46]
	v_ashrrev_i32_e32 v52, 31, v51
	v_add_nc_u32_e32 v55, s15, v53
	v_add_co_ci_u32_e64 v40, null, s5, v40, vcc_lo
	v_add_co_u32 v41, vcc_lo, s4, v41
	v_add_nc_u32_e32 v57, s15, v55
	v_lshlrev_b64 v[47:48], 4, v[47:48]
	v_ashrrev_i32_e32 v54, 31, v53
	v_add_co_ci_u32_e64 v42, null, s5, v42, vcc_lo
	v_add_nc_u32_e32 v59, s15, v57
	v_add_co_u32 v43, vcc_lo, s4, v43
	v_lshlrev_b64 v[49:50], 4, v[49:50]
	v_ashrrev_i32_e32 v56, 31, v55
	v_add_co_ci_u32_e64 v44, null, s5, v44, vcc_lo
	v_add_co_u32 v45, vcc_lo, s4, v45
	v_lshlrev_b64 v[51:52], 4, v[51:52]
	v_add_nc_u32_e32 v61, s15, v59
	v_ashrrev_i32_e32 v58, 31, v57
	v_add_co_ci_u32_e64 v46, null, s5, v46, vcc_lo
	v_add_co_u32 v47, vcc_lo, s4, v47
	v_lshlrev_b64 v[53:54], 4, v[53:54]
	v_ashrrev_i32_e32 v60, 31, v59
	v_add_co_ci_u32_e64 v48, null, s5, v48, vcc_lo
	v_add_co_u32 v49, vcc_lo, s4, v49
	v_lshlrev_b64 v[55:56], 4, v[55:56]
	;; [unrolled: 4-line block ×3, first 2 shown]
	v_add_co_ci_u32_e64 v52, null, s5, v52, vcc_lo
	v_add_co_u32 v53, vcc_lo, s4, v53
	v_lshlrev_b64 v[59:60], 4, v[59:60]
	v_add_co_ci_u32_e64 v54, null, s5, v54, vcc_lo
	v_add_co_u32 v55, vcc_lo, s4, v55
	v_add_nc_u32_e32 v63, s15, v61
	v_lshlrev_b64 v[61:62], 4, v[61:62]
	v_add_co_ci_u32_e64 v56, null, s5, v56, vcc_lo
	v_add_co_u32 v57, vcc_lo, s4, v57
	v_add_co_ci_u32_e64 v58, null, s5, v58, vcc_lo
	v_add_co_u32 v59, vcc_lo, s4, v59
	;; [unrolled: 2-line block ×3, first 2 shown]
	s_clause 0x9
	global_load_dwordx4 v[114:117], v[27:28], off
	global_load_dwordx4 v[118:121], v[29:30], off
	;; [unrolled: 1-line block ×10, first 2 shown]
	v_add_co_ci_u32_e64 v62, null, s5, v62, vcc_lo
	v_add_nc_u32_e32 v65, s15, v63
	v_ashrrev_i32_e32 v64, 31, v63
	s_movk_i32 s54, 0x1b0
	s_movk_i32 s55, 0x1c0
	;; [unrolled: 1-line block ×3, first 2 shown]
	v_add_nc_u32_e32 v67, s15, v65
	v_ashrrev_i32_e32 v66, 31, v65
	v_lshlrev_b64 v[63:64], 4, v[63:64]
	s_movk_i32 s57, 0x1e0
	s_movk_i32 s58, 0x1f0
	v_add_nc_u32_e32 v69, s15, v67
	v_ashrrev_i32_e32 v68, 31, v67
	v_lshlrev_b64 v[65:66], 4, v[65:66]
	v_add_co_u32 v63, vcc_lo, s4, v63
	v_ashrrev_i32_e32 v70, 31, v69
	v_add_co_ci_u32_e64 v64, null, s5, v64, vcc_lo
	v_lshlrev_b64 v[67:68], 4, v[67:68]
	v_add_co_u32 v65, vcc_lo, s4, v65
	v_add_co_ci_u32_e64 v66, null, s5, v66, vcc_lo
	v_lshlrev_b64 v[75:76], 4, v[69:70]
	v_add_co_u32 v69, vcc_lo, s4, v67
	v_add_co_ci_u32_e64 v70, null, s5, v68, vcc_lo
	s_movk_i32 s15, 0xb0
	v_add_co_u32 v67, vcc_lo, s4, v75
	v_add_co_ci_u32_e64 v68, null, s5, v76, vcc_lo
	s_movk_i32 s4, 0x50
	s_movk_i32 s59, 0x200
	s_add_i32 s40, s4, 16
	s_add_i32 s39, s8, 16
	;; [unrolled: 1-line block ×28, first 2 shown]
	s_mov_b32 s5, -1
	s_mov_b32 s45, 32
	s_mov_b32 s44, 48
	;; [unrolled: 1-line block ×3, first 2 shown]
	s_movk_i32 s41, 0x50
	s_bitcmp0_b32 s46, 0
	s_waitcnt vmcnt(20)
	buffer_store_dword v4, off, s[0:3], 0 offset:28
	buffer_store_dword v3, off, s[0:3], 0 offset:24
	buffer_store_dword v2, off, s[0:3], 0 offset:20
	buffer_store_dword v1, off, s[0:3], 0 offset:16
	s_clause 0x1
	global_load_dwordx4 v[1:4], v[47:48], off
	global_load_dwordx4 v[154:157], v[49:50], off
	s_waitcnt vmcnt(21)
	buffer_store_dword v74, off, s[0:3], 0 offset:44
	buffer_store_dword v73, off, s[0:3], 0 offset:40
	buffer_store_dword v72, off, s[0:3], 0 offset:36
	buffer_store_dword v71, off, s[0:3], 0 offset:32
	s_waitcnt vmcnt(20)
	buffer_store_dword v81, off, s[0:3], 0 offset:60
	buffer_store_dword v80, off, s[0:3], 0 offset:56
	buffer_store_dword v79, off, s[0:3], 0 offset:52
	buffer_store_dword v78, off, s[0:3], 0 offset:48
	s_clause 0x1
	global_load_dwordx4 v[71:74], v[51:52], off
	global_load_dwordx4 v[78:81], v[53:54], off
	s_waitcnt vmcnt(21)
	buffer_store_dword v85, off, s[0:3], 0 offset:76
	buffer_store_dword v84, off, s[0:3], 0 offset:72
	buffer_store_dword v83, off, s[0:3], 0 offset:68
	buffer_store_dword v82, off, s[0:3], 0 offset:64
	;; [unrolled: 13-line block ×4, first 2 shown]
	global_load_dwordx4 v[98:101], v[63:64], off
	s_waitcnt vmcnt(21)
	buffer_store_dword v105, off, s[0:3], 0 offset:156
	buffer_store_dword v104, off, s[0:3], 0 offset:152
	buffer_store_dword v103, off, s[0:3], 0 offset:148
	buffer_store_dword v102, off, s[0:3], 0 offset:144
	global_load_dwordx4 v[102:105], v[65:66], off
	s_waitcnt vmcnt(21)
	buffer_store_dword v106, off, s[0:3], 0 offset:160
	buffer_store_dword v107, off, s[0:3], 0 offset:164
	buffer_store_dword v108, off, s[0:3], 0 offset:168
	buffer_store_dword v109, off, s[0:3], 0 offset:172
	;; [unrolled: 6-line block ×4, first 2 shown]
	s_waitcnt vmcnt(20)
	buffer_store_dword v121, off, s[0:3], 0 offset:220
	buffer_store_dword v120, off, s[0:3], 0 offset:216
	buffer_store_dword v119, off, s[0:3], 0 offset:212
	buffer_store_dword v118, off, s[0:3], 0 offset:208
	s_waitcnt vmcnt(19)
	buffer_store_dword v125, off, s[0:3], 0 offset:236
	buffer_store_dword v124, off, s[0:3], 0 offset:232
	buffer_store_dword v123, off, s[0:3], 0 offset:228
	buffer_store_dword v122, off, s[0:3], 0 offset:224
	;; [unrolled: 5-line block ×21, first 2 shown]
	s_cbranch_scc1 .LBB32_144
; %bb.4:
	v_cmp_eq_u32_e64 s4, 0, v0
	s_and_saveexec_b32 s5, s4
; %bb.5:
	v_mov_b32_e32 v1, 0
	ds_write_b32 v1, v1 offset:1056
; %bb.6:
	s_or_b32 exec_lo, exec_lo, s5
	v_lshl_add_u32 v78, v0, 4, 16
	s_waitcnt lgkmcnt(0)
	s_waitcnt_vscnt null, 0x0
	s_barrier
	buffer_gl0_inv
	s_clause 0x3
	buffer_load_dword v1, v78, s[0:3], 0 offen
	buffer_load_dword v2, v78, s[0:3], 0 offen offset:4
	buffer_load_dword v3, v78, s[0:3], 0 offen offset:8
	;; [unrolled: 1-line block ×3, first 2 shown]
	s_waitcnt vmcnt(2)
	v_cmp_eq_f64_e32 vcc_lo, 0, v[1:2]
	s_waitcnt vmcnt(0)
	v_cmp_eq_f64_e64 s5, 0, v[3:4]
	s_and_b32 s5, vcc_lo, s5
	s_and_saveexec_b32 s46, s5
	s_cbranch_execz .LBB32_10
; %bb.7:
	v_mov_b32_e32 v1, 0
	s_mov_b32 s47, 0
	ds_read_b32 v2, v1 offset:1056
	s_waitcnt lgkmcnt(0)
	v_readfirstlane_b32 s5, v2
	v_add_nc_u32_e32 v2, 1, v0
	s_cmp_eq_u32 s5, 0
	v_cmp_gt_i32_e32 vcc_lo, s5, v2
	s_cselect_b32 s48, -1, 0
	s_or_b32 s48, s48, vcc_lo
	s_and_b32 exec_lo, exec_lo, s48
	s_cbranch_execz .LBB32_10
; %bb.8:
	v_mov_b32_e32 v3, s5
.LBB32_9:                               ; =>This Inner Loop Header: Depth=1
	ds_cmpst_rtn_b32 v3, v1, v3, v2 offset:1056
	s_waitcnt lgkmcnt(0)
	v_cmp_ne_u32_e32 vcc_lo, 0, v3
	v_cmp_le_i32_e64 s5, v3, v2
	s_and_b32 s5, vcc_lo, s5
	s_and_b32 s5, exec_lo, s5
	s_or_b32 s47, s5, s47
	s_andn2_b32 exec_lo, exec_lo, s47
	s_cbranch_execnz .LBB32_9
.LBB32_10:
	s_or_b32 exec_lo, exec_lo, s46
	v_mov_b32_e32 v1, 0
	s_barrier
	buffer_gl0_inv
	ds_read_b32 v2, v1 offset:1056
	s_and_saveexec_b32 s5, s4
	s_cbranch_execz .LBB32_12
; %bb.11:
	s_lshl_b64 s[46:47], s[6:7], 2
	s_add_u32 s46, s10, s46
	s_addc_u32 s47, s11, s47
	s_waitcnt lgkmcnt(0)
	global_store_dword v1, v2, s[46:47]
.LBB32_12:
	s_or_b32 exec_lo, exec_lo, s5
	s_waitcnt lgkmcnt(0)
	v_cmp_ne_u32_e32 vcc_lo, 0, v2
	s_mov_b32 s5, 0
	s_cbranch_vccnz .LBB32_144
; %bb.13:
	s_clause 0x3
	buffer_load_dword v73, v78, s[0:3], 0 offen
	buffer_load_dword v74, v78, s[0:3], 0 offen offset:4
	buffer_load_dword v75, v78, s[0:3], 0 offen offset:8
	;; [unrolled: 1-line block ×3, first 2 shown]
                                        ; implicit-def: $vgpr71_vgpr72
                                        ; implicit-def: $vgpr3_vgpr4
	s_waitcnt vmcnt(0)
	v_cmp_ngt_f64_e64 s5, |v[73:74]|, |v[75:76]|
	s_and_saveexec_b32 s46, s5
	s_xor_b32 s5, exec_lo, s46
	s_cbranch_execz .LBB32_15
; %bb.14:
	v_div_scale_f64 v[1:2], null, v[75:76], v[75:76], v[73:74]
	v_div_scale_f64 v[79:80], vcc_lo, v[73:74], v[75:76], v[73:74]
	v_rcp_f64_e32 v[3:4], v[1:2]
	v_fma_f64 v[71:72], -v[1:2], v[3:4], 1.0
	v_fma_f64 v[3:4], v[3:4], v[71:72], v[3:4]
	v_fma_f64 v[71:72], -v[1:2], v[3:4], 1.0
	v_fma_f64 v[3:4], v[3:4], v[71:72], v[3:4]
	v_mul_f64 v[71:72], v[79:80], v[3:4]
	v_fma_f64 v[1:2], -v[1:2], v[71:72], v[79:80]
	v_div_fmas_f64 v[1:2], v[1:2], v[3:4], v[71:72]
	v_div_fixup_f64 v[1:2], v[1:2], v[75:76], v[73:74]
	v_fma_f64 v[3:4], v[73:74], v[1:2], v[75:76]
	v_div_scale_f64 v[71:72], null, v[3:4], v[3:4], 1.0
	v_div_scale_f64 v[79:80], vcc_lo, 1.0, v[3:4], 1.0
	v_rcp_f64_e32 v[73:74], v[71:72]
	v_fma_f64 v[75:76], -v[71:72], v[73:74], 1.0
	v_fma_f64 v[73:74], v[73:74], v[75:76], v[73:74]
	v_fma_f64 v[75:76], -v[71:72], v[73:74], 1.0
	v_fma_f64 v[73:74], v[73:74], v[75:76], v[73:74]
	v_mul_f64 v[75:76], v[79:80], v[73:74]
	v_fma_f64 v[71:72], -v[71:72], v[75:76], v[79:80]
	v_div_fmas_f64 v[71:72], v[71:72], v[73:74], v[75:76]
                                        ; implicit-def: $vgpr73_vgpr74
                                        ; implicit-def: $vgpr75_vgpr76
	v_div_fixup_f64 v[3:4], v[71:72], v[3:4], 1.0
	v_mul_f64 v[71:72], v[1:2], v[3:4]
	v_xor_b32_e32 v4, 0x80000000, v4
	v_xor_b32_e32 v2, 0x80000000, v72
	v_mov_b32_e32 v1, v71
.LBB32_15:
	s_andn2_saveexec_b32 s5, s5
	s_cbranch_execz .LBB32_17
; %bb.16:
	v_div_scale_f64 v[1:2], null, v[73:74], v[73:74], v[75:76]
	v_div_scale_f64 v[79:80], vcc_lo, v[75:76], v[73:74], v[75:76]
	v_rcp_f64_e32 v[3:4], v[1:2]
	v_fma_f64 v[71:72], -v[1:2], v[3:4], 1.0
	v_fma_f64 v[3:4], v[3:4], v[71:72], v[3:4]
	v_fma_f64 v[71:72], -v[1:2], v[3:4], 1.0
	v_fma_f64 v[3:4], v[3:4], v[71:72], v[3:4]
	v_mul_f64 v[71:72], v[79:80], v[3:4]
	v_fma_f64 v[1:2], -v[1:2], v[71:72], v[79:80]
	v_div_fmas_f64 v[1:2], v[1:2], v[3:4], v[71:72]
	v_div_fixup_f64 v[1:2], v[1:2], v[73:74], v[75:76]
	v_fma_f64 v[3:4], v[75:76], v[1:2], v[73:74]
	v_div_scale_f64 v[71:72], null, v[3:4], v[3:4], 1.0
	v_rcp_f64_e32 v[73:74], v[71:72]
	v_fma_f64 v[75:76], -v[71:72], v[73:74], 1.0
	v_fma_f64 v[73:74], v[73:74], v[75:76], v[73:74]
	v_fma_f64 v[75:76], -v[71:72], v[73:74], 1.0
	v_fma_f64 v[73:74], v[73:74], v[75:76], v[73:74]
	v_div_scale_f64 v[75:76], vcc_lo, 1.0, v[3:4], 1.0
	v_mul_f64 v[79:80], v[75:76], v[73:74]
	v_fma_f64 v[71:72], -v[71:72], v[79:80], v[75:76]
	v_div_fmas_f64 v[71:72], v[71:72], v[73:74], v[79:80]
	v_div_fixup_f64 v[71:72], v[71:72], v[3:4], 1.0
	v_mul_f64 v[3:4], v[1:2], -v[71:72]
	v_xor_b32_e32 v2, 0x80000000, v72
	v_mov_b32_e32 v1, v71
.LBB32_17:
	s_or_b32 exec_lo, exec_lo, s5
	v_mov_b32_e32 v76, s45
	buffer_store_dword v72, v78, s[0:3], 0 offen offset:4
	buffer_store_dword v71, v78, s[0:3], 0 offen
	buffer_store_dword v4, v78, s[0:3], 0 offen offset:12
	buffer_store_dword v3, v78, s[0:3], 0 offen offset:8
	v_xor_b32_e32 v4, 0x80000000, v4
	v_add_nc_u32_e32 v71, 0x210, v77
	s_clause 0x3
	buffer_load_dword v75, v76, s[0:3], 0 offen offset:12
	buffer_load_dword v74, v76, s[0:3], 0 offen offset:8
	;; [unrolled: 1-line block ×3, first 2 shown]
	buffer_load_dword v72, v76, s[0:3], 0 offen
	ds_write_b128 v77, v[1:4]
	s_waitcnt vmcnt(0)
	ds_write_b128 v77, v[72:75] offset:528
	s_waitcnt lgkmcnt(0)
	s_waitcnt_vscnt null, 0x0
	s_barrier
	buffer_gl0_inv
	s_and_saveexec_b32 s5, s4
	s_cbranch_execz .LBB32_19
; %bb.18:
	s_clause 0x3
	buffer_load_dword v79, v78, s[0:3], 0 offen offset:8
	buffer_load_dword v80, v78, s[0:3], 0 offen offset:12
	buffer_load_dword v81, v78, s[0:3], 0 offen
	buffer_load_dword v82, v78, s[0:3], 0 offen offset:4
	ds_read_b128 v[1:4], v71
	v_mov_b32_e32 v72, 0
	ds_read_b128 v[72:75], v72 offset:16
	s_waitcnt vmcnt(2) lgkmcnt(1)
	v_mul_f64 v[83:84], v[1:2], v[79:80]
	v_mul_f64 v[79:80], v[3:4], v[79:80]
	s_waitcnt vmcnt(0)
	v_fma_f64 v[3:4], v[3:4], v[81:82], v[83:84]
	v_fma_f64 v[1:2], v[1:2], v[81:82], -v[79:80]
	v_add_f64 v[3:4], v[3:4], 0
	v_add_f64 v[1:2], v[1:2], 0
	s_waitcnt lgkmcnt(0)
	v_mul_f64 v[79:80], v[3:4], v[74:75]
	v_mul_f64 v[74:75], v[1:2], v[74:75]
	v_fma_f64 v[1:2], v[1:2], v[72:73], -v[79:80]
	v_fma_f64 v[3:4], v[3:4], v[72:73], v[74:75]
	buffer_store_dword v1, off, s[0:3], 0 offset:32
	buffer_store_dword v2, off, s[0:3], 0 offset:36
	;; [unrolled: 1-line block ×4, first 2 shown]
.LBB32_19:
	s_or_b32 exec_lo, exec_lo, s5
	v_mov_b32_e32 v4, s44
	s_waitcnt_vscnt null, 0x0
	s_barrier
	buffer_gl0_inv
	s_mov_b32 s5, exec_lo
	s_clause 0x3
	buffer_load_dword v1, v4, s[0:3], 0 offen
	buffer_load_dword v2, v4, s[0:3], 0 offen offset:4
	buffer_load_dword v3, v4, s[0:3], 0 offen offset:8
	;; [unrolled: 1-line block ×3, first 2 shown]
	s_waitcnt vmcnt(0)
	ds_write_b128 v71, v[1:4]
	s_waitcnt lgkmcnt(0)
	s_barrier
	buffer_gl0_inv
	v_cmpx_gt_u32_e32 2, v0
	s_cbranch_execz .LBB32_23
; %bb.20:
	s_clause 0x3
	buffer_load_dword v72, v78, s[0:3], 0 offen offset:8
	buffer_load_dword v73, v78, s[0:3], 0 offen offset:12
	buffer_load_dword v74, v78, s[0:3], 0 offen
	buffer_load_dword v75, v78, s[0:3], 0 offen offset:4
	ds_read_b128 v[1:4], v71
	s_waitcnt vmcnt(2) lgkmcnt(0)
	v_mul_f64 v[78:79], v[3:4], v[72:73]
	v_mul_f64 v[72:73], v[1:2], v[72:73]
	s_waitcnt vmcnt(0)
	v_fma_f64 v[1:2], v[1:2], v[74:75], -v[78:79]
	v_fma_f64 v[3:4], v[3:4], v[74:75], v[72:73]
	v_add_f64 v[1:2], v[1:2], 0
	v_add_f64 v[3:4], v[3:4], 0
	s_and_saveexec_b32 s46, s4
	s_cbranch_execz .LBB32_22
; %bb.21:
	s_clause 0x3
	buffer_load_dword v78, off, s[0:3], 0 offset:40
	buffer_load_dword v79, off, s[0:3], 0 offset:44
	;; [unrolled: 1-line block ×4, first 2 shown]
	v_mov_b32_e32 v72, 0
	ds_read_b128 v[72:75], v72 offset:544
	s_waitcnt vmcnt(2) lgkmcnt(0)
	v_mul_f64 v[82:83], v[72:73], v[78:79]
	v_mul_f64 v[78:79], v[74:75], v[78:79]
	s_waitcnt vmcnt(0)
	v_fma_f64 v[74:75], v[74:75], v[80:81], v[82:83]
	v_fma_f64 v[72:73], v[72:73], v[80:81], -v[78:79]
	v_add_f64 v[3:4], v[3:4], v[74:75]
	v_add_f64 v[1:2], v[1:2], v[72:73]
.LBB32_22:
	s_or_b32 exec_lo, exec_lo, s46
	v_mov_b32_e32 v72, 0
	ds_read_b128 v[72:75], v72 offset:32
	s_waitcnt lgkmcnt(0)
	v_mul_f64 v[78:79], v[3:4], v[74:75]
	v_mul_f64 v[74:75], v[1:2], v[74:75]
	v_fma_f64 v[1:2], v[1:2], v[72:73], -v[78:79]
	v_fma_f64 v[3:4], v[3:4], v[72:73], v[74:75]
	buffer_store_dword v2, off, s[0:3], 0 offset:52
	buffer_store_dword v1, off, s[0:3], 0 offset:48
	;; [unrolled: 1-line block ×4, first 2 shown]
.LBB32_23:
	s_or_b32 exec_lo, exec_lo, s5
	v_mov_b32_e32 v4, s42
	s_waitcnt_vscnt null, 0x0
	s_barrier
	buffer_gl0_inv
	v_add_nc_u32_e32 v72, -1, v0
	s_clause 0x3
	buffer_load_dword v1, v4, s[0:3], 0 offen
	buffer_load_dword v2, v4, s[0:3], 0 offen offset:4
	buffer_load_dword v3, v4, s[0:3], 0 offen offset:8
	;; [unrolled: 1-line block ×3, first 2 shown]
	s_mov_b32 s4, exec_lo
	s_waitcnt vmcnt(0)
	ds_write_b128 v71, v[1:4]
	s_waitcnt lgkmcnt(0)
	s_barrier
	buffer_gl0_inv
	v_cmpx_gt_u32_e32 3, v0
	s_cbranch_execz .LBB32_27
; %bb.24:
	v_mov_b32_e32 v1, 0
	v_mov_b32_e32 v3, 0
	v_add_nc_u32_e32 v73, -1, v0
	v_add_nc_u32_e32 v74, 0x210, v77
	v_mov_b32_e32 v2, 0
	v_mov_b32_e32 v4, 0
	v_add_nc_u32_e32 v75, 16, v77
	s_mov_b32 s5, 0
	.p2align	6
.LBB32_25:                              ; =>This Inner Loop Header: Depth=1
	s_clause 0x3
	buffer_load_dword v82, v75, s[0:3], 0 offen offset:8
	buffer_load_dword v83, v75, s[0:3], 0 offen offset:12
	buffer_load_dword v84, v75, s[0:3], 0 offen
	buffer_load_dword v85, v75, s[0:3], 0 offen offset:4
	ds_read_b128 v[78:81], v74
	v_add_nc_u32_e32 v73, 1, v73
	v_add_nc_u32_e32 v74, 16, v74
	;; [unrolled: 1-line block ×3, first 2 shown]
	v_cmp_lt_u32_e32 vcc_lo, 1, v73
	s_or_b32 s5, vcc_lo, s5
	s_waitcnt vmcnt(2) lgkmcnt(0)
	v_mul_f64 v[86:87], v[80:81], v[82:83]
	v_mul_f64 v[82:83], v[78:79], v[82:83]
	s_waitcnt vmcnt(0)
	v_fma_f64 v[78:79], v[78:79], v[84:85], -v[86:87]
	v_fma_f64 v[80:81], v[80:81], v[84:85], v[82:83]
	v_add_f64 v[3:4], v[3:4], v[78:79]
	v_add_f64 v[1:2], v[1:2], v[80:81]
	s_andn2_b32 exec_lo, exec_lo, s5
	s_cbranch_execnz .LBB32_25
; %bb.26:
	s_or_b32 exec_lo, exec_lo, s5
	v_mov_b32_e32 v73, 0
	ds_read_b128 v[73:76], v73 offset:48
	s_waitcnt lgkmcnt(0)
	v_mul_f64 v[78:79], v[1:2], v[75:76]
	v_mul_f64 v[75:76], v[3:4], v[75:76]
	v_fma_f64 v[3:4], v[3:4], v[73:74], -v[78:79]
	v_fma_f64 v[1:2], v[1:2], v[73:74], v[75:76]
	buffer_store_dword v4, off, s[0:3], 0 offset:68
	buffer_store_dword v3, off, s[0:3], 0 offset:64
	;; [unrolled: 1-line block ×4, first 2 shown]
.LBB32_27:
	s_or_b32 exec_lo, exec_lo, s4
	v_mov_b32_e32 v4, s41
	s_waitcnt_vscnt null, 0x0
	s_barrier
	buffer_gl0_inv
	s_mov_b32 s4, exec_lo
	s_clause 0x3
	buffer_load_dword v1, v4, s[0:3], 0 offen
	buffer_load_dword v2, v4, s[0:3], 0 offen offset:4
	buffer_load_dword v3, v4, s[0:3], 0 offen offset:8
	buffer_load_dword v4, v4, s[0:3], 0 offen offset:12
	s_waitcnt vmcnt(0)
	ds_write_b128 v71, v[1:4]
	s_waitcnt lgkmcnt(0)
	s_barrier
	buffer_gl0_inv
	v_cmpx_gt_u32_e32 4, v0
	s_cbranch_execz .LBB32_31
; %bb.28:
	v_mov_b32_e32 v1, 0
	v_mov_b32_e32 v3, 0
	v_add_nc_u32_e32 v73, -1, v0
	v_add_nc_u32_e32 v74, 0x210, v77
	v_mov_b32_e32 v2, 0
	v_mov_b32_e32 v4, 0
	v_add_nc_u32_e32 v75, 16, v77
	s_mov_b32 s5, 0
	.p2align	6
.LBB32_29:                              ; =>This Inner Loop Header: Depth=1
	s_clause 0x3
	buffer_load_dword v82, v75, s[0:3], 0 offen offset:8
	buffer_load_dword v83, v75, s[0:3], 0 offen offset:12
	buffer_load_dword v84, v75, s[0:3], 0 offen
	buffer_load_dword v85, v75, s[0:3], 0 offen offset:4
	ds_read_b128 v[78:81], v74
	v_add_nc_u32_e32 v73, 1, v73
	v_add_nc_u32_e32 v74, 16, v74
	;; [unrolled: 1-line block ×3, first 2 shown]
	v_cmp_lt_u32_e32 vcc_lo, 2, v73
	s_or_b32 s5, vcc_lo, s5
	s_waitcnt vmcnt(2) lgkmcnt(0)
	v_mul_f64 v[86:87], v[80:81], v[82:83]
	v_mul_f64 v[82:83], v[78:79], v[82:83]
	s_waitcnt vmcnt(0)
	v_fma_f64 v[78:79], v[78:79], v[84:85], -v[86:87]
	v_fma_f64 v[80:81], v[80:81], v[84:85], v[82:83]
	v_add_f64 v[3:4], v[3:4], v[78:79]
	v_add_f64 v[1:2], v[1:2], v[80:81]
	s_andn2_b32 exec_lo, exec_lo, s5
	s_cbranch_execnz .LBB32_29
; %bb.30:
	s_or_b32 exec_lo, exec_lo, s5
	v_mov_b32_e32 v73, 0
	ds_read_b128 v[73:76], v73 offset:64
	s_waitcnt lgkmcnt(0)
	v_mul_f64 v[78:79], v[1:2], v[75:76]
	v_mul_f64 v[75:76], v[3:4], v[75:76]
	v_fma_f64 v[3:4], v[3:4], v[73:74], -v[78:79]
	v_fma_f64 v[1:2], v[1:2], v[73:74], v[75:76]
	buffer_store_dword v4, off, s[0:3], 0 offset:84
	buffer_store_dword v3, off, s[0:3], 0 offset:80
	;; [unrolled: 1-line block ×4, first 2 shown]
.LBB32_31:
	s_or_b32 exec_lo, exec_lo, s4
	v_mov_b32_e32 v4, s40
	s_waitcnt_vscnt null, 0x0
	s_barrier
	buffer_gl0_inv
	s_mov_b32 s4, exec_lo
	s_clause 0x3
	buffer_load_dword v1, v4, s[0:3], 0 offen
	buffer_load_dword v2, v4, s[0:3], 0 offen offset:4
	buffer_load_dword v3, v4, s[0:3], 0 offen offset:8
	;; [unrolled: 1-line block ×3, first 2 shown]
	s_waitcnt vmcnt(0)
	ds_write_b128 v71, v[1:4]
	s_waitcnt lgkmcnt(0)
	s_barrier
	buffer_gl0_inv
	v_cmpx_gt_u32_e32 5, v0
	s_cbranch_execz .LBB32_35
; %bb.32:
	v_mov_b32_e32 v1, 0
	v_mov_b32_e32 v3, 0
	v_add_nc_u32_e32 v73, -1, v0
	v_add_nc_u32_e32 v74, 0x210, v77
	v_mov_b32_e32 v2, 0
	v_mov_b32_e32 v4, 0
	v_add_nc_u32_e32 v75, 16, v77
	s_mov_b32 s5, 0
	.p2align	6
.LBB32_33:                              ; =>This Inner Loop Header: Depth=1
	s_clause 0x3
	buffer_load_dword v82, v75, s[0:3], 0 offen offset:8
	buffer_load_dword v83, v75, s[0:3], 0 offen offset:12
	buffer_load_dword v84, v75, s[0:3], 0 offen
	buffer_load_dword v85, v75, s[0:3], 0 offen offset:4
	ds_read_b128 v[78:81], v74
	v_add_nc_u32_e32 v73, 1, v73
	v_add_nc_u32_e32 v74, 16, v74
	;; [unrolled: 1-line block ×3, first 2 shown]
	v_cmp_lt_u32_e32 vcc_lo, 3, v73
	s_or_b32 s5, vcc_lo, s5
	s_waitcnt vmcnt(2) lgkmcnt(0)
	v_mul_f64 v[86:87], v[80:81], v[82:83]
	v_mul_f64 v[82:83], v[78:79], v[82:83]
	s_waitcnt vmcnt(0)
	v_fma_f64 v[78:79], v[78:79], v[84:85], -v[86:87]
	v_fma_f64 v[80:81], v[80:81], v[84:85], v[82:83]
	v_add_f64 v[3:4], v[3:4], v[78:79]
	v_add_f64 v[1:2], v[1:2], v[80:81]
	s_andn2_b32 exec_lo, exec_lo, s5
	s_cbranch_execnz .LBB32_33
; %bb.34:
	s_or_b32 exec_lo, exec_lo, s5
	v_mov_b32_e32 v73, 0
	ds_read_b128 v[73:76], v73 offset:80
	s_waitcnt lgkmcnt(0)
	v_mul_f64 v[78:79], v[1:2], v[75:76]
	v_mul_f64 v[75:76], v[3:4], v[75:76]
	v_fma_f64 v[3:4], v[3:4], v[73:74], -v[78:79]
	v_fma_f64 v[1:2], v[1:2], v[73:74], v[75:76]
	buffer_store_dword v4, off, s[0:3], 0 offset:100
	buffer_store_dword v3, off, s[0:3], 0 offset:96
	;; [unrolled: 1-line block ×4, first 2 shown]
.LBB32_35:
	s_or_b32 exec_lo, exec_lo, s4
	v_mov_b32_e32 v4, s39
	s_waitcnt_vscnt null, 0x0
	s_barrier
	buffer_gl0_inv
	s_mov_b32 s4, exec_lo
	s_clause 0x3
	buffer_load_dword v1, v4, s[0:3], 0 offen
	buffer_load_dword v2, v4, s[0:3], 0 offen offset:4
	buffer_load_dword v3, v4, s[0:3], 0 offen offset:8
	;; [unrolled: 1-line block ×3, first 2 shown]
	s_waitcnt vmcnt(0)
	ds_write_b128 v71, v[1:4]
	s_waitcnt lgkmcnt(0)
	s_barrier
	buffer_gl0_inv
	v_cmpx_gt_u32_e32 6, v0
	s_cbranch_execz .LBB32_39
; %bb.36:
	v_mov_b32_e32 v1, 0
	v_mov_b32_e32 v3, 0
	v_add_nc_u32_e32 v73, -1, v0
	v_add_nc_u32_e32 v74, 0x210, v77
	v_mov_b32_e32 v2, 0
	v_mov_b32_e32 v4, 0
	v_add_nc_u32_e32 v75, 16, v77
	s_mov_b32 s5, 0
	.p2align	6
.LBB32_37:                              ; =>This Inner Loop Header: Depth=1
	s_clause 0x3
	buffer_load_dword v82, v75, s[0:3], 0 offen offset:8
	buffer_load_dword v83, v75, s[0:3], 0 offen offset:12
	buffer_load_dword v84, v75, s[0:3], 0 offen
	buffer_load_dword v85, v75, s[0:3], 0 offen offset:4
	ds_read_b128 v[78:81], v74
	v_add_nc_u32_e32 v73, 1, v73
	v_add_nc_u32_e32 v74, 16, v74
	;; [unrolled: 1-line block ×3, first 2 shown]
	v_cmp_lt_u32_e32 vcc_lo, 4, v73
	s_or_b32 s5, vcc_lo, s5
	s_waitcnt vmcnt(2) lgkmcnt(0)
	v_mul_f64 v[86:87], v[80:81], v[82:83]
	v_mul_f64 v[82:83], v[78:79], v[82:83]
	s_waitcnt vmcnt(0)
	v_fma_f64 v[78:79], v[78:79], v[84:85], -v[86:87]
	v_fma_f64 v[80:81], v[80:81], v[84:85], v[82:83]
	v_add_f64 v[3:4], v[3:4], v[78:79]
	v_add_f64 v[1:2], v[1:2], v[80:81]
	s_andn2_b32 exec_lo, exec_lo, s5
	s_cbranch_execnz .LBB32_37
; %bb.38:
	s_or_b32 exec_lo, exec_lo, s5
	v_mov_b32_e32 v73, 0
	ds_read_b128 v[73:76], v73 offset:96
	s_waitcnt lgkmcnt(0)
	v_mul_f64 v[78:79], v[1:2], v[75:76]
	v_mul_f64 v[75:76], v[3:4], v[75:76]
	v_fma_f64 v[3:4], v[3:4], v[73:74], -v[78:79]
	v_fma_f64 v[1:2], v[1:2], v[73:74], v[75:76]
	buffer_store_dword v4, off, s[0:3], 0 offset:116
	buffer_store_dword v3, off, s[0:3], 0 offset:112
	;; [unrolled: 1-line block ×4, first 2 shown]
.LBB32_39:
	s_or_b32 exec_lo, exec_lo, s4
	v_mov_b32_e32 v4, s38
	s_waitcnt_vscnt null, 0x0
	s_barrier
	buffer_gl0_inv
	s_mov_b32 s4, exec_lo
	s_clause 0x3
	buffer_load_dword v1, v4, s[0:3], 0 offen
	buffer_load_dword v2, v4, s[0:3], 0 offen offset:4
	buffer_load_dword v3, v4, s[0:3], 0 offen offset:8
	;; [unrolled: 1-line block ×3, first 2 shown]
	s_waitcnt vmcnt(0)
	ds_write_b128 v71, v[1:4]
	s_waitcnt lgkmcnt(0)
	s_barrier
	buffer_gl0_inv
	v_cmpx_gt_u32_e32 7, v0
	s_cbranch_execz .LBB32_43
; %bb.40:
	v_mov_b32_e32 v1, 0
	v_mov_b32_e32 v3, 0
	v_add_nc_u32_e32 v73, -1, v0
	v_add_nc_u32_e32 v74, 0x210, v77
	v_mov_b32_e32 v2, 0
	v_mov_b32_e32 v4, 0
	v_add_nc_u32_e32 v75, 16, v77
	s_mov_b32 s5, 0
	.p2align	6
.LBB32_41:                              ; =>This Inner Loop Header: Depth=1
	s_clause 0x3
	buffer_load_dword v82, v75, s[0:3], 0 offen offset:8
	buffer_load_dword v83, v75, s[0:3], 0 offen offset:12
	buffer_load_dword v84, v75, s[0:3], 0 offen
	buffer_load_dword v85, v75, s[0:3], 0 offen offset:4
	ds_read_b128 v[78:81], v74
	v_add_nc_u32_e32 v73, 1, v73
	v_add_nc_u32_e32 v74, 16, v74
	;; [unrolled: 1-line block ×3, first 2 shown]
	v_cmp_lt_u32_e32 vcc_lo, 5, v73
	s_or_b32 s5, vcc_lo, s5
	s_waitcnt vmcnt(2) lgkmcnt(0)
	v_mul_f64 v[86:87], v[80:81], v[82:83]
	v_mul_f64 v[82:83], v[78:79], v[82:83]
	s_waitcnt vmcnt(0)
	v_fma_f64 v[78:79], v[78:79], v[84:85], -v[86:87]
	v_fma_f64 v[80:81], v[80:81], v[84:85], v[82:83]
	v_add_f64 v[3:4], v[3:4], v[78:79]
	v_add_f64 v[1:2], v[1:2], v[80:81]
	s_andn2_b32 exec_lo, exec_lo, s5
	s_cbranch_execnz .LBB32_41
; %bb.42:
	s_or_b32 exec_lo, exec_lo, s5
	v_mov_b32_e32 v73, 0
	ds_read_b128 v[73:76], v73 offset:112
	s_waitcnt lgkmcnt(0)
	v_mul_f64 v[78:79], v[1:2], v[75:76]
	v_mul_f64 v[75:76], v[3:4], v[75:76]
	v_fma_f64 v[3:4], v[3:4], v[73:74], -v[78:79]
	v_fma_f64 v[1:2], v[1:2], v[73:74], v[75:76]
	buffer_store_dword v4, off, s[0:3], 0 offset:132
	buffer_store_dword v3, off, s[0:3], 0 offset:128
	;; [unrolled: 1-line block ×4, first 2 shown]
.LBB32_43:
	s_or_b32 exec_lo, exec_lo, s4
	v_mov_b32_e32 v4, s37
	s_waitcnt_vscnt null, 0x0
	s_barrier
	buffer_gl0_inv
	s_mov_b32 s4, exec_lo
	s_clause 0x3
	buffer_load_dword v1, v4, s[0:3], 0 offen
	buffer_load_dword v2, v4, s[0:3], 0 offen offset:4
	buffer_load_dword v3, v4, s[0:3], 0 offen offset:8
	;; [unrolled: 1-line block ×3, first 2 shown]
	s_waitcnt vmcnt(0)
	ds_write_b128 v71, v[1:4]
	s_waitcnt lgkmcnt(0)
	s_barrier
	buffer_gl0_inv
	v_cmpx_gt_u32_e32 8, v0
	s_cbranch_execz .LBB32_47
; %bb.44:
	v_mov_b32_e32 v1, 0
	v_mov_b32_e32 v3, 0
	v_add_nc_u32_e32 v73, -1, v0
	v_add_nc_u32_e32 v74, 0x210, v77
	v_mov_b32_e32 v2, 0
	v_mov_b32_e32 v4, 0
	v_add_nc_u32_e32 v75, 16, v77
	s_mov_b32 s5, 0
	.p2align	6
.LBB32_45:                              ; =>This Inner Loop Header: Depth=1
	s_clause 0x3
	buffer_load_dword v82, v75, s[0:3], 0 offen offset:8
	buffer_load_dword v83, v75, s[0:3], 0 offen offset:12
	buffer_load_dword v84, v75, s[0:3], 0 offen
	buffer_load_dword v85, v75, s[0:3], 0 offen offset:4
	ds_read_b128 v[78:81], v74
	v_add_nc_u32_e32 v73, 1, v73
	v_add_nc_u32_e32 v74, 16, v74
	v_add_nc_u32_e32 v75, 16, v75
	v_cmp_lt_u32_e32 vcc_lo, 6, v73
	s_or_b32 s5, vcc_lo, s5
	s_waitcnt vmcnt(2) lgkmcnt(0)
	v_mul_f64 v[86:87], v[80:81], v[82:83]
	v_mul_f64 v[82:83], v[78:79], v[82:83]
	s_waitcnt vmcnt(0)
	v_fma_f64 v[78:79], v[78:79], v[84:85], -v[86:87]
	v_fma_f64 v[80:81], v[80:81], v[84:85], v[82:83]
	v_add_f64 v[3:4], v[3:4], v[78:79]
	v_add_f64 v[1:2], v[1:2], v[80:81]
	s_andn2_b32 exec_lo, exec_lo, s5
	s_cbranch_execnz .LBB32_45
; %bb.46:
	s_or_b32 exec_lo, exec_lo, s5
	v_mov_b32_e32 v73, 0
	ds_read_b128 v[73:76], v73 offset:128
	s_waitcnt lgkmcnt(0)
	v_mul_f64 v[78:79], v[1:2], v[75:76]
	v_mul_f64 v[75:76], v[3:4], v[75:76]
	v_fma_f64 v[3:4], v[3:4], v[73:74], -v[78:79]
	v_fma_f64 v[1:2], v[1:2], v[73:74], v[75:76]
	buffer_store_dword v4, off, s[0:3], 0 offset:148
	buffer_store_dword v3, off, s[0:3], 0 offset:144
	;; [unrolled: 1-line block ×4, first 2 shown]
.LBB32_47:
	s_or_b32 exec_lo, exec_lo, s4
	v_mov_b32_e32 v4, s36
	s_waitcnt_vscnt null, 0x0
	s_barrier
	buffer_gl0_inv
	s_mov_b32 s4, exec_lo
	s_clause 0x3
	buffer_load_dword v1, v4, s[0:3], 0 offen
	buffer_load_dword v2, v4, s[0:3], 0 offen offset:4
	buffer_load_dword v3, v4, s[0:3], 0 offen offset:8
	;; [unrolled: 1-line block ×3, first 2 shown]
	s_waitcnt vmcnt(0)
	ds_write_b128 v71, v[1:4]
	s_waitcnt lgkmcnt(0)
	s_barrier
	buffer_gl0_inv
	v_cmpx_gt_u32_e32 9, v0
	s_cbranch_execz .LBB32_51
; %bb.48:
	v_mov_b32_e32 v1, 0
	v_mov_b32_e32 v3, 0
	v_add_nc_u32_e32 v73, -1, v0
	v_add_nc_u32_e32 v74, 0x210, v77
	v_mov_b32_e32 v2, 0
	v_mov_b32_e32 v4, 0
	v_add_nc_u32_e32 v75, 16, v77
	s_mov_b32 s5, 0
	.p2align	6
.LBB32_49:                              ; =>This Inner Loop Header: Depth=1
	s_clause 0x3
	buffer_load_dword v82, v75, s[0:3], 0 offen offset:8
	buffer_load_dword v83, v75, s[0:3], 0 offen offset:12
	buffer_load_dword v84, v75, s[0:3], 0 offen
	buffer_load_dword v85, v75, s[0:3], 0 offen offset:4
	ds_read_b128 v[78:81], v74
	v_add_nc_u32_e32 v73, 1, v73
	v_add_nc_u32_e32 v74, 16, v74
	;; [unrolled: 1-line block ×3, first 2 shown]
	v_cmp_lt_u32_e32 vcc_lo, 7, v73
	s_or_b32 s5, vcc_lo, s5
	s_waitcnt vmcnt(2) lgkmcnt(0)
	v_mul_f64 v[86:87], v[80:81], v[82:83]
	v_mul_f64 v[82:83], v[78:79], v[82:83]
	s_waitcnt vmcnt(0)
	v_fma_f64 v[78:79], v[78:79], v[84:85], -v[86:87]
	v_fma_f64 v[80:81], v[80:81], v[84:85], v[82:83]
	v_add_f64 v[3:4], v[3:4], v[78:79]
	v_add_f64 v[1:2], v[1:2], v[80:81]
	s_andn2_b32 exec_lo, exec_lo, s5
	s_cbranch_execnz .LBB32_49
; %bb.50:
	s_or_b32 exec_lo, exec_lo, s5
	v_mov_b32_e32 v73, 0
	ds_read_b128 v[73:76], v73 offset:144
	s_waitcnt lgkmcnt(0)
	v_mul_f64 v[78:79], v[1:2], v[75:76]
	v_mul_f64 v[75:76], v[3:4], v[75:76]
	v_fma_f64 v[3:4], v[3:4], v[73:74], -v[78:79]
	v_fma_f64 v[1:2], v[1:2], v[73:74], v[75:76]
	buffer_store_dword v4, off, s[0:3], 0 offset:164
	buffer_store_dword v3, off, s[0:3], 0 offset:160
	;; [unrolled: 1-line block ×4, first 2 shown]
.LBB32_51:
	s_or_b32 exec_lo, exec_lo, s4
	v_mov_b32_e32 v4, s35
	s_waitcnt_vscnt null, 0x0
	s_barrier
	buffer_gl0_inv
	s_mov_b32 s4, exec_lo
	s_clause 0x3
	buffer_load_dword v1, v4, s[0:3], 0 offen
	buffer_load_dword v2, v4, s[0:3], 0 offen offset:4
	buffer_load_dword v3, v4, s[0:3], 0 offen offset:8
	;; [unrolled: 1-line block ×3, first 2 shown]
	s_waitcnt vmcnt(0)
	ds_write_b128 v71, v[1:4]
	s_waitcnt lgkmcnt(0)
	s_barrier
	buffer_gl0_inv
	v_cmpx_gt_u32_e32 10, v0
	s_cbranch_execz .LBB32_55
; %bb.52:
	v_mov_b32_e32 v1, 0
	v_mov_b32_e32 v3, 0
	v_add_nc_u32_e32 v73, -1, v0
	v_add_nc_u32_e32 v74, 0x210, v77
	v_mov_b32_e32 v2, 0
	v_mov_b32_e32 v4, 0
	v_add_nc_u32_e32 v75, 16, v77
	s_mov_b32 s5, 0
	.p2align	6
.LBB32_53:                              ; =>This Inner Loop Header: Depth=1
	s_clause 0x3
	buffer_load_dword v82, v75, s[0:3], 0 offen offset:8
	buffer_load_dword v83, v75, s[0:3], 0 offen offset:12
	buffer_load_dword v84, v75, s[0:3], 0 offen
	buffer_load_dword v85, v75, s[0:3], 0 offen offset:4
	ds_read_b128 v[78:81], v74
	v_add_nc_u32_e32 v73, 1, v73
	v_add_nc_u32_e32 v74, 16, v74
	;; [unrolled: 1-line block ×3, first 2 shown]
	v_cmp_lt_u32_e32 vcc_lo, 8, v73
	s_or_b32 s5, vcc_lo, s5
	s_waitcnt vmcnt(2) lgkmcnt(0)
	v_mul_f64 v[86:87], v[80:81], v[82:83]
	v_mul_f64 v[82:83], v[78:79], v[82:83]
	s_waitcnt vmcnt(0)
	v_fma_f64 v[78:79], v[78:79], v[84:85], -v[86:87]
	v_fma_f64 v[80:81], v[80:81], v[84:85], v[82:83]
	v_add_f64 v[3:4], v[3:4], v[78:79]
	v_add_f64 v[1:2], v[1:2], v[80:81]
	s_andn2_b32 exec_lo, exec_lo, s5
	s_cbranch_execnz .LBB32_53
; %bb.54:
	s_or_b32 exec_lo, exec_lo, s5
	v_mov_b32_e32 v73, 0
	ds_read_b128 v[73:76], v73 offset:160
	s_waitcnt lgkmcnt(0)
	v_mul_f64 v[78:79], v[1:2], v[75:76]
	v_mul_f64 v[75:76], v[3:4], v[75:76]
	v_fma_f64 v[3:4], v[3:4], v[73:74], -v[78:79]
	v_fma_f64 v[1:2], v[1:2], v[73:74], v[75:76]
	buffer_store_dword v4, off, s[0:3], 0 offset:180
	buffer_store_dword v3, off, s[0:3], 0 offset:176
	buffer_store_dword v2, off, s[0:3], 0 offset:188
	buffer_store_dword v1, off, s[0:3], 0 offset:184
.LBB32_55:
	s_or_b32 exec_lo, exec_lo, s4
	v_mov_b32_e32 v4, s34
	s_waitcnt_vscnt null, 0x0
	s_barrier
	buffer_gl0_inv
	s_mov_b32 s4, exec_lo
	s_clause 0x3
	buffer_load_dword v1, v4, s[0:3], 0 offen
	buffer_load_dword v2, v4, s[0:3], 0 offen offset:4
	buffer_load_dword v3, v4, s[0:3], 0 offen offset:8
	;; [unrolled: 1-line block ×3, first 2 shown]
	s_waitcnt vmcnt(0)
	ds_write_b128 v71, v[1:4]
	s_waitcnt lgkmcnt(0)
	s_barrier
	buffer_gl0_inv
	v_cmpx_gt_u32_e32 11, v0
	s_cbranch_execz .LBB32_59
; %bb.56:
	v_mov_b32_e32 v1, 0
	v_mov_b32_e32 v3, 0
	v_add_nc_u32_e32 v73, -1, v0
	v_add_nc_u32_e32 v74, 0x210, v77
	v_mov_b32_e32 v2, 0
	v_mov_b32_e32 v4, 0
	v_add_nc_u32_e32 v75, 16, v77
	s_mov_b32 s5, 0
	.p2align	6
.LBB32_57:                              ; =>This Inner Loop Header: Depth=1
	s_clause 0x3
	buffer_load_dword v82, v75, s[0:3], 0 offen offset:8
	buffer_load_dword v83, v75, s[0:3], 0 offen offset:12
	buffer_load_dword v84, v75, s[0:3], 0 offen
	buffer_load_dword v85, v75, s[0:3], 0 offen offset:4
	ds_read_b128 v[78:81], v74
	v_add_nc_u32_e32 v73, 1, v73
	v_add_nc_u32_e32 v74, 16, v74
	;; [unrolled: 1-line block ×3, first 2 shown]
	v_cmp_lt_u32_e32 vcc_lo, 9, v73
	s_or_b32 s5, vcc_lo, s5
	s_waitcnt vmcnt(2) lgkmcnt(0)
	v_mul_f64 v[86:87], v[80:81], v[82:83]
	v_mul_f64 v[82:83], v[78:79], v[82:83]
	s_waitcnt vmcnt(0)
	v_fma_f64 v[78:79], v[78:79], v[84:85], -v[86:87]
	v_fma_f64 v[80:81], v[80:81], v[84:85], v[82:83]
	v_add_f64 v[3:4], v[3:4], v[78:79]
	v_add_f64 v[1:2], v[1:2], v[80:81]
	s_andn2_b32 exec_lo, exec_lo, s5
	s_cbranch_execnz .LBB32_57
; %bb.58:
	s_or_b32 exec_lo, exec_lo, s5
	v_mov_b32_e32 v73, 0
	ds_read_b128 v[73:76], v73 offset:176
	s_waitcnt lgkmcnt(0)
	v_mul_f64 v[78:79], v[1:2], v[75:76]
	v_mul_f64 v[75:76], v[3:4], v[75:76]
	v_fma_f64 v[3:4], v[3:4], v[73:74], -v[78:79]
	v_fma_f64 v[1:2], v[1:2], v[73:74], v[75:76]
	buffer_store_dword v4, off, s[0:3], 0 offset:196
	buffer_store_dword v3, off, s[0:3], 0 offset:192
	;; [unrolled: 1-line block ×4, first 2 shown]
.LBB32_59:
	s_or_b32 exec_lo, exec_lo, s4
	v_mov_b32_e32 v4, s33
	s_waitcnt_vscnt null, 0x0
	s_barrier
	buffer_gl0_inv
	s_mov_b32 s4, exec_lo
	s_clause 0x3
	buffer_load_dword v1, v4, s[0:3], 0 offen
	buffer_load_dword v2, v4, s[0:3], 0 offen offset:4
	buffer_load_dword v3, v4, s[0:3], 0 offen offset:8
	;; [unrolled: 1-line block ×3, first 2 shown]
	s_waitcnt vmcnt(0)
	ds_write_b128 v71, v[1:4]
	s_waitcnt lgkmcnt(0)
	s_barrier
	buffer_gl0_inv
	v_cmpx_gt_u32_e32 12, v0
	s_cbranch_execz .LBB32_63
; %bb.60:
	v_mov_b32_e32 v1, 0
	v_mov_b32_e32 v3, 0
	v_add_nc_u32_e32 v73, -1, v0
	v_add_nc_u32_e32 v74, 0x210, v77
	v_mov_b32_e32 v2, 0
	v_mov_b32_e32 v4, 0
	v_add_nc_u32_e32 v75, 16, v77
	s_mov_b32 s5, 0
	.p2align	6
.LBB32_61:                              ; =>This Inner Loop Header: Depth=1
	s_clause 0x3
	buffer_load_dword v82, v75, s[0:3], 0 offen offset:8
	buffer_load_dword v83, v75, s[0:3], 0 offen offset:12
	buffer_load_dword v84, v75, s[0:3], 0 offen
	buffer_load_dword v85, v75, s[0:3], 0 offen offset:4
	ds_read_b128 v[78:81], v74
	v_add_nc_u32_e32 v73, 1, v73
	v_add_nc_u32_e32 v74, 16, v74
	;; [unrolled: 1-line block ×3, first 2 shown]
	v_cmp_lt_u32_e32 vcc_lo, 10, v73
	s_or_b32 s5, vcc_lo, s5
	s_waitcnt vmcnt(2) lgkmcnt(0)
	v_mul_f64 v[86:87], v[80:81], v[82:83]
	v_mul_f64 v[82:83], v[78:79], v[82:83]
	s_waitcnt vmcnt(0)
	v_fma_f64 v[78:79], v[78:79], v[84:85], -v[86:87]
	v_fma_f64 v[80:81], v[80:81], v[84:85], v[82:83]
	v_add_f64 v[3:4], v[3:4], v[78:79]
	v_add_f64 v[1:2], v[1:2], v[80:81]
	s_andn2_b32 exec_lo, exec_lo, s5
	s_cbranch_execnz .LBB32_61
; %bb.62:
	s_or_b32 exec_lo, exec_lo, s5
	v_mov_b32_e32 v73, 0
	ds_read_b128 v[73:76], v73 offset:192
	s_waitcnt lgkmcnt(0)
	v_mul_f64 v[78:79], v[1:2], v[75:76]
	v_mul_f64 v[75:76], v[3:4], v[75:76]
	v_fma_f64 v[3:4], v[3:4], v[73:74], -v[78:79]
	v_fma_f64 v[1:2], v[1:2], v[73:74], v[75:76]
	buffer_store_dword v4, off, s[0:3], 0 offset:212
	buffer_store_dword v3, off, s[0:3], 0 offset:208
	;; [unrolled: 1-line block ×4, first 2 shown]
.LBB32_63:
	s_or_b32 exec_lo, exec_lo, s4
	v_mov_b32_e32 v4, s31
	s_waitcnt_vscnt null, 0x0
	s_barrier
	buffer_gl0_inv
	s_mov_b32 s4, exec_lo
	s_clause 0x3
	buffer_load_dword v1, v4, s[0:3], 0 offen
	buffer_load_dword v2, v4, s[0:3], 0 offen offset:4
	buffer_load_dword v3, v4, s[0:3], 0 offen offset:8
	;; [unrolled: 1-line block ×3, first 2 shown]
	s_waitcnt vmcnt(0)
	ds_write_b128 v71, v[1:4]
	s_waitcnt lgkmcnt(0)
	s_barrier
	buffer_gl0_inv
	v_cmpx_gt_u32_e32 13, v0
	s_cbranch_execz .LBB32_67
; %bb.64:
	v_mov_b32_e32 v1, 0
	v_mov_b32_e32 v3, 0
	v_add_nc_u32_e32 v73, -1, v0
	v_add_nc_u32_e32 v74, 0x210, v77
	v_mov_b32_e32 v2, 0
	v_mov_b32_e32 v4, 0
	v_add_nc_u32_e32 v75, 16, v77
	s_mov_b32 s5, 0
	.p2align	6
.LBB32_65:                              ; =>This Inner Loop Header: Depth=1
	s_clause 0x3
	buffer_load_dword v82, v75, s[0:3], 0 offen offset:8
	buffer_load_dword v83, v75, s[0:3], 0 offen offset:12
	buffer_load_dword v84, v75, s[0:3], 0 offen
	buffer_load_dword v85, v75, s[0:3], 0 offen offset:4
	ds_read_b128 v[78:81], v74
	v_add_nc_u32_e32 v73, 1, v73
	v_add_nc_u32_e32 v74, 16, v74
	v_add_nc_u32_e32 v75, 16, v75
	v_cmp_lt_u32_e32 vcc_lo, 11, v73
	s_or_b32 s5, vcc_lo, s5
	s_waitcnt vmcnt(2) lgkmcnt(0)
	v_mul_f64 v[86:87], v[80:81], v[82:83]
	v_mul_f64 v[82:83], v[78:79], v[82:83]
	s_waitcnt vmcnt(0)
	v_fma_f64 v[78:79], v[78:79], v[84:85], -v[86:87]
	v_fma_f64 v[80:81], v[80:81], v[84:85], v[82:83]
	v_add_f64 v[3:4], v[3:4], v[78:79]
	v_add_f64 v[1:2], v[1:2], v[80:81]
	s_andn2_b32 exec_lo, exec_lo, s5
	s_cbranch_execnz .LBB32_65
; %bb.66:
	s_or_b32 exec_lo, exec_lo, s5
	v_mov_b32_e32 v73, 0
	ds_read_b128 v[73:76], v73 offset:208
	s_waitcnt lgkmcnt(0)
	v_mul_f64 v[78:79], v[1:2], v[75:76]
	v_mul_f64 v[75:76], v[3:4], v[75:76]
	v_fma_f64 v[3:4], v[3:4], v[73:74], -v[78:79]
	v_fma_f64 v[1:2], v[1:2], v[73:74], v[75:76]
	buffer_store_dword v4, off, s[0:3], 0 offset:228
	buffer_store_dword v3, off, s[0:3], 0 offset:224
	;; [unrolled: 1-line block ×4, first 2 shown]
.LBB32_67:
	s_or_b32 exec_lo, exec_lo, s4
	v_mov_b32_e32 v4, s30
	s_waitcnt_vscnt null, 0x0
	s_barrier
	buffer_gl0_inv
	s_mov_b32 s4, exec_lo
	s_clause 0x3
	buffer_load_dword v1, v4, s[0:3], 0 offen
	buffer_load_dword v2, v4, s[0:3], 0 offen offset:4
	buffer_load_dword v3, v4, s[0:3], 0 offen offset:8
	;; [unrolled: 1-line block ×3, first 2 shown]
	s_waitcnt vmcnt(0)
	ds_write_b128 v71, v[1:4]
	s_waitcnt lgkmcnt(0)
	s_barrier
	buffer_gl0_inv
	v_cmpx_gt_u32_e32 14, v0
	s_cbranch_execz .LBB32_71
; %bb.68:
	v_mov_b32_e32 v1, 0
	v_mov_b32_e32 v3, 0
	v_add_nc_u32_e32 v73, -1, v0
	v_add_nc_u32_e32 v74, 0x210, v77
	v_mov_b32_e32 v2, 0
	v_mov_b32_e32 v4, 0
	v_add_nc_u32_e32 v75, 16, v77
	s_mov_b32 s5, 0
	.p2align	6
.LBB32_69:                              ; =>This Inner Loop Header: Depth=1
	s_clause 0x3
	buffer_load_dword v82, v75, s[0:3], 0 offen offset:8
	buffer_load_dword v83, v75, s[0:3], 0 offen offset:12
	buffer_load_dword v84, v75, s[0:3], 0 offen
	buffer_load_dword v85, v75, s[0:3], 0 offen offset:4
	ds_read_b128 v[78:81], v74
	v_add_nc_u32_e32 v73, 1, v73
	v_add_nc_u32_e32 v74, 16, v74
	;; [unrolled: 1-line block ×3, first 2 shown]
	v_cmp_lt_u32_e32 vcc_lo, 12, v73
	s_or_b32 s5, vcc_lo, s5
	s_waitcnt vmcnt(2) lgkmcnt(0)
	v_mul_f64 v[86:87], v[80:81], v[82:83]
	v_mul_f64 v[82:83], v[78:79], v[82:83]
	s_waitcnt vmcnt(0)
	v_fma_f64 v[78:79], v[78:79], v[84:85], -v[86:87]
	v_fma_f64 v[80:81], v[80:81], v[84:85], v[82:83]
	v_add_f64 v[3:4], v[3:4], v[78:79]
	v_add_f64 v[1:2], v[1:2], v[80:81]
	s_andn2_b32 exec_lo, exec_lo, s5
	s_cbranch_execnz .LBB32_69
; %bb.70:
	s_or_b32 exec_lo, exec_lo, s5
	v_mov_b32_e32 v73, 0
	ds_read_b128 v[73:76], v73 offset:224
	s_waitcnt lgkmcnt(0)
	v_mul_f64 v[78:79], v[1:2], v[75:76]
	v_mul_f64 v[75:76], v[3:4], v[75:76]
	v_fma_f64 v[3:4], v[3:4], v[73:74], -v[78:79]
	v_fma_f64 v[1:2], v[1:2], v[73:74], v[75:76]
	buffer_store_dword v4, off, s[0:3], 0 offset:244
	buffer_store_dword v3, off, s[0:3], 0 offset:240
	buffer_store_dword v2, off, s[0:3], 0 offset:252
	buffer_store_dword v1, off, s[0:3], 0 offset:248
.LBB32_71:
	s_or_b32 exec_lo, exec_lo, s4
	v_mov_b32_e32 v4, s29
	s_waitcnt_vscnt null, 0x0
	s_barrier
	buffer_gl0_inv
	s_mov_b32 s4, exec_lo
	s_clause 0x3
	buffer_load_dword v1, v4, s[0:3], 0 offen
	buffer_load_dword v2, v4, s[0:3], 0 offen offset:4
	buffer_load_dword v3, v4, s[0:3], 0 offen offset:8
	;; [unrolled: 1-line block ×3, first 2 shown]
	s_waitcnt vmcnt(0)
	ds_write_b128 v71, v[1:4]
	s_waitcnt lgkmcnt(0)
	s_barrier
	buffer_gl0_inv
	v_cmpx_gt_u32_e32 15, v0
	s_cbranch_execz .LBB32_75
; %bb.72:
	v_mov_b32_e32 v1, 0
	v_mov_b32_e32 v3, 0
	v_add_nc_u32_e32 v73, -1, v0
	v_add_nc_u32_e32 v74, 0x210, v77
	v_mov_b32_e32 v2, 0
	v_mov_b32_e32 v4, 0
	v_add_nc_u32_e32 v75, 16, v77
	s_mov_b32 s5, 0
	.p2align	6
.LBB32_73:                              ; =>This Inner Loop Header: Depth=1
	s_clause 0x3
	buffer_load_dword v82, v75, s[0:3], 0 offen offset:8
	buffer_load_dword v83, v75, s[0:3], 0 offen offset:12
	buffer_load_dword v84, v75, s[0:3], 0 offen
	buffer_load_dword v85, v75, s[0:3], 0 offen offset:4
	ds_read_b128 v[78:81], v74
	v_add_nc_u32_e32 v73, 1, v73
	v_add_nc_u32_e32 v74, 16, v74
	;; [unrolled: 1-line block ×3, first 2 shown]
	v_cmp_lt_u32_e32 vcc_lo, 13, v73
	s_or_b32 s5, vcc_lo, s5
	s_waitcnt vmcnt(2) lgkmcnt(0)
	v_mul_f64 v[86:87], v[80:81], v[82:83]
	v_mul_f64 v[82:83], v[78:79], v[82:83]
	s_waitcnt vmcnt(0)
	v_fma_f64 v[78:79], v[78:79], v[84:85], -v[86:87]
	v_fma_f64 v[80:81], v[80:81], v[84:85], v[82:83]
	v_add_f64 v[3:4], v[3:4], v[78:79]
	v_add_f64 v[1:2], v[1:2], v[80:81]
	s_andn2_b32 exec_lo, exec_lo, s5
	s_cbranch_execnz .LBB32_73
; %bb.74:
	s_or_b32 exec_lo, exec_lo, s5
	v_mov_b32_e32 v73, 0
	ds_read_b128 v[73:76], v73 offset:240
	s_waitcnt lgkmcnt(0)
	v_mul_f64 v[78:79], v[1:2], v[75:76]
	v_mul_f64 v[75:76], v[3:4], v[75:76]
	v_fma_f64 v[3:4], v[3:4], v[73:74], -v[78:79]
	v_fma_f64 v[1:2], v[1:2], v[73:74], v[75:76]
	buffer_store_dword v4, off, s[0:3], 0 offset:260
	buffer_store_dword v3, off, s[0:3], 0 offset:256
	;; [unrolled: 1-line block ×4, first 2 shown]
.LBB32_75:
	s_or_b32 exec_lo, exec_lo, s4
	v_mov_b32_e32 v4, s28
	s_waitcnt_vscnt null, 0x0
	s_barrier
	buffer_gl0_inv
	s_mov_b32 s4, exec_lo
	s_clause 0x3
	buffer_load_dword v1, v4, s[0:3], 0 offen
	buffer_load_dword v2, v4, s[0:3], 0 offen offset:4
	buffer_load_dword v3, v4, s[0:3], 0 offen offset:8
	;; [unrolled: 1-line block ×3, first 2 shown]
	s_waitcnt vmcnt(0)
	ds_write_b128 v71, v[1:4]
	s_waitcnt lgkmcnt(0)
	s_barrier
	buffer_gl0_inv
	v_cmpx_gt_u32_e32 16, v0
	s_cbranch_execz .LBB32_79
; %bb.76:
	v_mov_b32_e32 v1, 0
	v_mov_b32_e32 v3, 0
	v_add_nc_u32_e32 v73, -1, v0
	v_add_nc_u32_e32 v74, 0x210, v77
	v_mov_b32_e32 v2, 0
	v_mov_b32_e32 v4, 0
	v_add_nc_u32_e32 v75, 16, v77
	s_mov_b32 s5, 0
	.p2align	6
.LBB32_77:                              ; =>This Inner Loop Header: Depth=1
	s_clause 0x3
	buffer_load_dword v82, v75, s[0:3], 0 offen offset:8
	buffer_load_dword v83, v75, s[0:3], 0 offen offset:12
	buffer_load_dword v84, v75, s[0:3], 0 offen
	buffer_load_dword v85, v75, s[0:3], 0 offen offset:4
	ds_read_b128 v[78:81], v74
	v_add_nc_u32_e32 v73, 1, v73
	v_add_nc_u32_e32 v74, 16, v74
	;; [unrolled: 1-line block ×3, first 2 shown]
	v_cmp_lt_u32_e32 vcc_lo, 14, v73
	s_or_b32 s5, vcc_lo, s5
	s_waitcnt vmcnt(2) lgkmcnt(0)
	v_mul_f64 v[86:87], v[80:81], v[82:83]
	v_mul_f64 v[82:83], v[78:79], v[82:83]
	s_waitcnt vmcnt(0)
	v_fma_f64 v[78:79], v[78:79], v[84:85], -v[86:87]
	v_fma_f64 v[80:81], v[80:81], v[84:85], v[82:83]
	v_add_f64 v[3:4], v[3:4], v[78:79]
	v_add_f64 v[1:2], v[1:2], v[80:81]
	s_andn2_b32 exec_lo, exec_lo, s5
	s_cbranch_execnz .LBB32_77
; %bb.78:
	s_or_b32 exec_lo, exec_lo, s5
	v_mov_b32_e32 v73, 0
	ds_read_b128 v[73:76], v73 offset:256
	s_waitcnt lgkmcnt(0)
	v_mul_f64 v[78:79], v[1:2], v[75:76]
	v_mul_f64 v[75:76], v[3:4], v[75:76]
	v_fma_f64 v[3:4], v[3:4], v[73:74], -v[78:79]
	v_fma_f64 v[1:2], v[1:2], v[73:74], v[75:76]
	buffer_store_dword v4, off, s[0:3], 0 offset:276
	buffer_store_dword v3, off, s[0:3], 0 offset:272
	;; [unrolled: 1-line block ×4, first 2 shown]
.LBB32_79:
	s_or_b32 exec_lo, exec_lo, s4
	v_mov_b32_e32 v4, s27
	s_waitcnt_vscnt null, 0x0
	s_barrier
	buffer_gl0_inv
	s_mov_b32 s4, exec_lo
	s_clause 0x3
	buffer_load_dword v1, v4, s[0:3], 0 offen
	buffer_load_dword v2, v4, s[0:3], 0 offen offset:4
	buffer_load_dword v3, v4, s[0:3], 0 offen offset:8
	;; [unrolled: 1-line block ×3, first 2 shown]
	s_waitcnt vmcnt(0)
	ds_write_b128 v71, v[1:4]
	s_waitcnt lgkmcnt(0)
	s_barrier
	buffer_gl0_inv
	v_cmpx_gt_u32_e32 17, v0
	s_cbranch_execz .LBB32_83
; %bb.80:
	v_mov_b32_e32 v1, 0
	v_mov_b32_e32 v3, 0
	v_add_nc_u32_e32 v73, -1, v0
	v_add_nc_u32_e32 v74, 0x210, v77
	v_mov_b32_e32 v2, 0
	v_mov_b32_e32 v4, 0
	v_add_nc_u32_e32 v75, 16, v77
	s_mov_b32 s5, 0
	.p2align	6
.LBB32_81:                              ; =>This Inner Loop Header: Depth=1
	s_clause 0x3
	buffer_load_dword v82, v75, s[0:3], 0 offen offset:8
	buffer_load_dword v83, v75, s[0:3], 0 offen offset:12
	buffer_load_dword v84, v75, s[0:3], 0 offen
	buffer_load_dword v85, v75, s[0:3], 0 offen offset:4
	ds_read_b128 v[78:81], v74
	v_add_nc_u32_e32 v73, 1, v73
	v_add_nc_u32_e32 v74, 16, v74
	;; [unrolled: 1-line block ×3, first 2 shown]
	v_cmp_lt_u32_e32 vcc_lo, 15, v73
	s_or_b32 s5, vcc_lo, s5
	s_waitcnt vmcnt(2) lgkmcnt(0)
	v_mul_f64 v[86:87], v[80:81], v[82:83]
	v_mul_f64 v[82:83], v[78:79], v[82:83]
	s_waitcnt vmcnt(0)
	v_fma_f64 v[78:79], v[78:79], v[84:85], -v[86:87]
	v_fma_f64 v[80:81], v[80:81], v[84:85], v[82:83]
	v_add_f64 v[3:4], v[3:4], v[78:79]
	v_add_f64 v[1:2], v[1:2], v[80:81]
	s_andn2_b32 exec_lo, exec_lo, s5
	s_cbranch_execnz .LBB32_81
; %bb.82:
	s_or_b32 exec_lo, exec_lo, s5
	v_mov_b32_e32 v73, 0
	ds_read_b128 v[73:76], v73 offset:272
	s_waitcnt lgkmcnt(0)
	v_mul_f64 v[78:79], v[1:2], v[75:76]
	v_mul_f64 v[75:76], v[3:4], v[75:76]
	v_fma_f64 v[3:4], v[3:4], v[73:74], -v[78:79]
	v_fma_f64 v[1:2], v[1:2], v[73:74], v[75:76]
	buffer_store_dword v4, off, s[0:3], 0 offset:292
	buffer_store_dword v3, off, s[0:3], 0 offset:288
	;; [unrolled: 1-line block ×4, first 2 shown]
.LBB32_83:
	s_or_b32 exec_lo, exec_lo, s4
	v_mov_b32_e32 v4, s26
	s_waitcnt_vscnt null, 0x0
	s_barrier
	buffer_gl0_inv
	s_mov_b32 s4, exec_lo
	s_clause 0x3
	buffer_load_dword v1, v4, s[0:3], 0 offen
	buffer_load_dword v2, v4, s[0:3], 0 offen offset:4
	buffer_load_dword v3, v4, s[0:3], 0 offen offset:8
	;; [unrolled: 1-line block ×3, first 2 shown]
	s_waitcnt vmcnt(0)
	ds_write_b128 v71, v[1:4]
	s_waitcnt lgkmcnt(0)
	s_barrier
	buffer_gl0_inv
	v_cmpx_gt_u32_e32 18, v0
	s_cbranch_execz .LBB32_87
; %bb.84:
	v_mov_b32_e32 v1, 0
	v_mov_b32_e32 v3, 0
	v_add_nc_u32_e32 v73, -1, v0
	v_add_nc_u32_e32 v74, 0x210, v77
	v_mov_b32_e32 v2, 0
	v_mov_b32_e32 v4, 0
	v_add_nc_u32_e32 v75, 16, v77
	s_mov_b32 s5, 0
	.p2align	6
.LBB32_85:                              ; =>This Inner Loop Header: Depth=1
	s_clause 0x3
	buffer_load_dword v82, v75, s[0:3], 0 offen offset:8
	buffer_load_dword v83, v75, s[0:3], 0 offen offset:12
	buffer_load_dword v84, v75, s[0:3], 0 offen
	buffer_load_dword v85, v75, s[0:3], 0 offen offset:4
	ds_read_b128 v[78:81], v74
	v_add_nc_u32_e32 v73, 1, v73
	v_add_nc_u32_e32 v74, 16, v74
	;; [unrolled: 1-line block ×3, first 2 shown]
	v_cmp_lt_u32_e32 vcc_lo, 16, v73
	s_or_b32 s5, vcc_lo, s5
	s_waitcnt vmcnt(2) lgkmcnt(0)
	v_mul_f64 v[86:87], v[80:81], v[82:83]
	v_mul_f64 v[82:83], v[78:79], v[82:83]
	s_waitcnt vmcnt(0)
	v_fma_f64 v[78:79], v[78:79], v[84:85], -v[86:87]
	v_fma_f64 v[80:81], v[80:81], v[84:85], v[82:83]
	v_add_f64 v[3:4], v[3:4], v[78:79]
	v_add_f64 v[1:2], v[1:2], v[80:81]
	s_andn2_b32 exec_lo, exec_lo, s5
	s_cbranch_execnz .LBB32_85
; %bb.86:
	s_or_b32 exec_lo, exec_lo, s5
	v_mov_b32_e32 v73, 0
	ds_read_b128 v[73:76], v73 offset:288
	s_waitcnt lgkmcnt(0)
	v_mul_f64 v[78:79], v[1:2], v[75:76]
	v_mul_f64 v[75:76], v[3:4], v[75:76]
	v_fma_f64 v[3:4], v[3:4], v[73:74], -v[78:79]
	v_fma_f64 v[1:2], v[1:2], v[73:74], v[75:76]
	buffer_store_dword v4, off, s[0:3], 0 offset:308
	buffer_store_dword v3, off, s[0:3], 0 offset:304
	;; [unrolled: 1-line block ×4, first 2 shown]
.LBB32_87:
	s_or_b32 exec_lo, exec_lo, s4
	v_mov_b32_e32 v4, s25
	s_waitcnt_vscnt null, 0x0
	s_barrier
	buffer_gl0_inv
	s_mov_b32 s4, exec_lo
	s_clause 0x3
	buffer_load_dword v1, v4, s[0:3], 0 offen
	buffer_load_dword v2, v4, s[0:3], 0 offen offset:4
	buffer_load_dword v3, v4, s[0:3], 0 offen offset:8
	;; [unrolled: 1-line block ×3, first 2 shown]
	s_waitcnt vmcnt(0)
	ds_write_b128 v71, v[1:4]
	s_waitcnt lgkmcnt(0)
	s_barrier
	buffer_gl0_inv
	v_cmpx_gt_u32_e32 19, v0
	s_cbranch_execz .LBB32_91
; %bb.88:
	v_mov_b32_e32 v1, 0
	v_mov_b32_e32 v3, 0
	v_add_nc_u32_e32 v73, -1, v0
	v_add_nc_u32_e32 v74, 0x210, v77
	v_mov_b32_e32 v2, 0
	v_mov_b32_e32 v4, 0
	v_add_nc_u32_e32 v75, 16, v77
	s_mov_b32 s5, 0
	.p2align	6
.LBB32_89:                              ; =>This Inner Loop Header: Depth=1
	s_clause 0x3
	buffer_load_dword v82, v75, s[0:3], 0 offen offset:8
	buffer_load_dword v83, v75, s[0:3], 0 offen offset:12
	buffer_load_dword v84, v75, s[0:3], 0 offen
	buffer_load_dword v85, v75, s[0:3], 0 offen offset:4
	ds_read_b128 v[78:81], v74
	v_add_nc_u32_e32 v73, 1, v73
	v_add_nc_u32_e32 v74, 16, v74
	;; [unrolled: 1-line block ×3, first 2 shown]
	v_cmp_lt_u32_e32 vcc_lo, 17, v73
	s_or_b32 s5, vcc_lo, s5
	s_waitcnt vmcnt(2) lgkmcnt(0)
	v_mul_f64 v[86:87], v[80:81], v[82:83]
	v_mul_f64 v[82:83], v[78:79], v[82:83]
	s_waitcnt vmcnt(0)
	v_fma_f64 v[78:79], v[78:79], v[84:85], -v[86:87]
	v_fma_f64 v[80:81], v[80:81], v[84:85], v[82:83]
	v_add_f64 v[3:4], v[3:4], v[78:79]
	v_add_f64 v[1:2], v[1:2], v[80:81]
	s_andn2_b32 exec_lo, exec_lo, s5
	s_cbranch_execnz .LBB32_89
; %bb.90:
	s_or_b32 exec_lo, exec_lo, s5
	v_mov_b32_e32 v73, 0
	ds_read_b128 v[73:76], v73 offset:304
	s_waitcnt lgkmcnt(0)
	v_mul_f64 v[78:79], v[1:2], v[75:76]
	v_mul_f64 v[75:76], v[3:4], v[75:76]
	v_fma_f64 v[3:4], v[3:4], v[73:74], -v[78:79]
	v_fma_f64 v[1:2], v[1:2], v[73:74], v[75:76]
	buffer_store_dword v4, off, s[0:3], 0 offset:324
	buffer_store_dword v3, off, s[0:3], 0 offset:320
	;; [unrolled: 1-line block ×4, first 2 shown]
.LBB32_91:
	s_or_b32 exec_lo, exec_lo, s4
	v_mov_b32_e32 v4, s24
	s_waitcnt_vscnt null, 0x0
	s_barrier
	buffer_gl0_inv
	s_mov_b32 s4, exec_lo
	s_clause 0x3
	buffer_load_dword v1, v4, s[0:3], 0 offen
	buffer_load_dword v2, v4, s[0:3], 0 offen offset:4
	buffer_load_dword v3, v4, s[0:3], 0 offen offset:8
	;; [unrolled: 1-line block ×3, first 2 shown]
	s_waitcnt vmcnt(0)
	ds_write_b128 v71, v[1:4]
	s_waitcnt lgkmcnt(0)
	s_barrier
	buffer_gl0_inv
	v_cmpx_gt_u32_e32 20, v0
	s_cbranch_execz .LBB32_95
; %bb.92:
	v_mov_b32_e32 v1, 0
	v_mov_b32_e32 v3, 0
	v_add_nc_u32_e32 v73, -1, v0
	v_add_nc_u32_e32 v74, 0x210, v77
	v_mov_b32_e32 v2, 0
	v_mov_b32_e32 v4, 0
	v_add_nc_u32_e32 v75, 16, v77
	s_mov_b32 s5, 0
	.p2align	6
.LBB32_93:                              ; =>This Inner Loop Header: Depth=1
	s_clause 0x3
	buffer_load_dword v82, v75, s[0:3], 0 offen offset:8
	buffer_load_dword v83, v75, s[0:3], 0 offen offset:12
	buffer_load_dword v84, v75, s[0:3], 0 offen
	buffer_load_dword v85, v75, s[0:3], 0 offen offset:4
	ds_read_b128 v[78:81], v74
	v_add_nc_u32_e32 v73, 1, v73
	v_add_nc_u32_e32 v74, 16, v74
	;; [unrolled: 1-line block ×3, first 2 shown]
	v_cmp_lt_u32_e32 vcc_lo, 18, v73
	s_or_b32 s5, vcc_lo, s5
	s_waitcnt vmcnt(2) lgkmcnt(0)
	v_mul_f64 v[86:87], v[80:81], v[82:83]
	v_mul_f64 v[82:83], v[78:79], v[82:83]
	s_waitcnt vmcnt(0)
	v_fma_f64 v[78:79], v[78:79], v[84:85], -v[86:87]
	v_fma_f64 v[80:81], v[80:81], v[84:85], v[82:83]
	v_add_f64 v[3:4], v[3:4], v[78:79]
	v_add_f64 v[1:2], v[1:2], v[80:81]
	s_andn2_b32 exec_lo, exec_lo, s5
	s_cbranch_execnz .LBB32_93
; %bb.94:
	s_or_b32 exec_lo, exec_lo, s5
	v_mov_b32_e32 v73, 0
	ds_read_b128 v[73:76], v73 offset:320
	s_waitcnt lgkmcnt(0)
	v_mul_f64 v[78:79], v[1:2], v[75:76]
	v_mul_f64 v[75:76], v[3:4], v[75:76]
	v_fma_f64 v[3:4], v[3:4], v[73:74], -v[78:79]
	v_fma_f64 v[1:2], v[1:2], v[73:74], v[75:76]
	buffer_store_dword v4, off, s[0:3], 0 offset:340
	buffer_store_dword v3, off, s[0:3], 0 offset:336
	;; [unrolled: 1-line block ×4, first 2 shown]
.LBB32_95:
	s_or_b32 exec_lo, exec_lo, s4
	v_mov_b32_e32 v4, s23
	s_waitcnt_vscnt null, 0x0
	s_barrier
	buffer_gl0_inv
	s_mov_b32 s4, exec_lo
	s_clause 0x3
	buffer_load_dword v1, v4, s[0:3], 0 offen
	buffer_load_dword v2, v4, s[0:3], 0 offen offset:4
	buffer_load_dword v3, v4, s[0:3], 0 offen offset:8
	;; [unrolled: 1-line block ×3, first 2 shown]
	s_waitcnt vmcnt(0)
	ds_write_b128 v71, v[1:4]
	s_waitcnt lgkmcnt(0)
	s_barrier
	buffer_gl0_inv
	v_cmpx_gt_u32_e32 21, v0
	s_cbranch_execz .LBB32_99
; %bb.96:
	v_mov_b32_e32 v1, 0
	v_mov_b32_e32 v3, 0
	v_add_nc_u32_e32 v73, -1, v0
	v_add_nc_u32_e32 v74, 0x210, v77
	v_mov_b32_e32 v2, 0
	v_mov_b32_e32 v4, 0
	v_add_nc_u32_e32 v75, 16, v77
	s_mov_b32 s5, 0
	.p2align	6
.LBB32_97:                              ; =>This Inner Loop Header: Depth=1
	s_clause 0x3
	buffer_load_dword v82, v75, s[0:3], 0 offen offset:8
	buffer_load_dword v83, v75, s[0:3], 0 offen offset:12
	buffer_load_dword v84, v75, s[0:3], 0 offen
	buffer_load_dword v85, v75, s[0:3], 0 offen offset:4
	ds_read_b128 v[78:81], v74
	v_add_nc_u32_e32 v73, 1, v73
	v_add_nc_u32_e32 v74, 16, v74
	;; [unrolled: 1-line block ×3, first 2 shown]
	v_cmp_lt_u32_e32 vcc_lo, 19, v73
	s_or_b32 s5, vcc_lo, s5
	s_waitcnt vmcnt(2) lgkmcnt(0)
	v_mul_f64 v[86:87], v[80:81], v[82:83]
	v_mul_f64 v[82:83], v[78:79], v[82:83]
	s_waitcnt vmcnt(0)
	v_fma_f64 v[78:79], v[78:79], v[84:85], -v[86:87]
	v_fma_f64 v[80:81], v[80:81], v[84:85], v[82:83]
	v_add_f64 v[3:4], v[3:4], v[78:79]
	v_add_f64 v[1:2], v[1:2], v[80:81]
	s_andn2_b32 exec_lo, exec_lo, s5
	s_cbranch_execnz .LBB32_97
; %bb.98:
	s_or_b32 exec_lo, exec_lo, s5
	v_mov_b32_e32 v73, 0
	ds_read_b128 v[73:76], v73 offset:336
	s_waitcnt lgkmcnt(0)
	v_mul_f64 v[78:79], v[1:2], v[75:76]
	v_mul_f64 v[75:76], v[3:4], v[75:76]
	v_fma_f64 v[3:4], v[3:4], v[73:74], -v[78:79]
	v_fma_f64 v[1:2], v[1:2], v[73:74], v[75:76]
	buffer_store_dword v4, off, s[0:3], 0 offset:356
	buffer_store_dword v3, off, s[0:3], 0 offset:352
	;; [unrolled: 1-line block ×4, first 2 shown]
.LBB32_99:
	s_or_b32 exec_lo, exec_lo, s4
	v_mov_b32_e32 v4, s22
	s_waitcnt_vscnt null, 0x0
	s_barrier
	buffer_gl0_inv
	s_mov_b32 s4, exec_lo
	s_clause 0x3
	buffer_load_dword v1, v4, s[0:3], 0 offen
	buffer_load_dword v2, v4, s[0:3], 0 offen offset:4
	buffer_load_dword v3, v4, s[0:3], 0 offen offset:8
	buffer_load_dword v4, v4, s[0:3], 0 offen offset:12
	s_waitcnt vmcnt(0)
	ds_write_b128 v71, v[1:4]
	s_waitcnt lgkmcnt(0)
	s_barrier
	buffer_gl0_inv
	v_cmpx_gt_u32_e32 22, v0
	s_cbranch_execz .LBB32_103
; %bb.100:
	v_mov_b32_e32 v1, 0
	v_mov_b32_e32 v3, 0
	v_add_nc_u32_e32 v73, -1, v0
	v_add_nc_u32_e32 v74, 0x210, v77
	v_mov_b32_e32 v2, 0
	v_mov_b32_e32 v4, 0
	v_add_nc_u32_e32 v75, 16, v77
	s_mov_b32 s5, 0
	.p2align	6
.LBB32_101:                             ; =>This Inner Loop Header: Depth=1
	s_clause 0x3
	buffer_load_dword v82, v75, s[0:3], 0 offen offset:8
	buffer_load_dword v83, v75, s[0:3], 0 offen offset:12
	buffer_load_dword v84, v75, s[0:3], 0 offen
	buffer_load_dword v85, v75, s[0:3], 0 offen offset:4
	ds_read_b128 v[78:81], v74
	v_add_nc_u32_e32 v73, 1, v73
	v_add_nc_u32_e32 v74, 16, v74
	;; [unrolled: 1-line block ×3, first 2 shown]
	v_cmp_lt_u32_e32 vcc_lo, 20, v73
	s_or_b32 s5, vcc_lo, s5
	s_waitcnt vmcnt(2) lgkmcnt(0)
	v_mul_f64 v[86:87], v[80:81], v[82:83]
	v_mul_f64 v[82:83], v[78:79], v[82:83]
	s_waitcnt vmcnt(0)
	v_fma_f64 v[78:79], v[78:79], v[84:85], -v[86:87]
	v_fma_f64 v[80:81], v[80:81], v[84:85], v[82:83]
	v_add_f64 v[3:4], v[3:4], v[78:79]
	v_add_f64 v[1:2], v[1:2], v[80:81]
	s_andn2_b32 exec_lo, exec_lo, s5
	s_cbranch_execnz .LBB32_101
; %bb.102:
	s_or_b32 exec_lo, exec_lo, s5
	v_mov_b32_e32 v73, 0
	ds_read_b128 v[73:76], v73 offset:352
	s_waitcnt lgkmcnt(0)
	v_mul_f64 v[78:79], v[1:2], v[75:76]
	v_mul_f64 v[75:76], v[3:4], v[75:76]
	v_fma_f64 v[3:4], v[3:4], v[73:74], -v[78:79]
	v_fma_f64 v[1:2], v[1:2], v[73:74], v[75:76]
	buffer_store_dword v4, off, s[0:3], 0 offset:372
	buffer_store_dword v3, off, s[0:3], 0 offset:368
	;; [unrolled: 1-line block ×4, first 2 shown]
.LBB32_103:
	s_or_b32 exec_lo, exec_lo, s4
	v_mov_b32_e32 v4, s19
	s_waitcnt_vscnt null, 0x0
	s_barrier
	buffer_gl0_inv
	s_mov_b32 s4, exec_lo
	s_clause 0x3
	buffer_load_dword v1, v4, s[0:3], 0 offen
	buffer_load_dword v2, v4, s[0:3], 0 offen offset:4
	buffer_load_dword v3, v4, s[0:3], 0 offen offset:8
	;; [unrolled: 1-line block ×3, first 2 shown]
	s_waitcnt vmcnt(0)
	ds_write_b128 v71, v[1:4]
	s_waitcnt lgkmcnt(0)
	s_barrier
	buffer_gl0_inv
	v_cmpx_gt_u32_e32 23, v0
	s_cbranch_execz .LBB32_107
; %bb.104:
	v_mov_b32_e32 v1, 0
	v_mov_b32_e32 v3, 0
	v_add_nc_u32_e32 v73, -1, v0
	v_add_nc_u32_e32 v74, 0x210, v77
	v_mov_b32_e32 v2, 0
	v_mov_b32_e32 v4, 0
	v_add_nc_u32_e32 v75, 16, v77
	s_mov_b32 s5, 0
	.p2align	6
.LBB32_105:                             ; =>This Inner Loop Header: Depth=1
	s_clause 0x3
	buffer_load_dword v82, v75, s[0:3], 0 offen offset:8
	buffer_load_dword v83, v75, s[0:3], 0 offen offset:12
	buffer_load_dword v84, v75, s[0:3], 0 offen
	buffer_load_dword v85, v75, s[0:3], 0 offen offset:4
	ds_read_b128 v[78:81], v74
	v_add_nc_u32_e32 v73, 1, v73
	v_add_nc_u32_e32 v74, 16, v74
	;; [unrolled: 1-line block ×3, first 2 shown]
	v_cmp_lt_u32_e32 vcc_lo, 21, v73
	s_or_b32 s5, vcc_lo, s5
	s_waitcnt vmcnt(2) lgkmcnt(0)
	v_mul_f64 v[86:87], v[80:81], v[82:83]
	v_mul_f64 v[82:83], v[78:79], v[82:83]
	s_waitcnt vmcnt(0)
	v_fma_f64 v[78:79], v[78:79], v[84:85], -v[86:87]
	v_fma_f64 v[80:81], v[80:81], v[84:85], v[82:83]
	v_add_f64 v[3:4], v[3:4], v[78:79]
	v_add_f64 v[1:2], v[1:2], v[80:81]
	s_andn2_b32 exec_lo, exec_lo, s5
	s_cbranch_execnz .LBB32_105
; %bb.106:
	s_or_b32 exec_lo, exec_lo, s5
	v_mov_b32_e32 v73, 0
	ds_read_b128 v[73:76], v73 offset:368
	s_waitcnt lgkmcnt(0)
	v_mul_f64 v[78:79], v[1:2], v[75:76]
	v_mul_f64 v[75:76], v[3:4], v[75:76]
	v_fma_f64 v[3:4], v[3:4], v[73:74], -v[78:79]
	v_fma_f64 v[1:2], v[1:2], v[73:74], v[75:76]
	buffer_store_dword v4, off, s[0:3], 0 offset:388
	buffer_store_dword v3, off, s[0:3], 0 offset:384
	;; [unrolled: 1-line block ×4, first 2 shown]
.LBB32_107:
	s_or_b32 exec_lo, exec_lo, s4
	v_mov_b32_e32 v4, s18
	s_waitcnt_vscnt null, 0x0
	s_barrier
	buffer_gl0_inv
	s_mov_b32 s4, exec_lo
	s_clause 0x3
	buffer_load_dword v1, v4, s[0:3], 0 offen
	buffer_load_dword v2, v4, s[0:3], 0 offen offset:4
	buffer_load_dword v3, v4, s[0:3], 0 offen offset:8
	;; [unrolled: 1-line block ×3, first 2 shown]
	s_waitcnt vmcnt(0)
	ds_write_b128 v71, v[1:4]
	s_waitcnt lgkmcnt(0)
	s_barrier
	buffer_gl0_inv
	v_cmpx_gt_u32_e32 24, v0
	s_cbranch_execz .LBB32_111
; %bb.108:
	v_mov_b32_e32 v1, 0
	v_mov_b32_e32 v3, 0
	v_add_nc_u32_e32 v73, -1, v0
	v_add_nc_u32_e32 v74, 0x210, v77
	v_mov_b32_e32 v2, 0
	v_mov_b32_e32 v4, 0
	v_add_nc_u32_e32 v75, 16, v77
	s_mov_b32 s5, 0
	.p2align	6
.LBB32_109:                             ; =>This Inner Loop Header: Depth=1
	s_clause 0x3
	buffer_load_dword v82, v75, s[0:3], 0 offen offset:8
	buffer_load_dword v83, v75, s[0:3], 0 offen offset:12
	buffer_load_dword v84, v75, s[0:3], 0 offen
	buffer_load_dword v85, v75, s[0:3], 0 offen offset:4
	ds_read_b128 v[78:81], v74
	v_add_nc_u32_e32 v73, 1, v73
	v_add_nc_u32_e32 v74, 16, v74
	;; [unrolled: 1-line block ×3, first 2 shown]
	v_cmp_lt_u32_e32 vcc_lo, 22, v73
	s_or_b32 s5, vcc_lo, s5
	s_waitcnt vmcnt(2) lgkmcnt(0)
	v_mul_f64 v[86:87], v[80:81], v[82:83]
	v_mul_f64 v[82:83], v[78:79], v[82:83]
	s_waitcnt vmcnt(0)
	v_fma_f64 v[78:79], v[78:79], v[84:85], -v[86:87]
	v_fma_f64 v[80:81], v[80:81], v[84:85], v[82:83]
	v_add_f64 v[3:4], v[3:4], v[78:79]
	v_add_f64 v[1:2], v[1:2], v[80:81]
	s_andn2_b32 exec_lo, exec_lo, s5
	s_cbranch_execnz .LBB32_109
; %bb.110:
	s_or_b32 exec_lo, exec_lo, s5
	v_mov_b32_e32 v73, 0
	ds_read_b128 v[73:76], v73 offset:384
	s_waitcnt lgkmcnt(0)
	v_mul_f64 v[78:79], v[1:2], v[75:76]
	v_mul_f64 v[75:76], v[3:4], v[75:76]
	v_fma_f64 v[3:4], v[3:4], v[73:74], -v[78:79]
	v_fma_f64 v[1:2], v[1:2], v[73:74], v[75:76]
	buffer_store_dword v4, off, s[0:3], 0 offset:404
	buffer_store_dword v3, off, s[0:3], 0 offset:400
	;; [unrolled: 1-line block ×4, first 2 shown]
.LBB32_111:
	s_or_b32 exec_lo, exec_lo, s4
	v_mov_b32_e32 v4, s17
	s_waitcnt_vscnt null, 0x0
	s_barrier
	buffer_gl0_inv
	s_mov_b32 s4, exec_lo
	s_clause 0x3
	buffer_load_dword v1, v4, s[0:3], 0 offen
	buffer_load_dword v2, v4, s[0:3], 0 offen offset:4
	buffer_load_dword v3, v4, s[0:3], 0 offen offset:8
	;; [unrolled: 1-line block ×3, first 2 shown]
	s_waitcnt vmcnt(0)
	ds_write_b128 v71, v[1:4]
	s_waitcnt lgkmcnt(0)
	s_barrier
	buffer_gl0_inv
	v_cmpx_gt_u32_e32 25, v0
	s_cbranch_execz .LBB32_115
; %bb.112:
	v_mov_b32_e32 v1, 0
	v_mov_b32_e32 v3, 0
	v_add_nc_u32_e32 v73, -1, v0
	v_add_nc_u32_e32 v74, 0x210, v77
	v_mov_b32_e32 v2, 0
	v_mov_b32_e32 v4, 0
	v_add_nc_u32_e32 v75, 16, v77
	s_mov_b32 s5, 0
	.p2align	6
.LBB32_113:                             ; =>This Inner Loop Header: Depth=1
	s_clause 0x3
	buffer_load_dword v82, v75, s[0:3], 0 offen offset:8
	buffer_load_dword v83, v75, s[0:3], 0 offen offset:12
	buffer_load_dword v84, v75, s[0:3], 0 offen
	buffer_load_dword v85, v75, s[0:3], 0 offen offset:4
	ds_read_b128 v[78:81], v74
	v_add_nc_u32_e32 v73, 1, v73
	v_add_nc_u32_e32 v74, 16, v74
	;; [unrolled: 1-line block ×3, first 2 shown]
	v_cmp_lt_u32_e32 vcc_lo, 23, v73
	s_or_b32 s5, vcc_lo, s5
	s_waitcnt vmcnt(2) lgkmcnt(0)
	v_mul_f64 v[86:87], v[80:81], v[82:83]
	v_mul_f64 v[82:83], v[78:79], v[82:83]
	s_waitcnt vmcnt(0)
	v_fma_f64 v[78:79], v[78:79], v[84:85], -v[86:87]
	v_fma_f64 v[80:81], v[80:81], v[84:85], v[82:83]
	v_add_f64 v[3:4], v[3:4], v[78:79]
	v_add_f64 v[1:2], v[1:2], v[80:81]
	s_andn2_b32 exec_lo, exec_lo, s5
	s_cbranch_execnz .LBB32_113
; %bb.114:
	s_or_b32 exec_lo, exec_lo, s5
	v_mov_b32_e32 v73, 0
	ds_read_b128 v[73:76], v73 offset:400
	s_waitcnt lgkmcnt(0)
	v_mul_f64 v[78:79], v[1:2], v[75:76]
	v_mul_f64 v[75:76], v[3:4], v[75:76]
	v_fma_f64 v[3:4], v[3:4], v[73:74], -v[78:79]
	v_fma_f64 v[1:2], v[1:2], v[73:74], v[75:76]
	buffer_store_dword v4, off, s[0:3], 0 offset:420
	buffer_store_dword v3, off, s[0:3], 0 offset:416
	;; [unrolled: 1-line block ×4, first 2 shown]
.LBB32_115:
	s_or_b32 exec_lo, exec_lo, s4
	v_mov_b32_e32 v4, s16
	s_waitcnt_vscnt null, 0x0
	s_barrier
	buffer_gl0_inv
	s_mov_b32 s4, exec_lo
	s_clause 0x3
	buffer_load_dword v1, v4, s[0:3], 0 offen
	buffer_load_dword v2, v4, s[0:3], 0 offen offset:4
	buffer_load_dword v3, v4, s[0:3], 0 offen offset:8
	;; [unrolled: 1-line block ×3, first 2 shown]
	s_waitcnt vmcnt(0)
	ds_write_b128 v71, v[1:4]
	s_waitcnt lgkmcnt(0)
	s_barrier
	buffer_gl0_inv
	v_cmpx_gt_u32_e32 26, v0
	s_cbranch_execz .LBB32_119
; %bb.116:
	v_mov_b32_e32 v1, 0
	v_mov_b32_e32 v3, 0
	v_add_nc_u32_e32 v73, -1, v0
	v_add_nc_u32_e32 v74, 0x210, v77
	v_mov_b32_e32 v2, 0
	v_mov_b32_e32 v4, 0
	v_add_nc_u32_e32 v75, 16, v77
	s_mov_b32 s5, 0
	.p2align	6
.LBB32_117:                             ; =>This Inner Loop Header: Depth=1
	s_clause 0x3
	buffer_load_dword v82, v75, s[0:3], 0 offen offset:8
	buffer_load_dword v83, v75, s[0:3], 0 offen offset:12
	buffer_load_dword v84, v75, s[0:3], 0 offen
	buffer_load_dword v85, v75, s[0:3], 0 offen offset:4
	ds_read_b128 v[78:81], v74
	v_add_nc_u32_e32 v73, 1, v73
	v_add_nc_u32_e32 v74, 16, v74
	;; [unrolled: 1-line block ×3, first 2 shown]
	v_cmp_lt_u32_e32 vcc_lo, 24, v73
	s_or_b32 s5, vcc_lo, s5
	s_waitcnt vmcnt(2) lgkmcnt(0)
	v_mul_f64 v[86:87], v[80:81], v[82:83]
	v_mul_f64 v[82:83], v[78:79], v[82:83]
	s_waitcnt vmcnt(0)
	v_fma_f64 v[78:79], v[78:79], v[84:85], -v[86:87]
	v_fma_f64 v[80:81], v[80:81], v[84:85], v[82:83]
	v_add_f64 v[3:4], v[3:4], v[78:79]
	v_add_f64 v[1:2], v[1:2], v[80:81]
	s_andn2_b32 exec_lo, exec_lo, s5
	s_cbranch_execnz .LBB32_117
; %bb.118:
	s_or_b32 exec_lo, exec_lo, s5
	v_mov_b32_e32 v73, 0
	ds_read_b128 v[73:76], v73 offset:416
	s_waitcnt lgkmcnt(0)
	v_mul_f64 v[78:79], v[1:2], v[75:76]
	v_mul_f64 v[75:76], v[3:4], v[75:76]
	v_fma_f64 v[3:4], v[3:4], v[73:74], -v[78:79]
	v_fma_f64 v[1:2], v[1:2], v[73:74], v[75:76]
	buffer_store_dword v4, off, s[0:3], 0 offset:436
	buffer_store_dword v3, off, s[0:3], 0 offset:432
	;; [unrolled: 1-line block ×4, first 2 shown]
.LBB32_119:
	s_or_b32 exec_lo, exec_lo, s4
	v_mov_b32_e32 v4, s15
	s_waitcnt_vscnt null, 0x0
	s_barrier
	buffer_gl0_inv
	s_mov_b32 s4, exec_lo
	s_clause 0x3
	buffer_load_dword v1, v4, s[0:3], 0 offen
	buffer_load_dword v2, v4, s[0:3], 0 offen offset:4
	buffer_load_dword v3, v4, s[0:3], 0 offen offset:8
	;; [unrolled: 1-line block ×3, first 2 shown]
	s_waitcnt vmcnt(0)
	ds_write_b128 v71, v[1:4]
	s_waitcnt lgkmcnt(0)
	s_barrier
	buffer_gl0_inv
	v_cmpx_gt_u32_e32 27, v0
	s_cbranch_execz .LBB32_123
; %bb.120:
	v_mov_b32_e32 v1, 0
	v_mov_b32_e32 v3, 0
	v_add_nc_u32_e32 v73, -1, v0
	v_add_nc_u32_e32 v74, 0x210, v77
	v_mov_b32_e32 v2, 0
	v_mov_b32_e32 v4, 0
	v_add_nc_u32_e32 v75, 16, v77
	s_mov_b32 s5, 0
	.p2align	6
.LBB32_121:                             ; =>This Inner Loop Header: Depth=1
	s_clause 0x3
	buffer_load_dword v82, v75, s[0:3], 0 offen offset:8
	buffer_load_dword v83, v75, s[0:3], 0 offen offset:12
	buffer_load_dword v84, v75, s[0:3], 0 offen
	buffer_load_dword v85, v75, s[0:3], 0 offen offset:4
	ds_read_b128 v[78:81], v74
	v_add_nc_u32_e32 v73, 1, v73
	v_add_nc_u32_e32 v74, 16, v74
	;; [unrolled: 1-line block ×3, first 2 shown]
	v_cmp_lt_u32_e32 vcc_lo, 25, v73
	s_or_b32 s5, vcc_lo, s5
	s_waitcnt vmcnt(2) lgkmcnt(0)
	v_mul_f64 v[86:87], v[80:81], v[82:83]
	v_mul_f64 v[82:83], v[78:79], v[82:83]
	s_waitcnt vmcnt(0)
	v_fma_f64 v[78:79], v[78:79], v[84:85], -v[86:87]
	v_fma_f64 v[80:81], v[80:81], v[84:85], v[82:83]
	v_add_f64 v[3:4], v[3:4], v[78:79]
	v_add_f64 v[1:2], v[1:2], v[80:81]
	s_andn2_b32 exec_lo, exec_lo, s5
	s_cbranch_execnz .LBB32_121
; %bb.122:
	s_or_b32 exec_lo, exec_lo, s5
	v_mov_b32_e32 v73, 0
	ds_read_b128 v[73:76], v73 offset:432
	s_waitcnt lgkmcnt(0)
	v_mul_f64 v[78:79], v[1:2], v[75:76]
	v_mul_f64 v[75:76], v[3:4], v[75:76]
	v_fma_f64 v[3:4], v[3:4], v[73:74], -v[78:79]
	v_fma_f64 v[1:2], v[1:2], v[73:74], v[75:76]
	buffer_store_dword v4, off, s[0:3], 0 offset:452
	buffer_store_dword v3, off, s[0:3], 0 offset:448
	;; [unrolled: 1-line block ×4, first 2 shown]
.LBB32_123:
	s_or_b32 exec_lo, exec_lo, s4
	v_mov_b32_e32 v4, s14
	s_waitcnt_vscnt null, 0x0
	s_barrier
	buffer_gl0_inv
	s_mov_b32 s4, exec_lo
	s_clause 0x3
	buffer_load_dword v1, v4, s[0:3], 0 offen
	buffer_load_dword v2, v4, s[0:3], 0 offen offset:4
	buffer_load_dword v3, v4, s[0:3], 0 offen offset:8
	;; [unrolled: 1-line block ×3, first 2 shown]
	s_waitcnt vmcnt(0)
	ds_write_b128 v71, v[1:4]
	s_waitcnt lgkmcnt(0)
	s_barrier
	buffer_gl0_inv
	v_cmpx_gt_u32_e32 28, v0
	s_cbranch_execz .LBB32_127
; %bb.124:
	v_mov_b32_e32 v1, 0
	v_mov_b32_e32 v3, 0
	v_add_nc_u32_e32 v73, -1, v0
	v_add_nc_u32_e32 v74, 0x210, v77
	v_mov_b32_e32 v2, 0
	v_mov_b32_e32 v4, 0
	v_add_nc_u32_e32 v75, 16, v77
	s_mov_b32 s5, 0
	.p2align	6
.LBB32_125:                             ; =>This Inner Loop Header: Depth=1
	s_clause 0x3
	buffer_load_dword v82, v75, s[0:3], 0 offen offset:8
	buffer_load_dword v83, v75, s[0:3], 0 offen offset:12
	buffer_load_dword v84, v75, s[0:3], 0 offen
	buffer_load_dword v85, v75, s[0:3], 0 offen offset:4
	ds_read_b128 v[78:81], v74
	v_add_nc_u32_e32 v73, 1, v73
	v_add_nc_u32_e32 v74, 16, v74
	;; [unrolled: 1-line block ×3, first 2 shown]
	v_cmp_lt_u32_e32 vcc_lo, 26, v73
	s_or_b32 s5, vcc_lo, s5
	s_waitcnt vmcnt(2) lgkmcnt(0)
	v_mul_f64 v[86:87], v[80:81], v[82:83]
	v_mul_f64 v[82:83], v[78:79], v[82:83]
	s_waitcnt vmcnt(0)
	v_fma_f64 v[78:79], v[78:79], v[84:85], -v[86:87]
	v_fma_f64 v[80:81], v[80:81], v[84:85], v[82:83]
	v_add_f64 v[3:4], v[3:4], v[78:79]
	v_add_f64 v[1:2], v[1:2], v[80:81]
	s_andn2_b32 exec_lo, exec_lo, s5
	s_cbranch_execnz .LBB32_125
; %bb.126:
	s_or_b32 exec_lo, exec_lo, s5
	v_mov_b32_e32 v73, 0
	ds_read_b128 v[73:76], v73 offset:448
	s_waitcnt lgkmcnt(0)
	v_mul_f64 v[78:79], v[1:2], v[75:76]
	v_mul_f64 v[75:76], v[3:4], v[75:76]
	v_fma_f64 v[3:4], v[3:4], v[73:74], -v[78:79]
	v_fma_f64 v[1:2], v[1:2], v[73:74], v[75:76]
	buffer_store_dword v4, off, s[0:3], 0 offset:468
	buffer_store_dword v3, off, s[0:3], 0 offset:464
	;; [unrolled: 1-line block ×4, first 2 shown]
.LBB32_127:
	s_or_b32 exec_lo, exec_lo, s4
	v_mov_b32_e32 v4, s13
	s_waitcnt_vscnt null, 0x0
	s_barrier
	buffer_gl0_inv
	s_mov_b32 s4, exec_lo
	s_clause 0x3
	buffer_load_dword v1, v4, s[0:3], 0 offen
	buffer_load_dword v2, v4, s[0:3], 0 offen offset:4
	buffer_load_dword v3, v4, s[0:3], 0 offen offset:8
	;; [unrolled: 1-line block ×3, first 2 shown]
	s_waitcnt vmcnt(0)
	ds_write_b128 v71, v[1:4]
	s_waitcnt lgkmcnt(0)
	s_barrier
	buffer_gl0_inv
	v_cmpx_gt_u32_e32 29, v0
	s_cbranch_execz .LBB32_131
; %bb.128:
	v_mov_b32_e32 v1, 0
	v_mov_b32_e32 v3, 0
	v_add_nc_u32_e32 v73, -1, v0
	v_add_nc_u32_e32 v74, 0x210, v77
	v_mov_b32_e32 v2, 0
	v_mov_b32_e32 v4, 0
	v_add_nc_u32_e32 v75, 16, v77
	s_mov_b32 s5, 0
	.p2align	6
.LBB32_129:                             ; =>This Inner Loop Header: Depth=1
	s_clause 0x3
	buffer_load_dword v82, v75, s[0:3], 0 offen offset:8
	buffer_load_dword v83, v75, s[0:3], 0 offen offset:12
	buffer_load_dword v84, v75, s[0:3], 0 offen
	buffer_load_dword v85, v75, s[0:3], 0 offen offset:4
	ds_read_b128 v[78:81], v74
	v_add_nc_u32_e32 v73, 1, v73
	v_add_nc_u32_e32 v74, 16, v74
	;; [unrolled: 1-line block ×3, first 2 shown]
	v_cmp_lt_u32_e32 vcc_lo, 27, v73
	s_or_b32 s5, vcc_lo, s5
	s_waitcnt vmcnt(2) lgkmcnt(0)
	v_mul_f64 v[86:87], v[80:81], v[82:83]
	v_mul_f64 v[82:83], v[78:79], v[82:83]
	s_waitcnt vmcnt(0)
	v_fma_f64 v[78:79], v[78:79], v[84:85], -v[86:87]
	v_fma_f64 v[80:81], v[80:81], v[84:85], v[82:83]
	v_add_f64 v[3:4], v[3:4], v[78:79]
	v_add_f64 v[1:2], v[1:2], v[80:81]
	s_andn2_b32 exec_lo, exec_lo, s5
	s_cbranch_execnz .LBB32_129
; %bb.130:
	s_or_b32 exec_lo, exec_lo, s5
	v_mov_b32_e32 v73, 0
	ds_read_b128 v[73:76], v73 offset:464
	s_waitcnt lgkmcnt(0)
	v_mul_f64 v[78:79], v[1:2], v[75:76]
	v_mul_f64 v[75:76], v[3:4], v[75:76]
	v_fma_f64 v[3:4], v[3:4], v[73:74], -v[78:79]
	v_fma_f64 v[1:2], v[1:2], v[73:74], v[75:76]
	buffer_store_dword v4, off, s[0:3], 0 offset:484
	buffer_store_dword v3, off, s[0:3], 0 offset:480
	;; [unrolled: 1-line block ×4, first 2 shown]
.LBB32_131:
	s_or_b32 exec_lo, exec_lo, s4
	v_mov_b32_e32 v4, s12
	s_waitcnt_vscnt null, 0x0
	s_barrier
	buffer_gl0_inv
	s_mov_b32 s4, exec_lo
	s_clause 0x3
	buffer_load_dword v1, v4, s[0:3], 0 offen
	buffer_load_dword v2, v4, s[0:3], 0 offen offset:4
	buffer_load_dword v3, v4, s[0:3], 0 offen offset:8
	;; [unrolled: 1-line block ×3, first 2 shown]
	s_waitcnt vmcnt(0)
	ds_write_b128 v71, v[1:4]
	s_waitcnt lgkmcnt(0)
	s_barrier
	buffer_gl0_inv
	v_cmpx_gt_u32_e32 30, v0
	s_cbranch_execz .LBB32_135
; %bb.132:
	v_mov_b32_e32 v1, 0
	v_mov_b32_e32 v3, 0
	v_add_nc_u32_e32 v73, -1, v0
	v_add_nc_u32_e32 v74, 0x210, v77
	v_mov_b32_e32 v2, 0
	v_mov_b32_e32 v4, 0
	v_add_nc_u32_e32 v75, 16, v77
	s_mov_b32 s5, 0
	.p2align	6
.LBB32_133:                             ; =>This Inner Loop Header: Depth=1
	s_clause 0x3
	buffer_load_dword v82, v75, s[0:3], 0 offen offset:8
	buffer_load_dword v83, v75, s[0:3], 0 offen offset:12
	buffer_load_dword v84, v75, s[0:3], 0 offen
	buffer_load_dword v85, v75, s[0:3], 0 offen offset:4
	ds_read_b128 v[78:81], v74
	v_add_nc_u32_e32 v73, 1, v73
	v_add_nc_u32_e32 v74, 16, v74
	;; [unrolled: 1-line block ×3, first 2 shown]
	v_cmp_lt_u32_e32 vcc_lo, 28, v73
	s_or_b32 s5, vcc_lo, s5
	s_waitcnt vmcnt(2) lgkmcnt(0)
	v_mul_f64 v[86:87], v[80:81], v[82:83]
	v_mul_f64 v[82:83], v[78:79], v[82:83]
	s_waitcnt vmcnt(0)
	v_fma_f64 v[78:79], v[78:79], v[84:85], -v[86:87]
	v_fma_f64 v[80:81], v[80:81], v[84:85], v[82:83]
	v_add_f64 v[3:4], v[3:4], v[78:79]
	v_add_f64 v[1:2], v[1:2], v[80:81]
	s_andn2_b32 exec_lo, exec_lo, s5
	s_cbranch_execnz .LBB32_133
; %bb.134:
	s_or_b32 exec_lo, exec_lo, s5
	v_mov_b32_e32 v73, 0
	ds_read_b128 v[73:76], v73 offset:480
	s_waitcnt lgkmcnt(0)
	v_mul_f64 v[78:79], v[1:2], v[75:76]
	v_mul_f64 v[75:76], v[3:4], v[75:76]
	v_fma_f64 v[3:4], v[3:4], v[73:74], -v[78:79]
	v_fma_f64 v[1:2], v[1:2], v[73:74], v[75:76]
	buffer_store_dword v4, off, s[0:3], 0 offset:500
	buffer_store_dword v3, off, s[0:3], 0 offset:496
	;; [unrolled: 1-line block ×4, first 2 shown]
.LBB32_135:
	s_or_b32 exec_lo, exec_lo, s4
	v_mov_b32_e32 v4, s9
	s_waitcnt_vscnt null, 0x0
	s_barrier
	buffer_gl0_inv
	s_mov_b32 s4, exec_lo
	s_clause 0x3
	buffer_load_dword v1, v4, s[0:3], 0 offen
	buffer_load_dword v2, v4, s[0:3], 0 offen offset:4
	buffer_load_dword v3, v4, s[0:3], 0 offen offset:8
	;; [unrolled: 1-line block ×3, first 2 shown]
	s_waitcnt vmcnt(0)
	ds_write_b128 v71, v[1:4]
	s_waitcnt lgkmcnt(0)
	s_barrier
	buffer_gl0_inv
	v_cmpx_gt_u32_e32 31, v0
	s_cbranch_execz .LBB32_139
; %bb.136:
	v_mov_b32_e32 v1, 0
	v_mov_b32_e32 v3, 0
	v_add_nc_u32_e32 v73, -1, v0
	v_add_nc_u32_e32 v74, 0x210, v77
	v_mov_b32_e32 v2, 0
	v_mov_b32_e32 v4, 0
	v_add_nc_u32_e32 v75, 16, v77
	s_mov_b32 s5, 0
	.p2align	6
.LBB32_137:                             ; =>This Inner Loop Header: Depth=1
	s_clause 0x3
	buffer_load_dword v82, v75, s[0:3], 0 offen offset:8
	buffer_load_dword v83, v75, s[0:3], 0 offen offset:12
	buffer_load_dword v84, v75, s[0:3], 0 offen
	buffer_load_dword v85, v75, s[0:3], 0 offen offset:4
	ds_read_b128 v[78:81], v74
	v_add_nc_u32_e32 v73, 1, v73
	v_add_nc_u32_e32 v74, 16, v74
	;; [unrolled: 1-line block ×3, first 2 shown]
	v_cmp_lt_u32_e32 vcc_lo, 29, v73
	s_or_b32 s5, vcc_lo, s5
	s_waitcnt vmcnt(2) lgkmcnt(0)
	v_mul_f64 v[86:87], v[80:81], v[82:83]
	v_mul_f64 v[82:83], v[78:79], v[82:83]
	s_waitcnt vmcnt(0)
	v_fma_f64 v[78:79], v[78:79], v[84:85], -v[86:87]
	v_fma_f64 v[80:81], v[80:81], v[84:85], v[82:83]
	v_add_f64 v[3:4], v[3:4], v[78:79]
	v_add_f64 v[1:2], v[1:2], v[80:81]
	s_andn2_b32 exec_lo, exec_lo, s5
	s_cbranch_execnz .LBB32_137
; %bb.138:
	s_or_b32 exec_lo, exec_lo, s5
	v_mov_b32_e32 v73, 0
	ds_read_b128 v[73:76], v73 offset:496
	s_waitcnt lgkmcnt(0)
	v_mul_f64 v[78:79], v[1:2], v[75:76]
	v_mul_f64 v[75:76], v[3:4], v[75:76]
	v_fma_f64 v[3:4], v[3:4], v[73:74], -v[78:79]
	v_fma_f64 v[1:2], v[1:2], v[73:74], v[75:76]
	buffer_store_dword v4, off, s[0:3], 0 offset:516
	buffer_store_dword v3, off, s[0:3], 0 offset:512
	;; [unrolled: 1-line block ×4, first 2 shown]
.LBB32_139:
	s_or_b32 exec_lo, exec_lo, s4
	v_mov_b32_e32 v4, s8
	s_waitcnt_vscnt null, 0x0
	s_barrier
	buffer_gl0_inv
	s_mov_b32 s4, exec_lo
	s_clause 0x3
	buffer_load_dword v1, v4, s[0:3], 0 offen
	buffer_load_dword v2, v4, s[0:3], 0 offen offset:4
	buffer_load_dword v3, v4, s[0:3], 0 offen offset:8
	;; [unrolled: 1-line block ×3, first 2 shown]
	s_waitcnt vmcnt(0)
	ds_write_b128 v71, v[1:4]
	s_waitcnt lgkmcnt(0)
	s_barrier
	buffer_gl0_inv
	v_cmpx_ne_u32_e32 32, v0
	s_cbranch_execz .LBB32_143
; %bb.140:
	v_mov_b32_e32 v1, 0
	v_mov_b32_e32 v3, 0
	;; [unrolled: 1-line block ×4, first 2 shown]
	v_add_nc_u32_e32 v73, 16, v77
	s_mov_b32 s5, 0
	.p2align	6
.LBB32_141:                             ; =>This Inner Loop Header: Depth=1
	s_clause 0x3
	buffer_load_dword v78, v73, s[0:3], 0 offen offset:8
	buffer_load_dword v79, v73, s[0:3], 0 offen offset:12
	buffer_load_dword v80, v73, s[0:3], 0 offen
	buffer_load_dword v81, v73, s[0:3], 0 offen offset:4
	ds_read_b128 v[74:77], v71
	v_add_nc_u32_e32 v72, 1, v72
	v_add_nc_u32_e32 v71, 16, v71
	;; [unrolled: 1-line block ×3, first 2 shown]
	v_cmp_lt_u32_e32 vcc_lo, 30, v72
	s_or_b32 s5, vcc_lo, s5
	s_waitcnt vmcnt(2) lgkmcnt(0)
	v_mul_f64 v[82:83], v[76:77], v[78:79]
	v_mul_f64 v[78:79], v[74:75], v[78:79]
	s_waitcnt vmcnt(0)
	v_fma_f64 v[74:75], v[74:75], v[80:81], -v[82:83]
	v_fma_f64 v[76:77], v[76:77], v[80:81], v[78:79]
	v_add_f64 v[3:4], v[3:4], v[74:75]
	v_add_f64 v[1:2], v[1:2], v[76:77]
	s_andn2_b32 exec_lo, exec_lo, s5
	s_cbranch_execnz .LBB32_141
; %bb.142:
	s_or_b32 exec_lo, exec_lo, s5
	v_mov_b32_e32 v71, 0
	ds_read_b128 v[71:74], v71 offset:512
	s_waitcnt lgkmcnt(0)
	v_mul_f64 v[75:76], v[1:2], v[73:74]
	v_mul_f64 v[73:74], v[3:4], v[73:74]
	v_fma_f64 v[3:4], v[3:4], v[71:72], -v[75:76]
	v_fma_f64 v[1:2], v[1:2], v[71:72], v[73:74]
	buffer_store_dword v4, off, s[0:3], 0 offset:532
	buffer_store_dword v3, off, s[0:3], 0 offset:528
	;; [unrolled: 1-line block ×4, first 2 shown]
.LBB32_143:
	s_or_b32 exec_lo, exec_lo, s4
	s_mov_b32 s5, -1
	s_waitcnt_vscnt null, 0x0
	s_barrier
	buffer_gl0_inv
.LBB32_144:
	s_and_b32 vcc_lo, exec_lo, s5
	s_cbranch_vccz .LBB32_146
; %bb.145:
	s_lshl_b64 s[4:5], s[6:7], 2
	v_mov_b32_e32 v1, 0
	s_add_u32 s4, s10, s4
	s_addc_u32 s5, s11, s5
	global_load_dword v1, v1, s[4:5]
	s_waitcnt vmcnt(0)
	v_cmp_ne_u32_e32 vcc_lo, 0, v1
	s_cbranch_vccz .LBB32_147
.LBB32_146:
	s_endpgm
.LBB32_147:
	v_lshl_add_u32 v83, v0, 4, 0x210
	s_mov_b32 s4, exec_lo
	v_cmpx_eq_u32_e32 32, v0
	s_cbranch_execz .LBB32_149
; %bb.148:
	v_mov_b32_e32 v4, s9
	v_mov_b32_e32 v71, 0
	s_clause 0x3
	buffer_load_dword v1, v4, s[0:3], 0 offen
	buffer_load_dword v2, v4, s[0:3], 0 offen offset:4
	buffer_load_dword v3, v4, s[0:3], 0 offen offset:8
	;; [unrolled: 1-line block ×3, first 2 shown]
	buffer_store_dword v71, off, s[0:3], 0 offset:512
	buffer_store_dword v71, off, s[0:3], 0 offset:516
	;; [unrolled: 1-line block ×4, first 2 shown]
	s_waitcnt vmcnt(0)
	ds_write_b128 v83, v[1:4]
.LBB32_149:
	s_or_b32 exec_lo, exec_lo, s4
	s_waitcnt lgkmcnt(0)
	s_waitcnt_vscnt null, 0x0
	s_barrier
	buffer_gl0_inv
	s_clause 0x7
	buffer_load_dword v2, off, s[0:3], 0 offset:536
	buffer_load_dword v3, off, s[0:3], 0 offset:540
	buffer_load_dword v75, off, s[0:3], 0 offset:528
	buffer_load_dword v76, off, s[0:3], 0 offset:532
	buffer_load_dword v77, off, s[0:3], 0 offset:512
	buffer_load_dword v78, off, s[0:3], 0 offset:516
	buffer_load_dword v79, off, s[0:3], 0 offset:520
	buffer_load_dword v80, off, s[0:3], 0 offset:524
	v_mov_b32_e32 v1, 0
	s_mov_b32 s4, exec_lo
	ds_read_b128 v[71:74], v1 offset:1040
	s_waitcnt vmcnt(6) lgkmcnt(0)
	v_mul_f64 v[81:82], v[73:74], v[2:3]
	v_mul_f64 v[2:3], v[71:72], v[2:3]
	s_waitcnt vmcnt(4)
	v_fma_f64 v[71:72], v[71:72], v[75:76], -v[81:82]
	v_fma_f64 v[2:3], v[73:74], v[75:76], v[2:3]
	v_add_f64 v[71:72], v[71:72], 0
	v_add_f64 v[2:3], v[2:3], 0
	s_waitcnt vmcnt(2)
	v_add_f64 v[71:72], v[77:78], -v[71:72]
	s_waitcnt vmcnt(0)
	v_add_f64 v[2:3], v[79:80], -v[2:3]
	buffer_store_dword v71, off, s[0:3], 0 offset:512
	buffer_store_dword v72, off, s[0:3], 0 offset:516
	;; [unrolled: 1-line block ×4, first 2 shown]
	v_cmpx_lt_u32_e32 30, v0
	s_cbranch_execz .LBB32_151
; %bb.150:
	v_mov_b32_e32 v2, s12
	s_clause 0x3
	buffer_load_dword v71, v2, s[0:3], 0 offen
	buffer_load_dword v72, v2, s[0:3], 0 offen offset:4
	buffer_load_dword v73, v2, s[0:3], 0 offen offset:8
	buffer_load_dword v74, v2, s[0:3], 0 offen offset:12
	buffer_store_dword v1, off, s[0:3], 0 offset:496
	buffer_store_dword v1, off, s[0:3], 0 offset:500
	;; [unrolled: 1-line block ×4, first 2 shown]
	s_waitcnt vmcnt(0)
	ds_write_b128 v83, v[71:74]
.LBB32_151:
	s_or_b32 exec_lo, exec_lo, s4
	s_waitcnt lgkmcnt(0)
	s_waitcnt_vscnt null, 0x0
	s_barrier
	buffer_gl0_inv
	s_clause 0xb
	buffer_load_dword v75, off, s[0:3], 0 offset:520
	buffer_load_dword v76, off, s[0:3], 0 offset:524
	;; [unrolled: 1-line block ×12, first 2 shown]
	ds_read_b128 v[71:74], v1 offset:1024
	ds_read_b128 v[1:4], v1 offset:1040
	s_mov_b32 s4, exec_lo
	s_waitcnt vmcnt(10) lgkmcnt(1)
	v_mul_f64 v[88:89], v[73:74], v[75:76]
	v_mul_f64 v[75:76], v[71:72], v[75:76]
	s_waitcnt vmcnt(8) lgkmcnt(0)
	v_mul_f64 v[90:91], v[3:4], v[77:78]
	v_mul_f64 v[77:78], v[1:2], v[77:78]
	s_waitcnt vmcnt(6)
	v_fma_f64 v[71:72], v[71:72], v[79:80], -v[88:89]
	v_fma_f64 v[73:74], v[73:74], v[79:80], v[75:76]
	s_waitcnt vmcnt(4)
	v_fma_f64 v[1:2], v[1:2], v[81:82], -v[90:91]
	v_fma_f64 v[3:4], v[3:4], v[81:82], v[77:78]
	v_add_f64 v[71:72], v[71:72], 0
	v_add_f64 v[73:74], v[73:74], 0
	;; [unrolled: 1-line block ×4, first 2 shown]
	s_waitcnt vmcnt(2)
	v_add_f64 v[1:2], v[84:85], -v[1:2]
	s_waitcnt vmcnt(0)
	v_add_f64 v[3:4], v[86:87], -v[3:4]
	buffer_store_dword v1, off, s[0:3], 0 offset:496
	buffer_store_dword v2, off, s[0:3], 0 offset:500
	;; [unrolled: 1-line block ×4, first 2 shown]
	v_cmpx_lt_u32_e32 29, v0
	s_cbranch_execz .LBB32_153
; %bb.152:
	v_mov_b32_e32 v4, s13
	v_mov_b32_e32 v71, 0
	s_clause 0x3
	buffer_load_dword v1, v4, s[0:3], 0 offen
	buffer_load_dword v2, v4, s[0:3], 0 offen offset:4
	buffer_load_dword v3, v4, s[0:3], 0 offen offset:8
	;; [unrolled: 1-line block ×3, first 2 shown]
	buffer_store_dword v71, off, s[0:3], 0 offset:480
	buffer_store_dword v71, off, s[0:3], 0 offset:484
	;; [unrolled: 1-line block ×4, first 2 shown]
	s_waitcnt vmcnt(0)
	ds_write_b128 v83, v[1:4]
.LBB32_153:
	s_or_b32 exec_lo, exec_lo, s4
	s_waitcnt lgkmcnt(0)
	s_waitcnt_vscnt null, 0x0
	s_barrier
	buffer_gl0_inv
	s_clause 0xf
	buffer_load_dword v2, off, s[0:3], 0 offset:504
	buffer_load_dword v3, off, s[0:3], 0 offset:508
	;; [unrolled: 1-line block ×16, first 2 shown]
	v_mov_b32_e32 v1, 0
	ds_read_b128 v[71:74], v1 offset:1008
	ds_read_b128 v[75:78], v1 offset:1024
	;; [unrolled: 1-line block ×3, first 2 shown]
	s_mov_b32 s4, exec_lo
	s_waitcnt vmcnt(14) lgkmcnt(2)
	v_mul_f64 v[98:99], v[73:74], v[2:3]
	v_mul_f64 v[2:3], v[71:72], v[2:3]
	s_waitcnt vmcnt(12) lgkmcnt(1)
	v_mul_f64 v[100:101], v[77:78], v[84:85]
	v_mul_f64 v[84:85], v[75:76], v[84:85]
	s_waitcnt vmcnt(10)
	v_fma_f64 v[71:72], v[71:72], v[86:87], -v[98:99]
	v_fma_f64 v[2:3], v[73:74], v[86:87], v[2:3]
	s_waitcnt vmcnt(8) lgkmcnt(0)
	v_mul_f64 v[86:87], v[81:82], v[88:89]
	s_waitcnt vmcnt(6)
	v_fma_f64 v[75:76], v[75:76], v[90:91], -v[100:101]
	v_mul_f64 v[73:74], v[79:80], v[88:89]
	v_fma_f64 v[77:78], v[77:78], v[90:91], v[84:85]
	v_add_f64 v[71:72], v[71:72], 0
	v_add_f64 v[2:3], v[2:3], 0
	s_waitcnt vmcnt(4)
	v_fma_f64 v[79:80], v[79:80], v[92:93], -v[86:87]
	v_fma_f64 v[73:74], v[81:82], v[92:93], v[73:74]
	v_add_f64 v[71:72], v[71:72], v[75:76]
	v_add_f64 v[2:3], v[2:3], v[77:78]
	;; [unrolled: 1-line block ×4, first 2 shown]
	s_waitcnt vmcnt(2)
	v_add_f64 v[71:72], v[94:95], -v[71:72]
	s_waitcnt vmcnt(0)
	v_add_f64 v[2:3], v[96:97], -v[2:3]
	buffer_store_dword v71, off, s[0:3], 0 offset:480
	buffer_store_dword v72, off, s[0:3], 0 offset:484
	;; [unrolled: 1-line block ×4, first 2 shown]
	v_cmpx_lt_u32_e32 28, v0
	s_cbranch_execz .LBB32_155
; %bb.154:
	v_mov_b32_e32 v2, s14
	s_clause 0x3
	buffer_load_dword v71, v2, s[0:3], 0 offen
	buffer_load_dword v72, v2, s[0:3], 0 offen offset:4
	buffer_load_dword v73, v2, s[0:3], 0 offen offset:8
	;; [unrolled: 1-line block ×3, first 2 shown]
	buffer_store_dword v1, off, s[0:3], 0 offset:464
	buffer_store_dword v1, off, s[0:3], 0 offset:468
	;; [unrolled: 1-line block ×4, first 2 shown]
	s_waitcnt vmcnt(0)
	ds_write_b128 v83, v[71:74]
.LBB32_155:
	s_or_b32 exec_lo, exec_lo, s4
	s_waitcnt lgkmcnt(0)
	s_waitcnt_vscnt null, 0x0
	s_barrier
	buffer_gl0_inv
	s_clause 0x13
	buffer_load_dword v2, off, s[0:3], 0 offset:488
	buffer_load_dword v3, off, s[0:3], 0 offset:492
	;; [unrolled: 1-line block ×20, first 2 shown]
	ds_read_b128 v[71:74], v1 offset:992
	ds_read_b128 v[75:78], v1 offset:1008
	ds_read_b128 v[79:82], v1 offset:1024
	s_mov_b32 s4, exec_lo
	s_waitcnt vmcnt(18) lgkmcnt(2)
	v_mul_f64 v[102:103], v[73:74], v[2:3]
	v_mul_f64 v[2:3], v[71:72], v[2:3]
	s_waitcnt vmcnt(16) lgkmcnt(1)
	v_mul_f64 v[104:105], v[77:78], v[84:85]
	v_mul_f64 v[84:85], v[75:76], v[84:85]
	s_waitcnt vmcnt(14)
	v_fma_f64 v[71:72], v[71:72], v[86:87], -v[102:103]
	v_fma_f64 v[73:74], v[73:74], v[86:87], v[2:3]
	s_waitcnt vmcnt(12) lgkmcnt(0)
	v_mul_f64 v[86:87], v[79:80], v[88:89]
	v_mul_f64 v[88:89], v[81:82], v[88:89]
	s_waitcnt vmcnt(10)
	v_fma_f64 v[75:76], v[75:76], v[90:91], -v[104:105]
	ds_read_b128 v[1:4], v1 offset:1040
	v_fma_f64 v[77:78], v[77:78], v[90:91], v[84:85]
	v_add_f64 v[71:72], v[71:72], 0
	v_add_f64 v[73:74], v[73:74], 0
	s_waitcnt vmcnt(8) lgkmcnt(0)
	v_mul_f64 v[90:91], v[3:4], v[92:93]
	s_waitcnt vmcnt(6)
	v_fma_f64 v[79:80], v[79:80], v[94:95], -v[88:89]
	v_mul_f64 v[84:85], v[1:2], v[92:93]
	v_add_f64 v[71:72], v[71:72], v[75:76]
	v_fma_f64 v[75:76], v[81:82], v[94:95], v[86:87]
	v_add_f64 v[73:74], v[73:74], v[77:78]
	s_waitcnt vmcnt(4)
	v_fma_f64 v[1:2], v[1:2], v[96:97], -v[90:91]
	v_fma_f64 v[3:4], v[3:4], v[96:97], v[84:85]
	v_add_f64 v[71:72], v[71:72], v[79:80]
	v_add_f64 v[73:74], v[73:74], v[75:76]
	;; [unrolled: 1-line block ×4, first 2 shown]
	s_waitcnt vmcnt(2)
	v_add_f64 v[1:2], v[98:99], -v[1:2]
	s_waitcnt vmcnt(0)
	v_add_f64 v[3:4], v[100:101], -v[3:4]
	buffer_store_dword v1, off, s[0:3], 0 offset:464
	buffer_store_dword v2, off, s[0:3], 0 offset:468
	buffer_store_dword v3, off, s[0:3], 0 offset:472
	buffer_store_dword v4, off, s[0:3], 0 offset:476
	v_cmpx_lt_u32_e32 27, v0
	s_cbranch_execz .LBB32_157
; %bb.156:
	v_mov_b32_e32 v4, s15
	v_mov_b32_e32 v71, 0
	s_clause 0x3
	buffer_load_dword v1, v4, s[0:3], 0 offen
	buffer_load_dword v2, v4, s[0:3], 0 offen offset:4
	buffer_load_dword v3, v4, s[0:3], 0 offen offset:8
	;; [unrolled: 1-line block ×3, first 2 shown]
	buffer_store_dword v71, off, s[0:3], 0 offset:448
	buffer_store_dword v71, off, s[0:3], 0 offset:452
	;; [unrolled: 1-line block ×4, first 2 shown]
	s_waitcnt vmcnt(0)
	ds_write_b128 v83, v[1:4]
.LBB32_157:
	s_or_b32 exec_lo, exec_lo, s4
	s_waitcnt lgkmcnt(0)
	s_waitcnt_vscnt null, 0x0
	s_barrier
	buffer_gl0_inv
	s_clause 0x17
	buffer_load_dword v2, off, s[0:3], 0 offset:472
	buffer_load_dword v3, off, s[0:3], 0 offset:476
	;; [unrolled: 1-line block ×24, first 2 shown]
	v_mov_b32_e32 v1, 0
	ds_read_b128 v[71:74], v1 offset:976
	ds_read_b128 v[75:78], v1 offset:992
	;; [unrolled: 1-line block ×3, first 2 shown]
	s_mov_b32 s4, exec_lo
	s_waitcnt vmcnt(22) lgkmcnt(2)
	v_mul_f64 v[106:107], v[73:74], v[2:3]
	v_mul_f64 v[2:3], v[71:72], v[2:3]
	s_waitcnt vmcnt(20) lgkmcnt(1)
	v_mul_f64 v[108:109], v[77:78], v[84:85]
	v_mul_f64 v[84:85], v[75:76], v[84:85]
	s_waitcnt vmcnt(18)
	v_fma_f64 v[106:107], v[71:72], v[86:87], -v[106:107]
	v_fma_f64 v[2:3], v[73:74], v[86:87], v[2:3]
	ds_read_b128 v[71:74], v1 offset:1024
	s_waitcnt vmcnt(16) lgkmcnt(1)
	v_mul_f64 v[86:87], v[79:80], v[88:89]
	v_mul_f64 v[88:89], v[81:82], v[88:89]
	s_waitcnt vmcnt(14)
	v_fma_f64 v[108:109], v[75:76], v[90:91], -v[108:109]
	v_fma_f64 v[84:85], v[77:78], v[90:91], v[84:85]
	ds_read_b128 v[75:78], v1 offset:1040
	s_waitcnt vmcnt(10) lgkmcnt(1)
	v_mul_f64 v[90:91], v[71:72], v[92:93]
	v_add_f64 v[106:107], v[106:107], 0
	v_add_f64 v[2:3], v[2:3], 0
	v_mul_f64 v[92:93], v[73:74], v[92:93]
	s_waitcnt vmcnt(8)
	v_fma_f64 v[79:80], v[79:80], v[98:99], -v[88:89]
	v_fma_f64 v[81:82], v[81:82], v[98:99], v[86:87]
	s_waitcnt vmcnt(7) lgkmcnt(0)
	v_mul_f64 v[86:87], v[77:78], v[94:95]
	s_waitcnt vmcnt(5)
	v_fma_f64 v[73:74], v[73:74], v[100:101], v[90:91]
	v_add_f64 v[88:89], v[106:107], v[108:109]
	v_add_f64 v[2:3], v[2:3], v[84:85]
	v_fma_f64 v[71:72], v[71:72], v[100:101], -v[92:93]
	v_mul_f64 v[84:85], v[75:76], v[94:95]
	s_waitcnt vmcnt(4)
	v_fma_f64 v[75:76], v[75:76], v[96:97], -v[86:87]
	v_add_f64 v[79:80], v[88:89], v[79:80]
	v_add_f64 v[2:3], v[2:3], v[81:82]
	v_fma_f64 v[77:78], v[77:78], v[96:97], v[84:85]
	v_add_f64 v[71:72], v[79:80], v[71:72]
	v_add_f64 v[2:3], v[2:3], v[73:74]
	;; [unrolled: 1-line block ×4, first 2 shown]
	s_waitcnt vmcnt(2)
	v_add_f64 v[71:72], v[102:103], -v[71:72]
	s_waitcnt vmcnt(0)
	v_add_f64 v[2:3], v[104:105], -v[2:3]
	buffer_store_dword v72, off, s[0:3], 0 offset:452
	buffer_store_dword v71, off, s[0:3], 0 offset:448
	;; [unrolled: 1-line block ×4, first 2 shown]
	v_cmpx_lt_u32_e32 26, v0
	s_cbranch_execz .LBB32_159
; %bb.158:
	v_mov_b32_e32 v2, s16
	s_clause 0x3
	buffer_load_dword v71, v2, s[0:3], 0 offen
	buffer_load_dword v72, v2, s[0:3], 0 offen offset:4
	buffer_load_dword v73, v2, s[0:3], 0 offen offset:8
	buffer_load_dword v74, v2, s[0:3], 0 offen offset:12
	buffer_store_dword v1, off, s[0:3], 0 offset:432
	buffer_store_dword v1, off, s[0:3], 0 offset:436
	;; [unrolled: 1-line block ×4, first 2 shown]
	s_waitcnt vmcnt(0)
	ds_write_b128 v83, v[71:74]
.LBB32_159:
	s_or_b32 exec_lo, exec_lo, s4
	s_waitcnt lgkmcnt(0)
	s_waitcnt_vscnt null, 0x0
	s_barrier
	buffer_gl0_inv
	s_clause 0x1b
	buffer_load_dword v2, off, s[0:3], 0 offset:456
	buffer_load_dword v3, off, s[0:3], 0 offset:460
	;; [unrolled: 1-line block ×28, first 2 shown]
	ds_read_b128 v[71:74], v1 offset:960
	ds_read_b128 v[75:78], v1 offset:976
	;; [unrolled: 1-line block ×3, first 2 shown]
	s_mov_b32 s4, exec_lo
	s_waitcnt vmcnt(26) lgkmcnt(2)
	v_mul_f64 v[110:111], v[73:74], v[2:3]
	v_mul_f64 v[2:3], v[71:72], v[2:3]
	s_waitcnt vmcnt(24) lgkmcnt(1)
	v_mul_f64 v[112:113], v[77:78], v[84:85]
	v_mul_f64 v[84:85], v[75:76], v[84:85]
	s_waitcnt vmcnt(22)
	v_fma_f64 v[110:111], v[71:72], v[86:87], -v[110:111]
	v_fma_f64 v[2:3], v[73:74], v[86:87], v[2:3]
	ds_read_b128 v[71:74], v1 offset:1008
	s_waitcnt vmcnt(20) lgkmcnt(1)
	v_mul_f64 v[86:87], v[79:80], v[88:89]
	v_mul_f64 v[88:89], v[81:82], v[88:89]
	s_waitcnt vmcnt(18)
	v_fma_f64 v[112:113], v[75:76], v[90:91], -v[112:113]
	v_fma_f64 v[84:85], v[77:78], v[90:91], v[84:85]
	ds_read_b128 v[75:78], v1 offset:1024
	s_waitcnt vmcnt(14) lgkmcnt(1)
	v_mul_f64 v[90:91], v[71:72], v[92:93]
	v_add_f64 v[110:111], v[110:111], 0
	v_add_f64 v[2:3], v[2:3], 0
	v_mul_f64 v[92:93], v[73:74], v[92:93]
	s_waitcnt vmcnt(12)
	v_fma_f64 v[79:80], v[79:80], v[98:99], -v[88:89]
	v_fma_f64 v[81:82], v[81:82], v[98:99], v[86:87]
	s_waitcnt vmcnt(11) lgkmcnt(0)
	v_mul_f64 v[86:87], v[75:76], v[94:95]
	v_mul_f64 v[94:95], v[77:78], v[94:95]
	s_waitcnt vmcnt(9)
	v_fma_f64 v[73:74], v[73:74], v[100:101], v[90:91]
	v_add_f64 v[88:89], v[110:111], v[112:113]
	v_add_f64 v[84:85], v[2:3], v[84:85]
	v_fma_f64 v[71:72], v[71:72], v[100:101], -v[92:93]
	ds_read_b128 v[1:4], v1 offset:1040
	s_waitcnt vmcnt(6)
	v_fma_f64 v[77:78], v[77:78], v[96:97], v[86:87]
	v_fma_f64 v[75:76], v[75:76], v[96:97], -v[94:95]
	v_add_f64 v[79:80], v[88:89], v[79:80]
	v_add_f64 v[81:82], v[84:85], v[81:82]
	s_waitcnt lgkmcnt(0)
	v_mul_f64 v[88:89], v[3:4], v[102:103]
	v_mul_f64 v[84:85], v[1:2], v[102:103]
	v_add_f64 v[71:72], v[79:80], v[71:72]
	v_add_f64 v[73:74], v[81:82], v[73:74]
	s_waitcnt vmcnt(4)
	v_fma_f64 v[1:2], v[1:2], v[104:105], -v[88:89]
	v_fma_f64 v[3:4], v[3:4], v[104:105], v[84:85]
	v_add_f64 v[71:72], v[71:72], v[75:76]
	v_add_f64 v[73:74], v[73:74], v[77:78]
	;; [unrolled: 1-line block ×4, first 2 shown]
	s_waitcnt vmcnt(2)
	v_add_f64 v[1:2], v[106:107], -v[1:2]
	s_waitcnt vmcnt(0)
	v_add_f64 v[3:4], v[108:109], -v[3:4]
	buffer_store_dword v2, off, s[0:3], 0 offset:436
	buffer_store_dword v1, off, s[0:3], 0 offset:432
	;; [unrolled: 1-line block ×4, first 2 shown]
	v_cmpx_lt_u32_e32 25, v0
	s_cbranch_execz .LBB32_161
; %bb.160:
	v_mov_b32_e32 v4, s17
	v_mov_b32_e32 v71, 0
	s_clause 0x3
	buffer_load_dword v1, v4, s[0:3], 0 offen
	buffer_load_dword v2, v4, s[0:3], 0 offen offset:4
	buffer_load_dword v3, v4, s[0:3], 0 offen offset:8
	;; [unrolled: 1-line block ×3, first 2 shown]
	buffer_store_dword v71, off, s[0:3], 0 offset:416
	buffer_store_dword v71, off, s[0:3], 0 offset:420
	;; [unrolled: 1-line block ×4, first 2 shown]
	s_waitcnt vmcnt(0)
	ds_write_b128 v83, v[1:4]
.LBB32_161:
	s_or_b32 exec_lo, exec_lo, s4
	s_waitcnt lgkmcnt(0)
	s_waitcnt_vscnt null, 0x0
	s_barrier
	buffer_gl0_inv
	s_clause 0x1f
	buffer_load_dword v2, off, s[0:3], 0 offset:440
	buffer_load_dword v3, off, s[0:3], 0 offset:444
	;; [unrolled: 1-line block ×32, first 2 shown]
	v_mov_b32_e32 v1, 0
	ds_read_b128 v[71:74], v1 offset:944
	ds_read_b128 v[75:78], v1 offset:960
	;; [unrolled: 1-line block ×3, first 2 shown]
	s_mov_b32 s4, exec_lo
	s_waitcnt vmcnt(30) lgkmcnt(2)
	v_mul_f64 v[114:115], v[73:74], v[2:3]
	v_mul_f64 v[2:3], v[71:72], v[2:3]
	s_waitcnt vmcnt(28) lgkmcnt(1)
	v_mul_f64 v[116:117], v[77:78], v[84:85]
	v_mul_f64 v[84:85], v[75:76], v[84:85]
	s_waitcnt vmcnt(26)
	v_fma_f64 v[114:115], v[71:72], v[86:87], -v[114:115]
	v_fma_f64 v[2:3], v[73:74], v[86:87], v[2:3]
	ds_read_b128 v[71:74], v1 offset:992
	s_waitcnt vmcnt(24) lgkmcnt(1)
	v_mul_f64 v[86:87], v[79:80], v[88:89]
	v_mul_f64 v[88:89], v[81:82], v[88:89]
	s_waitcnt vmcnt(22)
	v_fma_f64 v[116:117], v[75:76], v[90:91], -v[116:117]
	v_fma_f64 v[84:85], v[77:78], v[90:91], v[84:85]
	ds_read_b128 v[75:78], v1 offset:1008
	s_waitcnt vmcnt(18) lgkmcnt(1)
	v_mul_f64 v[90:91], v[71:72], v[92:93]
	v_add_f64 v[114:115], v[114:115], 0
	v_add_f64 v[2:3], v[2:3], 0
	v_mul_f64 v[92:93], v[73:74], v[92:93]
	s_waitcnt vmcnt(16)
	v_fma_f64 v[88:89], v[79:80], v[98:99], -v[88:89]
	v_fma_f64 v[86:87], v[81:82], v[98:99], v[86:87]
	ds_read_b128 v[79:82], v1 offset:1024
	s_waitcnt vmcnt(13)
	v_fma_f64 v[90:91], v[73:74], v[100:101], v[90:91]
	v_add_f64 v[114:115], v[114:115], v[116:117]
	v_add_f64 v[2:3], v[2:3], v[84:85]
	s_waitcnt lgkmcnt(1)
	v_mul_f64 v[84:85], v[75:76], v[94:95]
	v_mul_f64 v[94:95], v[77:78], v[94:95]
	v_fma_f64 v[92:93], v[71:72], v[100:101], -v[92:93]
	s_waitcnt vmcnt(9) lgkmcnt(0)
	v_mul_f64 v[98:99], v[81:82], v[102:103]
	ds_read_b128 v[71:74], v1 offset:1040
	v_add_f64 v[88:89], v[114:115], v[88:89]
	v_add_f64 v[2:3], v[2:3], v[86:87]
	v_mul_f64 v[86:87], v[79:80], v[102:103]
	s_waitcnt vmcnt(8)
	v_fma_f64 v[75:76], v[75:76], v[96:97], -v[94:95]
	v_fma_f64 v[77:78], v[77:78], v[96:97], v[84:85]
	s_waitcnt vmcnt(5)
	v_fma_f64 v[79:80], v[79:80], v[108:109], -v[98:99]
	s_waitcnt lgkmcnt(0)
	v_mul_f64 v[84:85], v[71:72], v[104:105]
	v_add_f64 v[88:89], v[88:89], v[92:93]
	v_add_f64 v[2:3], v[2:3], v[90:91]
	v_mul_f64 v[90:91], v[73:74], v[104:105]
	v_fma_f64 v[81:82], v[81:82], v[108:109], v[86:87]
	s_waitcnt vmcnt(4)
	v_fma_f64 v[73:74], v[73:74], v[106:107], v[84:85]
	v_add_f64 v[75:76], v[88:89], v[75:76]
	v_add_f64 v[2:3], v[2:3], v[77:78]
	v_fma_f64 v[71:72], v[71:72], v[106:107], -v[90:91]
	v_add_f64 v[75:76], v[75:76], v[79:80]
	v_add_f64 v[2:3], v[2:3], v[81:82]
	;; [unrolled: 1-line block ×4, first 2 shown]
	s_waitcnt vmcnt(2)
	v_add_f64 v[71:72], v[110:111], -v[71:72]
	s_waitcnt vmcnt(0)
	v_add_f64 v[2:3], v[112:113], -v[2:3]
	buffer_store_dword v72, off, s[0:3], 0 offset:420
	buffer_store_dword v71, off, s[0:3], 0 offset:416
	;; [unrolled: 1-line block ×4, first 2 shown]
	v_cmpx_lt_u32_e32 24, v0
	s_cbranch_execz .LBB32_163
; %bb.162:
	v_mov_b32_e32 v2, s18
	s_clause 0x3
	buffer_load_dword v71, v2, s[0:3], 0 offen
	buffer_load_dword v72, v2, s[0:3], 0 offen offset:4
	buffer_load_dword v73, v2, s[0:3], 0 offen offset:8
	;; [unrolled: 1-line block ×3, first 2 shown]
	buffer_store_dword v1, off, s[0:3], 0 offset:400
	buffer_store_dword v1, off, s[0:3], 0 offset:404
	;; [unrolled: 1-line block ×4, first 2 shown]
	s_waitcnt vmcnt(0)
	ds_write_b128 v83, v[71:74]
.LBB32_163:
	s_or_b32 exec_lo, exec_lo, s4
	s_waitcnt lgkmcnt(0)
	s_waitcnt_vscnt null, 0x0
	s_barrier
	buffer_gl0_inv
	s_clause 0x23
	buffer_load_dword v2, off, s[0:3], 0 offset:424
	buffer_load_dword v3, off, s[0:3], 0 offset:428
	;; [unrolled: 1-line block ×36, first 2 shown]
	ds_read_b128 v[71:74], v1 offset:928
	ds_read_b128 v[75:78], v1 offset:944
	;; [unrolled: 1-line block ×3, first 2 shown]
	s_mov_b32 s4, exec_lo
	s_waitcnt vmcnt(34) lgkmcnt(2)
	v_mul_f64 v[118:119], v[73:74], v[2:3]
	v_mul_f64 v[2:3], v[71:72], v[2:3]
	s_waitcnt vmcnt(32) lgkmcnt(1)
	v_mul_f64 v[120:121], v[77:78], v[84:85]
	v_mul_f64 v[84:85], v[75:76], v[84:85]
	s_waitcnt vmcnt(30)
	v_fma_f64 v[118:119], v[71:72], v[86:87], -v[118:119]
	v_fma_f64 v[2:3], v[73:74], v[86:87], v[2:3]
	ds_read_b128 v[71:74], v1 offset:976
	s_waitcnt vmcnt(28) lgkmcnt(1)
	v_mul_f64 v[86:87], v[79:80], v[88:89]
	v_mul_f64 v[88:89], v[81:82], v[88:89]
	s_waitcnt vmcnt(26)
	v_fma_f64 v[120:121], v[75:76], v[90:91], -v[120:121]
	v_fma_f64 v[84:85], v[77:78], v[90:91], v[84:85]
	ds_read_b128 v[75:78], v1 offset:992
	s_waitcnt vmcnt(22) lgkmcnt(1)
	v_mul_f64 v[90:91], v[71:72], v[92:93]
	v_add_f64 v[118:119], v[118:119], 0
	v_add_f64 v[2:3], v[2:3], 0
	v_mul_f64 v[92:93], v[73:74], v[92:93]
	s_waitcnt vmcnt(20)
	v_fma_f64 v[88:89], v[79:80], v[98:99], -v[88:89]
	v_fma_f64 v[86:87], v[81:82], v[98:99], v[86:87]
	ds_read_b128 v[79:82], v1 offset:1008
	s_waitcnt vmcnt(17)
	v_fma_f64 v[90:91], v[73:74], v[100:101], v[90:91]
	v_add_f64 v[118:119], v[118:119], v[120:121]
	v_add_f64 v[2:3], v[2:3], v[84:85]
	s_waitcnt lgkmcnt(1)
	v_mul_f64 v[84:85], v[75:76], v[94:95]
	v_mul_f64 v[94:95], v[77:78], v[94:95]
	v_fma_f64 v[92:93], v[71:72], v[100:101], -v[92:93]
	s_waitcnt vmcnt(13) lgkmcnt(0)
	v_mul_f64 v[98:99], v[81:82], v[102:103]
	ds_read_b128 v[71:74], v1 offset:1024
	v_add_f64 v[88:89], v[118:119], v[88:89]
	v_add_f64 v[2:3], v[2:3], v[86:87]
	v_mul_f64 v[86:87], v[79:80], v[102:103]
	s_waitcnt vmcnt(12)
	v_fma_f64 v[75:76], v[75:76], v[96:97], -v[94:95]
	v_fma_f64 v[77:78], v[77:78], v[96:97], v[84:85]
	s_waitcnt vmcnt(9)
	v_fma_f64 v[79:80], v[79:80], v[108:109], -v[98:99]
	v_add_f64 v[88:89], v[88:89], v[92:93]
	v_add_f64 v[84:85], v[2:3], v[90:91]
	s_waitcnt lgkmcnt(0)
	v_mul_f64 v[92:93], v[73:74], v[104:105]
	ds_read_b128 v[1:4], v1 offset:1040
	v_mul_f64 v[90:91], v[71:72], v[104:105]
	v_fma_f64 v[81:82], v[81:82], v[108:109], v[86:87]
	v_add_f64 v[75:76], v[88:89], v[75:76]
	v_add_f64 v[77:78], v[84:85], v[77:78]
	s_waitcnt vmcnt(7) lgkmcnt(0)
	v_mul_f64 v[86:87], v[3:4], v[110:111]
	s_waitcnt vmcnt(6)
	v_fma_f64 v[71:72], v[71:72], v[106:107], -v[92:93]
	v_mul_f64 v[84:85], v[1:2], v[110:111]
	v_fma_f64 v[73:74], v[73:74], v[106:107], v[90:91]
	v_add_f64 v[75:76], v[75:76], v[79:80]
	v_add_f64 v[77:78], v[77:78], v[81:82]
	s_waitcnt vmcnt(4)
	v_fma_f64 v[1:2], v[1:2], v[112:113], -v[86:87]
	v_fma_f64 v[3:4], v[3:4], v[112:113], v[84:85]
	v_add_f64 v[71:72], v[75:76], v[71:72]
	v_add_f64 v[73:74], v[77:78], v[73:74]
	;; [unrolled: 1-line block ×4, first 2 shown]
	s_waitcnt vmcnt(2)
	v_add_f64 v[1:2], v[114:115], -v[1:2]
	s_waitcnt vmcnt(0)
	v_add_f64 v[3:4], v[116:117], -v[3:4]
	buffer_store_dword v2, off, s[0:3], 0 offset:404
	buffer_store_dword v1, off, s[0:3], 0 offset:400
	;; [unrolled: 1-line block ×4, first 2 shown]
	v_cmpx_lt_u32_e32 23, v0
	s_cbranch_execz .LBB32_165
; %bb.164:
	v_mov_b32_e32 v4, s19
	v_mov_b32_e32 v71, 0
	s_clause 0x3
	buffer_load_dword v1, v4, s[0:3], 0 offen
	buffer_load_dword v2, v4, s[0:3], 0 offen offset:4
	buffer_load_dword v3, v4, s[0:3], 0 offen offset:8
	;; [unrolled: 1-line block ×3, first 2 shown]
	buffer_store_dword v71, off, s[0:3], 0 offset:384
	buffer_store_dword v71, off, s[0:3], 0 offset:388
	;; [unrolled: 1-line block ×4, first 2 shown]
	s_waitcnt vmcnt(0)
	ds_write_b128 v83, v[1:4]
.LBB32_165:
	s_or_b32 exec_lo, exec_lo, s4
	s_waitcnt lgkmcnt(0)
	s_waitcnt_vscnt null, 0x0
	s_barrier
	buffer_gl0_inv
	s_clause 0x27
	buffer_load_dword v2, off, s[0:3], 0 offset:408
	buffer_load_dword v3, off, s[0:3], 0 offset:412
	;; [unrolled: 1-line block ×40, first 2 shown]
	v_mov_b32_e32 v1, 0
	ds_read_b128 v[71:74], v1 offset:912
	ds_read_b128 v[75:78], v1 offset:928
	;; [unrolled: 1-line block ×3, first 2 shown]
	s_mov_b32 s4, exec_lo
	s_waitcnt vmcnt(38) lgkmcnt(2)
	v_mul_f64 v[122:123], v[73:74], v[2:3]
	v_mul_f64 v[2:3], v[71:72], v[2:3]
	s_waitcnt vmcnt(36) lgkmcnt(1)
	v_mul_f64 v[124:125], v[77:78], v[84:85]
	v_mul_f64 v[84:85], v[75:76], v[84:85]
	s_waitcnt vmcnt(34)
	v_fma_f64 v[122:123], v[71:72], v[86:87], -v[122:123]
	v_fma_f64 v[2:3], v[73:74], v[86:87], v[2:3]
	ds_read_b128 v[71:74], v1 offset:960
	s_waitcnt vmcnt(32) lgkmcnt(1)
	v_mul_f64 v[86:87], v[79:80], v[88:89]
	v_mul_f64 v[88:89], v[81:82], v[88:89]
	s_waitcnt vmcnt(30)
	v_fma_f64 v[124:125], v[75:76], v[90:91], -v[124:125]
	v_fma_f64 v[84:85], v[77:78], v[90:91], v[84:85]
	ds_read_b128 v[75:78], v1 offset:976
	s_waitcnt vmcnt(26) lgkmcnt(1)
	v_mul_f64 v[90:91], v[71:72], v[92:93]
	v_add_f64 v[122:123], v[122:123], 0
	v_add_f64 v[2:3], v[2:3], 0
	v_mul_f64 v[92:93], v[73:74], v[92:93]
	s_waitcnt vmcnt(24)
	v_fma_f64 v[88:89], v[79:80], v[98:99], -v[88:89]
	v_fma_f64 v[86:87], v[81:82], v[98:99], v[86:87]
	ds_read_b128 v[79:82], v1 offset:992
	s_waitcnt vmcnt(21)
	v_fma_f64 v[90:91], v[73:74], v[100:101], v[90:91]
	v_add_f64 v[122:123], v[122:123], v[124:125]
	v_add_f64 v[2:3], v[2:3], v[84:85]
	s_waitcnt lgkmcnt(1)
	v_mul_f64 v[84:85], v[75:76], v[94:95]
	v_mul_f64 v[94:95], v[77:78], v[94:95]
	v_fma_f64 v[92:93], v[71:72], v[100:101], -v[92:93]
	s_waitcnt vmcnt(17) lgkmcnt(0)
	v_mul_f64 v[98:99], v[81:82], v[102:103]
	ds_read_b128 v[71:74], v1 offset:1008
	v_add_f64 v[88:89], v[122:123], v[88:89]
	v_add_f64 v[2:3], v[2:3], v[86:87]
	v_mul_f64 v[86:87], v[79:80], v[102:103]
	s_waitcnt vmcnt(16)
	v_fma_f64 v[94:95], v[75:76], v[96:97], -v[94:95]
	v_fma_f64 v[84:85], v[77:78], v[96:97], v[84:85]
	ds_read_b128 v[75:78], v1 offset:1024
	s_waitcnt vmcnt(13)
	v_fma_f64 v[96:97], v[79:80], v[108:109], -v[98:99]
	v_add_f64 v[88:89], v[88:89], v[92:93]
	v_add_f64 v[2:3], v[2:3], v[90:91]
	s_waitcnt lgkmcnt(1)
	v_mul_f64 v[92:93], v[73:74], v[104:105]
	v_mul_f64 v[90:91], v[71:72], v[104:105]
	v_fma_f64 v[86:87], v[81:82], v[108:109], v[86:87]
	ds_read_b128 v[79:82], v1 offset:1040
	v_add_f64 v[88:89], v[88:89], v[94:95]
	v_add_f64 v[2:3], v[2:3], v[84:85]
	s_waitcnt vmcnt(9) lgkmcnt(1)
	v_mul_f64 v[94:95], v[77:78], v[110:111]
	s_waitcnt vmcnt(8)
	v_fma_f64 v[71:72], v[71:72], v[106:107], -v[92:93]
	v_mul_f64 v[84:85], v[75:76], v[110:111]
	v_fma_f64 v[73:74], v[73:74], v[106:107], v[90:91]
	s_waitcnt vmcnt(7) lgkmcnt(0)
	v_mul_f64 v[90:91], v[81:82], v[112:113]
	v_add_f64 v[88:89], v[88:89], v[96:97]
	v_add_f64 v[2:3], v[2:3], v[86:87]
	s_waitcnt vmcnt(5)
	v_fma_f64 v[75:76], v[75:76], v[116:117], -v[94:95]
	v_mul_f64 v[86:87], v[79:80], v[112:113]
	v_fma_f64 v[77:78], v[77:78], v[116:117], v[84:85]
	v_add_f64 v[71:72], v[88:89], v[71:72]
	v_add_f64 v[2:3], v[2:3], v[73:74]
	s_waitcnt vmcnt(4)
	v_fma_f64 v[73:74], v[79:80], v[114:115], -v[90:91]
	v_add_f64 v[71:72], v[71:72], v[75:76]
	v_fma_f64 v[75:76], v[81:82], v[114:115], v[86:87]
	v_add_f64 v[2:3], v[2:3], v[77:78]
	v_add_f64 v[71:72], v[71:72], v[73:74]
	;; [unrolled: 1-line block ×3, first 2 shown]
	s_waitcnt vmcnt(2)
	v_add_f64 v[71:72], v[118:119], -v[71:72]
	s_waitcnt vmcnt(0)
	v_add_f64 v[2:3], v[120:121], -v[2:3]
	buffer_store_dword v72, off, s[0:3], 0 offset:388
	buffer_store_dword v71, off, s[0:3], 0 offset:384
	;; [unrolled: 1-line block ×4, first 2 shown]
	v_cmpx_lt_u32_e32 22, v0
	s_cbranch_execz .LBB32_167
; %bb.166:
	v_mov_b32_e32 v2, s22
	s_clause 0x3
	buffer_load_dword v71, v2, s[0:3], 0 offen
	buffer_load_dword v72, v2, s[0:3], 0 offen offset:4
	buffer_load_dword v73, v2, s[0:3], 0 offen offset:8
	;; [unrolled: 1-line block ×3, first 2 shown]
	buffer_store_dword v1, off, s[0:3], 0 offset:368
	buffer_store_dword v1, off, s[0:3], 0 offset:372
	;; [unrolled: 1-line block ×4, first 2 shown]
	s_waitcnt vmcnt(0)
	ds_write_b128 v83, v[71:74]
.LBB32_167:
	s_or_b32 exec_lo, exec_lo, s4
	s_waitcnt lgkmcnt(0)
	s_waitcnt_vscnt null, 0x0
	s_barrier
	buffer_gl0_inv
	s_clause 0x2b
	buffer_load_dword v2, off, s[0:3], 0 offset:392
	buffer_load_dword v3, off, s[0:3], 0 offset:396
	;; [unrolled: 1-line block ×44, first 2 shown]
	ds_read_b128 v[71:74], v1 offset:896
	ds_read_b128 v[75:78], v1 offset:912
	;; [unrolled: 1-line block ×3, first 2 shown]
	s_mov_b32 s4, exec_lo
	s_waitcnt vmcnt(42) lgkmcnt(2)
	v_mul_f64 v[126:127], v[73:74], v[2:3]
	v_mul_f64 v[2:3], v[71:72], v[2:3]
	s_waitcnt vmcnt(40) lgkmcnt(1)
	v_mul_f64 v[128:129], v[77:78], v[84:85]
	v_mul_f64 v[84:85], v[75:76], v[84:85]
	s_waitcnt vmcnt(38)
	v_fma_f64 v[126:127], v[71:72], v[86:87], -v[126:127]
	v_fma_f64 v[2:3], v[73:74], v[86:87], v[2:3]
	ds_read_b128 v[71:74], v1 offset:944
	s_waitcnt vmcnt(36) lgkmcnt(1)
	v_mul_f64 v[86:87], v[79:80], v[88:89]
	v_mul_f64 v[88:89], v[81:82], v[88:89]
	s_waitcnt vmcnt(34)
	v_fma_f64 v[128:129], v[75:76], v[90:91], -v[128:129]
	v_fma_f64 v[84:85], v[77:78], v[90:91], v[84:85]
	ds_read_b128 v[75:78], v1 offset:960
	s_waitcnt vmcnt(30) lgkmcnt(1)
	v_mul_f64 v[90:91], v[71:72], v[92:93]
	v_add_f64 v[126:127], v[126:127], 0
	v_add_f64 v[2:3], v[2:3], 0
	v_mul_f64 v[92:93], v[73:74], v[92:93]
	s_waitcnt vmcnt(28)
	v_fma_f64 v[88:89], v[79:80], v[98:99], -v[88:89]
	v_fma_f64 v[86:87], v[81:82], v[98:99], v[86:87]
	ds_read_b128 v[79:82], v1 offset:976
	s_waitcnt vmcnt(25)
	v_fma_f64 v[90:91], v[73:74], v[100:101], v[90:91]
	v_add_f64 v[126:127], v[126:127], v[128:129]
	v_add_f64 v[2:3], v[2:3], v[84:85]
	s_waitcnt lgkmcnt(1)
	v_mul_f64 v[84:85], v[75:76], v[94:95]
	v_mul_f64 v[94:95], v[77:78], v[94:95]
	v_fma_f64 v[92:93], v[71:72], v[100:101], -v[92:93]
	s_waitcnt vmcnt(21) lgkmcnt(0)
	v_mul_f64 v[98:99], v[81:82], v[102:103]
	ds_read_b128 v[71:74], v1 offset:992
	v_add_f64 v[88:89], v[126:127], v[88:89]
	v_add_f64 v[2:3], v[2:3], v[86:87]
	v_mul_f64 v[86:87], v[79:80], v[102:103]
	s_waitcnt vmcnt(20)
	v_fma_f64 v[94:95], v[75:76], v[96:97], -v[94:95]
	v_fma_f64 v[84:85], v[77:78], v[96:97], v[84:85]
	ds_read_b128 v[75:78], v1 offset:1008
	s_waitcnt vmcnt(17)
	v_fma_f64 v[96:97], v[79:80], v[108:109], -v[98:99]
	v_add_f64 v[88:89], v[88:89], v[92:93]
	v_add_f64 v[2:3], v[2:3], v[90:91]
	s_waitcnt lgkmcnt(1)
	v_mul_f64 v[92:93], v[73:74], v[104:105]
	v_mul_f64 v[90:91], v[71:72], v[104:105]
	v_fma_f64 v[86:87], v[81:82], v[108:109], v[86:87]
	ds_read_b128 v[79:82], v1 offset:1024
	v_add_f64 v[88:89], v[88:89], v[94:95]
	v_add_f64 v[2:3], v[2:3], v[84:85]
	s_waitcnt vmcnt(13) lgkmcnt(1)
	v_mul_f64 v[94:95], v[77:78], v[110:111]
	s_waitcnt vmcnt(12)
	v_fma_f64 v[71:72], v[71:72], v[106:107], -v[92:93]
	v_mul_f64 v[84:85], v[75:76], v[110:111]
	v_fma_f64 v[73:74], v[73:74], v[106:107], v[90:91]
	s_waitcnt vmcnt(11) lgkmcnt(0)
	v_mul_f64 v[92:93], v[81:82], v[112:113]
	v_mul_f64 v[90:91], v[79:80], v[112:113]
	v_add_f64 v[88:89], v[88:89], v[96:97]
	v_add_f64 v[86:87], v[2:3], v[86:87]
	s_waitcnt vmcnt(9)
	v_fma_f64 v[75:76], v[75:76], v[116:117], -v[94:95]
	ds_read_b128 v[1:4], v1 offset:1040
	v_fma_f64 v[77:78], v[77:78], v[116:117], v[84:85]
	s_waitcnt vmcnt(6)
	v_fma_f64 v[79:80], v[79:80], v[114:115], -v[92:93]
	v_add_f64 v[71:72], v[88:89], v[71:72]
	v_add_f64 v[73:74], v[86:87], v[73:74]
	s_waitcnt lgkmcnt(0)
	v_mul_f64 v[86:87], v[3:4], v[118:119]
	v_mul_f64 v[84:85], v[1:2], v[118:119]
	v_add_f64 v[71:72], v[71:72], v[75:76]
	v_fma_f64 v[75:76], v[81:82], v[114:115], v[90:91]
	v_add_f64 v[73:74], v[73:74], v[77:78]
	s_waitcnt vmcnt(4)
	v_fma_f64 v[1:2], v[1:2], v[120:121], -v[86:87]
	v_fma_f64 v[3:4], v[3:4], v[120:121], v[84:85]
	v_add_f64 v[71:72], v[71:72], v[79:80]
	v_add_f64 v[73:74], v[73:74], v[75:76]
	;; [unrolled: 1-line block ×4, first 2 shown]
	s_waitcnt vmcnt(2)
	v_add_f64 v[1:2], v[122:123], -v[1:2]
	s_waitcnt vmcnt(0)
	v_add_f64 v[3:4], v[124:125], -v[3:4]
	buffer_store_dword v2, off, s[0:3], 0 offset:372
	buffer_store_dword v1, off, s[0:3], 0 offset:368
	;; [unrolled: 1-line block ×4, first 2 shown]
	v_cmpx_lt_u32_e32 21, v0
	s_cbranch_execz .LBB32_169
; %bb.168:
	v_mov_b32_e32 v4, s23
	v_mov_b32_e32 v71, 0
	s_clause 0x3
	buffer_load_dword v1, v4, s[0:3], 0 offen
	buffer_load_dword v2, v4, s[0:3], 0 offen offset:4
	buffer_load_dword v3, v4, s[0:3], 0 offen offset:8
	;; [unrolled: 1-line block ×3, first 2 shown]
	buffer_store_dword v71, off, s[0:3], 0 offset:352
	buffer_store_dword v71, off, s[0:3], 0 offset:356
	;; [unrolled: 1-line block ×4, first 2 shown]
	s_waitcnt vmcnt(0)
	ds_write_b128 v83, v[1:4]
.LBB32_169:
	s_or_b32 exec_lo, exec_lo, s4
	s_waitcnt lgkmcnt(0)
	s_waitcnt_vscnt null, 0x0
	s_barrier
	buffer_gl0_inv
	s_clause 0x2f
	buffer_load_dword v2, off, s[0:3], 0 offset:376
	buffer_load_dword v3, off, s[0:3], 0 offset:380
	buffer_load_dword v84, off, s[0:3], 0 offset:392
	buffer_load_dword v85, off, s[0:3], 0 offset:396
	buffer_load_dword v86, off, s[0:3], 0 offset:368
	buffer_load_dword v87, off, s[0:3], 0 offset:372
	buffer_load_dword v88, off, s[0:3], 0 offset:408
	buffer_load_dword v89, off, s[0:3], 0 offset:412
	buffer_load_dword v90, off, s[0:3], 0 offset:384
	buffer_load_dword v91, off, s[0:3], 0 offset:388
	buffer_load_dword v93, off, s[0:3], 0 offset:428
	buffer_load_dword v94, off, s[0:3], 0 offset:440
	buffer_load_dword v96, off, s[0:3], 0 offset:432
	buffer_load_dword v92, off, s[0:3], 0 offset:424
	buffer_load_dword v98, off, s[0:3], 0 offset:400
	buffer_load_dword v99, off, s[0:3], 0 offset:404
	buffer_load_dword v95, off, s[0:3], 0 offset:444
	buffer_load_dword v101, off, s[0:3], 0 offset:420
	buffer_load_dword v100, off, s[0:3], 0 offset:416
	buffer_load_dword v103, off, s[0:3], 0 offset:460
	buffer_load_dword v104, off, s[0:3], 0 offset:472
	buffer_load_dword v106, off, s[0:3], 0 offset:464
	buffer_load_dword v102, off, s[0:3], 0 offset:456
	buffer_load_dword v97, off, s[0:3], 0 offset:436
	buffer_load_dword v105, off, s[0:3], 0 offset:476
	buffer_load_dword v109, off, s[0:3], 0 offset:452
	buffer_load_dword v108, off, s[0:3], 0 offset:448
	buffer_load_dword v111, off, s[0:3], 0 offset:492
	buffer_load_dword v112, off, s[0:3], 0 offset:504
	buffer_load_dword v114, off, s[0:3], 0 offset:496
	buffer_load_dword v110, off, s[0:3], 0 offset:488
	buffer_load_dword v107, off, s[0:3], 0 offset:468
	buffer_load_dword v113, off, s[0:3], 0 offset:508
	buffer_load_dword v117, off, s[0:3], 0 offset:484
	buffer_load_dword v116, off, s[0:3], 0 offset:480
	buffer_load_dword v119, off, s[0:3], 0 offset:524
	buffer_load_dword v120, off, s[0:3], 0 offset:536
	buffer_load_dword v122, off, s[0:3], 0 offset:528
	buffer_load_dword v118, off, s[0:3], 0 offset:520
	buffer_load_dword v115, off, s[0:3], 0 offset:500
	buffer_load_dword v121, off, s[0:3], 0 offset:540
	buffer_load_dword v125, off, s[0:3], 0 offset:516
	buffer_load_dword v124, off, s[0:3], 0 offset:512
	buffer_load_dword v123, off, s[0:3], 0 offset:532
	buffer_load_dword v126, off, s[0:3], 0 offset:352
	buffer_load_dword v127, off, s[0:3], 0 offset:356
	buffer_load_dword v128, off, s[0:3], 0 offset:360
	buffer_load_dword v129, off, s[0:3], 0 offset:364
	v_mov_b32_e32 v1, 0
	ds_read_b128 v[71:74], v1 offset:880
	ds_read_b128 v[75:78], v1 offset:896
	;; [unrolled: 1-line block ×3, first 2 shown]
	s_mov_b32 s4, exec_lo
	s_waitcnt vmcnt(46) lgkmcnt(2)
	v_mul_f64 v[130:131], v[73:74], v[2:3]
	v_mul_f64 v[2:3], v[71:72], v[2:3]
	s_waitcnt vmcnt(44) lgkmcnt(1)
	v_mul_f64 v[132:133], v[77:78], v[84:85]
	v_mul_f64 v[84:85], v[75:76], v[84:85]
	s_waitcnt vmcnt(42)
	v_fma_f64 v[130:131], v[71:72], v[86:87], -v[130:131]
	v_fma_f64 v[2:3], v[73:74], v[86:87], v[2:3]
	ds_read_b128 v[71:74], v1 offset:928
	s_waitcnt vmcnt(40) lgkmcnt(1)
	v_mul_f64 v[86:87], v[79:80], v[88:89]
	v_mul_f64 v[88:89], v[81:82], v[88:89]
	s_waitcnt vmcnt(38)
	v_fma_f64 v[132:133], v[75:76], v[90:91], -v[132:133]
	v_fma_f64 v[84:85], v[77:78], v[90:91], v[84:85]
	ds_read_b128 v[75:78], v1 offset:944
	s_waitcnt vmcnt(34) lgkmcnt(1)
	v_mul_f64 v[90:91], v[71:72], v[92:93]
	v_add_f64 v[130:131], v[130:131], 0
	v_add_f64 v[2:3], v[2:3], 0
	v_mul_f64 v[92:93], v[73:74], v[92:93]
	s_waitcnt vmcnt(32)
	v_fma_f64 v[88:89], v[79:80], v[98:99], -v[88:89]
	v_fma_f64 v[86:87], v[81:82], v[98:99], v[86:87]
	ds_read_b128 v[79:82], v1 offset:960
	s_waitcnt vmcnt(29)
	v_fma_f64 v[90:91], v[73:74], v[100:101], v[90:91]
	v_add_f64 v[130:131], v[130:131], v[132:133]
	v_add_f64 v[2:3], v[2:3], v[84:85]
	s_waitcnt lgkmcnt(1)
	v_mul_f64 v[84:85], v[75:76], v[94:95]
	v_mul_f64 v[94:95], v[77:78], v[94:95]
	v_fma_f64 v[92:93], v[71:72], v[100:101], -v[92:93]
	s_waitcnt vmcnt(25) lgkmcnt(0)
	v_mul_f64 v[98:99], v[81:82], v[102:103]
	ds_read_b128 v[71:74], v1 offset:976
	v_add_f64 v[88:89], v[130:131], v[88:89]
	v_add_f64 v[2:3], v[2:3], v[86:87]
	v_mul_f64 v[86:87], v[79:80], v[102:103]
	s_waitcnt vmcnt(24)
	v_fma_f64 v[94:95], v[75:76], v[96:97], -v[94:95]
	v_fma_f64 v[84:85], v[77:78], v[96:97], v[84:85]
	ds_read_b128 v[75:78], v1 offset:992
	s_waitcnt vmcnt(21)
	v_fma_f64 v[96:97], v[79:80], v[108:109], -v[98:99]
	v_add_f64 v[88:89], v[88:89], v[92:93]
	v_add_f64 v[2:3], v[2:3], v[90:91]
	s_waitcnt lgkmcnt(1)
	v_mul_f64 v[92:93], v[73:74], v[104:105]
	v_mul_f64 v[90:91], v[71:72], v[104:105]
	v_fma_f64 v[86:87], v[81:82], v[108:109], v[86:87]
	ds_read_b128 v[79:82], v1 offset:1008
	v_add_f64 v[88:89], v[88:89], v[94:95]
	v_add_f64 v[2:3], v[2:3], v[84:85]
	s_waitcnt vmcnt(17) lgkmcnt(1)
	v_mul_f64 v[94:95], v[77:78], v[110:111]
	s_waitcnt vmcnt(16)
	v_fma_f64 v[92:93], v[71:72], v[106:107], -v[92:93]
	v_mul_f64 v[84:85], v[75:76], v[110:111]
	v_fma_f64 v[90:91], v[73:74], v[106:107], v[90:91]
	ds_read_b128 v[71:74], v1 offset:1024
	v_add_f64 v[88:89], v[88:89], v[96:97]
	v_add_f64 v[2:3], v[2:3], v[86:87]
	s_waitcnt vmcnt(15) lgkmcnt(1)
	v_mul_f64 v[96:97], v[81:82], v[112:113]
	s_waitcnt vmcnt(13)
	v_fma_f64 v[94:95], v[75:76], v[116:117], -v[94:95]
	;; [unrolled: 9-line block ×3, first 2 shown]
	v_mul_f64 v[90:91], v[71:72], v[118:119]
	v_fma_f64 v[81:82], v[81:82], v[114:115], v[86:87]
	s_waitcnt vmcnt(7) lgkmcnt(0)
	v_mul_f64 v[86:87], v[77:78], v[120:121]
	v_add_f64 v[88:89], v[88:89], v[94:95]
	v_add_f64 v[2:3], v[2:3], v[84:85]
	s_waitcnt vmcnt(5)
	v_fma_f64 v[71:72], v[71:72], v[124:125], -v[92:93]
	v_mul_f64 v[84:85], v[75:76], v[120:121]
	v_fma_f64 v[73:74], v[73:74], v[124:125], v[90:91]
	s_waitcnt vmcnt(4)
	v_fma_f64 v[75:76], v[75:76], v[122:123], -v[86:87]
	v_add_f64 v[79:80], v[88:89], v[79:80]
	v_add_f64 v[2:3], v[2:3], v[81:82]
	v_fma_f64 v[77:78], v[77:78], v[122:123], v[84:85]
	v_add_f64 v[71:72], v[79:80], v[71:72]
	v_add_f64 v[2:3], v[2:3], v[73:74]
	;; [unrolled: 1-line block ×4, first 2 shown]
	s_waitcnt vmcnt(2)
	v_add_f64 v[71:72], v[126:127], -v[71:72]
	s_waitcnt vmcnt(0)
	v_add_f64 v[2:3], v[128:129], -v[2:3]
	buffer_store_dword v72, off, s[0:3], 0 offset:356
	buffer_store_dword v71, off, s[0:3], 0 offset:352
	;; [unrolled: 1-line block ×4, first 2 shown]
	v_cmpx_lt_u32_e32 20, v0
	s_cbranch_execz .LBB32_171
; %bb.170:
	v_mov_b32_e32 v2, s24
	s_clause 0x3
	buffer_load_dword v71, v2, s[0:3], 0 offen
	buffer_load_dword v72, v2, s[0:3], 0 offen offset:4
	buffer_load_dword v73, v2, s[0:3], 0 offen offset:8
	;; [unrolled: 1-line block ×3, first 2 shown]
	buffer_store_dword v1, off, s[0:3], 0 offset:336
	buffer_store_dword v1, off, s[0:3], 0 offset:340
	;; [unrolled: 1-line block ×4, first 2 shown]
	s_waitcnt vmcnt(0)
	ds_write_b128 v83, v[71:74]
.LBB32_171:
	s_or_b32 exec_lo, exec_lo, s4
	s_waitcnt lgkmcnt(0)
	s_waitcnt_vscnt null, 0x0
	s_barrier
	buffer_gl0_inv
	s_clause 0x2f
	buffer_load_dword v2, off, s[0:3], 0 offset:360
	buffer_load_dword v3, off, s[0:3], 0 offset:364
	;; [unrolled: 1-line block ×48, first 2 shown]
	ds_read_b128 v[71:74], v1 offset:864
	s_clause 0x3
	buffer_load_dword v130, off, s[0:3], 0 offset:336
	buffer_load_dword v131, off, s[0:3], 0 offset:340
	;; [unrolled: 1-line block ×4, first 2 shown]
	ds_read_b128 v[75:78], v1 offset:880
	ds_read_b128 v[79:82], v1 offset:896
	s_mov_b32 s4, exec_lo
	s_waitcnt vmcnt(50) lgkmcnt(2)
	v_mul_f64 v[134:135], v[73:74], v[2:3]
	v_mul_f64 v[2:3], v[71:72], v[2:3]
	s_waitcnt vmcnt(48) lgkmcnt(1)
	v_mul_f64 v[136:137], v[77:78], v[84:85]
	v_mul_f64 v[84:85], v[75:76], v[84:85]
	s_waitcnt vmcnt(46)
	v_fma_f64 v[134:135], v[71:72], v[86:87], -v[134:135]
	v_fma_f64 v[2:3], v[73:74], v[86:87], v[2:3]
	s_waitcnt vmcnt(44) lgkmcnt(0)
	v_mul_f64 v[86:87], v[79:80], v[88:89]
	v_mul_f64 v[88:89], v[81:82], v[88:89]
	s_waitcnt vmcnt(42)
	v_fma_f64 v[136:137], v[75:76], v[90:91], -v[136:137]
	ds_read_b128 v[71:74], v1 offset:912
	v_fma_f64 v[84:85], v[77:78], v[90:91], v[84:85]
	ds_read_b128 v[75:78], v1 offset:928
	v_add_f64 v[134:135], v[134:135], 0
	v_add_f64 v[2:3], v[2:3], 0
	s_waitcnt vmcnt(36)
	v_fma_f64 v[86:87], v[81:82], v[98:99], v[86:87]
	s_waitcnt lgkmcnt(1)
	v_mul_f64 v[90:91], v[71:72], v[92:93]
	v_mul_f64 v[92:93], v[73:74], v[92:93]
	v_fma_f64 v[88:89], v[79:80], v[98:99], -v[88:89]
	ds_read_b128 v[79:82], v1 offset:944
	v_add_f64 v[134:135], v[134:135], v[136:137]
	v_add_f64 v[2:3], v[2:3], v[84:85]
	s_waitcnt vmcnt(35) lgkmcnt(1)
	v_mul_f64 v[84:85], v[75:76], v[94:95]
	v_mul_f64 v[94:95], v[77:78], v[94:95]
	s_waitcnt vmcnt(33)
	v_fma_f64 v[92:93], v[71:72], v[100:101], -v[92:93]
	v_fma_f64 v[90:91], v[73:74], v[100:101], v[90:91]
	ds_read_b128 v[71:74], v1 offset:960
	s_waitcnt vmcnt(29) lgkmcnt(1)
	v_mul_f64 v[98:99], v[81:82], v[102:103]
	v_add_f64 v[88:89], v[134:135], v[88:89]
	v_add_f64 v[2:3], v[2:3], v[86:87]
	v_mul_f64 v[86:87], v[79:80], v[102:103]
	s_waitcnt vmcnt(28)
	v_fma_f64 v[94:95], v[75:76], v[96:97], -v[94:95]
	v_fma_f64 v[84:85], v[77:78], v[96:97], v[84:85]
	ds_read_b128 v[75:78], v1 offset:976
	s_waitcnt vmcnt(25)
	v_fma_f64 v[96:97], v[79:80], v[108:109], -v[98:99]
	v_add_f64 v[88:89], v[88:89], v[92:93]
	v_add_f64 v[2:3], v[2:3], v[90:91]
	s_waitcnt lgkmcnt(1)
	v_mul_f64 v[92:93], v[73:74], v[104:105]
	v_mul_f64 v[90:91], v[71:72], v[104:105]
	v_fma_f64 v[86:87], v[81:82], v[108:109], v[86:87]
	ds_read_b128 v[79:82], v1 offset:992
	v_add_f64 v[88:89], v[88:89], v[94:95]
	v_add_f64 v[2:3], v[2:3], v[84:85]
	s_waitcnt vmcnt(21) lgkmcnt(1)
	v_mul_f64 v[94:95], v[77:78], v[110:111]
	s_waitcnt vmcnt(20)
	v_fma_f64 v[92:93], v[71:72], v[106:107], -v[92:93]
	v_mul_f64 v[84:85], v[75:76], v[110:111]
	v_fma_f64 v[90:91], v[73:74], v[106:107], v[90:91]
	ds_read_b128 v[71:74], v1 offset:1008
	v_add_f64 v[88:89], v[88:89], v[96:97]
	v_add_f64 v[2:3], v[2:3], v[86:87]
	s_waitcnt vmcnt(19) lgkmcnt(1)
	v_mul_f64 v[96:97], v[81:82], v[112:113]
	s_waitcnt vmcnt(17)
	v_fma_f64 v[94:95], v[75:76], v[116:117], -v[94:95]
	v_mul_f64 v[86:87], v[79:80], v[112:113]
	v_fma_f64 v[84:85], v[77:78], v[116:117], v[84:85]
	ds_read_b128 v[75:78], v1 offset:1024
	v_add_f64 v[88:89], v[88:89], v[92:93]
	v_add_f64 v[2:3], v[2:3], v[90:91]
	s_waitcnt vmcnt(13) lgkmcnt(1)
	v_mul_f64 v[92:93], v[73:74], v[118:119]
	s_waitcnt vmcnt(12)
	v_fma_f64 v[79:80], v[79:80], v[114:115], -v[96:97]
	v_mul_f64 v[90:91], v[71:72], v[118:119]
	v_fma_f64 v[81:82], v[81:82], v[114:115], v[86:87]
	s_waitcnt vmcnt(11) lgkmcnt(0)
	v_mul_f64 v[86:87], v[75:76], v[120:121]
	v_add_f64 v[88:89], v[88:89], v[94:95]
	v_add_f64 v[84:85], v[2:3], v[84:85]
	v_mul_f64 v[94:95], v[77:78], v[120:121]
	s_waitcnt vmcnt(9)
	v_fma_f64 v[71:72], v[71:72], v[124:125], -v[92:93]
	ds_read_b128 v[1:4], v1 offset:1040
	v_fma_f64 v[73:74], v[73:74], v[124:125], v[90:91]
	s_waitcnt vmcnt(6)
	v_fma_f64 v[77:78], v[77:78], v[122:123], v[86:87]
	v_add_f64 v[79:80], v[88:89], v[79:80]
	v_add_f64 v[81:82], v[84:85], v[81:82]
	s_waitcnt lgkmcnt(0)
	v_mul_f64 v[88:89], v[3:4], v[126:127]
	v_fma_f64 v[75:76], v[75:76], v[122:123], -v[94:95]
	v_mul_f64 v[84:85], v[1:2], v[126:127]
	v_add_f64 v[71:72], v[79:80], v[71:72]
	v_add_f64 v[73:74], v[81:82], v[73:74]
	s_waitcnt vmcnt(4)
	v_fma_f64 v[1:2], v[1:2], v[128:129], -v[88:89]
	v_fma_f64 v[3:4], v[3:4], v[128:129], v[84:85]
	v_add_f64 v[71:72], v[71:72], v[75:76]
	v_add_f64 v[73:74], v[73:74], v[77:78]
	;; [unrolled: 1-line block ×4, first 2 shown]
	s_waitcnt vmcnt(2)
	v_add_f64 v[1:2], v[130:131], -v[1:2]
	s_waitcnt vmcnt(0)
	v_add_f64 v[3:4], v[132:133], -v[3:4]
	buffer_store_dword v2, off, s[0:3], 0 offset:340
	buffer_store_dword v1, off, s[0:3], 0 offset:336
	buffer_store_dword v4, off, s[0:3], 0 offset:348
	buffer_store_dword v3, off, s[0:3], 0 offset:344
	v_cmpx_lt_u32_e32 19, v0
	s_cbranch_execz .LBB32_173
; %bb.172:
	v_mov_b32_e32 v4, s25
	v_mov_b32_e32 v71, 0
	s_clause 0x3
	buffer_load_dword v1, v4, s[0:3], 0 offen
	buffer_load_dword v2, v4, s[0:3], 0 offen offset:4
	buffer_load_dword v3, v4, s[0:3], 0 offen offset:8
	;; [unrolled: 1-line block ×3, first 2 shown]
	buffer_store_dword v71, off, s[0:3], 0 offset:320
	buffer_store_dword v71, off, s[0:3], 0 offset:324
	;; [unrolled: 1-line block ×4, first 2 shown]
	s_waitcnt vmcnt(0)
	ds_write_b128 v83, v[1:4]
.LBB32_173:
	s_or_b32 exec_lo, exec_lo, s4
	s_waitcnt lgkmcnt(0)
	s_waitcnt_vscnt null, 0x0
	s_barrier
	buffer_gl0_inv
	s_clause 0x33
	buffer_load_dword v2, off, s[0:3], 0 offset:344
	buffer_load_dword v3, off, s[0:3], 0 offset:348
	;; [unrolled: 1-line block ×52, first 2 shown]
	v_mov_b32_e32 v1, 0
	ds_read_b128 v[71:74], v1 offset:848
	ds_read_b128 v[75:78], v1 offset:864
	s_clause 0x3
	buffer_load_dword v136, off, s[0:3], 0 offset:320
	buffer_load_dword v137, off, s[0:3], 0 offset:324
	;; [unrolled: 1-line block ×4, first 2 shown]
	ds_read_b128 v[79:82], v1 offset:880
	s_mov_b32 s4, exec_lo
	s_waitcnt vmcnt(54) lgkmcnt(2)
	v_mul_f64 v[134:135], v[73:74], v[2:3]
	v_mul_f64 v[2:3], v[71:72], v[2:3]
	s_waitcnt vmcnt(52) lgkmcnt(1)
	v_mul_f64 v[140:141], v[77:78], v[84:85]
	v_mul_f64 v[84:85], v[75:76], v[84:85]
	s_waitcnt vmcnt(50)
	v_fma_f64 v[134:135], v[71:72], v[86:87], -v[134:135]
	v_fma_f64 v[2:3], v[73:74], v[86:87], v[2:3]
	ds_read_b128 v[71:74], v1 offset:896
	s_waitcnt vmcnt(48) lgkmcnt(1)
	v_mul_f64 v[86:87], v[79:80], v[88:89]
	v_mul_f64 v[88:89], v[81:82], v[88:89]
	s_waitcnt vmcnt(46)
	v_fma_f64 v[140:141], v[75:76], v[90:91], -v[140:141]
	v_fma_f64 v[84:85], v[77:78], v[90:91], v[84:85]
	ds_read_b128 v[75:78], v1 offset:912
	s_waitcnt vmcnt(42) lgkmcnt(1)
	v_mul_f64 v[90:91], v[71:72], v[92:93]
	v_add_f64 v[134:135], v[134:135], 0
	v_add_f64 v[2:3], v[2:3], 0
	v_mul_f64 v[92:93], v[73:74], v[92:93]
	s_waitcnt vmcnt(40)
	v_fma_f64 v[88:89], v[79:80], v[98:99], -v[88:89]
	v_fma_f64 v[86:87], v[81:82], v[98:99], v[86:87]
	ds_read_b128 v[79:82], v1 offset:928
	s_waitcnt vmcnt(37)
	v_fma_f64 v[90:91], v[73:74], v[100:101], v[90:91]
	v_add_f64 v[134:135], v[134:135], v[140:141]
	v_add_f64 v[2:3], v[2:3], v[84:85]
	s_waitcnt lgkmcnt(1)
	v_mul_f64 v[84:85], v[75:76], v[94:95]
	v_mul_f64 v[94:95], v[77:78], v[94:95]
	v_fma_f64 v[92:93], v[71:72], v[100:101], -v[92:93]
	s_waitcnt vmcnt(33) lgkmcnt(0)
	v_mul_f64 v[98:99], v[81:82], v[102:103]
	ds_read_b128 v[71:74], v1 offset:944
	v_add_f64 v[88:89], v[134:135], v[88:89]
	v_add_f64 v[2:3], v[2:3], v[86:87]
	v_mul_f64 v[86:87], v[79:80], v[102:103]
	s_waitcnt vmcnt(32)
	v_fma_f64 v[94:95], v[75:76], v[96:97], -v[94:95]
	v_fma_f64 v[84:85], v[77:78], v[96:97], v[84:85]
	ds_read_b128 v[75:78], v1 offset:960
	s_waitcnt vmcnt(29)
	v_fma_f64 v[96:97], v[79:80], v[108:109], -v[98:99]
	v_add_f64 v[88:89], v[88:89], v[92:93]
	v_add_f64 v[2:3], v[2:3], v[90:91]
	s_waitcnt lgkmcnt(1)
	v_mul_f64 v[92:93], v[73:74], v[104:105]
	v_mul_f64 v[90:91], v[71:72], v[104:105]
	v_fma_f64 v[86:87], v[81:82], v[108:109], v[86:87]
	ds_read_b128 v[79:82], v1 offset:976
	v_add_f64 v[88:89], v[88:89], v[94:95]
	v_add_f64 v[2:3], v[2:3], v[84:85]
	s_waitcnt vmcnt(25) lgkmcnt(1)
	v_mul_f64 v[94:95], v[77:78], v[110:111]
	s_waitcnt vmcnt(24)
	v_fma_f64 v[92:93], v[71:72], v[106:107], -v[92:93]
	v_mul_f64 v[84:85], v[75:76], v[110:111]
	v_fma_f64 v[90:91], v[73:74], v[106:107], v[90:91]
	ds_read_b128 v[71:74], v1 offset:992
	v_add_f64 v[88:89], v[88:89], v[96:97]
	v_add_f64 v[2:3], v[2:3], v[86:87]
	s_waitcnt vmcnt(23) lgkmcnt(1)
	v_mul_f64 v[96:97], v[81:82], v[112:113]
	s_waitcnt vmcnt(21)
	v_fma_f64 v[94:95], v[75:76], v[116:117], -v[94:95]
	;; [unrolled: 9-line block ×5, first 2 shown]
	v_mul_f64 v[86:87], v[79:80], v[126:127]
	v_fma_f64 v[77:78], v[77:78], v[122:123], v[84:85]
	s_waitcnt vmcnt(7) lgkmcnt(0)
	v_mul_f64 v[84:85], v[71:72], v[128:129]
	v_add_f64 v[88:89], v[88:89], v[92:93]
	v_add_f64 v[2:3], v[2:3], v[90:91]
	v_mul_f64 v[90:91], v[73:74], v[128:129]
	s_waitcnt vmcnt(5)
	v_fma_f64 v[79:80], v[79:80], v[132:133], -v[96:97]
	v_fma_f64 v[81:82], v[81:82], v[132:133], v[86:87]
	s_waitcnt vmcnt(4)
	v_fma_f64 v[73:74], v[73:74], v[130:131], v[84:85]
	v_add_f64 v[75:76], v[88:89], v[75:76]
	v_add_f64 v[2:3], v[2:3], v[77:78]
	v_fma_f64 v[71:72], v[71:72], v[130:131], -v[90:91]
	v_add_f64 v[75:76], v[75:76], v[79:80]
	v_add_f64 v[2:3], v[2:3], v[81:82]
	;; [unrolled: 1-line block ×4, first 2 shown]
	s_waitcnt vmcnt(2)
	v_add_f64 v[71:72], v[136:137], -v[71:72]
	s_waitcnt vmcnt(0)
	v_add_f64 v[2:3], v[138:139], -v[2:3]
	buffer_store_dword v72, off, s[0:3], 0 offset:324
	buffer_store_dword v71, off, s[0:3], 0 offset:320
	;; [unrolled: 1-line block ×4, first 2 shown]
	v_cmpx_lt_u32_e32 18, v0
	s_cbranch_execz .LBB32_175
; %bb.174:
	v_mov_b32_e32 v2, s26
	s_clause 0x3
	buffer_load_dword v71, v2, s[0:3], 0 offen
	buffer_load_dword v72, v2, s[0:3], 0 offen offset:4
	buffer_load_dword v73, v2, s[0:3], 0 offen offset:8
	;; [unrolled: 1-line block ×3, first 2 shown]
	buffer_store_dword v1, off, s[0:3], 0 offset:304
	buffer_store_dword v1, off, s[0:3], 0 offset:308
	;; [unrolled: 1-line block ×4, first 2 shown]
	s_waitcnt vmcnt(0)
	ds_write_b128 v83, v[71:74]
.LBB32_175:
	s_or_b32 exec_lo, exec_lo, s4
	s_waitcnt lgkmcnt(0)
	s_waitcnt_vscnt null, 0x0
	s_barrier
	buffer_gl0_inv
	s_clause 0x35
	buffer_load_dword v2, off, s[0:3], 0 offset:328
	buffer_load_dword v3, off, s[0:3], 0 offset:332
	;; [unrolled: 1-line block ×54, first 2 shown]
	ds_read_b128 v[71:74], v1 offset:832
	s_clause 0x1
	buffer_load_dword v137, off, s[0:3], 0 offset:532
	buffer_load_dword v136, off, s[0:3], 0 offset:528
	ds_read_b128 v[75:78], v1 offset:848
	ds_read_b128 v[79:82], v1 offset:864
	s_mov_b32 s4, exec_lo
	s_waitcnt vmcnt(54) lgkmcnt(2)
	v_mul_f64 v[138:139], v[73:74], v[2:3]
	v_mul_f64 v[2:3], v[71:72], v[2:3]
	s_waitcnt vmcnt(52) lgkmcnt(1)
	v_mul_f64 v[140:141], v[77:78], v[84:85]
	v_mul_f64 v[84:85], v[75:76], v[84:85]
	;; [unrolled: 3-line block ×3, first 2 shown]
	v_fma_f64 v[138:139], v[71:72], v[86:87], -v[138:139]
	v_fma_f64 v[2:3], v[73:74], v[86:87], v[2:3]
	s_clause 0x3
	buffer_load_dword v86, off, s[0:3], 0 offset:304
	buffer_load_dword v87, off, s[0:3], 0 offset:308
	;; [unrolled: 1-line block ×4, first 2 shown]
	s_waitcnt vmcnt(50)
	v_fma_f64 v[140:141], v[75:76], v[90:91], -v[140:141]
	ds_read_b128 v[71:74], v1 offset:880
	v_fma_f64 v[84:85], v[77:78], v[90:91], v[84:85]
	ds_read_b128 v[75:78], v1 offset:896
	s_waitcnt vmcnt(46)
	v_fma_f64 v[88:89], v[79:80], v[94:95], -v[88:89]
	v_fma_f64 v[94:95], v[81:82], v[94:95], v[144:145]
	ds_read_b128 v[79:82], v1 offset:912
	v_add_f64 v[138:139], v[138:139], 0
	v_add_f64 v[2:3], v[2:3], 0
	s_waitcnt lgkmcnt(2)
	v_mul_f64 v[90:91], v[71:72], v[92:93]
	v_mul_f64 v[92:93], v[73:74], v[92:93]
	v_add_f64 v[138:139], v[138:139], v[140:141]
	v_add_f64 v[2:3], v[2:3], v[84:85]
	s_waitcnt vmcnt(44) lgkmcnt(1)
	v_mul_f64 v[84:85], v[75:76], v[96:97]
	v_mul_f64 v[96:97], v[77:78], v[96:97]
	s_waitcnt vmcnt(42)
	v_fma_f64 v[92:93], v[71:72], v[98:99], -v[92:93]
	v_fma_f64 v[90:91], v[73:74], v[98:99], v[90:91]
	ds_read_b128 v[71:74], v1 offset:928
	s_waitcnt vmcnt(40) lgkmcnt(1)
	v_mul_f64 v[98:99], v[81:82], v[100:101]
	v_add_f64 v[88:89], v[138:139], v[88:89]
	v_add_f64 v[2:3], v[2:3], v[94:95]
	v_mul_f64 v[94:95], v[79:80], v[100:101]
	s_waitcnt vmcnt(38)
	v_fma_f64 v[96:97], v[75:76], v[102:103], -v[96:97]
	v_fma_f64 v[84:85], v[77:78], v[102:103], v[84:85]
	ds_read_b128 v[75:78], v1 offset:944
	s_waitcnt vmcnt(34)
	v_fma_f64 v[98:99], v[79:80], v[106:107], -v[98:99]
	v_add_f64 v[88:89], v[88:89], v[92:93]
	v_add_f64 v[2:3], v[2:3], v[90:91]
	s_waitcnt lgkmcnt(1)
	v_mul_f64 v[92:93], v[73:74], v[104:105]
	v_mul_f64 v[90:91], v[71:72], v[104:105]
	v_fma_f64 v[94:95], v[81:82], v[106:107], v[94:95]
	ds_read_b128 v[79:82], v1 offset:960
	v_add_f64 v[88:89], v[88:89], v[96:97]
	v_add_f64 v[2:3], v[2:3], v[84:85]
	s_waitcnt vmcnt(32) lgkmcnt(1)
	v_mul_f64 v[96:97], v[77:78], v[108:109]
	s_waitcnt vmcnt(30)
	v_fma_f64 v[92:93], v[71:72], v[110:111], -v[92:93]
	v_mul_f64 v[84:85], v[75:76], v[108:109]
	v_fma_f64 v[90:91], v[73:74], v[110:111], v[90:91]
	ds_read_b128 v[71:74], v1 offset:976
	v_add_f64 v[88:89], v[88:89], v[98:99]
	v_add_f64 v[2:3], v[2:3], v[94:95]
	s_waitcnt vmcnt(28) lgkmcnt(1)
	v_mul_f64 v[98:99], v[81:82], v[112:113]
	s_waitcnt vmcnt(26)
	v_fma_f64 v[96:97], v[75:76], v[114:115], -v[96:97]
	;; [unrolled: 9-line block ×5, first 2 shown]
	v_mul_f64 v[94:95], v[79:80], v[124:125]
	v_fma_f64 v[77:78], v[77:78], v[126:127], v[84:85]
	v_add_f64 v[88:89], v[88:89], v[92:93]
	v_add_f64 v[84:85], v[2:3], v[90:91]
	s_waitcnt vmcnt(12) lgkmcnt(0)
	v_mul_f64 v[92:93], v[73:74], v[128:129]
	s_waitcnt vmcnt(10)
	v_fma_f64 v[79:80], v[79:80], v[130:131], -v[98:99]
	ds_read_b128 v[1:4], v1 offset:1040
	v_mul_f64 v[90:91], v[71:72], v[128:129]
	v_fma_f64 v[81:82], v[81:82], v[130:131], v[94:95]
	v_add_f64 v[75:76], v[88:89], v[75:76]
	v_add_f64 v[77:78], v[84:85], v[77:78]
	s_waitcnt vmcnt(8) lgkmcnt(0)
	v_mul_f64 v[88:89], v[3:4], v[132:133]
	s_waitcnt vmcnt(6)
	v_fma_f64 v[71:72], v[71:72], v[134:135], -v[92:93]
	v_mul_f64 v[84:85], v[1:2], v[132:133]
	v_fma_f64 v[73:74], v[73:74], v[134:135], v[90:91]
	v_add_f64 v[75:76], v[75:76], v[79:80]
	v_add_f64 v[77:78], v[77:78], v[81:82]
	s_waitcnt vmcnt(4)
	v_fma_f64 v[1:2], v[1:2], v[136:137], -v[88:89]
	v_fma_f64 v[3:4], v[3:4], v[136:137], v[84:85]
	v_add_f64 v[71:72], v[75:76], v[71:72]
	v_add_f64 v[73:74], v[77:78], v[73:74]
	;; [unrolled: 1-line block ×4, first 2 shown]
	s_waitcnt vmcnt(2)
	v_add_f64 v[1:2], v[86:87], -v[1:2]
	s_waitcnt vmcnt(0)
	v_add_f64 v[3:4], v[142:143], -v[3:4]
	buffer_store_dword v2, off, s[0:3], 0 offset:308
	buffer_store_dword v1, off, s[0:3], 0 offset:304
	;; [unrolled: 1-line block ×4, first 2 shown]
	v_cmpx_lt_u32_e32 17, v0
	s_cbranch_execz .LBB32_177
; %bb.176:
	v_mov_b32_e32 v4, s27
	v_mov_b32_e32 v71, 0
	s_clause 0x3
	buffer_load_dword v1, v4, s[0:3], 0 offen
	buffer_load_dword v2, v4, s[0:3], 0 offen offset:4
	buffer_load_dword v3, v4, s[0:3], 0 offen offset:8
	;; [unrolled: 1-line block ×3, first 2 shown]
	buffer_store_dword v71, off, s[0:3], 0 offset:288
	buffer_store_dword v71, off, s[0:3], 0 offset:292
	;; [unrolled: 1-line block ×4, first 2 shown]
	s_waitcnt vmcnt(0)
	ds_write_b128 v83, v[1:4]
.LBB32_177:
	s_or_b32 exec_lo, exec_lo, s4
	s_waitcnt lgkmcnt(0)
	s_waitcnt_vscnt null, 0x0
	s_barrier
	buffer_gl0_inv
	s_clause 0x37
	buffer_load_dword v2, off, s[0:3], 0 offset:312
	buffer_load_dword v3, off, s[0:3], 0 offset:316
	;; [unrolled: 1-line block ×56, first 2 shown]
	v_mov_b32_e32 v1, 0
	s_mov_b32 s4, exec_lo
	ds_read_b128 v[71:74], v1 offset:816
	s_clause 0x2
	buffer_load_dword v137, off, s[0:3], 0 offset:540
	buffer_load_dword v141, off, s[0:3], 0 offset:516
	;; [unrolled: 1-line block ×3, first 2 shown]
	ds_read_b128 v[75:78], v1 offset:832
	ds_read_b128 v[79:82], v1 offset:848
	buffer_load_dword v139, off, s[0:3], 0 offset:532
	s_waitcnt vmcnt(58) lgkmcnt(2)
	v_mul_f64 v[142:143], v[73:74], v[2:3]
	v_mul_f64 v[2:3], v[71:72], v[2:3]
	s_waitcnt vmcnt(56) lgkmcnt(1)
	v_mul_f64 v[144:145], v[77:78], v[84:85]
	v_mul_f64 v[84:85], v[75:76], v[84:85]
	s_waitcnt vmcnt(54)
	v_fma_f64 v[142:143], v[71:72], v[86:87], -v[142:143]
	v_fma_f64 v[2:3], v[73:74], v[86:87], v[2:3]
	s_waitcnt vmcnt(52) lgkmcnt(0)
	v_mul_f64 v[86:87], v[79:80], v[88:89]
	v_mul_f64 v[88:89], v[81:82], v[88:89]
	s_waitcnt vmcnt(50)
	v_fma_f64 v[144:145], v[75:76], v[90:91], -v[144:145]
	ds_read_b128 v[71:74], v1 offset:864
	v_fma_f64 v[84:85], v[77:78], v[90:91], v[84:85]
	s_clause 0x3
	buffer_load_dword v90, off, s[0:3], 0 offset:288
	buffer_load_dword v91, off, s[0:3], 0 offset:292
	;; [unrolled: 1-line block ×4, first 2 shown]
	ds_read_b128 v[75:78], v1 offset:880
	v_add_f64 v[142:143], v[142:143], 0
	v_add_f64 v[2:3], v[2:3], 0
	s_waitcnt vmcnt(48)
	v_fma_f64 v[86:87], v[81:82], v[98:99], v[86:87]
	s_waitcnt lgkmcnt(1)
	v_mul_f64 v[148:149], v[71:72], v[92:93]
	v_mul_f64 v[92:93], v[73:74], v[92:93]
	v_fma_f64 v[88:89], v[79:80], v[98:99], -v[88:89]
	ds_read_b128 v[79:82], v1 offset:896
	v_add_f64 v[142:143], v[142:143], v[144:145]
	v_add_f64 v[2:3], v[2:3], v[84:85]
	s_waitcnt vmcnt(47) lgkmcnt(1)
	v_mul_f64 v[84:85], v[75:76], v[94:95]
	v_mul_f64 v[94:95], v[77:78], v[94:95]
	s_waitcnt vmcnt(45)
	v_fma_f64 v[92:93], v[71:72], v[100:101], -v[92:93]
	v_fma_f64 v[98:99], v[73:74], v[100:101], v[148:149]
	s_waitcnt vmcnt(41) lgkmcnt(0)
	v_mul_f64 v[100:101], v[81:82], v[102:103]
	ds_read_b128 v[71:74], v1 offset:912
	v_add_f64 v[88:89], v[142:143], v[88:89]
	v_add_f64 v[2:3], v[2:3], v[86:87]
	v_mul_f64 v[86:87], v[79:80], v[102:103]
	s_waitcnt vmcnt(40)
	v_fma_f64 v[94:95], v[75:76], v[96:97], -v[94:95]
	v_fma_f64 v[84:85], v[77:78], v[96:97], v[84:85]
	ds_read_b128 v[75:78], v1 offset:928
	s_waitcnt vmcnt(39) lgkmcnt(1)
	v_mul_f64 v[96:97], v[73:74], v[104:105]
	v_add_f64 v[88:89], v[88:89], v[92:93]
	v_add_f64 v[2:3], v[2:3], v[98:99]
	s_waitcnt vmcnt(37)
	v_fma_f64 v[98:99], v[79:80], v[108:109], -v[100:101]
	v_mul_f64 v[92:93], v[71:72], v[104:105]
	v_fma_f64 v[86:87], v[81:82], v[108:109], v[86:87]
	ds_read_b128 v[79:82], v1 offset:944
	s_waitcnt vmcnt(32)
	v_fma_f64 v[96:97], v[71:72], v[106:107], -v[96:97]
	v_add_f64 v[88:89], v[88:89], v[94:95]
	v_add_f64 v[2:3], v[2:3], v[84:85]
	s_waitcnt lgkmcnt(1)
	v_mul_f64 v[94:95], v[77:78], v[110:111]
	v_mul_f64 v[84:85], v[75:76], v[110:111]
	v_fma_f64 v[92:93], v[73:74], v[106:107], v[92:93]
	ds_read_b128 v[71:74], v1 offset:960
	v_add_f64 v[88:89], v[88:89], v[98:99]
	v_add_f64 v[2:3], v[2:3], v[86:87]
	s_waitcnt vmcnt(31) lgkmcnt(1)
	v_mul_f64 v[98:99], v[81:82], v[112:113]
	s_waitcnt vmcnt(29)
	v_fma_f64 v[94:95], v[75:76], v[116:117], -v[94:95]
	v_mul_f64 v[86:87], v[79:80], v[112:113]
	v_fma_f64 v[84:85], v[77:78], v[116:117], v[84:85]
	ds_read_b128 v[75:78], v1 offset:976
	v_add_f64 v[88:89], v[88:89], v[96:97]
	v_add_f64 v[2:3], v[2:3], v[92:93]
	s_waitcnt vmcnt(25) lgkmcnt(1)
	v_mul_f64 v[96:97], v[73:74], v[118:119]
	s_waitcnt vmcnt(24)
	v_fma_f64 v[98:99], v[79:80], v[114:115], -v[98:99]
	;; [unrolled: 9-line block ×6, first 2 shown]
	v_mul_f64 v[84:85], v[75:76], v[134:135]
	v_fma_f64 v[73:74], v[73:74], v[130:131], v[92:93]
	s_waitcnt vmcnt(7) lgkmcnt(0)
	v_mul_f64 v[92:93], v[81:82], v[136:137]
	v_add_f64 v[88:89], v[88:89], v[98:99]
	v_add_f64 v[2:3], v[2:3], v[86:87]
	s_waitcnt vmcnt(5)
	v_fma_f64 v[75:76], v[75:76], v[140:141], -v[94:95]
	v_mul_f64 v[86:87], v[79:80], v[136:137]
	v_fma_f64 v[77:78], v[77:78], v[140:141], v[84:85]
	v_add_f64 v[71:72], v[88:89], v[71:72]
	v_add_f64 v[2:3], v[2:3], v[73:74]
	s_waitcnt vmcnt(4)
	v_fma_f64 v[73:74], v[79:80], v[138:139], -v[92:93]
	v_add_f64 v[71:72], v[71:72], v[75:76]
	v_fma_f64 v[75:76], v[81:82], v[138:139], v[86:87]
	v_add_f64 v[2:3], v[2:3], v[77:78]
	v_add_f64 v[71:72], v[71:72], v[73:74]
	;; [unrolled: 1-line block ×3, first 2 shown]
	s_waitcnt vmcnt(2)
	v_add_f64 v[71:72], v[90:91], -v[71:72]
	s_waitcnt vmcnt(0)
	v_add_f64 v[2:3], v[146:147], -v[2:3]
	buffer_store_dword v72, off, s[0:3], 0 offset:292
	buffer_store_dword v71, off, s[0:3], 0 offset:288
	;; [unrolled: 1-line block ×4, first 2 shown]
	v_cmpx_lt_u32_e32 16, v0
	s_cbranch_execz .LBB32_179
; %bb.178:
	v_mov_b32_e32 v2, s28
	s_clause 0x3
	buffer_load_dword v71, v2, s[0:3], 0 offen
	buffer_load_dword v72, v2, s[0:3], 0 offen offset:4
	buffer_load_dword v73, v2, s[0:3], 0 offen offset:8
	buffer_load_dword v74, v2, s[0:3], 0 offen offset:12
	buffer_store_dword v1, off, s[0:3], 0 offset:272
	buffer_store_dword v1, off, s[0:3], 0 offset:276
	buffer_store_dword v1, off, s[0:3], 0 offset:280
	buffer_store_dword v1, off, s[0:3], 0 offset:284
	s_waitcnt vmcnt(0)
	ds_write_b128 v83, v[71:74]
.LBB32_179:
	s_or_b32 exec_lo, exec_lo, s4
	s_waitcnt lgkmcnt(0)
	s_waitcnt_vscnt null, 0x0
	s_barrier
	buffer_gl0_inv
	s_clause 0x37
	buffer_load_dword v2, off, s[0:3], 0 offset:296
	buffer_load_dword v3, off, s[0:3], 0 offset:300
	;; [unrolled: 1-line block ×56, first 2 shown]
	ds_read_b128 v[71:74], v1 offset:800
	s_clause 0x2
	buffer_load_dword v137, off, s[0:3], 0 offset:524
	buffer_load_dword v141, off, s[0:3], 0 offset:500
	;; [unrolled: 1-line block ×3, first 2 shown]
	ds_read_b128 v[75:78], v1 offset:816
	s_clause 0x2
	buffer_load_dword v145, off, s[0:3], 0 offset:540
	buffer_load_dword v144, off, s[0:3], 0 offset:536
	;; [unrolled: 1-line block ×3, first 2 shown]
	ds_read_b128 v[79:82], v1 offset:832
	s_mov_b32 s4, exec_lo
	s_waitcnt vmcnt(60) lgkmcnt(2)
	v_mul_f64 v[142:143], v[73:74], v[2:3]
	v_mul_f64 v[2:3], v[71:72], v[2:3]
	s_waitcnt vmcnt(58) lgkmcnt(1)
	v_mul_f64 v[146:147], v[77:78], v[84:85]
	v_mul_f64 v[84:85], v[75:76], v[84:85]
	;; [unrolled: 3-line block ×3, first 2 shown]
	v_fma_f64 v[142:143], v[71:72], v[86:87], -v[142:143]
	v_fma_f64 v[2:3], v[73:74], v[86:87], v[2:3]
	s_clause 0x1
	buffer_load_dword v87, off, s[0:3], 0 offset:532
	buffer_load_dword v86, off, s[0:3], 0 offset:528
	s_waitcnt vmcnt(54)
	v_fma_f64 v[146:147], v[75:76], v[90:91], -v[146:147]
	ds_read_b128 v[71:74], v1 offset:848
	v_fma_f64 v[84:85], v[77:78], v[90:91], v[84:85]
	ds_read_b128 v[75:78], v1 offset:864
	s_waitcnt vmcnt(48)
	v_fma_f64 v[88:89], v[79:80], v[98:99], -v[88:89]
	v_fma_f64 v[98:99], v[81:82], v[98:99], v[148:149]
	v_add_f64 v[142:143], v[142:143], 0
	v_add_f64 v[2:3], v[2:3], 0
	s_waitcnt lgkmcnt(1)
	v_mul_f64 v[90:91], v[71:72], v[92:93]
	v_mul_f64 v[92:93], v[73:74], v[92:93]
	s_waitcnt vmcnt(47) lgkmcnt(0)
	v_mul_f64 v[148:149], v[75:76], v[94:95]
	v_mul_f64 v[94:95], v[77:78], v[94:95]
	v_add_f64 v[142:143], v[142:143], v[146:147]
	v_add_f64 v[2:3], v[2:3], v[84:85]
	s_clause 0x3
	buffer_load_dword v84, off, s[0:3], 0 offset:272
	buffer_load_dword v85, off, s[0:3], 0 offset:276
	;; [unrolled: 1-line block ×4, first 2 shown]
	s_waitcnt vmcnt(49)
	v_fma_f64 v[92:93], v[71:72], v[100:101], -v[92:93]
	ds_read_b128 v[79:82], v1 offset:880
	v_fma_f64 v[90:91], v[73:74], v[100:101], v[90:91]
	ds_read_b128 v[71:74], v1 offset:896
	s_waitcnt vmcnt(44)
	v_fma_f64 v[94:95], v[75:76], v[96:97], -v[94:95]
	v_add_f64 v[88:89], v[142:143], v[88:89]
	v_add_f64 v[2:3], v[2:3], v[98:99]
	s_waitcnt lgkmcnt(1)
	v_mul_f64 v[100:101], v[81:82], v[102:103]
	v_mul_f64 v[98:99], v[79:80], v[102:103]
	v_add_f64 v[88:89], v[88:89], v[92:93]
	v_fma_f64 v[92:93], v[77:78], v[96:97], v[148:149]
	v_add_f64 v[2:3], v[2:3], v[90:91]
	s_waitcnt vmcnt(43) lgkmcnt(0)
	v_mul_f64 v[96:97], v[73:74], v[104:105]
	s_waitcnt vmcnt(41)
	v_fma_f64 v[100:101], v[79:80], v[108:109], -v[100:101]
	ds_read_b128 v[75:78], v1 offset:912
	v_mul_f64 v[90:91], v[71:72], v[104:105]
	v_add_f64 v[88:89], v[88:89], v[94:95]
	v_fma_f64 v[94:95], v[81:82], v[108:109], v[98:99]
	v_add_f64 v[2:3], v[2:3], v[92:93]
	ds_read_b128 v[79:82], v1 offset:928
	s_waitcnt vmcnt(37) lgkmcnt(1)
	v_mul_f64 v[98:99], v[77:78], v[110:111]
	s_waitcnt vmcnt(36)
	v_fma_f64 v[96:97], v[71:72], v[106:107], -v[96:97]
	v_mul_f64 v[92:93], v[75:76], v[110:111]
	v_fma_f64 v[90:91], v[73:74], v[106:107], v[90:91]
	ds_read_b128 v[71:74], v1 offset:944
	v_add_f64 v[88:89], v[88:89], v[100:101]
	s_waitcnt vmcnt(35) lgkmcnt(1)
	v_mul_f64 v[100:101], v[81:82], v[112:113]
	v_add_f64 v[2:3], v[2:3], v[94:95]
	v_mul_f64 v[94:95], v[79:80], v[112:113]
	s_waitcnt vmcnt(33)
	v_fma_f64 v[98:99], v[75:76], v[116:117], -v[98:99]
	v_fma_f64 v[92:93], v[77:78], v[116:117], v[92:93]
	ds_read_b128 v[75:78], v1 offset:960
	v_add_f64 v[88:89], v[88:89], v[96:97]
	s_waitcnt vmcnt(29) lgkmcnt(1)
	v_mul_f64 v[96:97], v[73:74], v[118:119]
	v_add_f64 v[2:3], v[2:3], v[90:91]
	s_waitcnt vmcnt(28)
	v_fma_f64 v[100:101], v[79:80], v[114:115], -v[100:101]
	v_mul_f64 v[90:91], v[71:72], v[118:119]
	v_fma_f64 v[94:95], v[81:82], v[114:115], v[94:95]
	ds_read_b128 v[79:82], v1 offset:976
	v_add_f64 v[88:89], v[88:89], v[98:99]
	s_waitcnt vmcnt(27) lgkmcnt(1)
	v_mul_f64 v[98:99], v[77:78], v[120:121]
	v_add_f64 v[2:3], v[2:3], v[92:93]
	s_waitcnt vmcnt(25)
	v_fma_f64 v[96:97], v[71:72], v[124:125], -v[96:97]
	v_mul_f64 v[92:93], v[75:76], v[120:121]
	;; [unrolled: 9-line block ×5, first 2 shown]
	v_fma_f64 v[73:74], v[73:74], v[130:131], v[90:91]
	s_waitcnt vmcnt(11) lgkmcnt(0)
	v_mul_f64 v[96:97], v[81:82], v[136:137]
	v_add_f64 v[88:89], v[88:89], v[100:101]
	s_waitcnt vmcnt(9)
	v_fma_f64 v[75:76], v[75:76], v[140:141], -v[98:99]
	v_add_f64 v[90:91], v[2:3], v[94:95]
	ds_read_b128 v[1:4], v1 offset:1040
	v_mul_f64 v[94:95], v[79:80], v[136:137]
	v_fma_f64 v[77:78], v[77:78], v[140:141], v[92:93]
	s_waitcnt vmcnt(6)
	v_fma_f64 v[79:80], v[79:80], v[138:139], -v[96:97]
	v_add_f64 v[71:72], v[88:89], v[71:72]
	s_waitcnt lgkmcnt(0)
	v_mul_f64 v[88:89], v[1:2], v[144:145]
	v_add_f64 v[73:74], v[90:91], v[73:74]
	v_mul_f64 v[90:91], v[3:4], v[144:145]
	v_add_f64 v[71:72], v[71:72], v[75:76]
	v_fma_f64 v[75:76], v[81:82], v[138:139], v[94:95]
	v_add_f64 v[73:74], v[73:74], v[77:78]
	s_waitcnt vmcnt(4)
	v_fma_f64 v[1:2], v[1:2], v[86:87], -v[90:91]
	v_fma_f64 v[3:4], v[3:4], v[86:87], v[88:89]
	v_add_f64 v[71:72], v[71:72], v[79:80]
	v_add_f64 v[73:74], v[73:74], v[75:76]
	v_add_f64 v[1:2], v[71:72], v[1:2]
	v_add_f64 v[3:4], v[73:74], v[3:4]
	s_waitcnt vmcnt(2)
	v_add_f64 v[1:2], v[84:85], -v[1:2]
	s_waitcnt vmcnt(0)
	v_add_f64 v[3:4], v[146:147], -v[3:4]
	buffer_store_dword v2, off, s[0:3], 0 offset:276
	buffer_store_dword v1, off, s[0:3], 0 offset:272
	;; [unrolled: 1-line block ×4, first 2 shown]
	v_cmpx_lt_u32_e32 15, v0
	s_cbranch_execz .LBB32_181
; %bb.180:
	v_mov_b32_e32 v4, s29
	v_mov_b32_e32 v71, 0
	s_clause 0x3
	buffer_load_dword v1, v4, s[0:3], 0 offen
	buffer_load_dword v2, v4, s[0:3], 0 offen offset:4
	buffer_load_dword v3, v4, s[0:3], 0 offen offset:8
	;; [unrolled: 1-line block ×3, first 2 shown]
	buffer_store_dword v71, off, s[0:3], 0 offset:256
	buffer_store_dword v71, off, s[0:3], 0 offset:260
	;; [unrolled: 1-line block ×4, first 2 shown]
	s_waitcnt vmcnt(0)
	ds_write_b128 v83, v[1:4]
.LBB32_181:
	s_or_b32 exec_lo, exec_lo, s4
	s_waitcnt lgkmcnt(0)
	s_waitcnt_vscnt null, 0x0
	s_barrier
	buffer_gl0_inv
	s_clause 0x37
	buffer_load_dword v2, off, s[0:3], 0 offset:280
	buffer_load_dword v3, off, s[0:3], 0 offset:284
	;; [unrolled: 1-line block ×56, first 2 shown]
	v_mov_b32_e32 v1, 0
	s_mov_b32 s4, exec_lo
	ds_read_b128 v[71:74], v1 offset:784
	s_clause 0x2
	buffer_load_dword v137, off, s[0:3], 0 offset:508
	buffer_load_dword v141, off, s[0:3], 0 offset:484
	;; [unrolled: 1-line block ×3, first 2 shown]
	ds_read_b128 v[75:78], v1 offset:800
	s_clause 0x4
	buffer_load_dword v145, off, s[0:3], 0 offset:524
	buffer_load_dword v146, off, s[0:3], 0 offset:536
	;; [unrolled: 1-line block ×5, first 2 shown]
	ds_read_b128 v[79:82], v1 offset:816
	s_waitcnt vmcnt(62) lgkmcnt(2)
	v_mul_f64 v[142:143], v[73:74], v[2:3]
	v_mul_f64 v[2:3], v[71:72], v[2:3]
	s_waitcnt vmcnt(60) lgkmcnt(1)
	v_mul_f64 v[149:150], v[77:78], v[84:85]
	v_mul_f64 v[84:85], v[75:76], v[84:85]
	;; [unrolled: 3-line block ×3, first 2 shown]
	v_fma_f64 v[142:143], v[71:72], v[86:87], -v[142:143]
	v_fma_f64 v[2:3], v[73:74], v[86:87], v[2:3]
	s_clause 0x2
	buffer_load_dword v147, off, s[0:3], 0 offset:540
	buffer_load_dword v87, off, s[0:3], 0 offset:516
	;; [unrolled: 1-line block ×3, first 2 shown]
	s_waitcnt vmcnt(57)
	v_fma_f64 v[153:154], v[75:76], v[90:91], -v[149:150]
	ds_read_b128 v[71:74], v1 offset:832
	v_fma_f64 v[84:85], v[77:78], v[90:91], v[84:85]
	buffer_load_dword v149, off, s[0:3], 0 offset:532
	ds_read_b128 v[75:78], v1 offset:848
	s_waitcnt vmcnt(52)
	v_fma_f64 v[88:89], v[79:80], v[98:99], -v[88:89]
	v_fma_f64 v[98:99], v[81:82], v[98:99], v[151:152]
	ds_read_b128 v[79:82], v1 offset:864
	v_add_f64 v[142:143], v[142:143], 0
	v_add_f64 v[2:3], v[2:3], 0
	s_waitcnt lgkmcnt(2)
	v_mul_f64 v[90:91], v[71:72], v[92:93]
	v_mul_f64 v[92:93], v[73:74], v[92:93]
	v_add_f64 v[142:143], v[142:143], v[153:154]
	v_add_f64 v[2:3], v[2:3], v[84:85]
	s_waitcnt vmcnt(51) lgkmcnt(1)
	v_mul_f64 v[84:85], v[75:76], v[94:95]
	v_mul_f64 v[94:95], v[77:78], v[94:95]
	s_waitcnt vmcnt(49)
	v_fma_f64 v[92:93], v[71:72], v[100:101], -v[92:93]
	v_fma_f64 v[90:91], v[73:74], v[100:101], v[90:91]
	v_add_f64 v[88:89], v[142:143], v[88:89]
	v_add_f64 v[2:3], v[2:3], v[98:99]
	s_clause 0x3
	buffer_load_dword v98, off, s[0:3], 0 offset:256
	buffer_load_dword v99, off, s[0:3], 0 offset:260
	;; [unrolled: 1-line block ×4, first 2 shown]
	s_waitcnt vmcnt(49) lgkmcnt(0)
	v_mul_f64 v[142:143], v[79:80], v[102:103]
	v_mul_f64 v[102:103], v[81:82], v[102:103]
	s_waitcnt vmcnt(48)
	v_fma_f64 v[94:95], v[75:76], v[96:97], -v[94:95]
	ds_read_b128 v[71:74], v1 offset:880
	v_fma_f64 v[84:85], v[77:78], v[96:97], v[84:85]
	ds_read_b128 v[75:78], v1 offset:896
	v_add_f64 v[88:89], v[88:89], v[92:93]
	v_add_f64 v[2:3], v[2:3], v[90:91]
	s_waitcnt vmcnt(47) lgkmcnt(1)
	v_mul_f64 v[92:93], v[73:74], v[104:105]
	s_waitcnt vmcnt(45)
	v_fma_f64 v[96:97], v[79:80], v[108:109], -v[102:103]
	v_mul_f64 v[90:91], v[71:72], v[104:105]
	s_waitcnt vmcnt(41) lgkmcnt(0)
	v_mul_f64 v[102:103], v[77:78], v[110:111]
	v_add_f64 v[88:89], v[88:89], v[94:95]
	v_fma_f64 v[94:95], v[81:82], v[108:109], v[142:143]
	v_add_f64 v[2:3], v[2:3], v[84:85]
	ds_read_b128 v[79:82], v1 offset:912
	s_waitcnt vmcnt(40)
	v_fma_f64 v[92:93], v[71:72], v[106:107], -v[92:93]
	v_mul_f64 v[84:85], v[75:76], v[110:111]
	v_fma_f64 v[90:91], v[73:74], v[106:107], v[90:91]
	ds_read_b128 v[71:74], v1 offset:928
	s_waitcnt vmcnt(37)
	v_fma_f64 v[102:103], v[75:76], v[116:117], -v[102:103]
	v_add_f64 v[88:89], v[88:89], v[96:97]
	s_waitcnt lgkmcnt(1)
	v_mul_f64 v[96:97], v[81:82], v[112:113]
	v_add_f64 v[2:3], v[2:3], v[94:95]
	v_mul_f64 v[94:95], v[79:80], v[112:113]
	v_fma_f64 v[84:85], v[77:78], v[116:117], v[84:85]
	ds_read_b128 v[75:78], v1 offset:944
	v_add_f64 v[88:89], v[88:89], v[92:93]
	s_waitcnt vmcnt(33) lgkmcnt(1)
	v_mul_f64 v[92:93], v[73:74], v[118:119]
	v_add_f64 v[2:3], v[2:3], v[90:91]
	s_waitcnt vmcnt(32)
	v_fma_f64 v[96:97], v[79:80], v[114:115], -v[96:97]
	v_mul_f64 v[90:91], v[71:72], v[118:119]
	v_fma_f64 v[94:95], v[81:82], v[114:115], v[94:95]
	ds_read_b128 v[79:82], v1 offset:960
	v_add_f64 v[88:89], v[88:89], v[102:103]
	s_waitcnt vmcnt(31) lgkmcnt(1)
	v_mul_f64 v[102:103], v[77:78], v[120:121]
	v_add_f64 v[2:3], v[2:3], v[84:85]
	s_waitcnt vmcnt(29)
	v_fma_f64 v[92:93], v[71:72], v[124:125], -v[92:93]
	;; [unrolled: 9-line block ×7, first 2 shown]
	v_mul_f64 v[90:91], v[71:72], v[144:145]
	v_fma_f64 v[81:82], v[81:82], v[138:139], v[94:95]
	v_add_f64 v[88:89], v[88:89], v[102:103]
	v_add_f64 v[2:3], v[2:3], v[84:85]
	s_waitcnt vmcnt(7) lgkmcnt(0)
	v_mul_f64 v[94:95], v[77:78], v[146:147]
	v_mul_f64 v[84:85], v[75:76], v[146:147]
	s_waitcnt vmcnt(5)
	v_fma_f64 v[71:72], v[71:72], v[86:87], -v[92:93]
	v_fma_f64 v[73:74], v[73:74], v[86:87], v[90:91]
	v_add_f64 v[79:80], v[88:89], v[79:80]
	v_add_f64 v[2:3], v[2:3], v[81:82]
	s_waitcnt vmcnt(4)
	v_fma_f64 v[75:76], v[75:76], v[148:149], -v[94:95]
	v_fma_f64 v[77:78], v[77:78], v[148:149], v[84:85]
	v_add_f64 v[71:72], v[79:80], v[71:72]
	v_add_f64 v[2:3], v[2:3], v[73:74]
	;; [unrolled: 1-line block ×4, first 2 shown]
	s_waitcnt vmcnt(2)
	v_add_f64 v[71:72], v[98:99], -v[71:72]
	s_waitcnt vmcnt(0)
	v_add_f64 v[2:3], v[100:101], -v[2:3]
	buffer_store_dword v72, off, s[0:3], 0 offset:260
	buffer_store_dword v71, off, s[0:3], 0 offset:256
	;; [unrolled: 1-line block ×4, first 2 shown]
	v_cmpx_lt_u32_e32 14, v0
	s_cbranch_execz .LBB32_183
; %bb.182:
	v_mov_b32_e32 v2, s30
	s_clause 0x3
	buffer_load_dword v71, v2, s[0:3], 0 offen
	buffer_load_dword v72, v2, s[0:3], 0 offen offset:4
	buffer_load_dword v73, v2, s[0:3], 0 offen offset:8
	;; [unrolled: 1-line block ×3, first 2 shown]
	buffer_store_dword v1, off, s[0:3], 0 offset:240
	buffer_store_dword v1, off, s[0:3], 0 offset:244
	;; [unrolled: 1-line block ×4, first 2 shown]
	s_waitcnt vmcnt(0)
	ds_write_b128 v83, v[71:74]
.LBB32_183:
	s_or_b32 exec_lo, exec_lo, s4
	s_waitcnt lgkmcnt(0)
	s_waitcnt_vscnt null, 0x0
	s_barrier
	buffer_gl0_inv
	s_clause 0x37
	buffer_load_dword v2, off, s[0:3], 0 offset:264
	buffer_load_dword v3, off, s[0:3], 0 offset:268
	buffer_load_dword v84, off, s[0:3], 0 offset:280
	buffer_load_dword v85, off, s[0:3], 0 offset:284
	buffer_load_dword v86, off, s[0:3], 0 offset:256
	buffer_load_dword v87, off, s[0:3], 0 offset:260
	buffer_load_dword v88, off, s[0:3], 0 offset:296
	buffer_load_dword v89, off, s[0:3], 0 offset:300
	buffer_load_dword v90, off, s[0:3], 0 offset:272
	buffer_load_dword v91, off, s[0:3], 0 offset:276
	buffer_load_dword v93, off, s[0:3], 0 offset:316
	buffer_load_dword v94, off, s[0:3], 0 offset:328
	buffer_load_dword v96, off, s[0:3], 0 offset:320
	buffer_load_dword v92, off, s[0:3], 0 offset:312
	buffer_load_dword v98, off, s[0:3], 0 offset:288
	buffer_load_dword v99, off, s[0:3], 0 offset:292
	buffer_load_dword v95, off, s[0:3], 0 offset:332
	buffer_load_dword v101, off, s[0:3], 0 offset:308
	buffer_load_dword v100, off, s[0:3], 0 offset:304
	buffer_load_dword v103, off, s[0:3], 0 offset:348
	buffer_load_dword v104, off, s[0:3], 0 offset:360
	buffer_load_dword v106, off, s[0:3], 0 offset:352
	buffer_load_dword v102, off, s[0:3], 0 offset:344
	buffer_load_dword v97, off, s[0:3], 0 offset:324
	buffer_load_dword v105, off, s[0:3], 0 offset:364
	buffer_load_dword v109, off, s[0:3], 0 offset:340
	buffer_load_dword v108, off, s[0:3], 0 offset:336
	buffer_load_dword v111, off, s[0:3], 0 offset:380
	buffer_load_dword v112, off, s[0:3], 0 offset:392
	buffer_load_dword v114, off, s[0:3], 0 offset:384
	buffer_load_dword v110, off, s[0:3], 0 offset:376
	buffer_load_dword v107, off, s[0:3], 0 offset:356
	buffer_load_dword v113, off, s[0:3], 0 offset:396
	buffer_load_dword v117, off, s[0:3], 0 offset:372
	buffer_load_dword v116, off, s[0:3], 0 offset:368
	buffer_load_dword v119, off, s[0:3], 0 offset:412
	buffer_load_dword v120, off, s[0:3], 0 offset:424
	buffer_load_dword v122, off, s[0:3], 0 offset:416
	buffer_load_dword v118, off, s[0:3], 0 offset:408
	buffer_load_dword v115, off, s[0:3], 0 offset:388
	buffer_load_dword v121, off, s[0:3], 0 offset:428
	buffer_load_dword v125, off, s[0:3], 0 offset:404
	buffer_load_dword v124, off, s[0:3], 0 offset:400
	buffer_load_dword v127, off, s[0:3], 0 offset:444
	buffer_load_dword v128, off, s[0:3], 0 offset:456
	buffer_load_dword v130, off, s[0:3], 0 offset:448
	buffer_load_dword v126, off, s[0:3], 0 offset:440
	buffer_load_dword v123, off, s[0:3], 0 offset:420
	buffer_load_dword v129, off, s[0:3], 0 offset:460
	buffer_load_dword v133, off, s[0:3], 0 offset:436
	buffer_load_dword v132, off, s[0:3], 0 offset:432
	buffer_load_dword v135, off, s[0:3], 0 offset:476
	buffer_load_dword v136, off, s[0:3], 0 offset:488
	buffer_load_dword v138, off, s[0:3], 0 offset:480
	buffer_load_dword v134, off, s[0:3], 0 offset:472
	buffer_load_dword v131, off, s[0:3], 0 offset:452
	ds_read_b128 v[71:74], v1 offset:768
	s_clause 0x2
	buffer_load_dword v137, off, s[0:3], 0 offset:492
	buffer_load_dword v141, off, s[0:3], 0 offset:468
	;; [unrolled: 1-line block ×3, first 2 shown]
	ds_read_b128 v[75:78], v1 offset:784
	s_clause 0x4
	buffer_load_dword v145, off, s[0:3], 0 offset:508
	buffer_load_dword v146, off, s[0:3], 0 offset:520
	;; [unrolled: 1-line block ×5, first 2 shown]
	ds_read_b128 v[79:82], v1 offset:800
	s_mov_b32 s4, exec_lo
	s_waitcnt vmcnt(62) lgkmcnt(2)
	v_mul_f64 v[142:143], v[73:74], v[2:3]
	v_mul_f64 v[2:3], v[71:72], v[2:3]
	s_waitcnt vmcnt(60) lgkmcnt(1)
	v_mul_f64 v[149:150], v[77:78], v[84:85]
	v_mul_f64 v[84:85], v[75:76], v[84:85]
	;; [unrolled: 3-line block ×3, first 2 shown]
	v_fma_f64 v[142:143], v[71:72], v[86:87], -v[142:143]
	v_fma_f64 v[2:3], v[73:74], v[86:87], v[2:3]
	s_clause 0x2
	buffer_load_dword v147, off, s[0:3], 0 offset:524
	buffer_load_dword v87, off, s[0:3], 0 offset:500
	;; [unrolled: 1-line block ×3, first 2 shown]
	s_waitcnt vmcnt(57)
	v_fma_f64 v[153:154], v[75:76], v[90:91], -v[149:150]
	ds_read_b128 v[71:74], v1 offset:816
	v_fma_f64 v[84:85], v[77:78], v[90:91], v[84:85]
	s_clause 0x2
	buffer_load_dword v91, off, s[0:3], 0 offset:540
	buffer_load_dword v90, off, s[0:3], 0 offset:536
	;; [unrolled: 1-line block ×3, first 2 shown]
	s_waitcnt vmcnt(54)
	v_fma_f64 v[88:89], v[79:80], v[98:99], -v[88:89]
	ds_read_b128 v[75:78], v1 offset:832
	v_fma_f64 v[98:99], v[81:82], v[98:99], v[151:152]
	v_add_f64 v[142:143], v[142:143], 0
	v_add_f64 v[2:3], v[2:3], 0
	s_waitcnt lgkmcnt(1)
	v_mul_f64 v[155:156], v[71:72], v[92:93]
	v_mul_f64 v[92:93], v[73:74], v[92:93]
	s_waitcnt vmcnt(53) lgkmcnt(0)
	v_mul_f64 v[150:151], v[75:76], v[94:95]
	v_mul_f64 v[94:95], v[77:78], v[94:95]
	v_add_f64 v[142:143], v[142:143], v[153:154]
	v_add_f64 v[2:3], v[2:3], v[84:85]
	s_clause 0x1
	buffer_load_dword v85, off, s[0:3], 0 offset:532
	buffer_load_dword v84, off, s[0:3], 0 offset:528
	s_waitcnt vmcnt(53)
	v_fma_f64 v[92:93], v[71:72], v[100:101], -v[92:93]
	ds_read_b128 v[79:82], v1 offset:848
	v_fma_f64 v[100:101], v[73:74], v[100:101], v[155:156]
	ds_read_b128 v[71:74], v1 offset:864
	s_waitcnt vmcnt(48)
	v_fma_f64 v[94:95], v[75:76], v[96:97], -v[94:95]
	v_add_f64 v[88:89], v[142:143], v[88:89]
	v_add_f64 v[2:3], v[2:3], v[98:99]
	s_waitcnt lgkmcnt(1)
	v_mul_f64 v[98:99], v[79:80], v[102:103]
	v_mul_f64 v[102:103], v[81:82], v[102:103]
	s_waitcnt vmcnt(47) lgkmcnt(0)
	v_mul_f64 v[142:143], v[71:72], v[104:105]
	v_mul_f64 v[104:105], v[73:74], v[104:105]
	v_add_f64 v[88:89], v[88:89], v[92:93]
	v_fma_f64 v[92:93], v[77:78], v[96:97], v[150:151]
	v_add_f64 v[2:3], v[2:3], v[100:101]
	s_clause 0x3
	buffer_load_dword v96, off, s[0:3], 0 offset:240
	buffer_load_dword v97, off, s[0:3], 0 offset:244
	;; [unrolled: 1-line block ×4, first 2 shown]
	s_waitcnt vmcnt(49)
	v_fma_f64 v[102:103], v[79:80], v[108:109], -v[102:103]
	ds_read_b128 v[75:78], v1 offset:880
	s_waitcnt vmcnt(44)
	v_fma_f64 v[104:105], v[71:72], v[106:107], -v[104:105]
	v_add_f64 v[88:89], v[88:89], v[94:95]
	v_fma_f64 v[94:95], v[81:82], v[108:109], v[98:99]
	v_add_f64 v[2:3], v[2:3], v[92:93]
	ds_read_b128 v[79:82], v1 offset:896
	s_waitcnt lgkmcnt(1)
	v_mul_f64 v[98:99], v[77:78], v[110:111]
	v_mul_f64 v[92:93], v[75:76], v[110:111]
	v_add_f64 v[88:89], v[88:89], v[102:103]
	v_fma_f64 v[102:103], v[73:74], v[106:107], v[142:143]
	v_add_f64 v[2:3], v[2:3], v[94:95]
	s_waitcnt vmcnt(43) lgkmcnt(0)
	v_mul_f64 v[106:107], v[81:82], v[112:113]
	s_waitcnt vmcnt(41)
	v_fma_f64 v[98:99], v[75:76], v[116:117], -v[98:99]
	ds_read_b128 v[71:74], v1 offset:912
	v_mul_f64 v[94:95], v[79:80], v[112:113]
	v_fma_f64 v[92:93], v[77:78], v[116:117], v[92:93]
	ds_read_b128 v[75:78], v1 offset:928
	v_add_f64 v[88:89], v[88:89], v[104:105]
	v_add_f64 v[2:3], v[2:3], v[102:103]
	s_waitcnt vmcnt(37) lgkmcnt(1)
	v_mul_f64 v[104:105], v[73:74], v[118:119]
	s_waitcnt vmcnt(36)
	v_fma_f64 v[106:107], v[79:80], v[114:115], -v[106:107]
	v_mul_f64 v[102:103], v[71:72], v[118:119]
	v_fma_f64 v[94:95], v[81:82], v[114:115], v[94:95]
	ds_read_b128 v[79:82], v1 offset:944
	v_add_f64 v[88:89], v[88:89], v[98:99]
	s_waitcnt vmcnt(35) lgkmcnt(1)
	v_mul_f64 v[98:99], v[77:78], v[120:121]
	v_add_f64 v[2:3], v[2:3], v[92:93]
	s_waitcnt vmcnt(33)
	v_fma_f64 v[104:105], v[71:72], v[124:125], -v[104:105]
	v_mul_f64 v[92:93], v[75:76], v[120:121]
	v_fma_f64 v[102:103], v[73:74], v[124:125], v[102:103]
	ds_read_b128 v[71:74], v1 offset:960
	v_add_f64 v[88:89], v[88:89], v[106:107]
	s_waitcnt vmcnt(29) lgkmcnt(1)
	v_mul_f64 v[106:107], v[81:82], v[126:127]
	v_add_f64 v[2:3], v[2:3], v[94:95]
	;; [unrolled: 9-line block ×6, first 2 shown]
	s_waitcnt vmcnt(12)
	v_fma_f64 v[79:80], v[79:80], v[138:139], -v[106:107]
	v_mul_f64 v[102:103], v[71:72], v[144:145]
	v_fma_f64 v[81:82], v[81:82], v[138:139], v[94:95]
	v_add_f64 v[88:89], v[88:89], v[98:99]
	v_add_f64 v[92:93], v[2:3], v[92:93]
	ds_read_b128 v[1:4], v1 offset:1040
	s_waitcnt vmcnt(11) lgkmcnt(1)
	v_mul_f64 v[98:99], v[77:78], v[146:147]
	v_mul_f64 v[94:95], v[75:76], v[146:147]
	s_waitcnt vmcnt(9)
	v_fma_f64 v[71:72], v[71:72], v[86:87], -v[104:105]
	v_fma_f64 v[73:74], v[73:74], v[86:87], v[102:103]
	v_add_f64 v[79:80], v[88:89], v[79:80]
	s_waitcnt vmcnt(7) lgkmcnt(0)
	v_mul_f64 v[88:89], v[3:4], v[90:91]
	v_add_f64 v[81:82], v[92:93], v[81:82]
	v_mul_f64 v[86:87], v[1:2], v[90:91]
	s_waitcnt vmcnt(6)
	v_fma_f64 v[75:76], v[75:76], v[148:149], -v[98:99]
	v_fma_f64 v[77:78], v[77:78], v[148:149], v[94:95]
	v_add_f64 v[71:72], v[79:80], v[71:72]
	v_add_f64 v[73:74], v[81:82], v[73:74]
	s_waitcnt vmcnt(4)
	v_fma_f64 v[1:2], v[1:2], v[84:85], -v[88:89]
	v_fma_f64 v[3:4], v[3:4], v[84:85], v[86:87]
	v_add_f64 v[71:72], v[71:72], v[75:76]
	v_add_f64 v[73:74], v[73:74], v[77:78]
	;; [unrolled: 1-line block ×4, first 2 shown]
	s_waitcnt vmcnt(2)
	v_add_f64 v[1:2], v[96:97], -v[1:2]
	s_waitcnt vmcnt(0)
	v_add_f64 v[3:4], v[100:101], -v[3:4]
	buffer_store_dword v2, off, s[0:3], 0 offset:244
	buffer_store_dword v1, off, s[0:3], 0 offset:240
	;; [unrolled: 1-line block ×4, first 2 shown]
	v_cmpx_lt_u32_e32 13, v0
	s_cbranch_execz .LBB32_185
; %bb.184:
	v_mov_b32_e32 v4, s31
	v_mov_b32_e32 v71, 0
	s_clause 0x3
	buffer_load_dword v1, v4, s[0:3], 0 offen
	buffer_load_dword v2, v4, s[0:3], 0 offen offset:4
	buffer_load_dword v3, v4, s[0:3], 0 offen offset:8
	;; [unrolled: 1-line block ×3, first 2 shown]
	buffer_store_dword v71, off, s[0:3], 0 offset:224
	buffer_store_dword v71, off, s[0:3], 0 offset:228
	;; [unrolled: 1-line block ×4, first 2 shown]
	s_waitcnt vmcnt(0)
	ds_write_b128 v83, v[1:4]
.LBB32_185:
	s_or_b32 exec_lo, exec_lo, s4
	s_waitcnt lgkmcnt(0)
	s_waitcnt_vscnt null, 0x0
	s_barrier
	buffer_gl0_inv
	s_clause 0x37
	buffer_load_dword v2, off, s[0:3], 0 offset:248
	buffer_load_dword v3, off, s[0:3], 0 offset:252
	buffer_load_dword v84, off, s[0:3], 0 offset:264
	buffer_load_dword v85, off, s[0:3], 0 offset:268
	buffer_load_dword v86, off, s[0:3], 0 offset:240
	buffer_load_dword v87, off, s[0:3], 0 offset:244
	buffer_load_dword v88, off, s[0:3], 0 offset:280
	buffer_load_dword v89, off, s[0:3], 0 offset:284
	buffer_load_dword v90, off, s[0:3], 0 offset:256
	buffer_load_dword v91, off, s[0:3], 0 offset:260
	buffer_load_dword v93, off, s[0:3], 0 offset:300
	buffer_load_dword v94, off, s[0:3], 0 offset:312
	buffer_load_dword v96, off, s[0:3], 0 offset:304
	buffer_load_dword v92, off, s[0:3], 0 offset:296
	buffer_load_dword v98, off, s[0:3], 0 offset:272
	buffer_load_dword v99, off, s[0:3], 0 offset:276
	buffer_load_dword v95, off, s[0:3], 0 offset:316
	buffer_load_dword v101, off, s[0:3], 0 offset:292
	buffer_load_dword v100, off, s[0:3], 0 offset:288
	buffer_load_dword v103, off, s[0:3], 0 offset:332
	buffer_load_dword v104, off, s[0:3], 0 offset:344
	buffer_load_dword v106, off, s[0:3], 0 offset:336
	buffer_load_dword v102, off, s[0:3], 0 offset:328
	buffer_load_dword v97, off, s[0:3], 0 offset:308
	buffer_load_dword v105, off, s[0:3], 0 offset:348
	buffer_load_dword v109, off, s[0:3], 0 offset:324
	buffer_load_dword v108, off, s[0:3], 0 offset:320
	buffer_load_dword v111, off, s[0:3], 0 offset:364
	buffer_load_dword v112, off, s[0:3], 0 offset:376
	buffer_load_dword v114, off, s[0:3], 0 offset:368
	buffer_load_dword v110, off, s[0:3], 0 offset:360
	buffer_load_dword v107, off, s[0:3], 0 offset:340
	buffer_load_dword v113, off, s[0:3], 0 offset:380
	buffer_load_dword v117, off, s[0:3], 0 offset:356
	buffer_load_dword v116, off, s[0:3], 0 offset:352
	buffer_load_dword v119, off, s[0:3], 0 offset:396
	buffer_load_dword v120, off, s[0:3], 0 offset:408
	buffer_load_dword v122, off, s[0:3], 0 offset:400
	buffer_load_dword v118, off, s[0:3], 0 offset:392
	buffer_load_dword v115, off, s[0:3], 0 offset:372
	buffer_load_dword v121, off, s[0:3], 0 offset:412
	buffer_load_dword v125, off, s[0:3], 0 offset:388
	buffer_load_dword v124, off, s[0:3], 0 offset:384
	buffer_load_dword v127, off, s[0:3], 0 offset:428
	buffer_load_dword v128, off, s[0:3], 0 offset:440
	buffer_load_dword v130, off, s[0:3], 0 offset:432
	buffer_load_dword v126, off, s[0:3], 0 offset:424
	buffer_load_dword v123, off, s[0:3], 0 offset:404
	buffer_load_dword v129, off, s[0:3], 0 offset:444
	buffer_load_dword v133, off, s[0:3], 0 offset:420
	buffer_load_dword v132, off, s[0:3], 0 offset:416
	buffer_load_dword v135, off, s[0:3], 0 offset:460
	buffer_load_dword v136, off, s[0:3], 0 offset:472
	buffer_load_dword v138, off, s[0:3], 0 offset:464
	buffer_load_dword v134, off, s[0:3], 0 offset:456
	buffer_load_dword v131, off, s[0:3], 0 offset:436
	v_mov_b32_e32 v1, 0
	s_mov_b32 s4, exec_lo
	ds_read_b128 v[71:74], v1 offset:752
	s_clause 0x2
	buffer_load_dword v137, off, s[0:3], 0 offset:476
	buffer_load_dword v141, off, s[0:3], 0 offset:452
	;; [unrolled: 1-line block ×3, first 2 shown]
	ds_read_b128 v[75:78], v1 offset:768
	s_clause 0x4
	buffer_load_dword v145, off, s[0:3], 0 offset:492
	buffer_load_dword v146, off, s[0:3], 0 offset:504
	;; [unrolled: 1-line block ×5, first 2 shown]
	ds_read_b128 v[79:82], v1 offset:784
	s_waitcnt vmcnt(62) lgkmcnt(2)
	v_mul_f64 v[142:143], v[73:74], v[2:3]
	v_mul_f64 v[2:3], v[71:72], v[2:3]
	s_waitcnt vmcnt(60) lgkmcnt(1)
	v_mul_f64 v[149:150], v[77:78], v[84:85]
	v_mul_f64 v[84:85], v[75:76], v[84:85]
	;; [unrolled: 3-line block ×3, first 2 shown]
	v_fma_f64 v[142:143], v[71:72], v[86:87], -v[142:143]
	v_fma_f64 v[2:3], v[73:74], v[86:87], v[2:3]
	s_clause 0x2
	buffer_load_dword v147, off, s[0:3], 0 offset:508
	buffer_load_dword v87, off, s[0:3], 0 offset:484
	;; [unrolled: 1-line block ×3, first 2 shown]
	s_waitcnt vmcnt(57)
	v_fma_f64 v[153:154], v[75:76], v[90:91], -v[149:150]
	ds_read_b128 v[71:74], v1 offset:800
	v_fma_f64 v[84:85], v[77:78], v[90:91], v[84:85]
	s_clause 0x4
	buffer_load_dword v91, off, s[0:3], 0 offset:524
	buffer_load_dword v150, off, s[0:3], 0 offset:536
	;; [unrolled: 1-line block ×5, first 2 shown]
	s_waitcnt vmcnt(56)
	v_fma_f64 v[88:89], v[79:80], v[98:99], -v[88:89]
	ds_read_b128 v[75:78], v1 offset:816
	v_fma_f64 v[98:99], v[81:82], v[98:99], v[151:152]
	v_add_f64 v[142:143], v[142:143], 0
	v_add_f64 v[2:3], v[2:3], 0
	s_waitcnt lgkmcnt(1)
	v_mul_f64 v[156:157], v[71:72], v[92:93]
	v_mul_f64 v[92:93], v[73:74], v[92:93]
	v_add_f64 v[142:143], v[142:143], v[153:154]
	v_add_f64 v[2:3], v[2:3], v[84:85]
	s_clause 0x2
	buffer_load_dword v151, off, s[0:3], 0 offset:540
	buffer_load_dword v85, off, s[0:3], 0 offset:516
	;; [unrolled: 1-line block ×3, first 2 shown]
	s_waitcnt vmcnt(58) lgkmcnt(0)
	v_mul_f64 v[152:153], v[75:76], v[94:95]
	v_mul_f64 v[94:95], v[77:78], v[94:95]
	s_waitcnt vmcnt(56)
	v_fma_f64 v[92:93], v[71:72], v[100:101], -v[92:93]
	ds_read_b128 v[79:82], v1 offset:832
	v_fma_f64 v[100:101], v[73:74], v[100:101], v[156:157]
	buffer_load_dword v156, off, s[0:3], 0 offset:532
	ds_read_b128 v[71:74], v1 offset:848
	v_add_f64 v[88:89], v[142:143], v[88:89]
	v_add_f64 v[2:3], v[2:3], v[98:99]
	s_waitcnt vmcnt(53) lgkmcnt(1)
	v_mul_f64 v[98:99], v[79:80], v[102:103]
	v_mul_f64 v[102:103], v[81:82], v[102:103]
	s_waitcnt vmcnt(52)
	v_fma_f64 v[94:95], v[75:76], v[96:97], -v[94:95]
	v_add_f64 v[88:89], v[88:89], v[92:93]
	v_fma_f64 v[92:93], v[77:78], v[96:97], v[152:153]
	v_add_f64 v[2:3], v[2:3], v[100:101]
	s_waitcnt vmcnt(51) lgkmcnt(0)
	v_mul_f64 v[100:101], v[73:74], v[104:105]
	ds_read_b128 v[75:78], v1 offset:864
	s_waitcnt vmcnt(49)
	v_fma_f64 v[102:103], v[79:80], v[108:109], -v[102:103]
	v_mul_f64 v[96:97], v[71:72], v[104:105]
	v_add_f64 v[88:89], v[88:89], v[94:95]
	v_fma_f64 v[94:95], v[81:82], v[108:109], v[98:99]
	v_add_f64 v[2:3], v[2:3], v[92:93]
	s_clause 0x3
	buffer_load_dword v92, off, s[0:3], 0 offset:224
	buffer_load_dword v93, off, s[0:3], 0 offset:228
	;; [unrolled: 1-line block ×4, first 2 shown]
	s_waitcnt vmcnt(49) lgkmcnt(0)
	v_mul_f64 v[108:109], v[77:78], v[110:111]
	s_waitcnt vmcnt(48)
	v_fma_f64 v[100:101], v[71:72], v[106:107], -v[100:101]
	ds_read_b128 v[79:82], v1 offset:880
	v_mul_f64 v[104:105], v[75:76], v[110:111]
	v_fma_f64 v[96:97], v[73:74], v[106:107], v[96:97]
	ds_read_b128 v[71:74], v1 offset:896
	v_add_f64 v[88:89], v[88:89], v[102:103]
	v_add_f64 v[2:3], v[2:3], v[94:95]
	s_waitcnt vmcnt(47) lgkmcnt(1)
	v_mul_f64 v[102:103], v[81:82], v[112:113]
	s_waitcnt vmcnt(45)
	v_fma_f64 v[106:107], v[75:76], v[116:117], -v[108:109]
	v_mul_f64 v[94:95], v[79:80], v[112:113]
	v_add_f64 v[88:89], v[88:89], v[100:101]
	v_fma_f64 v[100:101], v[77:78], v[116:117], v[104:105]
	v_add_f64 v[2:3], v[2:3], v[96:97]
	s_waitcnt vmcnt(41) lgkmcnt(0)
	v_mul_f64 v[104:105], v[73:74], v[118:119]
	s_waitcnt vmcnt(40)
	v_fma_f64 v[102:103], v[79:80], v[114:115], -v[102:103]
	ds_read_b128 v[75:78], v1 offset:912
	v_mul_f64 v[96:97], v[71:72], v[118:119]
	v_fma_f64 v[94:95], v[81:82], v[114:115], v[94:95]
	ds_read_b128 v[79:82], v1 offset:928
	v_add_f64 v[88:89], v[88:89], v[106:107]
	v_add_f64 v[2:3], v[2:3], v[100:101]
	s_waitcnt vmcnt(39) lgkmcnt(1)
	v_mul_f64 v[106:107], v[77:78], v[120:121]
	s_waitcnt vmcnt(37)
	v_fma_f64 v[104:105], v[71:72], v[124:125], -v[104:105]
	v_mul_f64 v[100:101], v[75:76], v[120:121]
	v_fma_f64 v[96:97], v[73:74], v[124:125], v[96:97]
	ds_read_b128 v[71:74], v1 offset:944
	v_add_f64 v[88:89], v[88:89], v[102:103]
	s_waitcnt vmcnt(33) lgkmcnt(1)
	v_mul_f64 v[102:103], v[81:82], v[126:127]
	v_add_f64 v[2:3], v[2:3], v[94:95]
	s_waitcnt vmcnt(32)
	v_fma_f64 v[106:107], v[75:76], v[122:123], -v[106:107]
	v_mul_f64 v[94:95], v[79:80], v[126:127]
	v_fma_f64 v[100:101], v[77:78], v[122:123], v[100:101]
	ds_read_b128 v[75:78], v1 offset:960
	v_add_f64 v[88:89], v[88:89], v[104:105]
	s_waitcnt vmcnt(31) lgkmcnt(1)
	v_mul_f64 v[104:105], v[73:74], v[128:129]
	v_add_f64 v[2:3], v[2:3], v[96:97]
	;; [unrolled: 9-line block ×5, first 2 shown]
	s_waitcnt vmcnt(16)
	v_fma_f64 v[102:103], v[79:80], v[138:139], -v[102:103]
	v_mul_f64 v[96:97], v[71:72], v[144:145]
	v_fma_f64 v[94:95], v[81:82], v[138:139], v[94:95]
	ds_read_b128 v[79:82], v1 offset:1024
	v_add_f64 v[88:89], v[88:89], v[106:107]
	v_add_f64 v[2:3], v[2:3], v[100:101]
	s_waitcnt vmcnt(15) lgkmcnt(1)
	v_mul_f64 v[106:107], v[77:78], v[146:147]
	v_mul_f64 v[100:101], v[75:76], v[146:147]
	s_waitcnt vmcnt(13)
	v_fma_f64 v[104:105], v[71:72], v[86:87], -v[104:105]
	v_fma_f64 v[86:87], v[73:74], v[86:87], v[96:97]
	ds_read_b128 v[71:74], v1 offset:1040
	v_add_f64 v[88:89], v[88:89], v[102:103]
	v_add_f64 v[2:3], v[2:3], v[94:95]
	s_waitcnt vmcnt(9) lgkmcnt(1)
	v_mul_f64 v[94:95], v[79:80], v[90:91]
	v_mul_f64 v[90:91], v[81:82], v[90:91]
	s_waitcnt vmcnt(8)
	v_fma_f64 v[75:76], v[75:76], v[148:149], -v[106:107]
	v_fma_f64 v[77:78], v[77:78], v[148:149], v[100:101]
	v_add_f64 v[88:89], v[88:89], v[104:105]
	v_add_f64 v[2:3], v[2:3], v[86:87]
	s_waitcnt vmcnt(7) lgkmcnt(0)
	v_mul_f64 v[96:97], v[73:74], v[150:151]
	v_mul_f64 v[86:87], v[71:72], v[150:151]
	s_waitcnt vmcnt(5)
	v_fma_f64 v[79:80], v[79:80], v[84:85], -v[90:91]
	v_fma_f64 v[81:82], v[81:82], v[84:85], v[94:95]
	v_add_f64 v[75:76], v[88:89], v[75:76]
	v_add_f64 v[2:3], v[2:3], v[77:78]
	s_waitcnt vmcnt(4)
	v_fma_f64 v[71:72], v[71:72], v[155:156], -v[96:97]
	v_fma_f64 v[73:74], v[73:74], v[155:156], v[86:87]
	v_add_f64 v[75:76], v[75:76], v[79:80]
	v_add_f64 v[2:3], v[2:3], v[81:82]
	;; [unrolled: 1-line block ×4, first 2 shown]
	s_waitcnt vmcnt(2)
	v_add_f64 v[71:72], v[92:93], -v[71:72]
	s_waitcnt vmcnt(0)
	v_add_f64 v[2:3], v[98:99], -v[2:3]
	buffer_store_dword v72, off, s[0:3], 0 offset:228
	buffer_store_dword v71, off, s[0:3], 0 offset:224
	;; [unrolled: 1-line block ×4, first 2 shown]
	v_cmpx_lt_u32_e32 12, v0
	s_cbranch_execz .LBB32_187
; %bb.186:
	v_mov_b32_e32 v2, s33
	s_clause 0x3
	buffer_load_dword v71, v2, s[0:3], 0 offen
	buffer_load_dword v72, v2, s[0:3], 0 offen offset:4
	buffer_load_dword v73, v2, s[0:3], 0 offen offset:8
	;; [unrolled: 1-line block ×3, first 2 shown]
	buffer_store_dword v1, off, s[0:3], 0 offset:208
	buffer_store_dword v1, off, s[0:3], 0 offset:212
	;; [unrolled: 1-line block ×4, first 2 shown]
	s_waitcnt vmcnt(0)
	ds_write_b128 v83, v[71:74]
.LBB32_187:
	s_or_b32 exec_lo, exec_lo, s4
	s_waitcnt lgkmcnt(0)
	s_waitcnt_vscnt null, 0x0
	s_barrier
	buffer_gl0_inv
	s_clause 0x37
	buffer_load_dword v2, off, s[0:3], 0 offset:232
	buffer_load_dword v3, off, s[0:3], 0 offset:236
	;; [unrolled: 1-line block ×56, first 2 shown]
	ds_read_b128 v[71:74], v1 offset:736
	s_clause 0x2
	buffer_load_dword v137, off, s[0:3], 0 offset:460
	buffer_load_dword v141, off, s[0:3], 0 offset:436
	;; [unrolled: 1-line block ×3, first 2 shown]
	ds_read_b128 v[75:78], v1 offset:752
	s_clause 0x4
	buffer_load_dword v145, off, s[0:3], 0 offset:476
	buffer_load_dword v146, off, s[0:3], 0 offset:488
	;; [unrolled: 1-line block ×5, first 2 shown]
	ds_read_b128 v[79:82], v1 offset:768
	s_mov_b32 s4, exec_lo
	s_waitcnt vmcnt(62) lgkmcnt(2)
	v_mul_f64 v[142:143], v[73:74], v[2:3]
	v_mul_f64 v[2:3], v[71:72], v[2:3]
	s_waitcnt vmcnt(60) lgkmcnt(1)
	v_mul_f64 v[149:150], v[77:78], v[84:85]
	v_mul_f64 v[84:85], v[75:76], v[84:85]
	;; [unrolled: 3-line block ×3, first 2 shown]
	v_fma_f64 v[142:143], v[71:72], v[86:87], -v[142:143]
	v_fma_f64 v[2:3], v[73:74], v[86:87], v[2:3]
	s_clause 0x2
	buffer_load_dword v147, off, s[0:3], 0 offset:492
	buffer_load_dword v87, off, s[0:3], 0 offset:468
	;; [unrolled: 1-line block ×3, first 2 shown]
	s_waitcnt vmcnt(57)
	v_fma_f64 v[153:154], v[75:76], v[90:91], -v[149:150]
	ds_read_b128 v[71:74], v1 offset:784
	v_fma_f64 v[84:85], v[77:78], v[90:91], v[84:85]
	s_clause 0x4
	buffer_load_dword v91, off, s[0:3], 0 offset:508
	buffer_load_dword v150, off, s[0:3], 0 offset:520
	;; [unrolled: 1-line block ×5, first 2 shown]
	s_waitcnt vmcnt(56)
	v_fma_f64 v[88:89], v[79:80], v[98:99], -v[88:89]
	ds_read_b128 v[75:78], v1 offset:800
	v_fma_f64 v[98:99], v[81:82], v[98:99], v[151:152]
	v_add_f64 v[142:143], v[142:143], 0
	v_add_f64 v[2:3], v[2:3], 0
	s_waitcnt lgkmcnt(1)
	v_mul_f64 v[156:157], v[71:72], v[92:93]
	v_mul_f64 v[92:93], v[73:74], v[92:93]
	v_add_f64 v[142:143], v[142:143], v[153:154]
	v_add_f64 v[2:3], v[2:3], v[84:85]
	s_clause 0x2
	buffer_load_dword v151, off, s[0:3], 0 offset:524
	buffer_load_dword v85, off, s[0:3], 0 offset:500
	;; [unrolled: 1-line block ×3, first 2 shown]
	s_waitcnt vmcnt(58) lgkmcnt(0)
	v_mul_f64 v[152:153], v[75:76], v[94:95]
	v_mul_f64 v[94:95], v[77:78], v[94:95]
	s_waitcnt vmcnt(56)
	v_fma_f64 v[92:93], v[71:72], v[100:101], -v[92:93]
	ds_read_b128 v[79:82], v1 offset:816
	v_fma_f64 v[100:101], v[73:74], v[100:101], v[156:157]
	v_add_f64 v[88:89], v[142:143], v[88:89]
	v_add_f64 v[2:3], v[2:3], v[98:99]
	s_clause 0x2
	buffer_load_dword v99, off, s[0:3], 0 offset:540
	buffer_load_dword v98, off, s[0:3], 0 offset:536
	buffer_load_dword v156, off, s[0:3], 0 offset:516
	ds_read_b128 v[71:74], v1 offset:832
	s_waitcnt vmcnt(55) lgkmcnt(1)
	v_mul_f64 v[142:143], v[79:80], v[102:103]
	v_mul_f64 v[102:103], v[81:82], v[102:103]
	s_waitcnt vmcnt(54)
	v_fma_f64 v[94:95], v[75:76], v[96:97], -v[94:95]
	v_add_f64 v[88:89], v[88:89], v[92:93]
	v_fma_f64 v[92:93], v[77:78], v[96:97], v[152:153]
	v_add_f64 v[2:3], v[2:3], v[100:101]
	s_clause 0x1
	buffer_load_dword v97, off, s[0:3], 0 offset:532
	buffer_load_dword v96, off, s[0:3], 0 offset:528
	s_waitcnt vmcnt(55) lgkmcnt(0)
	v_mul_f64 v[100:101], v[71:72], v[104:105]
	v_mul_f64 v[104:105], v[73:74], v[104:105]
	s_waitcnt vmcnt(53)
	v_fma_f64 v[102:103], v[79:80], v[108:109], -v[102:103]
	ds_read_b128 v[75:78], v1 offset:848
	v_add_f64 v[88:89], v[88:89], v[94:95]
	v_fma_f64 v[94:95], v[81:82], v[108:109], v[142:143]
	v_add_f64 v[2:3], v[2:3], v[92:93]
	ds_read_b128 v[79:82], v1 offset:864
	s_waitcnt vmcnt(48)
	v_fma_f64 v[100:101], v[73:74], v[106:107], v[100:101]
	s_waitcnt lgkmcnt(1)
	v_mul_f64 v[108:109], v[77:78], v[110:111]
	v_fma_f64 v[104:105], v[71:72], v[106:107], -v[104:105]
	v_mul_f64 v[92:93], v[75:76], v[110:111]
	v_add_f64 v[88:89], v[88:89], v[102:103]
	s_waitcnt vmcnt(47) lgkmcnt(0)
	v_mul_f64 v[110:111], v[81:82], v[112:113]
	v_add_f64 v[2:3], v[2:3], v[94:95]
	s_clause 0x3
	buffer_load_dword v94, off, s[0:3], 0 offset:208
	buffer_load_dword v95, off, s[0:3], 0 offset:212
	;; [unrolled: 1-line block ×4, first 2 shown]
	ds_read_b128 v[71:74], v1 offset:880
	s_waitcnt vmcnt(49)
	v_fma_f64 v[108:109], v[75:76], v[116:117], -v[108:109]
	v_mul_f64 v[106:107], v[79:80], v[112:113]
	v_fma_f64 v[92:93], v[77:78], v[116:117], v[92:93]
	ds_read_b128 v[75:78], v1 offset:896
	v_add_f64 v[88:89], v[88:89], v[104:105]
	s_waitcnt vmcnt(44)
	v_fma_f64 v[110:111], v[79:80], v[114:115], -v[110:111]
	v_add_f64 v[2:3], v[2:3], v[100:101]
	s_waitcnt lgkmcnt(1)
	v_mul_f64 v[104:105], v[73:74], v[118:119]
	v_mul_f64 v[100:101], v[71:72], v[118:119]
	v_fma_f64 v[106:107], v[81:82], v[114:115], v[106:107]
	ds_read_b128 v[79:82], v1 offset:912
	v_add_f64 v[88:89], v[88:89], v[108:109]
	s_waitcnt vmcnt(43) lgkmcnt(1)
	v_mul_f64 v[108:109], v[77:78], v[120:121]
	v_add_f64 v[2:3], v[2:3], v[92:93]
	s_waitcnt vmcnt(41)
	v_fma_f64 v[104:105], v[71:72], v[124:125], -v[104:105]
	v_mul_f64 v[92:93], v[75:76], v[120:121]
	v_fma_f64 v[100:101], v[73:74], v[124:125], v[100:101]
	ds_read_b128 v[71:74], v1 offset:928
	v_add_f64 v[88:89], v[88:89], v[110:111]
	s_waitcnt vmcnt(37) lgkmcnt(1)
	v_mul_f64 v[110:111], v[81:82], v[126:127]
	v_add_f64 v[2:3], v[2:3], v[106:107]
	s_waitcnt vmcnt(36)
	v_fma_f64 v[108:109], v[75:76], v[122:123], -v[108:109]
	;; [unrolled: 9-line block ×6, first 2 shown]
	v_mul_f64 v[100:101], v[71:72], v[144:145]
	v_fma_f64 v[106:107], v[81:82], v[138:139], v[106:107]
	ds_read_b128 v[79:82], v1 offset:1008
	v_add_f64 v[88:89], v[88:89], v[108:109]
	v_add_f64 v[2:3], v[2:3], v[92:93]
	s_waitcnt vmcnt(19) lgkmcnt(1)
	v_mul_f64 v[108:109], v[77:78], v[146:147]
	v_mul_f64 v[92:93], v[75:76], v[146:147]
	s_waitcnt vmcnt(17)
	v_fma_f64 v[104:105], v[71:72], v[86:87], -v[104:105]
	v_fma_f64 v[86:87], v[73:74], v[86:87], v[100:101]
	ds_read_b128 v[71:74], v1 offset:1024
	s_waitcnt vmcnt(13) lgkmcnt(1)
	v_mul_f64 v[100:101], v[79:80], v[90:91]
	v_mul_f64 v[90:91], v[81:82], v[90:91]
	v_add_f64 v[88:89], v[88:89], v[110:111]
	v_add_f64 v[2:3], v[2:3], v[106:107]
	s_waitcnt vmcnt(12)
	v_fma_f64 v[75:76], v[75:76], v[148:149], -v[108:109]
	v_fma_f64 v[77:78], v[77:78], v[148:149], v[92:93]
	v_add_f64 v[88:89], v[88:89], v[104:105]
	v_add_f64 v[86:87], v[2:3], v[86:87]
	ds_read_b128 v[1:4], v1 offset:1040
	s_waitcnt vmcnt(11) lgkmcnt(1)
	v_mul_f64 v[104:105], v[73:74], v[150:151]
	v_mul_f64 v[92:93], v[71:72], v[150:151]
	s_waitcnt vmcnt(9)
	v_fma_f64 v[79:80], v[79:80], v[84:85], -v[90:91]
	v_fma_f64 v[81:82], v[81:82], v[84:85], v[100:101]
	v_add_f64 v[75:76], v[88:89], v[75:76]
	v_add_f64 v[77:78], v[86:87], v[77:78]
	s_waitcnt vmcnt(7) lgkmcnt(0)
	v_mul_f64 v[86:87], v[3:4], v[98:99]
	s_waitcnt vmcnt(6)
	v_fma_f64 v[71:72], v[71:72], v[155:156], -v[104:105]
	v_mul_f64 v[84:85], v[1:2], v[98:99]
	v_fma_f64 v[73:74], v[73:74], v[155:156], v[92:93]
	v_add_f64 v[75:76], v[75:76], v[79:80]
	v_add_f64 v[77:78], v[77:78], v[81:82]
	s_waitcnt vmcnt(4)
	v_fma_f64 v[1:2], v[1:2], v[96:97], -v[86:87]
	v_fma_f64 v[3:4], v[3:4], v[96:97], v[84:85]
	v_add_f64 v[71:72], v[75:76], v[71:72]
	v_add_f64 v[73:74], v[77:78], v[73:74]
	;; [unrolled: 1-line block ×4, first 2 shown]
	s_waitcnt vmcnt(2)
	v_add_f64 v[1:2], v[94:95], -v[1:2]
	s_waitcnt vmcnt(0)
	v_add_f64 v[3:4], v[102:103], -v[3:4]
	buffer_store_dword v2, off, s[0:3], 0 offset:212
	buffer_store_dword v1, off, s[0:3], 0 offset:208
	;; [unrolled: 1-line block ×4, first 2 shown]
	v_cmpx_lt_u32_e32 11, v0
	s_cbranch_execz .LBB32_189
; %bb.188:
	v_mov_b32_e32 v4, s34
	v_mov_b32_e32 v71, 0
	s_clause 0x3
	buffer_load_dword v1, v4, s[0:3], 0 offen
	buffer_load_dword v2, v4, s[0:3], 0 offen offset:4
	buffer_load_dword v3, v4, s[0:3], 0 offen offset:8
	;; [unrolled: 1-line block ×3, first 2 shown]
	buffer_store_dword v71, off, s[0:3], 0 offset:192
	buffer_store_dword v71, off, s[0:3], 0 offset:196
	;; [unrolled: 1-line block ×4, first 2 shown]
	s_waitcnt vmcnt(0)
	ds_write_b128 v83, v[1:4]
.LBB32_189:
	s_or_b32 exec_lo, exec_lo, s4
	s_waitcnt lgkmcnt(0)
	s_waitcnt_vscnt null, 0x0
	s_barrier
	buffer_gl0_inv
	s_clause 0x37
	buffer_load_dword v2, off, s[0:3], 0 offset:216
	buffer_load_dword v3, off, s[0:3], 0 offset:220
	;; [unrolled: 1-line block ×56, first 2 shown]
	v_mov_b32_e32 v1, 0
	s_mov_b32 s4, exec_lo
	ds_read_b128 v[71:74], v1 offset:720
	s_clause 0x2
	buffer_load_dword v137, off, s[0:3], 0 offset:444
	buffer_load_dword v141, off, s[0:3], 0 offset:420
	;; [unrolled: 1-line block ×3, first 2 shown]
	ds_read_b128 v[75:78], v1 offset:736
	s_clause 0x4
	buffer_load_dword v145, off, s[0:3], 0 offset:460
	buffer_load_dword v146, off, s[0:3], 0 offset:472
	;; [unrolled: 1-line block ×5, first 2 shown]
	ds_read_b128 v[79:82], v1 offset:752
	s_waitcnt vmcnt(62) lgkmcnt(2)
	v_mul_f64 v[142:143], v[73:74], v[2:3]
	v_mul_f64 v[2:3], v[71:72], v[2:3]
	s_waitcnt vmcnt(60) lgkmcnt(1)
	v_mul_f64 v[149:150], v[77:78], v[84:85]
	v_mul_f64 v[84:85], v[75:76], v[84:85]
	;; [unrolled: 3-line block ×3, first 2 shown]
	v_fma_f64 v[142:143], v[71:72], v[86:87], -v[142:143]
	v_fma_f64 v[2:3], v[73:74], v[86:87], v[2:3]
	s_clause 0x2
	buffer_load_dword v147, off, s[0:3], 0 offset:476
	buffer_load_dword v87, off, s[0:3], 0 offset:452
	;; [unrolled: 1-line block ×3, first 2 shown]
	s_waitcnt vmcnt(57)
	v_fma_f64 v[153:154], v[75:76], v[90:91], -v[149:150]
	ds_read_b128 v[71:74], v1 offset:768
	v_fma_f64 v[84:85], v[77:78], v[90:91], v[84:85]
	s_clause 0x4
	buffer_load_dword v91, off, s[0:3], 0 offset:492
	buffer_load_dword v150, off, s[0:3], 0 offset:504
	;; [unrolled: 1-line block ×5, first 2 shown]
	s_waitcnt vmcnt(56)
	v_fma_f64 v[88:89], v[79:80], v[98:99], -v[88:89]
	ds_read_b128 v[75:78], v1 offset:784
	v_fma_f64 v[98:99], v[81:82], v[98:99], v[151:152]
	v_add_f64 v[142:143], v[142:143], 0
	v_add_f64 v[2:3], v[2:3], 0
	s_waitcnt lgkmcnt(1)
	v_mul_f64 v[156:157], v[71:72], v[92:93]
	v_mul_f64 v[92:93], v[73:74], v[92:93]
	v_add_f64 v[142:143], v[142:143], v[153:154]
	v_add_f64 v[2:3], v[2:3], v[84:85]
	s_clause 0x2
	buffer_load_dword v151, off, s[0:3], 0 offset:508
	buffer_load_dword v85, off, s[0:3], 0 offset:484
	;; [unrolled: 1-line block ×3, first 2 shown]
	s_waitcnt vmcnt(58) lgkmcnt(0)
	v_mul_f64 v[152:153], v[75:76], v[94:95]
	v_mul_f64 v[94:95], v[77:78], v[94:95]
	s_waitcnt vmcnt(56)
	v_fma_f64 v[92:93], v[71:72], v[100:101], -v[92:93]
	ds_read_b128 v[79:82], v1 offset:800
	v_fma_f64 v[100:101], v[73:74], v[100:101], v[156:157]
	v_add_f64 v[88:89], v[142:143], v[88:89]
	v_add_f64 v[2:3], v[2:3], v[98:99]
	s_clause 0x4
	buffer_load_dword v99, off, s[0:3], 0 offset:524
	buffer_load_dword v142, off, s[0:3], 0 offset:536
	;; [unrolled: 1-line block ×5, first 2 shown]
	ds_read_b128 v[71:74], v1 offset:816
	s_waitcnt vmcnt(57) lgkmcnt(1)
	v_mul_f64 v[158:159], v[79:80], v[102:103]
	v_mul_f64 v[102:103], v[81:82], v[102:103]
	s_waitcnt vmcnt(56)
	v_fma_f64 v[94:95], v[75:76], v[96:97], -v[94:95]
	v_add_f64 v[88:89], v[88:89], v[92:93]
	v_fma_f64 v[92:93], v[77:78], v[96:97], v[152:153]
	v_add_f64 v[2:3], v[2:3], v[100:101]
	s_clause 0x2
	buffer_load_dword v143, off, s[0:3], 0 offset:540
	buffer_load_dword v97, off, s[0:3], 0 offset:516
	;; [unrolled: 1-line block ×3, first 2 shown]
	s_waitcnt vmcnt(58) lgkmcnt(0)
	v_mul_f64 v[100:101], v[71:72], v[104:105]
	v_mul_f64 v[104:105], v[73:74], v[104:105]
	s_waitcnt vmcnt(56)
	v_fma_f64 v[102:103], v[79:80], v[108:109], -v[102:103]
	ds_read_b128 v[75:78], v1 offset:832
	v_add_f64 v[88:89], v[88:89], v[94:95]
	v_fma_f64 v[94:95], v[81:82], v[108:109], v[158:159]
	v_add_f64 v[2:3], v[2:3], v[92:93]
	buffer_load_dword v158, off, s[0:3], 0 offset:532
	ds_read_b128 v[79:82], v1 offset:848
	s_waitcnt vmcnt(53) lgkmcnt(1)
	v_mul_f64 v[108:109], v[77:78], v[110:111]
	s_waitcnt vmcnt(52)
	v_fma_f64 v[104:105], v[71:72], v[106:107], -v[104:105]
	v_mul_f64 v[92:93], v[75:76], v[110:111]
	v_fma_f64 v[100:101], v[73:74], v[106:107], v[100:101]
	ds_read_b128 v[71:74], v1 offset:864
	v_add_f64 v[88:89], v[88:89], v[102:103]
	v_add_f64 v[2:3], v[2:3], v[94:95]
	s_waitcnt vmcnt(51) lgkmcnt(1)
	v_mul_f64 v[102:103], v[81:82], v[112:113]
	v_mul_f64 v[94:95], v[79:80], v[112:113]
	s_waitcnt vmcnt(49)
	v_fma_f64 v[106:107], v[75:76], v[116:117], -v[108:109]
	v_fma_f64 v[92:93], v[77:78], v[116:117], v[92:93]
	s_waitcnt vmcnt(45) lgkmcnt(0)
	v_mul_f64 v[110:111], v[73:74], v[118:119]
	v_mul_f64 v[108:109], v[71:72], v[118:119]
	v_add_f64 v[88:89], v[88:89], v[104:105]
	v_add_f64 v[2:3], v[2:3], v[100:101]
	s_clause 0x3
	buffer_load_dword v100, off, s[0:3], 0 offset:192
	buffer_load_dword v101, off, s[0:3], 0 offset:196
	;; [unrolled: 1-line block ×4, first 2 shown]
	s_waitcnt vmcnt(48)
	v_fma_f64 v[102:103], v[79:80], v[114:115], -v[102:103]
	ds_read_b128 v[75:78], v1 offset:880
	v_fma_f64 v[94:95], v[81:82], v[114:115], v[94:95]
	ds_read_b128 v[79:82], v1 offset:896
	s_waitcnt vmcnt(45)
	v_fma_f64 v[110:111], v[71:72], v[124:125], -v[110:111]
	v_add_f64 v[88:89], v[88:89], v[106:107]
	v_add_f64 v[2:3], v[2:3], v[92:93]
	s_waitcnt lgkmcnt(1)
	v_mul_f64 v[106:107], v[77:78], v[120:121]
	v_mul_f64 v[92:93], v[75:76], v[120:121]
	v_add_f64 v[88:89], v[88:89], v[102:103]
	v_fma_f64 v[102:103], v[73:74], v[124:125], v[108:109]
	v_add_f64 v[2:3], v[2:3], v[94:95]
	s_waitcnt vmcnt(41) lgkmcnt(0)
	v_mul_f64 v[108:109], v[81:82], v[126:127]
	s_waitcnt vmcnt(40)
	v_fma_f64 v[106:107], v[75:76], v[122:123], -v[106:107]
	ds_read_b128 v[71:74], v1 offset:912
	v_mul_f64 v[94:95], v[79:80], v[126:127]
	v_fma_f64 v[92:93], v[77:78], v[122:123], v[92:93]
	ds_read_b128 v[75:78], v1 offset:928
	v_add_f64 v[88:89], v[88:89], v[110:111]
	v_add_f64 v[2:3], v[2:3], v[102:103]
	s_waitcnt vmcnt(39) lgkmcnt(1)
	v_mul_f64 v[110:111], v[73:74], v[128:129]
	s_waitcnt vmcnt(37)
	v_fma_f64 v[108:109], v[79:80], v[132:133], -v[108:109]
	v_mul_f64 v[102:103], v[71:72], v[128:129]
	v_fma_f64 v[94:95], v[81:82], v[132:133], v[94:95]
	ds_read_b128 v[79:82], v1 offset:944
	v_add_f64 v[88:89], v[88:89], v[106:107]
	s_waitcnt vmcnt(33) lgkmcnt(1)
	v_mul_f64 v[106:107], v[77:78], v[134:135]
	v_add_f64 v[2:3], v[2:3], v[92:93]
	s_waitcnt vmcnt(32)
	v_fma_f64 v[110:111], v[71:72], v[130:131], -v[110:111]
	v_mul_f64 v[92:93], v[75:76], v[134:135]
	v_fma_f64 v[102:103], v[73:74], v[130:131], v[102:103]
	ds_read_b128 v[71:74], v1 offset:960
	v_add_f64 v[88:89], v[88:89], v[108:109]
	s_waitcnt vmcnt(31) lgkmcnt(1)
	v_mul_f64 v[108:109], v[81:82], v[136:137]
	v_add_f64 v[2:3], v[2:3], v[94:95]
	;; [unrolled: 9-line block ×3, first 2 shown]
	s_waitcnt vmcnt(24)
	v_fma_f64 v[108:109], v[79:80], v[138:139], -v[108:109]
	v_mul_f64 v[102:103], v[71:72], v[144:145]
	v_fma_f64 v[94:95], v[81:82], v[138:139], v[94:95]
	ds_read_b128 v[79:82], v1 offset:992
	v_add_f64 v[88:89], v[88:89], v[106:107]
	v_add_f64 v[2:3], v[2:3], v[92:93]
	s_waitcnt vmcnt(23) lgkmcnt(1)
	v_mul_f64 v[106:107], v[77:78], v[146:147]
	v_mul_f64 v[92:93], v[75:76], v[146:147]
	s_waitcnt vmcnt(21)
	v_fma_f64 v[110:111], v[71:72], v[86:87], -v[110:111]
	v_fma_f64 v[86:87], v[73:74], v[86:87], v[102:103]
	ds_read_b128 v[71:74], v1 offset:1008
	v_add_f64 v[88:89], v[88:89], v[108:109]
	v_add_f64 v[2:3], v[2:3], v[94:95]
	s_waitcnt vmcnt(17) lgkmcnt(1)
	v_mul_f64 v[94:95], v[79:80], v[90:91]
	v_mul_f64 v[90:91], v[81:82], v[90:91]
	s_waitcnt vmcnt(16)
	v_fma_f64 v[102:103], v[75:76], v[148:149], -v[106:107]
	;; [unrolled: 9-line block ×3, first 2 shown]
	v_fma_f64 v[84:85], v[81:82], v[84:85], v[94:95]
	ds_read_b128 v[79:82], v1 offset:1040
	v_add_f64 v[88:89], v[88:89], v[102:103]
	v_add_f64 v[2:3], v[2:3], v[92:93]
	s_waitcnt vmcnt(9) lgkmcnt(1)
	v_mul_f64 v[94:95], v[77:78], v[98:99]
	s_waitcnt vmcnt(8)
	v_fma_f64 v[71:72], v[71:72], v[155:156], -v[106:107]
	v_mul_f64 v[92:93], v[75:76], v[98:99]
	v_fma_f64 v[73:74], v[73:74], v[155:156], v[86:87]
	v_add_f64 v[88:89], v[88:89], v[90:91]
	v_add_f64 v[2:3], v[2:3], v[84:85]
	s_waitcnt vmcnt(7) lgkmcnt(0)
	v_mul_f64 v[86:87], v[81:82], v[142:143]
	v_mul_f64 v[84:85], v[79:80], v[142:143]
	s_waitcnt vmcnt(5)
	v_fma_f64 v[75:76], v[75:76], v[96:97], -v[94:95]
	v_fma_f64 v[77:78], v[77:78], v[96:97], v[92:93]
	v_add_f64 v[71:72], v[88:89], v[71:72]
	v_add_f64 v[2:3], v[2:3], v[73:74]
	s_waitcnt vmcnt(4)
	v_fma_f64 v[73:74], v[79:80], v[157:158], -v[86:87]
	v_add_f64 v[71:72], v[71:72], v[75:76]
	v_fma_f64 v[75:76], v[81:82], v[157:158], v[84:85]
	v_add_f64 v[2:3], v[2:3], v[77:78]
	v_add_f64 v[71:72], v[71:72], v[73:74]
	;; [unrolled: 1-line block ×3, first 2 shown]
	s_waitcnt vmcnt(2)
	v_add_f64 v[71:72], v[100:101], -v[71:72]
	s_waitcnt vmcnt(0)
	v_add_f64 v[2:3], v[104:105], -v[2:3]
	buffer_store_dword v72, off, s[0:3], 0 offset:196
	buffer_store_dword v71, off, s[0:3], 0 offset:192
	;; [unrolled: 1-line block ×4, first 2 shown]
	v_cmpx_lt_u32_e32 10, v0
	s_cbranch_execz .LBB32_191
; %bb.190:
	v_mov_b32_e32 v2, s35
	s_clause 0x3
	buffer_load_dword v71, v2, s[0:3], 0 offen
	buffer_load_dword v72, v2, s[0:3], 0 offen offset:4
	buffer_load_dword v73, v2, s[0:3], 0 offen offset:8
	;; [unrolled: 1-line block ×3, first 2 shown]
	buffer_store_dword v1, off, s[0:3], 0 offset:176
	buffer_store_dword v1, off, s[0:3], 0 offset:180
	;; [unrolled: 1-line block ×4, first 2 shown]
	s_waitcnt vmcnt(0)
	ds_write_b128 v83, v[71:74]
.LBB32_191:
	s_or_b32 exec_lo, exec_lo, s4
	s_waitcnt lgkmcnt(0)
	s_waitcnt_vscnt null, 0x0
	s_barrier
	buffer_gl0_inv
	s_clause 0x37
	buffer_load_dword v2, off, s[0:3], 0 offset:200
	buffer_load_dword v3, off, s[0:3], 0 offset:204
	;; [unrolled: 1-line block ×56, first 2 shown]
	ds_read_b128 v[71:74], v1 offset:704
	s_clause 0x2
	buffer_load_dword v137, off, s[0:3], 0 offset:428
	buffer_load_dword v141, off, s[0:3], 0 offset:404
	;; [unrolled: 1-line block ×3, first 2 shown]
	ds_read_b128 v[75:78], v1 offset:720
	s_clause 0x4
	buffer_load_dword v145, off, s[0:3], 0 offset:444
	buffer_load_dword v146, off, s[0:3], 0 offset:456
	;; [unrolled: 1-line block ×5, first 2 shown]
	ds_read_b128 v[79:82], v1 offset:736
	s_mov_b32 s4, exec_lo
	s_waitcnt vmcnt(62) lgkmcnt(2)
	v_mul_f64 v[142:143], v[73:74], v[2:3]
	v_mul_f64 v[2:3], v[71:72], v[2:3]
	s_waitcnt vmcnt(60) lgkmcnt(1)
	v_mul_f64 v[149:150], v[77:78], v[84:85]
	v_mul_f64 v[84:85], v[75:76], v[84:85]
	;; [unrolled: 3-line block ×3, first 2 shown]
	v_fma_f64 v[142:143], v[71:72], v[86:87], -v[142:143]
	v_fma_f64 v[2:3], v[73:74], v[86:87], v[2:3]
	s_clause 0x2
	buffer_load_dword v147, off, s[0:3], 0 offset:460
	buffer_load_dword v87, off, s[0:3], 0 offset:436
	;; [unrolled: 1-line block ×3, first 2 shown]
	s_waitcnt vmcnt(57)
	v_fma_f64 v[153:154], v[75:76], v[90:91], -v[149:150]
	ds_read_b128 v[71:74], v1 offset:752
	v_fma_f64 v[84:85], v[77:78], v[90:91], v[84:85]
	s_clause 0x4
	buffer_load_dword v91, off, s[0:3], 0 offset:476
	buffer_load_dword v150, off, s[0:3], 0 offset:488
	;; [unrolled: 1-line block ×5, first 2 shown]
	s_waitcnt vmcnt(56)
	v_fma_f64 v[88:89], v[79:80], v[98:99], -v[88:89]
	ds_read_b128 v[75:78], v1 offset:768
	v_fma_f64 v[98:99], v[81:82], v[98:99], v[151:152]
	v_add_f64 v[142:143], v[142:143], 0
	v_add_f64 v[2:3], v[2:3], 0
	s_waitcnt lgkmcnt(1)
	v_mul_f64 v[156:157], v[71:72], v[92:93]
	v_mul_f64 v[92:93], v[73:74], v[92:93]
	v_add_f64 v[142:143], v[142:143], v[153:154]
	v_add_f64 v[2:3], v[2:3], v[84:85]
	s_clause 0x2
	buffer_load_dword v151, off, s[0:3], 0 offset:492
	buffer_load_dword v85, off, s[0:3], 0 offset:468
	;; [unrolled: 1-line block ×3, first 2 shown]
	s_waitcnt vmcnt(58) lgkmcnt(0)
	v_mul_f64 v[152:153], v[75:76], v[94:95]
	v_mul_f64 v[94:95], v[77:78], v[94:95]
	s_waitcnt vmcnt(56)
	v_fma_f64 v[92:93], v[71:72], v[100:101], -v[92:93]
	ds_read_b128 v[79:82], v1 offset:784
	v_fma_f64 v[100:101], v[73:74], v[100:101], v[156:157]
	v_add_f64 v[88:89], v[142:143], v[88:89]
	v_add_f64 v[2:3], v[2:3], v[98:99]
	s_clause 0x4
	buffer_load_dword v99, off, s[0:3], 0 offset:508
	buffer_load_dword v142, off, s[0:3], 0 offset:520
	;; [unrolled: 1-line block ×5, first 2 shown]
	ds_read_b128 v[71:74], v1 offset:800
	s_waitcnt vmcnt(57) lgkmcnt(1)
	v_mul_f64 v[158:159], v[79:80], v[102:103]
	v_mul_f64 v[102:103], v[81:82], v[102:103]
	s_waitcnt vmcnt(56)
	v_fma_f64 v[94:95], v[75:76], v[96:97], -v[94:95]
	v_add_f64 v[88:89], v[88:89], v[92:93]
	v_fma_f64 v[92:93], v[77:78], v[96:97], v[152:153]
	v_add_f64 v[2:3], v[2:3], v[100:101]
	s_clause 0x2
	buffer_load_dword v143, off, s[0:3], 0 offset:524
	buffer_load_dword v97, off, s[0:3], 0 offset:500
	;; [unrolled: 1-line block ×3, first 2 shown]
	s_waitcnt vmcnt(58) lgkmcnt(0)
	v_mul_f64 v[100:101], v[71:72], v[104:105]
	v_mul_f64 v[104:105], v[73:74], v[104:105]
	s_waitcnt vmcnt(56)
	v_fma_f64 v[102:103], v[79:80], v[108:109], -v[102:103]
	ds_read_b128 v[75:78], v1 offset:816
	v_add_f64 v[88:89], v[88:89], v[94:95]
	v_fma_f64 v[94:95], v[81:82], v[108:109], v[158:159]
	v_add_f64 v[2:3], v[2:3], v[92:93]
	s_clause 0x2
	buffer_load_dword v93, off, s[0:3], 0 offset:540
	buffer_load_dword v92, off, s[0:3], 0 offset:536
	;; [unrolled: 1-line block ×3, first 2 shown]
	ds_read_b128 v[79:82], v1 offset:832
	s_waitcnt vmcnt(55) lgkmcnt(1)
	v_mul_f64 v[108:109], v[75:76], v[110:111]
	v_mul_f64 v[110:111], v[77:78], v[110:111]
	s_waitcnt vmcnt(54)
	v_fma_f64 v[104:105], v[71:72], v[106:107], -v[104:105]
	v_fma_f64 v[100:101], v[73:74], v[106:107], v[100:101]
	v_add_f64 v[88:89], v[88:89], v[102:103]
	v_add_f64 v[2:3], v[2:3], v[94:95]
	s_clause 0x1
	buffer_load_dword v95, off, s[0:3], 0 offset:532
	buffer_load_dword v94, off, s[0:3], 0 offset:528
	s_waitcnt vmcnt(55) lgkmcnt(0)
	v_mul_f64 v[106:107], v[81:82], v[112:113]
	ds_read_b128 v[71:74], v1 offset:848
	s_waitcnt vmcnt(53)
	v_fma_f64 v[110:111], v[75:76], v[116:117], -v[110:111]
	v_mul_f64 v[102:103], v[79:80], v[112:113]
	v_add_f64 v[88:89], v[88:89], v[104:105]
	v_fma_f64 v[104:105], v[77:78], v[116:117], v[108:109]
	v_add_f64 v[2:3], v[2:3], v[100:101]
	ds_read_b128 v[75:78], v1 offset:864
	s_waitcnt vmcnt(49) lgkmcnt(1)
	v_mul_f64 v[108:109], v[73:74], v[118:119]
	s_waitcnt vmcnt(48)
	v_fma_f64 v[106:107], v[79:80], v[114:115], -v[106:107]
	v_mul_f64 v[100:101], v[71:72], v[118:119]
	v_fma_f64 v[102:103], v[81:82], v[114:115], v[102:103]
	v_add_f64 v[88:89], v[88:89], v[110:111]
	s_waitcnt vmcnt(47) lgkmcnt(0)
	v_mul_f64 v[114:115], v[77:78], v[120:121]
	v_add_f64 v[2:3], v[2:3], v[104:105]
	s_clause 0x3
	buffer_load_dword v104, off, s[0:3], 0 offset:176
	buffer_load_dword v105, off, s[0:3], 0 offset:180
	;; [unrolled: 1-line block ×4, first 2 shown]
	s_waitcnt vmcnt(49)
	v_fma_f64 v[108:109], v[71:72], v[124:125], -v[108:109]
	ds_read_b128 v[79:82], v1 offset:880
	v_mul_f64 v[112:113], v[75:76], v[120:121]
	v_fma_f64 v[100:101], v[73:74], v[124:125], v[100:101]
	ds_read_b128 v[71:74], v1 offset:896
	v_add_f64 v[88:89], v[88:89], v[106:107]
	s_waitcnt vmcnt(44)
	v_fma_f64 v[114:115], v[75:76], v[122:123], -v[114:115]
	v_add_f64 v[2:3], v[2:3], v[102:103]
	s_waitcnt lgkmcnt(1)
	v_mul_f64 v[106:107], v[81:82], v[126:127]
	v_mul_f64 v[102:103], v[79:80], v[126:127]
	v_add_f64 v[88:89], v[88:89], v[108:109]
	v_fma_f64 v[108:109], v[77:78], v[122:123], v[112:113]
	v_add_f64 v[2:3], v[2:3], v[100:101]
	s_waitcnt vmcnt(43) lgkmcnt(0)
	v_mul_f64 v[112:113], v[73:74], v[128:129]
	s_waitcnt vmcnt(41)
	v_fma_f64 v[106:107], v[79:80], v[132:133], -v[106:107]
	ds_read_b128 v[75:78], v1 offset:912
	v_mul_f64 v[100:101], v[71:72], v[128:129]
	v_fma_f64 v[102:103], v[81:82], v[132:133], v[102:103]
	ds_read_b128 v[79:82], v1 offset:928
	v_add_f64 v[88:89], v[88:89], v[114:115]
	v_add_f64 v[2:3], v[2:3], v[108:109]
	s_waitcnt vmcnt(37) lgkmcnt(1)
	v_mul_f64 v[114:115], v[77:78], v[134:135]
	s_waitcnt vmcnt(36)
	v_fma_f64 v[112:113], v[71:72], v[130:131], -v[112:113]
	v_mul_f64 v[108:109], v[75:76], v[134:135]
	v_fma_f64 v[100:101], v[73:74], v[130:131], v[100:101]
	ds_read_b128 v[71:74], v1 offset:944
	v_add_f64 v[88:89], v[88:89], v[106:107]
	s_waitcnt vmcnt(35) lgkmcnt(1)
	v_mul_f64 v[106:107], v[81:82], v[136:137]
	v_add_f64 v[2:3], v[2:3], v[102:103]
	s_waitcnt vmcnt(33)
	v_fma_f64 v[114:115], v[75:76], v[140:141], -v[114:115]
	v_mul_f64 v[102:103], v[79:80], v[136:137]
	v_fma_f64 v[108:109], v[77:78], v[140:141], v[108:109]
	ds_read_b128 v[75:78], v1 offset:960
	v_add_f64 v[88:89], v[88:89], v[112:113]
	s_waitcnt vmcnt(29) lgkmcnt(1)
	v_mul_f64 v[112:113], v[73:74], v[144:145]
	v_add_f64 v[2:3], v[2:3], v[100:101]
	s_waitcnt vmcnt(28)
	v_fma_f64 v[106:107], v[79:80], v[138:139], -v[106:107]
	v_mul_f64 v[100:101], v[71:72], v[144:145]
	v_fma_f64 v[102:103], v[81:82], v[138:139], v[102:103]
	ds_read_b128 v[79:82], v1 offset:976
	v_add_f64 v[88:89], v[88:89], v[114:115]
	v_add_f64 v[2:3], v[2:3], v[108:109]
	s_waitcnt vmcnt(27) lgkmcnt(1)
	v_mul_f64 v[114:115], v[77:78], v[146:147]
	v_mul_f64 v[108:109], v[75:76], v[146:147]
	s_waitcnt vmcnt(25)
	v_fma_f64 v[112:113], v[71:72], v[86:87], -v[112:113]
	v_fma_f64 v[86:87], v[73:74], v[86:87], v[100:101]
	ds_read_b128 v[71:74], v1 offset:992
	s_waitcnt vmcnt(21) lgkmcnt(1)
	v_mul_f64 v[100:101], v[79:80], v[90:91]
	v_mul_f64 v[90:91], v[81:82], v[90:91]
	v_add_f64 v[88:89], v[88:89], v[106:107]
	v_add_f64 v[2:3], v[2:3], v[102:103]
	s_waitcnt vmcnt(20)
	v_fma_f64 v[102:103], v[75:76], v[148:149], -v[114:115]
	v_fma_f64 v[106:107], v[77:78], v[148:149], v[108:109]
	ds_read_b128 v[75:78], v1 offset:1008
	v_add_f64 v[88:89], v[88:89], v[112:113]
	v_add_f64 v[2:3], v[2:3], v[86:87]
	s_waitcnt vmcnt(19) lgkmcnt(1)
	v_mul_f64 v[108:109], v[73:74], v[150:151]
	v_mul_f64 v[86:87], v[71:72], v[150:151]
	s_waitcnt vmcnt(17)
	v_fma_f64 v[90:91], v[79:80], v[84:85], -v[90:91]
	v_fma_f64 v[84:85], v[81:82], v[84:85], v[100:101]
	ds_read_b128 v[79:82], v1 offset:1024
	v_add_f64 v[88:89], v[88:89], v[102:103]
	v_add_f64 v[2:3], v[2:3], v[106:107]
	s_waitcnt vmcnt(13) lgkmcnt(1)
	v_mul_f64 v[100:101], v[75:76], v[98:99]
	v_mul_f64 v[98:99], v[77:78], v[98:99]
	s_waitcnt vmcnt(12)
	v_fma_f64 v[71:72], v[71:72], v[155:156], -v[108:109]
	v_fma_f64 v[73:74], v[73:74], v[155:156], v[86:87]
	v_add_f64 v[88:89], v[88:89], v[90:91]
	v_add_f64 v[84:85], v[2:3], v[84:85]
	ds_read_b128 v[1:4], v1 offset:1040
	s_waitcnt vmcnt(11) lgkmcnt(1)
	v_mul_f64 v[90:91], v[81:82], v[142:143]
	v_mul_f64 v[86:87], v[79:80], v[142:143]
	s_waitcnt vmcnt(9)
	v_fma_f64 v[75:76], v[75:76], v[96:97], -v[98:99]
	v_fma_f64 v[77:78], v[77:78], v[96:97], v[100:101]
	v_add_f64 v[71:72], v[88:89], v[71:72]
	v_add_f64 v[73:74], v[84:85], v[73:74]
	s_waitcnt vmcnt(7) lgkmcnt(0)
	v_mul_f64 v[88:89], v[3:4], v[92:93]
	s_waitcnt vmcnt(6)
	v_fma_f64 v[79:80], v[79:80], v[157:158], -v[90:91]
	v_mul_f64 v[84:85], v[1:2], v[92:93]
	v_add_f64 v[71:72], v[71:72], v[75:76]
	v_fma_f64 v[75:76], v[81:82], v[157:158], v[86:87]
	v_add_f64 v[73:74], v[73:74], v[77:78]
	s_waitcnt vmcnt(4)
	v_fma_f64 v[1:2], v[1:2], v[94:95], -v[88:89]
	v_fma_f64 v[3:4], v[3:4], v[94:95], v[84:85]
	v_add_f64 v[71:72], v[71:72], v[79:80]
	v_add_f64 v[73:74], v[73:74], v[75:76]
	;; [unrolled: 1-line block ×4, first 2 shown]
	s_waitcnt vmcnt(2)
	v_add_f64 v[1:2], v[104:105], -v[1:2]
	s_waitcnt vmcnt(0)
	v_add_f64 v[3:4], v[110:111], -v[3:4]
	buffer_store_dword v2, off, s[0:3], 0 offset:180
	buffer_store_dword v1, off, s[0:3], 0 offset:176
	;; [unrolled: 1-line block ×4, first 2 shown]
	v_cmpx_lt_u32_e32 9, v0
	s_cbranch_execz .LBB32_193
; %bb.192:
	v_mov_b32_e32 v4, s36
	v_mov_b32_e32 v71, 0
	s_clause 0x3
	buffer_load_dword v1, v4, s[0:3], 0 offen
	buffer_load_dword v2, v4, s[0:3], 0 offen offset:4
	buffer_load_dword v3, v4, s[0:3], 0 offen offset:8
	;; [unrolled: 1-line block ×3, first 2 shown]
	buffer_store_dword v71, off, s[0:3], 0 offset:160
	buffer_store_dword v71, off, s[0:3], 0 offset:164
	;; [unrolled: 1-line block ×4, first 2 shown]
	s_waitcnt vmcnt(0)
	ds_write_b128 v83, v[1:4]
.LBB32_193:
	s_or_b32 exec_lo, exec_lo, s4
	s_waitcnt lgkmcnt(0)
	s_waitcnt_vscnt null, 0x0
	s_barrier
	buffer_gl0_inv
	s_clause 0x37
	buffer_load_dword v2, off, s[0:3], 0 offset:184
	buffer_load_dword v3, off, s[0:3], 0 offset:188
	;; [unrolled: 1-line block ×56, first 2 shown]
	v_mov_b32_e32 v1, 0
	s_mov_b32 s4, exec_lo
	ds_read_b128 v[71:74], v1 offset:688
	s_clause 0x2
	buffer_load_dword v137, off, s[0:3], 0 offset:412
	buffer_load_dword v141, off, s[0:3], 0 offset:388
	;; [unrolled: 1-line block ×3, first 2 shown]
	ds_read_b128 v[75:78], v1 offset:704
	s_clause 0x4
	buffer_load_dword v145, off, s[0:3], 0 offset:428
	buffer_load_dword v146, off, s[0:3], 0 offset:440
	;; [unrolled: 1-line block ×5, first 2 shown]
	ds_read_b128 v[79:82], v1 offset:720
	s_waitcnt vmcnt(62) lgkmcnt(2)
	v_mul_f64 v[142:143], v[73:74], v[2:3]
	v_mul_f64 v[2:3], v[71:72], v[2:3]
	s_waitcnt vmcnt(60) lgkmcnt(1)
	v_mul_f64 v[149:150], v[77:78], v[84:85]
	v_mul_f64 v[84:85], v[75:76], v[84:85]
	;; [unrolled: 3-line block ×3, first 2 shown]
	v_fma_f64 v[142:143], v[71:72], v[86:87], -v[142:143]
	v_fma_f64 v[2:3], v[73:74], v[86:87], v[2:3]
	s_clause 0x2
	buffer_load_dword v147, off, s[0:3], 0 offset:444
	buffer_load_dword v87, off, s[0:3], 0 offset:420
	;; [unrolled: 1-line block ×3, first 2 shown]
	s_waitcnt vmcnt(57)
	v_fma_f64 v[153:154], v[75:76], v[90:91], -v[149:150]
	ds_read_b128 v[71:74], v1 offset:736
	v_fma_f64 v[84:85], v[77:78], v[90:91], v[84:85]
	s_clause 0x4
	buffer_load_dword v91, off, s[0:3], 0 offset:460
	buffer_load_dword v150, off, s[0:3], 0 offset:472
	;; [unrolled: 1-line block ×5, first 2 shown]
	s_waitcnt vmcnt(56)
	v_fma_f64 v[88:89], v[79:80], v[98:99], -v[88:89]
	ds_read_b128 v[75:78], v1 offset:752
	v_fma_f64 v[98:99], v[81:82], v[98:99], v[151:152]
	v_add_f64 v[142:143], v[142:143], 0
	v_add_f64 v[2:3], v[2:3], 0
	s_waitcnt lgkmcnt(1)
	v_mul_f64 v[156:157], v[71:72], v[92:93]
	v_mul_f64 v[92:93], v[73:74], v[92:93]
	v_add_f64 v[142:143], v[142:143], v[153:154]
	v_add_f64 v[2:3], v[2:3], v[84:85]
	s_clause 0x2
	buffer_load_dword v151, off, s[0:3], 0 offset:476
	buffer_load_dword v85, off, s[0:3], 0 offset:452
	;; [unrolled: 1-line block ×3, first 2 shown]
	s_waitcnt vmcnt(58) lgkmcnt(0)
	v_mul_f64 v[152:153], v[75:76], v[94:95]
	v_mul_f64 v[94:95], v[77:78], v[94:95]
	s_waitcnt vmcnt(56)
	v_fma_f64 v[92:93], v[71:72], v[100:101], -v[92:93]
	ds_read_b128 v[79:82], v1 offset:768
	v_fma_f64 v[100:101], v[73:74], v[100:101], v[156:157]
	v_add_f64 v[88:89], v[142:143], v[88:89]
	v_add_f64 v[2:3], v[2:3], v[98:99]
	s_clause 0x4
	buffer_load_dword v99, off, s[0:3], 0 offset:492
	buffer_load_dword v142, off, s[0:3], 0 offset:504
	;; [unrolled: 1-line block ×5, first 2 shown]
	ds_read_b128 v[71:74], v1 offset:784
	s_waitcnt vmcnt(57) lgkmcnt(1)
	v_mul_f64 v[158:159], v[79:80], v[102:103]
	v_mul_f64 v[102:103], v[81:82], v[102:103]
	s_waitcnt vmcnt(56)
	v_fma_f64 v[94:95], v[75:76], v[96:97], -v[94:95]
	v_add_f64 v[88:89], v[88:89], v[92:93]
	v_fma_f64 v[92:93], v[77:78], v[96:97], v[152:153]
	v_add_f64 v[2:3], v[2:3], v[100:101]
	s_clause 0x2
	buffer_load_dword v143, off, s[0:3], 0 offset:508
	buffer_load_dword v97, off, s[0:3], 0 offset:484
	;; [unrolled: 1-line block ×3, first 2 shown]
	s_waitcnt vmcnt(58) lgkmcnt(0)
	v_mul_f64 v[100:101], v[71:72], v[104:105]
	v_mul_f64 v[104:105], v[73:74], v[104:105]
	s_waitcnt vmcnt(56)
	v_fma_f64 v[102:103], v[79:80], v[108:109], -v[102:103]
	ds_read_b128 v[75:78], v1 offset:800
	v_add_f64 v[88:89], v[88:89], v[94:95]
	v_fma_f64 v[94:95], v[81:82], v[108:109], v[158:159]
	v_add_f64 v[2:3], v[2:3], v[92:93]
	s_clause 0x4
	buffer_load_dword v93, off, s[0:3], 0 offset:524
	buffer_load_dword v108, off, s[0:3], 0 offset:536
	;; [unrolled: 1-line block ×5, first 2 shown]
	ds_read_b128 v[79:82], v1 offset:816
	s_waitcnt vmcnt(57) lgkmcnt(1)
	v_mul_f64 v[153:154], v[75:76], v[110:111]
	v_mul_f64 v[110:111], v[77:78], v[110:111]
	s_waitcnt vmcnt(56)
	v_fma_f64 v[104:105], v[71:72], v[106:107], -v[104:105]
	v_fma_f64 v[100:101], v[73:74], v[106:107], v[100:101]
	v_add_f64 v[88:89], v[88:89], v[102:103]
	v_add_f64 v[2:3], v[2:3], v[94:95]
	s_clause 0x2
	buffer_load_dword v109, off, s[0:3], 0 offset:540
	buffer_load_dword v95, off, s[0:3], 0 offset:516
	;; [unrolled: 1-line block ×3, first 2 shown]
	s_waitcnt vmcnt(58) lgkmcnt(0)
	v_mul_f64 v[106:107], v[81:82], v[112:113]
	ds_read_b128 v[71:74], v1 offset:832
	s_waitcnt vmcnt(56)
	v_fma_f64 v[110:111], v[75:76], v[116:117], -v[110:111]
	v_mul_f64 v[102:103], v[79:80], v[112:113]
	v_add_f64 v[88:89], v[88:89], v[104:105]
	v_fma_f64 v[104:105], v[77:78], v[116:117], v[153:154]
	v_add_f64 v[2:3], v[2:3], v[100:101]
	buffer_load_dword v153, off, s[0:3], 0 offset:532
	ds_read_b128 v[75:78], v1 offset:848
	s_waitcnt vmcnt(53) lgkmcnt(1)
	v_mul_f64 v[112:113], v[73:74], v[118:119]
	s_waitcnt vmcnt(52)
	v_fma_f64 v[106:107], v[79:80], v[114:115], -v[106:107]
	v_mul_f64 v[100:101], v[71:72], v[118:119]
	v_fma_f64 v[102:103], v[81:82], v[114:115], v[102:103]
	ds_read_b128 v[79:82], v1 offset:864
	v_add_f64 v[88:89], v[88:89], v[110:111]
	v_add_f64 v[2:3], v[2:3], v[104:105]
	s_waitcnt vmcnt(51) lgkmcnt(1)
	v_mul_f64 v[110:111], v[77:78], v[120:121]
	v_mul_f64 v[104:105], v[75:76], v[120:121]
	s_waitcnt vmcnt(49)
	v_fma_f64 v[112:113], v[71:72], v[124:125], -v[112:113]
	v_fma_f64 v[100:101], v[73:74], v[124:125], v[100:101]
	s_waitcnt vmcnt(45) lgkmcnt(0)
	v_mul_f64 v[116:117], v[81:82], v[126:127]
	v_mul_f64 v[114:115], v[79:80], v[126:127]
	v_add_f64 v[88:89], v[88:89], v[106:107]
	v_add_f64 v[2:3], v[2:3], v[102:103]
	s_clause 0x3
	buffer_load_dword v102, off, s[0:3], 0 offset:160
	buffer_load_dword v103, off, s[0:3], 0 offset:164
	buffer_load_dword v106, off, s[0:3], 0 offset:168
	buffer_load_dword v107, off, s[0:3], 0 offset:172
	s_waitcnt vmcnt(48)
	v_fma_f64 v[110:111], v[75:76], v[122:123], -v[110:111]
	ds_read_b128 v[71:74], v1 offset:880
	v_fma_f64 v[104:105], v[77:78], v[122:123], v[104:105]
	ds_read_b128 v[75:78], v1 offset:896
	s_waitcnt vmcnt(45)
	v_fma_f64 v[116:117], v[79:80], v[132:133], -v[116:117]
	v_add_f64 v[88:89], v[88:89], v[112:113]
	v_add_f64 v[2:3], v[2:3], v[100:101]
	s_waitcnt lgkmcnt(1)
	v_mul_f64 v[112:113], v[73:74], v[128:129]
	v_mul_f64 v[100:101], v[71:72], v[128:129]
	v_add_f64 v[88:89], v[88:89], v[110:111]
	v_fma_f64 v[110:111], v[81:82], v[132:133], v[114:115]
	v_add_f64 v[2:3], v[2:3], v[104:105]
	s_waitcnt vmcnt(41) lgkmcnt(0)
	v_mul_f64 v[114:115], v[77:78], v[134:135]
	s_waitcnt vmcnt(40)
	v_fma_f64 v[112:113], v[71:72], v[130:131], -v[112:113]
	ds_read_b128 v[79:82], v1 offset:912
	v_mul_f64 v[104:105], v[75:76], v[134:135]
	v_fma_f64 v[100:101], v[73:74], v[130:131], v[100:101]
	ds_read_b128 v[71:74], v1 offset:928
	v_add_f64 v[88:89], v[88:89], v[116:117]
	v_add_f64 v[2:3], v[2:3], v[110:111]
	s_waitcnt vmcnt(39) lgkmcnt(1)
	v_mul_f64 v[116:117], v[81:82], v[136:137]
	s_waitcnt vmcnt(37)
	v_fma_f64 v[114:115], v[75:76], v[140:141], -v[114:115]
	v_mul_f64 v[110:111], v[79:80], v[136:137]
	v_fma_f64 v[104:105], v[77:78], v[140:141], v[104:105]
	ds_read_b128 v[75:78], v1 offset:944
	v_add_f64 v[88:89], v[88:89], v[112:113]
	s_waitcnt vmcnt(33) lgkmcnt(1)
	v_mul_f64 v[112:113], v[73:74], v[144:145]
	v_add_f64 v[2:3], v[2:3], v[100:101]
	s_waitcnt vmcnt(32)
	v_fma_f64 v[116:117], v[79:80], v[138:139], -v[116:117]
	v_mul_f64 v[100:101], v[71:72], v[144:145]
	v_fma_f64 v[110:111], v[81:82], v[138:139], v[110:111]
	ds_read_b128 v[79:82], v1 offset:960
	v_add_f64 v[88:89], v[88:89], v[114:115]
	v_add_f64 v[2:3], v[2:3], v[104:105]
	s_waitcnt vmcnt(31) lgkmcnt(1)
	v_mul_f64 v[114:115], v[77:78], v[146:147]
	v_mul_f64 v[104:105], v[75:76], v[146:147]
	s_waitcnt vmcnt(29)
	v_fma_f64 v[112:113], v[71:72], v[86:87], -v[112:113]
	v_fma_f64 v[86:87], v[73:74], v[86:87], v[100:101]
	ds_read_b128 v[71:74], v1 offset:976
	s_waitcnt vmcnt(25) lgkmcnt(1)
	v_mul_f64 v[100:101], v[79:80], v[90:91]
	v_mul_f64 v[90:91], v[81:82], v[90:91]
	v_add_f64 v[88:89], v[88:89], v[116:117]
	v_add_f64 v[2:3], v[2:3], v[110:111]
	s_waitcnt vmcnt(24)
	v_fma_f64 v[110:111], v[75:76], v[148:149], -v[114:115]
	v_fma_f64 v[104:105], v[77:78], v[148:149], v[104:105]
	ds_read_b128 v[75:78], v1 offset:992
	v_add_f64 v[88:89], v[88:89], v[112:113]
	v_add_f64 v[2:3], v[2:3], v[86:87]
	s_waitcnt vmcnt(23) lgkmcnt(1)
	v_mul_f64 v[112:113], v[73:74], v[150:151]
	v_mul_f64 v[86:87], v[71:72], v[150:151]
	s_waitcnt vmcnt(21)
	v_fma_f64 v[90:91], v[79:80], v[84:85], -v[90:91]
	v_fma_f64 v[84:85], v[81:82], v[84:85], v[100:101]
	ds_read_b128 v[79:82], v1 offset:1008
	v_add_f64 v[88:89], v[88:89], v[110:111]
	v_add_f64 v[2:3], v[2:3], v[104:105]
	s_waitcnt vmcnt(17) lgkmcnt(1)
	v_mul_f64 v[100:101], v[75:76], v[98:99]
	v_mul_f64 v[98:99], v[77:78], v[98:99]
	;; [unrolled: 9-line block ×4, first 2 shown]
	s_waitcnt vmcnt(8)
	v_fma_f64 v[79:80], v[79:80], v[157:158], -v[90:91]
	v_fma_f64 v[81:82], v[81:82], v[157:158], v[84:85]
	v_add_f64 v[88:89], v[88:89], v[98:99]
	v_add_f64 v[2:3], v[2:3], v[96:97]
	s_waitcnt vmcnt(7) lgkmcnt(0)
	v_mul_f64 v[90:91], v[77:78], v[108:109]
	v_mul_f64 v[84:85], v[75:76], v[108:109]
	s_waitcnt vmcnt(5)
	v_fma_f64 v[71:72], v[71:72], v[94:95], -v[92:93]
	v_fma_f64 v[73:74], v[73:74], v[94:95], v[86:87]
	v_add_f64 v[79:80], v[88:89], v[79:80]
	v_add_f64 v[2:3], v[2:3], v[81:82]
	s_waitcnt vmcnt(4)
	v_fma_f64 v[75:76], v[75:76], v[152:153], -v[90:91]
	v_fma_f64 v[77:78], v[77:78], v[152:153], v[84:85]
	v_add_f64 v[71:72], v[79:80], v[71:72]
	v_add_f64 v[2:3], v[2:3], v[73:74]
	;; [unrolled: 1-line block ×4, first 2 shown]
	s_waitcnt vmcnt(2)
	v_add_f64 v[71:72], v[102:103], -v[71:72]
	s_waitcnt vmcnt(0)
	v_add_f64 v[2:3], v[106:107], -v[2:3]
	buffer_store_dword v72, off, s[0:3], 0 offset:164
	buffer_store_dword v71, off, s[0:3], 0 offset:160
	buffer_store_dword v3, off, s[0:3], 0 offset:172
	buffer_store_dword v2, off, s[0:3], 0 offset:168
	v_cmpx_lt_u32_e32 8, v0
	s_cbranch_execz .LBB32_195
; %bb.194:
	v_mov_b32_e32 v2, s37
	s_clause 0x3
	buffer_load_dword v71, v2, s[0:3], 0 offen
	buffer_load_dword v72, v2, s[0:3], 0 offen offset:4
	buffer_load_dword v73, v2, s[0:3], 0 offen offset:8
	;; [unrolled: 1-line block ×3, first 2 shown]
	buffer_store_dword v1, off, s[0:3], 0 offset:144
	buffer_store_dword v1, off, s[0:3], 0 offset:148
	;; [unrolled: 1-line block ×4, first 2 shown]
	s_waitcnt vmcnt(0)
	ds_write_b128 v83, v[71:74]
.LBB32_195:
	s_or_b32 exec_lo, exec_lo, s4
	s_waitcnt lgkmcnt(0)
	s_waitcnt_vscnt null, 0x0
	s_barrier
	buffer_gl0_inv
	s_clause 0x37
	buffer_load_dword v2, off, s[0:3], 0 offset:168
	buffer_load_dword v3, off, s[0:3], 0 offset:172
	;; [unrolled: 1-line block ×56, first 2 shown]
	ds_read_b128 v[71:74], v1 offset:672
	s_clause 0x2
	buffer_load_dword v137, off, s[0:3], 0 offset:396
	buffer_load_dword v141, off, s[0:3], 0 offset:372
	;; [unrolled: 1-line block ×3, first 2 shown]
	ds_read_b128 v[75:78], v1 offset:688
	s_clause 0x4
	buffer_load_dword v145, off, s[0:3], 0 offset:412
	buffer_load_dword v146, off, s[0:3], 0 offset:424
	;; [unrolled: 1-line block ×5, first 2 shown]
	ds_read_b128 v[79:82], v1 offset:704
	s_mov_b32 s4, exec_lo
	s_waitcnt vmcnt(62) lgkmcnt(2)
	v_mul_f64 v[142:143], v[73:74], v[2:3]
	v_mul_f64 v[2:3], v[71:72], v[2:3]
	s_waitcnt vmcnt(60) lgkmcnt(1)
	v_mul_f64 v[149:150], v[77:78], v[84:85]
	v_mul_f64 v[84:85], v[75:76], v[84:85]
	;; [unrolled: 3-line block ×3, first 2 shown]
	v_fma_f64 v[142:143], v[71:72], v[86:87], -v[142:143]
	v_fma_f64 v[2:3], v[73:74], v[86:87], v[2:3]
	s_clause 0x2
	buffer_load_dword v147, off, s[0:3], 0 offset:428
	buffer_load_dword v87, off, s[0:3], 0 offset:404
	;; [unrolled: 1-line block ×3, first 2 shown]
	s_waitcnt vmcnt(57)
	v_fma_f64 v[153:154], v[75:76], v[90:91], -v[149:150]
	ds_read_b128 v[71:74], v1 offset:720
	v_fma_f64 v[84:85], v[77:78], v[90:91], v[84:85]
	s_clause 0x4
	buffer_load_dword v91, off, s[0:3], 0 offset:444
	buffer_load_dword v150, off, s[0:3], 0 offset:456
	;; [unrolled: 1-line block ×5, first 2 shown]
	s_waitcnt vmcnt(56)
	v_fma_f64 v[88:89], v[79:80], v[98:99], -v[88:89]
	ds_read_b128 v[75:78], v1 offset:736
	v_fma_f64 v[98:99], v[81:82], v[98:99], v[151:152]
	v_add_f64 v[142:143], v[142:143], 0
	v_add_f64 v[2:3], v[2:3], 0
	s_waitcnt lgkmcnt(1)
	v_mul_f64 v[156:157], v[71:72], v[92:93]
	v_mul_f64 v[92:93], v[73:74], v[92:93]
	v_add_f64 v[142:143], v[142:143], v[153:154]
	v_add_f64 v[2:3], v[2:3], v[84:85]
	s_clause 0x2
	buffer_load_dword v151, off, s[0:3], 0 offset:460
	buffer_load_dword v85, off, s[0:3], 0 offset:436
	;; [unrolled: 1-line block ×3, first 2 shown]
	s_waitcnt vmcnt(58) lgkmcnt(0)
	v_mul_f64 v[152:153], v[75:76], v[94:95]
	v_mul_f64 v[94:95], v[77:78], v[94:95]
	s_waitcnt vmcnt(56)
	v_fma_f64 v[92:93], v[71:72], v[100:101], -v[92:93]
	ds_read_b128 v[79:82], v1 offset:752
	v_fma_f64 v[100:101], v[73:74], v[100:101], v[156:157]
	v_add_f64 v[88:89], v[142:143], v[88:89]
	v_add_f64 v[2:3], v[2:3], v[98:99]
	s_clause 0x4
	buffer_load_dword v99, off, s[0:3], 0 offset:476
	buffer_load_dword v142, off, s[0:3], 0 offset:488
	buffer_load_dword v157, off, s[0:3], 0 offset:480
	buffer_load_dword v98, off, s[0:3], 0 offset:472
	buffer_load_dword v156, off, s[0:3], 0 offset:452
	ds_read_b128 v[71:74], v1 offset:768
	s_waitcnt vmcnt(57) lgkmcnt(1)
	v_mul_f64 v[158:159], v[79:80], v[102:103]
	v_mul_f64 v[102:103], v[81:82], v[102:103]
	s_waitcnt vmcnt(56)
	v_fma_f64 v[94:95], v[75:76], v[96:97], -v[94:95]
	v_add_f64 v[88:89], v[88:89], v[92:93]
	v_fma_f64 v[92:93], v[77:78], v[96:97], v[152:153]
	v_add_f64 v[2:3], v[2:3], v[100:101]
	s_clause 0x2
	buffer_load_dword v143, off, s[0:3], 0 offset:492
	buffer_load_dword v97, off, s[0:3], 0 offset:468
	;; [unrolled: 1-line block ×3, first 2 shown]
	s_waitcnt vmcnt(58) lgkmcnt(0)
	v_mul_f64 v[100:101], v[71:72], v[104:105]
	v_mul_f64 v[104:105], v[73:74], v[104:105]
	s_waitcnt vmcnt(56)
	v_fma_f64 v[102:103], v[79:80], v[108:109], -v[102:103]
	ds_read_b128 v[75:78], v1 offset:784
	v_add_f64 v[88:89], v[88:89], v[94:95]
	v_fma_f64 v[94:95], v[81:82], v[108:109], v[158:159]
	v_add_f64 v[2:3], v[2:3], v[92:93]
	s_clause 0x4
	buffer_load_dword v93, off, s[0:3], 0 offset:508
	buffer_load_dword v108, off, s[0:3], 0 offset:520
	;; [unrolled: 1-line block ×5, first 2 shown]
	ds_read_b128 v[79:82], v1 offset:800
	s_waitcnt vmcnt(57) lgkmcnt(1)
	v_mul_f64 v[153:154], v[75:76], v[110:111]
	v_mul_f64 v[110:111], v[77:78], v[110:111]
	s_waitcnt vmcnt(56)
	v_fma_f64 v[104:105], v[71:72], v[106:107], -v[104:105]
	v_fma_f64 v[100:101], v[73:74], v[106:107], v[100:101]
	v_add_f64 v[88:89], v[88:89], v[102:103]
	v_add_f64 v[2:3], v[2:3], v[94:95]
	s_clause 0x2
	buffer_load_dword v109, off, s[0:3], 0 offset:524
	buffer_load_dword v95, off, s[0:3], 0 offset:500
	;; [unrolled: 1-line block ×3, first 2 shown]
	s_waitcnt vmcnt(58) lgkmcnt(0)
	v_mul_f64 v[106:107], v[81:82], v[112:113]
	ds_read_b128 v[71:74], v1 offset:816
	s_waitcnt vmcnt(56)
	v_fma_f64 v[110:111], v[75:76], v[116:117], -v[110:111]
	v_mul_f64 v[102:103], v[79:80], v[112:113]
	v_add_f64 v[88:89], v[88:89], v[104:105]
	v_fma_f64 v[104:105], v[77:78], v[116:117], v[153:154]
	v_add_f64 v[2:3], v[2:3], v[100:101]
	s_clause 0x2
	buffer_load_dword v101, off, s[0:3], 0 offset:540
	buffer_load_dword v100, off, s[0:3], 0 offset:536
	;; [unrolled: 1-line block ×3, first 2 shown]
	s_waitcnt vmcnt(55) lgkmcnt(0)
	v_mul_f64 v[116:117], v[73:74], v[118:119]
	s_waitcnt vmcnt(54)
	v_fma_f64 v[106:107], v[79:80], v[114:115], -v[106:107]
	ds_read_b128 v[75:78], v1 offset:832
	v_mul_f64 v[112:113], v[71:72], v[118:119]
	v_fma_f64 v[102:103], v[81:82], v[114:115], v[102:103]
	v_add_f64 v[88:89], v[88:89], v[110:111]
	v_add_f64 v[2:3], v[2:3], v[104:105]
	s_clause 0x1
	buffer_load_dword v105, off, s[0:3], 0 offset:532
	buffer_load_dword v104, off, s[0:3], 0 offset:528
	s_waitcnt vmcnt(55) lgkmcnt(0)
	v_mul_f64 v[114:115], v[77:78], v[120:121]
	s_waitcnt vmcnt(53)
	v_fma_f64 v[116:117], v[71:72], v[124:125], -v[116:117]
	ds_read_b128 v[79:82], v1 offset:848
	v_mul_f64 v[110:111], v[75:76], v[120:121]
	v_add_f64 v[88:89], v[88:89], v[106:107]
	v_fma_f64 v[106:107], v[73:74], v[124:125], v[112:113]
	v_add_f64 v[2:3], v[2:3], v[102:103]
	ds_read_b128 v[71:74], v1 offset:864
	s_waitcnt vmcnt(49) lgkmcnt(1)
	v_mul_f64 v[112:113], v[81:82], v[126:127]
	s_waitcnt vmcnt(48)
	v_fma_f64 v[114:115], v[75:76], v[122:123], -v[114:115]
	v_mul_f64 v[102:103], v[79:80], v[126:127]
	v_fma_f64 v[110:111], v[77:78], v[122:123], v[110:111]
	v_add_f64 v[88:89], v[88:89], v[116:117]
	s_waitcnt vmcnt(47) lgkmcnt(0)
	v_mul_f64 v[120:121], v[73:74], v[128:129]
	v_add_f64 v[2:3], v[2:3], v[106:107]
	s_clause 0x3
	buffer_load_dword v106, off, s[0:3], 0 offset:144
	buffer_load_dword v107, off, s[0:3], 0 offset:148
	;; [unrolled: 1-line block ×4, first 2 shown]
	s_waitcnt vmcnt(49)
	v_fma_f64 v[112:113], v[79:80], v[132:133], -v[112:113]
	ds_read_b128 v[75:78], v1 offset:880
	v_mul_f64 v[118:119], v[71:72], v[128:129]
	v_fma_f64 v[102:103], v[81:82], v[132:133], v[102:103]
	ds_read_b128 v[79:82], v1 offset:896
	v_add_f64 v[88:89], v[88:89], v[114:115]
	s_waitcnt vmcnt(44)
	v_fma_f64 v[120:121], v[71:72], v[130:131], -v[120:121]
	v_add_f64 v[2:3], v[2:3], v[110:111]
	s_waitcnt lgkmcnt(1)
	v_mul_f64 v[114:115], v[77:78], v[134:135]
	v_mul_f64 v[110:111], v[75:76], v[134:135]
	v_add_f64 v[88:89], v[88:89], v[112:113]
	v_fma_f64 v[112:113], v[73:74], v[130:131], v[118:119]
	v_add_f64 v[2:3], v[2:3], v[102:103]
	s_waitcnt vmcnt(43) lgkmcnt(0)
	v_mul_f64 v[118:119], v[81:82], v[136:137]
	s_waitcnt vmcnt(41)
	v_fma_f64 v[114:115], v[75:76], v[140:141], -v[114:115]
	ds_read_b128 v[71:74], v1 offset:912
	v_mul_f64 v[102:103], v[79:80], v[136:137]
	v_fma_f64 v[110:111], v[77:78], v[140:141], v[110:111]
	ds_read_b128 v[75:78], v1 offset:928
	v_add_f64 v[88:89], v[88:89], v[120:121]
	v_add_f64 v[2:3], v[2:3], v[112:113]
	s_waitcnt vmcnt(37) lgkmcnt(1)
	v_mul_f64 v[120:121], v[73:74], v[144:145]
	s_waitcnt vmcnt(36)
	v_fma_f64 v[118:119], v[79:80], v[138:139], -v[118:119]
	v_mul_f64 v[112:113], v[71:72], v[144:145]
	v_fma_f64 v[102:103], v[81:82], v[138:139], v[102:103]
	ds_read_b128 v[79:82], v1 offset:944
	v_add_f64 v[88:89], v[88:89], v[114:115]
	v_add_f64 v[2:3], v[2:3], v[110:111]
	s_waitcnt vmcnt(35) lgkmcnt(1)
	v_mul_f64 v[114:115], v[77:78], v[146:147]
	v_mul_f64 v[110:111], v[75:76], v[146:147]
	s_waitcnt vmcnt(33)
	v_fma_f64 v[120:121], v[71:72], v[86:87], -v[120:121]
	v_fma_f64 v[86:87], v[73:74], v[86:87], v[112:113]
	ds_read_b128 v[71:74], v1 offset:960
	v_add_f64 v[88:89], v[88:89], v[118:119]
	v_add_f64 v[2:3], v[2:3], v[102:103]
	s_waitcnt vmcnt(29) lgkmcnt(1)
	v_mul_f64 v[102:103], v[79:80], v[90:91]
	v_mul_f64 v[90:91], v[81:82], v[90:91]
	s_waitcnt vmcnt(28)
	v_fma_f64 v[112:113], v[75:76], v[148:149], -v[114:115]
	;; [unrolled: 9-line block ×6, first 2 shown]
	v_fma_f64 v[81:82], v[81:82], v[157:158], v[84:85]
	v_add_f64 v[88:89], v[88:89], v[98:99]
	v_add_f64 v[84:85], v[2:3], v[96:97]
	ds_read_b128 v[1:4], v1 offset:1040
	s_waitcnt vmcnt(11) lgkmcnt(1)
	v_mul_f64 v[96:97], v[77:78], v[108:109]
	v_mul_f64 v[90:91], v[75:76], v[108:109]
	s_waitcnt vmcnt(9)
	v_fma_f64 v[71:72], v[71:72], v[94:95], -v[92:93]
	v_fma_f64 v[73:74], v[73:74], v[94:95], v[86:87]
	v_add_f64 v[79:80], v[88:89], v[79:80]
	v_add_f64 v[81:82], v[84:85], v[81:82]
	s_waitcnt vmcnt(7) lgkmcnt(0)
	v_mul_f64 v[86:87], v[3:4], v[100:101]
	s_waitcnt vmcnt(6)
	v_fma_f64 v[75:76], v[75:76], v[152:153], -v[96:97]
	v_mul_f64 v[84:85], v[1:2], v[100:101]
	v_fma_f64 v[77:78], v[77:78], v[152:153], v[90:91]
	v_add_f64 v[71:72], v[79:80], v[71:72]
	v_add_f64 v[73:74], v[81:82], v[73:74]
	s_waitcnt vmcnt(4)
	v_fma_f64 v[1:2], v[1:2], v[104:105], -v[86:87]
	v_fma_f64 v[3:4], v[3:4], v[104:105], v[84:85]
	v_add_f64 v[71:72], v[71:72], v[75:76]
	v_add_f64 v[73:74], v[73:74], v[77:78]
	v_add_f64 v[1:2], v[71:72], v[1:2]
	v_add_f64 v[3:4], v[73:74], v[3:4]
	s_waitcnt vmcnt(2)
	v_add_f64 v[1:2], v[106:107], -v[1:2]
	s_waitcnt vmcnt(0)
	v_add_f64 v[3:4], v[116:117], -v[3:4]
	buffer_store_dword v2, off, s[0:3], 0 offset:148
	buffer_store_dword v1, off, s[0:3], 0 offset:144
	;; [unrolled: 1-line block ×4, first 2 shown]
	v_cmpx_lt_u32_e32 7, v0
	s_cbranch_execz .LBB32_197
; %bb.196:
	v_mov_b32_e32 v4, s38
	v_mov_b32_e32 v71, 0
	s_clause 0x3
	buffer_load_dword v1, v4, s[0:3], 0 offen
	buffer_load_dword v2, v4, s[0:3], 0 offen offset:4
	buffer_load_dword v3, v4, s[0:3], 0 offen offset:8
	;; [unrolled: 1-line block ×3, first 2 shown]
	buffer_store_dword v71, off, s[0:3], 0 offset:128
	buffer_store_dword v71, off, s[0:3], 0 offset:132
	;; [unrolled: 1-line block ×4, first 2 shown]
	s_waitcnt vmcnt(0)
	ds_write_b128 v83, v[1:4]
.LBB32_197:
	s_or_b32 exec_lo, exec_lo, s4
	s_waitcnt lgkmcnt(0)
	s_waitcnt_vscnt null, 0x0
	s_barrier
	buffer_gl0_inv
	s_clause 0x37
	buffer_load_dword v2, off, s[0:3], 0 offset:152
	buffer_load_dword v3, off, s[0:3], 0 offset:156
	;; [unrolled: 1-line block ×56, first 2 shown]
	v_mov_b32_e32 v1, 0
	s_mov_b32 s4, exec_lo
	ds_read_b128 v[71:74], v1 offset:656
	s_clause 0x2
	buffer_load_dword v137, off, s[0:3], 0 offset:380
	buffer_load_dword v141, off, s[0:3], 0 offset:356
	;; [unrolled: 1-line block ×3, first 2 shown]
	ds_read_b128 v[75:78], v1 offset:672
	s_clause 0x4
	buffer_load_dword v145, off, s[0:3], 0 offset:396
	buffer_load_dword v146, off, s[0:3], 0 offset:408
	;; [unrolled: 1-line block ×5, first 2 shown]
	ds_read_b128 v[79:82], v1 offset:688
	s_waitcnt vmcnt(62) lgkmcnt(2)
	v_mul_f64 v[142:143], v[73:74], v[2:3]
	v_mul_f64 v[2:3], v[71:72], v[2:3]
	s_waitcnt vmcnt(60) lgkmcnt(1)
	v_mul_f64 v[149:150], v[77:78], v[84:85]
	v_mul_f64 v[84:85], v[75:76], v[84:85]
	s_waitcnt vmcnt(56) lgkmcnt(0)
	v_mul_f64 v[151:152], v[79:80], v[88:89]
	v_mul_f64 v[88:89], v[81:82], v[88:89]
	v_fma_f64 v[142:143], v[71:72], v[86:87], -v[142:143]
	v_fma_f64 v[2:3], v[73:74], v[86:87], v[2:3]
	s_clause 0x2
	buffer_load_dword v147, off, s[0:3], 0 offset:412
	buffer_load_dword v87, off, s[0:3], 0 offset:388
	;; [unrolled: 1-line block ×3, first 2 shown]
	s_waitcnt vmcnt(57)
	v_fma_f64 v[153:154], v[75:76], v[90:91], -v[149:150]
	ds_read_b128 v[71:74], v1 offset:704
	v_fma_f64 v[84:85], v[77:78], v[90:91], v[84:85]
	s_clause 0x4
	buffer_load_dword v91, off, s[0:3], 0 offset:428
	buffer_load_dword v150, off, s[0:3], 0 offset:440
	;; [unrolled: 1-line block ×5, first 2 shown]
	s_waitcnt vmcnt(56)
	v_fma_f64 v[88:89], v[79:80], v[98:99], -v[88:89]
	ds_read_b128 v[75:78], v1 offset:720
	v_fma_f64 v[98:99], v[81:82], v[98:99], v[151:152]
	v_add_f64 v[142:143], v[142:143], 0
	v_add_f64 v[2:3], v[2:3], 0
	s_waitcnt lgkmcnt(1)
	v_mul_f64 v[156:157], v[71:72], v[92:93]
	v_mul_f64 v[92:93], v[73:74], v[92:93]
	v_add_f64 v[142:143], v[142:143], v[153:154]
	v_add_f64 v[2:3], v[2:3], v[84:85]
	s_clause 0x2
	buffer_load_dword v151, off, s[0:3], 0 offset:444
	buffer_load_dword v85, off, s[0:3], 0 offset:420
	buffer_load_dword v84, off, s[0:3], 0 offset:416
	s_waitcnt vmcnt(58) lgkmcnt(0)
	v_mul_f64 v[152:153], v[75:76], v[94:95]
	v_mul_f64 v[94:95], v[77:78], v[94:95]
	s_waitcnt vmcnt(56)
	v_fma_f64 v[92:93], v[71:72], v[100:101], -v[92:93]
	ds_read_b128 v[79:82], v1 offset:736
	v_fma_f64 v[100:101], v[73:74], v[100:101], v[156:157]
	v_add_f64 v[88:89], v[142:143], v[88:89]
	v_add_f64 v[2:3], v[2:3], v[98:99]
	s_clause 0x4
	buffer_load_dword v99, off, s[0:3], 0 offset:460
	buffer_load_dword v142, off, s[0:3], 0 offset:472
	;; [unrolled: 1-line block ×5, first 2 shown]
	ds_read_b128 v[71:74], v1 offset:752
	s_waitcnt vmcnt(57) lgkmcnt(1)
	v_mul_f64 v[158:159], v[79:80], v[102:103]
	v_mul_f64 v[102:103], v[81:82], v[102:103]
	s_waitcnt vmcnt(56)
	v_fma_f64 v[94:95], v[75:76], v[96:97], -v[94:95]
	v_add_f64 v[88:89], v[88:89], v[92:93]
	v_fma_f64 v[92:93], v[77:78], v[96:97], v[152:153]
	v_add_f64 v[2:3], v[2:3], v[100:101]
	s_clause 0x2
	buffer_load_dword v143, off, s[0:3], 0 offset:476
	buffer_load_dword v97, off, s[0:3], 0 offset:452
	;; [unrolled: 1-line block ×3, first 2 shown]
	s_waitcnt vmcnt(58) lgkmcnt(0)
	v_mul_f64 v[100:101], v[71:72], v[104:105]
	v_mul_f64 v[104:105], v[73:74], v[104:105]
	s_waitcnt vmcnt(56)
	v_fma_f64 v[102:103], v[79:80], v[108:109], -v[102:103]
	ds_read_b128 v[75:78], v1 offset:768
	v_add_f64 v[88:89], v[88:89], v[94:95]
	v_fma_f64 v[94:95], v[81:82], v[108:109], v[158:159]
	v_add_f64 v[2:3], v[2:3], v[92:93]
	s_clause 0x4
	buffer_load_dword v93, off, s[0:3], 0 offset:492
	buffer_load_dword v108, off, s[0:3], 0 offset:504
	;; [unrolled: 1-line block ×5, first 2 shown]
	ds_read_b128 v[79:82], v1 offset:784
	s_waitcnt vmcnt(57) lgkmcnt(1)
	v_mul_f64 v[153:154], v[75:76], v[110:111]
	v_mul_f64 v[110:111], v[77:78], v[110:111]
	s_waitcnt vmcnt(56)
	v_fma_f64 v[104:105], v[71:72], v[106:107], -v[104:105]
	v_fma_f64 v[100:101], v[73:74], v[106:107], v[100:101]
	v_add_f64 v[88:89], v[88:89], v[102:103]
	v_add_f64 v[2:3], v[2:3], v[94:95]
	s_clause 0x2
	buffer_load_dword v109, off, s[0:3], 0 offset:508
	buffer_load_dword v95, off, s[0:3], 0 offset:484
	;; [unrolled: 1-line block ×3, first 2 shown]
	s_waitcnt vmcnt(58) lgkmcnt(0)
	v_mul_f64 v[106:107], v[81:82], v[112:113]
	ds_read_b128 v[71:74], v1 offset:800
	s_waitcnt vmcnt(56)
	v_fma_f64 v[110:111], v[75:76], v[116:117], -v[110:111]
	v_mul_f64 v[102:103], v[79:80], v[112:113]
	v_add_f64 v[88:89], v[88:89], v[104:105]
	v_fma_f64 v[104:105], v[77:78], v[116:117], v[153:154]
	v_add_f64 v[2:3], v[2:3], v[100:101]
	s_clause 0x4
	buffer_load_dword v101, off, s[0:3], 0 offset:524
	buffer_load_dword v112, off, s[0:3], 0 offset:536
	;; [unrolled: 1-line block ×5, first 2 shown]
	s_waitcnt vmcnt(57) lgkmcnt(0)
	v_mul_f64 v[159:160], v[71:72], v[118:119]
	v_mul_f64 v[117:118], v[73:74], v[118:119]
	s_waitcnt vmcnt(56)
	v_fma_f64 v[106:107], v[79:80], v[114:115], -v[106:107]
	ds_read_b128 v[75:78], v1 offset:816
	v_fma_f64 v[102:103], v[81:82], v[114:115], v[102:103]
	v_add_f64 v[88:89], v[88:89], v[110:111]
	v_add_f64 v[2:3], v[2:3], v[104:105]
	s_clause 0x2
	buffer_load_dword v113, off, s[0:3], 0 offset:540
	buffer_load_dword v105, off, s[0:3], 0 offset:516
	buffer_load_dword v104, off, s[0:3], 0 offset:512
	ds_read_b128 v[79:82], v1 offset:832
	s_waitcnt vmcnt(58) lgkmcnt(1)
	v_mul_f64 v[114:115], v[77:78], v[120:121]
	s_waitcnt vmcnt(56)
	v_fma_f64 v[118:119], v[71:72], v[124:125], -v[117:118]
	v_mul_f64 v[110:111], v[75:76], v[120:121]
	buffer_load_dword v117, off, s[0:3], 0 offset:532
	v_add_f64 v[88:89], v[88:89], v[106:107]
	v_fma_f64 v[106:107], v[73:74], v[124:125], v[159:160]
	v_add_f64 v[2:3], v[2:3], v[102:103]
	ds_read_b128 v[71:74], v1 offset:848
	s_waitcnt vmcnt(53) lgkmcnt(1)
	v_mul_f64 v[120:121], v[81:82], v[126:127]
	s_waitcnt vmcnt(52)
	v_fma_f64 v[114:115], v[75:76], v[122:123], -v[114:115]
	v_mul_f64 v[102:103], v[79:80], v[126:127]
	v_fma_f64 v[110:111], v[77:78], v[122:123], v[110:111]
	ds_read_b128 v[75:78], v1 offset:864
	v_add_f64 v[88:89], v[88:89], v[118:119]
	s_waitcnt vmcnt(51) lgkmcnt(1)
	v_mul_f64 v[118:119], v[73:74], v[128:129]
	v_add_f64 v[2:3], v[2:3], v[106:107]
	v_mul_f64 v[106:107], v[71:72], v[128:129]
	s_waitcnt vmcnt(49)
	v_fma_f64 v[120:121], v[79:80], v[132:133], -v[120:121]
	v_fma_f64 v[102:103], v[81:82], v[132:133], v[102:103]
	s_waitcnt vmcnt(45) lgkmcnt(0)
	v_mul_f64 v[124:125], v[77:78], v[134:135]
	v_mul_f64 v[122:123], v[75:76], v[134:135]
	v_add_f64 v[88:89], v[88:89], v[114:115]
	s_waitcnt vmcnt(44)
	v_fma_f64 v[118:119], v[71:72], v[130:131], -v[118:119]
	v_add_f64 v[2:3], v[2:3], v[110:111]
	s_clause 0x3
	buffer_load_dword v110, off, s[0:3], 0 offset:128
	buffer_load_dword v111, off, s[0:3], 0 offset:132
	;; [unrolled: 1-line block ×4, first 2 shown]
	ds_read_b128 v[79:82], v1 offset:880
	v_fma_f64 v[106:107], v[73:74], v[130:131], v[106:107]
	ds_read_b128 v[71:74], v1 offset:896
	s_waitcnt vmcnt(45)
	v_fma_f64 v[124:125], v[75:76], v[140:141], -v[124:125]
	v_add_f64 v[88:89], v[88:89], v[120:121]
	v_add_f64 v[2:3], v[2:3], v[102:103]
	s_waitcnt lgkmcnt(1)
	v_mul_f64 v[120:121], v[81:82], v[136:137]
	v_mul_f64 v[102:103], v[79:80], v[136:137]
	v_add_f64 v[88:89], v[88:89], v[118:119]
	v_fma_f64 v[118:119], v[77:78], v[140:141], v[122:123]
	v_add_f64 v[2:3], v[2:3], v[106:107]
	s_waitcnt vmcnt(41) lgkmcnt(0)
	v_mul_f64 v[122:123], v[73:74], v[144:145]
	s_waitcnt vmcnt(40)
	v_fma_f64 v[120:121], v[79:80], v[138:139], -v[120:121]
	ds_read_b128 v[75:78], v1 offset:912
	v_mul_f64 v[106:107], v[71:72], v[144:145]
	v_fma_f64 v[102:103], v[81:82], v[138:139], v[102:103]
	ds_read_b128 v[79:82], v1 offset:928
	v_add_f64 v[88:89], v[88:89], v[124:125]
	v_add_f64 v[2:3], v[2:3], v[118:119]
	s_waitcnt vmcnt(39) lgkmcnt(1)
	v_mul_f64 v[124:125], v[77:78], v[146:147]
	v_mul_f64 v[118:119], v[75:76], v[146:147]
	s_waitcnt vmcnt(37)
	v_fma_f64 v[122:123], v[71:72], v[86:87], -v[122:123]
	v_fma_f64 v[86:87], v[73:74], v[86:87], v[106:107]
	ds_read_b128 v[71:74], v1 offset:944
	v_add_f64 v[88:89], v[88:89], v[120:121]
	v_add_f64 v[2:3], v[2:3], v[102:103]
	s_waitcnt vmcnt(33) lgkmcnt(1)
	v_mul_f64 v[102:103], v[79:80], v[90:91]
	v_mul_f64 v[90:91], v[81:82], v[90:91]
	s_waitcnt vmcnt(32)
	v_fma_f64 v[106:107], v[75:76], v[148:149], -v[124:125]
	;; [unrolled: 9-line block ×7, first 2 shown]
	v_fma_f64 v[86:87], v[73:74], v[94:95], v[86:87]
	ds_read_b128 v[71:74], v1 offset:1040
	v_add_f64 v[88:89], v[88:89], v[90:91]
	v_add_f64 v[2:3], v[2:3], v[84:85]
	s_waitcnt vmcnt(9) lgkmcnt(1)
	v_mul_f64 v[90:91], v[81:82], v[100:101]
	s_waitcnt vmcnt(8)
	v_fma_f64 v[75:76], v[75:76], v[152:153], -v[98:99]
	v_mul_f64 v[84:85], v[79:80], v[100:101]
	v_fma_f64 v[77:78], v[77:78], v[152:153], v[96:97]
	v_add_f64 v[88:89], v[88:89], v[92:93]
	v_add_f64 v[2:3], v[2:3], v[86:87]
	s_waitcnt vmcnt(7) lgkmcnt(0)
	v_mul_f64 v[92:93], v[73:74], v[112:113]
	v_mul_f64 v[86:87], v[71:72], v[112:113]
	s_waitcnt vmcnt(5)
	v_fma_f64 v[79:80], v[79:80], v[104:105], -v[90:91]
	v_fma_f64 v[81:82], v[81:82], v[104:105], v[84:85]
	v_add_f64 v[75:76], v[88:89], v[75:76]
	v_add_f64 v[2:3], v[2:3], v[77:78]
	s_waitcnt vmcnt(4)
	v_fma_f64 v[71:72], v[71:72], v[116:117], -v[92:93]
	v_fma_f64 v[73:74], v[73:74], v[116:117], v[86:87]
	v_add_f64 v[75:76], v[75:76], v[79:80]
	v_add_f64 v[2:3], v[2:3], v[81:82]
	;; [unrolled: 1-line block ×4, first 2 shown]
	s_waitcnt vmcnt(2)
	v_add_f64 v[71:72], v[110:111], -v[71:72]
	s_waitcnt vmcnt(0)
	v_add_f64 v[2:3], v[114:115], -v[2:3]
	buffer_store_dword v72, off, s[0:3], 0 offset:132
	buffer_store_dword v71, off, s[0:3], 0 offset:128
	;; [unrolled: 1-line block ×4, first 2 shown]
	v_cmpx_lt_u32_e32 6, v0
	s_cbranch_execz .LBB32_199
; %bb.198:
	v_mov_b32_e32 v2, s39
	s_clause 0x3
	buffer_load_dword v71, v2, s[0:3], 0 offen
	buffer_load_dword v72, v2, s[0:3], 0 offen offset:4
	buffer_load_dword v73, v2, s[0:3], 0 offen offset:8
	;; [unrolled: 1-line block ×3, first 2 shown]
	buffer_store_dword v1, off, s[0:3], 0 offset:112
	buffer_store_dword v1, off, s[0:3], 0 offset:116
	;; [unrolled: 1-line block ×4, first 2 shown]
	s_waitcnt vmcnt(0)
	ds_write_b128 v83, v[71:74]
.LBB32_199:
	s_or_b32 exec_lo, exec_lo, s4
	s_waitcnt lgkmcnt(0)
	s_waitcnt_vscnt null, 0x0
	s_barrier
	buffer_gl0_inv
	s_clause 0x37
	buffer_load_dword v2, off, s[0:3], 0 offset:136
	buffer_load_dword v3, off, s[0:3], 0 offset:140
	;; [unrolled: 1-line block ×56, first 2 shown]
	ds_read_b128 v[71:74], v1 offset:640
	s_clause 0x2
	buffer_load_dword v137, off, s[0:3], 0 offset:364
	buffer_load_dword v141, off, s[0:3], 0 offset:340
	;; [unrolled: 1-line block ×3, first 2 shown]
	ds_read_b128 v[75:78], v1 offset:656
	s_clause 0x4
	buffer_load_dword v145, off, s[0:3], 0 offset:380
	buffer_load_dword v146, off, s[0:3], 0 offset:392
	;; [unrolled: 1-line block ×5, first 2 shown]
	ds_read_b128 v[79:82], v1 offset:672
	s_mov_b32 s4, exec_lo
	s_waitcnt vmcnt(62) lgkmcnt(2)
	v_mul_f64 v[142:143], v[73:74], v[2:3]
	v_mul_f64 v[2:3], v[71:72], v[2:3]
	s_waitcnt vmcnt(60) lgkmcnt(1)
	v_mul_f64 v[149:150], v[77:78], v[84:85]
	v_mul_f64 v[84:85], v[75:76], v[84:85]
	;; [unrolled: 3-line block ×3, first 2 shown]
	v_fma_f64 v[142:143], v[71:72], v[86:87], -v[142:143]
	v_fma_f64 v[2:3], v[73:74], v[86:87], v[2:3]
	s_clause 0x2
	buffer_load_dword v147, off, s[0:3], 0 offset:396
	buffer_load_dword v87, off, s[0:3], 0 offset:372
	;; [unrolled: 1-line block ×3, first 2 shown]
	s_waitcnt vmcnt(57)
	v_fma_f64 v[153:154], v[75:76], v[90:91], -v[149:150]
	ds_read_b128 v[71:74], v1 offset:688
	v_fma_f64 v[84:85], v[77:78], v[90:91], v[84:85]
	s_clause 0x4
	buffer_load_dword v91, off, s[0:3], 0 offset:412
	buffer_load_dword v150, off, s[0:3], 0 offset:424
	;; [unrolled: 1-line block ×5, first 2 shown]
	s_waitcnt vmcnt(56)
	v_fma_f64 v[88:89], v[79:80], v[98:99], -v[88:89]
	ds_read_b128 v[75:78], v1 offset:704
	v_fma_f64 v[98:99], v[81:82], v[98:99], v[151:152]
	v_add_f64 v[142:143], v[142:143], 0
	v_add_f64 v[2:3], v[2:3], 0
	s_waitcnt lgkmcnt(1)
	v_mul_f64 v[156:157], v[71:72], v[92:93]
	v_mul_f64 v[92:93], v[73:74], v[92:93]
	v_add_f64 v[142:143], v[142:143], v[153:154]
	v_add_f64 v[2:3], v[2:3], v[84:85]
	s_clause 0x2
	buffer_load_dword v151, off, s[0:3], 0 offset:428
	buffer_load_dword v85, off, s[0:3], 0 offset:404
	;; [unrolled: 1-line block ×3, first 2 shown]
	s_waitcnt vmcnt(58) lgkmcnt(0)
	v_mul_f64 v[152:153], v[75:76], v[94:95]
	v_mul_f64 v[94:95], v[77:78], v[94:95]
	s_waitcnt vmcnt(56)
	v_fma_f64 v[92:93], v[71:72], v[100:101], -v[92:93]
	ds_read_b128 v[79:82], v1 offset:720
	v_fma_f64 v[100:101], v[73:74], v[100:101], v[156:157]
	v_add_f64 v[88:89], v[142:143], v[88:89]
	v_add_f64 v[2:3], v[2:3], v[98:99]
	s_clause 0x4
	buffer_load_dword v99, off, s[0:3], 0 offset:444
	buffer_load_dword v142, off, s[0:3], 0 offset:456
	;; [unrolled: 1-line block ×5, first 2 shown]
	ds_read_b128 v[71:74], v1 offset:736
	s_waitcnt vmcnt(57) lgkmcnt(1)
	v_mul_f64 v[158:159], v[79:80], v[102:103]
	v_mul_f64 v[102:103], v[81:82], v[102:103]
	s_waitcnt vmcnt(56)
	v_fma_f64 v[94:95], v[75:76], v[96:97], -v[94:95]
	v_add_f64 v[88:89], v[88:89], v[92:93]
	v_fma_f64 v[92:93], v[77:78], v[96:97], v[152:153]
	v_add_f64 v[2:3], v[2:3], v[100:101]
	s_clause 0x2
	buffer_load_dword v143, off, s[0:3], 0 offset:460
	buffer_load_dword v97, off, s[0:3], 0 offset:436
	;; [unrolled: 1-line block ×3, first 2 shown]
	s_waitcnt vmcnt(58) lgkmcnt(0)
	v_mul_f64 v[100:101], v[71:72], v[104:105]
	v_mul_f64 v[104:105], v[73:74], v[104:105]
	s_waitcnt vmcnt(56)
	v_fma_f64 v[102:103], v[79:80], v[108:109], -v[102:103]
	ds_read_b128 v[75:78], v1 offset:752
	v_add_f64 v[88:89], v[88:89], v[94:95]
	v_fma_f64 v[94:95], v[81:82], v[108:109], v[158:159]
	v_add_f64 v[2:3], v[2:3], v[92:93]
	s_clause 0x4
	buffer_load_dword v93, off, s[0:3], 0 offset:476
	buffer_load_dword v108, off, s[0:3], 0 offset:488
	;; [unrolled: 1-line block ×5, first 2 shown]
	ds_read_b128 v[79:82], v1 offset:768
	s_waitcnt vmcnt(57) lgkmcnt(1)
	v_mul_f64 v[153:154], v[75:76], v[110:111]
	v_mul_f64 v[110:111], v[77:78], v[110:111]
	s_waitcnt vmcnt(56)
	v_fma_f64 v[104:105], v[71:72], v[106:107], -v[104:105]
	v_fma_f64 v[100:101], v[73:74], v[106:107], v[100:101]
	v_add_f64 v[88:89], v[88:89], v[102:103]
	v_add_f64 v[2:3], v[2:3], v[94:95]
	s_clause 0x2
	buffer_load_dword v109, off, s[0:3], 0 offset:492
	buffer_load_dword v95, off, s[0:3], 0 offset:468
	;; [unrolled: 1-line block ×3, first 2 shown]
	s_waitcnt vmcnt(58) lgkmcnt(0)
	v_mul_f64 v[106:107], v[81:82], v[112:113]
	ds_read_b128 v[71:74], v1 offset:784
	s_waitcnt vmcnt(56)
	v_fma_f64 v[110:111], v[75:76], v[116:117], -v[110:111]
	v_mul_f64 v[102:103], v[79:80], v[112:113]
	v_add_f64 v[88:89], v[88:89], v[104:105]
	v_fma_f64 v[104:105], v[77:78], v[116:117], v[153:154]
	v_add_f64 v[2:3], v[2:3], v[100:101]
	s_clause 0x4
	buffer_load_dword v101, off, s[0:3], 0 offset:508
	buffer_load_dword v112, off, s[0:3], 0 offset:520
	;; [unrolled: 1-line block ×5, first 2 shown]
	s_waitcnt vmcnt(57) lgkmcnt(0)
	v_mul_f64 v[159:160], v[71:72], v[118:119]
	v_mul_f64 v[117:118], v[73:74], v[118:119]
	s_waitcnt vmcnt(56)
	v_fma_f64 v[106:107], v[79:80], v[114:115], -v[106:107]
	ds_read_b128 v[75:78], v1 offset:800
	v_fma_f64 v[102:103], v[81:82], v[114:115], v[102:103]
	v_add_f64 v[88:89], v[88:89], v[110:111]
	v_add_f64 v[2:3], v[2:3], v[104:105]
	s_clause 0x2
	buffer_load_dword v113, off, s[0:3], 0 offset:524
	buffer_load_dword v105, off, s[0:3], 0 offset:500
	;; [unrolled: 1-line block ×3, first 2 shown]
	ds_read_b128 v[79:82], v1 offset:816
	s_waitcnt vmcnt(58) lgkmcnt(1)
	v_mul_f64 v[114:115], v[77:78], v[120:121]
	s_waitcnt vmcnt(56)
	v_fma_f64 v[118:119], v[71:72], v[124:125], -v[117:118]
	v_mul_f64 v[110:111], v[75:76], v[120:121]
	v_add_f64 v[88:89], v[88:89], v[106:107]
	v_fma_f64 v[106:107], v[73:74], v[124:125], v[159:160]
	v_add_f64 v[2:3], v[2:3], v[102:103]
	s_clause 0x2
	buffer_load_dword v103, off, s[0:3], 0 offset:540
	buffer_load_dword v102, off, s[0:3], 0 offset:536
	;; [unrolled: 1-line block ×3, first 2 shown]
	s_waitcnt vmcnt(55) lgkmcnt(0)
	v_mul_f64 v[124:125], v[81:82], v[126:127]
	s_waitcnt vmcnt(54)
	v_fma_f64 v[114:115], v[75:76], v[122:123], -v[114:115]
	ds_read_b128 v[71:74], v1 offset:832
	v_mul_f64 v[120:121], v[79:80], v[126:127]
	v_fma_f64 v[110:111], v[77:78], v[122:123], v[110:111]
	v_add_f64 v[88:89], v[88:89], v[118:119]
	v_add_f64 v[2:3], v[2:3], v[106:107]
	s_clause 0x1
	buffer_load_dword v107, off, s[0:3], 0 offset:532
	buffer_load_dword v106, off, s[0:3], 0 offset:528
	s_waitcnt vmcnt(55) lgkmcnt(0)
	v_mul_f64 v[122:123], v[73:74], v[128:129]
	s_waitcnt vmcnt(53)
	v_fma_f64 v[124:125], v[79:80], v[132:133], -v[124:125]
	ds_read_b128 v[75:78], v1 offset:848
	v_mul_f64 v[118:119], v[71:72], v[128:129]
	v_add_f64 v[88:89], v[88:89], v[114:115]
	v_fma_f64 v[114:115], v[81:82], v[132:133], v[120:121]
	v_add_f64 v[2:3], v[2:3], v[110:111]
	ds_read_b128 v[79:82], v1 offset:864
	s_waitcnt vmcnt(49) lgkmcnt(1)
	v_mul_f64 v[120:121], v[77:78], v[134:135]
	s_waitcnt vmcnt(48)
	v_fma_f64 v[122:123], v[71:72], v[130:131], -v[122:123]
	v_mul_f64 v[110:111], v[75:76], v[134:135]
	v_fma_f64 v[118:119], v[73:74], v[130:131], v[118:119]
	v_add_f64 v[88:89], v[88:89], v[124:125]
	s_waitcnt vmcnt(47) lgkmcnt(0)
	v_mul_f64 v[128:129], v[81:82], v[136:137]
	v_add_f64 v[2:3], v[2:3], v[114:115]
	s_clause 0x3
	buffer_load_dword v114, off, s[0:3], 0 offset:112
	buffer_load_dword v115, off, s[0:3], 0 offset:116
	;; [unrolled: 1-line block ×4, first 2 shown]
	s_waitcnt vmcnt(49)
	v_fma_f64 v[120:121], v[75:76], v[140:141], -v[120:121]
	ds_read_b128 v[71:74], v1 offset:880
	v_mul_f64 v[126:127], v[79:80], v[136:137]
	v_fma_f64 v[110:111], v[77:78], v[140:141], v[110:111]
	ds_read_b128 v[75:78], v1 offset:896
	v_add_f64 v[88:89], v[88:89], v[122:123]
	s_waitcnt vmcnt(44)
	v_fma_f64 v[128:129], v[79:80], v[138:139], -v[128:129]
	v_add_f64 v[2:3], v[2:3], v[118:119]
	s_waitcnt lgkmcnt(1)
	v_mul_f64 v[122:123], v[73:74], v[144:145]
	v_mul_f64 v[118:119], v[71:72], v[144:145]
	v_add_f64 v[88:89], v[88:89], v[120:121]
	v_fma_f64 v[120:121], v[81:82], v[138:139], v[126:127]
	v_add_f64 v[2:3], v[2:3], v[110:111]
	ds_read_b128 v[79:82], v1 offset:912
	s_waitcnt vmcnt(43) lgkmcnt(1)
	v_mul_f64 v[126:127], v[77:78], v[146:147]
	v_mul_f64 v[110:111], v[75:76], v[146:147]
	s_waitcnt vmcnt(41)
	v_fma_f64 v[122:123], v[71:72], v[86:87], -v[122:123]
	v_fma_f64 v[86:87], v[73:74], v[86:87], v[118:119]
	ds_read_b128 v[71:74], v1 offset:928
	v_add_f64 v[88:89], v[88:89], v[128:129]
	s_waitcnt vmcnt(37) lgkmcnt(1)
	v_mul_f64 v[118:119], v[79:80], v[90:91]
	v_add_f64 v[2:3], v[2:3], v[120:121]
	v_mul_f64 v[90:91], v[81:82], v[90:91]
	s_waitcnt vmcnt(36)
	v_fma_f64 v[120:121], v[75:76], v[148:149], -v[126:127]
	v_fma_f64 v[110:111], v[77:78], v[148:149], v[110:111]
	ds_read_b128 v[75:78], v1 offset:944
	v_add_f64 v[88:89], v[88:89], v[122:123]
	v_add_f64 v[2:3], v[2:3], v[86:87]
	s_waitcnt vmcnt(35) lgkmcnt(1)
	v_mul_f64 v[122:123], v[73:74], v[150:151]
	v_mul_f64 v[86:87], v[71:72], v[150:151]
	s_waitcnt vmcnt(33)
	v_fma_f64 v[90:91], v[79:80], v[84:85], -v[90:91]
	v_fma_f64 v[84:85], v[81:82], v[84:85], v[118:119]
	ds_read_b128 v[79:82], v1 offset:960
	v_add_f64 v[88:89], v[88:89], v[120:121]
	v_add_f64 v[2:3], v[2:3], v[110:111]
	s_waitcnt vmcnt(29) lgkmcnt(1)
	v_mul_f64 v[110:111], v[75:76], v[98:99]
	;; [unrolled: 9-line block ×6, first 2 shown]
	s_waitcnt vmcnt(12)
	v_fma_f64 v[75:76], v[75:76], v[152:153], -v[98:99]
	v_mul_f64 v[84:85], v[79:80], v[100:101]
	v_fma_f64 v[77:78], v[77:78], v[152:153], v[96:97]
	v_add_f64 v[88:89], v[88:89], v[92:93]
	v_add_f64 v[86:87], v[2:3], v[86:87]
	ds_read_b128 v[1:4], v1 offset:1040
	s_waitcnt vmcnt(11) lgkmcnt(1)
	v_mul_f64 v[94:95], v[73:74], v[112:113]
	v_mul_f64 v[92:93], v[71:72], v[112:113]
	s_waitcnt vmcnt(9)
	v_fma_f64 v[79:80], v[79:80], v[104:105], -v[90:91]
	v_fma_f64 v[81:82], v[81:82], v[104:105], v[84:85]
	v_add_f64 v[75:76], v[88:89], v[75:76]
	v_add_f64 v[77:78], v[86:87], v[77:78]
	s_waitcnt vmcnt(7) lgkmcnt(0)
	v_mul_f64 v[86:87], v[3:4], v[102:103]
	s_waitcnt vmcnt(6)
	v_fma_f64 v[71:72], v[71:72], v[116:117], -v[94:95]
	v_mul_f64 v[84:85], v[1:2], v[102:103]
	v_fma_f64 v[73:74], v[73:74], v[116:117], v[92:93]
	v_add_f64 v[75:76], v[75:76], v[79:80]
	v_add_f64 v[77:78], v[77:78], v[81:82]
	s_waitcnt vmcnt(4)
	v_fma_f64 v[1:2], v[1:2], v[106:107], -v[86:87]
	v_fma_f64 v[3:4], v[3:4], v[106:107], v[84:85]
	v_add_f64 v[71:72], v[75:76], v[71:72]
	v_add_f64 v[73:74], v[77:78], v[73:74]
	;; [unrolled: 1-line block ×4, first 2 shown]
	s_waitcnt vmcnt(2)
	v_add_f64 v[1:2], v[114:115], -v[1:2]
	s_waitcnt vmcnt(0)
	v_add_f64 v[3:4], v[124:125], -v[3:4]
	buffer_store_dword v2, off, s[0:3], 0 offset:116
	buffer_store_dword v1, off, s[0:3], 0 offset:112
	;; [unrolled: 1-line block ×4, first 2 shown]
	v_cmpx_lt_u32_e32 5, v0
	s_cbranch_execz .LBB32_201
; %bb.200:
	v_mov_b32_e32 v4, s40
	v_mov_b32_e32 v71, 0
	s_clause 0x3
	buffer_load_dword v1, v4, s[0:3], 0 offen
	buffer_load_dword v2, v4, s[0:3], 0 offen offset:4
	buffer_load_dword v3, v4, s[0:3], 0 offen offset:8
	;; [unrolled: 1-line block ×3, first 2 shown]
	buffer_store_dword v71, off, s[0:3], 0 offset:96
	buffer_store_dword v71, off, s[0:3], 0 offset:100
	buffer_store_dword v71, off, s[0:3], 0 offset:104
	buffer_store_dword v71, off, s[0:3], 0 offset:108
	s_waitcnt vmcnt(0)
	ds_write_b128 v83, v[1:4]
.LBB32_201:
	s_or_b32 exec_lo, exec_lo, s4
	s_waitcnt lgkmcnt(0)
	s_waitcnt_vscnt null, 0x0
	s_barrier
	buffer_gl0_inv
	s_clause 0x37
	buffer_load_dword v2, off, s[0:3], 0 offset:120
	buffer_load_dword v3, off, s[0:3], 0 offset:124
	;; [unrolled: 1-line block ×56, first 2 shown]
	v_mov_b32_e32 v1, 0
	s_mov_b32 s4, exec_lo
	ds_read_b128 v[71:74], v1 offset:624
	s_clause 0x2
	buffer_load_dword v137, off, s[0:3], 0 offset:348
	buffer_load_dword v141, off, s[0:3], 0 offset:324
	;; [unrolled: 1-line block ×3, first 2 shown]
	ds_read_b128 v[75:78], v1 offset:640
	s_clause 0x4
	buffer_load_dword v145, off, s[0:3], 0 offset:364
	buffer_load_dword v146, off, s[0:3], 0 offset:376
	;; [unrolled: 1-line block ×5, first 2 shown]
	ds_read_b128 v[79:82], v1 offset:656
	s_waitcnt vmcnt(62) lgkmcnt(2)
	v_mul_f64 v[142:143], v[73:74], v[2:3]
	v_mul_f64 v[2:3], v[71:72], v[2:3]
	s_waitcnt vmcnt(60) lgkmcnt(1)
	v_mul_f64 v[149:150], v[77:78], v[84:85]
	v_mul_f64 v[84:85], v[75:76], v[84:85]
	;; [unrolled: 3-line block ×3, first 2 shown]
	v_fma_f64 v[142:143], v[71:72], v[86:87], -v[142:143]
	v_fma_f64 v[2:3], v[73:74], v[86:87], v[2:3]
	s_clause 0x2
	buffer_load_dword v147, off, s[0:3], 0 offset:380
	buffer_load_dword v87, off, s[0:3], 0 offset:356
	;; [unrolled: 1-line block ×3, first 2 shown]
	s_waitcnt vmcnt(57)
	v_fma_f64 v[153:154], v[75:76], v[90:91], -v[149:150]
	ds_read_b128 v[71:74], v1 offset:672
	v_fma_f64 v[84:85], v[77:78], v[90:91], v[84:85]
	s_clause 0x4
	buffer_load_dword v91, off, s[0:3], 0 offset:396
	buffer_load_dword v150, off, s[0:3], 0 offset:408
	;; [unrolled: 1-line block ×5, first 2 shown]
	s_waitcnt vmcnt(56)
	v_fma_f64 v[88:89], v[79:80], v[98:99], -v[88:89]
	ds_read_b128 v[75:78], v1 offset:688
	v_fma_f64 v[98:99], v[81:82], v[98:99], v[151:152]
	v_add_f64 v[142:143], v[142:143], 0
	v_add_f64 v[2:3], v[2:3], 0
	s_waitcnt lgkmcnt(1)
	v_mul_f64 v[156:157], v[71:72], v[92:93]
	v_mul_f64 v[92:93], v[73:74], v[92:93]
	v_add_f64 v[142:143], v[142:143], v[153:154]
	v_add_f64 v[2:3], v[2:3], v[84:85]
	s_clause 0x2
	buffer_load_dword v151, off, s[0:3], 0 offset:412
	buffer_load_dword v85, off, s[0:3], 0 offset:388
	;; [unrolled: 1-line block ×3, first 2 shown]
	s_waitcnt vmcnt(58) lgkmcnt(0)
	v_mul_f64 v[152:153], v[75:76], v[94:95]
	v_mul_f64 v[94:95], v[77:78], v[94:95]
	s_waitcnt vmcnt(56)
	v_fma_f64 v[92:93], v[71:72], v[100:101], -v[92:93]
	ds_read_b128 v[79:82], v1 offset:704
	v_fma_f64 v[100:101], v[73:74], v[100:101], v[156:157]
	v_add_f64 v[88:89], v[142:143], v[88:89]
	v_add_f64 v[2:3], v[2:3], v[98:99]
	s_clause 0x4
	buffer_load_dword v99, off, s[0:3], 0 offset:428
	buffer_load_dword v142, off, s[0:3], 0 offset:440
	;; [unrolled: 1-line block ×5, first 2 shown]
	ds_read_b128 v[71:74], v1 offset:720
	s_waitcnt vmcnt(57) lgkmcnt(1)
	v_mul_f64 v[158:159], v[79:80], v[102:103]
	v_mul_f64 v[102:103], v[81:82], v[102:103]
	s_waitcnt vmcnt(56)
	v_fma_f64 v[94:95], v[75:76], v[96:97], -v[94:95]
	v_add_f64 v[88:89], v[88:89], v[92:93]
	v_fma_f64 v[92:93], v[77:78], v[96:97], v[152:153]
	v_add_f64 v[2:3], v[2:3], v[100:101]
	s_clause 0x2
	buffer_load_dword v143, off, s[0:3], 0 offset:444
	buffer_load_dword v97, off, s[0:3], 0 offset:420
	;; [unrolled: 1-line block ×3, first 2 shown]
	s_waitcnt vmcnt(58) lgkmcnt(0)
	v_mul_f64 v[100:101], v[71:72], v[104:105]
	v_mul_f64 v[104:105], v[73:74], v[104:105]
	s_waitcnt vmcnt(56)
	v_fma_f64 v[102:103], v[79:80], v[108:109], -v[102:103]
	ds_read_b128 v[75:78], v1 offset:736
	v_add_f64 v[88:89], v[88:89], v[94:95]
	v_fma_f64 v[94:95], v[81:82], v[108:109], v[158:159]
	v_add_f64 v[2:3], v[2:3], v[92:93]
	s_clause 0x4
	buffer_load_dword v93, off, s[0:3], 0 offset:460
	buffer_load_dword v108, off, s[0:3], 0 offset:472
	;; [unrolled: 1-line block ×5, first 2 shown]
	ds_read_b128 v[79:82], v1 offset:752
	s_waitcnt vmcnt(57) lgkmcnt(1)
	v_mul_f64 v[153:154], v[75:76], v[110:111]
	v_mul_f64 v[110:111], v[77:78], v[110:111]
	s_waitcnt vmcnt(56)
	v_fma_f64 v[104:105], v[71:72], v[106:107], -v[104:105]
	v_fma_f64 v[100:101], v[73:74], v[106:107], v[100:101]
	v_add_f64 v[88:89], v[88:89], v[102:103]
	v_add_f64 v[2:3], v[2:3], v[94:95]
	s_clause 0x2
	buffer_load_dword v109, off, s[0:3], 0 offset:476
	buffer_load_dword v95, off, s[0:3], 0 offset:452
	;; [unrolled: 1-line block ×3, first 2 shown]
	s_waitcnt vmcnt(58) lgkmcnt(0)
	v_mul_f64 v[106:107], v[81:82], v[112:113]
	ds_read_b128 v[71:74], v1 offset:768
	s_waitcnt vmcnt(56)
	v_fma_f64 v[110:111], v[75:76], v[116:117], -v[110:111]
	v_mul_f64 v[102:103], v[79:80], v[112:113]
	v_add_f64 v[88:89], v[88:89], v[104:105]
	v_fma_f64 v[104:105], v[77:78], v[116:117], v[153:154]
	v_add_f64 v[2:3], v[2:3], v[100:101]
	s_clause 0x4
	buffer_load_dword v101, off, s[0:3], 0 offset:492
	buffer_load_dword v112, off, s[0:3], 0 offset:504
	;; [unrolled: 1-line block ×5, first 2 shown]
	s_waitcnt vmcnt(57) lgkmcnt(0)
	v_mul_f64 v[159:160], v[71:72], v[118:119]
	v_mul_f64 v[117:118], v[73:74], v[118:119]
	s_waitcnt vmcnt(56)
	v_fma_f64 v[106:107], v[79:80], v[114:115], -v[106:107]
	ds_read_b128 v[75:78], v1 offset:784
	v_fma_f64 v[102:103], v[81:82], v[114:115], v[102:103]
	v_add_f64 v[88:89], v[88:89], v[110:111]
	v_add_f64 v[2:3], v[2:3], v[104:105]
	s_clause 0x2
	buffer_load_dword v113, off, s[0:3], 0 offset:508
	buffer_load_dword v105, off, s[0:3], 0 offset:484
	;; [unrolled: 1-line block ×3, first 2 shown]
	ds_read_b128 v[79:82], v1 offset:800
	s_waitcnt vmcnt(58) lgkmcnt(1)
	v_mul_f64 v[114:115], v[77:78], v[120:121]
	s_waitcnt vmcnt(56)
	v_fma_f64 v[118:119], v[71:72], v[124:125], -v[117:118]
	v_mul_f64 v[110:111], v[75:76], v[120:121]
	v_add_f64 v[88:89], v[88:89], v[106:107]
	v_fma_f64 v[106:107], v[73:74], v[124:125], v[159:160]
	v_add_f64 v[2:3], v[2:3], v[102:103]
	s_clause 0x4
	buffer_load_dword v103, off, s[0:3], 0 offset:524
	buffer_load_dword v120, off, s[0:3], 0 offset:536
	;; [unrolled: 1-line block ×5, first 2 shown]
	s_waitcnt vmcnt(57) lgkmcnt(0)
	v_mul_f64 v[159:160], v[79:80], v[126:127]
	v_mul_f64 v[125:126], v[81:82], v[126:127]
	s_waitcnt vmcnt(56)
	v_fma_f64 v[114:115], v[75:76], v[122:123], -v[114:115]
	ds_read_b128 v[71:74], v1 offset:816
	v_fma_f64 v[110:111], v[77:78], v[122:123], v[110:111]
	v_add_f64 v[88:89], v[88:89], v[118:119]
	v_add_f64 v[2:3], v[2:3], v[106:107]
	s_clause 0x2
	buffer_load_dword v121, off, s[0:3], 0 offset:540
	buffer_load_dword v107, off, s[0:3], 0 offset:516
	;; [unrolled: 1-line block ×3, first 2 shown]
	ds_read_b128 v[75:78], v1 offset:832
	s_waitcnt vmcnt(58) lgkmcnt(1)
	v_mul_f64 v[122:123], v[73:74], v[128:129]
	s_waitcnt vmcnt(56)
	v_fma_f64 v[126:127], v[79:80], v[132:133], -v[125:126]
	v_mul_f64 v[118:119], v[71:72], v[128:129]
	buffer_load_dword v125, off, s[0:3], 0 offset:532
	v_add_f64 v[88:89], v[88:89], v[114:115]
	v_fma_f64 v[114:115], v[81:82], v[132:133], v[159:160]
	v_add_f64 v[2:3], v[2:3], v[110:111]
	ds_read_b128 v[79:82], v1 offset:848
	s_waitcnt vmcnt(53) lgkmcnt(1)
	v_mul_f64 v[128:129], v[77:78], v[134:135]
	s_waitcnt vmcnt(52)
	v_fma_f64 v[122:123], v[71:72], v[130:131], -v[122:123]
	v_mul_f64 v[110:111], v[75:76], v[134:135]
	v_fma_f64 v[118:119], v[73:74], v[130:131], v[118:119]
	ds_read_b128 v[71:74], v1 offset:864
	v_add_f64 v[88:89], v[88:89], v[126:127]
	s_waitcnt vmcnt(51) lgkmcnt(1)
	v_mul_f64 v[126:127], v[81:82], v[136:137]
	v_add_f64 v[2:3], v[2:3], v[114:115]
	v_mul_f64 v[114:115], v[79:80], v[136:137]
	s_waitcnt vmcnt(49)
	v_fma_f64 v[128:129], v[75:76], v[140:141], -v[128:129]
	v_fma_f64 v[110:111], v[77:78], v[140:141], v[110:111]
	s_waitcnt vmcnt(45) lgkmcnt(0)
	v_mul_f64 v[132:133], v[73:74], v[144:145]
	v_mul_f64 v[130:131], v[71:72], v[144:145]
	v_add_f64 v[88:89], v[88:89], v[122:123]
	s_waitcnt vmcnt(44)
	v_fma_f64 v[126:127], v[79:80], v[138:139], -v[126:127]
	v_add_f64 v[2:3], v[2:3], v[118:119]
	s_clause 0x3
	buffer_load_dword v118, off, s[0:3], 0 offset:96
	buffer_load_dword v119, off, s[0:3], 0 offset:100
	;; [unrolled: 1-line block ×4, first 2 shown]
	ds_read_b128 v[75:78], v1 offset:880
	v_fma_f64 v[114:115], v[81:82], v[138:139], v[114:115]
	ds_read_b128 v[79:82], v1 offset:896
	v_add_f64 v[88:89], v[88:89], v[128:129]
	v_add_f64 v[2:3], v[2:3], v[110:111]
	s_waitcnt vmcnt(47) lgkmcnt(1)
	v_mul_f64 v[128:129], v[77:78], v[146:147]
	v_mul_f64 v[110:111], v[75:76], v[146:147]
	s_waitcnt vmcnt(45)
	v_fma_f64 v[132:133], v[71:72], v[86:87], -v[132:133]
	v_fma_f64 v[86:87], v[73:74], v[86:87], v[130:131]
	ds_read_b128 v[71:74], v1 offset:912
	v_add_f64 v[88:89], v[88:89], v[126:127]
	v_add_f64 v[2:3], v[2:3], v[114:115]
	s_waitcnt vmcnt(41) lgkmcnt(1)
	v_mul_f64 v[114:115], v[79:80], v[90:91]
	v_mul_f64 v[90:91], v[81:82], v[90:91]
	s_waitcnt vmcnt(40)
	v_fma_f64 v[126:127], v[75:76], v[148:149], -v[128:129]
	;; [unrolled: 9-line block ×7, first 2 shown]
	v_fma_f64 v[86:87], v[73:74], v[94:95], v[86:87]
	ds_read_b128 v[71:74], v1 offset:1008
	v_add_f64 v[88:89], v[88:89], v[90:91]
	v_add_f64 v[2:3], v[2:3], v[84:85]
	s_waitcnt vmcnt(17) lgkmcnt(1)
	v_mul_f64 v[90:91], v[81:82], v[100:101]
	s_waitcnt vmcnt(16)
	v_fma_f64 v[94:95], v[75:76], v[152:153], -v[98:99]
	v_mul_f64 v[84:85], v[79:80], v[100:101]
	v_add_f64 v[88:89], v[88:89], v[92:93]
	v_fma_f64 v[92:93], v[77:78], v[152:153], v[96:97]
	v_add_f64 v[2:3], v[2:3], v[86:87]
	ds_read_b128 v[75:78], v1 offset:1024
	s_waitcnt vmcnt(15) lgkmcnt(1)
	v_mul_f64 v[96:97], v[73:74], v[112:113]
	v_mul_f64 v[86:87], v[71:72], v[112:113]
	s_waitcnt vmcnt(13)
	v_fma_f64 v[90:91], v[79:80], v[104:105], -v[90:91]
	v_fma_f64 v[84:85], v[81:82], v[104:105], v[84:85]
	ds_read_b128 v[79:82], v1 offset:1040
	v_add_f64 v[88:89], v[88:89], v[94:95]
	v_add_f64 v[2:3], v[2:3], v[92:93]
	s_waitcnt vmcnt(9) lgkmcnt(1)
	v_mul_f64 v[94:95], v[77:78], v[102:103]
	s_waitcnt vmcnt(8)
	v_fma_f64 v[71:72], v[71:72], v[116:117], -v[96:97]
	v_mul_f64 v[92:93], v[75:76], v[102:103]
	v_fma_f64 v[73:74], v[73:74], v[116:117], v[86:87]
	v_add_f64 v[88:89], v[88:89], v[90:91]
	v_add_f64 v[2:3], v[2:3], v[84:85]
	s_waitcnt vmcnt(7) lgkmcnt(0)
	v_mul_f64 v[86:87], v[81:82], v[120:121]
	v_mul_f64 v[84:85], v[79:80], v[120:121]
	s_waitcnt vmcnt(5)
	v_fma_f64 v[75:76], v[75:76], v[106:107], -v[94:95]
	v_fma_f64 v[77:78], v[77:78], v[106:107], v[92:93]
	v_add_f64 v[71:72], v[88:89], v[71:72]
	v_add_f64 v[2:3], v[2:3], v[73:74]
	s_waitcnt vmcnt(4)
	v_fma_f64 v[73:74], v[79:80], v[124:125], -v[86:87]
	v_add_f64 v[71:72], v[71:72], v[75:76]
	v_fma_f64 v[75:76], v[81:82], v[124:125], v[84:85]
	v_add_f64 v[2:3], v[2:3], v[77:78]
	v_add_f64 v[71:72], v[71:72], v[73:74]
	;; [unrolled: 1-line block ×3, first 2 shown]
	s_waitcnt vmcnt(2)
	v_add_f64 v[71:72], v[118:119], -v[71:72]
	s_waitcnt vmcnt(0)
	v_add_f64 v[2:3], v[122:123], -v[2:3]
	buffer_store_dword v72, off, s[0:3], 0 offset:100
	buffer_store_dword v71, off, s[0:3], 0 offset:96
	;; [unrolled: 1-line block ×4, first 2 shown]
	v_cmpx_lt_u32_e32 4, v0
	s_cbranch_execz .LBB32_203
; %bb.202:
	v_mov_b32_e32 v2, s41
	s_clause 0x3
	buffer_load_dword v71, v2, s[0:3], 0 offen
	buffer_load_dword v72, v2, s[0:3], 0 offen offset:4
	buffer_load_dword v73, v2, s[0:3], 0 offen offset:8
	;; [unrolled: 1-line block ×3, first 2 shown]
	buffer_store_dword v1, off, s[0:3], 0 offset:80
	buffer_store_dword v1, off, s[0:3], 0 offset:84
	;; [unrolled: 1-line block ×4, first 2 shown]
	s_waitcnt vmcnt(0)
	ds_write_b128 v83, v[71:74]
.LBB32_203:
	s_or_b32 exec_lo, exec_lo, s4
	s_waitcnt lgkmcnt(0)
	s_waitcnt_vscnt null, 0x0
	s_barrier
	buffer_gl0_inv
	s_clause 0x37
	buffer_load_dword v2, off, s[0:3], 0 offset:104
	buffer_load_dword v3, off, s[0:3], 0 offset:108
	;; [unrolled: 1-line block ×56, first 2 shown]
	ds_read_b128 v[71:74], v1 offset:608
	s_clause 0x2
	buffer_load_dword v137, off, s[0:3], 0 offset:332
	buffer_load_dword v141, off, s[0:3], 0 offset:308
	;; [unrolled: 1-line block ×3, first 2 shown]
	ds_read_b128 v[75:78], v1 offset:624
	s_clause 0x4
	buffer_load_dword v145, off, s[0:3], 0 offset:348
	buffer_load_dword v146, off, s[0:3], 0 offset:360
	;; [unrolled: 1-line block ×5, first 2 shown]
	ds_read_b128 v[79:82], v1 offset:640
	s_mov_b32 s4, exec_lo
	s_waitcnt vmcnt(62) lgkmcnt(2)
	v_mul_f64 v[142:143], v[73:74], v[2:3]
	v_mul_f64 v[2:3], v[71:72], v[2:3]
	s_waitcnt vmcnt(60) lgkmcnt(1)
	v_mul_f64 v[149:150], v[77:78], v[84:85]
	v_mul_f64 v[84:85], v[75:76], v[84:85]
	;; [unrolled: 3-line block ×3, first 2 shown]
	v_fma_f64 v[142:143], v[71:72], v[86:87], -v[142:143]
	v_fma_f64 v[2:3], v[73:74], v[86:87], v[2:3]
	s_clause 0x2
	buffer_load_dword v147, off, s[0:3], 0 offset:364
	buffer_load_dword v87, off, s[0:3], 0 offset:340
	;; [unrolled: 1-line block ×3, first 2 shown]
	s_waitcnt vmcnt(57)
	v_fma_f64 v[153:154], v[75:76], v[90:91], -v[149:150]
	ds_read_b128 v[71:74], v1 offset:656
	v_fma_f64 v[84:85], v[77:78], v[90:91], v[84:85]
	s_clause 0x4
	buffer_load_dword v91, off, s[0:3], 0 offset:380
	buffer_load_dword v150, off, s[0:3], 0 offset:392
	;; [unrolled: 1-line block ×5, first 2 shown]
	s_waitcnt vmcnt(56)
	v_fma_f64 v[88:89], v[79:80], v[98:99], -v[88:89]
	ds_read_b128 v[75:78], v1 offset:672
	v_fma_f64 v[98:99], v[81:82], v[98:99], v[151:152]
	v_add_f64 v[142:143], v[142:143], 0
	v_add_f64 v[2:3], v[2:3], 0
	s_waitcnt lgkmcnt(1)
	v_mul_f64 v[156:157], v[71:72], v[92:93]
	v_mul_f64 v[92:93], v[73:74], v[92:93]
	v_add_f64 v[142:143], v[142:143], v[153:154]
	v_add_f64 v[2:3], v[2:3], v[84:85]
	s_clause 0x2
	buffer_load_dword v151, off, s[0:3], 0 offset:396
	buffer_load_dword v85, off, s[0:3], 0 offset:372
	;; [unrolled: 1-line block ×3, first 2 shown]
	s_waitcnt vmcnt(58) lgkmcnt(0)
	v_mul_f64 v[152:153], v[75:76], v[94:95]
	v_mul_f64 v[94:95], v[77:78], v[94:95]
	s_waitcnt vmcnt(56)
	v_fma_f64 v[92:93], v[71:72], v[100:101], -v[92:93]
	ds_read_b128 v[79:82], v1 offset:688
	v_fma_f64 v[100:101], v[73:74], v[100:101], v[156:157]
	v_add_f64 v[88:89], v[142:143], v[88:89]
	v_add_f64 v[2:3], v[2:3], v[98:99]
	s_clause 0x4
	buffer_load_dword v99, off, s[0:3], 0 offset:412
	buffer_load_dword v142, off, s[0:3], 0 offset:424
	;; [unrolled: 1-line block ×5, first 2 shown]
	ds_read_b128 v[71:74], v1 offset:704
	s_waitcnt vmcnt(57) lgkmcnt(1)
	v_mul_f64 v[158:159], v[79:80], v[102:103]
	v_mul_f64 v[102:103], v[81:82], v[102:103]
	s_waitcnt vmcnt(56)
	v_fma_f64 v[94:95], v[75:76], v[96:97], -v[94:95]
	v_add_f64 v[88:89], v[88:89], v[92:93]
	v_fma_f64 v[92:93], v[77:78], v[96:97], v[152:153]
	v_add_f64 v[2:3], v[2:3], v[100:101]
	s_clause 0x2
	buffer_load_dword v143, off, s[0:3], 0 offset:428
	buffer_load_dword v97, off, s[0:3], 0 offset:404
	;; [unrolled: 1-line block ×3, first 2 shown]
	s_waitcnt vmcnt(58) lgkmcnt(0)
	v_mul_f64 v[100:101], v[71:72], v[104:105]
	v_mul_f64 v[104:105], v[73:74], v[104:105]
	s_waitcnt vmcnt(56)
	v_fma_f64 v[102:103], v[79:80], v[108:109], -v[102:103]
	ds_read_b128 v[75:78], v1 offset:720
	v_add_f64 v[88:89], v[88:89], v[94:95]
	v_fma_f64 v[94:95], v[81:82], v[108:109], v[158:159]
	v_add_f64 v[2:3], v[2:3], v[92:93]
	s_clause 0x4
	buffer_load_dword v93, off, s[0:3], 0 offset:444
	buffer_load_dword v108, off, s[0:3], 0 offset:456
	;; [unrolled: 1-line block ×5, first 2 shown]
	ds_read_b128 v[79:82], v1 offset:736
	s_waitcnt vmcnt(57) lgkmcnt(1)
	v_mul_f64 v[153:154], v[75:76], v[110:111]
	v_mul_f64 v[110:111], v[77:78], v[110:111]
	s_waitcnt vmcnt(56)
	v_fma_f64 v[104:105], v[71:72], v[106:107], -v[104:105]
	v_fma_f64 v[100:101], v[73:74], v[106:107], v[100:101]
	v_add_f64 v[88:89], v[88:89], v[102:103]
	v_add_f64 v[2:3], v[2:3], v[94:95]
	s_clause 0x2
	buffer_load_dword v109, off, s[0:3], 0 offset:460
	buffer_load_dword v95, off, s[0:3], 0 offset:436
	;; [unrolled: 1-line block ×3, first 2 shown]
	s_waitcnt vmcnt(58) lgkmcnt(0)
	v_mul_f64 v[106:107], v[81:82], v[112:113]
	ds_read_b128 v[71:74], v1 offset:752
	s_waitcnt vmcnt(56)
	v_fma_f64 v[110:111], v[75:76], v[116:117], -v[110:111]
	v_mul_f64 v[102:103], v[79:80], v[112:113]
	v_add_f64 v[88:89], v[88:89], v[104:105]
	v_fma_f64 v[104:105], v[77:78], v[116:117], v[153:154]
	v_add_f64 v[2:3], v[2:3], v[100:101]
	s_clause 0x4
	buffer_load_dword v101, off, s[0:3], 0 offset:476
	buffer_load_dword v112, off, s[0:3], 0 offset:488
	;; [unrolled: 1-line block ×5, first 2 shown]
	s_waitcnt vmcnt(57) lgkmcnt(0)
	v_mul_f64 v[159:160], v[71:72], v[118:119]
	v_mul_f64 v[117:118], v[73:74], v[118:119]
	s_waitcnt vmcnt(56)
	v_fma_f64 v[106:107], v[79:80], v[114:115], -v[106:107]
	ds_read_b128 v[75:78], v1 offset:768
	v_fma_f64 v[102:103], v[81:82], v[114:115], v[102:103]
	v_add_f64 v[88:89], v[88:89], v[110:111]
	v_add_f64 v[2:3], v[2:3], v[104:105]
	s_clause 0x2
	buffer_load_dword v113, off, s[0:3], 0 offset:492
	buffer_load_dword v105, off, s[0:3], 0 offset:468
	;; [unrolled: 1-line block ×3, first 2 shown]
	ds_read_b128 v[79:82], v1 offset:784
	s_waitcnt vmcnt(58) lgkmcnt(1)
	v_mul_f64 v[114:115], v[77:78], v[120:121]
	s_waitcnt vmcnt(56)
	v_fma_f64 v[118:119], v[71:72], v[124:125], -v[117:118]
	v_mul_f64 v[110:111], v[75:76], v[120:121]
	v_add_f64 v[88:89], v[88:89], v[106:107]
	v_fma_f64 v[106:107], v[73:74], v[124:125], v[159:160]
	v_add_f64 v[2:3], v[2:3], v[102:103]
	s_clause 0x4
	buffer_load_dword v103, off, s[0:3], 0 offset:508
	buffer_load_dword v120, off, s[0:3], 0 offset:520
	;; [unrolled: 1-line block ×5, first 2 shown]
	s_waitcnt vmcnt(57) lgkmcnt(0)
	v_mul_f64 v[159:160], v[79:80], v[126:127]
	v_mul_f64 v[125:126], v[81:82], v[126:127]
	s_waitcnt vmcnt(56)
	v_fma_f64 v[114:115], v[75:76], v[122:123], -v[114:115]
	ds_read_b128 v[71:74], v1 offset:800
	v_fma_f64 v[110:111], v[77:78], v[122:123], v[110:111]
	v_add_f64 v[88:89], v[88:89], v[118:119]
	v_add_f64 v[2:3], v[2:3], v[106:107]
	s_clause 0x2
	buffer_load_dword v121, off, s[0:3], 0 offset:524
	buffer_load_dword v107, off, s[0:3], 0 offset:500
	;; [unrolled: 1-line block ×3, first 2 shown]
	ds_read_b128 v[75:78], v1 offset:816
	s_waitcnt vmcnt(58) lgkmcnt(1)
	v_mul_f64 v[122:123], v[73:74], v[128:129]
	s_waitcnt vmcnt(56)
	v_fma_f64 v[126:127], v[79:80], v[132:133], -v[125:126]
	v_mul_f64 v[118:119], v[71:72], v[128:129]
	v_add_f64 v[88:89], v[88:89], v[114:115]
	v_fma_f64 v[114:115], v[81:82], v[132:133], v[159:160]
	v_add_f64 v[2:3], v[2:3], v[110:111]
	s_clause 0x2
	buffer_load_dword v111, off, s[0:3], 0 offset:540
	buffer_load_dword v110, off, s[0:3], 0 offset:536
	;; [unrolled: 1-line block ×3, first 2 shown]
	s_waitcnt vmcnt(55) lgkmcnt(0)
	v_mul_f64 v[132:133], v[77:78], v[134:135]
	s_waitcnt vmcnt(54)
	v_fma_f64 v[122:123], v[71:72], v[130:131], -v[122:123]
	ds_read_b128 v[79:82], v1 offset:832
	v_mul_f64 v[128:129], v[75:76], v[134:135]
	v_fma_f64 v[118:119], v[73:74], v[130:131], v[118:119]
	v_add_f64 v[88:89], v[88:89], v[126:127]
	v_add_f64 v[2:3], v[2:3], v[114:115]
	s_clause 0x1
	buffer_load_dword v115, off, s[0:3], 0 offset:532
	buffer_load_dword v114, off, s[0:3], 0 offset:528
	s_waitcnt vmcnt(55) lgkmcnt(0)
	v_mul_f64 v[130:131], v[81:82], v[136:137]
	s_waitcnt vmcnt(53)
	v_fma_f64 v[132:133], v[75:76], v[140:141], -v[132:133]
	ds_read_b128 v[71:74], v1 offset:848
	v_mul_f64 v[126:127], v[79:80], v[136:137]
	v_add_f64 v[88:89], v[88:89], v[122:123]
	v_fma_f64 v[122:123], v[77:78], v[140:141], v[128:129]
	v_add_f64 v[2:3], v[2:3], v[118:119]
	ds_read_b128 v[75:78], v1 offset:864
	s_waitcnt vmcnt(49) lgkmcnt(1)
	v_mul_f64 v[128:129], v[73:74], v[144:145]
	s_waitcnt vmcnt(48)
	v_fma_f64 v[130:131], v[79:80], v[138:139], -v[130:131]
	v_mul_f64 v[118:119], v[71:72], v[144:145]
	v_fma_f64 v[126:127], v[81:82], v[138:139], v[126:127]
	v_add_f64 v[88:89], v[88:89], v[132:133]
	v_add_f64 v[2:3], v[2:3], v[122:123]
	s_clause 0x3
	buffer_load_dword v122, off, s[0:3], 0 offset:80
	buffer_load_dword v123, off, s[0:3], 0 offset:84
	;; [unrolled: 1-line block ×4, first 2 shown]
	ds_read_b128 v[79:82], v1 offset:880
	s_waitcnt vmcnt(51) lgkmcnt(1)
	v_mul_f64 v[136:137], v[77:78], v[146:147]
	v_mul_f64 v[134:135], v[75:76], v[146:147]
	s_waitcnt vmcnt(49)
	v_fma_f64 v[128:129], v[71:72], v[86:87], -v[128:129]
	v_fma_f64 v[86:87], v[73:74], v[86:87], v[118:119]
	ds_read_b128 v[71:74], v1 offset:896
	v_add_f64 v[88:89], v[88:89], v[130:131]
	v_add_f64 v[2:3], v[2:3], v[126:127]
	s_waitcnt vmcnt(45) lgkmcnt(1)
	v_mul_f64 v[118:119], v[79:80], v[90:91]
	v_mul_f64 v[90:91], v[81:82], v[90:91]
	s_waitcnt vmcnt(44)
	v_fma_f64 v[126:127], v[75:76], v[148:149], -v[136:137]
	v_add_f64 v[88:89], v[88:89], v[128:129]
	v_fma_f64 v[128:129], v[77:78], v[148:149], v[134:135]
	v_add_f64 v[2:3], v[2:3], v[86:87]
	ds_read_b128 v[75:78], v1 offset:912
	s_waitcnt vmcnt(43) lgkmcnt(1)
	v_mul_f64 v[130:131], v[73:74], v[150:151]
	v_mul_f64 v[86:87], v[71:72], v[150:151]
	s_waitcnt vmcnt(41)
	v_fma_f64 v[90:91], v[79:80], v[84:85], -v[90:91]
	v_fma_f64 v[84:85], v[81:82], v[84:85], v[118:119]
	ds_read_b128 v[79:82], v1 offset:928
	v_add_f64 v[88:89], v[88:89], v[126:127]
	v_add_f64 v[2:3], v[2:3], v[128:129]
	s_waitcnt vmcnt(37) lgkmcnt(1)
	v_mul_f64 v[118:119], v[75:76], v[98:99]
	v_mul_f64 v[98:99], v[77:78], v[98:99]
	s_waitcnt vmcnt(36)
	v_fma_f64 v[126:127], v[71:72], v[155:156], -v[130:131]
	v_fma_f64 v[86:87], v[73:74], v[155:156], v[86:87]
	ds_read_b128 v[71:74], v1 offset:944
	v_add_f64 v[88:89], v[88:89], v[90:91]
	v_add_f64 v[2:3], v[2:3], v[84:85]
	;; [unrolled: 9-line block ×5, first 2 shown]
	s_waitcnt vmcnt(21) lgkmcnt(1)
	v_mul_f64 v[90:91], v[81:82], v[100:101]
	s_waitcnt vmcnt(20)
	v_fma_f64 v[94:95], v[75:76], v[152:153], -v[98:99]
	v_mul_f64 v[84:85], v[79:80], v[100:101]
	v_add_f64 v[88:89], v[88:89], v[92:93]
	v_fma_f64 v[92:93], v[77:78], v[152:153], v[96:97]
	v_add_f64 v[2:3], v[2:3], v[86:87]
	ds_read_b128 v[75:78], v1 offset:1008
	s_waitcnt vmcnt(19) lgkmcnt(1)
	v_mul_f64 v[96:97], v[73:74], v[112:113]
	v_mul_f64 v[86:87], v[71:72], v[112:113]
	s_waitcnt vmcnt(17)
	v_fma_f64 v[90:91], v[79:80], v[104:105], -v[90:91]
	v_fma_f64 v[84:85], v[81:82], v[104:105], v[84:85]
	ds_read_b128 v[79:82], v1 offset:1024
	v_add_f64 v[88:89], v[88:89], v[94:95]
	v_add_f64 v[2:3], v[2:3], v[92:93]
	s_waitcnt vmcnt(13) lgkmcnt(1)
	v_mul_f64 v[94:95], v[77:78], v[102:103]
	s_waitcnt vmcnt(12)
	v_fma_f64 v[71:72], v[71:72], v[116:117], -v[96:97]
	v_mul_f64 v[92:93], v[75:76], v[102:103]
	v_fma_f64 v[73:74], v[73:74], v[116:117], v[86:87]
	v_add_f64 v[88:89], v[88:89], v[90:91]
	v_add_f64 v[84:85], v[2:3], v[84:85]
	ds_read_b128 v[1:4], v1 offset:1040
	s_waitcnt vmcnt(11) lgkmcnt(1)
	v_mul_f64 v[90:91], v[81:82], v[120:121]
	v_mul_f64 v[86:87], v[79:80], v[120:121]
	s_waitcnt vmcnt(9)
	v_fma_f64 v[75:76], v[75:76], v[106:107], -v[94:95]
	v_fma_f64 v[77:78], v[77:78], v[106:107], v[92:93]
	v_add_f64 v[71:72], v[88:89], v[71:72]
	v_add_f64 v[73:74], v[84:85], v[73:74]
	s_waitcnt vmcnt(7) lgkmcnt(0)
	v_mul_f64 v[88:89], v[3:4], v[110:111]
	s_waitcnt vmcnt(6)
	v_fma_f64 v[79:80], v[79:80], v[124:125], -v[90:91]
	v_mul_f64 v[84:85], v[1:2], v[110:111]
	v_add_f64 v[71:72], v[71:72], v[75:76]
	v_fma_f64 v[75:76], v[81:82], v[124:125], v[86:87]
	v_add_f64 v[73:74], v[73:74], v[77:78]
	s_waitcnt vmcnt(4)
	v_fma_f64 v[1:2], v[1:2], v[114:115], -v[88:89]
	v_fma_f64 v[3:4], v[3:4], v[114:115], v[84:85]
	v_add_f64 v[71:72], v[71:72], v[79:80]
	v_add_f64 v[73:74], v[73:74], v[75:76]
	v_add_f64 v[1:2], v[71:72], v[1:2]
	v_add_f64 v[3:4], v[73:74], v[3:4]
	s_waitcnt vmcnt(2)
	v_add_f64 v[1:2], v[122:123], -v[1:2]
	s_waitcnt vmcnt(0)
	v_add_f64 v[3:4], v[132:133], -v[3:4]
	buffer_store_dword v2, off, s[0:3], 0 offset:84
	buffer_store_dword v1, off, s[0:3], 0 offset:80
	;; [unrolled: 1-line block ×4, first 2 shown]
	v_cmpx_lt_u32_e32 3, v0
	s_cbranch_execz .LBB32_205
; %bb.204:
	v_mov_b32_e32 v4, s42
	v_mov_b32_e32 v71, 0
	s_clause 0x3
	buffer_load_dword v1, v4, s[0:3], 0 offen
	buffer_load_dword v2, v4, s[0:3], 0 offen offset:4
	buffer_load_dword v3, v4, s[0:3], 0 offen offset:8
	;; [unrolled: 1-line block ×3, first 2 shown]
	buffer_store_dword v71, off, s[0:3], 0 offset:64
	buffer_store_dword v71, off, s[0:3], 0 offset:68
	;; [unrolled: 1-line block ×4, first 2 shown]
	s_waitcnt vmcnt(0)
	ds_write_b128 v83, v[1:4]
.LBB32_205:
	s_or_b32 exec_lo, exec_lo, s4
	s_waitcnt lgkmcnt(0)
	s_waitcnt_vscnt null, 0x0
	s_barrier
	buffer_gl0_inv
	s_clause 0x37
	buffer_load_dword v75, off, s[0:3], 0 offset:88
	buffer_load_dword v76, off, s[0:3], 0 offset:92
	;; [unrolled: 1-line block ×56, first 2 shown]
	v_mov_b32_e32 v77, 0
	s_mov_b32 s4, exec_lo
	ds_read_b128 v[71:74], v77 offset:592
	s_clause 0x2
	buffer_load_dword v137, off, s[0:3], 0 offset:316
	buffer_load_dword v141, off, s[0:3], 0 offset:292
	;; [unrolled: 1-line block ×3, first 2 shown]
	ds_read_b128 v[78:81], v77 offset:608
	s_clause 0x4
	buffer_load_dword v145, off, s[0:3], 0 offset:332
	buffer_load_dword v146, off, s[0:3], 0 offset:344
	;; [unrolled: 1-line block ×5, first 2 shown]
	ds_read_b128 v[84:87], v77 offset:624
	s_waitcnt vmcnt(62) lgkmcnt(2)
	v_mul_f64 v[142:143], v[73:74], v[75:76]
	v_mul_f64 v[75:76], v[71:72], v[75:76]
	s_waitcnt vmcnt(60) lgkmcnt(1)
	v_mul_f64 v[149:150], v[80:81], v[88:89]
	v_mul_f64 v[88:89], v[78:79], v[88:89]
	;; [unrolled: 3-line block ×3, first 2 shown]
	v_fma_f64 v[142:143], v[71:72], v[90:91], -v[142:143]
	v_fma_f64 v[75:76], v[73:74], v[90:91], v[75:76]
	s_clause 0x2
	buffer_load_dword v147, off, s[0:3], 0 offset:348
	buffer_load_dword v91, off, s[0:3], 0 offset:324
	;; [unrolled: 1-line block ×3, first 2 shown]
	s_waitcnt vmcnt(57)
	v_fma_f64 v[78:79], v[78:79], v[1:2], -v[149:150]
	ds_read_b128 v[71:74], v77 offset:640
	v_fma_f64 v[80:81], v[80:81], v[1:2], v[88:89]
	s_clause 0x4
	buffer_load_dword v89, off, s[0:3], 0 offset:364
	buffer_load_dword v150, off, s[0:3], 0 offset:376
	;; [unrolled: 1-line block ×5, first 2 shown]
	s_waitcnt vmcnt(56)
	v_fma_f64 v[84:85], v[84:85], v[98:99], -v[153:154]
	ds_read_b128 v[1:4], v77 offset:656
	v_fma_f64 v[86:87], v[86:87], v[98:99], v[151:152]
	s_clause 0x2
	buffer_load_dword v151, off, s[0:3], 0 offset:380
	buffer_load_dword v99, off, s[0:3], 0 offset:356
	;; [unrolled: 1-line block ×3, first 2 shown]
	v_add_f64 v[142:143], v[142:143], 0
	v_add_f64 v[75:76], v[75:76], 0
	s_waitcnt lgkmcnt(1)
	v_mul_f64 v[156:157], v[71:72], v[92:93]
	v_mul_f64 v[92:93], v[73:74], v[92:93]
	s_waitcnt vmcnt(58) lgkmcnt(0)
	v_mul_f64 v[152:153], v[1:2], v[94:95]
	v_mul_f64 v[94:95], v[3:4], v[94:95]
	v_add_f64 v[142:143], v[142:143], v[78:79]
	v_add_f64 v[75:76], v[75:76], v[80:81]
	ds_read_b128 v[78:81], v77 offset:672
	s_waitcnt vmcnt(56)
	v_fma_f64 v[92:93], v[71:72], v[100:101], -v[92:93]
	v_fma_f64 v[100:101], v[73:74], v[100:101], v[156:157]
	s_waitcnt vmcnt(51)
	v_fma_f64 v[94:95], v[1:2], v[96:97], -v[94:95]
	s_waitcnt lgkmcnt(0)
	v_mul_f64 v[158:159], v[78:79], v[102:103]
	v_add_f64 v[84:85], v[142:143], v[84:85]
	v_add_f64 v[75:76], v[75:76], v[86:87]
	s_clause 0x4
	buffer_load_dword v87, off, s[0:3], 0 offset:396
	buffer_load_dword v142, off, s[0:3], 0 offset:408
	;; [unrolled: 1-line block ×5, first 2 shown]
	v_mul_f64 v[102:103], v[80:81], v[102:103]
	ds_read_b128 v[71:74], v77 offset:688
	v_add_f64 v[84:85], v[84:85], v[92:93]
	v_fma_f64 v[92:93], v[3:4], v[96:97], v[152:153]
	v_add_f64 v[75:76], v[75:76], v[100:101]
	s_clause 0x2
	buffer_load_dword v143, off, s[0:3], 0 offset:412
	buffer_load_dword v97, off, s[0:3], 0 offset:388
	;; [unrolled: 1-line block ×3, first 2 shown]
	s_waitcnt vmcnt(58) lgkmcnt(0)
	v_mul_f64 v[100:101], v[71:72], v[104:105]
	v_mul_f64 v[104:105], v[73:74], v[104:105]
	s_waitcnt vmcnt(56)
	v_fma_f64 v[102:103], v[78:79], v[108:109], -v[102:103]
	ds_read_b128 v[1:4], v77 offset:704
	v_add_f64 v[84:85], v[84:85], v[94:95]
	v_fma_f64 v[94:95], v[80:81], v[108:109], v[158:159]
	v_add_f64 v[75:76], v[75:76], v[92:93]
	s_clause 0x4
	buffer_load_dword v93, off, s[0:3], 0 offset:428
	buffer_load_dword v108, off, s[0:3], 0 offset:440
	;; [unrolled: 1-line block ×5, first 2 shown]
	ds_read_b128 v[78:81], v77 offset:720
	s_waitcnt vmcnt(57) lgkmcnt(1)
	v_mul_f64 v[153:154], v[1:2], v[110:111]
	v_mul_f64 v[110:111], v[3:4], v[110:111]
	s_waitcnt vmcnt(56)
	v_fma_f64 v[104:105], v[71:72], v[106:107], -v[104:105]
	v_fma_f64 v[100:101], v[73:74], v[106:107], v[100:101]
	v_add_f64 v[84:85], v[84:85], v[102:103]
	v_add_f64 v[75:76], v[75:76], v[94:95]
	s_clause 0x2
	buffer_load_dword v109, off, s[0:3], 0 offset:444
	buffer_load_dword v95, off, s[0:3], 0 offset:420
	;; [unrolled: 1-line block ×3, first 2 shown]
	s_waitcnt vmcnt(58) lgkmcnt(0)
	v_mul_f64 v[106:107], v[80:81], v[112:113]
	ds_read_b128 v[71:74], v77 offset:736
	s_waitcnt vmcnt(56)
	v_fma_f64 v[110:111], v[1:2], v[116:117], -v[110:111]
	v_mul_f64 v[102:103], v[78:79], v[112:113]
	v_add_f64 v[84:85], v[84:85], v[104:105]
	v_fma_f64 v[104:105], v[3:4], v[116:117], v[153:154]
	v_add_f64 v[75:76], v[75:76], v[100:101]
	s_clause 0x4
	buffer_load_dword v101, off, s[0:3], 0 offset:460
	buffer_load_dword v112, off, s[0:3], 0 offset:472
	buffer_load_dword v116, off, s[0:3], 0 offset:464
	buffer_load_dword v100, off, s[0:3], 0 offset:456
	buffer_load_dword v153, off, s[0:3], 0 offset:436
	s_waitcnt vmcnt(57) lgkmcnt(0)
	v_mul_f64 v[159:160], v[71:72], v[118:119]
	v_mul_f64 v[117:118], v[73:74], v[118:119]
	s_waitcnt vmcnt(56)
	v_fma_f64 v[106:107], v[78:79], v[114:115], -v[106:107]
	ds_read_b128 v[1:4], v77 offset:752
	v_fma_f64 v[102:103], v[80:81], v[114:115], v[102:103]
	v_add_f64 v[84:85], v[84:85], v[110:111]
	v_add_f64 v[75:76], v[75:76], v[104:105]
	s_clause 0x2
	buffer_load_dword v113, off, s[0:3], 0 offset:476
	buffer_load_dword v105, off, s[0:3], 0 offset:452
	buffer_load_dword v104, off, s[0:3], 0 offset:448
	ds_read_b128 v[78:81], v77 offset:768
	s_waitcnt vmcnt(58) lgkmcnt(1)
	v_mul_f64 v[114:115], v[3:4], v[120:121]
	s_waitcnt vmcnt(56)
	v_fma_f64 v[118:119], v[71:72], v[124:125], -v[117:118]
	v_mul_f64 v[110:111], v[1:2], v[120:121]
	v_add_f64 v[84:85], v[84:85], v[106:107]
	v_fma_f64 v[106:107], v[73:74], v[124:125], v[159:160]
	v_add_f64 v[75:76], v[75:76], v[102:103]
	s_clause 0x4
	buffer_load_dword v103, off, s[0:3], 0 offset:492
	buffer_load_dword v120, off, s[0:3], 0 offset:504
	buffer_load_dword v124, off, s[0:3], 0 offset:496
	buffer_load_dword v102, off, s[0:3], 0 offset:488
	buffer_load_dword v117, off, s[0:3], 0 offset:468
	s_waitcnt vmcnt(57) lgkmcnt(0)
	v_mul_f64 v[159:160], v[78:79], v[126:127]
	v_mul_f64 v[125:126], v[80:81], v[126:127]
	s_waitcnt vmcnt(56)
	v_fma_f64 v[114:115], v[1:2], v[122:123], -v[114:115]
	ds_read_b128 v[71:74], v77 offset:784
	v_fma_f64 v[110:111], v[3:4], v[122:123], v[110:111]
	v_add_f64 v[84:85], v[84:85], v[118:119]
	v_add_f64 v[75:76], v[75:76], v[106:107]
	s_clause 0x2
	buffer_load_dword v121, off, s[0:3], 0 offset:508
	buffer_load_dword v107, off, s[0:3], 0 offset:484
	buffer_load_dword v106, off, s[0:3], 0 offset:480
	ds_read_b128 v[1:4], v77 offset:800
	s_waitcnt vmcnt(58) lgkmcnt(1)
	v_mul_f64 v[122:123], v[73:74], v[128:129]
	s_waitcnt vmcnt(56)
	v_fma_f64 v[126:127], v[78:79], v[132:133], -v[125:126]
	v_mul_f64 v[118:119], v[71:72], v[128:129]
	v_add_f64 v[84:85], v[84:85], v[114:115]
	v_fma_f64 v[114:115], v[80:81], v[132:133], v[159:160]
	v_add_f64 v[75:76], v[75:76], v[110:111]
	s_clause 0x4
	buffer_load_dword v111, off, s[0:3], 0 offset:524
	buffer_load_dword v128, off, s[0:3], 0 offset:536
	buffer_load_dword v132, off, s[0:3], 0 offset:528
	buffer_load_dword v110, off, s[0:3], 0 offset:520
	buffer_load_dword v125, off, s[0:3], 0 offset:500
	s_waitcnt vmcnt(57) lgkmcnt(0)
	v_mul_f64 v[159:160], v[1:2], v[134:135]
	v_mul_f64 v[133:134], v[3:4], v[134:135]
	s_waitcnt vmcnt(56)
	v_fma_f64 v[122:123], v[71:72], v[130:131], -v[122:123]
	ds_read_b128 v[78:81], v77 offset:816
	v_fma_f64 v[118:119], v[73:74], v[130:131], v[118:119]
	v_add_f64 v[84:85], v[84:85], v[126:127]
	v_add_f64 v[75:76], v[75:76], v[114:115]
	s_clause 0x2
	buffer_load_dword v129, off, s[0:3], 0 offset:540
	buffer_load_dword v115, off, s[0:3], 0 offset:516
	buffer_load_dword v114, off, s[0:3], 0 offset:512
	ds_read_b128 v[71:74], v77 offset:832
	s_waitcnt vmcnt(58) lgkmcnt(1)
	v_mul_f64 v[130:131], v[80:81], v[136:137]
	s_waitcnt vmcnt(56)
	v_fma_f64 v[134:135], v[1:2], v[140:141], -v[133:134]
	v_mul_f64 v[126:127], v[78:79], v[136:137]
	buffer_load_dword v133, off, s[0:3], 0 offset:532
	v_add_f64 v[84:85], v[84:85], v[122:123]
	v_fma_f64 v[122:123], v[3:4], v[140:141], v[159:160]
	v_add_f64 v[75:76], v[75:76], v[118:119]
	ds_read_b128 v[1:4], v77 offset:848
	s_waitcnt vmcnt(53) lgkmcnt(1)
	v_mul_f64 v[136:137], v[73:74], v[144:145]
	s_waitcnt vmcnt(52)
	v_fma_f64 v[130:131], v[78:79], v[138:139], -v[130:131]
	v_mul_f64 v[118:119], v[71:72], v[144:145]
	v_fma_f64 v[126:127], v[80:81], v[138:139], v[126:127]
	ds_read_b128 v[78:81], v77 offset:864
	v_add_f64 v[84:85], v[84:85], v[134:135]
	v_add_f64 v[75:76], v[75:76], v[122:123]
	s_waitcnt vmcnt(51) lgkmcnt(1)
	v_mul_f64 v[134:135], v[3:4], v[146:147]
	v_mul_f64 v[122:123], v[1:2], v[146:147]
	s_waitcnt vmcnt(49)
	v_fma_f64 v[136:137], v[71:72], v[90:91], -v[136:137]
	v_fma_f64 v[90:91], v[73:74], v[90:91], v[118:119]
	v_add_f64 v[84:85], v[84:85], v[130:131]
	s_waitcnt vmcnt(45) lgkmcnt(0)
	v_mul_f64 v[130:131], v[78:79], v[88:89]
	v_add_f64 v[75:76], v[75:76], v[126:127]
	s_clause 0x3
	buffer_load_dword v118, off, s[0:3], 0 offset:64
	buffer_load_dword v119, off, s[0:3], 0 offset:68
	;; [unrolled: 1-line block ×4, first 2 shown]
	v_mul_f64 v[88:89], v[80:81], v[88:89]
	ds_read_b128 v[71:74], v77 offset:880
	s_waitcnt vmcnt(48)
	v_fma_f64 v[134:135], v[1:2], v[148:149], -v[134:135]
	v_fma_f64 v[122:123], v[3:4], v[148:149], v[122:123]
	ds_read_b128 v[1:4], v77 offset:896
	v_add_f64 v[84:85], v[84:85], v[136:137]
	v_add_f64 v[75:76], v[75:76], v[90:91]
	s_waitcnt vmcnt(47) lgkmcnt(1)
	v_mul_f64 v[136:137], v[73:74], v[150:151]
	s_waitcnt vmcnt(45)
	v_fma_f64 v[88:89], v[78:79], v[98:99], -v[88:89]
	v_mul_f64 v[90:91], v[71:72], v[150:151]
	v_fma_f64 v[98:99], v[80:81], v[98:99], v[130:131]
	ds_read_b128 v[78:81], v77 offset:912
	v_add_f64 v[84:85], v[84:85], v[134:135]
	v_add_f64 v[75:76], v[75:76], v[122:123]
	s_waitcnt vmcnt(41) lgkmcnt(1)
	v_mul_f64 v[122:123], v[1:2], v[86:87]
	v_mul_f64 v[86:87], v[3:4], v[86:87]
	s_waitcnt vmcnt(40)
	v_fma_f64 v[130:131], v[71:72], v[155:156], -v[136:137]
	v_add_f64 v[84:85], v[84:85], v[88:89]
	v_fma_f64 v[88:89], v[73:74], v[155:156], v[90:91]
	v_add_f64 v[75:76], v[75:76], v[98:99]
	ds_read_b128 v[71:74], v77 offset:928
	s_waitcnt vmcnt(39) lgkmcnt(1)
	v_mul_f64 v[98:99], v[80:81], v[142:143]
	v_mul_f64 v[90:91], v[78:79], v[142:143]
	s_waitcnt vmcnt(37)
	v_fma_f64 v[86:87], v[1:2], v[96:97], -v[86:87]
	v_fma_f64 v[96:97], v[3:4], v[96:97], v[122:123]
	ds_read_b128 v[1:4], v77 offset:944
	v_add_f64 v[84:85], v[84:85], v[130:131]
	v_add_f64 v[75:76], v[75:76], v[88:89]
	s_waitcnt vmcnt(33) lgkmcnt(1)
	v_mul_f64 v[88:89], v[71:72], v[92:93]
	v_mul_f64 v[92:93], v[73:74], v[92:93]
	s_waitcnt vmcnt(32)
	v_fma_f64 v[98:99], v[78:79], v[157:158], -v[98:99]
	v_add_f64 v[84:85], v[84:85], v[86:87]
	v_fma_f64 v[86:87], v[80:81], v[157:158], v[90:91]
	v_add_f64 v[75:76], v[75:76], v[96:97]
	ds_read_b128 v[78:81], v77 offset:960
	s_waitcnt vmcnt(31) lgkmcnt(1)
	v_mul_f64 v[96:97], v[3:4], v[108:109]
	v_mul_f64 v[90:91], v[1:2], v[108:109]
	s_waitcnt vmcnt(29)
	v_fma_f64 v[92:93], v[71:72], v[94:95], -v[92:93]
	v_fma_f64 v[88:89], v[73:74], v[94:95], v[88:89]
	ds_read_b128 v[71:74], v77 offset:976
	v_add_f64 v[84:85], v[84:85], v[98:99]
	v_add_f64 v[75:76], v[75:76], v[86:87]
	s_waitcnt vmcnt(25) lgkmcnt(1)
	v_mul_f64 v[94:95], v[80:81], v[100:101]
	s_waitcnt vmcnt(24)
	v_fma_f64 v[96:97], v[1:2], v[152:153], -v[96:97]
	v_mul_f64 v[86:87], v[78:79], v[100:101]
	v_fma_f64 v[90:91], v[3:4], v[152:153], v[90:91]
	ds_read_b128 v[1:4], v77 offset:992
	v_add_f64 v[84:85], v[84:85], v[92:93]
	v_add_f64 v[75:76], v[75:76], v[88:89]
	s_waitcnt vmcnt(23) lgkmcnt(1)
	v_mul_f64 v[92:93], v[73:74], v[112:113]
	v_mul_f64 v[88:89], v[71:72], v[112:113]
	s_waitcnt vmcnt(21)
	v_fma_f64 v[94:95], v[78:79], v[104:105], -v[94:95]
	v_fma_f64 v[86:87], v[80:81], v[104:105], v[86:87]
	ds_read_b128 v[78:81], v77 offset:1008
	v_add_f64 v[84:85], v[84:85], v[96:97]
	v_add_f64 v[75:76], v[75:76], v[90:91]
	s_waitcnt vmcnt(17) lgkmcnt(1)
	v_mul_f64 v[96:97], v[3:4], v[102:103]
	s_waitcnt vmcnt(16)
	v_fma_f64 v[92:93], v[71:72], v[116:117], -v[92:93]
	v_mul_f64 v[90:91], v[1:2], v[102:103]
	v_fma_f64 v[88:89], v[73:74], v[116:117], v[88:89]
	ds_read_b128 v[71:74], v77 offset:1024
	v_add_f64 v[84:85], v[84:85], v[94:95]
	v_add_f64 v[75:76], v[75:76], v[86:87]
	s_waitcnt vmcnt(15) lgkmcnt(1)
	v_mul_f64 v[94:95], v[80:81], v[120:121]
	v_mul_f64 v[86:87], v[78:79], v[120:121]
	s_waitcnt vmcnt(13)
	v_fma_f64 v[96:97], v[1:2], v[106:107], -v[96:97]
	v_fma_f64 v[90:91], v[3:4], v[106:107], v[90:91]
	ds_read_b128 v[1:4], v77 offset:1040
	v_add_f64 v[84:85], v[84:85], v[92:93]
	v_add_f64 v[75:76], v[75:76], v[88:89]
	s_waitcnt vmcnt(9) lgkmcnt(1)
	v_mul_f64 v[92:93], v[73:74], v[110:111]
	s_waitcnt vmcnt(8)
	v_fma_f64 v[78:79], v[78:79], v[124:125], -v[94:95]
	v_mul_f64 v[88:89], v[71:72], v[110:111]
	v_fma_f64 v[80:81], v[80:81], v[124:125], v[86:87]
	v_add_f64 v[84:85], v[84:85], v[96:97]
	v_add_f64 v[75:76], v[75:76], v[90:91]
	s_waitcnt vmcnt(7) lgkmcnt(0)
	v_mul_f64 v[90:91], v[3:4], v[128:129]
	v_mul_f64 v[86:87], v[1:2], v[128:129]
	s_waitcnt vmcnt(5)
	v_fma_f64 v[71:72], v[71:72], v[114:115], -v[92:93]
	v_fma_f64 v[73:74], v[73:74], v[114:115], v[88:89]
	v_add_f64 v[78:79], v[84:85], v[78:79]
	v_add_f64 v[75:76], v[75:76], v[80:81]
	s_waitcnt vmcnt(4)
	v_fma_f64 v[1:2], v[1:2], v[132:133], -v[90:91]
	v_fma_f64 v[3:4], v[3:4], v[132:133], v[86:87]
	v_add_f64 v[71:72], v[78:79], v[71:72]
	v_add_f64 v[73:74], v[75:76], v[73:74]
	v_add_f64 v[1:2], v[71:72], v[1:2]
	v_add_f64 v[3:4], v[73:74], v[3:4]
	s_waitcnt vmcnt(2)
	v_add_f64 v[1:2], v[118:119], -v[1:2]
	s_waitcnt vmcnt(0)
	v_add_f64 v[3:4], v[126:127], -v[3:4]
	buffer_store_dword v2, off, s[0:3], 0 offset:68
	buffer_store_dword v1, off, s[0:3], 0 offset:64
	;; [unrolled: 1-line block ×4, first 2 shown]
	v_cmpx_lt_u32_e32 2, v0
	s_cbranch_execz .LBB32_207
; %bb.206:
	v_mov_b32_e32 v4, s44
	s_clause 0x3
	buffer_load_dword v1, v4, s[0:3], 0 offen
	buffer_load_dword v2, v4, s[0:3], 0 offen offset:4
	buffer_load_dword v3, v4, s[0:3], 0 offen offset:8
	;; [unrolled: 1-line block ×3, first 2 shown]
	buffer_store_dword v77, off, s[0:3], 0 offset:48
	buffer_store_dword v77, off, s[0:3], 0 offset:52
	;; [unrolled: 1-line block ×4, first 2 shown]
	s_waitcnt vmcnt(0)
	ds_write_b128 v83, v[1:4]
.LBB32_207:
	s_or_b32 exec_lo, exec_lo, s4
	s_waitcnt lgkmcnt(0)
	s_waitcnt_vscnt null, 0x0
	s_barrier
	buffer_gl0_inv
	s_clause 0x37
	buffer_load_dword v75, off, s[0:3], 0 offset:72
	buffer_load_dword v76, off, s[0:3], 0 offset:76
	;; [unrolled: 1-line block ×56, first 2 shown]
	ds_read_b128 v[78:81], v77 offset:576
	s_clause 0x2
	buffer_load_dword v137, off, s[0:3], 0 offset:300
	buffer_load_dword v141, off, s[0:3], 0 offset:276
	;; [unrolled: 1-line block ×3, first 2 shown]
	ds_read_b128 v[84:87], v77 offset:592
	s_clause 0x4
	buffer_load_dword v145, off, s[0:3], 0 offset:316
	buffer_load_dword v146, off, s[0:3], 0 offset:328
	;; [unrolled: 1-line block ×5, first 2 shown]
	ds_read_b128 v[88:91], v77 offset:608
	s_clause 0x2
	buffer_load_dword v147, off, s[0:3], 0 offset:332
	buffer_load_dword v152, off, s[0:3], 0 offset:308
	;; [unrolled: 1-line block ×3, first 2 shown]
	s_mov_b32 s4, exec_lo
	s_waitcnt vmcnt(62) lgkmcnt(2)
	v_mul_f64 v[142:143], v[80:81], v[75:76]
	v_mul_f64 v[75:76], v[78:79], v[75:76]
	s_waitcnt lgkmcnt(1)
	v_mul_f64 v[149:150], v[86:87], v[71:72]
	s_waitcnt vmcnt(59) lgkmcnt(0)
	v_mul_f64 v[153:154], v[90:91], v[3:4]
	v_fma_f64 v[78:79], v[78:79], v[73:74], -v[142:143]
	v_mul_f64 v[142:143], v[84:85], v[71:72]
	v_fma_f64 v[75:76], v[80:81], v[73:74], v[75:76]
	s_waitcnt vmcnt(57)
	v_fma_f64 v[84:85], v[84:85], v[1:2], -v[149:150]
	ds_read_b128 v[71:74], v77 offset:624
	v_mul_f64 v[80:81], v[88:89], v[3:4]
	s_waitcnt vmcnt(51)
	v_fma_f64 v[88:89], v[88:89], v[98:99], -v[153:154]
	v_add_f64 v[78:79], v[78:79], 0
	v_fma_f64 v[86:87], v[86:87], v[1:2], v[142:143]
	v_add_f64 v[75:76], v[75:76], 0
	s_clause 0x4
	buffer_load_dword v143, off, s[0:3], 0 offset:348
	buffer_load_dword v155, off, s[0:3], 0 offset:360
	;; [unrolled: 1-line block ×5, first 2 shown]
	s_waitcnt lgkmcnt(0)
	v_mul_f64 v[158:159], v[71:72], v[92:93]
	v_mul_f64 v[92:93], v[73:74], v[92:93]
	ds_read_b128 v[1:4], v77 offset:640
	v_fma_f64 v[90:91], v[90:91], v[98:99], v[80:81]
	v_add_f64 v[84:85], v[78:79], v[84:85]
	v_add_f64 v[75:76], v[75:76], v[86:87]
	s_clause 0x2
	buffer_load_dword v156, off, s[0:3], 0 offset:364
	buffer_load_dword v87, off, s[0:3], 0 offset:340
	;; [unrolled: 1-line block ×3, first 2 shown]
	s_waitcnt vmcnt(58) lgkmcnt(0)
	v_mul_f64 v[98:99], v[1:2], v[94:95]
	v_mul_f64 v[94:95], v[3:4], v[94:95]
	s_waitcnt vmcnt(56)
	v_fma_f64 v[92:93], v[71:72], v[100:101], -v[92:93]
	ds_read_b128 v[78:81], v77 offset:656
	v_add_f64 v[84:85], v[84:85], v[88:89]
	v_fma_f64 v[88:89], v[73:74], v[100:101], v[158:159]
	v_add_f64 v[75:76], v[75:76], v[90:91]
	s_clause 0x4
	buffer_load_dword v91, off, s[0:3], 0 offset:380
	buffer_load_dword v100, off, s[0:3], 0 offset:392
	;; [unrolled: 1-line block ×5, first 2 shown]
	ds_read_b128 v[71:74], v77 offset:672
	s_waitcnt vmcnt(57) lgkmcnt(1)
	v_mul_f64 v[159:160], v[78:79], v[102:103]
	v_mul_f64 v[102:103], v[80:81], v[102:103]
	s_waitcnt vmcnt(56)
	v_fma_f64 v[94:95], v[1:2], v[96:97], -v[94:95]
	v_add_f64 v[84:85], v[84:85], v[92:93]
	v_fma_f64 v[92:93], v[3:4], v[96:97], v[98:99]
	v_add_f64 v[75:76], v[75:76], v[88:89]
	s_clause 0x2
	buffer_load_dword v101, off, s[0:3], 0 offset:396
	buffer_load_dword v89, off, s[0:3], 0 offset:372
	;; [unrolled: 1-line block ×3, first 2 shown]
	s_waitcnt vmcnt(58) lgkmcnt(0)
	v_mul_f64 v[98:99], v[73:74], v[104:105]
	ds_read_b128 v[1:4], v77 offset:688
	s_waitcnt vmcnt(56)
	v_fma_f64 v[102:103], v[78:79], v[108:109], -v[102:103]
	v_mul_f64 v[96:97], v[71:72], v[104:105]
	v_add_f64 v[84:85], v[84:85], v[94:95]
	v_fma_f64 v[94:95], v[80:81], v[108:109], v[159:160]
	v_add_f64 v[75:76], v[75:76], v[92:93]
	s_clause 0x4
	buffer_load_dword v93, off, s[0:3], 0 offset:412
	buffer_load_dword v104, off, s[0:3], 0 offset:424
	buffer_load_dword v108, off, s[0:3], 0 offset:416
	buffer_load_dword v92, off, s[0:3], 0 offset:408
	buffer_load_dword v154, off, s[0:3], 0 offset:388
	s_waitcnt vmcnt(57) lgkmcnt(0)
	v_mul_f64 v[159:160], v[1:2], v[110:111]
	v_mul_f64 v[109:110], v[3:4], v[110:111]
	s_waitcnt vmcnt(56)
	v_fma_f64 v[98:99], v[71:72], v[106:107], -v[98:99]
	ds_read_b128 v[78:81], v77 offset:704
	v_fma_f64 v[96:97], v[73:74], v[106:107], v[96:97]
	v_add_f64 v[84:85], v[84:85], v[102:103]
	v_add_f64 v[75:76], v[75:76], v[94:95]
	s_clause 0x2
	buffer_load_dword v105, off, s[0:3], 0 offset:428
	buffer_load_dword v95, off, s[0:3], 0 offset:404
	buffer_load_dword v94, off, s[0:3], 0 offset:400
	ds_read_b128 v[71:74], v77 offset:720
	s_waitcnt vmcnt(58) lgkmcnt(1)
	v_mul_f64 v[106:107], v[80:81], v[112:113]
	s_waitcnt vmcnt(56)
	v_fma_f64 v[110:111], v[1:2], v[116:117], -v[109:110]
	v_mul_f64 v[102:103], v[78:79], v[112:113]
	v_add_f64 v[84:85], v[84:85], v[98:99]
	v_fma_f64 v[98:99], v[3:4], v[116:117], v[159:160]
	v_add_f64 v[75:76], v[75:76], v[96:97]
	s_clause 0x4
	buffer_load_dword v97, off, s[0:3], 0 offset:444
	buffer_load_dword v112, off, s[0:3], 0 offset:456
	buffer_load_dword v116, off, s[0:3], 0 offset:448
	buffer_load_dword v96, off, s[0:3], 0 offset:440
	buffer_load_dword v109, off, s[0:3], 0 offset:420
	s_waitcnt vmcnt(57) lgkmcnt(0)
	v_mul_f64 v[159:160], v[71:72], v[118:119]
	v_mul_f64 v[117:118], v[73:74], v[118:119]
	s_waitcnt vmcnt(56)
	v_fma_f64 v[106:107], v[78:79], v[114:115], -v[106:107]
	ds_read_b128 v[1:4], v77 offset:736
	v_fma_f64 v[102:103], v[80:81], v[114:115], v[102:103]
	v_add_f64 v[84:85], v[84:85], v[110:111]
	v_add_f64 v[75:76], v[75:76], v[98:99]
	s_clause 0x2
	buffer_load_dword v113, off, s[0:3], 0 offset:460
	buffer_load_dword v99, off, s[0:3], 0 offset:436
	buffer_load_dword v98, off, s[0:3], 0 offset:432
	ds_read_b128 v[78:81], v77 offset:752
	s_waitcnt vmcnt(58) lgkmcnt(1)
	v_mul_f64 v[114:115], v[3:4], v[120:121]
	s_waitcnt vmcnt(56)
	v_fma_f64 v[118:119], v[71:72], v[124:125], -v[117:118]
	v_mul_f64 v[110:111], v[1:2], v[120:121]
	v_add_f64 v[84:85], v[84:85], v[106:107]
	v_fma_f64 v[106:107], v[73:74], v[124:125], v[159:160]
	v_add_f64 v[75:76], v[75:76], v[102:103]
	s_clause 0x4
	buffer_load_dword v103, off, s[0:3], 0 offset:476
	buffer_load_dword v120, off, s[0:3], 0 offset:488
	buffer_load_dword v124, off, s[0:3], 0 offset:480
	buffer_load_dword v102, off, s[0:3], 0 offset:472
	buffer_load_dword v117, off, s[0:3], 0 offset:452
	s_waitcnt vmcnt(57) lgkmcnt(0)
	v_mul_f64 v[159:160], v[78:79], v[126:127]
	v_mul_f64 v[125:126], v[80:81], v[126:127]
	s_waitcnt vmcnt(56)
	v_fma_f64 v[114:115], v[1:2], v[122:123], -v[114:115]
	ds_read_b128 v[71:74], v77 offset:768
	v_fma_f64 v[110:111], v[3:4], v[122:123], v[110:111]
	v_add_f64 v[84:85], v[84:85], v[118:119]
	v_add_f64 v[75:76], v[75:76], v[106:107]
	s_clause 0x2
	buffer_load_dword v121, off, s[0:3], 0 offset:492
	buffer_load_dword v107, off, s[0:3], 0 offset:468
	buffer_load_dword v106, off, s[0:3], 0 offset:464
	ds_read_b128 v[1:4], v77 offset:784
	s_waitcnt vmcnt(58) lgkmcnt(1)
	v_mul_f64 v[122:123], v[73:74], v[128:129]
	s_waitcnt vmcnt(56)
	v_fma_f64 v[126:127], v[78:79], v[132:133], -v[125:126]
	v_mul_f64 v[118:119], v[71:72], v[128:129]
	v_add_f64 v[84:85], v[84:85], v[114:115]
	v_fma_f64 v[114:115], v[80:81], v[132:133], v[159:160]
	v_add_f64 v[75:76], v[75:76], v[110:111]
	s_clause 0x4
	buffer_load_dword v111, off, s[0:3], 0 offset:508
	buffer_load_dword v128, off, s[0:3], 0 offset:520
	buffer_load_dword v132, off, s[0:3], 0 offset:512
	buffer_load_dword v110, off, s[0:3], 0 offset:504
	buffer_load_dword v125, off, s[0:3], 0 offset:484
	s_waitcnt vmcnt(57) lgkmcnt(0)
	v_mul_f64 v[159:160], v[1:2], v[134:135]
	v_mul_f64 v[133:134], v[3:4], v[134:135]
	s_waitcnt vmcnt(56)
	v_fma_f64 v[122:123], v[71:72], v[130:131], -v[122:123]
	ds_read_b128 v[78:81], v77 offset:800
	v_fma_f64 v[118:119], v[73:74], v[130:131], v[118:119]
	v_add_f64 v[84:85], v[84:85], v[126:127]
	v_add_f64 v[75:76], v[75:76], v[114:115]
	s_clause 0x2
	buffer_load_dword v129, off, s[0:3], 0 offset:524
	buffer_load_dword v115, off, s[0:3], 0 offset:500
	buffer_load_dword v114, off, s[0:3], 0 offset:496
	ds_read_b128 v[71:74], v77 offset:816
	s_waitcnt vmcnt(58) lgkmcnt(1)
	v_mul_f64 v[130:131], v[80:81], v[136:137]
	s_waitcnt vmcnt(56)
	v_fma_f64 v[134:135], v[1:2], v[140:141], -v[133:134]
	v_mul_f64 v[126:127], v[78:79], v[136:137]
	v_add_f64 v[84:85], v[84:85], v[122:123]
	v_fma_f64 v[122:123], v[3:4], v[140:141], v[159:160]
	v_add_f64 v[75:76], v[75:76], v[118:119]
	s_clause 0x2
	buffer_load_dword v119, off, s[0:3], 0 offset:540
	buffer_load_dword v118, off, s[0:3], 0 offset:536
	;; [unrolled: 1-line block ×3, first 2 shown]
	s_waitcnt vmcnt(55) lgkmcnt(0)
	v_mul_f64 v[140:141], v[73:74], v[144:145]
	s_waitcnt vmcnt(54)
	v_fma_f64 v[130:131], v[78:79], v[138:139], -v[130:131]
	ds_read_b128 v[1:4], v77 offset:832
	v_mul_f64 v[136:137], v[71:72], v[144:145]
	v_fma_f64 v[126:127], v[80:81], v[138:139], v[126:127]
	v_add_f64 v[84:85], v[84:85], v[134:135]
	v_add_f64 v[75:76], v[75:76], v[122:123]
	s_clause 0x1
	buffer_load_dword v123, off, s[0:3], 0 offset:532
	buffer_load_dword v122, off, s[0:3], 0 offset:528
	s_waitcnt vmcnt(55) lgkmcnt(0)
	v_mul_f64 v[138:139], v[3:4], v[146:147]
	s_waitcnt vmcnt(53)
	v_fma_f64 v[140:141], v[71:72], v[151:152], -v[140:141]
	ds_read_b128 v[78:81], v77 offset:848
	v_mul_f64 v[134:135], v[1:2], v[146:147]
	v_add_f64 v[84:85], v[84:85], v[130:131]
	v_fma_f64 v[130:131], v[73:74], v[151:152], v[136:137]
	v_add_f64 v[75:76], v[75:76], v[126:127]
	ds_read_b128 v[71:74], v77 offset:864
	s_waitcnt vmcnt(49) lgkmcnt(1)
	v_mul_f64 v[136:137], v[80:81], v[142:143]
	s_waitcnt vmcnt(48)
	v_fma_f64 v[138:139], v[1:2], v[148:149], -v[138:139]
	v_mul_f64 v[126:127], v[78:79], v[142:143]
	v_fma_f64 v[134:135], v[3:4], v[148:149], v[134:135]
	v_add_f64 v[84:85], v[84:85], v[140:141]
	v_add_f64 v[75:76], v[75:76], v[130:131]
	s_clause 0x3
	buffer_load_dword v130, off, s[0:3], 0 offset:48
	buffer_load_dword v131, off, s[0:3], 0 offset:52
	;; [unrolled: 1-line block ×4, first 2 shown]
	ds_read_b128 v[1:4], v77 offset:880
	s_waitcnt vmcnt(51) lgkmcnt(1)
	v_mul_f64 v[144:145], v[73:74], v[155:156]
	v_mul_f64 v[142:143], v[71:72], v[155:156]
	s_waitcnt vmcnt(49)
	v_fma_f64 v[136:137], v[78:79], v[86:87], -v[136:137]
	v_fma_f64 v[86:87], v[80:81], v[86:87], v[126:127]
	ds_read_b128 v[78:81], v77 offset:896
	v_add_f64 v[84:85], v[84:85], v[138:139]
	v_add_f64 v[75:76], v[75:76], v[134:135]
	s_waitcnt vmcnt(45) lgkmcnt(1)
	v_mul_f64 v[126:127], v[1:2], v[90:91]
	v_mul_f64 v[90:91], v[3:4], v[90:91]
	s_waitcnt vmcnt(44)
	v_fma_f64 v[134:135], v[71:72], v[157:158], -v[144:145]
	v_add_f64 v[84:85], v[84:85], v[136:137]
	v_fma_f64 v[136:137], v[73:74], v[157:158], v[142:143]
	v_add_f64 v[75:76], v[75:76], v[86:87]
	ds_read_b128 v[71:74], v77 offset:912
	s_waitcnt vmcnt(43) lgkmcnt(1)
	v_mul_f64 v[86:87], v[78:79], v[100:101]
	v_mul_f64 v[100:101], v[80:81], v[100:101]
	s_waitcnt vmcnt(41)
	v_fma_f64 v[90:91], v[1:2], v[88:89], -v[90:91]
	v_fma_f64 v[88:89], v[3:4], v[88:89], v[126:127]
	ds_read_b128 v[1:4], v77 offset:928
	v_add_f64 v[84:85], v[84:85], v[134:135]
	v_add_f64 v[75:76], v[75:76], v[136:137]
	s_waitcnt vmcnt(37) lgkmcnt(1)
	v_mul_f64 v[126:127], v[71:72], v[92:93]
	v_mul_f64 v[92:93], v[73:74], v[92:93]
	s_waitcnt vmcnt(36)
	v_fma_f64 v[100:101], v[78:79], v[153:154], -v[100:101]
	v_fma_f64 v[86:87], v[80:81], v[153:154], v[86:87]
	ds_read_b128 v[78:81], v77 offset:944
	v_add_f64 v[84:85], v[84:85], v[90:91]
	v_add_f64 v[75:76], v[75:76], v[88:89]
	;; [unrolled: 9-line block ×5, first 2 shown]
	s_waitcnt vmcnt(21) lgkmcnt(1)
	v_mul_f64 v[90:91], v[3:4], v[102:103]
	s_waitcnt vmcnt(20)
	v_fma_f64 v[94:95], v[71:72], v[116:117], -v[94:95]
	v_mul_f64 v[88:89], v[1:2], v[102:103]
	v_fma_f64 v[92:93], v[73:74], v[116:117], v[92:93]
	ds_read_b128 v[71:74], v77 offset:1008
	v_add_f64 v[84:85], v[84:85], v[96:97]
	v_add_f64 v[75:76], v[75:76], v[86:87]
	s_waitcnt vmcnt(19) lgkmcnt(1)
	v_mul_f64 v[96:97], v[80:81], v[120:121]
	v_mul_f64 v[86:87], v[78:79], v[120:121]
	s_waitcnt vmcnt(17)
	v_fma_f64 v[90:91], v[1:2], v[106:107], -v[90:91]
	v_fma_f64 v[88:89], v[3:4], v[106:107], v[88:89]
	ds_read_b128 v[1:4], v77 offset:1024
	v_add_f64 v[84:85], v[84:85], v[94:95]
	v_add_f64 v[75:76], v[75:76], v[92:93]
	s_waitcnt vmcnt(13) lgkmcnt(1)
	v_mul_f64 v[94:95], v[73:74], v[110:111]
	s_waitcnt vmcnt(12)
	v_fma_f64 v[96:97], v[78:79], v[124:125], -v[96:97]
	v_mul_f64 v[92:93], v[71:72], v[110:111]
	v_fma_f64 v[79:80], v[80:81], v[124:125], v[86:87]
	v_add_f64 v[84:85], v[84:85], v[90:91]
	v_add_f64 v[81:82], v[75:76], v[88:89]
	ds_read_b128 v[75:78], v77 offset:1040
	s_waitcnt vmcnt(11) lgkmcnt(1)
	v_mul_f64 v[88:89], v[3:4], v[128:129]
	v_mul_f64 v[86:87], v[1:2], v[128:129]
	s_waitcnt vmcnt(9)
	v_fma_f64 v[71:72], v[71:72], v[114:115], -v[94:95]
	v_fma_f64 v[73:74], v[73:74], v[114:115], v[92:93]
	v_add_f64 v[84:85], v[84:85], v[96:97]
	v_add_f64 v[79:80], v[81:82], v[79:80]
	s_waitcnt vmcnt(7) lgkmcnt(0)
	v_mul_f64 v[90:91], v[77:78], v[118:119]
	s_waitcnt vmcnt(6)
	v_fma_f64 v[1:2], v[1:2], v[132:133], -v[88:89]
	v_mul_f64 v[81:82], v[75:76], v[118:119]
	v_fma_f64 v[3:4], v[3:4], v[132:133], v[86:87]
	v_add_f64 v[71:72], v[84:85], v[71:72]
	v_add_f64 v[73:74], v[79:80], v[73:74]
	s_waitcnt vmcnt(4)
	v_fma_f64 v[75:76], v[75:76], v[122:123], -v[90:91]
	v_add_f64 v[1:2], v[71:72], v[1:2]
	v_fma_f64 v[71:72], v[77:78], v[122:123], v[81:82]
	v_add_f64 v[3:4], v[73:74], v[3:4]
	v_add_f64 v[1:2], v[1:2], v[75:76]
	;; [unrolled: 1-line block ×3, first 2 shown]
	s_waitcnt vmcnt(2)
	v_add_f64 v[1:2], v[130:131], -v[1:2]
	s_waitcnt vmcnt(0)
	v_add_f64 v[3:4], v[140:141], -v[3:4]
	buffer_store_dword v2, off, s[0:3], 0 offset:52
	buffer_store_dword v1, off, s[0:3], 0 offset:48
	;; [unrolled: 1-line block ×4, first 2 shown]
	v_cmpx_lt_u32_e32 1, v0
	s_cbranch_execz .LBB32_209
; %bb.208:
	v_mov_b32_e32 v4, s45
	v_mov_b32_e32 v71, 0
	s_clause 0x3
	buffer_load_dword v1, v4, s[0:3], 0 offen
	buffer_load_dword v2, v4, s[0:3], 0 offen offset:4
	buffer_load_dword v3, v4, s[0:3], 0 offen offset:8
	;; [unrolled: 1-line block ×3, first 2 shown]
	buffer_store_dword v71, off, s[0:3], 0 offset:32
	buffer_store_dword v71, off, s[0:3], 0 offset:36
	;; [unrolled: 1-line block ×4, first 2 shown]
	s_waitcnt vmcnt(0)
	ds_write_b128 v83, v[1:4]
.LBB32_209:
	s_or_b32 exec_lo, exec_lo, s4
	s_waitcnt lgkmcnt(0)
	s_waitcnt_vscnt null, 0x0
	s_barrier
	buffer_gl0_inv
	s_clause 0x37
	buffer_load_dword v75, off, s[0:3], 0 offset:56
	buffer_load_dword v76, off, s[0:3], 0 offset:60
	buffer_load_dword v71, off, s[0:3], 0 offset:72
	buffer_load_dword v72, off, s[0:3], 0 offset:76
	buffer_load_dword v73, off, s[0:3], 0 offset:48
	buffer_load_dword v74, off, s[0:3], 0 offset:52
	buffer_load_dword v3, off, s[0:3], 0 offset:88
	buffer_load_dword v4, off, s[0:3], 0 offset:92
	buffer_load_dword v1, off, s[0:3], 0 offset:64
	buffer_load_dword v2, off, s[0:3], 0 offset:68
	buffer_load_dword v80, off, s[0:3], 0 offset:108
	buffer_load_dword v92, off, s[0:3], 0 offset:120
	buffer_load_dword v77, off, s[0:3], 0 offset:112
	buffer_load_dword v79, off, s[0:3], 0 offset:104
	buffer_load_dword v100, off, s[0:3], 0 offset:80
	buffer_load_dword v101, off, s[0:3], 0 offset:84
	buffer_load_dword v93, off, s[0:3], 0 offset:124
	buffer_load_dword v103, off, s[0:3], 0 offset:100
	buffer_load_dword v102, off, s[0:3], 0 offset:96
	buffer_load_dword v105, off, s[0:3], 0 offset:140
	buffer_load_dword v106, off, s[0:3], 0 offset:152
	buffer_load_dword v81, off, s[0:3], 0 offset:144
	buffer_load_dword v104, off, s[0:3], 0 offset:136
	buffer_load_dword v78, off, s[0:3], 0 offset:116
	buffer_load_dword v107, off, s[0:3], 0 offset:156
	buffer_load_dword v109, off, s[0:3], 0 offset:132
	buffer_load_dword v108, off, s[0:3], 0 offset:128
	buffer_load_dword v111, off, s[0:3], 0 offset:172
	buffer_load_dword v112, off, s[0:3], 0 offset:184
	buffer_load_dword v114, off, s[0:3], 0 offset:176
	buffer_load_dword v110, off, s[0:3], 0 offset:168
	buffer_load_dword v82, off, s[0:3], 0 offset:148
	buffer_load_dword v113, off, s[0:3], 0 offset:188
	buffer_load_dword v117, off, s[0:3], 0 offset:164
	buffer_load_dword v116, off, s[0:3], 0 offset:160
	buffer_load_dword v119, off, s[0:3], 0 offset:204
	buffer_load_dword v120, off, s[0:3], 0 offset:216
	buffer_load_dword v122, off, s[0:3], 0 offset:208
	buffer_load_dword v118, off, s[0:3], 0 offset:200
	buffer_load_dword v115, off, s[0:3], 0 offset:180
	buffer_load_dword v121, off, s[0:3], 0 offset:220
	buffer_load_dword v125, off, s[0:3], 0 offset:196
	buffer_load_dword v124, off, s[0:3], 0 offset:192
	buffer_load_dword v127, off, s[0:3], 0 offset:236
	buffer_load_dword v128, off, s[0:3], 0 offset:248
	buffer_load_dword v130, off, s[0:3], 0 offset:240
	buffer_load_dword v126, off, s[0:3], 0 offset:232
	buffer_load_dword v123, off, s[0:3], 0 offset:212
	buffer_load_dword v129, off, s[0:3], 0 offset:252
	buffer_load_dword v133, off, s[0:3], 0 offset:228
	buffer_load_dword v132, off, s[0:3], 0 offset:224
	buffer_load_dword v135, off, s[0:3], 0 offset:268
	buffer_load_dword v136, off, s[0:3], 0 offset:280
	buffer_load_dword v138, off, s[0:3], 0 offset:272
	buffer_load_dword v134, off, s[0:3], 0 offset:264
	buffer_load_dword v131, off, s[0:3], 0 offset:244
	v_mov_b32_e32 v95, 0
	s_mov_b32 s4, exec_lo
	ds_read_b128 v[84:87], v95 offset:560
	s_clause 0x2
	buffer_load_dword v137, off, s[0:3], 0 offset:284
	buffer_load_dword v141, off, s[0:3], 0 offset:260
	;; [unrolled: 1-line block ×3, first 2 shown]
	ds_read_b128 v[88:91], v95 offset:576
	s_clause 0x4
	buffer_load_dword v145, off, s[0:3], 0 offset:300
	buffer_load_dword v146, off, s[0:3], 0 offset:312
	buffer_load_dword v148, off, s[0:3], 0 offset:304
	buffer_load_dword v144, off, s[0:3], 0 offset:296
	buffer_load_dword v139, off, s[0:3], 0 offset:276
	ds_read_b128 v[96:99], v95 offset:592
	s_clause 0x2
	buffer_load_dword v147, off, s[0:3], 0 offset:316
	buffer_load_dword v152, off, s[0:3], 0 offset:292
	;; [unrolled: 1-line block ×3, first 2 shown]
	s_waitcnt vmcnt(62) lgkmcnt(2)
	v_mul_f64 v[142:143], v[86:87], v[75:76]
	v_mul_f64 v[75:76], v[84:85], v[75:76]
	s_waitcnt lgkmcnt(1)
	v_mul_f64 v[149:150], v[90:91], v[71:72]
	s_waitcnt vmcnt(59) lgkmcnt(0)
	v_mul_f64 v[153:154], v[98:99], v[3:4]
	v_fma_f64 v[84:85], v[84:85], v[73:74], -v[142:143]
	v_mul_f64 v[142:143], v[88:89], v[71:72]
	v_fma_f64 v[75:76], v[86:87], v[73:74], v[75:76]
	s_waitcnt vmcnt(57)
	v_fma_f64 v[88:89], v[88:89], v[1:2], -v[149:150]
	ds_read_b128 v[71:74], v95 offset:608
	v_mul_f64 v[86:87], v[96:97], v[3:4]
	s_waitcnt vmcnt(51)
	v_fma_f64 v[96:97], v[96:97], v[100:101], -v[153:154]
	v_add_f64 v[84:85], v[84:85], 0
	v_fma_f64 v[90:91], v[90:91], v[1:2], v[142:143]
	v_add_f64 v[75:76], v[75:76], 0
	s_clause 0x4
	buffer_load_dword v143, off, s[0:3], 0 offset:332
	buffer_load_dword v155, off, s[0:3], 0 offset:344
	buffer_load_dword v157, off, s[0:3], 0 offset:336
	buffer_load_dword v142, off, s[0:3], 0 offset:328
	buffer_load_dword v149, off, s[0:3], 0 offset:308
	s_waitcnt lgkmcnt(0)
	v_mul_f64 v[158:159], v[71:72], v[79:80]
	v_mul_f64 v[79:80], v[73:74], v[79:80]
	ds_read_b128 v[1:4], v95 offset:624
	v_fma_f64 v[98:99], v[98:99], v[100:101], v[86:87]
	v_add_f64 v[88:89], v[84:85], v[88:89]
	v_add_f64 v[75:76], v[75:76], v[90:91]
	s_clause 0x2
	buffer_load_dword v156, off, s[0:3], 0 offset:348
	buffer_load_dword v91, off, s[0:3], 0 offset:324
	;; [unrolled: 1-line block ×3, first 2 shown]
	s_waitcnt vmcnt(58) lgkmcnt(0)
	v_mul_f64 v[100:101], v[1:2], v[92:93]
	v_mul_f64 v[92:93], v[3:4], v[92:93]
	s_waitcnt vmcnt(56)
	v_fma_f64 v[79:80], v[71:72], v[102:103], -v[79:80]
	ds_read_b128 v[84:87], v95 offset:640
	v_add_f64 v[88:89], v[88:89], v[96:97]
	v_fma_f64 v[96:97], v[73:74], v[102:103], v[158:159]
	v_add_f64 v[75:76], v[75:76], v[98:99]
	s_clause 0x4
	buffer_load_dword v99, off, s[0:3], 0 offset:364
	buffer_load_dword v102, off, s[0:3], 0 offset:376
	;; [unrolled: 1-line block ×5, first 2 shown]
	ds_read_b128 v[71:74], v95 offset:656
	s_waitcnt vmcnt(57) lgkmcnt(1)
	v_mul_f64 v[159:160], v[84:85], v[104:105]
	v_mul_f64 v[104:105], v[86:87], v[104:105]
	s_waitcnt vmcnt(56)
	v_fma_f64 v[92:93], v[1:2], v[77:78], -v[92:93]
	v_fma_f64 v[77:78], v[3:4], v[77:78], v[100:101]
	v_add_f64 v[79:80], v[88:89], v[79:80]
	s_clause 0x2
	buffer_load_dword v103, off, s[0:3], 0 offset:380
	buffer_load_dword v89, off, s[0:3], 0 offset:356
	buffer_load_dword v88, off, s[0:3], 0 offset:352
	v_add_f64 v[75:76], v[75:76], v[96:97]
	s_waitcnt vmcnt(58) lgkmcnt(0)
	v_mul_f64 v[100:101], v[73:74], v[106:107]
	ds_read_b128 v[1:4], v95 offset:672
	v_mul_f64 v[96:97], v[71:72], v[106:107]
	s_waitcnt vmcnt(56)
	v_fma_f64 v[84:85], v[84:85], v[108:109], -v[104:105]
	v_fma_f64 v[86:87], v[86:87], v[108:109], v[159:160]
	s_clause 0x4
	buffer_load_dword v105, off, s[0:3], 0 offset:396
	buffer_load_dword v106, off, s[0:3], 0 offset:408
	;; [unrolled: 1-line block ×5, first 2 shown]
	v_add_f64 v[79:80], v[79:80], v[92:93]
	v_add_f64 v[92:93], v[75:76], v[77:78]
	s_waitcnt vmcnt(57) lgkmcnt(0)
	v_mul_f64 v[159:160], v[1:2], v[110:111]
	v_mul_f64 v[109:110], v[3:4], v[110:111]
	s_waitcnt vmcnt(56)
	v_fma_f64 v[100:101], v[71:72], v[81:82], -v[100:101]
	ds_read_b128 v[75:78], v95 offset:688
	v_fma_f64 v[81:82], v[73:74], v[81:82], v[96:97]
	v_add_f64 v[79:80], v[79:80], v[84:85]
	v_add_f64 v[84:85], v[92:93], v[86:87]
	s_clause 0x2
	buffer_load_dword v107, off, s[0:3], 0 offset:412
	buffer_load_dword v87, off, s[0:3], 0 offset:388
	;; [unrolled: 1-line block ×3, first 2 shown]
	s_waitcnt vmcnt(58) lgkmcnt(0)
	v_mul_f64 v[96:97], v[77:78], v[112:113]
	s_waitcnt vmcnt(56)
	v_fma_f64 v[110:111], v[1:2], v[116:117], -v[109:110]
	ds_read_b128 v[71:74], v95 offset:704
	v_mul_f64 v[92:93], v[75:76], v[112:113]
	v_add_f64 v[79:80], v[79:80], v[100:101]
	v_fma_f64 v[100:101], v[3:4], v[116:117], v[159:160]
	v_add_f64 v[81:82], v[84:85], v[81:82]
	s_clause 0x4
	buffer_load_dword v85, off, s[0:3], 0 offset:428
	buffer_load_dword v112, off, s[0:3], 0 offset:440
	buffer_load_dword v116, off, s[0:3], 0 offset:432
	buffer_load_dword v84, off, s[0:3], 0 offset:424
	buffer_load_dword v109, off, s[0:3], 0 offset:404
	s_waitcnt vmcnt(57) lgkmcnt(0)
	v_mul_f64 v[159:160], v[71:72], v[118:119]
	v_mul_f64 v[117:118], v[73:74], v[118:119]
	s_waitcnt vmcnt(56)
	v_fma_f64 v[96:97], v[75:76], v[114:115], -v[96:97]
	ds_read_b128 v[1:4], v95 offset:720
	v_fma_f64 v[92:93], v[77:78], v[114:115], v[92:93]
	v_add_f64 v[79:80], v[79:80], v[110:111]
	v_add_f64 v[81:82], v[81:82], v[100:101]
	s_clause 0x2
	buffer_load_dword v113, off, s[0:3], 0 offset:444
	buffer_load_dword v101, off, s[0:3], 0 offset:420
	buffer_load_dword v100, off, s[0:3], 0 offset:416
	ds_read_b128 v[75:78], v95 offset:736
	s_waitcnt vmcnt(58) lgkmcnt(1)
	v_mul_f64 v[114:115], v[3:4], v[120:121]
	s_waitcnt vmcnt(56)
	v_fma_f64 v[118:119], v[71:72], v[124:125], -v[117:118]
	v_mul_f64 v[110:111], v[1:2], v[120:121]
	v_add_f64 v[79:80], v[79:80], v[96:97]
	v_fma_f64 v[96:97], v[73:74], v[124:125], v[159:160]
	v_add_f64 v[81:82], v[81:82], v[92:93]
	s_clause 0x4
	buffer_load_dword v93, off, s[0:3], 0 offset:460
	buffer_load_dword v120, off, s[0:3], 0 offset:472
	buffer_load_dword v124, off, s[0:3], 0 offset:464
	buffer_load_dword v92, off, s[0:3], 0 offset:456
	buffer_load_dword v117, off, s[0:3], 0 offset:436
	s_waitcnt vmcnt(57) lgkmcnt(0)
	v_mul_f64 v[159:160], v[75:76], v[126:127]
	v_mul_f64 v[125:126], v[77:78], v[126:127]
	s_waitcnt vmcnt(56)
	v_fma_f64 v[114:115], v[1:2], v[122:123], -v[114:115]
	ds_read_b128 v[71:74], v95 offset:752
	v_fma_f64 v[110:111], v[3:4], v[122:123], v[110:111]
	v_add_f64 v[79:80], v[79:80], v[118:119]
	v_add_f64 v[81:82], v[81:82], v[96:97]
	s_clause 0x2
	buffer_load_dword v121, off, s[0:3], 0 offset:476
	buffer_load_dword v97, off, s[0:3], 0 offset:452
	buffer_load_dword v96, off, s[0:3], 0 offset:448
	ds_read_b128 v[1:4], v95 offset:768
	s_waitcnt vmcnt(58) lgkmcnt(1)
	v_mul_f64 v[122:123], v[73:74], v[128:129]
	s_waitcnt vmcnt(56)
	v_fma_f64 v[126:127], v[75:76], v[132:133], -v[125:126]
	;; [unrolled: 28-line block ×4, first 2 shown]
	v_mul_f64 v[134:135], v[1:2], v[146:147]
	buffer_load_dword v141, off, s[0:3], 0 offset:532
	v_add_f64 v[79:80], v[79:80], v[130:131]
	v_fma_f64 v[130:131], v[73:74], v[151:152], v[159:160]
	v_add_f64 v[81:82], v[81:82], v[126:127]
	ds_read_b128 v[71:74], v95 offset:848
	s_waitcnt vmcnt(53) lgkmcnt(1)
	v_mul_f64 v[126:127], v[75:76], v[142:143]
	v_mul_f64 v[142:143], v[77:78], v[142:143]
	s_waitcnt vmcnt(52)
	v_fma_f64 v[138:139], v[1:2], v[148:149], -v[138:139]
	v_fma_f64 v[134:135], v[3:4], v[148:149], v[134:135]
	ds_read_b128 v[1:4], v95 offset:864
	v_add_f64 v[79:80], v[79:80], v[144:145]
	v_add_f64 v[81:82], v[81:82], v[130:131]
	s_waitcnt vmcnt(51) lgkmcnt(1)
	v_mul_f64 v[144:145], v[73:74], v[155:156]
	v_mul_f64 v[130:131], v[71:72], v[155:156]
	s_waitcnt vmcnt(49)
	v_fma_f64 v[142:143], v[75:76], v[90:91], -v[142:143]
	v_fma_f64 v[90:91], v[77:78], v[90:91], v[126:127]
	v_add_f64 v[79:80], v[79:80], v[138:139]
	v_add_f64 v[81:82], v[81:82], v[134:135]
	s_clause 0x3
	buffer_load_dword v126, off, s[0:3], 0 offset:32
	buffer_load_dword v127, off, s[0:3], 0 offset:36
	;; [unrolled: 1-line block ×4, first 2 shown]
	ds_read_b128 v[75:78], v95 offset:880
	s_waitcnt vmcnt(49) lgkmcnt(1)
	v_mul_f64 v[138:139], v[1:2], v[98:99]
	v_mul_f64 v[98:99], v[3:4], v[98:99]
	s_waitcnt vmcnt(48)
	v_fma_f64 v[144:145], v[71:72], v[157:158], -v[144:145]
	v_fma_f64 v[130:131], v[73:74], v[157:158], v[130:131]
	ds_read_b128 v[71:74], v95 offset:896
	v_add_f64 v[79:80], v[79:80], v[142:143]
	v_add_f64 v[81:82], v[81:82], v[90:91]
	s_waitcnt vmcnt(47) lgkmcnt(1)
	v_mul_f64 v[90:91], v[75:76], v[102:103]
	v_mul_f64 v[102:103], v[77:78], v[102:103]
	s_waitcnt vmcnt(45)
	v_fma_f64 v[98:99], v[1:2], v[88:89], -v[98:99]
	v_fma_f64 v[88:89], v[3:4], v[88:89], v[138:139]
	ds_read_b128 v[1:4], v95 offset:912
	v_add_f64 v[79:80], v[79:80], v[144:145]
	v_add_f64 v[81:82], v[81:82], v[130:131]
	s_waitcnt vmcnt(41) lgkmcnt(1)
	v_mul_f64 v[130:131], v[71:72], v[104:105]
	v_mul_f64 v[104:105], v[73:74], v[104:105]
	s_waitcnt vmcnt(40)
	v_fma_f64 v[90:91], v[77:78], v[153:154], v[90:91]
	v_fma_f64 v[102:103], v[75:76], v[153:154], -v[102:103]
	ds_read_b128 v[75:78], v95 offset:928
	v_add_f64 v[79:80], v[79:80], v[98:99]
	v_add_f64 v[81:82], v[81:82], v[88:89]
	s_waitcnt vmcnt(39) lgkmcnt(1)
	v_mul_f64 v[98:99], v[3:4], v[106:107]
	v_mul_f64 v[88:89], v[1:2], v[106:107]
	s_waitcnt vmcnt(37)
	v_fma_f64 v[104:105], v[71:72], v[86:87], -v[104:105]
	v_fma_f64 v[86:87], v[73:74], v[86:87], v[130:131]
	ds_read_b128 v[71:74], v95 offset:944
	v_add_f64 v[79:80], v[79:80], v[102:103]
	v_add_f64 v[81:82], v[81:82], v[90:91]
	s_waitcnt vmcnt(33) lgkmcnt(1)
	v_mul_f64 v[90:91], v[75:76], v[84:85]
	v_mul_f64 v[84:85], v[77:78], v[84:85]
	s_waitcnt vmcnt(32)
	v_fma_f64 v[98:99], v[1:2], v[108:109], -v[98:99]
	v_fma_f64 v[88:89], v[3:4], v[108:109], v[88:89]
	;; [unrolled: 9-line block ×3, first 2 shown]
	ds_read_b128 v[75:78], v95 offset:976
	v_add_f64 v[79:80], v[79:80], v[98:99]
	v_add_f64 v[81:82], v[81:82], v[88:89]
	s_waitcnt vmcnt(25) lgkmcnt(1)
	v_mul_f64 v[88:89], v[1:2], v[92:93]
	v_mul_f64 v[92:93], v[3:4], v[92:93]
	s_waitcnt vmcnt(24)
	v_fma_f64 v[98:99], v[71:72], v[116:117], -v[102:103]
	v_add_f64 v[79:80], v[79:80], v[84:85]
	v_fma_f64 v[84:85], v[73:74], v[116:117], v[86:87]
	v_add_f64 v[81:82], v[81:82], v[90:91]
	ds_read_b128 v[71:74], v95 offset:992
	s_waitcnt vmcnt(23) lgkmcnt(1)
	v_mul_f64 v[90:91], v[77:78], v[120:121]
	v_mul_f64 v[86:87], v[75:76], v[120:121]
	s_waitcnt vmcnt(21)
	v_fma_f64 v[92:93], v[1:2], v[96:97], -v[92:93]
	v_fma_f64 v[88:89], v[3:4], v[96:97], v[88:89]
	ds_read_b128 v[1:4], v95 offset:1008
	v_add_f64 v[79:80], v[79:80], v[98:99]
	v_add_f64 v[81:82], v[81:82], v[84:85]
	s_waitcnt vmcnt(17) lgkmcnt(1)
	v_mul_f64 v[96:97], v[73:74], v[110:111]
	s_waitcnt vmcnt(16)
	v_fma_f64 v[90:91], v[75:76], v[124:125], -v[90:91]
	v_mul_f64 v[84:85], v[71:72], v[110:111]
	v_fma_f64 v[86:87], v[77:78], v[124:125], v[86:87]
	ds_read_b128 v[75:78], v95 offset:1024
	v_add_f64 v[79:80], v[79:80], v[92:93]
	v_add_f64 v[81:82], v[81:82], v[88:89]
	s_waitcnt vmcnt(15) lgkmcnt(1)
	v_mul_f64 v[92:93], v[3:4], v[128:129]
	v_mul_f64 v[88:89], v[1:2], v[128:129]
	s_waitcnt vmcnt(13)
	v_fma_f64 v[96:97], v[71:72], v[114:115], -v[96:97]
	v_fma_f64 v[84:85], v[73:74], v[114:115], v[84:85]
	ds_read_b128 v[71:74], v95 offset:1040
	v_add_f64 v[79:80], v[79:80], v[90:91]
	v_add_f64 v[81:82], v[81:82], v[86:87]
	s_waitcnt vmcnt(9) lgkmcnt(1)
	v_mul_f64 v[90:91], v[77:78], v[118:119]
	s_waitcnt vmcnt(8)
	v_fma_f64 v[1:2], v[1:2], v[132:133], -v[92:93]
	v_mul_f64 v[86:87], v[75:76], v[118:119]
	v_fma_f64 v[3:4], v[3:4], v[132:133], v[88:89]
	v_add_f64 v[79:80], v[79:80], v[96:97]
	v_add_f64 v[81:82], v[81:82], v[84:85]
	s_waitcnt vmcnt(7) lgkmcnt(0)
	v_mul_f64 v[88:89], v[73:74], v[136:137]
	v_mul_f64 v[84:85], v[71:72], v[136:137]
	s_waitcnt vmcnt(5)
	v_fma_f64 v[75:76], v[75:76], v[122:123], -v[90:91]
	v_fma_f64 v[77:78], v[77:78], v[122:123], v[86:87]
	v_add_f64 v[1:2], v[79:80], v[1:2]
	v_add_f64 v[3:4], v[81:82], v[3:4]
	s_waitcnt vmcnt(4)
	v_fma_f64 v[71:72], v[71:72], v[140:141], -v[88:89]
	v_fma_f64 v[73:74], v[73:74], v[140:141], v[84:85]
	v_add_f64 v[1:2], v[1:2], v[75:76]
	v_add_f64 v[3:4], v[3:4], v[77:78]
	;; [unrolled: 1-line block ×4, first 2 shown]
	s_waitcnt vmcnt(2)
	v_add_f64 v[1:2], v[126:127], -v[1:2]
	s_waitcnt vmcnt(0)
	v_add_f64 v[3:4], v[134:135], -v[3:4]
	buffer_store_dword v2, off, s[0:3], 0 offset:36
	buffer_store_dword v1, off, s[0:3], 0 offset:32
	;; [unrolled: 1-line block ×4, first 2 shown]
	v_cmpx_ne_u32_e32 0, v0
	s_cbranch_execz .LBB32_211
; %bb.210:
	s_clause 0x3
	buffer_load_dword v0, off, s[0:3], 0 offset:16
	buffer_load_dword v1, off, s[0:3], 0 offset:20
	;; [unrolled: 1-line block ×4, first 2 shown]
	buffer_store_dword v95, off, s[0:3], 0 offset:16
	buffer_store_dword v95, off, s[0:3], 0 offset:20
	;; [unrolled: 1-line block ×4, first 2 shown]
	s_waitcnt vmcnt(0)
	ds_write_b128 v83, v[0:3]
.LBB32_211:
	s_or_b32 exec_lo, exec_lo, s4
	s_waitcnt lgkmcnt(0)
	s_waitcnt_vscnt null, 0x0
	s_barrier
	buffer_gl0_inv
	s_clause 0x37
	buffer_load_dword v75, off, s[0:3], 0 offset:40
	buffer_load_dword v76, off, s[0:3], 0 offset:44
	;; [unrolled: 1-line block ×56, first 2 shown]
	ds_read_b128 v[96:99], v95 offset:544
	s_clause 0x2
	buffer_load_dword v135, off, s[0:3], 0 offset:268
	buffer_load_dword v139, off, s[0:3], 0 offset:244
	;; [unrolled: 1-line block ×3, first 2 shown]
	ds_read_b128 v[100:103], v95 offset:560
	s_clause 0x4
	buffer_load_dword v143, off, s[0:3], 0 offset:284
	buffer_load_dword v144, off, s[0:3], 0 offset:296
	;; [unrolled: 1-line block ×5, first 2 shown]
	ds_read_b128 v[104:107], v95 offset:576
	s_clause 0x2
	buffer_load_dword v145, off, s[0:3], 0 offset:300
	buffer_load_dword v150, off, s[0:3], 0 offset:276
	;; [unrolled: 1-line block ×3, first 2 shown]
	s_and_b32 vcc_lo, exec_lo, s43
	s_waitcnt vmcnt(62) lgkmcnt(2)
	v_mul_f64 v[140:141], v[98:99], v[75:76]
	v_mul_f64 v[75:76], v[96:97], v[75:76]
	s_waitcnt lgkmcnt(1)
	v_mul_f64 v[147:148], v[102:103], v[71:72]
	s_waitcnt vmcnt(59) lgkmcnt(0)
	v_mul_f64 v[151:152], v[106:107], v[2:3]
	v_fma_f64 v[96:97], v[96:97], v[73:74], -v[140:141]
	v_mul_f64 v[140:141], v[100:101], v[71:72]
	v_fma_f64 v[75:76], v[98:99], v[73:74], v[75:76]
	s_waitcnt vmcnt(57)
	v_fma_f64 v[100:101], v[100:101], v[0:1], -v[147:148]
	ds_read_b128 v[71:74], v95 offset:592
	v_mul_f64 v[98:99], v[104:105], v[2:3]
	s_waitcnt vmcnt(51)
	v_fma_f64 v[104:105], v[104:105], v[91:92], -v[151:152]
	v_add_f64 v[96:97], v[96:97], 0
	v_fma_f64 v[102:103], v[102:103], v[0:1], v[140:141]
	v_add_f64 v[75:76], v[75:76], 0
	s_clause 0x4
	buffer_load_dword v141, off, s[0:3], 0 offset:316
	buffer_load_dword v153, off, s[0:3], 0 offset:328
	;; [unrolled: 1-line block ×5, first 2 shown]
	s_waitcnt lgkmcnt(0)
	v_mul_f64 v[156:157], v[71:72], v[79:80]
	v_mul_f64 v[79:80], v[73:74], v[79:80]
	ds_read_b128 v[0:3], v95 offset:608
	v_fma_f64 v[91:92], v[106:107], v[91:92], v[98:99]
	v_add_f64 v[100:101], v[96:97], v[100:101]
	v_add_f64 v[75:76], v[75:76], v[102:103]
	s_clause 0x2
	buffer_load_dword v154, off, s[0:3], 0 offset:332
	buffer_load_dword v103, off, s[0:3], 0 offset:308
	;; [unrolled: 1-line block ×3, first 2 shown]
	s_waitcnt vmcnt(58) lgkmcnt(0)
	v_mul_f64 v[106:107], v[0:1], v[83:84]
	v_mul_f64 v[83:84], v[2:3], v[83:84]
	s_waitcnt vmcnt(56)
	v_fma_f64 v[79:80], v[71:72], v[85:86], -v[79:80]
	ds_read_b128 v[96:99], v95 offset:624
	v_fma_f64 v[85:86], v[73:74], v[85:86], v[156:157]
	v_add_f64 v[100:101], v[100:101], v[104:105]
	v_add_f64 v[75:76], v[75:76], v[91:92]
	s_clause 0x4
	buffer_load_dword v92, off, s[0:3], 0 offset:348
	buffer_load_dword v104, off, s[0:3], 0 offset:360
	;; [unrolled: 1-line block ×5, first 2 shown]
	ds_read_b128 v[71:74], v95 offset:640
	s_waitcnt vmcnt(57) lgkmcnt(1)
	v_mul_f64 v[157:158], v[96:97], v[87:88]
	v_mul_f64 v[87:88], v[98:99], v[87:88]
	s_waitcnt vmcnt(56)
	v_fma_f64 v[83:84], v[0:1], v[77:78], -v[83:84]
	v_fma_f64 v[77:78], v[2:3], v[77:78], v[106:107]
	v_add_f64 v[79:80], v[100:101], v[79:80]
	v_add_f64 v[75:76], v[75:76], v[85:86]
	s_clause 0x2
	buffer_load_dword v105, off, s[0:3], 0 offset:364
	buffer_load_dword v86, off, s[0:3], 0 offset:340
	buffer_load_dword v85, off, s[0:3], 0 offset:336
	s_waitcnt vmcnt(58) lgkmcnt(0)
	v_mul_f64 v[100:101], v[71:72], v[93:94]
	v_mul_f64 v[93:94], v[73:74], v[93:94]
	s_waitcnt vmcnt(56)
	v_fma_f64 v[87:88], v[96:97], v[108:109], -v[87:88]
	ds_read_b128 v[0:3], v95 offset:656
	v_add_f64 v[79:80], v[79:80], v[83:84]
	v_fma_f64 v[83:84], v[98:99], v[108:109], v[157:158]
	v_add_f64 v[96:97], v[75:76], v[77:78]
	s_clause 0x4
	buffer_load_dword v99, off, s[0:3], 0 offset:380
	buffer_load_dword v106, off, s[0:3], 0 offset:392
	;; [unrolled: 1-line block ×5, first 2 shown]
	ds_read_b128 v[75:78], v95 offset:672
	s_waitcnt vmcnt(57) lgkmcnt(1)
	v_mul_f64 v[157:158], v[0:1], v[110:111]
	v_mul_f64 v[109:110], v[2:3], v[110:111]
	s_waitcnt vmcnt(56)
	v_fma_f64 v[93:94], v[71:72], v[81:82], -v[93:94]
	v_fma_f64 v[81:82], v[73:74], v[81:82], v[100:101]
	v_add_f64 v[79:80], v[79:80], v[87:88]
	s_clause 0x2
	buffer_load_dword v107, off, s[0:3], 0 offset:396
	buffer_load_dword v88, off, s[0:3], 0 offset:372
	;; [unrolled: 1-line block ×3, first 2 shown]
	v_add_f64 v[83:84], v[96:97], v[83:84]
	s_waitcnt vmcnt(58) lgkmcnt(0)
	v_mul_f64 v[100:101], v[77:78], v[112:113]
	ds_read_b128 v[71:74], v95 offset:688
	v_mul_f64 v[96:97], v[75:76], v[112:113]
	s_waitcnt vmcnt(56)
	v_fma_f64 v[110:111], v[0:1], v[114:115], -v[109:110]
	v_add_f64 v[79:80], v[79:80], v[93:94]
	v_fma_f64 v[93:94], v[2:3], v[114:115], v[157:158]
	v_add_f64 v[81:82], v[83:84], v[81:82]
	s_clause 0x4
	buffer_load_dword v84, off, s[0:3], 0 offset:412
	buffer_load_dword v112, off, s[0:3], 0 offset:424
	buffer_load_dword v114, off, s[0:3], 0 offset:416
	buffer_load_dword v83, off, s[0:3], 0 offset:408
	buffer_load_dword v109, off, s[0:3], 0 offset:388
	s_waitcnt vmcnt(57) lgkmcnt(0)
	v_mul_f64 v[157:158], v[71:72], v[116:117]
	v_mul_f64 v[115:116], v[73:74], v[116:117]
	s_waitcnt vmcnt(56)
	v_fma_f64 v[100:101], v[75:76], v[89:90], -v[100:101]
	ds_read_b128 v[0:3], v95 offset:704
	v_fma_f64 v[89:90], v[77:78], v[89:90], v[96:97]
	v_add_f64 v[79:80], v[79:80], v[110:111]
	v_add_f64 v[81:82], v[81:82], v[93:94]
	s_clause 0x2
	buffer_load_dword v113, off, s[0:3], 0 offset:428
	buffer_load_dword v94, off, s[0:3], 0 offset:404
	buffer_load_dword v93, off, s[0:3], 0 offset:400
	ds_read_b128 v[75:78], v95 offset:720
	s_waitcnt vmcnt(58) lgkmcnt(1)
	v_mul_f64 v[110:111], v[2:3], v[118:119]
	s_waitcnt vmcnt(56)
	v_fma_f64 v[116:117], v[71:72], v[122:123], -v[115:116]
	v_mul_f64 v[96:97], v[0:1], v[118:119]
	v_add_f64 v[79:80], v[79:80], v[100:101]
	v_fma_f64 v[100:101], v[73:74], v[122:123], v[157:158]
	v_add_f64 v[81:82], v[81:82], v[89:90]
	s_clause 0x4
	buffer_load_dword v90, off, s[0:3], 0 offset:444
	buffer_load_dword v118, off, s[0:3], 0 offset:456
	buffer_load_dword v122, off, s[0:3], 0 offset:448
	buffer_load_dword v89, off, s[0:3], 0 offset:440
	buffer_load_dword v115, off, s[0:3], 0 offset:420
	s_waitcnt vmcnt(57) lgkmcnt(0)
	v_mul_f64 v[157:158], v[75:76], v[124:125]
	v_mul_f64 v[123:124], v[77:78], v[124:125]
	s_waitcnt vmcnt(56)
	v_fma_f64 v[110:111], v[0:1], v[120:121], -v[110:111]
	ds_read_b128 v[71:74], v95 offset:736
	v_fma_f64 v[96:97], v[2:3], v[120:121], v[96:97]
	v_add_f64 v[79:80], v[79:80], v[116:117]
	v_add_f64 v[81:82], v[81:82], v[100:101]
	s_clause 0x2
	buffer_load_dword v119, off, s[0:3], 0 offset:460
	buffer_load_dword v101, off, s[0:3], 0 offset:436
	buffer_load_dword v100, off, s[0:3], 0 offset:432
	ds_read_b128 v[0:3], v95 offset:752
	s_waitcnt vmcnt(58) lgkmcnt(1)
	v_mul_f64 v[120:121], v[73:74], v[126:127]
	s_waitcnt vmcnt(56)
	v_fma_f64 v[124:125], v[75:76], v[130:131], -v[123:124]
	v_mul_f64 v[116:117], v[71:72], v[126:127]
	;; [unrolled: 28-line block ×4, first 2 shown]
	v_add_f64 v[79:80], v[79:80], v[128:129]
	v_fma_f64 v[128:129], v[73:74], v[149:150], v[157:158]
	v_add_f64 v[81:82], v[81:82], v[124:125]
	s_clause 0x2
	buffer_load_dword v125, off, s[0:3], 0 offset:540
	buffer_load_dword v124, off, s[0:3], 0 offset:536
	;; [unrolled: 1-line block ×3, first 2 shown]
	ds_read_b128 v[71:74], v95 offset:832
	s_waitcnt vmcnt(55) lgkmcnt(1)
	v_mul_f64 v[144:145], v[75:76], v[140:141]
	v_mul_f64 v[140:141], v[77:78], v[140:141]
	s_waitcnt vmcnt(54)
	v_fma_f64 v[136:137], v[0:1], v[146:147], -v[136:137]
	v_fma_f64 v[132:133], v[2:3], v[146:147], v[132:133]
	v_add_f64 v[79:80], v[79:80], v[142:143]
	v_add_f64 v[81:82], v[81:82], v[128:129]
	s_clause 0x1
	buffer_load_dword v129, off, s[0:3], 0 offset:532
	buffer_load_dword v128, off, s[0:3], 0 offset:528
	ds_read_b128 v[0:3], v95 offset:848
	s_waitcnt vmcnt(55) lgkmcnt(1)
	v_mul_f64 v[146:147], v[73:74], v[153:154]
	v_mul_f64 v[142:143], v[71:72], v[153:154]
	s_waitcnt vmcnt(53)
	v_fma_f64 v[140:141], v[75:76], v[102:103], -v[140:141]
	v_fma_f64 v[102:103], v[77:78], v[102:103], v[144:145]
	ds_read_b128 v[75:78], v95 offset:864
	v_add_f64 v[79:80], v[79:80], v[136:137]
	v_add_f64 v[81:82], v[81:82], v[132:133]
	s_waitcnt vmcnt(49) lgkmcnt(1)
	v_mul_f64 v[132:133], v[0:1], v[91:92]
	v_mul_f64 v[91:92], v[2:3], v[91:92]
	s_waitcnt vmcnt(48)
	v_fma_f64 v[136:137], v[71:72], v[155:156], -v[146:147]
	v_add_f64 v[79:80], v[79:80], v[140:141]
	v_fma_f64 v[140:141], v[73:74], v[155:156], v[142:143]
	v_add_f64 v[81:82], v[81:82], v[102:103]
	s_clause 0x3
	buffer_load_dword v102, off, s[0:3], 0 offset:16
	buffer_load_dword v103, off, s[0:3], 0 offset:20
	;; [unrolled: 1-line block ×4, first 2 shown]
	ds_read_b128 v[71:74], v95 offset:880
	s_waitcnt vmcnt(51) lgkmcnt(1)
	v_mul_f64 v[144:145], v[75:76], v[104:105]
	v_mul_f64 v[104:105], v[77:78], v[104:105]
	s_waitcnt vmcnt(49)
	v_fma_f64 v[91:92], v[0:1], v[85:86], -v[91:92]
	v_fma_f64 v[85:86], v[2:3], v[85:86], v[132:133]
	ds_read_b128 v[0:3], v95 offset:896
	v_add_f64 v[79:80], v[79:80], v[136:137]
	v_add_f64 v[81:82], v[81:82], v[140:141]
	s_waitcnt vmcnt(45) lgkmcnt(1)
	v_mul_f64 v[132:133], v[71:72], v[98:99]
	v_mul_f64 v[98:99], v[73:74], v[98:99]
	s_waitcnt vmcnt(44)
	v_fma_f64 v[104:105], v[75:76], v[151:152], -v[104:105]
	v_add_f64 v[79:80], v[79:80], v[91:92]
	v_fma_f64 v[91:92], v[77:78], v[151:152], v[144:145]
	v_add_f64 v[81:82], v[81:82], v[85:86]
	ds_read_b128 v[75:78], v95 offset:912
	s_waitcnt vmcnt(43) lgkmcnt(1)
	v_mul_f64 v[85:86], v[0:1], v[106:107]
	v_mul_f64 v[106:107], v[2:3], v[106:107]
	s_waitcnt vmcnt(41)
	v_fma_f64 v[98:99], v[71:72], v[87:88], -v[98:99]
	v_fma_f64 v[87:88], v[73:74], v[87:88], v[132:133]
	ds_read_b128 v[71:74], v95 offset:928
	v_add_f64 v[79:80], v[79:80], v[104:105]
	v_add_f64 v[81:82], v[81:82], v[91:92]
	s_waitcnt vmcnt(37) lgkmcnt(1)
	v_mul_f64 v[91:92], v[75:76], v[83:84]
	v_mul_f64 v[83:84], v[77:78], v[83:84]
	s_waitcnt vmcnt(36)
	v_fma_f64 v[104:105], v[0:1], v[108:109], -v[106:107]
	v_fma_f64 v[85:86], v[2:3], v[108:109], v[85:86]
	ds_read_b128 v[0:3], v95 offset:944
	v_add_f64 v[79:80], v[79:80], v[98:99]
	v_add_f64 v[81:82], v[81:82], v[87:88]
	;; [unrolled: 9-line block ×3, first 2 shown]
	s_waitcnt vmcnt(29) lgkmcnt(1)
	v_mul_f64 v[85:86], v[0:1], v[89:90]
	v_mul_f64 v[89:90], v[2:3], v[89:90]
	s_waitcnt vmcnt(28)
	v_fma_f64 v[93:94], v[71:72], v[114:115], -v[98:99]
	v_add_f64 v[79:80], v[79:80], v[83:84]
	v_fma_f64 v[83:84], v[73:74], v[114:115], v[87:88]
	v_add_f64 v[81:82], v[81:82], v[91:92]
	ds_read_b128 v[71:74], v95 offset:976
	s_waitcnt vmcnt(27) lgkmcnt(1)
	v_mul_f64 v[91:92], v[77:78], v[118:119]
	v_mul_f64 v[87:88], v[75:76], v[118:119]
	s_waitcnt vmcnt(25)
	v_fma_f64 v[89:90], v[0:1], v[100:101], -v[89:90]
	v_fma_f64 v[85:86], v[2:3], v[100:101], v[85:86]
	ds_read_b128 v[0:3], v95 offset:992
	v_add_f64 v[79:80], v[79:80], v[93:94]
	v_add_f64 v[81:82], v[81:82], v[83:84]
	s_waitcnt vmcnt(21) lgkmcnt(1)
	v_mul_f64 v[93:94], v[73:74], v[96:97]
	s_waitcnt vmcnt(20)
	v_fma_f64 v[91:92], v[75:76], v[122:123], -v[91:92]
	v_mul_f64 v[83:84], v[71:72], v[96:97]
	v_fma_f64 v[87:88], v[77:78], v[122:123], v[87:88]
	ds_read_b128 v[75:78], v95 offset:1008
	v_add_f64 v[79:80], v[79:80], v[89:90]
	v_add_f64 v[81:82], v[81:82], v[85:86]
	s_waitcnt vmcnt(19) lgkmcnt(1)
	v_mul_f64 v[89:90], v[2:3], v[126:127]
	v_mul_f64 v[85:86], v[0:1], v[126:127]
	s_waitcnt vmcnt(17)
	v_fma_f64 v[93:94], v[71:72], v[110:111], -v[93:94]
	v_fma_f64 v[83:84], v[73:74], v[110:111], v[83:84]
	ds_read_b128 v[71:74], v95 offset:1024
	v_add_f64 v[79:80], v[79:80], v[91:92]
	v_add_f64 v[81:82], v[81:82], v[87:88]
	s_waitcnt vmcnt(13) lgkmcnt(1)
	v_mul_f64 v[91:92], v[77:78], v[116:117]
	s_waitcnt vmcnt(12)
	v_fma_f64 v[89:90], v[0:1], v[130:131], -v[89:90]
	v_mul_f64 v[87:88], v[75:76], v[116:117]
	v_fma_f64 v[85:86], v[2:3], v[130:131], v[85:86]
	ds_read_b128 v[0:3], v95 offset:1040
	v_add_f64 v[79:80], v[79:80], v[93:94]
	v_add_f64 v[81:82], v[81:82], v[83:84]
	s_waitcnt vmcnt(11) lgkmcnt(1)
	v_mul_f64 v[93:94], v[73:74], v[134:135]
	v_mul_f64 v[83:84], v[71:72], v[134:135]
	s_waitcnt vmcnt(9)
	v_fma_f64 v[75:76], v[75:76], v[120:121], -v[91:92]
	v_fma_f64 v[77:78], v[77:78], v[120:121], v[87:88]
	v_add_f64 v[79:80], v[79:80], v[89:90]
	v_add_f64 v[81:82], v[81:82], v[85:86]
	s_waitcnt vmcnt(7) lgkmcnt(0)
	v_mul_f64 v[87:88], v[2:3], v[124:125]
	s_waitcnt vmcnt(6)
	v_fma_f64 v[71:72], v[71:72], v[138:139], -v[93:94]
	v_mul_f64 v[85:86], v[0:1], v[124:125]
	v_fma_f64 v[73:74], v[73:74], v[138:139], v[83:84]
	v_add_f64 v[75:76], v[79:80], v[75:76]
	v_add_f64 v[77:78], v[81:82], v[77:78]
	s_waitcnt vmcnt(4)
	v_fma_f64 v[0:1], v[0:1], v[128:129], -v[87:88]
	v_fma_f64 v[2:3], v[2:3], v[128:129], v[85:86]
	v_add_f64 v[71:72], v[75:76], v[71:72]
	v_add_f64 v[73:74], v[77:78], v[73:74]
	;; [unrolled: 1-line block ×4, first 2 shown]
	s_waitcnt vmcnt(2)
	v_add_f64 v[0:1], v[102:103], -v[0:1]
	s_waitcnt vmcnt(0)
	v_add_f64 v[2:3], v[142:143], -v[2:3]
	buffer_store_dword v1, off, s[0:3], 0 offset:20
	buffer_store_dword v0, off, s[0:3], 0 offset:16
	;; [unrolled: 1-line block ×4, first 2 shown]
	s_cbranch_vccz .LBB32_276
; %bb.212:
	v_mov_b32_e32 v0, 0
	global_load_dword v1, v0, s[20:21] offset:124
	s_waitcnt vmcnt(0)
	v_add_nc_u32_e32 v1, -1, v1
	v_cmp_ne_u32_e32 vcc_lo, 31, v1
	s_cbranch_vccz .LBB32_214
; %bb.213:
	v_lshlrev_b32_e32 v1, 4, v1
	v_mov_b32_e32 v2, s9
	v_add_nc_u32_e32 v1, 16, v1
	s_clause 0x7
	buffer_load_dword v3, v1, s[0:3], 0 offen
	buffer_load_dword v4, v1, s[0:3], 0 offen offset:4
	buffer_load_dword v71, v1, s[0:3], 0 offen offset:8
	;; [unrolled: 1-line block ×6, first 2 shown]
	buffer_load_dword v76, v2, s[0:3], 0 offen
	s_waitcnt vmcnt(7)
	buffer_store_dword v3, v2, s[0:3], 0 offen
	s_waitcnt vmcnt(6)
	buffer_store_dword v4, v2, s[0:3], 0 offen offset:4
	s_waitcnt vmcnt(5)
	buffer_store_dword v71, v2, s[0:3], 0 offen offset:8
	;; [unrolled: 2-line block ×6, first 2 shown]
	s_waitcnt vmcnt(0)
	buffer_store_dword v76, v1, s[0:3], 0 offen
.LBB32_214:
	global_load_dword v0, v0, s[20:21] offset:120
	s_waitcnt vmcnt(0)
	v_add_nc_u32_e32 v0, -1, v0
	v_cmp_eq_u32_e32 vcc_lo, 30, v0
	s_cbranch_vccnz .LBB32_216
; %bb.215:
	v_lshlrev_b32_e32 v0, 4, v0
	v_mov_b32_e32 v1, s12
	v_add_nc_u32_e32 v0, 16, v0
	s_clause 0x7
	buffer_load_dword v2, v0, s[0:3], 0 offen
	buffer_load_dword v3, v0, s[0:3], 0 offen offset:4
	buffer_load_dword v4, v0, s[0:3], 0 offen offset:8
	;; [unrolled: 1-line block ×6, first 2 shown]
	buffer_load_dword v75, v1, s[0:3], 0 offen
	s_waitcnt vmcnt(7)
	buffer_store_dword v2, v1, s[0:3], 0 offen
	s_waitcnt vmcnt(6)
	buffer_store_dword v3, v1, s[0:3], 0 offen offset:4
	s_waitcnt vmcnt(5)
	buffer_store_dword v4, v1, s[0:3], 0 offen offset:8
	;; [unrolled: 2-line block ×6, first 2 shown]
	s_waitcnt vmcnt(0)
	buffer_store_dword v75, v0, s[0:3], 0 offen
.LBB32_216:
	v_mov_b32_e32 v0, 0
	global_load_dword v1, v0, s[20:21] offset:116
	s_waitcnt vmcnt(0)
	v_add_nc_u32_e32 v1, -1, v1
	v_cmp_eq_u32_e32 vcc_lo, 29, v1
	s_cbranch_vccnz .LBB32_218
; %bb.217:
	v_lshlrev_b32_e32 v1, 4, v1
	v_mov_b32_e32 v2, s13
	v_add_nc_u32_e32 v1, 16, v1
	s_clause 0x7
	buffer_load_dword v3, v1, s[0:3], 0 offen
	buffer_load_dword v4, v1, s[0:3], 0 offen offset:4
	buffer_load_dword v71, v1, s[0:3], 0 offen offset:8
	;; [unrolled: 1-line block ×6, first 2 shown]
	buffer_load_dword v76, v2, s[0:3], 0 offen
	s_waitcnt vmcnt(7)
	buffer_store_dword v3, v2, s[0:3], 0 offen
	s_waitcnt vmcnt(6)
	buffer_store_dword v4, v2, s[0:3], 0 offen offset:4
	s_waitcnt vmcnt(5)
	buffer_store_dword v71, v2, s[0:3], 0 offen offset:8
	;; [unrolled: 2-line block ×6, first 2 shown]
	s_waitcnt vmcnt(0)
	buffer_store_dword v76, v1, s[0:3], 0 offen
.LBB32_218:
	global_load_dword v0, v0, s[20:21] offset:112
	s_waitcnt vmcnt(0)
	v_add_nc_u32_e32 v0, -1, v0
	v_cmp_eq_u32_e32 vcc_lo, 28, v0
	s_cbranch_vccnz .LBB32_220
; %bb.219:
	v_lshlrev_b32_e32 v0, 4, v0
	v_mov_b32_e32 v1, s14
	v_add_nc_u32_e32 v0, 16, v0
	s_clause 0x7
	buffer_load_dword v2, v0, s[0:3], 0 offen
	buffer_load_dword v3, v0, s[0:3], 0 offen offset:4
	buffer_load_dword v4, v0, s[0:3], 0 offen offset:8
	;; [unrolled: 1-line block ×6, first 2 shown]
	buffer_load_dword v75, v1, s[0:3], 0 offen
	s_waitcnt vmcnt(7)
	buffer_store_dword v2, v1, s[0:3], 0 offen
	s_waitcnt vmcnt(6)
	buffer_store_dword v3, v1, s[0:3], 0 offen offset:4
	s_waitcnt vmcnt(5)
	buffer_store_dword v4, v1, s[0:3], 0 offen offset:8
	;; [unrolled: 2-line block ×6, first 2 shown]
	s_waitcnt vmcnt(0)
	buffer_store_dword v75, v0, s[0:3], 0 offen
.LBB32_220:
	v_mov_b32_e32 v0, 0
	global_load_dword v1, v0, s[20:21] offset:108
	s_waitcnt vmcnt(0)
	v_add_nc_u32_e32 v1, -1, v1
	v_cmp_eq_u32_e32 vcc_lo, 27, v1
	s_cbranch_vccnz .LBB32_222
; %bb.221:
	v_lshlrev_b32_e32 v1, 4, v1
	v_mov_b32_e32 v2, s15
	v_add_nc_u32_e32 v1, 16, v1
	s_clause 0x7
	buffer_load_dword v3, v1, s[0:3], 0 offen
	buffer_load_dword v4, v1, s[0:3], 0 offen offset:4
	buffer_load_dword v71, v1, s[0:3], 0 offen offset:8
	;; [unrolled: 1-line block ×6, first 2 shown]
	buffer_load_dword v76, v2, s[0:3], 0 offen
	s_waitcnt vmcnt(7)
	buffer_store_dword v3, v2, s[0:3], 0 offen
	s_waitcnt vmcnt(6)
	buffer_store_dword v4, v2, s[0:3], 0 offen offset:4
	s_waitcnt vmcnt(5)
	buffer_store_dword v71, v2, s[0:3], 0 offen offset:8
	;; [unrolled: 2-line block ×6, first 2 shown]
	s_waitcnt vmcnt(0)
	buffer_store_dword v76, v1, s[0:3], 0 offen
.LBB32_222:
	global_load_dword v0, v0, s[20:21] offset:104
	s_waitcnt vmcnt(0)
	v_add_nc_u32_e32 v0, -1, v0
	v_cmp_eq_u32_e32 vcc_lo, 26, v0
	s_cbranch_vccnz .LBB32_224
; %bb.223:
	v_lshlrev_b32_e32 v0, 4, v0
	v_mov_b32_e32 v1, s16
	v_add_nc_u32_e32 v0, 16, v0
	s_clause 0x7
	buffer_load_dword v2, v0, s[0:3], 0 offen
	buffer_load_dword v3, v0, s[0:3], 0 offen offset:4
	buffer_load_dword v4, v0, s[0:3], 0 offen offset:8
	;; [unrolled: 1-line block ×6, first 2 shown]
	buffer_load_dword v75, v1, s[0:3], 0 offen
	s_waitcnt vmcnt(7)
	buffer_store_dword v2, v1, s[0:3], 0 offen
	s_waitcnt vmcnt(6)
	buffer_store_dword v3, v1, s[0:3], 0 offen offset:4
	s_waitcnt vmcnt(5)
	buffer_store_dword v4, v1, s[0:3], 0 offen offset:8
	;; [unrolled: 2-line block ×6, first 2 shown]
	s_waitcnt vmcnt(0)
	buffer_store_dword v75, v0, s[0:3], 0 offen
.LBB32_224:
	v_mov_b32_e32 v0, 0
	global_load_dword v1, v0, s[20:21] offset:100
	s_waitcnt vmcnt(0)
	v_add_nc_u32_e32 v1, -1, v1
	v_cmp_eq_u32_e32 vcc_lo, 25, v1
	s_cbranch_vccnz .LBB32_226
; %bb.225:
	v_lshlrev_b32_e32 v1, 4, v1
	v_mov_b32_e32 v2, s17
	v_add_nc_u32_e32 v1, 16, v1
	s_clause 0x7
	buffer_load_dword v3, v1, s[0:3], 0 offen
	buffer_load_dword v4, v1, s[0:3], 0 offen offset:4
	buffer_load_dword v71, v1, s[0:3], 0 offen offset:8
	;; [unrolled: 1-line block ×6, first 2 shown]
	buffer_load_dword v76, v2, s[0:3], 0 offen
	s_waitcnt vmcnt(7)
	buffer_store_dword v3, v2, s[0:3], 0 offen
	s_waitcnt vmcnt(6)
	buffer_store_dword v4, v2, s[0:3], 0 offen offset:4
	s_waitcnt vmcnt(5)
	buffer_store_dword v71, v2, s[0:3], 0 offen offset:8
	;; [unrolled: 2-line block ×6, first 2 shown]
	s_waitcnt vmcnt(0)
	buffer_store_dword v76, v1, s[0:3], 0 offen
.LBB32_226:
	global_load_dword v0, v0, s[20:21] offset:96
	s_waitcnt vmcnt(0)
	v_add_nc_u32_e32 v0, -1, v0
	v_cmp_eq_u32_e32 vcc_lo, 24, v0
	s_cbranch_vccnz .LBB32_228
; %bb.227:
	v_lshlrev_b32_e32 v0, 4, v0
	v_mov_b32_e32 v1, s18
	v_add_nc_u32_e32 v0, 16, v0
	s_clause 0x7
	buffer_load_dword v2, v0, s[0:3], 0 offen
	buffer_load_dword v3, v0, s[0:3], 0 offen offset:4
	buffer_load_dword v4, v0, s[0:3], 0 offen offset:8
	;; [unrolled: 1-line block ×6, first 2 shown]
	buffer_load_dword v75, v1, s[0:3], 0 offen
	s_waitcnt vmcnt(7)
	buffer_store_dword v2, v1, s[0:3], 0 offen
	s_waitcnt vmcnt(6)
	buffer_store_dword v3, v1, s[0:3], 0 offen offset:4
	s_waitcnt vmcnt(5)
	buffer_store_dword v4, v1, s[0:3], 0 offen offset:8
	;; [unrolled: 2-line block ×6, first 2 shown]
	s_waitcnt vmcnt(0)
	buffer_store_dword v75, v0, s[0:3], 0 offen
.LBB32_228:
	v_mov_b32_e32 v0, 0
	global_load_dword v1, v0, s[20:21] offset:92
	s_waitcnt vmcnt(0)
	v_add_nc_u32_e32 v1, -1, v1
	v_cmp_eq_u32_e32 vcc_lo, 23, v1
	s_cbranch_vccnz .LBB32_230
; %bb.229:
	v_lshlrev_b32_e32 v1, 4, v1
	v_mov_b32_e32 v2, s19
	v_add_nc_u32_e32 v1, 16, v1
	s_clause 0x7
	buffer_load_dword v3, v1, s[0:3], 0 offen
	buffer_load_dword v4, v1, s[0:3], 0 offen offset:4
	buffer_load_dword v71, v1, s[0:3], 0 offen offset:8
	;; [unrolled: 1-line block ×6, first 2 shown]
	buffer_load_dword v76, v2, s[0:3], 0 offen
	s_waitcnt vmcnt(7)
	buffer_store_dword v3, v2, s[0:3], 0 offen
	s_waitcnt vmcnt(6)
	buffer_store_dword v4, v2, s[0:3], 0 offen offset:4
	s_waitcnt vmcnt(5)
	buffer_store_dword v71, v2, s[0:3], 0 offen offset:8
	;; [unrolled: 2-line block ×6, first 2 shown]
	s_waitcnt vmcnt(0)
	buffer_store_dword v76, v1, s[0:3], 0 offen
.LBB32_230:
	global_load_dword v0, v0, s[20:21] offset:88
	s_waitcnt vmcnt(0)
	v_add_nc_u32_e32 v0, -1, v0
	v_cmp_eq_u32_e32 vcc_lo, 22, v0
	s_cbranch_vccnz .LBB32_232
; %bb.231:
	v_lshlrev_b32_e32 v0, 4, v0
	v_mov_b32_e32 v1, s22
	v_add_nc_u32_e32 v0, 16, v0
	s_clause 0x7
	buffer_load_dword v2, v0, s[0:3], 0 offen
	buffer_load_dword v3, v0, s[0:3], 0 offen offset:4
	buffer_load_dword v4, v0, s[0:3], 0 offen offset:8
	;; [unrolled: 1-line block ×6, first 2 shown]
	buffer_load_dword v75, v1, s[0:3], 0 offen
	s_waitcnt vmcnt(7)
	buffer_store_dword v2, v1, s[0:3], 0 offen
	s_waitcnt vmcnt(6)
	buffer_store_dword v3, v1, s[0:3], 0 offen offset:4
	s_waitcnt vmcnt(5)
	buffer_store_dword v4, v1, s[0:3], 0 offen offset:8
	;; [unrolled: 2-line block ×6, first 2 shown]
	s_waitcnt vmcnt(0)
	buffer_store_dword v75, v0, s[0:3], 0 offen
.LBB32_232:
	v_mov_b32_e32 v0, 0
	global_load_dword v1, v0, s[20:21] offset:84
	s_waitcnt vmcnt(0)
	v_add_nc_u32_e32 v1, -1, v1
	v_cmp_eq_u32_e32 vcc_lo, 21, v1
	s_cbranch_vccnz .LBB32_234
; %bb.233:
	v_lshlrev_b32_e32 v1, 4, v1
	v_mov_b32_e32 v2, s23
	v_add_nc_u32_e32 v1, 16, v1
	s_clause 0x7
	buffer_load_dword v3, v1, s[0:3], 0 offen
	buffer_load_dword v4, v1, s[0:3], 0 offen offset:4
	buffer_load_dword v71, v1, s[0:3], 0 offen offset:8
	;; [unrolled: 1-line block ×6, first 2 shown]
	buffer_load_dword v76, v2, s[0:3], 0 offen
	s_waitcnt vmcnt(7)
	buffer_store_dword v3, v2, s[0:3], 0 offen
	s_waitcnt vmcnt(6)
	buffer_store_dword v4, v2, s[0:3], 0 offen offset:4
	s_waitcnt vmcnt(5)
	buffer_store_dword v71, v2, s[0:3], 0 offen offset:8
	s_waitcnt vmcnt(4)
	buffer_store_dword v72, v2, s[0:3], 0 offen offset:12
	s_waitcnt vmcnt(3)
	buffer_store_dword v73, v1, s[0:3], 0 offen offset:12
	s_waitcnt vmcnt(2)
	buffer_store_dword v74, v1, s[0:3], 0 offen offset:8
	s_waitcnt vmcnt(1)
	buffer_store_dword v75, v1, s[0:3], 0 offen offset:4
	s_waitcnt vmcnt(0)
	buffer_store_dword v76, v1, s[0:3], 0 offen
.LBB32_234:
	global_load_dword v0, v0, s[20:21] offset:80
	s_waitcnt vmcnt(0)
	v_add_nc_u32_e32 v0, -1, v0
	v_cmp_eq_u32_e32 vcc_lo, 20, v0
	s_cbranch_vccnz .LBB32_236
; %bb.235:
	v_lshlrev_b32_e32 v0, 4, v0
	v_mov_b32_e32 v1, s24
	v_add_nc_u32_e32 v0, 16, v0
	s_clause 0x7
	buffer_load_dword v2, v0, s[0:3], 0 offen
	buffer_load_dword v3, v0, s[0:3], 0 offen offset:4
	buffer_load_dword v4, v0, s[0:3], 0 offen offset:8
	;; [unrolled: 1-line block ×6, first 2 shown]
	buffer_load_dword v75, v1, s[0:3], 0 offen
	s_waitcnt vmcnt(7)
	buffer_store_dword v2, v1, s[0:3], 0 offen
	s_waitcnt vmcnt(6)
	buffer_store_dword v3, v1, s[0:3], 0 offen offset:4
	s_waitcnt vmcnt(5)
	buffer_store_dword v4, v1, s[0:3], 0 offen offset:8
	;; [unrolled: 2-line block ×6, first 2 shown]
	s_waitcnt vmcnt(0)
	buffer_store_dword v75, v0, s[0:3], 0 offen
.LBB32_236:
	v_mov_b32_e32 v0, 0
	global_load_dword v1, v0, s[20:21] offset:76
	s_waitcnt vmcnt(0)
	v_add_nc_u32_e32 v1, -1, v1
	v_cmp_eq_u32_e32 vcc_lo, 19, v1
	s_cbranch_vccnz .LBB32_238
; %bb.237:
	v_lshlrev_b32_e32 v1, 4, v1
	v_mov_b32_e32 v2, s25
	v_add_nc_u32_e32 v1, 16, v1
	s_clause 0x7
	buffer_load_dword v3, v1, s[0:3], 0 offen
	buffer_load_dword v4, v1, s[0:3], 0 offen offset:4
	buffer_load_dword v71, v1, s[0:3], 0 offen offset:8
	;; [unrolled: 1-line block ×6, first 2 shown]
	buffer_load_dword v76, v2, s[0:3], 0 offen
	s_waitcnt vmcnt(7)
	buffer_store_dword v3, v2, s[0:3], 0 offen
	s_waitcnt vmcnt(6)
	buffer_store_dword v4, v2, s[0:3], 0 offen offset:4
	s_waitcnt vmcnt(5)
	buffer_store_dword v71, v2, s[0:3], 0 offen offset:8
	;; [unrolled: 2-line block ×6, first 2 shown]
	s_waitcnt vmcnt(0)
	buffer_store_dword v76, v1, s[0:3], 0 offen
.LBB32_238:
	global_load_dword v0, v0, s[20:21] offset:72
	s_waitcnt vmcnt(0)
	v_add_nc_u32_e32 v0, -1, v0
	v_cmp_eq_u32_e32 vcc_lo, 18, v0
	s_cbranch_vccnz .LBB32_240
; %bb.239:
	v_lshlrev_b32_e32 v0, 4, v0
	v_mov_b32_e32 v1, s26
	v_add_nc_u32_e32 v0, 16, v0
	s_clause 0x7
	buffer_load_dword v2, v0, s[0:3], 0 offen
	buffer_load_dword v3, v0, s[0:3], 0 offen offset:4
	buffer_load_dword v4, v0, s[0:3], 0 offen offset:8
	;; [unrolled: 1-line block ×6, first 2 shown]
	buffer_load_dword v75, v1, s[0:3], 0 offen
	s_waitcnt vmcnt(7)
	buffer_store_dword v2, v1, s[0:3], 0 offen
	s_waitcnt vmcnt(6)
	buffer_store_dword v3, v1, s[0:3], 0 offen offset:4
	s_waitcnt vmcnt(5)
	buffer_store_dword v4, v1, s[0:3], 0 offen offset:8
	s_waitcnt vmcnt(4)
	buffer_store_dword v71, v1, s[0:3], 0 offen offset:12
	s_waitcnt vmcnt(3)
	buffer_store_dword v72, v0, s[0:3], 0 offen offset:12
	s_waitcnt vmcnt(2)
	buffer_store_dword v73, v0, s[0:3], 0 offen offset:8
	s_waitcnt vmcnt(1)
	buffer_store_dword v74, v0, s[0:3], 0 offen offset:4
	s_waitcnt vmcnt(0)
	buffer_store_dword v75, v0, s[0:3], 0 offen
.LBB32_240:
	v_mov_b32_e32 v0, 0
	global_load_dword v1, v0, s[20:21] offset:68
	s_waitcnt vmcnt(0)
	v_add_nc_u32_e32 v1, -1, v1
	v_cmp_eq_u32_e32 vcc_lo, 17, v1
	s_cbranch_vccnz .LBB32_242
; %bb.241:
	v_lshlrev_b32_e32 v1, 4, v1
	v_mov_b32_e32 v2, s27
	v_add_nc_u32_e32 v1, 16, v1
	s_clause 0x7
	buffer_load_dword v3, v1, s[0:3], 0 offen
	buffer_load_dword v4, v1, s[0:3], 0 offen offset:4
	buffer_load_dword v71, v1, s[0:3], 0 offen offset:8
	;; [unrolled: 1-line block ×6, first 2 shown]
	buffer_load_dword v76, v2, s[0:3], 0 offen
	s_waitcnt vmcnt(7)
	buffer_store_dword v3, v2, s[0:3], 0 offen
	s_waitcnt vmcnt(6)
	buffer_store_dword v4, v2, s[0:3], 0 offen offset:4
	s_waitcnt vmcnt(5)
	buffer_store_dword v71, v2, s[0:3], 0 offen offset:8
	;; [unrolled: 2-line block ×6, first 2 shown]
	s_waitcnt vmcnt(0)
	buffer_store_dword v76, v1, s[0:3], 0 offen
.LBB32_242:
	global_load_dword v0, v0, s[20:21] offset:64
	s_waitcnt vmcnt(0)
	v_add_nc_u32_e32 v0, -1, v0
	v_cmp_eq_u32_e32 vcc_lo, 16, v0
	s_cbranch_vccnz .LBB32_244
; %bb.243:
	v_lshlrev_b32_e32 v0, 4, v0
	v_mov_b32_e32 v1, s28
	v_add_nc_u32_e32 v0, 16, v0
	s_clause 0x7
	buffer_load_dword v2, v0, s[0:3], 0 offen
	buffer_load_dword v3, v0, s[0:3], 0 offen offset:4
	buffer_load_dword v4, v0, s[0:3], 0 offen offset:8
	;; [unrolled: 1-line block ×6, first 2 shown]
	buffer_load_dword v75, v1, s[0:3], 0 offen
	s_waitcnt vmcnt(7)
	buffer_store_dword v2, v1, s[0:3], 0 offen
	s_waitcnt vmcnt(6)
	buffer_store_dword v3, v1, s[0:3], 0 offen offset:4
	s_waitcnt vmcnt(5)
	buffer_store_dword v4, v1, s[0:3], 0 offen offset:8
	;; [unrolled: 2-line block ×6, first 2 shown]
	s_waitcnt vmcnt(0)
	buffer_store_dword v75, v0, s[0:3], 0 offen
.LBB32_244:
	v_mov_b32_e32 v0, 0
	global_load_dword v1, v0, s[20:21] offset:60
	s_waitcnt vmcnt(0)
	v_add_nc_u32_e32 v1, -1, v1
	v_cmp_eq_u32_e32 vcc_lo, 15, v1
	s_cbranch_vccnz .LBB32_246
; %bb.245:
	v_lshlrev_b32_e32 v1, 4, v1
	v_mov_b32_e32 v2, s29
	v_add_nc_u32_e32 v1, 16, v1
	s_clause 0x7
	buffer_load_dword v3, v1, s[0:3], 0 offen
	buffer_load_dword v4, v1, s[0:3], 0 offen offset:4
	buffer_load_dword v71, v1, s[0:3], 0 offen offset:8
	;; [unrolled: 1-line block ×6, first 2 shown]
	buffer_load_dword v76, v2, s[0:3], 0 offen
	s_waitcnt vmcnt(7)
	buffer_store_dword v3, v2, s[0:3], 0 offen
	s_waitcnt vmcnt(6)
	buffer_store_dword v4, v2, s[0:3], 0 offen offset:4
	s_waitcnt vmcnt(5)
	buffer_store_dword v71, v2, s[0:3], 0 offen offset:8
	s_waitcnt vmcnt(4)
	buffer_store_dword v72, v2, s[0:3], 0 offen offset:12
	s_waitcnt vmcnt(3)
	buffer_store_dword v73, v1, s[0:3], 0 offen offset:12
	s_waitcnt vmcnt(2)
	buffer_store_dword v74, v1, s[0:3], 0 offen offset:8
	s_waitcnt vmcnt(1)
	buffer_store_dword v75, v1, s[0:3], 0 offen offset:4
	s_waitcnt vmcnt(0)
	buffer_store_dword v76, v1, s[0:3], 0 offen
.LBB32_246:
	global_load_dword v0, v0, s[20:21] offset:56
	s_waitcnt vmcnt(0)
	v_add_nc_u32_e32 v0, -1, v0
	v_cmp_eq_u32_e32 vcc_lo, 14, v0
	s_cbranch_vccnz .LBB32_248
; %bb.247:
	v_lshlrev_b32_e32 v0, 4, v0
	v_mov_b32_e32 v1, s30
	v_add_nc_u32_e32 v0, 16, v0
	s_clause 0x7
	buffer_load_dword v2, v0, s[0:3], 0 offen
	buffer_load_dword v3, v0, s[0:3], 0 offen offset:4
	buffer_load_dword v4, v0, s[0:3], 0 offen offset:8
	;; [unrolled: 1-line block ×6, first 2 shown]
	buffer_load_dword v75, v1, s[0:3], 0 offen
	s_waitcnt vmcnt(7)
	buffer_store_dword v2, v1, s[0:3], 0 offen
	s_waitcnt vmcnt(6)
	buffer_store_dword v3, v1, s[0:3], 0 offen offset:4
	s_waitcnt vmcnt(5)
	buffer_store_dword v4, v1, s[0:3], 0 offen offset:8
	;; [unrolled: 2-line block ×6, first 2 shown]
	s_waitcnt vmcnt(0)
	buffer_store_dword v75, v0, s[0:3], 0 offen
.LBB32_248:
	v_mov_b32_e32 v0, 0
	global_load_dword v1, v0, s[20:21] offset:52
	s_waitcnt vmcnt(0)
	v_add_nc_u32_e32 v1, -1, v1
	v_cmp_eq_u32_e32 vcc_lo, 13, v1
	s_cbranch_vccnz .LBB32_250
; %bb.249:
	v_lshlrev_b32_e32 v1, 4, v1
	v_mov_b32_e32 v2, s31
	v_add_nc_u32_e32 v1, 16, v1
	s_clause 0x7
	buffer_load_dword v3, v1, s[0:3], 0 offen
	buffer_load_dword v4, v1, s[0:3], 0 offen offset:4
	buffer_load_dword v71, v1, s[0:3], 0 offen offset:8
	;; [unrolled: 1-line block ×6, first 2 shown]
	buffer_load_dword v76, v2, s[0:3], 0 offen
	s_waitcnt vmcnt(7)
	buffer_store_dword v3, v2, s[0:3], 0 offen
	s_waitcnt vmcnt(6)
	buffer_store_dword v4, v2, s[0:3], 0 offen offset:4
	s_waitcnt vmcnt(5)
	buffer_store_dword v71, v2, s[0:3], 0 offen offset:8
	;; [unrolled: 2-line block ×6, first 2 shown]
	s_waitcnt vmcnt(0)
	buffer_store_dword v76, v1, s[0:3], 0 offen
.LBB32_250:
	global_load_dword v0, v0, s[20:21] offset:48
	s_waitcnt vmcnt(0)
	v_add_nc_u32_e32 v0, -1, v0
	v_cmp_eq_u32_e32 vcc_lo, 12, v0
	s_cbranch_vccnz .LBB32_252
; %bb.251:
	v_lshlrev_b32_e32 v0, 4, v0
	v_mov_b32_e32 v1, s33
	v_add_nc_u32_e32 v0, 16, v0
	s_clause 0x7
	buffer_load_dword v2, v0, s[0:3], 0 offen
	buffer_load_dword v3, v0, s[0:3], 0 offen offset:4
	buffer_load_dword v4, v0, s[0:3], 0 offen offset:8
	;; [unrolled: 1-line block ×6, first 2 shown]
	buffer_load_dword v75, v1, s[0:3], 0 offen
	s_waitcnt vmcnt(7)
	buffer_store_dword v2, v1, s[0:3], 0 offen
	s_waitcnt vmcnt(6)
	buffer_store_dword v3, v1, s[0:3], 0 offen offset:4
	s_waitcnt vmcnt(5)
	buffer_store_dword v4, v1, s[0:3], 0 offen offset:8
	s_waitcnt vmcnt(4)
	buffer_store_dword v71, v1, s[0:3], 0 offen offset:12
	s_waitcnt vmcnt(3)
	buffer_store_dword v72, v0, s[0:3], 0 offen offset:12
	s_waitcnt vmcnt(2)
	buffer_store_dword v73, v0, s[0:3], 0 offen offset:8
	s_waitcnt vmcnt(1)
	buffer_store_dword v74, v0, s[0:3], 0 offen offset:4
	s_waitcnt vmcnt(0)
	buffer_store_dword v75, v0, s[0:3], 0 offen
.LBB32_252:
	v_mov_b32_e32 v0, 0
	global_load_dword v1, v0, s[20:21] offset:44
	s_waitcnt vmcnt(0)
	v_add_nc_u32_e32 v1, -1, v1
	v_cmp_eq_u32_e32 vcc_lo, 11, v1
	s_cbranch_vccnz .LBB32_254
; %bb.253:
	v_lshlrev_b32_e32 v1, 4, v1
	v_mov_b32_e32 v2, s34
	v_add_nc_u32_e32 v1, 16, v1
	s_clause 0x7
	buffer_load_dword v3, v1, s[0:3], 0 offen
	buffer_load_dword v4, v1, s[0:3], 0 offen offset:4
	buffer_load_dword v71, v1, s[0:3], 0 offen offset:8
	;; [unrolled: 1-line block ×6, first 2 shown]
	buffer_load_dword v76, v2, s[0:3], 0 offen
	s_waitcnt vmcnt(7)
	buffer_store_dword v3, v2, s[0:3], 0 offen
	s_waitcnt vmcnt(6)
	buffer_store_dword v4, v2, s[0:3], 0 offen offset:4
	s_waitcnt vmcnt(5)
	buffer_store_dword v71, v2, s[0:3], 0 offen offset:8
	s_waitcnt vmcnt(4)
	buffer_store_dword v72, v2, s[0:3], 0 offen offset:12
	s_waitcnt vmcnt(3)
	buffer_store_dword v73, v1, s[0:3], 0 offen offset:12
	s_waitcnt vmcnt(2)
	buffer_store_dword v74, v1, s[0:3], 0 offen offset:8
	s_waitcnt vmcnt(1)
	buffer_store_dword v75, v1, s[0:3], 0 offen offset:4
	s_waitcnt vmcnt(0)
	buffer_store_dword v76, v1, s[0:3], 0 offen
.LBB32_254:
	global_load_dword v0, v0, s[20:21] offset:40
	s_waitcnt vmcnt(0)
	v_add_nc_u32_e32 v0, -1, v0
	v_cmp_eq_u32_e32 vcc_lo, 10, v0
	s_cbranch_vccnz .LBB32_256
; %bb.255:
	v_lshlrev_b32_e32 v0, 4, v0
	v_mov_b32_e32 v1, s35
	v_add_nc_u32_e32 v0, 16, v0
	s_clause 0x7
	buffer_load_dword v2, v0, s[0:3], 0 offen
	buffer_load_dword v3, v0, s[0:3], 0 offen offset:4
	buffer_load_dword v4, v0, s[0:3], 0 offen offset:8
	;; [unrolled: 1-line block ×6, first 2 shown]
	buffer_load_dword v75, v1, s[0:3], 0 offen
	s_waitcnt vmcnt(7)
	buffer_store_dword v2, v1, s[0:3], 0 offen
	s_waitcnt vmcnt(6)
	buffer_store_dword v3, v1, s[0:3], 0 offen offset:4
	s_waitcnt vmcnt(5)
	buffer_store_dword v4, v1, s[0:3], 0 offen offset:8
	;; [unrolled: 2-line block ×6, first 2 shown]
	s_waitcnt vmcnt(0)
	buffer_store_dword v75, v0, s[0:3], 0 offen
.LBB32_256:
	v_mov_b32_e32 v0, 0
	global_load_dword v1, v0, s[20:21] offset:36
	s_waitcnt vmcnt(0)
	v_add_nc_u32_e32 v1, -1, v1
	v_cmp_eq_u32_e32 vcc_lo, 9, v1
	s_cbranch_vccnz .LBB32_258
; %bb.257:
	v_lshlrev_b32_e32 v1, 4, v1
	v_mov_b32_e32 v2, s36
	v_add_nc_u32_e32 v1, 16, v1
	s_clause 0x7
	buffer_load_dword v3, v1, s[0:3], 0 offen
	buffer_load_dword v4, v1, s[0:3], 0 offen offset:4
	buffer_load_dword v71, v1, s[0:3], 0 offen offset:8
	;; [unrolled: 1-line block ×6, first 2 shown]
	buffer_load_dword v76, v2, s[0:3], 0 offen
	s_waitcnt vmcnt(7)
	buffer_store_dword v3, v2, s[0:3], 0 offen
	s_waitcnt vmcnt(6)
	buffer_store_dword v4, v2, s[0:3], 0 offen offset:4
	s_waitcnt vmcnt(5)
	buffer_store_dword v71, v2, s[0:3], 0 offen offset:8
	;; [unrolled: 2-line block ×6, first 2 shown]
	s_waitcnt vmcnt(0)
	buffer_store_dword v76, v1, s[0:3], 0 offen
.LBB32_258:
	global_load_dword v0, v0, s[20:21] offset:32
	s_waitcnt vmcnt(0)
	v_add_nc_u32_e32 v0, -1, v0
	v_cmp_eq_u32_e32 vcc_lo, 8, v0
	s_cbranch_vccnz .LBB32_260
; %bb.259:
	v_lshlrev_b32_e32 v0, 4, v0
	v_mov_b32_e32 v1, s37
	v_add_nc_u32_e32 v0, 16, v0
	s_clause 0x7
	buffer_load_dword v2, v0, s[0:3], 0 offen
	buffer_load_dword v3, v0, s[0:3], 0 offen offset:4
	buffer_load_dword v4, v0, s[0:3], 0 offen offset:8
	;; [unrolled: 1-line block ×6, first 2 shown]
	buffer_load_dword v75, v1, s[0:3], 0 offen
	s_waitcnt vmcnt(7)
	buffer_store_dword v2, v1, s[0:3], 0 offen
	s_waitcnt vmcnt(6)
	buffer_store_dword v3, v1, s[0:3], 0 offen offset:4
	s_waitcnt vmcnt(5)
	buffer_store_dword v4, v1, s[0:3], 0 offen offset:8
	;; [unrolled: 2-line block ×6, first 2 shown]
	s_waitcnt vmcnt(0)
	buffer_store_dword v75, v0, s[0:3], 0 offen
.LBB32_260:
	v_mov_b32_e32 v0, 0
	global_load_dword v1, v0, s[20:21] offset:28
	s_waitcnt vmcnt(0)
	v_add_nc_u32_e32 v1, -1, v1
	v_cmp_eq_u32_e32 vcc_lo, 7, v1
	s_cbranch_vccnz .LBB32_262
; %bb.261:
	v_lshlrev_b32_e32 v1, 4, v1
	v_mov_b32_e32 v2, s38
	v_add_nc_u32_e32 v1, 16, v1
	s_clause 0x7
	buffer_load_dword v3, v1, s[0:3], 0 offen
	buffer_load_dword v4, v1, s[0:3], 0 offen offset:4
	buffer_load_dword v71, v1, s[0:3], 0 offen offset:8
	;; [unrolled: 1-line block ×6, first 2 shown]
	buffer_load_dword v76, v2, s[0:3], 0 offen
	s_waitcnt vmcnt(7)
	buffer_store_dword v3, v2, s[0:3], 0 offen
	s_waitcnt vmcnt(6)
	buffer_store_dword v4, v2, s[0:3], 0 offen offset:4
	s_waitcnt vmcnt(5)
	buffer_store_dword v71, v2, s[0:3], 0 offen offset:8
	;; [unrolled: 2-line block ×6, first 2 shown]
	s_waitcnt vmcnt(0)
	buffer_store_dword v76, v1, s[0:3], 0 offen
.LBB32_262:
	global_load_dword v0, v0, s[20:21] offset:24
	s_waitcnt vmcnt(0)
	v_add_nc_u32_e32 v0, -1, v0
	v_cmp_eq_u32_e32 vcc_lo, 6, v0
	s_cbranch_vccnz .LBB32_264
; %bb.263:
	v_lshlrev_b32_e32 v0, 4, v0
	v_mov_b32_e32 v1, s39
	v_add_nc_u32_e32 v0, 16, v0
	s_clause 0x7
	buffer_load_dword v2, v0, s[0:3], 0 offen
	buffer_load_dword v3, v0, s[0:3], 0 offen offset:4
	buffer_load_dword v4, v0, s[0:3], 0 offen offset:8
	buffer_load_dword v71, v0, s[0:3], 0 offen offset:12
	buffer_load_dword v72, v1, s[0:3], 0 offen offset:12
	buffer_load_dword v73, v1, s[0:3], 0 offen offset:8
	buffer_load_dword v74, v1, s[0:3], 0 offen offset:4
	buffer_load_dword v75, v1, s[0:3], 0 offen
	s_waitcnt vmcnt(7)
	buffer_store_dword v2, v1, s[0:3], 0 offen
	s_waitcnt vmcnt(6)
	buffer_store_dword v3, v1, s[0:3], 0 offen offset:4
	s_waitcnt vmcnt(5)
	buffer_store_dword v4, v1, s[0:3], 0 offen offset:8
	;; [unrolled: 2-line block ×6, first 2 shown]
	s_waitcnt vmcnt(0)
	buffer_store_dword v75, v0, s[0:3], 0 offen
.LBB32_264:
	v_mov_b32_e32 v0, 0
	global_load_dword v1, v0, s[20:21] offset:20
	s_waitcnt vmcnt(0)
	v_add_nc_u32_e32 v1, -1, v1
	v_cmp_eq_u32_e32 vcc_lo, 5, v1
	s_cbranch_vccnz .LBB32_266
; %bb.265:
	v_lshlrev_b32_e32 v1, 4, v1
	v_mov_b32_e32 v2, s40
	v_add_nc_u32_e32 v1, 16, v1
	s_clause 0x7
	buffer_load_dword v3, v1, s[0:3], 0 offen
	buffer_load_dword v4, v1, s[0:3], 0 offen offset:4
	buffer_load_dword v71, v1, s[0:3], 0 offen offset:8
	;; [unrolled: 1-line block ×6, first 2 shown]
	buffer_load_dword v76, v2, s[0:3], 0 offen
	s_waitcnt vmcnt(7)
	buffer_store_dword v3, v2, s[0:3], 0 offen
	s_waitcnt vmcnt(6)
	buffer_store_dword v4, v2, s[0:3], 0 offen offset:4
	s_waitcnt vmcnt(5)
	buffer_store_dword v71, v2, s[0:3], 0 offen offset:8
	;; [unrolled: 2-line block ×6, first 2 shown]
	s_waitcnt vmcnt(0)
	buffer_store_dword v76, v1, s[0:3], 0 offen
.LBB32_266:
	global_load_dword v0, v0, s[20:21] offset:16
	s_waitcnt vmcnt(0)
	v_add_nc_u32_e32 v0, -1, v0
	v_cmp_eq_u32_e32 vcc_lo, 4, v0
	s_cbranch_vccnz .LBB32_268
; %bb.267:
	v_lshlrev_b32_e32 v0, 4, v0
	v_mov_b32_e32 v1, s41
	v_add_nc_u32_e32 v0, 16, v0
	s_clause 0x7
	buffer_load_dword v2, v0, s[0:3], 0 offen
	buffer_load_dword v3, v0, s[0:3], 0 offen offset:4
	buffer_load_dword v4, v0, s[0:3], 0 offen offset:8
	;; [unrolled: 1-line block ×6, first 2 shown]
	buffer_load_dword v75, v1, s[0:3], 0 offen
	s_waitcnt vmcnt(7)
	buffer_store_dword v2, v1, s[0:3], 0 offen
	s_waitcnt vmcnt(6)
	buffer_store_dword v3, v1, s[0:3], 0 offen offset:4
	s_waitcnt vmcnt(5)
	buffer_store_dword v4, v1, s[0:3], 0 offen offset:8
	s_waitcnt vmcnt(4)
	buffer_store_dword v71, v1, s[0:3], 0 offen offset:12
	s_waitcnt vmcnt(3)
	buffer_store_dword v72, v0, s[0:3], 0 offen offset:12
	s_waitcnt vmcnt(2)
	buffer_store_dword v73, v0, s[0:3], 0 offen offset:8
	s_waitcnt vmcnt(1)
	buffer_store_dword v74, v0, s[0:3], 0 offen offset:4
	s_waitcnt vmcnt(0)
	buffer_store_dword v75, v0, s[0:3], 0 offen
.LBB32_268:
	v_mov_b32_e32 v0, 0
	global_load_dword v1, v0, s[20:21] offset:12
	s_waitcnt vmcnt(0)
	v_add_nc_u32_e32 v1, -1, v1
	v_cmp_eq_u32_e32 vcc_lo, 3, v1
	s_cbranch_vccnz .LBB32_270
; %bb.269:
	v_lshlrev_b32_e32 v1, 4, v1
	v_mov_b32_e32 v2, s42
	v_add_nc_u32_e32 v1, 16, v1
	s_clause 0x7
	buffer_load_dword v3, v1, s[0:3], 0 offen
	buffer_load_dword v4, v1, s[0:3], 0 offen offset:4
	buffer_load_dword v71, v1, s[0:3], 0 offen offset:8
	;; [unrolled: 1-line block ×6, first 2 shown]
	buffer_load_dword v76, v2, s[0:3], 0 offen
	s_waitcnt vmcnt(7)
	buffer_store_dword v3, v2, s[0:3], 0 offen
	s_waitcnt vmcnt(6)
	buffer_store_dword v4, v2, s[0:3], 0 offen offset:4
	s_waitcnt vmcnt(5)
	buffer_store_dword v71, v2, s[0:3], 0 offen offset:8
	;; [unrolled: 2-line block ×6, first 2 shown]
	s_waitcnt vmcnt(0)
	buffer_store_dword v76, v1, s[0:3], 0 offen
.LBB32_270:
	global_load_dword v0, v0, s[20:21] offset:8
	s_waitcnt vmcnt(0)
	v_add_nc_u32_e32 v0, -1, v0
	v_cmp_eq_u32_e32 vcc_lo, 2, v0
	s_cbranch_vccnz .LBB32_272
; %bb.271:
	v_lshlrev_b32_e32 v0, 4, v0
	v_mov_b32_e32 v1, s44
	v_add_nc_u32_e32 v0, 16, v0
	s_clause 0x7
	buffer_load_dword v2, v0, s[0:3], 0 offen
	buffer_load_dword v3, v0, s[0:3], 0 offen offset:4
	buffer_load_dword v4, v0, s[0:3], 0 offen offset:8
	;; [unrolled: 1-line block ×6, first 2 shown]
	buffer_load_dword v75, v1, s[0:3], 0 offen
	s_waitcnt vmcnt(7)
	buffer_store_dword v2, v1, s[0:3], 0 offen
	s_waitcnt vmcnt(6)
	buffer_store_dword v3, v1, s[0:3], 0 offen offset:4
	s_waitcnt vmcnt(5)
	buffer_store_dword v4, v1, s[0:3], 0 offen offset:8
	;; [unrolled: 2-line block ×6, first 2 shown]
	s_waitcnt vmcnt(0)
	buffer_store_dword v75, v0, s[0:3], 0 offen
.LBB32_272:
	v_mov_b32_e32 v0, 0
	global_load_dword v1, v0, s[20:21] offset:4
	s_waitcnt vmcnt(0)
	v_add_nc_u32_e32 v1, -1, v1
	v_cmp_eq_u32_e32 vcc_lo, 1, v1
	s_cbranch_vccnz .LBB32_274
; %bb.273:
	v_lshlrev_b32_e32 v1, 4, v1
	v_mov_b32_e32 v2, s45
	v_add_nc_u32_e32 v1, 16, v1
	s_clause 0x7
	buffer_load_dword v3, v1, s[0:3], 0 offen
	buffer_load_dword v4, v1, s[0:3], 0 offen offset:4
	buffer_load_dword v71, v1, s[0:3], 0 offen offset:8
	;; [unrolled: 1-line block ×6, first 2 shown]
	buffer_load_dword v76, v2, s[0:3], 0 offen
	s_waitcnt vmcnt(7)
	buffer_store_dword v3, v2, s[0:3], 0 offen
	s_waitcnt vmcnt(6)
	buffer_store_dword v4, v2, s[0:3], 0 offen offset:4
	s_waitcnt vmcnt(5)
	buffer_store_dword v71, v2, s[0:3], 0 offen offset:8
	;; [unrolled: 2-line block ×6, first 2 shown]
	s_waitcnt vmcnt(0)
	buffer_store_dword v76, v1, s[0:3], 0 offen
.LBB32_274:
	global_load_dword v0, v0, s[20:21]
	s_waitcnt vmcnt(0)
	v_add_nc_u32_e32 v0, -1, v0
	v_cmp_eq_u32_e32 vcc_lo, 0, v0
	s_cbranch_vccnz .LBB32_276
; %bb.275:
	v_lshlrev_b32_e32 v0, 4, v0
	v_add_nc_u32_e32 v0, 16, v0
	s_clause 0x7
	buffer_load_dword v1, v0, s[0:3], 0 offen
	buffer_load_dword v2, v0, s[0:3], 0 offen offset:4
	buffer_load_dword v3, v0, s[0:3], 0 offen offset:8
	;; [unrolled: 1-line block ×3, first 2 shown]
	buffer_load_dword v71, off, s[0:3], 0 offset:28
	buffer_load_dword v72, off, s[0:3], 0 offset:24
	;; [unrolled: 1-line block ×4, first 2 shown]
	s_waitcnt vmcnt(7)
	buffer_store_dword v1, off, s[0:3], 0 offset:16
	s_waitcnt vmcnt(6)
	buffer_store_dword v2, off, s[0:3], 0 offset:20
	;; [unrolled: 2-line block ×4, first 2 shown]
	s_waitcnt vmcnt(3)
	buffer_store_dword v71, v0, s[0:3], 0 offen offset:12
	s_waitcnt vmcnt(2)
	buffer_store_dword v72, v0, s[0:3], 0 offen offset:8
	s_waitcnt vmcnt(1)
	buffer_store_dword v73, v0, s[0:3], 0 offen offset:4
	s_waitcnt vmcnt(0)
	buffer_store_dword v74, v0, s[0:3], 0 offen
.LBB32_276:
	v_mov_b32_e32 v4, s45
	s_clause 0x3
	buffer_load_dword v0, off, s[0:3], 0 offset:16
	buffer_load_dword v1, off, s[0:3], 0 offset:20
	;; [unrolled: 1-line block ×4, first 2 shown]
	v_mov_b32_e32 v139, s26
	v_mov_b32_e32 v143, s24
	;; [unrolled: 1-line block ×3, first 2 shown]
	s_clause 0x3
	buffer_load_dword v71, v4, s[0:3], 0 offen
	buffer_load_dword v72, v4, s[0:3], 0 offen offset:4
	buffer_load_dword v73, v4, s[0:3], 0 offen offset:8
	;; [unrolled: 1-line block ×3, first 2 shown]
	v_mov_b32_e32 v4, s44
	v_mov_b32_e32 v102, s37
	;; [unrolled: 1-line block ×4, first 2 shown]
	s_clause 0x3
	buffer_load_dword v75, v4, s[0:3], 0 offen
	buffer_load_dword v76, v4, s[0:3], 0 offen offset:4
	buffer_load_dword v77, v4, s[0:3], 0 offen offset:8
	;; [unrolled: 1-line block ×3, first 2 shown]
	v_mov_b32_e32 v4, s42
	v_mov_b32_e32 v114, s34
	;; [unrolled: 1-line block ×3, first 2 shown]
	s_clause 0x3
	buffer_load_dword v79, v4, s[0:3], 0 offen
	buffer_load_dword v80, v4, s[0:3], 0 offen offset:4
	buffer_load_dword v81, v4, s[0:3], 0 offen offset:8
	;; [unrolled: 1-line block ×3, first 2 shown]
	v_mov_b32_e32 v4, s41
	v_mov_b32_e32 v122, s31
	s_clause 0x3
	buffer_load_dword v83, v4, s[0:3], 0 offen
	buffer_load_dword v84, v4, s[0:3], 0 offen offset:4
	buffer_load_dword v85, v4, s[0:3], 0 offen offset:8
	buffer_load_dword v86, v4, s[0:3], 0 offen offset:12
	v_mov_b32_e32 v4, s40
	s_clause 0x3
	buffer_load_dword v87, v4, s[0:3], 0 offen
	buffer_load_dword v88, v4, s[0:3], 0 offen offset:4
	buffer_load_dword v89, v4, s[0:3], 0 offen offset:8
	buffer_load_dword v90, v4, s[0:3], 0 offen offset:12
	;; [unrolled: 6-line block ×3, first 2 shown]
	v_mov_b32_e32 v4, s38
	v_mov_b32_e32 v126, s30
	;; [unrolled: 1-line block ×8, first 2 shown]
	s_clause 0x2b
	buffer_load_dword v95, v4, s[0:3], 0 offen
	buffer_load_dword v96, v4, s[0:3], 0 offen offset:4
	buffer_load_dword v97, v4, s[0:3], 0 offen offset:8
	buffer_load_dword v98, v4, s[0:3], 0 offen offset:12
	buffer_load_dword v99, v102, s[0:3], 0 offen
	buffer_load_dword v100, v102, s[0:3], 0 offen offset:4
	buffer_load_dword v101, v102, s[0:3], 0 offen offset:8
	buffer_load_dword v102, v102, s[0:3], 0 offen offset:12
	;; [unrolled: 4-line block ×11, first 2 shown]
	v_mov_b32_e32 v144, s23
	v_mov_b32_e32 v151, s14
	;; [unrolled: 1-line block ×9, first 2 shown]
	s_waitcnt vmcnt(62)
	global_store_dwordx4 v[5:6], v[0:3], off
	s_clause 0x7
	buffer_load_dword v0, v139, s[0:3], 0 offen
	buffer_load_dword v1, v139, s[0:3], 0 offen offset:4
	buffer_load_dword v2, v139, s[0:3], 0 offen offset:8
	;; [unrolled: 1-line block ×3, first 2 shown]
	buffer_load_dword v139, v142, s[0:3], 0 offen
	buffer_load_dword v140, v142, s[0:3], 0 offen offset:4
	buffer_load_dword v141, v142, s[0:3], 0 offen offset:8
	;; [unrolled: 1-line block ×3, first 2 shown]
	global_store_dwordx4 v[7:8], v[71:74], off
	s_clause 0x7
	buffer_load_dword v4, v143, s[0:3], 0 offen
	buffer_load_dword v5, v143, s[0:3], 0 offen offset:4
	buffer_load_dword v6, v143, s[0:3], 0 offen offset:8
	;; [unrolled: 1-line block ×3, first 2 shown]
	buffer_load_dword v71, v144, s[0:3], 0 offen
	buffer_load_dword v72, v144, s[0:3], 0 offen offset:4
	buffer_load_dword v73, v144, s[0:3], 0 offen offset:8
	;; [unrolled: 1-line block ×3, first 2 shown]
	s_waitcnt vmcnt(62)
	global_store_dwordx4 v[9:10], v[75:78], off
	s_clause 0x7
	buffer_load_dword v75, v145, s[0:3], 0 offen
	buffer_load_dword v76, v145, s[0:3], 0 offen offset:4
	buffer_load_dword v77, v145, s[0:3], 0 offen offset:8
	buffer_load_dword v78, v145, s[0:3], 0 offen offset:12
	buffer_load_dword v143, v146, s[0:3], 0 offen
	buffer_load_dword v144, v146, s[0:3], 0 offen offset:4
	buffer_load_dword v145, v146, s[0:3], 0 offen offset:8
	buffer_load_dword v146, v146, s[0:3], 0 offen offset:12
	global_store_dwordx4 v[11:12], v[79:82], off
	s_clause 0x7
	buffer_load_dword v8, v147, s[0:3], 0 offen
	buffer_load_dword v9, v147, s[0:3], 0 offen offset:4
	buffer_load_dword v10, v147, s[0:3], 0 offen offset:8
	buffer_load_dword v11, v147, s[0:3], 0 offen offset:12
	buffer_load_dword v79, v148, s[0:3], 0 offen
	buffer_load_dword v80, v148, s[0:3], 0 offen offset:4
	buffer_load_dword v81, v148, s[0:3], 0 offen offset:8
	buffer_load_dword v82, v148, s[0:3], 0 offen offset:12
	;; [unrolled: 10-line block ×4, first 2 shown]
	s_waitcnt vmcnt(62)
	global_store_dwordx4 v[17:18], v[91:94], off
	s_clause 0xb
	buffer_load_dword v91, v153, s[0:3], 0 offen
	buffer_load_dword v92, v153, s[0:3], 0 offen offset:4
	buffer_load_dword v93, v153, s[0:3], 0 offen offset:8
	buffer_load_dword v94, v153, s[0:3], 0 offen offset:12
	buffer_load_dword v151, v154, s[0:3], 0 offen
	buffer_load_dword v152, v154, s[0:3], 0 offen offset:4
	buffer_load_dword v153, v154, s[0:3], 0 offen offset:8
	buffer_load_dword v154, v154, s[0:3], 0 offen offset:12
	buffer_load_dword v155, v158, s[0:3], 0 offen
	buffer_load_dword v156, v158, s[0:3], 0 offen offset:4
	buffer_load_dword v157, v158, s[0:3], 0 offen offset:8
	buffer_load_dword v158, v158, s[0:3], 0 offen offset:12
	global_store_dwordx4 v[19:20], v[95:98], off
	global_store_dwordx4 v[21:22], v[99:102], off
	;; [unrolled: 1-line block ×7, first 2 shown]
	s_waitcnt vmcnt(62)
	global_store_dwordx4 v[33:34], v[123:126], off
	global_store_dwordx4 v[35:36], v[127:130], off
	;; [unrolled: 1-line block ×3, first 2 shown]
	s_waitcnt vmcnt(60)
	global_store_dwordx4 v[39:40], v[135:138], off
	s_waitcnt vmcnt(56)
	global_store_dwordx4 v[41:42], v[0:3], off
	;; [unrolled: 2-line block ×16, first 2 shown]
	s_endpgm
	.section	.rodata,"a",@progbits
	.p2align	6, 0x0
	.amdhsa_kernel _ZN9rocsolver6v33100L18getri_kernel_smallILi33E19rocblas_complex_numIdEPS3_EEvT1_iilPiilS6_bb
		.amdhsa_group_segment_fixed_size 1064
		.amdhsa_private_segment_fixed_size 560
		.amdhsa_kernarg_size 60
		.amdhsa_user_sgpr_count 6
		.amdhsa_user_sgpr_private_segment_buffer 1
		.amdhsa_user_sgpr_dispatch_ptr 0
		.amdhsa_user_sgpr_queue_ptr 0
		.amdhsa_user_sgpr_kernarg_segment_ptr 1
		.amdhsa_user_sgpr_dispatch_id 0
		.amdhsa_user_sgpr_flat_scratch_init 0
		.amdhsa_user_sgpr_private_segment_size 0
		.amdhsa_wavefront_size32 1
		.amdhsa_uses_dynamic_stack 0
		.amdhsa_system_sgpr_private_segment_wavefront_offset 1
		.amdhsa_system_sgpr_workgroup_id_x 1
		.amdhsa_system_sgpr_workgroup_id_y 0
		.amdhsa_system_sgpr_workgroup_id_z 0
		.amdhsa_system_sgpr_workgroup_info 0
		.amdhsa_system_vgpr_workitem_id 0
		.amdhsa_next_free_vgpr 161
		.amdhsa_next_free_sgpr 60
		.amdhsa_reserve_vcc 1
		.amdhsa_reserve_flat_scratch 0
		.amdhsa_float_round_mode_32 0
		.amdhsa_float_round_mode_16_64 0
		.amdhsa_float_denorm_mode_32 3
		.amdhsa_float_denorm_mode_16_64 3
		.amdhsa_dx10_clamp 1
		.amdhsa_ieee_mode 1
		.amdhsa_fp16_overflow 0
		.amdhsa_workgroup_processor_mode 1
		.amdhsa_memory_ordered 1
		.amdhsa_forward_progress 1
		.amdhsa_shared_vgpr_count 0
		.amdhsa_exception_fp_ieee_invalid_op 0
		.amdhsa_exception_fp_denorm_src 0
		.amdhsa_exception_fp_ieee_div_zero 0
		.amdhsa_exception_fp_ieee_overflow 0
		.amdhsa_exception_fp_ieee_underflow 0
		.amdhsa_exception_fp_ieee_inexact 0
		.amdhsa_exception_int_div_zero 0
	.end_amdhsa_kernel
	.section	.text._ZN9rocsolver6v33100L18getri_kernel_smallILi33E19rocblas_complex_numIdEPS3_EEvT1_iilPiilS6_bb,"axG",@progbits,_ZN9rocsolver6v33100L18getri_kernel_smallILi33E19rocblas_complex_numIdEPS3_EEvT1_iilPiilS6_bb,comdat
.Lfunc_end32:
	.size	_ZN9rocsolver6v33100L18getri_kernel_smallILi33E19rocblas_complex_numIdEPS3_EEvT1_iilPiilS6_bb, .Lfunc_end32-_ZN9rocsolver6v33100L18getri_kernel_smallILi33E19rocblas_complex_numIdEPS3_EEvT1_iilPiilS6_bb
                                        ; -- End function
	.set _ZN9rocsolver6v33100L18getri_kernel_smallILi33E19rocblas_complex_numIdEPS3_EEvT1_iilPiilS6_bb.num_vgpr, 161
	.set _ZN9rocsolver6v33100L18getri_kernel_smallILi33E19rocblas_complex_numIdEPS3_EEvT1_iilPiilS6_bb.num_agpr, 0
	.set _ZN9rocsolver6v33100L18getri_kernel_smallILi33E19rocblas_complex_numIdEPS3_EEvT1_iilPiilS6_bb.numbered_sgpr, 60
	.set _ZN9rocsolver6v33100L18getri_kernel_smallILi33E19rocblas_complex_numIdEPS3_EEvT1_iilPiilS6_bb.num_named_barrier, 0
	.set _ZN9rocsolver6v33100L18getri_kernel_smallILi33E19rocblas_complex_numIdEPS3_EEvT1_iilPiilS6_bb.private_seg_size, 560
	.set _ZN9rocsolver6v33100L18getri_kernel_smallILi33E19rocblas_complex_numIdEPS3_EEvT1_iilPiilS6_bb.uses_vcc, 1
	.set _ZN9rocsolver6v33100L18getri_kernel_smallILi33E19rocblas_complex_numIdEPS3_EEvT1_iilPiilS6_bb.uses_flat_scratch, 0
	.set _ZN9rocsolver6v33100L18getri_kernel_smallILi33E19rocblas_complex_numIdEPS3_EEvT1_iilPiilS6_bb.has_dyn_sized_stack, 0
	.set _ZN9rocsolver6v33100L18getri_kernel_smallILi33E19rocblas_complex_numIdEPS3_EEvT1_iilPiilS6_bb.has_recursion, 0
	.set _ZN9rocsolver6v33100L18getri_kernel_smallILi33E19rocblas_complex_numIdEPS3_EEvT1_iilPiilS6_bb.has_indirect_call, 0
	.section	.AMDGPU.csdata,"",@progbits
; Kernel info:
; codeLenInByte = 82496
; TotalNumSgprs: 62
; NumVgprs: 161
; ScratchSize: 560
; MemoryBound: 0
; FloatMode: 240
; IeeeMode: 1
; LDSByteSize: 1064 bytes/workgroup (compile time only)
; SGPRBlocks: 0
; VGPRBlocks: 20
; NumSGPRsForWavesPerEU: 62
; NumVGPRsForWavesPerEU: 161
; Occupancy: 5
; WaveLimiterHint : 1
; COMPUTE_PGM_RSRC2:SCRATCH_EN: 1
; COMPUTE_PGM_RSRC2:USER_SGPR: 6
; COMPUTE_PGM_RSRC2:TRAP_HANDLER: 0
; COMPUTE_PGM_RSRC2:TGID_X_EN: 1
; COMPUTE_PGM_RSRC2:TGID_Y_EN: 0
; COMPUTE_PGM_RSRC2:TGID_Z_EN: 0
; COMPUTE_PGM_RSRC2:TIDIG_COMP_CNT: 0
	.section	.text._ZN9rocsolver6v33100L18getri_kernel_smallILi34E19rocblas_complex_numIdEPS3_EEvT1_iilPiilS6_bb,"axG",@progbits,_ZN9rocsolver6v33100L18getri_kernel_smallILi34E19rocblas_complex_numIdEPS3_EEvT1_iilPiilS6_bb,comdat
	.globl	_ZN9rocsolver6v33100L18getri_kernel_smallILi34E19rocblas_complex_numIdEPS3_EEvT1_iilPiilS6_bb ; -- Begin function _ZN9rocsolver6v33100L18getri_kernel_smallILi34E19rocblas_complex_numIdEPS3_EEvT1_iilPiilS6_bb
	.p2align	8
	.type	_ZN9rocsolver6v33100L18getri_kernel_smallILi34E19rocblas_complex_numIdEPS3_EEvT1_iilPiilS6_bb,@function
_ZN9rocsolver6v33100L18getri_kernel_smallILi34E19rocblas_complex_numIdEPS3_EEvT1_iilPiilS6_bb: ; @_ZN9rocsolver6v33100L18getri_kernel_smallILi34E19rocblas_complex_numIdEPS3_EEvT1_iilPiilS6_bb
; %bb.0:
	s_add_u32 s0, s0, s7
	s_addc_u32 s1, s1, 0
	s_mov_b32 s7, exec_lo
	v_cmpx_gt_u32_e32 34, v0
	s_cbranch_execz .LBB33_150
; %bb.1:
	s_clause 0x2
	s_load_dword s7, s[4:5], 0x38
	s_load_dwordx4 s[16:19], s[4:5], 0x10
	s_load_dwordx4 s[8:11], s[4:5], 0x28
                                        ; implicit-def: $sgpr20_sgpr21
	s_waitcnt lgkmcnt(0)
	s_bitcmp1_b32 s7, 8
	s_cselect_b32 s43, -1, 0
	s_bfe_u32 s12, s7, 0x10008
	s_ashr_i32 s7, s6, 31
	s_cmp_eq_u32 s12, 0
	s_cbranch_scc1 .LBB33_3
; %bb.2:
	s_load_dword s12, s[4:5], 0x20
	s_mul_i32 s13, s8, s7
	s_mul_hi_u32 s14, s8, s6
	s_mul_i32 s9, s9, s6
	s_add_i32 s13, s14, s13
	s_mul_i32 s8, s8, s6
	s_add_i32 s9, s13, s9
	s_lshl_b64 s[8:9], s[8:9], 2
	s_waitcnt lgkmcnt(0)
	s_ashr_i32 s13, s12, 31
	s_add_u32 s14, s18, s8
	s_addc_u32 s15, s19, s9
	s_lshl_b64 s[8:9], s[12:13], 2
	s_add_u32 s20, s14, s8
	s_addc_u32 s21, s15, s9
.LBB33_3:
	s_clause 0x1
	s_load_dwordx4 s[12:15], s[4:5], 0x0
	s_load_dword s47, s[4:5], 0x38
	s_mul_i32 s4, s16, s7
	s_mul_hi_u32 s5, s16, s6
	s_mul_i32 s8, s17, s6
	s_add_i32 s5, s5, s4
	s_mul_i32 s4, s16, s6
	s_add_i32 s5, s5, s8
	v_lshlrev_b32_e32 v79, 4, v0
	s_lshl_b64 s[4:5], s[4:5], 4
	s_movk_i32 s16, 0xc0
	s_movk_i32 s17, 0xd0
	;; [unrolled: 1-line block ×10, first 2 shown]
	s_waitcnt lgkmcnt(0)
	v_add3_u32 v9, s15, s15, v0
	s_ashr_i32 s9, s14, 31
	s_mov_b32 s8, s14
	s_add_u32 s12, s12, s4
	s_addc_u32 s13, s13, s5
	v_add_nc_u32_e32 v11, s15, v9
	s_lshl_b64 s[4:5], s[8:9], 4
	v_ashrrev_i32_e32 v10, 31, v9
	s_add_u32 s4, s12, s4
	s_addc_u32 s5, s13, s5
	v_ashrrev_i32_e32 v12, 31, v11
	v_add_co_u32 v5, s12, s4, v79
	s_mov_b32 s8, s15
	s_ashr_i32 s9, s15, 31
	v_add_nc_u32_e32 v13, s15, v11
	v_lshlrev_b64 v[9:10], 4, v[9:10]
	v_add_co_ci_u32_e64 v6, null, s5, 0, s12
	s_lshl_b64 s[8:9], s[8:9], 4
	v_lshlrev_b64 v[11:12], 4, v[11:12]
	v_add_co_u32 v7, vcc_lo, v5, s8
	v_ashrrev_i32_e32 v14, 31, v13
	v_add_nc_u32_e32 v15, s15, v13
	v_add_co_ci_u32_e64 v8, null, s9, v6, vcc_lo
	v_add_co_u32 v21, vcc_lo, s4, v9
	v_add_co_ci_u32_e64 v22, null, s5, v10, vcc_lo
	v_add_co_u32 v9, vcc_lo, s4, v11
	v_add_co_ci_u32_e64 v10, null, s5, v12, vcc_lo
	v_lshlrev_b64 v[11:12], 4, v[13:14]
	v_add_nc_u32_e32 v17, s15, v15
	v_ashrrev_i32_e32 v16, 31, v15
	s_clause 0x2
	global_load_dwordx4 v[1:4], v79, s[4:5]
	global_load_dwordx4 v[57:60], v[7:8], off
	global_load_dwordx4 v[61:64], v[21:22], off
	v_ashrrev_i32_e32 v18, 31, v17
	v_add_co_u32 v13, vcc_lo, s4, v11
	v_add_co_ci_u32_e64 v14, null, s5, v12, vcc_lo
	v_add_nc_u32_e32 v19, s15, v17
	v_lshlrev_b64 v[11:12], 4, v[15:16]
	v_lshlrev_b64 v[15:16], 4, v[17:18]
	s_clause 0x1
	global_load_dwordx4 v[65:68], v[9:10], off
	global_load_dwordx4 v[69:72], v[13:14], off
	v_ashrrev_i32_e32 v20, 31, v19
	v_add_nc_u32_e32 v17, s15, v19
	v_add_co_u32 v23, vcc_lo, s4, v11
	v_add_co_ci_u32_e64 v24, null, s5, v12, vcc_lo
	v_add_co_u32 v11, vcc_lo, s4, v15
	v_add_co_ci_u32_e64 v12, null, s5, v16, vcc_lo
	v_lshlrev_b64 v[15:16], 4, v[19:20]
	v_add_nc_u32_e32 v19, s15, v17
	v_ashrrev_i32_e32 v18, 31, v17
	s_clause 0x1
	global_load_dwordx4 v[73:76], v[23:24], off
	global_load_dwordx4 v[80:83], v[11:12], off
	s_movk_i32 s8, 0x60
	v_add_nc_u32_e32 v25, s15, v19
	v_ashrrev_i32_e32 v20, 31, v19
	v_lshlrev_b64 v[17:18], 4, v[17:18]
	v_add_co_u32 v15, vcc_lo, s4, v15
	v_add_nc_u32_e32 v27, s15, v25
	v_ashrrev_i32_e32 v26, 31, v25
	v_lshlrev_b64 v[19:20], 4, v[19:20]
	v_add_co_ci_u32_e64 v16, null, s5, v16, vcc_lo
	v_ashrrev_i32_e32 v28, 31, v27
	v_lshlrev_b64 v[25:26], 4, v[25:26]
	v_add_co_u32 v17, vcc_lo, s4, v17
	v_add_co_ci_u32_e64 v18, null, s5, v18, vcc_lo
	v_add_co_u32 v19, vcc_lo, s4, v19
	v_add_nc_u32_e32 v31, s15, v27
	v_lshlrev_b64 v[27:28], 4, v[27:28]
	v_add_co_ci_u32_e64 v20, null, s5, v20, vcc_lo
	v_add_co_u32 v25, vcc_lo, s4, v25
	v_add_co_ci_u32_e64 v26, null, s5, v26, vcc_lo
	v_add_co_u32 v27, vcc_lo, s4, v27
	s_clause 0x2
	global_load_dwordx4 v[84:87], v[15:16], off
	global_load_dwordx4 v[88:91], v[17:18], off
	;; [unrolled: 1-line block ×3, first 2 shown]
	v_add_co_ci_u32_e64 v28, null, s5, v28, vcc_lo
	global_load_dwordx4 v[96:99], v[25:26], off
	v_ashrrev_i32_e32 v32, 31, v31
	s_movk_i32 s9, 0x70
	global_load_dwordx4 v[100:103], v[27:28], off
	s_movk_i32 s12, 0x80
	s_movk_i32 s13, 0x90
	v_lshlrev_b64 v[29:30], 4, v[31:32]
	v_add_nc_u32_e32 v31, s15, v31
	s_movk_i32 s14, 0xa0
	s_movk_i32 s28, 0x160
	;; [unrolled: 1-line block ×4, first 2 shown]
	v_add_co_u32 v29, vcc_lo, s4, v29
	v_add_co_ci_u32_e64 v30, null, s5, v30, vcc_lo
	v_add_nc_u32_e32 v33, s15, v31
	v_ashrrev_i32_e32 v32, 31, v31
	s_movk_i32 s31, 0x190
	global_load_dwordx4 v[104:107], v[29:30], off
	s_movk_i32 s33, 0x1a0
	v_add_nc_u32_e32 v35, s15, v33
	v_ashrrev_i32_e32 v34, 31, v33
	v_lshlrev_b64 v[31:32], 4, v[31:32]
	s_movk_i32 s34, 0x1b0
	s_movk_i32 s35, 0x1c0
	v_add_nc_u32_e32 v37, s15, v35
	v_ashrrev_i32_e32 v36, 31, v35
	v_lshlrev_b64 v[33:34], 4, v[33:34]
	v_add_co_u32 v31, vcc_lo, s4, v31
	v_add_nc_u32_e32 v39, s15, v37
	v_ashrrev_i32_e32 v38, 31, v37
	v_lshlrev_b64 v[35:36], 4, v[35:36]
	v_add_co_ci_u32_e64 v32, null, s5, v32, vcc_lo
	v_add_nc_u32_e32 v41, s15, v39
	v_ashrrev_i32_e32 v40, 31, v39
	v_lshlrev_b64 v[37:38], 4, v[37:38]
	v_add_co_u32 v33, vcc_lo, s4, v33
	v_add_nc_u32_e32 v43, s15, v41
	v_ashrrev_i32_e32 v42, 31, v41
	v_lshlrev_b64 v[39:40], 4, v[39:40]
	v_add_co_ci_u32_e64 v34, null, s5, v34, vcc_lo
	v_add_nc_u32_e32 v45, s15, v43
	v_ashrrev_i32_e32 v44, 31, v43
	v_add_co_u32 v35, vcc_lo, s4, v35
	v_lshlrev_b64 v[41:42], 4, v[41:42]
	v_add_nc_u32_e32 v47, s15, v45
	v_ashrrev_i32_e32 v46, 31, v45
	v_add_co_ci_u32_e64 v36, null, s5, v36, vcc_lo
	v_add_co_u32 v37, vcc_lo, s4, v37
	v_add_nc_u32_e32 v49, s15, v47
	v_ashrrev_i32_e32 v48, 31, v47
	v_lshlrev_b64 v[43:44], 4, v[43:44]
	v_add_co_ci_u32_e64 v38, null, s5, v38, vcc_lo
	v_add_nc_u32_e32 v51, s15, v49
	v_ashrrev_i32_e32 v50, 31, v49
	v_add_co_u32 v39, vcc_lo, s4, v39
	v_lshlrev_b64 v[45:46], 4, v[45:46]
	v_add_nc_u32_e32 v53, s15, v51
	v_ashrrev_i32_e32 v52, 31, v51
	v_add_co_ci_u32_e64 v40, null, s5, v40, vcc_lo
	v_add_co_u32 v41, vcc_lo, s4, v41
	v_add_nc_u32_e32 v55, s15, v53
	v_lshlrev_b64 v[47:48], 4, v[47:48]
	v_ashrrev_i32_e32 v54, 31, v53
	v_add_co_ci_u32_e64 v42, null, s5, v42, vcc_lo
	v_add_nc_u32_e32 v77, s15, v55
	v_add_co_u32 v43, vcc_lo, s4, v43
	v_lshlrev_b64 v[49:50], 4, v[49:50]
	v_add_co_ci_u32_e64 v44, null, s5, v44, vcc_lo
	v_add_nc_u32_e32 v152, s15, v77
	v_add_co_u32 v45, vcc_lo, s4, v45
	v_lshlrev_b64 v[51:52], 4, v[51:52]
	v_ashrrev_i32_e32 v56, 31, v55
	v_add_nc_u32_e32 v154, s15, v152
	v_add_co_ci_u32_e64 v46, null, s5, v46, vcc_lo
	v_add_co_u32 v47, vcc_lo, s4, v47
	v_lshlrev_b64 v[53:54], 4, v[53:54]
	v_ashrrev_i32_e32 v78, 31, v77
	v_add_co_ci_u32_e64 v48, null, s5, v48, vcc_lo
	v_add_co_u32 v49, vcc_lo, s4, v49
	v_add_nc_u32_e32 v160, s15, v154
	v_add_co_ci_u32_e64 v50, null, s5, v50, vcc_lo
	v_add_co_u32 v51, vcc_lo, s4, v51
	v_lshlrev_b64 v[55:56], 4, v[55:56]
	v_ashrrev_i32_e32 v153, 31, v152
	v_add_co_ci_u32_e64 v52, null, s5, v52, vcc_lo
	v_add_co_u32 v53, vcc_lo, s4, v53
	v_lshlrev_b64 v[77:78], 4, v[77:78]
	v_add_co_ci_u32_e64 v54, null, s5, v54, vcc_lo
	v_add_nc_u32_e32 v162, s15, v160
	v_add_co_u32 v55, vcc_lo, s4, v55
	v_lshlrev_b64 v[152:153], 4, v[152:153]
	s_clause 0x9
	global_load_dwordx4 v[108:111], v[31:32], off
	global_load_dwordx4 v[112:115], v[33:34], off
	;; [unrolled: 1-line block ×10, first 2 shown]
	v_add_co_ci_u32_e64 v56, null, s5, v56, vcc_lo
	v_ashrrev_i32_e32 v155, 31, v154
	v_ashrrev_i32_e32 v161, 31, v160
	;; [unrolled: 1-line block ×3, first 2 shown]
	s_movk_i32 s36, 0x1d0
	s_movk_i32 s48, 0x1e0
	;; [unrolled: 1-line block ×5, first 2 shown]
	s_add_i32 s40, s8, 16
	s_add_i32 s39, s9, 16
	;; [unrolled: 1-line block ×20, first 2 shown]
	s_mov_b32 s46, 32
	s_mov_b32 s45, 48
	;; [unrolled: 1-line block ×3, first 2 shown]
	s_movk_i32 s42, 0x50
	s_waitcnt vmcnt(22)
	buffer_store_dword v4, off, s[0:3], 0 offset:28
	buffer_store_dword v3, off, s[0:3], 0 offset:24
	;; [unrolled: 1-line block ×4, first 2 shown]
	s_clause 0x1
	global_load_dwordx4 v[1:4], v[51:52], off
	global_load_dwordx4 v[148:151], v[53:54], off
	s_waitcnt vmcnt(23)
	buffer_store_dword v60, off, s[0:3], 0 offset:44
	buffer_store_dword v59, off, s[0:3], 0 offset:40
	;; [unrolled: 1-line block ×4, first 2 shown]
	v_add_co_u32 v57, vcc_lo, s4, v77
	s_waitcnt vmcnt(22)
	buffer_store_dword v64, off, s[0:3], 0 offset:60
	buffer_store_dword v63, off, s[0:3], 0 offset:56
	buffer_store_dword v62, off, s[0:3], 0 offset:52
	buffer_store_dword v61, off, s[0:3], 0 offset:48
	s_waitcnt vmcnt(21)
	buffer_store_dword v68, off, s[0:3], 0 offset:76
	buffer_store_dword v67, off, s[0:3], 0 offset:72
	;; [unrolled: 1-line block ×4, first 2 shown]
	v_add_nc_u32_e32 v65, s15, v162
	v_add_co_ci_u32_e64 v58, null, s5, v78, vcc_lo
	v_add_co_u32 v59, vcc_lo, s4, v152
	v_lshlrev_b64 v[77:78], 4, v[154:155]
	v_add_co_ci_u32_e64 v60, null, s5, v153, vcc_lo
	s_clause 0x1
	global_load_dwordx4 v[152:155], v[55:56], off
	global_load_dwordx4 v[156:159], v[57:58], off
	s_waitcnt vmcnt(22)
	buffer_store_dword v72, off, s[0:3], 0 offset:92
	buffer_store_dword v71, off, s[0:3], 0 offset:88
	;; [unrolled: 1-line block ×4, first 2 shown]
	v_add_nc_u32_e32 v69, s15, v65
	v_ashrrev_i32_e32 v66, 31, v65
	v_lshlrev_b64 v[63:64], 4, v[160:161]
	v_lshlrev_b64 v[67:68], 4, v[162:163]
	v_add_co_u32 v61, vcc_lo, s4, v77
	v_ashrrev_i32_e32 v70, 31, v69
	v_lshlrev_b64 v[71:72], 4, v[65:66]
	v_add_co_ci_u32_e64 v62, null, s5, v78, vcc_lo
	v_add_co_u32 v63, vcc_lo, s4, v63
	v_add_nc_u32_e32 v77, s15, v69
	v_lshlrev_b64 v[69:70], 4, v[69:70]
	v_add_co_ci_u32_e64 v64, null, s5, v64, vcc_lo
	v_add_co_u32 v65, vcc_lo, s4, v67
	v_add_co_ci_u32_e64 v66, null, s5, v68, vcc_lo
	v_add_co_u32 v67, vcc_lo, s4, v71
	;; [unrolled: 2-line block ×3, first 2 shown]
	v_add_co_ci_u32_e64 v70, null, s5, v70, vcc_lo
	s_waitcnt vmcnt(21)
	buffer_store_dword v76, off, s[0:3], 0 offset:108
	buffer_store_dword v75, off, s[0:3], 0 offset:104
	;; [unrolled: 1-line block ×4, first 2 shown]
	s_waitcnt vmcnt(20)
	buffer_store_dword v83, off, s[0:3], 0 offset:124
	buffer_store_dword v82, off, s[0:3], 0 offset:120
	;; [unrolled: 1-line block ×4, first 2 shown]
	s_clause 0x1
	global_load_dwordx4 v[73:76], v[59:60], off
	global_load_dwordx4 v[80:83], v[61:62], off
	s_waitcnt vmcnt(21)
	buffer_store_dword v87, off, s[0:3], 0 offset:140
	buffer_store_dword v86, off, s[0:3], 0 offset:136
	buffer_store_dword v85, off, s[0:3], 0 offset:132
	buffer_store_dword v84, off, s[0:3], 0 offset:128
	s_waitcnt vmcnt(20)
	buffer_store_dword v91, off, s[0:3], 0 offset:156
	buffer_store_dword v90, off, s[0:3], 0 offset:152
	buffer_store_dword v89, off, s[0:3], 0 offset:148
	buffer_store_dword v88, off, s[0:3], 0 offset:144
	;; [unrolled: 5-line block ×3, first 2 shown]
	s_clause 0x1
	global_load_dwordx4 v[84:87], v[63:64], off
	global_load_dwordx4 v[88:91], v[65:66], off
	s_waitcnt vmcnt(20)
	buffer_store_dword v96, off, s[0:3], 0 offset:176
	buffer_store_dword v97, off, s[0:3], 0 offset:180
	buffer_store_dword v98, off, s[0:3], 0 offset:184
	buffer_store_dword v99, off, s[0:3], 0 offset:188
	s_waitcnt vmcnt(19)
	buffer_store_dword v100, off, s[0:3], 0 offset:192
	buffer_store_dword v101, off, s[0:3], 0 offset:196
	;; [unrolled: 1-line block ×4, first 2 shown]
	s_clause 0x1
	global_load_dwordx4 v[92:95], v[67:68], off
	global_load_dwordx4 v[96:99], v[69:70], off
	v_ashrrev_i32_e32 v78, 31, v77
	s_waitcnt vmcnt(20)
	buffer_store_dword v107, off, s[0:3], 0 offset:220
	buffer_store_dword v106, off, s[0:3], 0 offset:216
	;; [unrolled: 1-line block ×4, first 2 shown]
	v_lshlrev_b64 v[71:72], 4, v[77:78]
	s_movk_i32 s15, 0xb0
	s_add_i32 s12, s15, 16
	s_add_i32 s15, s18, 16
	;; [unrolled: 1-line block ×3, first 2 shown]
	v_add_co_u32 v71, vcc_lo, s4, v71
	v_add_co_ci_u32_e64 v72, null, s5, v72, vcc_lo
	s_movk_i32 s4, 0x50
	s_add_i32 s23, s26, 16
	s_add_i32 s41, s4, 16
	global_load_dwordx4 v[100:103], v[71:72], off
	s_add_i32 s26, s29, 16
	s_add_i32 s29, s33, 16
	;; [unrolled: 1-line block ×4, first 2 shown]
	s_mov_b32 s5, -1
	s_bitcmp0_b32 s47, 0
	s_waitcnt vmcnt(20)
	buffer_store_dword v111, off, s[0:3], 0 offset:236
	buffer_store_dword v110, off, s[0:3], 0 offset:232
	buffer_store_dword v109, off, s[0:3], 0 offset:228
	buffer_store_dword v108, off, s[0:3], 0 offset:224
	s_waitcnt vmcnt(19)
	buffer_store_dword v115, off, s[0:3], 0 offset:252
	buffer_store_dword v114, off, s[0:3], 0 offset:248
	buffer_store_dword v113, off, s[0:3], 0 offset:244
	buffer_store_dword v112, off, s[0:3], 0 offset:240
	;; [unrolled: 5-line block ×21, first 2 shown]
	s_cbranch_scc1 .LBB33_148
; %bb.4:
	v_cmp_eq_u32_e64 s4, 0, v0
	s_and_saveexec_b32 s5, s4
; %bb.5:
	v_mov_b32_e32 v1, 0
	ds_write_b32 v1, v1 offset:1088
; %bb.6:
	s_or_b32 exec_lo, exec_lo, s5
	v_lshl_add_u32 v80, v0, 4, 16
	s_waitcnt lgkmcnt(0)
	s_waitcnt_vscnt null, 0x0
	s_barrier
	buffer_gl0_inv
	s_clause 0x3
	buffer_load_dword v1, v80, s[0:3], 0 offen
	buffer_load_dword v2, v80, s[0:3], 0 offen offset:4
	buffer_load_dword v3, v80, s[0:3], 0 offen offset:8
	buffer_load_dword v4, v80, s[0:3], 0 offen offset:12
	s_waitcnt vmcnt(2)
	v_cmp_eq_f64_e32 vcc_lo, 0, v[1:2]
	s_waitcnt vmcnt(0)
	v_cmp_eq_f64_e64 s5, 0, v[3:4]
	s_and_b32 s5, vcc_lo, s5
	s_and_saveexec_b32 s47, s5
	s_cbranch_execz .LBB33_10
; %bb.7:
	v_mov_b32_e32 v1, 0
	s_mov_b32 s48, 0
	ds_read_b32 v2, v1 offset:1088
	s_waitcnt lgkmcnt(0)
	v_readfirstlane_b32 s5, v2
	v_add_nc_u32_e32 v2, 1, v0
	s_cmp_eq_u32 s5, 0
	v_cmp_gt_i32_e32 vcc_lo, s5, v2
	s_cselect_b32 s49, -1, 0
	s_or_b32 s49, s49, vcc_lo
	s_and_b32 exec_lo, exec_lo, s49
	s_cbranch_execz .LBB33_10
; %bb.8:
	v_mov_b32_e32 v3, s5
.LBB33_9:                               ; =>This Inner Loop Header: Depth=1
	ds_cmpst_rtn_b32 v3, v1, v3, v2 offset:1088
	s_waitcnt lgkmcnt(0)
	v_cmp_ne_u32_e32 vcc_lo, 0, v3
	v_cmp_le_i32_e64 s5, v3, v2
	s_and_b32 s5, vcc_lo, s5
	s_and_b32 s5, exec_lo, s5
	s_or_b32 s48, s5, s48
	s_andn2_b32 exec_lo, exec_lo, s48
	s_cbranch_execnz .LBB33_9
.LBB33_10:
	s_or_b32 exec_lo, exec_lo, s47
	v_mov_b32_e32 v1, 0
	s_barrier
	buffer_gl0_inv
	ds_read_b32 v2, v1 offset:1088
	s_and_saveexec_b32 s5, s4
	s_cbranch_execz .LBB33_12
; %bb.11:
	s_lshl_b64 s[48:49], s[6:7], 2
	s_add_u32 s48, s10, s48
	s_addc_u32 s49, s11, s49
	s_waitcnt lgkmcnt(0)
	global_store_dword v1, v2, s[48:49]
.LBB33_12:
	s_or_b32 exec_lo, exec_lo, s5
	s_waitcnt lgkmcnt(0)
	v_cmp_ne_u32_e32 vcc_lo, 0, v2
	s_mov_b32 s5, 0
	s_cbranch_vccnz .LBB33_148
; %bb.13:
	s_clause 0x3
	buffer_load_dword v75, v80, s[0:3], 0 offen
	buffer_load_dword v76, v80, s[0:3], 0 offen offset:4
	buffer_load_dword v77, v80, s[0:3], 0 offen offset:8
	;; [unrolled: 1-line block ×3, first 2 shown]
                                        ; implicit-def: $vgpr73_vgpr74
                                        ; implicit-def: $vgpr3_vgpr4
	s_waitcnt vmcnt(0)
	v_cmp_ngt_f64_e64 s5, |v[75:76]|, |v[77:78]|
	s_and_saveexec_b32 s47, s5
	s_xor_b32 s5, exec_lo, s47
	s_cbranch_execz .LBB33_15
; %bb.14:
	v_div_scale_f64 v[1:2], null, v[77:78], v[77:78], v[75:76]
	v_div_scale_f64 v[81:82], vcc_lo, v[75:76], v[77:78], v[75:76]
	v_rcp_f64_e32 v[3:4], v[1:2]
	v_fma_f64 v[73:74], -v[1:2], v[3:4], 1.0
	v_fma_f64 v[3:4], v[3:4], v[73:74], v[3:4]
	v_fma_f64 v[73:74], -v[1:2], v[3:4], 1.0
	v_fma_f64 v[3:4], v[3:4], v[73:74], v[3:4]
	v_mul_f64 v[73:74], v[81:82], v[3:4]
	v_fma_f64 v[1:2], -v[1:2], v[73:74], v[81:82]
	v_div_fmas_f64 v[1:2], v[1:2], v[3:4], v[73:74]
	v_div_fixup_f64 v[1:2], v[1:2], v[77:78], v[75:76]
	v_fma_f64 v[3:4], v[75:76], v[1:2], v[77:78]
	v_div_scale_f64 v[73:74], null, v[3:4], v[3:4], 1.0
	v_div_scale_f64 v[81:82], vcc_lo, 1.0, v[3:4], 1.0
	v_rcp_f64_e32 v[75:76], v[73:74]
	v_fma_f64 v[77:78], -v[73:74], v[75:76], 1.0
	v_fma_f64 v[75:76], v[75:76], v[77:78], v[75:76]
	v_fma_f64 v[77:78], -v[73:74], v[75:76], 1.0
	v_fma_f64 v[75:76], v[75:76], v[77:78], v[75:76]
	v_mul_f64 v[77:78], v[81:82], v[75:76]
	v_fma_f64 v[73:74], -v[73:74], v[77:78], v[81:82]
	v_div_fmas_f64 v[73:74], v[73:74], v[75:76], v[77:78]
                                        ; implicit-def: $vgpr75_vgpr76
                                        ; implicit-def: $vgpr77_vgpr78
	v_div_fixup_f64 v[3:4], v[73:74], v[3:4], 1.0
	v_mul_f64 v[73:74], v[1:2], v[3:4]
	v_xor_b32_e32 v4, 0x80000000, v4
	v_xor_b32_e32 v2, 0x80000000, v74
	v_mov_b32_e32 v1, v73
.LBB33_15:
	s_andn2_saveexec_b32 s5, s5
	s_cbranch_execz .LBB33_17
; %bb.16:
	v_div_scale_f64 v[1:2], null, v[75:76], v[75:76], v[77:78]
	v_div_scale_f64 v[81:82], vcc_lo, v[77:78], v[75:76], v[77:78]
	v_rcp_f64_e32 v[3:4], v[1:2]
	v_fma_f64 v[73:74], -v[1:2], v[3:4], 1.0
	v_fma_f64 v[3:4], v[3:4], v[73:74], v[3:4]
	v_fma_f64 v[73:74], -v[1:2], v[3:4], 1.0
	v_fma_f64 v[3:4], v[3:4], v[73:74], v[3:4]
	v_mul_f64 v[73:74], v[81:82], v[3:4]
	v_fma_f64 v[1:2], -v[1:2], v[73:74], v[81:82]
	v_div_fmas_f64 v[1:2], v[1:2], v[3:4], v[73:74]
	v_div_fixup_f64 v[1:2], v[1:2], v[75:76], v[77:78]
	v_fma_f64 v[3:4], v[77:78], v[1:2], v[75:76]
	v_div_scale_f64 v[73:74], null, v[3:4], v[3:4], 1.0
	v_rcp_f64_e32 v[75:76], v[73:74]
	v_fma_f64 v[77:78], -v[73:74], v[75:76], 1.0
	v_fma_f64 v[75:76], v[75:76], v[77:78], v[75:76]
	v_fma_f64 v[77:78], -v[73:74], v[75:76], 1.0
	v_fma_f64 v[75:76], v[75:76], v[77:78], v[75:76]
	v_div_scale_f64 v[77:78], vcc_lo, 1.0, v[3:4], 1.0
	v_mul_f64 v[81:82], v[77:78], v[75:76]
	v_fma_f64 v[73:74], -v[73:74], v[81:82], v[77:78]
	v_div_fmas_f64 v[73:74], v[73:74], v[75:76], v[81:82]
	v_div_fixup_f64 v[73:74], v[73:74], v[3:4], 1.0
	v_mul_f64 v[3:4], v[1:2], -v[73:74]
	v_xor_b32_e32 v2, 0x80000000, v74
	v_mov_b32_e32 v1, v73
.LBB33_17:
	s_or_b32 exec_lo, exec_lo, s5
	v_mov_b32_e32 v78, s46
	buffer_store_dword v74, v80, s[0:3], 0 offen offset:4
	buffer_store_dword v73, v80, s[0:3], 0 offen
	buffer_store_dword v4, v80, s[0:3], 0 offen offset:12
	buffer_store_dword v3, v80, s[0:3], 0 offen offset:8
	v_xor_b32_e32 v4, 0x80000000, v4
	v_add_nc_u32_e32 v73, 0x220, v79
	s_clause 0x3
	buffer_load_dword v77, v78, s[0:3], 0 offen offset:12
	buffer_load_dword v76, v78, s[0:3], 0 offen offset:8
	;; [unrolled: 1-line block ×3, first 2 shown]
	buffer_load_dword v74, v78, s[0:3], 0 offen
	ds_write_b128 v79, v[1:4]
	s_waitcnt vmcnt(0)
	ds_write_b128 v79, v[74:77] offset:544
	s_waitcnt lgkmcnt(0)
	s_waitcnt_vscnt null, 0x0
	s_barrier
	buffer_gl0_inv
	s_and_saveexec_b32 s5, s4
	s_cbranch_execz .LBB33_19
; %bb.18:
	s_clause 0x3
	buffer_load_dword v81, v80, s[0:3], 0 offen offset:8
	buffer_load_dword v82, v80, s[0:3], 0 offen offset:12
	buffer_load_dword v83, v80, s[0:3], 0 offen
	buffer_load_dword v84, v80, s[0:3], 0 offen offset:4
	ds_read_b128 v[1:4], v73
	v_mov_b32_e32 v74, 0
	ds_read_b128 v[74:77], v74 offset:16
	s_waitcnt vmcnt(2) lgkmcnt(1)
	v_mul_f64 v[85:86], v[1:2], v[81:82]
	v_mul_f64 v[81:82], v[3:4], v[81:82]
	s_waitcnt vmcnt(0)
	v_fma_f64 v[3:4], v[3:4], v[83:84], v[85:86]
	v_fma_f64 v[1:2], v[1:2], v[83:84], -v[81:82]
	v_add_f64 v[3:4], v[3:4], 0
	v_add_f64 v[1:2], v[1:2], 0
	s_waitcnt lgkmcnt(0)
	v_mul_f64 v[81:82], v[3:4], v[76:77]
	v_mul_f64 v[76:77], v[1:2], v[76:77]
	v_fma_f64 v[1:2], v[1:2], v[74:75], -v[81:82]
	v_fma_f64 v[3:4], v[3:4], v[74:75], v[76:77]
	buffer_store_dword v1, off, s[0:3], 0 offset:32
	buffer_store_dword v2, off, s[0:3], 0 offset:36
	;; [unrolled: 1-line block ×4, first 2 shown]
.LBB33_19:
	s_or_b32 exec_lo, exec_lo, s5
	v_mov_b32_e32 v4, s45
	s_waitcnt_vscnt null, 0x0
	s_barrier
	buffer_gl0_inv
	s_mov_b32 s5, exec_lo
	s_clause 0x3
	buffer_load_dword v1, v4, s[0:3], 0 offen
	buffer_load_dword v2, v4, s[0:3], 0 offen offset:4
	buffer_load_dword v3, v4, s[0:3], 0 offen offset:8
	;; [unrolled: 1-line block ×3, first 2 shown]
	s_waitcnt vmcnt(0)
	ds_write_b128 v73, v[1:4]
	s_waitcnt lgkmcnt(0)
	s_barrier
	buffer_gl0_inv
	v_cmpx_gt_u32_e32 2, v0
	s_cbranch_execz .LBB33_23
; %bb.20:
	s_clause 0x3
	buffer_load_dword v74, v80, s[0:3], 0 offen offset:8
	buffer_load_dword v75, v80, s[0:3], 0 offen offset:12
	buffer_load_dword v76, v80, s[0:3], 0 offen
	buffer_load_dword v77, v80, s[0:3], 0 offen offset:4
	ds_read_b128 v[1:4], v73
	s_waitcnt vmcnt(2) lgkmcnt(0)
	v_mul_f64 v[80:81], v[3:4], v[74:75]
	v_mul_f64 v[74:75], v[1:2], v[74:75]
	s_waitcnt vmcnt(0)
	v_fma_f64 v[1:2], v[1:2], v[76:77], -v[80:81]
	v_fma_f64 v[3:4], v[3:4], v[76:77], v[74:75]
	v_add_f64 v[1:2], v[1:2], 0
	v_add_f64 v[3:4], v[3:4], 0
	s_and_saveexec_b32 s47, s4
	s_cbranch_execz .LBB33_22
; %bb.21:
	s_clause 0x3
	buffer_load_dword v80, off, s[0:3], 0 offset:40
	buffer_load_dword v81, off, s[0:3], 0 offset:44
	;; [unrolled: 1-line block ×4, first 2 shown]
	v_mov_b32_e32 v74, 0
	ds_read_b128 v[74:77], v74 offset:560
	s_waitcnt vmcnt(2) lgkmcnt(0)
	v_mul_f64 v[84:85], v[74:75], v[80:81]
	v_mul_f64 v[80:81], v[76:77], v[80:81]
	s_waitcnt vmcnt(0)
	v_fma_f64 v[76:77], v[76:77], v[82:83], v[84:85]
	v_fma_f64 v[74:75], v[74:75], v[82:83], -v[80:81]
	v_add_f64 v[3:4], v[3:4], v[76:77]
	v_add_f64 v[1:2], v[1:2], v[74:75]
.LBB33_22:
	s_or_b32 exec_lo, exec_lo, s47
	v_mov_b32_e32 v74, 0
	ds_read_b128 v[74:77], v74 offset:32
	s_waitcnt lgkmcnt(0)
	v_mul_f64 v[80:81], v[3:4], v[76:77]
	v_mul_f64 v[76:77], v[1:2], v[76:77]
	v_fma_f64 v[1:2], v[1:2], v[74:75], -v[80:81]
	v_fma_f64 v[3:4], v[3:4], v[74:75], v[76:77]
	buffer_store_dword v2, off, s[0:3], 0 offset:52
	buffer_store_dword v1, off, s[0:3], 0 offset:48
	buffer_store_dword v4, off, s[0:3], 0 offset:60
	buffer_store_dword v3, off, s[0:3], 0 offset:56
.LBB33_23:
	s_or_b32 exec_lo, exec_lo, s5
	v_mov_b32_e32 v4, s44
	s_waitcnt_vscnt null, 0x0
	s_barrier
	buffer_gl0_inv
	v_add_nc_u32_e32 v74, -1, v0
	s_clause 0x3
	buffer_load_dword v1, v4, s[0:3], 0 offen
	buffer_load_dword v2, v4, s[0:3], 0 offen offset:4
	buffer_load_dword v3, v4, s[0:3], 0 offen offset:8
	;; [unrolled: 1-line block ×3, first 2 shown]
	s_mov_b32 s4, exec_lo
	s_waitcnt vmcnt(0)
	ds_write_b128 v73, v[1:4]
	s_waitcnt lgkmcnt(0)
	s_barrier
	buffer_gl0_inv
	v_cmpx_gt_u32_e32 3, v0
	s_cbranch_execz .LBB33_27
; %bb.24:
	v_mov_b32_e32 v1, 0
	v_mov_b32_e32 v3, 0
	v_add_nc_u32_e32 v75, -1, v0
	v_add_nc_u32_e32 v76, 0x220, v79
	v_mov_b32_e32 v2, 0
	v_mov_b32_e32 v4, 0
	v_add_nc_u32_e32 v77, 16, v79
	s_mov_b32 s5, 0
	.p2align	6
.LBB33_25:                              ; =>This Inner Loop Header: Depth=1
	s_clause 0x3
	buffer_load_dword v84, v77, s[0:3], 0 offen offset:8
	buffer_load_dword v85, v77, s[0:3], 0 offen offset:12
	buffer_load_dword v86, v77, s[0:3], 0 offen
	buffer_load_dword v87, v77, s[0:3], 0 offen offset:4
	ds_read_b128 v[80:83], v76
	v_add_nc_u32_e32 v75, 1, v75
	v_add_nc_u32_e32 v76, 16, v76
	;; [unrolled: 1-line block ×3, first 2 shown]
	v_cmp_lt_u32_e32 vcc_lo, 1, v75
	s_or_b32 s5, vcc_lo, s5
	s_waitcnt vmcnt(2) lgkmcnt(0)
	v_mul_f64 v[88:89], v[82:83], v[84:85]
	v_mul_f64 v[84:85], v[80:81], v[84:85]
	s_waitcnt vmcnt(0)
	v_fma_f64 v[80:81], v[80:81], v[86:87], -v[88:89]
	v_fma_f64 v[82:83], v[82:83], v[86:87], v[84:85]
	v_add_f64 v[3:4], v[3:4], v[80:81]
	v_add_f64 v[1:2], v[1:2], v[82:83]
	s_andn2_b32 exec_lo, exec_lo, s5
	s_cbranch_execnz .LBB33_25
; %bb.26:
	s_or_b32 exec_lo, exec_lo, s5
	v_mov_b32_e32 v75, 0
	ds_read_b128 v[75:78], v75 offset:48
	s_waitcnt lgkmcnt(0)
	v_mul_f64 v[80:81], v[1:2], v[77:78]
	v_mul_f64 v[77:78], v[3:4], v[77:78]
	v_fma_f64 v[3:4], v[3:4], v[75:76], -v[80:81]
	v_fma_f64 v[1:2], v[1:2], v[75:76], v[77:78]
	buffer_store_dword v4, off, s[0:3], 0 offset:68
	buffer_store_dword v3, off, s[0:3], 0 offset:64
	;; [unrolled: 1-line block ×4, first 2 shown]
.LBB33_27:
	s_or_b32 exec_lo, exec_lo, s4
	v_mov_b32_e32 v4, s42
	s_waitcnt_vscnt null, 0x0
	s_barrier
	buffer_gl0_inv
	s_mov_b32 s4, exec_lo
	s_clause 0x3
	buffer_load_dword v1, v4, s[0:3], 0 offen
	buffer_load_dword v2, v4, s[0:3], 0 offen offset:4
	buffer_load_dword v3, v4, s[0:3], 0 offen offset:8
	buffer_load_dword v4, v4, s[0:3], 0 offen offset:12
	s_waitcnt vmcnt(0)
	ds_write_b128 v73, v[1:4]
	s_waitcnt lgkmcnt(0)
	s_barrier
	buffer_gl0_inv
	v_cmpx_gt_u32_e32 4, v0
	s_cbranch_execz .LBB33_31
; %bb.28:
	v_mov_b32_e32 v1, 0
	v_mov_b32_e32 v3, 0
	v_add_nc_u32_e32 v75, -1, v0
	v_add_nc_u32_e32 v76, 0x220, v79
	v_mov_b32_e32 v2, 0
	v_mov_b32_e32 v4, 0
	v_add_nc_u32_e32 v77, 16, v79
	s_mov_b32 s5, 0
	.p2align	6
.LBB33_29:                              ; =>This Inner Loop Header: Depth=1
	s_clause 0x3
	buffer_load_dword v84, v77, s[0:3], 0 offen offset:8
	buffer_load_dword v85, v77, s[0:3], 0 offen offset:12
	buffer_load_dword v86, v77, s[0:3], 0 offen
	buffer_load_dword v87, v77, s[0:3], 0 offen offset:4
	ds_read_b128 v[80:83], v76
	v_add_nc_u32_e32 v75, 1, v75
	v_add_nc_u32_e32 v76, 16, v76
	;; [unrolled: 1-line block ×3, first 2 shown]
	v_cmp_lt_u32_e32 vcc_lo, 2, v75
	s_or_b32 s5, vcc_lo, s5
	s_waitcnt vmcnt(2) lgkmcnt(0)
	v_mul_f64 v[88:89], v[82:83], v[84:85]
	v_mul_f64 v[84:85], v[80:81], v[84:85]
	s_waitcnt vmcnt(0)
	v_fma_f64 v[80:81], v[80:81], v[86:87], -v[88:89]
	v_fma_f64 v[82:83], v[82:83], v[86:87], v[84:85]
	v_add_f64 v[3:4], v[3:4], v[80:81]
	v_add_f64 v[1:2], v[1:2], v[82:83]
	s_andn2_b32 exec_lo, exec_lo, s5
	s_cbranch_execnz .LBB33_29
; %bb.30:
	s_or_b32 exec_lo, exec_lo, s5
	v_mov_b32_e32 v75, 0
	ds_read_b128 v[75:78], v75 offset:64
	s_waitcnt lgkmcnt(0)
	v_mul_f64 v[80:81], v[1:2], v[77:78]
	v_mul_f64 v[77:78], v[3:4], v[77:78]
	v_fma_f64 v[3:4], v[3:4], v[75:76], -v[80:81]
	v_fma_f64 v[1:2], v[1:2], v[75:76], v[77:78]
	buffer_store_dword v4, off, s[0:3], 0 offset:84
	buffer_store_dword v3, off, s[0:3], 0 offset:80
	;; [unrolled: 1-line block ×4, first 2 shown]
.LBB33_31:
	s_or_b32 exec_lo, exec_lo, s4
	v_mov_b32_e32 v4, s41
	s_waitcnt_vscnt null, 0x0
	s_barrier
	buffer_gl0_inv
	s_mov_b32 s4, exec_lo
	s_clause 0x3
	buffer_load_dword v1, v4, s[0:3], 0 offen
	buffer_load_dword v2, v4, s[0:3], 0 offen offset:4
	buffer_load_dword v3, v4, s[0:3], 0 offen offset:8
	;; [unrolled: 1-line block ×3, first 2 shown]
	s_waitcnt vmcnt(0)
	ds_write_b128 v73, v[1:4]
	s_waitcnt lgkmcnt(0)
	s_barrier
	buffer_gl0_inv
	v_cmpx_gt_u32_e32 5, v0
	s_cbranch_execz .LBB33_35
; %bb.32:
	v_mov_b32_e32 v1, 0
	v_mov_b32_e32 v3, 0
	v_add_nc_u32_e32 v75, -1, v0
	v_add_nc_u32_e32 v76, 0x220, v79
	v_mov_b32_e32 v2, 0
	v_mov_b32_e32 v4, 0
	v_add_nc_u32_e32 v77, 16, v79
	s_mov_b32 s5, 0
	.p2align	6
.LBB33_33:                              ; =>This Inner Loop Header: Depth=1
	s_clause 0x3
	buffer_load_dword v84, v77, s[0:3], 0 offen offset:8
	buffer_load_dword v85, v77, s[0:3], 0 offen offset:12
	buffer_load_dword v86, v77, s[0:3], 0 offen
	buffer_load_dword v87, v77, s[0:3], 0 offen offset:4
	ds_read_b128 v[80:83], v76
	v_add_nc_u32_e32 v75, 1, v75
	v_add_nc_u32_e32 v76, 16, v76
	v_add_nc_u32_e32 v77, 16, v77
	v_cmp_lt_u32_e32 vcc_lo, 3, v75
	s_or_b32 s5, vcc_lo, s5
	s_waitcnt vmcnt(2) lgkmcnt(0)
	v_mul_f64 v[88:89], v[82:83], v[84:85]
	v_mul_f64 v[84:85], v[80:81], v[84:85]
	s_waitcnt vmcnt(0)
	v_fma_f64 v[80:81], v[80:81], v[86:87], -v[88:89]
	v_fma_f64 v[82:83], v[82:83], v[86:87], v[84:85]
	v_add_f64 v[3:4], v[3:4], v[80:81]
	v_add_f64 v[1:2], v[1:2], v[82:83]
	s_andn2_b32 exec_lo, exec_lo, s5
	s_cbranch_execnz .LBB33_33
; %bb.34:
	s_or_b32 exec_lo, exec_lo, s5
	v_mov_b32_e32 v75, 0
	ds_read_b128 v[75:78], v75 offset:80
	s_waitcnt lgkmcnt(0)
	v_mul_f64 v[80:81], v[1:2], v[77:78]
	v_mul_f64 v[77:78], v[3:4], v[77:78]
	v_fma_f64 v[3:4], v[3:4], v[75:76], -v[80:81]
	v_fma_f64 v[1:2], v[1:2], v[75:76], v[77:78]
	buffer_store_dword v4, off, s[0:3], 0 offset:100
	buffer_store_dword v3, off, s[0:3], 0 offset:96
	;; [unrolled: 1-line block ×4, first 2 shown]
.LBB33_35:
	s_or_b32 exec_lo, exec_lo, s4
	v_mov_b32_e32 v4, s40
	s_waitcnt_vscnt null, 0x0
	s_barrier
	buffer_gl0_inv
	s_mov_b32 s4, exec_lo
	s_clause 0x3
	buffer_load_dword v1, v4, s[0:3], 0 offen
	buffer_load_dword v2, v4, s[0:3], 0 offen offset:4
	buffer_load_dword v3, v4, s[0:3], 0 offen offset:8
	;; [unrolled: 1-line block ×3, first 2 shown]
	s_waitcnt vmcnt(0)
	ds_write_b128 v73, v[1:4]
	s_waitcnt lgkmcnt(0)
	s_barrier
	buffer_gl0_inv
	v_cmpx_gt_u32_e32 6, v0
	s_cbranch_execz .LBB33_39
; %bb.36:
	v_mov_b32_e32 v1, 0
	v_mov_b32_e32 v3, 0
	v_add_nc_u32_e32 v75, -1, v0
	v_add_nc_u32_e32 v76, 0x220, v79
	v_mov_b32_e32 v2, 0
	v_mov_b32_e32 v4, 0
	v_add_nc_u32_e32 v77, 16, v79
	s_mov_b32 s5, 0
	.p2align	6
.LBB33_37:                              ; =>This Inner Loop Header: Depth=1
	s_clause 0x3
	buffer_load_dword v84, v77, s[0:3], 0 offen offset:8
	buffer_load_dword v85, v77, s[0:3], 0 offen offset:12
	buffer_load_dword v86, v77, s[0:3], 0 offen
	buffer_load_dword v87, v77, s[0:3], 0 offen offset:4
	ds_read_b128 v[80:83], v76
	v_add_nc_u32_e32 v75, 1, v75
	v_add_nc_u32_e32 v76, 16, v76
	;; [unrolled: 1-line block ×3, first 2 shown]
	v_cmp_lt_u32_e32 vcc_lo, 4, v75
	s_or_b32 s5, vcc_lo, s5
	s_waitcnt vmcnt(2) lgkmcnt(0)
	v_mul_f64 v[88:89], v[82:83], v[84:85]
	v_mul_f64 v[84:85], v[80:81], v[84:85]
	s_waitcnt vmcnt(0)
	v_fma_f64 v[80:81], v[80:81], v[86:87], -v[88:89]
	v_fma_f64 v[82:83], v[82:83], v[86:87], v[84:85]
	v_add_f64 v[3:4], v[3:4], v[80:81]
	v_add_f64 v[1:2], v[1:2], v[82:83]
	s_andn2_b32 exec_lo, exec_lo, s5
	s_cbranch_execnz .LBB33_37
; %bb.38:
	s_or_b32 exec_lo, exec_lo, s5
	v_mov_b32_e32 v75, 0
	ds_read_b128 v[75:78], v75 offset:96
	s_waitcnt lgkmcnt(0)
	v_mul_f64 v[80:81], v[1:2], v[77:78]
	v_mul_f64 v[77:78], v[3:4], v[77:78]
	v_fma_f64 v[3:4], v[3:4], v[75:76], -v[80:81]
	v_fma_f64 v[1:2], v[1:2], v[75:76], v[77:78]
	buffer_store_dword v4, off, s[0:3], 0 offset:116
	buffer_store_dword v3, off, s[0:3], 0 offset:112
	;; [unrolled: 1-line block ×4, first 2 shown]
.LBB33_39:
	s_or_b32 exec_lo, exec_lo, s4
	v_mov_b32_e32 v4, s39
	s_waitcnt_vscnt null, 0x0
	s_barrier
	buffer_gl0_inv
	s_mov_b32 s4, exec_lo
	s_clause 0x3
	buffer_load_dword v1, v4, s[0:3], 0 offen
	buffer_load_dword v2, v4, s[0:3], 0 offen offset:4
	buffer_load_dword v3, v4, s[0:3], 0 offen offset:8
	;; [unrolled: 1-line block ×3, first 2 shown]
	s_waitcnt vmcnt(0)
	ds_write_b128 v73, v[1:4]
	s_waitcnt lgkmcnt(0)
	s_barrier
	buffer_gl0_inv
	v_cmpx_gt_u32_e32 7, v0
	s_cbranch_execz .LBB33_43
; %bb.40:
	v_mov_b32_e32 v1, 0
	v_mov_b32_e32 v3, 0
	v_add_nc_u32_e32 v75, -1, v0
	v_add_nc_u32_e32 v76, 0x220, v79
	v_mov_b32_e32 v2, 0
	v_mov_b32_e32 v4, 0
	v_add_nc_u32_e32 v77, 16, v79
	s_mov_b32 s5, 0
	.p2align	6
.LBB33_41:                              ; =>This Inner Loop Header: Depth=1
	s_clause 0x3
	buffer_load_dword v84, v77, s[0:3], 0 offen offset:8
	buffer_load_dword v85, v77, s[0:3], 0 offen offset:12
	buffer_load_dword v86, v77, s[0:3], 0 offen
	buffer_load_dword v87, v77, s[0:3], 0 offen offset:4
	ds_read_b128 v[80:83], v76
	v_add_nc_u32_e32 v75, 1, v75
	v_add_nc_u32_e32 v76, 16, v76
	;; [unrolled: 1-line block ×3, first 2 shown]
	v_cmp_lt_u32_e32 vcc_lo, 5, v75
	s_or_b32 s5, vcc_lo, s5
	s_waitcnt vmcnt(2) lgkmcnt(0)
	v_mul_f64 v[88:89], v[82:83], v[84:85]
	v_mul_f64 v[84:85], v[80:81], v[84:85]
	s_waitcnt vmcnt(0)
	v_fma_f64 v[80:81], v[80:81], v[86:87], -v[88:89]
	v_fma_f64 v[82:83], v[82:83], v[86:87], v[84:85]
	v_add_f64 v[3:4], v[3:4], v[80:81]
	v_add_f64 v[1:2], v[1:2], v[82:83]
	s_andn2_b32 exec_lo, exec_lo, s5
	s_cbranch_execnz .LBB33_41
; %bb.42:
	s_or_b32 exec_lo, exec_lo, s5
	v_mov_b32_e32 v75, 0
	ds_read_b128 v[75:78], v75 offset:112
	s_waitcnt lgkmcnt(0)
	v_mul_f64 v[80:81], v[1:2], v[77:78]
	v_mul_f64 v[77:78], v[3:4], v[77:78]
	v_fma_f64 v[3:4], v[3:4], v[75:76], -v[80:81]
	v_fma_f64 v[1:2], v[1:2], v[75:76], v[77:78]
	buffer_store_dword v4, off, s[0:3], 0 offset:132
	buffer_store_dword v3, off, s[0:3], 0 offset:128
	;; [unrolled: 1-line block ×4, first 2 shown]
.LBB33_43:
	s_or_b32 exec_lo, exec_lo, s4
	v_mov_b32_e32 v4, s38
	s_waitcnt_vscnt null, 0x0
	s_barrier
	buffer_gl0_inv
	s_mov_b32 s4, exec_lo
	s_clause 0x3
	buffer_load_dword v1, v4, s[0:3], 0 offen
	buffer_load_dword v2, v4, s[0:3], 0 offen offset:4
	buffer_load_dword v3, v4, s[0:3], 0 offen offset:8
	;; [unrolled: 1-line block ×3, first 2 shown]
	s_waitcnt vmcnt(0)
	ds_write_b128 v73, v[1:4]
	s_waitcnt lgkmcnt(0)
	s_barrier
	buffer_gl0_inv
	v_cmpx_gt_u32_e32 8, v0
	s_cbranch_execz .LBB33_47
; %bb.44:
	v_mov_b32_e32 v1, 0
	v_mov_b32_e32 v3, 0
	v_add_nc_u32_e32 v75, -1, v0
	v_add_nc_u32_e32 v76, 0x220, v79
	v_mov_b32_e32 v2, 0
	v_mov_b32_e32 v4, 0
	v_add_nc_u32_e32 v77, 16, v79
	s_mov_b32 s5, 0
	.p2align	6
.LBB33_45:                              ; =>This Inner Loop Header: Depth=1
	s_clause 0x3
	buffer_load_dword v84, v77, s[0:3], 0 offen offset:8
	buffer_load_dword v85, v77, s[0:3], 0 offen offset:12
	buffer_load_dword v86, v77, s[0:3], 0 offen
	buffer_load_dword v87, v77, s[0:3], 0 offen offset:4
	ds_read_b128 v[80:83], v76
	v_add_nc_u32_e32 v75, 1, v75
	v_add_nc_u32_e32 v76, 16, v76
	;; [unrolled: 1-line block ×3, first 2 shown]
	v_cmp_lt_u32_e32 vcc_lo, 6, v75
	s_or_b32 s5, vcc_lo, s5
	s_waitcnt vmcnt(2) lgkmcnt(0)
	v_mul_f64 v[88:89], v[82:83], v[84:85]
	v_mul_f64 v[84:85], v[80:81], v[84:85]
	s_waitcnt vmcnt(0)
	v_fma_f64 v[80:81], v[80:81], v[86:87], -v[88:89]
	v_fma_f64 v[82:83], v[82:83], v[86:87], v[84:85]
	v_add_f64 v[3:4], v[3:4], v[80:81]
	v_add_f64 v[1:2], v[1:2], v[82:83]
	s_andn2_b32 exec_lo, exec_lo, s5
	s_cbranch_execnz .LBB33_45
; %bb.46:
	s_or_b32 exec_lo, exec_lo, s5
	v_mov_b32_e32 v75, 0
	ds_read_b128 v[75:78], v75 offset:128
	s_waitcnt lgkmcnt(0)
	v_mul_f64 v[80:81], v[1:2], v[77:78]
	v_mul_f64 v[77:78], v[3:4], v[77:78]
	v_fma_f64 v[3:4], v[3:4], v[75:76], -v[80:81]
	v_fma_f64 v[1:2], v[1:2], v[75:76], v[77:78]
	buffer_store_dword v4, off, s[0:3], 0 offset:148
	buffer_store_dword v3, off, s[0:3], 0 offset:144
	;; [unrolled: 1-line block ×4, first 2 shown]
.LBB33_47:
	s_or_b32 exec_lo, exec_lo, s4
	v_mov_b32_e32 v4, s37
	s_waitcnt_vscnt null, 0x0
	s_barrier
	buffer_gl0_inv
	s_mov_b32 s4, exec_lo
	s_clause 0x3
	buffer_load_dword v1, v4, s[0:3], 0 offen
	buffer_load_dword v2, v4, s[0:3], 0 offen offset:4
	buffer_load_dword v3, v4, s[0:3], 0 offen offset:8
	;; [unrolled: 1-line block ×3, first 2 shown]
	s_waitcnt vmcnt(0)
	ds_write_b128 v73, v[1:4]
	s_waitcnt lgkmcnt(0)
	s_barrier
	buffer_gl0_inv
	v_cmpx_gt_u32_e32 9, v0
	s_cbranch_execz .LBB33_51
; %bb.48:
	v_mov_b32_e32 v1, 0
	v_mov_b32_e32 v3, 0
	v_add_nc_u32_e32 v75, -1, v0
	v_add_nc_u32_e32 v76, 0x220, v79
	v_mov_b32_e32 v2, 0
	v_mov_b32_e32 v4, 0
	v_add_nc_u32_e32 v77, 16, v79
	s_mov_b32 s5, 0
	.p2align	6
.LBB33_49:                              ; =>This Inner Loop Header: Depth=1
	s_clause 0x3
	buffer_load_dword v84, v77, s[0:3], 0 offen offset:8
	buffer_load_dword v85, v77, s[0:3], 0 offen offset:12
	buffer_load_dword v86, v77, s[0:3], 0 offen
	buffer_load_dword v87, v77, s[0:3], 0 offen offset:4
	ds_read_b128 v[80:83], v76
	v_add_nc_u32_e32 v75, 1, v75
	v_add_nc_u32_e32 v76, 16, v76
	;; [unrolled: 1-line block ×3, first 2 shown]
	v_cmp_lt_u32_e32 vcc_lo, 7, v75
	s_or_b32 s5, vcc_lo, s5
	s_waitcnt vmcnt(2) lgkmcnt(0)
	v_mul_f64 v[88:89], v[82:83], v[84:85]
	v_mul_f64 v[84:85], v[80:81], v[84:85]
	s_waitcnt vmcnt(0)
	v_fma_f64 v[80:81], v[80:81], v[86:87], -v[88:89]
	v_fma_f64 v[82:83], v[82:83], v[86:87], v[84:85]
	v_add_f64 v[3:4], v[3:4], v[80:81]
	v_add_f64 v[1:2], v[1:2], v[82:83]
	s_andn2_b32 exec_lo, exec_lo, s5
	s_cbranch_execnz .LBB33_49
; %bb.50:
	s_or_b32 exec_lo, exec_lo, s5
	v_mov_b32_e32 v75, 0
	ds_read_b128 v[75:78], v75 offset:144
	s_waitcnt lgkmcnt(0)
	v_mul_f64 v[80:81], v[1:2], v[77:78]
	v_mul_f64 v[77:78], v[3:4], v[77:78]
	v_fma_f64 v[3:4], v[3:4], v[75:76], -v[80:81]
	v_fma_f64 v[1:2], v[1:2], v[75:76], v[77:78]
	buffer_store_dword v4, off, s[0:3], 0 offset:164
	buffer_store_dword v3, off, s[0:3], 0 offset:160
	;; [unrolled: 1-line block ×4, first 2 shown]
.LBB33_51:
	s_or_b32 exec_lo, exec_lo, s4
	v_mov_b32_e32 v4, s9
	s_waitcnt_vscnt null, 0x0
	s_barrier
	buffer_gl0_inv
	s_mov_b32 s4, exec_lo
	s_clause 0x3
	buffer_load_dword v1, v4, s[0:3], 0 offen
	buffer_load_dword v2, v4, s[0:3], 0 offen offset:4
	buffer_load_dword v3, v4, s[0:3], 0 offen offset:8
	;; [unrolled: 1-line block ×3, first 2 shown]
	s_waitcnt vmcnt(0)
	ds_write_b128 v73, v[1:4]
	s_waitcnt lgkmcnt(0)
	s_barrier
	buffer_gl0_inv
	v_cmpx_gt_u32_e32 10, v0
	s_cbranch_execz .LBB33_55
; %bb.52:
	v_mov_b32_e32 v1, 0
	v_mov_b32_e32 v3, 0
	v_add_nc_u32_e32 v75, -1, v0
	v_add_nc_u32_e32 v76, 0x220, v79
	v_mov_b32_e32 v2, 0
	v_mov_b32_e32 v4, 0
	v_add_nc_u32_e32 v77, 16, v79
	s_mov_b32 s5, 0
	.p2align	6
.LBB33_53:                              ; =>This Inner Loop Header: Depth=1
	s_clause 0x3
	buffer_load_dword v84, v77, s[0:3], 0 offen offset:8
	buffer_load_dword v85, v77, s[0:3], 0 offen offset:12
	buffer_load_dword v86, v77, s[0:3], 0 offen
	buffer_load_dword v87, v77, s[0:3], 0 offen offset:4
	ds_read_b128 v[80:83], v76
	v_add_nc_u32_e32 v75, 1, v75
	v_add_nc_u32_e32 v76, 16, v76
	;; [unrolled: 1-line block ×3, first 2 shown]
	v_cmp_lt_u32_e32 vcc_lo, 8, v75
	s_or_b32 s5, vcc_lo, s5
	s_waitcnt vmcnt(2) lgkmcnt(0)
	v_mul_f64 v[88:89], v[82:83], v[84:85]
	v_mul_f64 v[84:85], v[80:81], v[84:85]
	s_waitcnt vmcnt(0)
	v_fma_f64 v[80:81], v[80:81], v[86:87], -v[88:89]
	v_fma_f64 v[82:83], v[82:83], v[86:87], v[84:85]
	v_add_f64 v[3:4], v[3:4], v[80:81]
	v_add_f64 v[1:2], v[1:2], v[82:83]
	s_andn2_b32 exec_lo, exec_lo, s5
	s_cbranch_execnz .LBB33_53
; %bb.54:
	s_or_b32 exec_lo, exec_lo, s5
	v_mov_b32_e32 v75, 0
	ds_read_b128 v[75:78], v75 offset:160
	s_waitcnt lgkmcnt(0)
	v_mul_f64 v[80:81], v[1:2], v[77:78]
	v_mul_f64 v[77:78], v[3:4], v[77:78]
	v_fma_f64 v[3:4], v[3:4], v[75:76], -v[80:81]
	v_fma_f64 v[1:2], v[1:2], v[75:76], v[77:78]
	buffer_store_dword v4, off, s[0:3], 0 offset:180
	buffer_store_dword v3, off, s[0:3], 0 offset:176
	;; [unrolled: 1-line block ×4, first 2 shown]
.LBB33_55:
	s_or_b32 exec_lo, exec_lo, s4
	v_mov_b32_e32 v4, s12
	s_waitcnt_vscnt null, 0x0
	s_barrier
	buffer_gl0_inv
	s_mov_b32 s4, exec_lo
	s_clause 0x3
	buffer_load_dword v1, v4, s[0:3], 0 offen
	buffer_load_dword v2, v4, s[0:3], 0 offen offset:4
	buffer_load_dword v3, v4, s[0:3], 0 offen offset:8
	;; [unrolled: 1-line block ×3, first 2 shown]
	s_waitcnt vmcnt(0)
	ds_write_b128 v73, v[1:4]
	s_waitcnt lgkmcnt(0)
	s_barrier
	buffer_gl0_inv
	v_cmpx_gt_u32_e32 11, v0
	s_cbranch_execz .LBB33_59
; %bb.56:
	v_mov_b32_e32 v1, 0
	v_mov_b32_e32 v3, 0
	v_add_nc_u32_e32 v75, -1, v0
	v_add_nc_u32_e32 v76, 0x220, v79
	v_mov_b32_e32 v2, 0
	v_mov_b32_e32 v4, 0
	v_add_nc_u32_e32 v77, 16, v79
	s_mov_b32 s5, 0
	.p2align	6
.LBB33_57:                              ; =>This Inner Loop Header: Depth=1
	s_clause 0x3
	buffer_load_dword v84, v77, s[0:3], 0 offen offset:8
	buffer_load_dword v85, v77, s[0:3], 0 offen offset:12
	buffer_load_dword v86, v77, s[0:3], 0 offen
	buffer_load_dword v87, v77, s[0:3], 0 offen offset:4
	ds_read_b128 v[80:83], v76
	v_add_nc_u32_e32 v75, 1, v75
	v_add_nc_u32_e32 v76, 16, v76
	;; [unrolled: 1-line block ×3, first 2 shown]
	v_cmp_lt_u32_e32 vcc_lo, 9, v75
	s_or_b32 s5, vcc_lo, s5
	s_waitcnt vmcnt(2) lgkmcnt(0)
	v_mul_f64 v[88:89], v[82:83], v[84:85]
	v_mul_f64 v[84:85], v[80:81], v[84:85]
	s_waitcnt vmcnt(0)
	v_fma_f64 v[80:81], v[80:81], v[86:87], -v[88:89]
	v_fma_f64 v[82:83], v[82:83], v[86:87], v[84:85]
	v_add_f64 v[3:4], v[3:4], v[80:81]
	v_add_f64 v[1:2], v[1:2], v[82:83]
	s_andn2_b32 exec_lo, exec_lo, s5
	s_cbranch_execnz .LBB33_57
; %bb.58:
	s_or_b32 exec_lo, exec_lo, s5
	v_mov_b32_e32 v75, 0
	ds_read_b128 v[75:78], v75 offset:176
	s_waitcnt lgkmcnt(0)
	v_mul_f64 v[80:81], v[1:2], v[77:78]
	v_mul_f64 v[77:78], v[3:4], v[77:78]
	v_fma_f64 v[3:4], v[3:4], v[75:76], -v[80:81]
	v_fma_f64 v[1:2], v[1:2], v[75:76], v[77:78]
	buffer_store_dword v4, off, s[0:3], 0 offset:196
	buffer_store_dword v3, off, s[0:3], 0 offset:192
	;; [unrolled: 1-line block ×4, first 2 shown]
.LBB33_59:
	s_or_b32 exec_lo, exec_lo, s4
	v_mov_b32_e32 v4, s13
	s_waitcnt_vscnt null, 0x0
	s_barrier
	buffer_gl0_inv
	s_mov_b32 s4, exec_lo
	s_clause 0x3
	buffer_load_dword v1, v4, s[0:3], 0 offen
	buffer_load_dword v2, v4, s[0:3], 0 offen offset:4
	buffer_load_dword v3, v4, s[0:3], 0 offen offset:8
	;; [unrolled: 1-line block ×3, first 2 shown]
	s_waitcnt vmcnt(0)
	ds_write_b128 v73, v[1:4]
	s_waitcnt lgkmcnt(0)
	s_barrier
	buffer_gl0_inv
	v_cmpx_gt_u32_e32 12, v0
	s_cbranch_execz .LBB33_63
; %bb.60:
	v_mov_b32_e32 v1, 0
	v_mov_b32_e32 v3, 0
	v_add_nc_u32_e32 v75, -1, v0
	v_add_nc_u32_e32 v76, 0x220, v79
	v_mov_b32_e32 v2, 0
	v_mov_b32_e32 v4, 0
	v_add_nc_u32_e32 v77, 16, v79
	s_mov_b32 s5, 0
	.p2align	6
.LBB33_61:                              ; =>This Inner Loop Header: Depth=1
	s_clause 0x3
	buffer_load_dword v84, v77, s[0:3], 0 offen offset:8
	buffer_load_dword v85, v77, s[0:3], 0 offen offset:12
	buffer_load_dword v86, v77, s[0:3], 0 offen
	buffer_load_dword v87, v77, s[0:3], 0 offen offset:4
	ds_read_b128 v[80:83], v76
	v_add_nc_u32_e32 v75, 1, v75
	v_add_nc_u32_e32 v76, 16, v76
	;; [unrolled: 1-line block ×3, first 2 shown]
	v_cmp_lt_u32_e32 vcc_lo, 10, v75
	s_or_b32 s5, vcc_lo, s5
	s_waitcnt vmcnt(2) lgkmcnt(0)
	v_mul_f64 v[88:89], v[82:83], v[84:85]
	v_mul_f64 v[84:85], v[80:81], v[84:85]
	s_waitcnt vmcnt(0)
	v_fma_f64 v[80:81], v[80:81], v[86:87], -v[88:89]
	v_fma_f64 v[82:83], v[82:83], v[86:87], v[84:85]
	v_add_f64 v[3:4], v[3:4], v[80:81]
	v_add_f64 v[1:2], v[1:2], v[82:83]
	s_andn2_b32 exec_lo, exec_lo, s5
	s_cbranch_execnz .LBB33_61
; %bb.62:
	s_or_b32 exec_lo, exec_lo, s5
	v_mov_b32_e32 v75, 0
	ds_read_b128 v[75:78], v75 offset:192
	s_waitcnt lgkmcnt(0)
	v_mul_f64 v[80:81], v[1:2], v[77:78]
	v_mul_f64 v[77:78], v[3:4], v[77:78]
	v_fma_f64 v[3:4], v[3:4], v[75:76], -v[80:81]
	v_fma_f64 v[1:2], v[1:2], v[75:76], v[77:78]
	buffer_store_dword v4, off, s[0:3], 0 offset:212
	buffer_store_dword v3, off, s[0:3], 0 offset:208
	;; [unrolled: 1-line block ×4, first 2 shown]
.LBB33_63:
	s_or_b32 exec_lo, exec_lo, s4
	v_mov_b32_e32 v4, s14
	s_waitcnt_vscnt null, 0x0
	s_barrier
	buffer_gl0_inv
	s_mov_b32 s4, exec_lo
	s_clause 0x3
	buffer_load_dword v1, v4, s[0:3], 0 offen
	buffer_load_dword v2, v4, s[0:3], 0 offen offset:4
	buffer_load_dword v3, v4, s[0:3], 0 offen offset:8
	;; [unrolled: 1-line block ×3, first 2 shown]
	s_waitcnt vmcnt(0)
	ds_write_b128 v73, v[1:4]
	s_waitcnt lgkmcnt(0)
	s_barrier
	buffer_gl0_inv
	v_cmpx_gt_u32_e32 13, v0
	s_cbranch_execz .LBB33_67
; %bb.64:
	v_mov_b32_e32 v1, 0
	v_mov_b32_e32 v3, 0
	v_add_nc_u32_e32 v75, -1, v0
	v_add_nc_u32_e32 v76, 0x220, v79
	v_mov_b32_e32 v2, 0
	v_mov_b32_e32 v4, 0
	v_add_nc_u32_e32 v77, 16, v79
	s_mov_b32 s5, 0
	.p2align	6
.LBB33_65:                              ; =>This Inner Loop Header: Depth=1
	s_clause 0x3
	buffer_load_dword v84, v77, s[0:3], 0 offen offset:8
	buffer_load_dword v85, v77, s[0:3], 0 offen offset:12
	buffer_load_dword v86, v77, s[0:3], 0 offen
	buffer_load_dword v87, v77, s[0:3], 0 offen offset:4
	ds_read_b128 v[80:83], v76
	v_add_nc_u32_e32 v75, 1, v75
	v_add_nc_u32_e32 v76, 16, v76
	;; [unrolled: 1-line block ×3, first 2 shown]
	v_cmp_lt_u32_e32 vcc_lo, 11, v75
	s_or_b32 s5, vcc_lo, s5
	s_waitcnt vmcnt(2) lgkmcnt(0)
	v_mul_f64 v[88:89], v[82:83], v[84:85]
	v_mul_f64 v[84:85], v[80:81], v[84:85]
	s_waitcnt vmcnt(0)
	v_fma_f64 v[80:81], v[80:81], v[86:87], -v[88:89]
	v_fma_f64 v[82:83], v[82:83], v[86:87], v[84:85]
	v_add_f64 v[3:4], v[3:4], v[80:81]
	v_add_f64 v[1:2], v[1:2], v[82:83]
	s_andn2_b32 exec_lo, exec_lo, s5
	s_cbranch_execnz .LBB33_65
; %bb.66:
	s_or_b32 exec_lo, exec_lo, s5
	v_mov_b32_e32 v75, 0
	ds_read_b128 v[75:78], v75 offset:208
	s_waitcnt lgkmcnt(0)
	v_mul_f64 v[80:81], v[1:2], v[77:78]
	v_mul_f64 v[77:78], v[3:4], v[77:78]
	v_fma_f64 v[3:4], v[3:4], v[75:76], -v[80:81]
	v_fma_f64 v[1:2], v[1:2], v[75:76], v[77:78]
	buffer_store_dword v4, off, s[0:3], 0 offset:228
	buffer_store_dword v3, off, s[0:3], 0 offset:224
	;; [unrolled: 1-line block ×4, first 2 shown]
.LBB33_67:
	s_or_b32 exec_lo, exec_lo, s4
	v_mov_b32_e32 v4, s15
	s_waitcnt_vscnt null, 0x0
	s_barrier
	buffer_gl0_inv
	s_mov_b32 s4, exec_lo
	s_clause 0x3
	buffer_load_dword v1, v4, s[0:3], 0 offen
	buffer_load_dword v2, v4, s[0:3], 0 offen offset:4
	buffer_load_dword v3, v4, s[0:3], 0 offen offset:8
	;; [unrolled: 1-line block ×3, first 2 shown]
	s_waitcnt vmcnt(0)
	ds_write_b128 v73, v[1:4]
	s_waitcnt lgkmcnt(0)
	s_barrier
	buffer_gl0_inv
	v_cmpx_gt_u32_e32 14, v0
	s_cbranch_execz .LBB33_71
; %bb.68:
	v_mov_b32_e32 v1, 0
	v_mov_b32_e32 v3, 0
	v_add_nc_u32_e32 v75, -1, v0
	v_add_nc_u32_e32 v76, 0x220, v79
	v_mov_b32_e32 v2, 0
	v_mov_b32_e32 v4, 0
	v_add_nc_u32_e32 v77, 16, v79
	s_mov_b32 s5, 0
	.p2align	6
.LBB33_69:                              ; =>This Inner Loop Header: Depth=1
	s_clause 0x3
	buffer_load_dword v84, v77, s[0:3], 0 offen offset:8
	buffer_load_dword v85, v77, s[0:3], 0 offen offset:12
	buffer_load_dword v86, v77, s[0:3], 0 offen
	buffer_load_dword v87, v77, s[0:3], 0 offen offset:4
	ds_read_b128 v[80:83], v76
	v_add_nc_u32_e32 v75, 1, v75
	v_add_nc_u32_e32 v76, 16, v76
	;; [unrolled: 1-line block ×3, first 2 shown]
	v_cmp_lt_u32_e32 vcc_lo, 12, v75
	s_or_b32 s5, vcc_lo, s5
	s_waitcnt vmcnt(2) lgkmcnt(0)
	v_mul_f64 v[88:89], v[82:83], v[84:85]
	v_mul_f64 v[84:85], v[80:81], v[84:85]
	s_waitcnt vmcnt(0)
	v_fma_f64 v[80:81], v[80:81], v[86:87], -v[88:89]
	v_fma_f64 v[82:83], v[82:83], v[86:87], v[84:85]
	v_add_f64 v[3:4], v[3:4], v[80:81]
	v_add_f64 v[1:2], v[1:2], v[82:83]
	s_andn2_b32 exec_lo, exec_lo, s5
	s_cbranch_execnz .LBB33_69
; %bb.70:
	s_or_b32 exec_lo, exec_lo, s5
	v_mov_b32_e32 v75, 0
	ds_read_b128 v[75:78], v75 offset:224
	s_waitcnt lgkmcnt(0)
	v_mul_f64 v[80:81], v[1:2], v[77:78]
	v_mul_f64 v[77:78], v[3:4], v[77:78]
	v_fma_f64 v[3:4], v[3:4], v[75:76], -v[80:81]
	v_fma_f64 v[1:2], v[1:2], v[75:76], v[77:78]
	buffer_store_dword v4, off, s[0:3], 0 offset:244
	buffer_store_dword v3, off, s[0:3], 0 offset:240
	;; [unrolled: 1-line block ×4, first 2 shown]
.LBB33_71:
	s_or_b32 exec_lo, exec_lo, s4
	v_mov_b32_e32 v4, s16
	s_waitcnt_vscnt null, 0x0
	s_barrier
	buffer_gl0_inv
	s_mov_b32 s4, exec_lo
	s_clause 0x3
	buffer_load_dword v1, v4, s[0:3], 0 offen
	buffer_load_dword v2, v4, s[0:3], 0 offen offset:4
	buffer_load_dword v3, v4, s[0:3], 0 offen offset:8
	;; [unrolled: 1-line block ×3, first 2 shown]
	s_waitcnt vmcnt(0)
	ds_write_b128 v73, v[1:4]
	s_waitcnt lgkmcnt(0)
	s_barrier
	buffer_gl0_inv
	v_cmpx_gt_u32_e32 15, v0
	s_cbranch_execz .LBB33_75
; %bb.72:
	v_mov_b32_e32 v1, 0
	v_mov_b32_e32 v3, 0
	v_add_nc_u32_e32 v75, -1, v0
	v_add_nc_u32_e32 v76, 0x220, v79
	v_mov_b32_e32 v2, 0
	v_mov_b32_e32 v4, 0
	v_add_nc_u32_e32 v77, 16, v79
	s_mov_b32 s5, 0
	.p2align	6
.LBB33_73:                              ; =>This Inner Loop Header: Depth=1
	s_clause 0x3
	buffer_load_dword v84, v77, s[0:3], 0 offen offset:8
	buffer_load_dword v85, v77, s[0:3], 0 offen offset:12
	buffer_load_dword v86, v77, s[0:3], 0 offen
	buffer_load_dword v87, v77, s[0:3], 0 offen offset:4
	ds_read_b128 v[80:83], v76
	v_add_nc_u32_e32 v75, 1, v75
	v_add_nc_u32_e32 v76, 16, v76
	;; [unrolled: 1-line block ×3, first 2 shown]
	v_cmp_lt_u32_e32 vcc_lo, 13, v75
	s_or_b32 s5, vcc_lo, s5
	s_waitcnt vmcnt(2) lgkmcnt(0)
	v_mul_f64 v[88:89], v[82:83], v[84:85]
	v_mul_f64 v[84:85], v[80:81], v[84:85]
	s_waitcnt vmcnt(0)
	v_fma_f64 v[80:81], v[80:81], v[86:87], -v[88:89]
	v_fma_f64 v[82:83], v[82:83], v[86:87], v[84:85]
	v_add_f64 v[3:4], v[3:4], v[80:81]
	v_add_f64 v[1:2], v[1:2], v[82:83]
	s_andn2_b32 exec_lo, exec_lo, s5
	s_cbranch_execnz .LBB33_73
; %bb.74:
	s_or_b32 exec_lo, exec_lo, s5
	v_mov_b32_e32 v75, 0
	ds_read_b128 v[75:78], v75 offset:240
	s_waitcnt lgkmcnt(0)
	v_mul_f64 v[80:81], v[1:2], v[77:78]
	v_mul_f64 v[77:78], v[3:4], v[77:78]
	v_fma_f64 v[3:4], v[3:4], v[75:76], -v[80:81]
	v_fma_f64 v[1:2], v[1:2], v[75:76], v[77:78]
	buffer_store_dword v4, off, s[0:3], 0 offset:260
	buffer_store_dword v3, off, s[0:3], 0 offset:256
	;; [unrolled: 1-line block ×4, first 2 shown]
.LBB33_75:
	s_or_b32 exec_lo, exec_lo, s4
	v_mov_b32_e32 v4, s17
	s_waitcnt_vscnt null, 0x0
	s_barrier
	buffer_gl0_inv
	s_mov_b32 s4, exec_lo
	s_clause 0x3
	buffer_load_dword v1, v4, s[0:3], 0 offen
	buffer_load_dword v2, v4, s[0:3], 0 offen offset:4
	buffer_load_dword v3, v4, s[0:3], 0 offen offset:8
	;; [unrolled: 1-line block ×3, first 2 shown]
	s_waitcnt vmcnt(0)
	ds_write_b128 v73, v[1:4]
	s_waitcnt lgkmcnt(0)
	s_barrier
	buffer_gl0_inv
	v_cmpx_gt_u32_e32 16, v0
	s_cbranch_execz .LBB33_79
; %bb.76:
	v_mov_b32_e32 v1, 0
	v_mov_b32_e32 v3, 0
	v_add_nc_u32_e32 v75, -1, v0
	v_add_nc_u32_e32 v76, 0x220, v79
	v_mov_b32_e32 v2, 0
	v_mov_b32_e32 v4, 0
	v_add_nc_u32_e32 v77, 16, v79
	s_mov_b32 s5, 0
	.p2align	6
.LBB33_77:                              ; =>This Inner Loop Header: Depth=1
	s_clause 0x3
	buffer_load_dword v84, v77, s[0:3], 0 offen offset:8
	buffer_load_dword v85, v77, s[0:3], 0 offen offset:12
	buffer_load_dword v86, v77, s[0:3], 0 offen
	buffer_load_dword v87, v77, s[0:3], 0 offen offset:4
	ds_read_b128 v[80:83], v76
	v_add_nc_u32_e32 v75, 1, v75
	v_add_nc_u32_e32 v76, 16, v76
	;; [unrolled: 1-line block ×3, first 2 shown]
	v_cmp_lt_u32_e32 vcc_lo, 14, v75
	s_or_b32 s5, vcc_lo, s5
	s_waitcnt vmcnt(2) lgkmcnt(0)
	v_mul_f64 v[88:89], v[82:83], v[84:85]
	v_mul_f64 v[84:85], v[80:81], v[84:85]
	s_waitcnt vmcnt(0)
	v_fma_f64 v[80:81], v[80:81], v[86:87], -v[88:89]
	v_fma_f64 v[82:83], v[82:83], v[86:87], v[84:85]
	v_add_f64 v[3:4], v[3:4], v[80:81]
	v_add_f64 v[1:2], v[1:2], v[82:83]
	s_andn2_b32 exec_lo, exec_lo, s5
	s_cbranch_execnz .LBB33_77
; %bb.78:
	s_or_b32 exec_lo, exec_lo, s5
	v_mov_b32_e32 v75, 0
	ds_read_b128 v[75:78], v75 offset:256
	s_waitcnt lgkmcnt(0)
	v_mul_f64 v[80:81], v[1:2], v[77:78]
	v_mul_f64 v[77:78], v[3:4], v[77:78]
	v_fma_f64 v[3:4], v[3:4], v[75:76], -v[80:81]
	v_fma_f64 v[1:2], v[1:2], v[75:76], v[77:78]
	buffer_store_dword v4, off, s[0:3], 0 offset:276
	buffer_store_dword v3, off, s[0:3], 0 offset:272
	;; [unrolled: 1-line block ×4, first 2 shown]
.LBB33_79:
	s_or_b32 exec_lo, exec_lo, s4
	v_mov_b32_e32 v4, s18
	s_waitcnt_vscnt null, 0x0
	s_barrier
	buffer_gl0_inv
	s_mov_b32 s4, exec_lo
	s_clause 0x3
	buffer_load_dword v1, v4, s[0:3], 0 offen
	buffer_load_dword v2, v4, s[0:3], 0 offen offset:4
	buffer_load_dword v3, v4, s[0:3], 0 offen offset:8
	buffer_load_dword v4, v4, s[0:3], 0 offen offset:12
	s_waitcnt vmcnt(0)
	ds_write_b128 v73, v[1:4]
	s_waitcnt lgkmcnt(0)
	s_barrier
	buffer_gl0_inv
	v_cmpx_gt_u32_e32 17, v0
	s_cbranch_execz .LBB33_83
; %bb.80:
	v_mov_b32_e32 v1, 0
	v_mov_b32_e32 v3, 0
	v_add_nc_u32_e32 v75, -1, v0
	v_add_nc_u32_e32 v76, 0x220, v79
	v_mov_b32_e32 v2, 0
	v_mov_b32_e32 v4, 0
	v_add_nc_u32_e32 v77, 16, v79
	s_mov_b32 s5, 0
	.p2align	6
.LBB33_81:                              ; =>This Inner Loop Header: Depth=1
	s_clause 0x3
	buffer_load_dword v84, v77, s[0:3], 0 offen offset:8
	buffer_load_dword v85, v77, s[0:3], 0 offen offset:12
	buffer_load_dword v86, v77, s[0:3], 0 offen
	buffer_load_dword v87, v77, s[0:3], 0 offen offset:4
	ds_read_b128 v[80:83], v76
	v_add_nc_u32_e32 v75, 1, v75
	v_add_nc_u32_e32 v76, 16, v76
	;; [unrolled: 1-line block ×3, first 2 shown]
	v_cmp_lt_u32_e32 vcc_lo, 15, v75
	s_or_b32 s5, vcc_lo, s5
	s_waitcnt vmcnt(2) lgkmcnt(0)
	v_mul_f64 v[88:89], v[82:83], v[84:85]
	v_mul_f64 v[84:85], v[80:81], v[84:85]
	s_waitcnt vmcnt(0)
	v_fma_f64 v[80:81], v[80:81], v[86:87], -v[88:89]
	v_fma_f64 v[82:83], v[82:83], v[86:87], v[84:85]
	v_add_f64 v[3:4], v[3:4], v[80:81]
	v_add_f64 v[1:2], v[1:2], v[82:83]
	s_andn2_b32 exec_lo, exec_lo, s5
	s_cbranch_execnz .LBB33_81
; %bb.82:
	s_or_b32 exec_lo, exec_lo, s5
	v_mov_b32_e32 v75, 0
	ds_read_b128 v[75:78], v75 offset:272
	s_waitcnt lgkmcnt(0)
	v_mul_f64 v[80:81], v[1:2], v[77:78]
	v_mul_f64 v[77:78], v[3:4], v[77:78]
	v_fma_f64 v[3:4], v[3:4], v[75:76], -v[80:81]
	v_fma_f64 v[1:2], v[1:2], v[75:76], v[77:78]
	buffer_store_dword v4, off, s[0:3], 0 offset:292
	buffer_store_dword v3, off, s[0:3], 0 offset:288
	;; [unrolled: 1-line block ×4, first 2 shown]
.LBB33_83:
	s_or_b32 exec_lo, exec_lo, s4
	v_mov_b32_e32 v4, s19
	s_waitcnt_vscnt null, 0x0
	s_barrier
	buffer_gl0_inv
	s_mov_b32 s4, exec_lo
	s_clause 0x3
	buffer_load_dword v1, v4, s[0:3], 0 offen
	buffer_load_dword v2, v4, s[0:3], 0 offen offset:4
	buffer_load_dword v3, v4, s[0:3], 0 offen offset:8
	buffer_load_dword v4, v4, s[0:3], 0 offen offset:12
	s_waitcnt vmcnt(0)
	ds_write_b128 v73, v[1:4]
	s_waitcnt lgkmcnt(0)
	s_barrier
	buffer_gl0_inv
	v_cmpx_gt_u32_e32 18, v0
	s_cbranch_execz .LBB33_87
; %bb.84:
	v_mov_b32_e32 v1, 0
	v_mov_b32_e32 v3, 0
	v_add_nc_u32_e32 v75, -1, v0
	v_add_nc_u32_e32 v76, 0x220, v79
	v_mov_b32_e32 v2, 0
	v_mov_b32_e32 v4, 0
	v_add_nc_u32_e32 v77, 16, v79
	s_mov_b32 s5, 0
	.p2align	6
.LBB33_85:                              ; =>This Inner Loop Header: Depth=1
	s_clause 0x3
	buffer_load_dword v84, v77, s[0:3], 0 offen offset:8
	buffer_load_dword v85, v77, s[0:3], 0 offen offset:12
	buffer_load_dword v86, v77, s[0:3], 0 offen
	buffer_load_dword v87, v77, s[0:3], 0 offen offset:4
	ds_read_b128 v[80:83], v76
	v_add_nc_u32_e32 v75, 1, v75
	v_add_nc_u32_e32 v76, 16, v76
	;; [unrolled: 1-line block ×3, first 2 shown]
	v_cmp_lt_u32_e32 vcc_lo, 16, v75
	s_or_b32 s5, vcc_lo, s5
	s_waitcnt vmcnt(2) lgkmcnt(0)
	v_mul_f64 v[88:89], v[82:83], v[84:85]
	v_mul_f64 v[84:85], v[80:81], v[84:85]
	s_waitcnt vmcnt(0)
	v_fma_f64 v[80:81], v[80:81], v[86:87], -v[88:89]
	v_fma_f64 v[82:83], v[82:83], v[86:87], v[84:85]
	v_add_f64 v[3:4], v[3:4], v[80:81]
	v_add_f64 v[1:2], v[1:2], v[82:83]
	s_andn2_b32 exec_lo, exec_lo, s5
	s_cbranch_execnz .LBB33_85
; %bb.86:
	s_or_b32 exec_lo, exec_lo, s5
	v_mov_b32_e32 v75, 0
	ds_read_b128 v[75:78], v75 offset:288
	s_waitcnt lgkmcnt(0)
	v_mul_f64 v[80:81], v[1:2], v[77:78]
	v_mul_f64 v[77:78], v[3:4], v[77:78]
	v_fma_f64 v[3:4], v[3:4], v[75:76], -v[80:81]
	v_fma_f64 v[1:2], v[1:2], v[75:76], v[77:78]
	buffer_store_dword v4, off, s[0:3], 0 offset:308
	buffer_store_dword v3, off, s[0:3], 0 offset:304
	;; [unrolled: 1-line block ×4, first 2 shown]
.LBB33_87:
	s_or_b32 exec_lo, exec_lo, s4
	v_mov_b32_e32 v4, s22
	s_waitcnt_vscnt null, 0x0
	s_barrier
	buffer_gl0_inv
	s_mov_b32 s4, exec_lo
	s_clause 0x3
	buffer_load_dword v1, v4, s[0:3], 0 offen
	buffer_load_dword v2, v4, s[0:3], 0 offen offset:4
	buffer_load_dword v3, v4, s[0:3], 0 offen offset:8
	;; [unrolled: 1-line block ×3, first 2 shown]
	s_waitcnt vmcnt(0)
	ds_write_b128 v73, v[1:4]
	s_waitcnt lgkmcnt(0)
	s_barrier
	buffer_gl0_inv
	v_cmpx_gt_u32_e32 19, v0
	s_cbranch_execz .LBB33_91
; %bb.88:
	v_mov_b32_e32 v1, 0
	v_mov_b32_e32 v3, 0
	v_add_nc_u32_e32 v75, -1, v0
	v_add_nc_u32_e32 v76, 0x220, v79
	v_mov_b32_e32 v2, 0
	v_mov_b32_e32 v4, 0
	v_add_nc_u32_e32 v77, 16, v79
	s_mov_b32 s5, 0
	.p2align	6
.LBB33_89:                              ; =>This Inner Loop Header: Depth=1
	s_clause 0x3
	buffer_load_dword v84, v77, s[0:3], 0 offen offset:8
	buffer_load_dword v85, v77, s[0:3], 0 offen offset:12
	buffer_load_dword v86, v77, s[0:3], 0 offen
	buffer_load_dword v87, v77, s[0:3], 0 offen offset:4
	ds_read_b128 v[80:83], v76
	v_add_nc_u32_e32 v75, 1, v75
	v_add_nc_u32_e32 v76, 16, v76
	;; [unrolled: 1-line block ×3, first 2 shown]
	v_cmp_lt_u32_e32 vcc_lo, 17, v75
	s_or_b32 s5, vcc_lo, s5
	s_waitcnt vmcnt(2) lgkmcnt(0)
	v_mul_f64 v[88:89], v[82:83], v[84:85]
	v_mul_f64 v[84:85], v[80:81], v[84:85]
	s_waitcnt vmcnt(0)
	v_fma_f64 v[80:81], v[80:81], v[86:87], -v[88:89]
	v_fma_f64 v[82:83], v[82:83], v[86:87], v[84:85]
	v_add_f64 v[3:4], v[3:4], v[80:81]
	v_add_f64 v[1:2], v[1:2], v[82:83]
	s_andn2_b32 exec_lo, exec_lo, s5
	s_cbranch_execnz .LBB33_89
; %bb.90:
	s_or_b32 exec_lo, exec_lo, s5
	v_mov_b32_e32 v75, 0
	ds_read_b128 v[75:78], v75 offset:304
	s_waitcnt lgkmcnt(0)
	v_mul_f64 v[80:81], v[1:2], v[77:78]
	v_mul_f64 v[77:78], v[3:4], v[77:78]
	v_fma_f64 v[3:4], v[3:4], v[75:76], -v[80:81]
	v_fma_f64 v[1:2], v[1:2], v[75:76], v[77:78]
	buffer_store_dword v4, off, s[0:3], 0 offset:324
	buffer_store_dword v3, off, s[0:3], 0 offset:320
	buffer_store_dword v2, off, s[0:3], 0 offset:332
	buffer_store_dword v1, off, s[0:3], 0 offset:328
.LBB33_91:
	s_or_b32 exec_lo, exec_lo, s4
	v_mov_b32_e32 v4, s23
	s_waitcnt_vscnt null, 0x0
	s_barrier
	buffer_gl0_inv
	s_mov_b32 s4, exec_lo
	s_clause 0x3
	buffer_load_dword v1, v4, s[0:3], 0 offen
	buffer_load_dword v2, v4, s[0:3], 0 offen offset:4
	buffer_load_dword v3, v4, s[0:3], 0 offen offset:8
	;; [unrolled: 1-line block ×3, first 2 shown]
	s_waitcnt vmcnt(0)
	ds_write_b128 v73, v[1:4]
	s_waitcnt lgkmcnt(0)
	s_barrier
	buffer_gl0_inv
	v_cmpx_gt_u32_e32 20, v0
	s_cbranch_execz .LBB33_95
; %bb.92:
	v_mov_b32_e32 v1, 0
	v_mov_b32_e32 v3, 0
	v_add_nc_u32_e32 v75, -1, v0
	v_add_nc_u32_e32 v76, 0x220, v79
	v_mov_b32_e32 v2, 0
	v_mov_b32_e32 v4, 0
	v_add_nc_u32_e32 v77, 16, v79
	s_mov_b32 s5, 0
	.p2align	6
.LBB33_93:                              ; =>This Inner Loop Header: Depth=1
	s_clause 0x3
	buffer_load_dword v84, v77, s[0:3], 0 offen offset:8
	buffer_load_dword v85, v77, s[0:3], 0 offen offset:12
	buffer_load_dword v86, v77, s[0:3], 0 offen
	buffer_load_dword v87, v77, s[0:3], 0 offen offset:4
	ds_read_b128 v[80:83], v76
	v_add_nc_u32_e32 v75, 1, v75
	v_add_nc_u32_e32 v76, 16, v76
	;; [unrolled: 1-line block ×3, first 2 shown]
	v_cmp_lt_u32_e32 vcc_lo, 18, v75
	s_or_b32 s5, vcc_lo, s5
	s_waitcnt vmcnt(2) lgkmcnt(0)
	v_mul_f64 v[88:89], v[82:83], v[84:85]
	v_mul_f64 v[84:85], v[80:81], v[84:85]
	s_waitcnt vmcnt(0)
	v_fma_f64 v[80:81], v[80:81], v[86:87], -v[88:89]
	v_fma_f64 v[82:83], v[82:83], v[86:87], v[84:85]
	v_add_f64 v[3:4], v[3:4], v[80:81]
	v_add_f64 v[1:2], v[1:2], v[82:83]
	s_andn2_b32 exec_lo, exec_lo, s5
	s_cbranch_execnz .LBB33_93
; %bb.94:
	s_or_b32 exec_lo, exec_lo, s5
	v_mov_b32_e32 v75, 0
	ds_read_b128 v[75:78], v75 offset:320
	s_waitcnt lgkmcnt(0)
	v_mul_f64 v[80:81], v[1:2], v[77:78]
	v_mul_f64 v[77:78], v[3:4], v[77:78]
	v_fma_f64 v[3:4], v[3:4], v[75:76], -v[80:81]
	v_fma_f64 v[1:2], v[1:2], v[75:76], v[77:78]
	buffer_store_dword v4, off, s[0:3], 0 offset:340
	buffer_store_dword v3, off, s[0:3], 0 offset:336
	buffer_store_dword v2, off, s[0:3], 0 offset:348
	buffer_store_dword v1, off, s[0:3], 0 offset:344
.LBB33_95:
	s_or_b32 exec_lo, exec_lo, s4
	v_mov_b32_e32 v4, s24
	s_waitcnt_vscnt null, 0x0
	s_barrier
	buffer_gl0_inv
	s_mov_b32 s4, exec_lo
	s_clause 0x3
	buffer_load_dword v1, v4, s[0:3], 0 offen
	buffer_load_dword v2, v4, s[0:3], 0 offen offset:4
	buffer_load_dword v3, v4, s[0:3], 0 offen offset:8
	;; [unrolled: 1-line block ×3, first 2 shown]
	s_waitcnt vmcnt(0)
	ds_write_b128 v73, v[1:4]
	s_waitcnt lgkmcnt(0)
	s_barrier
	buffer_gl0_inv
	v_cmpx_gt_u32_e32 21, v0
	s_cbranch_execz .LBB33_99
; %bb.96:
	v_mov_b32_e32 v1, 0
	v_mov_b32_e32 v3, 0
	v_add_nc_u32_e32 v75, -1, v0
	v_add_nc_u32_e32 v76, 0x220, v79
	v_mov_b32_e32 v2, 0
	v_mov_b32_e32 v4, 0
	v_add_nc_u32_e32 v77, 16, v79
	s_mov_b32 s5, 0
	.p2align	6
.LBB33_97:                              ; =>This Inner Loop Header: Depth=1
	s_clause 0x3
	buffer_load_dword v84, v77, s[0:3], 0 offen offset:8
	buffer_load_dword v85, v77, s[0:3], 0 offen offset:12
	buffer_load_dword v86, v77, s[0:3], 0 offen
	buffer_load_dword v87, v77, s[0:3], 0 offen offset:4
	ds_read_b128 v[80:83], v76
	v_add_nc_u32_e32 v75, 1, v75
	v_add_nc_u32_e32 v76, 16, v76
	;; [unrolled: 1-line block ×3, first 2 shown]
	v_cmp_lt_u32_e32 vcc_lo, 19, v75
	s_or_b32 s5, vcc_lo, s5
	s_waitcnt vmcnt(2) lgkmcnt(0)
	v_mul_f64 v[88:89], v[82:83], v[84:85]
	v_mul_f64 v[84:85], v[80:81], v[84:85]
	s_waitcnt vmcnt(0)
	v_fma_f64 v[80:81], v[80:81], v[86:87], -v[88:89]
	v_fma_f64 v[82:83], v[82:83], v[86:87], v[84:85]
	v_add_f64 v[3:4], v[3:4], v[80:81]
	v_add_f64 v[1:2], v[1:2], v[82:83]
	s_andn2_b32 exec_lo, exec_lo, s5
	s_cbranch_execnz .LBB33_97
; %bb.98:
	s_or_b32 exec_lo, exec_lo, s5
	v_mov_b32_e32 v75, 0
	ds_read_b128 v[75:78], v75 offset:336
	s_waitcnt lgkmcnt(0)
	v_mul_f64 v[80:81], v[1:2], v[77:78]
	v_mul_f64 v[77:78], v[3:4], v[77:78]
	v_fma_f64 v[3:4], v[3:4], v[75:76], -v[80:81]
	v_fma_f64 v[1:2], v[1:2], v[75:76], v[77:78]
	buffer_store_dword v4, off, s[0:3], 0 offset:356
	buffer_store_dword v3, off, s[0:3], 0 offset:352
	buffer_store_dword v2, off, s[0:3], 0 offset:364
	buffer_store_dword v1, off, s[0:3], 0 offset:360
.LBB33_99:
	s_or_b32 exec_lo, exec_lo, s4
	v_mov_b32_e32 v4, s25
	s_waitcnt_vscnt null, 0x0
	s_barrier
	buffer_gl0_inv
	s_mov_b32 s4, exec_lo
	s_clause 0x3
	buffer_load_dword v1, v4, s[0:3], 0 offen
	buffer_load_dword v2, v4, s[0:3], 0 offen offset:4
	buffer_load_dword v3, v4, s[0:3], 0 offen offset:8
	;; [unrolled: 1-line block ×3, first 2 shown]
	s_waitcnt vmcnt(0)
	ds_write_b128 v73, v[1:4]
	s_waitcnt lgkmcnt(0)
	s_barrier
	buffer_gl0_inv
	v_cmpx_gt_u32_e32 22, v0
	s_cbranch_execz .LBB33_103
; %bb.100:
	v_mov_b32_e32 v1, 0
	v_mov_b32_e32 v3, 0
	v_add_nc_u32_e32 v75, -1, v0
	v_add_nc_u32_e32 v76, 0x220, v79
	v_mov_b32_e32 v2, 0
	v_mov_b32_e32 v4, 0
	v_add_nc_u32_e32 v77, 16, v79
	s_mov_b32 s5, 0
	.p2align	6
.LBB33_101:                             ; =>This Inner Loop Header: Depth=1
	s_clause 0x3
	buffer_load_dword v84, v77, s[0:3], 0 offen offset:8
	buffer_load_dword v85, v77, s[0:3], 0 offen offset:12
	buffer_load_dword v86, v77, s[0:3], 0 offen
	buffer_load_dword v87, v77, s[0:3], 0 offen offset:4
	ds_read_b128 v[80:83], v76
	v_add_nc_u32_e32 v75, 1, v75
	v_add_nc_u32_e32 v76, 16, v76
	;; [unrolled: 1-line block ×3, first 2 shown]
	v_cmp_lt_u32_e32 vcc_lo, 20, v75
	s_or_b32 s5, vcc_lo, s5
	s_waitcnt vmcnt(2) lgkmcnt(0)
	v_mul_f64 v[88:89], v[82:83], v[84:85]
	v_mul_f64 v[84:85], v[80:81], v[84:85]
	s_waitcnt vmcnt(0)
	v_fma_f64 v[80:81], v[80:81], v[86:87], -v[88:89]
	v_fma_f64 v[82:83], v[82:83], v[86:87], v[84:85]
	v_add_f64 v[3:4], v[3:4], v[80:81]
	v_add_f64 v[1:2], v[1:2], v[82:83]
	s_andn2_b32 exec_lo, exec_lo, s5
	s_cbranch_execnz .LBB33_101
; %bb.102:
	s_or_b32 exec_lo, exec_lo, s5
	v_mov_b32_e32 v75, 0
	ds_read_b128 v[75:78], v75 offset:352
	s_waitcnt lgkmcnt(0)
	v_mul_f64 v[80:81], v[1:2], v[77:78]
	v_mul_f64 v[77:78], v[3:4], v[77:78]
	v_fma_f64 v[3:4], v[3:4], v[75:76], -v[80:81]
	v_fma_f64 v[1:2], v[1:2], v[75:76], v[77:78]
	buffer_store_dword v4, off, s[0:3], 0 offset:372
	buffer_store_dword v3, off, s[0:3], 0 offset:368
	;; [unrolled: 1-line block ×4, first 2 shown]
.LBB33_103:
	s_or_b32 exec_lo, exec_lo, s4
	v_mov_b32_e32 v4, s26
	s_waitcnt_vscnt null, 0x0
	s_barrier
	buffer_gl0_inv
	s_mov_b32 s4, exec_lo
	s_clause 0x3
	buffer_load_dword v1, v4, s[0:3], 0 offen
	buffer_load_dword v2, v4, s[0:3], 0 offen offset:4
	buffer_load_dword v3, v4, s[0:3], 0 offen offset:8
	;; [unrolled: 1-line block ×3, first 2 shown]
	s_waitcnt vmcnt(0)
	ds_write_b128 v73, v[1:4]
	s_waitcnt lgkmcnt(0)
	s_barrier
	buffer_gl0_inv
	v_cmpx_gt_u32_e32 23, v0
	s_cbranch_execz .LBB33_107
; %bb.104:
	v_mov_b32_e32 v1, 0
	v_mov_b32_e32 v3, 0
	v_add_nc_u32_e32 v75, -1, v0
	v_add_nc_u32_e32 v76, 0x220, v79
	v_mov_b32_e32 v2, 0
	v_mov_b32_e32 v4, 0
	v_add_nc_u32_e32 v77, 16, v79
	s_mov_b32 s5, 0
	.p2align	6
.LBB33_105:                             ; =>This Inner Loop Header: Depth=1
	s_clause 0x3
	buffer_load_dword v84, v77, s[0:3], 0 offen offset:8
	buffer_load_dword v85, v77, s[0:3], 0 offen offset:12
	buffer_load_dword v86, v77, s[0:3], 0 offen
	buffer_load_dword v87, v77, s[0:3], 0 offen offset:4
	ds_read_b128 v[80:83], v76
	v_add_nc_u32_e32 v75, 1, v75
	v_add_nc_u32_e32 v76, 16, v76
	;; [unrolled: 1-line block ×3, first 2 shown]
	v_cmp_lt_u32_e32 vcc_lo, 21, v75
	s_or_b32 s5, vcc_lo, s5
	s_waitcnt vmcnt(2) lgkmcnt(0)
	v_mul_f64 v[88:89], v[82:83], v[84:85]
	v_mul_f64 v[84:85], v[80:81], v[84:85]
	s_waitcnt vmcnt(0)
	v_fma_f64 v[80:81], v[80:81], v[86:87], -v[88:89]
	v_fma_f64 v[82:83], v[82:83], v[86:87], v[84:85]
	v_add_f64 v[3:4], v[3:4], v[80:81]
	v_add_f64 v[1:2], v[1:2], v[82:83]
	s_andn2_b32 exec_lo, exec_lo, s5
	s_cbranch_execnz .LBB33_105
; %bb.106:
	s_or_b32 exec_lo, exec_lo, s5
	v_mov_b32_e32 v75, 0
	ds_read_b128 v[75:78], v75 offset:368
	s_waitcnt lgkmcnt(0)
	v_mul_f64 v[80:81], v[1:2], v[77:78]
	v_mul_f64 v[77:78], v[3:4], v[77:78]
	v_fma_f64 v[3:4], v[3:4], v[75:76], -v[80:81]
	v_fma_f64 v[1:2], v[1:2], v[75:76], v[77:78]
	buffer_store_dword v4, off, s[0:3], 0 offset:388
	buffer_store_dword v3, off, s[0:3], 0 offset:384
	buffer_store_dword v2, off, s[0:3], 0 offset:396
	buffer_store_dword v1, off, s[0:3], 0 offset:392
.LBB33_107:
	s_or_b32 exec_lo, exec_lo, s4
	v_mov_b32_e32 v4, s27
	s_waitcnt_vscnt null, 0x0
	s_barrier
	buffer_gl0_inv
	s_mov_b32 s4, exec_lo
	s_clause 0x3
	buffer_load_dword v1, v4, s[0:3], 0 offen
	buffer_load_dword v2, v4, s[0:3], 0 offen offset:4
	buffer_load_dword v3, v4, s[0:3], 0 offen offset:8
	;; [unrolled: 1-line block ×3, first 2 shown]
	s_waitcnt vmcnt(0)
	ds_write_b128 v73, v[1:4]
	s_waitcnt lgkmcnt(0)
	s_barrier
	buffer_gl0_inv
	v_cmpx_gt_u32_e32 24, v0
	s_cbranch_execz .LBB33_111
; %bb.108:
	v_mov_b32_e32 v1, 0
	v_mov_b32_e32 v3, 0
	v_add_nc_u32_e32 v75, -1, v0
	v_add_nc_u32_e32 v76, 0x220, v79
	v_mov_b32_e32 v2, 0
	v_mov_b32_e32 v4, 0
	v_add_nc_u32_e32 v77, 16, v79
	s_mov_b32 s5, 0
	.p2align	6
.LBB33_109:                             ; =>This Inner Loop Header: Depth=1
	s_clause 0x3
	buffer_load_dword v84, v77, s[0:3], 0 offen offset:8
	buffer_load_dword v85, v77, s[0:3], 0 offen offset:12
	buffer_load_dword v86, v77, s[0:3], 0 offen
	buffer_load_dword v87, v77, s[0:3], 0 offen offset:4
	ds_read_b128 v[80:83], v76
	v_add_nc_u32_e32 v75, 1, v75
	v_add_nc_u32_e32 v76, 16, v76
	;; [unrolled: 1-line block ×3, first 2 shown]
	v_cmp_lt_u32_e32 vcc_lo, 22, v75
	s_or_b32 s5, vcc_lo, s5
	s_waitcnt vmcnt(2) lgkmcnt(0)
	v_mul_f64 v[88:89], v[82:83], v[84:85]
	v_mul_f64 v[84:85], v[80:81], v[84:85]
	s_waitcnt vmcnt(0)
	v_fma_f64 v[80:81], v[80:81], v[86:87], -v[88:89]
	v_fma_f64 v[82:83], v[82:83], v[86:87], v[84:85]
	v_add_f64 v[3:4], v[3:4], v[80:81]
	v_add_f64 v[1:2], v[1:2], v[82:83]
	s_andn2_b32 exec_lo, exec_lo, s5
	s_cbranch_execnz .LBB33_109
; %bb.110:
	s_or_b32 exec_lo, exec_lo, s5
	v_mov_b32_e32 v75, 0
	ds_read_b128 v[75:78], v75 offset:384
	s_waitcnt lgkmcnt(0)
	v_mul_f64 v[80:81], v[1:2], v[77:78]
	v_mul_f64 v[77:78], v[3:4], v[77:78]
	v_fma_f64 v[3:4], v[3:4], v[75:76], -v[80:81]
	v_fma_f64 v[1:2], v[1:2], v[75:76], v[77:78]
	buffer_store_dword v4, off, s[0:3], 0 offset:404
	buffer_store_dword v3, off, s[0:3], 0 offset:400
	;; [unrolled: 1-line block ×4, first 2 shown]
.LBB33_111:
	s_or_b32 exec_lo, exec_lo, s4
	v_mov_b32_e32 v4, s28
	s_waitcnt_vscnt null, 0x0
	s_barrier
	buffer_gl0_inv
	s_mov_b32 s4, exec_lo
	s_clause 0x3
	buffer_load_dword v1, v4, s[0:3], 0 offen
	buffer_load_dword v2, v4, s[0:3], 0 offen offset:4
	buffer_load_dword v3, v4, s[0:3], 0 offen offset:8
	buffer_load_dword v4, v4, s[0:3], 0 offen offset:12
	s_waitcnt vmcnt(0)
	ds_write_b128 v73, v[1:4]
	s_waitcnt lgkmcnt(0)
	s_barrier
	buffer_gl0_inv
	v_cmpx_gt_u32_e32 25, v0
	s_cbranch_execz .LBB33_115
; %bb.112:
	v_mov_b32_e32 v1, 0
	v_mov_b32_e32 v3, 0
	v_add_nc_u32_e32 v75, -1, v0
	v_add_nc_u32_e32 v76, 0x220, v79
	v_mov_b32_e32 v2, 0
	v_mov_b32_e32 v4, 0
	v_add_nc_u32_e32 v77, 16, v79
	s_mov_b32 s5, 0
	.p2align	6
.LBB33_113:                             ; =>This Inner Loop Header: Depth=1
	s_clause 0x3
	buffer_load_dword v84, v77, s[0:3], 0 offen offset:8
	buffer_load_dword v85, v77, s[0:3], 0 offen offset:12
	buffer_load_dword v86, v77, s[0:3], 0 offen
	buffer_load_dword v87, v77, s[0:3], 0 offen offset:4
	ds_read_b128 v[80:83], v76
	v_add_nc_u32_e32 v75, 1, v75
	v_add_nc_u32_e32 v76, 16, v76
	;; [unrolled: 1-line block ×3, first 2 shown]
	v_cmp_lt_u32_e32 vcc_lo, 23, v75
	s_or_b32 s5, vcc_lo, s5
	s_waitcnt vmcnt(2) lgkmcnt(0)
	v_mul_f64 v[88:89], v[82:83], v[84:85]
	v_mul_f64 v[84:85], v[80:81], v[84:85]
	s_waitcnt vmcnt(0)
	v_fma_f64 v[80:81], v[80:81], v[86:87], -v[88:89]
	v_fma_f64 v[82:83], v[82:83], v[86:87], v[84:85]
	v_add_f64 v[3:4], v[3:4], v[80:81]
	v_add_f64 v[1:2], v[1:2], v[82:83]
	s_andn2_b32 exec_lo, exec_lo, s5
	s_cbranch_execnz .LBB33_113
; %bb.114:
	s_or_b32 exec_lo, exec_lo, s5
	v_mov_b32_e32 v75, 0
	ds_read_b128 v[75:78], v75 offset:400
	s_waitcnt lgkmcnt(0)
	v_mul_f64 v[80:81], v[1:2], v[77:78]
	v_mul_f64 v[77:78], v[3:4], v[77:78]
	v_fma_f64 v[3:4], v[3:4], v[75:76], -v[80:81]
	v_fma_f64 v[1:2], v[1:2], v[75:76], v[77:78]
	buffer_store_dword v4, off, s[0:3], 0 offset:420
	buffer_store_dword v3, off, s[0:3], 0 offset:416
	;; [unrolled: 1-line block ×4, first 2 shown]
.LBB33_115:
	s_or_b32 exec_lo, exec_lo, s4
	v_mov_b32_e32 v4, s29
	s_waitcnt_vscnt null, 0x0
	s_barrier
	buffer_gl0_inv
	s_mov_b32 s4, exec_lo
	s_clause 0x3
	buffer_load_dword v1, v4, s[0:3], 0 offen
	buffer_load_dword v2, v4, s[0:3], 0 offen offset:4
	buffer_load_dword v3, v4, s[0:3], 0 offen offset:8
	;; [unrolled: 1-line block ×3, first 2 shown]
	s_waitcnt vmcnt(0)
	ds_write_b128 v73, v[1:4]
	s_waitcnt lgkmcnt(0)
	s_barrier
	buffer_gl0_inv
	v_cmpx_gt_u32_e32 26, v0
	s_cbranch_execz .LBB33_119
; %bb.116:
	v_mov_b32_e32 v1, 0
	v_mov_b32_e32 v3, 0
	v_add_nc_u32_e32 v75, -1, v0
	v_add_nc_u32_e32 v76, 0x220, v79
	v_mov_b32_e32 v2, 0
	v_mov_b32_e32 v4, 0
	v_add_nc_u32_e32 v77, 16, v79
	s_mov_b32 s5, 0
	.p2align	6
.LBB33_117:                             ; =>This Inner Loop Header: Depth=1
	s_clause 0x3
	buffer_load_dword v84, v77, s[0:3], 0 offen offset:8
	buffer_load_dword v85, v77, s[0:3], 0 offen offset:12
	buffer_load_dword v86, v77, s[0:3], 0 offen
	buffer_load_dword v87, v77, s[0:3], 0 offen offset:4
	ds_read_b128 v[80:83], v76
	v_add_nc_u32_e32 v75, 1, v75
	v_add_nc_u32_e32 v76, 16, v76
	;; [unrolled: 1-line block ×3, first 2 shown]
	v_cmp_lt_u32_e32 vcc_lo, 24, v75
	s_or_b32 s5, vcc_lo, s5
	s_waitcnt vmcnt(2) lgkmcnt(0)
	v_mul_f64 v[88:89], v[82:83], v[84:85]
	v_mul_f64 v[84:85], v[80:81], v[84:85]
	s_waitcnt vmcnt(0)
	v_fma_f64 v[80:81], v[80:81], v[86:87], -v[88:89]
	v_fma_f64 v[82:83], v[82:83], v[86:87], v[84:85]
	v_add_f64 v[3:4], v[3:4], v[80:81]
	v_add_f64 v[1:2], v[1:2], v[82:83]
	s_andn2_b32 exec_lo, exec_lo, s5
	s_cbranch_execnz .LBB33_117
; %bb.118:
	s_or_b32 exec_lo, exec_lo, s5
	v_mov_b32_e32 v75, 0
	ds_read_b128 v[75:78], v75 offset:416
	s_waitcnt lgkmcnt(0)
	v_mul_f64 v[80:81], v[1:2], v[77:78]
	v_mul_f64 v[77:78], v[3:4], v[77:78]
	v_fma_f64 v[3:4], v[3:4], v[75:76], -v[80:81]
	v_fma_f64 v[1:2], v[1:2], v[75:76], v[77:78]
	buffer_store_dword v4, off, s[0:3], 0 offset:436
	buffer_store_dword v3, off, s[0:3], 0 offset:432
	;; [unrolled: 1-line block ×4, first 2 shown]
.LBB33_119:
	s_or_b32 exec_lo, exec_lo, s4
	v_mov_b32_e32 v4, s30
	s_waitcnt_vscnt null, 0x0
	s_barrier
	buffer_gl0_inv
	s_mov_b32 s4, exec_lo
	s_clause 0x3
	buffer_load_dword v1, v4, s[0:3], 0 offen
	buffer_load_dword v2, v4, s[0:3], 0 offen offset:4
	buffer_load_dword v3, v4, s[0:3], 0 offen offset:8
	;; [unrolled: 1-line block ×3, first 2 shown]
	s_waitcnt vmcnt(0)
	ds_write_b128 v73, v[1:4]
	s_waitcnt lgkmcnt(0)
	s_barrier
	buffer_gl0_inv
	v_cmpx_gt_u32_e32 27, v0
	s_cbranch_execz .LBB33_123
; %bb.120:
	v_mov_b32_e32 v1, 0
	v_mov_b32_e32 v3, 0
	v_add_nc_u32_e32 v75, -1, v0
	v_add_nc_u32_e32 v76, 0x220, v79
	v_mov_b32_e32 v2, 0
	v_mov_b32_e32 v4, 0
	v_add_nc_u32_e32 v77, 16, v79
	s_mov_b32 s5, 0
	.p2align	6
.LBB33_121:                             ; =>This Inner Loop Header: Depth=1
	s_clause 0x3
	buffer_load_dword v84, v77, s[0:3], 0 offen offset:8
	buffer_load_dword v85, v77, s[0:3], 0 offen offset:12
	buffer_load_dword v86, v77, s[0:3], 0 offen
	buffer_load_dword v87, v77, s[0:3], 0 offen offset:4
	ds_read_b128 v[80:83], v76
	v_add_nc_u32_e32 v75, 1, v75
	v_add_nc_u32_e32 v76, 16, v76
	;; [unrolled: 1-line block ×3, first 2 shown]
	v_cmp_lt_u32_e32 vcc_lo, 25, v75
	s_or_b32 s5, vcc_lo, s5
	s_waitcnt vmcnt(2) lgkmcnt(0)
	v_mul_f64 v[88:89], v[82:83], v[84:85]
	v_mul_f64 v[84:85], v[80:81], v[84:85]
	s_waitcnt vmcnt(0)
	v_fma_f64 v[80:81], v[80:81], v[86:87], -v[88:89]
	v_fma_f64 v[82:83], v[82:83], v[86:87], v[84:85]
	v_add_f64 v[3:4], v[3:4], v[80:81]
	v_add_f64 v[1:2], v[1:2], v[82:83]
	s_andn2_b32 exec_lo, exec_lo, s5
	s_cbranch_execnz .LBB33_121
; %bb.122:
	s_or_b32 exec_lo, exec_lo, s5
	v_mov_b32_e32 v75, 0
	ds_read_b128 v[75:78], v75 offset:432
	s_waitcnt lgkmcnt(0)
	v_mul_f64 v[80:81], v[1:2], v[77:78]
	v_mul_f64 v[77:78], v[3:4], v[77:78]
	v_fma_f64 v[3:4], v[3:4], v[75:76], -v[80:81]
	v_fma_f64 v[1:2], v[1:2], v[75:76], v[77:78]
	buffer_store_dword v4, off, s[0:3], 0 offset:452
	buffer_store_dword v3, off, s[0:3], 0 offset:448
	;; [unrolled: 1-line block ×4, first 2 shown]
.LBB33_123:
	s_or_b32 exec_lo, exec_lo, s4
	v_mov_b32_e32 v4, s31
	s_waitcnt_vscnt null, 0x0
	s_barrier
	buffer_gl0_inv
	s_mov_b32 s4, exec_lo
	s_clause 0x3
	buffer_load_dword v1, v4, s[0:3], 0 offen
	buffer_load_dword v2, v4, s[0:3], 0 offen offset:4
	buffer_load_dword v3, v4, s[0:3], 0 offen offset:8
	;; [unrolled: 1-line block ×3, first 2 shown]
	s_waitcnt vmcnt(0)
	ds_write_b128 v73, v[1:4]
	s_waitcnt lgkmcnt(0)
	s_barrier
	buffer_gl0_inv
	v_cmpx_gt_u32_e32 28, v0
	s_cbranch_execz .LBB33_127
; %bb.124:
	v_mov_b32_e32 v1, 0
	v_mov_b32_e32 v3, 0
	v_add_nc_u32_e32 v75, -1, v0
	v_add_nc_u32_e32 v76, 0x220, v79
	v_mov_b32_e32 v2, 0
	v_mov_b32_e32 v4, 0
	v_add_nc_u32_e32 v77, 16, v79
	s_mov_b32 s5, 0
	.p2align	6
.LBB33_125:                             ; =>This Inner Loop Header: Depth=1
	s_clause 0x3
	buffer_load_dword v84, v77, s[0:3], 0 offen offset:8
	buffer_load_dword v85, v77, s[0:3], 0 offen offset:12
	buffer_load_dword v86, v77, s[0:3], 0 offen
	buffer_load_dword v87, v77, s[0:3], 0 offen offset:4
	ds_read_b128 v[80:83], v76
	v_add_nc_u32_e32 v75, 1, v75
	v_add_nc_u32_e32 v76, 16, v76
	;; [unrolled: 1-line block ×3, first 2 shown]
	v_cmp_lt_u32_e32 vcc_lo, 26, v75
	s_or_b32 s5, vcc_lo, s5
	s_waitcnt vmcnt(2) lgkmcnt(0)
	v_mul_f64 v[88:89], v[82:83], v[84:85]
	v_mul_f64 v[84:85], v[80:81], v[84:85]
	s_waitcnt vmcnt(0)
	v_fma_f64 v[80:81], v[80:81], v[86:87], -v[88:89]
	v_fma_f64 v[82:83], v[82:83], v[86:87], v[84:85]
	v_add_f64 v[3:4], v[3:4], v[80:81]
	v_add_f64 v[1:2], v[1:2], v[82:83]
	s_andn2_b32 exec_lo, exec_lo, s5
	s_cbranch_execnz .LBB33_125
; %bb.126:
	s_or_b32 exec_lo, exec_lo, s5
	v_mov_b32_e32 v75, 0
	ds_read_b128 v[75:78], v75 offset:448
	s_waitcnt lgkmcnt(0)
	v_mul_f64 v[80:81], v[1:2], v[77:78]
	v_mul_f64 v[77:78], v[3:4], v[77:78]
	v_fma_f64 v[3:4], v[3:4], v[75:76], -v[80:81]
	v_fma_f64 v[1:2], v[1:2], v[75:76], v[77:78]
	buffer_store_dword v4, off, s[0:3], 0 offset:468
	buffer_store_dword v3, off, s[0:3], 0 offset:464
	;; [unrolled: 1-line block ×4, first 2 shown]
.LBB33_127:
	s_or_b32 exec_lo, exec_lo, s4
	v_mov_b32_e32 v4, s33
	s_waitcnt_vscnt null, 0x0
	s_barrier
	buffer_gl0_inv
	s_mov_b32 s4, exec_lo
	s_clause 0x3
	buffer_load_dword v1, v4, s[0:3], 0 offen
	buffer_load_dword v2, v4, s[0:3], 0 offen offset:4
	buffer_load_dword v3, v4, s[0:3], 0 offen offset:8
	;; [unrolled: 1-line block ×3, first 2 shown]
	s_waitcnt vmcnt(0)
	ds_write_b128 v73, v[1:4]
	s_waitcnt lgkmcnt(0)
	s_barrier
	buffer_gl0_inv
	v_cmpx_gt_u32_e32 29, v0
	s_cbranch_execz .LBB33_131
; %bb.128:
	v_mov_b32_e32 v1, 0
	v_mov_b32_e32 v3, 0
	v_add_nc_u32_e32 v75, -1, v0
	v_add_nc_u32_e32 v76, 0x220, v79
	v_mov_b32_e32 v2, 0
	v_mov_b32_e32 v4, 0
	v_add_nc_u32_e32 v77, 16, v79
	s_mov_b32 s5, 0
	.p2align	6
.LBB33_129:                             ; =>This Inner Loop Header: Depth=1
	s_clause 0x3
	buffer_load_dword v84, v77, s[0:3], 0 offen offset:8
	buffer_load_dword v85, v77, s[0:3], 0 offen offset:12
	buffer_load_dword v86, v77, s[0:3], 0 offen
	buffer_load_dword v87, v77, s[0:3], 0 offen offset:4
	ds_read_b128 v[80:83], v76
	v_add_nc_u32_e32 v75, 1, v75
	v_add_nc_u32_e32 v76, 16, v76
	;; [unrolled: 1-line block ×3, first 2 shown]
	v_cmp_lt_u32_e32 vcc_lo, 27, v75
	s_or_b32 s5, vcc_lo, s5
	s_waitcnt vmcnt(2) lgkmcnt(0)
	v_mul_f64 v[88:89], v[82:83], v[84:85]
	v_mul_f64 v[84:85], v[80:81], v[84:85]
	s_waitcnt vmcnt(0)
	v_fma_f64 v[80:81], v[80:81], v[86:87], -v[88:89]
	v_fma_f64 v[82:83], v[82:83], v[86:87], v[84:85]
	v_add_f64 v[3:4], v[3:4], v[80:81]
	v_add_f64 v[1:2], v[1:2], v[82:83]
	s_andn2_b32 exec_lo, exec_lo, s5
	s_cbranch_execnz .LBB33_129
; %bb.130:
	s_or_b32 exec_lo, exec_lo, s5
	v_mov_b32_e32 v75, 0
	ds_read_b128 v[75:78], v75 offset:464
	s_waitcnt lgkmcnt(0)
	v_mul_f64 v[80:81], v[1:2], v[77:78]
	v_mul_f64 v[77:78], v[3:4], v[77:78]
	v_fma_f64 v[3:4], v[3:4], v[75:76], -v[80:81]
	v_fma_f64 v[1:2], v[1:2], v[75:76], v[77:78]
	buffer_store_dword v4, off, s[0:3], 0 offset:484
	buffer_store_dword v3, off, s[0:3], 0 offset:480
	;; [unrolled: 1-line block ×4, first 2 shown]
.LBB33_131:
	s_or_b32 exec_lo, exec_lo, s4
	v_mov_b32_e32 v4, s34
	s_waitcnt_vscnt null, 0x0
	s_barrier
	buffer_gl0_inv
	s_mov_b32 s4, exec_lo
	s_clause 0x3
	buffer_load_dword v1, v4, s[0:3], 0 offen
	buffer_load_dword v2, v4, s[0:3], 0 offen offset:4
	buffer_load_dword v3, v4, s[0:3], 0 offen offset:8
	;; [unrolled: 1-line block ×3, first 2 shown]
	s_waitcnt vmcnt(0)
	ds_write_b128 v73, v[1:4]
	s_waitcnt lgkmcnt(0)
	s_barrier
	buffer_gl0_inv
	v_cmpx_gt_u32_e32 30, v0
	s_cbranch_execz .LBB33_135
; %bb.132:
	v_mov_b32_e32 v1, 0
	v_mov_b32_e32 v3, 0
	v_add_nc_u32_e32 v75, -1, v0
	v_add_nc_u32_e32 v76, 0x220, v79
	v_mov_b32_e32 v2, 0
	v_mov_b32_e32 v4, 0
	v_add_nc_u32_e32 v77, 16, v79
	s_mov_b32 s5, 0
	.p2align	6
.LBB33_133:                             ; =>This Inner Loop Header: Depth=1
	s_clause 0x3
	buffer_load_dword v84, v77, s[0:3], 0 offen offset:8
	buffer_load_dword v85, v77, s[0:3], 0 offen offset:12
	buffer_load_dword v86, v77, s[0:3], 0 offen
	buffer_load_dword v87, v77, s[0:3], 0 offen offset:4
	ds_read_b128 v[80:83], v76
	v_add_nc_u32_e32 v75, 1, v75
	v_add_nc_u32_e32 v76, 16, v76
	v_add_nc_u32_e32 v77, 16, v77
	v_cmp_lt_u32_e32 vcc_lo, 28, v75
	s_or_b32 s5, vcc_lo, s5
	s_waitcnt vmcnt(2) lgkmcnt(0)
	v_mul_f64 v[88:89], v[82:83], v[84:85]
	v_mul_f64 v[84:85], v[80:81], v[84:85]
	s_waitcnt vmcnt(0)
	v_fma_f64 v[80:81], v[80:81], v[86:87], -v[88:89]
	v_fma_f64 v[82:83], v[82:83], v[86:87], v[84:85]
	v_add_f64 v[3:4], v[3:4], v[80:81]
	v_add_f64 v[1:2], v[1:2], v[82:83]
	s_andn2_b32 exec_lo, exec_lo, s5
	s_cbranch_execnz .LBB33_133
; %bb.134:
	s_or_b32 exec_lo, exec_lo, s5
	v_mov_b32_e32 v75, 0
	ds_read_b128 v[75:78], v75 offset:480
	s_waitcnt lgkmcnt(0)
	v_mul_f64 v[80:81], v[1:2], v[77:78]
	v_mul_f64 v[77:78], v[3:4], v[77:78]
	v_fma_f64 v[3:4], v[3:4], v[75:76], -v[80:81]
	v_fma_f64 v[1:2], v[1:2], v[75:76], v[77:78]
	buffer_store_dword v4, off, s[0:3], 0 offset:500
	buffer_store_dword v3, off, s[0:3], 0 offset:496
	;; [unrolled: 1-line block ×4, first 2 shown]
.LBB33_135:
	s_or_b32 exec_lo, exec_lo, s4
	v_mov_b32_e32 v4, s35
	s_waitcnt_vscnt null, 0x0
	s_barrier
	buffer_gl0_inv
	s_mov_b32 s4, exec_lo
	s_clause 0x3
	buffer_load_dword v1, v4, s[0:3], 0 offen
	buffer_load_dword v2, v4, s[0:3], 0 offen offset:4
	buffer_load_dword v3, v4, s[0:3], 0 offen offset:8
	;; [unrolled: 1-line block ×3, first 2 shown]
	s_waitcnt vmcnt(0)
	ds_write_b128 v73, v[1:4]
	s_waitcnt lgkmcnt(0)
	s_barrier
	buffer_gl0_inv
	v_cmpx_gt_u32_e32 31, v0
	s_cbranch_execz .LBB33_139
; %bb.136:
	v_mov_b32_e32 v1, 0
	v_mov_b32_e32 v3, 0
	v_add_nc_u32_e32 v75, -1, v0
	v_add_nc_u32_e32 v76, 0x220, v79
	v_mov_b32_e32 v2, 0
	v_mov_b32_e32 v4, 0
	v_add_nc_u32_e32 v77, 16, v79
	s_mov_b32 s5, 0
	.p2align	6
.LBB33_137:                             ; =>This Inner Loop Header: Depth=1
	s_clause 0x3
	buffer_load_dword v84, v77, s[0:3], 0 offen offset:8
	buffer_load_dword v85, v77, s[0:3], 0 offen offset:12
	buffer_load_dword v86, v77, s[0:3], 0 offen
	buffer_load_dword v87, v77, s[0:3], 0 offen offset:4
	ds_read_b128 v[80:83], v76
	v_add_nc_u32_e32 v75, 1, v75
	v_add_nc_u32_e32 v76, 16, v76
	v_add_nc_u32_e32 v77, 16, v77
	v_cmp_lt_u32_e32 vcc_lo, 29, v75
	s_or_b32 s5, vcc_lo, s5
	s_waitcnt vmcnt(2) lgkmcnt(0)
	v_mul_f64 v[88:89], v[82:83], v[84:85]
	v_mul_f64 v[84:85], v[80:81], v[84:85]
	s_waitcnt vmcnt(0)
	v_fma_f64 v[80:81], v[80:81], v[86:87], -v[88:89]
	v_fma_f64 v[82:83], v[82:83], v[86:87], v[84:85]
	v_add_f64 v[3:4], v[3:4], v[80:81]
	v_add_f64 v[1:2], v[1:2], v[82:83]
	s_andn2_b32 exec_lo, exec_lo, s5
	s_cbranch_execnz .LBB33_137
; %bb.138:
	s_or_b32 exec_lo, exec_lo, s5
	v_mov_b32_e32 v75, 0
	ds_read_b128 v[75:78], v75 offset:496
	s_waitcnt lgkmcnt(0)
	v_mul_f64 v[80:81], v[1:2], v[77:78]
	v_mul_f64 v[77:78], v[3:4], v[77:78]
	v_fma_f64 v[3:4], v[3:4], v[75:76], -v[80:81]
	v_fma_f64 v[1:2], v[1:2], v[75:76], v[77:78]
	buffer_store_dword v4, off, s[0:3], 0 offset:516
	buffer_store_dword v3, off, s[0:3], 0 offset:512
	;; [unrolled: 1-line block ×4, first 2 shown]
.LBB33_139:
	s_or_b32 exec_lo, exec_lo, s4
	v_mov_b32_e32 v4, s36
	s_waitcnt_vscnt null, 0x0
	s_barrier
	buffer_gl0_inv
	s_mov_b32 s4, exec_lo
	s_clause 0x3
	buffer_load_dword v1, v4, s[0:3], 0 offen
	buffer_load_dword v2, v4, s[0:3], 0 offen offset:4
	buffer_load_dword v3, v4, s[0:3], 0 offen offset:8
	;; [unrolled: 1-line block ×3, first 2 shown]
	s_waitcnt vmcnt(0)
	ds_write_b128 v73, v[1:4]
	s_waitcnt lgkmcnt(0)
	s_barrier
	buffer_gl0_inv
	v_cmpx_gt_u32_e32 32, v0
	s_cbranch_execz .LBB33_143
; %bb.140:
	v_mov_b32_e32 v1, 0
	v_mov_b32_e32 v3, 0
	v_add_nc_u32_e32 v75, -1, v0
	v_add_nc_u32_e32 v76, 0x220, v79
	v_mov_b32_e32 v2, 0
	v_mov_b32_e32 v4, 0
	v_add_nc_u32_e32 v77, 16, v79
	s_mov_b32 s5, 0
	.p2align	6
.LBB33_141:                             ; =>This Inner Loop Header: Depth=1
	s_clause 0x3
	buffer_load_dword v84, v77, s[0:3], 0 offen offset:8
	buffer_load_dword v85, v77, s[0:3], 0 offen offset:12
	buffer_load_dword v86, v77, s[0:3], 0 offen
	buffer_load_dword v87, v77, s[0:3], 0 offen offset:4
	ds_read_b128 v[80:83], v76
	v_add_nc_u32_e32 v75, 1, v75
	v_add_nc_u32_e32 v76, 16, v76
	;; [unrolled: 1-line block ×3, first 2 shown]
	v_cmp_lt_u32_e32 vcc_lo, 30, v75
	s_or_b32 s5, vcc_lo, s5
	s_waitcnt vmcnt(2) lgkmcnt(0)
	v_mul_f64 v[88:89], v[82:83], v[84:85]
	v_mul_f64 v[84:85], v[80:81], v[84:85]
	s_waitcnt vmcnt(0)
	v_fma_f64 v[80:81], v[80:81], v[86:87], -v[88:89]
	v_fma_f64 v[82:83], v[82:83], v[86:87], v[84:85]
	v_add_f64 v[3:4], v[3:4], v[80:81]
	v_add_f64 v[1:2], v[1:2], v[82:83]
	s_andn2_b32 exec_lo, exec_lo, s5
	s_cbranch_execnz .LBB33_141
; %bb.142:
	s_or_b32 exec_lo, exec_lo, s5
	v_mov_b32_e32 v75, 0
	ds_read_b128 v[75:78], v75 offset:512
	s_waitcnt lgkmcnt(0)
	v_mul_f64 v[80:81], v[1:2], v[77:78]
	v_mul_f64 v[77:78], v[3:4], v[77:78]
	v_fma_f64 v[3:4], v[3:4], v[75:76], -v[80:81]
	v_fma_f64 v[1:2], v[1:2], v[75:76], v[77:78]
	buffer_store_dword v4, off, s[0:3], 0 offset:532
	buffer_store_dword v3, off, s[0:3], 0 offset:528
	;; [unrolled: 1-line block ×4, first 2 shown]
.LBB33_143:
	s_or_b32 exec_lo, exec_lo, s4
	v_mov_b32_e32 v4, s8
	s_waitcnt_vscnt null, 0x0
	s_barrier
	buffer_gl0_inv
	s_mov_b32 s4, exec_lo
	s_clause 0x3
	buffer_load_dword v1, v4, s[0:3], 0 offen
	buffer_load_dword v2, v4, s[0:3], 0 offen offset:4
	buffer_load_dword v3, v4, s[0:3], 0 offen offset:8
	;; [unrolled: 1-line block ×3, first 2 shown]
	s_waitcnt vmcnt(0)
	ds_write_b128 v73, v[1:4]
	s_waitcnt lgkmcnt(0)
	s_barrier
	buffer_gl0_inv
	v_cmpx_ne_u32_e32 33, v0
	s_cbranch_execz .LBB33_147
; %bb.144:
	v_mov_b32_e32 v1, 0
	v_mov_b32_e32 v3, 0
	;; [unrolled: 1-line block ×4, first 2 shown]
	v_add_nc_u32_e32 v75, 16, v79
	s_mov_b32 s5, 0
	.p2align	6
.LBB33_145:                             ; =>This Inner Loop Header: Depth=1
	s_clause 0x3
	buffer_load_dword v80, v75, s[0:3], 0 offen offset:8
	buffer_load_dword v81, v75, s[0:3], 0 offen offset:12
	buffer_load_dword v82, v75, s[0:3], 0 offen
	buffer_load_dword v83, v75, s[0:3], 0 offen offset:4
	ds_read_b128 v[76:79], v73
	v_add_nc_u32_e32 v74, 1, v74
	v_add_nc_u32_e32 v73, 16, v73
	;; [unrolled: 1-line block ×3, first 2 shown]
	v_cmp_lt_u32_e32 vcc_lo, 31, v74
	s_or_b32 s5, vcc_lo, s5
	s_waitcnt vmcnt(2) lgkmcnt(0)
	v_mul_f64 v[84:85], v[78:79], v[80:81]
	v_mul_f64 v[80:81], v[76:77], v[80:81]
	s_waitcnt vmcnt(0)
	v_fma_f64 v[76:77], v[76:77], v[82:83], -v[84:85]
	v_fma_f64 v[78:79], v[78:79], v[82:83], v[80:81]
	v_add_f64 v[3:4], v[3:4], v[76:77]
	v_add_f64 v[1:2], v[1:2], v[78:79]
	s_andn2_b32 exec_lo, exec_lo, s5
	s_cbranch_execnz .LBB33_145
; %bb.146:
	s_or_b32 exec_lo, exec_lo, s5
	v_mov_b32_e32 v73, 0
	ds_read_b128 v[73:76], v73 offset:528
	s_waitcnt lgkmcnt(0)
	v_mul_f64 v[77:78], v[1:2], v[75:76]
	v_mul_f64 v[75:76], v[3:4], v[75:76]
	v_fma_f64 v[3:4], v[3:4], v[73:74], -v[77:78]
	v_fma_f64 v[1:2], v[1:2], v[73:74], v[75:76]
	buffer_store_dword v4, off, s[0:3], 0 offset:548
	buffer_store_dword v3, off, s[0:3], 0 offset:544
	buffer_store_dword v2, off, s[0:3], 0 offset:556
	buffer_store_dword v1, off, s[0:3], 0 offset:552
.LBB33_147:
	s_or_b32 exec_lo, exec_lo, s4
	s_mov_b32 s5, -1
	s_waitcnt_vscnt null, 0x0
	s_barrier
	buffer_gl0_inv
.LBB33_148:
	s_and_b32 vcc_lo, exec_lo, s5
	s_cbranch_vccz .LBB33_150
; %bb.149:
	s_lshl_b64 s[4:5], s[6:7], 2
	v_mov_b32_e32 v1, 0
	s_add_u32 s4, s10, s4
	s_addc_u32 s5, s11, s5
	global_load_dword v1, v1, s[4:5]
	s_waitcnt vmcnt(0)
	v_cmp_ne_u32_e32 vcc_lo, 0, v1
	s_cbranch_vccz .LBB33_151
.LBB33_150:
	s_endpgm
.LBB33_151:
	v_lshl_add_u32 v101, v0, 4, 0x220
	s_mov_b32 s4, exec_lo
	v_cmpx_eq_u32_e32 33, v0
	s_cbranch_execz .LBB33_153
; %bb.152:
	v_mov_b32_e32 v4, s36
	v_mov_b32_e32 v73, 0
	s_clause 0x3
	buffer_load_dword v1, v4, s[0:3], 0 offen
	buffer_load_dword v2, v4, s[0:3], 0 offen offset:4
	buffer_load_dword v3, v4, s[0:3], 0 offen offset:8
	;; [unrolled: 1-line block ×3, first 2 shown]
	buffer_store_dword v73, off, s[0:3], 0 offset:528
	buffer_store_dword v73, off, s[0:3], 0 offset:532
	;; [unrolled: 1-line block ×4, first 2 shown]
	s_waitcnt vmcnt(0)
	ds_write_b128 v101, v[1:4]
.LBB33_153:
	s_or_b32 exec_lo, exec_lo, s4
	s_waitcnt lgkmcnt(0)
	s_waitcnt_vscnt null, 0x0
	s_barrier
	buffer_gl0_inv
	s_clause 0x7
	buffer_load_dword v2, off, s[0:3], 0 offset:552
	buffer_load_dword v3, off, s[0:3], 0 offset:556
	;; [unrolled: 1-line block ×8, first 2 shown]
	v_mov_b32_e32 v1, 0
	s_mov_b32 s4, exec_lo
	ds_read_b128 v[73:76], v1 offset:1072
	s_waitcnt vmcnt(6) lgkmcnt(0)
	v_mul_f64 v[83:84], v[75:76], v[2:3]
	v_mul_f64 v[2:3], v[73:74], v[2:3]
	s_waitcnt vmcnt(4)
	v_fma_f64 v[73:74], v[73:74], v[77:78], -v[83:84]
	v_fma_f64 v[2:3], v[75:76], v[77:78], v[2:3]
	v_add_f64 v[73:74], v[73:74], 0
	v_add_f64 v[2:3], v[2:3], 0
	s_waitcnt vmcnt(2)
	v_add_f64 v[73:74], v[79:80], -v[73:74]
	s_waitcnt vmcnt(0)
	v_add_f64 v[2:3], v[81:82], -v[2:3]
	buffer_store_dword v73, off, s[0:3], 0 offset:528
	buffer_store_dword v74, off, s[0:3], 0 offset:532
	buffer_store_dword v2, off, s[0:3], 0 offset:536
	buffer_store_dword v3, off, s[0:3], 0 offset:540
	v_cmpx_lt_u32_e32 31, v0
	s_cbranch_execz .LBB33_155
; %bb.154:
	v_mov_b32_e32 v2, s35
	s_clause 0x3
	buffer_load_dword v73, v2, s[0:3], 0 offen
	buffer_load_dword v74, v2, s[0:3], 0 offen offset:4
	buffer_load_dword v75, v2, s[0:3], 0 offen offset:8
	;; [unrolled: 1-line block ×3, first 2 shown]
	buffer_store_dword v1, off, s[0:3], 0 offset:512
	buffer_store_dword v1, off, s[0:3], 0 offset:516
	;; [unrolled: 1-line block ×4, first 2 shown]
	s_waitcnt vmcnt(0)
	ds_write_b128 v101, v[73:76]
.LBB33_155:
	s_or_b32 exec_lo, exec_lo, s4
	s_waitcnt lgkmcnt(0)
	s_waitcnt_vscnt null, 0x0
	s_barrier
	buffer_gl0_inv
	s_clause 0xb
	buffer_load_dword v77, off, s[0:3], 0 offset:536
	buffer_load_dword v78, off, s[0:3], 0 offset:540
	buffer_load_dword v79, off, s[0:3], 0 offset:552
	buffer_load_dword v80, off, s[0:3], 0 offset:556
	buffer_load_dword v81, off, s[0:3], 0 offset:528
	buffer_load_dword v82, off, s[0:3], 0 offset:532
	buffer_load_dword v83, off, s[0:3], 0 offset:544
	buffer_load_dword v84, off, s[0:3], 0 offset:548
	buffer_load_dword v85, off, s[0:3], 0 offset:512
	buffer_load_dword v86, off, s[0:3], 0 offset:516
	buffer_load_dword v87, off, s[0:3], 0 offset:520
	buffer_load_dword v88, off, s[0:3], 0 offset:524
	ds_read_b128 v[73:76], v1 offset:1056
	ds_read_b128 v[1:4], v1 offset:1072
	s_mov_b32 s4, exec_lo
	s_waitcnt vmcnt(10) lgkmcnt(1)
	v_mul_f64 v[89:90], v[75:76], v[77:78]
	v_mul_f64 v[77:78], v[73:74], v[77:78]
	s_waitcnt vmcnt(8) lgkmcnt(0)
	v_mul_f64 v[91:92], v[3:4], v[79:80]
	v_mul_f64 v[79:80], v[1:2], v[79:80]
	s_waitcnt vmcnt(6)
	v_fma_f64 v[73:74], v[73:74], v[81:82], -v[89:90]
	v_fma_f64 v[75:76], v[75:76], v[81:82], v[77:78]
	s_waitcnt vmcnt(4)
	v_fma_f64 v[1:2], v[1:2], v[83:84], -v[91:92]
	v_fma_f64 v[3:4], v[3:4], v[83:84], v[79:80]
	v_add_f64 v[73:74], v[73:74], 0
	v_add_f64 v[75:76], v[75:76], 0
	;; [unrolled: 1-line block ×4, first 2 shown]
	s_waitcnt vmcnt(2)
	v_add_f64 v[1:2], v[85:86], -v[1:2]
	s_waitcnt vmcnt(0)
	v_add_f64 v[3:4], v[87:88], -v[3:4]
	buffer_store_dword v1, off, s[0:3], 0 offset:512
	buffer_store_dword v2, off, s[0:3], 0 offset:516
	;; [unrolled: 1-line block ×4, first 2 shown]
	v_cmpx_lt_u32_e32 30, v0
	s_cbranch_execz .LBB33_157
; %bb.156:
	v_mov_b32_e32 v4, s34
	v_mov_b32_e32 v73, 0
	s_clause 0x3
	buffer_load_dword v1, v4, s[0:3], 0 offen
	buffer_load_dword v2, v4, s[0:3], 0 offen offset:4
	buffer_load_dword v3, v4, s[0:3], 0 offen offset:8
	;; [unrolled: 1-line block ×3, first 2 shown]
	buffer_store_dword v73, off, s[0:3], 0 offset:496
	buffer_store_dword v73, off, s[0:3], 0 offset:500
	;; [unrolled: 1-line block ×4, first 2 shown]
	s_waitcnt vmcnt(0)
	ds_write_b128 v101, v[1:4]
.LBB33_157:
	s_or_b32 exec_lo, exec_lo, s4
	s_waitcnt lgkmcnt(0)
	s_waitcnt_vscnt null, 0x0
	s_barrier
	buffer_gl0_inv
	s_clause 0xf
	buffer_load_dword v2, off, s[0:3], 0 offset:520
	buffer_load_dword v3, off, s[0:3], 0 offset:524
	;; [unrolled: 1-line block ×16, first 2 shown]
	v_mov_b32_e32 v1, 0
	ds_read_b128 v[73:76], v1 offset:1040
	ds_read_b128 v[77:80], v1 offset:1056
	;; [unrolled: 1-line block ×3, first 2 shown]
	s_mov_b32 s4, exec_lo
	s_waitcnt vmcnt(14) lgkmcnt(2)
	v_mul_f64 v[99:100], v[75:76], v[2:3]
	v_mul_f64 v[2:3], v[73:74], v[2:3]
	s_waitcnt vmcnt(12) lgkmcnt(1)
	v_mul_f64 v[102:103], v[79:80], v[85:86]
	v_mul_f64 v[85:86], v[77:78], v[85:86]
	s_waitcnt vmcnt(10)
	v_fma_f64 v[73:74], v[73:74], v[87:88], -v[99:100]
	v_fma_f64 v[2:3], v[75:76], v[87:88], v[2:3]
	s_waitcnt vmcnt(8) lgkmcnt(0)
	v_mul_f64 v[87:88], v[83:84], v[89:90]
	s_waitcnt vmcnt(6)
	v_fma_f64 v[77:78], v[77:78], v[91:92], -v[102:103]
	v_mul_f64 v[75:76], v[81:82], v[89:90]
	v_fma_f64 v[79:80], v[79:80], v[91:92], v[85:86]
	v_add_f64 v[73:74], v[73:74], 0
	v_add_f64 v[2:3], v[2:3], 0
	s_waitcnt vmcnt(4)
	v_fma_f64 v[81:82], v[81:82], v[93:94], -v[87:88]
	v_fma_f64 v[75:76], v[83:84], v[93:94], v[75:76]
	v_add_f64 v[73:74], v[73:74], v[77:78]
	v_add_f64 v[2:3], v[2:3], v[79:80]
	;; [unrolled: 1-line block ×4, first 2 shown]
	s_waitcnt vmcnt(2)
	v_add_f64 v[73:74], v[95:96], -v[73:74]
	s_waitcnt vmcnt(0)
	v_add_f64 v[2:3], v[97:98], -v[2:3]
	buffer_store_dword v73, off, s[0:3], 0 offset:496
	buffer_store_dword v74, off, s[0:3], 0 offset:500
	;; [unrolled: 1-line block ×4, first 2 shown]
	v_cmpx_lt_u32_e32 29, v0
	s_cbranch_execz .LBB33_159
; %bb.158:
	v_mov_b32_e32 v2, s33
	s_clause 0x3
	buffer_load_dword v73, v2, s[0:3], 0 offen
	buffer_load_dword v74, v2, s[0:3], 0 offen offset:4
	buffer_load_dword v75, v2, s[0:3], 0 offen offset:8
	;; [unrolled: 1-line block ×3, first 2 shown]
	buffer_store_dword v1, off, s[0:3], 0 offset:480
	buffer_store_dword v1, off, s[0:3], 0 offset:484
	;; [unrolled: 1-line block ×4, first 2 shown]
	s_waitcnt vmcnt(0)
	ds_write_b128 v101, v[73:76]
.LBB33_159:
	s_or_b32 exec_lo, exec_lo, s4
	s_waitcnt lgkmcnt(0)
	s_waitcnt_vscnt null, 0x0
	s_barrier
	buffer_gl0_inv
	s_clause 0x13
	buffer_load_dword v2, off, s[0:3], 0 offset:504
	buffer_load_dword v3, off, s[0:3], 0 offset:508
	;; [unrolled: 1-line block ×20, first 2 shown]
	ds_read_b128 v[73:76], v1 offset:1024
	ds_read_b128 v[77:80], v1 offset:1040
	;; [unrolled: 1-line block ×3, first 2 shown]
	s_mov_b32 s4, exec_lo
	s_waitcnt vmcnt(18) lgkmcnt(2)
	v_mul_f64 v[104:105], v[75:76], v[2:3]
	v_mul_f64 v[2:3], v[73:74], v[2:3]
	s_waitcnt vmcnt(16) lgkmcnt(1)
	v_mul_f64 v[106:107], v[79:80], v[85:86]
	v_mul_f64 v[85:86], v[77:78], v[85:86]
	s_waitcnt vmcnt(14)
	v_fma_f64 v[73:74], v[73:74], v[87:88], -v[104:105]
	v_fma_f64 v[75:76], v[75:76], v[87:88], v[2:3]
	s_waitcnt vmcnt(12) lgkmcnt(0)
	v_mul_f64 v[87:88], v[81:82], v[89:90]
	v_mul_f64 v[89:90], v[83:84], v[89:90]
	s_waitcnt vmcnt(10)
	v_fma_f64 v[77:78], v[77:78], v[91:92], -v[106:107]
	ds_read_b128 v[1:4], v1 offset:1072
	v_fma_f64 v[79:80], v[79:80], v[91:92], v[85:86]
	v_add_f64 v[73:74], v[73:74], 0
	v_add_f64 v[75:76], v[75:76], 0
	s_waitcnt vmcnt(8) lgkmcnt(0)
	v_mul_f64 v[91:92], v[3:4], v[93:94]
	s_waitcnt vmcnt(6)
	v_fma_f64 v[81:82], v[81:82], v[95:96], -v[89:90]
	v_mul_f64 v[85:86], v[1:2], v[93:94]
	v_add_f64 v[73:74], v[73:74], v[77:78]
	v_fma_f64 v[77:78], v[83:84], v[95:96], v[87:88]
	v_add_f64 v[75:76], v[75:76], v[79:80]
	s_waitcnt vmcnt(4)
	v_fma_f64 v[1:2], v[1:2], v[97:98], -v[91:92]
	v_fma_f64 v[3:4], v[3:4], v[97:98], v[85:86]
	v_add_f64 v[73:74], v[73:74], v[81:82]
	v_add_f64 v[75:76], v[75:76], v[77:78]
	;; [unrolled: 1-line block ×4, first 2 shown]
	s_waitcnt vmcnt(2)
	v_add_f64 v[1:2], v[99:100], -v[1:2]
	s_waitcnt vmcnt(0)
	v_add_f64 v[3:4], v[102:103], -v[3:4]
	buffer_store_dword v1, off, s[0:3], 0 offset:480
	buffer_store_dword v2, off, s[0:3], 0 offset:484
	;; [unrolled: 1-line block ×4, first 2 shown]
	v_cmpx_lt_u32_e32 28, v0
	s_cbranch_execz .LBB33_161
; %bb.160:
	v_mov_b32_e32 v4, s31
	v_mov_b32_e32 v73, 0
	s_clause 0x3
	buffer_load_dword v1, v4, s[0:3], 0 offen
	buffer_load_dword v2, v4, s[0:3], 0 offen offset:4
	buffer_load_dword v3, v4, s[0:3], 0 offen offset:8
	;; [unrolled: 1-line block ×3, first 2 shown]
	buffer_store_dword v73, off, s[0:3], 0 offset:464
	buffer_store_dword v73, off, s[0:3], 0 offset:468
	;; [unrolled: 1-line block ×4, first 2 shown]
	s_waitcnt vmcnt(0)
	ds_write_b128 v101, v[1:4]
.LBB33_161:
	s_or_b32 exec_lo, exec_lo, s4
	s_waitcnt lgkmcnt(0)
	s_waitcnt_vscnt null, 0x0
	s_barrier
	buffer_gl0_inv
	s_clause 0x17
	buffer_load_dword v2, off, s[0:3], 0 offset:488
	buffer_load_dword v3, off, s[0:3], 0 offset:492
	buffer_load_dword v85, off, s[0:3], 0 offset:504
	buffer_load_dword v86, off, s[0:3], 0 offset:508
	buffer_load_dword v87, off, s[0:3], 0 offset:480
	buffer_load_dword v88, off, s[0:3], 0 offset:484
	buffer_load_dword v89, off, s[0:3], 0 offset:520
	buffer_load_dword v90, off, s[0:3], 0 offset:524
	buffer_load_dword v91, off, s[0:3], 0 offset:496
	buffer_load_dword v92, off, s[0:3], 0 offset:500
	buffer_load_dword v94, off, s[0:3], 0 offset:540
	buffer_load_dword v95, off, s[0:3], 0 offset:552
	buffer_load_dword v97, off, s[0:3], 0 offset:544
	buffer_load_dword v93, off, s[0:3], 0 offset:536
	buffer_load_dword v99, off, s[0:3], 0 offset:512
	buffer_load_dword v100, off, s[0:3], 0 offset:516
	buffer_load_dword v96, off, s[0:3], 0 offset:556
	buffer_load_dword v103, off, s[0:3], 0 offset:532
	buffer_load_dword v102, off, s[0:3], 0 offset:528
	buffer_load_dword v98, off, s[0:3], 0 offset:548
	buffer_load_dword v104, off, s[0:3], 0 offset:464
	buffer_load_dword v105, off, s[0:3], 0 offset:468
	buffer_load_dword v106, off, s[0:3], 0 offset:472
	buffer_load_dword v107, off, s[0:3], 0 offset:476
	v_mov_b32_e32 v1, 0
	ds_read_b128 v[73:76], v1 offset:1008
	ds_read_b128 v[77:80], v1 offset:1024
	ds_read_b128 v[81:84], v1 offset:1040
	s_mov_b32 s4, exec_lo
	s_waitcnt vmcnt(22) lgkmcnt(2)
	v_mul_f64 v[108:109], v[75:76], v[2:3]
	v_mul_f64 v[2:3], v[73:74], v[2:3]
	s_waitcnt vmcnt(20) lgkmcnt(1)
	v_mul_f64 v[110:111], v[79:80], v[85:86]
	v_mul_f64 v[85:86], v[77:78], v[85:86]
	s_waitcnt vmcnt(18)
	v_fma_f64 v[108:109], v[73:74], v[87:88], -v[108:109]
	v_fma_f64 v[2:3], v[75:76], v[87:88], v[2:3]
	ds_read_b128 v[73:76], v1 offset:1056
	s_waitcnt vmcnt(16) lgkmcnt(1)
	v_mul_f64 v[87:88], v[81:82], v[89:90]
	v_mul_f64 v[89:90], v[83:84], v[89:90]
	s_waitcnt vmcnt(14)
	v_fma_f64 v[110:111], v[77:78], v[91:92], -v[110:111]
	v_fma_f64 v[85:86], v[79:80], v[91:92], v[85:86]
	ds_read_b128 v[77:80], v1 offset:1072
	s_waitcnt vmcnt(10) lgkmcnt(1)
	v_mul_f64 v[91:92], v[73:74], v[93:94]
	v_add_f64 v[108:109], v[108:109], 0
	v_add_f64 v[2:3], v[2:3], 0
	v_mul_f64 v[93:94], v[75:76], v[93:94]
	s_waitcnt vmcnt(8)
	v_fma_f64 v[81:82], v[81:82], v[99:100], -v[89:90]
	v_fma_f64 v[83:84], v[83:84], v[99:100], v[87:88]
	s_waitcnt vmcnt(7) lgkmcnt(0)
	v_mul_f64 v[87:88], v[79:80], v[95:96]
	s_waitcnt vmcnt(5)
	v_fma_f64 v[75:76], v[75:76], v[102:103], v[91:92]
	v_add_f64 v[89:90], v[108:109], v[110:111]
	v_add_f64 v[2:3], v[2:3], v[85:86]
	v_fma_f64 v[73:74], v[73:74], v[102:103], -v[93:94]
	v_mul_f64 v[85:86], v[77:78], v[95:96]
	s_waitcnt vmcnt(4)
	v_fma_f64 v[77:78], v[77:78], v[97:98], -v[87:88]
	v_add_f64 v[81:82], v[89:90], v[81:82]
	v_add_f64 v[2:3], v[2:3], v[83:84]
	v_fma_f64 v[79:80], v[79:80], v[97:98], v[85:86]
	v_add_f64 v[73:74], v[81:82], v[73:74]
	v_add_f64 v[2:3], v[2:3], v[75:76]
	;; [unrolled: 1-line block ×4, first 2 shown]
	s_waitcnt vmcnt(2)
	v_add_f64 v[73:74], v[104:105], -v[73:74]
	s_waitcnt vmcnt(0)
	v_add_f64 v[2:3], v[106:107], -v[2:3]
	buffer_store_dword v74, off, s[0:3], 0 offset:468
	buffer_store_dword v73, off, s[0:3], 0 offset:464
	buffer_store_dword v3, off, s[0:3], 0 offset:476
	buffer_store_dword v2, off, s[0:3], 0 offset:472
	v_cmpx_lt_u32_e32 27, v0
	s_cbranch_execz .LBB33_163
; %bb.162:
	v_mov_b32_e32 v2, s30
	s_clause 0x3
	buffer_load_dword v73, v2, s[0:3], 0 offen
	buffer_load_dword v74, v2, s[0:3], 0 offen offset:4
	buffer_load_dword v75, v2, s[0:3], 0 offen offset:8
	;; [unrolled: 1-line block ×3, first 2 shown]
	buffer_store_dword v1, off, s[0:3], 0 offset:448
	buffer_store_dword v1, off, s[0:3], 0 offset:452
	;; [unrolled: 1-line block ×4, first 2 shown]
	s_waitcnt vmcnt(0)
	ds_write_b128 v101, v[73:76]
.LBB33_163:
	s_or_b32 exec_lo, exec_lo, s4
	s_waitcnt lgkmcnt(0)
	s_waitcnt_vscnt null, 0x0
	s_barrier
	buffer_gl0_inv
	s_clause 0x1b
	buffer_load_dword v2, off, s[0:3], 0 offset:472
	buffer_load_dword v3, off, s[0:3], 0 offset:476
	;; [unrolled: 1-line block ×28, first 2 shown]
	ds_read_b128 v[73:76], v1 offset:992
	ds_read_b128 v[77:80], v1 offset:1008
	;; [unrolled: 1-line block ×3, first 2 shown]
	s_mov_b32 s4, exec_lo
	s_waitcnt vmcnt(26) lgkmcnt(2)
	v_mul_f64 v[112:113], v[75:76], v[2:3]
	v_mul_f64 v[2:3], v[73:74], v[2:3]
	s_waitcnt vmcnt(24) lgkmcnt(1)
	v_mul_f64 v[114:115], v[79:80], v[85:86]
	v_mul_f64 v[85:86], v[77:78], v[85:86]
	s_waitcnt vmcnt(22)
	v_fma_f64 v[112:113], v[73:74], v[87:88], -v[112:113]
	v_fma_f64 v[2:3], v[75:76], v[87:88], v[2:3]
	ds_read_b128 v[73:76], v1 offset:1040
	s_waitcnt vmcnt(20) lgkmcnt(1)
	v_mul_f64 v[87:88], v[81:82], v[89:90]
	v_mul_f64 v[89:90], v[83:84], v[89:90]
	s_waitcnt vmcnt(18)
	v_fma_f64 v[114:115], v[77:78], v[91:92], -v[114:115]
	v_fma_f64 v[85:86], v[79:80], v[91:92], v[85:86]
	ds_read_b128 v[77:80], v1 offset:1056
	s_waitcnt vmcnt(14) lgkmcnt(1)
	v_mul_f64 v[91:92], v[73:74], v[93:94]
	v_add_f64 v[112:113], v[112:113], 0
	v_add_f64 v[2:3], v[2:3], 0
	v_mul_f64 v[93:94], v[75:76], v[93:94]
	s_waitcnt vmcnt(12)
	v_fma_f64 v[81:82], v[81:82], v[99:100], -v[89:90]
	v_fma_f64 v[83:84], v[83:84], v[99:100], v[87:88]
	s_waitcnt vmcnt(11) lgkmcnt(0)
	v_mul_f64 v[87:88], v[77:78], v[95:96]
	v_mul_f64 v[95:96], v[79:80], v[95:96]
	s_waitcnt vmcnt(9)
	v_fma_f64 v[75:76], v[75:76], v[102:103], v[91:92]
	v_add_f64 v[89:90], v[112:113], v[114:115]
	v_add_f64 v[85:86], v[2:3], v[85:86]
	v_fma_f64 v[73:74], v[73:74], v[102:103], -v[93:94]
	ds_read_b128 v[1:4], v1 offset:1072
	s_waitcnt vmcnt(6)
	v_fma_f64 v[79:80], v[79:80], v[97:98], v[87:88]
	v_fma_f64 v[77:78], v[77:78], v[97:98], -v[95:96]
	v_add_f64 v[81:82], v[89:90], v[81:82]
	v_add_f64 v[83:84], v[85:86], v[83:84]
	s_waitcnt lgkmcnt(0)
	v_mul_f64 v[89:90], v[3:4], v[104:105]
	v_mul_f64 v[85:86], v[1:2], v[104:105]
	v_add_f64 v[73:74], v[81:82], v[73:74]
	v_add_f64 v[75:76], v[83:84], v[75:76]
	s_waitcnt vmcnt(4)
	v_fma_f64 v[1:2], v[1:2], v[106:107], -v[89:90]
	v_fma_f64 v[3:4], v[3:4], v[106:107], v[85:86]
	v_add_f64 v[73:74], v[73:74], v[77:78]
	v_add_f64 v[75:76], v[75:76], v[79:80]
	;; [unrolled: 1-line block ×4, first 2 shown]
	s_waitcnt vmcnt(2)
	v_add_f64 v[1:2], v[108:109], -v[1:2]
	s_waitcnt vmcnt(0)
	v_add_f64 v[3:4], v[110:111], -v[3:4]
	buffer_store_dword v2, off, s[0:3], 0 offset:452
	buffer_store_dword v1, off, s[0:3], 0 offset:448
	;; [unrolled: 1-line block ×4, first 2 shown]
	v_cmpx_lt_u32_e32 26, v0
	s_cbranch_execz .LBB33_165
; %bb.164:
	v_mov_b32_e32 v4, s29
	v_mov_b32_e32 v73, 0
	s_clause 0x3
	buffer_load_dword v1, v4, s[0:3], 0 offen
	buffer_load_dword v2, v4, s[0:3], 0 offen offset:4
	buffer_load_dword v3, v4, s[0:3], 0 offen offset:8
	buffer_load_dword v4, v4, s[0:3], 0 offen offset:12
	buffer_store_dword v73, off, s[0:3], 0 offset:432
	buffer_store_dword v73, off, s[0:3], 0 offset:436
	;; [unrolled: 1-line block ×4, first 2 shown]
	s_waitcnt vmcnt(0)
	ds_write_b128 v101, v[1:4]
.LBB33_165:
	s_or_b32 exec_lo, exec_lo, s4
	s_waitcnt lgkmcnt(0)
	s_waitcnt_vscnt null, 0x0
	s_barrier
	buffer_gl0_inv
	s_clause 0x1f
	buffer_load_dword v2, off, s[0:3], 0 offset:456
	buffer_load_dword v3, off, s[0:3], 0 offset:460
	;; [unrolled: 1-line block ×32, first 2 shown]
	v_mov_b32_e32 v1, 0
	ds_read_b128 v[73:76], v1 offset:976
	ds_read_b128 v[77:80], v1 offset:992
	ds_read_b128 v[81:84], v1 offset:1008
	s_mov_b32 s4, exec_lo
	s_waitcnt vmcnt(30) lgkmcnt(2)
	v_mul_f64 v[116:117], v[75:76], v[2:3]
	v_mul_f64 v[2:3], v[73:74], v[2:3]
	s_waitcnt vmcnt(28) lgkmcnt(1)
	v_mul_f64 v[118:119], v[79:80], v[85:86]
	v_mul_f64 v[85:86], v[77:78], v[85:86]
	s_waitcnt vmcnt(26)
	v_fma_f64 v[116:117], v[73:74], v[87:88], -v[116:117]
	v_fma_f64 v[2:3], v[75:76], v[87:88], v[2:3]
	ds_read_b128 v[73:76], v1 offset:1024
	s_waitcnt vmcnt(24) lgkmcnt(1)
	v_mul_f64 v[87:88], v[81:82], v[89:90]
	v_mul_f64 v[89:90], v[83:84], v[89:90]
	s_waitcnt vmcnt(22)
	v_fma_f64 v[118:119], v[77:78], v[91:92], -v[118:119]
	v_fma_f64 v[85:86], v[79:80], v[91:92], v[85:86]
	ds_read_b128 v[77:80], v1 offset:1040
	s_waitcnt vmcnt(18) lgkmcnt(1)
	v_mul_f64 v[91:92], v[73:74], v[93:94]
	v_add_f64 v[116:117], v[116:117], 0
	v_add_f64 v[2:3], v[2:3], 0
	v_mul_f64 v[93:94], v[75:76], v[93:94]
	s_waitcnt vmcnt(16)
	v_fma_f64 v[89:90], v[81:82], v[99:100], -v[89:90]
	v_fma_f64 v[87:88], v[83:84], v[99:100], v[87:88]
	ds_read_b128 v[81:84], v1 offset:1056
	s_waitcnt vmcnt(13)
	v_fma_f64 v[91:92], v[75:76], v[102:103], v[91:92]
	v_add_f64 v[116:117], v[116:117], v[118:119]
	v_add_f64 v[2:3], v[2:3], v[85:86]
	s_waitcnt lgkmcnt(1)
	v_mul_f64 v[85:86], v[77:78], v[95:96]
	v_mul_f64 v[95:96], v[79:80], v[95:96]
	v_fma_f64 v[93:94], v[73:74], v[102:103], -v[93:94]
	s_waitcnt vmcnt(9) lgkmcnt(0)
	v_mul_f64 v[99:100], v[83:84], v[104:105]
	ds_read_b128 v[73:76], v1 offset:1072
	v_add_f64 v[89:90], v[116:117], v[89:90]
	v_add_f64 v[2:3], v[2:3], v[87:88]
	v_mul_f64 v[87:88], v[81:82], v[104:105]
	s_waitcnt vmcnt(8)
	v_fma_f64 v[77:78], v[77:78], v[97:98], -v[95:96]
	v_fma_f64 v[79:80], v[79:80], v[97:98], v[85:86]
	s_waitcnt vmcnt(5)
	v_fma_f64 v[81:82], v[81:82], v[110:111], -v[99:100]
	s_waitcnt lgkmcnt(0)
	v_mul_f64 v[85:86], v[73:74], v[106:107]
	v_add_f64 v[89:90], v[89:90], v[93:94]
	v_add_f64 v[2:3], v[2:3], v[91:92]
	v_mul_f64 v[91:92], v[75:76], v[106:107]
	v_fma_f64 v[83:84], v[83:84], v[110:111], v[87:88]
	s_waitcnt vmcnt(4)
	v_fma_f64 v[75:76], v[75:76], v[108:109], v[85:86]
	v_add_f64 v[77:78], v[89:90], v[77:78]
	v_add_f64 v[2:3], v[2:3], v[79:80]
	v_fma_f64 v[73:74], v[73:74], v[108:109], -v[91:92]
	v_add_f64 v[77:78], v[77:78], v[81:82]
	v_add_f64 v[2:3], v[2:3], v[83:84]
	;; [unrolled: 1-line block ×4, first 2 shown]
	s_waitcnt vmcnt(2)
	v_add_f64 v[73:74], v[112:113], -v[73:74]
	s_waitcnt vmcnt(0)
	v_add_f64 v[2:3], v[114:115], -v[2:3]
	buffer_store_dword v74, off, s[0:3], 0 offset:436
	buffer_store_dword v73, off, s[0:3], 0 offset:432
	;; [unrolled: 1-line block ×4, first 2 shown]
	v_cmpx_lt_u32_e32 25, v0
	s_cbranch_execz .LBB33_167
; %bb.166:
	v_mov_b32_e32 v2, s28
	s_clause 0x3
	buffer_load_dword v73, v2, s[0:3], 0 offen
	buffer_load_dword v74, v2, s[0:3], 0 offen offset:4
	buffer_load_dword v75, v2, s[0:3], 0 offen offset:8
	;; [unrolled: 1-line block ×3, first 2 shown]
	buffer_store_dword v1, off, s[0:3], 0 offset:416
	buffer_store_dword v1, off, s[0:3], 0 offset:420
	;; [unrolled: 1-line block ×4, first 2 shown]
	s_waitcnt vmcnt(0)
	ds_write_b128 v101, v[73:76]
.LBB33_167:
	s_or_b32 exec_lo, exec_lo, s4
	s_waitcnt lgkmcnt(0)
	s_waitcnt_vscnt null, 0x0
	s_barrier
	buffer_gl0_inv
	s_clause 0x23
	buffer_load_dword v2, off, s[0:3], 0 offset:440
	buffer_load_dword v3, off, s[0:3], 0 offset:444
	;; [unrolled: 1-line block ×36, first 2 shown]
	ds_read_b128 v[73:76], v1 offset:960
	ds_read_b128 v[77:80], v1 offset:976
	;; [unrolled: 1-line block ×3, first 2 shown]
	s_mov_b32 s4, exec_lo
	s_waitcnt vmcnt(34) lgkmcnt(2)
	v_mul_f64 v[120:121], v[75:76], v[2:3]
	v_mul_f64 v[2:3], v[73:74], v[2:3]
	s_waitcnt vmcnt(32) lgkmcnt(1)
	v_mul_f64 v[122:123], v[79:80], v[85:86]
	v_mul_f64 v[85:86], v[77:78], v[85:86]
	s_waitcnt vmcnt(30)
	v_fma_f64 v[120:121], v[73:74], v[87:88], -v[120:121]
	v_fma_f64 v[2:3], v[75:76], v[87:88], v[2:3]
	ds_read_b128 v[73:76], v1 offset:1008
	s_waitcnt vmcnt(28) lgkmcnt(1)
	v_mul_f64 v[87:88], v[81:82], v[89:90]
	v_mul_f64 v[89:90], v[83:84], v[89:90]
	s_waitcnt vmcnt(26)
	v_fma_f64 v[122:123], v[77:78], v[91:92], -v[122:123]
	v_fma_f64 v[85:86], v[79:80], v[91:92], v[85:86]
	ds_read_b128 v[77:80], v1 offset:1024
	s_waitcnt vmcnt(22) lgkmcnt(1)
	v_mul_f64 v[91:92], v[73:74], v[93:94]
	v_add_f64 v[120:121], v[120:121], 0
	v_add_f64 v[2:3], v[2:3], 0
	v_mul_f64 v[93:94], v[75:76], v[93:94]
	s_waitcnt vmcnt(20)
	v_fma_f64 v[89:90], v[81:82], v[99:100], -v[89:90]
	v_fma_f64 v[87:88], v[83:84], v[99:100], v[87:88]
	ds_read_b128 v[81:84], v1 offset:1040
	s_waitcnt vmcnt(17)
	v_fma_f64 v[91:92], v[75:76], v[102:103], v[91:92]
	v_add_f64 v[120:121], v[120:121], v[122:123]
	v_add_f64 v[2:3], v[2:3], v[85:86]
	s_waitcnt lgkmcnt(1)
	v_mul_f64 v[85:86], v[77:78], v[95:96]
	v_mul_f64 v[95:96], v[79:80], v[95:96]
	v_fma_f64 v[93:94], v[73:74], v[102:103], -v[93:94]
	s_waitcnt vmcnt(13) lgkmcnt(0)
	v_mul_f64 v[99:100], v[83:84], v[104:105]
	ds_read_b128 v[73:76], v1 offset:1056
	v_add_f64 v[89:90], v[120:121], v[89:90]
	v_add_f64 v[2:3], v[2:3], v[87:88]
	v_mul_f64 v[87:88], v[81:82], v[104:105]
	s_waitcnt vmcnt(12)
	v_fma_f64 v[77:78], v[77:78], v[97:98], -v[95:96]
	v_fma_f64 v[79:80], v[79:80], v[97:98], v[85:86]
	s_waitcnt vmcnt(9)
	v_fma_f64 v[81:82], v[81:82], v[110:111], -v[99:100]
	v_add_f64 v[89:90], v[89:90], v[93:94]
	v_add_f64 v[85:86], v[2:3], v[91:92]
	s_waitcnt lgkmcnt(0)
	v_mul_f64 v[93:94], v[75:76], v[106:107]
	ds_read_b128 v[1:4], v1 offset:1072
	v_mul_f64 v[91:92], v[73:74], v[106:107]
	v_fma_f64 v[83:84], v[83:84], v[110:111], v[87:88]
	v_add_f64 v[77:78], v[89:90], v[77:78]
	v_add_f64 v[79:80], v[85:86], v[79:80]
	s_waitcnt vmcnt(7) lgkmcnt(0)
	v_mul_f64 v[87:88], v[3:4], v[112:113]
	s_waitcnt vmcnt(6)
	v_fma_f64 v[73:74], v[73:74], v[108:109], -v[93:94]
	v_mul_f64 v[85:86], v[1:2], v[112:113]
	v_fma_f64 v[75:76], v[75:76], v[108:109], v[91:92]
	v_add_f64 v[77:78], v[77:78], v[81:82]
	v_add_f64 v[79:80], v[79:80], v[83:84]
	s_waitcnt vmcnt(4)
	v_fma_f64 v[1:2], v[1:2], v[114:115], -v[87:88]
	v_fma_f64 v[3:4], v[3:4], v[114:115], v[85:86]
	v_add_f64 v[73:74], v[77:78], v[73:74]
	v_add_f64 v[75:76], v[79:80], v[75:76]
	;; [unrolled: 1-line block ×4, first 2 shown]
	s_waitcnt vmcnt(2)
	v_add_f64 v[1:2], v[116:117], -v[1:2]
	s_waitcnt vmcnt(0)
	v_add_f64 v[3:4], v[118:119], -v[3:4]
	buffer_store_dword v2, off, s[0:3], 0 offset:420
	buffer_store_dword v1, off, s[0:3], 0 offset:416
	buffer_store_dword v4, off, s[0:3], 0 offset:428
	buffer_store_dword v3, off, s[0:3], 0 offset:424
	v_cmpx_lt_u32_e32 24, v0
	s_cbranch_execz .LBB33_169
; %bb.168:
	v_mov_b32_e32 v4, s27
	v_mov_b32_e32 v73, 0
	s_clause 0x3
	buffer_load_dword v1, v4, s[0:3], 0 offen
	buffer_load_dword v2, v4, s[0:3], 0 offen offset:4
	buffer_load_dword v3, v4, s[0:3], 0 offen offset:8
	;; [unrolled: 1-line block ×3, first 2 shown]
	buffer_store_dword v73, off, s[0:3], 0 offset:400
	buffer_store_dword v73, off, s[0:3], 0 offset:404
	;; [unrolled: 1-line block ×4, first 2 shown]
	s_waitcnt vmcnt(0)
	ds_write_b128 v101, v[1:4]
.LBB33_169:
	s_or_b32 exec_lo, exec_lo, s4
	s_waitcnt lgkmcnt(0)
	s_waitcnt_vscnt null, 0x0
	s_barrier
	buffer_gl0_inv
	s_clause 0x27
	buffer_load_dword v2, off, s[0:3], 0 offset:424
	buffer_load_dword v3, off, s[0:3], 0 offset:428
	;; [unrolled: 1-line block ×40, first 2 shown]
	v_mov_b32_e32 v1, 0
	ds_read_b128 v[73:76], v1 offset:944
	ds_read_b128 v[77:80], v1 offset:960
	;; [unrolled: 1-line block ×3, first 2 shown]
	s_mov_b32 s4, exec_lo
	s_waitcnt vmcnt(38) lgkmcnt(2)
	v_mul_f64 v[124:125], v[75:76], v[2:3]
	v_mul_f64 v[2:3], v[73:74], v[2:3]
	s_waitcnt vmcnt(36) lgkmcnt(1)
	v_mul_f64 v[126:127], v[79:80], v[85:86]
	v_mul_f64 v[85:86], v[77:78], v[85:86]
	s_waitcnt vmcnt(34)
	v_fma_f64 v[124:125], v[73:74], v[87:88], -v[124:125]
	v_fma_f64 v[2:3], v[75:76], v[87:88], v[2:3]
	ds_read_b128 v[73:76], v1 offset:992
	s_waitcnt vmcnt(32) lgkmcnt(1)
	v_mul_f64 v[87:88], v[81:82], v[89:90]
	v_mul_f64 v[89:90], v[83:84], v[89:90]
	s_waitcnt vmcnt(30)
	v_fma_f64 v[126:127], v[77:78], v[91:92], -v[126:127]
	v_fma_f64 v[85:86], v[79:80], v[91:92], v[85:86]
	ds_read_b128 v[77:80], v1 offset:1008
	s_waitcnt vmcnt(26) lgkmcnt(1)
	v_mul_f64 v[91:92], v[73:74], v[93:94]
	v_add_f64 v[124:125], v[124:125], 0
	v_add_f64 v[2:3], v[2:3], 0
	v_mul_f64 v[93:94], v[75:76], v[93:94]
	s_waitcnt vmcnt(24)
	v_fma_f64 v[89:90], v[81:82], v[99:100], -v[89:90]
	v_fma_f64 v[87:88], v[83:84], v[99:100], v[87:88]
	ds_read_b128 v[81:84], v1 offset:1024
	s_waitcnt vmcnt(21)
	v_fma_f64 v[91:92], v[75:76], v[102:103], v[91:92]
	v_add_f64 v[124:125], v[124:125], v[126:127]
	v_add_f64 v[2:3], v[2:3], v[85:86]
	s_waitcnt lgkmcnt(1)
	v_mul_f64 v[85:86], v[77:78], v[95:96]
	v_mul_f64 v[95:96], v[79:80], v[95:96]
	v_fma_f64 v[93:94], v[73:74], v[102:103], -v[93:94]
	s_waitcnt vmcnt(17) lgkmcnt(0)
	v_mul_f64 v[99:100], v[83:84], v[104:105]
	ds_read_b128 v[73:76], v1 offset:1040
	v_add_f64 v[89:90], v[124:125], v[89:90]
	v_add_f64 v[2:3], v[2:3], v[87:88]
	v_mul_f64 v[87:88], v[81:82], v[104:105]
	s_waitcnt vmcnt(16)
	v_fma_f64 v[95:96], v[77:78], v[97:98], -v[95:96]
	v_fma_f64 v[85:86], v[79:80], v[97:98], v[85:86]
	ds_read_b128 v[77:80], v1 offset:1056
	s_waitcnt vmcnt(13)
	v_fma_f64 v[97:98], v[81:82], v[110:111], -v[99:100]
	v_add_f64 v[89:90], v[89:90], v[93:94]
	v_add_f64 v[2:3], v[2:3], v[91:92]
	s_waitcnt lgkmcnt(1)
	v_mul_f64 v[93:94], v[75:76], v[106:107]
	v_mul_f64 v[91:92], v[73:74], v[106:107]
	v_fma_f64 v[87:88], v[83:84], v[110:111], v[87:88]
	ds_read_b128 v[81:84], v1 offset:1072
	v_add_f64 v[89:90], v[89:90], v[95:96]
	v_add_f64 v[2:3], v[2:3], v[85:86]
	s_waitcnt vmcnt(9) lgkmcnt(1)
	v_mul_f64 v[95:96], v[79:80], v[112:113]
	s_waitcnt vmcnt(8)
	v_fma_f64 v[73:74], v[73:74], v[108:109], -v[93:94]
	v_mul_f64 v[85:86], v[77:78], v[112:113]
	v_fma_f64 v[75:76], v[75:76], v[108:109], v[91:92]
	s_waitcnt vmcnt(7) lgkmcnt(0)
	v_mul_f64 v[91:92], v[83:84], v[114:115]
	v_add_f64 v[89:90], v[89:90], v[97:98]
	v_add_f64 v[2:3], v[2:3], v[87:88]
	s_waitcnt vmcnt(5)
	v_fma_f64 v[77:78], v[77:78], v[118:119], -v[95:96]
	v_mul_f64 v[87:88], v[81:82], v[114:115]
	v_fma_f64 v[79:80], v[79:80], v[118:119], v[85:86]
	v_add_f64 v[73:74], v[89:90], v[73:74]
	v_add_f64 v[2:3], v[2:3], v[75:76]
	s_waitcnt vmcnt(4)
	v_fma_f64 v[75:76], v[81:82], v[116:117], -v[91:92]
	v_add_f64 v[73:74], v[73:74], v[77:78]
	v_fma_f64 v[77:78], v[83:84], v[116:117], v[87:88]
	v_add_f64 v[2:3], v[2:3], v[79:80]
	v_add_f64 v[73:74], v[73:74], v[75:76]
	;; [unrolled: 1-line block ×3, first 2 shown]
	s_waitcnt vmcnt(2)
	v_add_f64 v[73:74], v[120:121], -v[73:74]
	s_waitcnt vmcnt(0)
	v_add_f64 v[2:3], v[122:123], -v[2:3]
	buffer_store_dword v74, off, s[0:3], 0 offset:404
	buffer_store_dword v73, off, s[0:3], 0 offset:400
	;; [unrolled: 1-line block ×4, first 2 shown]
	v_cmpx_lt_u32_e32 23, v0
	s_cbranch_execz .LBB33_171
; %bb.170:
	v_mov_b32_e32 v2, s26
	s_clause 0x3
	buffer_load_dword v73, v2, s[0:3], 0 offen
	buffer_load_dword v74, v2, s[0:3], 0 offen offset:4
	buffer_load_dword v75, v2, s[0:3], 0 offen offset:8
	;; [unrolled: 1-line block ×3, first 2 shown]
	buffer_store_dword v1, off, s[0:3], 0 offset:384
	buffer_store_dword v1, off, s[0:3], 0 offset:388
	;; [unrolled: 1-line block ×4, first 2 shown]
	s_waitcnt vmcnt(0)
	ds_write_b128 v101, v[73:76]
.LBB33_171:
	s_or_b32 exec_lo, exec_lo, s4
	s_waitcnt lgkmcnt(0)
	s_waitcnt_vscnt null, 0x0
	s_barrier
	buffer_gl0_inv
	s_clause 0x2b
	buffer_load_dword v2, off, s[0:3], 0 offset:408
	buffer_load_dword v3, off, s[0:3], 0 offset:412
	;; [unrolled: 1-line block ×44, first 2 shown]
	ds_read_b128 v[73:76], v1 offset:928
	ds_read_b128 v[77:80], v1 offset:944
	;; [unrolled: 1-line block ×3, first 2 shown]
	s_mov_b32 s4, exec_lo
	s_waitcnt vmcnt(42) lgkmcnt(2)
	v_mul_f64 v[128:129], v[75:76], v[2:3]
	v_mul_f64 v[2:3], v[73:74], v[2:3]
	s_waitcnt vmcnt(40) lgkmcnt(1)
	v_mul_f64 v[130:131], v[79:80], v[85:86]
	v_mul_f64 v[85:86], v[77:78], v[85:86]
	s_waitcnt vmcnt(38)
	v_fma_f64 v[128:129], v[73:74], v[87:88], -v[128:129]
	v_fma_f64 v[2:3], v[75:76], v[87:88], v[2:3]
	ds_read_b128 v[73:76], v1 offset:976
	s_waitcnt vmcnt(36) lgkmcnt(1)
	v_mul_f64 v[87:88], v[81:82], v[89:90]
	v_mul_f64 v[89:90], v[83:84], v[89:90]
	s_waitcnt vmcnt(34)
	v_fma_f64 v[130:131], v[77:78], v[91:92], -v[130:131]
	v_fma_f64 v[85:86], v[79:80], v[91:92], v[85:86]
	ds_read_b128 v[77:80], v1 offset:992
	s_waitcnt vmcnt(30) lgkmcnt(1)
	v_mul_f64 v[91:92], v[73:74], v[93:94]
	v_add_f64 v[128:129], v[128:129], 0
	v_add_f64 v[2:3], v[2:3], 0
	v_mul_f64 v[93:94], v[75:76], v[93:94]
	s_waitcnt vmcnt(28)
	v_fma_f64 v[89:90], v[81:82], v[99:100], -v[89:90]
	v_fma_f64 v[87:88], v[83:84], v[99:100], v[87:88]
	ds_read_b128 v[81:84], v1 offset:1008
	s_waitcnt vmcnt(25)
	v_fma_f64 v[91:92], v[75:76], v[102:103], v[91:92]
	v_add_f64 v[128:129], v[128:129], v[130:131]
	v_add_f64 v[2:3], v[2:3], v[85:86]
	s_waitcnt lgkmcnt(1)
	v_mul_f64 v[85:86], v[77:78], v[95:96]
	v_mul_f64 v[95:96], v[79:80], v[95:96]
	v_fma_f64 v[93:94], v[73:74], v[102:103], -v[93:94]
	s_waitcnt vmcnt(21) lgkmcnt(0)
	v_mul_f64 v[99:100], v[83:84], v[104:105]
	ds_read_b128 v[73:76], v1 offset:1024
	v_add_f64 v[89:90], v[128:129], v[89:90]
	v_add_f64 v[2:3], v[2:3], v[87:88]
	v_mul_f64 v[87:88], v[81:82], v[104:105]
	s_waitcnt vmcnt(20)
	v_fma_f64 v[95:96], v[77:78], v[97:98], -v[95:96]
	v_fma_f64 v[85:86], v[79:80], v[97:98], v[85:86]
	ds_read_b128 v[77:80], v1 offset:1040
	s_waitcnt vmcnt(17)
	v_fma_f64 v[97:98], v[81:82], v[110:111], -v[99:100]
	v_add_f64 v[89:90], v[89:90], v[93:94]
	v_add_f64 v[2:3], v[2:3], v[91:92]
	s_waitcnt lgkmcnt(1)
	v_mul_f64 v[93:94], v[75:76], v[106:107]
	v_mul_f64 v[91:92], v[73:74], v[106:107]
	v_fma_f64 v[87:88], v[83:84], v[110:111], v[87:88]
	ds_read_b128 v[81:84], v1 offset:1056
	v_add_f64 v[89:90], v[89:90], v[95:96]
	v_add_f64 v[2:3], v[2:3], v[85:86]
	s_waitcnt vmcnt(13) lgkmcnt(1)
	v_mul_f64 v[95:96], v[79:80], v[112:113]
	s_waitcnt vmcnt(12)
	v_fma_f64 v[73:74], v[73:74], v[108:109], -v[93:94]
	v_mul_f64 v[85:86], v[77:78], v[112:113]
	v_fma_f64 v[75:76], v[75:76], v[108:109], v[91:92]
	s_waitcnt vmcnt(11) lgkmcnt(0)
	v_mul_f64 v[93:94], v[83:84], v[114:115]
	v_mul_f64 v[91:92], v[81:82], v[114:115]
	v_add_f64 v[89:90], v[89:90], v[97:98]
	v_add_f64 v[87:88], v[2:3], v[87:88]
	s_waitcnt vmcnt(9)
	v_fma_f64 v[77:78], v[77:78], v[118:119], -v[95:96]
	ds_read_b128 v[1:4], v1 offset:1072
	v_fma_f64 v[79:80], v[79:80], v[118:119], v[85:86]
	s_waitcnt vmcnt(6)
	v_fma_f64 v[81:82], v[81:82], v[116:117], -v[93:94]
	v_add_f64 v[73:74], v[89:90], v[73:74]
	v_add_f64 v[75:76], v[87:88], v[75:76]
	s_waitcnt lgkmcnt(0)
	v_mul_f64 v[87:88], v[3:4], v[120:121]
	v_mul_f64 v[85:86], v[1:2], v[120:121]
	v_add_f64 v[73:74], v[73:74], v[77:78]
	v_fma_f64 v[77:78], v[83:84], v[116:117], v[91:92]
	v_add_f64 v[75:76], v[75:76], v[79:80]
	s_waitcnt vmcnt(4)
	v_fma_f64 v[1:2], v[1:2], v[122:123], -v[87:88]
	v_fma_f64 v[3:4], v[3:4], v[122:123], v[85:86]
	v_add_f64 v[73:74], v[73:74], v[81:82]
	v_add_f64 v[75:76], v[75:76], v[77:78]
	;; [unrolled: 1-line block ×4, first 2 shown]
	s_waitcnt vmcnt(2)
	v_add_f64 v[1:2], v[124:125], -v[1:2]
	s_waitcnt vmcnt(0)
	v_add_f64 v[3:4], v[126:127], -v[3:4]
	buffer_store_dword v2, off, s[0:3], 0 offset:388
	buffer_store_dword v1, off, s[0:3], 0 offset:384
	;; [unrolled: 1-line block ×4, first 2 shown]
	v_cmpx_lt_u32_e32 22, v0
	s_cbranch_execz .LBB33_173
; %bb.172:
	v_mov_b32_e32 v4, s25
	v_mov_b32_e32 v73, 0
	s_clause 0x3
	buffer_load_dword v1, v4, s[0:3], 0 offen
	buffer_load_dword v2, v4, s[0:3], 0 offen offset:4
	buffer_load_dword v3, v4, s[0:3], 0 offen offset:8
	;; [unrolled: 1-line block ×3, first 2 shown]
	buffer_store_dword v73, off, s[0:3], 0 offset:368
	buffer_store_dword v73, off, s[0:3], 0 offset:372
	;; [unrolled: 1-line block ×4, first 2 shown]
	s_waitcnt vmcnt(0)
	ds_write_b128 v101, v[1:4]
.LBB33_173:
	s_or_b32 exec_lo, exec_lo, s4
	s_waitcnt lgkmcnt(0)
	s_waitcnt_vscnt null, 0x0
	s_barrier
	buffer_gl0_inv
	s_clause 0x2f
	buffer_load_dword v2, off, s[0:3], 0 offset:392
	buffer_load_dword v3, off, s[0:3], 0 offset:396
	;; [unrolled: 1-line block ×48, first 2 shown]
	v_mov_b32_e32 v1, 0
	ds_read_b128 v[73:76], v1 offset:912
	ds_read_b128 v[77:80], v1 offset:928
	;; [unrolled: 1-line block ×3, first 2 shown]
	s_mov_b32 s4, exec_lo
	s_waitcnt vmcnt(46) lgkmcnt(2)
	v_mul_f64 v[132:133], v[75:76], v[2:3]
	v_mul_f64 v[2:3], v[73:74], v[2:3]
	s_waitcnt vmcnt(44) lgkmcnt(1)
	v_mul_f64 v[134:135], v[79:80], v[85:86]
	v_mul_f64 v[85:86], v[77:78], v[85:86]
	s_waitcnt vmcnt(42)
	v_fma_f64 v[132:133], v[73:74], v[87:88], -v[132:133]
	v_fma_f64 v[2:3], v[75:76], v[87:88], v[2:3]
	ds_read_b128 v[73:76], v1 offset:960
	s_waitcnt vmcnt(40) lgkmcnt(1)
	v_mul_f64 v[87:88], v[81:82], v[89:90]
	v_mul_f64 v[89:90], v[83:84], v[89:90]
	s_waitcnt vmcnt(38)
	v_fma_f64 v[134:135], v[77:78], v[91:92], -v[134:135]
	v_fma_f64 v[85:86], v[79:80], v[91:92], v[85:86]
	ds_read_b128 v[77:80], v1 offset:976
	s_waitcnt vmcnt(34) lgkmcnt(1)
	v_mul_f64 v[91:92], v[73:74], v[93:94]
	v_add_f64 v[132:133], v[132:133], 0
	v_add_f64 v[2:3], v[2:3], 0
	v_mul_f64 v[93:94], v[75:76], v[93:94]
	s_waitcnt vmcnt(32)
	v_fma_f64 v[89:90], v[81:82], v[99:100], -v[89:90]
	v_fma_f64 v[87:88], v[83:84], v[99:100], v[87:88]
	ds_read_b128 v[81:84], v1 offset:992
	s_waitcnt vmcnt(29)
	v_fma_f64 v[91:92], v[75:76], v[102:103], v[91:92]
	v_add_f64 v[132:133], v[132:133], v[134:135]
	v_add_f64 v[2:3], v[2:3], v[85:86]
	s_waitcnt lgkmcnt(1)
	v_mul_f64 v[85:86], v[77:78], v[95:96]
	v_mul_f64 v[95:96], v[79:80], v[95:96]
	v_fma_f64 v[93:94], v[73:74], v[102:103], -v[93:94]
	s_waitcnt vmcnt(25) lgkmcnt(0)
	v_mul_f64 v[99:100], v[83:84], v[104:105]
	ds_read_b128 v[73:76], v1 offset:1008
	v_add_f64 v[89:90], v[132:133], v[89:90]
	v_add_f64 v[2:3], v[2:3], v[87:88]
	v_mul_f64 v[87:88], v[81:82], v[104:105]
	s_waitcnt vmcnt(24)
	v_fma_f64 v[95:96], v[77:78], v[97:98], -v[95:96]
	v_fma_f64 v[85:86], v[79:80], v[97:98], v[85:86]
	ds_read_b128 v[77:80], v1 offset:1024
	s_waitcnt vmcnt(21)
	v_fma_f64 v[97:98], v[81:82], v[110:111], -v[99:100]
	v_add_f64 v[89:90], v[89:90], v[93:94]
	v_add_f64 v[2:3], v[2:3], v[91:92]
	s_waitcnt lgkmcnt(1)
	v_mul_f64 v[93:94], v[75:76], v[106:107]
	v_mul_f64 v[91:92], v[73:74], v[106:107]
	v_fma_f64 v[87:88], v[83:84], v[110:111], v[87:88]
	ds_read_b128 v[81:84], v1 offset:1040
	v_add_f64 v[89:90], v[89:90], v[95:96]
	v_add_f64 v[2:3], v[2:3], v[85:86]
	s_waitcnt vmcnt(17) lgkmcnt(1)
	v_mul_f64 v[95:96], v[79:80], v[112:113]
	s_waitcnt vmcnt(16)
	v_fma_f64 v[93:94], v[73:74], v[108:109], -v[93:94]
	v_mul_f64 v[85:86], v[77:78], v[112:113]
	v_fma_f64 v[91:92], v[75:76], v[108:109], v[91:92]
	ds_read_b128 v[73:76], v1 offset:1056
	v_add_f64 v[89:90], v[89:90], v[97:98]
	v_add_f64 v[2:3], v[2:3], v[87:88]
	s_waitcnt vmcnt(15) lgkmcnt(1)
	v_mul_f64 v[97:98], v[83:84], v[114:115]
	s_waitcnt vmcnt(13)
	v_fma_f64 v[95:96], v[77:78], v[118:119], -v[95:96]
	;; [unrolled: 9-line block ×3, first 2 shown]
	v_mul_f64 v[91:92], v[73:74], v[120:121]
	v_fma_f64 v[83:84], v[83:84], v[116:117], v[87:88]
	s_waitcnt vmcnt(7) lgkmcnt(0)
	v_mul_f64 v[87:88], v[79:80], v[122:123]
	v_add_f64 v[89:90], v[89:90], v[95:96]
	v_add_f64 v[2:3], v[2:3], v[85:86]
	s_waitcnt vmcnt(5)
	v_fma_f64 v[73:74], v[73:74], v[126:127], -v[93:94]
	v_mul_f64 v[85:86], v[77:78], v[122:123]
	v_fma_f64 v[75:76], v[75:76], v[126:127], v[91:92]
	s_waitcnt vmcnt(4)
	v_fma_f64 v[77:78], v[77:78], v[124:125], -v[87:88]
	v_add_f64 v[81:82], v[89:90], v[81:82]
	v_add_f64 v[2:3], v[2:3], v[83:84]
	v_fma_f64 v[79:80], v[79:80], v[124:125], v[85:86]
	v_add_f64 v[73:74], v[81:82], v[73:74]
	v_add_f64 v[2:3], v[2:3], v[75:76]
	;; [unrolled: 1-line block ×4, first 2 shown]
	s_waitcnt vmcnt(2)
	v_add_f64 v[73:74], v[128:129], -v[73:74]
	s_waitcnt vmcnt(0)
	v_add_f64 v[2:3], v[130:131], -v[2:3]
	buffer_store_dword v74, off, s[0:3], 0 offset:372
	buffer_store_dword v73, off, s[0:3], 0 offset:368
	;; [unrolled: 1-line block ×4, first 2 shown]
	v_cmpx_lt_u32_e32 21, v0
	s_cbranch_execz .LBB33_175
; %bb.174:
	v_mov_b32_e32 v2, s24
	s_clause 0x3
	buffer_load_dword v73, v2, s[0:3], 0 offen
	buffer_load_dword v74, v2, s[0:3], 0 offen offset:4
	buffer_load_dword v75, v2, s[0:3], 0 offen offset:8
	;; [unrolled: 1-line block ×3, first 2 shown]
	buffer_store_dword v1, off, s[0:3], 0 offset:352
	buffer_store_dword v1, off, s[0:3], 0 offset:356
	;; [unrolled: 1-line block ×4, first 2 shown]
	s_waitcnt vmcnt(0)
	ds_write_b128 v101, v[73:76]
.LBB33_175:
	s_or_b32 exec_lo, exec_lo, s4
	s_waitcnt lgkmcnt(0)
	s_waitcnt_vscnt null, 0x0
	s_barrier
	buffer_gl0_inv
	s_clause 0x2f
	buffer_load_dword v2, off, s[0:3], 0 offset:376
	buffer_load_dword v3, off, s[0:3], 0 offset:380
	buffer_load_dword v85, off, s[0:3], 0 offset:392
	buffer_load_dword v86, off, s[0:3], 0 offset:396
	buffer_load_dword v87, off, s[0:3], 0 offset:368
	buffer_load_dword v88, off, s[0:3], 0 offset:372
	buffer_load_dword v89, off, s[0:3], 0 offset:408
	buffer_load_dword v90, off, s[0:3], 0 offset:412
	buffer_load_dword v91, off, s[0:3], 0 offset:384
	buffer_load_dword v92, off, s[0:3], 0 offset:388
	buffer_load_dword v94, off, s[0:3], 0 offset:428
	buffer_load_dword v95, off, s[0:3], 0 offset:440
	buffer_load_dword v97, off, s[0:3], 0 offset:432
	buffer_load_dword v93, off, s[0:3], 0 offset:424
	buffer_load_dword v99, off, s[0:3], 0 offset:400
	buffer_load_dword v100, off, s[0:3], 0 offset:404
	buffer_load_dword v96, off, s[0:3], 0 offset:444
	buffer_load_dword v103, off, s[0:3], 0 offset:420
	buffer_load_dword v102, off, s[0:3], 0 offset:416
	buffer_load_dword v105, off, s[0:3], 0 offset:460
	buffer_load_dword v106, off, s[0:3], 0 offset:472
	buffer_load_dword v108, off, s[0:3], 0 offset:464
	buffer_load_dword v104, off, s[0:3], 0 offset:456
	buffer_load_dword v98, off, s[0:3], 0 offset:436
	buffer_load_dword v107, off, s[0:3], 0 offset:476
	buffer_load_dword v111, off, s[0:3], 0 offset:452
	buffer_load_dword v110, off, s[0:3], 0 offset:448
	buffer_load_dword v113, off, s[0:3], 0 offset:492
	buffer_load_dword v114, off, s[0:3], 0 offset:504
	buffer_load_dword v116, off, s[0:3], 0 offset:496
	buffer_load_dword v112, off, s[0:3], 0 offset:488
	buffer_load_dword v109, off, s[0:3], 0 offset:468
	buffer_load_dword v115, off, s[0:3], 0 offset:508
	buffer_load_dword v119, off, s[0:3], 0 offset:484
	buffer_load_dword v118, off, s[0:3], 0 offset:480
	buffer_load_dword v121, off, s[0:3], 0 offset:524
	buffer_load_dword v122, off, s[0:3], 0 offset:536
	buffer_load_dword v124, off, s[0:3], 0 offset:528
	buffer_load_dword v120, off, s[0:3], 0 offset:520
	buffer_load_dword v117, off, s[0:3], 0 offset:500
	buffer_load_dword v123, off, s[0:3], 0 offset:540
	buffer_load_dword v127, off, s[0:3], 0 offset:516
	buffer_load_dword v126, off, s[0:3], 0 offset:512
	buffer_load_dword v129, off, s[0:3], 0 offset:556
	buffer_load_dword v128, off, s[0:3], 0 offset:552
	buffer_load_dword v125, off, s[0:3], 0 offset:532
	buffer_load_dword v131, off, s[0:3], 0 offset:548
	buffer_load_dword v130, off, s[0:3], 0 offset:544
	ds_read_b128 v[73:76], v1 offset:896
	s_clause 0x3
	buffer_load_dword v132, off, s[0:3], 0 offset:352
	buffer_load_dword v133, off, s[0:3], 0 offset:356
	;; [unrolled: 1-line block ×4, first 2 shown]
	ds_read_b128 v[77:80], v1 offset:912
	ds_read_b128 v[81:84], v1 offset:928
	s_mov_b32 s4, exec_lo
	s_waitcnt vmcnt(50) lgkmcnt(2)
	v_mul_f64 v[136:137], v[75:76], v[2:3]
	v_mul_f64 v[2:3], v[73:74], v[2:3]
	s_waitcnt vmcnt(48) lgkmcnt(1)
	v_mul_f64 v[138:139], v[79:80], v[85:86]
	v_mul_f64 v[85:86], v[77:78], v[85:86]
	s_waitcnt vmcnt(46)
	v_fma_f64 v[136:137], v[73:74], v[87:88], -v[136:137]
	v_fma_f64 v[2:3], v[75:76], v[87:88], v[2:3]
	s_waitcnt vmcnt(44) lgkmcnt(0)
	v_mul_f64 v[87:88], v[81:82], v[89:90]
	v_mul_f64 v[89:90], v[83:84], v[89:90]
	s_waitcnt vmcnt(42)
	v_fma_f64 v[138:139], v[77:78], v[91:92], -v[138:139]
	ds_read_b128 v[73:76], v1 offset:944
	v_fma_f64 v[85:86], v[79:80], v[91:92], v[85:86]
	ds_read_b128 v[77:80], v1 offset:960
	v_add_f64 v[136:137], v[136:137], 0
	v_add_f64 v[2:3], v[2:3], 0
	s_waitcnt vmcnt(36)
	v_fma_f64 v[87:88], v[83:84], v[99:100], v[87:88]
	s_waitcnt lgkmcnt(1)
	v_mul_f64 v[91:92], v[73:74], v[93:94]
	v_mul_f64 v[93:94], v[75:76], v[93:94]
	v_fma_f64 v[89:90], v[81:82], v[99:100], -v[89:90]
	ds_read_b128 v[81:84], v1 offset:976
	v_add_f64 v[136:137], v[136:137], v[138:139]
	v_add_f64 v[2:3], v[2:3], v[85:86]
	s_waitcnt vmcnt(35) lgkmcnt(1)
	v_mul_f64 v[85:86], v[77:78], v[95:96]
	v_mul_f64 v[95:96], v[79:80], v[95:96]
	s_waitcnt vmcnt(33)
	v_fma_f64 v[93:94], v[73:74], v[102:103], -v[93:94]
	v_fma_f64 v[91:92], v[75:76], v[102:103], v[91:92]
	ds_read_b128 v[73:76], v1 offset:992
	s_waitcnt vmcnt(29) lgkmcnt(1)
	v_mul_f64 v[99:100], v[83:84], v[104:105]
	v_add_f64 v[89:90], v[136:137], v[89:90]
	v_add_f64 v[2:3], v[2:3], v[87:88]
	v_mul_f64 v[87:88], v[81:82], v[104:105]
	s_waitcnt vmcnt(28)
	v_fma_f64 v[95:96], v[77:78], v[97:98], -v[95:96]
	v_fma_f64 v[85:86], v[79:80], v[97:98], v[85:86]
	ds_read_b128 v[77:80], v1 offset:1008
	s_waitcnt vmcnt(25)
	v_fma_f64 v[97:98], v[81:82], v[110:111], -v[99:100]
	v_add_f64 v[89:90], v[89:90], v[93:94]
	v_add_f64 v[2:3], v[2:3], v[91:92]
	s_waitcnt lgkmcnt(1)
	v_mul_f64 v[93:94], v[75:76], v[106:107]
	v_mul_f64 v[91:92], v[73:74], v[106:107]
	v_fma_f64 v[87:88], v[83:84], v[110:111], v[87:88]
	ds_read_b128 v[81:84], v1 offset:1024
	v_add_f64 v[89:90], v[89:90], v[95:96]
	v_add_f64 v[2:3], v[2:3], v[85:86]
	s_waitcnt vmcnt(21) lgkmcnt(1)
	v_mul_f64 v[95:96], v[79:80], v[112:113]
	s_waitcnt vmcnt(20)
	v_fma_f64 v[93:94], v[73:74], v[108:109], -v[93:94]
	v_mul_f64 v[85:86], v[77:78], v[112:113]
	v_fma_f64 v[91:92], v[75:76], v[108:109], v[91:92]
	ds_read_b128 v[73:76], v1 offset:1040
	v_add_f64 v[89:90], v[89:90], v[97:98]
	v_add_f64 v[2:3], v[2:3], v[87:88]
	s_waitcnt vmcnt(19) lgkmcnt(1)
	v_mul_f64 v[97:98], v[83:84], v[114:115]
	s_waitcnt vmcnt(17)
	v_fma_f64 v[95:96], v[77:78], v[118:119], -v[95:96]
	;; [unrolled: 9-line block ×3, first 2 shown]
	v_mul_f64 v[91:92], v[73:74], v[120:121]
	v_fma_f64 v[83:84], v[83:84], v[116:117], v[87:88]
	s_waitcnt vmcnt(11) lgkmcnt(0)
	v_mul_f64 v[87:88], v[77:78], v[122:123]
	v_add_f64 v[89:90], v[89:90], v[95:96]
	v_add_f64 v[85:86], v[2:3], v[85:86]
	v_mul_f64 v[95:96], v[79:80], v[122:123]
	s_waitcnt vmcnt(9)
	v_fma_f64 v[73:74], v[73:74], v[126:127], -v[93:94]
	ds_read_b128 v[1:4], v1 offset:1072
	v_fma_f64 v[75:76], v[75:76], v[126:127], v[91:92]
	s_waitcnt vmcnt(6)
	v_fma_f64 v[79:80], v[79:80], v[124:125], v[87:88]
	v_add_f64 v[81:82], v[89:90], v[81:82]
	v_add_f64 v[83:84], v[85:86], v[83:84]
	s_waitcnt lgkmcnt(0)
	v_mul_f64 v[89:90], v[3:4], v[128:129]
	v_fma_f64 v[77:78], v[77:78], v[124:125], -v[95:96]
	v_mul_f64 v[85:86], v[1:2], v[128:129]
	v_add_f64 v[73:74], v[81:82], v[73:74]
	v_add_f64 v[75:76], v[83:84], v[75:76]
	s_waitcnt vmcnt(4)
	v_fma_f64 v[1:2], v[1:2], v[130:131], -v[89:90]
	v_fma_f64 v[3:4], v[3:4], v[130:131], v[85:86]
	v_add_f64 v[73:74], v[73:74], v[77:78]
	v_add_f64 v[75:76], v[75:76], v[79:80]
	;; [unrolled: 1-line block ×4, first 2 shown]
	s_waitcnt vmcnt(2)
	v_add_f64 v[1:2], v[132:133], -v[1:2]
	s_waitcnt vmcnt(0)
	v_add_f64 v[3:4], v[134:135], -v[3:4]
	buffer_store_dword v2, off, s[0:3], 0 offset:356
	buffer_store_dword v1, off, s[0:3], 0 offset:352
	buffer_store_dword v4, off, s[0:3], 0 offset:364
	buffer_store_dword v3, off, s[0:3], 0 offset:360
	v_cmpx_lt_u32_e32 20, v0
	s_cbranch_execz .LBB33_177
; %bb.176:
	v_mov_b32_e32 v4, s23
	v_mov_b32_e32 v73, 0
	s_clause 0x3
	buffer_load_dword v1, v4, s[0:3], 0 offen
	buffer_load_dword v2, v4, s[0:3], 0 offen offset:4
	buffer_load_dword v3, v4, s[0:3], 0 offen offset:8
	;; [unrolled: 1-line block ×3, first 2 shown]
	buffer_store_dword v73, off, s[0:3], 0 offset:336
	buffer_store_dword v73, off, s[0:3], 0 offset:340
	;; [unrolled: 1-line block ×4, first 2 shown]
	s_waitcnt vmcnt(0)
	ds_write_b128 v101, v[1:4]
.LBB33_177:
	s_or_b32 exec_lo, exec_lo, s4
	s_waitcnt lgkmcnt(0)
	s_waitcnt_vscnt null, 0x0
	s_barrier
	buffer_gl0_inv
	s_clause 0x33
	buffer_load_dword v2, off, s[0:3], 0 offset:360
	buffer_load_dword v3, off, s[0:3], 0 offset:364
	;; [unrolled: 1-line block ×52, first 2 shown]
	v_mov_b32_e32 v1, 0
	ds_read_b128 v[73:76], v1 offset:880
	ds_read_b128 v[77:80], v1 offset:896
	s_clause 0x3
	buffer_load_dword v138, off, s[0:3], 0 offset:336
	buffer_load_dword v139, off, s[0:3], 0 offset:340
	;; [unrolled: 1-line block ×4, first 2 shown]
	ds_read_b128 v[81:84], v1 offset:912
	s_mov_b32 s4, exec_lo
	s_waitcnt vmcnt(54) lgkmcnt(2)
	v_mul_f64 v[136:137], v[75:76], v[2:3]
	v_mul_f64 v[2:3], v[73:74], v[2:3]
	s_waitcnt vmcnt(52) lgkmcnt(1)
	v_mul_f64 v[142:143], v[79:80], v[85:86]
	v_mul_f64 v[85:86], v[77:78], v[85:86]
	s_waitcnt vmcnt(50)
	v_fma_f64 v[136:137], v[73:74], v[87:88], -v[136:137]
	v_fma_f64 v[2:3], v[75:76], v[87:88], v[2:3]
	ds_read_b128 v[73:76], v1 offset:928
	s_waitcnt vmcnt(48) lgkmcnt(1)
	v_mul_f64 v[87:88], v[81:82], v[89:90]
	v_mul_f64 v[89:90], v[83:84], v[89:90]
	s_waitcnt vmcnt(46)
	v_fma_f64 v[142:143], v[77:78], v[91:92], -v[142:143]
	v_fma_f64 v[85:86], v[79:80], v[91:92], v[85:86]
	ds_read_b128 v[77:80], v1 offset:944
	s_waitcnt vmcnt(42) lgkmcnt(1)
	v_mul_f64 v[91:92], v[73:74], v[93:94]
	v_add_f64 v[136:137], v[136:137], 0
	v_add_f64 v[2:3], v[2:3], 0
	v_mul_f64 v[93:94], v[75:76], v[93:94]
	s_waitcnt vmcnt(40)
	v_fma_f64 v[89:90], v[81:82], v[99:100], -v[89:90]
	v_fma_f64 v[87:88], v[83:84], v[99:100], v[87:88]
	ds_read_b128 v[81:84], v1 offset:960
	s_waitcnt vmcnt(37)
	v_fma_f64 v[91:92], v[75:76], v[102:103], v[91:92]
	v_add_f64 v[136:137], v[136:137], v[142:143]
	v_add_f64 v[2:3], v[2:3], v[85:86]
	s_waitcnt lgkmcnt(1)
	v_mul_f64 v[85:86], v[77:78], v[95:96]
	v_mul_f64 v[95:96], v[79:80], v[95:96]
	v_fma_f64 v[93:94], v[73:74], v[102:103], -v[93:94]
	s_waitcnt vmcnt(33) lgkmcnt(0)
	v_mul_f64 v[99:100], v[83:84], v[104:105]
	ds_read_b128 v[73:76], v1 offset:976
	v_add_f64 v[89:90], v[136:137], v[89:90]
	v_add_f64 v[2:3], v[2:3], v[87:88]
	v_mul_f64 v[87:88], v[81:82], v[104:105]
	s_waitcnt vmcnt(32)
	v_fma_f64 v[95:96], v[77:78], v[97:98], -v[95:96]
	v_fma_f64 v[85:86], v[79:80], v[97:98], v[85:86]
	ds_read_b128 v[77:80], v1 offset:992
	s_waitcnt vmcnt(29)
	v_fma_f64 v[97:98], v[81:82], v[110:111], -v[99:100]
	v_add_f64 v[89:90], v[89:90], v[93:94]
	v_add_f64 v[2:3], v[2:3], v[91:92]
	s_waitcnt lgkmcnt(1)
	v_mul_f64 v[93:94], v[75:76], v[106:107]
	v_mul_f64 v[91:92], v[73:74], v[106:107]
	v_fma_f64 v[87:88], v[83:84], v[110:111], v[87:88]
	ds_read_b128 v[81:84], v1 offset:1008
	v_add_f64 v[89:90], v[89:90], v[95:96]
	v_add_f64 v[2:3], v[2:3], v[85:86]
	s_waitcnt vmcnt(25) lgkmcnt(1)
	v_mul_f64 v[95:96], v[79:80], v[112:113]
	s_waitcnt vmcnt(24)
	v_fma_f64 v[93:94], v[73:74], v[108:109], -v[93:94]
	v_mul_f64 v[85:86], v[77:78], v[112:113]
	v_fma_f64 v[91:92], v[75:76], v[108:109], v[91:92]
	ds_read_b128 v[73:76], v1 offset:1024
	v_add_f64 v[89:90], v[89:90], v[97:98]
	v_add_f64 v[2:3], v[2:3], v[87:88]
	s_waitcnt vmcnt(23) lgkmcnt(1)
	v_mul_f64 v[97:98], v[83:84], v[114:115]
	s_waitcnt vmcnt(21)
	v_fma_f64 v[95:96], v[77:78], v[118:119], -v[95:96]
	;; [unrolled: 9-line block ×5, first 2 shown]
	v_mul_f64 v[87:88], v[81:82], v[128:129]
	v_fma_f64 v[79:80], v[79:80], v[124:125], v[85:86]
	s_waitcnt vmcnt(7) lgkmcnt(0)
	v_mul_f64 v[85:86], v[73:74], v[130:131]
	v_add_f64 v[89:90], v[89:90], v[93:94]
	v_add_f64 v[2:3], v[2:3], v[91:92]
	v_mul_f64 v[91:92], v[75:76], v[130:131]
	s_waitcnt vmcnt(5)
	v_fma_f64 v[81:82], v[81:82], v[134:135], -v[97:98]
	v_fma_f64 v[83:84], v[83:84], v[134:135], v[87:88]
	s_waitcnt vmcnt(4)
	v_fma_f64 v[75:76], v[75:76], v[132:133], v[85:86]
	v_add_f64 v[77:78], v[89:90], v[77:78]
	v_add_f64 v[2:3], v[2:3], v[79:80]
	v_fma_f64 v[73:74], v[73:74], v[132:133], -v[91:92]
	v_add_f64 v[77:78], v[77:78], v[81:82]
	v_add_f64 v[2:3], v[2:3], v[83:84]
	;; [unrolled: 1-line block ×4, first 2 shown]
	s_waitcnt vmcnt(2)
	v_add_f64 v[73:74], v[138:139], -v[73:74]
	s_waitcnt vmcnt(0)
	v_add_f64 v[2:3], v[140:141], -v[2:3]
	buffer_store_dword v74, off, s[0:3], 0 offset:340
	buffer_store_dword v73, off, s[0:3], 0 offset:336
	;; [unrolled: 1-line block ×4, first 2 shown]
	v_cmpx_lt_u32_e32 19, v0
	s_cbranch_execz .LBB33_179
; %bb.178:
	v_mov_b32_e32 v2, s22
	s_clause 0x3
	buffer_load_dword v73, v2, s[0:3], 0 offen
	buffer_load_dword v74, v2, s[0:3], 0 offen offset:4
	buffer_load_dword v75, v2, s[0:3], 0 offen offset:8
	;; [unrolled: 1-line block ×3, first 2 shown]
	buffer_store_dword v1, off, s[0:3], 0 offset:320
	buffer_store_dword v1, off, s[0:3], 0 offset:324
	;; [unrolled: 1-line block ×4, first 2 shown]
	s_waitcnt vmcnt(0)
	ds_write_b128 v101, v[73:76]
.LBB33_179:
	s_or_b32 exec_lo, exec_lo, s4
	s_waitcnt lgkmcnt(0)
	s_waitcnt_vscnt null, 0x0
	s_barrier
	buffer_gl0_inv
	s_clause 0x35
	buffer_load_dword v2, off, s[0:3], 0 offset:344
	buffer_load_dword v3, off, s[0:3], 0 offset:348
	;; [unrolled: 1-line block ×54, first 2 shown]
	ds_read_b128 v[73:76], v1 offset:864
	s_clause 0x1
	buffer_load_dword v139, off, s[0:3], 0 offset:548
	buffer_load_dword v138, off, s[0:3], 0 offset:544
	ds_read_b128 v[77:80], v1 offset:880
	ds_read_b128 v[81:84], v1 offset:896
	s_mov_b32 s4, exec_lo
	s_waitcnt vmcnt(54) lgkmcnt(2)
	v_mul_f64 v[140:141], v[75:76], v[2:3]
	v_mul_f64 v[2:3], v[73:74], v[2:3]
	s_waitcnt vmcnt(52) lgkmcnt(1)
	v_mul_f64 v[142:143], v[79:80], v[85:86]
	v_mul_f64 v[85:86], v[77:78], v[85:86]
	;; [unrolled: 3-line block ×3, first 2 shown]
	v_fma_f64 v[140:141], v[73:74], v[87:88], -v[140:141]
	v_fma_f64 v[2:3], v[75:76], v[87:88], v[2:3]
	s_clause 0x3
	buffer_load_dword v87, off, s[0:3], 0 offset:320
	buffer_load_dword v88, off, s[0:3], 0 offset:324
	;; [unrolled: 1-line block ×4, first 2 shown]
	s_waitcnt vmcnt(50)
	v_fma_f64 v[142:143], v[77:78], v[91:92], -v[142:143]
	ds_read_b128 v[73:76], v1 offset:912
	v_fma_f64 v[85:86], v[79:80], v[91:92], v[85:86]
	ds_read_b128 v[77:80], v1 offset:928
	s_waitcnt vmcnt(44)
	v_fma_f64 v[89:90], v[81:82], v[99:100], -v[89:90]
	v_fma_f64 v[99:100], v[83:84], v[99:100], v[146:147]
	ds_read_b128 v[81:84], v1 offset:944
	v_add_f64 v[140:141], v[140:141], 0
	v_add_f64 v[2:3], v[2:3], 0
	s_waitcnt lgkmcnt(2)
	v_mul_f64 v[91:92], v[73:74], v[93:94]
	v_mul_f64 v[93:94], v[75:76], v[93:94]
	v_add_f64 v[140:141], v[140:141], v[142:143]
	v_add_f64 v[2:3], v[2:3], v[85:86]
	s_waitcnt vmcnt(43) lgkmcnt(1)
	v_mul_f64 v[85:86], v[77:78], v[95:96]
	v_mul_f64 v[95:96], v[79:80], v[95:96]
	s_waitcnt vmcnt(41)
	v_fma_f64 v[93:94], v[73:74], v[102:103], -v[93:94]
	v_fma_f64 v[91:92], v[75:76], v[102:103], v[91:92]
	ds_read_b128 v[73:76], v1 offset:960
	s_waitcnt vmcnt(37) lgkmcnt(1)
	v_mul_f64 v[102:103], v[83:84], v[104:105]
	v_add_f64 v[89:90], v[140:141], v[89:90]
	v_add_f64 v[2:3], v[2:3], v[99:100]
	v_mul_f64 v[99:100], v[81:82], v[104:105]
	s_waitcnt vmcnt(36)
	v_fma_f64 v[95:96], v[77:78], v[97:98], -v[95:96]
	v_fma_f64 v[85:86], v[79:80], v[97:98], v[85:86]
	ds_read_b128 v[77:80], v1 offset:976
	s_waitcnt vmcnt(33)
	v_fma_f64 v[97:98], v[81:82], v[110:111], -v[102:103]
	v_add_f64 v[89:90], v[89:90], v[93:94]
	v_add_f64 v[2:3], v[2:3], v[91:92]
	s_waitcnt lgkmcnt(1)
	v_mul_f64 v[93:94], v[75:76], v[106:107]
	v_mul_f64 v[91:92], v[73:74], v[106:107]
	v_add_f64 v[89:90], v[89:90], v[95:96]
	v_fma_f64 v[95:96], v[83:84], v[110:111], v[99:100]
	v_add_f64 v[2:3], v[2:3], v[85:86]
	ds_read_b128 v[81:84], v1 offset:992
	s_waitcnt vmcnt(29) lgkmcnt(1)
	v_mul_f64 v[99:100], v[79:80], v[112:113]
	s_waitcnt vmcnt(28)
	v_fma_f64 v[93:94], v[73:74], v[108:109], -v[93:94]
	v_mul_f64 v[85:86], v[77:78], v[112:113]
	v_fma_f64 v[91:92], v[75:76], v[108:109], v[91:92]
	ds_read_b128 v[73:76], v1 offset:1008
	v_add_f64 v[89:90], v[89:90], v[97:98]
	s_waitcnt vmcnt(27) lgkmcnt(1)
	v_mul_f64 v[97:98], v[83:84], v[114:115]
	v_add_f64 v[2:3], v[2:3], v[95:96]
	v_mul_f64 v[95:96], v[81:82], v[114:115]
	s_waitcnt vmcnt(25)
	v_fma_f64 v[99:100], v[77:78], v[118:119], -v[99:100]
	v_fma_f64 v[85:86], v[79:80], v[118:119], v[85:86]
	ds_read_b128 v[77:80], v1 offset:1024
	v_add_f64 v[89:90], v[89:90], v[93:94]
	s_waitcnt vmcnt(21) lgkmcnt(1)
	v_mul_f64 v[93:94], v[75:76], v[120:121]
	v_add_f64 v[2:3], v[2:3], v[91:92]
	s_waitcnt vmcnt(20)
	v_fma_f64 v[97:98], v[81:82], v[116:117], -v[97:98]
	v_mul_f64 v[91:92], v[73:74], v[120:121]
	v_fma_f64 v[95:96], v[83:84], v[116:117], v[95:96]
	ds_read_b128 v[81:84], v1 offset:1040
	v_add_f64 v[89:90], v[89:90], v[99:100]
	s_waitcnt vmcnt(19) lgkmcnt(1)
	v_mul_f64 v[99:100], v[79:80], v[122:123]
	v_add_f64 v[2:3], v[2:3], v[85:86]
	s_waitcnt vmcnt(17)
	v_fma_f64 v[93:94], v[73:74], v[126:127], -v[93:94]
	v_mul_f64 v[85:86], v[77:78], v[122:123]
	;; [unrolled: 9-line block ×3, first 2 shown]
	v_fma_f64 v[79:80], v[79:80], v[124:125], v[85:86]
	v_add_f64 v[89:90], v[89:90], v[93:94]
	s_waitcnt vmcnt(11) lgkmcnt(0)
	v_mul_f64 v[93:94], v[75:76], v[130:131]
	v_add_f64 v[85:86], v[2:3], v[91:92]
	s_waitcnt vmcnt(9)
	v_fma_f64 v[81:82], v[81:82], v[134:135], -v[97:98]
	ds_read_b128 v[1:4], v1 offset:1072
	v_mul_f64 v[91:92], v[73:74], v[130:131]
	v_fma_f64 v[83:84], v[83:84], v[134:135], v[95:96]
	v_add_f64 v[77:78], v[89:90], v[77:78]
	s_waitcnt vmcnt(6)
	v_fma_f64 v[73:74], v[73:74], v[132:133], -v[93:94]
	v_add_f64 v[79:80], v[85:86], v[79:80]
	s_waitcnt lgkmcnt(0)
	v_mul_f64 v[89:90], v[3:4], v[136:137]
	v_mul_f64 v[85:86], v[1:2], v[136:137]
	v_fma_f64 v[75:76], v[75:76], v[132:133], v[91:92]
	v_add_f64 v[77:78], v[77:78], v[81:82]
	v_add_f64 v[79:80], v[79:80], v[83:84]
	s_waitcnt vmcnt(4)
	v_fma_f64 v[1:2], v[1:2], v[138:139], -v[89:90]
	v_fma_f64 v[3:4], v[3:4], v[138:139], v[85:86]
	v_add_f64 v[73:74], v[77:78], v[73:74]
	v_add_f64 v[75:76], v[79:80], v[75:76]
	;; [unrolled: 1-line block ×4, first 2 shown]
	s_waitcnt vmcnt(2)
	v_add_f64 v[1:2], v[87:88], -v[1:2]
	s_waitcnt vmcnt(0)
	v_add_f64 v[3:4], v[144:145], -v[3:4]
	buffer_store_dword v2, off, s[0:3], 0 offset:324
	buffer_store_dword v1, off, s[0:3], 0 offset:320
	;; [unrolled: 1-line block ×4, first 2 shown]
	v_cmpx_lt_u32_e32 18, v0
	s_cbranch_execz .LBB33_181
; %bb.180:
	v_mov_b32_e32 v4, s19
	v_mov_b32_e32 v73, 0
	s_clause 0x3
	buffer_load_dword v1, v4, s[0:3], 0 offen
	buffer_load_dword v2, v4, s[0:3], 0 offen offset:4
	buffer_load_dword v3, v4, s[0:3], 0 offen offset:8
	;; [unrolled: 1-line block ×3, first 2 shown]
	buffer_store_dword v73, off, s[0:3], 0 offset:304
	buffer_store_dword v73, off, s[0:3], 0 offset:308
	;; [unrolled: 1-line block ×4, first 2 shown]
	s_waitcnt vmcnt(0)
	ds_write_b128 v101, v[1:4]
.LBB33_181:
	s_or_b32 exec_lo, exec_lo, s4
	s_waitcnt lgkmcnt(0)
	s_waitcnt_vscnt null, 0x0
	s_barrier
	buffer_gl0_inv
	s_clause 0x37
	buffer_load_dword v2, off, s[0:3], 0 offset:328
	buffer_load_dword v3, off, s[0:3], 0 offset:332
	buffer_load_dword v85, off, s[0:3], 0 offset:344
	buffer_load_dword v86, off, s[0:3], 0 offset:348
	buffer_load_dword v87, off, s[0:3], 0 offset:320
	buffer_load_dword v88, off, s[0:3], 0 offset:324
	buffer_load_dword v89, off, s[0:3], 0 offset:360
	buffer_load_dword v90, off, s[0:3], 0 offset:364
	buffer_load_dword v91, off, s[0:3], 0 offset:336
	buffer_load_dword v92, off, s[0:3], 0 offset:340
	buffer_load_dword v94, off, s[0:3], 0 offset:380
	buffer_load_dword v95, off, s[0:3], 0 offset:392
	buffer_load_dword v97, off, s[0:3], 0 offset:384
	buffer_load_dword v93, off, s[0:3], 0 offset:376
	buffer_load_dword v99, off, s[0:3], 0 offset:352
	buffer_load_dword v100, off, s[0:3], 0 offset:356
	buffer_load_dword v96, off, s[0:3], 0 offset:396
	buffer_load_dword v103, off, s[0:3], 0 offset:372
	buffer_load_dword v102, off, s[0:3], 0 offset:368
	buffer_load_dword v105, off, s[0:3], 0 offset:412
	buffer_load_dword v106, off, s[0:3], 0 offset:424
	buffer_load_dword v108, off, s[0:3], 0 offset:416
	buffer_load_dword v104, off, s[0:3], 0 offset:408
	buffer_load_dword v98, off, s[0:3], 0 offset:388
	buffer_load_dword v107, off, s[0:3], 0 offset:428
	buffer_load_dword v111, off, s[0:3], 0 offset:404
	buffer_load_dword v110, off, s[0:3], 0 offset:400
	buffer_load_dword v113, off, s[0:3], 0 offset:444
	buffer_load_dword v114, off, s[0:3], 0 offset:456
	buffer_load_dword v116, off, s[0:3], 0 offset:448
	buffer_load_dword v112, off, s[0:3], 0 offset:440
	buffer_load_dword v109, off, s[0:3], 0 offset:420
	buffer_load_dword v115, off, s[0:3], 0 offset:460
	buffer_load_dword v119, off, s[0:3], 0 offset:436
	buffer_load_dword v118, off, s[0:3], 0 offset:432
	buffer_load_dword v121, off, s[0:3], 0 offset:476
	buffer_load_dword v122, off, s[0:3], 0 offset:488
	buffer_load_dword v124, off, s[0:3], 0 offset:480
	buffer_load_dword v120, off, s[0:3], 0 offset:472
	buffer_load_dword v117, off, s[0:3], 0 offset:452
	buffer_load_dword v123, off, s[0:3], 0 offset:492
	buffer_load_dword v127, off, s[0:3], 0 offset:468
	buffer_load_dword v126, off, s[0:3], 0 offset:464
	buffer_load_dword v129, off, s[0:3], 0 offset:508
	buffer_load_dword v130, off, s[0:3], 0 offset:520
	buffer_load_dword v132, off, s[0:3], 0 offset:512
	buffer_load_dword v128, off, s[0:3], 0 offset:504
	buffer_load_dword v125, off, s[0:3], 0 offset:484
	buffer_load_dword v131, off, s[0:3], 0 offset:524
	buffer_load_dword v135, off, s[0:3], 0 offset:500
	buffer_load_dword v134, off, s[0:3], 0 offset:496
	buffer_load_dword v137, off, s[0:3], 0 offset:540
	buffer_load_dword v138, off, s[0:3], 0 offset:552
	buffer_load_dword v140, off, s[0:3], 0 offset:544
	buffer_load_dword v136, off, s[0:3], 0 offset:536
	buffer_load_dword v133, off, s[0:3], 0 offset:516
	v_mov_b32_e32 v1, 0
	s_mov_b32 s4, exec_lo
	ds_read_b128 v[73:76], v1 offset:848
	s_clause 0x2
	buffer_load_dword v139, off, s[0:3], 0 offset:556
	buffer_load_dword v143, off, s[0:3], 0 offset:532
	;; [unrolled: 1-line block ×3, first 2 shown]
	ds_read_b128 v[77:80], v1 offset:864
	ds_read_b128 v[81:84], v1 offset:880
	buffer_load_dword v141, off, s[0:3], 0 offset:548
	s_waitcnt vmcnt(58) lgkmcnt(2)
	v_mul_f64 v[144:145], v[75:76], v[2:3]
	v_mul_f64 v[2:3], v[73:74], v[2:3]
	s_waitcnt vmcnt(56) lgkmcnt(1)
	v_mul_f64 v[146:147], v[79:80], v[85:86]
	v_mul_f64 v[85:86], v[77:78], v[85:86]
	s_waitcnt vmcnt(54)
	v_fma_f64 v[144:145], v[73:74], v[87:88], -v[144:145]
	v_fma_f64 v[2:3], v[75:76], v[87:88], v[2:3]
	s_waitcnt vmcnt(52) lgkmcnt(0)
	v_mul_f64 v[87:88], v[81:82], v[89:90]
	v_mul_f64 v[89:90], v[83:84], v[89:90]
	s_waitcnt vmcnt(50)
	v_fma_f64 v[146:147], v[77:78], v[91:92], -v[146:147]
	ds_read_b128 v[73:76], v1 offset:896
	v_fma_f64 v[85:86], v[79:80], v[91:92], v[85:86]
	s_clause 0x3
	buffer_load_dword v91, off, s[0:3], 0 offset:304
	buffer_load_dword v92, off, s[0:3], 0 offset:308
	;; [unrolled: 1-line block ×4, first 2 shown]
	ds_read_b128 v[77:80], v1 offset:912
	v_add_f64 v[144:145], v[144:145], 0
	v_add_f64 v[2:3], v[2:3], 0
	s_waitcnt vmcnt(48)
	v_fma_f64 v[87:88], v[83:84], v[99:100], v[87:88]
	s_waitcnt lgkmcnt(1)
	v_mul_f64 v[150:151], v[73:74], v[93:94]
	v_mul_f64 v[93:94], v[75:76], v[93:94]
	v_fma_f64 v[89:90], v[81:82], v[99:100], -v[89:90]
	ds_read_b128 v[81:84], v1 offset:928
	v_add_f64 v[144:145], v[144:145], v[146:147]
	v_add_f64 v[2:3], v[2:3], v[85:86]
	s_waitcnt vmcnt(47) lgkmcnt(1)
	v_mul_f64 v[85:86], v[77:78], v[95:96]
	v_mul_f64 v[95:96], v[79:80], v[95:96]
	s_waitcnt vmcnt(45)
	v_fma_f64 v[93:94], v[73:74], v[102:103], -v[93:94]
	v_fma_f64 v[99:100], v[75:76], v[102:103], v[150:151]
	s_waitcnt vmcnt(41) lgkmcnt(0)
	v_mul_f64 v[102:103], v[83:84], v[104:105]
	ds_read_b128 v[73:76], v1 offset:944
	v_add_f64 v[89:90], v[144:145], v[89:90]
	v_add_f64 v[2:3], v[2:3], v[87:88]
	v_mul_f64 v[87:88], v[81:82], v[104:105]
	s_waitcnt vmcnt(40)
	v_fma_f64 v[95:96], v[77:78], v[97:98], -v[95:96]
	v_fma_f64 v[85:86], v[79:80], v[97:98], v[85:86]
	ds_read_b128 v[77:80], v1 offset:960
	s_waitcnt vmcnt(39) lgkmcnt(1)
	v_mul_f64 v[97:98], v[75:76], v[106:107]
	v_add_f64 v[89:90], v[89:90], v[93:94]
	v_add_f64 v[2:3], v[2:3], v[99:100]
	s_waitcnt vmcnt(37)
	v_fma_f64 v[99:100], v[81:82], v[110:111], -v[102:103]
	v_mul_f64 v[93:94], v[73:74], v[106:107]
	v_fma_f64 v[87:88], v[83:84], v[110:111], v[87:88]
	ds_read_b128 v[81:84], v1 offset:976
	s_waitcnt vmcnt(32)
	v_fma_f64 v[97:98], v[73:74], v[108:109], -v[97:98]
	v_add_f64 v[89:90], v[89:90], v[95:96]
	v_add_f64 v[2:3], v[2:3], v[85:86]
	s_waitcnt lgkmcnt(1)
	v_mul_f64 v[95:96], v[79:80], v[112:113]
	v_mul_f64 v[85:86], v[77:78], v[112:113]
	v_fma_f64 v[93:94], v[75:76], v[108:109], v[93:94]
	ds_read_b128 v[73:76], v1 offset:992
	v_add_f64 v[89:90], v[89:90], v[99:100]
	v_add_f64 v[2:3], v[2:3], v[87:88]
	s_waitcnt vmcnt(31) lgkmcnt(1)
	v_mul_f64 v[99:100], v[83:84], v[114:115]
	s_waitcnt vmcnt(29)
	v_fma_f64 v[95:96], v[77:78], v[118:119], -v[95:96]
	v_mul_f64 v[87:88], v[81:82], v[114:115]
	v_fma_f64 v[85:86], v[79:80], v[118:119], v[85:86]
	ds_read_b128 v[77:80], v1 offset:1008
	v_add_f64 v[89:90], v[89:90], v[97:98]
	v_add_f64 v[2:3], v[2:3], v[93:94]
	s_waitcnt vmcnt(25) lgkmcnt(1)
	v_mul_f64 v[97:98], v[75:76], v[120:121]
	s_waitcnt vmcnt(24)
	v_fma_f64 v[99:100], v[81:82], v[116:117], -v[99:100]
	;; [unrolled: 9-line block ×6, first 2 shown]
	v_mul_f64 v[85:86], v[77:78], v[136:137]
	v_fma_f64 v[75:76], v[75:76], v[132:133], v[93:94]
	s_waitcnt vmcnt(7) lgkmcnt(0)
	v_mul_f64 v[93:94], v[83:84], v[138:139]
	v_add_f64 v[89:90], v[89:90], v[99:100]
	v_add_f64 v[2:3], v[2:3], v[87:88]
	s_waitcnt vmcnt(5)
	v_fma_f64 v[77:78], v[77:78], v[142:143], -v[95:96]
	v_mul_f64 v[87:88], v[81:82], v[138:139]
	v_fma_f64 v[79:80], v[79:80], v[142:143], v[85:86]
	v_add_f64 v[73:74], v[89:90], v[73:74]
	v_add_f64 v[2:3], v[2:3], v[75:76]
	s_waitcnt vmcnt(4)
	v_fma_f64 v[75:76], v[81:82], v[140:141], -v[93:94]
	v_add_f64 v[73:74], v[73:74], v[77:78]
	v_fma_f64 v[77:78], v[83:84], v[140:141], v[87:88]
	v_add_f64 v[2:3], v[2:3], v[79:80]
	v_add_f64 v[73:74], v[73:74], v[75:76]
	;; [unrolled: 1-line block ×3, first 2 shown]
	s_waitcnt vmcnt(2)
	v_add_f64 v[73:74], v[91:92], -v[73:74]
	s_waitcnt vmcnt(0)
	v_add_f64 v[2:3], v[148:149], -v[2:3]
	buffer_store_dword v74, off, s[0:3], 0 offset:308
	buffer_store_dword v73, off, s[0:3], 0 offset:304
	;; [unrolled: 1-line block ×4, first 2 shown]
	v_cmpx_lt_u32_e32 17, v0
	s_cbranch_execz .LBB33_183
; %bb.182:
	v_mov_b32_e32 v2, s18
	s_clause 0x3
	buffer_load_dword v73, v2, s[0:3], 0 offen
	buffer_load_dword v74, v2, s[0:3], 0 offen offset:4
	buffer_load_dword v75, v2, s[0:3], 0 offen offset:8
	;; [unrolled: 1-line block ×3, first 2 shown]
	buffer_store_dword v1, off, s[0:3], 0 offset:288
	buffer_store_dword v1, off, s[0:3], 0 offset:292
	;; [unrolled: 1-line block ×4, first 2 shown]
	s_waitcnt vmcnt(0)
	ds_write_b128 v101, v[73:76]
.LBB33_183:
	s_or_b32 exec_lo, exec_lo, s4
	s_waitcnt lgkmcnt(0)
	s_waitcnt_vscnt null, 0x0
	s_barrier
	buffer_gl0_inv
	s_clause 0x37
	buffer_load_dword v2, off, s[0:3], 0 offset:312
	buffer_load_dword v3, off, s[0:3], 0 offset:316
	;; [unrolled: 1-line block ×56, first 2 shown]
	ds_read_b128 v[73:76], v1 offset:832
	s_clause 0x2
	buffer_load_dword v139, off, s[0:3], 0 offset:540
	buffer_load_dword v143, off, s[0:3], 0 offset:516
	;; [unrolled: 1-line block ×3, first 2 shown]
	ds_read_b128 v[77:80], v1 offset:848
	s_clause 0x2
	buffer_load_dword v147, off, s[0:3], 0 offset:556
	buffer_load_dword v146, off, s[0:3], 0 offset:552
	;; [unrolled: 1-line block ×3, first 2 shown]
	ds_read_b128 v[81:84], v1 offset:864
	s_mov_b32 s4, exec_lo
	s_waitcnt vmcnt(60) lgkmcnt(2)
	v_mul_f64 v[144:145], v[75:76], v[2:3]
	v_mul_f64 v[2:3], v[73:74], v[2:3]
	s_waitcnt vmcnt(58) lgkmcnt(1)
	v_mul_f64 v[148:149], v[79:80], v[85:86]
	v_mul_f64 v[85:86], v[77:78], v[85:86]
	;; [unrolled: 3-line block ×3, first 2 shown]
	v_fma_f64 v[144:145], v[73:74], v[87:88], -v[144:145]
	v_fma_f64 v[2:3], v[75:76], v[87:88], v[2:3]
	s_clause 0x1
	buffer_load_dword v88, off, s[0:3], 0 offset:548
	buffer_load_dword v87, off, s[0:3], 0 offset:544
	s_waitcnt vmcnt(54)
	v_fma_f64 v[148:149], v[77:78], v[91:92], -v[148:149]
	ds_read_b128 v[73:76], v1 offset:880
	v_fma_f64 v[85:86], v[79:80], v[91:92], v[85:86]
	ds_read_b128 v[77:80], v1 offset:896
	s_waitcnt vmcnt(48)
	v_fma_f64 v[89:90], v[81:82], v[99:100], -v[89:90]
	v_fma_f64 v[99:100], v[83:84], v[99:100], v[150:151]
	v_add_f64 v[144:145], v[144:145], 0
	v_add_f64 v[2:3], v[2:3], 0
	s_waitcnt lgkmcnt(1)
	v_mul_f64 v[91:92], v[73:74], v[93:94]
	v_mul_f64 v[93:94], v[75:76], v[93:94]
	s_waitcnt vmcnt(47) lgkmcnt(0)
	v_mul_f64 v[150:151], v[77:78], v[95:96]
	v_mul_f64 v[95:96], v[79:80], v[95:96]
	v_add_f64 v[144:145], v[144:145], v[148:149]
	v_add_f64 v[2:3], v[2:3], v[85:86]
	s_clause 0x3
	buffer_load_dword v85, off, s[0:3], 0 offset:288
	buffer_load_dword v86, off, s[0:3], 0 offset:292
	;; [unrolled: 1-line block ×4, first 2 shown]
	s_waitcnt vmcnt(49)
	v_fma_f64 v[93:94], v[73:74], v[102:103], -v[93:94]
	ds_read_b128 v[81:84], v1 offset:912
	v_fma_f64 v[91:92], v[75:76], v[102:103], v[91:92]
	ds_read_b128 v[73:76], v1 offset:928
	s_waitcnt vmcnt(44)
	v_fma_f64 v[95:96], v[77:78], v[97:98], -v[95:96]
	v_add_f64 v[89:90], v[144:145], v[89:90]
	v_add_f64 v[2:3], v[2:3], v[99:100]
	s_waitcnt lgkmcnt(1)
	v_mul_f64 v[102:103], v[83:84], v[104:105]
	v_mul_f64 v[99:100], v[81:82], v[104:105]
	v_add_f64 v[89:90], v[89:90], v[93:94]
	v_fma_f64 v[93:94], v[79:80], v[97:98], v[150:151]
	v_add_f64 v[2:3], v[2:3], v[91:92]
	s_waitcnt vmcnt(43) lgkmcnt(0)
	v_mul_f64 v[97:98], v[75:76], v[106:107]
	s_waitcnt vmcnt(41)
	v_fma_f64 v[102:103], v[81:82], v[110:111], -v[102:103]
	ds_read_b128 v[77:80], v1 offset:944
	v_mul_f64 v[91:92], v[73:74], v[106:107]
	v_add_f64 v[89:90], v[89:90], v[95:96]
	v_fma_f64 v[95:96], v[83:84], v[110:111], v[99:100]
	v_add_f64 v[2:3], v[2:3], v[93:94]
	ds_read_b128 v[81:84], v1 offset:960
	s_waitcnt vmcnt(37) lgkmcnt(1)
	v_mul_f64 v[99:100], v[79:80], v[112:113]
	s_waitcnt vmcnt(36)
	v_fma_f64 v[97:98], v[73:74], v[108:109], -v[97:98]
	v_mul_f64 v[93:94], v[77:78], v[112:113]
	v_fma_f64 v[91:92], v[75:76], v[108:109], v[91:92]
	ds_read_b128 v[73:76], v1 offset:976
	v_add_f64 v[89:90], v[89:90], v[102:103]
	s_waitcnt vmcnt(35) lgkmcnt(1)
	v_mul_f64 v[102:103], v[83:84], v[114:115]
	v_add_f64 v[2:3], v[2:3], v[95:96]
	v_mul_f64 v[95:96], v[81:82], v[114:115]
	s_waitcnt vmcnt(33)
	v_fma_f64 v[99:100], v[77:78], v[118:119], -v[99:100]
	v_fma_f64 v[93:94], v[79:80], v[118:119], v[93:94]
	ds_read_b128 v[77:80], v1 offset:992
	v_add_f64 v[89:90], v[89:90], v[97:98]
	s_waitcnt vmcnt(29) lgkmcnt(1)
	v_mul_f64 v[97:98], v[75:76], v[120:121]
	v_add_f64 v[2:3], v[2:3], v[91:92]
	s_waitcnt vmcnt(28)
	v_fma_f64 v[102:103], v[81:82], v[116:117], -v[102:103]
	v_mul_f64 v[91:92], v[73:74], v[120:121]
	v_fma_f64 v[95:96], v[83:84], v[116:117], v[95:96]
	ds_read_b128 v[81:84], v1 offset:1008
	v_add_f64 v[89:90], v[89:90], v[99:100]
	s_waitcnt vmcnt(27) lgkmcnt(1)
	v_mul_f64 v[99:100], v[79:80], v[122:123]
	v_add_f64 v[2:3], v[2:3], v[93:94]
	s_waitcnt vmcnt(25)
	v_fma_f64 v[97:98], v[73:74], v[126:127], -v[97:98]
	v_mul_f64 v[93:94], v[77:78], v[122:123]
	;; [unrolled: 9-line block ×5, first 2 shown]
	v_fma_f64 v[75:76], v[75:76], v[132:133], v[91:92]
	s_waitcnt vmcnt(11) lgkmcnt(0)
	v_mul_f64 v[97:98], v[83:84], v[138:139]
	v_add_f64 v[89:90], v[89:90], v[102:103]
	s_waitcnt vmcnt(9)
	v_fma_f64 v[77:78], v[77:78], v[142:143], -v[99:100]
	v_add_f64 v[91:92], v[2:3], v[95:96]
	ds_read_b128 v[1:4], v1 offset:1072
	v_mul_f64 v[95:96], v[81:82], v[138:139]
	v_fma_f64 v[79:80], v[79:80], v[142:143], v[93:94]
	s_waitcnt vmcnt(6)
	v_fma_f64 v[81:82], v[81:82], v[140:141], -v[97:98]
	v_add_f64 v[73:74], v[89:90], v[73:74]
	s_waitcnt lgkmcnt(0)
	v_mul_f64 v[89:90], v[1:2], v[146:147]
	v_add_f64 v[75:76], v[91:92], v[75:76]
	v_mul_f64 v[91:92], v[3:4], v[146:147]
	v_add_f64 v[73:74], v[73:74], v[77:78]
	v_fma_f64 v[77:78], v[83:84], v[140:141], v[95:96]
	v_add_f64 v[75:76], v[75:76], v[79:80]
	s_waitcnt vmcnt(4)
	v_fma_f64 v[1:2], v[1:2], v[87:88], -v[91:92]
	v_fma_f64 v[3:4], v[3:4], v[87:88], v[89:90]
	v_add_f64 v[73:74], v[73:74], v[81:82]
	v_add_f64 v[75:76], v[75:76], v[77:78]
	;; [unrolled: 1-line block ×4, first 2 shown]
	s_waitcnt vmcnt(2)
	v_add_f64 v[1:2], v[85:86], -v[1:2]
	s_waitcnt vmcnt(0)
	v_add_f64 v[3:4], v[148:149], -v[3:4]
	buffer_store_dword v2, off, s[0:3], 0 offset:292
	buffer_store_dword v1, off, s[0:3], 0 offset:288
	;; [unrolled: 1-line block ×4, first 2 shown]
	v_cmpx_lt_u32_e32 16, v0
	s_cbranch_execz .LBB33_185
; %bb.184:
	v_mov_b32_e32 v4, s17
	v_mov_b32_e32 v73, 0
	s_clause 0x3
	buffer_load_dword v1, v4, s[0:3], 0 offen
	buffer_load_dword v2, v4, s[0:3], 0 offen offset:4
	buffer_load_dword v3, v4, s[0:3], 0 offen offset:8
	;; [unrolled: 1-line block ×3, first 2 shown]
	buffer_store_dword v73, off, s[0:3], 0 offset:272
	buffer_store_dword v73, off, s[0:3], 0 offset:276
	;; [unrolled: 1-line block ×4, first 2 shown]
	s_waitcnt vmcnt(0)
	ds_write_b128 v101, v[1:4]
.LBB33_185:
	s_or_b32 exec_lo, exec_lo, s4
	s_waitcnt lgkmcnt(0)
	s_waitcnt_vscnt null, 0x0
	s_barrier
	buffer_gl0_inv
	s_clause 0x37
	buffer_load_dword v2, off, s[0:3], 0 offset:296
	buffer_load_dword v3, off, s[0:3], 0 offset:300
	;; [unrolled: 1-line block ×56, first 2 shown]
	v_mov_b32_e32 v1, 0
	s_mov_b32 s4, exec_lo
	ds_read_b128 v[73:76], v1 offset:816
	s_clause 0x2
	buffer_load_dword v139, off, s[0:3], 0 offset:524
	buffer_load_dword v143, off, s[0:3], 0 offset:500
	;; [unrolled: 1-line block ×3, first 2 shown]
	ds_read_b128 v[77:80], v1 offset:832
	s_clause 0x4
	buffer_load_dword v147, off, s[0:3], 0 offset:540
	buffer_load_dword v148, off, s[0:3], 0 offset:552
	;; [unrolled: 1-line block ×5, first 2 shown]
	ds_read_b128 v[81:84], v1 offset:848
	s_waitcnt vmcnt(62) lgkmcnt(2)
	v_mul_f64 v[144:145], v[75:76], v[2:3]
	v_mul_f64 v[2:3], v[73:74], v[2:3]
	s_waitcnt vmcnt(60) lgkmcnt(1)
	v_mul_f64 v[151:152], v[79:80], v[85:86]
	v_mul_f64 v[85:86], v[77:78], v[85:86]
	;; [unrolled: 3-line block ×3, first 2 shown]
	v_fma_f64 v[144:145], v[73:74], v[87:88], -v[144:145]
	v_fma_f64 v[2:3], v[75:76], v[87:88], v[2:3]
	s_clause 0x2
	buffer_load_dword v149, off, s[0:3], 0 offset:556
	buffer_load_dword v88, off, s[0:3], 0 offset:532
	;; [unrolled: 1-line block ×3, first 2 shown]
	s_waitcnt vmcnt(57)
	v_fma_f64 v[155:156], v[77:78], v[91:92], -v[151:152]
	ds_read_b128 v[73:76], v1 offset:864
	v_fma_f64 v[85:86], v[79:80], v[91:92], v[85:86]
	buffer_load_dword v151, off, s[0:3], 0 offset:548
	ds_read_b128 v[77:80], v1 offset:880
	s_waitcnt vmcnt(52)
	v_fma_f64 v[89:90], v[81:82], v[99:100], -v[89:90]
	v_fma_f64 v[99:100], v[83:84], v[99:100], v[153:154]
	ds_read_b128 v[81:84], v1 offset:896
	v_add_f64 v[144:145], v[144:145], 0
	v_add_f64 v[2:3], v[2:3], 0
	s_waitcnt lgkmcnt(2)
	v_mul_f64 v[91:92], v[73:74], v[93:94]
	v_mul_f64 v[93:94], v[75:76], v[93:94]
	v_add_f64 v[144:145], v[144:145], v[155:156]
	v_add_f64 v[2:3], v[2:3], v[85:86]
	s_waitcnt vmcnt(51) lgkmcnt(1)
	v_mul_f64 v[85:86], v[77:78], v[95:96]
	v_mul_f64 v[95:96], v[79:80], v[95:96]
	s_waitcnt vmcnt(49)
	v_fma_f64 v[93:94], v[73:74], v[102:103], -v[93:94]
	v_fma_f64 v[91:92], v[75:76], v[102:103], v[91:92]
	v_add_f64 v[89:90], v[144:145], v[89:90]
	v_add_f64 v[2:3], v[2:3], v[99:100]
	s_clause 0x3
	buffer_load_dword v99, off, s[0:3], 0 offset:272
	buffer_load_dword v100, off, s[0:3], 0 offset:276
	;; [unrolled: 1-line block ×4, first 2 shown]
	s_waitcnt vmcnt(49) lgkmcnt(0)
	v_mul_f64 v[144:145], v[81:82], v[104:105]
	v_mul_f64 v[104:105], v[83:84], v[104:105]
	s_waitcnt vmcnt(48)
	v_fma_f64 v[95:96], v[77:78], v[97:98], -v[95:96]
	ds_read_b128 v[73:76], v1 offset:912
	v_fma_f64 v[85:86], v[79:80], v[97:98], v[85:86]
	ds_read_b128 v[77:80], v1 offset:928
	v_add_f64 v[89:90], v[89:90], v[93:94]
	v_add_f64 v[2:3], v[2:3], v[91:92]
	s_waitcnt vmcnt(47) lgkmcnt(1)
	v_mul_f64 v[93:94], v[75:76], v[106:107]
	s_waitcnt vmcnt(45)
	v_fma_f64 v[97:98], v[81:82], v[110:111], -v[104:105]
	v_mul_f64 v[91:92], v[73:74], v[106:107]
	s_waitcnt vmcnt(41) lgkmcnt(0)
	v_mul_f64 v[104:105], v[79:80], v[112:113]
	v_add_f64 v[89:90], v[89:90], v[95:96]
	v_fma_f64 v[95:96], v[83:84], v[110:111], v[144:145]
	v_add_f64 v[2:3], v[2:3], v[85:86]
	ds_read_b128 v[81:84], v1 offset:944
	s_waitcnt vmcnt(40)
	v_fma_f64 v[93:94], v[73:74], v[108:109], -v[93:94]
	v_mul_f64 v[85:86], v[77:78], v[112:113]
	v_fma_f64 v[91:92], v[75:76], v[108:109], v[91:92]
	ds_read_b128 v[73:76], v1 offset:960
	s_waitcnt vmcnt(37)
	v_fma_f64 v[104:105], v[77:78], v[118:119], -v[104:105]
	v_add_f64 v[89:90], v[89:90], v[97:98]
	s_waitcnt lgkmcnt(1)
	v_mul_f64 v[97:98], v[83:84], v[114:115]
	v_add_f64 v[2:3], v[2:3], v[95:96]
	v_mul_f64 v[95:96], v[81:82], v[114:115]
	v_fma_f64 v[85:86], v[79:80], v[118:119], v[85:86]
	ds_read_b128 v[77:80], v1 offset:976
	v_add_f64 v[89:90], v[89:90], v[93:94]
	s_waitcnt vmcnt(33) lgkmcnt(1)
	v_mul_f64 v[93:94], v[75:76], v[120:121]
	v_add_f64 v[2:3], v[2:3], v[91:92]
	s_waitcnt vmcnt(32)
	v_fma_f64 v[97:98], v[81:82], v[116:117], -v[97:98]
	v_mul_f64 v[91:92], v[73:74], v[120:121]
	v_fma_f64 v[95:96], v[83:84], v[116:117], v[95:96]
	ds_read_b128 v[81:84], v1 offset:992
	v_add_f64 v[89:90], v[89:90], v[104:105]
	s_waitcnt vmcnt(31) lgkmcnt(1)
	v_mul_f64 v[104:105], v[79:80], v[122:123]
	v_add_f64 v[2:3], v[2:3], v[85:86]
	s_waitcnt vmcnt(29)
	v_fma_f64 v[93:94], v[73:74], v[126:127], -v[93:94]
	;; [unrolled: 9-line block ×7, first 2 shown]
	v_mul_f64 v[91:92], v[73:74], v[146:147]
	v_fma_f64 v[83:84], v[83:84], v[140:141], v[95:96]
	v_add_f64 v[89:90], v[89:90], v[104:105]
	v_add_f64 v[2:3], v[2:3], v[85:86]
	s_waitcnt vmcnt(7) lgkmcnt(0)
	v_mul_f64 v[95:96], v[79:80], v[148:149]
	v_mul_f64 v[85:86], v[77:78], v[148:149]
	s_waitcnt vmcnt(5)
	v_fma_f64 v[73:74], v[73:74], v[87:88], -v[93:94]
	v_fma_f64 v[75:76], v[75:76], v[87:88], v[91:92]
	v_add_f64 v[81:82], v[89:90], v[81:82]
	v_add_f64 v[2:3], v[2:3], v[83:84]
	s_waitcnt vmcnt(4)
	v_fma_f64 v[77:78], v[77:78], v[150:151], -v[95:96]
	v_fma_f64 v[79:80], v[79:80], v[150:151], v[85:86]
	v_add_f64 v[73:74], v[81:82], v[73:74]
	v_add_f64 v[2:3], v[2:3], v[75:76]
	;; [unrolled: 1-line block ×4, first 2 shown]
	s_waitcnt vmcnt(2)
	v_add_f64 v[73:74], v[99:100], -v[73:74]
	s_waitcnt vmcnt(0)
	v_add_f64 v[2:3], v[102:103], -v[2:3]
	buffer_store_dword v74, off, s[0:3], 0 offset:276
	buffer_store_dword v73, off, s[0:3], 0 offset:272
	;; [unrolled: 1-line block ×4, first 2 shown]
	v_cmpx_lt_u32_e32 15, v0
	s_cbranch_execz .LBB33_187
; %bb.186:
	v_mov_b32_e32 v2, s16
	s_clause 0x3
	buffer_load_dword v73, v2, s[0:3], 0 offen
	buffer_load_dword v74, v2, s[0:3], 0 offen offset:4
	buffer_load_dword v75, v2, s[0:3], 0 offen offset:8
	buffer_load_dword v76, v2, s[0:3], 0 offen offset:12
	buffer_store_dword v1, off, s[0:3], 0 offset:256
	buffer_store_dword v1, off, s[0:3], 0 offset:260
	;; [unrolled: 1-line block ×4, first 2 shown]
	s_waitcnt vmcnt(0)
	ds_write_b128 v101, v[73:76]
.LBB33_187:
	s_or_b32 exec_lo, exec_lo, s4
	s_waitcnt lgkmcnt(0)
	s_waitcnt_vscnt null, 0x0
	s_barrier
	buffer_gl0_inv
	s_clause 0x37
	buffer_load_dword v2, off, s[0:3], 0 offset:280
	buffer_load_dword v3, off, s[0:3], 0 offset:284
	;; [unrolled: 1-line block ×56, first 2 shown]
	ds_read_b128 v[73:76], v1 offset:800
	s_clause 0x2
	buffer_load_dword v139, off, s[0:3], 0 offset:508
	buffer_load_dword v143, off, s[0:3], 0 offset:484
	;; [unrolled: 1-line block ×3, first 2 shown]
	ds_read_b128 v[77:80], v1 offset:816
	s_clause 0x4
	buffer_load_dword v147, off, s[0:3], 0 offset:524
	buffer_load_dword v148, off, s[0:3], 0 offset:536
	buffer_load_dword v150, off, s[0:3], 0 offset:528
	buffer_load_dword v146, off, s[0:3], 0 offset:520
	buffer_load_dword v141, off, s[0:3], 0 offset:500
	ds_read_b128 v[81:84], v1 offset:832
	s_mov_b32 s4, exec_lo
	s_waitcnt vmcnt(62) lgkmcnt(2)
	v_mul_f64 v[144:145], v[75:76], v[2:3]
	v_mul_f64 v[2:3], v[73:74], v[2:3]
	s_waitcnt vmcnt(60) lgkmcnt(1)
	v_mul_f64 v[151:152], v[79:80], v[85:86]
	v_mul_f64 v[85:86], v[77:78], v[85:86]
	s_waitcnt vmcnt(56) lgkmcnt(0)
	v_mul_f64 v[153:154], v[81:82], v[89:90]
	v_mul_f64 v[89:90], v[83:84], v[89:90]
	v_fma_f64 v[144:145], v[73:74], v[87:88], -v[144:145]
	v_fma_f64 v[2:3], v[75:76], v[87:88], v[2:3]
	s_clause 0x2
	buffer_load_dword v149, off, s[0:3], 0 offset:540
	buffer_load_dword v88, off, s[0:3], 0 offset:516
	;; [unrolled: 1-line block ×3, first 2 shown]
	s_waitcnt vmcnt(57)
	v_fma_f64 v[155:156], v[77:78], v[91:92], -v[151:152]
	ds_read_b128 v[73:76], v1 offset:848
	v_fma_f64 v[85:86], v[79:80], v[91:92], v[85:86]
	s_clause 0x2
	buffer_load_dword v92, off, s[0:3], 0 offset:556
	buffer_load_dword v91, off, s[0:3], 0 offset:552
	;; [unrolled: 1-line block ×3, first 2 shown]
	s_waitcnt vmcnt(54)
	v_fma_f64 v[89:90], v[81:82], v[99:100], -v[89:90]
	ds_read_b128 v[77:80], v1 offset:864
	v_fma_f64 v[99:100], v[83:84], v[99:100], v[153:154]
	v_add_f64 v[144:145], v[144:145], 0
	v_add_f64 v[2:3], v[2:3], 0
	s_waitcnt lgkmcnt(1)
	v_mul_f64 v[157:158], v[73:74], v[93:94]
	v_mul_f64 v[93:94], v[75:76], v[93:94]
	s_waitcnt vmcnt(53) lgkmcnt(0)
	v_mul_f64 v[152:153], v[77:78], v[95:96]
	v_mul_f64 v[95:96], v[79:80], v[95:96]
	v_add_f64 v[144:145], v[144:145], v[155:156]
	v_add_f64 v[2:3], v[2:3], v[85:86]
	s_clause 0x1
	buffer_load_dword v86, off, s[0:3], 0 offset:548
	buffer_load_dword v85, off, s[0:3], 0 offset:544
	s_waitcnt vmcnt(53)
	v_fma_f64 v[93:94], v[73:74], v[102:103], -v[93:94]
	ds_read_b128 v[81:84], v1 offset:880
	v_fma_f64 v[102:103], v[75:76], v[102:103], v[157:158]
	ds_read_b128 v[73:76], v1 offset:896
	s_waitcnt vmcnt(48)
	v_fma_f64 v[95:96], v[77:78], v[97:98], -v[95:96]
	v_add_f64 v[89:90], v[144:145], v[89:90]
	v_add_f64 v[2:3], v[2:3], v[99:100]
	s_waitcnt lgkmcnt(1)
	v_mul_f64 v[99:100], v[81:82], v[104:105]
	v_mul_f64 v[104:105], v[83:84], v[104:105]
	s_waitcnt vmcnt(47) lgkmcnt(0)
	v_mul_f64 v[144:145], v[73:74], v[106:107]
	v_mul_f64 v[106:107], v[75:76], v[106:107]
	v_add_f64 v[89:90], v[89:90], v[93:94]
	v_fma_f64 v[93:94], v[79:80], v[97:98], v[152:153]
	v_add_f64 v[2:3], v[2:3], v[102:103]
	s_clause 0x3
	buffer_load_dword v97, off, s[0:3], 0 offset:256
	buffer_load_dword v98, off, s[0:3], 0 offset:260
	;; [unrolled: 1-line block ×4, first 2 shown]
	s_waitcnt vmcnt(49)
	v_fma_f64 v[104:105], v[81:82], v[110:111], -v[104:105]
	ds_read_b128 v[77:80], v1 offset:912
	s_waitcnt vmcnt(44)
	v_fma_f64 v[106:107], v[73:74], v[108:109], -v[106:107]
	v_add_f64 v[89:90], v[89:90], v[95:96]
	v_fma_f64 v[95:96], v[83:84], v[110:111], v[99:100]
	v_add_f64 v[2:3], v[2:3], v[93:94]
	ds_read_b128 v[81:84], v1 offset:928
	s_waitcnt lgkmcnt(1)
	v_mul_f64 v[99:100], v[79:80], v[112:113]
	v_mul_f64 v[93:94], v[77:78], v[112:113]
	v_add_f64 v[89:90], v[89:90], v[104:105]
	v_fma_f64 v[104:105], v[75:76], v[108:109], v[144:145]
	v_add_f64 v[2:3], v[2:3], v[95:96]
	s_waitcnt vmcnt(43) lgkmcnt(0)
	v_mul_f64 v[108:109], v[83:84], v[114:115]
	s_waitcnt vmcnt(41)
	v_fma_f64 v[99:100], v[77:78], v[118:119], -v[99:100]
	ds_read_b128 v[73:76], v1 offset:944
	v_mul_f64 v[95:96], v[81:82], v[114:115]
	v_fma_f64 v[93:94], v[79:80], v[118:119], v[93:94]
	ds_read_b128 v[77:80], v1 offset:960
	v_add_f64 v[89:90], v[89:90], v[106:107]
	v_add_f64 v[2:3], v[2:3], v[104:105]
	s_waitcnt vmcnt(37) lgkmcnt(1)
	v_mul_f64 v[106:107], v[75:76], v[120:121]
	s_waitcnt vmcnt(36)
	v_fma_f64 v[108:109], v[81:82], v[116:117], -v[108:109]
	v_mul_f64 v[104:105], v[73:74], v[120:121]
	v_fma_f64 v[95:96], v[83:84], v[116:117], v[95:96]
	ds_read_b128 v[81:84], v1 offset:976
	v_add_f64 v[89:90], v[89:90], v[99:100]
	s_waitcnt vmcnt(35) lgkmcnt(1)
	v_mul_f64 v[99:100], v[79:80], v[122:123]
	v_add_f64 v[2:3], v[2:3], v[93:94]
	s_waitcnt vmcnt(33)
	v_fma_f64 v[106:107], v[73:74], v[126:127], -v[106:107]
	v_mul_f64 v[93:94], v[77:78], v[122:123]
	v_fma_f64 v[104:105], v[75:76], v[126:127], v[104:105]
	ds_read_b128 v[73:76], v1 offset:992
	v_add_f64 v[89:90], v[89:90], v[108:109]
	s_waitcnt vmcnt(29) lgkmcnt(1)
	v_mul_f64 v[108:109], v[83:84], v[128:129]
	v_add_f64 v[2:3], v[2:3], v[95:96]
	;; [unrolled: 9-line block ×6, first 2 shown]
	s_waitcnt vmcnt(12)
	v_fma_f64 v[81:82], v[81:82], v[140:141], -v[108:109]
	v_mul_f64 v[104:105], v[73:74], v[146:147]
	v_fma_f64 v[83:84], v[83:84], v[140:141], v[95:96]
	v_add_f64 v[89:90], v[89:90], v[99:100]
	v_add_f64 v[93:94], v[2:3], v[93:94]
	ds_read_b128 v[1:4], v1 offset:1072
	s_waitcnt vmcnt(11) lgkmcnt(1)
	v_mul_f64 v[99:100], v[79:80], v[148:149]
	v_mul_f64 v[95:96], v[77:78], v[148:149]
	s_waitcnt vmcnt(9)
	v_fma_f64 v[73:74], v[73:74], v[87:88], -v[106:107]
	v_fma_f64 v[75:76], v[75:76], v[87:88], v[104:105]
	v_add_f64 v[81:82], v[89:90], v[81:82]
	s_waitcnt vmcnt(7) lgkmcnt(0)
	v_mul_f64 v[89:90], v[3:4], v[91:92]
	v_add_f64 v[83:84], v[93:94], v[83:84]
	v_mul_f64 v[87:88], v[1:2], v[91:92]
	s_waitcnt vmcnt(6)
	v_fma_f64 v[77:78], v[77:78], v[150:151], -v[99:100]
	v_fma_f64 v[79:80], v[79:80], v[150:151], v[95:96]
	v_add_f64 v[73:74], v[81:82], v[73:74]
	v_add_f64 v[75:76], v[83:84], v[75:76]
	s_waitcnt vmcnt(4)
	v_fma_f64 v[1:2], v[1:2], v[85:86], -v[89:90]
	v_fma_f64 v[3:4], v[3:4], v[85:86], v[87:88]
	v_add_f64 v[73:74], v[73:74], v[77:78]
	v_add_f64 v[75:76], v[75:76], v[79:80]
	;; [unrolled: 1-line block ×4, first 2 shown]
	s_waitcnt vmcnt(2)
	v_add_f64 v[1:2], v[97:98], -v[1:2]
	s_waitcnt vmcnt(0)
	v_add_f64 v[3:4], v[102:103], -v[3:4]
	buffer_store_dword v2, off, s[0:3], 0 offset:260
	buffer_store_dword v1, off, s[0:3], 0 offset:256
	buffer_store_dword v4, off, s[0:3], 0 offset:268
	buffer_store_dword v3, off, s[0:3], 0 offset:264
	v_cmpx_lt_u32_e32 14, v0
	s_cbranch_execz .LBB33_189
; %bb.188:
	v_mov_b32_e32 v4, s15
	v_mov_b32_e32 v73, 0
	s_clause 0x3
	buffer_load_dword v1, v4, s[0:3], 0 offen
	buffer_load_dword v2, v4, s[0:3], 0 offen offset:4
	buffer_load_dword v3, v4, s[0:3], 0 offen offset:8
	;; [unrolled: 1-line block ×3, first 2 shown]
	buffer_store_dword v73, off, s[0:3], 0 offset:240
	buffer_store_dword v73, off, s[0:3], 0 offset:244
	;; [unrolled: 1-line block ×4, first 2 shown]
	s_waitcnt vmcnt(0)
	ds_write_b128 v101, v[1:4]
.LBB33_189:
	s_or_b32 exec_lo, exec_lo, s4
	s_waitcnt lgkmcnt(0)
	s_waitcnt_vscnt null, 0x0
	s_barrier
	buffer_gl0_inv
	s_clause 0x35
	buffer_load_dword v2, off, s[0:3], 0 offset:264
	buffer_load_dword v3, off, s[0:3], 0 offset:268
	;; [unrolled: 1-line block ×54, first 2 shown]
	v_mov_b32_e32 v1, 0
	s_mov_b32 s4, exec_lo
	ds_read_b128 v[73:76], v1 offset:784
	s_clause 0x3
	buffer_load_dword v138, off, s[0:3], 0 offset:488
	buffer_load_dword v139, off, s[0:3], 0 offset:492
	;; [unrolled: 1-line block ×4, first 2 shown]
	ds_read_b128 v[77:80], v1 offset:800
	s_clause 0x3
	buffer_load_dword v145, off, s[0:3], 0 offset:508
	buffer_load_dword v144, off, s[0:3], 0 offset:504
	;; [unrolled: 1-line block ×4, first 2 shown]
	ds_read_b128 v[81:84], v1 offset:816
	s_waitcnt vmcnt(60) lgkmcnt(2)
	v_mul_f64 v[142:143], v[75:76], v[2:3]
	v_mul_f64 v[2:3], v[73:74], v[2:3]
	s_waitcnt vmcnt(58) lgkmcnt(1)
	v_mul_f64 v[148:149], v[79:80], v[85:86]
	v_mul_f64 v[85:86], v[77:78], v[85:86]
	s_waitcnt vmcnt(54) lgkmcnt(0)
	v_mul_f64 v[152:153], v[81:82], v[89:90]
	v_mul_f64 v[89:90], v[83:84], v[89:90]
	v_fma_f64 v[142:143], v[73:74], v[87:88], -v[142:143]
	v_fma_f64 v[2:3], v[75:76], v[87:88], v[2:3]
	s_clause 0x3
	buffer_load_dword v87, off, s[0:3], 0 offset:520
	buffer_load_dword v88, off, s[0:3], 0 offset:524
	;; [unrolled: 1-line block ×4, first 2 shown]
	s_waitcnt vmcnt(56)
	v_fma_f64 v[148:149], v[77:78], v[91:92], -v[148:149]
	ds_read_b128 v[73:76], v1 offset:832
	v_fma_f64 v[85:86], v[79:80], v[91:92], v[85:86]
	s_clause 0x3
	buffer_load_dword v92, off, s[0:3], 0 offset:540
	buffer_load_dword v91, off, s[0:3], 0 offset:536
	;; [unrolled: 1-line block ×4, first 2 shown]
	s_waitcnt vmcnt(56)
	v_fma_f64 v[89:90], v[81:82], v[95:96], -v[89:90]
	ds_read_b128 v[77:80], v1 offset:848
	v_fma_f64 v[95:96], v[83:84], v[95:96], v[152:153]
	v_add_f64 v[142:143], v[142:143], 0
	v_add_f64 v[2:3], v[2:3], 0
	s_waitcnt lgkmcnt(1)
	v_mul_f64 v[156:157], v[73:74], v[93:94]
	v_mul_f64 v[93:94], v[75:76], v[93:94]
	s_waitcnt vmcnt(54) lgkmcnt(0)
	v_mul_f64 v[152:153], v[77:78], v[97:98]
	v_mul_f64 v[97:98], v[79:80], v[97:98]
	v_add_f64 v[142:143], v[142:143], v[148:149]
	v_add_f64 v[2:3], v[2:3], v[85:86]
	s_clause 0x3
	buffer_load_dword v85, off, s[0:3], 0 offset:552
	buffer_load_dword v86, off, s[0:3], 0 offset:556
	;; [unrolled: 1-line block ×4, first 2 shown]
	s_waitcnt vmcnt(56)
	v_fma_f64 v[93:94], v[73:74], v[99:100], -v[93:94]
	ds_read_b128 v[81:84], v1 offset:864
	v_fma_f64 v[99:100], v[75:76], v[99:100], v[156:157]
	s_waitcnt vmcnt(52)
	v_fma_f64 v[97:98], v[77:78], v[104:105], -v[97:98]
	v_add_f64 v[89:90], v[142:143], v[89:90]
	v_add_f64 v[2:3], v[2:3], v[95:96]
	s_clause 0x1
	buffer_load_dword v95, off, s[0:3], 0 offset:544
	buffer_load_dword v96, off, s[0:3], 0 offset:548
	s_waitcnt lgkmcnt(0)
	v_mul_f64 v[142:143], v[81:82], v[102:103]
	v_mul_f64 v[102:103], v[83:84], v[102:103]
	ds_read_b128 v[73:76], v1 offset:880
	v_add_f64 v[89:90], v[89:90], v[93:94]
	v_fma_f64 v[93:94], v[79:80], v[104:105], v[152:153]
	v_add_f64 v[2:3], v[2:3], v[99:100]
	ds_read_b128 v[77:80], v1 offset:896
	s_waitcnt vmcnt(52) lgkmcnt(1)
	v_mul_f64 v[104:105], v[75:76], v[106:107]
	s_waitcnt vmcnt(50)
	v_fma_f64 v[102:103], v[81:82], v[108:109], -v[102:103]
	v_mul_f64 v[99:100], v[73:74], v[106:107]
	v_add_f64 v[89:90], v[89:90], v[97:98]
	v_fma_f64 v[97:98], v[83:84], v[108:109], v[142:143]
	v_add_f64 v[2:3], v[2:3], v[93:94]
	s_clause 0x3
	buffer_load_dword v93, off, s[0:3], 0 offset:240
	buffer_load_dword v94, off, s[0:3], 0 offset:244
	;; [unrolled: 1-line block ×4, first 2 shown]
	s_waitcnt vmcnt(52) lgkmcnt(0)
	v_mul_f64 v[108:109], v[77:78], v[110:111]
	v_mul_f64 v[110:111], v[79:80], v[110:111]
	s_waitcnt vmcnt(50)
	v_fma_f64 v[104:105], v[73:74], v[112:113], -v[104:105]
	ds_read_b128 v[81:84], v1 offset:912
	v_fma_f64 v[99:100], v[75:76], v[112:113], v[99:100]
	ds_read_b128 v[73:76], v1 offset:928
	v_add_f64 v[89:90], v[89:90], v[102:103]
	v_add_f64 v[2:3], v[2:3], v[97:98]
	s_waitcnt vmcnt(48) lgkmcnt(1)
	v_mul_f64 v[102:103], v[83:84], v[114:115]
	s_waitcnt vmcnt(46)
	v_fma_f64 v[110:111], v[77:78], v[116:117], -v[110:111]
	v_mul_f64 v[97:98], v[81:82], v[114:115]
	v_add_f64 v[89:90], v[89:90], v[104:105]
	v_fma_f64 v[104:105], v[79:80], v[116:117], v[108:109]
	v_add_f64 v[2:3], v[2:3], v[99:100]
	s_waitcnt vmcnt(44) lgkmcnt(0)
	v_mul_f64 v[108:109], v[75:76], v[118:119]
	ds_read_b128 v[77:80], v1 offset:944
	s_waitcnt vmcnt(42)
	v_fma_f64 v[102:103], v[81:82], v[120:121], -v[102:103]
	v_mul_f64 v[99:100], v[73:74], v[118:119]
	v_fma_f64 v[97:98], v[83:84], v[120:121], v[97:98]
	ds_read_b128 v[81:84], v1 offset:960
	v_add_f64 v[89:90], v[89:90], v[110:111]
	v_add_f64 v[2:3], v[2:3], v[104:105]
	s_waitcnt vmcnt(40) lgkmcnt(1)
	v_mul_f64 v[110:111], v[79:80], v[122:123]
	s_waitcnt vmcnt(38)
	v_fma_f64 v[108:109], v[73:74], v[124:125], -v[108:109]
	v_mul_f64 v[104:105], v[77:78], v[122:123]
	v_fma_f64 v[99:100], v[75:76], v[124:125], v[99:100]
	ds_read_b128 v[73:76], v1 offset:976
	v_add_f64 v[89:90], v[89:90], v[102:103]
	s_waitcnt vmcnt(36) lgkmcnt(1)
	v_mul_f64 v[102:103], v[83:84], v[126:127]
	v_add_f64 v[2:3], v[2:3], v[97:98]
	s_waitcnt vmcnt(34)
	v_fma_f64 v[110:111], v[77:78], v[128:129], -v[110:111]
	v_mul_f64 v[97:98], v[81:82], v[126:127]
	v_fma_f64 v[104:105], v[79:80], v[128:129], v[104:105]
	ds_read_b128 v[77:80], v1 offset:992
	v_add_f64 v[89:90], v[89:90], v[108:109]
	s_waitcnt vmcnt(32) lgkmcnt(1)
	v_mul_f64 v[108:109], v[75:76], v[130:131]
	v_add_f64 v[2:3], v[2:3], v[99:100]
	;; [unrolled: 9-line block ×5, first 2 shown]
	s_waitcnt vmcnt(18)
	v_fma_f64 v[102:103], v[81:82], v[146:147], -v[102:103]
	v_mul_f64 v[99:100], v[73:74], v[144:145]
	v_fma_f64 v[97:98], v[83:84], v[146:147], v[97:98]
	ds_read_b128 v[81:84], v1 offset:1056
	v_add_f64 v[89:90], v[89:90], v[110:111]
	v_add_f64 v[2:3], v[2:3], v[104:105]
	s_waitcnt vmcnt(16) lgkmcnt(1)
	v_mul_f64 v[104:105], v[77:78], v[87:88]
	v_mul_f64 v[87:88], v[79:80], v[87:88]
	s_waitcnt vmcnt(14)
	v_fma_f64 v[108:109], v[73:74], v[150:151], -v[108:109]
	v_fma_f64 v[99:100], v[75:76], v[150:151], v[99:100]
	ds_read_b128 v[73:76], v1 offset:1072
	v_add_f64 v[89:90], v[89:90], v[102:103]
	v_add_f64 v[2:3], v[2:3], v[97:98]
	s_waitcnt vmcnt(12) lgkmcnt(1)
	v_mul_f64 v[97:98], v[81:82], v[91:92]
	v_mul_f64 v[91:92], v[83:84], v[91:92]
	s_waitcnt vmcnt(10)
	v_fma_f64 v[79:80], v[79:80], v[154:155], v[104:105]
	v_fma_f64 v[77:78], v[77:78], v[154:155], -v[87:88]
	v_add_f64 v[87:88], v[89:90], v[108:109]
	v_add_f64 v[2:3], v[2:3], v[99:100]
	s_waitcnt vmcnt(8) lgkmcnt(0)
	v_mul_f64 v[89:90], v[73:74], v[85:86]
	v_mul_f64 v[85:86], v[75:76], v[85:86]
	s_waitcnt vmcnt(6)
	v_fma_f64 v[81:82], v[81:82], v[148:149], -v[91:92]
	v_fma_f64 v[83:84], v[83:84], v[148:149], v[97:98]
	v_add_f64 v[77:78], v[87:88], v[77:78]
	v_add_f64 v[2:3], v[2:3], v[79:80]
	s_waitcnt vmcnt(4)
	v_fma_f64 v[73:74], v[73:74], v[95:96], -v[85:86]
	v_fma_f64 v[75:76], v[75:76], v[95:96], v[89:90]
	v_add_f64 v[77:78], v[77:78], v[81:82]
	v_add_f64 v[2:3], v[2:3], v[83:84]
	;; [unrolled: 1-line block ×4, first 2 shown]
	s_waitcnt vmcnt(2)
	v_add_f64 v[73:74], v[93:94], -v[73:74]
	s_waitcnt vmcnt(0)
	v_add_f64 v[2:3], v[106:107], -v[2:3]
	buffer_store_dword v74, off, s[0:3], 0 offset:244
	buffer_store_dword v73, off, s[0:3], 0 offset:240
	;; [unrolled: 1-line block ×4, first 2 shown]
	v_cmpx_lt_u32_e32 13, v0
	s_cbranch_execz .LBB33_191
; %bb.190:
	v_mov_b32_e32 v2, s14
	s_clause 0x3
	buffer_load_dword v73, v2, s[0:3], 0 offen
	buffer_load_dword v74, v2, s[0:3], 0 offen offset:4
	buffer_load_dword v75, v2, s[0:3], 0 offen offset:8
	;; [unrolled: 1-line block ×3, first 2 shown]
	buffer_store_dword v1, off, s[0:3], 0 offset:224
	buffer_store_dword v1, off, s[0:3], 0 offset:228
	;; [unrolled: 1-line block ×4, first 2 shown]
	s_waitcnt vmcnt(0)
	ds_write_b128 v101, v[73:76]
.LBB33_191:
	s_or_b32 exec_lo, exec_lo, s4
	s_waitcnt lgkmcnt(0)
	s_waitcnt_vscnt null, 0x0
	s_barrier
	buffer_gl0_inv
	s_clause 0x35
	buffer_load_dword v2, off, s[0:3], 0 offset:248
	buffer_load_dword v3, off, s[0:3], 0 offset:252
	;; [unrolled: 1-line block ×54, first 2 shown]
	ds_read_b128 v[73:76], v1 offset:768
	s_clause 0x3
	buffer_load_dword v138, off, s[0:3], 0 offset:472
	buffer_load_dword v139, off, s[0:3], 0 offset:476
	;; [unrolled: 1-line block ×4, first 2 shown]
	ds_read_b128 v[77:80], v1 offset:784
	s_clause 0x3
	buffer_load_dword v145, off, s[0:3], 0 offset:492
	buffer_load_dword v144, off, s[0:3], 0 offset:488
	;; [unrolled: 1-line block ×4, first 2 shown]
	ds_read_b128 v[81:84], v1 offset:800
	s_mov_b32 s4, exec_lo
	s_waitcnt vmcnt(60) lgkmcnt(2)
	v_mul_f64 v[142:143], v[75:76], v[2:3]
	v_mul_f64 v[2:3], v[73:74], v[2:3]
	s_waitcnt vmcnt(58) lgkmcnt(1)
	v_mul_f64 v[148:149], v[79:80], v[85:86]
	v_mul_f64 v[85:86], v[77:78], v[85:86]
	;; [unrolled: 3-line block ×3, first 2 shown]
	v_fma_f64 v[142:143], v[73:74], v[87:88], -v[142:143]
	v_fma_f64 v[2:3], v[75:76], v[87:88], v[2:3]
	s_clause 0x3
	buffer_load_dword v87, off, s[0:3], 0 offset:504
	buffer_load_dword v88, off, s[0:3], 0 offset:508
	;; [unrolled: 1-line block ×4, first 2 shown]
	s_waitcnt vmcnt(56)
	v_fma_f64 v[148:149], v[77:78], v[91:92], -v[148:149]
	ds_read_b128 v[73:76], v1 offset:816
	v_fma_f64 v[85:86], v[79:80], v[91:92], v[85:86]
	s_clause 0x3
	buffer_load_dword v92, off, s[0:3], 0 offset:524
	buffer_load_dword v91, off, s[0:3], 0 offset:520
	;; [unrolled: 1-line block ×4, first 2 shown]
	s_waitcnt vmcnt(56)
	v_fma_f64 v[89:90], v[81:82], v[95:96], -v[89:90]
	ds_read_b128 v[77:80], v1 offset:832
	v_fma_f64 v[95:96], v[83:84], v[95:96], v[152:153]
	v_add_f64 v[142:143], v[142:143], 0
	v_add_f64 v[2:3], v[2:3], 0
	s_waitcnt lgkmcnt(1)
	v_mul_f64 v[156:157], v[73:74], v[93:94]
	v_mul_f64 v[93:94], v[75:76], v[93:94]
	s_waitcnt vmcnt(54) lgkmcnt(0)
	v_mul_f64 v[152:153], v[77:78], v[97:98]
	v_mul_f64 v[97:98], v[79:80], v[97:98]
	v_add_f64 v[142:143], v[142:143], v[148:149]
	v_add_f64 v[2:3], v[2:3], v[85:86]
	s_clause 0x3
	buffer_load_dword v85, off, s[0:3], 0 offset:536
	buffer_load_dword v86, off, s[0:3], 0 offset:540
	;; [unrolled: 1-line block ×4, first 2 shown]
	s_waitcnt vmcnt(56)
	v_fma_f64 v[93:94], v[73:74], v[99:100], -v[93:94]
	ds_read_b128 v[81:84], v1 offset:848
	v_fma_f64 v[99:100], v[75:76], v[99:100], v[156:157]
	s_waitcnt vmcnt(52)
	v_fma_f64 v[97:98], v[77:78], v[104:105], -v[97:98]
	v_add_f64 v[89:90], v[142:143], v[89:90]
	v_add_f64 v[2:3], v[2:3], v[95:96]
	s_clause 0x3
	buffer_load_dword v96, off, s[0:3], 0 offset:556
	buffer_load_dword v95, off, s[0:3], 0 offset:552
	buffer_load_dword v142, off, s[0:3], 0 offset:528
	buffer_load_dword v143, off, s[0:3], 0 offset:532
	s_waitcnt lgkmcnt(0)
	v_mul_f64 v[156:157], v[81:82], v[102:103]
	v_mul_f64 v[102:103], v[83:84], v[102:103]
	ds_read_b128 v[73:76], v1 offset:864
	v_add_f64 v[89:90], v[89:90], v[93:94]
	v_fma_f64 v[93:94], v[79:80], v[104:105], v[152:153]
	v_add_f64 v[2:3], v[2:3], v[99:100]
	s_clause 0x1
	buffer_load_dword v100, off, s[0:3], 0 offset:548
	buffer_load_dword v99, off, s[0:3], 0 offset:544
	s_waitcnt vmcnt(56) lgkmcnt(0)
	v_mul_f64 v[104:105], v[73:74], v[106:107]
	v_mul_f64 v[106:107], v[75:76], v[106:107]
	s_waitcnt vmcnt(54)
	v_fma_f64 v[102:103], v[81:82], v[108:109], -v[102:103]
	ds_read_b128 v[77:80], v1 offset:880
	v_add_f64 v[89:90], v[89:90], v[97:98]
	v_fma_f64 v[97:98], v[83:84], v[108:109], v[156:157]
	v_add_f64 v[2:3], v[2:3], v[93:94]
	ds_read_b128 v[81:84], v1 offset:896
	s_waitcnt vmcnt(52) lgkmcnt(1)
	v_mul_f64 v[108:109], v[79:80], v[110:111]
	s_waitcnt vmcnt(50)
	v_fma_f64 v[106:107], v[73:74], v[112:113], -v[106:107]
	v_mul_f64 v[93:94], v[77:78], v[110:111]
	v_add_f64 v[89:90], v[89:90], v[102:103]
	v_fma_f64 v[102:103], v[75:76], v[112:113], v[104:105]
	v_add_f64 v[2:3], v[2:3], v[97:98]
	s_clause 0x3
	buffer_load_dword v97, off, s[0:3], 0 offset:224
	buffer_load_dword v98, off, s[0:3], 0 offset:228
	;; [unrolled: 1-line block ×4, first 2 shown]
	s_waitcnt vmcnt(52) lgkmcnt(0)
	v_mul_f64 v[112:113], v[83:84], v[114:115]
	s_waitcnt vmcnt(50)
	v_fma_f64 v[108:109], v[77:78], v[116:117], -v[108:109]
	ds_read_b128 v[73:76], v1 offset:912
	v_mul_f64 v[110:111], v[81:82], v[114:115]
	v_fma_f64 v[93:94], v[79:80], v[116:117], v[93:94]
	ds_read_b128 v[77:80], v1 offset:928
	v_add_f64 v[89:90], v[89:90], v[106:107]
	v_add_f64 v[2:3], v[2:3], v[102:103]
	s_waitcnt vmcnt(48) lgkmcnt(1)
	v_mul_f64 v[106:107], v[75:76], v[118:119]
	s_waitcnt vmcnt(46)
	v_fma_f64 v[112:113], v[81:82], v[120:121], -v[112:113]
	v_mul_f64 v[102:103], v[73:74], v[118:119]
	v_add_f64 v[89:90], v[89:90], v[108:109]
	v_fma_f64 v[108:109], v[83:84], v[120:121], v[110:111]
	v_add_f64 v[2:3], v[2:3], v[93:94]
	s_waitcnt vmcnt(44) lgkmcnt(0)
	v_mul_f64 v[110:111], v[79:80], v[122:123]
	s_waitcnt vmcnt(42)
	v_fma_f64 v[106:107], v[73:74], v[124:125], -v[106:107]
	ds_read_b128 v[81:84], v1 offset:944
	v_mul_f64 v[93:94], v[77:78], v[122:123]
	v_fma_f64 v[102:103], v[75:76], v[124:125], v[102:103]
	ds_read_b128 v[73:76], v1 offset:960
	v_add_f64 v[89:90], v[89:90], v[112:113]
	v_add_f64 v[2:3], v[2:3], v[108:109]
	s_waitcnt vmcnt(40) lgkmcnt(1)
	v_mul_f64 v[112:113], v[83:84], v[126:127]
	s_waitcnt vmcnt(38)
	v_fma_f64 v[110:111], v[77:78], v[128:129], -v[110:111]
	v_mul_f64 v[108:109], v[81:82], v[126:127]
	v_fma_f64 v[93:94], v[79:80], v[128:129], v[93:94]
	ds_read_b128 v[77:80], v1 offset:976
	v_add_f64 v[89:90], v[89:90], v[106:107]
	s_waitcnt vmcnt(36) lgkmcnt(1)
	v_mul_f64 v[106:107], v[75:76], v[130:131]
	v_add_f64 v[2:3], v[2:3], v[102:103]
	s_waitcnt vmcnt(34)
	v_fma_f64 v[112:113], v[81:82], v[132:133], -v[112:113]
	v_mul_f64 v[102:103], v[73:74], v[130:131]
	v_fma_f64 v[108:109], v[83:84], v[132:133], v[108:109]
	ds_read_b128 v[81:84], v1 offset:992
	v_add_f64 v[89:90], v[89:90], v[110:111]
	s_waitcnt vmcnt(32) lgkmcnt(1)
	v_mul_f64 v[110:111], v[79:80], v[134:135]
	v_add_f64 v[2:3], v[2:3], v[93:94]
	;; [unrolled: 9-line block ×4, first 2 shown]
	s_waitcnt vmcnt(22)
	v_fma_f64 v[112:113], v[81:82], v[146:147], -v[112:113]
	v_mul_f64 v[102:103], v[73:74], v[144:145]
	v_fma_f64 v[108:109], v[83:84], v[146:147], v[108:109]
	ds_read_b128 v[81:84], v1 offset:1040
	v_add_f64 v[89:90], v[89:90], v[110:111]
	v_add_f64 v[2:3], v[2:3], v[93:94]
	s_waitcnt vmcnt(20) lgkmcnt(1)
	v_mul_f64 v[93:94], v[77:78], v[87:88]
	v_mul_f64 v[87:88], v[79:80], v[87:88]
	s_waitcnt vmcnt(18)
	v_fma_f64 v[106:107], v[73:74], v[150:151], -v[106:107]
	v_fma_f64 v[102:103], v[75:76], v[150:151], v[102:103]
	ds_read_b128 v[73:76], v1 offset:1056
	v_add_f64 v[89:90], v[89:90], v[112:113]
	v_add_f64 v[2:3], v[2:3], v[108:109]
	s_waitcnt vmcnt(16) lgkmcnt(1)
	v_mul_f64 v[108:109], v[81:82], v[91:92]
	v_mul_f64 v[91:92], v[83:84], v[91:92]
	s_waitcnt vmcnt(14)
	v_fma_f64 v[79:80], v[79:80], v[154:155], v[93:94]
	v_fma_f64 v[77:78], v[77:78], v[154:155], -v[87:88]
	v_add_f64 v[87:88], v[89:90], v[106:107]
	v_add_f64 v[89:90], v[2:3], v[102:103]
	ds_read_b128 v[1:4], v1 offset:1072
	s_waitcnt vmcnt(12) lgkmcnt(1)
	v_mul_f64 v[93:94], v[73:74], v[85:86]
	v_mul_f64 v[85:86], v[75:76], v[85:86]
	s_waitcnt vmcnt(10)
	v_fma_f64 v[81:82], v[81:82], v[148:149], -v[91:92]
	v_fma_f64 v[83:84], v[83:84], v[148:149], v[108:109]
	v_add_f64 v[77:78], v[87:88], v[77:78]
	v_add_f64 v[79:80], v[89:90], v[79:80]
	s_waitcnt vmcnt(8) lgkmcnt(0)
	v_mul_f64 v[89:90], v[3:4], v[95:96]
	v_mul_f64 v[87:88], v[1:2], v[95:96]
	s_waitcnt vmcnt(6)
	v_fma_f64 v[73:74], v[73:74], v[142:143], -v[85:86]
	v_fma_f64 v[75:76], v[75:76], v[142:143], v[93:94]
	v_add_f64 v[77:78], v[77:78], v[81:82]
	v_add_f64 v[79:80], v[79:80], v[83:84]
	s_waitcnt vmcnt(4)
	v_fma_f64 v[1:2], v[1:2], v[99:100], -v[89:90]
	v_fma_f64 v[3:4], v[3:4], v[99:100], v[87:88]
	v_add_f64 v[73:74], v[77:78], v[73:74]
	v_add_f64 v[75:76], v[79:80], v[75:76]
	;; [unrolled: 1-line block ×4, first 2 shown]
	s_waitcnt vmcnt(2)
	v_add_f64 v[1:2], v[97:98], -v[1:2]
	s_waitcnt vmcnt(0)
	v_add_f64 v[3:4], v[104:105], -v[3:4]
	buffer_store_dword v2, off, s[0:3], 0 offset:228
	buffer_store_dword v1, off, s[0:3], 0 offset:224
	;; [unrolled: 1-line block ×4, first 2 shown]
	v_cmpx_lt_u32_e32 12, v0
	s_cbranch_execz .LBB33_193
; %bb.192:
	v_mov_b32_e32 v4, s13
	v_mov_b32_e32 v73, 0
	s_clause 0x3
	buffer_load_dword v1, v4, s[0:3], 0 offen
	buffer_load_dword v2, v4, s[0:3], 0 offen offset:4
	buffer_load_dword v3, v4, s[0:3], 0 offen offset:8
	;; [unrolled: 1-line block ×3, first 2 shown]
	buffer_store_dword v73, off, s[0:3], 0 offset:208
	buffer_store_dword v73, off, s[0:3], 0 offset:212
	;; [unrolled: 1-line block ×4, first 2 shown]
	s_waitcnt vmcnt(0)
	ds_write_b128 v101, v[1:4]
.LBB33_193:
	s_or_b32 exec_lo, exec_lo, s4
	s_waitcnt lgkmcnt(0)
	s_waitcnt_vscnt null, 0x0
	s_barrier
	buffer_gl0_inv
	s_clause 0x35
	buffer_load_dword v2, off, s[0:3], 0 offset:232
	buffer_load_dword v3, off, s[0:3], 0 offset:236
	buffer_load_dword v85, off, s[0:3], 0 offset:248
	buffer_load_dword v86, off, s[0:3], 0 offset:252
	buffer_load_dword v87, off, s[0:3], 0 offset:224
	buffer_load_dword v88, off, s[0:3], 0 offset:228
	buffer_load_dword v89, off, s[0:3], 0 offset:264
	buffer_load_dword v90, off, s[0:3], 0 offset:268
	buffer_load_dword v91, off, s[0:3], 0 offset:240
	buffer_load_dword v92, off, s[0:3], 0 offset:244
	buffer_load_dword v94, off, s[0:3], 0 offset:284
	buffer_load_dword v93, off, s[0:3], 0 offset:280
	buffer_load_dword v95, off, s[0:3], 0 offset:256
	buffer_load_dword v96, off, s[0:3], 0 offset:260
	buffer_load_dword v97, off, s[0:3], 0 offset:296
	buffer_load_dword v98, off, s[0:3], 0 offset:300
	buffer_load_dword v100, off, s[0:3], 0 offset:276
	buffer_load_dword v99, off, s[0:3], 0 offset:272
	buffer_load_dword v103, off, s[0:3], 0 offset:316
	buffer_load_dword v102, off, s[0:3], 0 offset:312
	buffer_load_dword v104, off, s[0:3], 0 offset:288
	buffer_load_dword v105, off, s[0:3], 0 offset:292
	buffer_load_dword v106, off, s[0:3], 0 offset:328
	buffer_load_dword v107, off, s[0:3], 0 offset:332
	buffer_load_dword v109, off, s[0:3], 0 offset:308
	buffer_load_dword v108, off, s[0:3], 0 offset:304
	buffer_load_dword v111, off, s[0:3], 0 offset:348
	buffer_load_dword v110, off, s[0:3], 0 offset:344
	buffer_load_dword v112, off, s[0:3], 0 offset:320
	buffer_load_dword v113, off, s[0:3], 0 offset:324
	buffer_load_dword v114, off, s[0:3], 0 offset:360
	buffer_load_dword v115, off, s[0:3], 0 offset:364
	buffer_load_dword v117, off, s[0:3], 0 offset:340
	buffer_load_dword v116, off, s[0:3], 0 offset:336
	buffer_load_dword v119, off, s[0:3], 0 offset:380
	buffer_load_dword v118, off, s[0:3], 0 offset:376
	buffer_load_dword v120, off, s[0:3], 0 offset:352
	buffer_load_dword v121, off, s[0:3], 0 offset:356
	buffer_load_dword v122, off, s[0:3], 0 offset:392
	buffer_load_dword v123, off, s[0:3], 0 offset:396
	buffer_load_dword v125, off, s[0:3], 0 offset:372
	buffer_load_dword v124, off, s[0:3], 0 offset:368
	buffer_load_dword v127, off, s[0:3], 0 offset:412
	buffer_load_dword v126, off, s[0:3], 0 offset:408
	buffer_load_dword v128, off, s[0:3], 0 offset:384
	buffer_load_dword v129, off, s[0:3], 0 offset:388
	buffer_load_dword v130, off, s[0:3], 0 offset:424
	buffer_load_dword v131, off, s[0:3], 0 offset:428
	buffer_load_dword v133, off, s[0:3], 0 offset:404
	buffer_load_dword v132, off, s[0:3], 0 offset:400
	buffer_load_dword v135, off, s[0:3], 0 offset:444
	buffer_load_dword v134, off, s[0:3], 0 offset:440
	buffer_load_dword v136, off, s[0:3], 0 offset:416
	buffer_load_dword v137, off, s[0:3], 0 offset:420
	v_mov_b32_e32 v1, 0
	s_mov_b32 s4, exec_lo
	ds_read_b128 v[73:76], v1 offset:752
	s_clause 0x3
	buffer_load_dword v138, off, s[0:3], 0 offset:456
	buffer_load_dword v139, off, s[0:3], 0 offset:460
	;; [unrolled: 1-line block ×4, first 2 shown]
	ds_read_b128 v[77:80], v1 offset:768
	s_clause 0x3
	buffer_load_dword v145, off, s[0:3], 0 offset:476
	buffer_load_dword v144, off, s[0:3], 0 offset:472
	;; [unrolled: 1-line block ×4, first 2 shown]
	ds_read_b128 v[81:84], v1 offset:784
	s_waitcnt vmcnt(60) lgkmcnt(2)
	v_mul_f64 v[142:143], v[75:76], v[2:3]
	v_mul_f64 v[2:3], v[73:74], v[2:3]
	s_waitcnt vmcnt(58) lgkmcnt(1)
	v_mul_f64 v[148:149], v[79:80], v[85:86]
	v_mul_f64 v[85:86], v[77:78], v[85:86]
	s_waitcnt vmcnt(54) lgkmcnt(0)
	v_mul_f64 v[152:153], v[81:82], v[89:90]
	v_mul_f64 v[89:90], v[83:84], v[89:90]
	v_fma_f64 v[142:143], v[73:74], v[87:88], -v[142:143]
	v_fma_f64 v[2:3], v[75:76], v[87:88], v[2:3]
	s_clause 0x3
	buffer_load_dword v87, off, s[0:3], 0 offset:488
	buffer_load_dword v88, off, s[0:3], 0 offset:492
	;; [unrolled: 1-line block ×4, first 2 shown]
	s_waitcnt vmcnt(56)
	v_fma_f64 v[148:149], v[77:78], v[91:92], -v[148:149]
	ds_read_b128 v[73:76], v1 offset:800
	v_fma_f64 v[85:86], v[79:80], v[91:92], v[85:86]
	s_clause 0x3
	buffer_load_dword v92, off, s[0:3], 0 offset:508
	buffer_load_dword v91, off, s[0:3], 0 offset:504
	;; [unrolled: 1-line block ×4, first 2 shown]
	s_waitcnt vmcnt(56)
	v_fma_f64 v[89:90], v[81:82], v[95:96], -v[89:90]
	ds_read_b128 v[77:80], v1 offset:816
	v_fma_f64 v[95:96], v[83:84], v[95:96], v[152:153]
	v_add_f64 v[142:143], v[142:143], 0
	v_add_f64 v[2:3], v[2:3], 0
	s_waitcnt lgkmcnt(1)
	v_mul_f64 v[156:157], v[73:74], v[93:94]
	v_mul_f64 v[93:94], v[75:76], v[93:94]
	s_waitcnt vmcnt(54) lgkmcnt(0)
	v_mul_f64 v[152:153], v[77:78], v[97:98]
	v_mul_f64 v[97:98], v[79:80], v[97:98]
	v_add_f64 v[142:143], v[142:143], v[148:149]
	v_add_f64 v[2:3], v[2:3], v[85:86]
	s_clause 0x3
	buffer_load_dword v85, off, s[0:3], 0 offset:520
	buffer_load_dword v86, off, s[0:3], 0 offset:524
	;; [unrolled: 1-line block ×4, first 2 shown]
	s_waitcnt vmcnt(56)
	v_fma_f64 v[93:94], v[73:74], v[99:100], -v[93:94]
	ds_read_b128 v[81:84], v1 offset:832
	v_fma_f64 v[99:100], v[75:76], v[99:100], v[156:157]
	s_waitcnt vmcnt(52)
	v_fma_f64 v[97:98], v[77:78], v[104:105], -v[97:98]
	v_add_f64 v[89:90], v[142:143], v[89:90]
	v_add_f64 v[2:3], v[2:3], v[95:96]
	s_clause 0x3
	buffer_load_dword v96, off, s[0:3], 0 offset:540
	buffer_load_dword v95, off, s[0:3], 0 offset:536
	;; [unrolled: 1-line block ×4, first 2 shown]
	s_waitcnt lgkmcnt(0)
	v_mul_f64 v[156:157], v[81:82], v[102:103]
	v_mul_f64 v[102:103], v[83:84], v[102:103]
	ds_read_b128 v[73:76], v1 offset:848
	v_add_f64 v[89:90], v[89:90], v[93:94]
	v_fma_f64 v[93:94], v[79:80], v[104:105], v[152:153]
	v_add_f64 v[2:3], v[2:3], v[99:100]
	s_clause 0x3
	buffer_load_dword v99, off, s[0:3], 0 offset:552
	buffer_load_dword v100, off, s[0:3], 0 offset:556
	;; [unrolled: 1-line block ×4, first 2 shown]
	s_waitcnt vmcnt(58) lgkmcnt(0)
	v_mul_f64 v[152:153], v[73:74], v[106:107]
	v_mul_f64 v[106:107], v[75:76], v[106:107]
	s_waitcnt vmcnt(56)
	v_fma_f64 v[102:103], v[81:82], v[108:109], -v[102:103]
	ds_read_b128 v[77:80], v1 offset:864
	v_add_f64 v[89:90], v[89:90], v[97:98]
	v_fma_f64 v[97:98], v[83:84], v[108:109], v[156:157]
	v_add_f64 v[2:3], v[2:3], v[93:94]
	s_clause 0x1
	buffer_load_dword v93, off, s[0:3], 0 offset:544
	buffer_load_dword v94, off, s[0:3], 0 offset:548
	ds_read_b128 v[81:84], v1 offset:880
	s_waitcnt vmcnt(56) lgkmcnt(1)
	v_mul_f64 v[108:109], v[77:78], v[110:111]
	v_mul_f64 v[110:111], v[79:80], v[110:111]
	s_waitcnt vmcnt(54)
	v_fma_f64 v[106:107], v[73:74], v[112:113], -v[106:107]
	v_add_f64 v[89:90], v[89:90], v[102:103]
	v_fma_f64 v[102:103], v[75:76], v[112:113], v[152:153]
	v_add_f64 v[2:3], v[2:3], v[97:98]
	ds_read_b128 v[73:76], v1 offset:896
	s_waitcnt vmcnt(52) lgkmcnt(1)
	v_mul_f64 v[112:113], v[83:84], v[114:115]
	v_mul_f64 v[97:98], v[81:82], v[114:115]
	s_waitcnt vmcnt(50)
	v_fma_f64 v[110:111], v[77:78], v[116:117], -v[110:111]
	v_add_f64 v[89:90], v[89:90], v[106:107]
	v_fma_f64 v[106:107], v[79:80], v[116:117], v[108:109]
	v_add_f64 v[2:3], v[2:3], v[102:103]
	s_clause 0x3
	buffer_load_dword v102, off, s[0:3], 0 offset:208
	buffer_load_dword v103, off, s[0:3], 0 offset:212
	;; [unrolled: 1-line block ×4, first 2 shown]
	s_waitcnt vmcnt(52) lgkmcnt(0)
	v_mul_f64 v[116:117], v[75:76], v[118:119]
	s_waitcnt vmcnt(50)
	v_fma_f64 v[112:113], v[81:82], v[120:121], -v[112:113]
	ds_read_b128 v[77:80], v1 offset:912
	v_mul_f64 v[114:115], v[73:74], v[118:119]
	v_fma_f64 v[97:98], v[83:84], v[120:121], v[97:98]
	ds_read_b128 v[81:84], v1 offset:928
	v_add_f64 v[89:90], v[89:90], v[110:111]
	v_add_f64 v[2:3], v[2:3], v[106:107]
	s_waitcnt vmcnt(48) lgkmcnt(1)
	v_mul_f64 v[110:111], v[79:80], v[122:123]
	s_waitcnt vmcnt(46)
	v_fma_f64 v[116:117], v[73:74], v[124:125], -v[116:117]
	v_mul_f64 v[106:107], v[77:78], v[122:123]
	v_add_f64 v[89:90], v[89:90], v[112:113]
	v_fma_f64 v[112:113], v[75:76], v[124:125], v[114:115]
	v_add_f64 v[2:3], v[2:3], v[97:98]
	s_waitcnt vmcnt(44) lgkmcnt(0)
	v_mul_f64 v[114:115], v[83:84], v[126:127]
	s_waitcnt vmcnt(42)
	v_fma_f64 v[110:111], v[77:78], v[128:129], -v[110:111]
	ds_read_b128 v[73:76], v1 offset:944
	v_mul_f64 v[97:98], v[81:82], v[126:127]
	v_fma_f64 v[106:107], v[79:80], v[128:129], v[106:107]
	ds_read_b128 v[77:80], v1 offset:960
	v_add_f64 v[89:90], v[89:90], v[116:117]
	v_add_f64 v[2:3], v[2:3], v[112:113]
	s_waitcnt vmcnt(40) lgkmcnt(1)
	v_mul_f64 v[116:117], v[75:76], v[130:131]
	s_waitcnt vmcnt(38)
	v_fma_f64 v[114:115], v[81:82], v[132:133], -v[114:115]
	v_mul_f64 v[112:113], v[73:74], v[130:131]
	v_fma_f64 v[97:98], v[83:84], v[132:133], v[97:98]
	ds_read_b128 v[81:84], v1 offset:976
	v_add_f64 v[89:90], v[89:90], v[110:111]
	s_waitcnt vmcnt(36) lgkmcnt(1)
	v_mul_f64 v[110:111], v[79:80], v[134:135]
	v_add_f64 v[2:3], v[2:3], v[106:107]
	s_waitcnt vmcnt(34)
	v_fma_f64 v[116:117], v[73:74], v[136:137], -v[116:117]
	v_mul_f64 v[106:107], v[77:78], v[134:135]
	v_fma_f64 v[112:113], v[75:76], v[136:137], v[112:113]
	ds_read_b128 v[73:76], v1 offset:992
	v_add_f64 v[89:90], v[89:90], v[114:115]
	s_waitcnt vmcnt(32) lgkmcnt(1)
	v_mul_f64 v[114:115], v[83:84], v[138:139]
	v_add_f64 v[2:3], v[2:3], v[97:98]
	;; [unrolled: 9-line block ×3, first 2 shown]
	s_waitcnt vmcnt(26)
	v_fma_f64 v[114:115], v[81:82], v[146:147], -v[114:115]
	v_mul_f64 v[112:113], v[73:74], v[144:145]
	v_fma_f64 v[97:98], v[83:84], v[146:147], v[97:98]
	ds_read_b128 v[81:84], v1 offset:1024
	v_add_f64 v[89:90], v[89:90], v[110:111]
	v_add_f64 v[2:3], v[2:3], v[106:107]
	s_waitcnt vmcnt(24) lgkmcnt(1)
	v_mul_f64 v[106:107], v[77:78], v[87:88]
	v_mul_f64 v[87:88], v[79:80], v[87:88]
	s_waitcnt vmcnt(22)
	v_fma_f64 v[110:111], v[73:74], v[150:151], -v[116:117]
	v_fma_f64 v[112:113], v[75:76], v[150:151], v[112:113]
	ds_read_b128 v[73:76], v1 offset:1040
	v_add_f64 v[89:90], v[89:90], v[114:115]
	v_add_f64 v[2:3], v[2:3], v[97:98]
	s_waitcnt vmcnt(20) lgkmcnt(1)
	v_mul_f64 v[97:98], v[81:82], v[91:92]
	v_mul_f64 v[91:92], v[83:84], v[91:92]
	s_waitcnt vmcnt(18)
	v_fma_f64 v[106:107], v[79:80], v[154:155], v[106:107]
	v_fma_f64 v[87:88], v[77:78], v[154:155], -v[87:88]
	ds_read_b128 v[77:80], v1 offset:1056
	v_add_f64 v[89:90], v[89:90], v[110:111]
	v_add_f64 v[2:3], v[2:3], v[112:113]
	s_waitcnt vmcnt(16) lgkmcnt(1)
	v_mul_f64 v[110:111], v[73:74], v[85:86]
	v_mul_f64 v[85:86], v[75:76], v[85:86]
	s_waitcnt vmcnt(14)
	v_fma_f64 v[91:92], v[81:82], v[148:149], -v[91:92]
	v_add_f64 v[87:88], v[89:90], v[87:88]
	v_fma_f64 v[89:90], v[83:84], v[148:149], v[97:98]
	v_add_f64 v[2:3], v[2:3], v[106:107]
	ds_read_b128 v[81:84], v1 offset:1072
	s_waitcnt vmcnt(12) lgkmcnt(1)
	v_mul_f64 v[97:98], v[77:78], v[95:96]
	v_mul_f64 v[95:96], v[79:80], v[95:96]
	s_waitcnt vmcnt(10)
	v_fma_f64 v[73:74], v[73:74], v[142:143], -v[85:86]
	v_fma_f64 v[75:76], v[75:76], v[142:143], v[110:111]
	v_add_f64 v[85:86], v[87:88], v[91:92]
	v_add_f64 v[2:3], v[2:3], v[89:90]
	s_waitcnt vmcnt(8) lgkmcnt(0)
	v_mul_f64 v[89:90], v[83:84], v[99:100]
	v_mul_f64 v[87:88], v[81:82], v[99:100]
	s_waitcnt vmcnt(6)
	v_fma_f64 v[77:78], v[77:78], v[104:105], -v[95:96]
	v_fma_f64 v[79:80], v[79:80], v[104:105], v[97:98]
	v_add_f64 v[73:74], v[85:86], v[73:74]
	v_add_f64 v[2:3], v[2:3], v[75:76]
	s_waitcnt vmcnt(4)
	v_fma_f64 v[75:76], v[81:82], v[93:94], -v[89:90]
	v_add_f64 v[73:74], v[73:74], v[77:78]
	v_fma_f64 v[77:78], v[83:84], v[93:94], v[87:88]
	v_add_f64 v[2:3], v[2:3], v[79:80]
	v_add_f64 v[73:74], v[73:74], v[75:76]
	;; [unrolled: 1-line block ×3, first 2 shown]
	s_waitcnt vmcnt(2)
	v_add_f64 v[73:74], v[102:103], -v[73:74]
	s_waitcnt vmcnt(0)
	v_add_f64 v[2:3], v[108:109], -v[2:3]
	buffer_store_dword v74, off, s[0:3], 0 offset:212
	buffer_store_dword v73, off, s[0:3], 0 offset:208
	buffer_store_dword v3, off, s[0:3], 0 offset:220
	buffer_store_dword v2, off, s[0:3], 0 offset:216
	v_cmpx_lt_u32_e32 11, v0
	s_cbranch_execz .LBB33_195
; %bb.194:
	v_mov_b32_e32 v2, s12
	s_clause 0x3
	buffer_load_dword v73, v2, s[0:3], 0 offen
	buffer_load_dword v74, v2, s[0:3], 0 offen offset:4
	buffer_load_dword v75, v2, s[0:3], 0 offen offset:8
	;; [unrolled: 1-line block ×3, first 2 shown]
	buffer_store_dword v1, off, s[0:3], 0 offset:192
	buffer_store_dword v1, off, s[0:3], 0 offset:196
	;; [unrolled: 1-line block ×4, first 2 shown]
	s_waitcnt vmcnt(0)
	ds_write_b128 v101, v[73:76]
.LBB33_195:
	s_or_b32 exec_lo, exec_lo, s4
	s_waitcnt lgkmcnt(0)
	s_waitcnt_vscnt null, 0x0
	s_barrier
	buffer_gl0_inv
	s_clause 0x35
	buffer_load_dword v2, off, s[0:3], 0 offset:216
	buffer_load_dword v3, off, s[0:3], 0 offset:220
	;; [unrolled: 1-line block ×54, first 2 shown]
	ds_read_b128 v[73:76], v1 offset:736
	s_clause 0x3
	buffer_load_dword v138, off, s[0:3], 0 offset:440
	buffer_load_dword v139, off, s[0:3], 0 offset:444
	;; [unrolled: 1-line block ×4, first 2 shown]
	ds_read_b128 v[77:80], v1 offset:752
	s_clause 0x3
	buffer_load_dword v145, off, s[0:3], 0 offset:460
	buffer_load_dword v144, off, s[0:3], 0 offset:456
	;; [unrolled: 1-line block ×4, first 2 shown]
	ds_read_b128 v[81:84], v1 offset:768
	s_mov_b32 s4, exec_lo
	s_waitcnt vmcnt(60) lgkmcnt(2)
	v_mul_f64 v[142:143], v[75:76], v[2:3]
	v_mul_f64 v[2:3], v[73:74], v[2:3]
	s_waitcnt vmcnt(58) lgkmcnt(1)
	v_mul_f64 v[148:149], v[79:80], v[85:86]
	v_mul_f64 v[85:86], v[77:78], v[85:86]
	;; [unrolled: 3-line block ×3, first 2 shown]
	v_fma_f64 v[142:143], v[73:74], v[87:88], -v[142:143]
	v_fma_f64 v[2:3], v[75:76], v[87:88], v[2:3]
	s_clause 0x3
	buffer_load_dword v87, off, s[0:3], 0 offset:472
	buffer_load_dword v88, off, s[0:3], 0 offset:476
	;; [unrolled: 1-line block ×4, first 2 shown]
	s_waitcnt vmcnt(56)
	v_fma_f64 v[148:149], v[77:78], v[91:92], -v[148:149]
	ds_read_b128 v[73:76], v1 offset:784
	v_fma_f64 v[85:86], v[79:80], v[91:92], v[85:86]
	s_clause 0x3
	buffer_load_dword v92, off, s[0:3], 0 offset:492
	buffer_load_dword v91, off, s[0:3], 0 offset:488
	;; [unrolled: 1-line block ×4, first 2 shown]
	s_waitcnt vmcnt(56)
	v_fma_f64 v[89:90], v[81:82], v[95:96], -v[89:90]
	ds_read_b128 v[77:80], v1 offset:800
	v_fma_f64 v[95:96], v[83:84], v[95:96], v[152:153]
	v_add_f64 v[142:143], v[142:143], 0
	v_add_f64 v[2:3], v[2:3], 0
	s_waitcnt lgkmcnt(1)
	v_mul_f64 v[156:157], v[73:74], v[93:94]
	v_mul_f64 v[93:94], v[75:76], v[93:94]
	s_waitcnt vmcnt(54) lgkmcnt(0)
	v_mul_f64 v[152:153], v[77:78], v[97:98]
	v_mul_f64 v[97:98], v[79:80], v[97:98]
	v_add_f64 v[142:143], v[142:143], v[148:149]
	v_add_f64 v[2:3], v[2:3], v[85:86]
	s_clause 0x3
	buffer_load_dword v85, off, s[0:3], 0 offset:504
	buffer_load_dword v86, off, s[0:3], 0 offset:508
	;; [unrolled: 1-line block ×4, first 2 shown]
	s_waitcnt vmcnt(56)
	v_fma_f64 v[93:94], v[73:74], v[99:100], -v[93:94]
	ds_read_b128 v[81:84], v1 offset:816
	v_fma_f64 v[99:100], v[75:76], v[99:100], v[156:157]
	s_waitcnt vmcnt(52)
	v_fma_f64 v[97:98], v[77:78], v[104:105], -v[97:98]
	v_add_f64 v[89:90], v[142:143], v[89:90]
	v_add_f64 v[2:3], v[2:3], v[95:96]
	s_clause 0x3
	buffer_load_dword v96, off, s[0:3], 0 offset:524
	buffer_load_dword v95, off, s[0:3], 0 offset:520
	;; [unrolled: 1-line block ×4, first 2 shown]
	s_waitcnt lgkmcnt(0)
	v_mul_f64 v[156:157], v[81:82], v[102:103]
	v_mul_f64 v[102:103], v[83:84], v[102:103]
	ds_read_b128 v[73:76], v1 offset:832
	v_add_f64 v[89:90], v[89:90], v[93:94]
	v_fma_f64 v[93:94], v[79:80], v[104:105], v[152:153]
	v_add_f64 v[2:3], v[2:3], v[99:100]
	s_clause 0x3
	buffer_load_dword v99, off, s[0:3], 0 offset:536
	buffer_load_dword v100, off, s[0:3], 0 offset:540
	;; [unrolled: 1-line block ×4, first 2 shown]
	s_waitcnt vmcnt(58) lgkmcnt(0)
	v_mul_f64 v[152:153], v[73:74], v[106:107]
	v_mul_f64 v[106:107], v[75:76], v[106:107]
	s_waitcnt vmcnt(56)
	v_fma_f64 v[102:103], v[81:82], v[108:109], -v[102:103]
	ds_read_b128 v[77:80], v1 offset:848
	v_add_f64 v[89:90], v[89:90], v[97:98]
	v_fma_f64 v[97:98], v[83:84], v[108:109], v[156:157]
	v_add_f64 v[2:3], v[2:3], v[93:94]
	s_clause 0x3
	buffer_load_dword v94, off, s[0:3], 0 offset:556
	buffer_load_dword v93, off, s[0:3], 0 offset:552
	;; [unrolled: 1-line block ×4, first 2 shown]
	ds_read_b128 v[81:84], v1 offset:864
	s_waitcnt vmcnt(58) lgkmcnt(1)
	v_mul_f64 v[156:157], v[77:78], v[110:111]
	v_mul_f64 v[110:111], v[79:80], v[110:111]
	s_waitcnt vmcnt(56)
	v_fma_f64 v[106:107], v[73:74], v[112:113], -v[106:107]
	v_add_f64 v[89:90], v[89:90], v[102:103]
	v_fma_f64 v[102:103], v[75:76], v[112:113], v[152:153]
	v_add_f64 v[2:3], v[2:3], v[97:98]
	s_clause 0x1
	buffer_load_dword v98, off, s[0:3], 0 offset:548
	buffer_load_dword v97, off, s[0:3], 0 offset:544
	s_waitcnt vmcnt(56) lgkmcnt(0)
	v_mul_f64 v[112:113], v[81:82], v[114:115]
	v_mul_f64 v[114:115], v[83:84], v[114:115]
	s_waitcnt vmcnt(54)
	v_fma_f64 v[110:111], v[77:78], v[116:117], -v[110:111]
	ds_read_b128 v[73:76], v1 offset:880
	v_add_f64 v[89:90], v[89:90], v[106:107]
	v_fma_f64 v[106:107], v[79:80], v[116:117], v[156:157]
	v_add_f64 v[2:3], v[2:3], v[102:103]
	ds_read_b128 v[77:80], v1 offset:896
	s_waitcnt vmcnt(52) lgkmcnt(1)
	v_mul_f64 v[116:117], v[75:76], v[118:119]
	s_waitcnt vmcnt(50)
	v_fma_f64 v[114:115], v[81:82], v[120:121], -v[114:115]
	v_mul_f64 v[102:103], v[73:74], v[118:119]
	v_add_f64 v[89:90], v[89:90], v[110:111]
	v_fma_f64 v[110:111], v[83:84], v[120:121], v[112:113]
	v_add_f64 v[2:3], v[2:3], v[106:107]
	s_clause 0x3
	buffer_load_dword v106, off, s[0:3], 0 offset:192
	buffer_load_dword v107, off, s[0:3], 0 offset:196
	buffer_load_dword v112, off, s[0:3], 0 offset:200
	buffer_load_dword v113, off, s[0:3], 0 offset:204
	s_waitcnt vmcnt(52) lgkmcnt(0)
	v_mul_f64 v[120:121], v[79:80], v[122:123]
	s_waitcnt vmcnt(50)
	v_fma_f64 v[116:117], v[73:74], v[124:125], -v[116:117]
	ds_read_b128 v[81:84], v1 offset:912
	v_mul_f64 v[118:119], v[77:78], v[122:123]
	v_fma_f64 v[102:103], v[75:76], v[124:125], v[102:103]
	ds_read_b128 v[73:76], v1 offset:928
	v_add_f64 v[89:90], v[89:90], v[114:115]
	v_add_f64 v[2:3], v[2:3], v[110:111]
	s_waitcnt vmcnt(48) lgkmcnt(1)
	v_mul_f64 v[114:115], v[83:84], v[126:127]
	s_waitcnt vmcnt(46)
	v_fma_f64 v[120:121], v[77:78], v[128:129], -v[120:121]
	v_mul_f64 v[110:111], v[81:82], v[126:127]
	v_add_f64 v[89:90], v[89:90], v[116:117]
	v_fma_f64 v[116:117], v[79:80], v[128:129], v[118:119]
	v_add_f64 v[2:3], v[2:3], v[102:103]
	s_waitcnt vmcnt(44) lgkmcnt(0)
	v_mul_f64 v[118:119], v[75:76], v[130:131]
	s_waitcnt vmcnt(42)
	v_fma_f64 v[114:115], v[81:82], v[132:133], -v[114:115]
	ds_read_b128 v[77:80], v1 offset:944
	v_mul_f64 v[102:103], v[73:74], v[130:131]
	v_fma_f64 v[110:111], v[83:84], v[132:133], v[110:111]
	ds_read_b128 v[81:84], v1 offset:960
	v_add_f64 v[89:90], v[89:90], v[120:121]
	v_add_f64 v[2:3], v[2:3], v[116:117]
	s_waitcnt vmcnt(40) lgkmcnt(1)
	v_mul_f64 v[120:121], v[79:80], v[134:135]
	s_waitcnt vmcnt(38)
	v_fma_f64 v[118:119], v[73:74], v[136:137], -v[118:119]
	v_mul_f64 v[116:117], v[77:78], v[134:135]
	v_fma_f64 v[102:103], v[75:76], v[136:137], v[102:103]
	ds_read_b128 v[73:76], v1 offset:976
	v_add_f64 v[89:90], v[89:90], v[114:115]
	s_waitcnt vmcnt(36) lgkmcnt(1)
	v_mul_f64 v[114:115], v[83:84], v[138:139]
	v_add_f64 v[2:3], v[2:3], v[110:111]
	s_waitcnt vmcnt(34)
	v_fma_f64 v[120:121], v[77:78], v[140:141], -v[120:121]
	v_mul_f64 v[110:111], v[81:82], v[138:139]
	v_fma_f64 v[116:117], v[79:80], v[140:141], v[116:117]
	ds_read_b128 v[77:80], v1 offset:992
	v_add_f64 v[89:90], v[89:90], v[118:119]
	s_waitcnt vmcnt(32) lgkmcnt(1)
	v_mul_f64 v[118:119], v[75:76], v[144:145]
	v_add_f64 v[2:3], v[2:3], v[102:103]
	s_waitcnt vmcnt(30)
	v_fma_f64 v[114:115], v[81:82], v[146:147], -v[114:115]
	v_mul_f64 v[102:103], v[73:74], v[144:145]
	v_fma_f64 v[110:111], v[83:84], v[146:147], v[110:111]
	ds_read_b128 v[81:84], v1 offset:1008
	v_add_f64 v[89:90], v[89:90], v[120:121]
	v_add_f64 v[2:3], v[2:3], v[116:117]
	s_waitcnt vmcnt(28) lgkmcnt(1)
	v_mul_f64 v[116:117], v[77:78], v[87:88]
	v_mul_f64 v[87:88], v[79:80], v[87:88]
	s_waitcnt vmcnt(26)
	v_fma_f64 v[118:119], v[73:74], v[150:151], -v[118:119]
	v_fma_f64 v[102:103], v[75:76], v[150:151], v[102:103]
	ds_read_b128 v[73:76], v1 offset:1024
	v_add_f64 v[89:90], v[89:90], v[114:115]
	v_add_f64 v[2:3], v[2:3], v[110:111]
	s_waitcnt vmcnt(24) lgkmcnt(1)
	v_mul_f64 v[110:111], v[81:82], v[91:92]
	v_mul_f64 v[91:92], v[83:84], v[91:92]
	s_waitcnt vmcnt(22)
	v_fma_f64 v[114:115], v[79:80], v[154:155], v[116:117]
	v_fma_f64 v[87:88], v[77:78], v[154:155], -v[87:88]
	ds_read_b128 v[77:80], v1 offset:1040
	v_add_f64 v[89:90], v[89:90], v[118:119]
	v_add_f64 v[2:3], v[2:3], v[102:103]
	s_waitcnt vmcnt(20) lgkmcnt(1)
	v_mul_f64 v[102:103], v[73:74], v[85:86]
	v_mul_f64 v[85:86], v[75:76], v[85:86]
	s_waitcnt vmcnt(18)
	v_fma_f64 v[91:92], v[81:82], v[148:149], -v[91:92]
	v_add_f64 v[87:88], v[89:90], v[87:88]
	v_fma_f64 v[89:90], v[83:84], v[148:149], v[110:111]
	v_add_f64 v[2:3], v[2:3], v[114:115]
	ds_read_b128 v[81:84], v1 offset:1056
	s_waitcnt vmcnt(16) lgkmcnt(1)
	v_mul_f64 v[110:111], v[77:78], v[95:96]
	v_mul_f64 v[95:96], v[79:80], v[95:96]
	s_waitcnt vmcnt(14)
	v_fma_f64 v[73:74], v[73:74], v[142:143], -v[85:86]
	v_fma_f64 v[75:76], v[75:76], v[142:143], v[102:103]
	v_add_f64 v[85:86], v[87:88], v[91:92]
	v_add_f64 v[87:88], v[2:3], v[89:90]
	ds_read_b128 v[1:4], v1 offset:1072
	s_waitcnt vmcnt(12) lgkmcnt(1)
	v_mul_f64 v[91:92], v[83:84], v[99:100]
	v_mul_f64 v[89:90], v[81:82], v[99:100]
	s_waitcnt vmcnt(10)
	v_fma_f64 v[77:78], v[77:78], v[104:105], -v[95:96]
	v_fma_f64 v[79:80], v[79:80], v[104:105], v[110:111]
	v_add_f64 v[73:74], v[85:86], v[73:74]
	v_add_f64 v[75:76], v[87:88], v[75:76]
	s_waitcnt vmcnt(8) lgkmcnt(0)
	v_mul_f64 v[87:88], v[3:4], v[93:94]
	v_mul_f64 v[85:86], v[1:2], v[93:94]
	s_waitcnt vmcnt(6)
	v_fma_f64 v[81:82], v[81:82], v[108:109], -v[91:92]
	v_add_f64 v[73:74], v[73:74], v[77:78]
	v_fma_f64 v[77:78], v[83:84], v[108:109], v[89:90]
	v_add_f64 v[75:76], v[75:76], v[79:80]
	s_waitcnt vmcnt(4)
	v_fma_f64 v[1:2], v[1:2], v[97:98], -v[87:88]
	v_fma_f64 v[3:4], v[3:4], v[97:98], v[85:86]
	v_add_f64 v[73:74], v[73:74], v[81:82]
	v_add_f64 v[75:76], v[75:76], v[77:78]
	;; [unrolled: 1-line block ×4, first 2 shown]
	s_waitcnt vmcnt(2)
	v_add_f64 v[1:2], v[106:107], -v[1:2]
	s_waitcnt vmcnt(0)
	v_add_f64 v[3:4], v[112:113], -v[3:4]
	buffer_store_dword v2, off, s[0:3], 0 offset:196
	buffer_store_dword v1, off, s[0:3], 0 offset:192
	;; [unrolled: 1-line block ×4, first 2 shown]
	v_cmpx_lt_u32_e32 10, v0
	s_cbranch_execz .LBB33_197
; %bb.196:
	v_mov_b32_e32 v4, s9
	v_mov_b32_e32 v73, 0
	s_clause 0x3
	buffer_load_dword v1, v4, s[0:3], 0 offen
	buffer_load_dword v2, v4, s[0:3], 0 offen offset:4
	buffer_load_dword v3, v4, s[0:3], 0 offen offset:8
	buffer_load_dword v4, v4, s[0:3], 0 offen offset:12
	buffer_store_dword v73, off, s[0:3], 0 offset:176
	buffer_store_dword v73, off, s[0:3], 0 offset:180
	;; [unrolled: 1-line block ×4, first 2 shown]
	s_waitcnt vmcnt(0)
	ds_write_b128 v101, v[1:4]
.LBB33_197:
	s_or_b32 exec_lo, exec_lo, s4
	s_waitcnt lgkmcnt(0)
	s_waitcnt_vscnt null, 0x0
	s_barrier
	buffer_gl0_inv
	s_clause 0x35
	buffer_load_dword v2, off, s[0:3], 0 offset:200
	buffer_load_dword v3, off, s[0:3], 0 offset:204
	;; [unrolled: 1-line block ×54, first 2 shown]
	v_mov_b32_e32 v1, 0
	s_mov_b32 s4, exec_lo
	ds_read_b128 v[73:76], v1 offset:720
	s_clause 0x3
	buffer_load_dword v138, off, s[0:3], 0 offset:424
	buffer_load_dword v139, off, s[0:3], 0 offset:428
	;; [unrolled: 1-line block ×4, first 2 shown]
	ds_read_b128 v[77:80], v1 offset:736
	s_clause 0x3
	buffer_load_dword v145, off, s[0:3], 0 offset:444
	buffer_load_dword v144, off, s[0:3], 0 offset:440
	;; [unrolled: 1-line block ×4, first 2 shown]
	ds_read_b128 v[81:84], v1 offset:752
	s_waitcnt vmcnt(60) lgkmcnt(2)
	v_mul_f64 v[142:143], v[75:76], v[2:3]
	v_mul_f64 v[2:3], v[73:74], v[2:3]
	s_waitcnt vmcnt(58) lgkmcnt(1)
	v_mul_f64 v[148:149], v[79:80], v[85:86]
	v_mul_f64 v[85:86], v[77:78], v[85:86]
	;; [unrolled: 3-line block ×3, first 2 shown]
	v_fma_f64 v[142:143], v[73:74], v[87:88], -v[142:143]
	v_fma_f64 v[2:3], v[75:76], v[87:88], v[2:3]
	s_clause 0x3
	buffer_load_dword v87, off, s[0:3], 0 offset:456
	buffer_load_dword v88, off, s[0:3], 0 offset:460
	;; [unrolled: 1-line block ×4, first 2 shown]
	s_waitcnt vmcnt(56)
	v_fma_f64 v[148:149], v[77:78], v[91:92], -v[148:149]
	ds_read_b128 v[73:76], v1 offset:768
	v_fma_f64 v[85:86], v[79:80], v[91:92], v[85:86]
	s_clause 0x3
	buffer_load_dword v92, off, s[0:3], 0 offset:476
	buffer_load_dword v91, off, s[0:3], 0 offset:472
	;; [unrolled: 1-line block ×4, first 2 shown]
	s_waitcnt vmcnt(56)
	v_fma_f64 v[89:90], v[81:82], v[95:96], -v[89:90]
	ds_read_b128 v[77:80], v1 offset:784
	v_fma_f64 v[95:96], v[83:84], v[95:96], v[152:153]
	v_add_f64 v[142:143], v[142:143], 0
	v_add_f64 v[2:3], v[2:3], 0
	s_waitcnt lgkmcnt(1)
	v_mul_f64 v[156:157], v[73:74], v[93:94]
	v_mul_f64 v[93:94], v[75:76], v[93:94]
	s_waitcnt vmcnt(54) lgkmcnt(0)
	v_mul_f64 v[152:153], v[77:78], v[97:98]
	v_mul_f64 v[97:98], v[79:80], v[97:98]
	v_add_f64 v[142:143], v[142:143], v[148:149]
	v_add_f64 v[2:3], v[2:3], v[85:86]
	s_clause 0x3
	buffer_load_dword v85, off, s[0:3], 0 offset:488
	buffer_load_dword v86, off, s[0:3], 0 offset:492
	;; [unrolled: 1-line block ×4, first 2 shown]
	s_waitcnt vmcnt(56)
	v_fma_f64 v[93:94], v[73:74], v[99:100], -v[93:94]
	ds_read_b128 v[81:84], v1 offset:800
	v_fma_f64 v[99:100], v[75:76], v[99:100], v[156:157]
	s_waitcnt vmcnt(52)
	v_fma_f64 v[97:98], v[77:78], v[104:105], -v[97:98]
	v_add_f64 v[89:90], v[142:143], v[89:90]
	v_add_f64 v[2:3], v[2:3], v[95:96]
	s_clause 0x3
	buffer_load_dword v96, off, s[0:3], 0 offset:508
	buffer_load_dword v95, off, s[0:3], 0 offset:504
	;; [unrolled: 1-line block ×4, first 2 shown]
	s_waitcnt lgkmcnt(0)
	v_mul_f64 v[156:157], v[81:82], v[102:103]
	v_mul_f64 v[102:103], v[83:84], v[102:103]
	ds_read_b128 v[73:76], v1 offset:816
	v_add_f64 v[89:90], v[89:90], v[93:94]
	v_fma_f64 v[93:94], v[79:80], v[104:105], v[152:153]
	v_add_f64 v[2:3], v[2:3], v[99:100]
	s_clause 0x3
	buffer_load_dword v99, off, s[0:3], 0 offset:520
	buffer_load_dword v100, off, s[0:3], 0 offset:524
	;; [unrolled: 1-line block ×4, first 2 shown]
	s_waitcnt vmcnt(58) lgkmcnt(0)
	v_mul_f64 v[152:153], v[73:74], v[106:107]
	v_mul_f64 v[106:107], v[75:76], v[106:107]
	s_waitcnt vmcnt(56)
	v_fma_f64 v[102:103], v[81:82], v[108:109], -v[102:103]
	ds_read_b128 v[77:80], v1 offset:832
	v_add_f64 v[89:90], v[89:90], v[97:98]
	v_fma_f64 v[97:98], v[83:84], v[108:109], v[156:157]
	v_add_f64 v[2:3], v[2:3], v[93:94]
	s_clause 0x3
	buffer_load_dword v94, off, s[0:3], 0 offset:540
	buffer_load_dword v93, off, s[0:3], 0 offset:536
	;; [unrolled: 1-line block ×4, first 2 shown]
	ds_read_b128 v[81:84], v1 offset:848
	s_waitcnt vmcnt(58) lgkmcnt(1)
	v_mul_f64 v[156:157], v[77:78], v[110:111]
	v_mul_f64 v[110:111], v[79:80], v[110:111]
	s_waitcnt vmcnt(56)
	v_fma_f64 v[106:107], v[73:74], v[112:113], -v[106:107]
	v_add_f64 v[89:90], v[89:90], v[102:103]
	v_fma_f64 v[102:103], v[75:76], v[112:113], v[152:153]
	v_add_f64 v[2:3], v[2:3], v[97:98]
	s_clause 0x3
	buffer_load_dword v97, off, s[0:3], 0 offset:552
	buffer_load_dword v98, off, s[0:3], 0 offset:556
	;; [unrolled: 1-line block ×4, first 2 shown]
	s_waitcnt vmcnt(58) lgkmcnt(0)
	v_mul_f64 v[152:153], v[81:82], v[114:115]
	v_mul_f64 v[114:115], v[83:84], v[114:115]
	s_waitcnt vmcnt(56)
	v_fma_f64 v[110:111], v[77:78], v[116:117], -v[110:111]
	ds_read_b128 v[73:76], v1 offset:864
	v_add_f64 v[89:90], v[89:90], v[106:107]
	v_fma_f64 v[106:107], v[79:80], v[116:117], v[156:157]
	v_add_f64 v[2:3], v[2:3], v[102:103]
	s_clause 0x1
	buffer_load_dword v102, off, s[0:3], 0 offset:544
	buffer_load_dword v103, off, s[0:3], 0 offset:548
	ds_read_b128 v[77:80], v1 offset:880
	s_waitcnt vmcnt(56) lgkmcnt(1)
	v_mul_f64 v[116:117], v[73:74], v[118:119]
	v_mul_f64 v[118:119], v[75:76], v[118:119]
	s_waitcnt vmcnt(54)
	v_fma_f64 v[114:115], v[81:82], v[120:121], -v[114:115]
	v_add_f64 v[89:90], v[89:90], v[110:111]
	v_fma_f64 v[110:111], v[83:84], v[120:121], v[152:153]
	v_add_f64 v[2:3], v[2:3], v[106:107]
	ds_read_b128 v[81:84], v1 offset:896
	s_waitcnt vmcnt(52) lgkmcnt(1)
	v_mul_f64 v[120:121], v[79:80], v[122:123]
	v_mul_f64 v[106:107], v[77:78], v[122:123]
	s_waitcnt vmcnt(50)
	v_fma_f64 v[118:119], v[73:74], v[124:125], -v[118:119]
	v_add_f64 v[89:90], v[89:90], v[114:115]
	v_fma_f64 v[114:115], v[75:76], v[124:125], v[116:117]
	v_add_f64 v[2:3], v[2:3], v[110:111]
	s_clause 0x3
	buffer_load_dword v110, off, s[0:3], 0 offset:176
	buffer_load_dword v111, off, s[0:3], 0 offset:180
	;; [unrolled: 1-line block ×4, first 2 shown]
	s_waitcnt vmcnt(52) lgkmcnt(0)
	v_mul_f64 v[124:125], v[83:84], v[126:127]
	s_waitcnt vmcnt(50)
	v_fma_f64 v[120:121], v[77:78], v[128:129], -v[120:121]
	ds_read_b128 v[73:76], v1 offset:912
	v_mul_f64 v[122:123], v[81:82], v[126:127]
	v_fma_f64 v[106:107], v[79:80], v[128:129], v[106:107]
	ds_read_b128 v[77:80], v1 offset:928
	v_add_f64 v[89:90], v[89:90], v[118:119]
	v_add_f64 v[2:3], v[2:3], v[114:115]
	s_waitcnt vmcnt(48) lgkmcnt(1)
	v_mul_f64 v[118:119], v[75:76], v[130:131]
	s_waitcnt vmcnt(46)
	v_fma_f64 v[124:125], v[81:82], v[132:133], -v[124:125]
	v_mul_f64 v[114:115], v[73:74], v[130:131]
	v_add_f64 v[89:90], v[89:90], v[120:121]
	v_fma_f64 v[120:121], v[83:84], v[132:133], v[122:123]
	v_add_f64 v[2:3], v[2:3], v[106:107]
	s_waitcnt vmcnt(44) lgkmcnt(0)
	v_mul_f64 v[122:123], v[79:80], v[134:135]
	s_waitcnt vmcnt(42)
	v_fma_f64 v[118:119], v[73:74], v[136:137], -v[118:119]
	ds_read_b128 v[81:84], v1 offset:944
	v_mul_f64 v[106:107], v[77:78], v[134:135]
	v_fma_f64 v[114:115], v[75:76], v[136:137], v[114:115]
	ds_read_b128 v[73:76], v1 offset:960
	v_add_f64 v[89:90], v[89:90], v[124:125]
	v_add_f64 v[2:3], v[2:3], v[120:121]
	s_waitcnt vmcnt(40) lgkmcnt(1)
	v_mul_f64 v[124:125], v[83:84], v[138:139]
	s_waitcnt vmcnt(38)
	v_fma_f64 v[122:123], v[77:78], v[140:141], -v[122:123]
	v_mul_f64 v[120:121], v[81:82], v[138:139]
	v_fma_f64 v[106:107], v[79:80], v[140:141], v[106:107]
	ds_read_b128 v[77:80], v1 offset:976
	v_add_f64 v[89:90], v[89:90], v[118:119]
	s_waitcnt vmcnt(36) lgkmcnt(1)
	v_mul_f64 v[118:119], v[75:76], v[144:145]
	v_add_f64 v[2:3], v[2:3], v[114:115]
	s_waitcnt vmcnt(34)
	v_fma_f64 v[124:125], v[81:82], v[146:147], -v[124:125]
	v_mul_f64 v[114:115], v[73:74], v[144:145]
	v_fma_f64 v[120:121], v[83:84], v[146:147], v[120:121]
	ds_read_b128 v[81:84], v1 offset:992
	v_add_f64 v[89:90], v[89:90], v[122:123]
	v_add_f64 v[2:3], v[2:3], v[106:107]
	s_waitcnt vmcnt(32) lgkmcnt(1)
	v_mul_f64 v[106:107], v[77:78], v[87:88]
	v_mul_f64 v[87:88], v[79:80], v[87:88]
	s_waitcnt vmcnt(30)
	v_fma_f64 v[118:119], v[73:74], v[150:151], -v[118:119]
	v_fma_f64 v[114:115], v[75:76], v[150:151], v[114:115]
	ds_read_b128 v[73:76], v1 offset:1008
	v_add_f64 v[89:90], v[89:90], v[124:125]
	v_add_f64 v[2:3], v[2:3], v[120:121]
	s_waitcnt vmcnt(28) lgkmcnt(1)
	v_mul_f64 v[120:121], v[81:82], v[91:92]
	v_mul_f64 v[91:92], v[83:84], v[91:92]
	s_waitcnt vmcnt(26)
	v_fma_f64 v[106:107], v[79:80], v[154:155], v[106:107]
	v_fma_f64 v[87:88], v[77:78], v[154:155], -v[87:88]
	ds_read_b128 v[77:80], v1 offset:1024
	v_add_f64 v[89:90], v[89:90], v[118:119]
	v_add_f64 v[2:3], v[2:3], v[114:115]
	s_waitcnt vmcnt(24) lgkmcnt(1)
	v_mul_f64 v[114:115], v[73:74], v[85:86]
	v_mul_f64 v[85:86], v[75:76], v[85:86]
	s_waitcnt vmcnt(22)
	v_fma_f64 v[91:92], v[81:82], v[148:149], -v[91:92]
	v_add_f64 v[87:88], v[89:90], v[87:88]
	v_fma_f64 v[89:90], v[83:84], v[148:149], v[120:121]
	v_add_f64 v[2:3], v[2:3], v[106:107]
	ds_read_b128 v[81:84], v1 offset:1040
	s_waitcnt vmcnt(20) lgkmcnt(1)
	v_mul_f64 v[106:107], v[77:78], v[95:96]
	v_mul_f64 v[95:96], v[79:80], v[95:96]
	s_waitcnt vmcnt(18)
	v_fma_f64 v[85:86], v[73:74], v[142:143], -v[85:86]
	v_add_f64 v[87:88], v[87:88], v[91:92]
	v_fma_f64 v[91:92], v[75:76], v[142:143], v[114:115]
	v_add_f64 v[2:3], v[2:3], v[89:90]
	ds_read_b128 v[73:76], v1 offset:1056
	;; [unrolled: 9-line block ×3, first 2 shown]
	s_waitcnt vmcnt(12) lgkmcnt(1)
	v_mul_f64 v[91:92], v[73:74], v[93:94]
	v_mul_f64 v[93:94], v[75:76], v[93:94]
	s_waitcnt vmcnt(10)
	v_fma_f64 v[81:82], v[81:82], v[108:109], -v[99:100]
	v_fma_f64 v[83:84], v[83:84], v[108:109], v[89:90]
	v_add_f64 v[85:86], v[85:86], v[95:96]
	v_add_f64 v[2:3], v[2:3], v[87:88]
	s_waitcnt vmcnt(8) lgkmcnt(0)
	v_mul_f64 v[89:90], v[79:80], v[97:98]
	v_mul_f64 v[87:88], v[77:78], v[97:98]
	s_waitcnt vmcnt(6)
	v_fma_f64 v[73:74], v[73:74], v[112:113], -v[93:94]
	v_fma_f64 v[75:76], v[75:76], v[112:113], v[91:92]
	v_add_f64 v[81:82], v[85:86], v[81:82]
	v_add_f64 v[2:3], v[2:3], v[83:84]
	s_waitcnt vmcnt(4)
	v_fma_f64 v[77:78], v[77:78], v[102:103], -v[89:90]
	v_fma_f64 v[79:80], v[79:80], v[102:103], v[87:88]
	v_add_f64 v[73:74], v[81:82], v[73:74]
	v_add_f64 v[2:3], v[2:3], v[75:76]
	;; [unrolled: 1-line block ×4, first 2 shown]
	s_waitcnt vmcnt(2)
	v_add_f64 v[73:74], v[110:111], -v[73:74]
	s_waitcnt vmcnt(0)
	v_add_f64 v[2:3], v[116:117], -v[2:3]
	buffer_store_dword v74, off, s[0:3], 0 offset:180
	buffer_store_dword v73, off, s[0:3], 0 offset:176
	;; [unrolled: 1-line block ×4, first 2 shown]
	v_cmpx_lt_u32_e32 9, v0
	s_cbranch_execz .LBB33_199
; %bb.198:
	v_mov_b32_e32 v2, s37
	s_clause 0x3
	buffer_load_dword v73, v2, s[0:3], 0 offen
	buffer_load_dword v74, v2, s[0:3], 0 offen offset:4
	buffer_load_dword v75, v2, s[0:3], 0 offen offset:8
	buffer_load_dword v76, v2, s[0:3], 0 offen offset:12
	buffer_store_dword v1, off, s[0:3], 0 offset:160
	buffer_store_dword v1, off, s[0:3], 0 offset:164
	buffer_store_dword v1, off, s[0:3], 0 offset:168
	buffer_store_dword v1, off, s[0:3], 0 offset:172
	s_waitcnt vmcnt(0)
	ds_write_b128 v101, v[73:76]
.LBB33_199:
	s_or_b32 exec_lo, exec_lo, s4
	s_waitcnt lgkmcnt(0)
	s_waitcnt_vscnt null, 0x0
	s_barrier
	buffer_gl0_inv
	s_clause 0x35
	buffer_load_dword v2, off, s[0:3], 0 offset:184
	buffer_load_dword v3, off, s[0:3], 0 offset:188
	;; [unrolled: 1-line block ×54, first 2 shown]
	ds_read_b128 v[73:76], v1 offset:704
	s_clause 0x3
	buffer_load_dword v138, off, s[0:3], 0 offset:408
	buffer_load_dword v139, off, s[0:3], 0 offset:412
	;; [unrolled: 1-line block ×4, first 2 shown]
	ds_read_b128 v[77:80], v1 offset:720
	s_clause 0x3
	buffer_load_dword v145, off, s[0:3], 0 offset:428
	buffer_load_dword v144, off, s[0:3], 0 offset:424
	;; [unrolled: 1-line block ×4, first 2 shown]
	ds_read_b128 v[81:84], v1 offset:736
	s_mov_b32 s4, exec_lo
	s_waitcnt vmcnt(60) lgkmcnt(2)
	v_mul_f64 v[142:143], v[75:76], v[2:3]
	v_mul_f64 v[2:3], v[73:74], v[2:3]
	s_waitcnt vmcnt(58) lgkmcnt(1)
	v_mul_f64 v[148:149], v[79:80], v[85:86]
	v_mul_f64 v[85:86], v[77:78], v[85:86]
	;; [unrolled: 3-line block ×3, first 2 shown]
	v_fma_f64 v[142:143], v[73:74], v[87:88], -v[142:143]
	v_fma_f64 v[2:3], v[75:76], v[87:88], v[2:3]
	s_clause 0x3
	buffer_load_dword v87, off, s[0:3], 0 offset:440
	buffer_load_dword v88, off, s[0:3], 0 offset:444
	;; [unrolled: 1-line block ×4, first 2 shown]
	s_waitcnt vmcnt(56)
	v_fma_f64 v[148:149], v[77:78], v[91:92], -v[148:149]
	ds_read_b128 v[73:76], v1 offset:752
	v_fma_f64 v[85:86], v[79:80], v[91:92], v[85:86]
	s_clause 0x3
	buffer_load_dword v92, off, s[0:3], 0 offset:460
	buffer_load_dword v91, off, s[0:3], 0 offset:456
	;; [unrolled: 1-line block ×4, first 2 shown]
	s_waitcnt vmcnt(56)
	v_fma_f64 v[89:90], v[81:82], v[95:96], -v[89:90]
	ds_read_b128 v[77:80], v1 offset:768
	v_fma_f64 v[95:96], v[83:84], v[95:96], v[152:153]
	v_add_f64 v[142:143], v[142:143], 0
	v_add_f64 v[2:3], v[2:3], 0
	s_waitcnt lgkmcnt(1)
	v_mul_f64 v[156:157], v[73:74], v[93:94]
	v_mul_f64 v[93:94], v[75:76], v[93:94]
	s_waitcnt vmcnt(54) lgkmcnt(0)
	v_mul_f64 v[152:153], v[77:78], v[97:98]
	v_mul_f64 v[97:98], v[79:80], v[97:98]
	v_add_f64 v[142:143], v[142:143], v[148:149]
	v_add_f64 v[2:3], v[2:3], v[85:86]
	s_clause 0x3
	buffer_load_dword v85, off, s[0:3], 0 offset:472
	buffer_load_dword v86, off, s[0:3], 0 offset:476
	;; [unrolled: 1-line block ×4, first 2 shown]
	s_waitcnt vmcnt(56)
	v_fma_f64 v[93:94], v[73:74], v[99:100], -v[93:94]
	ds_read_b128 v[81:84], v1 offset:784
	v_fma_f64 v[99:100], v[75:76], v[99:100], v[156:157]
	s_waitcnt vmcnt(52)
	v_fma_f64 v[97:98], v[77:78], v[104:105], -v[97:98]
	v_add_f64 v[89:90], v[142:143], v[89:90]
	v_add_f64 v[2:3], v[2:3], v[95:96]
	s_clause 0x3
	buffer_load_dword v96, off, s[0:3], 0 offset:492
	buffer_load_dword v95, off, s[0:3], 0 offset:488
	;; [unrolled: 1-line block ×4, first 2 shown]
	s_waitcnt lgkmcnt(0)
	v_mul_f64 v[156:157], v[81:82], v[102:103]
	v_mul_f64 v[102:103], v[83:84], v[102:103]
	ds_read_b128 v[73:76], v1 offset:800
	v_add_f64 v[89:90], v[89:90], v[93:94]
	v_fma_f64 v[93:94], v[79:80], v[104:105], v[152:153]
	v_add_f64 v[2:3], v[2:3], v[99:100]
	s_clause 0x3
	buffer_load_dword v99, off, s[0:3], 0 offset:504
	buffer_load_dword v100, off, s[0:3], 0 offset:508
	;; [unrolled: 1-line block ×4, first 2 shown]
	s_waitcnt vmcnt(58) lgkmcnt(0)
	v_mul_f64 v[152:153], v[73:74], v[106:107]
	v_mul_f64 v[106:107], v[75:76], v[106:107]
	s_waitcnt vmcnt(56)
	v_fma_f64 v[102:103], v[81:82], v[108:109], -v[102:103]
	ds_read_b128 v[77:80], v1 offset:816
	v_add_f64 v[89:90], v[89:90], v[97:98]
	v_fma_f64 v[97:98], v[83:84], v[108:109], v[156:157]
	v_add_f64 v[2:3], v[2:3], v[93:94]
	s_clause 0x3
	buffer_load_dword v94, off, s[0:3], 0 offset:524
	buffer_load_dword v93, off, s[0:3], 0 offset:520
	;; [unrolled: 1-line block ×4, first 2 shown]
	ds_read_b128 v[81:84], v1 offset:832
	s_waitcnt vmcnt(58) lgkmcnt(1)
	v_mul_f64 v[156:157], v[77:78], v[110:111]
	v_mul_f64 v[110:111], v[79:80], v[110:111]
	s_waitcnt vmcnt(56)
	v_fma_f64 v[106:107], v[73:74], v[112:113], -v[106:107]
	v_add_f64 v[89:90], v[89:90], v[102:103]
	v_fma_f64 v[102:103], v[75:76], v[112:113], v[152:153]
	v_add_f64 v[2:3], v[2:3], v[97:98]
	s_clause 0x3
	buffer_load_dword v97, off, s[0:3], 0 offset:536
	buffer_load_dword v98, off, s[0:3], 0 offset:540
	;; [unrolled: 1-line block ×4, first 2 shown]
	s_waitcnt vmcnt(58) lgkmcnt(0)
	v_mul_f64 v[152:153], v[81:82], v[114:115]
	v_mul_f64 v[114:115], v[83:84], v[114:115]
	s_waitcnt vmcnt(56)
	v_fma_f64 v[110:111], v[77:78], v[116:117], -v[110:111]
	ds_read_b128 v[73:76], v1 offset:848
	v_add_f64 v[89:90], v[89:90], v[106:107]
	v_fma_f64 v[106:107], v[79:80], v[116:117], v[156:157]
	v_add_f64 v[2:3], v[2:3], v[102:103]
	s_clause 0x3
	buffer_load_dword v103, off, s[0:3], 0 offset:556
	buffer_load_dword v102, off, s[0:3], 0 offset:552
	buffer_load_dword v116, off, s[0:3], 0 offset:528
	buffer_load_dword v117, off, s[0:3], 0 offset:532
	ds_read_b128 v[77:80], v1 offset:864
	s_waitcnt vmcnt(58) lgkmcnt(1)
	v_mul_f64 v[156:157], v[73:74], v[118:119]
	v_mul_f64 v[118:119], v[75:76], v[118:119]
	s_waitcnt vmcnt(56)
	v_fma_f64 v[114:115], v[81:82], v[120:121], -v[114:115]
	v_add_f64 v[89:90], v[89:90], v[110:111]
	v_fma_f64 v[110:111], v[83:84], v[120:121], v[152:153]
	v_add_f64 v[2:3], v[2:3], v[106:107]
	s_clause 0x1
	buffer_load_dword v107, off, s[0:3], 0 offset:548
	buffer_load_dword v106, off, s[0:3], 0 offset:544
	s_waitcnt vmcnt(56) lgkmcnt(0)
	v_mul_f64 v[120:121], v[77:78], v[122:123]
	v_mul_f64 v[122:123], v[79:80], v[122:123]
	s_waitcnt vmcnt(54)
	v_fma_f64 v[118:119], v[73:74], v[124:125], -v[118:119]
	ds_read_b128 v[81:84], v1 offset:880
	v_add_f64 v[89:90], v[89:90], v[114:115]
	v_fma_f64 v[114:115], v[75:76], v[124:125], v[156:157]
	v_add_f64 v[2:3], v[2:3], v[110:111]
	ds_read_b128 v[73:76], v1 offset:896
	s_waitcnt vmcnt(52) lgkmcnt(1)
	v_mul_f64 v[124:125], v[83:84], v[126:127]
	s_waitcnt vmcnt(50)
	v_fma_f64 v[122:123], v[77:78], v[128:129], -v[122:123]
	v_mul_f64 v[110:111], v[81:82], v[126:127]
	v_add_f64 v[89:90], v[89:90], v[118:119]
	v_fma_f64 v[118:119], v[79:80], v[128:129], v[120:121]
	v_add_f64 v[2:3], v[2:3], v[114:115]
	s_clause 0x3
	buffer_load_dword v114, off, s[0:3], 0 offset:160
	buffer_load_dword v115, off, s[0:3], 0 offset:164
	;; [unrolled: 1-line block ×4, first 2 shown]
	s_waitcnt vmcnt(52) lgkmcnt(0)
	v_mul_f64 v[128:129], v[75:76], v[130:131]
	s_waitcnt vmcnt(50)
	v_fma_f64 v[124:125], v[81:82], v[132:133], -v[124:125]
	ds_read_b128 v[77:80], v1 offset:912
	v_mul_f64 v[126:127], v[73:74], v[130:131]
	v_fma_f64 v[110:111], v[83:84], v[132:133], v[110:111]
	ds_read_b128 v[81:84], v1 offset:928
	v_add_f64 v[89:90], v[89:90], v[122:123]
	v_add_f64 v[2:3], v[2:3], v[118:119]
	s_waitcnt vmcnt(48) lgkmcnt(1)
	v_mul_f64 v[122:123], v[79:80], v[134:135]
	s_waitcnt vmcnt(46)
	v_fma_f64 v[128:129], v[73:74], v[136:137], -v[128:129]
	v_mul_f64 v[118:119], v[77:78], v[134:135]
	v_add_f64 v[89:90], v[89:90], v[124:125]
	v_fma_f64 v[124:125], v[75:76], v[136:137], v[126:127]
	v_add_f64 v[2:3], v[2:3], v[110:111]
	s_waitcnt vmcnt(44) lgkmcnt(0)
	v_mul_f64 v[126:127], v[83:84], v[138:139]
	s_waitcnt vmcnt(42)
	v_fma_f64 v[122:123], v[77:78], v[140:141], -v[122:123]
	ds_read_b128 v[73:76], v1 offset:944
	v_mul_f64 v[110:111], v[81:82], v[138:139]
	v_fma_f64 v[118:119], v[79:80], v[140:141], v[118:119]
	ds_read_b128 v[77:80], v1 offset:960
	v_add_f64 v[89:90], v[89:90], v[128:129]
	v_add_f64 v[2:3], v[2:3], v[124:125]
	s_waitcnt vmcnt(40) lgkmcnt(1)
	v_mul_f64 v[128:129], v[75:76], v[144:145]
	s_waitcnt vmcnt(38)
	v_fma_f64 v[126:127], v[81:82], v[146:147], -v[126:127]
	v_mul_f64 v[124:125], v[73:74], v[144:145]
	v_fma_f64 v[110:111], v[83:84], v[146:147], v[110:111]
	ds_read_b128 v[81:84], v1 offset:976
	v_add_f64 v[89:90], v[89:90], v[122:123]
	v_add_f64 v[2:3], v[2:3], v[118:119]
	s_waitcnt vmcnt(36) lgkmcnt(1)
	v_mul_f64 v[118:119], v[77:78], v[87:88]
	v_mul_f64 v[87:88], v[79:80], v[87:88]
	s_waitcnt vmcnt(34)
	v_fma_f64 v[122:123], v[73:74], v[150:151], -v[128:129]
	v_fma_f64 v[124:125], v[75:76], v[150:151], v[124:125]
	ds_read_b128 v[73:76], v1 offset:992
	v_add_f64 v[89:90], v[89:90], v[126:127]
	v_add_f64 v[2:3], v[2:3], v[110:111]
	s_waitcnt vmcnt(32) lgkmcnt(1)
	v_mul_f64 v[110:111], v[81:82], v[91:92]
	v_mul_f64 v[91:92], v[83:84], v[91:92]
	s_waitcnt vmcnt(30)
	v_fma_f64 v[118:119], v[79:80], v[154:155], v[118:119]
	v_fma_f64 v[87:88], v[77:78], v[154:155], -v[87:88]
	ds_read_b128 v[77:80], v1 offset:1008
	v_add_f64 v[89:90], v[89:90], v[122:123]
	v_add_f64 v[2:3], v[2:3], v[124:125]
	s_waitcnt vmcnt(28) lgkmcnt(1)
	v_mul_f64 v[122:123], v[73:74], v[85:86]
	v_mul_f64 v[85:86], v[75:76], v[85:86]
	s_waitcnt vmcnt(26)
	v_fma_f64 v[91:92], v[81:82], v[148:149], -v[91:92]
	v_add_f64 v[87:88], v[89:90], v[87:88]
	v_fma_f64 v[89:90], v[83:84], v[148:149], v[110:111]
	v_add_f64 v[2:3], v[2:3], v[118:119]
	ds_read_b128 v[81:84], v1 offset:1024
	s_waitcnt vmcnt(24) lgkmcnt(1)
	v_mul_f64 v[110:111], v[77:78], v[95:96]
	v_mul_f64 v[95:96], v[79:80], v[95:96]
	s_waitcnt vmcnt(22)
	v_fma_f64 v[85:86], v[73:74], v[142:143], -v[85:86]
	v_add_f64 v[87:88], v[87:88], v[91:92]
	v_fma_f64 v[91:92], v[75:76], v[142:143], v[122:123]
	v_add_f64 v[2:3], v[2:3], v[89:90]
	ds_read_b128 v[73:76], v1 offset:1040
	s_waitcnt vmcnt(20) lgkmcnt(1)
	v_mul_f64 v[89:90], v[81:82], v[99:100]
	v_mul_f64 v[99:100], v[83:84], v[99:100]
	s_waitcnt vmcnt(18)
	v_fma_f64 v[95:96], v[77:78], v[104:105], -v[95:96]
	v_add_f64 v[85:86], v[87:88], v[85:86]
	v_fma_f64 v[87:88], v[79:80], v[104:105], v[110:111]
	v_add_f64 v[2:3], v[2:3], v[91:92]
	ds_read_b128 v[77:80], v1 offset:1056
	s_waitcnt vmcnt(16) lgkmcnt(1)
	v_mul_f64 v[91:92], v[73:74], v[93:94]
	v_mul_f64 v[93:94], v[75:76], v[93:94]
	s_waitcnt vmcnt(14)
	v_fma_f64 v[81:82], v[81:82], v[108:109], -v[99:100]
	v_fma_f64 v[83:84], v[83:84], v[108:109], v[89:90]
	v_add_f64 v[85:86], v[85:86], v[95:96]
	v_add_f64 v[87:88], v[2:3], v[87:88]
	ds_read_b128 v[1:4], v1 offset:1072
	s_waitcnt vmcnt(12) lgkmcnt(1)
	v_mul_f64 v[95:96], v[79:80], v[97:98]
	v_mul_f64 v[89:90], v[77:78], v[97:98]
	s_waitcnt vmcnt(10)
	v_fma_f64 v[73:74], v[73:74], v[112:113], -v[93:94]
	v_fma_f64 v[75:76], v[75:76], v[112:113], v[91:92]
	v_add_f64 v[81:82], v[85:86], v[81:82]
	v_add_f64 v[83:84], v[87:88], v[83:84]
	s_waitcnt vmcnt(8) lgkmcnt(0)
	v_mul_f64 v[87:88], v[3:4], v[102:103]
	v_mul_f64 v[85:86], v[1:2], v[102:103]
	s_waitcnt vmcnt(6)
	v_fma_f64 v[77:78], v[77:78], v[116:117], -v[95:96]
	v_fma_f64 v[79:80], v[79:80], v[116:117], v[89:90]
	v_add_f64 v[73:74], v[81:82], v[73:74]
	v_add_f64 v[75:76], v[83:84], v[75:76]
	s_waitcnt vmcnt(4)
	v_fma_f64 v[1:2], v[1:2], v[106:107], -v[87:88]
	v_fma_f64 v[3:4], v[3:4], v[106:107], v[85:86]
	v_add_f64 v[73:74], v[73:74], v[77:78]
	v_add_f64 v[75:76], v[75:76], v[79:80]
	;; [unrolled: 1-line block ×4, first 2 shown]
	s_waitcnt vmcnt(2)
	v_add_f64 v[1:2], v[114:115], -v[1:2]
	s_waitcnt vmcnt(0)
	v_add_f64 v[3:4], v[120:121], -v[3:4]
	buffer_store_dword v2, off, s[0:3], 0 offset:164
	buffer_store_dword v1, off, s[0:3], 0 offset:160
	;; [unrolled: 1-line block ×4, first 2 shown]
	v_cmpx_lt_u32_e32 8, v0
	s_cbranch_execz .LBB33_201
; %bb.200:
	v_mov_b32_e32 v4, s38
	v_mov_b32_e32 v73, 0
	s_clause 0x3
	buffer_load_dword v1, v4, s[0:3], 0 offen
	buffer_load_dword v2, v4, s[0:3], 0 offen offset:4
	buffer_load_dword v3, v4, s[0:3], 0 offen offset:8
	;; [unrolled: 1-line block ×3, first 2 shown]
	buffer_store_dword v73, off, s[0:3], 0 offset:144
	buffer_store_dword v73, off, s[0:3], 0 offset:148
	;; [unrolled: 1-line block ×4, first 2 shown]
	s_waitcnt vmcnt(0)
	ds_write_b128 v101, v[1:4]
.LBB33_201:
	s_or_b32 exec_lo, exec_lo, s4
	s_waitcnt lgkmcnt(0)
	s_waitcnt_vscnt null, 0x0
	s_barrier
	buffer_gl0_inv
	s_clause 0x35
	buffer_load_dword v2, off, s[0:3], 0 offset:168
	buffer_load_dword v3, off, s[0:3], 0 offset:172
	;; [unrolled: 1-line block ×54, first 2 shown]
	v_mov_b32_e32 v1, 0
	s_mov_b32 s4, exec_lo
	ds_read_b128 v[73:76], v1 offset:688
	s_clause 0x3
	buffer_load_dword v138, off, s[0:3], 0 offset:392
	buffer_load_dword v139, off, s[0:3], 0 offset:396
	;; [unrolled: 1-line block ×4, first 2 shown]
	ds_read_b128 v[77:80], v1 offset:704
	s_clause 0x3
	buffer_load_dword v145, off, s[0:3], 0 offset:412
	buffer_load_dword v144, off, s[0:3], 0 offset:408
	;; [unrolled: 1-line block ×4, first 2 shown]
	ds_read_b128 v[81:84], v1 offset:720
	s_waitcnt vmcnt(60) lgkmcnt(2)
	v_mul_f64 v[142:143], v[75:76], v[2:3]
	v_mul_f64 v[2:3], v[73:74], v[2:3]
	s_waitcnt vmcnt(58) lgkmcnt(1)
	v_mul_f64 v[148:149], v[79:80], v[85:86]
	v_mul_f64 v[85:86], v[77:78], v[85:86]
	;; [unrolled: 3-line block ×3, first 2 shown]
	v_fma_f64 v[142:143], v[73:74], v[87:88], -v[142:143]
	v_fma_f64 v[2:3], v[75:76], v[87:88], v[2:3]
	s_clause 0x3
	buffer_load_dword v87, off, s[0:3], 0 offset:424
	buffer_load_dword v88, off, s[0:3], 0 offset:428
	;; [unrolled: 1-line block ×4, first 2 shown]
	s_waitcnt vmcnt(56)
	v_fma_f64 v[148:149], v[77:78], v[91:92], -v[148:149]
	ds_read_b128 v[73:76], v1 offset:736
	v_fma_f64 v[85:86], v[79:80], v[91:92], v[85:86]
	s_clause 0x3
	buffer_load_dword v92, off, s[0:3], 0 offset:444
	buffer_load_dword v91, off, s[0:3], 0 offset:440
	;; [unrolled: 1-line block ×4, first 2 shown]
	s_waitcnt vmcnt(56)
	v_fma_f64 v[89:90], v[81:82], v[95:96], -v[89:90]
	ds_read_b128 v[77:80], v1 offset:752
	v_fma_f64 v[95:96], v[83:84], v[95:96], v[152:153]
	v_add_f64 v[142:143], v[142:143], 0
	v_add_f64 v[2:3], v[2:3], 0
	s_waitcnt lgkmcnt(1)
	v_mul_f64 v[156:157], v[73:74], v[93:94]
	v_mul_f64 v[93:94], v[75:76], v[93:94]
	s_waitcnt vmcnt(54) lgkmcnt(0)
	v_mul_f64 v[152:153], v[77:78], v[97:98]
	v_mul_f64 v[97:98], v[79:80], v[97:98]
	v_add_f64 v[142:143], v[142:143], v[148:149]
	v_add_f64 v[2:3], v[2:3], v[85:86]
	s_clause 0x3
	buffer_load_dword v85, off, s[0:3], 0 offset:456
	buffer_load_dword v86, off, s[0:3], 0 offset:460
	;; [unrolled: 1-line block ×4, first 2 shown]
	s_waitcnt vmcnt(56)
	v_fma_f64 v[93:94], v[73:74], v[99:100], -v[93:94]
	ds_read_b128 v[81:84], v1 offset:768
	v_fma_f64 v[99:100], v[75:76], v[99:100], v[156:157]
	s_waitcnt vmcnt(52)
	v_fma_f64 v[97:98], v[77:78], v[104:105], -v[97:98]
	v_add_f64 v[89:90], v[142:143], v[89:90]
	v_add_f64 v[2:3], v[2:3], v[95:96]
	s_clause 0x3
	buffer_load_dword v96, off, s[0:3], 0 offset:476
	buffer_load_dword v95, off, s[0:3], 0 offset:472
	;; [unrolled: 1-line block ×4, first 2 shown]
	s_waitcnt lgkmcnt(0)
	v_mul_f64 v[156:157], v[81:82], v[102:103]
	v_mul_f64 v[102:103], v[83:84], v[102:103]
	ds_read_b128 v[73:76], v1 offset:784
	v_add_f64 v[89:90], v[89:90], v[93:94]
	v_fma_f64 v[93:94], v[79:80], v[104:105], v[152:153]
	v_add_f64 v[2:3], v[2:3], v[99:100]
	s_clause 0x3
	buffer_load_dword v99, off, s[0:3], 0 offset:488
	buffer_load_dword v100, off, s[0:3], 0 offset:492
	;; [unrolled: 1-line block ×4, first 2 shown]
	s_waitcnt vmcnt(58) lgkmcnt(0)
	v_mul_f64 v[152:153], v[73:74], v[106:107]
	v_mul_f64 v[106:107], v[75:76], v[106:107]
	s_waitcnt vmcnt(56)
	v_fma_f64 v[102:103], v[81:82], v[108:109], -v[102:103]
	ds_read_b128 v[77:80], v1 offset:800
	v_add_f64 v[89:90], v[89:90], v[97:98]
	v_fma_f64 v[97:98], v[83:84], v[108:109], v[156:157]
	v_add_f64 v[2:3], v[2:3], v[93:94]
	s_clause 0x3
	buffer_load_dword v94, off, s[0:3], 0 offset:508
	buffer_load_dword v93, off, s[0:3], 0 offset:504
	;; [unrolled: 1-line block ×4, first 2 shown]
	ds_read_b128 v[81:84], v1 offset:816
	s_waitcnt vmcnt(58) lgkmcnt(1)
	v_mul_f64 v[156:157], v[77:78], v[110:111]
	v_mul_f64 v[110:111], v[79:80], v[110:111]
	s_waitcnt vmcnt(56)
	v_fma_f64 v[106:107], v[73:74], v[112:113], -v[106:107]
	v_add_f64 v[89:90], v[89:90], v[102:103]
	v_fma_f64 v[102:103], v[75:76], v[112:113], v[152:153]
	v_add_f64 v[2:3], v[2:3], v[97:98]
	s_clause 0x3
	buffer_load_dword v97, off, s[0:3], 0 offset:520
	buffer_load_dword v98, off, s[0:3], 0 offset:524
	;; [unrolled: 1-line block ×4, first 2 shown]
	s_waitcnt vmcnt(58) lgkmcnt(0)
	v_mul_f64 v[152:153], v[81:82], v[114:115]
	v_mul_f64 v[114:115], v[83:84], v[114:115]
	s_waitcnt vmcnt(56)
	v_fma_f64 v[110:111], v[77:78], v[116:117], -v[110:111]
	ds_read_b128 v[73:76], v1 offset:832
	v_add_f64 v[89:90], v[89:90], v[106:107]
	v_fma_f64 v[106:107], v[79:80], v[116:117], v[156:157]
	v_add_f64 v[2:3], v[2:3], v[102:103]
	s_clause 0x3
	buffer_load_dword v103, off, s[0:3], 0 offset:540
	buffer_load_dword v102, off, s[0:3], 0 offset:536
	;; [unrolled: 1-line block ×4, first 2 shown]
	ds_read_b128 v[77:80], v1 offset:848
	s_waitcnt vmcnt(58) lgkmcnt(1)
	v_mul_f64 v[156:157], v[73:74], v[118:119]
	v_mul_f64 v[118:119], v[75:76], v[118:119]
	s_waitcnt vmcnt(56)
	v_fma_f64 v[114:115], v[81:82], v[120:121], -v[114:115]
	v_add_f64 v[89:90], v[89:90], v[110:111]
	v_fma_f64 v[110:111], v[83:84], v[120:121], v[152:153]
	v_add_f64 v[2:3], v[2:3], v[106:107]
	s_clause 0x3
	buffer_load_dword v106, off, s[0:3], 0 offset:552
	buffer_load_dword v107, off, s[0:3], 0 offset:556
	;; [unrolled: 1-line block ×4, first 2 shown]
	s_waitcnt vmcnt(58) lgkmcnt(0)
	v_mul_f64 v[152:153], v[77:78], v[122:123]
	v_mul_f64 v[122:123], v[79:80], v[122:123]
	s_waitcnt vmcnt(56)
	v_fma_f64 v[118:119], v[73:74], v[124:125], -v[118:119]
	ds_read_b128 v[81:84], v1 offset:864
	v_add_f64 v[89:90], v[89:90], v[114:115]
	v_fma_f64 v[114:115], v[75:76], v[124:125], v[156:157]
	v_add_f64 v[2:3], v[2:3], v[110:111]
	s_clause 0x1
	buffer_load_dword v110, off, s[0:3], 0 offset:544
	buffer_load_dword v111, off, s[0:3], 0 offset:548
	ds_read_b128 v[73:76], v1 offset:880
	s_waitcnt vmcnt(56) lgkmcnt(1)
	v_mul_f64 v[124:125], v[81:82], v[126:127]
	v_mul_f64 v[126:127], v[83:84], v[126:127]
	s_waitcnt vmcnt(54)
	v_fma_f64 v[122:123], v[77:78], v[128:129], -v[122:123]
	v_add_f64 v[89:90], v[89:90], v[118:119]
	v_fma_f64 v[118:119], v[79:80], v[128:129], v[152:153]
	v_add_f64 v[2:3], v[2:3], v[114:115]
	ds_read_b128 v[77:80], v1 offset:896
	s_waitcnt vmcnt(52) lgkmcnt(1)
	v_mul_f64 v[128:129], v[75:76], v[130:131]
	v_mul_f64 v[114:115], v[73:74], v[130:131]
	s_waitcnt vmcnt(50)
	v_fma_f64 v[126:127], v[81:82], v[132:133], -v[126:127]
	v_add_f64 v[89:90], v[89:90], v[122:123]
	v_fma_f64 v[122:123], v[83:84], v[132:133], v[124:125]
	v_add_f64 v[2:3], v[2:3], v[118:119]
	s_clause 0x3
	buffer_load_dword v118, off, s[0:3], 0 offset:144
	buffer_load_dword v119, off, s[0:3], 0 offset:148
	;; [unrolled: 1-line block ×4, first 2 shown]
	s_waitcnt vmcnt(52) lgkmcnt(0)
	v_mul_f64 v[132:133], v[79:80], v[134:135]
	s_waitcnt vmcnt(50)
	v_fma_f64 v[128:129], v[73:74], v[136:137], -v[128:129]
	ds_read_b128 v[81:84], v1 offset:912
	v_mul_f64 v[130:131], v[77:78], v[134:135]
	v_fma_f64 v[114:115], v[75:76], v[136:137], v[114:115]
	ds_read_b128 v[73:76], v1 offset:928
	v_add_f64 v[89:90], v[89:90], v[126:127]
	v_add_f64 v[2:3], v[2:3], v[122:123]
	s_waitcnt vmcnt(48) lgkmcnt(1)
	v_mul_f64 v[126:127], v[83:84], v[138:139]
	s_waitcnt vmcnt(46)
	v_fma_f64 v[132:133], v[77:78], v[140:141], -v[132:133]
	v_mul_f64 v[122:123], v[81:82], v[138:139]
	v_add_f64 v[89:90], v[89:90], v[128:129]
	v_fma_f64 v[128:129], v[79:80], v[140:141], v[130:131]
	v_add_f64 v[2:3], v[2:3], v[114:115]
	s_waitcnt vmcnt(44) lgkmcnt(0)
	v_mul_f64 v[130:131], v[75:76], v[144:145]
	s_waitcnt vmcnt(42)
	v_fma_f64 v[126:127], v[81:82], v[146:147], -v[126:127]
	ds_read_b128 v[77:80], v1 offset:944
	v_mul_f64 v[114:115], v[73:74], v[144:145]
	v_fma_f64 v[122:123], v[83:84], v[146:147], v[122:123]
	ds_read_b128 v[81:84], v1 offset:960
	v_add_f64 v[89:90], v[89:90], v[132:133]
	v_add_f64 v[2:3], v[2:3], v[128:129]
	s_waitcnt vmcnt(40) lgkmcnt(1)
	v_mul_f64 v[128:129], v[77:78], v[87:88]
	v_mul_f64 v[87:88], v[79:80], v[87:88]
	s_waitcnt vmcnt(38)
	v_fma_f64 v[130:131], v[73:74], v[150:151], -v[130:131]
	v_fma_f64 v[114:115], v[75:76], v[150:151], v[114:115]
	ds_read_b128 v[73:76], v1 offset:976
	v_add_f64 v[89:90], v[89:90], v[126:127]
	v_add_f64 v[2:3], v[2:3], v[122:123]
	s_waitcnt vmcnt(36) lgkmcnt(1)
	v_mul_f64 v[122:123], v[81:82], v[91:92]
	v_mul_f64 v[91:92], v[83:84], v[91:92]
	s_waitcnt vmcnt(34)
	v_fma_f64 v[126:127], v[79:80], v[154:155], v[128:129]
	v_fma_f64 v[87:88], v[77:78], v[154:155], -v[87:88]
	ds_read_b128 v[77:80], v1 offset:992
	v_add_f64 v[89:90], v[89:90], v[130:131]
	v_add_f64 v[2:3], v[2:3], v[114:115]
	s_waitcnt vmcnt(32) lgkmcnt(1)
	v_mul_f64 v[114:115], v[73:74], v[85:86]
	v_mul_f64 v[85:86], v[75:76], v[85:86]
	s_waitcnt vmcnt(30)
	v_fma_f64 v[91:92], v[81:82], v[148:149], -v[91:92]
	v_add_f64 v[87:88], v[89:90], v[87:88]
	v_fma_f64 v[89:90], v[83:84], v[148:149], v[122:123]
	v_add_f64 v[2:3], v[2:3], v[126:127]
	ds_read_b128 v[81:84], v1 offset:1008
	s_waitcnt vmcnt(28) lgkmcnt(1)
	v_mul_f64 v[122:123], v[77:78], v[95:96]
	v_mul_f64 v[95:96], v[79:80], v[95:96]
	s_waitcnt vmcnt(26)
	v_fma_f64 v[85:86], v[73:74], v[142:143], -v[85:86]
	v_add_f64 v[87:88], v[87:88], v[91:92]
	v_fma_f64 v[91:92], v[75:76], v[142:143], v[114:115]
	v_add_f64 v[2:3], v[2:3], v[89:90]
	ds_read_b128 v[73:76], v1 offset:1024
	;; [unrolled: 9-line block ×3, first 2 shown]
	s_waitcnt vmcnt(20) lgkmcnt(1)
	v_mul_f64 v[91:92], v[73:74], v[93:94]
	v_mul_f64 v[93:94], v[75:76], v[93:94]
	s_waitcnt vmcnt(18)
	v_fma_f64 v[99:100], v[81:82], v[108:109], -v[99:100]
	v_fma_f64 v[89:90], v[83:84], v[108:109], v[89:90]
	ds_read_b128 v[81:84], v1 offset:1056
	v_add_f64 v[85:86], v[85:86], v[95:96]
	v_add_f64 v[2:3], v[2:3], v[87:88]
	s_waitcnt vmcnt(16) lgkmcnt(1)
	v_mul_f64 v[95:96], v[79:80], v[97:98]
	v_mul_f64 v[87:88], v[77:78], v[97:98]
	s_waitcnt vmcnt(14)
	v_fma_f64 v[93:94], v[73:74], v[112:113], -v[93:94]
	v_fma_f64 v[91:92], v[75:76], v[112:113], v[91:92]
	ds_read_b128 v[73:76], v1 offset:1072
	v_add_f64 v[85:86], v[85:86], v[99:100]
	v_add_f64 v[2:3], v[2:3], v[89:90]
	s_waitcnt vmcnt(12) lgkmcnt(1)
	v_mul_f64 v[97:98], v[83:84], v[102:103]
	v_mul_f64 v[89:90], v[81:82], v[102:103]
	s_waitcnt vmcnt(10)
	v_fma_f64 v[77:78], v[77:78], v[116:117], -v[95:96]
	v_fma_f64 v[79:80], v[79:80], v[116:117], v[87:88]
	v_add_f64 v[85:86], v[85:86], v[93:94]
	v_add_f64 v[2:3], v[2:3], v[91:92]
	s_waitcnt vmcnt(8) lgkmcnt(0)
	v_mul_f64 v[91:92], v[75:76], v[106:107]
	v_mul_f64 v[87:88], v[73:74], v[106:107]
	s_waitcnt vmcnt(6)
	v_fma_f64 v[81:82], v[81:82], v[120:121], -v[97:98]
	v_fma_f64 v[83:84], v[83:84], v[120:121], v[89:90]
	v_add_f64 v[77:78], v[85:86], v[77:78]
	v_add_f64 v[2:3], v[2:3], v[79:80]
	s_waitcnt vmcnt(4)
	v_fma_f64 v[73:74], v[73:74], v[110:111], -v[91:92]
	v_fma_f64 v[75:76], v[75:76], v[110:111], v[87:88]
	v_add_f64 v[77:78], v[77:78], v[81:82]
	v_add_f64 v[2:3], v[2:3], v[83:84]
	;; [unrolled: 1-line block ×4, first 2 shown]
	s_waitcnt vmcnt(2)
	v_add_f64 v[73:74], v[118:119], -v[73:74]
	s_waitcnt vmcnt(0)
	v_add_f64 v[2:3], v[124:125], -v[2:3]
	buffer_store_dword v74, off, s[0:3], 0 offset:148
	buffer_store_dword v73, off, s[0:3], 0 offset:144
	;; [unrolled: 1-line block ×4, first 2 shown]
	v_cmpx_lt_u32_e32 7, v0
	s_cbranch_execz .LBB33_203
; %bb.202:
	v_mov_b32_e32 v2, s39
	s_clause 0x3
	buffer_load_dword v73, v2, s[0:3], 0 offen
	buffer_load_dword v74, v2, s[0:3], 0 offen offset:4
	buffer_load_dword v75, v2, s[0:3], 0 offen offset:8
	;; [unrolled: 1-line block ×3, first 2 shown]
	buffer_store_dword v1, off, s[0:3], 0 offset:128
	buffer_store_dword v1, off, s[0:3], 0 offset:132
	;; [unrolled: 1-line block ×4, first 2 shown]
	s_waitcnt vmcnt(0)
	ds_write_b128 v101, v[73:76]
.LBB33_203:
	s_or_b32 exec_lo, exec_lo, s4
	s_waitcnt lgkmcnt(0)
	s_waitcnt_vscnt null, 0x0
	s_barrier
	buffer_gl0_inv
	s_clause 0x35
	buffer_load_dword v2, off, s[0:3], 0 offset:152
	buffer_load_dword v3, off, s[0:3], 0 offset:156
	;; [unrolled: 1-line block ×54, first 2 shown]
	ds_read_b128 v[73:76], v1 offset:672
	s_clause 0x3
	buffer_load_dword v138, off, s[0:3], 0 offset:376
	buffer_load_dword v139, off, s[0:3], 0 offset:380
	;; [unrolled: 1-line block ×4, first 2 shown]
	ds_read_b128 v[77:80], v1 offset:688
	s_clause 0x3
	buffer_load_dword v145, off, s[0:3], 0 offset:396
	buffer_load_dword v144, off, s[0:3], 0 offset:392
	buffer_load_dword v146, off, s[0:3], 0 offset:368
	buffer_load_dword v147, off, s[0:3], 0 offset:372
	ds_read_b128 v[81:84], v1 offset:704
	s_mov_b32 s4, exec_lo
	s_waitcnt vmcnt(60) lgkmcnt(2)
	v_mul_f64 v[142:143], v[75:76], v[2:3]
	v_mul_f64 v[2:3], v[73:74], v[2:3]
	s_waitcnt vmcnt(58) lgkmcnt(1)
	v_mul_f64 v[148:149], v[79:80], v[85:86]
	v_mul_f64 v[85:86], v[77:78], v[85:86]
	;; [unrolled: 3-line block ×3, first 2 shown]
	v_fma_f64 v[142:143], v[73:74], v[87:88], -v[142:143]
	v_fma_f64 v[2:3], v[75:76], v[87:88], v[2:3]
	s_clause 0x3
	buffer_load_dword v87, off, s[0:3], 0 offset:408
	buffer_load_dword v88, off, s[0:3], 0 offset:412
	;; [unrolled: 1-line block ×4, first 2 shown]
	s_waitcnt vmcnt(56)
	v_fma_f64 v[148:149], v[77:78], v[91:92], -v[148:149]
	ds_read_b128 v[73:76], v1 offset:720
	v_fma_f64 v[85:86], v[79:80], v[91:92], v[85:86]
	s_clause 0x3
	buffer_load_dword v92, off, s[0:3], 0 offset:428
	buffer_load_dword v91, off, s[0:3], 0 offset:424
	;; [unrolled: 1-line block ×4, first 2 shown]
	s_waitcnt vmcnt(56)
	v_fma_f64 v[89:90], v[81:82], v[95:96], -v[89:90]
	ds_read_b128 v[77:80], v1 offset:736
	v_fma_f64 v[95:96], v[83:84], v[95:96], v[152:153]
	v_add_f64 v[142:143], v[142:143], 0
	v_add_f64 v[2:3], v[2:3], 0
	s_waitcnt lgkmcnt(1)
	v_mul_f64 v[156:157], v[73:74], v[93:94]
	v_mul_f64 v[93:94], v[75:76], v[93:94]
	s_waitcnt vmcnt(54) lgkmcnt(0)
	v_mul_f64 v[152:153], v[77:78], v[97:98]
	v_mul_f64 v[97:98], v[79:80], v[97:98]
	v_add_f64 v[142:143], v[142:143], v[148:149]
	v_add_f64 v[2:3], v[2:3], v[85:86]
	s_clause 0x3
	buffer_load_dword v85, off, s[0:3], 0 offset:440
	buffer_load_dword v86, off, s[0:3], 0 offset:444
	;; [unrolled: 1-line block ×4, first 2 shown]
	s_waitcnt vmcnt(56)
	v_fma_f64 v[93:94], v[73:74], v[99:100], -v[93:94]
	ds_read_b128 v[81:84], v1 offset:752
	v_fma_f64 v[99:100], v[75:76], v[99:100], v[156:157]
	s_waitcnt vmcnt(52)
	v_fma_f64 v[97:98], v[77:78], v[104:105], -v[97:98]
	v_add_f64 v[89:90], v[142:143], v[89:90]
	v_add_f64 v[2:3], v[2:3], v[95:96]
	s_clause 0x3
	buffer_load_dword v96, off, s[0:3], 0 offset:460
	buffer_load_dword v95, off, s[0:3], 0 offset:456
	;; [unrolled: 1-line block ×4, first 2 shown]
	s_waitcnt lgkmcnt(0)
	v_mul_f64 v[156:157], v[81:82], v[102:103]
	v_mul_f64 v[102:103], v[83:84], v[102:103]
	ds_read_b128 v[73:76], v1 offset:768
	v_add_f64 v[89:90], v[89:90], v[93:94]
	v_fma_f64 v[93:94], v[79:80], v[104:105], v[152:153]
	v_add_f64 v[2:3], v[2:3], v[99:100]
	s_clause 0x3
	buffer_load_dword v99, off, s[0:3], 0 offset:472
	buffer_load_dword v100, off, s[0:3], 0 offset:476
	buffer_load_dword v105, off, s[0:3], 0 offset:452
	buffer_load_dword v104, off, s[0:3], 0 offset:448
	s_waitcnt vmcnt(58) lgkmcnt(0)
	v_mul_f64 v[152:153], v[73:74], v[106:107]
	v_mul_f64 v[106:107], v[75:76], v[106:107]
	s_waitcnt vmcnt(56)
	v_fma_f64 v[102:103], v[81:82], v[108:109], -v[102:103]
	ds_read_b128 v[77:80], v1 offset:784
	v_add_f64 v[89:90], v[89:90], v[97:98]
	v_fma_f64 v[97:98], v[83:84], v[108:109], v[156:157]
	v_add_f64 v[2:3], v[2:3], v[93:94]
	s_clause 0x3
	buffer_load_dword v94, off, s[0:3], 0 offset:492
	buffer_load_dword v93, off, s[0:3], 0 offset:488
	buffer_load_dword v108, off, s[0:3], 0 offset:464
	buffer_load_dword v109, off, s[0:3], 0 offset:468
	ds_read_b128 v[81:84], v1 offset:800
	s_waitcnt vmcnt(58) lgkmcnt(1)
	v_mul_f64 v[156:157], v[77:78], v[110:111]
	v_mul_f64 v[110:111], v[79:80], v[110:111]
	s_waitcnt vmcnt(56)
	v_fma_f64 v[106:107], v[73:74], v[112:113], -v[106:107]
	v_add_f64 v[89:90], v[89:90], v[102:103]
	v_fma_f64 v[102:103], v[75:76], v[112:113], v[152:153]
	v_add_f64 v[2:3], v[2:3], v[97:98]
	s_clause 0x3
	buffer_load_dword v97, off, s[0:3], 0 offset:504
	buffer_load_dword v98, off, s[0:3], 0 offset:508
	buffer_load_dword v113, off, s[0:3], 0 offset:484
	buffer_load_dword v112, off, s[0:3], 0 offset:480
	s_waitcnt vmcnt(58) lgkmcnt(0)
	v_mul_f64 v[152:153], v[81:82], v[114:115]
	v_mul_f64 v[114:115], v[83:84], v[114:115]
	s_waitcnt vmcnt(56)
	v_fma_f64 v[110:111], v[77:78], v[116:117], -v[110:111]
	ds_read_b128 v[73:76], v1 offset:816
	v_add_f64 v[89:90], v[89:90], v[106:107]
	v_fma_f64 v[106:107], v[79:80], v[116:117], v[156:157]
	v_add_f64 v[2:3], v[2:3], v[102:103]
	s_clause 0x3
	buffer_load_dword v103, off, s[0:3], 0 offset:524
	buffer_load_dword v102, off, s[0:3], 0 offset:520
	buffer_load_dword v116, off, s[0:3], 0 offset:496
	buffer_load_dword v117, off, s[0:3], 0 offset:500
	ds_read_b128 v[77:80], v1 offset:832
	s_waitcnt vmcnt(58) lgkmcnt(1)
	v_mul_f64 v[156:157], v[73:74], v[118:119]
	v_mul_f64 v[118:119], v[75:76], v[118:119]
	s_waitcnt vmcnt(56)
	v_fma_f64 v[114:115], v[81:82], v[120:121], -v[114:115]
	;; [unrolled: 28-line block ×3, first 2 shown]
	v_add_f64 v[89:90], v[89:90], v[118:119]
	v_fma_f64 v[118:119], v[79:80], v[128:129], v[152:153]
	v_add_f64 v[2:3], v[2:3], v[114:115]
	s_clause 0x1
	buffer_load_dword v115, off, s[0:3], 0 offset:548
	buffer_load_dword v114, off, s[0:3], 0 offset:544
	s_waitcnt vmcnt(56) lgkmcnt(0)
	v_mul_f64 v[128:129], v[73:74], v[130:131]
	v_mul_f64 v[130:131], v[75:76], v[130:131]
	s_waitcnt vmcnt(54)
	v_fma_f64 v[126:127], v[81:82], v[132:133], -v[126:127]
	ds_read_b128 v[77:80], v1 offset:880
	v_add_f64 v[89:90], v[89:90], v[122:123]
	v_fma_f64 v[122:123], v[83:84], v[132:133], v[156:157]
	v_add_f64 v[2:3], v[2:3], v[118:119]
	ds_read_b128 v[81:84], v1 offset:896
	s_waitcnt vmcnt(52) lgkmcnt(1)
	v_mul_f64 v[132:133], v[79:80], v[134:135]
	s_waitcnt vmcnt(50)
	v_fma_f64 v[130:131], v[73:74], v[136:137], -v[130:131]
	v_mul_f64 v[118:119], v[77:78], v[134:135]
	v_add_f64 v[89:90], v[89:90], v[126:127]
	v_fma_f64 v[126:127], v[75:76], v[136:137], v[128:129]
	v_add_f64 v[2:3], v[2:3], v[122:123]
	s_clause 0x3
	buffer_load_dword v122, off, s[0:3], 0 offset:128
	buffer_load_dword v123, off, s[0:3], 0 offset:132
	buffer_load_dword v128, off, s[0:3], 0 offset:136
	buffer_load_dword v129, off, s[0:3], 0 offset:140
	s_waitcnt vmcnt(52) lgkmcnt(0)
	v_mul_f64 v[136:137], v[83:84], v[138:139]
	s_waitcnt vmcnt(50)
	v_fma_f64 v[132:133], v[77:78], v[140:141], -v[132:133]
	ds_read_b128 v[73:76], v1 offset:912
	v_mul_f64 v[134:135], v[81:82], v[138:139]
	v_fma_f64 v[118:119], v[79:80], v[140:141], v[118:119]
	ds_read_b128 v[77:80], v1 offset:928
	v_add_f64 v[89:90], v[89:90], v[130:131]
	v_add_f64 v[2:3], v[2:3], v[126:127]
	s_waitcnt vmcnt(48) lgkmcnt(1)
	v_mul_f64 v[130:131], v[75:76], v[144:145]
	s_waitcnt vmcnt(46)
	v_fma_f64 v[136:137], v[81:82], v[146:147], -v[136:137]
	v_mul_f64 v[126:127], v[73:74], v[144:145]
	v_add_f64 v[89:90], v[89:90], v[132:133]
	v_fma_f64 v[132:133], v[83:84], v[146:147], v[134:135]
	v_add_f64 v[2:3], v[2:3], v[118:119]
	ds_read_b128 v[81:84], v1 offset:944
	s_waitcnt vmcnt(44) lgkmcnt(1)
	v_mul_f64 v[118:119], v[77:78], v[87:88]
	v_mul_f64 v[87:88], v[79:80], v[87:88]
	s_waitcnt vmcnt(42)
	v_fma_f64 v[130:131], v[73:74], v[150:151], -v[130:131]
	v_fma_f64 v[126:127], v[75:76], v[150:151], v[126:127]
	ds_read_b128 v[73:76], v1 offset:960
	v_add_f64 v[89:90], v[89:90], v[136:137]
	v_add_f64 v[2:3], v[2:3], v[132:133]
	s_waitcnt vmcnt(40) lgkmcnt(1)
	v_mul_f64 v[132:133], v[81:82], v[91:92]
	v_mul_f64 v[91:92], v[83:84], v[91:92]
	s_waitcnt vmcnt(38)
	v_fma_f64 v[118:119], v[79:80], v[154:155], v[118:119]
	v_fma_f64 v[87:88], v[77:78], v[154:155], -v[87:88]
	ds_read_b128 v[77:80], v1 offset:976
	v_add_f64 v[89:90], v[89:90], v[130:131]
	v_add_f64 v[2:3], v[2:3], v[126:127]
	s_waitcnt vmcnt(36) lgkmcnt(1)
	v_mul_f64 v[126:127], v[73:74], v[85:86]
	v_mul_f64 v[85:86], v[75:76], v[85:86]
	s_waitcnt vmcnt(34)
	v_fma_f64 v[91:92], v[81:82], v[148:149], -v[91:92]
	v_add_f64 v[87:88], v[89:90], v[87:88]
	v_fma_f64 v[89:90], v[83:84], v[148:149], v[132:133]
	v_add_f64 v[2:3], v[2:3], v[118:119]
	ds_read_b128 v[81:84], v1 offset:992
	s_waitcnt vmcnt(32) lgkmcnt(1)
	v_mul_f64 v[118:119], v[77:78], v[95:96]
	v_mul_f64 v[95:96], v[79:80], v[95:96]
	s_waitcnt vmcnt(30)
	v_fma_f64 v[85:86], v[73:74], v[142:143], -v[85:86]
	v_add_f64 v[87:88], v[87:88], v[91:92]
	v_fma_f64 v[91:92], v[75:76], v[142:143], v[126:127]
	v_add_f64 v[2:3], v[2:3], v[89:90]
	ds_read_b128 v[73:76], v1 offset:1008
	;; [unrolled: 9-line block ×3, first 2 shown]
	s_waitcnt vmcnt(24) lgkmcnt(1)
	v_mul_f64 v[91:92], v[73:74], v[93:94]
	v_mul_f64 v[93:94], v[75:76], v[93:94]
	s_waitcnt vmcnt(22)
	v_fma_f64 v[99:100], v[81:82], v[108:109], -v[99:100]
	v_fma_f64 v[89:90], v[83:84], v[108:109], v[89:90]
	ds_read_b128 v[81:84], v1 offset:1040
	v_add_f64 v[85:86], v[85:86], v[95:96]
	v_add_f64 v[2:3], v[2:3], v[87:88]
	s_waitcnt vmcnt(20) lgkmcnt(1)
	v_mul_f64 v[95:96], v[79:80], v[97:98]
	v_mul_f64 v[87:88], v[77:78], v[97:98]
	s_waitcnt vmcnt(18)
	v_fma_f64 v[93:94], v[73:74], v[112:113], -v[93:94]
	v_fma_f64 v[91:92], v[75:76], v[112:113], v[91:92]
	ds_read_b128 v[73:76], v1 offset:1056
	v_add_f64 v[85:86], v[85:86], v[99:100]
	v_add_f64 v[2:3], v[2:3], v[89:90]
	s_waitcnt vmcnt(16) lgkmcnt(1)
	v_mul_f64 v[97:98], v[83:84], v[102:103]
	v_mul_f64 v[89:90], v[81:82], v[102:103]
	s_waitcnt vmcnt(14)
	v_fma_f64 v[77:78], v[77:78], v[116:117], -v[95:96]
	v_fma_f64 v[79:80], v[79:80], v[116:117], v[87:88]
	v_add_f64 v[85:86], v[85:86], v[93:94]
	v_add_f64 v[87:88], v[2:3], v[91:92]
	ds_read_b128 v[1:4], v1 offset:1072
	s_waitcnt vmcnt(12) lgkmcnt(1)
	v_mul_f64 v[93:94], v[75:76], v[106:107]
	v_mul_f64 v[91:92], v[73:74], v[106:107]
	s_waitcnt vmcnt(10)
	v_fma_f64 v[81:82], v[81:82], v[120:121], -v[97:98]
	v_fma_f64 v[83:84], v[83:84], v[120:121], v[89:90]
	v_add_f64 v[77:78], v[85:86], v[77:78]
	v_add_f64 v[79:80], v[87:88], v[79:80]
	s_waitcnt vmcnt(8) lgkmcnt(0)
	v_mul_f64 v[87:88], v[3:4], v[110:111]
	v_mul_f64 v[85:86], v[1:2], v[110:111]
	s_waitcnt vmcnt(6)
	v_fma_f64 v[73:74], v[73:74], v[124:125], -v[93:94]
	v_fma_f64 v[75:76], v[75:76], v[124:125], v[91:92]
	v_add_f64 v[77:78], v[77:78], v[81:82]
	v_add_f64 v[79:80], v[79:80], v[83:84]
	s_waitcnt vmcnt(4)
	v_fma_f64 v[1:2], v[1:2], v[114:115], -v[87:88]
	v_fma_f64 v[3:4], v[3:4], v[114:115], v[85:86]
	v_add_f64 v[73:74], v[77:78], v[73:74]
	v_add_f64 v[75:76], v[79:80], v[75:76]
	;; [unrolled: 1-line block ×4, first 2 shown]
	s_waitcnt vmcnt(2)
	v_add_f64 v[1:2], v[122:123], -v[1:2]
	s_waitcnt vmcnt(0)
	v_add_f64 v[3:4], v[128:129], -v[3:4]
	buffer_store_dword v2, off, s[0:3], 0 offset:132
	buffer_store_dword v1, off, s[0:3], 0 offset:128
	;; [unrolled: 1-line block ×4, first 2 shown]
	v_cmpx_lt_u32_e32 6, v0
	s_cbranch_execz .LBB33_205
; %bb.204:
	v_mov_b32_e32 v4, s40
	v_mov_b32_e32 v73, 0
	s_clause 0x3
	buffer_load_dword v1, v4, s[0:3], 0 offen
	buffer_load_dword v2, v4, s[0:3], 0 offen offset:4
	buffer_load_dword v3, v4, s[0:3], 0 offen offset:8
	;; [unrolled: 1-line block ×3, first 2 shown]
	buffer_store_dword v73, off, s[0:3], 0 offset:112
	buffer_store_dword v73, off, s[0:3], 0 offset:116
	;; [unrolled: 1-line block ×4, first 2 shown]
	s_waitcnt vmcnt(0)
	ds_write_b128 v101, v[1:4]
.LBB33_205:
	s_or_b32 exec_lo, exec_lo, s4
	s_waitcnt lgkmcnt(0)
	s_waitcnt_vscnt null, 0x0
	s_barrier
	buffer_gl0_inv
	s_clause 0x35
	buffer_load_dword v2, off, s[0:3], 0 offset:136
	buffer_load_dword v3, off, s[0:3], 0 offset:140
	;; [unrolled: 1-line block ×54, first 2 shown]
	v_mov_b32_e32 v1, 0
	s_mov_b32 s4, exec_lo
	ds_read_b128 v[73:76], v1 offset:656
	s_clause 0x3
	buffer_load_dword v138, off, s[0:3], 0 offset:360
	buffer_load_dword v139, off, s[0:3], 0 offset:364
	;; [unrolled: 1-line block ×4, first 2 shown]
	ds_read_b128 v[77:80], v1 offset:672
	s_clause 0x3
	buffer_load_dword v145, off, s[0:3], 0 offset:380
	buffer_load_dword v144, off, s[0:3], 0 offset:376
	;; [unrolled: 1-line block ×4, first 2 shown]
	ds_read_b128 v[81:84], v1 offset:688
	s_waitcnt vmcnt(60) lgkmcnt(2)
	v_mul_f64 v[142:143], v[75:76], v[2:3]
	v_mul_f64 v[2:3], v[73:74], v[2:3]
	s_waitcnt vmcnt(58) lgkmcnt(1)
	v_mul_f64 v[148:149], v[79:80], v[85:86]
	v_mul_f64 v[85:86], v[77:78], v[85:86]
	;; [unrolled: 3-line block ×3, first 2 shown]
	v_fma_f64 v[142:143], v[73:74], v[87:88], -v[142:143]
	v_fma_f64 v[2:3], v[75:76], v[87:88], v[2:3]
	s_clause 0x3
	buffer_load_dword v87, off, s[0:3], 0 offset:392
	buffer_load_dword v88, off, s[0:3], 0 offset:396
	;; [unrolled: 1-line block ×4, first 2 shown]
	s_waitcnt vmcnt(56)
	v_fma_f64 v[148:149], v[77:78], v[91:92], -v[148:149]
	ds_read_b128 v[73:76], v1 offset:704
	v_fma_f64 v[85:86], v[79:80], v[91:92], v[85:86]
	s_clause 0x3
	buffer_load_dword v92, off, s[0:3], 0 offset:412
	buffer_load_dword v91, off, s[0:3], 0 offset:408
	;; [unrolled: 1-line block ×4, first 2 shown]
	s_waitcnt vmcnt(56)
	v_fma_f64 v[89:90], v[81:82], v[95:96], -v[89:90]
	ds_read_b128 v[77:80], v1 offset:720
	v_fma_f64 v[95:96], v[83:84], v[95:96], v[152:153]
	v_add_f64 v[142:143], v[142:143], 0
	v_add_f64 v[2:3], v[2:3], 0
	s_waitcnt lgkmcnt(1)
	v_mul_f64 v[156:157], v[73:74], v[93:94]
	v_mul_f64 v[93:94], v[75:76], v[93:94]
	s_waitcnt vmcnt(54) lgkmcnt(0)
	v_mul_f64 v[152:153], v[77:78], v[97:98]
	v_mul_f64 v[97:98], v[79:80], v[97:98]
	v_add_f64 v[142:143], v[142:143], v[148:149]
	v_add_f64 v[2:3], v[2:3], v[85:86]
	s_clause 0x3
	buffer_load_dword v85, off, s[0:3], 0 offset:424
	buffer_load_dword v86, off, s[0:3], 0 offset:428
	;; [unrolled: 1-line block ×4, first 2 shown]
	s_waitcnt vmcnt(56)
	v_fma_f64 v[93:94], v[73:74], v[99:100], -v[93:94]
	ds_read_b128 v[81:84], v1 offset:736
	v_fma_f64 v[99:100], v[75:76], v[99:100], v[156:157]
	s_waitcnt vmcnt(52)
	v_fma_f64 v[97:98], v[77:78], v[104:105], -v[97:98]
	v_add_f64 v[89:90], v[142:143], v[89:90]
	v_add_f64 v[2:3], v[2:3], v[95:96]
	s_clause 0x3
	buffer_load_dword v96, off, s[0:3], 0 offset:444
	buffer_load_dword v95, off, s[0:3], 0 offset:440
	;; [unrolled: 1-line block ×4, first 2 shown]
	s_waitcnt lgkmcnt(0)
	v_mul_f64 v[156:157], v[81:82], v[102:103]
	v_mul_f64 v[102:103], v[83:84], v[102:103]
	ds_read_b128 v[73:76], v1 offset:752
	v_add_f64 v[89:90], v[89:90], v[93:94]
	v_fma_f64 v[93:94], v[79:80], v[104:105], v[152:153]
	v_add_f64 v[2:3], v[2:3], v[99:100]
	s_clause 0x3
	buffer_load_dword v99, off, s[0:3], 0 offset:456
	buffer_load_dword v100, off, s[0:3], 0 offset:460
	buffer_load_dword v105, off, s[0:3], 0 offset:436
	buffer_load_dword v104, off, s[0:3], 0 offset:432
	s_waitcnt vmcnt(58) lgkmcnt(0)
	v_mul_f64 v[152:153], v[73:74], v[106:107]
	v_mul_f64 v[106:107], v[75:76], v[106:107]
	s_waitcnt vmcnt(56)
	v_fma_f64 v[102:103], v[81:82], v[108:109], -v[102:103]
	ds_read_b128 v[77:80], v1 offset:768
	v_add_f64 v[89:90], v[89:90], v[97:98]
	v_fma_f64 v[97:98], v[83:84], v[108:109], v[156:157]
	v_add_f64 v[2:3], v[2:3], v[93:94]
	s_clause 0x3
	buffer_load_dword v94, off, s[0:3], 0 offset:476
	buffer_load_dword v93, off, s[0:3], 0 offset:472
	buffer_load_dword v108, off, s[0:3], 0 offset:448
	buffer_load_dword v109, off, s[0:3], 0 offset:452
	ds_read_b128 v[81:84], v1 offset:784
	s_waitcnt vmcnt(58) lgkmcnt(1)
	v_mul_f64 v[156:157], v[77:78], v[110:111]
	v_mul_f64 v[110:111], v[79:80], v[110:111]
	s_waitcnt vmcnt(56)
	v_fma_f64 v[106:107], v[73:74], v[112:113], -v[106:107]
	v_add_f64 v[89:90], v[89:90], v[102:103]
	v_fma_f64 v[102:103], v[75:76], v[112:113], v[152:153]
	v_add_f64 v[2:3], v[2:3], v[97:98]
	s_clause 0x3
	buffer_load_dword v97, off, s[0:3], 0 offset:488
	buffer_load_dword v98, off, s[0:3], 0 offset:492
	buffer_load_dword v113, off, s[0:3], 0 offset:468
	buffer_load_dword v112, off, s[0:3], 0 offset:464
	s_waitcnt vmcnt(58) lgkmcnt(0)
	v_mul_f64 v[152:153], v[81:82], v[114:115]
	v_mul_f64 v[114:115], v[83:84], v[114:115]
	s_waitcnt vmcnt(56)
	v_fma_f64 v[110:111], v[77:78], v[116:117], -v[110:111]
	ds_read_b128 v[73:76], v1 offset:800
	v_add_f64 v[89:90], v[89:90], v[106:107]
	v_fma_f64 v[106:107], v[79:80], v[116:117], v[156:157]
	v_add_f64 v[2:3], v[2:3], v[102:103]
	s_clause 0x3
	buffer_load_dword v103, off, s[0:3], 0 offset:508
	buffer_load_dword v102, off, s[0:3], 0 offset:504
	buffer_load_dword v116, off, s[0:3], 0 offset:480
	buffer_load_dword v117, off, s[0:3], 0 offset:484
	ds_read_b128 v[77:80], v1 offset:816
	s_waitcnt vmcnt(58) lgkmcnt(1)
	v_mul_f64 v[156:157], v[73:74], v[118:119]
	v_mul_f64 v[118:119], v[75:76], v[118:119]
	s_waitcnt vmcnt(56)
	v_fma_f64 v[114:115], v[81:82], v[120:121], -v[114:115]
	;; [unrolled: 28-line block ×3, first 2 shown]
	v_add_f64 v[89:90], v[89:90], v[118:119]
	v_fma_f64 v[118:119], v[79:80], v[128:129], v[152:153]
	v_add_f64 v[2:3], v[2:3], v[114:115]
	s_clause 0x3
	buffer_load_dword v114, off, s[0:3], 0 offset:552
	buffer_load_dword v115, off, s[0:3], 0 offset:556
	buffer_load_dword v129, off, s[0:3], 0 offset:532
	buffer_load_dword v128, off, s[0:3], 0 offset:528
	s_waitcnt vmcnt(58) lgkmcnt(0)
	v_mul_f64 v[152:153], v[73:74], v[130:131]
	v_mul_f64 v[130:131], v[75:76], v[130:131]
	s_waitcnt vmcnt(56)
	v_fma_f64 v[126:127], v[81:82], v[132:133], -v[126:127]
	ds_read_b128 v[77:80], v1 offset:864
	v_add_f64 v[89:90], v[89:90], v[122:123]
	v_fma_f64 v[122:123], v[83:84], v[132:133], v[156:157]
	v_add_f64 v[2:3], v[2:3], v[118:119]
	s_clause 0x1
	buffer_load_dword v118, off, s[0:3], 0 offset:544
	buffer_load_dword v119, off, s[0:3], 0 offset:548
	ds_read_b128 v[81:84], v1 offset:880
	s_waitcnt vmcnt(56) lgkmcnt(1)
	v_mul_f64 v[132:133], v[77:78], v[134:135]
	v_mul_f64 v[134:135], v[79:80], v[134:135]
	s_waitcnt vmcnt(54)
	v_fma_f64 v[130:131], v[73:74], v[136:137], -v[130:131]
	v_add_f64 v[89:90], v[89:90], v[126:127]
	v_fma_f64 v[126:127], v[75:76], v[136:137], v[152:153]
	v_add_f64 v[2:3], v[2:3], v[122:123]
	ds_read_b128 v[73:76], v1 offset:896
	s_waitcnt vmcnt(52) lgkmcnt(1)
	v_mul_f64 v[136:137], v[83:84], v[138:139]
	v_mul_f64 v[122:123], v[81:82], v[138:139]
	s_waitcnt vmcnt(50)
	v_fma_f64 v[134:135], v[77:78], v[140:141], -v[134:135]
	v_add_f64 v[89:90], v[89:90], v[130:131]
	v_fma_f64 v[130:131], v[79:80], v[140:141], v[132:133]
	v_add_f64 v[2:3], v[2:3], v[126:127]
	s_clause 0x3
	buffer_load_dword v126, off, s[0:3], 0 offset:112
	buffer_load_dword v127, off, s[0:3], 0 offset:116
	;; [unrolled: 1-line block ×4, first 2 shown]
	s_waitcnt vmcnt(52) lgkmcnt(0)
	v_mul_f64 v[140:141], v[75:76], v[144:145]
	s_waitcnt vmcnt(50)
	v_fma_f64 v[136:137], v[81:82], v[146:147], -v[136:137]
	ds_read_b128 v[77:80], v1 offset:912
	v_mul_f64 v[138:139], v[73:74], v[144:145]
	v_fma_f64 v[122:123], v[83:84], v[146:147], v[122:123]
	ds_read_b128 v[81:84], v1 offset:928
	v_add_f64 v[89:90], v[89:90], v[134:135]
	v_add_f64 v[2:3], v[2:3], v[130:131]
	s_waitcnt vmcnt(48) lgkmcnt(1)
	v_mul_f64 v[130:131], v[77:78], v[87:88]
	v_mul_f64 v[87:88], v[79:80], v[87:88]
	s_waitcnt vmcnt(46)
	v_fma_f64 v[134:135], v[73:74], v[150:151], -v[140:141]
	v_add_f64 v[89:90], v[89:90], v[136:137]
	v_fma_f64 v[136:137], v[75:76], v[150:151], v[138:139]
	v_add_f64 v[2:3], v[2:3], v[122:123]
	s_waitcnt vmcnt(44) lgkmcnt(0)
	v_mul_f64 v[122:123], v[81:82], v[91:92]
	v_mul_f64 v[91:92], v[83:84], v[91:92]
	ds_read_b128 v[73:76], v1 offset:944
	s_waitcnt vmcnt(42)
	v_fma_f64 v[130:131], v[79:80], v[154:155], v[130:131]
	v_fma_f64 v[87:88], v[77:78], v[154:155], -v[87:88]
	ds_read_b128 v[77:80], v1 offset:960
	v_add_f64 v[89:90], v[89:90], v[134:135]
	v_add_f64 v[2:3], v[2:3], v[136:137]
	s_waitcnt vmcnt(40) lgkmcnt(1)
	v_mul_f64 v[134:135], v[73:74], v[85:86]
	v_mul_f64 v[85:86], v[75:76], v[85:86]
	s_waitcnt vmcnt(38)
	v_fma_f64 v[91:92], v[81:82], v[148:149], -v[91:92]
	v_add_f64 v[87:88], v[89:90], v[87:88]
	v_fma_f64 v[89:90], v[83:84], v[148:149], v[122:123]
	v_add_f64 v[2:3], v[2:3], v[130:131]
	ds_read_b128 v[81:84], v1 offset:976
	s_waitcnt vmcnt(36) lgkmcnt(1)
	v_mul_f64 v[122:123], v[77:78], v[95:96]
	v_mul_f64 v[95:96], v[79:80], v[95:96]
	s_waitcnt vmcnt(34)
	v_fma_f64 v[85:86], v[73:74], v[142:143], -v[85:86]
	v_add_f64 v[87:88], v[87:88], v[91:92]
	v_fma_f64 v[91:92], v[75:76], v[142:143], v[134:135]
	v_add_f64 v[2:3], v[2:3], v[89:90]
	ds_read_b128 v[73:76], v1 offset:992
	;; [unrolled: 9-line block ×3, first 2 shown]
	s_waitcnt vmcnt(28) lgkmcnt(1)
	v_mul_f64 v[91:92], v[73:74], v[93:94]
	v_mul_f64 v[93:94], v[75:76], v[93:94]
	s_waitcnt vmcnt(26)
	v_fma_f64 v[99:100], v[81:82], v[108:109], -v[99:100]
	v_fma_f64 v[89:90], v[83:84], v[108:109], v[89:90]
	ds_read_b128 v[81:84], v1 offset:1024
	v_add_f64 v[85:86], v[85:86], v[95:96]
	v_add_f64 v[2:3], v[2:3], v[87:88]
	s_waitcnt vmcnt(24) lgkmcnt(1)
	v_mul_f64 v[95:96], v[79:80], v[97:98]
	v_mul_f64 v[87:88], v[77:78], v[97:98]
	s_waitcnt vmcnt(22)
	v_fma_f64 v[93:94], v[73:74], v[112:113], -v[93:94]
	v_fma_f64 v[91:92], v[75:76], v[112:113], v[91:92]
	ds_read_b128 v[73:76], v1 offset:1040
	v_add_f64 v[85:86], v[85:86], v[99:100]
	v_add_f64 v[2:3], v[2:3], v[89:90]
	;; [unrolled: 9-line block ×4, first 2 shown]
	s_waitcnt vmcnt(12) lgkmcnt(1)
	v_mul_f64 v[95:96], v[79:80], v[110:111]
	v_mul_f64 v[87:88], v[77:78], v[110:111]
	s_waitcnt vmcnt(10)
	v_fma_f64 v[73:74], v[73:74], v[124:125], -v[93:94]
	v_fma_f64 v[75:76], v[75:76], v[124:125], v[91:92]
	v_add_f64 v[85:86], v[85:86], v[97:98]
	v_add_f64 v[2:3], v[2:3], v[89:90]
	s_waitcnt vmcnt(8) lgkmcnt(0)
	v_mul_f64 v[91:92], v[83:84], v[114:115]
	v_mul_f64 v[89:90], v[81:82], v[114:115]
	s_waitcnt vmcnt(6)
	v_fma_f64 v[77:78], v[77:78], v[128:129], -v[95:96]
	v_fma_f64 v[79:80], v[79:80], v[128:129], v[87:88]
	v_add_f64 v[73:74], v[85:86], v[73:74]
	v_add_f64 v[2:3], v[2:3], v[75:76]
	s_waitcnt vmcnt(4)
	v_fma_f64 v[75:76], v[81:82], v[118:119], -v[91:92]
	v_add_f64 v[73:74], v[73:74], v[77:78]
	v_fma_f64 v[77:78], v[83:84], v[118:119], v[89:90]
	v_add_f64 v[2:3], v[2:3], v[79:80]
	v_add_f64 v[73:74], v[73:74], v[75:76]
	;; [unrolled: 1-line block ×3, first 2 shown]
	s_waitcnt vmcnt(2)
	v_add_f64 v[73:74], v[126:127], -v[73:74]
	s_waitcnt vmcnt(0)
	v_add_f64 v[2:3], v[132:133], -v[2:3]
	buffer_store_dword v74, off, s[0:3], 0 offset:116
	buffer_store_dword v73, off, s[0:3], 0 offset:112
	;; [unrolled: 1-line block ×4, first 2 shown]
	v_cmpx_lt_u32_e32 5, v0
	s_cbranch_execz .LBB33_207
; %bb.206:
	v_mov_b32_e32 v2, s41
	s_clause 0x3
	buffer_load_dword v73, v2, s[0:3], 0 offen
	buffer_load_dword v74, v2, s[0:3], 0 offen offset:4
	buffer_load_dword v75, v2, s[0:3], 0 offen offset:8
	buffer_load_dword v76, v2, s[0:3], 0 offen offset:12
	buffer_store_dword v1, off, s[0:3], 0 offset:96
	buffer_store_dword v1, off, s[0:3], 0 offset:100
	buffer_store_dword v1, off, s[0:3], 0 offset:104
	buffer_store_dword v1, off, s[0:3], 0 offset:108
	s_waitcnt vmcnt(0)
	ds_write_b128 v101, v[73:76]
.LBB33_207:
	s_or_b32 exec_lo, exec_lo, s4
	s_waitcnt lgkmcnt(0)
	s_waitcnt_vscnt null, 0x0
	s_barrier
	buffer_gl0_inv
	s_clause 0x35
	buffer_load_dword v2, off, s[0:3], 0 offset:120
	buffer_load_dword v3, off, s[0:3], 0 offset:124
	;; [unrolled: 1-line block ×54, first 2 shown]
	ds_read_b128 v[73:76], v1 offset:640
	s_clause 0x3
	buffer_load_dword v138, off, s[0:3], 0 offset:344
	buffer_load_dword v139, off, s[0:3], 0 offset:348
	buffer_load_dword v141, off, s[0:3], 0 offset:324
	buffer_load_dword v140, off, s[0:3], 0 offset:320
	ds_read_b128 v[77:80], v1 offset:656
	s_clause 0x3
	buffer_load_dword v145, off, s[0:3], 0 offset:364
	buffer_load_dword v144, off, s[0:3], 0 offset:360
	;; [unrolled: 1-line block ×4, first 2 shown]
	ds_read_b128 v[81:84], v1 offset:672
	s_mov_b32 s4, exec_lo
	s_waitcnt vmcnt(60) lgkmcnt(2)
	v_mul_f64 v[142:143], v[75:76], v[2:3]
	v_mul_f64 v[2:3], v[73:74], v[2:3]
	s_waitcnt vmcnt(58) lgkmcnt(1)
	v_mul_f64 v[148:149], v[79:80], v[85:86]
	v_mul_f64 v[85:86], v[77:78], v[85:86]
	;; [unrolled: 3-line block ×3, first 2 shown]
	v_fma_f64 v[142:143], v[73:74], v[87:88], -v[142:143]
	v_fma_f64 v[2:3], v[75:76], v[87:88], v[2:3]
	s_clause 0x3
	buffer_load_dword v87, off, s[0:3], 0 offset:376
	buffer_load_dword v88, off, s[0:3], 0 offset:380
	;; [unrolled: 1-line block ×4, first 2 shown]
	s_waitcnt vmcnt(56)
	v_fma_f64 v[148:149], v[77:78], v[91:92], -v[148:149]
	ds_read_b128 v[73:76], v1 offset:688
	v_fma_f64 v[85:86], v[79:80], v[91:92], v[85:86]
	s_clause 0x3
	buffer_load_dword v92, off, s[0:3], 0 offset:396
	buffer_load_dword v91, off, s[0:3], 0 offset:392
	;; [unrolled: 1-line block ×4, first 2 shown]
	s_waitcnt vmcnt(56)
	v_fma_f64 v[89:90], v[81:82], v[95:96], -v[89:90]
	ds_read_b128 v[77:80], v1 offset:704
	v_fma_f64 v[95:96], v[83:84], v[95:96], v[152:153]
	v_add_f64 v[142:143], v[142:143], 0
	v_add_f64 v[2:3], v[2:3], 0
	s_waitcnt lgkmcnt(1)
	v_mul_f64 v[156:157], v[73:74], v[93:94]
	v_mul_f64 v[93:94], v[75:76], v[93:94]
	s_waitcnt vmcnt(54) lgkmcnt(0)
	v_mul_f64 v[152:153], v[77:78], v[97:98]
	v_mul_f64 v[97:98], v[79:80], v[97:98]
	v_add_f64 v[142:143], v[142:143], v[148:149]
	v_add_f64 v[2:3], v[2:3], v[85:86]
	s_clause 0x3
	buffer_load_dword v85, off, s[0:3], 0 offset:408
	buffer_load_dword v86, off, s[0:3], 0 offset:412
	;; [unrolled: 1-line block ×4, first 2 shown]
	s_waitcnt vmcnt(56)
	v_fma_f64 v[93:94], v[73:74], v[99:100], -v[93:94]
	ds_read_b128 v[81:84], v1 offset:720
	v_fma_f64 v[99:100], v[75:76], v[99:100], v[156:157]
	s_waitcnt vmcnt(52)
	v_fma_f64 v[97:98], v[77:78], v[104:105], -v[97:98]
	v_add_f64 v[89:90], v[142:143], v[89:90]
	v_add_f64 v[2:3], v[2:3], v[95:96]
	s_clause 0x3
	buffer_load_dword v96, off, s[0:3], 0 offset:428
	buffer_load_dword v95, off, s[0:3], 0 offset:424
	;; [unrolled: 1-line block ×4, first 2 shown]
	s_waitcnt lgkmcnt(0)
	v_mul_f64 v[156:157], v[81:82], v[102:103]
	v_mul_f64 v[102:103], v[83:84], v[102:103]
	ds_read_b128 v[73:76], v1 offset:736
	v_add_f64 v[89:90], v[89:90], v[93:94]
	v_fma_f64 v[93:94], v[79:80], v[104:105], v[152:153]
	v_add_f64 v[2:3], v[2:3], v[99:100]
	s_clause 0x3
	buffer_load_dword v99, off, s[0:3], 0 offset:440
	buffer_load_dword v100, off, s[0:3], 0 offset:444
	buffer_load_dword v105, off, s[0:3], 0 offset:420
	buffer_load_dword v104, off, s[0:3], 0 offset:416
	s_waitcnt vmcnt(58) lgkmcnt(0)
	v_mul_f64 v[152:153], v[73:74], v[106:107]
	v_mul_f64 v[106:107], v[75:76], v[106:107]
	s_waitcnt vmcnt(56)
	v_fma_f64 v[102:103], v[81:82], v[108:109], -v[102:103]
	ds_read_b128 v[77:80], v1 offset:752
	v_add_f64 v[89:90], v[89:90], v[97:98]
	v_fma_f64 v[97:98], v[83:84], v[108:109], v[156:157]
	v_add_f64 v[2:3], v[2:3], v[93:94]
	s_clause 0x3
	buffer_load_dword v94, off, s[0:3], 0 offset:460
	buffer_load_dword v93, off, s[0:3], 0 offset:456
	buffer_load_dword v108, off, s[0:3], 0 offset:432
	buffer_load_dword v109, off, s[0:3], 0 offset:436
	ds_read_b128 v[81:84], v1 offset:768
	s_waitcnt vmcnt(58) lgkmcnt(1)
	v_mul_f64 v[156:157], v[77:78], v[110:111]
	v_mul_f64 v[110:111], v[79:80], v[110:111]
	s_waitcnt vmcnt(56)
	v_fma_f64 v[106:107], v[73:74], v[112:113], -v[106:107]
	v_add_f64 v[89:90], v[89:90], v[102:103]
	v_fma_f64 v[102:103], v[75:76], v[112:113], v[152:153]
	v_add_f64 v[2:3], v[2:3], v[97:98]
	s_clause 0x3
	buffer_load_dword v97, off, s[0:3], 0 offset:472
	buffer_load_dword v98, off, s[0:3], 0 offset:476
	buffer_load_dword v113, off, s[0:3], 0 offset:452
	buffer_load_dword v112, off, s[0:3], 0 offset:448
	s_waitcnt vmcnt(58) lgkmcnt(0)
	v_mul_f64 v[152:153], v[81:82], v[114:115]
	v_mul_f64 v[114:115], v[83:84], v[114:115]
	s_waitcnt vmcnt(56)
	v_fma_f64 v[110:111], v[77:78], v[116:117], -v[110:111]
	ds_read_b128 v[73:76], v1 offset:784
	v_add_f64 v[89:90], v[89:90], v[106:107]
	v_fma_f64 v[106:107], v[79:80], v[116:117], v[156:157]
	v_add_f64 v[2:3], v[2:3], v[102:103]
	s_clause 0x3
	buffer_load_dword v103, off, s[0:3], 0 offset:492
	buffer_load_dword v102, off, s[0:3], 0 offset:488
	buffer_load_dword v116, off, s[0:3], 0 offset:464
	buffer_load_dword v117, off, s[0:3], 0 offset:468
	ds_read_b128 v[77:80], v1 offset:800
	s_waitcnt vmcnt(58) lgkmcnt(1)
	v_mul_f64 v[156:157], v[73:74], v[118:119]
	v_mul_f64 v[118:119], v[75:76], v[118:119]
	s_waitcnt vmcnt(56)
	v_fma_f64 v[114:115], v[81:82], v[120:121], -v[114:115]
	;; [unrolled: 28-line block ×4, first 2 shown]
	v_add_f64 v[89:90], v[89:90], v[126:127]
	v_fma_f64 v[126:127], v[75:76], v[136:137], v[152:153]
	v_add_f64 v[2:3], v[2:3], v[122:123]
	s_clause 0x1
	buffer_load_dword v123, off, s[0:3], 0 offset:548
	buffer_load_dword v122, off, s[0:3], 0 offset:544
	s_waitcnt vmcnt(56) lgkmcnt(0)
	v_mul_f64 v[136:137], v[81:82], v[138:139]
	v_mul_f64 v[138:139], v[83:84], v[138:139]
	s_waitcnt vmcnt(54)
	v_fma_f64 v[134:135], v[77:78], v[140:141], -v[134:135]
	ds_read_b128 v[73:76], v1 offset:880
	v_add_f64 v[89:90], v[89:90], v[130:131]
	v_fma_f64 v[130:131], v[79:80], v[140:141], v[156:157]
	v_add_f64 v[2:3], v[2:3], v[126:127]
	ds_read_b128 v[77:80], v1 offset:896
	s_waitcnt vmcnt(52) lgkmcnt(1)
	v_mul_f64 v[140:141], v[75:76], v[144:145]
	s_waitcnt vmcnt(50)
	v_fma_f64 v[138:139], v[81:82], v[146:147], -v[138:139]
	v_mul_f64 v[126:127], v[73:74], v[144:145]
	v_add_f64 v[89:90], v[89:90], v[134:135]
	v_fma_f64 v[134:135], v[83:84], v[146:147], v[136:137]
	v_add_f64 v[2:3], v[2:3], v[130:131]
	s_clause 0x3
	buffer_load_dword v130, off, s[0:3], 0 offset:96
	buffer_load_dword v131, off, s[0:3], 0 offset:100
	;; [unrolled: 1-line block ×4, first 2 shown]
	ds_read_b128 v[81:84], v1 offset:912
	s_waitcnt vmcnt(52) lgkmcnt(1)
	v_mul_f64 v[144:145], v[77:78], v[87:88]
	v_mul_f64 v[87:88], v[79:80], v[87:88]
	s_waitcnt vmcnt(50)
	v_fma_f64 v[140:141], v[73:74], v[150:151], -v[140:141]
	v_fma_f64 v[126:127], v[75:76], v[150:151], v[126:127]
	ds_read_b128 v[73:76], v1 offset:928
	v_add_f64 v[89:90], v[89:90], v[138:139]
	v_add_f64 v[2:3], v[2:3], v[134:135]
	s_waitcnt vmcnt(48) lgkmcnt(1)
	v_mul_f64 v[134:135], v[81:82], v[91:92]
	v_mul_f64 v[91:92], v[83:84], v[91:92]
	s_waitcnt vmcnt(46)
	v_fma_f64 v[138:139], v[79:80], v[154:155], v[144:145]
	v_fma_f64 v[87:88], v[77:78], v[154:155], -v[87:88]
	ds_read_b128 v[77:80], v1 offset:944
	v_add_f64 v[89:90], v[89:90], v[140:141]
	v_add_f64 v[2:3], v[2:3], v[126:127]
	s_waitcnt vmcnt(44) lgkmcnt(1)
	v_mul_f64 v[126:127], v[73:74], v[85:86]
	v_mul_f64 v[85:86], v[75:76], v[85:86]
	s_waitcnt vmcnt(42)
	v_fma_f64 v[91:92], v[81:82], v[148:149], -v[91:92]
	v_add_f64 v[87:88], v[89:90], v[87:88]
	v_fma_f64 v[89:90], v[83:84], v[148:149], v[134:135]
	v_add_f64 v[2:3], v[2:3], v[138:139]
	ds_read_b128 v[81:84], v1 offset:960
	s_waitcnt vmcnt(40) lgkmcnt(1)
	v_mul_f64 v[134:135], v[77:78], v[95:96]
	v_mul_f64 v[95:96], v[79:80], v[95:96]
	s_waitcnt vmcnt(38)
	v_fma_f64 v[85:86], v[73:74], v[142:143], -v[85:86]
	v_add_f64 v[87:88], v[87:88], v[91:92]
	v_fma_f64 v[91:92], v[75:76], v[142:143], v[126:127]
	v_add_f64 v[2:3], v[2:3], v[89:90]
	ds_read_b128 v[73:76], v1 offset:976
	;; [unrolled: 9-line block ×3, first 2 shown]
	s_waitcnt vmcnt(32) lgkmcnt(1)
	v_mul_f64 v[91:92], v[73:74], v[93:94]
	v_mul_f64 v[93:94], v[75:76], v[93:94]
	s_waitcnt vmcnt(30)
	v_fma_f64 v[99:100], v[81:82], v[108:109], -v[99:100]
	v_fma_f64 v[89:90], v[83:84], v[108:109], v[89:90]
	ds_read_b128 v[81:84], v1 offset:1008
	v_add_f64 v[85:86], v[85:86], v[95:96]
	v_add_f64 v[2:3], v[2:3], v[87:88]
	s_waitcnt vmcnt(28) lgkmcnt(1)
	v_mul_f64 v[95:96], v[79:80], v[97:98]
	v_mul_f64 v[87:88], v[77:78], v[97:98]
	s_waitcnt vmcnt(26)
	v_fma_f64 v[93:94], v[73:74], v[112:113], -v[93:94]
	v_fma_f64 v[91:92], v[75:76], v[112:113], v[91:92]
	ds_read_b128 v[73:76], v1 offset:1024
	v_add_f64 v[85:86], v[85:86], v[99:100]
	v_add_f64 v[2:3], v[2:3], v[89:90]
	;; [unrolled: 9-line block ×4, first 2 shown]
	s_waitcnt vmcnt(16) lgkmcnt(1)
	v_mul_f64 v[95:96], v[79:80], v[110:111]
	v_mul_f64 v[87:88], v[77:78], v[110:111]
	s_waitcnt vmcnt(14)
	v_fma_f64 v[73:74], v[73:74], v[124:125], -v[93:94]
	v_fma_f64 v[75:76], v[75:76], v[124:125], v[91:92]
	v_add_f64 v[85:86], v[85:86], v[97:98]
	v_add_f64 v[89:90], v[2:3], v[89:90]
	ds_read_b128 v[1:4], v1 offset:1072
	s_waitcnt vmcnt(12) lgkmcnt(1)
	v_mul_f64 v[93:94], v[83:84], v[114:115]
	v_mul_f64 v[91:92], v[81:82], v[114:115]
	s_waitcnt vmcnt(10)
	v_fma_f64 v[77:78], v[77:78], v[128:129], -v[95:96]
	v_fma_f64 v[79:80], v[79:80], v[128:129], v[87:88]
	v_add_f64 v[73:74], v[85:86], v[73:74]
	v_add_f64 v[75:76], v[89:90], v[75:76]
	s_waitcnt vmcnt(8) lgkmcnt(0)
	v_mul_f64 v[87:88], v[3:4], v[118:119]
	v_mul_f64 v[85:86], v[1:2], v[118:119]
	s_waitcnt vmcnt(6)
	v_fma_f64 v[81:82], v[81:82], v[132:133], -v[93:94]
	v_add_f64 v[73:74], v[73:74], v[77:78]
	v_fma_f64 v[77:78], v[83:84], v[132:133], v[91:92]
	v_add_f64 v[75:76], v[75:76], v[79:80]
	s_waitcnt vmcnt(4)
	v_fma_f64 v[1:2], v[1:2], v[122:123], -v[87:88]
	v_fma_f64 v[3:4], v[3:4], v[122:123], v[85:86]
	v_add_f64 v[73:74], v[73:74], v[81:82]
	v_add_f64 v[75:76], v[75:76], v[77:78]
	;; [unrolled: 1-line block ×4, first 2 shown]
	s_waitcnt vmcnt(2)
	v_add_f64 v[1:2], v[130:131], -v[1:2]
	s_waitcnt vmcnt(0)
	v_add_f64 v[3:4], v[136:137], -v[3:4]
	buffer_store_dword v2, off, s[0:3], 0 offset:100
	buffer_store_dword v1, off, s[0:3], 0 offset:96
	;; [unrolled: 1-line block ×4, first 2 shown]
	v_cmpx_lt_u32_e32 4, v0
	s_cbranch_execz .LBB33_209
; %bb.208:
	v_mov_b32_e32 v4, s42
	v_mov_b32_e32 v73, 0
	s_clause 0x3
	buffer_load_dword v1, v4, s[0:3], 0 offen
	buffer_load_dword v2, v4, s[0:3], 0 offen offset:4
	buffer_load_dword v3, v4, s[0:3], 0 offen offset:8
	;; [unrolled: 1-line block ×3, first 2 shown]
	buffer_store_dword v73, off, s[0:3], 0 offset:80
	buffer_store_dword v73, off, s[0:3], 0 offset:84
	;; [unrolled: 1-line block ×4, first 2 shown]
	s_waitcnt vmcnt(0)
	ds_write_b128 v101, v[1:4]
.LBB33_209:
	s_or_b32 exec_lo, exec_lo, s4
	s_waitcnt lgkmcnt(0)
	s_waitcnt_vscnt null, 0x0
	s_barrier
	buffer_gl0_inv
	s_clause 0x35
	buffer_load_dword v77, off, s[0:3], 0 offset:104
	buffer_load_dword v78, off, s[0:3], 0 offset:108
	;; [unrolled: 1-line block ×54, first 2 shown]
	v_mov_b32_e32 v81, 0
	s_mov_b32 s4, exec_lo
	ds_read_b128 v[82:85], v81 offset:624
	s_clause 0x3
	buffer_load_dword v136, off, s[0:3], 0 offset:328
	buffer_load_dword v137, off, s[0:3], 0 offset:332
	buffer_load_dword v139, off, s[0:3], 0 offset:308
	buffer_load_dword v138, off, s[0:3], 0 offset:304
	ds_read_b128 v[86:89], v81 offset:640
	s_clause 0x3
	buffer_load_dword v145, off, s[0:3], 0 offset:348
	buffer_load_dword v144, off, s[0:3], 0 offset:344
	;; [unrolled: 1-line block ×4, first 2 shown]
	s_waitcnt vmcnt(60) lgkmcnt(1)
	v_mul_f64 v[140:141], v[84:85], v[77:78]
	v_mul_f64 v[142:143], v[82:83], v[77:78]
	s_waitcnt vmcnt(58) lgkmcnt(0)
	v_mul_f64 v[148:149], v[88:89], v[73:74]
	ds_read_b128 v[77:80], v81 offset:656
	s_waitcnt vmcnt(56)
	v_fma_f64 v[82:83], v[82:83], v[75:76], -v[140:141]
	v_mul_f64 v[140:141], v[86:87], v[73:74]
	v_fma_f64 v[84:85], v[84:85], v[75:76], v[142:143]
	s_clause 0x3
	buffer_load_dword v142, off, s[0:3], 0 offset:360
	buffer_load_dword v143, off, s[0:3], 0 offset:364
	;; [unrolled: 1-line block ×4, first 2 shown]
	s_waitcnt vmcnt(58) lgkmcnt(0)
	v_mul_f64 v[154:155], v[79:80], v[3:4]
	s_waitcnt vmcnt(56)
	v_fma_f64 v[86:87], v[86:87], v[1:2], -v[148:149]
	ds_read_b128 v[73:76], v81 offset:672
	v_mul_f64 v[152:153], v[77:78], v[3:4]
	v_add_f64 v[82:83], v[82:83], 0
	v_fma_f64 v[88:89], v[88:89], v[1:2], v[140:141]
	v_add_f64 v[84:85], v[84:85], 0
	s_clause 0x3
	buffer_load_dword v141, off, s[0:3], 0 offset:380
	buffer_load_dword v140, off, s[0:3], 0 offset:376
	;; [unrolled: 1-line block ×4, first 2 shown]
	s_waitcnt vmcnt(58) lgkmcnt(0)
	v_mul_f64 v[156:157], v[73:74], v[90:91]
	v_mul_f64 v[90:91], v[75:76], v[90:91]
	s_waitcnt vmcnt(56)
	v_fma_f64 v[154:155], v[77:78], v[92:93], -v[154:155]
	ds_read_b128 v[1:4], v81 offset:688
	v_add_f64 v[82:83], v[82:83], v[86:87]
	v_fma_f64 v[86:87], v[79:80], v[92:93], v[152:153]
	v_add_f64 v[84:85], v[84:85], v[88:89]
	s_clause 0x3
	buffer_load_dword v88, off, s[0:3], 0 offset:392
	buffer_load_dword v89, off, s[0:3], 0 offset:396
	;; [unrolled: 1-line block ×4, first 2 shown]
	ds_read_b128 v[77:80], v81 offset:704
	s_waitcnt vmcnt(58) lgkmcnt(1)
	v_mul_f64 v[152:153], v[1:2], v[94:95]
	v_mul_f64 v[94:95], v[3:4], v[94:95]
	s_waitcnt vmcnt(56)
	v_fma_f64 v[90:91], v[73:74], v[96:97], -v[90:91]
	v_fma_f64 v[96:97], v[75:76], v[96:97], v[156:157]
	v_add_f64 v[82:83], v[82:83], v[154:155]
	v_add_f64 v[84:85], v[84:85], v[86:87]
	s_clause 0x3
	buffer_load_dword v87, off, s[0:3], 0 offset:412
	buffer_load_dword v86, off, s[0:3], 0 offset:408
	buffer_load_dword v154, off, s[0:3], 0 offset:384
	buffer_load_dword v155, off, s[0:3], 0 offset:388
	s_waitcnt vmcnt(58) lgkmcnt(0)
	v_mul_f64 v[156:157], v[77:78], v[98:99]
	v_mul_f64 v[98:99], v[79:80], v[98:99]
	s_waitcnt vmcnt(56)
	v_fma_f64 v[94:95], v[1:2], v[102:103], -v[94:95]
	ds_read_b128 v[73:76], v81 offset:720
	v_add_f64 v[82:83], v[82:83], v[90:91]
	v_fma_f64 v[90:91], v[3:4], v[102:103], v[152:153]
	v_add_f64 v[84:85], v[84:85], v[96:97]
	s_clause 0x3
	buffer_load_dword v96, off, s[0:3], 0 offset:424
	buffer_load_dword v97, off, s[0:3], 0 offset:428
	buffer_load_dword v103, off, s[0:3], 0 offset:404
	buffer_load_dword v102, off, s[0:3], 0 offset:400
	ds_read_b128 v[1:4], v81 offset:736
	s_waitcnt vmcnt(58) lgkmcnt(1)
	v_mul_f64 v[152:153], v[73:74], v[104:105]
	v_mul_f64 v[104:105], v[75:76], v[104:105]
	s_waitcnt vmcnt(56)
	v_fma_f64 v[98:99], v[77:78], v[106:107], -v[98:99]
	v_add_f64 v[82:83], v[82:83], v[94:95]
	v_fma_f64 v[94:95], v[79:80], v[106:107], v[156:157]
	v_add_f64 v[84:85], v[84:85], v[90:91]
	s_clause 0x3
	buffer_load_dword v91, off, s[0:3], 0 offset:444
	buffer_load_dword v90, off, s[0:3], 0 offset:440
	buffer_load_dword v106, off, s[0:3], 0 offset:416
	buffer_load_dword v107, off, s[0:3], 0 offset:420
	s_waitcnt vmcnt(58) lgkmcnt(0)
	v_mul_f64 v[156:157], v[1:2], v[108:109]
	v_mul_f64 v[108:109], v[3:4], v[108:109]
	s_waitcnt vmcnt(56)
	v_fma_f64 v[104:105], v[73:74], v[110:111], -v[104:105]
	ds_read_b128 v[77:80], v81 offset:752
	v_add_f64 v[82:83], v[82:83], v[98:99]
	v_fma_f64 v[98:99], v[75:76], v[110:111], v[152:153]
	v_add_f64 v[84:85], v[84:85], v[94:95]
	s_clause 0x3
	buffer_load_dword v94, off, s[0:3], 0 offset:456
	buffer_load_dword v95, off, s[0:3], 0 offset:460
	buffer_load_dword v111, off, s[0:3], 0 offset:436
	buffer_load_dword v110, off, s[0:3], 0 offset:432
	ds_read_b128 v[73:76], v81 offset:768
	s_waitcnt vmcnt(58) lgkmcnt(1)
	v_mul_f64 v[152:153], v[77:78], v[112:113]
	v_mul_f64 v[112:113], v[79:80], v[112:113]
	s_waitcnt vmcnt(56)
	v_fma_f64 v[108:109], v[1:2], v[114:115], -v[108:109]
	v_add_f64 v[82:83], v[82:83], v[104:105]
	v_fma_f64 v[104:105], v[3:4], v[114:115], v[156:157]
	;; [unrolled: 28-line block ×5, first 2 shown]
	v_add_f64 v[84:85], v[84:85], v[124:125]
	s_clause 0x1
	buffer_load_dword v124, off, s[0:3], 0 offset:544
	buffer_load_dword v125, off, s[0:3], 0 offset:548
	s_waitcnt vmcnt(56) lgkmcnt(0)
	v_mul_f64 v[138:139], v[73:74], v[144:145]
	v_mul_f64 v[144:145], v[75:76], v[144:145]
	s_waitcnt vmcnt(54)
	v_fma_f64 v[136:137], v[77:78], v[146:147], -v[136:137]
	ds_read_b128 v[1:4], v81 offset:880
	v_add_f64 v[82:83], v[82:83], v[132:133]
	v_fma_f64 v[132:133], v[79:80], v[146:147], v[152:153]
	v_add_f64 v[84:85], v[84:85], v[128:129]
	ds_read_b128 v[77:80], v81 offset:896
	s_waitcnt vmcnt(52) lgkmcnt(1)
	v_mul_f64 v[128:129], v[1:2], v[142:143]
	v_mul_f64 v[142:143], v[3:4], v[142:143]
	s_waitcnt vmcnt(50)
	v_fma_f64 v[144:145], v[73:74], v[150:151], -v[144:145]
	v_add_f64 v[82:83], v[82:83], v[136:137]
	v_fma_f64 v[136:137], v[75:76], v[150:151], v[138:139]
	v_add_f64 v[84:85], v[84:85], v[132:133]
	s_clause 0x3
	buffer_load_dword v132, off, s[0:3], 0 offset:80
	buffer_load_dword v133, off, s[0:3], 0 offset:84
	;; [unrolled: 1-line block ×4, first 2 shown]
	ds_read_b128 v[73:76], v81 offset:912
	s_waitcnt vmcnt(52) lgkmcnt(1)
	v_mul_f64 v[146:147], v[77:78], v[140:141]
	v_mul_f64 v[140:141], v[79:80], v[140:141]
	s_waitcnt vmcnt(50)
	v_fma_f64 v[142:143], v[1:2], v[148:149], -v[142:143]
	v_fma_f64 v[128:129], v[3:4], v[148:149], v[128:129]
	ds_read_b128 v[1:4], v81 offset:928
	v_add_f64 v[82:83], v[82:83], v[144:145]
	v_add_f64 v[84:85], v[84:85], v[136:137]
	s_waitcnt vmcnt(48) lgkmcnt(1)
	v_mul_f64 v[136:137], v[73:74], v[88:89]
	v_mul_f64 v[88:89], v[75:76], v[88:89]
	s_waitcnt vmcnt(46)
	v_fma_f64 v[140:141], v[77:78], v[92:93], -v[140:141]
	v_fma_f64 v[92:93], v[79:80], v[92:93], v[146:147]
	ds_read_b128 v[77:80], v81 offset:944
	v_add_f64 v[82:83], v[82:83], v[142:143]
	v_add_f64 v[84:85], v[84:85], v[128:129]
	;; [unrolled: 9-line block ×3, first 2 shown]
	s_waitcnt vmcnt(40) lgkmcnt(1)
	v_mul_f64 v[92:93], v[77:78], v[96:97]
	v_mul_f64 v[96:97], v[79:80], v[96:97]
	s_waitcnt vmcnt(38)
	v_fma_f64 v[86:87], v[1:2], v[102:103], -v[86:87]
	v_add_f64 v[82:83], v[82:83], v[88:89]
	v_fma_f64 v[88:89], v[3:4], v[102:103], v[128:129]
	v_add_f64 v[84:85], v[84:85], v[136:137]
	ds_read_b128 v[1:4], v81 offset:976
	s_waitcnt vmcnt(36) lgkmcnt(1)
	v_mul_f64 v[102:103], v[73:74], v[90:91]
	v_mul_f64 v[90:91], v[75:76], v[90:91]
	s_waitcnt vmcnt(34)
	v_fma_f64 v[96:97], v[77:78], v[106:107], -v[96:97]
	v_add_f64 v[82:83], v[82:83], v[86:87]
	v_fma_f64 v[86:87], v[79:80], v[106:107], v[92:93]
	v_add_f64 v[84:85], v[84:85], v[88:89]
	ds_read_b128 v[77:80], v81 offset:992
	s_waitcnt vmcnt(32) lgkmcnt(1)
	v_mul_f64 v[92:93], v[3:4], v[94:95]
	v_mul_f64 v[88:89], v[1:2], v[94:95]
	s_waitcnt vmcnt(30)
	v_fma_f64 v[90:91], v[73:74], v[110:111], -v[90:91]
	v_fma_f64 v[94:95], v[75:76], v[110:111], v[102:103]
	ds_read_b128 v[73:76], v81 offset:1008
	v_add_f64 v[82:83], v[82:83], v[96:97]
	v_add_f64 v[84:85], v[84:85], v[86:87]
	s_waitcnt vmcnt(28) lgkmcnt(1)
	v_mul_f64 v[96:97], v[79:80], v[98:99]
	v_mul_f64 v[86:87], v[77:78], v[98:99]
	s_waitcnt vmcnt(26)
	v_fma_f64 v[92:93], v[1:2], v[114:115], -v[92:93]
	v_fma_f64 v[88:89], v[3:4], v[114:115], v[88:89]
	ds_read_b128 v[1:4], v81 offset:1024
	v_add_f64 v[82:83], v[82:83], v[90:91]
	v_add_f64 v[84:85], v[84:85], v[94:95]
	;; [unrolled: 9-line block ×5, first 2 shown]
	s_waitcnt vmcnt(12) lgkmcnt(1)
	v_mul_f64 v[94:95], v[75:76], v[116:117]
	v_mul_f64 v[90:91], v[73:74], v[116:117]
	s_waitcnt vmcnt(10)
	v_fma_f64 v[77:78], v[77:78], v[130:131], -v[96:97]
	v_fma_f64 v[79:80], v[79:80], v[130:131], v[86:87]
	v_add_f64 v[82:83], v[82:83], v[92:93]
	v_add_f64 v[84:85], v[84:85], v[88:89]
	s_waitcnt vmcnt(8) lgkmcnt(0)
	v_mul_f64 v[88:89], v[3:4], v[120:121]
	v_mul_f64 v[86:87], v[1:2], v[120:121]
	s_waitcnt vmcnt(6)
	v_fma_f64 v[73:74], v[73:74], v[134:135], -v[94:95]
	v_fma_f64 v[75:76], v[75:76], v[134:135], v[90:91]
	v_add_f64 v[77:78], v[82:83], v[77:78]
	v_add_f64 v[79:80], v[84:85], v[79:80]
	s_waitcnt vmcnt(4)
	v_fma_f64 v[1:2], v[1:2], v[124:125], -v[88:89]
	v_fma_f64 v[3:4], v[3:4], v[124:125], v[86:87]
	v_add_f64 v[73:74], v[77:78], v[73:74]
	v_add_f64 v[75:76], v[79:80], v[75:76]
	;; [unrolled: 1-line block ×4, first 2 shown]
	s_waitcnt vmcnt(2)
	v_add_f64 v[1:2], v[132:133], -v[1:2]
	s_waitcnt vmcnt(0)
	v_add_f64 v[3:4], v[138:139], -v[3:4]
	buffer_store_dword v2, off, s[0:3], 0 offset:84
	buffer_store_dword v1, off, s[0:3], 0 offset:80
	;; [unrolled: 1-line block ×4, first 2 shown]
	v_cmpx_lt_u32_e32 3, v0
	s_cbranch_execz .LBB33_211
; %bb.210:
	v_mov_b32_e32 v4, s44
	s_clause 0x3
	buffer_load_dword v1, v4, s[0:3], 0 offen
	buffer_load_dword v2, v4, s[0:3], 0 offen offset:4
	buffer_load_dword v3, v4, s[0:3], 0 offen offset:8
	;; [unrolled: 1-line block ×3, first 2 shown]
	buffer_store_dword v81, off, s[0:3], 0 offset:64
	buffer_store_dword v81, off, s[0:3], 0 offset:68
	;; [unrolled: 1-line block ×4, first 2 shown]
	s_waitcnt vmcnt(0)
	ds_write_b128 v101, v[1:4]
.LBB33_211:
	s_or_b32 exec_lo, exec_lo, s4
	s_waitcnt lgkmcnt(0)
	s_waitcnt_vscnt null, 0x0
	s_barrier
	buffer_gl0_inv
	s_clause 0x35
	buffer_load_dword v77, off, s[0:3], 0 offset:88
	buffer_load_dword v78, off, s[0:3], 0 offset:92
	;; [unrolled: 1-line block ×54, first 2 shown]
	ds_read_b128 v[82:85], v81 offset:608
	s_clause 0x3
	buffer_load_dword v138, off, s[0:3], 0 offset:312
	buffer_load_dword v139, off, s[0:3], 0 offset:316
	;; [unrolled: 1-line block ×4, first 2 shown]
	ds_read_b128 v[86:89], v81 offset:624
	s_clause 0x3
	buffer_load_dword v145, off, s[0:3], 0 offset:332
	buffer_load_dword v144, off, s[0:3], 0 offset:328
	;; [unrolled: 1-line block ×4, first 2 shown]
	ds_read_b128 v[90:93], v81 offset:640
	s_mov_b32 s4, exec_lo
	s_waitcnt vmcnt(60) lgkmcnt(2)
	v_mul_f64 v[142:143], v[84:85], v[77:78]
	v_mul_f64 v[77:78], v[82:83], v[77:78]
	s_waitcnt vmcnt(58) lgkmcnt(1)
	v_mul_f64 v[148:149], v[88:89], v[73:74]
	s_waitcnt vmcnt(54) lgkmcnt(0)
	v_mul_f64 v[154:155], v[92:93], v[3:4]
	v_mul_f64 v[152:153], v[90:91], v[3:4]
	v_fma_f64 v[82:83], v[82:83], v[75:76], -v[142:143]
	v_mul_f64 v[142:143], v[86:87], v[73:74]
	v_fma_f64 v[77:78], v[84:85], v[75:76], v[77:78]
	s_clause 0x3
	buffer_load_dword v84, off, s[0:3], 0 offset:344
	buffer_load_dword v85, off, s[0:3], 0 offset:348
	;; [unrolled: 1-line block ×4, first 2 shown]
	s_waitcnt vmcnt(56)
	v_fma_f64 v[86:87], v[86:87], v[1:2], -v[148:149]
	ds_read_b128 v[73:76], v81 offset:656
	s_waitcnt vmcnt(52)
	v_fma_f64 v[90:91], v[90:91], v[94:95], -v[154:155]
	v_add_f64 v[82:83], v[82:83], 0
	v_fma_f64 v[88:89], v[88:89], v[1:2], v[142:143]
	v_add_f64 v[77:78], v[77:78], 0
	s_clause 0x3
	buffer_load_dword v143, off, s[0:3], 0 offset:364
	buffer_load_dword v142, off, s[0:3], 0 offset:360
	;; [unrolled: 1-line block ×4, first 2 shown]
	s_waitcnt lgkmcnt(0)
	v_mul_f64 v[158:159], v[75:76], v[79:80]
	ds_read_b128 v[1:4], v81 offset:672
	v_mul_f64 v[156:157], v[73:74], v[79:80]
	v_add_f64 v[82:83], v[82:83], v[86:87]
	v_fma_f64 v[86:87], v[92:93], v[94:95], v[152:153]
	v_add_f64 v[88:89], v[77:78], v[88:89]
	s_clause 0x3
	buffer_load_dword v92, off, s[0:3], 0 offset:376
	buffer_load_dword v93, off, s[0:3], 0 offset:380
	;; [unrolled: 1-line block ×4, first 2 shown]
	s_waitcnt vmcnt(58) lgkmcnt(0)
	v_mul_f64 v[152:153], v[1:2], v[96:97]
	v_mul_f64 v[96:97], v[3:4], v[96:97]
	s_waitcnt vmcnt(56)
	v_fma_f64 v[154:155], v[73:74], v[98:99], -v[158:159]
	ds_read_b128 v[77:80], v81 offset:688
	v_add_f64 v[82:83], v[82:83], v[90:91]
	v_fma_f64 v[90:91], v[75:76], v[98:99], v[156:157]
	v_add_f64 v[86:87], v[88:89], v[86:87]
	s_clause 0x3
	buffer_load_dword v89, off, s[0:3], 0 offset:396
	buffer_load_dword v88, off, s[0:3], 0 offset:392
	;; [unrolled: 1-line block ×4, first 2 shown]
	ds_read_b128 v[73:76], v81 offset:704
	s_waitcnt vmcnt(58) lgkmcnt(1)
	v_mul_f64 v[156:157], v[77:78], v[102:103]
	v_mul_f64 v[102:103], v[79:80], v[102:103]
	s_waitcnt vmcnt(56)
	v_fma_f64 v[96:97], v[1:2], v[104:105], -v[96:97]
	v_fma_f64 v[104:105], v[3:4], v[104:105], v[152:153]
	v_add_f64 v[82:83], v[82:83], v[154:155]
	v_add_f64 v[86:87], v[86:87], v[90:91]
	s_clause 0x3
	buffer_load_dword v90, off, s[0:3], 0 offset:408
	buffer_load_dword v91, off, s[0:3], 0 offset:412
	buffer_load_dword v153, off, s[0:3], 0 offset:388
	buffer_load_dword v152, off, s[0:3], 0 offset:384
	s_waitcnt vmcnt(58) lgkmcnt(0)
	v_mul_f64 v[154:155], v[73:74], v[106:107]
	v_mul_f64 v[106:107], v[75:76], v[106:107]
	s_waitcnt vmcnt(56)
	v_fma_f64 v[102:103], v[77:78], v[108:109], -v[102:103]
	ds_read_b128 v[1:4], v81 offset:720
	v_add_f64 v[82:83], v[82:83], v[96:97]
	v_fma_f64 v[96:97], v[79:80], v[108:109], v[156:157]
	v_add_f64 v[86:87], v[86:87], v[104:105]
	s_clause 0x3
	buffer_load_dword v105, off, s[0:3], 0 offset:428
	buffer_load_dword v104, off, s[0:3], 0 offset:424
	buffer_load_dword v108, off, s[0:3], 0 offset:400
	buffer_load_dword v109, off, s[0:3], 0 offset:404
	ds_read_b128 v[77:80], v81 offset:736
	s_waitcnt vmcnt(58) lgkmcnt(1)
	v_mul_f64 v[156:157], v[1:2], v[110:111]
	v_mul_f64 v[110:111], v[3:4], v[110:111]
	s_waitcnt vmcnt(56)
	v_fma_f64 v[106:107], v[73:74], v[112:113], -v[106:107]
	v_add_f64 v[82:83], v[82:83], v[102:103]
	v_fma_f64 v[102:103], v[75:76], v[112:113], v[154:155]
	v_add_f64 v[86:87], v[86:87], v[96:97]
	s_clause 0x3
	buffer_load_dword v96, off, s[0:3], 0 offset:440
	buffer_load_dword v97, off, s[0:3], 0 offset:444
	buffer_load_dword v113, off, s[0:3], 0 offset:420
	buffer_load_dword v112, off, s[0:3], 0 offset:416
	s_waitcnt vmcnt(58) lgkmcnt(0)
	v_mul_f64 v[154:155], v[77:78], v[114:115]
	v_mul_f64 v[114:115], v[79:80], v[114:115]
	s_waitcnt vmcnt(56)
	v_fma_f64 v[110:111], v[1:2], v[116:117], -v[110:111]
	ds_read_b128 v[73:76], v81 offset:752
	v_add_f64 v[82:83], v[82:83], v[106:107]
	v_fma_f64 v[106:107], v[3:4], v[116:117], v[156:157]
	v_add_f64 v[86:87], v[86:87], v[102:103]
	s_clause 0x3
	buffer_load_dword v103, off, s[0:3], 0 offset:460
	buffer_load_dword v102, off, s[0:3], 0 offset:456
	buffer_load_dword v116, off, s[0:3], 0 offset:432
	buffer_load_dword v117, off, s[0:3], 0 offset:436
	ds_read_b128 v[1:4], v81 offset:768
	s_waitcnt vmcnt(58) lgkmcnt(1)
	v_mul_f64 v[156:157], v[73:74], v[118:119]
	v_mul_f64 v[118:119], v[75:76], v[118:119]
	s_waitcnt vmcnt(56)
	v_fma_f64 v[114:115], v[77:78], v[120:121], -v[114:115]
	v_add_f64 v[82:83], v[82:83], v[110:111]
	v_fma_f64 v[110:111], v[79:80], v[120:121], v[154:155]
	;; [unrolled: 28-line block ×5, first 2 shown]
	v_add_f64 v[86:87], v[86:87], v[130:131]
	s_clause 0x1
	buffer_load_dword v131, off, s[0:3], 0 offset:548
	buffer_load_dword v130, off, s[0:3], 0 offset:544
	ds_read_b128 v[77:80], v81 offset:880
	s_waitcnt vmcnt(56) lgkmcnt(1)
	v_mul_f64 v[146:147], v[1:2], v[84:85]
	v_mul_f64 v[84:85], v[3:4], v[84:85]
	s_waitcnt vmcnt(54)
	v_fma_f64 v[144:145], v[73:74], v[150:151], -v[144:145]
	v_add_f64 v[82:83], v[82:83], v[138:139]
	v_fma_f64 v[138:139], v[75:76], v[150:151], v[156:157]
	v_add_f64 v[86:87], v[86:87], v[134:135]
	ds_read_b128 v[73:76], v81 offset:896
	s_waitcnt vmcnt(52) lgkmcnt(1)
	v_mul_f64 v[134:135], v[77:78], v[142:143]
	v_mul_f64 v[142:143], v[79:80], v[142:143]
	s_waitcnt vmcnt(50)
	v_fma_f64 v[84:85], v[1:2], v[148:149], -v[84:85]
	v_add_f64 v[82:83], v[82:83], v[144:145]
	v_fma_f64 v[144:145], v[3:4], v[148:149], v[146:147]
	v_add_f64 v[86:87], v[86:87], v[138:139]
	s_clause 0x3
	buffer_load_dword v138, off, s[0:3], 0 offset:64
	buffer_load_dword v139, off, s[0:3], 0 offset:68
	;; [unrolled: 1-line block ×4, first 2 shown]
	ds_read_b128 v[1:4], v81 offset:912
	s_waitcnt vmcnt(52) lgkmcnt(1)
	v_mul_f64 v[148:149], v[73:74], v[92:93]
	v_mul_f64 v[92:93], v[75:76], v[92:93]
	s_waitcnt vmcnt(50)
	v_fma_f64 v[142:143], v[77:78], v[94:95], -v[142:143]
	v_add_f64 v[82:83], v[82:83], v[84:85]
	v_fma_f64 v[84:85], v[79:80], v[94:95], v[134:135]
	v_add_f64 v[86:87], v[86:87], v[144:145]
	ds_read_b128 v[77:80], v81 offset:928
	s_waitcnt vmcnt(48) lgkmcnt(1)
	v_mul_f64 v[94:95], v[1:2], v[88:89]
	v_mul_f64 v[88:89], v[3:4], v[88:89]
	s_waitcnt vmcnt(46)
	v_fma_f64 v[92:93], v[73:74], v[98:99], -v[92:93]
	v_fma_f64 v[98:99], v[75:76], v[98:99], v[148:149]
	ds_read_b128 v[73:76], v81 offset:944
	v_add_f64 v[82:83], v[82:83], v[142:143]
	v_add_f64 v[84:85], v[86:87], v[84:85]
	s_waitcnt vmcnt(44) lgkmcnt(1)
	v_mul_f64 v[86:87], v[77:78], v[90:91]
	v_mul_f64 v[90:91], v[79:80], v[90:91]
	s_waitcnt vmcnt(42)
	v_fma_f64 v[88:89], v[1:2], v[152:153], -v[88:89]
	v_add_f64 v[82:83], v[82:83], v[92:93]
	v_fma_f64 v[92:93], v[3:4], v[152:153], v[94:95]
	v_add_f64 v[84:85], v[84:85], v[98:99]
	ds_read_b128 v[1:4], v81 offset:960
	s_waitcnt vmcnt(40) lgkmcnt(1)
	v_mul_f64 v[98:99], v[75:76], v[104:105]
	v_mul_f64 v[94:95], v[73:74], v[104:105]
	s_waitcnt vmcnt(38)
	v_fma_f64 v[90:91], v[77:78], v[108:109], -v[90:91]
	v_fma_f64 v[86:87], v[79:80], v[108:109], v[86:87]
	ds_read_b128 v[77:80], v81 offset:976
	v_add_f64 v[82:83], v[82:83], v[88:89]
	v_add_f64 v[84:85], v[84:85], v[92:93]
	;; [unrolled: 18-line block ×3, first 2 shown]
	s_waitcnt vmcnt(28) lgkmcnt(1)
	v_mul_f64 v[96:97], v[75:76], v[106:107]
	v_mul_f64 v[90:91], v[73:74], v[106:107]
	s_waitcnt vmcnt(26)
	v_fma_f64 v[94:95], v[77:78], v[120:121], -v[94:95]
	v_fma_f64 v[86:87], v[79:80], v[120:121], v[86:87]
	ds_read_b128 v[77:80], v81 offset:1024
	v_add_f64 v[82:83], v[82:83], v[92:93]
	v_add_f64 v[84:85], v[84:85], v[88:89]
	s_waitcnt vmcnt(24) lgkmcnt(1)
	v_mul_f64 v[92:93], v[3:4], v[110:111]
	v_mul_f64 v[88:89], v[1:2], v[110:111]
	s_waitcnt vmcnt(22)
	v_fma_f64 v[96:97], v[73:74], v[124:125], -v[96:97]
	v_fma_f64 v[90:91], v[75:76], v[124:125], v[90:91]
	ds_read_b128 v[73:76], v81 offset:1040
	v_add_f64 v[82:83], v[82:83], v[94:95]
	v_add_f64 v[84:85], v[84:85], v[86:87]
	;; [unrolled: 9-line block ×4, first 2 shown]
	s_waitcnt vmcnt(12) lgkmcnt(1)
	v_mul_f64 v[92:93], v[3:4], v[122:123]
	v_mul_f64 v[88:89], v[1:2], v[122:123]
	s_waitcnt vmcnt(10)
	v_fma_f64 v[73:74], v[73:74], v[136:137], -v[96:97]
	v_fma_f64 v[75:76], v[75:76], v[136:137], v[90:91]
	v_add_f64 v[81:82], v[82:83], v[94:95]
	v_add_f64 v[83:84], v[84:85], v[86:87]
	s_waitcnt vmcnt(8) lgkmcnt(0)
	v_mul_f64 v[90:91], v[79:80], v[126:127]
	v_mul_f64 v[85:86], v[77:78], v[126:127]
	s_waitcnt vmcnt(6)
	v_fma_f64 v[1:2], v[1:2], v[140:141], -v[92:93]
	v_fma_f64 v[3:4], v[3:4], v[140:141], v[88:89]
	v_add_f64 v[73:74], v[81:82], v[73:74]
	v_add_f64 v[75:76], v[83:84], v[75:76]
	s_waitcnt vmcnt(4)
	v_fma_f64 v[77:78], v[77:78], v[130:131], -v[90:91]
	v_add_f64 v[1:2], v[73:74], v[1:2]
	v_fma_f64 v[73:74], v[79:80], v[130:131], v[85:86]
	v_add_f64 v[3:4], v[75:76], v[3:4]
	v_add_f64 v[1:2], v[1:2], v[77:78]
	;; [unrolled: 1-line block ×3, first 2 shown]
	s_waitcnt vmcnt(2)
	v_add_f64 v[1:2], v[138:139], -v[1:2]
	s_waitcnt vmcnt(0)
	v_add_f64 v[3:4], v[146:147], -v[3:4]
	buffer_store_dword v2, off, s[0:3], 0 offset:68
	buffer_store_dword v1, off, s[0:3], 0 offset:64
	;; [unrolled: 1-line block ×4, first 2 shown]
	v_cmpx_lt_u32_e32 2, v0
	s_cbranch_execz .LBB33_213
; %bb.212:
	v_mov_b32_e32 v4, s45
	v_mov_b32_e32 v73, 0
	s_clause 0x3
	buffer_load_dword v1, v4, s[0:3], 0 offen
	buffer_load_dword v2, v4, s[0:3], 0 offen offset:4
	buffer_load_dword v3, v4, s[0:3], 0 offen offset:8
	;; [unrolled: 1-line block ×3, first 2 shown]
	buffer_store_dword v73, off, s[0:3], 0 offset:48
	buffer_store_dword v73, off, s[0:3], 0 offset:52
	;; [unrolled: 1-line block ×4, first 2 shown]
	s_waitcnt vmcnt(0)
	ds_write_b128 v101, v[1:4]
.LBB33_213:
	s_or_b32 exec_lo, exec_lo, s4
	s_waitcnt lgkmcnt(0)
	s_waitcnt_vscnt null, 0x0
	s_barrier
	buffer_gl0_inv
	s_clause 0x35
	buffer_load_dword v77, off, s[0:3], 0 offset:72
	buffer_load_dword v78, off, s[0:3], 0 offset:76
	;; [unrolled: 1-line block ×54, first 2 shown]
	v_mov_b32_e32 v102, 0
	s_mov_b32 s4, exec_lo
	ds_read_b128 v[89:92], v102 offset:592
	s_clause 0x3
	buffer_load_dword v137, off, s[0:3], 0 offset:296
	buffer_load_dword v138, off, s[0:3], 0 offset:300
	;; [unrolled: 1-line block ×4, first 2 shown]
	ds_read_b128 v[93:96], v102 offset:608
	s_clause 0x3
	buffer_load_dword v144, off, s[0:3], 0 offset:316
	buffer_load_dword v143, off, s[0:3], 0 offset:312
	;; [unrolled: 1-line block ×4, first 2 shown]
	ds_read_b128 v[97:100], v102 offset:624
	s_waitcnt vmcnt(60) lgkmcnt(2)
	v_mul_f64 v[141:142], v[91:92], v[77:78]
	v_mul_f64 v[77:78], v[89:90], v[77:78]
	s_waitcnt vmcnt(58) lgkmcnt(1)
	v_mul_f64 v[147:148], v[95:96], v[73:74]
	s_waitcnt vmcnt(54) lgkmcnt(0)
	v_mul_f64 v[153:154], v[99:100], v[3:4]
	v_mul_f64 v[151:152], v[97:98], v[3:4]
	v_fma_f64 v[89:90], v[89:90], v[75:76], -v[141:142]
	v_mul_f64 v[141:142], v[93:94], v[73:74]
	v_fma_f64 v[77:78], v[91:92], v[75:76], v[77:78]
	s_clause 0x3
	buffer_load_dword v91, off, s[0:3], 0 offset:328
	buffer_load_dword v92, off, s[0:3], 0 offset:332
	buffer_load_dword v150, off, s[0:3], 0 offset:308
	buffer_load_dword v149, off, s[0:3], 0 offset:304
	s_waitcnt vmcnt(56)
	v_fma_f64 v[93:94], v[93:94], v[1:2], -v[147:148]
	ds_read_b128 v[73:76], v102 offset:640
	s_waitcnt vmcnt(52)
	v_fma_f64 v[97:98], v[97:98], v[87:88], -v[153:154]
	v_fma_f64 v[87:88], v[99:100], v[87:88], v[151:152]
	v_add_f64 v[89:90], v[89:90], 0
	v_fma_f64 v[95:96], v[95:96], v[1:2], v[141:142]
	v_add_f64 v[77:78], v[77:78], 0
	s_clause 0x3
	buffer_load_dword v142, off, s[0:3], 0 offset:348
	buffer_load_dword v141, off, s[0:3], 0 offset:344
	;; [unrolled: 1-line block ×4, first 2 shown]
	s_waitcnt lgkmcnt(0)
	v_mul_f64 v[157:158], v[75:76], v[79:80]
	ds_read_b128 v[1:4], v102 offset:656
	v_mul_f64 v[155:156], v[73:74], v[79:80]
	v_add_f64 v[89:90], v[89:90], v[93:94]
	v_add_f64 v[93:94], v[77:78], v[95:96]
	s_clause 0x3
	buffer_load_dword v95, off, s[0:3], 0 offset:360
	buffer_load_dword v96, off, s[0:3], 0 offset:364
	buffer_load_dword v100, off, s[0:3], 0 offset:340
	buffer_load_dword v99, off, s[0:3], 0 offset:336
	s_waitcnt vmcnt(58) lgkmcnt(0)
	v_mul_f64 v[151:152], v[1:2], v[83:84]
	v_mul_f64 v[83:84], v[3:4], v[83:84]
	s_waitcnt vmcnt(56)
	v_fma_f64 v[153:154], v[73:74], v[81:82], -v[157:158]
	ds_read_b128 v[77:80], v102 offset:672
	v_fma_f64 v[81:82], v[75:76], v[81:82], v[155:156]
	v_add_f64 v[89:90], v[89:90], v[97:98]
	v_add_f64 v[87:88], v[93:94], v[87:88]
	s_clause 0x3
	buffer_load_dword v94, off, s[0:3], 0 offset:380
	buffer_load_dword v93, off, s[0:3], 0 offset:376
	buffer_load_dword v97, off, s[0:3], 0 offset:352
	buffer_load_dword v98, off, s[0:3], 0 offset:356
	ds_read_b128 v[73:76], v102 offset:688
	s_waitcnt vmcnt(58) lgkmcnt(1)
	v_mul_f64 v[155:156], v[77:78], v[85:86]
	v_mul_f64 v[85:86], v[79:80], v[85:86]
	s_waitcnt vmcnt(56)
	v_fma_f64 v[83:84], v[1:2], v[103:104], -v[83:84]
	v_fma_f64 v[103:104], v[3:4], v[103:104], v[151:152]
	v_add_f64 v[89:90], v[89:90], v[153:154]
	v_add_f64 v[81:82], v[87:88], v[81:82]
	s_clause 0x3
	buffer_load_dword v87, off, s[0:3], 0 offset:392
	buffer_load_dword v88, off, s[0:3], 0 offset:396
	buffer_load_dword v152, off, s[0:3], 0 offset:372
	buffer_load_dword v151, off, s[0:3], 0 offset:368
	s_waitcnt vmcnt(58) lgkmcnt(0)
	v_mul_f64 v[153:154], v[73:74], v[105:106]
	v_mul_f64 v[105:106], v[75:76], v[105:106]
	s_waitcnt vmcnt(56)
	v_fma_f64 v[85:86], v[77:78], v[107:108], -v[85:86]
	ds_read_b128 v[1:4], v102 offset:704
	v_add_f64 v[83:84], v[89:90], v[83:84]
	v_fma_f64 v[89:90], v[79:80], v[107:108], v[155:156]
	v_add_f64 v[81:82], v[81:82], v[103:104]
	s_clause 0x3
	buffer_load_dword v104, off, s[0:3], 0 offset:412
	buffer_load_dword v103, off, s[0:3], 0 offset:408
	buffer_load_dword v107, off, s[0:3], 0 offset:384
	buffer_load_dword v108, off, s[0:3], 0 offset:388
	ds_read_b128 v[77:80], v102 offset:720
	s_waitcnt vmcnt(58) lgkmcnt(1)
	v_mul_f64 v[155:156], v[1:2], v[109:110]
	v_mul_f64 v[109:110], v[3:4], v[109:110]
	s_waitcnt vmcnt(56)
	v_fma_f64 v[105:106], v[73:74], v[111:112], -v[105:106]
	v_add_f64 v[83:84], v[83:84], v[85:86]
	v_fma_f64 v[85:86], v[75:76], v[111:112], v[153:154]
	v_add_f64 v[81:82], v[81:82], v[89:90]
	s_clause 0x3
	buffer_load_dword v89, off, s[0:3], 0 offset:424
	buffer_load_dword v90, off, s[0:3], 0 offset:428
	buffer_load_dword v112, off, s[0:3], 0 offset:404
	buffer_load_dword v111, off, s[0:3], 0 offset:400
	s_waitcnt vmcnt(58) lgkmcnt(0)
	v_mul_f64 v[153:154], v[77:78], v[113:114]
	v_mul_f64 v[113:114], v[79:80], v[113:114]
	s_waitcnt vmcnt(56)
	v_fma_f64 v[109:110], v[1:2], v[115:116], -v[109:110]
	ds_read_b128 v[73:76], v102 offset:736
	v_add_f64 v[83:84], v[83:84], v[105:106]
	v_fma_f64 v[105:106], v[3:4], v[115:116], v[155:156]
	v_add_f64 v[81:82], v[81:82], v[85:86]
	s_clause 0x3
	buffer_load_dword v86, off, s[0:3], 0 offset:444
	buffer_load_dword v85, off, s[0:3], 0 offset:440
	buffer_load_dword v115, off, s[0:3], 0 offset:416
	buffer_load_dword v116, off, s[0:3], 0 offset:420
	ds_read_b128 v[1:4], v102 offset:752
	s_waitcnt vmcnt(58) lgkmcnt(1)
	v_mul_f64 v[155:156], v[73:74], v[117:118]
	v_mul_f64 v[117:118], v[75:76], v[117:118]
	s_waitcnt vmcnt(56)
	v_fma_f64 v[113:114], v[77:78], v[119:120], -v[113:114]
	v_add_f64 v[83:84], v[83:84], v[109:110]
	v_fma_f64 v[109:110], v[79:80], v[119:120], v[153:154]
	;; [unrolled: 28-line block ×5, first 2 shown]
	v_add_f64 v[81:82], v[81:82], v[129:130]
	s_clause 0x3
	buffer_load_dword v129, off, s[0:3], 0 offset:552
	buffer_load_dword v130, off, s[0:3], 0 offset:556
	;; [unrolled: 1-line block ×4, first 2 shown]
	ds_read_b128 v[77:80], v102 offset:864
	s_waitcnt vmcnt(58) lgkmcnt(1)
	v_mul_f64 v[153:154], v[1:2], v[91:92]
	v_mul_f64 v[91:92], v[3:4], v[91:92]
	s_waitcnt vmcnt(56)
	v_fma_f64 v[143:144], v[73:74], v[149:150], -v[143:144]
	v_add_f64 v[83:84], v[83:84], v[137:138]
	v_fma_f64 v[137:138], v[75:76], v[149:150], v[155:156]
	v_add_f64 v[81:82], v[81:82], v[133:134]
	s_clause 0x1
	buffer_load_dword v133, off, s[0:3], 0 offset:544
	buffer_load_dword v134, off, s[0:3], 0 offset:548
	ds_read_b128 v[73:76], v102 offset:880
	s_waitcnt vmcnt(56) lgkmcnt(1)
	v_mul_f64 v[149:150], v[77:78], v[141:142]
	v_mul_f64 v[141:142], v[79:80], v[141:142]
	s_waitcnt vmcnt(54)
	v_fma_f64 v[91:92], v[1:2], v[147:148], -v[91:92]
	v_add_f64 v[83:84], v[83:84], v[143:144]
	v_fma_f64 v[143:144], v[3:4], v[147:148], v[153:154]
	v_add_f64 v[81:82], v[81:82], v[137:138]
	ds_read_b128 v[1:4], v102 offset:896
	s_waitcnt vmcnt(52) lgkmcnt(1)
	v_mul_f64 v[137:138], v[73:74], v[95:96]
	v_mul_f64 v[95:96], v[75:76], v[95:96]
	s_waitcnt vmcnt(50)
	v_fma_f64 v[141:142], v[77:78], v[99:100], -v[141:142]
	v_add_f64 v[83:84], v[83:84], v[91:92]
	v_fma_f64 v[91:92], v[79:80], v[99:100], v[149:150]
	v_add_f64 v[81:82], v[81:82], v[143:144]
	s_clause 0x3
	buffer_load_dword v99, off, s[0:3], 0 offset:48
	buffer_load_dword v100, off, s[0:3], 0 offset:52
	buffer_load_dword v143, off, s[0:3], 0 offset:56
	buffer_load_dword v144, off, s[0:3], 0 offset:60
	ds_read_b128 v[77:80], v102 offset:912
	s_waitcnt vmcnt(52) lgkmcnt(1)
	v_mul_f64 v[147:148], v[1:2], v[93:94]
	v_mul_f64 v[93:94], v[3:4], v[93:94]
	s_waitcnt vmcnt(50)
	v_fma_f64 v[95:96], v[73:74], v[97:98], -v[95:96]
	v_fma_f64 v[97:98], v[75:76], v[97:98], v[137:138]
	ds_read_b128 v[73:76], v102 offset:928
	v_add_f64 v[83:84], v[83:84], v[141:142]
	v_add_f64 v[81:82], v[81:82], v[91:92]
	s_waitcnt vmcnt(48) lgkmcnt(1)
	v_mul_f64 v[91:92], v[77:78], v[87:88]
	v_mul_f64 v[87:88], v[79:80], v[87:88]
	s_waitcnt vmcnt(46)
	v_fma_f64 v[93:94], v[1:2], v[151:152], -v[93:94]
	v_add_f64 v[83:84], v[83:84], v[95:96]
	v_fma_f64 v[95:96], v[3:4], v[151:152], v[147:148]
	v_add_f64 v[81:82], v[81:82], v[97:98]
	ds_read_b128 v[1:4], v102 offset:944
	s_waitcnt vmcnt(44) lgkmcnt(1)
	v_mul_f64 v[97:98], v[73:74], v[103:104]
	v_mul_f64 v[103:104], v[75:76], v[103:104]
	s_waitcnt vmcnt(42)
	v_fma_f64 v[87:88], v[77:78], v[107:108], -v[87:88]
	v_fma_f64 v[91:92], v[79:80], v[107:108], v[91:92]
	ds_read_b128 v[77:80], v102 offset:960
	v_add_f64 v[83:84], v[83:84], v[93:94]
	v_add_f64 v[81:82], v[81:82], v[95:96]
	s_waitcnt vmcnt(40) lgkmcnt(1)
	v_mul_f64 v[93:94], v[1:2], v[89:90]
	v_mul_f64 v[89:90], v[3:4], v[89:90]
	s_waitcnt vmcnt(38)
	v_fma_f64 v[95:96], v[73:74], v[111:112], -v[103:104]
	v_add_f64 v[83:84], v[83:84], v[87:88]
	v_fma_f64 v[87:88], v[75:76], v[111:112], v[97:98]
	v_add_f64 v[81:82], v[81:82], v[91:92]
	;; [unrolled: 18-line block ×3, first 2 shown]
	ds_read_b128 v[77:80], v102 offset:1008
	s_waitcnt vmcnt(28) lgkmcnt(1)
	v_mul_f64 v[93:94], v[3:4], v[109:110]
	v_mul_f64 v[91:92], v[1:2], v[109:110]
	s_waitcnt vmcnt(26)
	v_fma_f64 v[95:96], v[73:74], v[123:124], -v[95:96]
	v_add_f64 v[83:84], v[83:84], v[85:86]
	v_fma_f64 v[85:86], v[75:76], v[123:124], v[87:88]
	v_add_f64 v[81:82], v[81:82], v[89:90]
	ds_read_b128 v[73:76], v102 offset:1024
	s_waitcnt vmcnt(24) lgkmcnt(1)
	v_mul_f64 v[89:90], v[79:80], v[113:114]
	v_mul_f64 v[87:88], v[77:78], v[113:114]
	s_waitcnt vmcnt(22)
	v_fma_f64 v[93:94], v[1:2], v[127:128], -v[93:94]
	v_fma_f64 v[91:92], v[3:4], v[127:128], v[91:92]
	ds_read_b128 v[1:4], v102 offset:1040
	v_add_f64 v[83:84], v[83:84], v[95:96]
	v_add_f64 v[81:82], v[81:82], v[85:86]
	s_waitcnt vmcnt(20) lgkmcnt(1)
	v_mul_f64 v[95:96], v[75:76], v[117:118]
	v_mul_f64 v[85:86], v[73:74], v[117:118]
	s_waitcnt vmcnt(18)
	v_fma_f64 v[89:90], v[77:78], v[131:132], -v[89:90]
	v_fma_f64 v[87:88], v[79:80], v[131:132], v[87:88]
	ds_read_b128 v[77:80], v102 offset:1056
	v_add_f64 v[83:84], v[83:84], v[93:94]
	v_add_f64 v[81:82], v[81:82], v[91:92]
	;; [unrolled: 9-line block ×3, first 2 shown]
	s_waitcnt vmcnt(12) lgkmcnt(1)
	v_mul_f64 v[89:90], v[79:80], v[125:126]
	v_mul_f64 v[87:88], v[77:78], v[125:126]
	s_waitcnt vmcnt(10)
	v_fma_f64 v[1:2], v[1:2], v[139:140], -v[93:94]
	v_fma_f64 v[3:4], v[3:4], v[139:140], v[91:92]
	v_add_f64 v[83:84], v[83:84], v[95:96]
	v_add_f64 v[81:82], v[81:82], v[85:86]
	s_waitcnt vmcnt(8) lgkmcnt(0)
	v_mul_f64 v[91:92], v[75:76], v[129:130]
	v_mul_f64 v[85:86], v[73:74], v[129:130]
	s_waitcnt vmcnt(6)
	v_fma_f64 v[77:78], v[77:78], v[145:146], -v[89:90]
	v_fma_f64 v[79:80], v[79:80], v[145:146], v[87:88]
	v_add_f64 v[1:2], v[83:84], v[1:2]
	v_add_f64 v[3:4], v[81:82], v[3:4]
	s_waitcnt vmcnt(4)
	v_fma_f64 v[73:74], v[73:74], v[133:134], -v[91:92]
	v_fma_f64 v[75:76], v[75:76], v[133:134], v[85:86]
	v_add_f64 v[1:2], v[1:2], v[77:78]
	v_add_f64 v[3:4], v[3:4], v[79:80]
	;; [unrolled: 1-line block ×4, first 2 shown]
	s_waitcnt vmcnt(2)
	v_add_f64 v[1:2], v[99:100], -v[1:2]
	s_waitcnt vmcnt(0)
	v_add_f64 v[3:4], v[143:144], -v[3:4]
	buffer_store_dword v2, off, s[0:3], 0 offset:52
	buffer_store_dword v1, off, s[0:3], 0 offset:48
	;; [unrolled: 1-line block ×4, first 2 shown]
	v_cmpx_lt_u32_e32 1, v0
	s_cbranch_execz .LBB33_215
; %bb.214:
	v_mov_b32_e32 v4, s46
	s_clause 0x3
	buffer_load_dword v1, v4, s[0:3], 0 offen
	buffer_load_dword v2, v4, s[0:3], 0 offen offset:4
	buffer_load_dword v3, v4, s[0:3], 0 offen offset:8
	;; [unrolled: 1-line block ×3, first 2 shown]
	buffer_store_dword v102, off, s[0:3], 0 offset:32
	buffer_store_dword v102, off, s[0:3], 0 offset:36
	;; [unrolled: 1-line block ×4, first 2 shown]
	s_waitcnt vmcnt(0)
	ds_write_b128 v101, v[1:4]
.LBB33_215:
	s_or_b32 exec_lo, exec_lo, s4
	s_waitcnt lgkmcnt(0)
	s_waitcnt_vscnt null, 0x0
	s_barrier
	buffer_gl0_inv
	s_clause 0x35
	buffer_load_dword v77, off, s[0:3], 0 offset:56
	buffer_load_dword v78, off, s[0:3], 0 offset:60
	;; [unrolled: 1-line block ×54, first 2 shown]
	ds_read_b128 v[103:106], v102 offset:576
	s_clause 0x3
	buffer_load_dword v137, off, s[0:3], 0 offset:280
	buffer_load_dword v138, off, s[0:3], 0 offset:284
	;; [unrolled: 1-line block ×4, first 2 shown]
	ds_read_b128 v[107:110], v102 offset:592
	s_clause 0x3
	buffer_load_dword v144, off, s[0:3], 0 offset:300
	buffer_load_dword v143, off, s[0:3], 0 offset:296
	;; [unrolled: 1-line block ×4, first 2 shown]
	ds_read_b128 v[111:114], v102 offset:608
	s_mov_b32 s4, exec_lo
	s_waitcnt vmcnt(60) lgkmcnt(2)
	v_mul_f64 v[141:142], v[105:106], v[77:78]
	v_mul_f64 v[77:78], v[103:104], v[77:78]
	s_waitcnt vmcnt(58) lgkmcnt(1)
	v_mul_f64 v[147:148], v[109:110], v[73:74]
	s_waitcnt vmcnt(54) lgkmcnt(0)
	v_mul_f64 v[153:154], v[113:114], v[3:4]
	v_mul_f64 v[151:152], v[111:112], v[3:4]
	v_fma_f64 v[103:104], v[103:104], v[75:76], -v[141:142]
	v_mul_f64 v[141:142], v[107:108], v[73:74]
	v_fma_f64 v[77:78], v[105:106], v[75:76], v[77:78]
	s_clause 0x3
	buffer_load_dword v105, off, s[0:3], 0 offset:312
	buffer_load_dword v106, off, s[0:3], 0 offset:316
	;; [unrolled: 1-line block ×4, first 2 shown]
	s_waitcnt vmcnt(56)
	v_fma_f64 v[107:108], v[107:108], v[1:2], -v[147:148]
	ds_read_b128 v[73:76], v102 offset:624
	s_waitcnt vmcnt(52)
	v_fma_f64 v[111:112], v[111:112], v[87:88], -v[153:154]
	v_fma_f64 v[87:88], v[113:114], v[87:88], v[151:152]
	v_add_f64 v[103:104], v[103:104], 0
	v_fma_f64 v[109:110], v[109:110], v[1:2], v[141:142]
	v_add_f64 v[77:78], v[77:78], 0
	s_clause 0x3
	buffer_load_dword v142, off, s[0:3], 0 offset:332
	buffer_load_dword v141, off, s[0:3], 0 offset:328
	;; [unrolled: 1-line block ×4, first 2 shown]
	s_waitcnt lgkmcnt(0)
	v_mul_f64 v[157:158], v[75:76], v[79:80]
	ds_read_b128 v[1:4], v102 offset:640
	v_mul_f64 v[155:156], v[73:74], v[79:80]
	v_add_f64 v[103:104], v[103:104], v[107:108]
	v_add_f64 v[107:108], v[77:78], v[109:110]
	s_clause 0x3
	buffer_load_dword v109, off, s[0:3], 0 offset:344
	buffer_load_dword v110, off, s[0:3], 0 offset:348
	;; [unrolled: 1-line block ×4, first 2 shown]
	s_waitcnt vmcnt(58) lgkmcnt(0)
	v_mul_f64 v[151:152], v[1:2], v[83:84]
	v_mul_f64 v[83:84], v[3:4], v[83:84]
	s_waitcnt vmcnt(56)
	v_fma_f64 v[153:154], v[73:74], v[81:82], -v[157:158]
	ds_read_b128 v[77:80], v102 offset:656
	v_fma_f64 v[81:82], v[75:76], v[81:82], v[155:156]
	v_add_f64 v[103:104], v[103:104], v[111:112]
	v_add_f64 v[87:88], v[107:108], v[87:88]
	s_clause 0x3
	buffer_load_dword v108, off, s[0:3], 0 offset:364
	buffer_load_dword v107, off, s[0:3], 0 offset:360
	;; [unrolled: 1-line block ×4, first 2 shown]
	ds_read_b128 v[73:76], v102 offset:672
	s_waitcnt vmcnt(58) lgkmcnt(1)
	v_mul_f64 v[155:156], v[77:78], v[85:86]
	v_mul_f64 v[85:86], v[79:80], v[85:86]
	s_waitcnt vmcnt(56)
	v_fma_f64 v[83:84], v[1:2], v[95:96], -v[83:84]
	v_fma_f64 v[95:96], v[3:4], v[95:96], v[151:152]
	v_add_f64 v[103:104], v[103:104], v[153:154]
	v_add_f64 v[81:82], v[87:88], v[81:82]
	s_clause 0x3
	buffer_load_dword v87, off, s[0:3], 0 offset:376
	buffer_load_dword v88, off, s[0:3], 0 offset:380
	;; [unrolled: 1-line block ×4, first 2 shown]
	s_waitcnt vmcnt(58) lgkmcnt(0)
	v_mul_f64 v[153:154], v[73:74], v[91:92]
	v_mul_f64 v[91:92], v[75:76], v[91:92]
	s_waitcnt vmcnt(56)
	v_fma_f64 v[85:86], v[77:78], v[89:90], -v[85:86]
	ds_read_b128 v[1:4], v102 offset:688
	v_fma_f64 v[89:90], v[79:80], v[89:90], v[155:156]
	v_add_f64 v[83:84], v[103:104], v[83:84]
	v_add_f64 v[81:82], v[81:82], v[95:96]
	s_clause 0x3
	buffer_load_dword v96, off, s[0:3], 0 offset:396
	buffer_load_dword v95, off, s[0:3], 0 offset:392
	buffer_load_dword v103, off, s[0:3], 0 offset:368
	buffer_load_dword v104, off, s[0:3], 0 offset:372
	ds_read_b128 v[77:80], v102 offset:704
	s_waitcnt vmcnt(58) lgkmcnt(1)
	v_mul_f64 v[155:156], v[1:2], v[93:94]
	v_mul_f64 v[93:94], v[3:4], v[93:94]
	s_waitcnt vmcnt(56)
	v_fma_f64 v[91:92], v[73:74], v[115:116], -v[91:92]
	v_add_f64 v[83:84], v[83:84], v[85:86]
	v_fma_f64 v[85:86], v[75:76], v[115:116], v[153:154]
	v_add_f64 v[81:82], v[81:82], v[89:90]
	s_clause 0x3
	buffer_load_dword v89, off, s[0:3], 0 offset:408
	buffer_load_dword v90, off, s[0:3], 0 offset:412
	buffer_load_dword v116, off, s[0:3], 0 offset:388
	buffer_load_dword v115, off, s[0:3], 0 offset:384
	s_waitcnt vmcnt(58) lgkmcnt(0)
	v_mul_f64 v[153:154], v[77:78], v[99:100]
	v_mul_f64 v[99:100], v[79:80], v[99:100]
	s_waitcnt vmcnt(56)
	v_fma_f64 v[93:94], v[1:2], v[97:98], -v[93:94]
	ds_read_b128 v[73:76], v102 offset:720
	v_add_f64 v[83:84], v[83:84], v[91:92]
	v_fma_f64 v[91:92], v[3:4], v[97:98], v[155:156]
	v_add_f64 v[81:82], v[81:82], v[85:86]
	s_clause 0x3
	buffer_load_dword v86, off, s[0:3], 0 offset:428
	buffer_load_dword v85, off, s[0:3], 0 offset:424
	buffer_load_dword v97, off, s[0:3], 0 offset:400
	buffer_load_dword v98, off, s[0:3], 0 offset:404
	ds_read_b128 v[1:4], v102 offset:736
	s_waitcnt vmcnt(58) lgkmcnt(1)
	v_mul_f64 v[155:156], v[73:74], v[117:118]
	v_mul_f64 v[117:118], v[75:76], v[117:118]
	s_waitcnt vmcnt(56)
	v_fma_f64 v[99:100], v[77:78], v[119:120], -v[99:100]
	v_add_f64 v[83:84], v[83:84], v[93:94]
	v_fma_f64 v[93:94], v[79:80], v[119:120], v[153:154]
	v_add_f64 v[81:82], v[81:82], v[91:92]
	s_clause 0x3
	buffer_load_dword v91, off, s[0:3], 0 offset:440
	buffer_load_dword v92, off, s[0:3], 0 offset:444
	buffer_load_dword v120, off, s[0:3], 0 offset:420
	buffer_load_dword v119, off, s[0:3], 0 offset:416
	s_waitcnt vmcnt(58) lgkmcnt(0)
	v_mul_f64 v[153:154], v[1:2], v[121:122]
	v_mul_f64 v[121:122], v[3:4], v[121:122]
	s_waitcnt vmcnt(56)
	v_fma_f64 v[117:118], v[73:74], v[123:124], -v[117:118]
	ds_read_b128 v[77:80], v102 offset:752
	v_add_f64 v[83:84], v[83:84], v[99:100]
	v_fma_f64 v[99:100], v[75:76], v[123:124], v[155:156]
	;; [unrolled: 28-line block ×4, first 2 shown]
	v_add_f64 v[81:82], v[81:82], v[125:126]
	s_clause 0x3
	buffer_load_dword v126, off, s[0:3], 0 offset:524
	buffer_load_dword v125, off, s[0:3], 0 offset:520
	buffer_load_dword v139, off, s[0:3], 0 offset:496
	buffer_load_dword v140, off, s[0:3], 0 offset:500
	ds_read_b128 v[1:4], v102 offset:832
	s_waitcnt vmcnt(58) lgkmcnt(1)
	v_mul_f64 v[155:156], v[73:74], v[143:144]
	v_mul_f64 v[143:144], v[75:76], v[143:144]
	s_waitcnt vmcnt(56)
	v_fma_f64 v[137:138], v[77:78], v[145:146], -v[137:138]
	v_add_f64 v[83:84], v[83:84], v[133:134]
	v_fma_f64 v[133:134], v[79:80], v[145:146], v[153:154]
	v_add_f64 v[81:82], v[81:82], v[129:130]
	s_clause 0x3
	buffer_load_dword v129, off, s[0:3], 0 offset:536
	buffer_load_dword v130, off, s[0:3], 0 offset:540
	buffer_load_dword v146, off, s[0:3], 0 offset:516
	buffer_load_dword v145, off, s[0:3], 0 offset:512
	ds_read_b128 v[77:80], v102 offset:848
	s_waitcnt vmcnt(58) lgkmcnt(1)
	v_mul_f64 v[153:154], v[1:2], v[105:106]
	v_mul_f64 v[105:106], v[3:4], v[105:106]
	s_waitcnt vmcnt(56)
	v_fma_f64 v[143:144], v[73:74], v[149:150], -v[143:144]
	v_add_f64 v[83:84], v[83:84], v[137:138]
	v_fma_f64 v[137:138], v[75:76], v[149:150], v[155:156]
	v_add_f64 v[81:82], v[81:82], v[133:134]
	s_clause 0x3
	buffer_load_dword v134, off, s[0:3], 0 offset:556
	buffer_load_dword v133, off, s[0:3], 0 offset:552
	buffer_load_dword v149, off, s[0:3], 0 offset:528
	buffer_load_dword v150, off, s[0:3], 0 offset:532
	ds_read_b128 v[73:76], v102 offset:864
	s_waitcnt vmcnt(58) lgkmcnt(1)
	v_mul_f64 v[155:156], v[77:78], v[141:142]
	v_mul_f64 v[141:142], v[79:80], v[141:142]
	s_waitcnt vmcnt(56)
	v_fma_f64 v[105:106], v[1:2], v[147:148], -v[105:106]
	v_add_f64 v[83:84], v[83:84], v[143:144]
	v_fma_f64 v[143:144], v[3:4], v[147:148], v[153:154]
	v_add_f64 v[81:82], v[81:82], v[137:138]
	s_clause 0x1
	buffer_load_dword v138, off, s[0:3], 0 offset:548
	buffer_load_dword v137, off, s[0:3], 0 offset:544
	ds_read_b128 v[1:4], v102 offset:880
	s_waitcnt vmcnt(56) lgkmcnt(1)
	v_mul_f64 v[147:148], v[73:74], v[109:110]
	v_mul_f64 v[109:110], v[75:76], v[109:110]
	s_waitcnt vmcnt(54)
	v_fma_f64 v[141:142], v[77:78], v[113:114], -v[141:142]
	v_add_f64 v[83:84], v[83:84], v[105:106]
	v_fma_f64 v[105:106], v[79:80], v[113:114], v[155:156]
	v_add_f64 v[81:82], v[81:82], v[143:144]
	ds_read_b128 v[77:80], v102 offset:896
	s_waitcnt vmcnt(52) lgkmcnt(1)
	v_mul_f64 v[113:114], v[1:2], v[107:108]
	v_mul_f64 v[107:108], v[3:4], v[107:108]
	s_waitcnt vmcnt(50)
	v_fma_f64 v[109:110], v[73:74], v[111:112], -v[109:110]
	v_fma_f64 v[111:112], v[75:76], v[111:112], v[147:148]
	v_add_f64 v[83:84], v[83:84], v[141:142]
	v_add_f64 v[81:82], v[81:82], v[105:106]
	s_clause 0x3
	buffer_load_dword v105, off, s[0:3], 0 offset:32
	buffer_load_dword v106, off, s[0:3], 0 offset:36
	buffer_load_dword v141, off, s[0:3], 0 offset:40
	buffer_load_dword v142, off, s[0:3], 0 offset:44
	ds_read_b128 v[73:76], v102 offset:912
	s_waitcnt vmcnt(52) lgkmcnt(1)
	v_mul_f64 v[143:144], v[77:78], v[87:88]
	v_mul_f64 v[87:88], v[79:80], v[87:88]
	s_waitcnt vmcnt(50)
	v_fma_f64 v[107:108], v[1:2], v[151:152], -v[107:108]
	v_add_f64 v[83:84], v[83:84], v[109:110]
	v_fma_f64 v[109:110], v[3:4], v[151:152], v[113:114]
	v_add_f64 v[81:82], v[81:82], v[111:112]
	ds_read_b128 v[1:4], v102 offset:928
	s_waitcnt vmcnt(48) lgkmcnt(1)
	v_mul_f64 v[111:112], v[73:74], v[95:96]
	v_mul_f64 v[95:96], v[75:76], v[95:96]
	s_waitcnt vmcnt(46)
	v_fma_f64 v[87:88], v[77:78], v[103:104], -v[87:88]
	v_fma_f64 v[103:104], v[79:80], v[103:104], v[143:144]
	ds_read_b128 v[77:80], v102 offset:944
	v_add_f64 v[83:84], v[83:84], v[107:108]
	v_add_f64 v[81:82], v[81:82], v[109:110]
	s_waitcnt vmcnt(44) lgkmcnt(1)
	v_mul_f64 v[107:108], v[1:2], v[89:90]
	v_mul_f64 v[89:90], v[3:4], v[89:90]
	s_waitcnt vmcnt(42)
	v_fma_f64 v[95:96], v[73:74], v[115:116], -v[95:96]
	v_add_f64 v[83:84], v[83:84], v[87:88]
	v_fma_f64 v[87:88], v[75:76], v[115:116], v[111:112]
	v_add_f64 v[81:82], v[81:82], v[103:104]
	ds_read_b128 v[73:76], v102 offset:960
	s_waitcnt vmcnt(40) lgkmcnt(1)
	v_mul_f64 v[103:104], v[77:78], v[85:86]
	v_mul_f64 v[85:86], v[79:80], v[85:86]
	s_waitcnt vmcnt(38)
	v_fma_f64 v[89:90], v[1:2], v[97:98], -v[89:90]
	v_add_f64 v[83:84], v[83:84], v[95:96]
	v_fma_f64 v[95:96], v[3:4], v[97:98], v[107:108]
	v_add_f64 v[81:82], v[81:82], v[87:88]
	ds_read_b128 v[1:4], v102 offset:976
	;; [unrolled: 9-line block ×5, first 2 shown]
	s_waitcnt vmcnt(24) lgkmcnt(1)
	v_mul_f64 v[95:96], v[75:76], v[117:118]
	v_mul_f64 v[85:86], v[73:74], v[117:118]
	s_waitcnt vmcnt(22)
	v_fma_f64 v[89:90], v[77:78], v[131:132], -v[89:90]
	v_fma_f64 v[87:88], v[79:80], v[131:132], v[87:88]
	ds_read_b128 v[77:80], v102 offset:1040
	v_add_f64 v[83:84], v[83:84], v[93:94]
	v_add_f64 v[81:82], v[81:82], v[91:92]
	s_waitcnt vmcnt(20) lgkmcnt(1)
	v_mul_f64 v[93:94], v[3:4], v[121:122]
	v_mul_f64 v[91:92], v[1:2], v[121:122]
	s_waitcnt vmcnt(18)
	v_fma_f64 v[95:96], v[73:74], v[135:136], -v[95:96]
	v_fma_f64 v[85:86], v[75:76], v[135:136], v[85:86]
	ds_read_b128 v[73:76], v102 offset:1056
	v_add_f64 v[83:84], v[83:84], v[89:90]
	v_add_f64 v[81:82], v[81:82], v[87:88]
	;; [unrolled: 9-line block ×3, first 2 shown]
	s_waitcnt vmcnt(12) lgkmcnt(1)
	v_mul_f64 v[95:96], v[75:76], v[129:130]
	v_mul_f64 v[85:86], v[73:74], v[129:130]
	s_waitcnt vmcnt(10)
	v_fma_f64 v[77:78], v[77:78], v[145:146], -v[89:90]
	v_fma_f64 v[79:80], v[79:80], v[145:146], v[87:88]
	v_add_f64 v[83:84], v[83:84], v[93:94]
	v_add_f64 v[81:82], v[81:82], v[91:92]
	s_waitcnt vmcnt(8) lgkmcnt(0)
	v_mul_f64 v[89:90], v[3:4], v[133:134]
	v_mul_f64 v[87:88], v[1:2], v[133:134]
	s_waitcnt vmcnt(6)
	v_fma_f64 v[73:74], v[73:74], v[149:150], -v[95:96]
	v_fma_f64 v[75:76], v[75:76], v[149:150], v[85:86]
	v_add_f64 v[77:78], v[83:84], v[77:78]
	v_add_f64 v[79:80], v[81:82], v[79:80]
	s_waitcnt vmcnt(4)
	v_fma_f64 v[1:2], v[1:2], v[137:138], -v[89:90]
	v_fma_f64 v[3:4], v[3:4], v[137:138], v[87:88]
	v_add_f64 v[73:74], v[77:78], v[73:74]
	v_add_f64 v[75:76], v[79:80], v[75:76]
	;; [unrolled: 1-line block ×4, first 2 shown]
	s_waitcnt vmcnt(2)
	v_add_f64 v[1:2], v[105:106], -v[1:2]
	s_waitcnt vmcnt(0)
	v_add_f64 v[3:4], v[141:142], -v[3:4]
	buffer_store_dword v2, off, s[0:3], 0 offset:36
	buffer_store_dword v1, off, s[0:3], 0 offset:32
	buffer_store_dword v4, off, s[0:3], 0 offset:44
	buffer_store_dword v3, off, s[0:3], 0 offset:40
	v_cmpx_ne_u32_e32 0, v0
	s_cbranch_execz .LBB33_217
; %bb.216:
	s_clause 0x3
	buffer_load_dword v0, off, s[0:3], 0 offset:16
	buffer_load_dword v1, off, s[0:3], 0 offset:20
	;; [unrolled: 1-line block ×4, first 2 shown]
	v_mov_b32_e32 v4, 0
	buffer_store_dword v4, off, s[0:3], 0 offset:16
	buffer_store_dword v4, off, s[0:3], 0 offset:20
	buffer_store_dword v4, off, s[0:3], 0 offset:24
	buffer_store_dword v4, off, s[0:3], 0 offset:28
	s_waitcnt vmcnt(0)
	ds_write_b128 v101, v[0:3]
.LBB33_217:
	s_or_b32 exec_lo, exec_lo, s4
	s_waitcnt lgkmcnt(0)
	s_waitcnt_vscnt null, 0x0
	s_barrier
	buffer_gl0_inv
	s_clause 0x37
	buffer_load_dword v77, off, s[0:3], 0 offset:40
	buffer_load_dword v78, off, s[0:3], 0 offset:44
	;; [unrolled: 1-line block ×56, first 2 shown]
	v_mov_b32_e32 v4, 0
	s_and_b32 vcc_lo, exec_lo, s43
	ds_read_b128 v[107:110], v4 offset:560
	s_clause 0x2
	buffer_load_dword v136, off, s[0:3], 0 offset:268
	buffer_load_dword v140, off, s[0:3], 0 offset:244
	;; [unrolled: 1-line block ×3, first 2 shown]
	ds_read_b128 v[111:114], v4 offset:576
	s_clause 0x4
	buffer_load_dword v144, off, s[0:3], 0 offset:284
	buffer_load_dword v145, off, s[0:3], 0 offset:296
	;; [unrolled: 1-line block ×5, first 2 shown]
	ds_read_b128 v[115:118], v4 offset:592
	s_clause 0x2
	buffer_load_dword v146, off, s[0:3], 0 offset:300
	buffer_load_dword v151, off, s[0:3], 0 offset:276
	;; [unrolled: 1-line block ×3, first 2 shown]
	s_waitcnt vmcnt(62) lgkmcnt(2)
	v_mul_f64 v[141:142], v[109:110], v[77:78]
	v_mul_f64 v[77:78], v[107:108], v[77:78]
	s_waitcnt lgkmcnt(1)
	v_mul_f64 v[148:149], v[113:114], v[73:74]
	s_waitcnt vmcnt(59) lgkmcnt(0)
	v_mul_f64 v[152:153], v[117:118], v[2:3]
	v_fma_f64 v[107:108], v[107:108], v[75:76], -v[141:142]
	v_mul_f64 v[141:142], v[111:112], v[73:74]
	v_fma_f64 v[77:78], v[109:110], v[75:76], v[77:78]
	s_waitcnt vmcnt(57)
	v_fma_f64 v[111:112], v[111:112], v[0:1], -v[148:149]
	ds_read_b128 v[73:76], v4 offset:608
	v_mul_f64 v[109:110], v[115:116], v[2:3]
	s_waitcnt vmcnt(51)
	v_fma_f64 v[115:116], v[115:116], v[93:94], -v[152:153]
	v_add_f64 v[107:108], v[107:108], 0
	v_fma_f64 v[113:114], v[113:114], v[0:1], v[141:142]
	v_add_f64 v[77:78], v[77:78], 0
	s_clause 0x4
	buffer_load_dword v142, off, s[0:3], 0 offset:316
	buffer_load_dword v154, off, s[0:3], 0 offset:328
	;; [unrolled: 1-line block ×5, first 2 shown]
	s_waitcnt lgkmcnt(0)
	v_mul_f64 v[157:158], v[73:74], v[81:82]
	v_mul_f64 v[81:82], v[75:76], v[81:82]
	ds_read_b128 v[0:3], v4 offset:624
	v_fma_f64 v[93:94], v[117:118], v[93:94], v[109:110]
	v_add_f64 v[111:112], v[107:108], v[111:112]
	v_add_f64 v[77:78], v[77:78], v[113:114]
	s_clause 0x2
	buffer_load_dword v155, off, s[0:3], 0 offset:332
	buffer_load_dword v114, off, s[0:3], 0 offset:308
	;; [unrolled: 1-line block ×3, first 2 shown]
	s_waitcnt vmcnt(58) lgkmcnt(0)
	v_mul_f64 v[117:118], v[0:1], v[85:86]
	v_mul_f64 v[85:86], v[2:3], v[85:86]
	s_waitcnt vmcnt(56)
	v_fma_f64 v[81:82], v[73:74], v[87:88], -v[81:82]
	ds_read_b128 v[107:110], v4 offset:640
	v_fma_f64 v[87:88], v[75:76], v[87:88], v[157:158]
	v_add_f64 v[111:112], v[111:112], v[115:116]
	v_add_f64 v[77:78], v[77:78], v[93:94]
	s_clause 0x4
	buffer_load_dword v94, off, s[0:3], 0 offset:348
	buffer_load_dword v115, off, s[0:3], 0 offset:360
	;; [unrolled: 1-line block ×5, first 2 shown]
	ds_read_b128 v[73:76], v4 offset:656
	s_waitcnt vmcnt(57) lgkmcnt(1)
	v_mul_f64 v[158:159], v[107:108], v[89:90]
	v_mul_f64 v[89:90], v[109:110], v[89:90]
	s_waitcnt vmcnt(56)
	v_fma_f64 v[85:86], v[0:1], v[79:80], -v[85:86]
	v_fma_f64 v[79:80], v[2:3], v[79:80], v[117:118]
	v_add_f64 v[81:82], v[111:112], v[81:82]
	v_add_f64 v[77:78], v[77:78], v[87:88]
	s_clause 0x2
	buffer_load_dword v116, off, s[0:3], 0 offset:364
	buffer_load_dword v88, off, s[0:3], 0 offset:340
	;; [unrolled: 1-line block ×3, first 2 shown]
	s_waitcnt vmcnt(58) lgkmcnt(0)
	v_mul_f64 v[111:112], v[73:74], v[95:96]
	v_mul_f64 v[95:96], v[75:76], v[95:96]
	s_waitcnt vmcnt(56)
	v_fma_f64 v[89:90], v[107:108], v[97:98], -v[89:90]
	ds_read_b128 v[0:3], v4 offset:672
	v_add_f64 v[81:82], v[81:82], v[85:86]
	v_fma_f64 v[85:86], v[109:110], v[97:98], v[158:159]
	v_add_f64 v[97:98], v[77:78], v[79:80]
	s_clause 0x4
	buffer_load_dword v108, off, s[0:3], 0 offset:380
	buffer_load_dword v109, off, s[0:3], 0 offset:392
	;; [unrolled: 1-line block ×5, first 2 shown]
	ds_read_b128 v[77:80], v4 offset:688
	s_waitcnt vmcnt(57) lgkmcnt(1)
	v_mul_f64 v[158:159], v[0:1], v[99:100]
	v_mul_f64 v[99:100], v[2:3], v[99:100]
	s_waitcnt vmcnt(56)
	v_fma_f64 v[95:96], v[73:74], v[83:84], -v[95:96]
	v_fma_f64 v[83:84], v[75:76], v[83:84], v[111:112]
	v_add_f64 v[81:82], v[81:82], v[89:90]
	s_clause 0x2
	buffer_load_dword v110, off, s[0:3], 0 offset:396
	buffer_load_dword v90, off, s[0:3], 0 offset:372
	;; [unrolled: 1-line block ×3, first 2 shown]
	v_add_f64 v[85:86], v[97:98], v[85:86]
	s_waitcnt vmcnt(58) lgkmcnt(0)
	v_mul_f64 v[97:98], v[77:78], v[103:104]
	v_mul_f64 v[103:104], v[79:80], v[103:104]
	ds_read_b128 v[73:76], v4 offset:704
	s_waitcnt vmcnt(56)
	v_fma_f64 v[99:100], v[0:1], v[105:106], -v[99:100]
	v_add_f64 v[81:82], v[81:82], v[95:96]
	v_fma_f64 v[95:96], v[2:3], v[105:106], v[158:159]
	v_add_f64 v[83:84], v[85:86], v[83:84]
	s_clause 0x4
	buffer_load_dword v86, off, s[0:3], 0 offset:412
	buffer_load_dword v105, off, s[0:3], 0 offset:424
	;; [unrolled: 1-line block ×5, first 2 shown]
	s_waitcnt vmcnt(57) lgkmcnt(0)
	v_mul_f64 v[158:159], v[73:74], v[119:120]
	v_mul_f64 v[119:120], v[75:76], v[119:120]
	s_waitcnt vmcnt(56)
	v_fma_f64 v[103:104], v[77:78], v[91:92], -v[103:104]
	ds_read_b128 v[0:3], v4 offset:720
	v_fma_f64 v[91:92], v[79:80], v[91:92], v[97:98]
	v_add_f64 v[81:82], v[81:82], v[99:100]
	v_add_f64 v[83:84], v[83:84], v[95:96]
	s_clause 0x2
	buffer_load_dword v106, off, s[0:3], 0 offset:428
	buffer_load_dword v96, off, s[0:3], 0 offset:404
	buffer_load_dword v95, off, s[0:3], 0 offset:400
	ds_read_b128 v[77:80], v4 offset:736
	s_waitcnt vmcnt(58) lgkmcnt(1)
	v_mul_f64 v[99:100], v[2:3], v[121:122]
	s_waitcnt vmcnt(56)
	v_fma_f64 v[119:120], v[73:74], v[123:124], -v[119:120]
	v_mul_f64 v[97:98], v[0:1], v[121:122]
	v_add_f64 v[81:82], v[81:82], v[103:104]
	v_fma_f64 v[103:104], v[75:76], v[123:124], v[158:159]
	v_add_f64 v[83:84], v[83:84], v[91:92]
	s_clause 0x4
	buffer_load_dword v92, off, s[0:3], 0 offset:444
	buffer_load_dword v121, off, s[0:3], 0 offset:456
	;; [unrolled: 1-line block ×5, first 2 shown]
	s_waitcnt vmcnt(57) lgkmcnt(0)
	v_mul_f64 v[158:159], v[77:78], v[125:126]
	v_mul_f64 v[124:125], v[79:80], v[125:126]
	s_waitcnt vmcnt(56)
	v_fma_f64 v[99:100], v[0:1], v[101:102], -v[99:100]
	ds_read_b128 v[73:76], v4 offset:752
	v_fma_f64 v[97:98], v[2:3], v[101:102], v[97:98]
	s_clause 0x2
	buffer_load_dword v122, off, s[0:3], 0 offset:460
	buffer_load_dword v102, off, s[0:3], 0 offset:436
	;; [unrolled: 1-line block ×3, first 2 shown]
	ds_read_b128 v[0:3], v4 offset:768
	v_add_f64 v[81:82], v[81:82], v[119:120]
	v_add_f64 v[83:84], v[83:84], v[103:104]
	s_waitcnt vmcnt(58) lgkmcnt(1)
	v_mul_f64 v[119:120], v[75:76], v[127:128]
	s_waitcnt vmcnt(56)
	v_fma_f64 v[125:126], v[77:78], v[131:132], -v[124:125]
	v_mul_f64 v[103:104], v[73:74], v[127:128]
	v_add_f64 v[81:82], v[81:82], v[99:100]
	v_fma_f64 v[99:100], v[79:80], v[131:132], v[158:159]
	v_add_f64 v[83:84], v[83:84], v[97:98]
	s_clause 0x4
	buffer_load_dword v98, off, s[0:3], 0 offset:476
	buffer_load_dword v127, off, s[0:3], 0 offset:488
	;; [unrolled: 1-line block ×5, first 2 shown]
	s_waitcnt vmcnt(57) lgkmcnt(0)
	v_mul_f64 v[158:159], v[0:1], v[133:134]
	v_mul_f64 v[132:133], v[2:3], v[133:134]
	s_waitcnt vmcnt(56)
	v_fma_f64 v[119:120], v[73:74], v[129:130], -v[119:120]
	ds_read_b128 v[77:80], v4 offset:784
	v_fma_f64 v[103:104], v[75:76], v[129:130], v[103:104]
	v_add_f64 v[81:82], v[81:82], v[125:126]
	v_add_f64 v[83:84], v[83:84], v[99:100]
	s_clause 0x2
	buffer_load_dword v128, off, s[0:3], 0 offset:492
	buffer_load_dword v100, off, s[0:3], 0 offset:468
	;; [unrolled: 1-line block ×3, first 2 shown]
	ds_read_b128 v[73:76], v4 offset:800
	s_waitcnt vmcnt(58) lgkmcnt(1)
	v_mul_f64 v[129:130], v[79:80], v[135:136]
	s_waitcnt vmcnt(56)
	v_fma_f64 v[133:134], v[0:1], v[139:140], -v[132:133]
	v_mul_f64 v[125:126], v[77:78], v[135:136]
	v_add_f64 v[81:82], v[81:82], v[119:120]
	v_fma_f64 v[119:120], v[2:3], v[139:140], v[158:159]
	v_add_f64 v[83:84], v[83:84], v[103:104]
	s_clause 0x4
	buffer_load_dword v104, off, s[0:3], 0 offset:508
	buffer_load_dword v135, off, s[0:3], 0 offset:520
	;; [unrolled: 1-line block ×5, first 2 shown]
	s_waitcnt vmcnt(57) lgkmcnt(0)
	v_mul_f64 v[158:159], v[73:74], v[143:144]
	v_mul_f64 v[143:144], v[75:76], v[143:144]
	s_waitcnt vmcnt(56)
	v_fma_f64 v[129:130], v[77:78], v[137:138], -v[129:130]
	ds_read_b128 v[0:3], v4 offset:816
	v_fma_f64 v[125:126], v[79:80], v[137:138], v[125:126]
	v_add_f64 v[81:82], v[81:82], v[133:134]
	v_add_f64 v[83:84], v[83:84], v[119:120]
	s_clause 0x2
	buffer_load_dword v136, off, s[0:3], 0 offset:524
	buffer_load_dword v120, off, s[0:3], 0 offset:500
	;; [unrolled: 1-line block ×3, first 2 shown]
	ds_read_b128 v[77:80], v4 offset:832
	s_waitcnt vmcnt(58) lgkmcnt(1)
	v_mul_f64 v[137:138], v[2:3], v[145:146]
	s_waitcnt vmcnt(56)
	v_fma_f64 v[143:144], v[73:74], v[150:151], -v[143:144]
	v_mul_f64 v[133:134], v[0:1], v[145:146]
	v_add_f64 v[81:82], v[81:82], v[129:130]
	v_fma_f64 v[129:130], v[75:76], v[150:151], v[158:159]
	v_add_f64 v[83:84], v[83:84], v[125:126]
	s_clause 0x4
	buffer_load_dword v126, off, s[0:3], 0 offset:540
	buffer_load_dword v145, off, s[0:3], 0 offset:552
	;; [unrolled: 1-line block ×5, first 2 shown]
	ds_read_b128 v[73:76], v4 offset:848
	s_waitcnt vmcnt(57) lgkmcnt(1)
	v_mul_f64 v[150:151], v[77:78], v[141:142]
	v_mul_f64 v[141:142], v[79:80], v[141:142]
	s_waitcnt vmcnt(56)
	v_fma_f64 v[137:138], v[0:1], v[147:148], -v[137:138]
	v_fma_f64 v[133:134], v[2:3], v[147:148], v[133:134]
	v_add_f64 v[81:82], v[81:82], v[143:144]
	v_add_f64 v[83:84], v[83:84], v[129:130]
	s_clause 0x2
	buffer_load_dword v146, off, s[0:3], 0 offset:556
	buffer_load_dword v130, off, s[0:3], 0 offset:532
	;; [unrolled: 1-line block ×3, first 2 shown]
	ds_read_b128 v[0:3], v4 offset:864
	s_waitcnt vmcnt(58) lgkmcnt(1)
	v_mul_f64 v[147:148], v[75:76], v[154:155]
	v_mul_f64 v[143:144], v[73:74], v[154:155]
	s_waitcnt vmcnt(56)
	v_fma_f64 v[141:142], v[77:78], v[113:114], -v[141:142]
	v_fma_f64 v[113:114], v[79:80], v[113:114], v[150:151]
	buffer_load_dword v150, off, s[0:3], 0 offset:548
	ds_read_b128 v[77:80], v4 offset:880
	v_add_f64 v[81:82], v[81:82], v[137:138]
	v_add_f64 v[83:84], v[83:84], v[133:134]
	s_waitcnt vmcnt(53) lgkmcnt(1)
	v_mul_f64 v[133:134], v[0:1], v[93:94]
	v_mul_f64 v[93:94], v[2:3], v[93:94]
	s_waitcnt vmcnt(52)
	v_fma_f64 v[137:138], v[73:74], v[156:157], -v[147:148]
	v_add_f64 v[81:82], v[81:82], v[141:142]
	v_fma_f64 v[141:142], v[75:76], v[156:157], v[143:144]
	v_add_f64 v[83:84], v[83:84], v[113:114]
	ds_read_b128 v[73:76], v4 offset:896
	s_waitcnt vmcnt(51) lgkmcnt(1)
	v_mul_f64 v[113:114], v[77:78], v[115:116]
	v_mul_f64 v[115:116], v[79:80], v[115:116]
	s_waitcnt vmcnt(49)
	v_fma_f64 v[93:94], v[0:1], v[87:88], -v[93:94]
	v_fma_f64 v[87:88], v[2:3], v[87:88], v[133:134]
	v_add_f64 v[81:82], v[81:82], v[137:138]
	s_clause 0x3
	buffer_load_dword v133, off, s[0:3], 0 offset:16
	buffer_load_dword v134, off, s[0:3], 0 offset:20
	;; [unrolled: 1-line block ×4, first 2 shown]
	v_add_f64 v[83:84], v[83:84], v[141:142]
	ds_read_b128 v[0:3], v4 offset:912
	s_waitcnt vmcnt(49) lgkmcnt(1)
	v_mul_f64 v[141:142], v[73:74], v[107:108]
	v_mul_f64 v[107:108], v[75:76], v[107:108]
	s_waitcnt vmcnt(48)
	v_fma_f64 v[115:116], v[77:78], v[152:153], -v[115:116]
	v_add_f64 v[81:82], v[81:82], v[93:94]
	v_fma_f64 v[93:94], v[79:80], v[152:153], v[113:114]
	v_add_f64 v[83:84], v[83:84], v[87:88]
	ds_read_b128 v[77:80], v4 offset:928
	s_waitcnt vmcnt(47) lgkmcnt(1)
	v_mul_f64 v[87:88], v[0:1], v[109:110]
	v_mul_f64 v[109:110], v[2:3], v[109:110]
	s_waitcnt vmcnt(45)
	v_fma_f64 v[107:108], v[73:74], v[89:90], -v[107:108]
	v_fma_f64 v[89:90], v[75:76], v[89:90], v[141:142]
	ds_read_b128 v[73:76], v4 offset:944
	v_add_f64 v[81:82], v[81:82], v[115:116]
	v_add_f64 v[83:84], v[83:84], v[93:94]
	s_waitcnt vmcnt(41) lgkmcnt(1)
	v_mul_f64 v[93:94], v[77:78], v[85:86]
	v_mul_f64 v[85:86], v[79:80], v[85:86]
	s_waitcnt vmcnt(40)
	v_fma_f64 v[109:110], v[0:1], v[117:118], -v[109:110]
	v_fma_f64 v[87:88], v[2:3], v[117:118], v[87:88]
	ds_read_b128 v[0:3], v4 offset:960
	v_add_f64 v[81:82], v[81:82], v[107:108]
	v_add_f64 v[83:84], v[83:84], v[89:90]
	;; [unrolled: 9-line block ×3, first 2 shown]
	s_waitcnt vmcnt(33) lgkmcnt(1)
	v_mul_f64 v[87:88], v[0:1], v[91:92]
	v_mul_f64 v[91:92], v[2:3], v[91:92]
	s_waitcnt vmcnt(32)
	v_fma_f64 v[95:96], v[73:74], v[111:112], -v[105:106]
	v_add_f64 v[81:82], v[81:82], v[85:86]
	v_fma_f64 v[85:86], v[75:76], v[111:112], v[89:90]
	v_add_f64 v[83:84], v[83:84], v[93:94]
	ds_read_b128 v[73:76], v4 offset:992
	s_waitcnt vmcnt(31) lgkmcnt(1)
	v_mul_f64 v[93:94], v[79:80], v[121:122]
	v_mul_f64 v[89:90], v[77:78], v[121:122]
	s_waitcnt vmcnt(29)
	v_fma_f64 v[87:88], v[2:3], v[101:102], v[87:88]
	v_fma_f64 v[91:92], v[0:1], v[101:102], -v[91:92]
	ds_read_b128 v[0:3], v4 offset:1008
	v_add_f64 v[81:82], v[81:82], v[95:96]
	v_add_f64 v[83:84], v[83:84], v[85:86]
	s_waitcnt vmcnt(25) lgkmcnt(1)
	v_mul_f64 v[95:96], v[75:76], v[97:98]
	s_waitcnt vmcnt(24)
	v_fma_f64 v[93:94], v[77:78], v[123:124], -v[93:94]
	v_mul_f64 v[85:86], v[73:74], v[97:98]
	v_fma_f64 v[89:90], v[79:80], v[123:124], v[89:90]
	ds_read_b128 v[77:80], v4 offset:1024
	v_add_f64 v[81:82], v[81:82], v[91:92]
	v_add_f64 v[83:84], v[83:84], v[87:88]
	s_waitcnt vmcnt(23) lgkmcnt(1)
	v_mul_f64 v[91:92], v[2:3], v[127:128]
	v_mul_f64 v[87:88], v[0:1], v[127:128]
	s_waitcnt vmcnt(21)
	v_fma_f64 v[95:96], v[73:74], v[99:100], -v[95:96]
	v_fma_f64 v[85:86], v[75:76], v[99:100], v[85:86]
	ds_read_b128 v[73:76], v4 offset:1040
	v_add_f64 v[81:82], v[81:82], v[93:94]
	v_add_f64 v[83:84], v[83:84], v[89:90]
	s_waitcnt vmcnt(17) lgkmcnt(1)
	v_mul_f64 v[93:94], v[79:80], v[103:104]
	s_waitcnt vmcnt(16)
	v_fma_f64 v[91:92], v[0:1], v[131:132], -v[91:92]
	v_mul_f64 v[89:90], v[77:78], v[103:104]
	v_fma_f64 v[87:88], v[2:3], v[131:132], v[87:88]
	ds_read_b128 v[0:3], v4 offset:1056
	v_add_f64 v[81:82], v[81:82], v[95:96]
	v_add_f64 v[83:84], v[83:84], v[85:86]
	s_waitcnt vmcnt(15) lgkmcnt(1)
	v_mul_f64 v[95:96], v[75:76], v[135:136]
	v_mul_f64 v[85:86], v[73:74], v[135:136]
	s_waitcnt vmcnt(13)
	v_fma_f64 v[93:94], v[77:78], v[119:120], -v[93:94]
	v_fma_f64 v[89:90], v[79:80], v[119:120], v[89:90]
	ds_read_b128 v[77:80], v4 offset:1072
	v_add_f64 v[81:82], v[81:82], v[91:92]
	v_add_f64 v[83:84], v[83:84], v[87:88]
	s_waitcnt vmcnt(9) lgkmcnt(1)
	v_mul_f64 v[91:92], v[2:3], v[125:126]
	s_waitcnt vmcnt(8)
	v_fma_f64 v[73:74], v[73:74], v[139:140], -v[95:96]
	v_mul_f64 v[87:88], v[0:1], v[125:126]
	v_fma_f64 v[75:76], v[75:76], v[139:140], v[85:86]
	v_add_f64 v[81:82], v[81:82], v[93:94]
	v_add_f64 v[83:84], v[83:84], v[89:90]
	s_waitcnt vmcnt(7) lgkmcnt(0)
	v_mul_f64 v[89:90], v[79:80], v[145:146]
	v_mul_f64 v[85:86], v[77:78], v[145:146]
	s_waitcnt vmcnt(5)
	v_fma_f64 v[0:1], v[0:1], v[129:130], -v[91:92]
	v_fma_f64 v[2:3], v[2:3], v[129:130], v[87:88]
	v_add_f64 v[73:74], v[81:82], v[73:74]
	v_add_f64 v[75:76], v[83:84], v[75:76]
	s_waitcnt vmcnt(4)
	v_fma_f64 v[77:78], v[77:78], v[149:150], -v[89:90]
	v_add_f64 v[0:1], v[73:74], v[0:1]
	v_fma_f64 v[73:74], v[79:80], v[149:150], v[85:86]
	v_add_f64 v[2:3], v[75:76], v[2:3]
	v_add_f64 v[0:1], v[0:1], v[77:78]
	;; [unrolled: 1-line block ×3, first 2 shown]
	s_waitcnt vmcnt(2)
	v_add_f64 v[0:1], v[133:134], -v[0:1]
	s_waitcnt vmcnt(0)
	v_add_f64 v[2:3], v[137:138], -v[2:3]
	buffer_store_dword v1, off, s[0:3], 0 offset:20
	buffer_store_dword v0, off, s[0:3], 0 offset:16
	;; [unrolled: 1-line block ×4, first 2 shown]
	s_cbranch_vccz .LBB33_284
; %bb.218:
	global_load_dword v0, v4, s[20:21] offset:128
	s_waitcnt vmcnt(0)
	v_add_nc_u32_e32 v0, -1, v0
	v_cmp_ne_u32_e32 vcc_lo, 32, v0
	s_cbranch_vccz .LBB33_220
; %bb.219:
	v_lshlrev_b32_e32 v0, 4, v0
	v_mov_b32_e32 v1, s36
	v_add_nc_u32_e32 v0, 16, v0
	s_clause 0x7
	buffer_load_dword v2, v0, s[0:3], 0 offen
	buffer_load_dword v3, v0, s[0:3], 0 offen offset:4
	buffer_load_dword v4, v0, s[0:3], 0 offen offset:8
	;; [unrolled: 1-line block ×6, first 2 shown]
	buffer_load_dword v77, v1, s[0:3], 0 offen
	s_waitcnt vmcnt(7)
	buffer_store_dword v2, v1, s[0:3], 0 offen
	s_waitcnt vmcnt(6)
	buffer_store_dword v3, v1, s[0:3], 0 offen offset:4
	s_waitcnt vmcnt(5)
	buffer_store_dword v4, v1, s[0:3], 0 offen offset:8
	;; [unrolled: 2-line block ×6, first 2 shown]
	s_waitcnt vmcnt(0)
	buffer_store_dword v77, v0, s[0:3], 0 offen
.LBB33_220:
	v_mov_b32_e32 v0, 0
	global_load_dword v1, v0, s[20:21] offset:124
	s_waitcnt vmcnt(0)
	v_add_nc_u32_e32 v1, -1, v1
	v_cmp_eq_u32_e32 vcc_lo, 31, v1
	s_cbranch_vccnz .LBB33_222
; %bb.221:
	v_lshlrev_b32_e32 v1, 4, v1
	v_mov_b32_e32 v2, s35
	v_add_nc_u32_e32 v1, 16, v1
	s_clause 0x7
	buffer_load_dword v3, v1, s[0:3], 0 offen
	buffer_load_dword v4, v1, s[0:3], 0 offen offset:4
	buffer_load_dword v73, v1, s[0:3], 0 offen offset:8
	;; [unrolled: 1-line block ×6, first 2 shown]
	buffer_load_dword v78, v2, s[0:3], 0 offen
	s_waitcnt vmcnt(7)
	buffer_store_dword v3, v2, s[0:3], 0 offen
	s_waitcnt vmcnt(6)
	buffer_store_dword v4, v2, s[0:3], 0 offen offset:4
	s_waitcnt vmcnt(5)
	buffer_store_dword v73, v2, s[0:3], 0 offen offset:8
	;; [unrolled: 2-line block ×6, first 2 shown]
	s_waitcnt vmcnt(0)
	buffer_store_dword v78, v1, s[0:3], 0 offen
.LBB33_222:
	global_load_dword v0, v0, s[20:21] offset:120
	s_waitcnt vmcnt(0)
	v_add_nc_u32_e32 v0, -1, v0
	v_cmp_eq_u32_e32 vcc_lo, 30, v0
	s_cbranch_vccnz .LBB33_224
; %bb.223:
	v_lshlrev_b32_e32 v0, 4, v0
	v_mov_b32_e32 v1, s34
	v_add_nc_u32_e32 v0, 16, v0
	s_clause 0x7
	buffer_load_dword v2, v0, s[0:3], 0 offen
	buffer_load_dword v3, v0, s[0:3], 0 offen offset:4
	buffer_load_dword v4, v0, s[0:3], 0 offen offset:8
	;; [unrolled: 1-line block ×6, first 2 shown]
	buffer_load_dword v77, v1, s[0:3], 0 offen
	s_waitcnt vmcnt(7)
	buffer_store_dword v2, v1, s[0:3], 0 offen
	s_waitcnt vmcnt(6)
	buffer_store_dword v3, v1, s[0:3], 0 offen offset:4
	s_waitcnt vmcnt(5)
	buffer_store_dword v4, v1, s[0:3], 0 offen offset:8
	;; [unrolled: 2-line block ×6, first 2 shown]
	s_waitcnt vmcnt(0)
	buffer_store_dword v77, v0, s[0:3], 0 offen
.LBB33_224:
	v_mov_b32_e32 v0, 0
	global_load_dword v1, v0, s[20:21] offset:116
	s_waitcnt vmcnt(0)
	v_add_nc_u32_e32 v1, -1, v1
	v_cmp_eq_u32_e32 vcc_lo, 29, v1
	s_cbranch_vccnz .LBB33_226
; %bb.225:
	v_lshlrev_b32_e32 v1, 4, v1
	v_mov_b32_e32 v2, s33
	v_add_nc_u32_e32 v1, 16, v1
	s_clause 0x7
	buffer_load_dword v3, v1, s[0:3], 0 offen
	buffer_load_dword v4, v1, s[0:3], 0 offen offset:4
	buffer_load_dword v73, v1, s[0:3], 0 offen offset:8
	;; [unrolled: 1-line block ×6, first 2 shown]
	buffer_load_dword v78, v2, s[0:3], 0 offen
	s_waitcnt vmcnt(7)
	buffer_store_dword v3, v2, s[0:3], 0 offen
	s_waitcnt vmcnt(6)
	buffer_store_dword v4, v2, s[0:3], 0 offen offset:4
	s_waitcnt vmcnt(5)
	buffer_store_dword v73, v2, s[0:3], 0 offen offset:8
	;; [unrolled: 2-line block ×6, first 2 shown]
	s_waitcnt vmcnt(0)
	buffer_store_dword v78, v1, s[0:3], 0 offen
.LBB33_226:
	global_load_dword v0, v0, s[20:21] offset:112
	s_waitcnt vmcnt(0)
	v_add_nc_u32_e32 v0, -1, v0
	v_cmp_eq_u32_e32 vcc_lo, 28, v0
	s_cbranch_vccnz .LBB33_228
; %bb.227:
	v_lshlrev_b32_e32 v0, 4, v0
	v_mov_b32_e32 v1, s31
	v_add_nc_u32_e32 v0, 16, v0
	s_clause 0x7
	buffer_load_dword v2, v0, s[0:3], 0 offen
	buffer_load_dword v3, v0, s[0:3], 0 offen offset:4
	buffer_load_dword v4, v0, s[0:3], 0 offen offset:8
	;; [unrolled: 1-line block ×6, first 2 shown]
	buffer_load_dword v77, v1, s[0:3], 0 offen
	s_waitcnt vmcnt(7)
	buffer_store_dword v2, v1, s[0:3], 0 offen
	s_waitcnt vmcnt(6)
	buffer_store_dword v3, v1, s[0:3], 0 offen offset:4
	s_waitcnt vmcnt(5)
	buffer_store_dword v4, v1, s[0:3], 0 offen offset:8
	;; [unrolled: 2-line block ×6, first 2 shown]
	s_waitcnt vmcnt(0)
	buffer_store_dword v77, v0, s[0:3], 0 offen
.LBB33_228:
	v_mov_b32_e32 v0, 0
	global_load_dword v1, v0, s[20:21] offset:108
	s_waitcnt vmcnt(0)
	v_add_nc_u32_e32 v1, -1, v1
	v_cmp_eq_u32_e32 vcc_lo, 27, v1
	s_cbranch_vccnz .LBB33_230
; %bb.229:
	v_lshlrev_b32_e32 v1, 4, v1
	v_mov_b32_e32 v2, s30
	v_add_nc_u32_e32 v1, 16, v1
	s_clause 0x7
	buffer_load_dword v3, v1, s[0:3], 0 offen
	buffer_load_dword v4, v1, s[0:3], 0 offen offset:4
	buffer_load_dword v73, v1, s[0:3], 0 offen offset:8
	;; [unrolled: 1-line block ×6, first 2 shown]
	buffer_load_dword v78, v2, s[0:3], 0 offen
	s_waitcnt vmcnt(7)
	buffer_store_dword v3, v2, s[0:3], 0 offen
	s_waitcnt vmcnt(6)
	buffer_store_dword v4, v2, s[0:3], 0 offen offset:4
	s_waitcnt vmcnt(5)
	buffer_store_dword v73, v2, s[0:3], 0 offen offset:8
	;; [unrolled: 2-line block ×6, first 2 shown]
	s_waitcnt vmcnt(0)
	buffer_store_dword v78, v1, s[0:3], 0 offen
.LBB33_230:
	global_load_dword v0, v0, s[20:21] offset:104
	s_waitcnt vmcnt(0)
	v_add_nc_u32_e32 v0, -1, v0
	v_cmp_eq_u32_e32 vcc_lo, 26, v0
	s_cbranch_vccnz .LBB33_232
; %bb.231:
	v_lshlrev_b32_e32 v0, 4, v0
	v_mov_b32_e32 v1, s29
	v_add_nc_u32_e32 v0, 16, v0
	s_clause 0x7
	buffer_load_dword v2, v0, s[0:3], 0 offen
	buffer_load_dword v3, v0, s[0:3], 0 offen offset:4
	buffer_load_dword v4, v0, s[0:3], 0 offen offset:8
	;; [unrolled: 1-line block ×6, first 2 shown]
	buffer_load_dword v77, v1, s[0:3], 0 offen
	s_waitcnt vmcnt(7)
	buffer_store_dword v2, v1, s[0:3], 0 offen
	s_waitcnt vmcnt(6)
	buffer_store_dword v3, v1, s[0:3], 0 offen offset:4
	s_waitcnt vmcnt(5)
	buffer_store_dword v4, v1, s[0:3], 0 offen offset:8
	;; [unrolled: 2-line block ×6, first 2 shown]
	s_waitcnt vmcnt(0)
	buffer_store_dword v77, v0, s[0:3], 0 offen
.LBB33_232:
	v_mov_b32_e32 v0, 0
	global_load_dword v1, v0, s[20:21] offset:100
	s_waitcnt vmcnt(0)
	v_add_nc_u32_e32 v1, -1, v1
	v_cmp_eq_u32_e32 vcc_lo, 25, v1
	s_cbranch_vccnz .LBB33_234
; %bb.233:
	v_lshlrev_b32_e32 v1, 4, v1
	v_mov_b32_e32 v2, s28
	v_add_nc_u32_e32 v1, 16, v1
	s_clause 0x7
	buffer_load_dword v3, v1, s[0:3], 0 offen
	buffer_load_dword v4, v1, s[0:3], 0 offen offset:4
	buffer_load_dword v73, v1, s[0:3], 0 offen offset:8
	;; [unrolled: 1-line block ×6, first 2 shown]
	buffer_load_dword v78, v2, s[0:3], 0 offen
	s_waitcnt vmcnt(7)
	buffer_store_dword v3, v2, s[0:3], 0 offen
	s_waitcnt vmcnt(6)
	buffer_store_dword v4, v2, s[0:3], 0 offen offset:4
	s_waitcnt vmcnt(5)
	buffer_store_dword v73, v2, s[0:3], 0 offen offset:8
	;; [unrolled: 2-line block ×6, first 2 shown]
	s_waitcnt vmcnt(0)
	buffer_store_dword v78, v1, s[0:3], 0 offen
.LBB33_234:
	global_load_dword v0, v0, s[20:21] offset:96
	s_waitcnt vmcnt(0)
	v_add_nc_u32_e32 v0, -1, v0
	v_cmp_eq_u32_e32 vcc_lo, 24, v0
	s_cbranch_vccnz .LBB33_236
; %bb.235:
	v_lshlrev_b32_e32 v0, 4, v0
	v_mov_b32_e32 v1, s27
	v_add_nc_u32_e32 v0, 16, v0
	s_clause 0x7
	buffer_load_dword v2, v0, s[0:3], 0 offen
	buffer_load_dword v3, v0, s[0:3], 0 offen offset:4
	buffer_load_dword v4, v0, s[0:3], 0 offen offset:8
	;; [unrolled: 1-line block ×6, first 2 shown]
	buffer_load_dword v77, v1, s[0:3], 0 offen
	s_waitcnt vmcnt(7)
	buffer_store_dword v2, v1, s[0:3], 0 offen
	s_waitcnt vmcnt(6)
	buffer_store_dword v3, v1, s[0:3], 0 offen offset:4
	s_waitcnt vmcnt(5)
	buffer_store_dword v4, v1, s[0:3], 0 offen offset:8
	;; [unrolled: 2-line block ×6, first 2 shown]
	s_waitcnt vmcnt(0)
	buffer_store_dword v77, v0, s[0:3], 0 offen
.LBB33_236:
	v_mov_b32_e32 v0, 0
	global_load_dword v1, v0, s[20:21] offset:92
	s_waitcnt vmcnt(0)
	v_add_nc_u32_e32 v1, -1, v1
	v_cmp_eq_u32_e32 vcc_lo, 23, v1
	s_cbranch_vccnz .LBB33_238
; %bb.237:
	v_lshlrev_b32_e32 v1, 4, v1
	v_mov_b32_e32 v2, s26
	v_add_nc_u32_e32 v1, 16, v1
	s_clause 0x7
	buffer_load_dword v3, v1, s[0:3], 0 offen
	buffer_load_dword v4, v1, s[0:3], 0 offen offset:4
	buffer_load_dword v73, v1, s[0:3], 0 offen offset:8
	;; [unrolled: 1-line block ×6, first 2 shown]
	buffer_load_dword v78, v2, s[0:3], 0 offen
	s_waitcnt vmcnt(7)
	buffer_store_dword v3, v2, s[0:3], 0 offen
	s_waitcnt vmcnt(6)
	buffer_store_dword v4, v2, s[0:3], 0 offen offset:4
	s_waitcnt vmcnt(5)
	buffer_store_dword v73, v2, s[0:3], 0 offen offset:8
	;; [unrolled: 2-line block ×6, first 2 shown]
	s_waitcnt vmcnt(0)
	buffer_store_dword v78, v1, s[0:3], 0 offen
.LBB33_238:
	global_load_dword v0, v0, s[20:21] offset:88
	s_waitcnt vmcnt(0)
	v_add_nc_u32_e32 v0, -1, v0
	v_cmp_eq_u32_e32 vcc_lo, 22, v0
	s_cbranch_vccnz .LBB33_240
; %bb.239:
	v_lshlrev_b32_e32 v0, 4, v0
	v_mov_b32_e32 v1, s25
	v_add_nc_u32_e32 v0, 16, v0
	s_clause 0x7
	buffer_load_dword v2, v0, s[0:3], 0 offen
	buffer_load_dword v3, v0, s[0:3], 0 offen offset:4
	buffer_load_dword v4, v0, s[0:3], 0 offen offset:8
	;; [unrolled: 1-line block ×6, first 2 shown]
	buffer_load_dword v77, v1, s[0:3], 0 offen
	s_waitcnt vmcnt(7)
	buffer_store_dword v2, v1, s[0:3], 0 offen
	s_waitcnt vmcnt(6)
	buffer_store_dword v3, v1, s[0:3], 0 offen offset:4
	s_waitcnt vmcnt(5)
	buffer_store_dword v4, v1, s[0:3], 0 offen offset:8
	s_waitcnt vmcnt(4)
	buffer_store_dword v73, v1, s[0:3], 0 offen offset:12
	s_waitcnt vmcnt(3)
	buffer_store_dword v74, v0, s[0:3], 0 offen offset:12
	s_waitcnt vmcnt(2)
	buffer_store_dword v75, v0, s[0:3], 0 offen offset:8
	s_waitcnt vmcnt(1)
	buffer_store_dword v76, v0, s[0:3], 0 offen offset:4
	s_waitcnt vmcnt(0)
	buffer_store_dword v77, v0, s[0:3], 0 offen
.LBB33_240:
	v_mov_b32_e32 v0, 0
	global_load_dword v1, v0, s[20:21] offset:84
	s_waitcnt vmcnt(0)
	v_add_nc_u32_e32 v1, -1, v1
	v_cmp_eq_u32_e32 vcc_lo, 21, v1
	s_cbranch_vccnz .LBB33_242
; %bb.241:
	v_lshlrev_b32_e32 v1, 4, v1
	v_mov_b32_e32 v2, s24
	v_add_nc_u32_e32 v1, 16, v1
	s_clause 0x7
	buffer_load_dword v3, v1, s[0:3], 0 offen
	buffer_load_dword v4, v1, s[0:3], 0 offen offset:4
	buffer_load_dword v73, v1, s[0:3], 0 offen offset:8
	;; [unrolled: 1-line block ×6, first 2 shown]
	buffer_load_dword v78, v2, s[0:3], 0 offen
	s_waitcnt vmcnt(7)
	buffer_store_dword v3, v2, s[0:3], 0 offen
	s_waitcnt vmcnt(6)
	buffer_store_dword v4, v2, s[0:3], 0 offen offset:4
	s_waitcnt vmcnt(5)
	buffer_store_dword v73, v2, s[0:3], 0 offen offset:8
	;; [unrolled: 2-line block ×6, first 2 shown]
	s_waitcnt vmcnt(0)
	buffer_store_dword v78, v1, s[0:3], 0 offen
.LBB33_242:
	global_load_dword v0, v0, s[20:21] offset:80
	s_waitcnt vmcnt(0)
	v_add_nc_u32_e32 v0, -1, v0
	v_cmp_eq_u32_e32 vcc_lo, 20, v0
	s_cbranch_vccnz .LBB33_244
; %bb.243:
	v_lshlrev_b32_e32 v0, 4, v0
	v_mov_b32_e32 v1, s23
	v_add_nc_u32_e32 v0, 16, v0
	s_clause 0x7
	buffer_load_dword v2, v0, s[0:3], 0 offen
	buffer_load_dword v3, v0, s[0:3], 0 offen offset:4
	buffer_load_dword v4, v0, s[0:3], 0 offen offset:8
	buffer_load_dword v73, v0, s[0:3], 0 offen offset:12
	buffer_load_dword v74, v1, s[0:3], 0 offen offset:12
	buffer_load_dword v75, v1, s[0:3], 0 offen offset:8
	buffer_load_dword v76, v1, s[0:3], 0 offen offset:4
	buffer_load_dword v77, v1, s[0:3], 0 offen
	s_waitcnt vmcnt(7)
	buffer_store_dword v2, v1, s[0:3], 0 offen
	s_waitcnt vmcnt(6)
	buffer_store_dword v3, v1, s[0:3], 0 offen offset:4
	s_waitcnt vmcnt(5)
	buffer_store_dword v4, v1, s[0:3], 0 offen offset:8
	;; [unrolled: 2-line block ×6, first 2 shown]
	s_waitcnt vmcnt(0)
	buffer_store_dword v77, v0, s[0:3], 0 offen
.LBB33_244:
	v_mov_b32_e32 v0, 0
	global_load_dword v1, v0, s[20:21] offset:76
	s_waitcnt vmcnt(0)
	v_add_nc_u32_e32 v1, -1, v1
	v_cmp_eq_u32_e32 vcc_lo, 19, v1
	s_cbranch_vccnz .LBB33_246
; %bb.245:
	v_lshlrev_b32_e32 v1, 4, v1
	v_mov_b32_e32 v2, s22
	v_add_nc_u32_e32 v1, 16, v1
	s_clause 0x7
	buffer_load_dword v3, v1, s[0:3], 0 offen
	buffer_load_dword v4, v1, s[0:3], 0 offen offset:4
	buffer_load_dword v73, v1, s[0:3], 0 offen offset:8
	;; [unrolled: 1-line block ×6, first 2 shown]
	buffer_load_dword v78, v2, s[0:3], 0 offen
	s_waitcnt vmcnt(7)
	buffer_store_dword v3, v2, s[0:3], 0 offen
	s_waitcnt vmcnt(6)
	buffer_store_dword v4, v2, s[0:3], 0 offen offset:4
	s_waitcnt vmcnt(5)
	buffer_store_dword v73, v2, s[0:3], 0 offen offset:8
	;; [unrolled: 2-line block ×6, first 2 shown]
	s_waitcnt vmcnt(0)
	buffer_store_dword v78, v1, s[0:3], 0 offen
.LBB33_246:
	global_load_dword v0, v0, s[20:21] offset:72
	s_waitcnt vmcnt(0)
	v_add_nc_u32_e32 v0, -1, v0
	v_cmp_eq_u32_e32 vcc_lo, 18, v0
	s_cbranch_vccnz .LBB33_248
; %bb.247:
	v_lshlrev_b32_e32 v0, 4, v0
	v_mov_b32_e32 v1, s19
	v_add_nc_u32_e32 v0, 16, v0
	s_clause 0x7
	buffer_load_dword v2, v0, s[0:3], 0 offen
	buffer_load_dword v3, v0, s[0:3], 0 offen offset:4
	buffer_load_dword v4, v0, s[0:3], 0 offen offset:8
	;; [unrolled: 1-line block ×6, first 2 shown]
	buffer_load_dword v77, v1, s[0:3], 0 offen
	s_waitcnt vmcnt(7)
	buffer_store_dword v2, v1, s[0:3], 0 offen
	s_waitcnt vmcnt(6)
	buffer_store_dword v3, v1, s[0:3], 0 offen offset:4
	s_waitcnt vmcnt(5)
	buffer_store_dword v4, v1, s[0:3], 0 offen offset:8
	;; [unrolled: 2-line block ×6, first 2 shown]
	s_waitcnt vmcnt(0)
	buffer_store_dword v77, v0, s[0:3], 0 offen
.LBB33_248:
	v_mov_b32_e32 v0, 0
	global_load_dword v1, v0, s[20:21] offset:68
	s_waitcnt vmcnt(0)
	v_add_nc_u32_e32 v1, -1, v1
	v_cmp_eq_u32_e32 vcc_lo, 17, v1
	s_cbranch_vccnz .LBB33_250
; %bb.249:
	v_lshlrev_b32_e32 v1, 4, v1
	v_mov_b32_e32 v2, s18
	v_add_nc_u32_e32 v1, 16, v1
	s_clause 0x7
	buffer_load_dword v3, v1, s[0:3], 0 offen
	buffer_load_dword v4, v1, s[0:3], 0 offen offset:4
	buffer_load_dword v73, v1, s[0:3], 0 offen offset:8
	;; [unrolled: 1-line block ×6, first 2 shown]
	buffer_load_dword v78, v2, s[0:3], 0 offen
	s_waitcnt vmcnt(7)
	buffer_store_dword v3, v2, s[0:3], 0 offen
	s_waitcnt vmcnt(6)
	buffer_store_dword v4, v2, s[0:3], 0 offen offset:4
	s_waitcnt vmcnt(5)
	buffer_store_dword v73, v2, s[0:3], 0 offen offset:8
	;; [unrolled: 2-line block ×6, first 2 shown]
	s_waitcnt vmcnt(0)
	buffer_store_dword v78, v1, s[0:3], 0 offen
.LBB33_250:
	global_load_dword v0, v0, s[20:21] offset:64
	s_waitcnt vmcnt(0)
	v_add_nc_u32_e32 v0, -1, v0
	v_cmp_eq_u32_e32 vcc_lo, 16, v0
	s_cbranch_vccnz .LBB33_252
; %bb.251:
	v_lshlrev_b32_e32 v0, 4, v0
	v_mov_b32_e32 v1, s17
	v_add_nc_u32_e32 v0, 16, v0
	s_clause 0x7
	buffer_load_dword v2, v0, s[0:3], 0 offen
	buffer_load_dword v3, v0, s[0:3], 0 offen offset:4
	buffer_load_dword v4, v0, s[0:3], 0 offen offset:8
	;; [unrolled: 1-line block ×6, first 2 shown]
	buffer_load_dword v77, v1, s[0:3], 0 offen
	s_waitcnt vmcnt(7)
	buffer_store_dword v2, v1, s[0:3], 0 offen
	s_waitcnt vmcnt(6)
	buffer_store_dword v3, v1, s[0:3], 0 offen offset:4
	s_waitcnt vmcnt(5)
	buffer_store_dword v4, v1, s[0:3], 0 offen offset:8
	;; [unrolled: 2-line block ×6, first 2 shown]
	s_waitcnt vmcnt(0)
	buffer_store_dword v77, v0, s[0:3], 0 offen
.LBB33_252:
	v_mov_b32_e32 v0, 0
	global_load_dword v1, v0, s[20:21] offset:60
	s_waitcnt vmcnt(0)
	v_add_nc_u32_e32 v1, -1, v1
	v_cmp_eq_u32_e32 vcc_lo, 15, v1
	s_cbranch_vccnz .LBB33_254
; %bb.253:
	v_lshlrev_b32_e32 v1, 4, v1
	v_mov_b32_e32 v2, s16
	v_add_nc_u32_e32 v1, 16, v1
	s_clause 0x7
	buffer_load_dword v3, v1, s[0:3], 0 offen
	buffer_load_dword v4, v1, s[0:3], 0 offen offset:4
	buffer_load_dword v73, v1, s[0:3], 0 offen offset:8
	;; [unrolled: 1-line block ×6, first 2 shown]
	buffer_load_dword v78, v2, s[0:3], 0 offen
	s_waitcnt vmcnt(7)
	buffer_store_dword v3, v2, s[0:3], 0 offen
	s_waitcnt vmcnt(6)
	buffer_store_dword v4, v2, s[0:3], 0 offen offset:4
	s_waitcnt vmcnt(5)
	buffer_store_dword v73, v2, s[0:3], 0 offen offset:8
	s_waitcnt vmcnt(4)
	buffer_store_dword v74, v2, s[0:3], 0 offen offset:12
	s_waitcnt vmcnt(3)
	buffer_store_dword v75, v1, s[0:3], 0 offen offset:12
	s_waitcnt vmcnt(2)
	buffer_store_dword v76, v1, s[0:3], 0 offen offset:8
	s_waitcnt vmcnt(1)
	buffer_store_dword v77, v1, s[0:3], 0 offen offset:4
	s_waitcnt vmcnt(0)
	buffer_store_dword v78, v1, s[0:3], 0 offen
.LBB33_254:
	global_load_dword v0, v0, s[20:21] offset:56
	s_waitcnt vmcnt(0)
	v_add_nc_u32_e32 v0, -1, v0
	v_cmp_eq_u32_e32 vcc_lo, 14, v0
	s_cbranch_vccnz .LBB33_256
; %bb.255:
	v_lshlrev_b32_e32 v0, 4, v0
	v_mov_b32_e32 v1, s15
	v_add_nc_u32_e32 v0, 16, v0
	s_clause 0x7
	buffer_load_dword v2, v0, s[0:3], 0 offen
	buffer_load_dword v3, v0, s[0:3], 0 offen offset:4
	buffer_load_dword v4, v0, s[0:3], 0 offen offset:8
	;; [unrolled: 1-line block ×6, first 2 shown]
	buffer_load_dword v77, v1, s[0:3], 0 offen
	s_waitcnt vmcnt(7)
	buffer_store_dword v2, v1, s[0:3], 0 offen
	s_waitcnt vmcnt(6)
	buffer_store_dword v3, v1, s[0:3], 0 offen offset:4
	s_waitcnt vmcnt(5)
	buffer_store_dword v4, v1, s[0:3], 0 offen offset:8
	;; [unrolled: 2-line block ×6, first 2 shown]
	s_waitcnt vmcnt(0)
	buffer_store_dword v77, v0, s[0:3], 0 offen
.LBB33_256:
	v_mov_b32_e32 v0, 0
	global_load_dword v1, v0, s[20:21] offset:52
	s_waitcnt vmcnt(0)
	v_add_nc_u32_e32 v1, -1, v1
	v_cmp_eq_u32_e32 vcc_lo, 13, v1
	s_cbranch_vccnz .LBB33_258
; %bb.257:
	v_lshlrev_b32_e32 v1, 4, v1
	v_mov_b32_e32 v2, s14
	v_add_nc_u32_e32 v1, 16, v1
	s_clause 0x7
	buffer_load_dword v3, v1, s[0:3], 0 offen
	buffer_load_dword v4, v1, s[0:3], 0 offen offset:4
	buffer_load_dword v73, v1, s[0:3], 0 offen offset:8
	;; [unrolled: 1-line block ×6, first 2 shown]
	buffer_load_dword v78, v2, s[0:3], 0 offen
	s_waitcnt vmcnt(7)
	buffer_store_dword v3, v2, s[0:3], 0 offen
	s_waitcnt vmcnt(6)
	buffer_store_dword v4, v2, s[0:3], 0 offen offset:4
	s_waitcnt vmcnt(5)
	buffer_store_dword v73, v2, s[0:3], 0 offen offset:8
	;; [unrolled: 2-line block ×6, first 2 shown]
	s_waitcnt vmcnt(0)
	buffer_store_dword v78, v1, s[0:3], 0 offen
.LBB33_258:
	global_load_dword v0, v0, s[20:21] offset:48
	s_waitcnt vmcnt(0)
	v_add_nc_u32_e32 v0, -1, v0
	v_cmp_eq_u32_e32 vcc_lo, 12, v0
	s_cbranch_vccnz .LBB33_260
; %bb.259:
	v_lshlrev_b32_e32 v0, 4, v0
	v_mov_b32_e32 v1, s13
	v_add_nc_u32_e32 v0, 16, v0
	s_clause 0x7
	buffer_load_dword v2, v0, s[0:3], 0 offen
	buffer_load_dword v3, v0, s[0:3], 0 offen offset:4
	buffer_load_dword v4, v0, s[0:3], 0 offen offset:8
	;; [unrolled: 1-line block ×6, first 2 shown]
	buffer_load_dword v77, v1, s[0:3], 0 offen
	s_waitcnt vmcnt(7)
	buffer_store_dword v2, v1, s[0:3], 0 offen
	s_waitcnt vmcnt(6)
	buffer_store_dword v3, v1, s[0:3], 0 offen offset:4
	s_waitcnt vmcnt(5)
	buffer_store_dword v4, v1, s[0:3], 0 offen offset:8
	;; [unrolled: 2-line block ×6, first 2 shown]
	s_waitcnt vmcnt(0)
	buffer_store_dword v77, v0, s[0:3], 0 offen
.LBB33_260:
	v_mov_b32_e32 v0, 0
	global_load_dword v1, v0, s[20:21] offset:44
	s_waitcnt vmcnt(0)
	v_add_nc_u32_e32 v1, -1, v1
	v_cmp_eq_u32_e32 vcc_lo, 11, v1
	s_cbranch_vccnz .LBB33_262
; %bb.261:
	v_lshlrev_b32_e32 v1, 4, v1
	v_mov_b32_e32 v2, s12
	v_add_nc_u32_e32 v1, 16, v1
	s_clause 0x7
	buffer_load_dword v3, v1, s[0:3], 0 offen
	buffer_load_dword v4, v1, s[0:3], 0 offen offset:4
	buffer_load_dword v73, v1, s[0:3], 0 offen offset:8
	buffer_load_dword v74, v1, s[0:3], 0 offen offset:12
	buffer_load_dword v75, v2, s[0:3], 0 offen offset:12
	buffer_load_dword v76, v2, s[0:3], 0 offen offset:8
	buffer_load_dword v77, v2, s[0:3], 0 offen offset:4
	buffer_load_dword v78, v2, s[0:3], 0 offen
	s_waitcnt vmcnt(7)
	buffer_store_dword v3, v2, s[0:3], 0 offen
	s_waitcnt vmcnt(6)
	buffer_store_dword v4, v2, s[0:3], 0 offen offset:4
	s_waitcnt vmcnt(5)
	buffer_store_dword v73, v2, s[0:3], 0 offen offset:8
	;; [unrolled: 2-line block ×6, first 2 shown]
	s_waitcnt vmcnt(0)
	buffer_store_dword v78, v1, s[0:3], 0 offen
.LBB33_262:
	global_load_dword v0, v0, s[20:21] offset:40
	s_waitcnt vmcnt(0)
	v_add_nc_u32_e32 v0, -1, v0
	v_cmp_eq_u32_e32 vcc_lo, 10, v0
	s_cbranch_vccnz .LBB33_264
; %bb.263:
	v_lshlrev_b32_e32 v0, 4, v0
	v_mov_b32_e32 v1, s9
	v_add_nc_u32_e32 v0, 16, v0
	s_clause 0x7
	buffer_load_dword v2, v0, s[0:3], 0 offen
	buffer_load_dword v3, v0, s[0:3], 0 offen offset:4
	buffer_load_dword v4, v0, s[0:3], 0 offen offset:8
	;; [unrolled: 1-line block ×6, first 2 shown]
	buffer_load_dword v77, v1, s[0:3], 0 offen
	s_waitcnt vmcnt(7)
	buffer_store_dword v2, v1, s[0:3], 0 offen
	s_waitcnt vmcnt(6)
	buffer_store_dword v3, v1, s[0:3], 0 offen offset:4
	s_waitcnt vmcnt(5)
	buffer_store_dword v4, v1, s[0:3], 0 offen offset:8
	;; [unrolled: 2-line block ×6, first 2 shown]
	s_waitcnt vmcnt(0)
	buffer_store_dword v77, v0, s[0:3], 0 offen
.LBB33_264:
	v_mov_b32_e32 v0, 0
	global_load_dword v1, v0, s[20:21] offset:36
	s_waitcnt vmcnt(0)
	v_add_nc_u32_e32 v1, -1, v1
	v_cmp_eq_u32_e32 vcc_lo, 9, v1
	s_cbranch_vccnz .LBB33_266
; %bb.265:
	v_lshlrev_b32_e32 v1, 4, v1
	v_mov_b32_e32 v2, s37
	v_add_nc_u32_e32 v1, 16, v1
	s_clause 0x7
	buffer_load_dword v3, v1, s[0:3], 0 offen
	buffer_load_dword v4, v1, s[0:3], 0 offen offset:4
	buffer_load_dword v73, v1, s[0:3], 0 offen offset:8
	;; [unrolled: 1-line block ×6, first 2 shown]
	buffer_load_dword v78, v2, s[0:3], 0 offen
	s_waitcnt vmcnt(7)
	buffer_store_dword v3, v2, s[0:3], 0 offen
	s_waitcnt vmcnt(6)
	buffer_store_dword v4, v2, s[0:3], 0 offen offset:4
	s_waitcnt vmcnt(5)
	buffer_store_dword v73, v2, s[0:3], 0 offen offset:8
	;; [unrolled: 2-line block ×6, first 2 shown]
	s_waitcnt vmcnt(0)
	buffer_store_dword v78, v1, s[0:3], 0 offen
.LBB33_266:
	global_load_dword v0, v0, s[20:21] offset:32
	s_waitcnt vmcnt(0)
	v_add_nc_u32_e32 v0, -1, v0
	v_cmp_eq_u32_e32 vcc_lo, 8, v0
	s_cbranch_vccnz .LBB33_268
; %bb.267:
	v_lshlrev_b32_e32 v0, 4, v0
	v_mov_b32_e32 v1, s38
	v_add_nc_u32_e32 v0, 16, v0
	s_clause 0x7
	buffer_load_dword v2, v0, s[0:3], 0 offen
	buffer_load_dword v3, v0, s[0:3], 0 offen offset:4
	buffer_load_dword v4, v0, s[0:3], 0 offen offset:8
	;; [unrolled: 1-line block ×6, first 2 shown]
	buffer_load_dword v77, v1, s[0:3], 0 offen
	s_waitcnt vmcnt(7)
	buffer_store_dword v2, v1, s[0:3], 0 offen
	s_waitcnt vmcnt(6)
	buffer_store_dword v3, v1, s[0:3], 0 offen offset:4
	s_waitcnt vmcnt(5)
	buffer_store_dword v4, v1, s[0:3], 0 offen offset:8
	;; [unrolled: 2-line block ×6, first 2 shown]
	s_waitcnt vmcnt(0)
	buffer_store_dword v77, v0, s[0:3], 0 offen
.LBB33_268:
	v_mov_b32_e32 v0, 0
	global_load_dword v1, v0, s[20:21] offset:28
	s_waitcnt vmcnt(0)
	v_add_nc_u32_e32 v1, -1, v1
	v_cmp_eq_u32_e32 vcc_lo, 7, v1
	s_cbranch_vccnz .LBB33_270
; %bb.269:
	v_lshlrev_b32_e32 v1, 4, v1
	v_mov_b32_e32 v2, s39
	v_add_nc_u32_e32 v1, 16, v1
	s_clause 0x7
	buffer_load_dword v3, v1, s[0:3], 0 offen
	buffer_load_dword v4, v1, s[0:3], 0 offen offset:4
	buffer_load_dword v73, v1, s[0:3], 0 offen offset:8
	;; [unrolled: 1-line block ×6, first 2 shown]
	buffer_load_dword v78, v2, s[0:3], 0 offen
	s_waitcnt vmcnt(7)
	buffer_store_dword v3, v2, s[0:3], 0 offen
	s_waitcnt vmcnt(6)
	buffer_store_dword v4, v2, s[0:3], 0 offen offset:4
	s_waitcnt vmcnt(5)
	buffer_store_dword v73, v2, s[0:3], 0 offen offset:8
	;; [unrolled: 2-line block ×6, first 2 shown]
	s_waitcnt vmcnt(0)
	buffer_store_dword v78, v1, s[0:3], 0 offen
.LBB33_270:
	global_load_dword v0, v0, s[20:21] offset:24
	s_waitcnt vmcnt(0)
	v_add_nc_u32_e32 v0, -1, v0
	v_cmp_eq_u32_e32 vcc_lo, 6, v0
	s_cbranch_vccnz .LBB33_272
; %bb.271:
	v_lshlrev_b32_e32 v0, 4, v0
	v_mov_b32_e32 v1, s40
	v_add_nc_u32_e32 v0, 16, v0
	s_clause 0x7
	buffer_load_dword v2, v0, s[0:3], 0 offen
	buffer_load_dword v3, v0, s[0:3], 0 offen offset:4
	buffer_load_dword v4, v0, s[0:3], 0 offen offset:8
	buffer_load_dword v73, v0, s[0:3], 0 offen offset:12
	buffer_load_dword v74, v1, s[0:3], 0 offen offset:12
	buffer_load_dword v75, v1, s[0:3], 0 offen offset:8
	buffer_load_dword v76, v1, s[0:3], 0 offen offset:4
	buffer_load_dword v77, v1, s[0:3], 0 offen
	s_waitcnt vmcnt(7)
	buffer_store_dword v2, v1, s[0:3], 0 offen
	s_waitcnt vmcnt(6)
	buffer_store_dword v3, v1, s[0:3], 0 offen offset:4
	s_waitcnt vmcnt(5)
	buffer_store_dword v4, v1, s[0:3], 0 offen offset:8
	;; [unrolled: 2-line block ×6, first 2 shown]
	s_waitcnt vmcnt(0)
	buffer_store_dword v77, v0, s[0:3], 0 offen
.LBB33_272:
	v_mov_b32_e32 v0, 0
	global_load_dword v1, v0, s[20:21] offset:20
	s_waitcnt vmcnt(0)
	v_add_nc_u32_e32 v1, -1, v1
	v_cmp_eq_u32_e32 vcc_lo, 5, v1
	s_cbranch_vccnz .LBB33_274
; %bb.273:
	v_lshlrev_b32_e32 v1, 4, v1
	v_mov_b32_e32 v2, s41
	v_add_nc_u32_e32 v1, 16, v1
	s_clause 0x7
	buffer_load_dword v3, v1, s[0:3], 0 offen
	buffer_load_dword v4, v1, s[0:3], 0 offen offset:4
	buffer_load_dword v73, v1, s[0:3], 0 offen offset:8
	;; [unrolled: 1-line block ×6, first 2 shown]
	buffer_load_dword v78, v2, s[0:3], 0 offen
	s_waitcnt vmcnt(7)
	buffer_store_dword v3, v2, s[0:3], 0 offen
	s_waitcnt vmcnt(6)
	buffer_store_dword v4, v2, s[0:3], 0 offen offset:4
	s_waitcnt vmcnt(5)
	buffer_store_dword v73, v2, s[0:3], 0 offen offset:8
	;; [unrolled: 2-line block ×6, first 2 shown]
	s_waitcnt vmcnt(0)
	buffer_store_dword v78, v1, s[0:3], 0 offen
.LBB33_274:
	global_load_dword v0, v0, s[20:21] offset:16
	s_waitcnt vmcnt(0)
	v_add_nc_u32_e32 v0, -1, v0
	v_cmp_eq_u32_e32 vcc_lo, 4, v0
	s_cbranch_vccnz .LBB33_276
; %bb.275:
	v_lshlrev_b32_e32 v0, 4, v0
	v_mov_b32_e32 v1, s42
	v_add_nc_u32_e32 v0, 16, v0
	s_clause 0x7
	buffer_load_dword v2, v0, s[0:3], 0 offen
	buffer_load_dword v3, v0, s[0:3], 0 offen offset:4
	buffer_load_dword v4, v0, s[0:3], 0 offen offset:8
	buffer_load_dword v73, v0, s[0:3], 0 offen offset:12
	buffer_load_dword v74, v1, s[0:3], 0 offen offset:12
	buffer_load_dword v75, v1, s[0:3], 0 offen offset:8
	buffer_load_dword v76, v1, s[0:3], 0 offen offset:4
	buffer_load_dword v77, v1, s[0:3], 0 offen
	s_waitcnt vmcnt(7)
	buffer_store_dword v2, v1, s[0:3], 0 offen
	s_waitcnt vmcnt(6)
	buffer_store_dword v3, v1, s[0:3], 0 offen offset:4
	s_waitcnt vmcnt(5)
	buffer_store_dword v4, v1, s[0:3], 0 offen offset:8
	;; [unrolled: 2-line block ×6, first 2 shown]
	s_waitcnt vmcnt(0)
	buffer_store_dword v77, v0, s[0:3], 0 offen
.LBB33_276:
	v_mov_b32_e32 v0, 0
	global_load_dword v1, v0, s[20:21] offset:12
	s_waitcnt vmcnt(0)
	v_add_nc_u32_e32 v1, -1, v1
	v_cmp_eq_u32_e32 vcc_lo, 3, v1
	s_cbranch_vccnz .LBB33_278
; %bb.277:
	v_lshlrev_b32_e32 v1, 4, v1
	v_mov_b32_e32 v2, s44
	v_add_nc_u32_e32 v1, 16, v1
	s_clause 0x7
	buffer_load_dword v3, v1, s[0:3], 0 offen
	buffer_load_dword v4, v1, s[0:3], 0 offen offset:4
	buffer_load_dword v73, v1, s[0:3], 0 offen offset:8
	;; [unrolled: 1-line block ×6, first 2 shown]
	buffer_load_dword v78, v2, s[0:3], 0 offen
	s_waitcnt vmcnt(7)
	buffer_store_dword v3, v2, s[0:3], 0 offen
	s_waitcnt vmcnt(6)
	buffer_store_dword v4, v2, s[0:3], 0 offen offset:4
	s_waitcnt vmcnt(5)
	buffer_store_dword v73, v2, s[0:3], 0 offen offset:8
	;; [unrolled: 2-line block ×6, first 2 shown]
	s_waitcnt vmcnt(0)
	buffer_store_dword v78, v1, s[0:3], 0 offen
.LBB33_278:
	global_load_dword v0, v0, s[20:21] offset:8
	s_waitcnt vmcnt(0)
	v_add_nc_u32_e32 v0, -1, v0
	v_cmp_eq_u32_e32 vcc_lo, 2, v0
	s_cbranch_vccnz .LBB33_280
; %bb.279:
	v_lshlrev_b32_e32 v0, 4, v0
	v_mov_b32_e32 v1, s45
	v_add_nc_u32_e32 v0, 16, v0
	s_clause 0x7
	buffer_load_dword v2, v0, s[0:3], 0 offen
	buffer_load_dword v3, v0, s[0:3], 0 offen offset:4
	buffer_load_dword v4, v0, s[0:3], 0 offen offset:8
	;; [unrolled: 1-line block ×6, first 2 shown]
	buffer_load_dword v77, v1, s[0:3], 0 offen
	s_waitcnt vmcnt(7)
	buffer_store_dword v2, v1, s[0:3], 0 offen
	s_waitcnt vmcnt(6)
	buffer_store_dword v3, v1, s[0:3], 0 offen offset:4
	s_waitcnt vmcnt(5)
	buffer_store_dword v4, v1, s[0:3], 0 offen offset:8
	s_waitcnt vmcnt(4)
	buffer_store_dword v73, v1, s[0:3], 0 offen offset:12
	s_waitcnt vmcnt(3)
	buffer_store_dword v74, v0, s[0:3], 0 offen offset:12
	s_waitcnt vmcnt(2)
	buffer_store_dword v75, v0, s[0:3], 0 offen offset:8
	s_waitcnt vmcnt(1)
	buffer_store_dword v76, v0, s[0:3], 0 offen offset:4
	s_waitcnt vmcnt(0)
	buffer_store_dword v77, v0, s[0:3], 0 offen
.LBB33_280:
	v_mov_b32_e32 v0, 0
	global_load_dword v1, v0, s[20:21] offset:4
	s_waitcnt vmcnt(0)
	v_add_nc_u32_e32 v1, -1, v1
	v_cmp_eq_u32_e32 vcc_lo, 1, v1
	s_cbranch_vccnz .LBB33_282
; %bb.281:
	v_lshlrev_b32_e32 v1, 4, v1
	v_mov_b32_e32 v2, s46
	v_add_nc_u32_e32 v1, 16, v1
	s_clause 0x7
	buffer_load_dword v3, v1, s[0:3], 0 offen
	buffer_load_dword v4, v1, s[0:3], 0 offen offset:4
	buffer_load_dword v73, v1, s[0:3], 0 offen offset:8
	;; [unrolled: 1-line block ×6, first 2 shown]
	buffer_load_dword v78, v2, s[0:3], 0 offen
	s_waitcnt vmcnt(7)
	buffer_store_dword v3, v2, s[0:3], 0 offen
	s_waitcnt vmcnt(6)
	buffer_store_dword v4, v2, s[0:3], 0 offen offset:4
	s_waitcnt vmcnt(5)
	buffer_store_dword v73, v2, s[0:3], 0 offen offset:8
	;; [unrolled: 2-line block ×6, first 2 shown]
	s_waitcnt vmcnt(0)
	buffer_store_dword v78, v1, s[0:3], 0 offen
.LBB33_282:
	global_load_dword v0, v0, s[20:21]
	s_waitcnt vmcnt(0)
	v_add_nc_u32_e32 v0, -1, v0
	v_cmp_eq_u32_e32 vcc_lo, 0, v0
	s_cbranch_vccnz .LBB33_284
; %bb.283:
	v_lshlrev_b32_e32 v0, 4, v0
	v_add_nc_u32_e32 v0, 16, v0
	s_clause 0x7
	buffer_load_dword v1, v0, s[0:3], 0 offen
	buffer_load_dword v2, v0, s[0:3], 0 offen offset:4
	buffer_load_dword v3, v0, s[0:3], 0 offen offset:8
	;; [unrolled: 1-line block ×3, first 2 shown]
	buffer_load_dword v73, off, s[0:3], 0 offset:28
	buffer_load_dword v74, off, s[0:3], 0 offset:24
	;; [unrolled: 1-line block ×4, first 2 shown]
	s_waitcnt vmcnt(7)
	buffer_store_dword v1, off, s[0:3], 0 offset:16
	s_waitcnt vmcnt(6)
	buffer_store_dword v2, off, s[0:3], 0 offset:20
	;; [unrolled: 2-line block ×4, first 2 shown]
	s_waitcnt vmcnt(3)
	buffer_store_dword v73, v0, s[0:3], 0 offen offset:12
	s_waitcnt vmcnt(2)
	buffer_store_dword v74, v0, s[0:3], 0 offen offset:8
	;; [unrolled: 2-line block ×3, first 2 shown]
	s_waitcnt vmcnt(0)
	buffer_store_dword v76, v0, s[0:3], 0 offen
.LBB33_284:
	v_mov_b32_e32 v4, s46
	s_clause 0x3
	buffer_load_dword v0, off, s[0:3], 0 offset:16
	buffer_load_dword v1, off, s[0:3], 0 offset:20
	;; [unrolled: 1-line block ×4, first 2 shown]
	v_mov_b32_e32 v141, s19
	v_mov_b32_e32 v145, s23
	;; [unrolled: 1-line block ×3, first 2 shown]
	s_clause 0x3
	buffer_load_dword v73, v4, s[0:3], 0 offen
	buffer_load_dword v74, v4, s[0:3], 0 offen offset:4
	buffer_load_dword v75, v4, s[0:3], 0 offen offset:8
	;; [unrolled: 1-line block ×3, first 2 shown]
	v_mov_b32_e32 v4, s45
	v_mov_b32_e32 v108, s37
	;; [unrolled: 1-line block ×4, first 2 shown]
	s_clause 0x3
	buffer_load_dword v77, v4, s[0:3], 0 offen
	buffer_load_dword v78, v4, s[0:3], 0 offen offset:4
	buffer_load_dword v79, v4, s[0:3], 0 offen offset:8
	;; [unrolled: 1-line block ×3, first 2 shown]
	v_mov_b32_e32 v4, s44
	v_mov_b32_e32 v120, s13
	;; [unrolled: 1-line block ×3, first 2 shown]
	s_clause 0x3
	buffer_load_dword v81, v4, s[0:3], 0 offen
	buffer_load_dword v82, v4, s[0:3], 0 offen offset:4
	buffer_load_dword v83, v4, s[0:3], 0 offen offset:8
	;; [unrolled: 1-line block ×3, first 2 shown]
	v_mov_b32_e32 v4, s42
	v_mov_b32_e32 v128, s15
	s_clause 0x3
	buffer_load_dword v85, v4, s[0:3], 0 offen
	buffer_load_dword v86, v4, s[0:3], 0 offen offset:4
	buffer_load_dword v87, v4, s[0:3], 0 offen offset:8
	buffer_load_dword v88, v4, s[0:3], 0 offen offset:12
	v_mov_b32_e32 v4, s41
	s_clause 0x3
	buffer_load_dword v89, v4, s[0:3], 0 offen
	buffer_load_dword v90, v4, s[0:3], 0 offen offset:4
	buffer_load_dword v91, v4, s[0:3], 0 offen offset:8
	buffer_load_dword v92, v4, s[0:3], 0 offen offset:12
	;; [unrolled: 6-line block ×4, first 2 shown]
	v_mov_b32_e32 v4, s38
	v_mov_b32_e32 v132, s16
	;; [unrolled: 1-line block ×7, first 2 shown]
	s_clause 0x27
	buffer_load_dword v101, v4, s[0:3], 0 offen
	buffer_load_dword v102, v4, s[0:3], 0 offen offset:4
	buffer_load_dword v103, v4, s[0:3], 0 offen offset:8
	buffer_load_dword v104, v4, s[0:3], 0 offen offset:12
	buffer_load_dword v105, v108, s[0:3], 0 offen
	buffer_load_dword v106, v108, s[0:3], 0 offen offset:4
	buffer_load_dword v107, v108, s[0:3], 0 offen offset:8
	buffer_load_dword v108, v108, s[0:3], 0 offen offset:12
	;; [unrolled: 4-line block ×10, first 2 shown]
	v_mov_b32_e32 v146, s24
	v_mov_b32_e32 v157, s31
	;; [unrolled: 1-line block ×9, first 2 shown]
	s_waitcnt vmcnt(62)
	global_store_dwordx4 v[5:6], v[0:3], off
	s_clause 0x7
	buffer_load_dword v0, v141, s[0:3], 0 offen
	buffer_load_dword v1, v141, s[0:3], 0 offen offset:4
	buffer_load_dword v2, v141, s[0:3], 0 offen offset:8
	;; [unrolled: 1-line block ×3, first 2 shown]
	buffer_load_dword v141, v144, s[0:3], 0 offen
	buffer_load_dword v142, v144, s[0:3], 0 offen offset:4
	buffer_load_dword v143, v144, s[0:3], 0 offen offset:8
	;; [unrolled: 1-line block ×3, first 2 shown]
	global_store_dwordx4 v[7:8], v[73:76], off
	s_clause 0x7
	buffer_load_dword v4, v145, s[0:3], 0 offen
	buffer_load_dword v5, v145, s[0:3], 0 offen offset:4
	buffer_load_dword v6, v145, s[0:3], 0 offen offset:8
	;; [unrolled: 1-line block ×3, first 2 shown]
	buffer_load_dword v73, v146, s[0:3], 0 offen
	buffer_load_dword v74, v146, s[0:3], 0 offen offset:4
	buffer_load_dword v75, v146, s[0:3], 0 offen offset:8
	;; [unrolled: 1-line block ×3, first 2 shown]
	s_waitcnt vmcnt(62)
	global_store_dwordx4 v[21:22], v[77:80], off
	s_clause 0x7
	buffer_load_dword v77, v147, s[0:3], 0 offen
	buffer_load_dword v78, v147, s[0:3], 0 offen offset:4
	buffer_load_dword v79, v147, s[0:3], 0 offen offset:8
	buffer_load_dword v80, v147, s[0:3], 0 offen offset:12
	buffer_load_dword v145, v148, s[0:3], 0 offen
	buffer_load_dword v146, v148, s[0:3], 0 offen offset:4
	buffer_load_dword v147, v148, s[0:3], 0 offen offset:8
	buffer_load_dword v148, v148, s[0:3], 0 offen offset:12
	global_store_dwordx4 v[9:10], v[81:84], off
	s_clause 0x7
	buffer_load_dword v81, v149, s[0:3], 0 offen
	buffer_load_dword v82, v149, s[0:3], 0 offen offset:4
	buffer_load_dword v83, v149, s[0:3], 0 offen offset:8
	buffer_load_dword v84, v149, s[0:3], 0 offen offset:12
	buffer_load_dword v149, v152, s[0:3], 0 offen
	buffer_load_dword v150, v152, s[0:3], 0 offen offset:4
	buffer_load_dword v151, v152, s[0:3], 0 offen offset:8
	buffer_load_dword v152, v152, s[0:3], 0 offen offset:12
	;; [unrolled: 10-line block ×4, first 2 shown]
	v_mov_b32_e32 v157, s8
	s_waitcnt vmcnt(62)
	global_store_dwordx4 v[11:12], v[93:96], off
	s_clause 0x7
	buffer_load_dword v8, v159, s[0:3], 0 offen
	buffer_load_dword v9, v159, s[0:3], 0 offen offset:4
	buffer_load_dword v10, v159, s[0:3], 0 offen offset:8
	;; [unrolled: 1-line block ×3, first 2 shown]
	buffer_load_dword v93, v160, s[0:3], 0 offen
	buffer_load_dword v94, v160, s[0:3], 0 offen offset:4
	buffer_load_dword v95, v160, s[0:3], 0 offen offset:8
	;; [unrolled: 1-line block ×3, first 2 shown]
	global_store_dwordx4 v[15:16], v[97:100], off
	s_clause 0x7
	buffer_load_dword v12, v161, s[0:3], 0 offen
	buffer_load_dword v13, v161, s[0:3], 0 offen offset:4
	buffer_load_dword v14, v161, s[0:3], 0 offen offset:8
	;; [unrolled: 1-line block ×3, first 2 shown]
	buffer_load_dword v97, v157, s[0:3], 0 offen
	buffer_load_dword v98, v157, s[0:3], 0 offen offset:4
	buffer_load_dword v99, v157, s[0:3], 0 offen offset:8
	;; [unrolled: 1-line block ×3, first 2 shown]
	global_store_dwordx4 v[17:18], v[101:104], off
	global_store_dwordx4 v[19:20], v[105:108], off
	;; [unrolled: 1-line block ×6, first 2 shown]
	s_waitcnt vmcnt(62)
	global_store_dwordx4 v[33:34], v[125:128], off
	global_store_dwordx4 v[35:36], v[129:132], off
	global_store_dwordx4 v[37:38], v[133:136], off
	global_store_dwordx4 v[39:40], v[137:140], off
	s_waitcnt vmcnt(60)
	global_store_dwordx4 v[41:42], v[0:3], off
	s_waitcnt vmcnt(56)
	global_store_dwordx4 v[43:44], v[141:144], off
	;; [unrolled: 2-line block ×16, first 2 shown]
	s_endpgm
	.section	.rodata,"a",@progbits
	.p2align	6, 0x0
	.amdhsa_kernel _ZN9rocsolver6v33100L18getri_kernel_smallILi34E19rocblas_complex_numIdEPS3_EEvT1_iilPiilS6_bb
		.amdhsa_group_segment_fixed_size 1096
		.amdhsa_private_segment_fixed_size 576
		.amdhsa_kernarg_size 60
		.amdhsa_user_sgpr_count 6
		.amdhsa_user_sgpr_private_segment_buffer 1
		.amdhsa_user_sgpr_dispatch_ptr 0
		.amdhsa_user_sgpr_queue_ptr 0
		.amdhsa_user_sgpr_kernarg_segment_ptr 1
		.amdhsa_user_sgpr_dispatch_id 0
		.amdhsa_user_sgpr_flat_scratch_init 0
		.amdhsa_user_sgpr_private_segment_size 0
		.amdhsa_wavefront_size32 1
		.amdhsa_uses_dynamic_stack 0
		.amdhsa_system_sgpr_private_segment_wavefront_offset 1
		.amdhsa_system_sgpr_workgroup_id_x 1
		.amdhsa_system_sgpr_workgroup_id_y 0
		.amdhsa_system_sgpr_workgroup_id_z 0
		.amdhsa_system_sgpr_workgroup_info 0
		.amdhsa_system_vgpr_workitem_id 0
		.amdhsa_next_free_vgpr 164
		.amdhsa_next_free_sgpr 52
		.amdhsa_reserve_vcc 1
		.amdhsa_reserve_flat_scratch 0
		.amdhsa_float_round_mode_32 0
		.amdhsa_float_round_mode_16_64 0
		.amdhsa_float_denorm_mode_32 3
		.amdhsa_float_denorm_mode_16_64 3
		.amdhsa_dx10_clamp 1
		.amdhsa_ieee_mode 1
		.amdhsa_fp16_overflow 0
		.amdhsa_workgroup_processor_mode 1
		.amdhsa_memory_ordered 1
		.amdhsa_forward_progress 1
		.amdhsa_shared_vgpr_count 0
		.amdhsa_exception_fp_ieee_invalid_op 0
		.amdhsa_exception_fp_denorm_src 0
		.amdhsa_exception_fp_ieee_div_zero 0
		.amdhsa_exception_fp_ieee_overflow 0
		.amdhsa_exception_fp_ieee_underflow 0
		.amdhsa_exception_fp_ieee_inexact 0
		.amdhsa_exception_int_div_zero 0
	.end_amdhsa_kernel
	.section	.text._ZN9rocsolver6v33100L18getri_kernel_smallILi34E19rocblas_complex_numIdEPS3_EEvT1_iilPiilS6_bb,"axG",@progbits,_ZN9rocsolver6v33100L18getri_kernel_smallILi34E19rocblas_complex_numIdEPS3_EEvT1_iilPiilS6_bb,comdat
.Lfunc_end33:
	.size	_ZN9rocsolver6v33100L18getri_kernel_smallILi34E19rocblas_complex_numIdEPS3_EEvT1_iilPiilS6_bb, .Lfunc_end33-_ZN9rocsolver6v33100L18getri_kernel_smallILi34E19rocblas_complex_numIdEPS3_EEvT1_iilPiilS6_bb
                                        ; -- End function
	.set _ZN9rocsolver6v33100L18getri_kernel_smallILi34E19rocblas_complex_numIdEPS3_EEvT1_iilPiilS6_bb.num_vgpr, 164
	.set _ZN9rocsolver6v33100L18getri_kernel_smallILi34E19rocblas_complex_numIdEPS3_EEvT1_iilPiilS6_bb.num_agpr, 0
	.set _ZN9rocsolver6v33100L18getri_kernel_smallILi34E19rocblas_complex_numIdEPS3_EEvT1_iilPiilS6_bb.numbered_sgpr, 52
	.set _ZN9rocsolver6v33100L18getri_kernel_smallILi34E19rocblas_complex_numIdEPS3_EEvT1_iilPiilS6_bb.num_named_barrier, 0
	.set _ZN9rocsolver6v33100L18getri_kernel_smallILi34E19rocblas_complex_numIdEPS3_EEvT1_iilPiilS6_bb.private_seg_size, 576
	.set _ZN9rocsolver6v33100L18getri_kernel_smallILi34E19rocblas_complex_numIdEPS3_EEvT1_iilPiilS6_bb.uses_vcc, 1
	.set _ZN9rocsolver6v33100L18getri_kernel_smallILi34E19rocblas_complex_numIdEPS3_EEvT1_iilPiilS6_bb.uses_flat_scratch, 0
	.set _ZN9rocsolver6v33100L18getri_kernel_smallILi34E19rocblas_complex_numIdEPS3_EEvT1_iilPiilS6_bb.has_dyn_sized_stack, 0
	.set _ZN9rocsolver6v33100L18getri_kernel_smallILi34E19rocblas_complex_numIdEPS3_EEvT1_iilPiilS6_bb.has_recursion, 0
	.set _ZN9rocsolver6v33100L18getri_kernel_smallILi34E19rocblas_complex_numIdEPS3_EEvT1_iilPiilS6_bb.has_indirect_call, 0
	.section	.AMDGPU.csdata,"",@progbits
; Kernel info:
; codeLenInByte = 86692
; TotalNumSgprs: 54
; NumVgprs: 164
; ScratchSize: 576
; MemoryBound: 0
; FloatMode: 240
; IeeeMode: 1
; LDSByteSize: 1096 bytes/workgroup (compile time only)
; SGPRBlocks: 0
; VGPRBlocks: 20
; NumSGPRsForWavesPerEU: 54
; NumVGPRsForWavesPerEU: 164
; Occupancy: 5
; WaveLimiterHint : 1
; COMPUTE_PGM_RSRC2:SCRATCH_EN: 1
; COMPUTE_PGM_RSRC2:USER_SGPR: 6
; COMPUTE_PGM_RSRC2:TRAP_HANDLER: 0
; COMPUTE_PGM_RSRC2:TGID_X_EN: 1
; COMPUTE_PGM_RSRC2:TGID_Y_EN: 0
; COMPUTE_PGM_RSRC2:TGID_Z_EN: 0
; COMPUTE_PGM_RSRC2:TIDIG_COMP_CNT: 0
	.section	.text._ZN9rocsolver6v33100L18getri_kernel_smallILi35E19rocblas_complex_numIdEPS3_EEvT1_iilPiilS6_bb,"axG",@progbits,_ZN9rocsolver6v33100L18getri_kernel_smallILi35E19rocblas_complex_numIdEPS3_EEvT1_iilPiilS6_bb,comdat
	.globl	_ZN9rocsolver6v33100L18getri_kernel_smallILi35E19rocblas_complex_numIdEPS3_EEvT1_iilPiilS6_bb ; -- Begin function _ZN9rocsolver6v33100L18getri_kernel_smallILi35E19rocblas_complex_numIdEPS3_EEvT1_iilPiilS6_bb
	.p2align	8
	.type	_ZN9rocsolver6v33100L18getri_kernel_smallILi35E19rocblas_complex_numIdEPS3_EEvT1_iilPiilS6_bb,@function
_ZN9rocsolver6v33100L18getri_kernel_smallILi35E19rocblas_complex_numIdEPS3_EEvT1_iilPiilS6_bb: ; @_ZN9rocsolver6v33100L18getri_kernel_smallILi35E19rocblas_complex_numIdEPS3_EEvT1_iilPiilS6_bb
; %bb.0:
	s_add_u32 s0, s0, s7
	s_addc_u32 s1, s1, 0
	s_mov_b32 s7, exec_lo
	v_cmpx_gt_u32_e32 35, v0
	s_cbranch_execz .LBB34_154
; %bb.1:
	s_clause 0x2
	s_load_dword s7, s[4:5], 0x38
	s_load_dwordx4 s[16:19], s[4:5], 0x10
	s_load_dwordx4 s[8:11], s[4:5], 0x28
                                        ; implicit-def: $sgpr20_sgpr21
	s_waitcnt lgkmcnt(0)
	s_bitcmp1_b32 s7, 8
	s_cselect_b32 s47, -1, 0
	s_bfe_u32 s12, s7, 0x10008
	s_ashr_i32 s7, s6, 31
	s_cmp_eq_u32 s12, 0
	s_cbranch_scc1 .LBB34_3
; %bb.2:
	s_load_dword s12, s[4:5], 0x20
	s_mul_i32 s13, s8, s7
	s_mul_hi_u32 s14, s8, s6
	s_mul_i32 s9, s9, s6
	s_add_i32 s13, s14, s13
	s_mul_i32 s8, s8, s6
	s_add_i32 s9, s13, s9
	s_lshl_b64 s[8:9], s[8:9], 2
	s_waitcnt lgkmcnt(0)
	s_ashr_i32 s13, s12, 31
	s_add_u32 s14, s18, s8
	s_addc_u32 s15, s19, s9
	s_lshl_b64 s[8:9], s[12:13], 2
	s_add_u32 s20, s14, s8
	s_addc_u32 s21, s15, s9
.LBB34_3:
	s_clause 0x1
	s_load_dwordx4 s[12:15], s[4:5], 0x0
	s_load_dword s48, s[4:5], 0x38
	s_mul_i32 s4, s16, s7
	s_mul_hi_u32 s5, s16, s6
	s_mul_i32 s8, s17, s6
	s_add_i32 s5, s5, s4
	s_mul_i32 s4, s16, s6
	s_add_i32 s5, s5, s8
	v_lshlrev_b32_e32 v111, 4, v0
	s_lshl_b64 s[4:5], s[4:5], 4
	s_movk_i32 s16, 0xc0
	s_movk_i32 s17, 0xd0
	s_movk_i32 s18, 0xe0
	s_movk_i32 s19, 0xf0
	s_movk_i32 s22, 0x100
	s_movk_i32 s23, 0x110
	s_movk_i32 s24, 0x120
	s_movk_i32 s25, 0x130
	s_movk_i32 s26, 0x140
	s_movk_i32 s49, 0x150
	s_waitcnt lgkmcnt(0)
	s_ashr_i32 s9, s14, 31
	s_mov_b32 s8, s14
	s_add_u32 s12, s12, s4
	s_addc_u32 s13, s13, s5
	s_lshl_b64 s[4:5], s[8:9], 4
	s_mov_b32 s8, s15
	s_add_u32 s4, s12, s4
	s_addc_u32 s5, s13, s5
	v_add_co_u32 v41, s12, s4, v111
	s_ashr_i32 s9, s15, 31
	v_add_co_ci_u32_e64 v42, null, s5, 0, s12
	s_lshl_b64 s[8:9], s[8:9], 4
	global_load_dwordx4 v[1:4], v111, s[4:5]
	v_add_co_u32 v43, vcc_lo, v41, s8
	v_add_co_ci_u32_e64 v44, null, s9, v42, vcc_lo
	v_add3_u32 v5, s15, s15, v0
	s_movk_i32 s8, 0x60
	s_movk_i32 s9, 0x70
	global_load_dwordx4 v[112:115], v[43:44], off
	s_movk_i32 s12, 0x80
	v_add_nc_u32_e32 v7, s15, v5
	v_ashrrev_i32_e32 v6, 31, v5
	s_movk_i32 s13, 0x90
	s_movk_i32 s14, 0xa0
	;; [unrolled: 1-line block ×3, first 2 shown]
	v_add_nc_u32_e32 v9, s15, v7
	v_ashrrev_i32_e32 v8, 31, v7
	v_lshlrev_b64 v[5:6], 4, v[5:6]
	s_movk_i32 s51, 0x170
	s_movk_i32 s52, 0x180
	v_add_nc_u32_e32 v11, s15, v9
	v_lshlrev_b64 v[7:8], 4, v[7:8]
	v_ashrrev_i32_e32 v10, 31, v9
	v_add_co_u32 v45, vcc_lo, s4, v5
	v_ashrrev_i32_e32 v12, 31, v11
	v_add_co_ci_u32_e64 v46, null, s5, v6, vcc_lo
	v_lshlrev_b64 v[5:6], 4, v[9:10]
	v_add_co_u32 v49, vcc_lo, s4, v7
	v_add_co_ci_u32_e64 v50, null, s5, v8, vcc_lo
	v_lshlrev_b64 v[7:8], 4, v[11:12]
	global_load_dwordx4 v[116:119], v[45:46], off
	v_add_co_u32 v47, vcc_lo, s4, v5
	v_add_co_ci_u32_e64 v48, null, s5, v6, vcc_lo
	v_add_co_u32 v51, vcc_lo, s4, v7
	global_load_dwordx4 v[120:123], v[49:50], off
	v_add_co_ci_u32_e64 v52, null, s5, v8, vcc_lo
	s_clause 0x1
	global_load_dwordx4 v[124:127], v[47:48], off
	global_load_dwordx4 v[128:131], v[51:52], off
	v_add_nc_u32_e32 v5, s15, v11
	s_movk_i32 s53, 0x190
	s_movk_i32 s54, 0x1a0
	;; [unrolled: 1-line block ×4, first 2 shown]
	v_add_nc_u32_e32 v7, s15, v5
	v_ashrrev_i32_e32 v6, 31, v5
	s_movk_i32 s57, 0x1d0
	s_movk_i32 s58, 0x1e0
	s_movk_i32 s59, 0x1f0
	v_add_nc_u32_e32 v9, s15, v7
	v_ashrrev_i32_e32 v8, 31, v7
	v_lshlrev_b64 v[5:6], 4, v[5:6]
	s_movk_i32 s60, 0x200
	s_movk_i32 s61, 0x210
	v_add_nc_u32_e32 v11, s15, v9
	v_ashrrev_i32_e32 v10, 31, v9
	v_lshlrev_b64 v[7:8], 4, v[7:8]
	v_add_co_u32 v53, vcc_lo, s4, v5
	v_add_nc_u32_e32 v13, s15, v11
	v_ashrrev_i32_e32 v12, 31, v11
	v_lshlrev_b64 v[9:10], 4, v[9:10]
	v_add_co_ci_u32_e64 v54, null, s5, v6, vcc_lo
	v_add_nc_u32_e32 v17, s15, v13
	v_ashrrev_i32_e32 v14, 31, v13
	v_lshlrev_b64 v[11:12], 4, v[11:12]
	v_add_co_u32 v55, vcc_lo, s4, v7
	v_add_nc_u32_e32 v21, s15, v17
	v_ashrrev_i32_e32 v18, 31, v17
	v_lshlrev_b64 v[19:20], 4, v[13:14]
	v_add_co_ci_u32_e64 v56, null, s5, v8, vcc_lo
	v_add_nc_u32_e32 v25, s15, v21
	v_ashrrev_i32_e32 v22, 31, v21
	v_add_co_u32 v57, vcc_lo, s4, v9
	v_lshlrev_b64 v[17:18], 4, v[17:18]
	v_add_nc_u32_e32 v29, s15, v25
	v_ashrrev_i32_e32 v26, 31, v25
	v_add_co_ci_u32_e64 v58, null, s5, v10, vcc_lo
	v_add_co_u32 v59, vcc_lo, s4, v11
	v_add_nc_u32_e32 v33, s15, v29
	v_ashrrev_i32_e32 v30, 31, v29
	v_lshlrev_b64 v[27:28], 4, v[21:22]
	v_add_co_ci_u32_e64 v60, null, s5, v12, vcc_lo
	v_add_nc_u32_e32 v37, s15, v33
	v_ashrrev_i32_e32 v34, 31, v33
	v_add_co_u32 v61, vcc_lo, s4, v19
	v_lshlrev_b64 v[25:26], 4, v[25:26]
	v_add_nc_u32_e32 v73, s15, v37
	v_ashrrev_i32_e32 v38, 31, v37
	v_add_co_ci_u32_e64 v62, null, s5, v20, vcc_lo
	v_add_co_u32 v63, vcc_lo, s4, v17
	v_add_nc_u32_e32 v77, s15, v73
	v_lshlrev_b64 v[35:36], 4, v[29:30]
	v_ashrrev_i32_e32 v74, 31, v73
	v_add_co_ci_u32_e64 v64, null, s5, v18, vcc_lo
	v_add_co_u32 v65, vcc_lo, s4, v27
	v_lshlrev_b64 v[33:34], 4, v[33:34]
	v_add_co_ci_u32_e64 v66, null, s5, v28, vcc_lo
	v_add_co_u32 v67, vcc_lo, s4, v25
	v_lshlrev_b64 v[75:76], 4, v[37:38]
	v_add_nc_u32_e32 v81, s15, v77
	v_add_co_ci_u32_e64 v68, null, s5, v26, vcc_lo
	v_add_co_u32 v69, vcc_lo, s4, v35
	v_lshlrev_b64 v[79:80], 4, v[73:74]
	v_add_co_ci_u32_e64 v70, null, s5, v36, vcc_lo
	v_add_co_u32 v71, vcc_lo, s4, v33
	v_ashrrev_i32_e32 v82, 31, v81
	v_add_nc_u32_e32 v83, s15, v81
	v_add_co_ci_u32_e64 v72, null, s5, v34, vcc_lo
	v_add_co_u32 v73, vcc_lo, s4, v75
	v_add_co_ci_u32_e64 v74, null, s5, v76, vcc_lo
	v_add_co_u32 v75, vcc_lo, s4, v79
	v_add_co_ci_u32_e64 v76, null, s5, v80, vcc_lo
	v_lshlrev_b64 v[79:80], 4, v[81:82]
	v_add_nc_u32_e32 v81, s15, v83
	v_ashrrev_i32_e32 v78, 31, v77
	v_ashrrev_i32_e32 v84, 31, v83
	s_clause 0x2
	global_load_dwordx4 v[5:8], v[53:54], off
	global_load_dwordx4 v[9:12], v[55:56], off
	;; [unrolled: 1-line block ×3, first 2 shown]
	v_add_nc_u32_e32 v85, s15, v81
	v_lshlrev_b64 v[77:78], 4, v[77:78]
	v_ashrrev_i32_e32 v82, 31, v81
	v_lshlrev_b64 v[83:84], 4, v[83:84]
	s_clause 0x1
	global_load_dwordx4 v[17:20], v[59:60], off
	global_load_dwordx4 v[21:24], v[61:62], off
	v_add_nc_u32_e32 v89, s15, v85
	v_ashrrev_i32_e32 v86, 31, v85
	v_add_co_u32 v77, vcc_lo, s4, v77
	v_lshlrev_b64 v[87:88], 4, v[81:82]
	v_add_co_ci_u32_e64 v78, null, s5, v78, vcc_lo
	v_add_co_u32 v79, vcc_lo, s4, v79
	v_ashrrev_i32_e32 v90, 31, v89
	v_add_nc_u32_e32 v91, s15, v89
	v_add_co_ci_u32_e64 v80, null, s5, v80, vcc_lo
	v_add_co_u32 v81, vcc_lo, s4, v83
	v_add_co_ci_u32_e64 v82, null, s5, v84, vcc_lo
	v_add_co_u32 v83, vcc_lo, s4, v87
	v_add_co_ci_u32_e64 v84, null, s5, v88, vcc_lo
	v_lshlrev_b64 v[87:88], 4, v[89:90]
	v_add_nc_u32_e32 v89, s15, v91
	v_ashrrev_i32_e32 v92, 31, v91
	v_lshlrev_b64 v[85:86], 4, v[85:86]
	s_clause 0x3
	global_load_dwordx4 v[25:28], v[63:64], off
	global_load_dwordx4 v[29:32], v[65:66], off
	;; [unrolled: 1-line block ×4, first 2 shown]
	v_add_nc_u32_e32 v93, s15, v89
	v_ashrrev_i32_e32 v90, 31, v89
	v_lshlrev_b64 v[91:92], 4, v[91:92]
	v_add_co_u32 v85, vcc_lo, s4, v85
	v_add_nc_u32_e32 v97, s15, v93
	v_lshlrev_b64 v[95:96], 4, v[89:90]
	v_add_co_ci_u32_e64 v86, null, s5, v86, vcc_lo
	v_add_co_u32 v87, vcc_lo, s4, v87
	v_ashrrev_i32_e32 v98, 31, v97
	v_add_nc_u32_e32 v99, s15, v97
	v_add_co_ci_u32_e64 v88, null, s5, v88, vcc_lo
	v_add_co_u32 v89, vcc_lo, s4, v91
	v_add_co_ci_u32_e64 v90, null, s5, v92, vcc_lo
	v_add_co_u32 v91, vcc_lo, s4, v95
	v_add_co_ci_u32_e64 v92, null, s5, v96, vcc_lo
	v_lshlrev_b64 v[95:96], 4, v[97:98]
	v_add_nc_u32_e32 v97, s15, v99
	v_ashrrev_i32_e32 v94, 31, v93
	v_ashrrev_i32_e32 v100, 31, v99
	s_clause 0x3
	global_load_dwordx4 v[132:135], v[71:72], off
	global_load_dwordx4 v[136:139], v[73:74], off
	;; [unrolled: 1-line block ×4, first 2 shown]
	v_add_nc_u32_e32 v101, s15, v97
	v_lshlrev_b64 v[93:94], 4, v[93:94]
	v_ashrrev_i32_e32 v98, 31, v97
	v_lshlrev_b64 v[99:100], 4, v[99:100]
	s_clause 0x1
	global_load_dwordx4 v[148:151], v[79:80], off
	global_load_dwordx4 v[152:155], v[81:82], off
	v_add_nc_u32_e32 v105, s15, v101
	v_ashrrev_i32_e32 v102, 31, v101
	v_add_co_u32 v93, vcc_lo, s4, v93
	v_lshlrev_b64 v[103:104], 4, v[97:98]
	v_add_co_ci_u32_e64 v94, null, s5, v94, vcc_lo
	v_add_co_u32 v95, vcc_lo, s4, v95
	v_ashrrev_i32_e32 v106, 31, v105
	v_add_nc_u32_e32 v107, s15, v105
	v_add_co_ci_u32_e64 v96, null, s5, v96, vcc_lo
	v_add_co_u32 v97, vcc_lo, s4, v99
	v_add_co_ci_u32_e64 v98, null, s5, v100, vcc_lo
	v_add_co_u32 v99, vcc_lo, s4, v103
	v_add_co_ci_u32_e64 v100, null, s5, v104, vcc_lo
	v_lshlrev_b64 v[103:104], 4, v[105:106]
	v_add_nc_u32_e32 v105, s15, v107
	v_ashrrev_i32_e32 v108, 31, v107
	v_lshlrev_b64 v[101:102], 4, v[101:102]
	s_clause 0x3
	global_load_dwordx4 v[156:159], v[83:84], off
	global_load_dwordx4 v[160:163], v[85:86], off
	;; [unrolled: 1-line block ×4, first 2 shown]
	v_ashrrev_i32_e32 v106, 31, v105
	v_add_nc_u32_e32 v109, s15, v105
	v_lshlrev_b64 v[107:108], 4, v[107:108]
	v_add_co_u32 v101, vcc_lo, s4, v101
	v_lshlrev_b64 v[180:181], 4, v[105:106]
	v_ashrrev_i32_e32 v110, 31, v109
	v_add_co_ci_u32_e64 v102, null, s5, v102, vcc_lo
	v_add_co_u32 v103, vcc_lo, s4, v103
	v_add_co_ci_u32_e64 v104, null, s5, v104, vcc_lo
	v_add_co_u32 v105, vcc_lo, s4, v107
	v_add_co_ci_u32_e64 v106, null, s5, v108, vcc_lo
	v_lshlrev_b64 v[107:108], 4, v[109:110]
	v_add_co_u32 v109, vcc_lo, s4, v180
	s_clause 0x1
	global_load_dwordx4 v[172:175], v[91:92], off
	global_load_dwordx4 v[176:179], v[93:94], off
	v_add_co_ci_u32_e64 v110, null, s5, v181, vcc_lo
	s_clause 0x1
	global_load_dwordx4 v[180:183], v[95:96], off
	global_load_dwordx4 v[184:187], v[97:98], off
	v_add_co_u32 v107, vcc_lo, s4, v107
	v_add_co_ci_u32_e64 v108, null, s5, v108, vcc_lo
	s_movk_i32 s4, 0x50
	s_movk_i32 s15, 0xb0
	;; [unrolled: 1-line block ×3, first 2 shown]
	s_add_i32 s42, s4, 16
	s_add_i32 s41, s8, 16
	;; [unrolled: 1-line block ×30, first 2 shown]
	s_mov_b32 s5, -1
	s_mov_b32 s46, 32
	s_mov_b32 s45, 48
	;; [unrolled: 1-line block ×3, first 2 shown]
	s_movk_i32 s43, 0x50
	s_bitcmp0_b32 s48, 0
	s_waitcnt vmcnt(28)
	buffer_store_dword v4, off, s[0:3], 0 offset:28
	buffer_store_dword v3, off, s[0:3], 0 offset:24
	;; [unrolled: 1-line block ×4, first 2 shown]
	s_waitcnt vmcnt(27)
	buffer_store_dword v115, off, s[0:3], 0 offset:44
	buffer_store_dword v114, off, s[0:3], 0 offset:40
	;; [unrolled: 1-line block ×4, first 2 shown]
	s_clause 0x1
	global_load_dwordx4 v[1:4], v[99:100], off
	global_load_dwordx4 v[112:115], v[101:102], off
	s_waitcnt vmcnt(28)
	buffer_store_dword v119, off, s[0:3], 0 offset:60
	buffer_store_dword v118, off, s[0:3], 0 offset:56
	buffer_store_dword v117, off, s[0:3], 0 offset:52
	buffer_store_dword v116, off, s[0:3], 0 offset:48
	global_load_dwordx4 v[116:119], v[103:104], off
	s_waitcnt vmcnt(28)
	buffer_store_dword v123, off, s[0:3], 0 offset:76
	buffer_store_dword v122, off, s[0:3], 0 offset:72
	buffer_store_dword v121, off, s[0:3], 0 offset:68
	buffer_store_dword v120, off, s[0:3], 0 offset:64
	;; [unrolled: 6-line block ×5, first 2 shown]
	s_waitcnt vmcnt(27)
	buffer_store_dword v12, off, s[0:3], 0 offset:140
	buffer_store_dword v11, off, s[0:3], 0 offset:136
	buffer_store_dword v10, off, s[0:3], 0 offset:132
	buffer_store_dword v9, off, s[0:3], 0 offset:128
	s_waitcnt vmcnt(26)
	buffer_store_dword v16, off, s[0:3], 0 offset:156
	buffer_store_dword v15, off, s[0:3], 0 offset:152
	buffer_store_dword v14, off, s[0:3], 0 offset:148
	buffer_store_dword v13, off, s[0:3], 0 offset:144
	;; [unrolled: 5-line block ×28, first 2 shown]
	s_cbranch_scc1 .LBB34_152
; %bb.4:
	v_cmp_eq_u32_e64 s4, 0, v0
	s_and_saveexec_b32 s5, s4
; %bb.5:
	v_mov_b32_e32 v1, 0
	ds_write_b32 v1, v1 offset:1120
; %bb.6:
	s_or_b32 exec_lo, exec_lo, s5
	v_lshl_add_u32 v11, v0, 4, 16
	s_waitcnt lgkmcnt(0)
	s_waitcnt_vscnt null, 0x0
	s_barrier
	buffer_gl0_inv
	s_clause 0x3
	buffer_load_dword v1, v11, s[0:3], 0 offen
	buffer_load_dword v2, v11, s[0:3], 0 offen offset:4
	buffer_load_dword v3, v11, s[0:3], 0 offen offset:8
	;; [unrolled: 1-line block ×3, first 2 shown]
	s_waitcnt vmcnt(2)
	v_cmp_eq_f64_e32 vcc_lo, 0, v[1:2]
	s_waitcnt vmcnt(0)
	v_cmp_eq_f64_e64 s5, 0, v[3:4]
	s_and_b32 s5, vcc_lo, s5
	s_and_saveexec_b32 s48, s5
	s_cbranch_execz .LBB34_10
; %bb.7:
	v_mov_b32_e32 v1, 0
	s_mov_b32 s49, 0
	ds_read_b32 v2, v1 offset:1120
	s_waitcnt lgkmcnt(0)
	v_readfirstlane_b32 s5, v2
	v_add_nc_u32_e32 v2, 1, v0
	s_cmp_eq_u32 s5, 0
	v_cmp_gt_i32_e32 vcc_lo, s5, v2
	s_cselect_b32 s50, -1, 0
	s_or_b32 s50, s50, vcc_lo
	s_and_b32 exec_lo, exec_lo, s50
	s_cbranch_execz .LBB34_10
; %bb.8:
	v_mov_b32_e32 v3, s5
.LBB34_9:                               ; =>This Inner Loop Header: Depth=1
	ds_cmpst_rtn_b32 v3, v1, v3, v2 offset:1120
	s_waitcnt lgkmcnt(0)
	v_cmp_ne_u32_e32 vcc_lo, 0, v3
	v_cmp_le_i32_e64 s5, v3, v2
	s_and_b32 s5, vcc_lo, s5
	s_and_b32 s5, exec_lo, s5
	s_or_b32 s49, s5, s49
	s_andn2_b32 exec_lo, exec_lo, s49
	s_cbranch_execnz .LBB34_9
.LBB34_10:
	s_or_b32 exec_lo, exec_lo, s48
	v_mov_b32_e32 v1, 0
	s_barrier
	buffer_gl0_inv
	ds_read_b32 v2, v1 offset:1120
	s_and_saveexec_b32 s5, s4
	s_cbranch_execz .LBB34_12
; %bb.11:
	s_lshl_b64 s[48:49], s[6:7], 2
	s_add_u32 s48, s10, s48
	s_addc_u32 s49, s11, s49
	s_waitcnt lgkmcnt(0)
	global_store_dword v1, v2, s[48:49]
.LBB34_12:
	s_or_b32 exec_lo, exec_lo, s5
	s_waitcnt lgkmcnt(0)
	v_cmp_ne_u32_e32 vcc_lo, 0, v2
	s_mov_b32 s5, 0
	s_cbranch_vccnz .LBB34_152
; %bb.13:
	s_clause 0x3
	buffer_load_dword v7, v11, s[0:3], 0 offen
	buffer_load_dword v8, v11, s[0:3], 0 offen offset:4
	buffer_load_dword v9, v11, s[0:3], 0 offen offset:8
	;; [unrolled: 1-line block ×3, first 2 shown]
                                        ; implicit-def: $vgpr5_vgpr6
                                        ; implicit-def: $vgpr3_vgpr4
	s_waitcnt vmcnt(0)
	v_cmp_ngt_f64_e64 s5, |v[7:8]|, |v[9:10]|
	s_and_saveexec_b32 s48, s5
	s_xor_b32 s5, exec_lo, s48
	s_cbranch_execz .LBB34_15
; %bb.14:
	v_div_scale_f64 v[1:2], null, v[9:10], v[9:10], v[7:8]
	v_div_scale_f64 v[12:13], vcc_lo, v[7:8], v[9:10], v[7:8]
	v_rcp_f64_e32 v[3:4], v[1:2]
	v_fma_f64 v[5:6], -v[1:2], v[3:4], 1.0
	v_fma_f64 v[3:4], v[3:4], v[5:6], v[3:4]
	v_fma_f64 v[5:6], -v[1:2], v[3:4], 1.0
	v_fma_f64 v[3:4], v[3:4], v[5:6], v[3:4]
	v_mul_f64 v[5:6], v[12:13], v[3:4]
	v_fma_f64 v[1:2], -v[1:2], v[5:6], v[12:13]
	v_div_fmas_f64 v[1:2], v[1:2], v[3:4], v[5:6]
	v_div_fixup_f64 v[1:2], v[1:2], v[9:10], v[7:8]
	v_fma_f64 v[3:4], v[7:8], v[1:2], v[9:10]
	v_div_scale_f64 v[5:6], null, v[3:4], v[3:4], 1.0
	v_div_scale_f64 v[12:13], vcc_lo, 1.0, v[3:4], 1.0
	v_rcp_f64_e32 v[7:8], v[5:6]
	v_fma_f64 v[9:10], -v[5:6], v[7:8], 1.0
	v_fma_f64 v[7:8], v[7:8], v[9:10], v[7:8]
	v_fma_f64 v[9:10], -v[5:6], v[7:8], 1.0
	v_fma_f64 v[7:8], v[7:8], v[9:10], v[7:8]
	v_mul_f64 v[9:10], v[12:13], v[7:8]
	v_fma_f64 v[5:6], -v[5:6], v[9:10], v[12:13]
	v_div_fmas_f64 v[5:6], v[5:6], v[7:8], v[9:10]
                                        ; implicit-def: $vgpr7_vgpr8
                                        ; implicit-def: $vgpr9_vgpr10
	v_div_fixup_f64 v[3:4], v[5:6], v[3:4], 1.0
	v_mul_f64 v[5:6], v[1:2], v[3:4]
	v_xor_b32_e32 v4, 0x80000000, v4
	v_xor_b32_e32 v2, 0x80000000, v6
	v_mov_b32_e32 v1, v5
.LBB34_15:
	s_andn2_saveexec_b32 s5, s5
	s_cbranch_execz .LBB34_17
; %bb.16:
	v_div_scale_f64 v[1:2], null, v[7:8], v[7:8], v[9:10]
	v_div_scale_f64 v[12:13], vcc_lo, v[9:10], v[7:8], v[9:10]
	v_rcp_f64_e32 v[3:4], v[1:2]
	v_fma_f64 v[5:6], -v[1:2], v[3:4], 1.0
	v_fma_f64 v[3:4], v[3:4], v[5:6], v[3:4]
	v_fma_f64 v[5:6], -v[1:2], v[3:4], 1.0
	v_fma_f64 v[3:4], v[3:4], v[5:6], v[3:4]
	v_mul_f64 v[5:6], v[12:13], v[3:4]
	v_fma_f64 v[1:2], -v[1:2], v[5:6], v[12:13]
	v_div_fmas_f64 v[1:2], v[1:2], v[3:4], v[5:6]
	v_div_fixup_f64 v[1:2], v[1:2], v[7:8], v[9:10]
	v_fma_f64 v[3:4], v[9:10], v[1:2], v[7:8]
	v_div_scale_f64 v[5:6], null, v[3:4], v[3:4], 1.0
	v_rcp_f64_e32 v[7:8], v[5:6]
	v_fma_f64 v[9:10], -v[5:6], v[7:8], 1.0
	v_fma_f64 v[7:8], v[7:8], v[9:10], v[7:8]
	v_fma_f64 v[9:10], -v[5:6], v[7:8], 1.0
	v_fma_f64 v[7:8], v[7:8], v[9:10], v[7:8]
	v_div_scale_f64 v[9:10], vcc_lo, 1.0, v[3:4], 1.0
	v_mul_f64 v[12:13], v[9:10], v[7:8]
	v_fma_f64 v[5:6], -v[5:6], v[12:13], v[9:10]
	v_div_fmas_f64 v[5:6], v[5:6], v[7:8], v[12:13]
	v_div_fixup_f64 v[5:6], v[5:6], v[3:4], 1.0
	v_mul_f64 v[3:4], v[1:2], -v[5:6]
	v_xor_b32_e32 v2, 0x80000000, v6
	v_mov_b32_e32 v1, v5
.LBB34_17:
	s_or_b32 exec_lo, exec_lo, s5
	v_mov_b32_e32 v10, s46
	buffer_store_dword v6, v11, s[0:3], 0 offen offset:4
	buffer_store_dword v5, v11, s[0:3], 0 offen
	buffer_store_dword v4, v11, s[0:3], 0 offen offset:12
	buffer_store_dword v3, v11, s[0:3], 0 offen offset:8
	v_xor_b32_e32 v4, 0x80000000, v4
	v_add_nc_u32_e32 v5, 0x230, v111
	s_clause 0x3
	buffer_load_dword v9, v10, s[0:3], 0 offen offset:12
	buffer_load_dword v8, v10, s[0:3], 0 offen offset:8
	;; [unrolled: 1-line block ×3, first 2 shown]
	buffer_load_dword v6, v10, s[0:3], 0 offen
	ds_write_b128 v111, v[1:4]
	s_waitcnt vmcnt(0)
	ds_write_b128 v111, v[6:9] offset:560
	s_waitcnt lgkmcnt(0)
	s_waitcnt_vscnt null, 0x0
	s_barrier
	buffer_gl0_inv
	s_and_saveexec_b32 s5, s4
	s_cbranch_execz .LBB34_19
; %bb.18:
	s_clause 0x3
	buffer_load_dword v12, v11, s[0:3], 0 offen offset:8
	buffer_load_dword v13, v11, s[0:3], 0 offen offset:12
	buffer_load_dword v14, v11, s[0:3], 0 offen
	buffer_load_dword v15, v11, s[0:3], 0 offen offset:4
	ds_read_b128 v[1:4], v5
	v_mov_b32_e32 v6, 0
	ds_read_b128 v[6:9], v6 offset:16
	s_waitcnt vmcnt(2) lgkmcnt(1)
	v_mul_f64 v[16:17], v[1:2], v[12:13]
	v_mul_f64 v[12:13], v[3:4], v[12:13]
	s_waitcnt vmcnt(0)
	v_fma_f64 v[3:4], v[3:4], v[14:15], v[16:17]
	v_fma_f64 v[1:2], v[1:2], v[14:15], -v[12:13]
	v_add_f64 v[3:4], v[3:4], 0
	v_add_f64 v[1:2], v[1:2], 0
	s_waitcnt lgkmcnt(0)
	v_mul_f64 v[12:13], v[3:4], v[8:9]
	v_mul_f64 v[8:9], v[1:2], v[8:9]
	v_fma_f64 v[1:2], v[1:2], v[6:7], -v[12:13]
	v_fma_f64 v[3:4], v[3:4], v[6:7], v[8:9]
	buffer_store_dword v1, off, s[0:3], 0 offset:32
	buffer_store_dword v2, off, s[0:3], 0 offset:36
	;; [unrolled: 1-line block ×4, first 2 shown]
.LBB34_19:
	s_or_b32 exec_lo, exec_lo, s5
	v_mov_b32_e32 v4, s45
	s_waitcnt_vscnt null, 0x0
	s_barrier
	buffer_gl0_inv
	s_mov_b32 s5, exec_lo
	s_clause 0x3
	buffer_load_dword v1, v4, s[0:3], 0 offen
	buffer_load_dword v2, v4, s[0:3], 0 offen offset:4
	buffer_load_dword v3, v4, s[0:3], 0 offen offset:8
	;; [unrolled: 1-line block ×3, first 2 shown]
	s_waitcnt vmcnt(0)
	ds_write_b128 v5, v[1:4]
	s_waitcnt lgkmcnt(0)
	s_barrier
	buffer_gl0_inv
	v_cmpx_gt_u32_e32 2, v0
	s_cbranch_execz .LBB34_23
; %bb.20:
	s_clause 0x3
	buffer_load_dword v6, v11, s[0:3], 0 offen offset:8
	buffer_load_dword v7, v11, s[0:3], 0 offen offset:12
	buffer_load_dword v8, v11, s[0:3], 0 offen
	buffer_load_dword v9, v11, s[0:3], 0 offen offset:4
	ds_read_b128 v[1:4], v5
	s_waitcnt vmcnt(2) lgkmcnt(0)
	v_mul_f64 v[10:11], v[3:4], v[6:7]
	v_mul_f64 v[6:7], v[1:2], v[6:7]
	s_waitcnt vmcnt(0)
	v_fma_f64 v[1:2], v[1:2], v[8:9], -v[10:11]
	v_fma_f64 v[3:4], v[3:4], v[8:9], v[6:7]
	v_add_f64 v[1:2], v[1:2], 0
	v_add_f64 v[3:4], v[3:4], 0
	s_and_saveexec_b32 s48, s4
	s_cbranch_execz .LBB34_22
; %bb.21:
	s_clause 0x3
	buffer_load_dword v10, off, s[0:3], 0 offset:40
	buffer_load_dword v11, off, s[0:3], 0 offset:44
	;; [unrolled: 1-line block ×4, first 2 shown]
	v_mov_b32_e32 v6, 0
	ds_read_b128 v[6:9], v6 offset:576
	s_waitcnt vmcnt(2) lgkmcnt(0)
	v_mul_f64 v[14:15], v[6:7], v[10:11]
	v_mul_f64 v[10:11], v[8:9], v[10:11]
	s_waitcnt vmcnt(0)
	v_fma_f64 v[8:9], v[8:9], v[12:13], v[14:15]
	v_fma_f64 v[6:7], v[6:7], v[12:13], -v[10:11]
	v_add_f64 v[3:4], v[3:4], v[8:9]
	v_add_f64 v[1:2], v[1:2], v[6:7]
.LBB34_22:
	s_or_b32 exec_lo, exec_lo, s48
	v_mov_b32_e32 v6, 0
	ds_read_b128 v[6:9], v6 offset:32
	s_waitcnt lgkmcnt(0)
	v_mul_f64 v[10:11], v[3:4], v[8:9]
	v_mul_f64 v[8:9], v[1:2], v[8:9]
	v_fma_f64 v[1:2], v[1:2], v[6:7], -v[10:11]
	v_fma_f64 v[3:4], v[3:4], v[6:7], v[8:9]
	buffer_store_dword v2, off, s[0:3], 0 offset:52
	buffer_store_dword v1, off, s[0:3], 0 offset:48
	;; [unrolled: 1-line block ×4, first 2 shown]
.LBB34_23:
	s_or_b32 exec_lo, exec_lo, s5
	v_mov_b32_e32 v4, s44
	s_waitcnt_vscnt null, 0x0
	s_barrier
	buffer_gl0_inv
	v_add_nc_u32_e32 v6, -1, v0
	s_clause 0x3
	buffer_load_dword v1, v4, s[0:3], 0 offen
	buffer_load_dword v2, v4, s[0:3], 0 offen offset:4
	buffer_load_dword v3, v4, s[0:3], 0 offen offset:8
	;; [unrolled: 1-line block ×3, first 2 shown]
	s_mov_b32 s4, exec_lo
	s_waitcnt vmcnt(0)
	ds_write_b128 v5, v[1:4]
	s_waitcnt lgkmcnt(0)
	s_barrier
	buffer_gl0_inv
	v_cmpx_gt_u32_e32 3, v0
	s_cbranch_execz .LBB34_27
; %bb.24:
	v_mov_b32_e32 v1, 0
	v_mov_b32_e32 v3, 0
	v_add_nc_u32_e32 v7, -1, v0
	v_add_nc_u32_e32 v8, 0x230, v111
	v_mov_b32_e32 v2, 0
	v_mov_b32_e32 v4, 0
	v_add_nc_u32_e32 v9, 16, v111
	s_mov_b32 s5, 0
	.p2align	6
.LBB34_25:                              ; =>This Inner Loop Header: Depth=1
	s_clause 0x3
	buffer_load_dword v14, v9, s[0:3], 0 offen offset:8
	buffer_load_dword v15, v9, s[0:3], 0 offen offset:12
	buffer_load_dword v16, v9, s[0:3], 0 offen
	buffer_load_dword v17, v9, s[0:3], 0 offen offset:4
	ds_read_b128 v[10:13], v8
	v_add_nc_u32_e32 v7, 1, v7
	v_add_nc_u32_e32 v8, 16, v8
	;; [unrolled: 1-line block ×3, first 2 shown]
	v_cmp_lt_u32_e32 vcc_lo, 1, v7
	s_or_b32 s5, vcc_lo, s5
	s_waitcnt vmcnt(2) lgkmcnt(0)
	v_mul_f64 v[18:19], v[12:13], v[14:15]
	v_mul_f64 v[14:15], v[10:11], v[14:15]
	s_waitcnt vmcnt(0)
	v_fma_f64 v[10:11], v[10:11], v[16:17], -v[18:19]
	v_fma_f64 v[12:13], v[12:13], v[16:17], v[14:15]
	v_add_f64 v[3:4], v[3:4], v[10:11]
	v_add_f64 v[1:2], v[1:2], v[12:13]
	s_andn2_b32 exec_lo, exec_lo, s5
	s_cbranch_execnz .LBB34_25
; %bb.26:
	s_or_b32 exec_lo, exec_lo, s5
	v_mov_b32_e32 v7, 0
	ds_read_b128 v[7:10], v7 offset:48
	s_waitcnt lgkmcnt(0)
	v_mul_f64 v[11:12], v[1:2], v[9:10]
	v_mul_f64 v[9:10], v[3:4], v[9:10]
	v_fma_f64 v[3:4], v[3:4], v[7:8], -v[11:12]
	v_fma_f64 v[1:2], v[1:2], v[7:8], v[9:10]
	buffer_store_dword v4, off, s[0:3], 0 offset:68
	buffer_store_dword v3, off, s[0:3], 0 offset:64
	;; [unrolled: 1-line block ×4, first 2 shown]
.LBB34_27:
	s_or_b32 exec_lo, exec_lo, s4
	v_mov_b32_e32 v4, s43
	s_waitcnt_vscnt null, 0x0
	s_barrier
	buffer_gl0_inv
	s_mov_b32 s4, exec_lo
	s_clause 0x3
	buffer_load_dword v1, v4, s[0:3], 0 offen
	buffer_load_dword v2, v4, s[0:3], 0 offen offset:4
	buffer_load_dword v3, v4, s[0:3], 0 offen offset:8
	;; [unrolled: 1-line block ×3, first 2 shown]
	s_waitcnt vmcnt(0)
	ds_write_b128 v5, v[1:4]
	s_waitcnt lgkmcnt(0)
	s_barrier
	buffer_gl0_inv
	v_cmpx_gt_u32_e32 4, v0
	s_cbranch_execz .LBB34_31
; %bb.28:
	v_mov_b32_e32 v1, 0
	v_mov_b32_e32 v3, 0
	v_add_nc_u32_e32 v7, -1, v0
	v_add_nc_u32_e32 v8, 0x230, v111
	v_mov_b32_e32 v2, 0
	v_mov_b32_e32 v4, 0
	v_add_nc_u32_e32 v9, 16, v111
	s_mov_b32 s5, 0
	.p2align	6
.LBB34_29:                              ; =>This Inner Loop Header: Depth=1
	s_clause 0x3
	buffer_load_dword v14, v9, s[0:3], 0 offen offset:8
	buffer_load_dword v15, v9, s[0:3], 0 offen offset:12
	buffer_load_dword v16, v9, s[0:3], 0 offen
	buffer_load_dword v17, v9, s[0:3], 0 offen offset:4
	ds_read_b128 v[10:13], v8
	v_add_nc_u32_e32 v7, 1, v7
	v_add_nc_u32_e32 v8, 16, v8
	v_add_nc_u32_e32 v9, 16, v9
	v_cmp_lt_u32_e32 vcc_lo, 2, v7
	s_or_b32 s5, vcc_lo, s5
	s_waitcnt vmcnt(2) lgkmcnt(0)
	v_mul_f64 v[18:19], v[12:13], v[14:15]
	v_mul_f64 v[14:15], v[10:11], v[14:15]
	s_waitcnt vmcnt(0)
	v_fma_f64 v[10:11], v[10:11], v[16:17], -v[18:19]
	v_fma_f64 v[12:13], v[12:13], v[16:17], v[14:15]
	v_add_f64 v[3:4], v[3:4], v[10:11]
	v_add_f64 v[1:2], v[1:2], v[12:13]
	s_andn2_b32 exec_lo, exec_lo, s5
	s_cbranch_execnz .LBB34_29
; %bb.30:
	s_or_b32 exec_lo, exec_lo, s5
	v_mov_b32_e32 v7, 0
	ds_read_b128 v[7:10], v7 offset:64
	s_waitcnt lgkmcnt(0)
	v_mul_f64 v[11:12], v[1:2], v[9:10]
	v_mul_f64 v[9:10], v[3:4], v[9:10]
	v_fma_f64 v[3:4], v[3:4], v[7:8], -v[11:12]
	v_fma_f64 v[1:2], v[1:2], v[7:8], v[9:10]
	buffer_store_dword v4, off, s[0:3], 0 offset:84
	buffer_store_dword v3, off, s[0:3], 0 offset:80
	;; [unrolled: 1-line block ×4, first 2 shown]
.LBB34_31:
	s_or_b32 exec_lo, exec_lo, s4
	v_mov_b32_e32 v4, s42
	s_waitcnt_vscnt null, 0x0
	s_barrier
	buffer_gl0_inv
	s_mov_b32 s4, exec_lo
	s_clause 0x3
	buffer_load_dword v1, v4, s[0:3], 0 offen
	buffer_load_dword v2, v4, s[0:3], 0 offen offset:4
	buffer_load_dword v3, v4, s[0:3], 0 offen offset:8
	;; [unrolled: 1-line block ×3, first 2 shown]
	s_waitcnt vmcnt(0)
	ds_write_b128 v5, v[1:4]
	s_waitcnt lgkmcnt(0)
	s_barrier
	buffer_gl0_inv
	v_cmpx_gt_u32_e32 5, v0
	s_cbranch_execz .LBB34_35
; %bb.32:
	v_mov_b32_e32 v1, 0
	v_mov_b32_e32 v3, 0
	v_add_nc_u32_e32 v7, -1, v0
	v_add_nc_u32_e32 v8, 0x230, v111
	v_mov_b32_e32 v2, 0
	v_mov_b32_e32 v4, 0
	v_add_nc_u32_e32 v9, 16, v111
	s_mov_b32 s5, 0
	.p2align	6
.LBB34_33:                              ; =>This Inner Loop Header: Depth=1
	s_clause 0x3
	buffer_load_dword v14, v9, s[0:3], 0 offen offset:8
	buffer_load_dword v15, v9, s[0:3], 0 offen offset:12
	buffer_load_dword v16, v9, s[0:3], 0 offen
	buffer_load_dword v17, v9, s[0:3], 0 offen offset:4
	ds_read_b128 v[10:13], v8
	v_add_nc_u32_e32 v7, 1, v7
	v_add_nc_u32_e32 v8, 16, v8
	;; [unrolled: 1-line block ×3, first 2 shown]
	v_cmp_lt_u32_e32 vcc_lo, 3, v7
	s_or_b32 s5, vcc_lo, s5
	s_waitcnt vmcnt(2) lgkmcnt(0)
	v_mul_f64 v[18:19], v[12:13], v[14:15]
	v_mul_f64 v[14:15], v[10:11], v[14:15]
	s_waitcnt vmcnt(0)
	v_fma_f64 v[10:11], v[10:11], v[16:17], -v[18:19]
	v_fma_f64 v[12:13], v[12:13], v[16:17], v[14:15]
	v_add_f64 v[3:4], v[3:4], v[10:11]
	v_add_f64 v[1:2], v[1:2], v[12:13]
	s_andn2_b32 exec_lo, exec_lo, s5
	s_cbranch_execnz .LBB34_33
; %bb.34:
	s_or_b32 exec_lo, exec_lo, s5
	v_mov_b32_e32 v7, 0
	ds_read_b128 v[7:10], v7 offset:80
	s_waitcnt lgkmcnt(0)
	v_mul_f64 v[11:12], v[1:2], v[9:10]
	v_mul_f64 v[9:10], v[3:4], v[9:10]
	v_fma_f64 v[3:4], v[3:4], v[7:8], -v[11:12]
	v_fma_f64 v[1:2], v[1:2], v[7:8], v[9:10]
	buffer_store_dword v4, off, s[0:3], 0 offset:100
	buffer_store_dword v3, off, s[0:3], 0 offset:96
	;; [unrolled: 1-line block ×4, first 2 shown]
.LBB34_35:
	s_or_b32 exec_lo, exec_lo, s4
	v_mov_b32_e32 v4, s41
	s_waitcnt_vscnt null, 0x0
	s_barrier
	buffer_gl0_inv
	s_mov_b32 s4, exec_lo
	s_clause 0x3
	buffer_load_dword v1, v4, s[0:3], 0 offen
	buffer_load_dword v2, v4, s[0:3], 0 offen offset:4
	buffer_load_dword v3, v4, s[0:3], 0 offen offset:8
	;; [unrolled: 1-line block ×3, first 2 shown]
	s_waitcnt vmcnt(0)
	ds_write_b128 v5, v[1:4]
	s_waitcnt lgkmcnt(0)
	s_barrier
	buffer_gl0_inv
	v_cmpx_gt_u32_e32 6, v0
	s_cbranch_execz .LBB34_39
; %bb.36:
	v_mov_b32_e32 v1, 0
	v_mov_b32_e32 v3, 0
	v_add_nc_u32_e32 v7, -1, v0
	v_add_nc_u32_e32 v8, 0x230, v111
	v_mov_b32_e32 v2, 0
	v_mov_b32_e32 v4, 0
	v_add_nc_u32_e32 v9, 16, v111
	s_mov_b32 s5, 0
	.p2align	6
.LBB34_37:                              ; =>This Inner Loop Header: Depth=1
	s_clause 0x3
	buffer_load_dword v14, v9, s[0:3], 0 offen offset:8
	buffer_load_dword v15, v9, s[0:3], 0 offen offset:12
	buffer_load_dword v16, v9, s[0:3], 0 offen
	buffer_load_dword v17, v9, s[0:3], 0 offen offset:4
	ds_read_b128 v[10:13], v8
	v_add_nc_u32_e32 v7, 1, v7
	v_add_nc_u32_e32 v8, 16, v8
	v_add_nc_u32_e32 v9, 16, v9
	v_cmp_lt_u32_e32 vcc_lo, 4, v7
	s_or_b32 s5, vcc_lo, s5
	s_waitcnt vmcnt(2) lgkmcnt(0)
	v_mul_f64 v[18:19], v[12:13], v[14:15]
	v_mul_f64 v[14:15], v[10:11], v[14:15]
	s_waitcnt vmcnt(0)
	v_fma_f64 v[10:11], v[10:11], v[16:17], -v[18:19]
	v_fma_f64 v[12:13], v[12:13], v[16:17], v[14:15]
	v_add_f64 v[3:4], v[3:4], v[10:11]
	v_add_f64 v[1:2], v[1:2], v[12:13]
	s_andn2_b32 exec_lo, exec_lo, s5
	s_cbranch_execnz .LBB34_37
; %bb.38:
	s_or_b32 exec_lo, exec_lo, s5
	v_mov_b32_e32 v7, 0
	ds_read_b128 v[7:10], v7 offset:96
	s_waitcnt lgkmcnt(0)
	v_mul_f64 v[11:12], v[1:2], v[9:10]
	v_mul_f64 v[9:10], v[3:4], v[9:10]
	v_fma_f64 v[3:4], v[3:4], v[7:8], -v[11:12]
	v_fma_f64 v[1:2], v[1:2], v[7:8], v[9:10]
	buffer_store_dword v4, off, s[0:3], 0 offset:116
	buffer_store_dword v3, off, s[0:3], 0 offset:112
	;; [unrolled: 1-line block ×4, first 2 shown]
.LBB34_39:
	s_or_b32 exec_lo, exec_lo, s4
	v_mov_b32_e32 v4, s40
	s_waitcnt_vscnt null, 0x0
	s_barrier
	buffer_gl0_inv
	s_mov_b32 s4, exec_lo
	s_clause 0x3
	buffer_load_dword v1, v4, s[0:3], 0 offen
	buffer_load_dword v2, v4, s[0:3], 0 offen offset:4
	buffer_load_dword v3, v4, s[0:3], 0 offen offset:8
	;; [unrolled: 1-line block ×3, first 2 shown]
	s_waitcnt vmcnt(0)
	ds_write_b128 v5, v[1:4]
	s_waitcnt lgkmcnt(0)
	s_barrier
	buffer_gl0_inv
	v_cmpx_gt_u32_e32 7, v0
	s_cbranch_execz .LBB34_43
; %bb.40:
	v_mov_b32_e32 v1, 0
	v_mov_b32_e32 v3, 0
	v_add_nc_u32_e32 v7, -1, v0
	v_add_nc_u32_e32 v8, 0x230, v111
	v_mov_b32_e32 v2, 0
	v_mov_b32_e32 v4, 0
	v_add_nc_u32_e32 v9, 16, v111
	s_mov_b32 s5, 0
	.p2align	6
.LBB34_41:                              ; =>This Inner Loop Header: Depth=1
	s_clause 0x3
	buffer_load_dword v14, v9, s[0:3], 0 offen offset:8
	buffer_load_dword v15, v9, s[0:3], 0 offen offset:12
	buffer_load_dword v16, v9, s[0:3], 0 offen
	buffer_load_dword v17, v9, s[0:3], 0 offen offset:4
	ds_read_b128 v[10:13], v8
	v_add_nc_u32_e32 v7, 1, v7
	v_add_nc_u32_e32 v8, 16, v8
	;; [unrolled: 1-line block ×3, first 2 shown]
	v_cmp_lt_u32_e32 vcc_lo, 5, v7
	s_or_b32 s5, vcc_lo, s5
	s_waitcnt vmcnt(2) lgkmcnt(0)
	v_mul_f64 v[18:19], v[12:13], v[14:15]
	v_mul_f64 v[14:15], v[10:11], v[14:15]
	s_waitcnt vmcnt(0)
	v_fma_f64 v[10:11], v[10:11], v[16:17], -v[18:19]
	v_fma_f64 v[12:13], v[12:13], v[16:17], v[14:15]
	v_add_f64 v[3:4], v[3:4], v[10:11]
	v_add_f64 v[1:2], v[1:2], v[12:13]
	s_andn2_b32 exec_lo, exec_lo, s5
	s_cbranch_execnz .LBB34_41
; %bb.42:
	s_or_b32 exec_lo, exec_lo, s5
	v_mov_b32_e32 v7, 0
	ds_read_b128 v[7:10], v7 offset:112
	s_waitcnt lgkmcnt(0)
	v_mul_f64 v[11:12], v[1:2], v[9:10]
	v_mul_f64 v[9:10], v[3:4], v[9:10]
	v_fma_f64 v[3:4], v[3:4], v[7:8], -v[11:12]
	v_fma_f64 v[1:2], v[1:2], v[7:8], v[9:10]
	buffer_store_dword v4, off, s[0:3], 0 offset:132
	buffer_store_dword v3, off, s[0:3], 0 offset:128
	buffer_store_dword v2, off, s[0:3], 0 offset:140
	buffer_store_dword v1, off, s[0:3], 0 offset:136
.LBB34_43:
	s_or_b32 exec_lo, exec_lo, s4
	v_mov_b32_e32 v4, s39
	s_waitcnt_vscnt null, 0x0
	s_barrier
	buffer_gl0_inv
	s_mov_b32 s4, exec_lo
	s_clause 0x3
	buffer_load_dword v1, v4, s[0:3], 0 offen
	buffer_load_dword v2, v4, s[0:3], 0 offen offset:4
	buffer_load_dword v3, v4, s[0:3], 0 offen offset:8
	;; [unrolled: 1-line block ×3, first 2 shown]
	s_waitcnt vmcnt(0)
	ds_write_b128 v5, v[1:4]
	s_waitcnt lgkmcnt(0)
	s_barrier
	buffer_gl0_inv
	v_cmpx_gt_u32_e32 8, v0
	s_cbranch_execz .LBB34_47
; %bb.44:
	v_mov_b32_e32 v1, 0
	v_mov_b32_e32 v3, 0
	v_add_nc_u32_e32 v7, -1, v0
	v_add_nc_u32_e32 v8, 0x230, v111
	v_mov_b32_e32 v2, 0
	v_mov_b32_e32 v4, 0
	v_add_nc_u32_e32 v9, 16, v111
	s_mov_b32 s5, 0
	.p2align	6
.LBB34_45:                              ; =>This Inner Loop Header: Depth=1
	s_clause 0x3
	buffer_load_dword v14, v9, s[0:3], 0 offen offset:8
	buffer_load_dword v15, v9, s[0:3], 0 offen offset:12
	buffer_load_dword v16, v9, s[0:3], 0 offen
	buffer_load_dword v17, v9, s[0:3], 0 offen offset:4
	ds_read_b128 v[10:13], v8
	v_add_nc_u32_e32 v7, 1, v7
	v_add_nc_u32_e32 v8, 16, v8
	;; [unrolled: 1-line block ×3, first 2 shown]
	v_cmp_lt_u32_e32 vcc_lo, 6, v7
	s_or_b32 s5, vcc_lo, s5
	s_waitcnt vmcnt(2) lgkmcnt(0)
	v_mul_f64 v[18:19], v[12:13], v[14:15]
	v_mul_f64 v[14:15], v[10:11], v[14:15]
	s_waitcnt vmcnt(0)
	v_fma_f64 v[10:11], v[10:11], v[16:17], -v[18:19]
	v_fma_f64 v[12:13], v[12:13], v[16:17], v[14:15]
	v_add_f64 v[3:4], v[3:4], v[10:11]
	v_add_f64 v[1:2], v[1:2], v[12:13]
	s_andn2_b32 exec_lo, exec_lo, s5
	s_cbranch_execnz .LBB34_45
; %bb.46:
	s_or_b32 exec_lo, exec_lo, s5
	v_mov_b32_e32 v7, 0
	ds_read_b128 v[7:10], v7 offset:128
	s_waitcnt lgkmcnt(0)
	v_mul_f64 v[11:12], v[1:2], v[9:10]
	v_mul_f64 v[9:10], v[3:4], v[9:10]
	v_fma_f64 v[3:4], v[3:4], v[7:8], -v[11:12]
	v_fma_f64 v[1:2], v[1:2], v[7:8], v[9:10]
	buffer_store_dword v4, off, s[0:3], 0 offset:148
	buffer_store_dword v3, off, s[0:3], 0 offset:144
	;; [unrolled: 1-line block ×4, first 2 shown]
.LBB34_47:
	s_or_b32 exec_lo, exec_lo, s4
	v_mov_b32_e32 v4, s38
	s_waitcnt_vscnt null, 0x0
	s_barrier
	buffer_gl0_inv
	s_mov_b32 s4, exec_lo
	s_clause 0x3
	buffer_load_dword v1, v4, s[0:3], 0 offen
	buffer_load_dword v2, v4, s[0:3], 0 offen offset:4
	buffer_load_dword v3, v4, s[0:3], 0 offen offset:8
	;; [unrolled: 1-line block ×3, first 2 shown]
	s_waitcnt vmcnt(0)
	ds_write_b128 v5, v[1:4]
	s_waitcnt lgkmcnt(0)
	s_barrier
	buffer_gl0_inv
	v_cmpx_gt_u32_e32 9, v0
	s_cbranch_execz .LBB34_51
; %bb.48:
	v_mov_b32_e32 v1, 0
	v_mov_b32_e32 v3, 0
	v_add_nc_u32_e32 v7, -1, v0
	v_add_nc_u32_e32 v8, 0x230, v111
	v_mov_b32_e32 v2, 0
	v_mov_b32_e32 v4, 0
	v_add_nc_u32_e32 v9, 16, v111
	s_mov_b32 s5, 0
	.p2align	6
.LBB34_49:                              ; =>This Inner Loop Header: Depth=1
	s_clause 0x3
	buffer_load_dword v14, v9, s[0:3], 0 offen offset:8
	buffer_load_dword v15, v9, s[0:3], 0 offen offset:12
	buffer_load_dword v16, v9, s[0:3], 0 offen
	buffer_load_dword v17, v9, s[0:3], 0 offen offset:4
	ds_read_b128 v[10:13], v8
	v_add_nc_u32_e32 v7, 1, v7
	v_add_nc_u32_e32 v8, 16, v8
	;; [unrolled: 1-line block ×3, first 2 shown]
	v_cmp_lt_u32_e32 vcc_lo, 7, v7
	s_or_b32 s5, vcc_lo, s5
	s_waitcnt vmcnt(2) lgkmcnt(0)
	v_mul_f64 v[18:19], v[12:13], v[14:15]
	v_mul_f64 v[14:15], v[10:11], v[14:15]
	s_waitcnt vmcnt(0)
	v_fma_f64 v[10:11], v[10:11], v[16:17], -v[18:19]
	v_fma_f64 v[12:13], v[12:13], v[16:17], v[14:15]
	v_add_f64 v[3:4], v[3:4], v[10:11]
	v_add_f64 v[1:2], v[1:2], v[12:13]
	s_andn2_b32 exec_lo, exec_lo, s5
	s_cbranch_execnz .LBB34_49
; %bb.50:
	s_or_b32 exec_lo, exec_lo, s5
	v_mov_b32_e32 v7, 0
	ds_read_b128 v[7:10], v7 offset:144
	s_waitcnt lgkmcnt(0)
	v_mul_f64 v[11:12], v[1:2], v[9:10]
	v_mul_f64 v[9:10], v[3:4], v[9:10]
	v_fma_f64 v[3:4], v[3:4], v[7:8], -v[11:12]
	v_fma_f64 v[1:2], v[1:2], v[7:8], v[9:10]
	buffer_store_dword v4, off, s[0:3], 0 offset:164
	buffer_store_dword v3, off, s[0:3], 0 offset:160
	;; [unrolled: 1-line block ×4, first 2 shown]
.LBB34_51:
	s_or_b32 exec_lo, exec_lo, s4
	v_mov_b32_e32 v4, s37
	s_waitcnt_vscnt null, 0x0
	s_barrier
	buffer_gl0_inv
	s_mov_b32 s4, exec_lo
	s_clause 0x3
	buffer_load_dword v1, v4, s[0:3], 0 offen
	buffer_load_dword v2, v4, s[0:3], 0 offen offset:4
	buffer_load_dword v3, v4, s[0:3], 0 offen offset:8
	;; [unrolled: 1-line block ×3, first 2 shown]
	s_waitcnt vmcnt(0)
	ds_write_b128 v5, v[1:4]
	s_waitcnt lgkmcnt(0)
	s_barrier
	buffer_gl0_inv
	v_cmpx_gt_u32_e32 10, v0
	s_cbranch_execz .LBB34_55
; %bb.52:
	v_mov_b32_e32 v1, 0
	v_mov_b32_e32 v3, 0
	v_add_nc_u32_e32 v7, -1, v0
	v_add_nc_u32_e32 v8, 0x230, v111
	v_mov_b32_e32 v2, 0
	v_mov_b32_e32 v4, 0
	v_add_nc_u32_e32 v9, 16, v111
	s_mov_b32 s5, 0
	.p2align	6
.LBB34_53:                              ; =>This Inner Loop Header: Depth=1
	s_clause 0x3
	buffer_load_dword v14, v9, s[0:3], 0 offen offset:8
	buffer_load_dword v15, v9, s[0:3], 0 offen offset:12
	buffer_load_dword v16, v9, s[0:3], 0 offen
	buffer_load_dword v17, v9, s[0:3], 0 offen offset:4
	ds_read_b128 v[10:13], v8
	v_add_nc_u32_e32 v7, 1, v7
	v_add_nc_u32_e32 v8, 16, v8
	;; [unrolled: 1-line block ×3, first 2 shown]
	v_cmp_lt_u32_e32 vcc_lo, 8, v7
	s_or_b32 s5, vcc_lo, s5
	s_waitcnt vmcnt(2) lgkmcnt(0)
	v_mul_f64 v[18:19], v[12:13], v[14:15]
	v_mul_f64 v[14:15], v[10:11], v[14:15]
	s_waitcnt vmcnt(0)
	v_fma_f64 v[10:11], v[10:11], v[16:17], -v[18:19]
	v_fma_f64 v[12:13], v[12:13], v[16:17], v[14:15]
	v_add_f64 v[3:4], v[3:4], v[10:11]
	v_add_f64 v[1:2], v[1:2], v[12:13]
	s_andn2_b32 exec_lo, exec_lo, s5
	s_cbranch_execnz .LBB34_53
; %bb.54:
	s_or_b32 exec_lo, exec_lo, s5
	v_mov_b32_e32 v7, 0
	ds_read_b128 v[7:10], v7 offset:160
	s_waitcnt lgkmcnt(0)
	v_mul_f64 v[11:12], v[1:2], v[9:10]
	v_mul_f64 v[9:10], v[3:4], v[9:10]
	v_fma_f64 v[3:4], v[3:4], v[7:8], -v[11:12]
	v_fma_f64 v[1:2], v[1:2], v[7:8], v[9:10]
	buffer_store_dword v4, off, s[0:3], 0 offset:180
	buffer_store_dword v3, off, s[0:3], 0 offset:176
	;; [unrolled: 1-line block ×4, first 2 shown]
.LBB34_55:
	s_or_b32 exec_lo, exec_lo, s4
	v_mov_b32_e32 v4, s36
	s_waitcnt_vscnt null, 0x0
	s_barrier
	buffer_gl0_inv
	s_mov_b32 s4, exec_lo
	s_clause 0x3
	buffer_load_dword v1, v4, s[0:3], 0 offen
	buffer_load_dword v2, v4, s[0:3], 0 offen offset:4
	buffer_load_dword v3, v4, s[0:3], 0 offen offset:8
	;; [unrolled: 1-line block ×3, first 2 shown]
	s_waitcnt vmcnt(0)
	ds_write_b128 v5, v[1:4]
	s_waitcnt lgkmcnt(0)
	s_barrier
	buffer_gl0_inv
	v_cmpx_gt_u32_e32 11, v0
	s_cbranch_execz .LBB34_59
; %bb.56:
	v_mov_b32_e32 v1, 0
	v_mov_b32_e32 v3, 0
	v_add_nc_u32_e32 v7, -1, v0
	v_add_nc_u32_e32 v8, 0x230, v111
	v_mov_b32_e32 v2, 0
	v_mov_b32_e32 v4, 0
	v_add_nc_u32_e32 v9, 16, v111
	s_mov_b32 s5, 0
	.p2align	6
.LBB34_57:                              ; =>This Inner Loop Header: Depth=1
	s_clause 0x3
	buffer_load_dword v14, v9, s[0:3], 0 offen offset:8
	buffer_load_dword v15, v9, s[0:3], 0 offen offset:12
	buffer_load_dword v16, v9, s[0:3], 0 offen
	buffer_load_dword v17, v9, s[0:3], 0 offen offset:4
	ds_read_b128 v[10:13], v8
	v_add_nc_u32_e32 v7, 1, v7
	v_add_nc_u32_e32 v8, 16, v8
	;; [unrolled: 1-line block ×3, first 2 shown]
	v_cmp_lt_u32_e32 vcc_lo, 9, v7
	s_or_b32 s5, vcc_lo, s5
	s_waitcnt vmcnt(2) lgkmcnt(0)
	v_mul_f64 v[18:19], v[12:13], v[14:15]
	v_mul_f64 v[14:15], v[10:11], v[14:15]
	s_waitcnt vmcnt(0)
	v_fma_f64 v[10:11], v[10:11], v[16:17], -v[18:19]
	v_fma_f64 v[12:13], v[12:13], v[16:17], v[14:15]
	v_add_f64 v[3:4], v[3:4], v[10:11]
	v_add_f64 v[1:2], v[1:2], v[12:13]
	s_andn2_b32 exec_lo, exec_lo, s5
	s_cbranch_execnz .LBB34_57
; %bb.58:
	s_or_b32 exec_lo, exec_lo, s5
	v_mov_b32_e32 v7, 0
	ds_read_b128 v[7:10], v7 offset:176
	s_waitcnt lgkmcnt(0)
	v_mul_f64 v[11:12], v[1:2], v[9:10]
	v_mul_f64 v[9:10], v[3:4], v[9:10]
	v_fma_f64 v[3:4], v[3:4], v[7:8], -v[11:12]
	v_fma_f64 v[1:2], v[1:2], v[7:8], v[9:10]
	buffer_store_dword v4, off, s[0:3], 0 offset:196
	buffer_store_dword v3, off, s[0:3], 0 offset:192
	;; [unrolled: 1-line block ×4, first 2 shown]
.LBB34_59:
	s_or_b32 exec_lo, exec_lo, s4
	v_mov_b32_e32 v4, s35
	s_waitcnt_vscnt null, 0x0
	s_barrier
	buffer_gl0_inv
	s_mov_b32 s4, exec_lo
	s_clause 0x3
	buffer_load_dword v1, v4, s[0:3], 0 offen
	buffer_load_dword v2, v4, s[0:3], 0 offen offset:4
	buffer_load_dword v3, v4, s[0:3], 0 offen offset:8
	;; [unrolled: 1-line block ×3, first 2 shown]
	s_waitcnt vmcnt(0)
	ds_write_b128 v5, v[1:4]
	s_waitcnt lgkmcnt(0)
	s_barrier
	buffer_gl0_inv
	v_cmpx_gt_u32_e32 12, v0
	s_cbranch_execz .LBB34_63
; %bb.60:
	v_mov_b32_e32 v1, 0
	v_mov_b32_e32 v3, 0
	v_add_nc_u32_e32 v7, -1, v0
	v_add_nc_u32_e32 v8, 0x230, v111
	v_mov_b32_e32 v2, 0
	v_mov_b32_e32 v4, 0
	v_add_nc_u32_e32 v9, 16, v111
	s_mov_b32 s5, 0
	.p2align	6
.LBB34_61:                              ; =>This Inner Loop Header: Depth=1
	s_clause 0x3
	buffer_load_dword v14, v9, s[0:3], 0 offen offset:8
	buffer_load_dword v15, v9, s[0:3], 0 offen offset:12
	buffer_load_dword v16, v9, s[0:3], 0 offen
	buffer_load_dword v17, v9, s[0:3], 0 offen offset:4
	ds_read_b128 v[10:13], v8
	v_add_nc_u32_e32 v7, 1, v7
	v_add_nc_u32_e32 v8, 16, v8
	;; [unrolled: 1-line block ×3, first 2 shown]
	v_cmp_lt_u32_e32 vcc_lo, 10, v7
	s_or_b32 s5, vcc_lo, s5
	s_waitcnt vmcnt(2) lgkmcnt(0)
	v_mul_f64 v[18:19], v[12:13], v[14:15]
	v_mul_f64 v[14:15], v[10:11], v[14:15]
	s_waitcnt vmcnt(0)
	v_fma_f64 v[10:11], v[10:11], v[16:17], -v[18:19]
	v_fma_f64 v[12:13], v[12:13], v[16:17], v[14:15]
	v_add_f64 v[3:4], v[3:4], v[10:11]
	v_add_f64 v[1:2], v[1:2], v[12:13]
	s_andn2_b32 exec_lo, exec_lo, s5
	s_cbranch_execnz .LBB34_61
; %bb.62:
	s_or_b32 exec_lo, exec_lo, s5
	v_mov_b32_e32 v7, 0
	ds_read_b128 v[7:10], v7 offset:192
	s_waitcnt lgkmcnt(0)
	v_mul_f64 v[11:12], v[1:2], v[9:10]
	v_mul_f64 v[9:10], v[3:4], v[9:10]
	v_fma_f64 v[3:4], v[3:4], v[7:8], -v[11:12]
	v_fma_f64 v[1:2], v[1:2], v[7:8], v[9:10]
	buffer_store_dword v4, off, s[0:3], 0 offset:212
	buffer_store_dword v3, off, s[0:3], 0 offset:208
	;; [unrolled: 1-line block ×4, first 2 shown]
.LBB34_63:
	s_or_b32 exec_lo, exec_lo, s4
	v_mov_b32_e32 v4, s34
	s_waitcnt_vscnt null, 0x0
	s_barrier
	buffer_gl0_inv
	s_mov_b32 s4, exec_lo
	s_clause 0x3
	buffer_load_dword v1, v4, s[0:3], 0 offen
	buffer_load_dword v2, v4, s[0:3], 0 offen offset:4
	buffer_load_dword v3, v4, s[0:3], 0 offen offset:8
	;; [unrolled: 1-line block ×3, first 2 shown]
	s_waitcnt vmcnt(0)
	ds_write_b128 v5, v[1:4]
	s_waitcnt lgkmcnt(0)
	s_barrier
	buffer_gl0_inv
	v_cmpx_gt_u32_e32 13, v0
	s_cbranch_execz .LBB34_67
; %bb.64:
	v_mov_b32_e32 v1, 0
	v_mov_b32_e32 v3, 0
	v_add_nc_u32_e32 v7, -1, v0
	v_add_nc_u32_e32 v8, 0x230, v111
	v_mov_b32_e32 v2, 0
	v_mov_b32_e32 v4, 0
	v_add_nc_u32_e32 v9, 16, v111
	s_mov_b32 s5, 0
	.p2align	6
.LBB34_65:                              ; =>This Inner Loop Header: Depth=1
	s_clause 0x3
	buffer_load_dword v14, v9, s[0:3], 0 offen offset:8
	buffer_load_dword v15, v9, s[0:3], 0 offen offset:12
	buffer_load_dword v16, v9, s[0:3], 0 offen
	buffer_load_dword v17, v9, s[0:3], 0 offen offset:4
	ds_read_b128 v[10:13], v8
	v_add_nc_u32_e32 v7, 1, v7
	v_add_nc_u32_e32 v8, 16, v8
	;; [unrolled: 1-line block ×3, first 2 shown]
	v_cmp_lt_u32_e32 vcc_lo, 11, v7
	s_or_b32 s5, vcc_lo, s5
	s_waitcnt vmcnt(2) lgkmcnt(0)
	v_mul_f64 v[18:19], v[12:13], v[14:15]
	v_mul_f64 v[14:15], v[10:11], v[14:15]
	s_waitcnt vmcnt(0)
	v_fma_f64 v[10:11], v[10:11], v[16:17], -v[18:19]
	v_fma_f64 v[12:13], v[12:13], v[16:17], v[14:15]
	v_add_f64 v[3:4], v[3:4], v[10:11]
	v_add_f64 v[1:2], v[1:2], v[12:13]
	s_andn2_b32 exec_lo, exec_lo, s5
	s_cbranch_execnz .LBB34_65
; %bb.66:
	s_or_b32 exec_lo, exec_lo, s5
	v_mov_b32_e32 v7, 0
	ds_read_b128 v[7:10], v7 offset:208
	s_waitcnt lgkmcnt(0)
	v_mul_f64 v[11:12], v[1:2], v[9:10]
	v_mul_f64 v[9:10], v[3:4], v[9:10]
	v_fma_f64 v[3:4], v[3:4], v[7:8], -v[11:12]
	v_fma_f64 v[1:2], v[1:2], v[7:8], v[9:10]
	buffer_store_dword v4, off, s[0:3], 0 offset:228
	buffer_store_dword v3, off, s[0:3], 0 offset:224
	;; [unrolled: 1-line block ×4, first 2 shown]
.LBB34_67:
	s_or_b32 exec_lo, exec_lo, s4
	v_mov_b32_e32 v4, s33
	s_waitcnt_vscnt null, 0x0
	s_barrier
	buffer_gl0_inv
	s_mov_b32 s4, exec_lo
	s_clause 0x3
	buffer_load_dword v1, v4, s[0:3], 0 offen
	buffer_load_dword v2, v4, s[0:3], 0 offen offset:4
	buffer_load_dword v3, v4, s[0:3], 0 offen offset:8
	;; [unrolled: 1-line block ×3, first 2 shown]
	s_waitcnt vmcnt(0)
	ds_write_b128 v5, v[1:4]
	s_waitcnt lgkmcnt(0)
	s_barrier
	buffer_gl0_inv
	v_cmpx_gt_u32_e32 14, v0
	s_cbranch_execz .LBB34_71
; %bb.68:
	v_mov_b32_e32 v1, 0
	v_mov_b32_e32 v3, 0
	v_add_nc_u32_e32 v7, -1, v0
	v_add_nc_u32_e32 v8, 0x230, v111
	v_mov_b32_e32 v2, 0
	v_mov_b32_e32 v4, 0
	v_add_nc_u32_e32 v9, 16, v111
	s_mov_b32 s5, 0
	.p2align	6
.LBB34_69:                              ; =>This Inner Loop Header: Depth=1
	s_clause 0x3
	buffer_load_dword v14, v9, s[0:3], 0 offen offset:8
	buffer_load_dword v15, v9, s[0:3], 0 offen offset:12
	buffer_load_dword v16, v9, s[0:3], 0 offen
	buffer_load_dword v17, v9, s[0:3], 0 offen offset:4
	ds_read_b128 v[10:13], v8
	v_add_nc_u32_e32 v7, 1, v7
	v_add_nc_u32_e32 v8, 16, v8
	;; [unrolled: 1-line block ×3, first 2 shown]
	v_cmp_lt_u32_e32 vcc_lo, 12, v7
	s_or_b32 s5, vcc_lo, s5
	s_waitcnt vmcnt(2) lgkmcnt(0)
	v_mul_f64 v[18:19], v[12:13], v[14:15]
	v_mul_f64 v[14:15], v[10:11], v[14:15]
	s_waitcnt vmcnt(0)
	v_fma_f64 v[10:11], v[10:11], v[16:17], -v[18:19]
	v_fma_f64 v[12:13], v[12:13], v[16:17], v[14:15]
	v_add_f64 v[3:4], v[3:4], v[10:11]
	v_add_f64 v[1:2], v[1:2], v[12:13]
	s_andn2_b32 exec_lo, exec_lo, s5
	s_cbranch_execnz .LBB34_69
; %bb.70:
	s_or_b32 exec_lo, exec_lo, s5
	v_mov_b32_e32 v7, 0
	ds_read_b128 v[7:10], v7 offset:224
	s_waitcnt lgkmcnt(0)
	v_mul_f64 v[11:12], v[1:2], v[9:10]
	v_mul_f64 v[9:10], v[3:4], v[9:10]
	v_fma_f64 v[3:4], v[3:4], v[7:8], -v[11:12]
	v_fma_f64 v[1:2], v[1:2], v[7:8], v[9:10]
	buffer_store_dword v4, off, s[0:3], 0 offset:244
	buffer_store_dword v3, off, s[0:3], 0 offset:240
	;; [unrolled: 1-line block ×4, first 2 shown]
.LBB34_71:
	s_or_b32 exec_lo, exec_lo, s4
	v_mov_b32_e32 v4, s31
	s_waitcnt_vscnt null, 0x0
	s_barrier
	buffer_gl0_inv
	s_mov_b32 s4, exec_lo
	s_clause 0x3
	buffer_load_dword v1, v4, s[0:3], 0 offen
	buffer_load_dword v2, v4, s[0:3], 0 offen offset:4
	buffer_load_dword v3, v4, s[0:3], 0 offen offset:8
	;; [unrolled: 1-line block ×3, first 2 shown]
	s_waitcnt vmcnt(0)
	ds_write_b128 v5, v[1:4]
	s_waitcnt lgkmcnt(0)
	s_barrier
	buffer_gl0_inv
	v_cmpx_gt_u32_e32 15, v0
	s_cbranch_execz .LBB34_75
; %bb.72:
	v_mov_b32_e32 v1, 0
	v_mov_b32_e32 v3, 0
	v_add_nc_u32_e32 v7, -1, v0
	v_add_nc_u32_e32 v8, 0x230, v111
	v_mov_b32_e32 v2, 0
	v_mov_b32_e32 v4, 0
	v_add_nc_u32_e32 v9, 16, v111
	s_mov_b32 s5, 0
	.p2align	6
.LBB34_73:                              ; =>This Inner Loop Header: Depth=1
	s_clause 0x3
	buffer_load_dword v14, v9, s[0:3], 0 offen offset:8
	buffer_load_dword v15, v9, s[0:3], 0 offen offset:12
	buffer_load_dword v16, v9, s[0:3], 0 offen
	buffer_load_dword v17, v9, s[0:3], 0 offen offset:4
	ds_read_b128 v[10:13], v8
	v_add_nc_u32_e32 v7, 1, v7
	v_add_nc_u32_e32 v8, 16, v8
	;; [unrolled: 1-line block ×3, first 2 shown]
	v_cmp_lt_u32_e32 vcc_lo, 13, v7
	s_or_b32 s5, vcc_lo, s5
	s_waitcnt vmcnt(2) lgkmcnt(0)
	v_mul_f64 v[18:19], v[12:13], v[14:15]
	v_mul_f64 v[14:15], v[10:11], v[14:15]
	s_waitcnt vmcnt(0)
	v_fma_f64 v[10:11], v[10:11], v[16:17], -v[18:19]
	v_fma_f64 v[12:13], v[12:13], v[16:17], v[14:15]
	v_add_f64 v[3:4], v[3:4], v[10:11]
	v_add_f64 v[1:2], v[1:2], v[12:13]
	s_andn2_b32 exec_lo, exec_lo, s5
	s_cbranch_execnz .LBB34_73
; %bb.74:
	s_or_b32 exec_lo, exec_lo, s5
	v_mov_b32_e32 v7, 0
	ds_read_b128 v[7:10], v7 offset:240
	s_waitcnt lgkmcnt(0)
	v_mul_f64 v[11:12], v[1:2], v[9:10]
	v_mul_f64 v[9:10], v[3:4], v[9:10]
	v_fma_f64 v[3:4], v[3:4], v[7:8], -v[11:12]
	v_fma_f64 v[1:2], v[1:2], v[7:8], v[9:10]
	buffer_store_dword v4, off, s[0:3], 0 offset:260
	buffer_store_dword v3, off, s[0:3], 0 offset:256
	;; [unrolled: 1-line block ×4, first 2 shown]
.LBB34_75:
	s_or_b32 exec_lo, exec_lo, s4
	v_mov_b32_e32 v4, s30
	s_waitcnt_vscnt null, 0x0
	s_barrier
	buffer_gl0_inv
	s_mov_b32 s4, exec_lo
	s_clause 0x3
	buffer_load_dword v1, v4, s[0:3], 0 offen
	buffer_load_dword v2, v4, s[0:3], 0 offen offset:4
	buffer_load_dword v3, v4, s[0:3], 0 offen offset:8
	;; [unrolled: 1-line block ×3, first 2 shown]
	s_waitcnt vmcnt(0)
	ds_write_b128 v5, v[1:4]
	s_waitcnt lgkmcnt(0)
	s_barrier
	buffer_gl0_inv
	v_cmpx_gt_u32_e32 16, v0
	s_cbranch_execz .LBB34_79
; %bb.76:
	v_mov_b32_e32 v1, 0
	v_mov_b32_e32 v3, 0
	v_add_nc_u32_e32 v7, -1, v0
	v_add_nc_u32_e32 v8, 0x230, v111
	v_mov_b32_e32 v2, 0
	v_mov_b32_e32 v4, 0
	v_add_nc_u32_e32 v9, 16, v111
	s_mov_b32 s5, 0
	.p2align	6
.LBB34_77:                              ; =>This Inner Loop Header: Depth=1
	s_clause 0x3
	buffer_load_dword v14, v9, s[0:3], 0 offen offset:8
	buffer_load_dword v15, v9, s[0:3], 0 offen offset:12
	buffer_load_dword v16, v9, s[0:3], 0 offen
	buffer_load_dword v17, v9, s[0:3], 0 offen offset:4
	ds_read_b128 v[10:13], v8
	v_add_nc_u32_e32 v7, 1, v7
	v_add_nc_u32_e32 v8, 16, v8
	;; [unrolled: 1-line block ×3, first 2 shown]
	v_cmp_lt_u32_e32 vcc_lo, 14, v7
	s_or_b32 s5, vcc_lo, s5
	s_waitcnt vmcnt(2) lgkmcnt(0)
	v_mul_f64 v[18:19], v[12:13], v[14:15]
	v_mul_f64 v[14:15], v[10:11], v[14:15]
	s_waitcnt vmcnt(0)
	v_fma_f64 v[10:11], v[10:11], v[16:17], -v[18:19]
	v_fma_f64 v[12:13], v[12:13], v[16:17], v[14:15]
	v_add_f64 v[3:4], v[3:4], v[10:11]
	v_add_f64 v[1:2], v[1:2], v[12:13]
	s_andn2_b32 exec_lo, exec_lo, s5
	s_cbranch_execnz .LBB34_77
; %bb.78:
	s_or_b32 exec_lo, exec_lo, s5
	v_mov_b32_e32 v7, 0
	ds_read_b128 v[7:10], v7 offset:256
	s_waitcnt lgkmcnt(0)
	v_mul_f64 v[11:12], v[1:2], v[9:10]
	v_mul_f64 v[9:10], v[3:4], v[9:10]
	v_fma_f64 v[3:4], v[3:4], v[7:8], -v[11:12]
	v_fma_f64 v[1:2], v[1:2], v[7:8], v[9:10]
	buffer_store_dword v4, off, s[0:3], 0 offset:276
	buffer_store_dword v3, off, s[0:3], 0 offset:272
	;; [unrolled: 1-line block ×4, first 2 shown]
.LBB34_79:
	s_or_b32 exec_lo, exec_lo, s4
	v_mov_b32_e32 v4, s29
	s_waitcnt_vscnt null, 0x0
	s_barrier
	buffer_gl0_inv
	s_mov_b32 s4, exec_lo
	s_clause 0x3
	buffer_load_dword v1, v4, s[0:3], 0 offen
	buffer_load_dword v2, v4, s[0:3], 0 offen offset:4
	buffer_load_dword v3, v4, s[0:3], 0 offen offset:8
	;; [unrolled: 1-line block ×3, first 2 shown]
	s_waitcnt vmcnt(0)
	ds_write_b128 v5, v[1:4]
	s_waitcnt lgkmcnt(0)
	s_barrier
	buffer_gl0_inv
	v_cmpx_gt_u32_e32 17, v0
	s_cbranch_execz .LBB34_83
; %bb.80:
	v_mov_b32_e32 v1, 0
	v_mov_b32_e32 v3, 0
	v_add_nc_u32_e32 v7, -1, v0
	v_add_nc_u32_e32 v8, 0x230, v111
	v_mov_b32_e32 v2, 0
	v_mov_b32_e32 v4, 0
	v_add_nc_u32_e32 v9, 16, v111
	s_mov_b32 s5, 0
	.p2align	6
.LBB34_81:                              ; =>This Inner Loop Header: Depth=1
	s_clause 0x3
	buffer_load_dword v14, v9, s[0:3], 0 offen offset:8
	buffer_load_dword v15, v9, s[0:3], 0 offen offset:12
	buffer_load_dword v16, v9, s[0:3], 0 offen
	buffer_load_dword v17, v9, s[0:3], 0 offen offset:4
	ds_read_b128 v[10:13], v8
	v_add_nc_u32_e32 v7, 1, v7
	v_add_nc_u32_e32 v8, 16, v8
	;; [unrolled: 1-line block ×3, first 2 shown]
	v_cmp_lt_u32_e32 vcc_lo, 15, v7
	s_or_b32 s5, vcc_lo, s5
	s_waitcnt vmcnt(2) lgkmcnt(0)
	v_mul_f64 v[18:19], v[12:13], v[14:15]
	v_mul_f64 v[14:15], v[10:11], v[14:15]
	s_waitcnt vmcnt(0)
	v_fma_f64 v[10:11], v[10:11], v[16:17], -v[18:19]
	v_fma_f64 v[12:13], v[12:13], v[16:17], v[14:15]
	v_add_f64 v[3:4], v[3:4], v[10:11]
	v_add_f64 v[1:2], v[1:2], v[12:13]
	s_andn2_b32 exec_lo, exec_lo, s5
	s_cbranch_execnz .LBB34_81
; %bb.82:
	s_or_b32 exec_lo, exec_lo, s5
	v_mov_b32_e32 v7, 0
	ds_read_b128 v[7:10], v7 offset:272
	s_waitcnt lgkmcnt(0)
	v_mul_f64 v[11:12], v[1:2], v[9:10]
	v_mul_f64 v[9:10], v[3:4], v[9:10]
	v_fma_f64 v[3:4], v[3:4], v[7:8], -v[11:12]
	v_fma_f64 v[1:2], v[1:2], v[7:8], v[9:10]
	buffer_store_dword v4, off, s[0:3], 0 offset:292
	buffer_store_dword v3, off, s[0:3], 0 offset:288
	;; [unrolled: 1-line block ×4, first 2 shown]
.LBB34_83:
	s_or_b32 exec_lo, exec_lo, s4
	v_mov_b32_e32 v4, s28
	s_waitcnt_vscnt null, 0x0
	s_barrier
	buffer_gl0_inv
	s_mov_b32 s4, exec_lo
	s_clause 0x3
	buffer_load_dword v1, v4, s[0:3], 0 offen
	buffer_load_dword v2, v4, s[0:3], 0 offen offset:4
	buffer_load_dword v3, v4, s[0:3], 0 offen offset:8
	;; [unrolled: 1-line block ×3, first 2 shown]
	s_waitcnt vmcnt(0)
	ds_write_b128 v5, v[1:4]
	s_waitcnt lgkmcnt(0)
	s_barrier
	buffer_gl0_inv
	v_cmpx_gt_u32_e32 18, v0
	s_cbranch_execz .LBB34_87
; %bb.84:
	v_mov_b32_e32 v1, 0
	v_mov_b32_e32 v3, 0
	v_add_nc_u32_e32 v7, -1, v0
	v_add_nc_u32_e32 v8, 0x230, v111
	v_mov_b32_e32 v2, 0
	v_mov_b32_e32 v4, 0
	v_add_nc_u32_e32 v9, 16, v111
	s_mov_b32 s5, 0
	.p2align	6
.LBB34_85:                              ; =>This Inner Loop Header: Depth=1
	s_clause 0x3
	buffer_load_dword v14, v9, s[0:3], 0 offen offset:8
	buffer_load_dword v15, v9, s[0:3], 0 offen offset:12
	buffer_load_dword v16, v9, s[0:3], 0 offen
	buffer_load_dword v17, v9, s[0:3], 0 offen offset:4
	ds_read_b128 v[10:13], v8
	v_add_nc_u32_e32 v7, 1, v7
	v_add_nc_u32_e32 v8, 16, v8
	;; [unrolled: 1-line block ×3, first 2 shown]
	v_cmp_lt_u32_e32 vcc_lo, 16, v7
	s_or_b32 s5, vcc_lo, s5
	s_waitcnt vmcnt(2) lgkmcnt(0)
	v_mul_f64 v[18:19], v[12:13], v[14:15]
	v_mul_f64 v[14:15], v[10:11], v[14:15]
	s_waitcnt vmcnt(0)
	v_fma_f64 v[10:11], v[10:11], v[16:17], -v[18:19]
	v_fma_f64 v[12:13], v[12:13], v[16:17], v[14:15]
	v_add_f64 v[3:4], v[3:4], v[10:11]
	v_add_f64 v[1:2], v[1:2], v[12:13]
	s_andn2_b32 exec_lo, exec_lo, s5
	s_cbranch_execnz .LBB34_85
; %bb.86:
	s_or_b32 exec_lo, exec_lo, s5
	v_mov_b32_e32 v7, 0
	ds_read_b128 v[7:10], v7 offset:288
	s_waitcnt lgkmcnt(0)
	v_mul_f64 v[11:12], v[1:2], v[9:10]
	v_mul_f64 v[9:10], v[3:4], v[9:10]
	v_fma_f64 v[3:4], v[3:4], v[7:8], -v[11:12]
	v_fma_f64 v[1:2], v[1:2], v[7:8], v[9:10]
	buffer_store_dword v4, off, s[0:3], 0 offset:308
	buffer_store_dword v3, off, s[0:3], 0 offset:304
	;; [unrolled: 1-line block ×4, first 2 shown]
.LBB34_87:
	s_or_b32 exec_lo, exec_lo, s4
	v_mov_b32_e32 v4, s27
	s_waitcnt_vscnt null, 0x0
	s_barrier
	buffer_gl0_inv
	s_mov_b32 s4, exec_lo
	s_clause 0x3
	buffer_load_dword v1, v4, s[0:3], 0 offen
	buffer_load_dword v2, v4, s[0:3], 0 offen offset:4
	buffer_load_dword v3, v4, s[0:3], 0 offen offset:8
	;; [unrolled: 1-line block ×3, first 2 shown]
	s_waitcnt vmcnt(0)
	ds_write_b128 v5, v[1:4]
	s_waitcnt lgkmcnt(0)
	s_barrier
	buffer_gl0_inv
	v_cmpx_gt_u32_e32 19, v0
	s_cbranch_execz .LBB34_91
; %bb.88:
	v_mov_b32_e32 v1, 0
	v_mov_b32_e32 v3, 0
	v_add_nc_u32_e32 v7, -1, v0
	v_add_nc_u32_e32 v8, 0x230, v111
	v_mov_b32_e32 v2, 0
	v_mov_b32_e32 v4, 0
	v_add_nc_u32_e32 v9, 16, v111
	s_mov_b32 s5, 0
	.p2align	6
.LBB34_89:                              ; =>This Inner Loop Header: Depth=1
	s_clause 0x3
	buffer_load_dword v14, v9, s[0:3], 0 offen offset:8
	buffer_load_dword v15, v9, s[0:3], 0 offen offset:12
	buffer_load_dword v16, v9, s[0:3], 0 offen
	buffer_load_dword v17, v9, s[0:3], 0 offen offset:4
	ds_read_b128 v[10:13], v8
	v_add_nc_u32_e32 v7, 1, v7
	v_add_nc_u32_e32 v8, 16, v8
	v_add_nc_u32_e32 v9, 16, v9
	v_cmp_lt_u32_e32 vcc_lo, 17, v7
	s_or_b32 s5, vcc_lo, s5
	s_waitcnt vmcnt(2) lgkmcnt(0)
	v_mul_f64 v[18:19], v[12:13], v[14:15]
	v_mul_f64 v[14:15], v[10:11], v[14:15]
	s_waitcnt vmcnt(0)
	v_fma_f64 v[10:11], v[10:11], v[16:17], -v[18:19]
	v_fma_f64 v[12:13], v[12:13], v[16:17], v[14:15]
	v_add_f64 v[3:4], v[3:4], v[10:11]
	v_add_f64 v[1:2], v[1:2], v[12:13]
	s_andn2_b32 exec_lo, exec_lo, s5
	s_cbranch_execnz .LBB34_89
; %bb.90:
	s_or_b32 exec_lo, exec_lo, s5
	v_mov_b32_e32 v7, 0
	ds_read_b128 v[7:10], v7 offset:304
	s_waitcnt lgkmcnt(0)
	v_mul_f64 v[11:12], v[1:2], v[9:10]
	v_mul_f64 v[9:10], v[3:4], v[9:10]
	v_fma_f64 v[3:4], v[3:4], v[7:8], -v[11:12]
	v_fma_f64 v[1:2], v[1:2], v[7:8], v[9:10]
	buffer_store_dword v4, off, s[0:3], 0 offset:324
	buffer_store_dword v3, off, s[0:3], 0 offset:320
	;; [unrolled: 1-line block ×4, first 2 shown]
.LBB34_91:
	s_or_b32 exec_lo, exec_lo, s4
	v_mov_b32_e32 v4, s26
	s_waitcnt_vscnt null, 0x0
	s_barrier
	buffer_gl0_inv
	s_mov_b32 s4, exec_lo
	s_clause 0x3
	buffer_load_dword v1, v4, s[0:3], 0 offen
	buffer_load_dword v2, v4, s[0:3], 0 offen offset:4
	buffer_load_dword v3, v4, s[0:3], 0 offen offset:8
	;; [unrolled: 1-line block ×3, first 2 shown]
	s_waitcnt vmcnt(0)
	ds_write_b128 v5, v[1:4]
	s_waitcnt lgkmcnt(0)
	s_barrier
	buffer_gl0_inv
	v_cmpx_gt_u32_e32 20, v0
	s_cbranch_execz .LBB34_95
; %bb.92:
	v_mov_b32_e32 v1, 0
	v_mov_b32_e32 v3, 0
	v_add_nc_u32_e32 v7, -1, v0
	v_add_nc_u32_e32 v8, 0x230, v111
	v_mov_b32_e32 v2, 0
	v_mov_b32_e32 v4, 0
	v_add_nc_u32_e32 v9, 16, v111
	s_mov_b32 s5, 0
	.p2align	6
.LBB34_93:                              ; =>This Inner Loop Header: Depth=1
	s_clause 0x3
	buffer_load_dword v14, v9, s[0:3], 0 offen offset:8
	buffer_load_dword v15, v9, s[0:3], 0 offen offset:12
	buffer_load_dword v16, v9, s[0:3], 0 offen
	buffer_load_dword v17, v9, s[0:3], 0 offen offset:4
	ds_read_b128 v[10:13], v8
	v_add_nc_u32_e32 v7, 1, v7
	v_add_nc_u32_e32 v8, 16, v8
	;; [unrolled: 1-line block ×3, first 2 shown]
	v_cmp_lt_u32_e32 vcc_lo, 18, v7
	s_or_b32 s5, vcc_lo, s5
	s_waitcnt vmcnt(2) lgkmcnt(0)
	v_mul_f64 v[18:19], v[12:13], v[14:15]
	v_mul_f64 v[14:15], v[10:11], v[14:15]
	s_waitcnt vmcnt(0)
	v_fma_f64 v[10:11], v[10:11], v[16:17], -v[18:19]
	v_fma_f64 v[12:13], v[12:13], v[16:17], v[14:15]
	v_add_f64 v[3:4], v[3:4], v[10:11]
	v_add_f64 v[1:2], v[1:2], v[12:13]
	s_andn2_b32 exec_lo, exec_lo, s5
	s_cbranch_execnz .LBB34_93
; %bb.94:
	s_or_b32 exec_lo, exec_lo, s5
	v_mov_b32_e32 v7, 0
	ds_read_b128 v[7:10], v7 offset:320
	s_waitcnt lgkmcnt(0)
	v_mul_f64 v[11:12], v[1:2], v[9:10]
	v_mul_f64 v[9:10], v[3:4], v[9:10]
	v_fma_f64 v[3:4], v[3:4], v[7:8], -v[11:12]
	v_fma_f64 v[1:2], v[1:2], v[7:8], v[9:10]
	buffer_store_dword v4, off, s[0:3], 0 offset:340
	buffer_store_dword v3, off, s[0:3], 0 offset:336
	;; [unrolled: 1-line block ×4, first 2 shown]
.LBB34_95:
	s_or_b32 exec_lo, exec_lo, s4
	v_mov_b32_e32 v4, s25
	s_waitcnt_vscnt null, 0x0
	s_barrier
	buffer_gl0_inv
	s_mov_b32 s4, exec_lo
	s_clause 0x3
	buffer_load_dword v1, v4, s[0:3], 0 offen
	buffer_load_dword v2, v4, s[0:3], 0 offen offset:4
	buffer_load_dword v3, v4, s[0:3], 0 offen offset:8
	;; [unrolled: 1-line block ×3, first 2 shown]
	s_waitcnt vmcnt(0)
	ds_write_b128 v5, v[1:4]
	s_waitcnt lgkmcnt(0)
	s_barrier
	buffer_gl0_inv
	v_cmpx_gt_u32_e32 21, v0
	s_cbranch_execz .LBB34_99
; %bb.96:
	v_mov_b32_e32 v1, 0
	v_mov_b32_e32 v3, 0
	v_add_nc_u32_e32 v7, -1, v0
	v_add_nc_u32_e32 v8, 0x230, v111
	v_mov_b32_e32 v2, 0
	v_mov_b32_e32 v4, 0
	v_add_nc_u32_e32 v9, 16, v111
	s_mov_b32 s5, 0
	.p2align	6
.LBB34_97:                              ; =>This Inner Loop Header: Depth=1
	s_clause 0x3
	buffer_load_dword v14, v9, s[0:3], 0 offen offset:8
	buffer_load_dword v15, v9, s[0:3], 0 offen offset:12
	buffer_load_dword v16, v9, s[0:3], 0 offen
	buffer_load_dword v17, v9, s[0:3], 0 offen offset:4
	ds_read_b128 v[10:13], v8
	v_add_nc_u32_e32 v7, 1, v7
	v_add_nc_u32_e32 v8, 16, v8
	;; [unrolled: 1-line block ×3, first 2 shown]
	v_cmp_lt_u32_e32 vcc_lo, 19, v7
	s_or_b32 s5, vcc_lo, s5
	s_waitcnt vmcnt(2) lgkmcnt(0)
	v_mul_f64 v[18:19], v[12:13], v[14:15]
	v_mul_f64 v[14:15], v[10:11], v[14:15]
	s_waitcnt vmcnt(0)
	v_fma_f64 v[10:11], v[10:11], v[16:17], -v[18:19]
	v_fma_f64 v[12:13], v[12:13], v[16:17], v[14:15]
	v_add_f64 v[3:4], v[3:4], v[10:11]
	v_add_f64 v[1:2], v[1:2], v[12:13]
	s_andn2_b32 exec_lo, exec_lo, s5
	s_cbranch_execnz .LBB34_97
; %bb.98:
	s_or_b32 exec_lo, exec_lo, s5
	v_mov_b32_e32 v7, 0
	ds_read_b128 v[7:10], v7 offset:336
	s_waitcnt lgkmcnt(0)
	v_mul_f64 v[11:12], v[1:2], v[9:10]
	v_mul_f64 v[9:10], v[3:4], v[9:10]
	v_fma_f64 v[3:4], v[3:4], v[7:8], -v[11:12]
	v_fma_f64 v[1:2], v[1:2], v[7:8], v[9:10]
	buffer_store_dword v4, off, s[0:3], 0 offset:356
	buffer_store_dword v3, off, s[0:3], 0 offset:352
	;; [unrolled: 1-line block ×4, first 2 shown]
.LBB34_99:
	s_or_b32 exec_lo, exec_lo, s4
	v_mov_b32_e32 v4, s24
	s_waitcnt_vscnt null, 0x0
	s_barrier
	buffer_gl0_inv
	s_mov_b32 s4, exec_lo
	s_clause 0x3
	buffer_load_dword v1, v4, s[0:3], 0 offen
	buffer_load_dword v2, v4, s[0:3], 0 offen offset:4
	buffer_load_dword v3, v4, s[0:3], 0 offen offset:8
	;; [unrolled: 1-line block ×3, first 2 shown]
	s_waitcnt vmcnt(0)
	ds_write_b128 v5, v[1:4]
	s_waitcnt lgkmcnt(0)
	s_barrier
	buffer_gl0_inv
	v_cmpx_gt_u32_e32 22, v0
	s_cbranch_execz .LBB34_103
; %bb.100:
	v_mov_b32_e32 v1, 0
	v_mov_b32_e32 v3, 0
	v_add_nc_u32_e32 v7, -1, v0
	v_add_nc_u32_e32 v8, 0x230, v111
	v_mov_b32_e32 v2, 0
	v_mov_b32_e32 v4, 0
	v_add_nc_u32_e32 v9, 16, v111
	s_mov_b32 s5, 0
	.p2align	6
.LBB34_101:                             ; =>This Inner Loop Header: Depth=1
	s_clause 0x3
	buffer_load_dword v14, v9, s[0:3], 0 offen offset:8
	buffer_load_dword v15, v9, s[0:3], 0 offen offset:12
	buffer_load_dword v16, v9, s[0:3], 0 offen
	buffer_load_dword v17, v9, s[0:3], 0 offen offset:4
	ds_read_b128 v[10:13], v8
	v_add_nc_u32_e32 v7, 1, v7
	v_add_nc_u32_e32 v8, 16, v8
	v_add_nc_u32_e32 v9, 16, v9
	v_cmp_lt_u32_e32 vcc_lo, 20, v7
	s_or_b32 s5, vcc_lo, s5
	s_waitcnt vmcnt(2) lgkmcnt(0)
	v_mul_f64 v[18:19], v[12:13], v[14:15]
	v_mul_f64 v[14:15], v[10:11], v[14:15]
	s_waitcnt vmcnt(0)
	v_fma_f64 v[10:11], v[10:11], v[16:17], -v[18:19]
	v_fma_f64 v[12:13], v[12:13], v[16:17], v[14:15]
	v_add_f64 v[3:4], v[3:4], v[10:11]
	v_add_f64 v[1:2], v[1:2], v[12:13]
	s_andn2_b32 exec_lo, exec_lo, s5
	s_cbranch_execnz .LBB34_101
; %bb.102:
	s_or_b32 exec_lo, exec_lo, s5
	v_mov_b32_e32 v7, 0
	ds_read_b128 v[7:10], v7 offset:352
	s_waitcnt lgkmcnt(0)
	v_mul_f64 v[11:12], v[1:2], v[9:10]
	v_mul_f64 v[9:10], v[3:4], v[9:10]
	v_fma_f64 v[3:4], v[3:4], v[7:8], -v[11:12]
	v_fma_f64 v[1:2], v[1:2], v[7:8], v[9:10]
	buffer_store_dword v4, off, s[0:3], 0 offset:372
	buffer_store_dword v3, off, s[0:3], 0 offset:368
	;; [unrolled: 1-line block ×4, first 2 shown]
.LBB34_103:
	s_or_b32 exec_lo, exec_lo, s4
	v_mov_b32_e32 v4, s23
	s_waitcnt_vscnt null, 0x0
	s_barrier
	buffer_gl0_inv
	s_mov_b32 s4, exec_lo
	s_clause 0x3
	buffer_load_dword v1, v4, s[0:3], 0 offen
	buffer_load_dword v2, v4, s[0:3], 0 offen offset:4
	buffer_load_dword v3, v4, s[0:3], 0 offen offset:8
	;; [unrolled: 1-line block ×3, first 2 shown]
	s_waitcnt vmcnt(0)
	ds_write_b128 v5, v[1:4]
	s_waitcnt lgkmcnt(0)
	s_barrier
	buffer_gl0_inv
	v_cmpx_gt_u32_e32 23, v0
	s_cbranch_execz .LBB34_107
; %bb.104:
	v_mov_b32_e32 v1, 0
	v_mov_b32_e32 v3, 0
	v_add_nc_u32_e32 v7, -1, v0
	v_add_nc_u32_e32 v8, 0x230, v111
	v_mov_b32_e32 v2, 0
	v_mov_b32_e32 v4, 0
	v_add_nc_u32_e32 v9, 16, v111
	s_mov_b32 s5, 0
	.p2align	6
.LBB34_105:                             ; =>This Inner Loop Header: Depth=1
	s_clause 0x3
	buffer_load_dword v14, v9, s[0:3], 0 offen offset:8
	buffer_load_dword v15, v9, s[0:3], 0 offen offset:12
	buffer_load_dword v16, v9, s[0:3], 0 offen
	buffer_load_dword v17, v9, s[0:3], 0 offen offset:4
	ds_read_b128 v[10:13], v8
	v_add_nc_u32_e32 v7, 1, v7
	v_add_nc_u32_e32 v8, 16, v8
	;; [unrolled: 1-line block ×3, first 2 shown]
	v_cmp_lt_u32_e32 vcc_lo, 21, v7
	s_or_b32 s5, vcc_lo, s5
	s_waitcnt vmcnt(2) lgkmcnt(0)
	v_mul_f64 v[18:19], v[12:13], v[14:15]
	v_mul_f64 v[14:15], v[10:11], v[14:15]
	s_waitcnt vmcnt(0)
	v_fma_f64 v[10:11], v[10:11], v[16:17], -v[18:19]
	v_fma_f64 v[12:13], v[12:13], v[16:17], v[14:15]
	v_add_f64 v[3:4], v[3:4], v[10:11]
	v_add_f64 v[1:2], v[1:2], v[12:13]
	s_andn2_b32 exec_lo, exec_lo, s5
	s_cbranch_execnz .LBB34_105
; %bb.106:
	s_or_b32 exec_lo, exec_lo, s5
	v_mov_b32_e32 v7, 0
	ds_read_b128 v[7:10], v7 offset:368
	s_waitcnt lgkmcnt(0)
	v_mul_f64 v[11:12], v[1:2], v[9:10]
	v_mul_f64 v[9:10], v[3:4], v[9:10]
	v_fma_f64 v[3:4], v[3:4], v[7:8], -v[11:12]
	v_fma_f64 v[1:2], v[1:2], v[7:8], v[9:10]
	buffer_store_dword v4, off, s[0:3], 0 offset:388
	buffer_store_dword v3, off, s[0:3], 0 offset:384
	;; [unrolled: 1-line block ×4, first 2 shown]
.LBB34_107:
	s_or_b32 exec_lo, exec_lo, s4
	v_mov_b32_e32 v4, s22
	s_waitcnt_vscnt null, 0x0
	s_barrier
	buffer_gl0_inv
	s_mov_b32 s4, exec_lo
	s_clause 0x3
	buffer_load_dword v1, v4, s[0:3], 0 offen
	buffer_load_dword v2, v4, s[0:3], 0 offen offset:4
	buffer_load_dword v3, v4, s[0:3], 0 offen offset:8
	;; [unrolled: 1-line block ×3, first 2 shown]
	s_waitcnt vmcnt(0)
	ds_write_b128 v5, v[1:4]
	s_waitcnt lgkmcnt(0)
	s_barrier
	buffer_gl0_inv
	v_cmpx_gt_u32_e32 24, v0
	s_cbranch_execz .LBB34_111
; %bb.108:
	v_mov_b32_e32 v1, 0
	v_mov_b32_e32 v3, 0
	v_add_nc_u32_e32 v7, -1, v0
	v_add_nc_u32_e32 v8, 0x230, v111
	v_mov_b32_e32 v2, 0
	v_mov_b32_e32 v4, 0
	v_add_nc_u32_e32 v9, 16, v111
	s_mov_b32 s5, 0
	.p2align	6
.LBB34_109:                             ; =>This Inner Loop Header: Depth=1
	s_clause 0x3
	buffer_load_dword v14, v9, s[0:3], 0 offen offset:8
	buffer_load_dword v15, v9, s[0:3], 0 offen offset:12
	buffer_load_dword v16, v9, s[0:3], 0 offen
	buffer_load_dword v17, v9, s[0:3], 0 offen offset:4
	ds_read_b128 v[10:13], v8
	v_add_nc_u32_e32 v7, 1, v7
	v_add_nc_u32_e32 v8, 16, v8
	;; [unrolled: 1-line block ×3, first 2 shown]
	v_cmp_lt_u32_e32 vcc_lo, 22, v7
	s_or_b32 s5, vcc_lo, s5
	s_waitcnt vmcnt(2) lgkmcnt(0)
	v_mul_f64 v[18:19], v[12:13], v[14:15]
	v_mul_f64 v[14:15], v[10:11], v[14:15]
	s_waitcnt vmcnt(0)
	v_fma_f64 v[10:11], v[10:11], v[16:17], -v[18:19]
	v_fma_f64 v[12:13], v[12:13], v[16:17], v[14:15]
	v_add_f64 v[3:4], v[3:4], v[10:11]
	v_add_f64 v[1:2], v[1:2], v[12:13]
	s_andn2_b32 exec_lo, exec_lo, s5
	s_cbranch_execnz .LBB34_109
; %bb.110:
	s_or_b32 exec_lo, exec_lo, s5
	v_mov_b32_e32 v7, 0
	ds_read_b128 v[7:10], v7 offset:384
	s_waitcnt lgkmcnt(0)
	v_mul_f64 v[11:12], v[1:2], v[9:10]
	v_mul_f64 v[9:10], v[3:4], v[9:10]
	v_fma_f64 v[3:4], v[3:4], v[7:8], -v[11:12]
	v_fma_f64 v[1:2], v[1:2], v[7:8], v[9:10]
	buffer_store_dword v4, off, s[0:3], 0 offset:404
	buffer_store_dword v3, off, s[0:3], 0 offset:400
	;; [unrolled: 1-line block ×4, first 2 shown]
.LBB34_111:
	s_or_b32 exec_lo, exec_lo, s4
	v_mov_b32_e32 v4, s19
	s_waitcnt_vscnt null, 0x0
	s_barrier
	buffer_gl0_inv
	s_mov_b32 s4, exec_lo
	s_clause 0x3
	buffer_load_dword v1, v4, s[0:3], 0 offen
	buffer_load_dword v2, v4, s[0:3], 0 offen offset:4
	buffer_load_dword v3, v4, s[0:3], 0 offen offset:8
	;; [unrolled: 1-line block ×3, first 2 shown]
	s_waitcnt vmcnt(0)
	ds_write_b128 v5, v[1:4]
	s_waitcnt lgkmcnt(0)
	s_barrier
	buffer_gl0_inv
	v_cmpx_gt_u32_e32 25, v0
	s_cbranch_execz .LBB34_115
; %bb.112:
	v_mov_b32_e32 v1, 0
	v_mov_b32_e32 v3, 0
	v_add_nc_u32_e32 v7, -1, v0
	v_add_nc_u32_e32 v8, 0x230, v111
	v_mov_b32_e32 v2, 0
	v_mov_b32_e32 v4, 0
	v_add_nc_u32_e32 v9, 16, v111
	s_mov_b32 s5, 0
	.p2align	6
.LBB34_113:                             ; =>This Inner Loop Header: Depth=1
	s_clause 0x3
	buffer_load_dword v14, v9, s[0:3], 0 offen offset:8
	buffer_load_dword v15, v9, s[0:3], 0 offen offset:12
	buffer_load_dword v16, v9, s[0:3], 0 offen
	buffer_load_dword v17, v9, s[0:3], 0 offen offset:4
	ds_read_b128 v[10:13], v8
	v_add_nc_u32_e32 v7, 1, v7
	v_add_nc_u32_e32 v8, 16, v8
	;; [unrolled: 1-line block ×3, first 2 shown]
	v_cmp_lt_u32_e32 vcc_lo, 23, v7
	s_or_b32 s5, vcc_lo, s5
	s_waitcnt vmcnt(2) lgkmcnt(0)
	v_mul_f64 v[18:19], v[12:13], v[14:15]
	v_mul_f64 v[14:15], v[10:11], v[14:15]
	s_waitcnt vmcnt(0)
	v_fma_f64 v[10:11], v[10:11], v[16:17], -v[18:19]
	v_fma_f64 v[12:13], v[12:13], v[16:17], v[14:15]
	v_add_f64 v[3:4], v[3:4], v[10:11]
	v_add_f64 v[1:2], v[1:2], v[12:13]
	s_andn2_b32 exec_lo, exec_lo, s5
	s_cbranch_execnz .LBB34_113
; %bb.114:
	s_or_b32 exec_lo, exec_lo, s5
	v_mov_b32_e32 v7, 0
	ds_read_b128 v[7:10], v7 offset:400
	s_waitcnt lgkmcnt(0)
	v_mul_f64 v[11:12], v[1:2], v[9:10]
	v_mul_f64 v[9:10], v[3:4], v[9:10]
	v_fma_f64 v[3:4], v[3:4], v[7:8], -v[11:12]
	v_fma_f64 v[1:2], v[1:2], v[7:8], v[9:10]
	buffer_store_dword v4, off, s[0:3], 0 offset:420
	buffer_store_dword v3, off, s[0:3], 0 offset:416
	;; [unrolled: 1-line block ×4, first 2 shown]
.LBB34_115:
	s_or_b32 exec_lo, exec_lo, s4
	v_mov_b32_e32 v4, s18
	s_waitcnt_vscnt null, 0x0
	s_barrier
	buffer_gl0_inv
	s_mov_b32 s4, exec_lo
	s_clause 0x3
	buffer_load_dword v1, v4, s[0:3], 0 offen
	buffer_load_dword v2, v4, s[0:3], 0 offen offset:4
	buffer_load_dword v3, v4, s[0:3], 0 offen offset:8
	;; [unrolled: 1-line block ×3, first 2 shown]
	s_waitcnt vmcnt(0)
	ds_write_b128 v5, v[1:4]
	s_waitcnt lgkmcnt(0)
	s_barrier
	buffer_gl0_inv
	v_cmpx_gt_u32_e32 26, v0
	s_cbranch_execz .LBB34_119
; %bb.116:
	v_mov_b32_e32 v1, 0
	v_mov_b32_e32 v3, 0
	v_add_nc_u32_e32 v7, -1, v0
	v_add_nc_u32_e32 v8, 0x230, v111
	v_mov_b32_e32 v2, 0
	v_mov_b32_e32 v4, 0
	v_add_nc_u32_e32 v9, 16, v111
	s_mov_b32 s5, 0
	.p2align	6
.LBB34_117:                             ; =>This Inner Loop Header: Depth=1
	s_clause 0x3
	buffer_load_dword v14, v9, s[0:3], 0 offen offset:8
	buffer_load_dword v15, v9, s[0:3], 0 offen offset:12
	buffer_load_dword v16, v9, s[0:3], 0 offen
	buffer_load_dword v17, v9, s[0:3], 0 offen offset:4
	ds_read_b128 v[10:13], v8
	v_add_nc_u32_e32 v7, 1, v7
	v_add_nc_u32_e32 v8, 16, v8
	;; [unrolled: 1-line block ×3, first 2 shown]
	v_cmp_lt_u32_e32 vcc_lo, 24, v7
	s_or_b32 s5, vcc_lo, s5
	s_waitcnt vmcnt(2) lgkmcnt(0)
	v_mul_f64 v[18:19], v[12:13], v[14:15]
	v_mul_f64 v[14:15], v[10:11], v[14:15]
	s_waitcnt vmcnt(0)
	v_fma_f64 v[10:11], v[10:11], v[16:17], -v[18:19]
	v_fma_f64 v[12:13], v[12:13], v[16:17], v[14:15]
	v_add_f64 v[3:4], v[3:4], v[10:11]
	v_add_f64 v[1:2], v[1:2], v[12:13]
	s_andn2_b32 exec_lo, exec_lo, s5
	s_cbranch_execnz .LBB34_117
; %bb.118:
	s_or_b32 exec_lo, exec_lo, s5
	v_mov_b32_e32 v7, 0
	ds_read_b128 v[7:10], v7 offset:416
	s_waitcnt lgkmcnt(0)
	v_mul_f64 v[11:12], v[1:2], v[9:10]
	v_mul_f64 v[9:10], v[3:4], v[9:10]
	v_fma_f64 v[3:4], v[3:4], v[7:8], -v[11:12]
	v_fma_f64 v[1:2], v[1:2], v[7:8], v[9:10]
	buffer_store_dword v4, off, s[0:3], 0 offset:436
	buffer_store_dword v3, off, s[0:3], 0 offset:432
	;; [unrolled: 1-line block ×4, first 2 shown]
.LBB34_119:
	s_or_b32 exec_lo, exec_lo, s4
	v_mov_b32_e32 v4, s17
	s_waitcnt_vscnt null, 0x0
	s_barrier
	buffer_gl0_inv
	s_mov_b32 s4, exec_lo
	s_clause 0x3
	buffer_load_dword v1, v4, s[0:3], 0 offen
	buffer_load_dword v2, v4, s[0:3], 0 offen offset:4
	buffer_load_dword v3, v4, s[0:3], 0 offen offset:8
	;; [unrolled: 1-line block ×3, first 2 shown]
	s_waitcnt vmcnt(0)
	ds_write_b128 v5, v[1:4]
	s_waitcnt lgkmcnt(0)
	s_barrier
	buffer_gl0_inv
	v_cmpx_gt_u32_e32 27, v0
	s_cbranch_execz .LBB34_123
; %bb.120:
	v_mov_b32_e32 v1, 0
	v_mov_b32_e32 v3, 0
	v_add_nc_u32_e32 v7, -1, v0
	v_add_nc_u32_e32 v8, 0x230, v111
	v_mov_b32_e32 v2, 0
	v_mov_b32_e32 v4, 0
	v_add_nc_u32_e32 v9, 16, v111
	s_mov_b32 s5, 0
	.p2align	6
.LBB34_121:                             ; =>This Inner Loop Header: Depth=1
	s_clause 0x3
	buffer_load_dword v14, v9, s[0:3], 0 offen offset:8
	buffer_load_dword v15, v9, s[0:3], 0 offen offset:12
	buffer_load_dword v16, v9, s[0:3], 0 offen
	buffer_load_dword v17, v9, s[0:3], 0 offen offset:4
	ds_read_b128 v[10:13], v8
	v_add_nc_u32_e32 v7, 1, v7
	v_add_nc_u32_e32 v8, 16, v8
	;; [unrolled: 1-line block ×3, first 2 shown]
	v_cmp_lt_u32_e32 vcc_lo, 25, v7
	s_or_b32 s5, vcc_lo, s5
	s_waitcnt vmcnt(2) lgkmcnt(0)
	v_mul_f64 v[18:19], v[12:13], v[14:15]
	v_mul_f64 v[14:15], v[10:11], v[14:15]
	s_waitcnt vmcnt(0)
	v_fma_f64 v[10:11], v[10:11], v[16:17], -v[18:19]
	v_fma_f64 v[12:13], v[12:13], v[16:17], v[14:15]
	v_add_f64 v[3:4], v[3:4], v[10:11]
	v_add_f64 v[1:2], v[1:2], v[12:13]
	s_andn2_b32 exec_lo, exec_lo, s5
	s_cbranch_execnz .LBB34_121
; %bb.122:
	s_or_b32 exec_lo, exec_lo, s5
	v_mov_b32_e32 v7, 0
	ds_read_b128 v[7:10], v7 offset:432
	s_waitcnt lgkmcnt(0)
	v_mul_f64 v[11:12], v[1:2], v[9:10]
	v_mul_f64 v[9:10], v[3:4], v[9:10]
	v_fma_f64 v[3:4], v[3:4], v[7:8], -v[11:12]
	v_fma_f64 v[1:2], v[1:2], v[7:8], v[9:10]
	buffer_store_dword v4, off, s[0:3], 0 offset:452
	buffer_store_dword v3, off, s[0:3], 0 offset:448
	;; [unrolled: 1-line block ×4, first 2 shown]
.LBB34_123:
	s_or_b32 exec_lo, exec_lo, s4
	v_mov_b32_e32 v4, s16
	s_waitcnt_vscnt null, 0x0
	s_barrier
	buffer_gl0_inv
	s_mov_b32 s4, exec_lo
	s_clause 0x3
	buffer_load_dword v1, v4, s[0:3], 0 offen
	buffer_load_dword v2, v4, s[0:3], 0 offen offset:4
	buffer_load_dword v3, v4, s[0:3], 0 offen offset:8
	;; [unrolled: 1-line block ×3, first 2 shown]
	s_waitcnt vmcnt(0)
	ds_write_b128 v5, v[1:4]
	s_waitcnt lgkmcnt(0)
	s_barrier
	buffer_gl0_inv
	v_cmpx_gt_u32_e32 28, v0
	s_cbranch_execz .LBB34_127
; %bb.124:
	v_mov_b32_e32 v1, 0
	v_mov_b32_e32 v3, 0
	v_add_nc_u32_e32 v7, -1, v0
	v_add_nc_u32_e32 v8, 0x230, v111
	v_mov_b32_e32 v2, 0
	v_mov_b32_e32 v4, 0
	v_add_nc_u32_e32 v9, 16, v111
	s_mov_b32 s5, 0
	.p2align	6
.LBB34_125:                             ; =>This Inner Loop Header: Depth=1
	s_clause 0x3
	buffer_load_dword v14, v9, s[0:3], 0 offen offset:8
	buffer_load_dword v15, v9, s[0:3], 0 offen offset:12
	buffer_load_dword v16, v9, s[0:3], 0 offen
	buffer_load_dword v17, v9, s[0:3], 0 offen offset:4
	ds_read_b128 v[10:13], v8
	v_add_nc_u32_e32 v7, 1, v7
	v_add_nc_u32_e32 v8, 16, v8
	v_add_nc_u32_e32 v9, 16, v9
	v_cmp_lt_u32_e32 vcc_lo, 26, v7
	s_or_b32 s5, vcc_lo, s5
	s_waitcnt vmcnt(2) lgkmcnt(0)
	v_mul_f64 v[18:19], v[12:13], v[14:15]
	v_mul_f64 v[14:15], v[10:11], v[14:15]
	s_waitcnt vmcnt(0)
	v_fma_f64 v[10:11], v[10:11], v[16:17], -v[18:19]
	v_fma_f64 v[12:13], v[12:13], v[16:17], v[14:15]
	v_add_f64 v[3:4], v[3:4], v[10:11]
	v_add_f64 v[1:2], v[1:2], v[12:13]
	s_andn2_b32 exec_lo, exec_lo, s5
	s_cbranch_execnz .LBB34_125
; %bb.126:
	s_or_b32 exec_lo, exec_lo, s5
	v_mov_b32_e32 v7, 0
	ds_read_b128 v[7:10], v7 offset:448
	s_waitcnt lgkmcnt(0)
	v_mul_f64 v[11:12], v[1:2], v[9:10]
	v_mul_f64 v[9:10], v[3:4], v[9:10]
	v_fma_f64 v[3:4], v[3:4], v[7:8], -v[11:12]
	v_fma_f64 v[1:2], v[1:2], v[7:8], v[9:10]
	buffer_store_dword v4, off, s[0:3], 0 offset:468
	buffer_store_dword v3, off, s[0:3], 0 offset:464
	;; [unrolled: 1-line block ×4, first 2 shown]
.LBB34_127:
	s_or_b32 exec_lo, exec_lo, s4
	v_mov_b32_e32 v4, s15
	s_waitcnt_vscnt null, 0x0
	s_barrier
	buffer_gl0_inv
	s_mov_b32 s4, exec_lo
	s_clause 0x3
	buffer_load_dword v1, v4, s[0:3], 0 offen
	buffer_load_dword v2, v4, s[0:3], 0 offen offset:4
	buffer_load_dword v3, v4, s[0:3], 0 offen offset:8
	;; [unrolled: 1-line block ×3, first 2 shown]
	s_waitcnt vmcnt(0)
	ds_write_b128 v5, v[1:4]
	s_waitcnt lgkmcnt(0)
	s_barrier
	buffer_gl0_inv
	v_cmpx_gt_u32_e32 29, v0
	s_cbranch_execz .LBB34_131
; %bb.128:
	v_mov_b32_e32 v1, 0
	v_mov_b32_e32 v3, 0
	v_add_nc_u32_e32 v7, -1, v0
	v_add_nc_u32_e32 v8, 0x230, v111
	v_mov_b32_e32 v2, 0
	v_mov_b32_e32 v4, 0
	v_add_nc_u32_e32 v9, 16, v111
	s_mov_b32 s5, 0
	.p2align	6
.LBB34_129:                             ; =>This Inner Loop Header: Depth=1
	s_clause 0x3
	buffer_load_dword v14, v9, s[0:3], 0 offen offset:8
	buffer_load_dword v15, v9, s[0:3], 0 offen offset:12
	buffer_load_dword v16, v9, s[0:3], 0 offen
	buffer_load_dword v17, v9, s[0:3], 0 offen offset:4
	ds_read_b128 v[10:13], v8
	v_add_nc_u32_e32 v7, 1, v7
	v_add_nc_u32_e32 v8, 16, v8
	;; [unrolled: 1-line block ×3, first 2 shown]
	v_cmp_lt_u32_e32 vcc_lo, 27, v7
	s_or_b32 s5, vcc_lo, s5
	s_waitcnt vmcnt(2) lgkmcnt(0)
	v_mul_f64 v[18:19], v[12:13], v[14:15]
	v_mul_f64 v[14:15], v[10:11], v[14:15]
	s_waitcnt vmcnt(0)
	v_fma_f64 v[10:11], v[10:11], v[16:17], -v[18:19]
	v_fma_f64 v[12:13], v[12:13], v[16:17], v[14:15]
	v_add_f64 v[3:4], v[3:4], v[10:11]
	v_add_f64 v[1:2], v[1:2], v[12:13]
	s_andn2_b32 exec_lo, exec_lo, s5
	s_cbranch_execnz .LBB34_129
; %bb.130:
	s_or_b32 exec_lo, exec_lo, s5
	v_mov_b32_e32 v7, 0
	ds_read_b128 v[7:10], v7 offset:464
	s_waitcnt lgkmcnt(0)
	v_mul_f64 v[11:12], v[1:2], v[9:10]
	v_mul_f64 v[9:10], v[3:4], v[9:10]
	v_fma_f64 v[3:4], v[3:4], v[7:8], -v[11:12]
	v_fma_f64 v[1:2], v[1:2], v[7:8], v[9:10]
	buffer_store_dword v4, off, s[0:3], 0 offset:484
	buffer_store_dword v3, off, s[0:3], 0 offset:480
	;; [unrolled: 1-line block ×4, first 2 shown]
.LBB34_131:
	s_or_b32 exec_lo, exec_lo, s4
	v_mov_b32_e32 v4, s14
	s_waitcnt_vscnt null, 0x0
	s_barrier
	buffer_gl0_inv
	s_mov_b32 s4, exec_lo
	s_clause 0x3
	buffer_load_dword v1, v4, s[0:3], 0 offen
	buffer_load_dword v2, v4, s[0:3], 0 offen offset:4
	buffer_load_dword v3, v4, s[0:3], 0 offen offset:8
	;; [unrolled: 1-line block ×3, first 2 shown]
	s_waitcnt vmcnt(0)
	ds_write_b128 v5, v[1:4]
	s_waitcnt lgkmcnt(0)
	s_barrier
	buffer_gl0_inv
	v_cmpx_gt_u32_e32 30, v0
	s_cbranch_execz .LBB34_135
; %bb.132:
	v_mov_b32_e32 v1, 0
	v_mov_b32_e32 v3, 0
	v_add_nc_u32_e32 v7, -1, v0
	v_add_nc_u32_e32 v8, 0x230, v111
	v_mov_b32_e32 v2, 0
	v_mov_b32_e32 v4, 0
	v_add_nc_u32_e32 v9, 16, v111
	s_mov_b32 s5, 0
	.p2align	6
.LBB34_133:                             ; =>This Inner Loop Header: Depth=1
	s_clause 0x3
	buffer_load_dword v14, v9, s[0:3], 0 offen offset:8
	buffer_load_dword v15, v9, s[0:3], 0 offen offset:12
	buffer_load_dword v16, v9, s[0:3], 0 offen
	buffer_load_dword v17, v9, s[0:3], 0 offen offset:4
	ds_read_b128 v[10:13], v8
	v_add_nc_u32_e32 v7, 1, v7
	v_add_nc_u32_e32 v8, 16, v8
	;; [unrolled: 1-line block ×3, first 2 shown]
	v_cmp_lt_u32_e32 vcc_lo, 28, v7
	s_or_b32 s5, vcc_lo, s5
	s_waitcnt vmcnt(2) lgkmcnt(0)
	v_mul_f64 v[18:19], v[12:13], v[14:15]
	v_mul_f64 v[14:15], v[10:11], v[14:15]
	s_waitcnt vmcnt(0)
	v_fma_f64 v[10:11], v[10:11], v[16:17], -v[18:19]
	v_fma_f64 v[12:13], v[12:13], v[16:17], v[14:15]
	v_add_f64 v[3:4], v[3:4], v[10:11]
	v_add_f64 v[1:2], v[1:2], v[12:13]
	s_andn2_b32 exec_lo, exec_lo, s5
	s_cbranch_execnz .LBB34_133
; %bb.134:
	s_or_b32 exec_lo, exec_lo, s5
	v_mov_b32_e32 v7, 0
	ds_read_b128 v[7:10], v7 offset:480
	s_waitcnt lgkmcnt(0)
	v_mul_f64 v[11:12], v[1:2], v[9:10]
	v_mul_f64 v[9:10], v[3:4], v[9:10]
	v_fma_f64 v[3:4], v[3:4], v[7:8], -v[11:12]
	v_fma_f64 v[1:2], v[1:2], v[7:8], v[9:10]
	buffer_store_dword v4, off, s[0:3], 0 offset:500
	buffer_store_dword v3, off, s[0:3], 0 offset:496
	;; [unrolled: 1-line block ×4, first 2 shown]
.LBB34_135:
	s_or_b32 exec_lo, exec_lo, s4
	v_mov_b32_e32 v4, s13
	s_waitcnt_vscnt null, 0x0
	s_barrier
	buffer_gl0_inv
	s_mov_b32 s4, exec_lo
	s_clause 0x3
	buffer_load_dword v1, v4, s[0:3], 0 offen
	buffer_load_dword v2, v4, s[0:3], 0 offen offset:4
	buffer_load_dword v3, v4, s[0:3], 0 offen offset:8
	;; [unrolled: 1-line block ×3, first 2 shown]
	s_waitcnt vmcnt(0)
	ds_write_b128 v5, v[1:4]
	s_waitcnt lgkmcnt(0)
	s_barrier
	buffer_gl0_inv
	v_cmpx_gt_u32_e32 31, v0
	s_cbranch_execz .LBB34_139
; %bb.136:
	v_mov_b32_e32 v1, 0
	v_mov_b32_e32 v3, 0
	v_add_nc_u32_e32 v7, -1, v0
	v_add_nc_u32_e32 v8, 0x230, v111
	v_mov_b32_e32 v2, 0
	v_mov_b32_e32 v4, 0
	v_add_nc_u32_e32 v9, 16, v111
	s_mov_b32 s5, 0
	.p2align	6
.LBB34_137:                             ; =>This Inner Loop Header: Depth=1
	s_clause 0x3
	buffer_load_dword v14, v9, s[0:3], 0 offen offset:8
	buffer_load_dword v15, v9, s[0:3], 0 offen offset:12
	buffer_load_dword v16, v9, s[0:3], 0 offen
	buffer_load_dword v17, v9, s[0:3], 0 offen offset:4
	ds_read_b128 v[10:13], v8
	v_add_nc_u32_e32 v7, 1, v7
	v_add_nc_u32_e32 v8, 16, v8
	;; [unrolled: 1-line block ×3, first 2 shown]
	v_cmp_lt_u32_e32 vcc_lo, 29, v7
	s_or_b32 s5, vcc_lo, s5
	s_waitcnt vmcnt(2) lgkmcnt(0)
	v_mul_f64 v[18:19], v[12:13], v[14:15]
	v_mul_f64 v[14:15], v[10:11], v[14:15]
	s_waitcnt vmcnt(0)
	v_fma_f64 v[10:11], v[10:11], v[16:17], -v[18:19]
	v_fma_f64 v[12:13], v[12:13], v[16:17], v[14:15]
	v_add_f64 v[3:4], v[3:4], v[10:11]
	v_add_f64 v[1:2], v[1:2], v[12:13]
	s_andn2_b32 exec_lo, exec_lo, s5
	s_cbranch_execnz .LBB34_137
; %bb.138:
	s_or_b32 exec_lo, exec_lo, s5
	v_mov_b32_e32 v7, 0
	ds_read_b128 v[7:10], v7 offset:496
	s_waitcnt lgkmcnt(0)
	v_mul_f64 v[11:12], v[1:2], v[9:10]
	v_mul_f64 v[9:10], v[3:4], v[9:10]
	v_fma_f64 v[3:4], v[3:4], v[7:8], -v[11:12]
	v_fma_f64 v[1:2], v[1:2], v[7:8], v[9:10]
	buffer_store_dword v4, off, s[0:3], 0 offset:516
	buffer_store_dword v3, off, s[0:3], 0 offset:512
	;; [unrolled: 1-line block ×4, first 2 shown]
.LBB34_139:
	s_or_b32 exec_lo, exec_lo, s4
	v_mov_b32_e32 v4, s12
	s_waitcnt_vscnt null, 0x0
	s_barrier
	buffer_gl0_inv
	s_mov_b32 s4, exec_lo
	s_clause 0x3
	buffer_load_dword v1, v4, s[0:3], 0 offen
	buffer_load_dword v2, v4, s[0:3], 0 offen offset:4
	buffer_load_dword v3, v4, s[0:3], 0 offen offset:8
	buffer_load_dword v4, v4, s[0:3], 0 offen offset:12
	s_waitcnt vmcnt(0)
	ds_write_b128 v5, v[1:4]
	s_waitcnt lgkmcnt(0)
	s_barrier
	buffer_gl0_inv
	v_cmpx_gt_u32_e32 32, v0
	s_cbranch_execz .LBB34_143
; %bb.140:
	v_mov_b32_e32 v1, 0
	v_mov_b32_e32 v3, 0
	v_add_nc_u32_e32 v7, -1, v0
	v_add_nc_u32_e32 v8, 0x230, v111
	v_mov_b32_e32 v2, 0
	v_mov_b32_e32 v4, 0
	v_add_nc_u32_e32 v9, 16, v111
	s_mov_b32 s5, 0
	.p2align	6
.LBB34_141:                             ; =>This Inner Loop Header: Depth=1
	s_clause 0x3
	buffer_load_dword v14, v9, s[0:3], 0 offen offset:8
	buffer_load_dword v15, v9, s[0:3], 0 offen offset:12
	buffer_load_dword v16, v9, s[0:3], 0 offen
	buffer_load_dword v17, v9, s[0:3], 0 offen offset:4
	ds_read_b128 v[10:13], v8
	v_add_nc_u32_e32 v7, 1, v7
	v_add_nc_u32_e32 v8, 16, v8
	;; [unrolled: 1-line block ×3, first 2 shown]
	v_cmp_lt_u32_e32 vcc_lo, 30, v7
	s_or_b32 s5, vcc_lo, s5
	s_waitcnt vmcnt(2) lgkmcnt(0)
	v_mul_f64 v[18:19], v[12:13], v[14:15]
	v_mul_f64 v[14:15], v[10:11], v[14:15]
	s_waitcnt vmcnt(0)
	v_fma_f64 v[10:11], v[10:11], v[16:17], -v[18:19]
	v_fma_f64 v[12:13], v[12:13], v[16:17], v[14:15]
	v_add_f64 v[3:4], v[3:4], v[10:11]
	v_add_f64 v[1:2], v[1:2], v[12:13]
	s_andn2_b32 exec_lo, exec_lo, s5
	s_cbranch_execnz .LBB34_141
; %bb.142:
	s_or_b32 exec_lo, exec_lo, s5
	v_mov_b32_e32 v7, 0
	ds_read_b128 v[7:10], v7 offset:512
	s_waitcnt lgkmcnt(0)
	v_mul_f64 v[11:12], v[1:2], v[9:10]
	v_mul_f64 v[9:10], v[3:4], v[9:10]
	v_fma_f64 v[3:4], v[3:4], v[7:8], -v[11:12]
	v_fma_f64 v[1:2], v[1:2], v[7:8], v[9:10]
	buffer_store_dword v4, off, s[0:3], 0 offset:532
	buffer_store_dword v3, off, s[0:3], 0 offset:528
	;; [unrolled: 1-line block ×4, first 2 shown]
.LBB34_143:
	s_or_b32 exec_lo, exec_lo, s4
	v_mov_b32_e32 v4, s9
	s_waitcnt_vscnt null, 0x0
	s_barrier
	buffer_gl0_inv
	s_mov_b32 s4, exec_lo
	s_clause 0x3
	buffer_load_dword v1, v4, s[0:3], 0 offen
	buffer_load_dword v2, v4, s[0:3], 0 offen offset:4
	buffer_load_dword v3, v4, s[0:3], 0 offen offset:8
	;; [unrolled: 1-line block ×3, first 2 shown]
	s_waitcnt vmcnt(0)
	ds_write_b128 v5, v[1:4]
	s_waitcnt lgkmcnt(0)
	s_barrier
	buffer_gl0_inv
	v_cmpx_gt_u32_e32 33, v0
	s_cbranch_execz .LBB34_147
; %bb.144:
	v_mov_b32_e32 v1, 0
	v_mov_b32_e32 v3, 0
	v_add_nc_u32_e32 v7, -1, v0
	v_add_nc_u32_e32 v8, 0x230, v111
	v_mov_b32_e32 v2, 0
	v_mov_b32_e32 v4, 0
	v_add_nc_u32_e32 v9, 16, v111
	s_mov_b32 s5, 0
	.p2align	6
.LBB34_145:                             ; =>This Inner Loop Header: Depth=1
	s_clause 0x3
	buffer_load_dword v14, v9, s[0:3], 0 offen offset:8
	buffer_load_dword v15, v9, s[0:3], 0 offen offset:12
	buffer_load_dword v16, v9, s[0:3], 0 offen
	buffer_load_dword v17, v9, s[0:3], 0 offen offset:4
	ds_read_b128 v[10:13], v8
	v_add_nc_u32_e32 v7, 1, v7
	v_add_nc_u32_e32 v8, 16, v8
	;; [unrolled: 1-line block ×3, first 2 shown]
	v_cmp_lt_u32_e32 vcc_lo, 31, v7
	s_or_b32 s5, vcc_lo, s5
	s_waitcnt vmcnt(2) lgkmcnt(0)
	v_mul_f64 v[18:19], v[12:13], v[14:15]
	v_mul_f64 v[14:15], v[10:11], v[14:15]
	s_waitcnt vmcnt(0)
	v_fma_f64 v[10:11], v[10:11], v[16:17], -v[18:19]
	v_fma_f64 v[12:13], v[12:13], v[16:17], v[14:15]
	v_add_f64 v[3:4], v[3:4], v[10:11]
	v_add_f64 v[1:2], v[1:2], v[12:13]
	s_andn2_b32 exec_lo, exec_lo, s5
	s_cbranch_execnz .LBB34_145
; %bb.146:
	s_or_b32 exec_lo, exec_lo, s5
	v_mov_b32_e32 v7, 0
	ds_read_b128 v[7:10], v7 offset:528
	s_waitcnt lgkmcnt(0)
	v_mul_f64 v[11:12], v[1:2], v[9:10]
	v_mul_f64 v[9:10], v[3:4], v[9:10]
	v_fma_f64 v[3:4], v[3:4], v[7:8], -v[11:12]
	v_fma_f64 v[1:2], v[1:2], v[7:8], v[9:10]
	buffer_store_dword v4, off, s[0:3], 0 offset:548
	buffer_store_dword v3, off, s[0:3], 0 offset:544
	;; [unrolled: 1-line block ×4, first 2 shown]
.LBB34_147:
	s_or_b32 exec_lo, exec_lo, s4
	v_mov_b32_e32 v4, s8
	s_waitcnt_vscnt null, 0x0
	s_barrier
	buffer_gl0_inv
	s_mov_b32 s4, exec_lo
	s_clause 0x3
	buffer_load_dword v1, v4, s[0:3], 0 offen
	buffer_load_dword v2, v4, s[0:3], 0 offen offset:4
	buffer_load_dword v3, v4, s[0:3], 0 offen offset:8
	;; [unrolled: 1-line block ×3, first 2 shown]
	s_waitcnt vmcnt(0)
	ds_write_b128 v5, v[1:4]
	s_waitcnt lgkmcnt(0)
	s_barrier
	buffer_gl0_inv
	v_cmpx_ne_u32_e32 34, v0
	s_cbranch_execz .LBB34_151
; %bb.148:
	v_mov_b32_e32 v1, 0
	v_mov_b32_e32 v3, 0
	;; [unrolled: 1-line block ×4, first 2 shown]
	v_add_nc_u32_e32 v7, 16, v111
	s_mov_b32 s5, 0
	.p2align	6
.LBB34_149:                             ; =>This Inner Loop Header: Depth=1
	s_clause 0x3
	buffer_load_dword v12, v7, s[0:3], 0 offen offset:8
	buffer_load_dword v13, v7, s[0:3], 0 offen offset:12
	buffer_load_dword v14, v7, s[0:3], 0 offen
	buffer_load_dword v15, v7, s[0:3], 0 offen offset:4
	ds_read_b128 v[8:11], v5
	v_add_nc_u32_e32 v6, 1, v6
	v_add_nc_u32_e32 v5, 16, v5
	;; [unrolled: 1-line block ×3, first 2 shown]
	v_cmp_lt_u32_e32 vcc_lo, 32, v6
	s_or_b32 s5, vcc_lo, s5
	s_waitcnt vmcnt(2) lgkmcnt(0)
	v_mul_f64 v[16:17], v[10:11], v[12:13]
	v_mul_f64 v[12:13], v[8:9], v[12:13]
	s_waitcnt vmcnt(0)
	v_fma_f64 v[8:9], v[8:9], v[14:15], -v[16:17]
	v_fma_f64 v[10:11], v[10:11], v[14:15], v[12:13]
	v_add_f64 v[3:4], v[3:4], v[8:9]
	v_add_f64 v[1:2], v[1:2], v[10:11]
	s_andn2_b32 exec_lo, exec_lo, s5
	s_cbranch_execnz .LBB34_149
; %bb.150:
	s_or_b32 exec_lo, exec_lo, s5
	v_mov_b32_e32 v5, 0
	ds_read_b128 v[5:8], v5 offset:544
	s_waitcnt lgkmcnt(0)
	v_mul_f64 v[9:10], v[1:2], v[7:8]
	v_mul_f64 v[7:8], v[3:4], v[7:8]
	v_fma_f64 v[3:4], v[3:4], v[5:6], -v[9:10]
	v_fma_f64 v[1:2], v[1:2], v[5:6], v[7:8]
	buffer_store_dword v4, off, s[0:3], 0 offset:564
	buffer_store_dword v3, off, s[0:3], 0 offset:560
	;; [unrolled: 1-line block ×4, first 2 shown]
.LBB34_151:
	s_or_b32 exec_lo, exec_lo, s4
	s_mov_b32 s5, -1
	s_waitcnt_vscnt null, 0x0
	s_barrier
	buffer_gl0_inv
.LBB34_152:
	s_and_b32 vcc_lo, exec_lo, s5
	s_cbranch_vccz .LBB34_154
; %bb.153:
	s_lshl_b64 s[4:5], s[6:7], 2
	v_mov_b32_e32 v1, 0
	s_add_u32 s4, s10, s4
	s_addc_u32 s5, s11, s5
	global_load_dword v1, v1, s[4:5]
	s_waitcnt vmcnt(0)
	v_cmp_ne_u32_e32 vcc_lo, 0, v1
	s_cbranch_vccz .LBB34_155
.LBB34_154:
	s_endpgm
.LBB34_155:
	v_lshl_add_u32 v39, v0, 4, 0x230
	s_mov_b32 s4, exec_lo
	v_cmpx_eq_u32_e32 34, v0
	s_cbranch_execz .LBB34_157
; %bb.156:
	v_mov_b32_e32 v4, s9
	v_mov_b32_e32 v5, 0
	s_clause 0x3
	buffer_load_dword v1, v4, s[0:3], 0 offen
	buffer_load_dword v2, v4, s[0:3], 0 offen offset:4
	buffer_load_dword v3, v4, s[0:3], 0 offen offset:8
	;; [unrolled: 1-line block ×3, first 2 shown]
	buffer_store_dword v5, off, s[0:3], 0 offset:544
	buffer_store_dword v5, off, s[0:3], 0 offset:548
	;; [unrolled: 1-line block ×4, first 2 shown]
	s_waitcnt vmcnt(0)
	ds_write_b128 v39, v[1:4]
.LBB34_157:
	s_or_b32 exec_lo, exec_lo, s4
	s_waitcnt lgkmcnt(0)
	s_waitcnt_vscnt null, 0x0
	s_barrier
	buffer_gl0_inv
	s_clause 0x7
	buffer_load_dword v6, off, s[0:3], 0 offset:568
	buffer_load_dword v7, off, s[0:3], 0 offset:572
	;; [unrolled: 1-line block ×8, first 2 shown]
	v_mov_b32_e32 v1, 0
	s_mov_b32 s4, exec_lo
	ds_read_b128 v[2:5], v1 offset:1104
	s_waitcnt vmcnt(6) lgkmcnt(0)
	v_mul_f64 v[14:15], v[4:5], v[6:7]
	v_mul_f64 v[6:7], v[2:3], v[6:7]
	s_waitcnt vmcnt(4)
	v_fma_f64 v[2:3], v[2:3], v[8:9], -v[14:15]
	v_fma_f64 v[4:5], v[4:5], v[8:9], v[6:7]
	v_add_f64 v[2:3], v[2:3], 0
	v_add_f64 v[4:5], v[4:5], 0
	s_waitcnt vmcnt(2)
	v_add_f64 v[2:3], v[10:11], -v[2:3]
	s_waitcnt vmcnt(0)
	v_add_f64 v[4:5], v[12:13], -v[4:5]
	buffer_store_dword v2, off, s[0:3], 0 offset:544
	buffer_store_dword v3, off, s[0:3], 0 offset:548
	;; [unrolled: 1-line block ×4, first 2 shown]
	v_cmpx_lt_u32_e32 32, v0
	s_cbranch_execz .LBB34_159
; %bb.158:
	v_mov_b32_e32 v5, s12
	s_clause 0x3
	buffer_load_dword v2, v5, s[0:3], 0 offen
	buffer_load_dword v3, v5, s[0:3], 0 offen offset:4
	buffer_load_dword v4, v5, s[0:3], 0 offen offset:8
	;; [unrolled: 1-line block ×3, first 2 shown]
	buffer_store_dword v1, off, s[0:3], 0 offset:528
	buffer_store_dword v1, off, s[0:3], 0 offset:532
	;; [unrolled: 1-line block ×4, first 2 shown]
	s_waitcnt vmcnt(0)
	ds_write_b128 v39, v[2:5]
.LBB34_159:
	s_or_b32 exec_lo, exec_lo, s4
	s_waitcnt lgkmcnt(0)
	s_waitcnt_vscnt null, 0x0
	s_barrier
	buffer_gl0_inv
	s_clause 0xb
	buffer_load_dword v10, off, s[0:3], 0 offset:552
	buffer_load_dword v11, off, s[0:3], 0 offset:556
	;; [unrolled: 1-line block ×12, first 2 shown]
	ds_read_b128 v[2:5], v1 offset:1088
	ds_read_b128 v[6:9], v1 offset:1104
	s_mov_b32 s4, exec_lo
	s_waitcnt vmcnt(10) lgkmcnt(1)
	v_mul_f64 v[22:23], v[4:5], v[10:11]
	v_mul_f64 v[10:11], v[2:3], v[10:11]
	s_waitcnt vmcnt(8) lgkmcnt(0)
	v_mul_f64 v[24:25], v[8:9], v[12:13]
	v_mul_f64 v[12:13], v[6:7], v[12:13]
	s_waitcnt vmcnt(6)
	v_fma_f64 v[1:2], v[2:3], v[14:15], -v[22:23]
	v_fma_f64 v[3:4], v[4:5], v[14:15], v[10:11]
	s_waitcnt vmcnt(4)
	v_fma_f64 v[5:6], v[6:7], v[16:17], -v[24:25]
	v_fma_f64 v[7:8], v[8:9], v[16:17], v[12:13]
	v_add_f64 v[1:2], v[1:2], 0
	v_add_f64 v[3:4], v[3:4], 0
	;; [unrolled: 1-line block ×4, first 2 shown]
	s_waitcnt vmcnt(2)
	v_add_f64 v[1:2], v[18:19], -v[1:2]
	s_waitcnt vmcnt(0)
	v_add_f64 v[3:4], v[20:21], -v[3:4]
	buffer_store_dword v1, off, s[0:3], 0 offset:528
	buffer_store_dword v2, off, s[0:3], 0 offset:532
	buffer_store_dword v3, off, s[0:3], 0 offset:536
	buffer_store_dword v4, off, s[0:3], 0 offset:540
	v_cmpx_lt_u32_e32 31, v0
	s_cbranch_execz .LBB34_161
; %bb.160:
	v_mov_b32_e32 v4, s13
	v_mov_b32_e32 v5, 0
	s_clause 0x3
	buffer_load_dword v1, v4, s[0:3], 0 offen
	buffer_load_dword v2, v4, s[0:3], 0 offen offset:4
	buffer_load_dword v3, v4, s[0:3], 0 offen offset:8
	;; [unrolled: 1-line block ×3, first 2 shown]
	buffer_store_dword v5, off, s[0:3], 0 offset:512
	buffer_store_dword v5, off, s[0:3], 0 offset:516
	;; [unrolled: 1-line block ×4, first 2 shown]
	s_waitcnt vmcnt(0)
	ds_write_b128 v39, v[1:4]
.LBB34_161:
	s_or_b32 exec_lo, exec_lo, s4
	s_waitcnt lgkmcnt(0)
	s_waitcnt_vscnt null, 0x0
	s_barrier
	buffer_gl0_inv
	s_clause 0xf
	buffer_load_dword v10, off, s[0:3], 0 offset:536
	buffer_load_dword v11, off, s[0:3], 0 offset:540
	;; [unrolled: 1-line block ×16, first 2 shown]
	v_mov_b32_e32 v1, 0
	ds_read_b128 v[2:5], v1 offset:1072
	ds_read_b128 v[6:9], v1 offset:1088
	s_mov_b32 s4, exec_lo
	s_waitcnt vmcnt(14) lgkmcnt(1)
	v_mul_f64 v[28:29], v[4:5], v[10:11]
	v_mul_f64 v[30:31], v[2:3], v[10:11]
	s_waitcnt vmcnt(12) lgkmcnt(0)
	v_mul_f64 v[32:33], v[8:9], v[14:15]
	ds_read_b128 v[10:13], v1 offset:1104
	v_mul_f64 v[14:15], v[6:7], v[14:15]
	s_waitcnt vmcnt(10)
	v_fma_f64 v[2:3], v[2:3], v[16:17], -v[28:29]
	v_fma_f64 v[4:5], v[4:5], v[16:17], v[30:31]
	s_waitcnt vmcnt(8) lgkmcnt(0)
	v_mul_f64 v[16:17], v[10:11], v[18:19]
	v_mul_f64 v[18:19], v[12:13], v[18:19]
	s_waitcnt vmcnt(6)
	v_fma_f64 v[6:7], v[6:7], v[20:21], -v[32:33]
	v_fma_f64 v[8:9], v[8:9], v[20:21], v[14:15]
	v_add_f64 v[2:3], v[2:3], 0
	v_add_f64 v[4:5], v[4:5], 0
	s_waitcnt vmcnt(4)
	v_fma_f64 v[10:11], v[10:11], v[22:23], -v[18:19]
	v_add_f64 v[2:3], v[2:3], v[6:7]
	v_fma_f64 v[6:7], v[12:13], v[22:23], v[16:17]
	v_add_f64 v[4:5], v[4:5], v[8:9]
	v_add_f64 v[2:3], v[2:3], v[10:11]
	v_add_f64 v[4:5], v[4:5], v[6:7]
	s_waitcnt vmcnt(2)
	v_add_f64 v[2:3], v[24:25], -v[2:3]
	s_waitcnt vmcnt(0)
	v_add_f64 v[4:5], v[26:27], -v[4:5]
	buffer_store_dword v2, off, s[0:3], 0 offset:512
	buffer_store_dword v3, off, s[0:3], 0 offset:516
	;; [unrolled: 1-line block ×4, first 2 shown]
	v_cmpx_lt_u32_e32 30, v0
	s_cbranch_execz .LBB34_163
; %bb.162:
	v_mov_b32_e32 v5, s14
	s_clause 0x3
	buffer_load_dword v2, v5, s[0:3], 0 offen
	buffer_load_dword v3, v5, s[0:3], 0 offen offset:4
	buffer_load_dword v4, v5, s[0:3], 0 offen offset:8
	;; [unrolled: 1-line block ×3, first 2 shown]
	buffer_store_dword v1, off, s[0:3], 0 offset:496
	buffer_store_dword v1, off, s[0:3], 0 offset:500
	buffer_store_dword v1, off, s[0:3], 0 offset:504
	buffer_store_dword v1, off, s[0:3], 0 offset:508
	s_waitcnt vmcnt(0)
	ds_write_b128 v39, v[2:5]
.LBB34_163:
	s_or_b32 exec_lo, exec_lo, s4
	s_waitcnt lgkmcnt(0)
	s_waitcnt_vscnt null, 0x0
	s_barrier
	buffer_gl0_inv
	s_clause 0x13
	buffer_load_dword v10, off, s[0:3], 0 offset:520
	buffer_load_dword v11, off, s[0:3], 0 offset:524
	buffer_load_dword v14, off, s[0:3], 0 offset:536
	buffer_load_dword v15, off, s[0:3], 0 offset:540
	buffer_load_dword v16, off, s[0:3], 0 offset:512
	buffer_load_dword v17, off, s[0:3], 0 offset:516
	buffer_load_dword v18, off, s[0:3], 0 offset:552
	buffer_load_dword v19, off, s[0:3], 0 offset:556
	buffer_load_dword v20, off, s[0:3], 0 offset:528
	buffer_load_dword v21, off, s[0:3], 0 offset:532
	buffer_load_dword v23, off, s[0:3], 0 offset:572
	buffer_load_dword v22, off, s[0:3], 0 offset:568
	buffer_load_dword v24, off, s[0:3], 0 offset:544
	buffer_load_dword v25, off, s[0:3], 0 offset:548
	buffer_load_dword v27, off, s[0:3], 0 offset:564
	buffer_load_dword v26, off, s[0:3], 0 offset:560
	buffer_load_dword v28, off, s[0:3], 0 offset:496
	buffer_load_dword v29, off, s[0:3], 0 offset:500
	buffer_load_dword v30, off, s[0:3], 0 offset:504
	buffer_load_dword v31, off, s[0:3], 0 offset:508
	ds_read_b128 v[2:5], v1 offset:1056
	ds_read_b128 v[6:9], v1 offset:1072
	s_mov_b32 s4, exec_lo
	s_waitcnt vmcnt(18) lgkmcnt(1)
	v_mul_f64 v[32:33], v[4:5], v[10:11]
	v_mul_f64 v[34:35], v[2:3], v[10:11]
	s_waitcnt vmcnt(16) lgkmcnt(0)
	v_mul_f64 v[36:37], v[8:9], v[14:15]
	ds_read_b128 v[10:13], v1 offset:1088
	v_mul_f64 v[14:15], v[6:7], v[14:15]
	s_waitcnt vmcnt(14)
	v_fma_f64 v[32:33], v[2:3], v[16:17], -v[32:33]
	v_fma_f64 v[16:17], v[4:5], v[16:17], v[34:35]
	s_waitcnt vmcnt(12) lgkmcnt(0)
	v_mul_f64 v[34:35], v[10:11], v[18:19]
	v_mul_f64 v[18:19], v[12:13], v[18:19]
	s_waitcnt vmcnt(10)
	v_fma_f64 v[5:6], v[6:7], v[20:21], -v[36:37]
	ds_read_b128 v[1:4], v1 offset:1104
	v_fma_f64 v[7:8], v[8:9], v[20:21], v[14:15]
	v_add_f64 v[32:33], v[32:33], 0
	v_add_f64 v[14:15], v[16:17], 0
	s_waitcnt vmcnt(8) lgkmcnt(0)
	v_mul_f64 v[20:21], v[3:4], v[22:23]
	s_waitcnt vmcnt(6)
	v_fma_f64 v[9:10], v[10:11], v[24:25], -v[18:19]
	v_mul_f64 v[16:17], v[1:2], v[22:23]
	v_fma_f64 v[11:12], v[12:13], v[24:25], v[34:35]
	v_add_f64 v[5:6], v[32:33], v[5:6]
	v_add_f64 v[7:8], v[14:15], v[7:8]
	s_waitcnt vmcnt(4)
	v_fma_f64 v[1:2], v[1:2], v[26:27], -v[20:21]
	v_fma_f64 v[3:4], v[3:4], v[26:27], v[16:17]
	v_add_f64 v[5:6], v[5:6], v[9:10]
	v_add_f64 v[7:8], v[7:8], v[11:12]
	;; [unrolled: 1-line block ×4, first 2 shown]
	s_waitcnt vmcnt(2)
	v_add_f64 v[1:2], v[28:29], -v[1:2]
	s_waitcnt vmcnt(0)
	v_add_f64 v[3:4], v[30:31], -v[3:4]
	buffer_store_dword v1, off, s[0:3], 0 offset:496
	buffer_store_dword v2, off, s[0:3], 0 offset:500
	;; [unrolled: 1-line block ×4, first 2 shown]
	v_cmpx_lt_u32_e32 29, v0
	s_cbranch_execz .LBB34_165
; %bb.164:
	v_mov_b32_e32 v4, s15
	v_mov_b32_e32 v5, 0
	s_clause 0x3
	buffer_load_dword v1, v4, s[0:3], 0 offen
	buffer_load_dword v2, v4, s[0:3], 0 offen offset:4
	buffer_load_dword v3, v4, s[0:3], 0 offen offset:8
	;; [unrolled: 1-line block ×3, first 2 shown]
	buffer_store_dword v5, off, s[0:3], 0 offset:480
	buffer_store_dword v5, off, s[0:3], 0 offset:484
	;; [unrolled: 1-line block ×4, first 2 shown]
	s_waitcnt vmcnt(0)
	ds_write_b128 v39, v[1:4]
.LBB34_165:
	s_or_b32 exec_lo, exec_lo, s4
	s_waitcnt lgkmcnt(0)
	s_waitcnt_vscnt null, 0x0
	s_barrier
	buffer_gl0_inv
	s_clause 0x17
	buffer_load_dword v10, off, s[0:3], 0 offset:504
	buffer_load_dword v11, off, s[0:3], 0 offset:508
	;; [unrolled: 1-line block ×24, first 2 shown]
	v_mov_b32_e32 v1, 0
	ds_read_b128 v[2:5], v1 offset:1040
	ds_read_b128 v[6:9], v1 offset:1056
	s_mov_b32 s4, exec_lo
	s_waitcnt vmcnt(22) lgkmcnt(1)
	v_mul_f64 v[36:37], v[4:5], v[10:11]
	v_mul_f64 v[111:112], v[2:3], v[10:11]
	s_waitcnt vmcnt(20) lgkmcnt(0)
	v_mul_f64 v[113:114], v[8:9], v[14:15]
	ds_read_b128 v[10:13], v1 offset:1072
	v_mul_f64 v[14:15], v[6:7], v[14:15]
	s_waitcnt vmcnt(18)
	v_fma_f64 v[36:37], v[2:3], v[16:17], -v[36:37]
	v_fma_f64 v[16:17], v[4:5], v[16:17], v[111:112]
	ds_read_b128 v[2:5], v1 offset:1088
	s_waitcnt vmcnt(16) lgkmcnt(1)
	v_mul_f64 v[111:112], v[10:11], v[18:19]
	v_mul_f64 v[18:19], v[12:13], v[18:19]
	s_waitcnt vmcnt(14)
	v_fma_f64 v[113:114], v[6:7], v[20:21], -v[113:114]
	v_fma_f64 v[14:15], v[8:9], v[20:21], v[14:15]
	ds_read_b128 v[6:9], v1 offset:1104
	s_waitcnt vmcnt(10) lgkmcnt(1)
	v_mul_f64 v[20:21], v[2:3], v[22:23]
	v_add_f64 v[36:37], v[36:37], 0
	v_add_f64 v[16:17], v[16:17], 0
	v_mul_f64 v[22:23], v[4:5], v[22:23]
	s_waitcnt vmcnt(8)
	v_fma_f64 v[10:11], v[10:11], v[28:29], -v[18:19]
	v_fma_f64 v[12:13], v[12:13], v[28:29], v[111:112]
	s_waitcnt vmcnt(5)
	v_fma_f64 v[4:5], v[4:5], v[30:31], v[20:21]
	v_add_f64 v[18:19], v[36:37], v[113:114]
	v_add_f64 v[14:15], v[16:17], v[14:15]
	s_waitcnt lgkmcnt(0)
	v_mul_f64 v[16:17], v[6:7], v[24:25]
	v_mul_f64 v[24:25], v[8:9], v[24:25]
	v_fma_f64 v[2:3], v[2:3], v[30:31], -v[22:23]
	v_add_f64 v[10:11], v[18:19], v[10:11]
	v_add_f64 v[12:13], v[14:15], v[12:13]
	s_waitcnt vmcnt(4)
	v_fma_f64 v[8:9], v[8:9], v[26:27], v[16:17]
	v_fma_f64 v[6:7], v[6:7], v[26:27], -v[24:25]
	v_add_f64 v[2:3], v[10:11], v[2:3]
	v_add_f64 v[4:5], v[12:13], v[4:5]
	;; [unrolled: 1-line block ×4, first 2 shown]
	s_waitcnt vmcnt(2)
	v_add_f64 v[2:3], v[32:33], -v[2:3]
	s_waitcnt vmcnt(0)
	v_add_f64 v[4:5], v[34:35], -v[4:5]
	buffer_store_dword v3, off, s[0:3], 0 offset:484
	buffer_store_dword v2, off, s[0:3], 0 offset:480
	;; [unrolled: 1-line block ×4, first 2 shown]
	v_cmpx_lt_u32_e32 28, v0
	s_cbranch_execz .LBB34_167
; %bb.166:
	v_mov_b32_e32 v5, s16
	s_clause 0x3
	buffer_load_dword v2, v5, s[0:3], 0 offen
	buffer_load_dword v3, v5, s[0:3], 0 offen offset:4
	buffer_load_dword v4, v5, s[0:3], 0 offen offset:8
	;; [unrolled: 1-line block ×3, first 2 shown]
	buffer_store_dword v1, off, s[0:3], 0 offset:464
	buffer_store_dword v1, off, s[0:3], 0 offset:468
	;; [unrolled: 1-line block ×4, first 2 shown]
	s_waitcnt vmcnt(0)
	ds_write_b128 v39, v[2:5]
.LBB34_167:
	s_or_b32 exec_lo, exec_lo, s4
	s_waitcnt lgkmcnt(0)
	s_waitcnt_vscnt null, 0x0
	s_barrier
	buffer_gl0_inv
	s_clause 0x1b
	buffer_load_dword v10, off, s[0:3], 0 offset:488
	buffer_load_dword v11, off, s[0:3], 0 offset:492
	;; [unrolled: 1-line block ×28, first 2 shown]
	ds_read_b128 v[2:5], v1 offset:1024
	ds_read_b128 v[6:9], v1 offset:1040
	s_mov_b32 s4, exec_lo
	s_waitcnt vmcnt(26) lgkmcnt(1)
	v_mul_f64 v[113:114], v[4:5], v[10:11]
	v_mul_f64 v[115:116], v[2:3], v[10:11]
	s_waitcnt vmcnt(24) lgkmcnt(0)
	v_mul_f64 v[117:118], v[8:9], v[14:15]
	ds_read_b128 v[10:13], v1 offset:1056
	v_mul_f64 v[14:15], v[6:7], v[14:15]
	s_waitcnt vmcnt(22)
	v_fma_f64 v[113:114], v[2:3], v[16:17], -v[113:114]
	v_fma_f64 v[16:17], v[4:5], v[16:17], v[115:116]
	ds_read_b128 v[2:5], v1 offset:1072
	s_waitcnt vmcnt(20) lgkmcnt(1)
	v_mul_f64 v[115:116], v[10:11], v[18:19]
	v_mul_f64 v[18:19], v[12:13], v[18:19]
	s_waitcnt vmcnt(18)
	v_fma_f64 v[117:118], v[6:7], v[20:21], -v[117:118]
	v_fma_f64 v[14:15], v[8:9], v[20:21], v[14:15]
	ds_read_b128 v[6:9], v1 offset:1088
	s_waitcnt vmcnt(14) lgkmcnt(1)
	v_mul_f64 v[20:21], v[2:3], v[22:23]
	v_add_f64 v[113:114], v[113:114], 0
	v_add_f64 v[16:17], v[16:17], 0
	v_mul_f64 v[22:23], v[4:5], v[22:23]
	s_waitcnt vmcnt(12)
	v_fma_f64 v[18:19], v[10:11], v[28:29], -v[18:19]
	v_fma_f64 v[28:29], v[12:13], v[28:29], v[115:116]
	ds_read_b128 v[10:13], v1 offset:1104
	v_add_f64 v[113:114], v[113:114], v[117:118]
	v_add_f64 v[14:15], v[16:17], v[14:15]
	s_waitcnt vmcnt(11) lgkmcnt(1)
	v_mul_f64 v[16:17], v[6:7], v[24:25]
	v_mul_f64 v[24:25], v[8:9], v[24:25]
	s_waitcnt vmcnt(9)
	v_fma_f64 v[1:2], v[2:3], v[30:31], -v[22:23]
	v_fma_f64 v[3:4], v[4:5], v[30:31], v[20:21]
	s_waitcnt vmcnt(7) lgkmcnt(0)
	v_mul_f64 v[22:23], v[12:13], v[32:33]
	v_mul_f64 v[20:21], v[10:11], v[32:33]
	v_add_f64 v[18:19], v[113:114], v[18:19]
	v_add_f64 v[14:15], v[14:15], v[28:29]
	s_waitcnt vmcnt(6)
	v_fma_f64 v[5:6], v[6:7], v[26:27], -v[24:25]
	v_fma_f64 v[7:8], v[8:9], v[26:27], v[16:17]
	s_waitcnt vmcnt(4)
	v_fma_f64 v[9:10], v[10:11], v[34:35], -v[22:23]
	v_add_f64 v[1:2], v[18:19], v[1:2]
	v_add_f64 v[3:4], v[14:15], v[3:4]
	;; [unrolled: 1-line block ×3, first 2 shown]
	v_fma_f64 v[5:6], v[12:13], v[34:35], v[20:21]
	v_add_f64 v[3:4], v[3:4], v[7:8]
	v_add_f64 v[1:2], v[1:2], v[9:10]
	;; [unrolled: 1-line block ×3, first 2 shown]
	s_waitcnt vmcnt(2)
	v_add_f64 v[1:2], v[36:37], -v[1:2]
	s_waitcnt vmcnt(0)
	v_add_f64 v[3:4], v[111:112], -v[3:4]
	buffer_store_dword v2, off, s[0:3], 0 offset:468
	buffer_store_dword v1, off, s[0:3], 0 offset:464
	buffer_store_dword v4, off, s[0:3], 0 offset:476
	buffer_store_dword v3, off, s[0:3], 0 offset:472
	v_cmpx_lt_u32_e32 27, v0
	s_cbranch_execz .LBB34_169
; %bb.168:
	v_mov_b32_e32 v4, s17
	v_mov_b32_e32 v5, 0
	s_clause 0x3
	buffer_load_dword v1, v4, s[0:3], 0 offen
	buffer_load_dword v2, v4, s[0:3], 0 offen offset:4
	buffer_load_dword v3, v4, s[0:3], 0 offen offset:8
	;; [unrolled: 1-line block ×3, first 2 shown]
	buffer_store_dword v5, off, s[0:3], 0 offset:448
	buffer_store_dword v5, off, s[0:3], 0 offset:452
	;; [unrolled: 1-line block ×4, first 2 shown]
	s_waitcnt vmcnt(0)
	ds_write_b128 v39, v[1:4]
.LBB34_169:
	s_or_b32 exec_lo, exec_lo, s4
	s_waitcnt lgkmcnt(0)
	s_waitcnt_vscnt null, 0x0
	s_barrier
	buffer_gl0_inv
	s_clause 0x1f
	buffer_load_dword v10, off, s[0:3], 0 offset:472
	buffer_load_dword v11, off, s[0:3], 0 offset:476
	;; [unrolled: 1-line block ×32, first 2 shown]
	v_mov_b32_e32 v1, 0
	ds_read_b128 v[2:5], v1 offset:1008
	ds_read_b128 v[6:9], v1 offset:1024
	s_mov_b32 s4, exec_lo
	s_waitcnt vmcnt(30) lgkmcnt(1)
	v_mul_f64 v[117:118], v[4:5], v[10:11]
	v_mul_f64 v[119:120], v[2:3], v[10:11]
	s_waitcnt vmcnt(28) lgkmcnt(0)
	v_mul_f64 v[121:122], v[8:9], v[14:15]
	ds_read_b128 v[10:13], v1 offset:1040
	v_mul_f64 v[14:15], v[6:7], v[14:15]
	s_waitcnt vmcnt(26)
	v_fma_f64 v[117:118], v[2:3], v[16:17], -v[117:118]
	v_fma_f64 v[16:17], v[4:5], v[16:17], v[119:120]
	ds_read_b128 v[2:5], v1 offset:1056
	s_waitcnt vmcnt(24) lgkmcnt(1)
	v_mul_f64 v[119:120], v[10:11], v[18:19]
	v_mul_f64 v[18:19], v[12:13], v[18:19]
	s_waitcnt vmcnt(22)
	v_fma_f64 v[121:122], v[6:7], v[20:21], -v[121:122]
	v_fma_f64 v[14:15], v[8:9], v[20:21], v[14:15]
	ds_read_b128 v[6:9], v1 offset:1072
	s_waitcnt vmcnt(18) lgkmcnt(1)
	v_mul_f64 v[20:21], v[2:3], v[22:23]
	v_add_f64 v[117:118], v[117:118], 0
	v_add_f64 v[16:17], v[16:17], 0
	v_mul_f64 v[22:23], v[4:5], v[22:23]
	s_waitcnt vmcnt(16)
	v_fma_f64 v[18:19], v[10:11], v[28:29], -v[18:19]
	v_fma_f64 v[28:29], v[12:13], v[28:29], v[119:120]
	ds_read_b128 v[10:13], v1 offset:1088
	s_waitcnt vmcnt(13)
	v_fma_f64 v[20:21], v[4:5], v[30:31], v[20:21]
	v_add_f64 v[117:118], v[117:118], v[121:122]
	v_add_f64 v[14:15], v[16:17], v[14:15]
	s_waitcnt lgkmcnt(1)
	v_mul_f64 v[16:17], v[6:7], v[24:25]
	v_mul_f64 v[24:25], v[8:9], v[24:25]
	v_fma_f64 v[22:23], v[2:3], v[30:31], -v[22:23]
	s_waitcnt vmcnt(9) lgkmcnt(0)
	v_mul_f64 v[30:31], v[12:13], v[32:33]
	ds_read_b128 v[2:5], v1 offset:1104
	v_add_f64 v[18:19], v[117:118], v[18:19]
	v_add_f64 v[14:15], v[14:15], v[28:29]
	v_mul_f64 v[28:29], v[10:11], v[32:33]
	s_waitcnt vmcnt(8)
	v_fma_f64 v[6:7], v[6:7], v[26:27], -v[24:25]
	v_fma_f64 v[8:9], v[8:9], v[26:27], v[16:17]
	s_waitcnt vmcnt(5)
	v_fma_f64 v[10:11], v[10:11], v[111:112], -v[30:31]
	s_waitcnt lgkmcnt(0)
	v_mul_f64 v[16:17], v[2:3], v[34:35]
	v_add_f64 v[18:19], v[18:19], v[22:23]
	v_add_f64 v[14:15], v[14:15], v[20:21]
	v_mul_f64 v[20:21], v[4:5], v[34:35]
	v_fma_f64 v[12:13], v[12:13], v[111:112], v[28:29]
	s_waitcnt vmcnt(4)
	v_fma_f64 v[4:5], v[4:5], v[36:37], v[16:17]
	v_add_f64 v[6:7], v[18:19], v[6:7]
	v_add_f64 v[8:9], v[14:15], v[8:9]
	v_fma_f64 v[2:3], v[2:3], v[36:37], -v[20:21]
	v_add_f64 v[6:7], v[6:7], v[10:11]
	v_add_f64 v[8:9], v[8:9], v[12:13]
	;; [unrolled: 1-line block ×4, first 2 shown]
	s_waitcnt vmcnt(2)
	v_add_f64 v[2:3], v[113:114], -v[2:3]
	s_waitcnt vmcnt(0)
	v_add_f64 v[4:5], v[115:116], -v[4:5]
	buffer_store_dword v3, off, s[0:3], 0 offset:452
	buffer_store_dword v2, off, s[0:3], 0 offset:448
	;; [unrolled: 1-line block ×4, first 2 shown]
	v_cmpx_lt_u32_e32 26, v0
	s_cbranch_execz .LBB34_171
; %bb.170:
	v_mov_b32_e32 v5, s18
	s_clause 0x3
	buffer_load_dword v2, v5, s[0:3], 0 offen
	buffer_load_dword v3, v5, s[0:3], 0 offen offset:4
	buffer_load_dword v4, v5, s[0:3], 0 offen offset:8
	;; [unrolled: 1-line block ×3, first 2 shown]
	buffer_store_dword v1, off, s[0:3], 0 offset:432
	buffer_store_dword v1, off, s[0:3], 0 offset:436
	;; [unrolled: 1-line block ×4, first 2 shown]
	s_waitcnt vmcnt(0)
	ds_write_b128 v39, v[2:5]
.LBB34_171:
	s_or_b32 exec_lo, exec_lo, s4
	s_waitcnt lgkmcnt(0)
	s_waitcnt_vscnt null, 0x0
	s_barrier
	buffer_gl0_inv
	s_clause 0x23
	buffer_load_dword v10, off, s[0:3], 0 offset:456
	buffer_load_dword v11, off, s[0:3], 0 offset:460
	;; [unrolled: 1-line block ×36, first 2 shown]
	ds_read_b128 v[2:5], v1 offset:992
	ds_read_b128 v[6:9], v1 offset:1008
	s_mov_b32 s4, exec_lo
	s_waitcnt vmcnt(34) lgkmcnt(1)
	v_mul_f64 v[121:122], v[4:5], v[10:11]
	v_mul_f64 v[123:124], v[2:3], v[10:11]
	s_waitcnt vmcnt(32) lgkmcnt(0)
	v_mul_f64 v[125:126], v[8:9], v[14:15]
	ds_read_b128 v[10:13], v1 offset:1024
	v_mul_f64 v[14:15], v[6:7], v[14:15]
	s_waitcnt vmcnt(30)
	v_fma_f64 v[121:122], v[2:3], v[16:17], -v[121:122]
	v_fma_f64 v[16:17], v[4:5], v[16:17], v[123:124]
	ds_read_b128 v[2:5], v1 offset:1040
	s_waitcnt vmcnt(28) lgkmcnt(1)
	v_mul_f64 v[123:124], v[10:11], v[18:19]
	v_mul_f64 v[18:19], v[12:13], v[18:19]
	s_waitcnt vmcnt(26)
	v_fma_f64 v[125:126], v[6:7], v[20:21], -v[125:126]
	v_fma_f64 v[14:15], v[8:9], v[20:21], v[14:15]
	ds_read_b128 v[6:9], v1 offset:1056
	s_waitcnt vmcnt(22) lgkmcnt(1)
	v_mul_f64 v[20:21], v[2:3], v[22:23]
	v_add_f64 v[121:122], v[121:122], 0
	v_add_f64 v[16:17], v[16:17], 0
	v_mul_f64 v[22:23], v[4:5], v[22:23]
	s_waitcnt vmcnt(20)
	v_fma_f64 v[18:19], v[10:11], v[28:29], -v[18:19]
	v_fma_f64 v[28:29], v[12:13], v[28:29], v[123:124]
	ds_read_b128 v[10:13], v1 offset:1072
	s_waitcnt vmcnt(17)
	v_fma_f64 v[20:21], v[4:5], v[30:31], v[20:21]
	v_add_f64 v[121:122], v[121:122], v[125:126]
	v_add_f64 v[14:15], v[16:17], v[14:15]
	s_waitcnt lgkmcnt(1)
	v_mul_f64 v[16:17], v[6:7], v[24:25]
	v_mul_f64 v[24:25], v[8:9], v[24:25]
	v_fma_f64 v[22:23], v[2:3], v[30:31], -v[22:23]
	s_waitcnt vmcnt(13) lgkmcnt(0)
	v_mul_f64 v[30:31], v[12:13], v[32:33]
	ds_read_b128 v[2:5], v1 offset:1088
	v_add_f64 v[18:19], v[121:122], v[18:19]
	v_add_f64 v[14:15], v[14:15], v[28:29]
	v_mul_f64 v[28:29], v[10:11], v[32:33]
	s_waitcnt vmcnt(12)
	v_fma_f64 v[24:25], v[6:7], v[26:27], -v[24:25]
	v_fma_f64 v[16:17], v[8:9], v[26:27], v[16:17]
	ds_read_b128 v[6:9], v1 offset:1104
	s_waitcnt vmcnt(9)
	v_fma_f64 v[10:11], v[10:11], v[111:112], -v[30:31]
	v_add_f64 v[18:19], v[18:19], v[22:23]
	v_add_f64 v[14:15], v[14:15], v[20:21]
	s_waitcnt lgkmcnt(1)
	v_mul_f64 v[22:23], v[4:5], v[34:35]
	v_mul_f64 v[20:21], v[2:3], v[34:35]
	v_fma_f64 v[12:13], v[12:13], v[111:112], v[28:29]
	v_add_f64 v[18:19], v[18:19], v[24:25]
	v_add_f64 v[14:15], v[14:15], v[16:17]
	s_waitcnt vmcnt(7) lgkmcnt(0)
	v_mul_f64 v[24:25], v[8:9], v[113:114]
	s_waitcnt vmcnt(6)
	v_fma_f64 v[1:2], v[2:3], v[36:37], -v[22:23]
	v_mul_f64 v[16:17], v[6:7], v[113:114]
	v_fma_f64 v[3:4], v[4:5], v[36:37], v[20:21]
	v_add_f64 v[10:11], v[18:19], v[10:11]
	v_add_f64 v[12:13], v[14:15], v[12:13]
	s_waitcnt vmcnt(4)
	v_fma_f64 v[5:6], v[6:7], v[115:116], -v[24:25]
	v_fma_f64 v[7:8], v[8:9], v[115:116], v[16:17]
	v_add_f64 v[1:2], v[10:11], v[1:2]
	v_add_f64 v[3:4], v[12:13], v[3:4]
	;; [unrolled: 1-line block ×4, first 2 shown]
	s_waitcnt vmcnt(2)
	v_add_f64 v[1:2], v[117:118], -v[1:2]
	s_waitcnt vmcnt(0)
	v_add_f64 v[3:4], v[119:120], -v[3:4]
	buffer_store_dword v2, off, s[0:3], 0 offset:436
	buffer_store_dword v1, off, s[0:3], 0 offset:432
	;; [unrolled: 1-line block ×4, first 2 shown]
	v_cmpx_lt_u32_e32 25, v0
	s_cbranch_execz .LBB34_173
; %bb.172:
	v_mov_b32_e32 v4, s19
	v_mov_b32_e32 v5, 0
	s_clause 0x3
	buffer_load_dword v1, v4, s[0:3], 0 offen
	buffer_load_dword v2, v4, s[0:3], 0 offen offset:4
	buffer_load_dword v3, v4, s[0:3], 0 offen offset:8
	;; [unrolled: 1-line block ×3, first 2 shown]
	buffer_store_dword v5, off, s[0:3], 0 offset:416
	buffer_store_dword v5, off, s[0:3], 0 offset:420
	;; [unrolled: 1-line block ×4, first 2 shown]
	s_waitcnt vmcnt(0)
	ds_write_b128 v39, v[1:4]
.LBB34_173:
	s_or_b32 exec_lo, exec_lo, s4
	s_waitcnt lgkmcnt(0)
	s_waitcnt_vscnt null, 0x0
	s_barrier
	buffer_gl0_inv
	s_clause 0x27
	buffer_load_dword v10, off, s[0:3], 0 offset:440
	buffer_load_dword v11, off, s[0:3], 0 offset:444
	;; [unrolled: 1-line block ×40, first 2 shown]
	v_mov_b32_e32 v1, 0
	ds_read_b128 v[2:5], v1 offset:976
	ds_read_b128 v[6:9], v1 offset:992
	s_mov_b32 s4, exec_lo
	s_waitcnt vmcnt(38) lgkmcnt(1)
	v_mul_f64 v[125:126], v[4:5], v[10:11]
	v_mul_f64 v[127:128], v[2:3], v[10:11]
	s_waitcnt vmcnt(36) lgkmcnt(0)
	v_mul_f64 v[129:130], v[8:9], v[14:15]
	ds_read_b128 v[10:13], v1 offset:1008
	v_mul_f64 v[14:15], v[6:7], v[14:15]
	s_waitcnt vmcnt(34)
	v_fma_f64 v[125:126], v[2:3], v[16:17], -v[125:126]
	v_fma_f64 v[16:17], v[4:5], v[16:17], v[127:128]
	ds_read_b128 v[2:5], v1 offset:1024
	s_waitcnt vmcnt(32) lgkmcnt(1)
	v_mul_f64 v[127:128], v[10:11], v[18:19]
	v_mul_f64 v[18:19], v[12:13], v[18:19]
	s_waitcnt vmcnt(30)
	v_fma_f64 v[129:130], v[6:7], v[20:21], -v[129:130]
	v_fma_f64 v[14:15], v[8:9], v[20:21], v[14:15]
	ds_read_b128 v[6:9], v1 offset:1040
	s_waitcnt vmcnt(26) lgkmcnt(1)
	v_mul_f64 v[20:21], v[2:3], v[22:23]
	v_add_f64 v[125:126], v[125:126], 0
	v_add_f64 v[16:17], v[16:17], 0
	v_mul_f64 v[22:23], v[4:5], v[22:23]
	s_waitcnt vmcnt(24)
	v_fma_f64 v[18:19], v[10:11], v[28:29], -v[18:19]
	v_fma_f64 v[28:29], v[12:13], v[28:29], v[127:128]
	ds_read_b128 v[10:13], v1 offset:1056
	s_waitcnt vmcnt(21)
	v_fma_f64 v[20:21], v[4:5], v[30:31], v[20:21]
	v_add_f64 v[125:126], v[125:126], v[129:130]
	v_add_f64 v[14:15], v[16:17], v[14:15]
	s_waitcnt lgkmcnt(1)
	v_mul_f64 v[16:17], v[6:7], v[24:25]
	v_mul_f64 v[24:25], v[8:9], v[24:25]
	v_fma_f64 v[22:23], v[2:3], v[30:31], -v[22:23]
	s_waitcnt vmcnt(17) lgkmcnt(0)
	v_mul_f64 v[30:31], v[12:13], v[32:33]
	ds_read_b128 v[2:5], v1 offset:1072
	v_add_f64 v[18:19], v[125:126], v[18:19]
	v_add_f64 v[14:15], v[14:15], v[28:29]
	v_mul_f64 v[28:29], v[10:11], v[32:33]
	s_waitcnt vmcnt(16)
	v_fma_f64 v[24:25], v[6:7], v[26:27], -v[24:25]
	v_fma_f64 v[16:17], v[8:9], v[26:27], v[16:17]
	ds_read_b128 v[6:9], v1 offset:1088
	s_waitcnt vmcnt(13)
	v_fma_f64 v[26:27], v[10:11], v[111:112], -v[30:31]
	v_add_f64 v[18:19], v[18:19], v[22:23]
	v_add_f64 v[14:15], v[14:15], v[20:21]
	s_waitcnt lgkmcnt(1)
	v_mul_f64 v[22:23], v[4:5], v[34:35]
	v_mul_f64 v[20:21], v[2:3], v[34:35]
	v_add_f64 v[18:19], v[18:19], v[24:25]
	v_fma_f64 v[24:25], v[12:13], v[111:112], v[28:29]
	v_add_f64 v[14:15], v[14:15], v[16:17]
	s_waitcnt vmcnt(9) lgkmcnt(0)
	v_mul_f64 v[28:29], v[8:9], v[113:114]
	s_waitcnt vmcnt(8)
	v_fma_f64 v[2:3], v[2:3], v[36:37], -v[22:23]
	ds_read_b128 v[10:13], v1 offset:1104
	v_mul_f64 v[16:17], v[6:7], v[113:114]
	v_fma_f64 v[4:5], v[4:5], v[36:37], v[20:21]
	v_add_f64 v[18:19], v[18:19], v[26:27]
	v_add_f64 v[14:15], v[14:15], v[24:25]
	s_waitcnt vmcnt(7) lgkmcnt(0)
	v_mul_f64 v[22:23], v[12:13], v[115:116]
	s_waitcnt vmcnt(5)
	v_fma_f64 v[6:7], v[6:7], v[119:120], -v[28:29]
	v_mul_f64 v[20:21], v[10:11], v[115:116]
	v_fma_f64 v[8:9], v[8:9], v[119:120], v[16:17]
	v_add_f64 v[2:3], v[18:19], v[2:3]
	v_add_f64 v[4:5], v[14:15], v[4:5]
	s_waitcnt vmcnt(4)
	v_fma_f64 v[10:11], v[10:11], v[117:118], -v[22:23]
	v_add_f64 v[2:3], v[2:3], v[6:7]
	v_fma_f64 v[6:7], v[12:13], v[117:118], v[20:21]
	v_add_f64 v[4:5], v[4:5], v[8:9]
	v_add_f64 v[2:3], v[2:3], v[10:11]
	v_add_f64 v[4:5], v[4:5], v[6:7]
	s_waitcnt vmcnt(2)
	v_add_f64 v[2:3], v[121:122], -v[2:3]
	s_waitcnt vmcnt(0)
	v_add_f64 v[4:5], v[123:124], -v[4:5]
	buffer_store_dword v3, off, s[0:3], 0 offset:420
	buffer_store_dword v2, off, s[0:3], 0 offset:416
	;; [unrolled: 1-line block ×4, first 2 shown]
	v_cmpx_lt_u32_e32 24, v0
	s_cbranch_execz .LBB34_175
; %bb.174:
	v_mov_b32_e32 v5, s22
	s_clause 0x3
	buffer_load_dword v2, v5, s[0:3], 0 offen
	buffer_load_dword v3, v5, s[0:3], 0 offen offset:4
	buffer_load_dword v4, v5, s[0:3], 0 offen offset:8
	;; [unrolled: 1-line block ×3, first 2 shown]
	buffer_store_dword v1, off, s[0:3], 0 offset:400
	buffer_store_dword v1, off, s[0:3], 0 offset:404
	;; [unrolled: 1-line block ×4, first 2 shown]
	s_waitcnt vmcnt(0)
	ds_write_b128 v39, v[2:5]
.LBB34_175:
	s_or_b32 exec_lo, exec_lo, s4
	s_waitcnt lgkmcnt(0)
	s_waitcnt_vscnt null, 0x0
	s_barrier
	buffer_gl0_inv
	s_clause 0x2b
	buffer_load_dword v10, off, s[0:3], 0 offset:424
	buffer_load_dword v11, off, s[0:3], 0 offset:428
	;; [unrolled: 1-line block ×44, first 2 shown]
	ds_read_b128 v[2:5], v1 offset:960
	ds_read_b128 v[6:9], v1 offset:976
	s_mov_b32 s4, exec_lo
	s_waitcnt vmcnt(42) lgkmcnt(1)
	v_mul_f64 v[129:130], v[4:5], v[10:11]
	v_mul_f64 v[131:132], v[2:3], v[10:11]
	s_waitcnt vmcnt(40) lgkmcnt(0)
	v_mul_f64 v[133:134], v[8:9], v[14:15]
	ds_read_b128 v[10:13], v1 offset:992
	v_mul_f64 v[14:15], v[6:7], v[14:15]
	s_waitcnt vmcnt(38)
	v_fma_f64 v[129:130], v[2:3], v[16:17], -v[129:130]
	v_fma_f64 v[16:17], v[4:5], v[16:17], v[131:132]
	ds_read_b128 v[2:5], v1 offset:1008
	s_waitcnt vmcnt(36) lgkmcnt(1)
	v_mul_f64 v[131:132], v[10:11], v[18:19]
	v_mul_f64 v[18:19], v[12:13], v[18:19]
	s_waitcnt vmcnt(34)
	v_fma_f64 v[133:134], v[6:7], v[20:21], -v[133:134]
	v_fma_f64 v[14:15], v[8:9], v[20:21], v[14:15]
	ds_read_b128 v[6:9], v1 offset:1024
	s_waitcnt vmcnt(30) lgkmcnt(1)
	v_mul_f64 v[20:21], v[2:3], v[22:23]
	v_add_f64 v[129:130], v[129:130], 0
	v_add_f64 v[16:17], v[16:17], 0
	v_mul_f64 v[22:23], v[4:5], v[22:23]
	s_waitcnt vmcnt(28)
	v_fma_f64 v[18:19], v[10:11], v[28:29], -v[18:19]
	v_fma_f64 v[28:29], v[12:13], v[28:29], v[131:132]
	ds_read_b128 v[10:13], v1 offset:1040
	s_waitcnt vmcnt(25)
	v_fma_f64 v[20:21], v[4:5], v[30:31], v[20:21]
	v_add_f64 v[129:130], v[129:130], v[133:134]
	v_add_f64 v[14:15], v[16:17], v[14:15]
	s_waitcnt lgkmcnt(1)
	v_mul_f64 v[16:17], v[6:7], v[24:25]
	v_mul_f64 v[24:25], v[8:9], v[24:25]
	v_fma_f64 v[22:23], v[2:3], v[30:31], -v[22:23]
	s_waitcnt vmcnt(21) lgkmcnt(0)
	v_mul_f64 v[30:31], v[12:13], v[32:33]
	ds_read_b128 v[2:5], v1 offset:1056
	v_add_f64 v[18:19], v[129:130], v[18:19]
	v_add_f64 v[14:15], v[14:15], v[28:29]
	v_mul_f64 v[28:29], v[10:11], v[32:33]
	s_waitcnt vmcnt(20)
	v_fma_f64 v[24:25], v[6:7], v[26:27], -v[24:25]
	v_fma_f64 v[16:17], v[8:9], v[26:27], v[16:17]
	ds_read_b128 v[6:9], v1 offset:1072
	s_waitcnt vmcnt(17)
	v_fma_f64 v[26:27], v[10:11], v[111:112], -v[30:31]
	v_add_f64 v[18:19], v[18:19], v[22:23]
	v_add_f64 v[14:15], v[14:15], v[20:21]
	s_waitcnt lgkmcnt(1)
	v_mul_f64 v[22:23], v[4:5], v[34:35]
	v_mul_f64 v[20:21], v[2:3], v[34:35]
	v_add_f64 v[18:19], v[18:19], v[24:25]
	v_fma_f64 v[24:25], v[12:13], v[111:112], v[28:29]
	v_add_f64 v[14:15], v[14:15], v[16:17]
	s_waitcnt vmcnt(13) lgkmcnt(0)
	v_mul_f64 v[28:29], v[8:9], v[113:114]
	s_waitcnt vmcnt(12)
	v_fma_f64 v[22:23], v[2:3], v[36:37], -v[22:23]
	ds_read_b128 v[10:13], v1 offset:1088
	v_mul_f64 v[16:17], v[6:7], v[113:114]
	v_fma_f64 v[20:21], v[4:5], v[36:37], v[20:21]
	ds_read_b128 v[1:4], v1 offset:1104
	v_add_f64 v[18:19], v[18:19], v[26:27]
	v_add_f64 v[14:15], v[14:15], v[24:25]
	s_waitcnt vmcnt(11) lgkmcnt(1)
	v_mul_f64 v[26:27], v[12:13], v[115:116]
	s_waitcnt vmcnt(9)
	v_fma_f64 v[5:6], v[6:7], v[119:120], -v[28:29]
	v_mul_f64 v[24:25], v[10:11], v[115:116]
	v_fma_f64 v[7:8], v[8:9], v[119:120], v[16:17]
	s_waitcnt vmcnt(7) lgkmcnt(0)
	v_mul_f64 v[16:17], v[1:2], v[121:122]
	v_add_f64 v[18:19], v[18:19], v[22:23]
	v_add_f64 v[14:15], v[14:15], v[20:21]
	v_mul_f64 v[20:21], v[3:4], v[121:122]
	s_waitcnt vmcnt(6)
	v_fma_f64 v[9:10], v[10:11], v[117:118], -v[26:27]
	v_fma_f64 v[11:12], v[12:13], v[117:118], v[24:25]
	s_waitcnt vmcnt(4)
	v_fma_f64 v[3:4], v[3:4], v[123:124], v[16:17]
	v_add_f64 v[5:6], v[18:19], v[5:6]
	v_add_f64 v[7:8], v[14:15], v[7:8]
	v_fma_f64 v[1:2], v[1:2], v[123:124], -v[20:21]
	v_add_f64 v[5:6], v[5:6], v[9:10]
	v_add_f64 v[7:8], v[7:8], v[11:12]
	;; [unrolled: 1-line block ×4, first 2 shown]
	s_waitcnt vmcnt(2)
	v_add_f64 v[1:2], v[125:126], -v[1:2]
	s_waitcnt vmcnt(0)
	v_add_f64 v[3:4], v[127:128], -v[3:4]
	buffer_store_dword v2, off, s[0:3], 0 offset:404
	buffer_store_dword v1, off, s[0:3], 0 offset:400
	;; [unrolled: 1-line block ×4, first 2 shown]
	v_cmpx_lt_u32_e32 23, v0
	s_cbranch_execz .LBB34_177
; %bb.176:
	v_mov_b32_e32 v4, s23
	v_mov_b32_e32 v5, 0
	s_clause 0x3
	buffer_load_dword v1, v4, s[0:3], 0 offen
	buffer_load_dword v2, v4, s[0:3], 0 offen offset:4
	buffer_load_dword v3, v4, s[0:3], 0 offen offset:8
	;; [unrolled: 1-line block ×3, first 2 shown]
	buffer_store_dword v5, off, s[0:3], 0 offset:384
	buffer_store_dword v5, off, s[0:3], 0 offset:388
	;; [unrolled: 1-line block ×4, first 2 shown]
	s_waitcnt vmcnt(0)
	ds_write_b128 v39, v[1:4]
.LBB34_177:
	s_or_b32 exec_lo, exec_lo, s4
	s_waitcnt lgkmcnt(0)
	s_waitcnt_vscnt null, 0x0
	s_barrier
	buffer_gl0_inv
	s_clause 0x2f
	buffer_load_dword v10, off, s[0:3], 0 offset:408
	buffer_load_dword v11, off, s[0:3], 0 offset:412
	;; [unrolled: 1-line block ×48, first 2 shown]
	v_mov_b32_e32 v1, 0
	ds_read_b128 v[2:5], v1 offset:944
	ds_read_b128 v[6:9], v1 offset:960
	s_mov_b32 s4, exec_lo
	s_waitcnt vmcnt(46) lgkmcnt(1)
	v_mul_f64 v[133:134], v[4:5], v[10:11]
	v_mul_f64 v[135:136], v[2:3], v[10:11]
	s_waitcnt vmcnt(44) lgkmcnt(0)
	v_mul_f64 v[137:138], v[8:9], v[14:15]
	ds_read_b128 v[10:13], v1 offset:976
	v_mul_f64 v[14:15], v[6:7], v[14:15]
	s_waitcnt vmcnt(42)
	v_fma_f64 v[133:134], v[2:3], v[16:17], -v[133:134]
	v_fma_f64 v[16:17], v[4:5], v[16:17], v[135:136]
	ds_read_b128 v[2:5], v1 offset:992
	s_waitcnt vmcnt(40) lgkmcnt(1)
	v_mul_f64 v[135:136], v[10:11], v[18:19]
	v_mul_f64 v[18:19], v[12:13], v[18:19]
	s_waitcnt vmcnt(38)
	v_fma_f64 v[137:138], v[6:7], v[20:21], -v[137:138]
	v_fma_f64 v[14:15], v[8:9], v[20:21], v[14:15]
	ds_read_b128 v[6:9], v1 offset:1008
	s_waitcnt vmcnt(34) lgkmcnt(1)
	v_mul_f64 v[20:21], v[2:3], v[22:23]
	v_add_f64 v[133:134], v[133:134], 0
	v_add_f64 v[16:17], v[16:17], 0
	v_mul_f64 v[22:23], v[4:5], v[22:23]
	s_waitcnt vmcnt(32)
	v_fma_f64 v[18:19], v[10:11], v[28:29], -v[18:19]
	v_fma_f64 v[28:29], v[12:13], v[28:29], v[135:136]
	ds_read_b128 v[10:13], v1 offset:1024
	s_waitcnt vmcnt(29)
	v_fma_f64 v[20:21], v[4:5], v[30:31], v[20:21]
	v_add_f64 v[133:134], v[133:134], v[137:138]
	v_add_f64 v[14:15], v[16:17], v[14:15]
	s_waitcnt lgkmcnt(1)
	v_mul_f64 v[16:17], v[6:7], v[24:25]
	v_mul_f64 v[24:25], v[8:9], v[24:25]
	v_fma_f64 v[22:23], v[2:3], v[30:31], -v[22:23]
	s_waitcnt vmcnt(25) lgkmcnt(0)
	v_mul_f64 v[30:31], v[12:13], v[32:33]
	ds_read_b128 v[2:5], v1 offset:1040
	v_add_f64 v[18:19], v[133:134], v[18:19]
	v_add_f64 v[14:15], v[14:15], v[28:29]
	v_mul_f64 v[28:29], v[10:11], v[32:33]
	s_waitcnt vmcnt(24)
	v_fma_f64 v[24:25], v[6:7], v[26:27], -v[24:25]
	v_fma_f64 v[16:17], v[8:9], v[26:27], v[16:17]
	ds_read_b128 v[6:9], v1 offset:1056
	s_waitcnt vmcnt(21)
	v_fma_f64 v[26:27], v[10:11], v[111:112], -v[30:31]
	v_add_f64 v[18:19], v[18:19], v[22:23]
	v_add_f64 v[14:15], v[14:15], v[20:21]
	s_waitcnt lgkmcnt(1)
	v_mul_f64 v[22:23], v[4:5], v[34:35]
	v_mul_f64 v[20:21], v[2:3], v[34:35]
	v_add_f64 v[18:19], v[18:19], v[24:25]
	v_fma_f64 v[24:25], v[12:13], v[111:112], v[28:29]
	v_add_f64 v[14:15], v[14:15], v[16:17]
	s_waitcnt vmcnt(17) lgkmcnt(0)
	v_mul_f64 v[28:29], v[8:9], v[113:114]
	s_waitcnt vmcnt(16)
	v_fma_f64 v[22:23], v[2:3], v[36:37], -v[22:23]
	ds_read_b128 v[10:13], v1 offset:1072
	v_mul_f64 v[16:17], v[6:7], v[113:114]
	v_fma_f64 v[20:21], v[4:5], v[36:37], v[20:21]
	ds_read_b128 v[2:5], v1 offset:1088
	v_add_f64 v[18:19], v[18:19], v[26:27]
	v_add_f64 v[14:15], v[14:15], v[24:25]
	s_waitcnt vmcnt(15) lgkmcnt(1)
	v_mul_f64 v[26:27], v[12:13], v[115:116]
	s_waitcnt vmcnt(13)
	v_fma_f64 v[28:29], v[6:7], v[119:120], -v[28:29]
	v_mul_f64 v[24:25], v[10:11], v[115:116]
	v_fma_f64 v[16:17], v[8:9], v[119:120], v[16:17]
	ds_read_b128 v[6:9], v1 offset:1104
	v_add_f64 v[18:19], v[18:19], v[22:23]
	s_waitcnt vmcnt(9) lgkmcnt(1)
	v_mul_f64 v[22:23], v[4:5], v[121:122]
	v_add_f64 v[14:15], v[14:15], v[20:21]
	s_waitcnt vmcnt(8)
	v_fma_f64 v[10:11], v[10:11], v[117:118], -v[26:27]
	v_mul_f64 v[20:21], v[2:3], v[121:122]
	v_fma_f64 v[12:13], v[12:13], v[117:118], v[24:25]
	s_waitcnt vmcnt(7) lgkmcnt(0)
	v_mul_f64 v[24:25], v[8:9], v[123:124]
	v_add_f64 v[18:19], v[18:19], v[28:29]
	s_waitcnt vmcnt(5)
	v_fma_f64 v[2:3], v[2:3], v[127:128], -v[22:23]
	v_add_f64 v[14:15], v[14:15], v[16:17]
	v_mul_f64 v[16:17], v[6:7], v[123:124]
	v_fma_f64 v[4:5], v[4:5], v[127:128], v[20:21]
	s_waitcnt vmcnt(4)
	v_fma_f64 v[6:7], v[6:7], v[125:126], -v[24:25]
	v_add_f64 v[10:11], v[18:19], v[10:11]
	v_add_f64 v[12:13], v[14:15], v[12:13]
	v_fma_f64 v[8:9], v[8:9], v[125:126], v[16:17]
	v_add_f64 v[2:3], v[10:11], v[2:3]
	v_add_f64 v[4:5], v[12:13], v[4:5]
	;; [unrolled: 1-line block ×4, first 2 shown]
	s_waitcnt vmcnt(2)
	v_add_f64 v[2:3], v[129:130], -v[2:3]
	s_waitcnt vmcnt(0)
	v_add_f64 v[4:5], v[131:132], -v[4:5]
	buffer_store_dword v3, off, s[0:3], 0 offset:388
	buffer_store_dword v2, off, s[0:3], 0 offset:384
	;; [unrolled: 1-line block ×4, first 2 shown]
	v_cmpx_lt_u32_e32 22, v0
	s_cbranch_execz .LBB34_179
; %bb.178:
	v_mov_b32_e32 v5, s24
	s_clause 0x3
	buffer_load_dword v2, v5, s[0:3], 0 offen
	buffer_load_dword v3, v5, s[0:3], 0 offen offset:4
	buffer_load_dword v4, v5, s[0:3], 0 offen offset:8
	;; [unrolled: 1-line block ×3, first 2 shown]
	buffer_store_dword v1, off, s[0:3], 0 offset:368
	buffer_store_dword v1, off, s[0:3], 0 offset:372
	;; [unrolled: 1-line block ×4, first 2 shown]
	s_waitcnt vmcnt(0)
	ds_write_b128 v39, v[2:5]
.LBB34_179:
	s_or_b32 exec_lo, exec_lo, s4
	s_waitcnt lgkmcnt(0)
	s_waitcnt_vscnt null, 0x0
	s_barrier
	buffer_gl0_inv
	s_clause 0x2f
	buffer_load_dword v10, off, s[0:3], 0 offset:392
	buffer_load_dword v11, off, s[0:3], 0 offset:396
	;; [unrolled: 1-line block ×48, first 2 shown]
	ds_read_b128 v[2:5], v1 offset:928
	s_clause 0x3
	buffer_load_dword v133, off, s[0:3], 0 offset:368
	buffer_load_dword v134, off, s[0:3], 0 offset:372
	;; [unrolled: 1-line block ×4, first 2 shown]
	ds_read_b128 v[6:9], v1 offset:944
	s_mov_b32 s4, exec_lo
	s_waitcnt vmcnt(50) lgkmcnt(1)
	v_mul_f64 v[137:138], v[4:5], v[10:11]
	v_mul_f64 v[139:140], v[2:3], v[10:11]
	ds_read_b128 v[10:13], v1 offset:960
	s_waitcnt vmcnt(48) lgkmcnt(1)
	v_mul_f64 v[141:142], v[8:9], v[14:15]
	v_mul_f64 v[14:15], v[6:7], v[14:15]
	s_waitcnt vmcnt(46)
	v_fma_f64 v[137:138], v[2:3], v[16:17], -v[137:138]
	v_fma_f64 v[16:17], v[4:5], v[16:17], v[139:140]
	s_waitcnt vmcnt(44) lgkmcnt(0)
	v_mul_f64 v[139:140], v[10:11], v[18:19]
	v_mul_f64 v[18:19], v[12:13], v[18:19]
	s_waitcnt vmcnt(42)
	v_fma_f64 v[141:142], v[6:7], v[20:21], -v[141:142]
	ds_read_b128 v[2:5], v1 offset:976
	v_fma_f64 v[14:15], v[8:9], v[20:21], v[14:15]
	ds_read_b128 v[6:9], v1 offset:992
	v_add_f64 v[137:138], v[137:138], 0
	v_add_f64 v[16:17], v[16:17], 0
	s_waitcnt vmcnt(38) lgkmcnt(1)
	v_mul_f64 v[20:21], v[2:3], v[22:23]
	v_mul_f64 v[22:23], v[4:5], v[22:23]
	s_waitcnt vmcnt(36)
	v_fma_f64 v[18:19], v[10:11], v[28:29], -v[18:19]
	v_fma_f64 v[28:29], v[12:13], v[28:29], v[139:140]
	ds_read_b128 v[10:13], v1 offset:1008
	v_add_f64 v[137:138], v[137:138], v[141:142]
	v_add_f64 v[14:15], v[16:17], v[14:15]
	s_waitcnt vmcnt(35) lgkmcnt(1)
	v_mul_f64 v[16:17], v[6:7], v[24:25]
	v_mul_f64 v[24:25], v[8:9], v[24:25]
	s_waitcnt vmcnt(33)
	v_fma_f64 v[22:23], v[2:3], v[30:31], -v[22:23]
	v_fma_f64 v[20:21], v[4:5], v[30:31], v[20:21]
	ds_read_b128 v[2:5], v1 offset:1024
	s_waitcnt vmcnt(29) lgkmcnt(1)
	v_mul_f64 v[30:31], v[12:13], v[32:33]
	v_add_f64 v[18:19], v[137:138], v[18:19]
	v_add_f64 v[14:15], v[14:15], v[28:29]
	v_mul_f64 v[28:29], v[10:11], v[32:33]
	s_waitcnt vmcnt(28)
	v_fma_f64 v[24:25], v[6:7], v[26:27], -v[24:25]
	v_fma_f64 v[16:17], v[8:9], v[26:27], v[16:17]
	ds_read_b128 v[6:9], v1 offset:1040
	s_waitcnt vmcnt(25)
	v_fma_f64 v[26:27], v[10:11], v[111:112], -v[30:31]
	v_add_f64 v[18:19], v[18:19], v[22:23]
	v_add_f64 v[14:15], v[14:15], v[20:21]
	s_waitcnt lgkmcnt(1)
	v_mul_f64 v[22:23], v[4:5], v[34:35]
	v_mul_f64 v[20:21], v[2:3], v[34:35]
	v_add_f64 v[18:19], v[18:19], v[24:25]
	v_fma_f64 v[24:25], v[12:13], v[111:112], v[28:29]
	v_add_f64 v[14:15], v[14:15], v[16:17]
	ds_read_b128 v[10:13], v1 offset:1056
	s_waitcnt vmcnt(21) lgkmcnt(1)
	v_mul_f64 v[28:29], v[8:9], v[113:114]
	s_waitcnt vmcnt(20)
	v_fma_f64 v[22:23], v[2:3], v[36:37], -v[22:23]
	v_mul_f64 v[16:17], v[6:7], v[113:114]
	v_fma_f64 v[20:21], v[4:5], v[36:37], v[20:21]
	ds_read_b128 v[2:5], v1 offset:1072
	v_add_f64 v[18:19], v[18:19], v[26:27]
	s_waitcnt vmcnt(19) lgkmcnt(1)
	v_mul_f64 v[26:27], v[12:13], v[115:116]
	v_add_f64 v[14:15], v[14:15], v[24:25]
	v_mul_f64 v[24:25], v[10:11], v[115:116]
	s_waitcnt vmcnt(17)
	v_fma_f64 v[28:29], v[6:7], v[119:120], -v[28:29]
	v_fma_f64 v[16:17], v[8:9], v[119:120], v[16:17]
	ds_read_b128 v[6:9], v1 offset:1088
	v_add_f64 v[18:19], v[18:19], v[22:23]
	s_waitcnt vmcnt(13) lgkmcnt(1)
	v_mul_f64 v[22:23], v[4:5], v[121:122]
	v_add_f64 v[14:15], v[14:15], v[20:21]
	s_waitcnt vmcnt(12)
	v_fma_f64 v[26:27], v[10:11], v[117:118], -v[26:27]
	v_mul_f64 v[20:21], v[2:3], v[121:122]
	v_fma_f64 v[24:25], v[12:13], v[117:118], v[24:25]
	ds_read_b128 v[10:13], v1 offset:1104
	v_add_f64 v[18:19], v[18:19], v[28:29]
	s_waitcnt vmcnt(11) lgkmcnt(1)
	v_mul_f64 v[28:29], v[8:9], v[123:124]
	v_add_f64 v[14:15], v[14:15], v[16:17]
	s_waitcnt vmcnt(9)
	v_fma_f64 v[1:2], v[2:3], v[127:128], -v[22:23]
	v_mul_f64 v[16:17], v[6:7], v[123:124]
	v_fma_f64 v[3:4], v[4:5], v[127:128], v[20:21]
	s_waitcnt vmcnt(7) lgkmcnt(0)
	v_mul_f64 v[22:23], v[12:13], v[129:130]
	v_mul_f64 v[20:21], v[10:11], v[129:130]
	v_add_f64 v[18:19], v[18:19], v[26:27]
	s_waitcnt vmcnt(6)
	v_fma_f64 v[5:6], v[6:7], v[125:126], -v[28:29]
	v_add_f64 v[14:15], v[14:15], v[24:25]
	v_fma_f64 v[7:8], v[8:9], v[125:126], v[16:17]
	s_waitcnt vmcnt(4)
	v_fma_f64 v[9:10], v[10:11], v[131:132], -v[22:23]
	v_add_f64 v[1:2], v[18:19], v[1:2]
	v_add_f64 v[3:4], v[14:15], v[3:4]
	v_add_f64 v[1:2], v[1:2], v[5:6]
	v_fma_f64 v[5:6], v[12:13], v[131:132], v[20:21]
	v_add_f64 v[3:4], v[3:4], v[7:8]
	v_add_f64 v[1:2], v[1:2], v[9:10]
	v_add_f64 v[3:4], v[3:4], v[5:6]
	s_waitcnt vmcnt(2)
	v_add_f64 v[1:2], v[133:134], -v[1:2]
	s_waitcnt vmcnt(0)
	v_add_f64 v[3:4], v[135:136], -v[3:4]
	buffer_store_dword v2, off, s[0:3], 0 offset:372
	buffer_store_dword v1, off, s[0:3], 0 offset:368
	;; [unrolled: 1-line block ×4, first 2 shown]
	v_cmpx_lt_u32_e32 21, v0
	s_cbranch_execz .LBB34_181
; %bb.180:
	v_mov_b32_e32 v4, s25
	v_mov_b32_e32 v5, 0
	s_clause 0x3
	buffer_load_dword v1, v4, s[0:3], 0 offen
	buffer_load_dword v2, v4, s[0:3], 0 offen offset:4
	buffer_load_dword v3, v4, s[0:3], 0 offen offset:8
	;; [unrolled: 1-line block ×3, first 2 shown]
	buffer_store_dword v5, off, s[0:3], 0 offset:352
	buffer_store_dword v5, off, s[0:3], 0 offset:356
	buffer_store_dword v5, off, s[0:3], 0 offset:360
	buffer_store_dword v5, off, s[0:3], 0 offset:364
	s_waitcnt vmcnt(0)
	ds_write_b128 v39, v[1:4]
.LBB34_181:
	s_or_b32 exec_lo, exec_lo, s4
	s_waitcnt lgkmcnt(0)
	s_waitcnt_vscnt null, 0x0
	s_barrier
	buffer_gl0_inv
	s_clause 0x33
	buffer_load_dword v10, off, s[0:3], 0 offset:376
	buffer_load_dword v11, off, s[0:3], 0 offset:380
	;; [unrolled: 1-line block ×52, first 2 shown]
	v_mov_b32_e32 v1, 0
	ds_read_b128 v[2:5], v1 offset:912
	ds_read_b128 v[6:9], v1 offset:928
	s_clause 0x3
	buffer_load_dword v141, off, s[0:3], 0 offset:352
	buffer_load_dword v142, off, s[0:3], 0 offset:356
	buffer_load_dword v143, off, s[0:3], 0 offset:360
	buffer_load_dword v144, off, s[0:3], 0 offset:364
	s_mov_b32 s4, exec_lo
	s_waitcnt vmcnt(54) lgkmcnt(1)
	v_mul_f64 v[137:138], v[4:5], v[10:11]
	v_mul_f64 v[139:140], v[2:3], v[10:11]
	s_waitcnt vmcnt(52) lgkmcnt(0)
	v_mul_f64 v[145:146], v[8:9], v[14:15]
	ds_read_b128 v[10:13], v1 offset:944
	v_mul_f64 v[14:15], v[6:7], v[14:15]
	s_waitcnt vmcnt(50)
	v_fma_f64 v[137:138], v[2:3], v[16:17], -v[137:138]
	v_fma_f64 v[16:17], v[4:5], v[16:17], v[139:140]
	ds_read_b128 v[2:5], v1 offset:960
	s_waitcnt vmcnt(48) lgkmcnt(1)
	v_mul_f64 v[139:140], v[10:11], v[18:19]
	v_mul_f64 v[18:19], v[12:13], v[18:19]
	s_waitcnt vmcnt(46)
	v_fma_f64 v[145:146], v[6:7], v[20:21], -v[145:146]
	v_fma_f64 v[14:15], v[8:9], v[20:21], v[14:15]
	ds_read_b128 v[6:9], v1 offset:976
	s_waitcnt vmcnt(42) lgkmcnt(1)
	v_mul_f64 v[20:21], v[2:3], v[22:23]
	v_add_f64 v[137:138], v[137:138], 0
	v_add_f64 v[16:17], v[16:17], 0
	v_mul_f64 v[22:23], v[4:5], v[22:23]
	s_waitcnt vmcnt(40)
	v_fma_f64 v[18:19], v[10:11], v[28:29], -v[18:19]
	v_fma_f64 v[28:29], v[12:13], v[28:29], v[139:140]
	ds_read_b128 v[10:13], v1 offset:992
	s_waitcnt vmcnt(37)
	v_fma_f64 v[20:21], v[4:5], v[30:31], v[20:21]
	v_add_f64 v[137:138], v[137:138], v[145:146]
	v_add_f64 v[14:15], v[16:17], v[14:15]
	s_waitcnt lgkmcnt(1)
	v_mul_f64 v[16:17], v[6:7], v[24:25]
	v_mul_f64 v[24:25], v[8:9], v[24:25]
	v_fma_f64 v[22:23], v[2:3], v[30:31], -v[22:23]
	s_waitcnt vmcnt(33) lgkmcnt(0)
	v_mul_f64 v[30:31], v[12:13], v[32:33]
	ds_read_b128 v[2:5], v1 offset:1008
	v_add_f64 v[18:19], v[137:138], v[18:19]
	v_add_f64 v[14:15], v[14:15], v[28:29]
	v_mul_f64 v[28:29], v[10:11], v[32:33]
	s_waitcnt vmcnt(32)
	v_fma_f64 v[24:25], v[6:7], v[26:27], -v[24:25]
	v_fma_f64 v[16:17], v[8:9], v[26:27], v[16:17]
	ds_read_b128 v[6:9], v1 offset:1024
	s_waitcnt vmcnt(29)
	v_fma_f64 v[26:27], v[10:11], v[111:112], -v[30:31]
	v_add_f64 v[18:19], v[18:19], v[22:23]
	v_add_f64 v[14:15], v[14:15], v[20:21]
	s_waitcnt lgkmcnt(1)
	v_mul_f64 v[22:23], v[4:5], v[34:35]
	v_mul_f64 v[20:21], v[2:3], v[34:35]
	v_add_f64 v[18:19], v[18:19], v[24:25]
	v_fma_f64 v[24:25], v[12:13], v[111:112], v[28:29]
	v_add_f64 v[14:15], v[14:15], v[16:17]
	s_waitcnt vmcnt(25) lgkmcnt(0)
	v_mul_f64 v[28:29], v[8:9], v[113:114]
	s_waitcnt vmcnt(24)
	v_fma_f64 v[22:23], v[2:3], v[36:37], -v[22:23]
	ds_read_b128 v[10:13], v1 offset:1040
	v_mul_f64 v[16:17], v[6:7], v[113:114]
	v_fma_f64 v[20:21], v[4:5], v[36:37], v[20:21]
	ds_read_b128 v[2:5], v1 offset:1056
	v_add_f64 v[18:19], v[18:19], v[26:27]
	v_add_f64 v[14:15], v[14:15], v[24:25]
	s_waitcnt vmcnt(23) lgkmcnt(1)
	v_mul_f64 v[26:27], v[12:13], v[115:116]
	s_waitcnt vmcnt(21)
	v_fma_f64 v[28:29], v[6:7], v[119:120], -v[28:29]
	v_mul_f64 v[24:25], v[10:11], v[115:116]
	v_fma_f64 v[16:17], v[8:9], v[119:120], v[16:17]
	ds_read_b128 v[6:9], v1 offset:1072
	v_add_f64 v[18:19], v[18:19], v[22:23]
	s_waitcnt vmcnt(17) lgkmcnt(1)
	v_mul_f64 v[22:23], v[4:5], v[121:122]
	v_add_f64 v[14:15], v[14:15], v[20:21]
	s_waitcnt vmcnt(16)
	v_fma_f64 v[26:27], v[10:11], v[117:118], -v[26:27]
	v_mul_f64 v[20:21], v[2:3], v[121:122]
	v_fma_f64 v[24:25], v[12:13], v[117:118], v[24:25]
	ds_read_b128 v[10:13], v1 offset:1088
	v_add_f64 v[18:19], v[18:19], v[28:29]
	s_waitcnt vmcnt(15) lgkmcnt(1)
	v_mul_f64 v[28:29], v[8:9], v[123:124]
	v_add_f64 v[14:15], v[14:15], v[16:17]
	;; [unrolled: 9-line block ×3, first 2 shown]
	s_waitcnt vmcnt(8)
	v_fma_f64 v[6:7], v[6:7], v[125:126], -v[28:29]
	v_mul_f64 v[24:25], v[10:11], v[129:130]
	v_fma_f64 v[8:9], v[8:9], v[125:126], v[16:17]
	s_waitcnt vmcnt(7) lgkmcnt(0)
	v_mul_f64 v[16:17], v[2:3], v[131:132]
	v_add_f64 v[18:19], v[18:19], v[22:23]
	s_waitcnt vmcnt(5)
	v_fma_f64 v[10:11], v[10:11], v[135:136], -v[26:27]
	v_add_f64 v[14:15], v[14:15], v[20:21]
	v_mul_f64 v[20:21], v[4:5], v[131:132]
	v_fma_f64 v[12:13], v[12:13], v[135:136], v[24:25]
	s_waitcnt vmcnt(4)
	v_fma_f64 v[4:5], v[4:5], v[133:134], v[16:17]
	v_add_f64 v[6:7], v[18:19], v[6:7]
	v_add_f64 v[8:9], v[14:15], v[8:9]
	v_fma_f64 v[2:3], v[2:3], v[133:134], -v[20:21]
	v_add_f64 v[6:7], v[6:7], v[10:11]
	v_add_f64 v[8:9], v[8:9], v[12:13]
	;; [unrolled: 1-line block ×4, first 2 shown]
	s_waitcnt vmcnt(2)
	v_add_f64 v[2:3], v[141:142], -v[2:3]
	s_waitcnt vmcnt(0)
	v_add_f64 v[4:5], v[143:144], -v[4:5]
	buffer_store_dword v3, off, s[0:3], 0 offset:356
	buffer_store_dword v2, off, s[0:3], 0 offset:352
	;; [unrolled: 1-line block ×4, first 2 shown]
	v_cmpx_lt_u32_e32 20, v0
	s_cbranch_execz .LBB34_183
; %bb.182:
	v_mov_b32_e32 v5, s26
	s_clause 0x3
	buffer_load_dword v2, v5, s[0:3], 0 offen
	buffer_load_dword v3, v5, s[0:3], 0 offen offset:4
	buffer_load_dword v4, v5, s[0:3], 0 offen offset:8
	;; [unrolled: 1-line block ×3, first 2 shown]
	buffer_store_dword v1, off, s[0:3], 0 offset:336
	buffer_store_dword v1, off, s[0:3], 0 offset:340
	;; [unrolled: 1-line block ×4, first 2 shown]
	s_waitcnt vmcnt(0)
	ds_write_b128 v39, v[2:5]
.LBB34_183:
	s_or_b32 exec_lo, exec_lo, s4
	s_waitcnt lgkmcnt(0)
	s_waitcnt_vscnt null, 0x0
	s_barrier
	buffer_gl0_inv
	s_clause 0x35
	buffer_load_dword v10, off, s[0:3], 0 offset:360
	buffer_load_dword v11, off, s[0:3], 0 offset:364
	;; [unrolled: 1-line block ×54, first 2 shown]
	ds_read_b128 v[2:5], v1 offset:896
	s_clause 0x1
	buffer_load_dword v140, off, s[0:3], 0 offset:564
	buffer_load_dword v139, off, s[0:3], 0 offset:560
	ds_read_b128 v[6:9], v1 offset:912
	s_mov_b32 s4, exec_lo
	s_waitcnt vmcnt(54) lgkmcnt(1)
	v_mul_f64 v[141:142], v[4:5], v[10:11]
	v_mul_f64 v[143:144], v[2:3], v[10:11]
	ds_read_b128 v[10:13], v1 offset:928
	s_waitcnt vmcnt(52) lgkmcnt(1)
	v_mul_f64 v[145:146], v[8:9], v[14:15]
	v_mul_f64 v[14:15], v[6:7], v[14:15]
	s_waitcnt vmcnt(48) lgkmcnt(0)
	v_mul_f64 v[149:150], v[10:11], v[18:19]
	v_fma_f64 v[141:142], v[2:3], v[16:17], -v[141:142]
	v_fma_f64 v[16:17], v[4:5], v[16:17], v[143:144]
	s_clause 0x3
	buffer_load_dword v143, off, s[0:3], 0 offset:336
	buffer_load_dword v144, off, s[0:3], 0 offset:340
	;; [unrolled: 1-line block ×4, first 2 shown]
	v_mul_f64 v[18:19], v[12:13], v[18:19]
	s_waitcnt vmcnt(50)
	v_fma_f64 v[145:146], v[6:7], v[20:21], -v[145:146]
	ds_read_b128 v[2:5], v1 offset:944
	v_fma_f64 v[14:15], v[8:9], v[20:21], v[14:15]
	ds_read_b128 v[6:9], v1 offset:960
	v_add_f64 v[141:142], v[141:142], 0
	v_add_f64 v[16:17], v[16:17], 0
	s_waitcnt vmcnt(46) lgkmcnt(1)
	v_mul_f64 v[20:21], v[2:3], v[22:23]
	v_mul_f64 v[22:23], v[4:5], v[22:23]
	s_waitcnt vmcnt(44)
	v_fma_f64 v[18:19], v[10:11], v[28:29], -v[18:19]
	v_fma_f64 v[28:29], v[12:13], v[28:29], v[149:150]
	ds_read_b128 v[10:13], v1 offset:976
	v_add_f64 v[141:142], v[141:142], v[145:146]
	v_add_f64 v[14:15], v[16:17], v[14:15]
	s_waitcnt vmcnt(43) lgkmcnt(1)
	v_mul_f64 v[16:17], v[6:7], v[24:25]
	v_mul_f64 v[24:25], v[8:9], v[24:25]
	s_waitcnt vmcnt(41)
	v_fma_f64 v[22:23], v[2:3], v[30:31], -v[22:23]
	v_fma_f64 v[20:21], v[4:5], v[30:31], v[20:21]
	ds_read_b128 v[2:5], v1 offset:992
	s_waitcnt vmcnt(37) lgkmcnt(1)
	v_mul_f64 v[30:31], v[12:13], v[32:33]
	v_add_f64 v[18:19], v[141:142], v[18:19]
	v_add_f64 v[14:15], v[14:15], v[28:29]
	v_mul_f64 v[28:29], v[10:11], v[32:33]
	s_waitcnt vmcnt(36)
	v_fma_f64 v[24:25], v[6:7], v[26:27], -v[24:25]
	v_fma_f64 v[16:17], v[8:9], v[26:27], v[16:17]
	ds_read_b128 v[6:9], v1 offset:1008
	s_waitcnt vmcnt(33)
	v_fma_f64 v[26:27], v[10:11], v[111:112], -v[30:31]
	v_add_f64 v[18:19], v[18:19], v[22:23]
	v_add_f64 v[14:15], v[14:15], v[20:21]
	s_waitcnt lgkmcnt(1)
	v_mul_f64 v[22:23], v[4:5], v[34:35]
	v_mul_f64 v[20:21], v[2:3], v[34:35]
	v_add_f64 v[18:19], v[18:19], v[24:25]
	v_fma_f64 v[24:25], v[12:13], v[111:112], v[28:29]
	v_add_f64 v[14:15], v[14:15], v[16:17]
	ds_read_b128 v[10:13], v1 offset:1024
	s_waitcnt vmcnt(29) lgkmcnt(1)
	v_mul_f64 v[28:29], v[8:9], v[113:114]
	s_waitcnt vmcnt(28)
	v_fma_f64 v[22:23], v[2:3], v[36:37], -v[22:23]
	v_mul_f64 v[16:17], v[6:7], v[113:114]
	v_fma_f64 v[20:21], v[4:5], v[36:37], v[20:21]
	ds_read_b128 v[2:5], v1 offset:1040
	v_add_f64 v[18:19], v[18:19], v[26:27]
	s_waitcnt vmcnt(27) lgkmcnt(1)
	v_mul_f64 v[26:27], v[12:13], v[115:116]
	v_add_f64 v[14:15], v[14:15], v[24:25]
	v_mul_f64 v[24:25], v[10:11], v[115:116]
	s_waitcnt vmcnt(25)
	v_fma_f64 v[28:29], v[6:7], v[119:120], -v[28:29]
	v_fma_f64 v[16:17], v[8:9], v[119:120], v[16:17]
	ds_read_b128 v[6:9], v1 offset:1056
	v_add_f64 v[18:19], v[18:19], v[22:23]
	s_waitcnt vmcnt(21) lgkmcnt(1)
	v_mul_f64 v[22:23], v[4:5], v[121:122]
	v_add_f64 v[14:15], v[14:15], v[20:21]
	s_waitcnt vmcnt(20)
	v_fma_f64 v[26:27], v[10:11], v[117:118], -v[26:27]
	v_mul_f64 v[20:21], v[2:3], v[121:122]
	v_fma_f64 v[24:25], v[12:13], v[117:118], v[24:25]
	ds_read_b128 v[10:13], v1 offset:1072
	v_add_f64 v[18:19], v[18:19], v[28:29]
	s_waitcnt vmcnt(19) lgkmcnt(1)
	v_mul_f64 v[28:29], v[8:9], v[123:124]
	v_add_f64 v[14:15], v[14:15], v[16:17]
	s_waitcnt vmcnt(17)
	v_fma_f64 v[22:23], v[2:3], v[127:128], -v[22:23]
	v_mul_f64 v[16:17], v[6:7], v[123:124]
	;; [unrolled: 9-line block ×4, first 2 shown]
	v_fma_f64 v[12:13], v[12:13], v[135:136], v[24:25]
	s_waitcnt vmcnt(7) lgkmcnt(0)
	v_mul_f64 v[24:25], v[8:9], v[137:138]
	v_add_f64 v[18:19], v[18:19], v[28:29]
	s_waitcnt vmcnt(6)
	v_fma_f64 v[1:2], v[2:3], v[133:134], -v[22:23]
	v_add_f64 v[14:15], v[14:15], v[16:17]
	v_mul_f64 v[16:17], v[6:7], v[137:138]
	v_fma_f64 v[3:4], v[4:5], v[133:134], v[20:21]
	s_waitcnt vmcnt(4)
	v_fma_f64 v[5:6], v[6:7], v[139:140], -v[24:25]
	v_add_f64 v[10:11], v[18:19], v[10:11]
	v_add_f64 v[12:13], v[14:15], v[12:13]
	v_fma_f64 v[7:8], v[8:9], v[139:140], v[16:17]
	v_add_f64 v[1:2], v[10:11], v[1:2]
	v_add_f64 v[3:4], v[12:13], v[3:4]
	;; [unrolled: 1-line block ×4, first 2 shown]
	s_waitcnt vmcnt(2)
	v_add_f64 v[1:2], v[143:144], -v[1:2]
	s_waitcnt vmcnt(0)
	v_add_f64 v[3:4], v[147:148], -v[3:4]
	buffer_store_dword v2, off, s[0:3], 0 offset:340
	buffer_store_dword v1, off, s[0:3], 0 offset:336
	;; [unrolled: 1-line block ×4, first 2 shown]
	v_cmpx_lt_u32_e32 19, v0
	s_cbranch_execz .LBB34_185
; %bb.184:
	v_mov_b32_e32 v4, s27
	v_mov_b32_e32 v5, 0
	s_clause 0x3
	buffer_load_dword v1, v4, s[0:3], 0 offen
	buffer_load_dword v2, v4, s[0:3], 0 offen offset:4
	buffer_load_dword v3, v4, s[0:3], 0 offen offset:8
	;; [unrolled: 1-line block ×3, first 2 shown]
	buffer_store_dword v5, off, s[0:3], 0 offset:320
	buffer_store_dword v5, off, s[0:3], 0 offset:324
	;; [unrolled: 1-line block ×4, first 2 shown]
	s_waitcnt vmcnt(0)
	ds_write_b128 v39, v[1:4]
.LBB34_185:
	s_or_b32 exec_lo, exec_lo, s4
	s_waitcnt lgkmcnt(0)
	s_waitcnt_vscnt null, 0x0
	s_barrier
	buffer_gl0_inv
	s_clause 0x37
	buffer_load_dword v10, off, s[0:3], 0 offset:344
	buffer_load_dword v11, off, s[0:3], 0 offset:348
	;; [unrolled: 1-line block ×56, first 2 shown]
	v_mov_b32_e32 v1, 0
	s_mov_b32 s4, exec_lo
	ds_read_b128 v[2:5], v1 offset:880
	s_clause 0x2
	buffer_load_dword v140, off, s[0:3], 0 offset:572
	buffer_load_dword v144, off, s[0:3], 0 offset:548
	;; [unrolled: 1-line block ×3, first 2 shown]
	ds_read_b128 v[6:9], v1 offset:896
	buffer_load_dword v142, off, s[0:3], 0 offset:564
	s_waitcnt vmcnt(58) lgkmcnt(1)
	v_mul_f64 v[145:146], v[4:5], v[10:11]
	v_mul_f64 v[147:148], v[2:3], v[10:11]
	ds_read_b128 v[10:13], v1 offset:912
	s_waitcnt vmcnt(56) lgkmcnt(1)
	v_mul_f64 v[149:150], v[8:9], v[14:15]
	v_mul_f64 v[14:15], v[6:7], v[14:15]
	s_waitcnt vmcnt(54)
	v_fma_f64 v[145:146], v[2:3], v[16:17], -v[145:146]
	v_fma_f64 v[16:17], v[4:5], v[16:17], v[147:148]
	s_waitcnt vmcnt(52) lgkmcnt(0)
	v_mul_f64 v[147:148], v[10:11], v[18:19]
	v_mul_f64 v[18:19], v[12:13], v[18:19]
	s_waitcnt vmcnt(50)
	v_fma_f64 v[149:150], v[6:7], v[20:21], -v[149:150]
	ds_read_b128 v[2:5], v1 offset:928
	v_fma_f64 v[14:15], v[8:9], v[20:21], v[14:15]
	s_clause 0x3
	buffer_load_dword v20, off, s[0:3], 0 offset:320
	buffer_load_dword v21, off, s[0:3], 0 offset:324
	;; [unrolled: 1-line block ×4, first 2 shown]
	ds_read_b128 v[6:9], v1 offset:944
	v_add_f64 v[145:146], v[145:146], 0
	v_add_f64 v[16:17], v[16:17], 0
	s_waitcnt vmcnt(50) lgkmcnt(1)
	v_mul_f64 v[153:154], v[2:3], v[22:23]
	v_mul_f64 v[22:23], v[4:5], v[22:23]
	s_waitcnt vmcnt(48)
	v_fma_f64 v[18:19], v[10:11], v[28:29], -v[18:19]
	v_fma_f64 v[28:29], v[12:13], v[28:29], v[147:148]
	ds_read_b128 v[10:13], v1 offset:960
	v_add_f64 v[145:146], v[145:146], v[149:150]
	v_add_f64 v[14:15], v[16:17], v[14:15]
	s_waitcnt vmcnt(47) lgkmcnt(1)
	v_mul_f64 v[16:17], v[6:7], v[24:25]
	v_mul_f64 v[24:25], v[8:9], v[24:25]
	s_waitcnt vmcnt(45)
	v_fma_f64 v[22:23], v[2:3], v[30:31], -v[22:23]
	v_fma_f64 v[30:31], v[4:5], v[30:31], v[153:154]
	;; [unrolled: 9-line block ×3, first 2 shown]
	ds_read_b128 v[6:9], v1 offset:992
	s_waitcnt vmcnt(39) lgkmcnt(1)
	v_mul_f64 v[26:27], v[4:5], v[34:35]
	v_add_f64 v[18:19], v[18:19], v[22:23]
	v_add_f64 v[14:15], v[14:15], v[30:31]
	v_mul_f64 v[22:23], v[2:3], v[34:35]
	s_waitcnt vmcnt(37)
	v_fma_f64 v[30:31], v[10:11], v[111:112], -v[32:33]
	s_waitcnt vmcnt(32)
	v_fma_f64 v[26:27], v[2:3], v[36:37], -v[26:27]
	v_add_f64 v[18:19], v[18:19], v[24:25]
	v_fma_f64 v[24:25], v[12:13], v[111:112], v[28:29]
	v_add_f64 v[14:15], v[14:15], v[16:17]
	s_waitcnt lgkmcnt(0)
	v_mul_f64 v[28:29], v[8:9], v[113:114]
	ds_read_b128 v[10:13], v1 offset:1008
	v_mul_f64 v[16:17], v[6:7], v[113:114]
	v_fma_f64 v[22:23], v[4:5], v[36:37], v[22:23]
	ds_read_b128 v[2:5], v1 offset:1024
	v_add_f64 v[18:19], v[18:19], v[30:31]
	v_add_f64 v[14:15], v[14:15], v[24:25]
	s_waitcnt vmcnt(31) lgkmcnt(1)
	v_mul_f64 v[30:31], v[12:13], v[115:116]
	s_waitcnt vmcnt(29)
	v_fma_f64 v[28:29], v[6:7], v[119:120], -v[28:29]
	v_mul_f64 v[24:25], v[10:11], v[115:116]
	v_fma_f64 v[16:17], v[8:9], v[119:120], v[16:17]
	ds_read_b128 v[6:9], v1 offset:1040
	v_add_f64 v[18:19], v[18:19], v[26:27]
	s_waitcnt vmcnt(25) lgkmcnt(1)
	v_mul_f64 v[26:27], v[4:5], v[121:122]
	v_add_f64 v[14:15], v[14:15], v[22:23]
	s_waitcnt vmcnt(24)
	v_fma_f64 v[30:31], v[10:11], v[117:118], -v[30:31]
	v_mul_f64 v[22:23], v[2:3], v[121:122]
	v_fma_f64 v[24:25], v[12:13], v[117:118], v[24:25]
	ds_read_b128 v[10:13], v1 offset:1056
	v_add_f64 v[18:19], v[18:19], v[28:29]
	s_waitcnt vmcnt(23) lgkmcnt(1)
	v_mul_f64 v[28:29], v[8:9], v[123:124]
	v_add_f64 v[14:15], v[14:15], v[16:17]
	s_waitcnt vmcnt(21)
	v_fma_f64 v[26:27], v[2:3], v[127:128], -v[26:27]
	v_mul_f64 v[16:17], v[6:7], v[123:124]
	v_fma_f64 v[22:23], v[4:5], v[127:128], v[22:23]
	ds_read_b128 v[2:5], v1 offset:1072
	v_add_f64 v[18:19], v[18:19], v[30:31]
	s_waitcnt vmcnt(17) lgkmcnt(1)
	v_mul_f64 v[30:31], v[12:13], v[129:130]
	v_add_f64 v[14:15], v[14:15], v[24:25]
	s_waitcnt vmcnt(16)
	v_fma_f64 v[28:29], v[6:7], v[125:126], -v[28:29]
	v_mul_f64 v[24:25], v[10:11], v[129:130]
	v_fma_f64 v[16:17], v[8:9], v[125:126], v[16:17]
	ds_read_b128 v[6:9], v1 offset:1088
	v_add_f64 v[18:19], v[18:19], v[26:27]
	s_waitcnt vmcnt(15) lgkmcnt(1)
	v_mul_f64 v[26:27], v[4:5], v[131:132]
	v_add_f64 v[14:15], v[14:15], v[22:23]
	s_waitcnt vmcnt(13)
	v_fma_f64 v[30:31], v[10:11], v[135:136], -v[30:31]
	v_mul_f64 v[22:23], v[2:3], v[131:132]
	v_fma_f64 v[24:25], v[12:13], v[135:136], v[24:25]
	ds_read_b128 v[10:13], v1 offset:1104
	v_add_f64 v[18:19], v[18:19], v[28:29]
	s_waitcnt vmcnt(9) lgkmcnt(1)
	v_mul_f64 v[28:29], v[8:9], v[137:138]
	v_add_f64 v[14:15], v[14:15], v[16:17]
	s_waitcnt vmcnt(8)
	v_fma_f64 v[2:3], v[2:3], v[133:134], -v[26:27]
	v_mul_f64 v[16:17], v[6:7], v[137:138]
	v_fma_f64 v[4:5], v[4:5], v[133:134], v[22:23]
	s_waitcnt vmcnt(7) lgkmcnt(0)
	v_mul_f64 v[22:23], v[10:11], v[139:140]
	v_add_f64 v[18:19], v[18:19], v[30:31]
	s_waitcnt vmcnt(5)
	v_fma_f64 v[6:7], v[6:7], v[143:144], -v[28:29]
	v_add_f64 v[14:15], v[14:15], v[24:25]
	v_mul_f64 v[24:25], v[12:13], v[139:140]
	v_fma_f64 v[8:9], v[8:9], v[143:144], v[16:17]
	v_add_f64 v[2:3], v[18:19], v[2:3]
	v_add_f64 v[4:5], v[14:15], v[4:5]
	s_waitcnt vmcnt(4)
	v_fma_f64 v[10:11], v[10:11], v[141:142], -v[24:25]
	v_add_f64 v[2:3], v[2:3], v[6:7]
	v_fma_f64 v[6:7], v[12:13], v[141:142], v[22:23]
	v_add_f64 v[4:5], v[4:5], v[8:9]
	v_add_f64 v[2:3], v[2:3], v[10:11]
	;; [unrolled: 1-line block ×3, first 2 shown]
	s_waitcnt vmcnt(2)
	v_add_f64 v[2:3], v[20:21], -v[2:3]
	s_waitcnt vmcnt(0)
	v_add_f64 v[4:5], v[151:152], -v[4:5]
	buffer_store_dword v3, off, s[0:3], 0 offset:324
	buffer_store_dword v2, off, s[0:3], 0 offset:320
	;; [unrolled: 1-line block ×4, first 2 shown]
	v_cmpx_lt_u32_e32 18, v0
	s_cbranch_execz .LBB34_187
; %bb.186:
	v_mov_b32_e32 v5, s28
	s_clause 0x3
	buffer_load_dword v2, v5, s[0:3], 0 offen
	buffer_load_dword v3, v5, s[0:3], 0 offen offset:4
	buffer_load_dword v4, v5, s[0:3], 0 offen offset:8
	;; [unrolled: 1-line block ×3, first 2 shown]
	buffer_store_dword v1, off, s[0:3], 0 offset:304
	buffer_store_dword v1, off, s[0:3], 0 offset:308
	buffer_store_dword v1, off, s[0:3], 0 offset:312
	buffer_store_dword v1, off, s[0:3], 0 offset:316
	s_waitcnt vmcnt(0)
	ds_write_b128 v39, v[2:5]
.LBB34_187:
	s_or_b32 exec_lo, exec_lo, s4
	s_waitcnt lgkmcnt(0)
	s_waitcnt_vscnt null, 0x0
	s_barrier
	buffer_gl0_inv
	s_clause 0x37
	buffer_load_dword v10, off, s[0:3], 0 offset:328
	buffer_load_dword v11, off, s[0:3], 0 offset:332
	;; [unrolled: 1-line block ×56, first 2 shown]
	ds_read_b128 v[2:5], v1 offset:864
	s_clause 0x2
	buffer_load_dword v140, off, s[0:3], 0 offset:556
	buffer_load_dword v144, off, s[0:3], 0 offset:532
	;; [unrolled: 1-line block ×3, first 2 shown]
	ds_read_b128 v[6:9], v1 offset:880
	s_clause 0x2
	buffer_load_dword v150, off, s[0:3], 0 offset:572
	buffer_load_dword v149, off, s[0:3], 0 offset:568
	;; [unrolled: 1-line block ×3, first 2 shown]
	s_mov_b32 s4, exec_lo
	s_waitcnt vmcnt(60) lgkmcnt(1)
	v_mul_f64 v[145:146], v[4:5], v[10:11]
	v_mul_f64 v[147:148], v[2:3], v[10:11]
	s_waitcnt vmcnt(58) lgkmcnt(0)
	v_mul_f64 v[151:152], v[8:9], v[14:15]
	ds_read_b128 v[10:13], v1 offset:896
	v_mul_f64 v[14:15], v[6:7], v[14:15]
	s_waitcnt vmcnt(56)
	v_fma_f64 v[145:146], v[2:3], v[16:17], -v[145:146]
	v_fma_f64 v[16:17], v[4:5], v[16:17], v[147:148]
	s_clause 0x1
	buffer_load_dword v148, off, s[0:3], 0 offset:564
	buffer_load_dword v147, off, s[0:3], 0 offset:560
	s_waitcnt vmcnt(56) lgkmcnt(0)
	v_mul_f64 v[153:154], v[10:11], v[18:19]
	v_mul_f64 v[18:19], v[12:13], v[18:19]
	s_waitcnt vmcnt(54)
	v_fma_f64 v[151:152], v[6:7], v[20:21], -v[151:152]
	ds_read_b128 v[2:5], v1 offset:912
	v_fma_f64 v[14:15], v[8:9], v[20:21], v[14:15]
	ds_read_b128 v[6:9], v1 offset:928
	v_add_f64 v[145:146], v[145:146], 0
	v_add_f64 v[16:17], v[16:17], 0
	s_waitcnt vmcnt(50) lgkmcnt(1)
	v_mul_f64 v[20:21], v[2:3], v[22:23]
	v_mul_f64 v[22:23], v[4:5], v[22:23]
	s_waitcnt vmcnt(48)
	v_fma_f64 v[18:19], v[10:11], v[28:29], -v[18:19]
	v_fma_f64 v[28:29], v[12:13], v[28:29], v[153:154]
	s_waitcnt vmcnt(47) lgkmcnt(0)
	v_mul_f64 v[153:154], v[6:7], v[24:25]
	v_mul_f64 v[24:25], v[8:9], v[24:25]
	v_add_f64 v[145:146], v[145:146], v[151:152]
	v_add_f64 v[14:15], v[16:17], v[14:15]
	s_clause 0x3
	buffer_load_dword v16, off, s[0:3], 0 offset:304
	buffer_load_dword v17, off, s[0:3], 0 offset:308
	buffer_load_dword v151, off, s[0:3], 0 offset:312
	buffer_load_dword v152, off, s[0:3], 0 offset:316
	ds_read_b128 v[10:13], v1 offset:944
	s_waitcnt vmcnt(49)
	v_fma_f64 v[20:21], v[4:5], v[30:31], v[20:21]
	v_fma_f64 v[22:23], v[2:3], v[30:31], -v[22:23]
	ds_read_b128 v[2:5], v1 offset:960
	s_waitcnt vmcnt(44)
	v_fma_f64 v[24:25], v[6:7], v[26:27], -v[24:25]
	v_add_f64 v[18:19], v[145:146], v[18:19]
	v_add_f64 v[14:15], v[14:15], v[28:29]
	s_waitcnt lgkmcnt(1)
	v_mul_f64 v[30:31], v[12:13], v[32:33]
	v_mul_f64 v[28:29], v[10:11], v[32:33]
	v_add_f64 v[18:19], v[18:19], v[22:23]
	v_fma_f64 v[22:23], v[8:9], v[26:27], v[153:154]
	v_add_f64 v[14:15], v[14:15], v[20:21]
	s_waitcnt vmcnt(43) lgkmcnt(0)
	v_mul_f64 v[26:27], v[4:5], v[34:35]
	s_waitcnt vmcnt(41)
	v_fma_f64 v[30:31], v[10:11], v[111:112], -v[30:31]
	ds_read_b128 v[6:9], v1 offset:976
	v_mul_f64 v[20:21], v[2:3], v[34:35]
	v_add_f64 v[18:19], v[18:19], v[24:25]
	v_fma_f64 v[24:25], v[12:13], v[111:112], v[28:29]
	v_add_f64 v[14:15], v[14:15], v[22:23]
	ds_read_b128 v[10:13], v1 offset:992
	s_waitcnt vmcnt(37) lgkmcnt(1)
	v_mul_f64 v[28:29], v[8:9], v[113:114]
	s_waitcnt vmcnt(36)
	v_fma_f64 v[26:27], v[2:3], v[36:37], -v[26:27]
	v_mul_f64 v[22:23], v[6:7], v[113:114]
	v_fma_f64 v[20:21], v[4:5], v[36:37], v[20:21]
	ds_read_b128 v[2:5], v1 offset:1008
	v_add_f64 v[18:19], v[18:19], v[30:31]
	s_waitcnt vmcnt(35) lgkmcnt(1)
	v_mul_f64 v[30:31], v[12:13], v[115:116]
	v_add_f64 v[14:15], v[14:15], v[24:25]
	v_mul_f64 v[24:25], v[10:11], v[115:116]
	s_waitcnt vmcnt(33)
	v_fma_f64 v[28:29], v[6:7], v[119:120], -v[28:29]
	v_fma_f64 v[22:23], v[8:9], v[119:120], v[22:23]
	ds_read_b128 v[6:9], v1 offset:1024
	v_add_f64 v[18:19], v[18:19], v[26:27]
	s_waitcnt vmcnt(29) lgkmcnt(1)
	v_mul_f64 v[26:27], v[4:5], v[121:122]
	v_add_f64 v[14:15], v[14:15], v[20:21]
	s_waitcnt vmcnt(28)
	v_fma_f64 v[30:31], v[10:11], v[117:118], -v[30:31]
	v_mul_f64 v[20:21], v[2:3], v[121:122]
	v_fma_f64 v[24:25], v[12:13], v[117:118], v[24:25]
	ds_read_b128 v[10:13], v1 offset:1040
	v_add_f64 v[18:19], v[18:19], v[28:29]
	s_waitcnt vmcnt(27) lgkmcnt(1)
	v_mul_f64 v[28:29], v[8:9], v[123:124]
	v_add_f64 v[14:15], v[14:15], v[22:23]
	s_waitcnt vmcnt(25)
	v_fma_f64 v[26:27], v[2:3], v[127:128], -v[26:27]
	v_mul_f64 v[22:23], v[6:7], v[123:124]
	;; [unrolled: 9-line block ×6, first 2 shown]
	v_fma_f64 v[7:8], v[8:9], v[143:144], v[22:23]
	s_waitcnt vmcnt(7) lgkmcnt(0)
	v_mul_f64 v[22:23], v[3:4], v[149:150]
	v_add_f64 v[18:19], v[18:19], v[26:27]
	s_waitcnt vmcnt(6)
	v_fma_f64 v[9:10], v[10:11], v[141:142], -v[30:31]
	v_add_f64 v[14:15], v[14:15], v[20:21]
	v_mul_f64 v[20:21], v[1:2], v[149:150]
	v_fma_f64 v[11:12], v[12:13], v[141:142], v[24:25]
	v_add_f64 v[5:6], v[18:19], v[5:6]
	v_add_f64 v[7:8], v[14:15], v[7:8]
	s_waitcnt vmcnt(4)
	v_fma_f64 v[1:2], v[1:2], v[147:148], -v[22:23]
	v_fma_f64 v[3:4], v[3:4], v[147:148], v[20:21]
	v_add_f64 v[5:6], v[5:6], v[9:10]
	v_add_f64 v[7:8], v[7:8], v[11:12]
	;; [unrolled: 1-line block ×4, first 2 shown]
	s_waitcnt vmcnt(2)
	v_add_f64 v[1:2], v[16:17], -v[1:2]
	s_waitcnt vmcnt(0)
	v_add_f64 v[3:4], v[151:152], -v[3:4]
	buffer_store_dword v2, off, s[0:3], 0 offset:308
	buffer_store_dword v1, off, s[0:3], 0 offset:304
	;; [unrolled: 1-line block ×4, first 2 shown]
	v_cmpx_lt_u32_e32 17, v0
	s_cbranch_execz .LBB34_189
; %bb.188:
	v_mov_b32_e32 v4, s29
	v_mov_b32_e32 v5, 0
	s_clause 0x3
	buffer_load_dword v1, v4, s[0:3], 0 offen
	buffer_load_dword v2, v4, s[0:3], 0 offen offset:4
	buffer_load_dword v3, v4, s[0:3], 0 offen offset:8
	;; [unrolled: 1-line block ×3, first 2 shown]
	buffer_store_dword v5, off, s[0:3], 0 offset:288
	buffer_store_dword v5, off, s[0:3], 0 offset:292
	;; [unrolled: 1-line block ×4, first 2 shown]
	s_waitcnt vmcnt(0)
	ds_write_b128 v39, v[1:4]
.LBB34_189:
	s_or_b32 exec_lo, exec_lo, s4
	s_waitcnt lgkmcnt(0)
	s_waitcnt_vscnt null, 0x0
	s_barrier
	buffer_gl0_inv
	s_clause 0x37
	buffer_load_dword v10, off, s[0:3], 0 offset:312
	buffer_load_dword v11, off, s[0:3], 0 offset:316
	;; [unrolled: 1-line block ×56, first 2 shown]
	v_mov_b32_e32 v1, 0
	s_mov_b32 s4, exec_lo
	ds_read_b128 v[2:5], v1 offset:848
	s_clause 0x2
	buffer_load_dword v140, off, s[0:3], 0 offset:540
	buffer_load_dword v144, off, s[0:3], 0 offset:516
	;; [unrolled: 1-line block ×3, first 2 shown]
	ds_read_b128 v[6:9], v1 offset:864
	s_clause 0x4
	buffer_load_dword v150, off, s[0:3], 0 offset:556
	buffer_load_dword v151, off, s[0:3], 0 offset:568
	;; [unrolled: 1-line block ×5, first 2 shown]
	s_waitcnt vmcnt(62) lgkmcnt(1)
	v_mul_f64 v[145:146], v[4:5], v[10:11]
	v_mul_f64 v[147:148], v[2:3], v[10:11]
	s_waitcnt vmcnt(60) lgkmcnt(0)
	v_mul_f64 v[154:155], v[8:9], v[14:15]
	ds_read_b128 v[10:13], v1 offset:880
	v_mul_f64 v[14:15], v[6:7], v[14:15]
	s_waitcnt vmcnt(58)
	v_fma_f64 v[145:146], v[2:3], v[16:17], -v[145:146]
	v_fma_f64 v[16:17], v[4:5], v[16:17], v[147:148]
	s_clause 0x2
	buffer_load_dword v152, off, s[0:3], 0 offset:572
	buffer_load_dword v148, off, s[0:3], 0 offset:548
	;; [unrolled: 1-line block ×3, first 2 shown]
	s_waitcnt vmcnt(59) lgkmcnt(0)
	v_mul_f64 v[156:157], v[10:11], v[18:19]
	v_mul_f64 v[18:19], v[12:13], v[18:19]
	s_waitcnt vmcnt(57)
	v_fma_f64 v[158:159], v[6:7], v[20:21], -v[154:155]
	ds_read_b128 v[2:5], v1 offset:896
	v_fma_f64 v[14:15], v[8:9], v[20:21], v[14:15]
	buffer_load_dword v154, off, s[0:3], 0 offset:564
	ds_read_b128 v[6:9], v1 offset:912
	v_add_f64 v[145:146], v[145:146], 0
	v_add_f64 v[16:17], v[16:17], 0
	s_waitcnt vmcnt(54) lgkmcnt(1)
	v_mul_f64 v[20:21], v[2:3], v[22:23]
	v_mul_f64 v[22:23], v[4:5], v[22:23]
	s_waitcnt vmcnt(52)
	v_fma_f64 v[18:19], v[10:11], v[28:29], -v[18:19]
	v_fma_f64 v[28:29], v[12:13], v[28:29], v[156:157]
	ds_read_b128 v[10:13], v1 offset:928
	v_add_f64 v[145:146], v[145:146], v[158:159]
	v_add_f64 v[14:15], v[16:17], v[14:15]
	s_waitcnt vmcnt(51) lgkmcnt(1)
	v_mul_f64 v[16:17], v[6:7], v[24:25]
	v_mul_f64 v[24:25], v[8:9], v[24:25]
	s_waitcnt vmcnt(49)
	v_fma_f64 v[20:21], v[4:5], v[30:31], v[20:21]
	v_fma_f64 v[22:23], v[2:3], v[30:31], -v[22:23]
	v_add_f64 v[18:19], v[145:146], v[18:19]
	v_add_f64 v[14:15], v[14:15], v[28:29]
	s_clause 0x3
	buffer_load_dword v28, off, s[0:3], 0 offset:288
	buffer_load_dword v29, off, s[0:3], 0 offset:292
	buffer_load_dword v30, off, s[0:3], 0 offset:296
	buffer_load_dword v31, off, s[0:3], 0 offset:300
	s_waitcnt vmcnt(49) lgkmcnt(0)
	v_mul_f64 v[145:146], v[10:11], v[32:33]
	v_mul_f64 v[32:33], v[12:13], v[32:33]
	s_waitcnt vmcnt(48)
	v_fma_f64 v[24:25], v[6:7], v[26:27], -v[24:25]
	ds_read_b128 v[2:5], v1 offset:944
	v_fma_f64 v[16:17], v[8:9], v[26:27], v[16:17]
	ds_read_b128 v[6:9], v1 offset:960
	v_add_f64 v[18:19], v[18:19], v[22:23]
	v_add_f64 v[14:15], v[14:15], v[20:21]
	s_waitcnt vmcnt(47) lgkmcnt(1)
	v_mul_f64 v[22:23], v[4:5], v[34:35]
	s_waitcnt vmcnt(45)
	v_fma_f64 v[26:27], v[10:11], v[111:112], -v[32:33]
	v_mul_f64 v[20:21], v[2:3], v[34:35]
	s_waitcnt vmcnt(41) lgkmcnt(0)
	v_mul_f64 v[32:33], v[8:9], v[113:114]
	v_add_f64 v[18:19], v[18:19], v[24:25]
	v_fma_f64 v[24:25], v[12:13], v[111:112], v[145:146]
	v_add_f64 v[14:15], v[14:15], v[16:17]
	ds_read_b128 v[10:13], v1 offset:976
	s_waitcnt vmcnt(40)
	v_fma_f64 v[22:23], v[2:3], v[36:37], -v[22:23]
	v_mul_f64 v[16:17], v[6:7], v[113:114]
	v_fma_f64 v[20:21], v[4:5], v[36:37], v[20:21]
	ds_read_b128 v[2:5], v1 offset:992
	s_waitcnt vmcnt(37)
	v_fma_f64 v[32:33], v[6:7], v[119:120], -v[32:33]
	v_add_f64 v[18:19], v[18:19], v[26:27]
	s_waitcnt lgkmcnt(1)
	v_mul_f64 v[26:27], v[12:13], v[115:116]
	v_add_f64 v[14:15], v[14:15], v[24:25]
	v_mul_f64 v[24:25], v[10:11], v[115:116]
	v_fma_f64 v[16:17], v[8:9], v[119:120], v[16:17]
	ds_read_b128 v[6:9], v1 offset:1008
	v_add_f64 v[18:19], v[18:19], v[22:23]
	s_waitcnt vmcnt(33) lgkmcnt(1)
	v_mul_f64 v[22:23], v[4:5], v[121:122]
	v_add_f64 v[14:15], v[14:15], v[20:21]
	s_waitcnt vmcnt(32)
	v_fma_f64 v[26:27], v[10:11], v[117:118], -v[26:27]
	v_mul_f64 v[20:21], v[2:3], v[121:122]
	v_fma_f64 v[24:25], v[12:13], v[117:118], v[24:25]
	ds_read_b128 v[10:13], v1 offset:1024
	v_add_f64 v[18:19], v[18:19], v[32:33]
	s_waitcnt vmcnt(31) lgkmcnt(1)
	v_mul_f64 v[32:33], v[8:9], v[123:124]
	v_add_f64 v[14:15], v[14:15], v[16:17]
	s_waitcnt vmcnt(29)
	v_fma_f64 v[22:23], v[2:3], v[127:128], -v[22:23]
	;; [unrolled: 9-line block ×7, first 2 shown]
	v_mul_f64 v[20:21], v[2:3], v[149:150]
	v_fma_f64 v[12:13], v[12:13], v[141:142], v[24:25]
	v_add_f64 v[18:19], v[18:19], v[32:33]
	v_add_f64 v[14:15], v[14:15], v[16:17]
	s_waitcnt vmcnt(7) lgkmcnt(0)
	v_mul_f64 v[24:25], v[8:9], v[151:152]
	v_mul_f64 v[16:17], v[6:7], v[151:152]
	s_waitcnt vmcnt(5)
	v_fma_f64 v[2:3], v[2:3], v[147:148], -v[22:23]
	v_fma_f64 v[4:5], v[4:5], v[147:148], v[20:21]
	v_add_f64 v[10:11], v[18:19], v[10:11]
	v_add_f64 v[12:13], v[14:15], v[12:13]
	s_waitcnt vmcnt(4)
	v_fma_f64 v[6:7], v[6:7], v[153:154], -v[24:25]
	v_fma_f64 v[8:9], v[8:9], v[153:154], v[16:17]
	v_add_f64 v[2:3], v[10:11], v[2:3]
	v_add_f64 v[4:5], v[12:13], v[4:5]
	;; [unrolled: 1-line block ×4, first 2 shown]
	s_waitcnt vmcnt(2)
	v_add_f64 v[2:3], v[28:29], -v[2:3]
	s_waitcnt vmcnt(0)
	v_add_f64 v[4:5], v[30:31], -v[4:5]
	buffer_store_dword v3, off, s[0:3], 0 offset:292
	buffer_store_dword v2, off, s[0:3], 0 offset:288
	buffer_store_dword v5, off, s[0:3], 0 offset:300
	buffer_store_dword v4, off, s[0:3], 0 offset:296
	v_cmpx_lt_u32_e32 16, v0
	s_cbranch_execz .LBB34_191
; %bb.190:
	v_mov_b32_e32 v5, s30
	s_clause 0x3
	buffer_load_dword v2, v5, s[0:3], 0 offen
	buffer_load_dword v3, v5, s[0:3], 0 offen offset:4
	buffer_load_dword v4, v5, s[0:3], 0 offen offset:8
	;; [unrolled: 1-line block ×3, first 2 shown]
	buffer_store_dword v1, off, s[0:3], 0 offset:272
	buffer_store_dword v1, off, s[0:3], 0 offset:276
	;; [unrolled: 1-line block ×4, first 2 shown]
	s_waitcnt vmcnt(0)
	ds_write_b128 v39, v[2:5]
.LBB34_191:
	s_or_b32 exec_lo, exec_lo, s4
	s_waitcnt lgkmcnt(0)
	s_waitcnt_vscnt null, 0x0
	s_barrier
	buffer_gl0_inv
	s_clause 0x35
	buffer_load_dword v10, off, s[0:3], 0 offset:296
	buffer_load_dword v11, off, s[0:3], 0 offset:300
	;; [unrolled: 1-line block ×54, first 2 shown]
	ds_read_b128 v[2:5], v1 offset:832
	s_clause 0x3
	buffer_load_dword v139, off, s[0:3], 0 offset:520
	buffer_load_dword v140, off, s[0:3], 0 offset:524
	;; [unrolled: 1-line block ×4, first 2 shown]
	ds_read_b128 v[6:9], v1 offset:848
	s_clause 0x3
	buffer_load_dword v148, off, s[0:3], 0 offset:540
	buffer_load_dword v147, off, s[0:3], 0 offset:536
	;; [unrolled: 1-line block ×4, first 2 shown]
	s_mov_b32 s4, exec_lo
	s_waitcnt vmcnt(60) lgkmcnt(1)
	v_mul_f64 v[143:144], v[4:5], v[10:11]
	v_mul_f64 v[145:146], v[2:3], v[10:11]
	s_waitcnt vmcnt(58) lgkmcnt(0)
	v_mul_f64 v[151:152], v[8:9], v[14:15]
	ds_read_b128 v[10:13], v1 offset:864
	v_mul_f64 v[14:15], v[6:7], v[14:15]
	s_waitcnt vmcnt(56)
	v_fma_f64 v[143:144], v[2:3], v[16:17], -v[143:144]
	v_fma_f64 v[16:17], v[4:5], v[16:17], v[145:146]
	s_clause 0x3
	buffer_load_dword v145, off, s[0:3], 0 offset:552
	buffer_load_dword v146, off, s[0:3], 0 offset:556
	;; [unrolled: 1-line block ×4, first 2 shown]
	s_waitcnt vmcnt(58) lgkmcnt(0)
	v_mul_f64 v[155:156], v[10:11], v[18:19]
	v_mul_f64 v[18:19], v[12:13], v[18:19]
	s_waitcnt vmcnt(56)
	v_fma_f64 v[151:152], v[6:7], v[20:21], -v[151:152]
	ds_read_b128 v[2:5], v1 offset:880
	v_fma_f64 v[14:15], v[8:9], v[20:21], v[14:15]
	s_clause 0x3
	buffer_load_dword v21, off, s[0:3], 0 offset:572
	buffer_load_dword v20, off, s[0:3], 0 offset:568
	;; [unrolled: 1-line block ×4, first 2 shown]
	ds_read_b128 v[6:9], v1 offset:896
	v_add_f64 v[143:144], v[143:144], 0
	v_add_f64 v[16:17], v[16:17], 0
	s_waitcnt vmcnt(58) lgkmcnt(1)
	v_mul_f64 v[159:160], v[2:3], v[22:23]
	v_mul_f64 v[22:23], v[4:5], v[22:23]
	s_waitcnt vmcnt(56)
	v_fma_f64 v[18:19], v[10:11], v[24:25], -v[18:19]
	v_fma_f64 v[24:25], v[12:13], v[24:25], v[155:156]
	v_add_f64 v[143:144], v[143:144], v[151:152]
	v_add_f64 v[14:15], v[16:17], v[14:15]
	s_clause 0x1
	buffer_load_dword v17, off, s[0:3], 0 offset:564
	buffer_load_dword v16, off, s[0:3], 0 offset:560
	s_waitcnt vmcnt(56) lgkmcnt(0)
	v_mul_f64 v[151:152], v[6:7], v[26:27]
	v_mul_f64 v[26:27], v[8:9], v[26:27]
	s_waitcnt vmcnt(54)
	v_fma_f64 v[22:23], v[2:3], v[28:29], -v[22:23]
	ds_read_b128 v[10:13], v1 offset:912
	v_fma_f64 v[28:29], v[4:5], v[28:29], v[159:160]
	ds_read_b128 v[2:5], v1 offset:928
	v_add_f64 v[18:19], v[143:144], v[18:19]
	v_add_f64 v[14:15], v[14:15], v[24:25]
	s_waitcnt vmcnt(52) lgkmcnt(1)
	v_mul_f64 v[24:25], v[10:11], v[30:31]
	v_mul_f64 v[30:31], v[12:13], v[30:31]
	s_waitcnt vmcnt(50)
	v_fma_f64 v[26:27], v[6:7], v[32:33], -v[26:27]
	s_waitcnt vmcnt(48) lgkmcnt(0)
	v_mul_f64 v[143:144], v[2:3], v[34:35]
	v_mul_f64 v[34:35], v[4:5], v[34:35]
	v_add_f64 v[18:19], v[18:19], v[22:23]
	v_fma_f64 v[22:23], v[8:9], v[32:33], v[151:152]
	v_add_f64 v[14:15], v[14:15], v[28:29]
	s_clause 0x3
	buffer_load_dword v28, off, s[0:3], 0 offset:272
	buffer_load_dword v29, off, s[0:3], 0 offset:276
	;; [unrolled: 1-line block ×4, first 2 shown]
	ds_read_b128 v[6:9], v1 offset:944
	s_waitcnt vmcnt(50)
	v_fma_f64 v[30:31], v[10:11], v[36:37], -v[30:31]
	v_fma_f64 v[24:25], v[12:13], v[36:37], v[24:25]
	ds_read_b128 v[10:13], v1 offset:960
	s_waitcnt vmcnt(46)
	v_fma_f64 v[34:35], v[2:3], v[113:114], -v[34:35]
	v_add_f64 v[18:19], v[18:19], v[26:27]
	v_add_f64 v[14:15], v[14:15], v[22:23]
	s_waitcnt lgkmcnt(1)
	v_mul_f64 v[26:27], v[8:9], v[111:112]
	v_mul_f64 v[22:23], v[6:7], v[111:112]
	s_waitcnt vmcnt(44) lgkmcnt(0)
	v_mul_f64 v[36:37], v[12:13], v[115:116]
	v_add_f64 v[18:19], v[18:19], v[30:31]
	v_fma_f64 v[30:31], v[4:5], v[113:114], v[143:144]
	v_add_f64 v[14:15], v[14:15], v[24:25]
	s_waitcnt vmcnt(42)
	v_fma_f64 v[26:27], v[6:7], v[117:118], -v[26:27]
	ds_read_b128 v[2:5], v1 offset:976
	v_mul_f64 v[24:25], v[10:11], v[115:116]
	v_fma_f64 v[22:23], v[8:9], v[117:118], v[22:23]
	ds_read_b128 v[6:9], v1 offset:992
	s_waitcnt vmcnt(38)
	v_fma_f64 v[36:37], v[10:11], v[121:122], -v[36:37]
	v_add_f64 v[18:19], v[18:19], v[34:35]
	v_add_f64 v[14:15], v[14:15], v[30:31]
	s_waitcnt lgkmcnt(1)
	v_mul_f64 v[34:35], v[4:5], v[119:120]
	v_mul_f64 v[30:31], v[2:3], v[119:120]
	v_fma_f64 v[24:25], v[12:13], v[121:122], v[24:25]
	ds_read_b128 v[10:13], v1 offset:1008
	v_add_f64 v[18:19], v[18:19], v[26:27]
	s_waitcnt vmcnt(36) lgkmcnt(1)
	v_mul_f64 v[26:27], v[8:9], v[123:124]
	v_add_f64 v[14:15], v[14:15], v[22:23]
	s_waitcnt vmcnt(34)
	v_fma_f64 v[34:35], v[2:3], v[125:126], -v[34:35]
	v_mul_f64 v[22:23], v[6:7], v[123:124]
	v_fma_f64 v[30:31], v[4:5], v[125:126], v[30:31]
	ds_read_b128 v[2:5], v1 offset:1024
	v_add_f64 v[18:19], v[18:19], v[36:37]
	s_waitcnt vmcnt(32) lgkmcnt(1)
	v_mul_f64 v[36:37], v[12:13], v[127:128]
	v_add_f64 v[14:15], v[14:15], v[24:25]
	s_waitcnt vmcnt(30)
	v_fma_f64 v[26:27], v[6:7], v[129:130], -v[26:27]
	;; [unrolled: 9-line block ×6, first 2 shown]
	v_mul_f64 v[30:31], v[2:3], v[147:148]
	v_fma_f64 v[24:25], v[12:13], v[149:150], v[24:25]
	ds_read_b128 v[10:13], v1 offset:1104
	v_add_f64 v[18:19], v[18:19], v[26:27]
	v_add_f64 v[14:15], v[14:15], v[22:23]
	s_waitcnt vmcnt(12) lgkmcnt(1)
	v_mul_f64 v[26:27], v[8:9], v[145:146]
	v_mul_f64 v[22:23], v[6:7], v[145:146]
	s_waitcnt vmcnt(10)
	v_fma_f64 v[1:2], v[2:3], v[153:154], -v[34:35]
	v_fma_f64 v[3:4], v[4:5], v[153:154], v[30:31]
	v_add_f64 v[18:19], v[18:19], v[36:37]
	v_add_f64 v[14:15], v[14:15], v[24:25]
	s_waitcnt vmcnt(8) lgkmcnt(0)
	v_mul_f64 v[24:25], v[10:11], v[20:21]
	v_mul_f64 v[20:21], v[12:13], v[20:21]
	s_waitcnt vmcnt(6)
	v_fma_f64 v[5:6], v[6:7], v[157:158], -v[26:27]
	v_fma_f64 v[7:8], v[8:9], v[157:158], v[22:23]
	v_add_f64 v[1:2], v[18:19], v[1:2]
	v_add_f64 v[3:4], v[14:15], v[3:4]
	s_waitcnt vmcnt(4)
	v_fma_f64 v[9:10], v[10:11], v[16:17], -v[20:21]
	v_add_f64 v[1:2], v[1:2], v[5:6]
	v_fma_f64 v[5:6], v[12:13], v[16:17], v[24:25]
	v_add_f64 v[3:4], v[3:4], v[7:8]
	v_add_f64 v[1:2], v[1:2], v[9:10]
	;; [unrolled: 1-line block ×3, first 2 shown]
	s_waitcnt vmcnt(2)
	v_add_f64 v[1:2], v[28:29], -v[1:2]
	s_waitcnt vmcnt(0)
	v_add_f64 v[3:4], v[32:33], -v[3:4]
	buffer_store_dword v2, off, s[0:3], 0 offset:276
	buffer_store_dword v1, off, s[0:3], 0 offset:272
	;; [unrolled: 1-line block ×4, first 2 shown]
	v_cmpx_lt_u32_e32 15, v0
	s_cbranch_execz .LBB34_193
; %bb.192:
	v_mov_b32_e32 v4, s31
	v_mov_b32_e32 v5, 0
	s_clause 0x3
	buffer_load_dword v1, v4, s[0:3], 0 offen
	buffer_load_dword v2, v4, s[0:3], 0 offen offset:4
	buffer_load_dword v3, v4, s[0:3], 0 offen offset:8
	;; [unrolled: 1-line block ×3, first 2 shown]
	buffer_store_dword v5, off, s[0:3], 0 offset:256
	buffer_store_dword v5, off, s[0:3], 0 offset:260
	;; [unrolled: 1-line block ×4, first 2 shown]
	s_waitcnt vmcnt(0)
	ds_write_b128 v39, v[1:4]
.LBB34_193:
	s_or_b32 exec_lo, exec_lo, s4
	s_waitcnt lgkmcnt(0)
	s_waitcnt_vscnt null, 0x0
	s_barrier
	buffer_gl0_inv
	s_clause 0x37
	buffer_load_dword v10, off, s[0:3], 0 offset:280
	buffer_load_dword v11, off, s[0:3], 0 offset:284
	buffer_load_dword v14, off, s[0:3], 0 offset:296
	buffer_load_dword v15, off, s[0:3], 0 offset:300
	buffer_load_dword v16, off, s[0:3], 0 offset:272
	buffer_load_dword v17, off, s[0:3], 0 offset:276
	buffer_load_dword v18, off, s[0:3], 0 offset:312
	buffer_load_dword v19, off, s[0:3], 0 offset:316
	buffer_load_dword v20, off, s[0:3], 0 offset:288
	buffer_load_dword v21, off, s[0:3], 0 offset:292
	buffer_load_dword v23, off, s[0:3], 0 offset:332
	buffer_load_dword v24, off, s[0:3], 0 offset:344
	buffer_load_dword v26, off, s[0:3], 0 offset:336
	buffer_load_dword v22, off, s[0:3], 0 offset:328
	buffer_load_dword v28, off, s[0:3], 0 offset:304
	buffer_load_dword v29, off, s[0:3], 0 offset:308
	buffer_load_dword v25, off, s[0:3], 0 offset:348
	buffer_load_dword v31, off, s[0:3], 0 offset:324
	buffer_load_dword v30, off, s[0:3], 0 offset:320
	buffer_load_dword v33, off, s[0:3], 0 offset:364
	buffer_load_dword v34, off, s[0:3], 0 offset:376
	buffer_load_dword v36, off, s[0:3], 0 offset:368
	buffer_load_dword v32, off, s[0:3], 0 offset:360
	buffer_load_dword v27, off, s[0:3], 0 offset:340
	buffer_load_dword v35, off, s[0:3], 0 offset:380
	buffer_load_dword v112, off, s[0:3], 0 offset:356
	buffer_load_dword v111, off, s[0:3], 0 offset:352
	buffer_load_dword v114, off, s[0:3], 0 offset:396
	buffer_load_dword v115, off, s[0:3], 0 offset:408
	buffer_load_dword v117, off, s[0:3], 0 offset:400
	buffer_load_dword v113, off, s[0:3], 0 offset:392
	buffer_load_dword v37, off, s[0:3], 0 offset:372
	buffer_load_dword v116, off, s[0:3], 0 offset:412
	buffer_load_dword v120, off, s[0:3], 0 offset:388
	buffer_load_dword v119, off, s[0:3], 0 offset:384
	buffer_load_dword v122, off, s[0:3], 0 offset:428
	buffer_load_dword v123, off, s[0:3], 0 offset:440
	buffer_load_dword v125, off, s[0:3], 0 offset:432
	buffer_load_dword v121, off, s[0:3], 0 offset:424
	buffer_load_dword v118, off, s[0:3], 0 offset:404
	buffer_load_dword v124, off, s[0:3], 0 offset:444
	buffer_load_dword v128, off, s[0:3], 0 offset:420
	buffer_load_dword v127, off, s[0:3], 0 offset:416
	buffer_load_dword v130, off, s[0:3], 0 offset:460
	buffer_load_dword v131, off, s[0:3], 0 offset:472
	buffer_load_dword v133, off, s[0:3], 0 offset:464
	buffer_load_dword v129, off, s[0:3], 0 offset:456
	buffer_load_dword v126, off, s[0:3], 0 offset:436
	buffer_load_dword v132, off, s[0:3], 0 offset:476
	buffer_load_dword v136, off, s[0:3], 0 offset:452
	buffer_load_dword v135, off, s[0:3], 0 offset:448
	buffer_load_dword v138, off, s[0:3], 0 offset:492
	buffer_load_dword v139, off, s[0:3], 0 offset:504
	buffer_load_dword v141, off, s[0:3], 0 offset:496
	buffer_load_dword v137, off, s[0:3], 0 offset:488
	buffer_load_dword v134, off, s[0:3], 0 offset:468
	v_mov_b32_e32 v1, 0
	s_mov_b32 s4, exec_lo
	ds_read_b128 v[2:5], v1 offset:816
	s_clause 0x2
	buffer_load_dword v140, off, s[0:3], 0 offset:508
	buffer_load_dword v144, off, s[0:3], 0 offset:484
	;; [unrolled: 1-line block ×3, first 2 shown]
	ds_read_b128 v[6:9], v1 offset:832
	s_clause 0x4
	buffer_load_dword v150, off, s[0:3], 0 offset:524
	buffer_load_dword v151, off, s[0:3], 0 offset:536
	;; [unrolled: 1-line block ×5, first 2 shown]
	s_waitcnt vmcnt(62) lgkmcnt(1)
	v_mul_f64 v[145:146], v[4:5], v[10:11]
	v_mul_f64 v[147:148], v[2:3], v[10:11]
	s_waitcnt vmcnt(60) lgkmcnt(0)
	v_mul_f64 v[154:155], v[8:9], v[14:15]
	ds_read_b128 v[10:13], v1 offset:848
	v_mul_f64 v[14:15], v[6:7], v[14:15]
	s_waitcnt vmcnt(58)
	v_fma_f64 v[145:146], v[2:3], v[16:17], -v[145:146]
	v_fma_f64 v[16:17], v[4:5], v[16:17], v[147:148]
	s_clause 0x2
	buffer_load_dword v152, off, s[0:3], 0 offset:540
	buffer_load_dword v148, off, s[0:3], 0 offset:516
	;; [unrolled: 1-line block ×3, first 2 shown]
	s_waitcnt vmcnt(59) lgkmcnt(0)
	v_mul_f64 v[156:157], v[10:11], v[18:19]
	v_mul_f64 v[18:19], v[12:13], v[18:19]
	s_waitcnt vmcnt(57)
	v_fma_f64 v[158:159], v[6:7], v[20:21], -v[154:155]
	ds_read_b128 v[2:5], v1 offset:864
	v_fma_f64 v[14:15], v[8:9], v[20:21], v[14:15]
	s_clause 0x4
	buffer_load_dword v21, off, s[0:3], 0 offset:556
	buffer_load_dword v155, off, s[0:3], 0 offset:568
	;; [unrolled: 1-line block ×5, first 2 shown]
	ds_read_b128 v[6:9], v1 offset:880
	v_add_f64 v[145:146], v[145:146], 0
	v_add_f64 v[16:17], v[16:17], 0
	s_waitcnt vmcnt(58) lgkmcnt(1)
	v_mul_f64 v[161:162], v[2:3], v[22:23]
	v_mul_f64 v[22:23], v[4:5], v[22:23]
	s_waitcnt vmcnt(56)
	v_fma_f64 v[18:19], v[10:11], v[28:29], -v[18:19]
	v_fma_f64 v[28:29], v[12:13], v[28:29], v[156:157]
	v_add_f64 v[145:146], v[145:146], v[158:159]
	v_add_f64 v[14:15], v[16:17], v[14:15]
	s_clause 0x2
	buffer_load_dword v156, off, s[0:3], 0 offset:572
	buffer_load_dword v17, off, s[0:3], 0 offset:548
	;; [unrolled: 1-line block ×3, first 2 shown]
	s_waitcnt vmcnt(58) lgkmcnt(0)
	v_mul_f64 v[157:158], v[6:7], v[24:25]
	v_mul_f64 v[24:25], v[8:9], v[24:25]
	s_waitcnt vmcnt(56)
	v_fma_f64 v[22:23], v[2:3], v[30:31], -v[22:23]
	ds_read_b128 v[10:13], v1 offset:896
	v_fma_f64 v[30:31], v[4:5], v[30:31], v[161:162]
	buffer_load_dword v161, off, s[0:3], 0 offset:564
	ds_read_b128 v[2:5], v1 offset:912
	v_add_f64 v[18:19], v[145:146], v[18:19]
	v_add_f64 v[14:15], v[14:15], v[28:29]
	s_waitcnt vmcnt(53) lgkmcnt(1)
	v_mul_f64 v[28:29], v[10:11], v[32:33]
	v_mul_f64 v[32:33], v[12:13], v[32:33]
	s_waitcnt vmcnt(52)
	v_fma_f64 v[24:25], v[6:7], v[26:27], -v[24:25]
	v_add_f64 v[18:19], v[18:19], v[22:23]
	v_fma_f64 v[22:23], v[8:9], v[26:27], v[157:158]
	v_add_f64 v[14:15], v[14:15], v[30:31]
	s_waitcnt vmcnt(51) lgkmcnt(0)
	v_mul_f64 v[30:31], v[4:5], v[34:35]
	ds_read_b128 v[6:9], v1 offset:928
	s_waitcnt vmcnt(49)
	v_fma_f64 v[32:33], v[10:11], v[111:112], -v[32:33]
	v_mul_f64 v[26:27], v[2:3], v[34:35]
	v_add_f64 v[18:19], v[18:19], v[24:25]
	v_fma_f64 v[24:25], v[12:13], v[111:112], v[28:29]
	v_add_f64 v[14:15], v[14:15], v[22:23]
	s_clause 0x3
	buffer_load_dword v22, off, s[0:3], 0 offset:256
	buffer_load_dword v23, off, s[0:3], 0 offset:260
	;; [unrolled: 1-line block ×4, first 2 shown]
	s_waitcnt vmcnt(49) lgkmcnt(0)
	v_mul_f64 v[111:112], v[8:9], v[113:114]
	s_waitcnt vmcnt(48)
	v_fma_f64 v[30:31], v[2:3], v[36:37], -v[30:31]
	ds_read_b128 v[10:13], v1 offset:944
	v_mul_f64 v[34:35], v[6:7], v[113:114]
	v_fma_f64 v[26:27], v[4:5], v[36:37], v[26:27]
	ds_read_b128 v[2:5], v1 offset:960
	v_add_f64 v[18:19], v[18:19], v[32:33]
	v_add_f64 v[14:15], v[14:15], v[24:25]
	s_waitcnt vmcnt(47) lgkmcnt(1)
	v_mul_f64 v[32:33], v[12:13], v[115:116]
	s_waitcnt vmcnt(45)
	v_fma_f64 v[36:37], v[6:7], v[119:120], -v[111:112]
	v_mul_f64 v[24:25], v[10:11], v[115:116]
	v_add_f64 v[18:19], v[18:19], v[30:31]
	v_fma_f64 v[30:31], v[8:9], v[119:120], v[34:35]
	v_add_f64 v[14:15], v[14:15], v[26:27]
	s_waitcnt vmcnt(41) lgkmcnt(0)
	v_mul_f64 v[34:35], v[4:5], v[121:122]
	s_waitcnt vmcnt(40)
	v_fma_f64 v[32:33], v[10:11], v[117:118], -v[32:33]
	ds_read_b128 v[6:9], v1 offset:976
	v_mul_f64 v[26:27], v[2:3], v[121:122]
	v_fma_f64 v[24:25], v[12:13], v[117:118], v[24:25]
	ds_read_b128 v[10:13], v1 offset:992
	v_add_f64 v[18:19], v[18:19], v[36:37]
	v_add_f64 v[14:15], v[14:15], v[30:31]
	s_waitcnt vmcnt(39) lgkmcnt(1)
	v_mul_f64 v[36:37], v[8:9], v[123:124]
	s_waitcnt vmcnt(37)
	v_fma_f64 v[34:35], v[2:3], v[127:128], -v[34:35]
	v_mul_f64 v[30:31], v[6:7], v[123:124]
	v_fma_f64 v[26:27], v[4:5], v[127:128], v[26:27]
	ds_read_b128 v[2:5], v1 offset:1008
	v_add_f64 v[18:19], v[18:19], v[32:33]
	s_waitcnt vmcnt(33) lgkmcnt(1)
	v_mul_f64 v[32:33], v[12:13], v[129:130]
	v_add_f64 v[14:15], v[14:15], v[24:25]
	s_waitcnt vmcnt(32)
	v_fma_f64 v[36:37], v[6:7], v[125:126], -v[36:37]
	v_mul_f64 v[24:25], v[10:11], v[129:130]
	v_fma_f64 v[30:31], v[8:9], v[125:126], v[30:31]
	ds_read_b128 v[6:9], v1 offset:1024
	v_add_f64 v[18:19], v[18:19], v[34:35]
	s_waitcnt vmcnt(31) lgkmcnt(1)
	v_mul_f64 v[34:35], v[4:5], v[131:132]
	v_add_f64 v[14:15], v[14:15], v[26:27]
	s_waitcnt vmcnt(29)
	v_fma_f64 v[32:33], v[10:11], v[135:136], -v[32:33]
	v_mul_f64 v[26:27], v[2:3], v[131:132]
	v_fma_f64 v[24:25], v[12:13], v[135:136], v[24:25]
	ds_read_b128 v[10:13], v1 offset:1040
	v_add_f64 v[18:19], v[18:19], v[36:37]
	s_waitcnt vmcnt(25) lgkmcnt(1)
	v_mul_f64 v[36:37], v[8:9], v[137:138]
	v_add_f64 v[14:15], v[14:15], v[30:31]
	s_waitcnt vmcnt(24)
	v_fma_f64 v[34:35], v[2:3], v[133:134], -v[34:35]
	v_mul_f64 v[30:31], v[6:7], v[137:138]
	v_fma_f64 v[26:27], v[4:5], v[133:134], v[26:27]
	ds_read_b128 v[2:5], v1 offset:1056
	v_add_f64 v[18:19], v[18:19], v[32:33]
	s_waitcnt vmcnt(23) lgkmcnt(1)
	v_mul_f64 v[32:33], v[12:13], v[139:140]
	v_add_f64 v[14:15], v[14:15], v[24:25]
	s_waitcnt vmcnt(21)
	v_fma_f64 v[36:37], v[6:7], v[143:144], -v[36:37]
	v_mul_f64 v[24:25], v[10:11], v[139:140]
	v_fma_f64 v[30:31], v[8:9], v[143:144], v[30:31]
	ds_read_b128 v[6:9], v1 offset:1072
	v_add_f64 v[18:19], v[18:19], v[34:35]
	s_waitcnt vmcnt(17) lgkmcnt(1)
	v_mul_f64 v[34:35], v[4:5], v[149:150]
	v_add_f64 v[14:15], v[14:15], v[26:27]
	s_waitcnt vmcnt(16)
	v_fma_f64 v[32:33], v[10:11], v[141:142], -v[32:33]
	v_mul_f64 v[26:27], v[2:3], v[149:150]
	v_fma_f64 v[24:25], v[12:13], v[141:142], v[24:25]
	ds_read_b128 v[10:13], v1 offset:1088
	v_add_f64 v[18:19], v[18:19], v[36:37]
	v_add_f64 v[14:15], v[14:15], v[30:31]
	s_waitcnt vmcnt(15) lgkmcnt(1)
	v_mul_f64 v[36:37], v[8:9], v[151:152]
	v_mul_f64 v[30:31], v[6:7], v[151:152]
	s_waitcnt vmcnt(13)
	v_fma_f64 v[34:35], v[2:3], v[147:148], -v[34:35]
	v_fma_f64 v[26:27], v[4:5], v[147:148], v[26:27]
	ds_read_b128 v[2:5], v1 offset:1104
	v_add_f64 v[18:19], v[18:19], v[32:33]
	v_add_f64 v[14:15], v[14:15], v[24:25]
	s_waitcnt vmcnt(9) lgkmcnt(1)
	v_mul_f64 v[24:25], v[10:11], v[20:21]
	v_mul_f64 v[20:21], v[12:13], v[20:21]
	s_waitcnt vmcnt(8)
	v_fma_f64 v[6:7], v[6:7], v[153:154], -v[36:37]
	v_fma_f64 v[8:9], v[8:9], v[153:154], v[30:31]
	v_add_f64 v[18:19], v[18:19], v[34:35]
	v_add_f64 v[14:15], v[14:15], v[26:27]
	s_waitcnt vmcnt(7) lgkmcnt(0)
	v_mul_f64 v[30:31], v[4:5], v[155:156]
	v_mul_f64 v[26:27], v[2:3], v[155:156]
	s_waitcnt vmcnt(5)
	v_fma_f64 v[10:11], v[10:11], v[16:17], -v[20:21]
	v_fma_f64 v[12:13], v[12:13], v[16:17], v[24:25]
	v_add_f64 v[6:7], v[18:19], v[6:7]
	v_add_f64 v[8:9], v[14:15], v[8:9]
	s_waitcnt vmcnt(4)
	v_fma_f64 v[2:3], v[2:3], v[160:161], -v[30:31]
	v_fma_f64 v[4:5], v[4:5], v[160:161], v[26:27]
	v_add_f64 v[6:7], v[6:7], v[10:11]
	v_add_f64 v[8:9], v[8:9], v[12:13]
	;; [unrolled: 1-line block ×4, first 2 shown]
	s_waitcnt vmcnt(2)
	v_add_f64 v[2:3], v[22:23], -v[2:3]
	s_waitcnt vmcnt(0)
	v_add_f64 v[4:5], v[28:29], -v[4:5]
	buffer_store_dword v3, off, s[0:3], 0 offset:260
	buffer_store_dword v2, off, s[0:3], 0 offset:256
	;; [unrolled: 1-line block ×4, first 2 shown]
	v_cmpx_lt_u32_e32 14, v0
	s_cbranch_execz .LBB34_195
; %bb.194:
	v_mov_b32_e32 v5, s33
	s_clause 0x3
	buffer_load_dword v2, v5, s[0:3], 0 offen
	buffer_load_dword v3, v5, s[0:3], 0 offen offset:4
	buffer_load_dword v4, v5, s[0:3], 0 offen offset:8
	;; [unrolled: 1-line block ×3, first 2 shown]
	buffer_store_dword v1, off, s[0:3], 0 offset:240
	buffer_store_dword v1, off, s[0:3], 0 offset:244
	;; [unrolled: 1-line block ×4, first 2 shown]
	s_waitcnt vmcnt(0)
	ds_write_b128 v39, v[2:5]
.LBB34_195:
	s_or_b32 exec_lo, exec_lo, s4
	s_waitcnt lgkmcnt(0)
	s_waitcnt_vscnt null, 0x0
	s_barrier
	buffer_gl0_inv
	s_clause 0x37
	buffer_load_dword v10, off, s[0:3], 0 offset:264
	buffer_load_dword v11, off, s[0:3], 0 offset:268
	;; [unrolled: 1-line block ×56, first 2 shown]
	ds_read_b128 v[2:5], v1 offset:800
	s_clause 0x2
	buffer_load_dword v140, off, s[0:3], 0 offset:492
	buffer_load_dword v144, off, s[0:3], 0 offset:468
	buffer_load_dword v143, off, s[0:3], 0 offset:464
	ds_read_b128 v[6:9], v1 offset:816
	s_clause 0x4
	buffer_load_dword v150, off, s[0:3], 0 offset:508
	buffer_load_dword v151, off, s[0:3], 0 offset:520
	;; [unrolled: 1-line block ×5, first 2 shown]
	s_mov_b32 s4, exec_lo
	s_waitcnt vmcnt(62) lgkmcnt(1)
	v_mul_f64 v[145:146], v[4:5], v[10:11]
	v_mul_f64 v[147:148], v[2:3], v[10:11]
	s_waitcnt vmcnt(60) lgkmcnt(0)
	v_mul_f64 v[154:155], v[8:9], v[14:15]
	ds_read_b128 v[10:13], v1 offset:832
	v_mul_f64 v[14:15], v[6:7], v[14:15]
	s_waitcnt vmcnt(58)
	v_fma_f64 v[145:146], v[2:3], v[16:17], -v[145:146]
	v_fma_f64 v[16:17], v[4:5], v[16:17], v[147:148]
	s_clause 0x2
	buffer_load_dword v152, off, s[0:3], 0 offset:524
	buffer_load_dword v148, off, s[0:3], 0 offset:500
	;; [unrolled: 1-line block ×3, first 2 shown]
	s_waitcnt vmcnt(59) lgkmcnt(0)
	v_mul_f64 v[156:157], v[10:11], v[18:19]
	v_mul_f64 v[18:19], v[12:13], v[18:19]
	s_waitcnt vmcnt(57)
	v_fma_f64 v[158:159], v[6:7], v[20:21], -v[154:155]
	ds_read_b128 v[2:5], v1 offset:848
	v_fma_f64 v[14:15], v[8:9], v[20:21], v[14:15]
	s_clause 0x4
	buffer_load_dword v21, off, s[0:3], 0 offset:540
	buffer_load_dword v155, off, s[0:3], 0 offset:552
	;; [unrolled: 1-line block ×5, first 2 shown]
	ds_read_b128 v[6:9], v1 offset:864
	v_add_f64 v[145:146], v[145:146], 0
	v_add_f64 v[16:17], v[16:17], 0
	s_waitcnt vmcnt(58) lgkmcnt(1)
	v_mul_f64 v[161:162], v[2:3], v[22:23]
	v_mul_f64 v[22:23], v[4:5], v[22:23]
	s_waitcnt vmcnt(56)
	v_fma_f64 v[18:19], v[10:11], v[28:29], -v[18:19]
	v_fma_f64 v[28:29], v[12:13], v[28:29], v[156:157]
	v_add_f64 v[145:146], v[145:146], v[158:159]
	v_add_f64 v[14:15], v[16:17], v[14:15]
	s_clause 0x2
	buffer_load_dword v156, off, s[0:3], 0 offset:556
	buffer_load_dword v17, off, s[0:3], 0 offset:532
	;; [unrolled: 1-line block ×3, first 2 shown]
	s_waitcnt vmcnt(58) lgkmcnt(0)
	v_mul_f64 v[157:158], v[6:7], v[24:25]
	v_mul_f64 v[24:25], v[8:9], v[24:25]
	s_waitcnt vmcnt(56)
	v_fma_f64 v[22:23], v[2:3], v[30:31], -v[22:23]
	ds_read_b128 v[10:13], v1 offset:880
	v_fma_f64 v[30:31], v[4:5], v[30:31], v[161:162]
	v_add_f64 v[18:19], v[145:146], v[18:19]
	v_add_f64 v[14:15], v[14:15], v[28:29]
	s_clause 0x2
	buffer_load_dword v29, off, s[0:3], 0 offset:572
	buffer_load_dword v28, off, s[0:3], 0 offset:568
	;; [unrolled: 1-line block ×3, first 2 shown]
	ds_read_b128 v[2:5], v1 offset:896
	s_waitcnt vmcnt(55) lgkmcnt(1)
	v_mul_f64 v[145:146], v[10:11], v[32:33]
	v_mul_f64 v[32:33], v[12:13], v[32:33]
	s_waitcnt vmcnt(54)
	v_fma_f64 v[24:25], v[6:7], v[26:27], -v[24:25]
	v_add_f64 v[18:19], v[18:19], v[22:23]
	v_fma_f64 v[22:23], v[8:9], v[26:27], v[157:158]
	v_add_f64 v[14:15], v[14:15], v[30:31]
	s_clause 0x1
	buffer_load_dword v27, off, s[0:3], 0 offset:564
	buffer_load_dword v26, off, s[0:3], 0 offset:560
	s_waitcnt vmcnt(55) lgkmcnt(0)
	v_mul_f64 v[30:31], v[2:3], v[34:35]
	v_mul_f64 v[34:35], v[4:5], v[34:35]
	s_waitcnt vmcnt(53)
	v_fma_f64 v[32:33], v[10:11], v[111:112], -v[32:33]
	ds_read_b128 v[6:9], v1 offset:912
	v_add_f64 v[18:19], v[18:19], v[24:25]
	v_fma_f64 v[24:25], v[12:13], v[111:112], v[145:146]
	v_add_f64 v[14:15], v[14:15], v[22:23]
	ds_read_b128 v[10:13], v1 offset:928
	s_waitcnt vmcnt(48)
	v_fma_f64 v[30:31], v[4:5], v[36:37], v[30:31]
	s_waitcnt lgkmcnt(1)
	v_mul_f64 v[111:112], v[8:9], v[113:114]
	v_fma_f64 v[34:35], v[2:3], v[36:37], -v[34:35]
	v_mul_f64 v[22:23], v[6:7], v[113:114]
	v_add_f64 v[18:19], v[18:19], v[32:33]
	s_waitcnt vmcnt(47) lgkmcnt(0)
	v_mul_f64 v[113:114], v[12:13], v[115:116]
	v_add_f64 v[14:15], v[14:15], v[24:25]
	s_clause 0x3
	buffer_load_dword v24, off, s[0:3], 0 offset:240
	buffer_load_dword v25, off, s[0:3], 0 offset:244
	buffer_load_dword v32, off, s[0:3], 0 offset:248
	buffer_load_dword v33, off, s[0:3], 0 offset:252
	ds_read_b128 v[2:5], v1 offset:944
	s_waitcnt vmcnt(49)
	v_fma_f64 v[111:112], v[6:7], v[119:120], -v[111:112]
	v_mul_f64 v[36:37], v[10:11], v[115:116]
	v_fma_f64 v[22:23], v[8:9], v[119:120], v[22:23]
	ds_read_b128 v[6:9], v1 offset:960
	v_add_f64 v[18:19], v[18:19], v[34:35]
	s_waitcnt vmcnt(44)
	v_fma_f64 v[113:114], v[10:11], v[117:118], -v[113:114]
	v_add_f64 v[14:15], v[14:15], v[30:31]
	s_waitcnt lgkmcnt(1)
	v_mul_f64 v[34:35], v[4:5], v[121:122]
	v_mul_f64 v[30:31], v[2:3], v[121:122]
	v_fma_f64 v[36:37], v[12:13], v[117:118], v[36:37]
	ds_read_b128 v[10:13], v1 offset:976
	v_add_f64 v[18:19], v[18:19], v[111:112]
	s_waitcnt vmcnt(43) lgkmcnt(1)
	v_mul_f64 v[111:112], v[8:9], v[123:124]
	v_add_f64 v[14:15], v[14:15], v[22:23]
	s_waitcnt vmcnt(41)
	v_fma_f64 v[34:35], v[2:3], v[127:128], -v[34:35]
	v_mul_f64 v[22:23], v[6:7], v[123:124]
	v_fma_f64 v[30:31], v[4:5], v[127:128], v[30:31]
	ds_read_b128 v[2:5], v1 offset:992
	v_add_f64 v[18:19], v[18:19], v[113:114]
	s_waitcnt vmcnt(37) lgkmcnt(1)
	v_mul_f64 v[113:114], v[12:13], v[129:130]
	v_add_f64 v[14:15], v[14:15], v[36:37]
	s_waitcnt vmcnt(36)
	v_fma_f64 v[111:112], v[6:7], v[125:126], -v[111:112]
	;; [unrolled: 9-line block ×6, first 2 shown]
	v_mul_f64 v[30:31], v[2:3], v[149:150]
	v_fma_f64 v[36:37], v[12:13], v[141:142], v[36:37]
	ds_read_b128 v[10:13], v1 offset:1072
	v_add_f64 v[18:19], v[18:19], v[111:112]
	v_add_f64 v[14:15], v[14:15], v[22:23]
	s_waitcnt vmcnt(19) lgkmcnt(1)
	v_mul_f64 v[111:112], v[8:9], v[151:152]
	v_mul_f64 v[22:23], v[6:7], v[151:152]
	s_waitcnt vmcnt(17)
	v_fma_f64 v[34:35], v[2:3], v[147:148], -v[34:35]
	v_fma_f64 v[30:31], v[4:5], v[147:148], v[30:31]
	ds_read_b128 v[2:5], v1 offset:1088
	v_add_f64 v[18:19], v[18:19], v[113:114]
	v_add_f64 v[14:15], v[14:15], v[36:37]
	s_waitcnt vmcnt(13) lgkmcnt(1)
	v_mul_f64 v[36:37], v[10:11], v[20:21]
	v_mul_f64 v[20:21], v[12:13], v[20:21]
	s_waitcnt vmcnt(12)
	v_fma_f64 v[111:112], v[6:7], v[153:154], -v[111:112]
	;; [unrolled: 9-line block ×3, first 2 shown]
	v_fma_f64 v[12:13], v[12:13], v[16:17], v[36:37]
	v_add_f64 v[18:19], v[18:19], v[111:112]
	v_add_f64 v[14:15], v[14:15], v[22:23]
	s_waitcnt vmcnt(7) lgkmcnt(0)
	v_mul_f64 v[20:21], v[8:9], v[28:29]
	s_waitcnt vmcnt(6)
	v_fma_f64 v[1:2], v[2:3], v[160:161], -v[34:35]
	v_mul_f64 v[16:17], v[6:7], v[28:29]
	v_fma_f64 v[3:4], v[4:5], v[160:161], v[30:31]
	v_add_f64 v[10:11], v[18:19], v[10:11]
	v_add_f64 v[12:13], v[14:15], v[12:13]
	s_waitcnt vmcnt(4)
	v_fma_f64 v[5:6], v[6:7], v[26:27], -v[20:21]
	v_fma_f64 v[7:8], v[8:9], v[26:27], v[16:17]
	v_add_f64 v[1:2], v[10:11], v[1:2]
	v_add_f64 v[3:4], v[12:13], v[3:4]
	;; [unrolled: 1-line block ×4, first 2 shown]
	s_waitcnt vmcnt(2)
	v_add_f64 v[1:2], v[24:25], -v[1:2]
	s_waitcnt vmcnt(0)
	v_add_f64 v[3:4], v[32:33], -v[3:4]
	buffer_store_dword v2, off, s[0:3], 0 offset:244
	buffer_store_dword v1, off, s[0:3], 0 offset:240
	;; [unrolled: 1-line block ×4, first 2 shown]
	v_cmpx_lt_u32_e32 13, v0
	s_cbranch_execz .LBB34_197
; %bb.196:
	v_mov_b32_e32 v4, s34
	v_mov_b32_e32 v5, 0
	s_clause 0x3
	buffer_load_dword v1, v4, s[0:3], 0 offen
	buffer_load_dword v2, v4, s[0:3], 0 offen offset:4
	buffer_load_dword v3, v4, s[0:3], 0 offen offset:8
	;; [unrolled: 1-line block ×3, first 2 shown]
	buffer_store_dword v5, off, s[0:3], 0 offset:224
	buffer_store_dword v5, off, s[0:3], 0 offset:228
	;; [unrolled: 1-line block ×4, first 2 shown]
	s_waitcnt vmcnt(0)
	ds_write_b128 v39, v[1:4]
.LBB34_197:
	s_or_b32 exec_lo, exec_lo, s4
	s_waitcnt lgkmcnt(0)
	s_waitcnt_vscnt null, 0x0
	s_barrier
	buffer_gl0_inv
	s_clause 0x37
	buffer_load_dword v10, off, s[0:3], 0 offset:248
	buffer_load_dword v11, off, s[0:3], 0 offset:252
	buffer_load_dword v14, off, s[0:3], 0 offset:264
	buffer_load_dword v15, off, s[0:3], 0 offset:268
	buffer_load_dword v16, off, s[0:3], 0 offset:240
	buffer_load_dword v17, off, s[0:3], 0 offset:244
	buffer_load_dword v18, off, s[0:3], 0 offset:280
	buffer_load_dword v19, off, s[0:3], 0 offset:284
	buffer_load_dword v20, off, s[0:3], 0 offset:256
	buffer_load_dword v21, off, s[0:3], 0 offset:260
	buffer_load_dword v23, off, s[0:3], 0 offset:300
	buffer_load_dword v24, off, s[0:3], 0 offset:312
	buffer_load_dword v26, off, s[0:3], 0 offset:304
	buffer_load_dword v22, off, s[0:3], 0 offset:296
	buffer_load_dword v28, off, s[0:3], 0 offset:272
	buffer_load_dword v29, off, s[0:3], 0 offset:276
	buffer_load_dword v25, off, s[0:3], 0 offset:316
	buffer_load_dword v31, off, s[0:3], 0 offset:292
	buffer_load_dword v30, off, s[0:3], 0 offset:288
	buffer_load_dword v33, off, s[0:3], 0 offset:332
	buffer_load_dword v34, off, s[0:3], 0 offset:344
	buffer_load_dword v36, off, s[0:3], 0 offset:336
	buffer_load_dword v32, off, s[0:3], 0 offset:328
	buffer_load_dword v27, off, s[0:3], 0 offset:308
	buffer_load_dword v35, off, s[0:3], 0 offset:348
	buffer_load_dword v112, off, s[0:3], 0 offset:324
	buffer_load_dword v111, off, s[0:3], 0 offset:320
	buffer_load_dword v114, off, s[0:3], 0 offset:364
	buffer_load_dword v115, off, s[0:3], 0 offset:376
	buffer_load_dword v117, off, s[0:3], 0 offset:368
	buffer_load_dword v113, off, s[0:3], 0 offset:360
	buffer_load_dword v37, off, s[0:3], 0 offset:340
	buffer_load_dword v116, off, s[0:3], 0 offset:380
	buffer_load_dword v120, off, s[0:3], 0 offset:356
	buffer_load_dword v119, off, s[0:3], 0 offset:352
	buffer_load_dword v122, off, s[0:3], 0 offset:396
	buffer_load_dword v123, off, s[0:3], 0 offset:408
	buffer_load_dword v125, off, s[0:3], 0 offset:400
	buffer_load_dword v121, off, s[0:3], 0 offset:392
	buffer_load_dword v118, off, s[0:3], 0 offset:372
	buffer_load_dword v124, off, s[0:3], 0 offset:412
	buffer_load_dword v128, off, s[0:3], 0 offset:388
	buffer_load_dword v127, off, s[0:3], 0 offset:384
	buffer_load_dword v130, off, s[0:3], 0 offset:428
	buffer_load_dword v131, off, s[0:3], 0 offset:440
	buffer_load_dword v133, off, s[0:3], 0 offset:432
	buffer_load_dword v129, off, s[0:3], 0 offset:424
	buffer_load_dword v126, off, s[0:3], 0 offset:404
	buffer_load_dword v132, off, s[0:3], 0 offset:444
	buffer_load_dword v136, off, s[0:3], 0 offset:420
	buffer_load_dword v135, off, s[0:3], 0 offset:416
	buffer_load_dword v138, off, s[0:3], 0 offset:460
	buffer_load_dword v139, off, s[0:3], 0 offset:472
	buffer_load_dword v141, off, s[0:3], 0 offset:464
	buffer_load_dword v137, off, s[0:3], 0 offset:456
	buffer_load_dword v134, off, s[0:3], 0 offset:436
	v_mov_b32_e32 v1, 0
	s_mov_b32 s4, exec_lo
	ds_read_b128 v[2:5], v1 offset:784
	s_clause 0x2
	buffer_load_dword v140, off, s[0:3], 0 offset:476
	buffer_load_dword v144, off, s[0:3], 0 offset:452
	;; [unrolled: 1-line block ×3, first 2 shown]
	ds_read_b128 v[6:9], v1 offset:800
	s_clause 0x4
	buffer_load_dword v150, off, s[0:3], 0 offset:492
	buffer_load_dword v151, off, s[0:3], 0 offset:504
	;; [unrolled: 1-line block ×5, first 2 shown]
	s_waitcnt vmcnt(62) lgkmcnt(1)
	v_mul_f64 v[145:146], v[4:5], v[10:11]
	v_mul_f64 v[147:148], v[2:3], v[10:11]
	s_waitcnt vmcnt(60) lgkmcnt(0)
	v_mul_f64 v[154:155], v[8:9], v[14:15]
	ds_read_b128 v[10:13], v1 offset:816
	v_mul_f64 v[14:15], v[6:7], v[14:15]
	s_waitcnt vmcnt(58)
	v_fma_f64 v[145:146], v[2:3], v[16:17], -v[145:146]
	v_fma_f64 v[16:17], v[4:5], v[16:17], v[147:148]
	s_clause 0x2
	buffer_load_dword v152, off, s[0:3], 0 offset:508
	buffer_load_dword v148, off, s[0:3], 0 offset:484
	;; [unrolled: 1-line block ×3, first 2 shown]
	s_waitcnt vmcnt(59) lgkmcnt(0)
	v_mul_f64 v[156:157], v[10:11], v[18:19]
	v_mul_f64 v[18:19], v[12:13], v[18:19]
	s_waitcnt vmcnt(57)
	v_fma_f64 v[158:159], v[6:7], v[20:21], -v[154:155]
	ds_read_b128 v[2:5], v1 offset:832
	v_fma_f64 v[14:15], v[8:9], v[20:21], v[14:15]
	s_clause 0x4
	buffer_load_dword v21, off, s[0:3], 0 offset:524
	buffer_load_dword v155, off, s[0:3], 0 offset:536
	;; [unrolled: 1-line block ×5, first 2 shown]
	ds_read_b128 v[6:9], v1 offset:848
	v_add_f64 v[145:146], v[145:146], 0
	v_add_f64 v[16:17], v[16:17], 0
	s_waitcnt vmcnt(58) lgkmcnt(1)
	v_mul_f64 v[161:162], v[2:3], v[22:23]
	v_mul_f64 v[22:23], v[4:5], v[22:23]
	s_waitcnt vmcnt(56)
	v_fma_f64 v[18:19], v[10:11], v[28:29], -v[18:19]
	v_fma_f64 v[28:29], v[12:13], v[28:29], v[156:157]
	v_add_f64 v[145:146], v[145:146], v[158:159]
	v_add_f64 v[14:15], v[16:17], v[14:15]
	s_clause 0x2
	buffer_load_dword v156, off, s[0:3], 0 offset:540
	buffer_load_dword v17, off, s[0:3], 0 offset:516
	;; [unrolled: 1-line block ×3, first 2 shown]
	s_waitcnt vmcnt(58) lgkmcnt(0)
	v_mul_f64 v[157:158], v[6:7], v[24:25]
	v_mul_f64 v[24:25], v[8:9], v[24:25]
	s_waitcnt vmcnt(56)
	v_fma_f64 v[22:23], v[2:3], v[30:31], -v[22:23]
	ds_read_b128 v[10:13], v1 offset:864
	v_fma_f64 v[30:31], v[4:5], v[30:31], v[161:162]
	v_add_f64 v[18:19], v[145:146], v[18:19]
	v_add_f64 v[14:15], v[14:15], v[28:29]
	s_clause 0x4
	buffer_load_dword v29, off, s[0:3], 0 offset:556
	buffer_load_dword v145, off, s[0:3], 0 offset:568
	;; [unrolled: 1-line block ×5, first 2 shown]
	ds_read_b128 v[2:5], v1 offset:880
	s_waitcnt vmcnt(57) lgkmcnt(1)
	v_mul_f64 v[163:164], v[10:11], v[32:33]
	v_mul_f64 v[32:33], v[12:13], v[32:33]
	s_waitcnt vmcnt(56)
	v_fma_f64 v[24:25], v[6:7], v[26:27], -v[24:25]
	v_add_f64 v[18:19], v[18:19], v[22:23]
	v_fma_f64 v[22:23], v[8:9], v[26:27], v[157:158]
	v_add_f64 v[14:15], v[14:15], v[30:31]
	s_clause 0x2
	buffer_load_dword v146, off, s[0:3], 0 offset:572
	buffer_load_dword v27, off, s[0:3], 0 offset:548
	;; [unrolled: 1-line block ×3, first 2 shown]
	s_waitcnt vmcnt(58) lgkmcnt(0)
	v_mul_f64 v[30:31], v[2:3], v[34:35]
	v_mul_f64 v[34:35], v[4:5], v[34:35]
	s_waitcnt vmcnt(56)
	v_fma_f64 v[32:33], v[10:11], v[111:112], -v[32:33]
	ds_read_b128 v[6:9], v1 offset:896
	v_add_f64 v[18:19], v[18:19], v[24:25]
	v_fma_f64 v[24:25], v[12:13], v[111:112], v[163:164]
	v_add_f64 v[14:15], v[14:15], v[22:23]
	buffer_load_dword v163, off, s[0:3], 0 offset:564
	ds_read_b128 v[10:13], v1 offset:912
	s_waitcnt vmcnt(53) lgkmcnt(1)
	v_mul_f64 v[111:112], v[8:9], v[113:114]
	s_waitcnt vmcnt(52)
	v_fma_f64 v[34:35], v[2:3], v[36:37], -v[34:35]
	v_mul_f64 v[22:23], v[6:7], v[113:114]
	v_fma_f64 v[30:31], v[4:5], v[36:37], v[30:31]
	ds_read_b128 v[2:5], v1 offset:928
	v_add_f64 v[18:19], v[18:19], v[32:33]
	v_add_f64 v[14:15], v[14:15], v[24:25]
	s_waitcnt vmcnt(51) lgkmcnt(1)
	v_mul_f64 v[32:33], v[12:13], v[115:116]
	v_mul_f64 v[24:25], v[10:11], v[115:116]
	s_waitcnt vmcnt(49)
	v_fma_f64 v[36:37], v[6:7], v[119:120], -v[111:112]
	v_fma_f64 v[22:23], v[8:9], v[119:120], v[22:23]
	s_waitcnt vmcnt(45) lgkmcnt(0)
	v_mul_f64 v[113:114], v[4:5], v[121:122]
	v_mul_f64 v[111:112], v[2:3], v[121:122]
	v_add_f64 v[18:19], v[18:19], v[34:35]
	v_add_f64 v[14:15], v[14:15], v[30:31]
	s_clause 0x3
	buffer_load_dword v30, off, s[0:3], 0 offset:224
	buffer_load_dword v31, off, s[0:3], 0 offset:228
	;; [unrolled: 1-line block ×4, first 2 shown]
	s_waitcnt vmcnt(48)
	v_fma_f64 v[32:33], v[10:11], v[117:118], -v[32:33]
	ds_read_b128 v[6:9], v1 offset:944
	v_fma_f64 v[24:25], v[12:13], v[117:118], v[24:25]
	ds_read_b128 v[10:13], v1 offset:960
	s_waitcnt vmcnt(45)
	v_fma_f64 v[113:114], v[2:3], v[127:128], -v[113:114]
	v_add_f64 v[18:19], v[18:19], v[36:37]
	v_add_f64 v[14:15], v[14:15], v[22:23]
	s_waitcnt lgkmcnt(1)
	v_mul_f64 v[36:37], v[8:9], v[123:124]
	v_mul_f64 v[22:23], v[6:7], v[123:124]
	v_add_f64 v[18:19], v[18:19], v[32:33]
	v_fma_f64 v[32:33], v[4:5], v[127:128], v[111:112]
	v_add_f64 v[14:15], v[14:15], v[24:25]
	s_waitcnt vmcnt(41) lgkmcnt(0)
	v_mul_f64 v[111:112], v[12:13], v[129:130]
	s_waitcnt vmcnt(40)
	v_fma_f64 v[36:37], v[6:7], v[125:126], -v[36:37]
	ds_read_b128 v[2:5], v1 offset:976
	v_mul_f64 v[24:25], v[10:11], v[129:130]
	v_fma_f64 v[22:23], v[8:9], v[125:126], v[22:23]
	ds_read_b128 v[6:9], v1 offset:992
	v_add_f64 v[18:19], v[18:19], v[113:114]
	v_add_f64 v[14:15], v[14:15], v[32:33]
	s_waitcnt vmcnt(39) lgkmcnt(1)
	v_mul_f64 v[113:114], v[4:5], v[131:132]
	s_waitcnt vmcnt(37)
	v_fma_f64 v[111:112], v[10:11], v[135:136], -v[111:112]
	v_mul_f64 v[32:33], v[2:3], v[131:132]
	v_fma_f64 v[24:25], v[12:13], v[135:136], v[24:25]
	ds_read_b128 v[10:13], v1 offset:1008
	v_add_f64 v[18:19], v[18:19], v[36:37]
	s_waitcnt vmcnt(33) lgkmcnt(1)
	v_mul_f64 v[36:37], v[8:9], v[137:138]
	v_add_f64 v[14:15], v[14:15], v[22:23]
	s_waitcnt vmcnt(32)
	v_fma_f64 v[113:114], v[2:3], v[133:134], -v[113:114]
	v_mul_f64 v[22:23], v[6:7], v[137:138]
	v_fma_f64 v[32:33], v[4:5], v[133:134], v[32:33]
	ds_read_b128 v[2:5], v1 offset:1024
	v_add_f64 v[18:19], v[18:19], v[111:112]
	s_waitcnt vmcnt(31) lgkmcnt(1)
	v_mul_f64 v[111:112], v[12:13], v[139:140]
	v_add_f64 v[14:15], v[14:15], v[24:25]
	;; [unrolled: 9-line block ×3, first 2 shown]
	s_waitcnt vmcnt(24)
	v_fma_f64 v[111:112], v[10:11], v[141:142], -v[111:112]
	v_mul_f64 v[32:33], v[2:3], v[149:150]
	v_fma_f64 v[24:25], v[12:13], v[141:142], v[24:25]
	ds_read_b128 v[10:13], v1 offset:1056
	v_add_f64 v[18:19], v[18:19], v[36:37]
	v_add_f64 v[14:15], v[14:15], v[22:23]
	s_waitcnt vmcnt(23) lgkmcnt(1)
	v_mul_f64 v[36:37], v[8:9], v[151:152]
	v_mul_f64 v[22:23], v[6:7], v[151:152]
	s_waitcnt vmcnt(21)
	v_fma_f64 v[113:114], v[2:3], v[147:148], -v[113:114]
	v_fma_f64 v[32:33], v[4:5], v[147:148], v[32:33]
	ds_read_b128 v[2:5], v1 offset:1072
	v_add_f64 v[18:19], v[18:19], v[111:112]
	v_add_f64 v[14:15], v[14:15], v[24:25]
	s_waitcnt vmcnt(17) lgkmcnt(1)
	v_mul_f64 v[24:25], v[10:11], v[20:21]
	v_mul_f64 v[20:21], v[12:13], v[20:21]
	s_waitcnt vmcnt(16)
	v_fma_f64 v[36:37], v[6:7], v[153:154], -v[36:37]
	;; [unrolled: 9-line block ×3, first 2 shown]
	v_fma_f64 v[16:17], v[12:13], v[16:17], v[24:25]
	ds_read_b128 v[10:13], v1 offset:1104
	v_add_f64 v[18:19], v[18:19], v[36:37]
	v_add_f64 v[14:15], v[14:15], v[22:23]
	s_waitcnt vmcnt(9) lgkmcnt(1)
	v_mul_f64 v[24:25], v[8:9], v[28:29]
	s_waitcnt vmcnt(8)
	v_fma_f64 v[2:3], v[2:3], v[160:161], -v[111:112]
	v_mul_f64 v[22:23], v[6:7], v[28:29]
	v_fma_f64 v[4:5], v[4:5], v[160:161], v[32:33]
	v_add_f64 v[18:19], v[18:19], v[20:21]
	v_add_f64 v[14:15], v[14:15], v[16:17]
	s_waitcnt vmcnt(7) lgkmcnt(0)
	v_mul_f64 v[20:21], v[12:13], v[145:146]
	v_mul_f64 v[16:17], v[10:11], v[145:146]
	s_waitcnt vmcnt(5)
	v_fma_f64 v[6:7], v[6:7], v[26:27], -v[24:25]
	v_fma_f64 v[8:9], v[8:9], v[26:27], v[22:23]
	v_add_f64 v[2:3], v[18:19], v[2:3]
	v_add_f64 v[4:5], v[14:15], v[4:5]
	s_waitcnt vmcnt(4)
	v_fma_f64 v[10:11], v[10:11], v[162:163], -v[20:21]
	v_add_f64 v[2:3], v[2:3], v[6:7]
	v_fma_f64 v[6:7], v[12:13], v[162:163], v[16:17]
	v_add_f64 v[4:5], v[4:5], v[8:9]
	v_add_f64 v[2:3], v[2:3], v[10:11]
	;; [unrolled: 1-line block ×3, first 2 shown]
	s_waitcnt vmcnt(2)
	v_add_f64 v[2:3], v[30:31], -v[2:3]
	s_waitcnt vmcnt(0)
	v_add_f64 v[4:5], v[34:35], -v[4:5]
	buffer_store_dword v3, off, s[0:3], 0 offset:228
	buffer_store_dword v2, off, s[0:3], 0 offset:224
	;; [unrolled: 1-line block ×4, first 2 shown]
	v_cmpx_lt_u32_e32 12, v0
	s_cbranch_execz .LBB34_199
; %bb.198:
	v_mov_b32_e32 v5, s35
	s_clause 0x3
	buffer_load_dword v2, v5, s[0:3], 0 offen
	buffer_load_dword v3, v5, s[0:3], 0 offen offset:4
	buffer_load_dword v4, v5, s[0:3], 0 offen offset:8
	;; [unrolled: 1-line block ×3, first 2 shown]
	buffer_store_dword v1, off, s[0:3], 0 offset:208
	buffer_store_dword v1, off, s[0:3], 0 offset:212
	buffer_store_dword v1, off, s[0:3], 0 offset:216
	buffer_store_dword v1, off, s[0:3], 0 offset:220
	s_waitcnt vmcnt(0)
	ds_write_b128 v39, v[2:5]
.LBB34_199:
	s_or_b32 exec_lo, exec_lo, s4
	s_waitcnt lgkmcnt(0)
	s_waitcnt_vscnt null, 0x0
	s_barrier
	buffer_gl0_inv
	s_clause 0x37
	buffer_load_dword v10, off, s[0:3], 0 offset:232
	buffer_load_dword v11, off, s[0:3], 0 offset:236
	;; [unrolled: 1-line block ×56, first 2 shown]
	ds_read_b128 v[2:5], v1 offset:768
	s_clause 0x2
	buffer_load_dword v140, off, s[0:3], 0 offset:460
	buffer_load_dword v144, off, s[0:3], 0 offset:436
	;; [unrolled: 1-line block ×3, first 2 shown]
	ds_read_b128 v[6:9], v1 offset:784
	s_clause 0x4
	buffer_load_dword v150, off, s[0:3], 0 offset:476
	buffer_load_dword v151, off, s[0:3], 0 offset:488
	;; [unrolled: 1-line block ×5, first 2 shown]
	s_mov_b32 s4, exec_lo
	s_waitcnt vmcnt(62) lgkmcnt(1)
	v_mul_f64 v[145:146], v[4:5], v[10:11]
	v_mul_f64 v[147:148], v[2:3], v[10:11]
	s_waitcnt vmcnt(60) lgkmcnt(0)
	v_mul_f64 v[154:155], v[8:9], v[14:15]
	ds_read_b128 v[10:13], v1 offset:800
	v_mul_f64 v[14:15], v[6:7], v[14:15]
	s_waitcnt vmcnt(58)
	v_fma_f64 v[145:146], v[2:3], v[16:17], -v[145:146]
	v_fma_f64 v[16:17], v[4:5], v[16:17], v[147:148]
	s_clause 0x2
	buffer_load_dword v152, off, s[0:3], 0 offset:492
	buffer_load_dword v148, off, s[0:3], 0 offset:468
	;; [unrolled: 1-line block ×3, first 2 shown]
	s_waitcnt vmcnt(59) lgkmcnt(0)
	v_mul_f64 v[156:157], v[10:11], v[18:19]
	v_mul_f64 v[18:19], v[12:13], v[18:19]
	s_waitcnt vmcnt(57)
	v_fma_f64 v[158:159], v[6:7], v[20:21], -v[154:155]
	ds_read_b128 v[2:5], v1 offset:816
	v_fma_f64 v[14:15], v[8:9], v[20:21], v[14:15]
	s_clause 0x4
	buffer_load_dword v21, off, s[0:3], 0 offset:508
	buffer_load_dword v155, off, s[0:3], 0 offset:520
	;; [unrolled: 1-line block ×5, first 2 shown]
	ds_read_b128 v[6:9], v1 offset:832
	v_add_f64 v[145:146], v[145:146], 0
	v_add_f64 v[16:17], v[16:17], 0
	s_waitcnt vmcnt(58) lgkmcnt(1)
	v_mul_f64 v[161:162], v[2:3], v[22:23]
	v_mul_f64 v[22:23], v[4:5], v[22:23]
	s_waitcnt vmcnt(56)
	v_fma_f64 v[18:19], v[10:11], v[28:29], -v[18:19]
	v_fma_f64 v[28:29], v[12:13], v[28:29], v[156:157]
	v_add_f64 v[145:146], v[145:146], v[158:159]
	v_add_f64 v[14:15], v[16:17], v[14:15]
	s_clause 0x2
	buffer_load_dword v156, off, s[0:3], 0 offset:524
	buffer_load_dword v17, off, s[0:3], 0 offset:500
	;; [unrolled: 1-line block ×3, first 2 shown]
	s_waitcnt vmcnt(58) lgkmcnt(0)
	v_mul_f64 v[157:158], v[6:7], v[24:25]
	v_mul_f64 v[24:25], v[8:9], v[24:25]
	s_waitcnt vmcnt(56)
	v_fma_f64 v[22:23], v[2:3], v[30:31], -v[22:23]
	ds_read_b128 v[10:13], v1 offset:848
	v_fma_f64 v[30:31], v[4:5], v[30:31], v[161:162]
	v_add_f64 v[18:19], v[145:146], v[18:19]
	v_add_f64 v[14:15], v[14:15], v[28:29]
	s_clause 0x4
	buffer_load_dword v29, off, s[0:3], 0 offset:540
	buffer_load_dword v145, off, s[0:3], 0 offset:552
	;; [unrolled: 1-line block ×5, first 2 shown]
	ds_read_b128 v[2:5], v1 offset:864
	s_waitcnt vmcnt(57) lgkmcnt(1)
	v_mul_f64 v[163:164], v[10:11], v[32:33]
	v_mul_f64 v[32:33], v[12:13], v[32:33]
	s_waitcnt vmcnt(56)
	v_fma_f64 v[24:25], v[6:7], v[26:27], -v[24:25]
	v_add_f64 v[18:19], v[18:19], v[22:23]
	v_fma_f64 v[22:23], v[8:9], v[26:27], v[157:158]
	v_add_f64 v[14:15], v[14:15], v[30:31]
	s_clause 0x2
	buffer_load_dword v146, off, s[0:3], 0 offset:556
	buffer_load_dword v27, off, s[0:3], 0 offset:532
	;; [unrolled: 1-line block ×3, first 2 shown]
	s_waitcnt vmcnt(58) lgkmcnt(0)
	v_mul_f64 v[30:31], v[2:3], v[34:35]
	v_mul_f64 v[34:35], v[4:5], v[34:35]
	s_waitcnt vmcnt(56)
	v_fma_f64 v[32:33], v[10:11], v[111:112], -v[32:33]
	ds_read_b128 v[6:9], v1 offset:880
	v_add_f64 v[18:19], v[18:19], v[24:25]
	v_fma_f64 v[24:25], v[12:13], v[111:112], v[163:164]
	v_add_f64 v[14:15], v[14:15], v[22:23]
	s_clause 0x2
	buffer_load_dword v23, off, s[0:3], 0 offset:572
	buffer_load_dword v22, off, s[0:3], 0 offset:568
	;; [unrolled: 1-line block ×3, first 2 shown]
	ds_read_b128 v[10:13], v1 offset:896
	s_waitcnt vmcnt(55) lgkmcnt(1)
	v_mul_f64 v[111:112], v[6:7], v[113:114]
	v_mul_f64 v[113:114], v[8:9], v[113:114]
	s_waitcnt vmcnt(54)
	v_fma_f64 v[34:35], v[2:3], v[36:37], -v[34:35]
	v_fma_f64 v[30:31], v[4:5], v[36:37], v[30:31]
	v_add_f64 v[18:19], v[18:19], v[32:33]
	v_add_f64 v[14:15], v[14:15], v[24:25]
	s_clause 0x1
	buffer_load_dword v25, off, s[0:3], 0 offset:564
	buffer_load_dword v24, off, s[0:3], 0 offset:560
	s_waitcnt vmcnt(55) lgkmcnt(0)
	v_mul_f64 v[36:37], v[12:13], v[115:116]
	ds_read_b128 v[2:5], v1 offset:912
	s_waitcnt vmcnt(53)
	v_fma_f64 v[113:114], v[6:7], v[119:120], -v[113:114]
	v_mul_f64 v[32:33], v[10:11], v[115:116]
	v_add_f64 v[18:19], v[18:19], v[34:35]
	v_fma_f64 v[34:35], v[8:9], v[119:120], v[111:112]
	v_add_f64 v[14:15], v[14:15], v[30:31]
	ds_read_b128 v[6:9], v1 offset:928
	s_waitcnt vmcnt(49) lgkmcnt(1)
	v_mul_f64 v[111:112], v[4:5], v[121:122]
	s_waitcnt vmcnt(48)
	v_fma_f64 v[36:37], v[10:11], v[117:118], -v[36:37]
	v_mul_f64 v[30:31], v[2:3], v[121:122]
	v_fma_f64 v[32:33], v[12:13], v[117:118], v[32:33]
	v_add_f64 v[18:19], v[18:19], v[113:114]
	s_waitcnt vmcnt(47) lgkmcnt(0)
	v_mul_f64 v[117:118], v[8:9], v[123:124]
	v_add_f64 v[14:15], v[14:15], v[34:35]
	s_clause 0x3
	buffer_load_dword v34, off, s[0:3], 0 offset:208
	buffer_load_dword v35, off, s[0:3], 0 offset:212
	;; [unrolled: 1-line block ×4, first 2 shown]
	s_waitcnt vmcnt(49)
	v_fma_f64 v[111:112], v[2:3], v[127:128], -v[111:112]
	ds_read_b128 v[10:13], v1 offset:944
	v_mul_f64 v[115:116], v[6:7], v[123:124]
	v_fma_f64 v[30:31], v[4:5], v[127:128], v[30:31]
	ds_read_b128 v[2:5], v1 offset:960
	v_add_f64 v[18:19], v[18:19], v[36:37]
	s_waitcnt vmcnt(44)
	v_fma_f64 v[117:118], v[6:7], v[125:126], -v[117:118]
	v_add_f64 v[14:15], v[14:15], v[32:33]
	s_waitcnt lgkmcnt(1)
	v_mul_f64 v[36:37], v[12:13], v[129:130]
	v_mul_f64 v[32:33], v[10:11], v[129:130]
	v_add_f64 v[18:19], v[18:19], v[111:112]
	v_fma_f64 v[111:112], v[8:9], v[125:126], v[115:116]
	v_add_f64 v[14:15], v[14:15], v[30:31]
	s_waitcnt vmcnt(43) lgkmcnt(0)
	v_mul_f64 v[115:116], v[4:5], v[131:132]
	s_waitcnt vmcnt(41)
	v_fma_f64 v[36:37], v[10:11], v[135:136], -v[36:37]
	ds_read_b128 v[6:9], v1 offset:976
	v_mul_f64 v[30:31], v[2:3], v[131:132]
	v_fma_f64 v[32:33], v[12:13], v[135:136], v[32:33]
	ds_read_b128 v[10:13], v1 offset:992
	v_add_f64 v[18:19], v[18:19], v[117:118]
	v_add_f64 v[14:15], v[14:15], v[111:112]
	s_waitcnt vmcnt(37) lgkmcnt(1)
	v_mul_f64 v[117:118], v[8:9], v[137:138]
	s_waitcnt vmcnt(36)
	v_fma_f64 v[115:116], v[2:3], v[133:134], -v[115:116]
	v_mul_f64 v[111:112], v[6:7], v[137:138]
	v_fma_f64 v[30:31], v[4:5], v[133:134], v[30:31]
	ds_read_b128 v[2:5], v1 offset:1008
	v_add_f64 v[18:19], v[18:19], v[36:37]
	s_waitcnt vmcnt(35) lgkmcnt(1)
	v_mul_f64 v[36:37], v[12:13], v[139:140]
	v_add_f64 v[14:15], v[14:15], v[32:33]
	s_waitcnt vmcnt(33)
	v_fma_f64 v[117:118], v[6:7], v[143:144], -v[117:118]
	v_mul_f64 v[32:33], v[10:11], v[139:140]
	v_fma_f64 v[111:112], v[8:9], v[143:144], v[111:112]
	ds_read_b128 v[6:9], v1 offset:1024
	v_add_f64 v[18:19], v[18:19], v[115:116]
	s_waitcnt vmcnt(29) lgkmcnt(1)
	v_mul_f64 v[115:116], v[4:5], v[149:150]
	v_add_f64 v[14:15], v[14:15], v[30:31]
	s_waitcnt vmcnt(28)
	v_fma_f64 v[36:37], v[10:11], v[141:142], -v[36:37]
	v_mul_f64 v[30:31], v[2:3], v[149:150]
	v_fma_f64 v[32:33], v[12:13], v[141:142], v[32:33]
	ds_read_b128 v[10:13], v1 offset:1040
	v_add_f64 v[18:19], v[18:19], v[117:118]
	v_add_f64 v[14:15], v[14:15], v[111:112]
	s_waitcnt vmcnt(27) lgkmcnt(1)
	v_mul_f64 v[117:118], v[8:9], v[151:152]
	v_mul_f64 v[111:112], v[6:7], v[151:152]
	s_waitcnt vmcnt(25)
	v_fma_f64 v[115:116], v[2:3], v[147:148], -v[115:116]
	v_fma_f64 v[30:31], v[4:5], v[147:148], v[30:31]
	ds_read_b128 v[2:5], v1 offset:1056
	v_add_f64 v[18:19], v[18:19], v[36:37]
	v_add_f64 v[14:15], v[14:15], v[32:33]
	s_waitcnt vmcnt(21) lgkmcnt(1)
	v_mul_f64 v[32:33], v[10:11], v[20:21]
	v_mul_f64 v[20:21], v[12:13], v[20:21]
	s_waitcnt vmcnt(20)
	v_fma_f64 v[36:37], v[6:7], v[153:154], -v[117:118]
	v_fma_f64 v[111:112], v[8:9], v[153:154], v[111:112]
	ds_read_b128 v[6:9], v1 offset:1072
	v_add_f64 v[18:19], v[18:19], v[115:116]
	v_add_f64 v[14:15], v[14:15], v[30:31]
	s_waitcnt vmcnt(19) lgkmcnt(1)
	v_mul_f64 v[115:116], v[4:5], v[155:156]
	v_mul_f64 v[30:31], v[2:3], v[155:156]
	s_waitcnt vmcnt(17)
	v_fma_f64 v[20:21], v[10:11], v[16:17], -v[20:21]
	v_fma_f64 v[16:17], v[12:13], v[16:17], v[32:33]
	ds_read_b128 v[10:13], v1 offset:1088
	v_add_f64 v[18:19], v[18:19], v[36:37]
	v_add_f64 v[14:15], v[14:15], v[111:112]
	s_waitcnt vmcnt(13) lgkmcnt(1)
	v_mul_f64 v[32:33], v[6:7], v[28:29]
	v_mul_f64 v[28:29], v[8:9], v[28:29]
	s_waitcnt vmcnt(12)
	v_fma_f64 v[36:37], v[2:3], v[160:161], -v[115:116]
	v_add_f64 v[18:19], v[18:19], v[20:21]
	v_fma_f64 v[20:21], v[4:5], v[160:161], v[30:31]
	v_add_f64 v[14:15], v[14:15], v[16:17]
	ds_read_b128 v[1:4], v1 offset:1104
	s_waitcnt vmcnt(11) lgkmcnt(1)
	v_mul_f64 v[30:31], v[12:13], v[145:146]
	v_mul_f64 v[16:17], v[10:11], v[145:146]
	s_waitcnt vmcnt(9)
	v_fma_f64 v[5:6], v[6:7], v[26:27], -v[28:29]
	v_fma_f64 v[7:8], v[8:9], v[26:27], v[32:33]
	v_add_f64 v[18:19], v[18:19], v[36:37]
	v_add_f64 v[14:15], v[14:15], v[20:21]
	s_waitcnt vmcnt(7) lgkmcnt(0)
	v_mul_f64 v[20:21], v[1:2], v[22:23]
	v_mul_f64 v[22:23], v[3:4], v[22:23]
	s_waitcnt vmcnt(6)
	v_fma_f64 v[9:10], v[10:11], v[162:163], -v[30:31]
	v_fma_f64 v[11:12], v[12:13], v[162:163], v[16:17]
	v_add_f64 v[5:6], v[18:19], v[5:6]
	v_add_f64 v[7:8], v[14:15], v[7:8]
	s_waitcnt vmcnt(4)
	v_fma_f64 v[1:2], v[1:2], v[24:25], -v[22:23]
	v_fma_f64 v[3:4], v[3:4], v[24:25], v[20:21]
	v_add_f64 v[5:6], v[5:6], v[9:10]
	v_add_f64 v[7:8], v[7:8], v[11:12]
	;; [unrolled: 1-line block ×4, first 2 shown]
	s_waitcnt vmcnt(2)
	v_add_f64 v[1:2], v[34:35], -v[1:2]
	s_waitcnt vmcnt(0)
	v_add_f64 v[3:4], v[113:114], -v[3:4]
	buffer_store_dword v2, off, s[0:3], 0 offset:212
	buffer_store_dword v1, off, s[0:3], 0 offset:208
	;; [unrolled: 1-line block ×4, first 2 shown]
	v_cmpx_lt_u32_e32 11, v0
	s_cbranch_execz .LBB34_201
; %bb.200:
	v_mov_b32_e32 v4, s36
	v_mov_b32_e32 v5, 0
	s_clause 0x3
	buffer_load_dword v1, v4, s[0:3], 0 offen
	buffer_load_dword v2, v4, s[0:3], 0 offen offset:4
	buffer_load_dword v3, v4, s[0:3], 0 offen offset:8
	;; [unrolled: 1-line block ×3, first 2 shown]
	buffer_store_dword v5, off, s[0:3], 0 offset:192
	buffer_store_dword v5, off, s[0:3], 0 offset:196
	;; [unrolled: 1-line block ×4, first 2 shown]
	s_waitcnt vmcnt(0)
	ds_write_b128 v39, v[1:4]
.LBB34_201:
	s_or_b32 exec_lo, exec_lo, s4
	s_waitcnt lgkmcnt(0)
	s_waitcnt_vscnt null, 0x0
	s_barrier
	buffer_gl0_inv
	s_clause 0x37
	buffer_load_dword v10, off, s[0:3], 0 offset:216
	buffer_load_dword v11, off, s[0:3], 0 offset:220
	;; [unrolled: 1-line block ×56, first 2 shown]
	v_mov_b32_e32 v1, 0
	s_mov_b32 s4, exec_lo
	ds_read_b128 v[2:5], v1 offset:752
	s_clause 0x2
	buffer_load_dword v140, off, s[0:3], 0 offset:444
	buffer_load_dword v144, off, s[0:3], 0 offset:420
	buffer_load_dword v143, off, s[0:3], 0 offset:416
	ds_read_b128 v[6:9], v1 offset:768
	s_clause 0x4
	buffer_load_dword v150, off, s[0:3], 0 offset:460
	buffer_load_dword v151, off, s[0:3], 0 offset:472
	;; [unrolled: 1-line block ×5, first 2 shown]
	s_waitcnt vmcnt(62) lgkmcnt(1)
	v_mul_f64 v[145:146], v[4:5], v[10:11]
	v_mul_f64 v[147:148], v[2:3], v[10:11]
	s_waitcnt vmcnt(60) lgkmcnt(0)
	v_mul_f64 v[154:155], v[8:9], v[14:15]
	ds_read_b128 v[10:13], v1 offset:784
	v_mul_f64 v[14:15], v[6:7], v[14:15]
	s_waitcnt vmcnt(58)
	v_fma_f64 v[145:146], v[2:3], v[16:17], -v[145:146]
	v_fma_f64 v[16:17], v[4:5], v[16:17], v[147:148]
	s_clause 0x2
	buffer_load_dword v152, off, s[0:3], 0 offset:476
	buffer_load_dword v148, off, s[0:3], 0 offset:452
	;; [unrolled: 1-line block ×3, first 2 shown]
	s_waitcnt vmcnt(59) lgkmcnt(0)
	v_mul_f64 v[156:157], v[10:11], v[18:19]
	v_mul_f64 v[18:19], v[12:13], v[18:19]
	s_waitcnt vmcnt(57)
	v_fma_f64 v[158:159], v[6:7], v[20:21], -v[154:155]
	ds_read_b128 v[2:5], v1 offset:800
	v_fma_f64 v[14:15], v[8:9], v[20:21], v[14:15]
	s_clause 0x4
	buffer_load_dword v21, off, s[0:3], 0 offset:492
	buffer_load_dword v155, off, s[0:3], 0 offset:504
	;; [unrolled: 1-line block ×5, first 2 shown]
	ds_read_b128 v[6:9], v1 offset:816
	v_add_f64 v[145:146], v[145:146], 0
	v_add_f64 v[16:17], v[16:17], 0
	s_waitcnt vmcnt(58) lgkmcnt(1)
	v_mul_f64 v[161:162], v[2:3], v[22:23]
	v_mul_f64 v[22:23], v[4:5], v[22:23]
	s_waitcnt vmcnt(56)
	v_fma_f64 v[18:19], v[10:11], v[28:29], -v[18:19]
	v_fma_f64 v[28:29], v[12:13], v[28:29], v[156:157]
	v_add_f64 v[145:146], v[145:146], v[158:159]
	v_add_f64 v[14:15], v[16:17], v[14:15]
	s_clause 0x2
	buffer_load_dword v156, off, s[0:3], 0 offset:508
	buffer_load_dword v17, off, s[0:3], 0 offset:484
	;; [unrolled: 1-line block ×3, first 2 shown]
	s_waitcnt vmcnt(58) lgkmcnt(0)
	v_mul_f64 v[157:158], v[6:7], v[24:25]
	v_mul_f64 v[24:25], v[8:9], v[24:25]
	s_waitcnt vmcnt(56)
	v_fma_f64 v[22:23], v[2:3], v[30:31], -v[22:23]
	ds_read_b128 v[10:13], v1 offset:832
	v_fma_f64 v[30:31], v[4:5], v[30:31], v[161:162]
	v_add_f64 v[18:19], v[145:146], v[18:19]
	v_add_f64 v[14:15], v[14:15], v[28:29]
	s_clause 0x4
	buffer_load_dword v29, off, s[0:3], 0 offset:524
	buffer_load_dword v145, off, s[0:3], 0 offset:536
	;; [unrolled: 1-line block ×5, first 2 shown]
	ds_read_b128 v[2:5], v1 offset:848
	s_waitcnt vmcnt(57) lgkmcnt(1)
	v_mul_f64 v[163:164], v[10:11], v[32:33]
	v_mul_f64 v[32:33], v[12:13], v[32:33]
	s_waitcnt vmcnt(56)
	v_fma_f64 v[24:25], v[6:7], v[26:27], -v[24:25]
	v_add_f64 v[18:19], v[18:19], v[22:23]
	v_fma_f64 v[22:23], v[8:9], v[26:27], v[157:158]
	v_add_f64 v[14:15], v[14:15], v[30:31]
	s_clause 0x2
	buffer_load_dword v146, off, s[0:3], 0 offset:540
	buffer_load_dword v27, off, s[0:3], 0 offset:516
	;; [unrolled: 1-line block ×3, first 2 shown]
	s_waitcnt vmcnt(58) lgkmcnt(0)
	v_mul_f64 v[30:31], v[2:3], v[34:35]
	v_mul_f64 v[34:35], v[4:5], v[34:35]
	s_waitcnt vmcnt(56)
	v_fma_f64 v[32:33], v[10:11], v[111:112], -v[32:33]
	ds_read_b128 v[6:9], v1 offset:864
	v_add_f64 v[18:19], v[18:19], v[24:25]
	v_fma_f64 v[24:25], v[12:13], v[111:112], v[163:164]
	v_add_f64 v[14:15], v[14:15], v[22:23]
	s_clause 0x4
	buffer_load_dword v23, off, s[0:3], 0 offset:556
	buffer_load_dword v111, off, s[0:3], 0 offset:568
	;; [unrolled: 1-line block ×5, first 2 shown]
	ds_read_b128 v[10:13], v1 offset:880
	s_waitcnt vmcnt(57) lgkmcnt(1)
	v_mul_f64 v[158:159], v[6:7], v[113:114]
	v_mul_f64 v[113:114], v[8:9], v[113:114]
	s_waitcnt vmcnt(56)
	v_fma_f64 v[34:35], v[2:3], v[36:37], -v[34:35]
	v_fma_f64 v[30:31], v[4:5], v[36:37], v[30:31]
	v_add_f64 v[18:19], v[18:19], v[32:33]
	v_add_f64 v[14:15], v[14:15], v[24:25]
	s_clause 0x2
	buffer_load_dword v112, off, s[0:3], 0 offset:572
	buffer_load_dword v25, off, s[0:3], 0 offset:548
	;; [unrolled: 1-line block ×3, first 2 shown]
	s_waitcnt vmcnt(58) lgkmcnt(0)
	v_mul_f64 v[36:37], v[12:13], v[115:116]
	ds_read_b128 v[2:5], v1 offset:896
	s_waitcnt vmcnt(56)
	v_fma_f64 v[113:114], v[6:7], v[119:120], -v[113:114]
	v_mul_f64 v[32:33], v[10:11], v[115:116]
	v_add_f64 v[18:19], v[18:19], v[34:35]
	v_fma_f64 v[34:35], v[8:9], v[119:120], v[158:159]
	v_add_f64 v[14:15], v[14:15], v[30:31]
	buffer_load_dword v158, off, s[0:3], 0 offset:564
	ds_read_b128 v[6:9], v1 offset:912
	s_waitcnt vmcnt(53) lgkmcnt(1)
	v_mul_f64 v[115:116], v[4:5], v[121:122]
	s_waitcnt vmcnt(52)
	v_fma_f64 v[36:37], v[10:11], v[117:118], -v[36:37]
	v_mul_f64 v[30:31], v[2:3], v[121:122]
	v_fma_f64 v[32:33], v[12:13], v[117:118], v[32:33]
	ds_read_b128 v[10:13], v1 offset:928
	v_add_f64 v[18:19], v[18:19], v[113:114]
	v_add_f64 v[14:15], v[14:15], v[34:35]
	s_waitcnt vmcnt(51) lgkmcnt(1)
	v_mul_f64 v[113:114], v[8:9], v[123:124]
	v_mul_f64 v[34:35], v[6:7], v[123:124]
	s_waitcnt vmcnt(49)
	v_fma_f64 v[115:116], v[2:3], v[127:128], -v[115:116]
	v_fma_f64 v[30:31], v[4:5], v[127:128], v[30:31]
	s_waitcnt vmcnt(45) lgkmcnt(0)
	v_mul_f64 v[119:120], v[12:13], v[129:130]
	v_mul_f64 v[117:118], v[10:11], v[129:130]
	v_add_f64 v[18:19], v[18:19], v[36:37]
	v_add_f64 v[14:15], v[14:15], v[32:33]
	s_clause 0x3
	buffer_load_dword v32, off, s[0:3], 0 offset:192
	buffer_load_dword v33, off, s[0:3], 0 offset:196
	;; [unrolled: 1-line block ×4, first 2 shown]
	s_waitcnt vmcnt(48)
	v_fma_f64 v[113:114], v[6:7], v[125:126], -v[113:114]
	ds_read_b128 v[2:5], v1 offset:944
	v_fma_f64 v[34:35], v[8:9], v[125:126], v[34:35]
	ds_read_b128 v[6:9], v1 offset:960
	s_waitcnt vmcnt(45)
	v_fma_f64 v[119:120], v[10:11], v[135:136], -v[119:120]
	v_add_f64 v[18:19], v[18:19], v[115:116]
	v_add_f64 v[14:15], v[14:15], v[30:31]
	s_waitcnt lgkmcnt(1)
	v_mul_f64 v[115:116], v[4:5], v[131:132]
	v_mul_f64 v[30:31], v[2:3], v[131:132]
	v_add_f64 v[18:19], v[18:19], v[113:114]
	v_fma_f64 v[113:114], v[12:13], v[135:136], v[117:118]
	v_add_f64 v[14:15], v[14:15], v[34:35]
	s_waitcnt vmcnt(41) lgkmcnt(0)
	v_mul_f64 v[117:118], v[8:9], v[137:138]
	s_waitcnt vmcnt(40)
	v_fma_f64 v[115:116], v[2:3], v[133:134], -v[115:116]
	ds_read_b128 v[10:13], v1 offset:976
	v_mul_f64 v[34:35], v[6:7], v[137:138]
	v_fma_f64 v[30:31], v[4:5], v[133:134], v[30:31]
	ds_read_b128 v[2:5], v1 offset:992
	v_add_f64 v[18:19], v[18:19], v[119:120]
	v_add_f64 v[14:15], v[14:15], v[113:114]
	s_waitcnt vmcnt(39) lgkmcnt(1)
	v_mul_f64 v[119:120], v[12:13], v[139:140]
	s_waitcnt vmcnt(37)
	v_fma_f64 v[117:118], v[6:7], v[143:144], -v[117:118]
	v_mul_f64 v[113:114], v[10:11], v[139:140]
	v_fma_f64 v[34:35], v[8:9], v[143:144], v[34:35]
	ds_read_b128 v[6:9], v1 offset:1008
	v_add_f64 v[18:19], v[18:19], v[115:116]
	s_waitcnt vmcnt(33) lgkmcnt(1)
	v_mul_f64 v[115:116], v[4:5], v[149:150]
	v_add_f64 v[14:15], v[14:15], v[30:31]
	s_waitcnt vmcnt(32)
	v_fma_f64 v[119:120], v[10:11], v[141:142], -v[119:120]
	v_mul_f64 v[30:31], v[2:3], v[149:150]
	v_fma_f64 v[113:114], v[12:13], v[141:142], v[113:114]
	ds_read_b128 v[10:13], v1 offset:1024
	v_add_f64 v[18:19], v[18:19], v[117:118]
	v_add_f64 v[14:15], v[14:15], v[34:35]
	s_waitcnt vmcnt(31) lgkmcnt(1)
	v_mul_f64 v[117:118], v[8:9], v[151:152]
	v_mul_f64 v[34:35], v[6:7], v[151:152]
	s_waitcnt vmcnt(29)
	v_fma_f64 v[115:116], v[2:3], v[147:148], -v[115:116]
	v_fma_f64 v[30:31], v[4:5], v[147:148], v[30:31]
	ds_read_b128 v[2:5], v1 offset:1040
	v_add_f64 v[18:19], v[18:19], v[119:120]
	v_add_f64 v[14:15], v[14:15], v[113:114]
	s_waitcnt vmcnt(25) lgkmcnt(1)
	v_mul_f64 v[113:114], v[10:11], v[20:21]
	v_mul_f64 v[20:21], v[12:13], v[20:21]
	s_waitcnt vmcnt(24)
	v_fma_f64 v[117:118], v[6:7], v[153:154], -v[117:118]
	;; [unrolled: 9-line block ×4, first 2 shown]
	v_add_f64 v[18:19], v[18:19], v[20:21]
	v_fma_f64 v[20:21], v[4:5], v[160:161], v[30:31]
	v_add_f64 v[14:15], v[14:15], v[16:17]
	ds_read_b128 v[2:5], v1 offset:1088
	s_waitcnt vmcnt(15) lgkmcnt(1)
	v_mul_f64 v[30:31], v[12:13], v[145:146]
	v_mul_f64 v[16:17], v[10:11], v[145:146]
	s_waitcnt vmcnt(13)
	v_fma_f64 v[28:29], v[6:7], v[26:27], -v[28:29]
	v_fma_f64 v[26:27], v[8:9], v[26:27], v[34:35]
	ds_read_b128 v[6:9], v1 offset:1104
	v_add_f64 v[18:19], v[18:19], v[113:114]
	v_add_f64 v[14:15], v[14:15], v[20:21]
	s_waitcnt vmcnt(9) lgkmcnt(1)
	v_mul_f64 v[20:21], v[2:3], v[22:23]
	v_mul_f64 v[22:23], v[4:5], v[22:23]
	s_waitcnt vmcnt(8)
	v_fma_f64 v[10:11], v[10:11], v[162:163], -v[30:31]
	v_fma_f64 v[12:13], v[12:13], v[162:163], v[16:17]
	v_add_f64 v[18:19], v[18:19], v[28:29]
	v_add_f64 v[14:15], v[14:15], v[26:27]
	s_waitcnt vmcnt(7) lgkmcnt(0)
	v_mul_f64 v[26:27], v[8:9], v[111:112]
	v_mul_f64 v[16:17], v[6:7], v[111:112]
	s_waitcnt vmcnt(5)
	v_fma_f64 v[2:3], v[2:3], v[24:25], -v[22:23]
	v_fma_f64 v[4:5], v[4:5], v[24:25], v[20:21]
	v_add_f64 v[10:11], v[18:19], v[10:11]
	v_add_f64 v[12:13], v[14:15], v[12:13]
	s_waitcnt vmcnt(4)
	v_fma_f64 v[6:7], v[6:7], v[157:158], -v[26:27]
	v_fma_f64 v[8:9], v[8:9], v[157:158], v[16:17]
	v_add_f64 v[2:3], v[10:11], v[2:3]
	v_add_f64 v[4:5], v[12:13], v[4:5]
	;; [unrolled: 1-line block ×4, first 2 shown]
	s_waitcnt vmcnt(2)
	v_add_f64 v[2:3], v[32:33], -v[2:3]
	s_waitcnt vmcnt(0)
	v_add_f64 v[4:5], v[36:37], -v[4:5]
	buffer_store_dword v3, off, s[0:3], 0 offset:196
	buffer_store_dword v2, off, s[0:3], 0 offset:192
	;; [unrolled: 1-line block ×4, first 2 shown]
	v_cmpx_lt_u32_e32 10, v0
	s_cbranch_execz .LBB34_203
; %bb.202:
	v_mov_b32_e32 v5, s37
	s_clause 0x3
	buffer_load_dword v2, v5, s[0:3], 0 offen
	buffer_load_dword v3, v5, s[0:3], 0 offen offset:4
	buffer_load_dword v4, v5, s[0:3], 0 offen offset:8
	;; [unrolled: 1-line block ×3, first 2 shown]
	buffer_store_dword v1, off, s[0:3], 0 offset:176
	buffer_store_dword v1, off, s[0:3], 0 offset:180
	;; [unrolled: 1-line block ×4, first 2 shown]
	s_waitcnt vmcnt(0)
	ds_write_b128 v39, v[2:5]
.LBB34_203:
	s_or_b32 exec_lo, exec_lo, s4
	s_waitcnt lgkmcnt(0)
	s_waitcnt_vscnt null, 0x0
	s_barrier
	buffer_gl0_inv
	s_clause 0x37
	buffer_load_dword v10, off, s[0:3], 0 offset:200
	buffer_load_dword v11, off, s[0:3], 0 offset:204
	;; [unrolled: 1-line block ×56, first 2 shown]
	ds_read_b128 v[2:5], v1 offset:736
	s_clause 0x2
	buffer_load_dword v140, off, s[0:3], 0 offset:428
	buffer_load_dword v144, off, s[0:3], 0 offset:404
	;; [unrolled: 1-line block ×3, first 2 shown]
	ds_read_b128 v[6:9], v1 offset:752
	s_clause 0x4
	buffer_load_dword v150, off, s[0:3], 0 offset:444
	buffer_load_dword v151, off, s[0:3], 0 offset:456
	buffer_load_dword v153, off, s[0:3], 0 offset:448
	buffer_load_dword v149, off, s[0:3], 0 offset:440
	buffer_load_dword v142, off, s[0:3], 0 offset:420
	s_mov_b32 s4, exec_lo
	s_waitcnt vmcnt(62) lgkmcnt(1)
	v_mul_f64 v[145:146], v[4:5], v[10:11]
	v_mul_f64 v[147:148], v[2:3], v[10:11]
	s_waitcnt vmcnt(60) lgkmcnt(0)
	v_mul_f64 v[154:155], v[8:9], v[14:15]
	ds_read_b128 v[10:13], v1 offset:768
	v_mul_f64 v[14:15], v[6:7], v[14:15]
	s_waitcnt vmcnt(58)
	v_fma_f64 v[145:146], v[2:3], v[16:17], -v[145:146]
	v_fma_f64 v[16:17], v[4:5], v[16:17], v[147:148]
	s_clause 0x2
	buffer_load_dword v152, off, s[0:3], 0 offset:460
	buffer_load_dword v148, off, s[0:3], 0 offset:436
	;; [unrolled: 1-line block ×3, first 2 shown]
	s_waitcnt vmcnt(59) lgkmcnt(0)
	v_mul_f64 v[156:157], v[10:11], v[18:19]
	v_mul_f64 v[18:19], v[12:13], v[18:19]
	s_waitcnt vmcnt(57)
	v_fma_f64 v[158:159], v[6:7], v[20:21], -v[154:155]
	ds_read_b128 v[2:5], v1 offset:784
	v_fma_f64 v[14:15], v[8:9], v[20:21], v[14:15]
	s_clause 0x4
	buffer_load_dword v21, off, s[0:3], 0 offset:476
	buffer_load_dword v155, off, s[0:3], 0 offset:488
	;; [unrolled: 1-line block ×5, first 2 shown]
	ds_read_b128 v[6:9], v1 offset:800
	v_add_f64 v[145:146], v[145:146], 0
	v_add_f64 v[16:17], v[16:17], 0
	s_waitcnt vmcnt(58) lgkmcnt(1)
	v_mul_f64 v[161:162], v[2:3], v[22:23]
	v_mul_f64 v[22:23], v[4:5], v[22:23]
	s_waitcnt vmcnt(56)
	v_fma_f64 v[18:19], v[10:11], v[28:29], -v[18:19]
	v_fma_f64 v[28:29], v[12:13], v[28:29], v[156:157]
	v_add_f64 v[145:146], v[145:146], v[158:159]
	v_add_f64 v[14:15], v[16:17], v[14:15]
	s_clause 0x2
	buffer_load_dword v156, off, s[0:3], 0 offset:492
	buffer_load_dword v17, off, s[0:3], 0 offset:468
	;; [unrolled: 1-line block ×3, first 2 shown]
	s_waitcnt vmcnt(58) lgkmcnt(0)
	v_mul_f64 v[157:158], v[6:7], v[24:25]
	v_mul_f64 v[24:25], v[8:9], v[24:25]
	s_waitcnt vmcnt(56)
	v_fma_f64 v[22:23], v[2:3], v[30:31], -v[22:23]
	ds_read_b128 v[10:13], v1 offset:816
	v_fma_f64 v[30:31], v[4:5], v[30:31], v[161:162]
	v_add_f64 v[18:19], v[145:146], v[18:19]
	v_add_f64 v[14:15], v[14:15], v[28:29]
	s_clause 0x4
	buffer_load_dword v29, off, s[0:3], 0 offset:508
	buffer_load_dword v145, off, s[0:3], 0 offset:520
	;; [unrolled: 1-line block ×5, first 2 shown]
	ds_read_b128 v[2:5], v1 offset:832
	s_waitcnt vmcnt(57) lgkmcnt(1)
	v_mul_f64 v[163:164], v[10:11], v[32:33]
	v_mul_f64 v[32:33], v[12:13], v[32:33]
	s_waitcnt vmcnt(56)
	v_fma_f64 v[24:25], v[6:7], v[26:27], -v[24:25]
	v_add_f64 v[18:19], v[18:19], v[22:23]
	v_fma_f64 v[22:23], v[8:9], v[26:27], v[157:158]
	v_add_f64 v[14:15], v[14:15], v[30:31]
	s_clause 0x2
	buffer_load_dword v146, off, s[0:3], 0 offset:524
	buffer_load_dword v27, off, s[0:3], 0 offset:500
	;; [unrolled: 1-line block ×3, first 2 shown]
	s_waitcnt vmcnt(58) lgkmcnt(0)
	v_mul_f64 v[30:31], v[2:3], v[34:35]
	v_mul_f64 v[34:35], v[4:5], v[34:35]
	s_waitcnt vmcnt(56)
	v_fma_f64 v[32:33], v[10:11], v[111:112], -v[32:33]
	ds_read_b128 v[6:9], v1 offset:848
	v_add_f64 v[18:19], v[18:19], v[24:25]
	v_fma_f64 v[24:25], v[12:13], v[111:112], v[163:164]
	v_add_f64 v[14:15], v[14:15], v[22:23]
	s_clause 0x4
	buffer_load_dword v23, off, s[0:3], 0 offset:540
	buffer_load_dword v111, off, s[0:3], 0 offset:552
	;; [unrolled: 1-line block ×5, first 2 shown]
	ds_read_b128 v[10:13], v1 offset:864
	s_waitcnt vmcnt(57) lgkmcnt(1)
	v_mul_f64 v[158:159], v[6:7], v[113:114]
	v_mul_f64 v[113:114], v[8:9], v[113:114]
	s_waitcnt vmcnt(56)
	v_fma_f64 v[34:35], v[2:3], v[36:37], -v[34:35]
	v_fma_f64 v[30:31], v[4:5], v[36:37], v[30:31]
	v_add_f64 v[18:19], v[18:19], v[32:33]
	v_add_f64 v[14:15], v[14:15], v[24:25]
	s_clause 0x2
	buffer_load_dword v112, off, s[0:3], 0 offset:556
	buffer_load_dword v25, off, s[0:3], 0 offset:532
	;; [unrolled: 1-line block ×3, first 2 shown]
	s_waitcnt vmcnt(58) lgkmcnt(0)
	v_mul_f64 v[36:37], v[12:13], v[115:116]
	ds_read_b128 v[2:5], v1 offset:880
	s_waitcnt vmcnt(56)
	v_fma_f64 v[113:114], v[6:7], v[119:120], -v[113:114]
	v_mul_f64 v[32:33], v[10:11], v[115:116]
	v_add_f64 v[18:19], v[18:19], v[34:35]
	v_fma_f64 v[34:35], v[8:9], v[119:120], v[158:159]
	v_add_f64 v[14:15], v[14:15], v[30:31]
	s_clause 0x2
	buffer_load_dword v31, off, s[0:3], 0 offset:572
	buffer_load_dword v30, off, s[0:3], 0 offset:568
	buffer_load_dword v158, off, s[0:3], 0 offset:548
	s_waitcnt vmcnt(55) lgkmcnt(0)
	v_mul_f64 v[119:120], v[4:5], v[121:122]
	s_waitcnt vmcnt(54)
	v_fma_f64 v[36:37], v[10:11], v[117:118], -v[36:37]
	ds_read_b128 v[6:9], v1 offset:896
	v_mul_f64 v[115:116], v[2:3], v[121:122]
	v_fma_f64 v[32:33], v[12:13], v[117:118], v[32:33]
	v_add_f64 v[18:19], v[18:19], v[113:114]
	v_add_f64 v[14:15], v[14:15], v[34:35]
	s_clause 0x1
	buffer_load_dword v35, off, s[0:3], 0 offset:564
	buffer_load_dword v34, off, s[0:3], 0 offset:560
	s_waitcnt vmcnt(55) lgkmcnt(0)
	v_mul_f64 v[117:118], v[8:9], v[123:124]
	s_waitcnt vmcnt(53)
	v_fma_f64 v[119:120], v[2:3], v[127:128], -v[119:120]
	ds_read_b128 v[10:13], v1 offset:912
	v_mul_f64 v[113:114], v[6:7], v[123:124]
	v_add_f64 v[18:19], v[18:19], v[36:37]
	v_fma_f64 v[36:37], v[4:5], v[127:128], v[115:116]
	v_add_f64 v[14:15], v[14:15], v[32:33]
	ds_read_b128 v[2:5], v1 offset:928
	s_waitcnt vmcnt(49) lgkmcnt(1)
	v_mul_f64 v[115:116], v[12:13], v[129:130]
	s_waitcnt vmcnt(48)
	v_fma_f64 v[117:118], v[6:7], v[125:126], -v[117:118]
	v_mul_f64 v[32:33], v[10:11], v[129:130]
	v_fma_f64 v[113:114], v[8:9], v[125:126], v[113:114]
	v_add_f64 v[18:19], v[18:19], v[119:120]
	s_waitcnt vmcnt(47) lgkmcnt(0)
	v_mul_f64 v[123:124], v[4:5], v[131:132]
	v_add_f64 v[14:15], v[14:15], v[36:37]
	s_clause 0x3
	buffer_load_dword v36, off, s[0:3], 0 offset:176
	buffer_load_dword v37, off, s[0:3], 0 offset:180
	;; [unrolled: 1-line block ×4, first 2 shown]
	s_waitcnt vmcnt(49)
	v_fma_f64 v[115:116], v[10:11], v[135:136], -v[115:116]
	ds_read_b128 v[6:9], v1 offset:944
	v_mul_f64 v[121:122], v[2:3], v[131:132]
	v_fma_f64 v[32:33], v[12:13], v[135:136], v[32:33]
	ds_read_b128 v[10:13], v1 offset:960
	v_add_f64 v[18:19], v[18:19], v[117:118]
	s_waitcnt vmcnt(44)
	v_fma_f64 v[123:124], v[2:3], v[133:134], -v[123:124]
	v_add_f64 v[14:15], v[14:15], v[113:114]
	s_waitcnt lgkmcnt(1)
	v_mul_f64 v[117:118], v[8:9], v[137:138]
	v_mul_f64 v[113:114], v[6:7], v[137:138]
	v_add_f64 v[18:19], v[18:19], v[115:116]
	v_fma_f64 v[115:116], v[4:5], v[133:134], v[121:122]
	v_add_f64 v[14:15], v[14:15], v[32:33]
	s_waitcnt vmcnt(43) lgkmcnt(0)
	v_mul_f64 v[121:122], v[12:13], v[139:140]
	s_waitcnt vmcnt(41)
	v_fma_f64 v[117:118], v[6:7], v[143:144], -v[117:118]
	ds_read_b128 v[2:5], v1 offset:976
	v_mul_f64 v[32:33], v[10:11], v[139:140]
	v_fma_f64 v[113:114], v[8:9], v[143:144], v[113:114]
	ds_read_b128 v[6:9], v1 offset:992
	v_add_f64 v[18:19], v[18:19], v[123:124]
	v_add_f64 v[14:15], v[14:15], v[115:116]
	s_waitcnt vmcnt(37) lgkmcnt(1)
	v_mul_f64 v[123:124], v[4:5], v[149:150]
	s_waitcnt vmcnt(36)
	v_fma_f64 v[121:122], v[10:11], v[141:142], -v[121:122]
	v_mul_f64 v[115:116], v[2:3], v[149:150]
	v_fma_f64 v[32:33], v[12:13], v[141:142], v[32:33]
	ds_read_b128 v[10:13], v1 offset:1008
	v_add_f64 v[18:19], v[18:19], v[117:118]
	v_add_f64 v[14:15], v[14:15], v[113:114]
	s_waitcnt vmcnt(35) lgkmcnt(1)
	v_mul_f64 v[117:118], v[8:9], v[151:152]
	v_mul_f64 v[113:114], v[6:7], v[151:152]
	s_waitcnt vmcnt(33)
	v_fma_f64 v[123:124], v[2:3], v[147:148], -v[123:124]
	v_fma_f64 v[115:116], v[4:5], v[147:148], v[115:116]
	ds_read_b128 v[2:5], v1 offset:1024
	v_add_f64 v[18:19], v[18:19], v[121:122]
	v_add_f64 v[14:15], v[14:15], v[32:33]
	s_waitcnt vmcnt(29) lgkmcnt(1)
	v_mul_f64 v[32:33], v[10:11], v[20:21]
	v_mul_f64 v[20:21], v[12:13], v[20:21]
	s_waitcnt vmcnt(28)
	v_fma_f64 v[117:118], v[6:7], v[153:154], -v[117:118]
	;; [unrolled: 9-line block ×4, first 2 shown]
	v_add_f64 v[18:19], v[18:19], v[20:21]
	v_fma_f64 v[20:21], v[4:5], v[160:161], v[115:116]
	v_add_f64 v[14:15], v[14:15], v[16:17]
	ds_read_b128 v[2:5], v1 offset:1072
	s_waitcnt vmcnt(19) lgkmcnt(1)
	v_mul_f64 v[115:116], v[12:13], v[145:146]
	v_mul_f64 v[16:17], v[10:11], v[145:146]
	s_waitcnt vmcnt(17)
	v_fma_f64 v[28:29], v[6:7], v[26:27], -v[28:29]
	v_fma_f64 v[26:27], v[8:9], v[26:27], v[32:33]
	ds_read_b128 v[6:9], v1 offset:1088
	v_add_f64 v[18:19], v[18:19], v[113:114]
	v_add_f64 v[14:15], v[14:15], v[20:21]
	s_waitcnt vmcnt(13) lgkmcnt(1)
	v_mul_f64 v[20:21], v[2:3], v[22:23]
	v_mul_f64 v[22:23], v[4:5], v[22:23]
	s_waitcnt vmcnt(12)
	v_fma_f64 v[32:33], v[10:11], v[162:163], -v[115:116]
	v_fma_f64 v[16:17], v[12:13], v[162:163], v[16:17]
	ds_read_b128 v[10:13], v1 offset:1104
	v_add_f64 v[18:19], v[18:19], v[28:29]
	v_add_f64 v[14:15], v[14:15], v[26:27]
	s_waitcnt vmcnt(11) lgkmcnt(1)
	v_mul_f64 v[28:29], v[8:9], v[111:112]
	v_mul_f64 v[26:27], v[6:7], v[111:112]
	s_waitcnt vmcnt(9)
	v_fma_f64 v[1:2], v[2:3], v[24:25], -v[22:23]
	v_fma_f64 v[3:4], v[4:5], v[24:25], v[20:21]
	v_add_f64 v[18:19], v[18:19], v[32:33]
	v_add_f64 v[14:15], v[14:15], v[16:17]
	s_waitcnt vmcnt(7) lgkmcnt(0)
	v_mul_f64 v[20:21], v[12:13], v[30:31]
	s_waitcnt vmcnt(6)
	v_fma_f64 v[5:6], v[6:7], v[157:158], -v[28:29]
	v_mul_f64 v[16:17], v[10:11], v[30:31]
	v_fma_f64 v[7:8], v[8:9], v[157:158], v[26:27]
	v_add_f64 v[1:2], v[18:19], v[1:2]
	v_add_f64 v[3:4], v[14:15], v[3:4]
	s_waitcnt vmcnt(4)
	v_fma_f64 v[9:10], v[10:11], v[34:35], -v[20:21]
	v_add_f64 v[1:2], v[1:2], v[5:6]
	v_fma_f64 v[5:6], v[12:13], v[34:35], v[16:17]
	v_add_f64 v[3:4], v[3:4], v[7:8]
	v_add_f64 v[1:2], v[1:2], v[9:10]
	;; [unrolled: 1-line block ×3, first 2 shown]
	s_waitcnt vmcnt(2)
	v_add_f64 v[1:2], v[36:37], -v[1:2]
	s_waitcnt vmcnt(0)
	v_add_f64 v[3:4], v[119:120], -v[3:4]
	buffer_store_dword v2, off, s[0:3], 0 offset:180
	buffer_store_dword v1, off, s[0:3], 0 offset:176
	;; [unrolled: 1-line block ×4, first 2 shown]
	v_cmpx_lt_u32_e32 9, v0
	s_cbranch_execz .LBB34_205
; %bb.204:
	v_mov_b32_e32 v4, s38
	v_mov_b32_e32 v5, 0
	s_clause 0x3
	buffer_load_dword v1, v4, s[0:3], 0 offen
	buffer_load_dword v2, v4, s[0:3], 0 offen offset:4
	buffer_load_dword v3, v4, s[0:3], 0 offen offset:8
	;; [unrolled: 1-line block ×3, first 2 shown]
	buffer_store_dword v5, off, s[0:3], 0 offset:160
	buffer_store_dword v5, off, s[0:3], 0 offset:164
	;; [unrolled: 1-line block ×4, first 2 shown]
	s_waitcnt vmcnt(0)
	ds_write_b128 v39, v[1:4]
.LBB34_205:
	s_or_b32 exec_lo, exec_lo, s4
	s_waitcnt lgkmcnt(0)
	s_waitcnt_vscnt null, 0x0
	s_barrier
	buffer_gl0_inv
	s_clause 0x37
	buffer_load_dword v10, off, s[0:3], 0 offset:184
	buffer_load_dword v11, off, s[0:3], 0 offset:188
	buffer_load_dword v14, off, s[0:3], 0 offset:200
	buffer_load_dword v15, off, s[0:3], 0 offset:204
	buffer_load_dword v16, off, s[0:3], 0 offset:176
	buffer_load_dword v17, off, s[0:3], 0 offset:180
	buffer_load_dword v18, off, s[0:3], 0 offset:216
	buffer_load_dword v19, off, s[0:3], 0 offset:220
	buffer_load_dword v20, off, s[0:3], 0 offset:192
	buffer_load_dword v21, off, s[0:3], 0 offset:196
	buffer_load_dword v23, off, s[0:3], 0 offset:236
	buffer_load_dword v24, off, s[0:3], 0 offset:248
	buffer_load_dword v26, off, s[0:3], 0 offset:240
	buffer_load_dword v22, off, s[0:3], 0 offset:232
	buffer_load_dword v28, off, s[0:3], 0 offset:208
	buffer_load_dword v29, off, s[0:3], 0 offset:212
	buffer_load_dword v25, off, s[0:3], 0 offset:252
	buffer_load_dword v31, off, s[0:3], 0 offset:228
	buffer_load_dword v30, off, s[0:3], 0 offset:224
	buffer_load_dword v33, off, s[0:3], 0 offset:268
	buffer_load_dword v34, off, s[0:3], 0 offset:280
	buffer_load_dword v36, off, s[0:3], 0 offset:272
	buffer_load_dword v32, off, s[0:3], 0 offset:264
	buffer_load_dword v27, off, s[0:3], 0 offset:244
	buffer_load_dword v35, off, s[0:3], 0 offset:284
	buffer_load_dword v112, off, s[0:3], 0 offset:260
	buffer_load_dword v111, off, s[0:3], 0 offset:256
	buffer_load_dword v114, off, s[0:3], 0 offset:300
	buffer_load_dword v115, off, s[0:3], 0 offset:312
	buffer_load_dword v117, off, s[0:3], 0 offset:304
	buffer_load_dword v113, off, s[0:3], 0 offset:296
	buffer_load_dword v37, off, s[0:3], 0 offset:276
	buffer_load_dword v116, off, s[0:3], 0 offset:316
	buffer_load_dword v120, off, s[0:3], 0 offset:292
	buffer_load_dword v119, off, s[0:3], 0 offset:288
	buffer_load_dword v122, off, s[0:3], 0 offset:332
	buffer_load_dword v123, off, s[0:3], 0 offset:344
	buffer_load_dword v125, off, s[0:3], 0 offset:336
	buffer_load_dword v121, off, s[0:3], 0 offset:328
	buffer_load_dword v118, off, s[0:3], 0 offset:308
	buffer_load_dword v124, off, s[0:3], 0 offset:348
	buffer_load_dword v128, off, s[0:3], 0 offset:324
	buffer_load_dword v127, off, s[0:3], 0 offset:320
	buffer_load_dword v130, off, s[0:3], 0 offset:364
	buffer_load_dword v131, off, s[0:3], 0 offset:376
	buffer_load_dword v133, off, s[0:3], 0 offset:368
	buffer_load_dword v129, off, s[0:3], 0 offset:360
	buffer_load_dword v126, off, s[0:3], 0 offset:340
	buffer_load_dword v132, off, s[0:3], 0 offset:380
	buffer_load_dword v136, off, s[0:3], 0 offset:356
	buffer_load_dword v135, off, s[0:3], 0 offset:352
	buffer_load_dword v138, off, s[0:3], 0 offset:396
	buffer_load_dword v139, off, s[0:3], 0 offset:408
	buffer_load_dword v141, off, s[0:3], 0 offset:400
	buffer_load_dword v137, off, s[0:3], 0 offset:392
	buffer_load_dword v134, off, s[0:3], 0 offset:372
	v_mov_b32_e32 v1, 0
	s_mov_b32 s4, exec_lo
	ds_read_b128 v[2:5], v1 offset:720
	s_clause 0x2
	buffer_load_dword v140, off, s[0:3], 0 offset:412
	buffer_load_dword v144, off, s[0:3], 0 offset:388
	;; [unrolled: 1-line block ×3, first 2 shown]
	ds_read_b128 v[6:9], v1 offset:736
	s_clause 0x4
	buffer_load_dword v150, off, s[0:3], 0 offset:428
	buffer_load_dword v151, off, s[0:3], 0 offset:440
	;; [unrolled: 1-line block ×5, first 2 shown]
	s_waitcnt vmcnt(62) lgkmcnt(1)
	v_mul_f64 v[145:146], v[4:5], v[10:11]
	v_mul_f64 v[147:148], v[2:3], v[10:11]
	s_waitcnt vmcnt(60) lgkmcnt(0)
	v_mul_f64 v[154:155], v[8:9], v[14:15]
	ds_read_b128 v[10:13], v1 offset:752
	v_mul_f64 v[14:15], v[6:7], v[14:15]
	s_waitcnt vmcnt(58)
	v_fma_f64 v[145:146], v[2:3], v[16:17], -v[145:146]
	v_fma_f64 v[16:17], v[4:5], v[16:17], v[147:148]
	s_clause 0x2
	buffer_load_dword v152, off, s[0:3], 0 offset:444
	buffer_load_dword v148, off, s[0:3], 0 offset:420
	;; [unrolled: 1-line block ×3, first 2 shown]
	s_waitcnt vmcnt(59) lgkmcnt(0)
	v_mul_f64 v[156:157], v[10:11], v[18:19]
	v_mul_f64 v[18:19], v[12:13], v[18:19]
	s_waitcnt vmcnt(57)
	v_fma_f64 v[158:159], v[6:7], v[20:21], -v[154:155]
	ds_read_b128 v[2:5], v1 offset:768
	v_fma_f64 v[14:15], v[8:9], v[20:21], v[14:15]
	s_clause 0x4
	buffer_load_dword v21, off, s[0:3], 0 offset:460
	buffer_load_dword v155, off, s[0:3], 0 offset:472
	;; [unrolled: 1-line block ×5, first 2 shown]
	ds_read_b128 v[6:9], v1 offset:784
	v_add_f64 v[145:146], v[145:146], 0
	v_add_f64 v[16:17], v[16:17], 0
	s_waitcnt vmcnt(58) lgkmcnt(1)
	v_mul_f64 v[161:162], v[2:3], v[22:23]
	v_mul_f64 v[22:23], v[4:5], v[22:23]
	s_waitcnt vmcnt(56)
	v_fma_f64 v[18:19], v[10:11], v[28:29], -v[18:19]
	v_fma_f64 v[28:29], v[12:13], v[28:29], v[156:157]
	v_add_f64 v[145:146], v[145:146], v[158:159]
	v_add_f64 v[14:15], v[16:17], v[14:15]
	s_clause 0x2
	buffer_load_dword v156, off, s[0:3], 0 offset:476
	buffer_load_dword v17, off, s[0:3], 0 offset:452
	;; [unrolled: 1-line block ×3, first 2 shown]
	s_waitcnt vmcnt(58) lgkmcnt(0)
	v_mul_f64 v[157:158], v[6:7], v[24:25]
	v_mul_f64 v[24:25], v[8:9], v[24:25]
	s_waitcnt vmcnt(56)
	v_fma_f64 v[22:23], v[2:3], v[30:31], -v[22:23]
	ds_read_b128 v[10:13], v1 offset:800
	v_fma_f64 v[30:31], v[4:5], v[30:31], v[161:162]
	v_add_f64 v[18:19], v[145:146], v[18:19]
	v_add_f64 v[14:15], v[14:15], v[28:29]
	s_clause 0x4
	buffer_load_dword v29, off, s[0:3], 0 offset:492
	buffer_load_dword v145, off, s[0:3], 0 offset:504
	buffer_load_dword v162, off, s[0:3], 0 offset:496
	buffer_load_dword v28, off, s[0:3], 0 offset:488
	buffer_load_dword v161, off, s[0:3], 0 offset:468
	ds_read_b128 v[2:5], v1 offset:816
	s_waitcnt vmcnt(57) lgkmcnt(1)
	v_mul_f64 v[163:164], v[10:11], v[32:33]
	v_mul_f64 v[32:33], v[12:13], v[32:33]
	s_waitcnt vmcnt(56)
	v_fma_f64 v[24:25], v[6:7], v[26:27], -v[24:25]
	v_add_f64 v[18:19], v[18:19], v[22:23]
	v_fma_f64 v[22:23], v[8:9], v[26:27], v[157:158]
	v_add_f64 v[14:15], v[14:15], v[30:31]
	s_clause 0x2
	buffer_load_dword v146, off, s[0:3], 0 offset:508
	buffer_load_dword v27, off, s[0:3], 0 offset:484
	;; [unrolled: 1-line block ×3, first 2 shown]
	s_waitcnt vmcnt(58) lgkmcnt(0)
	v_mul_f64 v[30:31], v[2:3], v[34:35]
	v_mul_f64 v[34:35], v[4:5], v[34:35]
	s_waitcnt vmcnt(56)
	v_fma_f64 v[32:33], v[10:11], v[111:112], -v[32:33]
	ds_read_b128 v[6:9], v1 offset:832
	v_add_f64 v[18:19], v[18:19], v[24:25]
	v_fma_f64 v[24:25], v[12:13], v[111:112], v[163:164]
	v_add_f64 v[14:15], v[14:15], v[22:23]
	s_clause 0x4
	buffer_load_dword v23, off, s[0:3], 0 offset:524
	buffer_load_dword v111, off, s[0:3], 0 offset:536
	;; [unrolled: 1-line block ×5, first 2 shown]
	ds_read_b128 v[10:13], v1 offset:848
	s_waitcnt vmcnt(57) lgkmcnt(1)
	v_mul_f64 v[158:159], v[6:7], v[113:114]
	v_mul_f64 v[113:114], v[8:9], v[113:114]
	s_waitcnt vmcnt(56)
	v_fma_f64 v[34:35], v[2:3], v[36:37], -v[34:35]
	v_fma_f64 v[30:31], v[4:5], v[36:37], v[30:31]
	v_add_f64 v[18:19], v[18:19], v[32:33]
	v_add_f64 v[14:15], v[14:15], v[24:25]
	s_clause 0x2
	buffer_load_dword v112, off, s[0:3], 0 offset:540
	buffer_load_dword v25, off, s[0:3], 0 offset:516
	;; [unrolled: 1-line block ×3, first 2 shown]
	s_waitcnt vmcnt(58) lgkmcnt(0)
	v_mul_f64 v[36:37], v[12:13], v[115:116]
	ds_read_b128 v[2:5], v1 offset:864
	s_waitcnt vmcnt(56)
	v_fma_f64 v[113:114], v[6:7], v[119:120], -v[113:114]
	v_mul_f64 v[32:33], v[10:11], v[115:116]
	v_add_f64 v[18:19], v[18:19], v[34:35]
	v_fma_f64 v[34:35], v[8:9], v[119:120], v[158:159]
	v_add_f64 v[14:15], v[14:15], v[30:31]
	s_clause 0x4
	buffer_load_dword v31, off, s[0:3], 0 offset:556
	buffer_load_dword v115, off, s[0:3], 0 offset:568
	;; [unrolled: 1-line block ×5, first 2 shown]
	s_waitcnt vmcnt(57) lgkmcnt(0)
	v_mul_f64 v[164:165], v[2:3], v[121:122]
	v_mul_f64 v[120:121], v[4:5], v[121:122]
	s_waitcnt vmcnt(56)
	v_fma_f64 v[36:37], v[10:11], v[117:118], -v[36:37]
	ds_read_b128 v[6:9], v1 offset:880
	v_fma_f64 v[32:33], v[12:13], v[117:118], v[32:33]
	v_add_f64 v[18:19], v[18:19], v[113:114]
	v_add_f64 v[14:15], v[14:15], v[34:35]
	s_clause 0x2
	buffer_load_dword v116, off, s[0:3], 0 offset:572
	buffer_load_dword v35, off, s[0:3], 0 offset:548
	buffer_load_dword v34, off, s[0:3], 0 offset:544
	ds_read_b128 v[10:13], v1 offset:896
	s_waitcnt vmcnt(58) lgkmcnt(1)
	v_mul_f64 v[117:118], v[8:9], v[123:124]
	s_waitcnt vmcnt(56)
	v_fma_f64 v[121:122], v[2:3], v[127:128], -v[120:121]
	v_mul_f64 v[113:114], v[6:7], v[123:124]
	buffer_load_dword v120, off, s[0:3], 0 offset:564
	v_add_f64 v[18:19], v[18:19], v[36:37]
	v_fma_f64 v[36:37], v[4:5], v[127:128], v[164:165]
	v_add_f64 v[14:15], v[14:15], v[32:33]
	ds_read_b128 v[2:5], v1 offset:912
	s_waitcnt vmcnt(53) lgkmcnt(1)
	v_mul_f64 v[123:124], v[12:13], v[129:130]
	s_waitcnt vmcnt(52)
	v_fma_f64 v[117:118], v[6:7], v[125:126], -v[117:118]
	v_mul_f64 v[32:33], v[10:11], v[129:130]
	v_fma_f64 v[113:114], v[8:9], v[125:126], v[113:114]
	ds_read_b128 v[6:9], v1 offset:928
	v_add_f64 v[18:19], v[18:19], v[121:122]
	s_waitcnt vmcnt(51) lgkmcnt(1)
	v_mul_f64 v[121:122], v[4:5], v[131:132]
	v_add_f64 v[14:15], v[14:15], v[36:37]
	v_mul_f64 v[36:37], v[2:3], v[131:132]
	s_waitcnt vmcnt(49)
	v_fma_f64 v[123:124], v[10:11], v[135:136], -v[123:124]
	v_fma_f64 v[32:33], v[12:13], v[135:136], v[32:33]
	s_waitcnt vmcnt(45) lgkmcnt(0)
	v_mul_f64 v[127:128], v[8:9], v[137:138]
	v_mul_f64 v[125:126], v[6:7], v[137:138]
	v_add_f64 v[18:19], v[18:19], v[117:118]
	s_waitcnt vmcnt(44)
	v_fma_f64 v[121:122], v[2:3], v[133:134], -v[121:122]
	v_add_f64 v[14:15], v[14:15], v[113:114]
	s_clause 0x3
	buffer_load_dword v113, off, s[0:3], 0 offset:160
	buffer_load_dword v114, off, s[0:3], 0 offset:164
	;; [unrolled: 1-line block ×4, first 2 shown]
	ds_read_b128 v[10:13], v1 offset:944
	v_fma_f64 v[36:37], v[4:5], v[133:134], v[36:37]
	ds_read_b128 v[2:5], v1 offset:960
	s_waitcnt vmcnt(45)
	v_fma_f64 v[127:128], v[6:7], v[143:144], -v[127:128]
	v_add_f64 v[18:19], v[18:19], v[123:124]
	v_add_f64 v[14:15], v[14:15], v[32:33]
	s_waitcnt lgkmcnt(1)
	v_mul_f64 v[123:124], v[12:13], v[139:140]
	v_mul_f64 v[32:33], v[10:11], v[139:140]
	v_add_f64 v[18:19], v[18:19], v[121:122]
	v_fma_f64 v[121:122], v[8:9], v[143:144], v[125:126]
	v_add_f64 v[14:15], v[14:15], v[36:37]
	s_waitcnt vmcnt(41) lgkmcnt(0)
	v_mul_f64 v[125:126], v[4:5], v[149:150]
	s_waitcnt vmcnt(40)
	v_fma_f64 v[123:124], v[10:11], v[141:142], -v[123:124]
	ds_read_b128 v[6:9], v1 offset:976
	v_mul_f64 v[36:37], v[2:3], v[149:150]
	v_fma_f64 v[32:33], v[12:13], v[141:142], v[32:33]
	ds_read_b128 v[10:13], v1 offset:992
	v_add_f64 v[18:19], v[18:19], v[127:128]
	v_add_f64 v[14:15], v[14:15], v[121:122]
	s_waitcnt vmcnt(39) lgkmcnt(1)
	v_mul_f64 v[127:128], v[8:9], v[151:152]
	v_mul_f64 v[121:122], v[6:7], v[151:152]
	s_waitcnt vmcnt(37)
	v_fma_f64 v[125:126], v[2:3], v[147:148], -v[125:126]
	v_fma_f64 v[36:37], v[4:5], v[147:148], v[36:37]
	ds_read_b128 v[2:5], v1 offset:1008
	v_add_f64 v[18:19], v[18:19], v[123:124]
	v_add_f64 v[14:15], v[14:15], v[32:33]
	s_waitcnt vmcnt(33) lgkmcnt(1)
	v_mul_f64 v[32:33], v[10:11], v[20:21]
	v_mul_f64 v[20:21], v[12:13], v[20:21]
	s_waitcnt vmcnt(32)
	v_fma_f64 v[123:124], v[6:7], v[153:154], -v[127:128]
	;; [unrolled: 9-line block ×4, first 2 shown]
	v_add_f64 v[18:19], v[18:19], v[20:21]
	v_fma_f64 v[20:21], v[4:5], v[160:161], v[36:37]
	v_add_f64 v[14:15], v[14:15], v[16:17]
	ds_read_b128 v[2:5], v1 offset:1056
	s_waitcnt vmcnt(23) lgkmcnt(1)
	v_mul_f64 v[36:37], v[12:13], v[145:146]
	v_mul_f64 v[16:17], v[10:11], v[145:146]
	s_waitcnt vmcnt(21)
	v_fma_f64 v[28:29], v[6:7], v[26:27], -v[28:29]
	v_fma_f64 v[26:27], v[8:9], v[26:27], v[32:33]
	ds_read_b128 v[6:9], v1 offset:1072
	v_add_f64 v[18:19], v[18:19], v[121:122]
	v_add_f64 v[14:15], v[14:15], v[20:21]
	s_waitcnt vmcnt(17) lgkmcnt(1)
	v_mul_f64 v[20:21], v[2:3], v[22:23]
	v_mul_f64 v[22:23], v[4:5], v[22:23]
	s_waitcnt vmcnt(16)
	v_fma_f64 v[32:33], v[10:11], v[162:163], -v[36:37]
	v_fma_f64 v[16:17], v[12:13], v[162:163], v[16:17]
	ds_read_b128 v[10:13], v1 offset:1088
	v_add_f64 v[18:19], v[18:19], v[28:29]
	v_add_f64 v[14:15], v[14:15], v[26:27]
	;; [unrolled: 9-line block ×3, first 2 shown]
	s_waitcnt vmcnt(9) lgkmcnt(1)
	v_mul_f64 v[24:25], v[12:13], v[30:31]
	s_waitcnt vmcnt(8)
	v_fma_f64 v[6:7], v[6:7], v[157:158], -v[28:29]
	v_mul_f64 v[16:17], v[10:11], v[30:31]
	v_fma_f64 v[8:9], v[8:9], v[157:158], v[26:27]
	v_add_f64 v[18:19], v[18:19], v[22:23]
	v_add_f64 v[14:15], v[14:15], v[20:21]
	s_waitcnt vmcnt(7) lgkmcnt(0)
	v_mul_f64 v[22:23], v[4:5], v[115:116]
	v_mul_f64 v[20:21], v[2:3], v[115:116]
	s_waitcnt vmcnt(5)
	v_fma_f64 v[10:11], v[10:11], v[34:35], -v[24:25]
	v_fma_f64 v[12:13], v[12:13], v[34:35], v[16:17]
	v_add_f64 v[6:7], v[18:19], v[6:7]
	v_add_f64 v[8:9], v[14:15], v[8:9]
	s_waitcnt vmcnt(4)
	v_fma_f64 v[2:3], v[2:3], v[119:120], -v[22:23]
	v_fma_f64 v[4:5], v[4:5], v[119:120], v[20:21]
	v_add_f64 v[6:7], v[6:7], v[10:11]
	v_add_f64 v[8:9], v[8:9], v[12:13]
	;; [unrolled: 1-line block ×4, first 2 shown]
	s_waitcnt vmcnt(2)
	v_add_f64 v[2:3], v[113:114], -v[2:3]
	s_waitcnt vmcnt(0)
	v_add_f64 v[4:5], v[117:118], -v[4:5]
	buffer_store_dword v3, off, s[0:3], 0 offset:164
	buffer_store_dword v2, off, s[0:3], 0 offset:160
	;; [unrolled: 1-line block ×4, first 2 shown]
	v_cmpx_lt_u32_e32 8, v0
	s_cbranch_execz .LBB34_207
; %bb.206:
	v_mov_b32_e32 v5, s39
	s_clause 0x3
	buffer_load_dword v2, v5, s[0:3], 0 offen
	buffer_load_dword v3, v5, s[0:3], 0 offen offset:4
	buffer_load_dword v4, v5, s[0:3], 0 offen offset:8
	;; [unrolled: 1-line block ×3, first 2 shown]
	buffer_store_dword v1, off, s[0:3], 0 offset:144
	buffer_store_dword v1, off, s[0:3], 0 offset:148
	;; [unrolled: 1-line block ×4, first 2 shown]
	s_waitcnt vmcnt(0)
	ds_write_b128 v39, v[2:5]
.LBB34_207:
	s_or_b32 exec_lo, exec_lo, s4
	s_waitcnt lgkmcnt(0)
	s_waitcnt_vscnt null, 0x0
	s_barrier
	buffer_gl0_inv
	s_clause 0x37
	buffer_load_dword v10, off, s[0:3], 0 offset:168
	buffer_load_dword v11, off, s[0:3], 0 offset:172
	;; [unrolled: 1-line block ×56, first 2 shown]
	ds_read_b128 v[2:5], v1 offset:704
	s_clause 0x2
	buffer_load_dword v140, off, s[0:3], 0 offset:396
	buffer_load_dword v144, off, s[0:3], 0 offset:372
	;; [unrolled: 1-line block ×3, first 2 shown]
	ds_read_b128 v[6:9], v1 offset:720
	s_clause 0x4
	buffer_load_dword v150, off, s[0:3], 0 offset:412
	buffer_load_dword v151, off, s[0:3], 0 offset:424
	;; [unrolled: 1-line block ×5, first 2 shown]
	s_mov_b32 s4, exec_lo
	s_waitcnt vmcnt(62) lgkmcnt(1)
	v_mul_f64 v[145:146], v[4:5], v[10:11]
	v_mul_f64 v[147:148], v[2:3], v[10:11]
	s_waitcnt vmcnt(60) lgkmcnt(0)
	v_mul_f64 v[154:155], v[8:9], v[14:15]
	ds_read_b128 v[10:13], v1 offset:736
	v_mul_f64 v[14:15], v[6:7], v[14:15]
	s_waitcnt vmcnt(58)
	v_fma_f64 v[145:146], v[2:3], v[16:17], -v[145:146]
	v_fma_f64 v[16:17], v[4:5], v[16:17], v[147:148]
	s_clause 0x2
	buffer_load_dword v152, off, s[0:3], 0 offset:428
	buffer_load_dword v148, off, s[0:3], 0 offset:404
	;; [unrolled: 1-line block ×3, first 2 shown]
	s_waitcnt vmcnt(59) lgkmcnt(0)
	v_mul_f64 v[156:157], v[10:11], v[18:19]
	v_mul_f64 v[18:19], v[12:13], v[18:19]
	s_waitcnt vmcnt(57)
	v_fma_f64 v[158:159], v[6:7], v[20:21], -v[154:155]
	ds_read_b128 v[2:5], v1 offset:752
	v_fma_f64 v[14:15], v[8:9], v[20:21], v[14:15]
	s_clause 0x4
	buffer_load_dword v21, off, s[0:3], 0 offset:444
	buffer_load_dword v155, off, s[0:3], 0 offset:456
	;; [unrolled: 1-line block ×5, first 2 shown]
	ds_read_b128 v[6:9], v1 offset:768
	v_add_f64 v[145:146], v[145:146], 0
	v_add_f64 v[16:17], v[16:17], 0
	s_waitcnt vmcnt(58) lgkmcnt(1)
	v_mul_f64 v[161:162], v[2:3], v[22:23]
	v_mul_f64 v[22:23], v[4:5], v[22:23]
	s_waitcnt vmcnt(56)
	v_fma_f64 v[18:19], v[10:11], v[28:29], -v[18:19]
	v_fma_f64 v[28:29], v[12:13], v[28:29], v[156:157]
	v_add_f64 v[145:146], v[145:146], v[158:159]
	v_add_f64 v[14:15], v[16:17], v[14:15]
	s_clause 0x2
	buffer_load_dword v156, off, s[0:3], 0 offset:460
	buffer_load_dword v17, off, s[0:3], 0 offset:436
	;; [unrolled: 1-line block ×3, first 2 shown]
	s_waitcnt vmcnt(58) lgkmcnt(0)
	v_mul_f64 v[157:158], v[6:7], v[24:25]
	v_mul_f64 v[24:25], v[8:9], v[24:25]
	s_waitcnt vmcnt(56)
	v_fma_f64 v[22:23], v[2:3], v[30:31], -v[22:23]
	ds_read_b128 v[10:13], v1 offset:784
	v_fma_f64 v[30:31], v[4:5], v[30:31], v[161:162]
	v_add_f64 v[18:19], v[145:146], v[18:19]
	v_add_f64 v[14:15], v[14:15], v[28:29]
	s_clause 0x4
	buffer_load_dword v29, off, s[0:3], 0 offset:476
	buffer_load_dword v145, off, s[0:3], 0 offset:488
	;; [unrolled: 1-line block ×5, first 2 shown]
	ds_read_b128 v[2:5], v1 offset:800
	s_waitcnt vmcnt(57) lgkmcnt(1)
	v_mul_f64 v[163:164], v[10:11], v[32:33]
	v_mul_f64 v[32:33], v[12:13], v[32:33]
	s_waitcnt vmcnt(56)
	v_fma_f64 v[24:25], v[6:7], v[26:27], -v[24:25]
	v_add_f64 v[18:19], v[18:19], v[22:23]
	v_fma_f64 v[22:23], v[8:9], v[26:27], v[157:158]
	v_add_f64 v[14:15], v[14:15], v[30:31]
	s_clause 0x2
	buffer_load_dword v146, off, s[0:3], 0 offset:492
	buffer_load_dword v27, off, s[0:3], 0 offset:468
	;; [unrolled: 1-line block ×3, first 2 shown]
	s_waitcnt vmcnt(58) lgkmcnt(0)
	v_mul_f64 v[30:31], v[2:3], v[34:35]
	v_mul_f64 v[34:35], v[4:5], v[34:35]
	s_waitcnt vmcnt(56)
	v_fma_f64 v[32:33], v[10:11], v[111:112], -v[32:33]
	ds_read_b128 v[6:9], v1 offset:816
	v_add_f64 v[18:19], v[18:19], v[24:25]
	v_fma_f64 v[24:25], v[12:13], v[111:112], v[163:164]
	v_add_f64 v[14:15], v[14:15], v[22:23]
	s_clause 0x4
	buffer_load_dword v23, off, s[0:3], 0 offset:508
	buffer_load_dword v111, off, s[0:3], 0 offset:520
	;; [unrolled: 1-line block ×5, first 2 shown]
	ds_read_b128 v[10:13], v1 offset:832
	s_waitcnt vmcnt(57) lgkmcnt(1)
	v_mul_f64 v[158:159], v[6:7], v[113:114]
	v_mul_f64 v[113:114], v[8:9], v[113:114]
	s_waitcnt vmcnt(56)
	v_fma_f64 v[34:35], v[2:3], v[36:37], -v[34:35]
	v_fma_f64 v[30:31], v[4:5], v[36:37], v[30:31]
	v_add_f64 v[18:19], v[18:19], v[32:33]
	v_add_f64 v[14:15], v[14:15], v[24:25]
	s_clause 0x2
	buffer_load_dword v112, off, s[0:3], 0 offset:524
	buffer_load_dword v25, off, s[0:3], 0 offset:500
	;; [unrolled: 1-line block ×3, first 2 shown]
	s_waitcnt vmcnt(58) lgkmcnt(0)
	v_mul_f64 v[36:37], v[12:13], v[115:116]
	ds_read_b128 v[2:5], v1 offset:848
	s_waitcnt vmcnt(56)
	v_fma_f64 v[113:114], v[6:7], v[119:120], -v[113:114]
	v_mul_f64 v[32:33], v[10:11], v[115:116]
	v_add_f64 v[18:19], v[18:19], v[34:35]
	v_fma_f64 v[34:35], v[8:9], v[119:120], v[158:159]
	v_add_f64 v[14:15], v[14:15], v[30:31]
	s_clause 0x4
	buffer_load_dword v31, off, s[0:3], 0 offset:540
	buffer_load_dword v115, off, s[0:3], 0 offset:552
	;; [unrolled: 1-line block ×5, first 2 shown]
	s_waitcnt vmcnt(57) lgkmcnt(0)
	v_mul_f64 v[164:165], v[2:3], v[121:122]
	v_mul_f64 v[120:121], v[4:5], v[121:122]
	s_waitcnt vmcnt(56)
	v_fma_f64 v[36:37], v[10:11], v[117:118], -v[36:37]
	ds_read_b128 v[6:9], v1 offset:864
	v_fma_f64 v[32:33], v[12:13], v[117:118], v[32:33]
	v_add_f64 v[18:19], v[18:19], v[113:114]
	v_add_f64 v[14:15], v[14:15], v[34:35]
	s_clause 0x2
	buffer_load_dword v116, off, s[0:3], 0 offset:556
	buffer_load_dword v35, off, s[0:3], 0 offset:532
	;; [unrolled: 1-line block ×3, first 2 shown]
	ds_read_b128 v[10:13], v1 offset:880
	s_waitcnt vmcnt(58) lgkmcnt(1)
	v_mul_f64 v[117:118], v[8:9], v[123:124]
	s_waitcnt vmcnt(56)
	v_fma_f64 v[121:122], v[2:3], v[127:128], -v[120:121]
	v_mul_f64 v[113:114], v[6:7], v[123:124]
	v_add_f64 v[18:19], v[18:19], v[36:37]
	v_fma_f64 v[36:37], v[4:5], v[127:128], v[164:165]
	v_add_f64 v[14:15], v[14:15], v[32:33]
	s_clause 0x2
	buffer_load_dword v33, off, s[0:3], 0 offset:572
	buffer_load_dword v32, off, s[0:3], 0 offset:568
	;; [unrolled: 1-line block ×3, first 2 shown]
	s_waitcnt vmcnt(55) lgkmcnt(0)
	v_mul_f64 v[127:128], v[12:13], v[129:130]
	s_waitcnt vmcnt(54)
	v_fma_f64 v[117:118], v[6:7], v[125:126], -v[117:118]
	ds_read_b128 v[2:5], v1 offset:896
	v_mul_f64 v[123:124], v[10:11], v[129:130]
	v_fma_f64 v[113:114], v[8:9], v[125:126], v[113:114]
	v_add_f64 v[18:19], v[18:19], v[121:122]
	v_add_f64 v[14:15], v[14:15], v[36:37]
	s_clause 0x1
	buffer_load_dword v37, off, s[0:3], 0 offset:564
	buffer_load_dword v36, off, s[0:3], 0 offset:560
	s_waitcnt vmcnt(55) lgkmcnt(0)
	v_mul_f64 v[125:126], v[4:5], v[131:132]
	s_waitcnt vmcnt(53)
	v_fma_f64 v[127:128], v[10:11], v[135:136], -v[127:128]
	ds_read_b128 v[6:9], v1 offset:912
	v_mul_f64 v[121:122], v[2:3], v[131:132]
	v_add_f64 v[18:19], v[18:19], v[117:118]
	v_fma_f64 v[117:118], v[12:13], v[135:136], v[123:124]
	v_add_f64 v[14:15], v[14:15], v[113:114]
	ds_read_b128 v[10:13], v1 offset:928
	s_waitcnt vmcnt(49) lgkmcnt(1)
	v_mul_f64 v[123:124], v[8:9], v[137:138]
	s_waitcnt vmcnt(48)
	v_fma_f64 v[125:126], v[2:3], v[133:134], -v[125:126]
	v_mul_f64 v[113:114], v[6:7], v[137:138]
	v_fma_f64 v[121:122], v[4:5], v[133:134], v[121:122]
	v_add_f64 v[18:19], v[18:19], v[127:128]
	s_waitcnt vmcnt(47) lgkmcnt(0)
	v_mul_f64 v[131:132], v[12:13], v[139:140]
	v_add_f64 v[14:15], v[14:15], v[117:118]
	s_clause 0x3
	buffer_load_dword v117, off, s[0:3], 0 offset:144
	buffer_load_dword v118, off, s[0:3], 0 offset:148
	buffer_load_dword v127, off, s[0:3], 0 offset:152
	buffer_load_dword v128, off, s[0:3], 0 offset:156
	s_waitcnt vmcnt(49)
	v_fma_f64 v[123:124], v[6:7], v[143:144], -v[123:124]
	ds_read_b128 v[2:5], v1 offset:944
	v_mul_f64 v[129:130], v[10:11], v[139:140]
	v_fma_f64 v[113:114], v[8:9], v[143:144], v[113:114]
	ds_read_b128 v[6:9], v1 offset:960
	v_add_f64 v[18:19], v[18:19], v[125:126]
	s_waitcnt vmcnt(44)
	v_fma_f64 v[131:132], v[10:11], v[141:142], -v[131:132]
	v_add_f64 v[14:15], v[14:15], v[121:122]
	s_waitcnt lgkmcnt(1)
	v_mul_f64 v[125:126], v[4:5], v[149:150]
	v_mul_f64 v[121:122], v[2:3], v[149:150]
	v_add_f64 v[18:19], v[18:19], v[123:124]
	v_fma_f64 v[123:124], v[12:13], v[141:142], v[129:130]
	v_add_f64 v[14:15], v[14:15], v[113:114]
	ds_read_b128 v[10:13], v1 offset:976
	s_waitcnt vmcnt(43) lgkmcnt(1)
	v_mul_f64 v[129:130], v[8:9], v[151:152]
	v_mul_f64 v[113:114], v[6:7], v[151:152]
	s_waitcnt vmcnt(41)
	v_fma_f64 v[125:126], v[2:3], v[147:148], -v[125:126]
	v_fma_f64 v[121:122], v[4:5], v[147:148], v[121:122]
	ds_read_b128 v[2:5], v1 offset:992
	v_add_f64 v[18:19], v[18:19], v[131:132]
	v_add_f64 v[14:15], v[14:15], v[123:124]
	s_waitcnt vmcnt(37) lgkmcnt(1)
	v_mul_f64 v[123:124], v[10:11], v[20:21]
	v_mul_f64 v[20:21], v[12:13], v[20:21]
	s_waitcnt vmcnt(36)
	v_fma_f64 v[129:130], v[6:7], v[153:154], -v[129:130]
	v_fma_f64 v[113:114], v[8:9], v[153:154], v[113:114]
	ds_read_b128 v[6:9], v1 offset:1008
	v_add_f64 v[18:19], v[18:19], v[125:126]
	v_add_f64 v[14:15], v[14:15], v[121:122]
	;; [unrolled: 9-line block ×3, first 2 shown]
	s_waitcnt vmcnt(29) lgkmcnt(1)
	v_mul_f64 v[113:114], v[6:7], v[28:29]
	v_mul_f64 v[28:29], v[8:9], v[28:29]
	s_waitcnt vmcnt(28)
	v_fma_f64 v[123:124], v[2:3], v[160:161], -v[125:126]
	v_add_f64 v[18:19], v[18:19], v[20:21]
	v_fma_f64 v[20:21], v[4:5], v[160:161], v[121:122]
	v_add_f64 v[14:15], v[14:15], v[16:17]
	ds_read_b128 v[2:5], v1 offset:1040
	s_waitcnt vmcnt(27) lgkmcnt(1)
	v_mul_f64 v[121:122], v[12:13], v[145:146]
	v_mul_f64 v[16:17], v[10:11], v[145:146]
	s_waitcnt vmcnt(25)
	v_fma_f64 v[28:29], v[6:7], v[26:27], -v[28:29]
	v_fma_f64 v[26:27], v[8:9], v[26:27], v[113:114]
	ds_read_b128 v[6:9], v1 offset:1056
	v_add_f64 v[18:19], v[18:19], v[123:124]
	v_add_f64 v[14:15], v[14:15], v[20:21]
	s_waitcnt vmcnt(21) lgkmcnt(1)
	v_mul_f64 v[20:21], v[2:3], v[22:23]
	v_mul_f64 v[22:23], v[4:5], v[22:23]
	s_waitcnt vmcnt(20)
	v_fma_f64 v[113:114], v[10:11], v[162:163], -v[121:122]
	v_fma_f64 v[16:17], v[12:13], v[162:163], v[16:17]
	ds_read_b128 v[10:13], v1 offset:1072
	v_add_f64 v[18:19], v[18:19], v[28:29]
	v_add_f64 v[14:15], v[14:15], v[26:27]
	;; [unrolled: 9-line block ×3, first 2 shown]
	s_waitcnt vmcnt(13) lgkmcnt(1)
	v_mul_f64 v[24:25], v[12:13], v[30:31]
	s_waitcnt vmcnt(12)
	v_fma_f64 v[28:29], v[6:7], v[157:158], -v[28:29]
	v_mul_f64 v[16:17], v[10:11], v[30:31]
	v_add_f64 v[18:19], v[18:19], v[22:23]
	v_fma_f64 v[22:23], v[8:9], v[157:158], v[26:27]
	v_add_f64 v[14:15], v[14:15], v[20:21]
	ds_read_b128 v[6:9], v1 offset:1104
	s_waitcnt vmcnt(11) lgkmcnt(1)
	v_mul_f64 v[26:27], v[4:5], v[115:116]
	v_mul_f64 v[20:21], v[2:3], v[115:116]
	s_waitcnt vmcnt(9)
	v_fma_f64 v[10:11], v[10:11], v[34:35], -v[24:25]
	v_fma_f64 v[12:13], v[12:13], v[34:35], v[16:17]
	v_add_f64 v[18:19], v[18:19], v[28:29]
	v_add_f64 v[14:15], v[14:15], v[22:23]
	s_waitcnt vmcnt(7) lgkmcnt(0)
	v_mul_f64 v[22:23], v[8:9], v[32:33]
	s_waitcnt vmcnt(6)
	v_fma_f64 v[1:2], v[2:3], v[119:120], -v[26:27]
	v_mul_f64 v[16:17], v[6:7], v[32:33]
	v_fma_f64 v[3:4], v[4:5], v[119:120], v[20:21]
	v_add_f64 v[10:11], v[18:19], v[10:11]
	v_add_f64 v[12:13], v[14:15], v[12:13]
	s_waitcnt vmcnt(4)
	v_fma_f64 v[5:6], v[6:7], v[36:37], -v[22:23]
	v_fma_f64 v[7:8], v[8:9], v[36:37], v[16:17]
	v_add_f64 v[1:2], v[10:11], v[1:2]
	v_add_f64 v[3:4], v[12:13], v[3:4]
	v_add_f64 v[1:2], v[1:2], v[5:6]
	v_add_f64 v[3:4], v[3:4], v[7:8]
	s_waitcnt vmcnt(2)
	v_add_f64 v[1:2], v[117:118], -v[1:2]
	s_waitcnt vmcnt(0)
	v_add_f64 v[3:4], v[127:128], -v[3:4]
	buffer_store_dword v2, off, s[0:3], 0 offset:148
	buffer_store_dword v1, off, s[0:3], 0 offset:144
	;; [unrolled: 1-line block ×4, first 2 shown]
	v_cmpx_lt_u32_e32 7, v0
	s_cbranch_execz .LBB34_209
; %bb.208:
	v_mov_b32_e32 v4, s40
	v_mov_b32_e32 v5, 0
	s_clause 0x3
	buffer_load_dword v1, v4, s[0:3], 0 offen
	buffer_load_dword v2, v4, s[0:3], 0 offen offset:4
	buffer_load_dword v3, v4, s[0:3], 0 offen offset:8
	;; [unrolled: 1-line block ×3, first 2 shown]
	buffer_store_dword v5, off, s[0:3], 0 offset:128
	buffer_store_dword v5, off, s[0:3], 0 offset:132
	;; [unrolled: 1-line block ×4, first 2 shown]
	s_waitcnt vmcnt(0)
	ds_write_b128 v39, v[1:4]
.LBB34_209:
	s_or_b32 exec_lo, exec_lo, s4
	s_waitcnt lgkmcnt(0)
	s_waitcnt_vscnt null, 0x0
	s_barrier
	buffer_gl0_inv
	s_clause 0x37
	buffer_load_dword v10, off, s[0:3], 0 offset:152
	buffer_load_dword v11, off, s[0:3], 0 offset:156
	;; [unrolled: 1-line block ×56, first 2 shown]
	v_mov_b32_e32 v1, 0
	s_mov_b32 s4, exec_lo
	ds_read_b128 v[2:5], v1 offset:688
	s_clause 0x2
	buffer_load_dword v140, off, s[0:3], 0 offset:380
	buffer_load_dword v144, off, s[0:3], 0 offset:356
	;; [unrolled: 1-line block ×3, first 2 shown]
	ds_read_b128 v[6:9], v1 offset:704
	s_clause 0x4
	buffer_load_dword v150, off, s[0:3], 0 offset:396
	buffer_load_dword v151, off, s[0:3], 0 offset:408
	;; [unrolled: 1-line block ×5, first 2 shown]
	s_waitcnt vmcnt(62) lgkmcnt(1)
	v_mul_f64 v[145:146], v[4:5], v[10:11]
	v_mul_f64 v[147:148], v[2:3], v[10:11]
	s_waitcnt vmcnt(60) lgkmcnt(0)
	v_mul_f64 v[154:155], v[8:9], v[14:15]
	ds_read_b128 v[10:13], v1 offset:720
	v_mul_f64 v[14:15], v[6:7], v[14:15]
	s_waitcnt vmcnt(58)
	v_fma_f64 v[145:146], v[2:3], v[16:17], -v[145:146]
	v_fma_f64 v[16:17], v[4:5], v[16:17], v[147:148]
	s_clause 0x2
	buffer_load_dword v152, off, s[0:3], 0 offset:412
	buffer_load_dword v148, off, s[0:3], 0 offset:388
	;; [unrolled: 1-line block ×3, first 2 shown]
	s_waitcnt vmcnt(59) lgkmcnt(0)
	v_mul_f64 v[156:157], v[10:11], v[18:19]
	v_mul_f64 v[18:19], v[12:13], v[18:19]
	s_waitcnt vmcnt(57)
	v_fma_f64 v[158:159], v[6:7], v[20:21], -v[154:155]
	ds_read_b128 v[2:5], v1 offset:736
	v_fma_f64 v[14:15], v[8:9], v[20:21], v[14:15]
	s_clause 0x4
	buffer_load_dword v21, off, s[0:3], 0 offset:428
	buffer_load_dword v155, off, s[0:3], 0 offset:440
	;; [unrolled: 1-line block ×5, first 2 shown]
	ds_read_b128 v[6:9], v1 offset:752
	v_add_f64 v[145:146], v[145:146], 0
	v_add_f64 v[16:17], v[16:17], 0
	s_waitcnt vmcnt(58) lgkmcnt(1)
	v_mul_f64 v[161:162], v[2:3], v[22:23]
	v_mul_f64 v[22:23], v[4:5], v[22:23]
	s_waitcnt vmcnt(56)
	v_fma_f64 v[18:19], v[10:11], v[28:29], -v[18:19]
	v_fma_f64 v[28:29], v[12:13], v[28:29], v[156:157]
	v_add_f64 v[145:146], v[145:146], v[158:159]
	v_add_f64 v[14:15], v[16:17], v[14:15]
	s_clause 0x2
	buffer_load_dword v156, off, s[0:3], 0 offset:444
	buffer_load_dword v17, off, s[0:3], 0 offset:420
	;; [unrolled: 1-line block ×3, first 2 shown]
	s_waitcnt vmcnt(58) lgkmcnt(0)
	v_mul_f64 v[157:158], v[6:7], v[24:25]
	v_mul_f64 v[24:25], v[8:9], v[24:25]
	s_waitcnt vmcnt(56)
	v_fma_f64 v[22:23], v[2:3], v[30:31], -v[22:23]
	ds_read_b128 v[10:13], v1 offset:768
	v_fma_f64 v[30:31], v[4:5], v[30:31], v[161:162]
	v_add_f64 v[18:19], v[145:146], v[18:19]
	v_add_f64 v[14:15], v[14:15], v[28:29]
	s_clause 0x4
	buffer_load_dword v29, off, s[0:3], 0 offset:460
	buffer_load_dword v145, off, s[0:3], 0 offset:472
	;; [unrolled: 1-line block ×5, first 2 shown]
	ds_read_b128 v[2:5], v1 offset:784
	s_waitcnt vmcnt(57) lgkmcnt(1)
	v_mul_f64 v[163:164], v[10:11], v[32:33]
	v_mul_f64 v[32:33], v[12:13], v[32:33]
	s_waitcnt vmcnt(56)
	v_fma_f64 v[24:25], v[6:7], v[26:27], -v[24:25]
	v_add_f64 v[18:19], v[18:19], v[22:23]
	v_fma_f64 v[22:23], v[8:9], v[26:27], v[157:158]
	v_add_f64 v[14:15], v[14:15], v[30:31]
	s_clause 0x2
	buffer_load_dword v146, off, s[0:3], 0 offset:476
	buffer_load_dword v27, off, s[0:3], 0 offset:452
	;; [unrolled: 1-line block ×3, first 2 shown]
	s_waitcnt vmcnt(58) lgkmcnt(0)
	v_mul_f64 v[30:31], v[2:3], v[34:35]
	v_mul_f64 v[34:35], v[4:5], v[34:35]
	s_waitcnt vmcnt(56)
	v_fma_f64 v[32:33], v[10:11], v[111:112], -v[32:33]
	ds_read_b128 v[6:9], v1 offset:800
	v_add_f64 v[18:19], v[18:19], v[24:25]
	v_fma_f64 v[24:25], v[12:13], v[111:112], v[163:164]
	v_add_f64 v[14:15], v[14:15], v[22:23]
	s_clause 0x4
	buffer_load_dword v23, off, s[0:3], 0 offset:492
	buffer_load_dword v111, off, s[0:3], 0 offset:504
	;; [unrolled: 1-line block ×5, first 2 shown]
	ds_read_b128 v[10:13], v1 offset:816
	s_waitcnt vmcnt(57) lgkmcnt(1)
	v_mul_f64 v[158:159], v[6:7], v[113:114]
	v_mul_f64 v[113:114], v[8:9], v[113:114]
	s_waitcnt vmcnt(56)
	v_fma_f64 v[34:35], v[2:3], v[36:37], -v[34:35]
	v_fma_f64 v[30:31], v[4:5], v[36:37], v[30:31]
	v_add_f64 v[18:19], v[18:19], v[32:33]
	v_add_f64 v[14:15], v[14:15], v[24:25]
	s_clause 0x2
	buffer_load_dword v112, off, s[0:3], 0 offset:508
	buffer_load_dword v25, off, s[0:3], 0 offset:484
	buffer_load_dword v24, off, s[0:3], 0 offset:480
	s_waitcnt vmcnt(58) lgkmcnt(0)
	v_mul_f64 v[36:37], v[12:13], v[115:116]
	ds_read_b128 v[2:5], v1 offset:832
	s_waitcnt vmcnt(56)
	v_fma_f64 v[113:114], v[6:7], v[119:120], -v[113:114]
	v_mul_f64 v[32:33], v[10:11], v[115:116]
	v_add_f64 v[18:19], v[18:19], v[34:35]
	v_fma_f64 v[34:35], v[8:9], v[119:120], v[158:159]
	v_add_f64 v[14:15], v[14:15], v[30:31]
	s_clause 0x4
	buffer_load_dword v31, off, s[0:3], 0 offset:524
	buffer_load_dword v115, off, s[0:3], 0 offset:536
	;; [unrolled: 1-line block ×5, first 2 shown]
	s_waitcnt vmcnt(57) lgkmcnt(0)
	v_mul_f64 v[164:165], v[2:3], v[121:122]
	v_mul_f64 v[120:121], v[4:5], v[121:122]
	s_waitcnt vmcnt(56)
	v_fma_f64 v[36:37], v[10:11], v[117:118], -v[36:37]
	ds_read_b128 v[6:9], v1 offset:848
	v_fma_f64 v[32:33], v[12:13], v[117:118], v[32:33]
	v_add_f64 v[18:19], v[18:19], v[113:114]
	v_add_f64 v[14:15], v[14:15], v[34:35]
	s_clause 0x2
	buffer_load_dword v116, off, s[0:3], 0 offset:540
	buffer_load_dword v35, off, s[0:3], 0 offset:516
	;; [unrolled: 1-line block ×3, first 2 shown]
	ds_read_b128 v[10:13], v1 offset:864
	s_waitcnt vmcnt(58) lgkmcnt(1)
	v_mul_f64 v[117:118], v[8:9], v[123:124]
	s_waitcnt vmcnt(56)
	v_fma_f64 v[121:122], v[2:3], v[127:128], -v[120:121]
	v_mul_f64 v[113:114], v[6:7], v[123:124]
	v_add_f64 v[18:19], v[18:19], v[36:37]
	v_fma_f64 v[36:37], v[4:5], v[127:128], v[164:165]
	v_add_f64 v[14:15], v[14:15], v[32:33]
	s_clause 0x4
	buffer_load_dword v33, off, s[0:3], 0 offset:556
	buffer_load_dword v123, off, s[0:3], 0 offset:568
	;; [unrolled: 1-line block ×5, first 2 shown]
	s_waitcnt vmcnt(57) lgkmcnt(0)
	v_mul_f64 v[164:165], v[10:11], v[129:130]
	v_mul_f64 v[128:129], v[12:13], v[129:130]
	s_waitcnt vmcnt(56)
	v_fma_f64 v[117:118], v[6:7], v[125:126], -v[117:118]
	ds_read_b128 v[2:5], v1 offset:880
	v_fma_f64 v[113:114], v[8:9], v[125:126], v[113:114]
	v_add_f64 v[18:19], v[18:19], v[121:122]
	v_add_f64 v[14:15], v[14:15], v[36:37]
	s_clause 0x2
	buffer_load_dword v124, off, s[0:3], 0 offset:572
	buffer_load_dword v37, off, s[0:3], 0 offset:548
	buffer_load_dword v36, off, s[0:3], 0 offset:544
	ds_read_b128 v[6:9], v1 offset:896
	s_waitcnt vmcnt(58) lgkmcnt(1)
	v_mul_f64 v[125:126], v[4:5], v[131:132]
	s_waitcnt vmcnt(56)
	v_fma_f64 v[129:130], v[10:11], v[135:136], -v[128:129]
	v_mul_f64 v[121:122], v[2:3], v[131:132]
	buffer_load_dword v128, off, s[0:3], 0 offset:564
	v_add_f64 v[18:19], v[18:19], v[117:118]
	v_fma_f64 v[117:118], v[12:13], v[135:136], v[164:165]
	v_add_f64 v[14:15], v[14:15], v[113:114]
	ds_read_b128 v[10:13], v1 offset:912
	s_waitcnt vmcnt(53) lgkmcnt(1)
	v_mul_f64 v[131:132], v[8:9], v[137:138]
	s_waitcnt vmcnt(52)
	v_fma_f64 v[125:126], v[2:3], v[133:134], -v[125:126]
	v_mul_f64 v[113:114], v[6:7], v[137:138]
	v_fma_f64 v[121:122], v[4:5], v[133:134], v[121:122]
	ds_read_b128 v[2:5], v1 offset:928
	v_add_f64 v[18:19], v[18:19], v[129:130]
	s_waitcnt vmcnt(51) lgkmcnt(1)
	v_mul_f64 v[129:130], v[12:13], v[139:140]
	v_add_f64 v[14:15], v[14:15], v[117:118]
	v_mul_f64 v[117:118], v[10:11], v[139:140]
	s_waitcnt vmcnt(49)
	v_fma_f64 v[131:132], v[6:7], v[143:144], -v[131:132]
	v_fma_f64 v[113:114], v[8:9], v[143:144], v[113:114]
	s_waitcnt vmcnt(45) lgkmcnt(0)
	v_mul_f64 v[135:136], v[4:5], v[149:150]
	v_mul_f64 v[133:134], v[2:3], v[149:150]
	v_add_f64 v[18:19], v[18:19], v[125:126]
	s_waitcnt vmcnt(44)
	v_fma_f64 v[129:130], v[10:11], v[141:142], -v[129:130]
	v_add_f64 v[14:15], v[14:15], v[121:122]
	s_clause 0x3
	buffer_load_dword v121, off, s[0:3], 0 offset:128
	buffer_load_dword v122, off, s[0:3], 0 offset:132
	;; [unrolled: 1-line block ×4, first 2 shown]
	ds_read_b128 v[6:9], v1 offset:944
	v_fma_f64 v[117:118], v[12:13], v[141:142], v[117:118]
	ds_read_b128 v[10:13], v1 offset:960
	v_add_f64 v[18:19], v[18:19], v[131:132]
	v_add_f64 v[14:15], v[14:15], v[113:114]
	s_waitcnt vmcnt(47) lgkmcnt(1)
	v_mul_f64 v[131:132], v[8:9], v[151:152]
	v_mul_f64 v[113:114], v[6:7], v[151:152]
	s_waitcnt vmcnt(45)
	v_fma_f64 v[135:136], v[2:3], v[147:148], -v[135:136]
	v_add_f64 v[18:19], v[18:19], v[129:130]
	v_fma_f64 v[129:130], v[4:5], v[147:148], v[133:134]
	v_add_f64 v[14:15], v[14:15], v[117:118]
	s_waitcnt vmcnt(41) lgkmcnt(0)
	v_mul_f64 v[117:118], v[10:11], v[20:21]
	v_mul_f64 v[20:21], v[12:13], v[20:21]
	ds_read_b128 v[2:5], v1 offset:976
	s_waitcnt vmcnt(40)
	v_fma_f64 v[131:132], v[6:7], v[153:154], -v[131:132]
	v_fma_f64 v[113:114], v[8:9], v[153:154], v[113:114]
	ds_read_b128 v[6:9], v1 offset:992
	v_add_f64 v[18:19], v[18:19], v[135:136]
	v_add_f64 v[14:15], v[14:15], v[129:130]
	s_waitcnt vmcnt(39) lgkmcnt(1)
	v_mul_f64 v[133:134], v[4:5], v[155:156]
	v_mul_f64 v[129:130], v[2:3], v[155:156]
	s_waitcnt vmcnt(37)
	v_fma_f64 v[20:21], v[10:11], v[16:17], -v[20:21]
	v_fma_f64 v[16:17], v[12:13], v[16:17], v[117:118]
	ds_read_b128 v[10:13], v1 offset:1008
	v_add_f64 v[18:19], v[18:19], v[131:132]
	v_add_f64 v[14:15], v[14:15], v[113:114]
	s_waitcnt vmcnt(33) lgkmcnt(1)
	v_mul_f64 v[113:114], v[6:7], v[28:29]
	v_mul_f64 v[28:29], v[8:9], v[28:29]
	s_waitcnt vmcnt(32)
	v_fma_f64 v[117:118], v[2:3], v[160:161], -v[133:134]
	v_add_f64 v[18:19], v[18:19], v[20:21]
	v_fma_f64 v[20:21], v[4:5], v[160:161], v[129:130]
	v_add_f64 v[14:15], v[14:15], v[16:17]
	ds_read_b128 v[2:5], v1 offset:1024
	s_waitcnt vmcnt(31) lgkmcnt(1)
	v_mul_f64 v[129:130], v[12:13], v[145:146]
	v_mul_f64 v[16:17], v[10:11], v[145:146]
	s_waitcnt vmcnt(29)
	v_fma_f64 v[28:29], v[6:7], v[26:27], -v[28:29]
	v_fma_f64 v[26:27], v[8:9], v[26:27], v[113:114]
	ds_read_b128 v[6:9], v1 offset:1040
	v_add_f64 v[18:19], v[18:19], v[117:118]
	v_add_f64 v[14:15], v[14:15], v[20:21]
	s_waitcnt vmcnt(25) lgkmcnt(1)
	v_mul_f64 v[20:21], v[2:3], v[22:23]
	v_mul_f64 v[22:23], v[4:5], v[22:23]
	s_waitcnt vmcnt(24)
	v_fma_f64 v[113:114], v[10:11], v[162:163], -v[129:130]
	v_fma_f64 v[16:17], v[12:13], v[162:163], v[16:17]
	ds_read_b128 v[10:13], v1 offset:1056
	v_add_f64 v[18:19], v[18:19], v[28:29]
	v_add_f64 v[14:15], v[14:15], v[26:27]
	;; [unrolled: 9-line block ×3, first 2 shown]
	s_waitcnt vmcnt(17) lgkmcnt(1)
	v_mul_f64 v[24:25], v[12:13], v[30:31]
	s_waitcnt vmcnt(16)
	v_fma_f64 v[28:29], v[6:7], v[157:158], -v[28:29]
	v_mul_f64 v[16:17], v[10:11], v[30:31]
	v_add_f64 v[18:19], v[18:19], v[22:23]
	v_fma_f64 v[22:23], v[8:9], v[157:158], v[26:27]
	v_add_f64 v[14:15], v[14:15], v[20:21]
	ds_read_b128 v[6:9], v1 offset:1088
	s_waitcnt vmcnt(15) lgkmcnt(1)
	v_mul_f64 v[26:27], v[4:5], v[115:116]
	v_mul_f64 v[20:21], v[2:3], v[115:116]
	s_waitcnt vmcnt(13)
	v_fma_f64 v[24:25], v[10:11], v[34:35], -v[24:25]
	v_fma_f64 v[16:17], v[12:13], v[34:35], v[16:17]
	ds_read_b128 v[10:13], v1 offset:1104
	v_add_f64 v[18:19], v[18:19], v[28:29]
	v_add_f64 v[14:15], v[14:15], v[22:23]
	s_waitcnt vmcnt(9) lgkmcnt(1)
	v_mul_f64 v[28:29], v[8:9], v[32:33]
	s_waitcnt vmcnt(8)
	v_fma_f64 v[2:3], v[2:3], v[119:120], -v[26:27]
	v_mul_f64 v[22:23], v[6:7], v[32:33]
	v_fma_f64 v[4:5], v[4:5], v[119:120], v[20:21]
	v_add_f64 v[18:19], v[18:19], v[24:25]
	v_add_f64 v[14:15], v[14:15], v[16:17]
	s_waitcnt vmcnt(7) lgkmcnt(0)
	v_mul_f64 v[20:21], v[12:13], v[123:124]
	v_mul_f64 v[16:17], v[10:11], v[123:124]
	s_waitcnt vmcnt(5)
	v_fma_f64 v[6:7], v[6:7], v[36:37], -v[28:29]
	v_fma_f64 v[8:9], v[8:9], v[36:37], v[22:23]
	v_add_f64 v[2:3], v[18:19], v[2:3]
	v_add_f64 v[4:5], v[14:15], v[4:5]
	s_waitcnt vmcnt(4)
	v_fma_f64 v[10:11], v[10:11], v[127:128], -v[20:21]
	v_add_f64 v[2:3], v[2:3], v[6:7]
	v_fma_f64 v[6:7], v[12:13], v[127:128], v[16:17]
	v_add_f64 v[4:5], v[4:5], v[8:9]
	v_add_f64 v[2:3], v[2:3], v[10:11]
	;; [unrolled: 1-line block ×3, first 2 shown]
	s_waitcnt vmcnt(2)
	v_add_f64 v[2:3], v[121:122], -v[2:3]
	s_waitcnt vmcnt(0)
	v_add_f64 v[4:5], v[125:126], -v[4:5]
	buffer_store_dword v3, off, s[0:3], 0 offset:132
	buffer_store_dword v2, off, s[0:3], 0 offset:128
	;; [unrolled: 1-line block ×4, first 2 shown]
	v_cmpx_lt_u32_e32 6, v0
	s_cbranch_execz .LBB34_211
; %bb.210:
	v_mov_b32_e32 v5, s41
	s_clause 0x3
	buffer_load_dword v2, v5, s[0:3], 0 offen
	buffer_load_dword v3, v5, s[0:3], 0 offen offset:4
	buffer_load_dword v4, v5, s[0:3], 0 offen offset:8
	;; [unrolled: 1-line block ×3, first 2 shown]
	buffer_store_dword v1, off, s[0:3], 0 offset:112
	buffer_store_dword v1, off, s[0:3], 0 offset:116
	;; [unrolled: 1-line block ×4, first 2 shown]
	s_waitcnt vmcnt(0)
	ds_write_b128 v39, v[2:5]
.LBB34_211:
	s_or_b32 exec_lo, exec_lo, s4
	s_waitcnt lgkmcnt(0)
	s_waitcnt_vscnt null, 0x0
	s_barrier
	buffer_gl0_inv
	s_clause 0x37
	buffer_load_dword v10, off, s[0:3], 0 offset:136
	buffer_load_dword v11, off, s[0:3], 0 offset:140
	;; [unrolled: 1-line block ×56, first 2 shown]
	ds_read_b128 v[2:5], v1 offset:672
	s_clause 0x2
	buffer_load_dword v140, off, s[0:3], 0 offset:364
	buffer_load_dword v144, off, s[0:3], 0 offset:340
	buffer_load_dword v143, off, s[0:3], 0 offset:336
	ds_read_b128 v[6:9], v1 offset:688
	s_clause 0x4
	buffer_load_dword v150, off, s[0:3], 0 offset:380
	buffer_load_dword v151, off, s[0:3], 0 offset:392
	;; [unrolled: 1-line block ×5, first 2 shown]
	s_mov_b32 s4, exec_lo
	s_waitcnt vmcnt(62) lgkmcnt(1)
	v_mul_f64 v[145:146], v[4:5], v[10:11]
	v_mul_f64 v[147:148], v[2:3], v[10:11]
	s_waitcnt vmcnt(60) lgkmcnt(0)
	v_mul_f64 v[154:155], v[8:9], v[14:15]
	ds_read_b128 v[10:13], v1 offset:704
	v_mul_f64 v[14:15], v[6:7], v[14:15]
	s_waitcnt vmcnt(58)
	v_fma_f64 v[145:146], v[2:3], v[16:17], -v[145:146]
	v_fma_f64 v[16:17], v[4:5], v[16:17], v[147:148]
	s_clause 0x2
	buffer_load_dword v152, off, s[0:3], 0 offset:396
	buffer_load_dword v148, off, s[0:3], 0 offset:372
	;; [unrolled: 1-line block ×3, first 2 shown]
	s_waitcnt vmcnt(59) lgkmcnt(0)
	v_mul_f64 v[156:157], v[10:11], v[18:19]
	v_mul_f64 v[18:19], v[12:13], v[18:19]
	s_waitcnt vmcnt(57)
	v_fma_f64 v[158:159], v[6:7], v[20:21], -v[154:155]
	ds_read_b128 v[2:5], v1 offset:720
	v_fma_f64 v[14:15], v[8:9], v[20:21], v[14:15]
	s_clause 0x4
	buffer_load_dword v21, off, s[0:3], 0 offset:412
	buffer_load_dword v155, off, s[0:3], 0 offset:424
	;; [unrolled: 1-line block ×5, first 2 shown]
	ds_read_b128 v[6:9], v1 offset:736
	v_add_f64 v[145:146], v[145:146], 0
	v_add_f64 v[16:17], v[16:17], 0
	s_waitcnt vmcnt(58) lgkmcnt(1)
	v_mul_f64 v[161:162], v[2:3], v[22:23]
	v_mul_f64 v[22:23], v[4:5], v[22:23]
	s_waitcnt vmcnt(56)
	v_fma_f64 v[18:19], v[10:11], v[28:29], -v[18:19]
	v_fma_f64 v[28:29], v[12:13], v[28:29], v[156:157]
	v_add_f64 v[145:146], v[145:146], v[158:159]
	v_add_f64 v[14:15], v[16:17], v[14:15]
	s_clause 0x2
	buffer_load_dword v156, off, s[0:3], 0 offset:428
	buffer_load_dword v17, off, s[0:3], 0 offset:404
	;; [unrolled: 1-line block ×3, first 2 shown]
	s_waitcnt vmcnt(58) lgkmcnt(0)
	v_mul_f64 v[157:158], v[6:7], v[24:25]
	v_mul_f64 v[24:25], v[8:9], v[24:25]
	s_waitcnt vmcnt(56)
	v_fma_f64 v[22:23], v[2:3], v[30:31], -v[22:23]
	ds_read_b128 v[10:13], v1 offset:752
	v_fma_f64 v[30:31], v[4:5], v[30:31], v[161:162]
	v_add_f64 v[18:19], v[145:146], v[18:19]
	v_add_f64 v[14:15], v[14:15], v[28:29]
	s_clause 0x4
	buffer_load_dword v29, off, s[0:3], 0 offset:444
	buffer_load_dword v145, off, s[0:3], 0 offset:456
	;; [unrolled: 1-line block ×5, first 2 shown]
	ds_read_b128 v[2:5], v1 offset:768
	s_waitcnt vmcnt(57) lgkmcnt(1)
	v_mul_f64 v[163:164], v[10:11], v[32:33]
	v_mul_f64 v[32:33], v[12:13], v[32:33]
	s_waitcnt vmcnt(56)
	v_fma_f64 v[24:25], v[6:7], v[26:27], -v[24:25]
	v_add_f64 v[18:19], v[18:19], v[22:23]
	v_fma_f64 v[22:23], v[8:9], v[26:27], v[157:158]
	v_add_f64 v[14:15], v[14:15], v[30:31]
	s_clause 0x2
	buffer_load_dword v146, off, s[0:3], 0 offset:460
	buffer_load_dword v27, off, s[0:3], 0 offset:436
	;; [unrolled: 1-line block ×3, first 2 shown]
	s_waitcnt vmcnt(58) lgkmcnt(0)
	v_mul_f64 v[30:31], v[2:3], v[34:35]
	v_mul_f64 v[34:35], v[4:5], v[34:35]
	s_waitcnt vmcnt(56)
	v_fma_f64 v[32:33], v[10:11], v[111:112], -v[32:33]
	ds_read_b128 v[6:9], v1 offset:784
	v_add_f64 v[18:19], v[18:19], v[24:25]
	v_fma_f64 v[24:25], v[12:13], v[111:112], v[163:164]
	v_add_f64 v[14:15], v[14:15], v[22:23]
	s_clause 0x4
	buffer_load_dword v23, off, s[0:3], 0 offset:476
	buffer_load_dword v111, off, s[0:3], 0 offset:488
	;; [unrolled: 1-line block ×5, first 2 shown]
	ds_read_b128 v[10:13], v1 offset:800
	s_waitcnt vmcnt(57) lgkmcnt(1)
	v_mul_f64 v[158:159], v[6:7], v[113:114]
	v_mul_f64 v[113:114], v[8:9], v[113:114]
	s_waitcnt vmcnt(56)
	v_fma_f64 v[34:35], v[2:3], v[36:37], -v[34:35]
	v_fma_f64 v[30:31], v[4:5], v[36:37], v[30:31]
	v_add_f64 v[18:19], v[18:19], v[32:33]
	v_add_f64 v[14:15], v[14:15], v[24:25]
	s_clause 0x2
	buffer_load_dword v112, off, s[0:3], 0 offset:492
	buffer_load_dword v25, off, s[0:3], 0 offset:468
	;; [unrolled: 1-line block ×3, first 2 shown]
	s_waitcnt vmcnt(58) lgkmcnt(0)
	v_mul_f64 v[36:37], v[12:13], v[115:116]
	ds_read_b128 v[2:5], v1 offset:816
	s_waitcnt vmcnt(56)
	v_fma_f64 v[113:114], v[6:7], v[119:120], -v[113:114]
	v_mul_f64 v[32:33], v[10:11], v[115:116]
	v_add_f64 v[18:19], v[18:19], v[34:35]
	v_fma_f64 v[34:35], v[8:9], v[119:120], v[158:159]
	v_add_f64 v[14:15], v[14:15], v[30:31]
	s_clause 0x4
	buffer_load_dword v31, off, s[0:3], 0 offset:508
	buffer_load_dword v115, off, s[0:3], 0 offset:520
	buffer_load_dword v119, off, s[0:3], 0 offset:512
	buffer_load_dword v30, off, s[0:3], 0 offset:504
	buffer_load_dword v158, off, s[0:3], 0 offset:484
	s_waitcnt vmcnt(57) lgkmcnt(0)
	v_mul_f64 v[164:165], v[2:3], v[121:122]
	v_mul_f64 v[120:121], v[4:5], v[121:122]
	s_waitcnt vmcnt(56)
	v_fma_f64 v[36:37], v[10:11], v[117:118], -v[36:37]
	ds_read_b128 v[6:9], v1 offset:832
	v_fma_f64 v[32:33], v[12:13], v[117:118], v[32:33]
	v_add_f64 v[18:19], v[18:19], v[113:114]
	v_add_f64 v[14:15], v[14:15], v[34:35]
	s_clause 0x2
	buffer_load_dword v116, off, s[0:3], 0 offset:524
	buffer_load_dword v35, off, s[0:3], 0 offset:500
	;; [unrolled: 1-line block ×3, first 2 shown]
	ds_read_b128 v[10:13], v1 offset:848
	s_waitcnt vmcnt(58) lgkmcnt(1)
	v_mul_f64 v[117:118], v[8:9], v[123:124]
	s_waitcnt vmcnt(56)
	v_fma_f64 v[121:122], v[2:3], v[127:128], -v[120:121]
	v_mul_f64 v[113:114], v[6:7], v[123:124]
	v_add_f64 v[18:19], v[18:19], v[36:37]
	v_fma_f64 v[36:37], v[4:5], v[127:128], v[164:165]
	v_add_f64 v[14:15], v[14:15], v[32:33]
	s_clause 0x4
	buffer_load_dword v33, off, s[0:3], 0 offset:540
	buffer_load_dword v123, off, s[0:3], 0 offset:552
	;; [unrolled: 1-line block ×5, first 2 shown]
	s_waitcnt vmcnt(57) lgkmcnt(0)
	v_mul_f64 v[164:165], v[10:11], v[129:130]
	v_mul_f64 v[128:129], v[12:13], v[129:130]
	s_waitcnt vmcnt(56)
	v_fma_f64 v[117:118], v[6:7], v[125:126], -v[117:118]
	ds_read_b128 v[2:5], v1 offset:864
	v_fma_f64 v[113:114], v[8:9], v[125:126], v[113:114]
	v_add_f64 v[18:19], v[18:19], v[121:122]
	v_add_f64 v[14:15], v[14:15], v[36:37]
	s_clause 0x2
	buffer_load_dword v124, off, s[0:3], 0 offset:556
	buffer_load_dword v37, off, s[0:3], 0 offset:532
	;; [unrolled: 1-line block ×3, first 2 shown]
	ds_read_b128 v[6:9], v1 offset:880
	s_waitcnt vmcnt(58) lgkmcnt(1)
	v_mul_f64 v[125:126], v[4:5], v[131:132]
	s_waitcnt vmcnt(56)
	v_fma_f64 v[129:130], v[10:11], v[135:136], -v[128:129]
	v_mul_f64 v[121:122], v[2:3], v[131:132]
	v_add_f64 v[18:19], v[18:19], v[117:118]
	v_fma_f64 v[117:118], v[12:13], v[135:136], v[164:165]
	v_add_f64 v[14:15], v[14:15], v[113:114]
	s_clause 0x2
	buffer_load_dword v114, off, s[0:3], 0 offset:572
	buffer_load_dword v113, off, s[0:3], 0 offset:568
	;; [unrolled: 1-line block ×3, first 2 shown]
	s_waitcnt vmcnt(55) lgkmcnt(0)
	v_mul_f64 v[135:136], v[8:9], v[137:138]
	s_waitcnt vmcnt(54)
	v_fma_f64 v[125:126], v[2:3], v[133:134], -v[125:126]
	ds_read_b128 v[10:13], v1 offset:896
	v_mul_f64 v[131:132], v[6:7], v[137:138]
	v_fma_f64 v[121:122], v[4:5], v[133:134], v[121:122]
	v_add_f64 v[18:19], v[18:19], v[129:130]
	v_add_f64 v[14:15], v[14:15], v[117:118]
	s_clause 0x1
	buffer_load_dword v118, off, s[0:3], 0 offset:564
	buffer_load_dword v117, off, s[0:3], 0 offset:560
	s_waitcnt vmcnt(55) lgkmcnt(0)
	v_mul_f64 v[133:134], v[12:13], v[139:140]
	s_waitcnt vmcnt(53)
	v_fma_f64 v[135:136], v[6:7], v[143:144], -v[135:136]
	ds_read_b128 v[2:5], v1 offset:912
	v_mul_f64 v[129:130], v[10:11], v[139:140]
	v_add_f64 v[18:19], v[18:19], v[125:126]
	v_fma_f64 v[125:126], v[8:9], v[143:144], v[131:132]
	v_add_f64 v[14:15], v[14:15], v[121:122]
	ds_read_b128 v[6:9], v1 offset:928
	s_waitcnt vmcnt(49) lgkmcnt(1)
	v_mul_f64 v[131:132], v[4:5], v[149:150]
	s_waitcnt vmcnt(48)
	v_fma_f64 v[133:134], v[10:11], v[141:142], -v[133:134]
	v_mul_f64 v[121:122], v[2:3], v[149:150]
	v_fma_f64 v[129:130], v[12:13], v[141:142], v[129:130]
	v_add_f64 v[18:19], v[18:19], v[135:136]
	v_add_f64 v[14:15], v[14:15], v[125:126]
	s_clause 0x3
	buffer_load_dword v125, off, s[0:3], 0 offset:112
	buffer_load_dword v126, off, s[0:3], 0 offset:116
	;; [unrolled: 1-line block ×4, first 2 shown]
	ds_read_b128 v[10:13], v1 offset:944
	s_waitcnt vmcnt(51) lgkmcnt(1)
	v_mul_f64 v[139:140], v[8:9], v[151:152]
	v_mul_f64 v[137:138], v[6:7], v[151:152]
	s_waitcnt vmcnt(49)
	v_fma_f64 v[131:132], v[2:3], v[147:148], -v[131:132]
	v_fma_f64 v[121:122], v[4:5], v[147:148], v[121:122]
	ds_read_b128 v[2:5], v1 offset:960
	v_add_f64 v[18:19], v[18:19], v[133:134]
	v_add_f64 v[14:15], v[14:15], v[129:130]
	s_waitcnt vmcnt(45) lgkmcnt(1)
	v_mul_f64 v[129:130], v[10:11], v[20:21]
	v_mul_f64 v[20:21], v[12:13], v[20:21]
	s_waitcnt vmcnt(44)
	v_fma_f64 v[133:134], v[6:7], v[153:154], -v[139:140]
	v_add_f64 v[18:19], v[18:19], v[131:132]
	v_fma_f64 v[131:132], v[8:9], v[153:154], v[137:138]
	v_add_f64 v[14:15], v[14:15], v[121:122]
	ds_read_b128 v[6:9], v1 offset:976
	s_waitcnt vmcnt(43) lgkmcnt(1)
	v_mul_f64 v[137:138], v[4:5], v[155:156]
	v_mul_f64 v[121:122], v[2:3], v[155:156]
	s_waitcnt vmcnt(41)
	v_fma_f64 v[20:21], v[10:11], v[16:17], -v[20:21]
	v_fma_f64 v[16:17], v[12:13], v[16:17], v[129:130]
	ds_read_b128 v[10:13], v1 offset:992
	v_add_f64 v[18:19], v[18:19], v[133:134]
	v_add_f64 v[14:15], v[14:15], v[131:132]
	s_waitcnt vmcnt(37) lgkmcnt(1)
	v_mul_f64 v[129:130], v[6:7], v[28:29]
	v_mul_f64 v[28:29], v[8:9], v[28:29]
	s_waitcnt vmcnt(36)
	v_fma_f64 v[131:132], v[2:3], v[160:161], -v[137:138]
	v_add_f64 v[18:19], v[18:19], v[20:21]
	v_fma_f64 v[20:21], v[4:5], v[160:161], v[121:122]
	v_add_f64 v[14:15], v[14:15], v[16:17]
	ds_read_b128 v[2:5], v1 offset:1008
	s_waitcnt vmcnt(35) lgkmcnt(1)
	v_mul_f64 v[121:122], v[12:13], v[145:146]
	v_mul_f64 v[16:17], v[10:11], v[145:146]
	s_waitcnt vmcnt(33)
	v_fma_f64 v[28:29], v[6:7], v[26:27], -v[28:29]
	v_fma_f64 v[26:27], v[8:9], v[26:27], v[129:130]
	ds_read_b128 v[6:9], v1 offset:1024
	v_add_f64 v[18:19], v[18:19], v[131:132]
	v_add_f64 v[14:15], v[14:15], v[20:21]
	s_waitcnt vmcnt(29) lgkmcnt(1)
	v_mul_f64 v[20:21], v[2:3], v[22:23]
	v_mul_f64 v[22:23], v[4:5], v[22:23]
	s_waitcnt vmcnt(28)
	v_fma_f64 v[121:122], v[10:11], v[162:163], -v[121:122]
	v_fma_f64 v[16:17], v[12:13], v[162:163], v[16:17]
	ds_read_b128 v[10:13], v1 offset:1040
	v_add_f64 v[18:19], v[18:19], v[28:29]
	v_add_f64 v[14:15], v[14:15], v[26:27]
	;; [unrolled: 9-line block ×3, first 2 shown]
	s_waitcnt vmcnt(21) lgkmcnt(1)
	v_mul_f64 v[24:25], v[12:13], v[30:31]
	s_waitcnt vmcnt(20)
	v_fma_f64 v[28:29], v[6:7], v[157:158], -v[28:29]
	v_mul_f64 v[16:17], v[10:11], v[30:31]
	v_add_f64 v[18:19], v[18:19], v[22:23]
	v_fma_f64 v[22:23], v[8:9], v[157:158], v[26:27]
	v_add_f64 v[14:15], v[14:15], v[20:21]
	ds_read_b128 v[6:9], v1 offset:1072
	s_waitcnt vmcnt(19) lgkmcnt(1)
	v_mul_f64 v[26:27], v[4:5], v[115:116]
	v_mul_f64 v[20:21], v[2:3], v[115:116]
	s_waitcnt vmcnt(17)
	v_fma_f64 v[24:25], v[10:11], v[34:35], -v[24:25]
	v_fma_f64 v[16:17], v[12:13], v[34:35], v[16:17]
	ds_read_b128 v[10:13], v1 offset:1088
	v_add_f64 v[18:19], v[18:19], v[28:29]
	v_add_f64 v[14:15], v[14:15], v[22:23]
	s_waitcnt vmcnt(13) lgkmcnt(1)
	v_mul_f64 v[28:29], v[8:9], v[32:33]
	s_waitcnt vmcnt(12)
	v_fma_f64 v[26:27], v[2:3], v[119:120], -v[26:27]
	v_mul_f64 v[22:23], v[6:7], v[32:33]
	v_fma_f64 v[20:21], v[4:5], v[119:120], v[20:21]
	ds_read_b128 v[1:4], v1 offset:1104
	v_add_f64 v[18:19], v[18:19], v[24:25]
	v_add_f64 v[14:15], v[14:15], v[16:17]
	s_waitcnt vmcnt(11) lgkmcnt(1)
	v_mul_f64 v[24:25], v[12:13], v[123:124]
	v_mul_f64 v[16:17], v[10:11], v[123:124]
	s_waitcnt vmcnt(9)
	v_fma_f64 v[5:6], v[6:7], v[36:37], -v[28:29]
	v_fma_f64 v[7:8], v[8:9], v[36:37], v[22:23]
	v_add_f64 v[18:19], v[18:19], v[26:27]
	v_add_f64 v[14:15], v[14:15], v[20:21]
	s_waitcnt vmcnt(7) lgkmcnt(0)
	v_mul_f64 v[22:23], v[3:4], v[113:114]
	s_waitcnt vmcnt(6)
	v_fma_f64 v[9:10], v[10:11], v[127:128], -v[24:25]
	v_mul_f64 v[20:21], v[1:2], v[113:114]
	v_fma_f64 v[11:12], v[12:13], v[127:128], v[16:17]
	v_add_f64 v[5:6], v[18:19], v[5:6]
	v_add_f64 v[7:8], v[14:15], v[7:8]
	s_waitcnt vmcnt(4)
	v_fma_f64 v[1:2], v[1:2], v[117:118], -v[22:23]
	v_fma_f64 v[3:4], v[3:4], v[117:118], v[20:21]
	v_add_f64 v[5:6], v[5:6], v[9:10]
	v_add_f64 v[7:8], v[7:8], v[11:12]
	;; [unrolled: 1-line block ×4, first 2 shown]
	s_waitcnt vmcnt(2)
	v_add_f64 v[1:2], v[125:126], -v[1:2]
	s_waitcnt vmcnt(0)
	v_add_f64 v[3:4], v[135:136], -v[3:4]
	buffer_store_dword v2, off, s[0:3], 0 offset:116
	buffer_store_dword v1, off, s[0:3], 0 offset:112
	;; [unrolled: 1-line block ×4, first 2 shown]
	v_cmpx_lt_u32_e32 5, v0
	s_cbranch_execz .LBB34_213
; %bb.212:
	v_mov_b32_e32 v4, s42
	v_mov_b32_e32 v5, 0
	s_clause 0x3
	buffer_load_dword v1, v4, s[0:3], 0 offen
	buffer_load_dword v2, v4, s[0:3], 0 offen offset:4
	buffer_load_dword v3, v4, s[0:3], 0 offen offset:8
	;; [unrolled: 1-line block ×3, first 2 shown]
	buffer_store_dword v5, off, s[0:3], 0 offset:96
	buffer_store_dword v5, off, s[0:3], 0 offset:100
	;; [unrolled: 1-line block ×4, first 2 shown]
	s_waitcnt vmcnt(0)
	ds_write_b128 v39, v[1:4]
.LBB34_213:
	s_or_b32 exec_lo, exec_lo, s4
	s_waitcnt lgkmcnt(0)
	s_waitcnt_vscnt null, 0x0
	s_barrier
	buffer_gl0_inv
	s_clause 0x37
	buffer_load_dword v9, off, s[0:3], 0 offset:120
	buffer_load_dword v10, off, s[0:3], 0 offset:124
	;; [unrolled: 1-line block ×56, first 2 shown]
	v_mov_b32_e32 v11, 0
	s_mov_b32 s4, exec_lo
	ds_read_b128 v[5:8], v11 offset:656
	s_clause 0x2
	buffer_load_dword v142, off, s[0:3], 0 offset:348
	buffer_load_dword v146, off, s[0:3], 0 offset:324
	;; [unrolled: 1-line block ×3, first 2 shown]
	ds_read_b128 v[12:15], v11 offset:672
	s_clause 0x4
	buffer_load_dword v150, off, s[0:3], 0 offset:364
	buffer_load_dword v151, off, s[0:3], 0 offset:376
	;; [unrolled: 1-line block ×5, first 2 shown]
	ds_read_b128 v[16:19], v11 offset:688
	s_waitcnt vmcnt(62) lgkmcnt(2)
	v_mul_f64 v[147:148], v[7:8], v[9:10]
	v_mul_f64 v[9:10], v[5:6], v[9:10]
	s_waitcnt vmcnt(60) lgkmcnt(1)
	v_mul_f64 v[154:155], v[14:15], v[20:21]
	v_mul_f64 v[20:21], v[12:13], v[20:21]
	;; [unrolled: 3-line block ×3, first 2 shown]
	v_fma_f64 v[147:148], v[5:6], v[22:23], -v[147:148]
	v_fma_f64 v[9:10], v[7:8], v[22:23], v[9:10]
	s_clause 0x2
	buffer_load_dword v152, off, s[0:3], 0 offset:380
	buffer_load_dword v23, off, s[0:3], 0 offset:356
	;; [unrolled: 1-line block ×3, first 2 shown]
	s_waitcnt vmcnt(57)
	v_fma_f64 v[12:13], v[12:13], v[1:2], -v[154:155]
	ds_read_b128 v[5:8], v11 offset:704
	v_fma_f64 v[14:15], v[14:15], v[1:2], v[20:21]
	s_clause 0x4
	buffer_load_dword v21, off, s[0:3], 0 offset:396
	buffer_load_dword v155, off, s[0:3], 0 offset:408
	;; [unrolled: 1-line block ×5, first 2 shown]
	s_waitcnt vmcnt(56)
	v_fma_f64 v[16:17], v[16:17], v[30:31], -v[158:159]
	ds_read_b128 v[1:4], v11 offset:720
	v_fma_f64 v[18:19], v[18:19], v[30:31], v[156:157]
	s_clause 0x2
	buffer_load_dword v156, off, s[0:3], 0 offset:412
	buffer_load_dword v31, off, s[0:3], 0 offset:388
	;; [unrolled: 1-line block ×3, first 2 shown]
	v_add_f64 v[147:148], v[147:148], 0
	v_add_f64 v[9:10], v[9:10], 0
	s_waitcnt lgkmcnt(1)
	v_mul_f64 v[161:162], v[5:6], v[24:25]
	v_mul_f64 v[24:25], v[7:8], v[24:25]
	s_waitcnt vmcnt(58) lgkmcnt(0)
	v_mul_f64 v[157:158], v[1:2], v[26:27]
	v_mul_f64 v[26:27], v[3:4], v[26:27]
	v_add_f64 v[147:148], v[147:148], v[12:13]
	v_add_f64 v[9:10], v[9:10], v[14:15]
	ds_read_b128 v[12:15], v11 offset:736
	s_waitcnt vmcnt(56)
	v_fma_f64 v[24:25], v[5:6], v[32:33], -v[24:25]
	v_fma_f64 v[32:33], v[7:8], v[32:33], v[161:162]
	s_waitcnt vmcnt(51)
	v_fma_f64 v[26:27], v[1:2], v[28:29], -v[26:27]
	s_waitcnt lgkmcnt(0)
	v_mul_f64 v[163:164], v[12:13], v[34:35]
	v_add_f64 v[16:17], v[147:148], v[16:17]
	v_add_f64 v[9:10], v[9:10], v[18:19]
	s_clause 0x4
	buffer_load_dword v19, off, s[0:3], 0 offset:428
	buffer_load_dword v147, off, s[0:3], 0 offset:440
	;; [unrolled: 1-line block ×5, first 2 shown]
	v_mul_f64 v[34:35], v[14:15], v[34:35]
	ds_read_b128 v[5:8], v11 offset:752
	v_add_f64 v[16:17], v[16:17], v[24:25]
	v_fma_f64 v[24:25], v[3:4], v[28:29], v[157:158]
	v_add_f64 v[9:10], v[9:10], v[32:33]
	s_clause 0x2
	buffer_load_dword v148, off, s[0:3], 0 offset:444
	buffer_load_dword v29, off, s[0:3], 0 offset:420
	;; [unrolled: 1-line block ×3, first 2 shown]
	s_waitcnt vmcnt(58) lgkmcnt(0)
	v_mul_f64 v[32:33], v[5:6], v[36:37]
	v_mul_f64 v[36:37], v[7:8], v[36:37]
	s_waitcnt vmcnt(56)
	v_fma_f64 v[34:35], v[12:13], v[113:114], -v[34:35]
	ds_read_b128 v[1:4], v11 offset:768
	v_add_f64 v[16:17], v[16:17], v[26:27]
	v_fma_f64 v[26:27], v[14:15], v[113:114], v[163:164]
	v_add_f64 v[9:10], v[9:10], v[24:25]
	s_clause 0x4
	buffer_load_dword v25, off, s[0:3], 0 offset:460
	buffer_load_dword v113, off, s[0:3], 0 offset:472
	;; [unrolled: 1-line block ×5, first 2 shown]
	ds_read_b128 v[12:15], v11 offset:784
	s_waitcnt vmcnt(57) lgkmcnt(1)
	v_mul_f64 v[158:159], v[1:2], v[115:116]
	v_mul_f64 v[115:116], v[3:4], v[115:116]
	s_waitcnt vmcnt(56)
	v_fma_f64 v[36:37], v[5:6], v[111:112], -v[36:37]
	v_fma_f64 v[32:33], v[7:8], v[111:112], v[32:33]
	v_add_f64 v[16:17], v[16:17], v[34:35]
	v_add_f64 v[9:10], v[9:10], v[26:27]
	s_clause 0x2
	buffer_load_dword v114, off, s[0:3], 0 offset:476
	buffer_load_dword v27, off, s[0:3], 0 offset:452
	;; [unrolled: 1-line block ×3, first 2 shown]
	s_waitcnt vmcnt(58) lgkmcnt(0)
	v_mul_f64 v[111:112], v[14:15], v[117:118]
	ds_read_b128 v[5:8], v11 offset:800
	s_waitcnt vmcnt(56)
	v_fma_f64 v[115:116], v[1:2], v[121:122], -v[115:116]
	v_mul_f64 v[34:35], v[12:13], v[117:118]
	v_add_f64 v[16:17], v[16:17], v[36:37]
	v_fma_f64 v[36:37], v[3:4], v[121:122], v[158:159]
	v_add_f64 v[9:10], v[9:10], v[32:33]
	s_clause 0x4
	buffer_load_dword v33, off, s[0:3], 0 offset:492
	buffer_load_dword v117, off, s[0:3], 0 offset:504
	buffer_load_dword v121, off, s[0:3], 0 offset:496
	buffer_load_dword v32, off, s[0:3], 0 offset:488
	buffer_load_dword v158, off, s[0:3], 0 offset:468
	s_waitcnt vmcnt(57) lgkmcnt(0)
	v_mul_f64 v[164:165], v[5:6], v[123:124]
	v_mul_f64 v[122:123], v[7:8], v[123:124]
	s_waitcnt vmcnt(56)
	v_fma_f64 v[111:112], v[12:13], v[119:120], -v[111:112]
	ds_read_b128 v[1:4], v11 offset:816
	v_fma_f64 v[34:35], v[14:15], v[119:120], v[34:35]
	v_add_f64 v[16:17], v[16:17], v[115:116]
	v_add_f64 v[9:10], v[9:10], v[36:37]
	s_clause 0x2
	buffer_load_dword v118, off, s[0:3], 0 offset:508
	buffer_load_dword v37, off, s[0:3], 0 offset:484
	buffer_load_dword v36, off, s[0:3], 0 offset:480
	ds_read_b128 v[12:15], v11 offset:832
	s_waitcnt vmcnt(58) lgkmcnt(1)
	v_mul_f64 v[119:120], v[3:4], v[125:126]
	s_waitcnt vmcnt(56)
	v_fma_f64 v[123:124], v[5:6], v[129:130], -v[122:123]
	v_mul_f64 v[115:116], v[1:2], v[125:126]
	v_add_f64 v[16:17], v[16:17], v[111:112]
	v_fma_f64 v[111:112], v[7:8], v[129:130], v[164:165]
	v_add_f64 v[9:10], v[9:10], v[34:35]
	s_clause 0x4
	buffer_load_dword v35, off, s[0:3], 0 offset:524
	buffer_load_dword v125, off, s[0:3], 0 offset:536
	buffer_load_dword v129, off, s[0:3], 0 offset:528
	buffer_load_dword v34, off, s[0:3], 0 offset:520
	buffer_load_dword v122, off, s[0:3], 0 offset:500
	s_waitcnt vmcnt(57) lgkmcnt(0)
	v_mul_f64 v[164:165], v[12:13], v[131:132]
	v_mul_f64 v[130:131], v[14:15], v[131:132]
	s_waitcnt vmcnt(56)
	v_fma_f64 v[119:120], v[1:2], v[127:128], -v[119:120]
	ds_read_b128 v[5:8], v11 offset:848
	v_fma_f64 v[115:116], v[3:4], v[127:128], v[115:116]
	v_add_f64 v[16:17], v[16:17], v[123:124]
	v_add_f64 v[9:10], v[9:10], v[111:112]
	s_clause 0x2
	buffer_load_dword v126, off, s[0:3], 0 offset:540
	buffer_load_dword v112, off, s[0:3], 0 offset:516
	buffer_load_dword v111, off, s[0:3], 0 offset:512
	ds_read_b128 v[1:4], v11 offset:864
	s_waitcnt vmcnt(58) lgkmcnt(1)
	v_mul_f64 v[127:128], v[7:8], v[133:134]
	;; [unrolled: 28-line block ×3, first 2 shown]
	s_waitcnt vmcnt(56)
	v_fma_f64 v[139:140], v[1:2], v[145:146], -v[138:139]
	v_mul_f64 v[131:132], v[12:13], v[141:142]
	buffer_load_dword v138, off, s[0:3], 0 offset:564
	v_add_f64 v[16:17], v[16:17], v[127:128]
	v_fma_f64 v[127:128], v[3:4], v[145:146], v[164:165]
	v_add_f64 v[9:10], v[9:10], v[123:124]
	ds_read_b128 v[1:4], v11 offset:912
	s_waitcnt vmcnt(53) lgkmcnt(1)
	v_mul_f64 v[141:142], v[7:8], v[149:150]
	s_waitcnt vmcnt(52)
	v_fma_f64 v[135:136], v[12:13], v[143:144], -v[135:136]
	v_mul_f64 v[123:124], v[5:6], v[149:150]
	v_fma_f64 v[131:132], v[14:15], v[143:144], v[131:132]
	ds_read_b128 v[12:15], v11 offset:928
	v_add_f64 v[16:17], v[16:17], v[139:140]
	v_add_f64 v[9:10], v[9:10], v[127:128]
	s_waitcnt vmcnt(51) lgkmcnt(1)
	v_mul_f64 v[139:140], v[3:4], v[151:152]
	v_mul_f64 v[127:128], v[1:2], v[151:152]
	s_waitcnt vmcnt(49)
	v_fma_f64 v[141:142], v[5:6], v[22:23], -v[141:142]
	v_fma_f64 v[22:23], v[7:8], v[22:23], v[123:124]
	v_add_f64 v[16:17], v[16:17], v[135:136]
	s_waitcnt vmcnt(45) lgkmcnt(0)
	v_mul_f64 v[135:136], v[12:13], v[20:21]
	v_add_f64 v[9:10], v[9:10], v[131:132]
	s_clause 0x3
	buffer_load_dword v123, off, s[0:3], 0 offset:96
	buffer_load_dword v124, off, s[0:3], 0 offset:100
	;; [unrolled: 1-line block ×4, first 2 shown]
	v_mul_f64 v[20:21], v[14:15], v[20:21]
	ds_read_b128 v[5:8], v11 offset:944
	s_waitcnt vmcnt(48)
	v_fma_f64 v[139:140], v[1:2], v[153:154], -v[139:140]
	v_fma_f64 v[127:128], v[3:4], v[153:154], v[127:128]
	ds_read_b128 v[1:4], v11 offset:960
	v_add_f64 v[16:17], v[16:17], v[141:142]
	v_add_f64 v[9:10], v[9:10], v[22:23]
	s_waitcnt vmcnt(47) lgkmcnt(1)
	v_mul_f64 v[141:142], v[7:8], v[155:156]
	s_waitcnt vmcnt(45)
	v_fma_f64 v[20:21], v[12:13], v[30:31], -v[20:21]
	v_mul_f64 v[22:23], v[5:6], v[155:156]
	v_fma_f64 v[30:31], v[14:15], v[30:31], v[135:136]
	ds_read_b128 v[12:15], v11 offset:976
	v_add_f64 v[16:17], v[16:17], v[139:140]
	v_add_f64 v[9:10], v[9:10], v[127:128]
	s_waitcnt vmcnt(41) lgkmcnt(1)
	v_mul_f64 v[127:128], v[1:2], v[18:19]
	v_mul_f64 v[18:19], v[3:4], v[18:19]
	s_waitcnt vmcnt(40)
	v_fma_f64 v[135:136], v[5:6], v[160:161], -v[141:142]
	v_add_f64 v[16:17], v[16:17], v[20:21]
	v_fma_f64 v[20:21], v[7:8], v[160:161], v[22:23]
	v_add_f64 v[9:10], v[9:10], v[30:31]
	ds_read_b128 v[5:8], v11 offset:992
	s_waitcnt vmcnt(39) lgkmcnt(1)
	v_mul_f64 v[30:31], v[14:15], v[147:148]
	v_mul_f64 v[22:23], v[12:13], v[147:148]
	s_waitcnt vmcnt(37)
	v_fma_f64 v[18:19], v[1:2], v[28:29], -v[18:19]
	v_fma_f64 v[28:29], v[3:4], v[28:29], v[127:128]
	ds_read_b128 v[1:4], v11 offset:1008
	v_add_f64 v[16:17], v[16:17], v[135:136]
	v_add_f64 v[9:10], v[9:10], v[20:21]
	s_waitcnt vmcnt(33) lgkmcnt(1)
	v_mul_f64 v[20:21], v[5:6], v[24:25]
	v_mul_f64 v[24:25], v[7:8], v[24:25]
	s_waitcnt vmcnt(32)
	v_fma_f64 v[30:31], v[12:13], v[162:163], -v[30:31]
	v_add_f64 v[16:17], v[16:17], v[18:19]
	v_fma_f64 v[18:19], v[14:15], v[162:163], v[22:23]
	v_add_f64 v[9:10], v[9:10], v[28:29]
	ds_read_b128 v[12:15], v11 offset:1024
	s_waitcnt vmcnt(31) lgkmcnt(1)
	v_mul_f64 v[28:29], v[3:4], v[113:114]
	v_mul_f64 v[22:23], v[1:2], v[113:114]
	s_waitcnt vmcnt(29)
	v_fma_f64 v[24:25], v[5:6], v[26:27], -v[24:25]
	v_fma_f64 v[20:21], v[7:8], v[26:27], v[20:21]
	ds_read_b128 v[5:8], v11 offset:1040
	v_add_f64 v[16:17], v[16:17], v[30:31]
	v_add_f64 v[9:10], v[9:10], v[18:19]
	s_waitcnt vmcnt(25) lgkmcnt(1)
	v_mul_f64 v[26:27], v[14:15], v[32:33]
	s_waitcnt vmcnt(24)
	v_fma_f64 v[28:29], v[1:2], v[157:158], -v[28:29]
	v_mul_f64 v[18:19], v[12:13], v[32:33]
	v_fma_f64 v[22:23], v[3:4], v[157:158], v[22:23]
	ds_read_b128 v[1:4], v11 offset:1056
	v_add_f64 v[16:17], v[16:17], v[24:25]
	v_add_f64 v[9:10], v[9:10], v[20:21]
	s_waitcnt vmcnt(23) lgkmcnt(1)
	v_mul_f64 v[24:25], v[7:8], v[117:118]
	v_mul_f64 v[20:21], v[5:6], v[117:118]
	s_waitcnt vmcnt(21)
	v_fma_f64 v[26:27], v[12:13], v[36:37], -v[26:27]
	v_fma_f64 v[18:19], v[14:15], v[36:37], v[18:19]
	ds_read_b128 v[12:15], v11 offset:1072
	v_add_f64 v[16:17], v[16:17], v[28:29]
	v_add_f64 v[9:10], v[9:10], v[22:23]
	s_waitcnt vmcnt(17) lgkmcnt(1)
	v_mul_f64 v[28:29], v[3:4], v[34:35]
	s_waitcnt vmcnt(16)
	v_fma_f64 v[24:25], v[5:6], v[121:122], -v[24:25]
	v_mul_f64 v[22:23], v[1:2], v[34:35]
	v_fma_f64 v[20:21], v[7:8], v[121:122], v[20:21]
	ds_read_b128 v[5:8], v11 offset:1088
	v_add_f64 v[16:17], v[16:17], v[26:27]
	v_add_f64 v[9:10], v[9:10], v[18:19]
	s_waitcnt vmcnt(15) lgkmcnt(1)
	v_mul_f64 v[26:27], v[14:15], v[125:126]
	v_mul_f64 v[18:19], v[12:13], v[125:126]
	s_waitcnt vmcnt(13)
	v_fma_f64 v[28:29], v[1:2], v[111:112], -v[28:29]
	v_fma_f64 v[22:23], v[3:4], v[111:112], v[22:23]
	ds_read_b128 v[1:4], v11 offset:1104
	v_add_f64 v[16:17], v[16:17], v[24:25]
	v_add_f64 v[9:10], v[9:10], v[20:21]
	s_waitcnt vmcnt(9) lgkmcnt(1)
	v_mul_f64 v[24:25], v[7:8], v[115:116]
	s_waitcnt vmcnt(8)
	v_fma_f64 v[12:13], v[12:13], v[129:130], -v[26:27]
	v_mul_f64 v[20:21], v[5:6], v[115:116]
	v_fma_f64 v[14:15], v[14:15], v[129:130], v[18:19]
	v_add_f64 v[16:17], v[16:17], v[28:29]
	v_add_f64 v[9:10], v[9:10], v[22:23]
	s_waitcnt vmcnt(7) lgkmcnt(0)
	v_mul_f64 v[22:23], v[3:4], v[133:134]
	v_mul_f64 v[18:19], v[1:2], v[133:134]
	s_waitcnt vmcnt(5)
	v_fma_f64 v[5:6], v[5:6], v[119:120], -v[24:25]
	v_fma_f64 v[7:8], v[7:8], v[119:120], v[20:21]
	v_add_f64 v[12:13], v[16:17], v[12:13]
	v_add_f64 v[9:10], v[9:10], v[14:15]
	s_waitcnt vmcnt(4)
	v_fma_f64 v[1:2], v[1:2], v[137:138], -v[22:23]
	v_fma_f64 v[3:4], v[3:4], v[137:138], v[18:19]
	v_add_f64 v[5:6], v[12:13], v[5:6]
	v_add_f64 v[7:8], v[9:10], v[7:8]
	;; [unrolled: 1-line block ×4, first 2 shown]
	s_waitcnt vmcnt(2)
	v_add_f64 v[1:2], v[123:124], -v[1:2]
	s_waitcnt vmcnt(0)
	v_add_f64 v[3:4], v[131:132], -v[3:4]
	buffer_store_dword v2, off, s[0:3], 0 offset:100
	buffer_store_dword v1, off, s[0:3], 0 offset:96
	;; [unrolled: 1-line block ×4, first 2 shown]
	v_cmpx_lt_u32_e32 4, v0
	s_cbranch_execz .LBB34_215
; %bb.214:
	v_mov_b32_e32 v4, s43
	s_clause 0x3
	buffer_load_dword v1, v4, s[0:3], 0 offen
	buffer_load_dword v2, v4, s[0:3], 0 offen offset:4
	buffer_load_dword v3, v4, s[0:3], 0 offen offset:8
	;; [unrolled: 1-line block ×3, first 2 shown]
	buffer_store_dword v11, off, s[0:3], 0 offset:80
	buffer_store_dword v11, off, s[0:3], 0 offset:84
	;; [unrolled: 1-line block ×4, first 2 shown]
	s_waitcnt vmcnt(0)
	ds_write_b128 v39, v[1:4]
.LBB34_215:
	s_or_b32 exec_lo, exec_lo, s4
	s_waitcnt lgkmcnt(0)
	s_waitcnt_vscnt null, 0x0
	s_barrier
	buffer_gl0_inv
	s_clause 0x37
	buffer_load_dword v9, off, s[0:3], 0 offset:104
	buffer_load_dword v10, off, s[0:3], 0 offset:108
	;; [unrolled: 1-line block ×56, first 2 shown]
	ds_read_b128 v[12:15], v11 offset:640
	s_clause 0x2
	buffer_load_dword v142, off, s[0:3], 0 offset:332
	buffer_load_dword v146, off, s[0:3], 0 offset:308
	buffer_load_dword v145, off, s[0:3], 0 offset:304
	ds_read_b128 v[16:19], v11 offset:656
	s_clause 0x4
	buffer_load_dword v150, off, s[0:3], 0 offset:348
	buffer_load_dword v151, off, s[0:3], 0 offset:360
	;; [unrolled: 1-line block ×5, first 2 shown]
	ds_read_b128 v[20:23], v11 offset:672
	s_clause 0x2
	buffer_load_dword v152, off, s[0:3], 0 offset:364
	buffer_load_dword v157, off, s[0:3], 0 offset:340
	;; [unrolled: 1-line block ×3, first 2 shown]
	s_mov_b32 s4, exec_lo
	s_waitcnt vmcnt(62) lgkmcnt(2)
	v_mul_f64 v[147:148], v[14:15], v[9:10]
	v_mul_f64 v[9:10], v[12:13], v[9:10]
	s_waitcnt lgkmcnt(1)
	v_mul_f64 v[154:155], v[18:19], v[5:6]
	s_waitcnt vmcnt(59) lgkmcnt(0)
	v_mul_f64 v[158:159], v[22:23], v[3:4]
	v_fma_f64 v[12:13], v[12:13], v[7:8], -v[147:148]
	v_mul_f64 v[147:148], v[16:17], v[5:6]
	v_fma_f64 v[9:10], v[14:15], v[7:8], v[9:10]
	s_waitcnt vmcnt(57)
	v_fma_f64 v[16:17], v[16:17], v[1:2], -v[154:155]
	ds_read_b128 v[5:8], v11 offset:688
	v_mul_f64 v[14:15], v[20:21], v[3:4]
	s_waitcnt vmcnt(51)
	v_fma_f64 v[20:21], v[20:21], v[30:31], -v[158:159]
	v_add_f64 v[12:13], v[12:13], 0
	v_fma_f64 v[18:19], v[18:19], v[1:2], v[147:148]
	v_add_f64 v[9:10], v[9:10], 0
	s_clause 0x4
	buffer_load_dword v148, off, s[0:3], 0 offset:380
	buffer_load_dword v160, off, s[0:3], 0 offset:392
	;; [unrolled: 1-line block ×5, first 2 shown]
	s_waitcnt lgkmcnt(0)
	v_mul_f64 v[163:164], v[5:6], v[24:25]
	v_mul_f64 v[24:25], v[7:8], v[24:25]
	ds_read_b128 v[1:4], v11 offset:704
	v_fma_f64 v[22:23], v[22:23], v[30:31], v[14:15]
	v_add_f64 v[16:17], v[12:13], v[16:17]
	v_add_f64 v[9:10], v[9:10], v[18:19]
	s_clause 0x2
	buffer_load_dword v161, off, s[0:3], 0 offset:396
	buffer_load_dword v19, off, s[0:3], 0 offset:372
	;; [unrolled: 1-line block ×3, first 2 shown]
	s_waitcnt vmcnt(58) lgkmcnt(0)
	v_mul_f64 v[30:31], v[1:2], v[26:27]
	v_mul_f64 v[26:27], v[3:4], v[26:27]
	s_waitcnt vmcnt(56)
	v_fma_f64 v[24:25], v[5:6], v[32:33], -v[24:25]
	ds_read_b128 v[12:15], v11 offset:720
	v_add_f64 v[16:17], v[16:17], v[20:21]
	v_fma_f64 v[20:21], v[7:8], v[32:33], v[163:164]
	v_add_f64 v[9:10], v[9:10], v[22:23]
	s_clause 0x4
	buffer_load_dword v23, off, s[0:3], 0 offset:412
	buffer_load_dword v32, off, s[0:3], 0 offset:424
	;; [unrolled: 1-line block ×5, first 2 shown]
	ds_read_b128 v[5:8], v11 offset:736
	s_waitcnt vmcnt(57) lgkmcnt(1)
	v_mul_f64 v[164:165], v[12:13], v[34:35]
	v_mul_f64 v[34:35], v[14:15], v[34:35]
	s_waitcnt vmcnt(56)
	v_fma_f64 v[26:27], v[1:2], v[28:29], -v[26:27]
	v_add_f64 v[16:17], v[16:17], v[24:25]
	v_fma_f64 v[24:25], v[3:4], v[28:29], v[30:31]
	v_add_f64 v[9:10], v[9:10], v[20:21]
	s_clause 0x2
	buffer_load_dword v33, off, s[0:3], 0 offset:428
	buffer_load_dword v21, off, s[0:3], 0 offset:404
	buffer_load_dword v20, off, s[0:3], 0 offset:400
	s_waitcnt vmcnt(58) lgkmcnt(0)
	v_mul_f64 v[30:31], v[7:8], v[36:37]
	ds_read_b128 v[1:4], v11 offset:752
	s_waitcnt vmcnt(56)
	v_fma_f64 v[34:35], v[12:13], v[113:114], -v[34:35]
	v_mul_f64 v[28:29], v[5:6], v[36:37]
	v_add_f64 v[16:17], v[16:17], v[26:27]
	v_fma_f64 v[26:27], v[14:15], v[113:114], v[164:165]
	v_add_f64 v[9:10], v[9:10], v[24:25]
	s_clause 0x4
	buffer_load_dword v25, off, s[0:3], 0 offset:444
	buffer_load_dword v36, off, s[0:3], 0 offset:456
	buffer_load_dword v113, off, s[0:3], 0 offset:448
	buffer_load_dword v24, off, s[0:3], 0 offset:440
	buffer_load_dword v159, off, s[0:3], 0 offset:420
	s_waitcnt vmcnt(57) lgkmcnt(0)
	v_mul_f64 v[164:165], v[1:2], v[115:116]
	v_mul_f64 v[114:115], v[3:4], v[115:116]
	s_waitcnt vmcnt(56)
	v_fma_f64 v[30:31], v[5:6], v[111:112], -v[30:31]
	ds_read_b128 v[12:15], v11 offset:768
	v_fma_f64 v[28:29], v[7:8], v[111:112], v[28:29]
	v_add_f64 v[16:17], v[16:17], v[34:35]
	v_add_f64 v[9:10], v[9:10], v[26:27]
	s_clause 0x2
	buffer_load_dword v37, off, s[0:3], 0 offset:460
	buffer_load_dword v27, off, s[0:3], 0 offset:436
	buffer_load_dword v26, off, s[0:3], 0 offset:432
	ds_read_b128 v[5:8], v11 offset:784
	s_waitcnt vmcnt(58) lgkmcnt(1)
	v_mul_f64 v[111:112], v[14:15], v[117:118]
	s_waitcnt vmcnt(56)
	v_fma_f64 v[115:116], v[1:2], v[121:122], -v[114:115]
	v_mul_f64 v[34:35], v[12:13], v[117:118]
	v_add_f64 v[16:17], v[16:17], v[30:31]
	v_fma_f64 v[30:31], v[3:4], v[121:122], v[164:165]
	v_add_f64 v[9:10], v[9:10], v[28:29]
	s_clause 0x4
	buffer_load_dword v29, off, s[0:3], 0 offset:476
	buffer_load_dword v117, off, s[0:3], 0 offset:488
	buffer_load_dword v121, off, s[0:3], 0 offset:480
	buffer_load_dword v28, off, s[0:3], 0 offset:472
	buffer_load_dword v114, off, s[0:3], 0 offset:452
	s_waitcnt vmcnt(57) lgkmcnt(0)
	v_mul_f64 v[164:165], v[5:6], v[123:124]
	v_mul_f64 v[122:123], v[7:8], v[123:124]
	s_waitcnt vmcnt(56)
	v_fma_f64 v[111:112], v[12:13], v[119:120], -v[111:112]
	ds_read_b128 v[1:4], v11 offset:800
	v_fma_f64 v[34:35], v[14:15], v[119:120], v[34:35]
	v_add_f64 v[16:17], v[16:17], v[115:116]
	v_add_f64 v[9:10], v[9:10], v[30:31]
	s_clause 0x2
	buffer_load_dword v118, off, s[0:3], 0 offset:492
	buffer_load_dword v31, off, s[0:3], 0 offset:468
	buffer_load_dword v30, off, s[0:3], 0 offset:464
	ds_read_b128 v[12:15], v11 offset:816
	s_waitcnt vmcnt(58) lgkmcnt(1)
	v_mul_f64 v[119:120], v[3:4], v[125:126]
	;; [unrolled: 28-line block ×4, first 2 shown]
	s_waitcnt vmcnt(56)
	v_fma_f64 v[139:140], v[1:2], v[145:146], -v[138:139]
	v_mul_f64 v[131:132], v[12:13], v[141:142]
	v_add_f64 v[16:17], v[16:17], v[127:128]
	v_fma_f64 v[127:128], v[3:4], v[145:146], v[164:165]
	v_add_f64 v[9:10], v[9:10], v[123:124]
	s_clause 0x2
	buffer_load_dword v124, off, s[0:3], 0 offset:572
	buffer_load_dword v123, off, s[0:3], 0 offset:568
	buffer_load_dword v138, off, s[0:3], 0 offset:548
	s_waitcnt vmcnt(55) lgkmcnt(0)
	v_mul_f64 v[145:146], v[7:8], v[149:150]
	s_waitcnt vmcnt(54)
	v_fma_f64 v[135:136], v[12:13], v[143:144], -v[135:136]
	ds_read_b128 v[1:4], v11 offset:896
	v_mul_f64 v[141:142], v[5:6], v[149:150]
	v_fma_f64 v[131:132], v[14:15], v[143:144], v[131:132]
	v_add_f64 v[16:17], v[16:17], v[139:140]
	v_add_f64 v[9:10], v[9:10], v[127:128]
	s_clause 0x1
	buffer_load_dword v128, off, s[0:3], 0 offset:564
	buffer_load_dword v127, off, s[0:3], 0 offset:560
	s_waitcnt vmcnt(55) lgkmcnt(0)
	v_mul_f64 v[143:144], v[3:4], v[151:152]
	s_waitcnt vmcnt(53)
	v_fma_f64 v[145:146], v[5:6], v[156:157], -v[145:146]
	ds_read_b128 v[12:15], v11 offset:912
	v_mul_f64 v[139:140], v[1:2], v[151:152]
	v_add_f64 v[16:17], v[16:17], v[135:136]
	v_fma_f64 v[135:136], v[7:8], v[156:157], v[141:142]
	v_add_f64 v[9:10], v[9:10], v[131:132]
	ds_read_b128 v[5:8], v11 offset:928
	s_waitcnt vmcnt(49) lgkmcnt(1)
	v_mul_f64 v[141:142], v[14:15], v[147:148]
	s_waitcnt vmcnt(48)
	v_fma_f64 v[143:144], v[1:2], v[153:154], -v[143:144]
	v_mul_f64 v[131:132], v[12:13], v[147:148]
	v_fma_f64 v[139:140], v[3:4], v[153:154], v[139:140]
	v_add_f64 v[16:17], v[16:17], v[145:146]
	v_add_f64 v[9:10], v[9:10], v[135:136]
	s_clause 0x3
	buffer_load_dword v135, off, s[0:3], 0 offset:80
	buffer_load_dword v136, off, s[0:3], 0 offset:84
	buffer_load_dword v145, off, s[0:3], 0 offset:88
	buffer_load_dword v146, off, s[0:3], 0 offset:92
	ds_read_b128 v[1:4], v11 offset:944
	s_waitcnt vmcnt(51) lgkmcnt(1)
	v_mul_f64 v[149:150], v[7:8], v[160:161]
	v_mul_f64 v[147:148], v[5:6], v[160:161]
	s_waitcnt vmcnt(49)
	v_fma_f64 v[141:142], v[12:13], v[18:19], -v[141:142]
	v_fma_f64 v[18:19], v[14:15], v[18:19], v[131:132]
	ds_read_b128 v[12:15], v11 offset:960
	v_add_f64 v[16:17], v[16:17], v[143:144]
	v_add_f64 v[9:10], v[9:10], v[139:140]
	s_waitcnt vmcnt(45) lgkmcnt(1)
	v_mul_f64 v[131:132], v[1:2], v[22:23]
	v_mul_f64 v[22:23], v[3:4], v[22:23]
	s_waitcnt vmcnt(44)
	v_fma_f64 v[139:140], v[5:6], v[162:163], -v[149:150]
	v_add_f64 v[16:17], v[16:17], v[141:142]
	v_fma_f64 v[141:142], v[7:8], v[162:163], v[147:148]
	v_add_f64 v[9:10], v[9:10], v[18:19]
	ds_read_b128 v[5:8], v11 offset:976
	s_waitcnt vmcnt(43) lgkmcnt(1)
	v_mul_f64 v[18:19], v[12:13], v[32:33]
	v_mul_f64 v[32:33], v[14:15], v[32:33]
	s_waitcnt vmcnt(41)
	v_fma_f64 v[22:23], v[1:2], v[20:21], -v[22:23]
	v_fma_f64 v[20:21], v[3:4], v[20:21], v[131:132]
	ds_read_b128 v[1:4], v11 offset:992
	v_add_f64 v[16:17], v[16:17], v[139:140]
	v_add_f64 v[9:10], v[9:10], v[141:142]
	s_waitcnt vmcnt(37) lgkmcnt(1)
	v_mul_f64 v[131:132], v[5:6], v[24:25]
	v_mul_f64 v[24:25], v[7:8], v[24:25]
	s_waitcnt vmcnt(36)
	v_fma_f64 v[32:33], v[12:13], v[158:159], -v[32:33]
	v_fma_f64 v[18:19], v[14:15], v[158:159], v[18:19]
	ds_read_b128 v[12:15], v11 offset:1008
	v_add_f64 v[16:17], v[16:17], v[22:23]
	v_add_f64 v[9:10], v[9:10], v[20:21]
	;; [unrolled: 9-line block ×5, first 2 shown]
	s_waitcnt vmcnt(21) lgkmcnt(1)
	v_mul_f64 v[22:23], v[3:4], v[34:35]
	s_waitcnt vmcnt(20)
	v_fma_f64 v[26:27], v[5:6], v[121:122], -v[26:27]
	v_mul_f64 v[20:21], v[1:2], v[34:35]
	v_fma_f64 v[24:25], v[7:8], v[121:122], v[24:25]
	ds_read_b128 v[5:8], v11 offset:1072
	v_add_f64 v[16:17], v[16:17], v[28:29]
	v_add_f64 v[9:10], v[9:10], v[18:19]
	s_waitcnt vmcnt(19) lgkmcnt(1)
	v_mul_f64 v[28:29], v[14:15], v[125:126]
	v_mul_f64 v[18:19], v[12:13], v[125:126]
	s_waitcnt vmcnt(17)
	v_fma_f64 v[22:23], v[1:2], v[111:112], -v[22:23]
	v_fma_f64 v[20:21], v[3:4], v[111:112], v[20:21]
	ds_read_b128 v[1:4], v11 offset:1088
	v_add_f64 v[16:17], v[16:17], v[26:27]
	v_add_f64 v[9:10], v[9:10], v[24:25]
	s_waitcnt vmcnt(13) lgkmcnt(1)
	v_mul_f64 v[26:27], v[7:8], v[115:116]
	s_waitcnt vmcnt(12)
	v_fma_f64 v[28:29], v[12:13], v[129:130], -v[28:29]
	v_mul_f64 v[24:25], v[5:6], v[115:116]
	v_fma_f64 v[13:14], v[14:15], v[129:130], v[18:19]
	v_add_f64 v[16:17], v[16:17], v[22:23]
	v_add_f64 v[18:19], v[9:10], v[20:21]
	ds_read_b128 v[9:12], v11 offset:1104
	s_waitcnt vmcnt(11) lgkmcnt(1)
	v_mul_f64 v[22:23], v[3:4], v[133:134]
	v_mul_f64 v[20:21], v[1:2], v[133:134]
	s_waitcnt vmcnt(9)
	v_fma_f64 v[5:6], v[5:6], v[119:120], -v[26:27]
	v_fma_f64 v[7:8], v[7:8], v[119:120], v[24:25]
	v_add_f64 v[15:16], v[16:17], v[28:29]
	v_add_f64 v[13:14], v[18:19], v[13:14]
	s_waitcnt vmcnt(7) lgkmcnt(0)
	v_mul_f64 v[24:25], v[11:12], v[123:124]
	s_waitcnt vmcnt(6)
	v_fma_f64 v[1:2], v[1:2], v[137:138], -v[22:23]
	v_mul_f64 v[17:18], v[9:10], v[123:124]
	v_fma_f64 v[3:4], v[3:4], v[137:138], v[20:21]
	v_add_f64 v[5:6], v[15:16], v[5:6]
	v_add_f64 v[7:8], v[13:14], v[7:8]
	s_waitcnt vmcnt(4)
	v_fma_f64 v[9:10], v[9:10], v[127:128], -v[24:25]
	v_add_f64 v[1:2], v[5:6], v[1:2]
	v_fma_f64 v[5:6], v[11:12], v[127:128], v[17:18]
	v_add_f64 v[3:4], v[7:8], v[3:4]
	v_add_f64 v[1:2], v[1:2], v[9:10]
	;; [unrolled: 1-line block ×3, first 2 shown]
	s_waitcnt vmcnt(2)
	v_add_f64 v[1:2], v[135:136], -v[1:2]
	s_waitcnt vmcnt(0)
	v_add_f64 v[3:4], v[145:146], -v[3:4]
	buffer_store_dword v2, off, s[0:3], 0 offset:84
	buffer_store_dword v1, off, s[0:3], 0 offset:80
	;; [unrolled: 1-line block ×4, first 2 shown]
	v_cmpx_lt_u32_e32 3, v0
	s_cbranch_execz .LBB34_217
; %bb.216:
	v_mov_b32_e32 v4, s44
	v_mov_b32_e32 v5, 0
	s_clause 0x3
	buffer_load_dword v1, v4, s[0:3], 0 offen
	buffer_load_dword v2, v4, s[0:3], 0 offen offset:4
	buffer_load_dword v3, v4, s[0:3], 0 offen offset:8
	;; [unrolled: 1-line block ×3, first 2 shown]
	buffer_store_dword v5, off, s[0:3], 0 offset:64
	buffer_store_dword v5, off, s[0:3], 0 offset:68
	;; [unrolled: 1-line block ×4, first 2 shown]
	s_waitcnt vmcnt(0)
	ds_write_b128 v39, v[1:4]
.LBB34_217:
	s_or_b32 exec_lo, exec_lo, s4
	s_waitcnt lgkmcnt(0)
	s_waitcnt_vscnt null, 0x0
	s_barrier
	buffer_gl0_inv
	s_clause 0x37
	buffer_load_dword v9, off, s[0:3], 0 offset:88
	buffer_load_dword v10, off, s[0:3], 0 offset:92
	buffer_load_dword v5, off, s[0:3], 0 offset:104
	buffer_load_dword v6, off, s[0:3], 0 offset:108
	buffer_load_dword v7, off, s[0:3], 0 offset:80
	buffer_load_dword v8, off, s[0:3], 0 offset:84
	buffer_load_dword v3, off, s[0:3], 0 offset:120
	buffer_load_dword v4, off, s[0:3], 0 offset:124
	buffer_load_dword v1, off, s[0:3], 0 offset:96
	buffer_load_dword v2, off, s[0:3], 0 offset:100
	buffer_load_dword v14, off, s[0:3], 0 offset:140
	buffer_load_dword v30, off, s[0:3], 0 offset:152
	buffer_load_dword v11, off, s[0:3], 0 offset:144
	buffer_load_dword v13, off, s[0:3], 0 offset:136
	buffer_load_dword v32, off, s[0:3], 0 offset:112
	buffer_load_dword v33, off, s[0:3], 0 offset:116
	buffer_load_dword v31, off, s[0:3], 0 offset:156
	buffer_load_dword v35, off, s[0:3], 0 offset:132
	buffer_load_dword v34, off, s[0:3], 0 offset:128
	buffer_load_dword v37, off, s[0:3], 0 offset:172
	buffer_load_dword v111, off, s[0:3], 0 offset:184
	buffer_load_dword v15, off, s[0:3], 0 offset:176
	buffer_load_dword v36, off, s[0:3], 0 offset:168
	buffer_load_dword v12, off, s[0:3], 0 offset:148
	buffer_load_dword v112, off, s[0:3], 0 offset:188
	buffer_load_dword v114, off, s[0:3], 0 offset:164
	buffer_load_dword v113, off, s[0:3], 0 offset:160
	buffer_load_dword v116, off, s[0:3], 0 offset:204
	buffer_load_dword v117, off, s[0:3], 0 offset:216
	buffer_load_dword v119, off, s[0:3], 0 offset:208
	buffer_load_dword v115, off, s[0:3], 0 offset:200
	buffer_load_dword v16, off, s[0:3], 0 offset:180
	buffer_load_dword v118, off, s[0:3], 0 offset:220
	buffer_load_dword v122, off, s[0:3], 0 offset:196
	buffer_load_dword v121, off, s[0:3], 0 offset:192
	buffer_load_dword v124, off, s[0:3], 0 offset:236
	buffer_load_dword v125, off, s[0:3], 0 offset:248
	buffer_load_dword v127, off, s[0:3], 0 offset:240
	buffer_load_dword v123, off, s[0:3], 0 offset:232
	buffer_load_dword v120, off, s[0:3], 0 offset:212
	buffer_load_dword v126, off, s[0:3], 0 offset:252
	buffer_load_dword v130, off, s[0:3], 0 offset:228
	buffer_load_dword v129, off, s[0:3], 0 offset:224
	buffer_load_dword v132, off, s[0:3], 0 offset:268
	buffer_load_dword v133, off, s[0:3], 0 offset:280
	buffer_load_dword v135, off, s[0:3], 0 offset:272
	buffer_load_dword v131, off, s[0:3], 0 offset:264
	buffer_load_dword v128, off, s[0:3], 0 offset:244
	buffer_load_dword v134, off, s[0:3], 0 offset:284
	buffer_load_dword v138, off, s[0:3], 0 offset:260
	buffer_load_dword v137, off, s[0:3], 0 offset:256
	buffer_load_dword v140, off, s[0:3], 0 offset:300
	buffer_load_dword v141, off, s[0:3], 0 offset:312
	buffer_load_dword v143, off, s[0:3], 0 offset:304
	buffer_load_dword v139, off, s[0:3], 0 offset:296
	buffer_load_dword v136, off, s[0:3], 0 offset:276
	v_mov_b32_e32 v29, 0
	s_mov_b32 s4, exec_lo
	ds_read_b128 v[17:20], v29 offset:624
	s_clause 0x2
	buffer_load_dword v142, off, s[0:3], 0 offset:316
	buffer_load_dword v146, off, s[0:3], 0 offset:292
	;; [unrolled: 1-line block ×3, first 2 shown]
	ds_read_b128 v[21:24], v29 offset:640
	s_clause 0x4
	buffer_load_dword v150, off, s[0:3], 0 offset:332
	buffer_load_dword v151, off, s[0:3], 0 offset:344
	;; [unrolled: 1-line block ×5, first 2 shown]
	ds_read_b128 v[25:28], v29 offset:656
	s_clause 0x2
	buffer_load_dword v152, off, s[0:3], 0 offset:348
	buffer_load_dword v157, off, s[0:3], 0 offset:324
	;; [unrolled: 1-line block ×3, first 2 shown]
	s_waitcnt vmcnt(62) lgkmcnt(2)
	v_mul_f64 v[147:148], v[19:20], v[9:10]
	v_mul_f64 v[9:10], v[17:18], v[9:10]
	s_waitcnt lgkmcnt(1)
	v_mul_f64 v[154:155], v[23:24], v[5:6]
	s_waitcnt vmcnt(59) lgkmcnt(0)
	v_mul_f64 v[158:159], v[27:28], v[3:4]
	v_fma_f64 v[17:18], v[17:18], v[7:8], -v[147:148]
	v_mul_f64 v[147:148], v[21:22], v[5:6]
	v_fma_f64 v[9:10], v[19:20], v[7:8], v[9:10]
	s_waitcnt vmcnt(57)
	v_fma_f64 v[21:22], v[21:22], v[1:2], -v[154:155]
	ds_read_b128 v[5:8], v29 offset:672
	v_mul_f64 v[19:20], v[25:26], v[3:4]
	s_waitcnt vmcnt(51)
	v_fma_f64 v[25:26], v[25:26], v[32:33], -v[158:159]
	v_add_f64 v[17:18], v[17:18], 0
	v_fma_f64 v[23:24], v[23:24], v[1:2], v[147:148]
	v_add_f64 v[9:10], v[9:10], 0
	s_clause 0x4
	buffer_load_dword v148, off, s[0:3], 0 offset:364
	buffer_load_dword v160, off, s[0:3], 0 offset:376
	;; [unrolled: 1-line block ×5, first 2 shown]
	s_waitcnt lgkmcnt(0)
	v_mul_f64 v[163:164], v[5:6], v[13:14]
	v_mul_f64 v[13:14], v[7:8], v[13:14]
	ds_read_b128 v[1:4], v29 offset:688
	v_fma_f64 v[27:28], v[27:28], v[32:33], v[19:20]
	v_add_f64 v[21:22], v[17:18], v[21:22]
	v_add_f64 v[9:10], v[9:10], v[23:24]
	s_clause 0x2
	buffer_load_dword v161, off, s[0:3], 0 offset:380
	buffer_load_dword v24, off, s[0:3], 0 offset:356
	;; [unrolled: 1-line block ×3, first 2 shown]
	s_waitcnt vmcnt(58) lgkmcnt(0)
	v_mul_f64 v[32:33], v[1:2], v[30:31]
	v_mul_f64 v[30:31], v[3:4], v[30:31]
	s_waitcnt vmcnt(56)
	v_fma_f64 v[13:14], v[5:6], v[34:35], -v[13:14]
	ds_read_b128 v[17:20], v29 offset:704
	v_add_f64 v[21:22], v[21:22], v[25:26]
	v_fma_f64 v[25:26], v[7:8], v[34:35], v[163:164]
	v_add_f64 v[9:10], v[9:10], v[27:28]
	s_clause 0x4
	buffer_load_dword v28, off, s[0:3], 0 offset:396
	buffer_load_dword v34, off, s[0:3], 0 offset:408
	buffer_load_dword v158, off, s[0:3], 0 offset:400
	buffer_load_dword v27, off, s[0:3], 0 offset:392
	buffer_load_dword v163, off, s[0:3], 0 offset:372
	ds_read_b128 v[5:8], v29 offset:720
	s_waitcnt vmcnt(57) lgkmcnt(1)
	v_mul_f64 v[164:165], v[17:18], v[36:37]
	v_mul_f64 v[36:37], v[19:20], v[36:37]
	s_waitcnt vmcnt(56)
	v_fma_f64 v[30:31], v[1:2], v[11:12], -v[30:31]
	v_fma_f64 v[11:12], v[3:4], v[11:12], v[32:33]
	v_add_f64 v[13:14], v[21:22], v[13:14]
	s_clause 0x2
	buffer_load_dword v35, off, s[0:3], 0 offset:412
	buffer_load_dword v22, off, s[0:3], 0 offset:388
	;; [unrolled: 1-line block ×3, first 2 shown]
	v_add_f64 v[9:10], v[9:10], v[25:26]
	s_waitcnt vmcnt(58) lgkmcnt(0)
	v_mul_f64 v[32:33], v[7:8], v[111:112]
	ds_read_b128 v[1:4], v29 offset:736
	v_mul_f64 v[25:26], v[5:6], v[111:112]
	s_waitcnt vmcnt(56)
	v_fma_f64 v[17:18], v[17:18], v[113:114], -v[36:37]
	v_fma_f64 v[19:20], v[19:20], v[113:114], v[164:165]
	s_clause 0x4
	buffer_load_dword v37, off, s[0:3], 0 offset:428
	buffer_load_dword v111, off, s[0:3], 0 offset:440
	;; [unrolled: 1-line block ×5, first 2 shown]
	v_add_f64 v[13:14], v[13:14], v[30:31]
	v_add_f64 v[30:31], v[9:10], v[11:12]
	s_waitcnt vmcnt(57) lgkmcnt(0)
	v_mul_f64 v[164:165], v[1:2], v[115:116]
	v_mul_f64 v[114:115], v[3:4], v[115:116]
	s_waitcnt vmcnt(56)
	v_fma_f64 v[32:33], v[5:6], v[15:16], -v[32:33]
	ds_read_b128 v[9:12], v29 offset:752
	v_fma_f64 v[15:16], v[7:8], v[15:16], v[25:26]
	v_add_f64 v[13:14], v[13:14], v[17:18]
	v_add_f64 v[17:18], v[30:31], v[19:20]
	s_clause 0x2
	buffer_load_dword v112, off, s[0:3], 0 offset:444
	buffer_load_dword v20, off, s[0:3], 0 offset:420
	buffer_load_dword v19, off, s[0:3], 0 offset:416
	s_waitcnt vmcnt(58) lgkmcnt(0)
	v_mul_f64 v[30:31], v[11:12], v[117:118]
	s_waitcnt vmcnt(56)
	v_fma_f64 v[115:116], v[1:2], v[121:122], -v[114:115]
	ds_read_b128 v[5:8], v29 offset:768
	v_mul_f64 v[25:26], v[9:10], v[117:118]
	v_add_f64 v[13:14], v[13:14], v[32:33]
	v_fma_f64 v[32:33], v[3:4], v[121:122], v[164:165]
	v_add_f64 v[15:16], v[17:18], v[15:16]
	s_clause 0x4
	buffer_load_dword v18, off, s[0:3], 0 offset:460
	buffer_load_dword v117, off, s[0:3], 0 offset:472
	buffer_load_dword v121, off, s[0:3], 0 offset:464
	buffer_load_dword v17, off, s[0:3], 0 offset:456
	buffer_load_dword v114, off, s[0:3], 0 offset:436
	s_waitcnt vmcnt(57) lgkmcnt(0)
	v_mul_f64 v[164:165], v[5:6], v[123:124]
	v_mul_f64 v[122:123], v[7:8], v[123:124]
	s_waitcnt vmcnt(56)
	v_fma_f64 v[30:31], v[9:10], v[119:120], -v[30:31]
	ds_read_b128 v[1:4], v29 offset:784
	v_fma_f64 v[25:26], v[11:12], v[119:120], v[25:26]
	v_add_f64 v[13:14], v[13:14], v[115:116]
	v_add_f64 v[15:16], v[15:16], v[32:33]
	s_clause 0x2
	buffer_load_dword v118, off, s[0:3], 0 offset:476
	buffer_load_dword v33, off, s[0:3], 0 offset:452
	buffer_load_dword v32, off, s[0:3], 0 offset:448
	ds_read_b128 v[9:12], v29 offset:800
	s_waitcnt vmcnt(58) lgkmcnt(1)
	v_mul_f64 v[119:120], v[3:4], v[125:126]
	s_waitcnt vmcnt(56)
	v_fma_f64 v[123:124], v[5:6], v[129:130], -v[122:123]
	v_mul_f64 v[115:116], v[1:2], v[125:126]
	v_add_f64 v[13:14], v[13:14], v[30:31]
	v_fma_f64 v[30:31], v[7:8], v[129:130], v[164:165]
	v_add_f64 v[15:16], v[15:16], v[25:26]
	s_clause 0x4
	buffer_load_dword v26, off, s[0:3], 0 offset:492
	buffer_load_dword v125, off, s[0:3], 0 offset:504
	buffer_load_dword v129, off, s[0:3], 0 offset:496
	buffer_load_dword v25, off, s[0:3], 0 offset:488
	buffer_load_dword v122, off, s[0:3], 0 offset:468
	s_waitcnt vmcnt(57) lgkmcnt(0)
	v_mul_f64 v[164:165], v[9:10], v[131:132]
	v_mul_f64 v[130:131], v[11:12], v[131:132]
	s_waitcnt vmcnt(56)
	v_fma_f64 v[119:120], v[1:2], v[127:128], -v[119:120]
	ds_read_b128 v[5:8], v29 offset:816
	v_fma_f64 v[115:116], v[3:4], v[127:128], v[115:116]
	v_add_f64 v[13:14], v[13:14], v[123:124]
	v_add_f64 v[15:16], v[15:16], v[30:31]
	s_clause 0x2
	buffer_load_dword v126, off, s[0:3], 0 offset:508
	buffer_load_dword v31, off, s[0:3], 0 offset:484
	buffer_load_dword v30, off, s[0:3], 0 offset:480
	ds_read_b128 v[1:4], v29 offset:832
	s_waitcnt vmcnt(58) lgkmcnt(1)
	v_mul_f64 v[127:128], v[7:8], v[133:134]
	s_waitcnt vmcnt(56)
	v_fma_f64 v[131:132], v[9:10], v[137:138], -v[130:131]
	;; [unrolled: 28-line block ×4, first 2 shown]
	v_mul_f64 v[139:140], v[1:2], v[151:152]
	buffer_load_dword v146, off, s[0:3], 0 offset:564
	v_add_f64 v[13:14], v[13:14], v[135:136]
	v_fma_f64 v[135:136], v[7:8], v[156:157], v[164:165]
	v_add_f64 v[15:16], v[15:16], v[131:132]
	ds_read_b128 v[5:8], v29 offset:912
	s_waitcnt vmcnt(53) lgkmcnt(1)
	v_mul_f64 v[131:132], v[9:10], v[147:148]
	v_mul_f64 v[147:148], v[11:12], v[147:148]
	s_waitcnt vmcnt(52)
	v_fma_f64 v[143:144], v[1:2], v[153:154], -v[143:144]
	v_fma_f64 v[139:140], v[3:4], v[153:154], v[139:140]
	ds_read_b128 v[1:4], v29 offset:928
	v_add_f64 v[13:14], v[13:14], v[149:150]
	v_add_f64 v[15:16], v[15:16], v[135:136]
	s_waitcnt vmcnt(51) lgkmcnt(1)
	v_mul_f64 v[149:150], v[7:8], v[160:161]
	v_mul_f64 v[135:136], v[5:6], v[160:161]
	s_waitcnt vmcnt(49)
	v_fma_f64 v[147:148], v[9:10], v[23:24], -v[147:148]
	v_fma_f64 v[23:24], v[11:12], v[23:24], v[131:132]
	v_add_f64 v[13:14], v[13:14], v[143:144]
	v_add_f64 v[15:16], v[15:16], v[139:140]
	s_clause 0x3
	buffer_load_dword v131, off, s[0:3], 0 offset:64
	buffer_load_dword v132, off, s[0:3], 0 offset:68
	;; [unrolled: 1-line block ×4, first 2 shown]
	ds_read_b128 v[9:12], v29 offset:944
	s_waitcnt vmcnt(49) lgkmcnt(1)
	v_mul_f64 v[143:144], v[1:2], v[27:28]
	v_mul_f64 v[27:28], v[3:4], v[27:28]
	s_waitcnt vmcnt(48)
	v_fma_f64 v[149:150], v[5:6], v[162:163], -v[149:150]
	v_fma_f64 v[135:136], v[7:8], v[162:163], v[135:136]
	ds_read_b128 v[5:8], v29 offset:960
	v_add_f64 v[13:14], v[13:14], v[147:148]
	v_add_f64 v[15:16], v[15:16], v[23:24]
	s_waitcnt vmcnt(47) lgkmcnt(1)
	v_mul_f64 v[23:24], v[9:10], v[34:35]
	v_mul_f64 v[34:35], v[11:12], v[34:35]
	s_waitcnt vmcnt(45)
	v_fma_f64 v[27:28], v[1:2], v[21:22], -v[27:28]
	v_fma_f64 v[21:22], v[3:4], v[21:22], v[143:144]
	ds_read_b128 v[1:4], v29 offset:976
	v_add_f64 v[13:14], v[13:14], v[149:150]
	v_add_f64 v[15:16], v[15:16], v[135:136]
	s_waitcnt vmcnt(41) lgkmcnt(1)
	v_mul_f64 v[135:136], v[5:6], v[36:37]
	v_mul_f64 v[36:37], v[7:8], v[36:37]
	s_waitcnt vmcnt(40)
	v_fma_f64 v[23:24], v[11:12], v[158:159], v[23:24]
	v_fma_f64 v[34:35], v[9:10], v[158:159], -v[34:35]
	ds_read_b128 v[9:12], v29 offset:992
	v_add_f64 v[13:14], v[13:14], v[27:28]
	v_add_f64 v[15:16], v[15:16], v[21:22]
	s_waitcnt vmcnt(39) lgkmcnt(1)
	v_mul_f64 v[27:28], v[3:4], v[111:112]
	v_mul_f64 v[21:22], v[1:2], v[111:112]
	s_waitcnt vmcnt(37)
	v_fma_f64 v[36:37], v[5:6], v[19:20], -v[36:37]
	v_fma_f64 v[19:20], v[7:8], v[19:20], v[135:136]
	ds_read_b128 v[5:8], v29 offset:1008
	v_add_f64 v[13:14], v[13:14], v[34:35]
	v_add_f64 v[15:16], v[15:16], v[23:24]
	s_waitcnt vmcnt(33) lgkmcnt(1)
	v_mul_f64 v[23:24], v[9:10], v[17:18]
	v_mul_f64 v[17:18], v[11:12], v[17:18]
	s_waitcnt vmcnt(32)
	v_fma_f64 v[27:28], v[1:2], v[113:114], -v[27:28]
	v_fma_f64 v[21:22], v[3:4], v[113:114], v[21:22]
	;; [unrolled: 9-line block ×3, first 2 shown]
	ds_read_b128 v[9:12], v29 offset:1040
	v_add_f64 v[13:14], v[13:14], v[27:28]
	v_add_f64 v[15:16], v[15:16], v[21:22]
	s_waitcnt vmcnt(25) lgkmcnt(1)
	v_mul_f64 v[21:22], v[1:2], v[25:26]
	v_mul_f64 v[25:26], v[3:4], v[25:26]
	s_waitcnt vmcnt(24)
	v_fma_f64 v[27:28], v[5:6], v[121:122], -v[34:35]
	v_add_f64 v[13:14], v[13:14], v[17:18]
	v_fma_f64 v[17:18], v[7:8], v[121:122], v[19:20]
	v_add_f64 v[15:16], v[15:16], v[23:24]
	ds_read_b128 v[5:8], v29 offset:1056
	s_waitcnt vmcnt(23) lgkmcnt(1)
	v_mul_f64 v[23:24], v[11:12], v[125:126]
	v_mul_f64 v[19:20], v[9:10], v[125:126]
	s_waitcnt vmcnt(21)
	v_fma_f64 v[25:26], v[1:2], v[30:31], -v[25:26]
	v_fma_f64 v[21:22], v[3:4], v[30:31], v[21:22]
	ds_read_b128 v[1:4], v29 offset:1072
	v_add_f64 v[13:14], v[13:14], v[27:28]
	v_add_f64 v[15:16], v[15:16], v[17:18]
	s_waitcnt vmcnt(17) lgkmcnt(1)
	v_mul_f64 v[27:28], v[7:8], v[115:116]
	s_waitcnt vmcnt(16)
	v_fma_f64 v[23:24], v[9:10], v[129:130], -v[23:24]
	v_mul_f64 v[17:18], v[5:6], v[115:116]
	v_fma_f64 v[19:20], v[11:12], v[129:130], v[19:20]
	ds_read_b128 v[9:12], v29 offset:1088
	v_add_f64 v[13:14], v[13:14], v[25:26]
	v_add_f64 v[15:16], v[15:16], v[21:22]
	s_waitcnt vmcnt(15) lgkmcnt(1)
	v_mul_f64 v[25:26], v[3:4], v[133:134]
	v_mul_f64 v[21:22], v[1:2], v[133:134]
	s_waitcnt vmcnt(13)
	v_fma_f64 v[27:28], v[5:6], v[119:120], -v[27:28]
	v_fma_f64 v[17:18], v[7:8], v[119:120], v[17:18]
	ds_read_b128 v[5:8], v29 offset:1104
	v_add_f64 v[13:14], v[13:14], v[23:24]
	v_add_f64 v[15:16], v[15:16], v[19:20]
	s_waitcnt vmcnt(9) lgkmcnt(1)
	v_mul_f64 v[23:24], v[11:12], v[123:124]
	s_waitcnt vmcnt(8)
	v_fma_f64 v[1:2], v[1:2], v[137:138], -v[25:26]
	v_mul_f64 v[19:20], v[9:10], v[123:124]
	v_fma_f64 v[3:4], v[3:4], v[137:138], v[21:22]
	v_add_f64 v[13:14], v[13:14], v[27:28]
	v_add_f64 v[15:16], v[15:16], v[17:18]
	s_waitcnt vmcnt(7) lgkmcnt(0)
	v_mul_f64 v[21:22], v[7:8], v[141:142]
	v_mul_f64 v[17:18], v[5:6], v[141:142]
	s_waitcnt vmcnt(5)
	v_fma_f64 v[9:10], v[9:10], v[127:128], -v[23:24]
	v_fma_f64 v[11:12], v[11:12], v[127:128], v[19:20]
	v_add_f64 v[1:2], v[13:14], v[1:2]
	v_add_f64 v[3:4], v[15:16], v[3:4]
	s_waitcnt vmcnt(4)
	v_fma_f64 v[5:6], v[5:6], v[145:146], -v[21:22]
	v_fma_f64 v[7:8], v[7:8], v[145:146], v[17:18]
	v_add_f64 v[1:2], v[1:2], v[9:10]
	v_add_f64 v[3:4], v[3:4], v[11:12]
	;; [unrolled: 1-line block ×4, first 2 shown]
	s_waitcnt vmcnt(2)
	v_add_f64 v[1:2], v[131:132], -v[1:2]
	s_waitcnt vmcnt(0)
	v_add_f64 v[3:4], v[139:140], -v[3:4]
	buffer_store_dword v2, off, s[0:3], 0 offset:68
	buffer_store_dword v1, off, s[0:3], 0 offset:64
	;; [unrolled: 1-line block ×4, first 2 shown]
	v_cmpx_lt_u32_e32 2, v0
	s_cbranch_execz .LBB34_219
; %bb.218:
	v_mov_b32_e32 v4, s45
	s_clause 0x3
	buffer_load_dword v1, v4, s[0:3], 0 offen
	buffer_load_dword v2, v4, s[0:3], 0 offen offset:4
	buffer_load_dword v3, v4, s[0:3], 0 offen offset:8
	;; [unrolled: 1-line block ×3, first 2 shown]
	buffer_store_dword v29, off, s[0:3], 0 offset:48
	buffer_store_dword v29, off, s[0:3], 0 offset:52
	;; [unrolled: 1-line block ×4, first 2 shown]
	s_waitcnt vmcnt(0)
	ds_write_b128 v39, v[1:4]
.LBB34_219:
	s_or_b32 exec_lo, exec_lo, s4
	s_waitcnt lgkmcnt(0)
	s_waitcnt_vscnt null, 0x0
	s_barrier
	buffer_gl0_inv
	s_clause 0x37
	buffer_load_dword v9, off, s[0:3], 0 offset:72
	buffer_load_dword v10, off, s[0:3], 0 offset:76
	;; [unrolled: 1-line block ×56, first 2 shown]
	ds_read_b128 v[30:33], v29 offset:608
	s_clause 0x2
	buffer_load_dword v142, off, s[0:3], 0 offset:300
	buffer_load_dword v146, off, s[0:3], 0 offset:276
	;; [unrolled: 1-line block ×3, first 2 shown]
	ds_read_b128 v[34:37], v29 offset:624
	s_clause 0x4
	buffer_load_dword v150, off, s[0:3], 0 offset:316
	buffer_load_dword v151, off, s[0:3], 0 offset:328
	;; [unrolled: 1-line block ×5, first 2 shown]
	ds_read_b128 v[111:114], v29 offset:640
	s_clause 0x2
	buffer_load_dword v152, off, s[0:3], 0 offset:332
	buffer_load_dword v157, off, s[0:3], 0 offset:308
	;; [unrolled: 1-line block ×3, first 2 shown]
	s_mov_b32 s4, exec_lo
	s_waitcnt vmcnt(62) lgkmcnt(2)
	v_mul_f64 v[147:148], v[32:33], v[9:10]
	v_mul_f64 v[9:10], v[30:31], v[9:10]
	s_waitcnt lgkmcnt(1)
	v_mul_f64 v[154:155], v[36:37], v[5:6]
	s_waitcnt vmcnt(59) lgkmcnt(0)
	v_mul_f64 v[158:159], v[113:114], v[3:4]
	v_fma_f64 v[30:31], v[30:31], v[7:8], -v[147:148]
	v_mul_f64 v[147:148], v[34:35], v[5:6]
	v_fma_f64 v[9:10], v[32:33], v[7:8], v[9:10]
	s_waitcnt vmcnt(57)
	v_fma_f64 v[34:35], v[34:35], v[1:2], -v[154:155]
	ds_read_b128 v[5:8], v29 offset:656
	v_mul_f64 v[32:33], v[111:112], v[3:4]
	s_waitcnt vmcnt(51)
	v_fma_f64 v[111:112], v[111:112], v[25:26], -v[158:159]
	v_add_f64 v[30:31], v[30:31], 0
	v_fma_f64 v[36:37], v[36:37], v[1:2], v[147:148]
	v_add_f64 v[9:10], v[9:10], 0
	s_clause 0x4
	buffer_load_dword v148, off, s[0:3], 0 offset:348
	buffer_load_dword v160, off, s[0:3], 0 offset:360
	;; [unrolled: 1-line block ×5, first 2 shown]
	s_waitcnt lgkmcnt(0)
	v_mul_f64 v[163:164], v[5:6], v[13:14]
	v_mul_f64 v[13:14], v[7:8], v[13:14]
	ds_read_b128 v[1:4], v29 offset:672
	v_fma_f64 v[25:26], v[113:114], v[25:26], v[32:33]
	v_add_f64 v[34:35], v[30:31], v[34:35]
	v_add_f64 v[9:10], v[9:10], v[36:37]
	s_clause 0x2
	buffer_load_dword v161, off, s[0:3], 0 offset:364
	buffer_load_dword v37, off, s[0:3], 0 offset:340
	;; [unrolled: 1-line block ×3, first 2 shown]
	s_waitcnt vmcnt(58) lgkmcnt(0)
	v_mul_f64 v[113:114], v[1:2], v[17:18]
	v_mul_f64 v[17:18], v[3:4], v[17:18]
	s_waitcnt vmcnt(56)
	v_fma_f64 v[13:14], v[5:6], v[19:20], -v[13:14]
	ds_read_b128 v[30:33], v29 offset:688
	v_fma_f64 v[19:20], v[7:8], v[19:20], v[163:164]
	v_add_f64 v[34:35], v[34:35], v[111:112]
	v_add_f64 v[9:10], v[9:10], v[25:26]
	s_clause 0x4
	buffer_load_dword v26, off, s[0:3], 0 offset:380
	buffer_load_dword v111, off, s[0:3], 0 offset:392
	;; [unrolled: 1-line block ×5, first 2 shown]
	ds_read_b128 v[5:8], v29 offset:704
	s_waitcnt vmcnt(57) lgkmcnt(1)
	v_mul_f64 v[164:165], v[30:31], v[21:22]
	v_mul_f64 v[21:22], v[32:33], v[21:22]
	s_waitcnt vmcnt(56)
	v_fma_f64 v[17:18], v[1:2], v[11:12], -v[17:18]
	v_fma_f64 v[11:12], v[3:4], v[11:12], v[113:114]
	v_add_f64 v[13:14], v[34:35], v[13:14]
	v_add_f64 v[9:10], v[9:10], v[19:20]
	s_clause 0x2
	buffer_load_dword v112, off, s[0:3], 0 offset:396
	buffer_load_dword v20, off, s[0:3], 0 offset:372
	buffer_load_dword v19, off, s[0:3], 0 offset:368
	s_waitcnt vmcnt(58) lgkmcnt(0)
	v_mul_f64 v[34:35], v[5:6], v[27:28]
	v_mul_f64 v[27:28], v[7:8], v[27:28]
	s_waitcnt vmcnt(56)
	v_fma_f64 v[21:22], v[30:31], v[115:116], -v[21:22]
	ds_read_b128 v[1:4], v29 offset:720
	v_add_f64 v[13:14], v[13:14], v[17:18]
	v_fma_f64 v[17:18], v[32:33], v[115:116], v[164:165]
	v_add_f64 v[30:31], v[9:10], v[11:12]
	s_clause 0x4
	buffer_load_dword v33, off, s[0:3], 0 offset:412
	buffer_load_dword v113, off, s[0:3], 0 offset:424
	;; [unrolled: 1-line block ×5, first 2 shown]
	ds_read_b128 v[9:12], v29 offset:736
	s_waitcnt vmcnt(57) lgkmcnt(1)
	v_mul_f64 v[164:165], v[1:2], v[117:118]
	v_mul_f64 v[116:117], v[3:4], v[117:118]
	s_waitcnt vmcnt(56)
	v_fma_f64 v[27:28], v[5:6], v[15:16], -v[27:28]
	v_fma_f64 v[15:16], v[7:8], v[15:16], v[34:35]
	v_add_f64 v[13:14], v[13:14], v[21:22]
	s_clause 0x2
	buffer_load_dword v114, off, s[0:3], 0 offset:428
	buffer_load_dword v22, off, s[0:3], 0 offset:404
	;; [unrolled: 1-line block ×3, first 2 shown]
	v_add_f64 v[17:18], v[30:31], v[17:18]
	s_waitcnt vmcnt(58) lgkmcnt(0)
	v_mul_f64 v[34:35], v[11:12], v[119:120]
	ds_read_b128 v[5:8], v29 offset:752
	v_mul_f64 v[30:31], v[9:10], v[119:120]
	s_waitcnt vmcnt(56)
	v_fma_f64 v[117:118], v[1:2], v[121:122], -v[116:117]
	v_add_f64 v[13:14], v[13:14], v[27:28]
	v_fma_f64 v[27:28], v[3:4], v[121:122], v[164:165]
	v_add_f64 v[15:16], v[17:18], v[15:16]
	s_clause 0x4
	buffer_load_dword v18, off, s[0:3], 0 offset:444
	buffer_load_dword v119, off, s[0:3], 0 offset:456
	buffer_load_dword v121, off, s[0:3], 0 offset:448
	buffer_load_dword v17, off, s[0:3], 0 offset:440
	buffer_load_dword v116, off, s[0:3], 0 offset:420
	s_waitcnt vmcnt(57) lgkmcnt(0)
	v_mul_f64 v[164:165], v[5:6], v[123:124]
	v_mul_f64 v[122:123], v[7:8], v[123:124]
	s_waitcnt vmcnt(56)
	v_fma_f64 v[34:35], v[9:10], v[23:24], -v[34:35]
	ds_read_b128 v[1:4], v29 offset:768
	v_fma_f64 v[23:24], v[11:12], v[23:24], v[30:31]
	v_add_f64 v[13:14], v[13:14], v[117:118]
	v_add_f64 v[15:16], v[15:16], v[27:28]
	s_clause 0x2
	buffer_load_dword v120, off, s[0:3], 0 offset:460
	buffer_load_dword v28, off, s[0:3], 0 offset:436
	buffer_load_dword v27, off, s[0:3], 0 offset:432
	ds_read_b128 v[9:12], v29 offset:784
	s_waitcnt vmcnt(58) lgkmcnt(1)
	v_mul_f64 v[117:118], v[3:4], v[125:126]
	s_waitcnt vmcnt(56)
	v_fma_f64 v[123:124], v[5:6], v[129:130], -v[122:123]
	v_mul_f64 v[30:31], v[1:2], v[125:126]
	v_add_f64 v[13:14], v[13:14], v[34:35]
	v_fma_f64 v[34:35], v[7:8], v[129:130], v[164:165]
	v_add_f64 v[15:16], v[15:16], v[23:24]
	s_clause 0x4
	buffer_load_dword v24, off, s[0:3], 0 offset:476
	buffer_load_dword v125, off, s[0:3], 0 offset:488
	buffer_load_dword v129, off, s[0:3], 0 offset:480
	buffer_load_dword v23, off, s[0:3], 0 offset:472
	buffer_load_dword v122, off, s[0:3], 0 offset:452
	s_waitcnt vmcnt(57) lgkmcnt(0)
	v_mul_f64 v[164:165], v[9:10], v[131:132]
	v_mul_f64 v[130:131], v[11:12], v[131:132]
	s_waitcnt vmcnt(56)
	v_fma_f64 v[117:118], v[1:2], v[127:128], -v[117:118]
	ds_read_b128 v[5:8], v29 offset:800
	v_fma_f64 v[30:31], v[3:4], v[127:128], v[30:31]
	v_add_f64 v[13:14], v[13:14], v[123:124]
	v_add_f64 v[15:16], v[15:16], v[34:35]
	s_clause 0x2
	buffer_load_dword v126, off, s[0:3], 0 offset:492
	buffer_load_dword v35, off, s[0:3], 0 offset:468
	buffer_load_dword v34, off, s[0:3], 0 offset:464
	ds_read_b128 v[1:4], v29 offset:816
	s_waitcnt vmcnt(58) lgkmcnt(1)
	v_mul_f64 v[127:128], v[7:8], v[133:134]
	s_waitcnt vmcnt(56)
	v_fma_f64 v[131:132], v[9:10], v[137:138], -v[130:131]
	v_mul_f64 v[123:124], v[5:6], v[133:134]
	;; [unrolled: 28-line block ×4, first 2 shown]
	v_add_f64 v[13:14], v[13:14], v[135:136]
	v_fma_f64 v[135:136], v[7:8], v[156:157], v[164:165]
	v_add_f64 v[15:16], v[15:16], v[131:132]
	s_clause 0x2
	buffer_load_dword v132, off, s[0:3], 0 offset:572
	buffer_load_dword v131, off, s[0:3], 0 offset:568
	;; [unrolled: 1-line block ×3, first 2 shown]
	ds_read_b128 v[5:8], v29 offset:896
	s_waitcnt vmcnt(55) lgkmcnt(1)
	v_mul_f64 v[151:152], v[9:10], v[147:148]
	v_mul_f64 v[147:148], v[11:12], v[147:148]
	s_waitcnt vmcnt(54)
	v_fma_f64 v[143:144], v[1:2], v[153:154], -v[143:144]
	v_fma_f64 v[139:140], v[3:4], v[153:154], v[139:140]
	v_add_f64 v[13:14], v[13:14], v[149:150]
	v_add_f64 v[15:16], v[15:16], v[135:136]
	s_clause 0x1
	buffer_load_dword v136, off, s[0:3], 0 offset:564
	buffer_load_dword v135, off, s[0:3], 0 offset:560
	ds_read_b128 v[1:4], v29 offset:912
	s_waitcnt vmcnt(55) lgkmcnt(1)
	v_mul_f64 v[153:154], v[7:8], v[160:161]
	v_mul_f64 v[149:150], v[5:6], v[160:161]
	s_waitcnt vmcnt(53)
	v_fma_f64 v[147:148], v[9:10], v[36:37], -v[147:148]
	v_fma_f64 v[36:37], v[11:12], v[36:37], v[151:152]
	ds_read_b128 v[9:12], v29 offset:928
	v_add_f64 v[13:14], v[13:14], v[143:144]
	v_add_f64 v[15:16], v[15:16], v[139:140]
	s_waitcnt vmcnt(49) lgkmcnt(1)
	v_mul_f64 v[139:140], v[1:2], v[25:26]
	v_mul_f64 v[25:26], v[3:4], v[25:26]
	s_waitcnt vmcnt(48)
	v_fma_f64 v[143:144], v[5:6], v[162:163], -v[153:154]
	v_add_f64 v[13:14], v[13:14], v[147:148]
	v_fma_f64 v[147:148], v[7:8], v[162:163], v[149:150]
	v_add_f64 v[15:16], v[15:16], v[36:37]
	s_clause 0x3
	buffer_load_dword v36, off, s[0:3], 0 offset:48
	buffer_load_dword v37, off, s[0:3], 0 offset:52
	;; [unrolled: 1-line block ×4, first 2 shown]
	ds_read_b128 v[5:8], v29 offset:944
	s_waitcnt vmcnt(51) lgkmcnt(1)
	v_mul_f64 v[151:152], v[9:10], v[111:112]
	v_mul_f64 v[111:112], v[11:12], v[111:112]
	s_waitcnt vmcnt(49)
	v_fma_f64 v[25:26], v[1:2], v[19:20], -v[25:26]
	v_fma_f64 v[19:20], v[3:4], v[19:20], v[139:140]
	ds_read_b128 v[1:4], v29 offset:960
	v_add_f64 v[13:14], v[13:14], v[143:144]
	v_add_f64 v[15:16], v[15:16], v[147:148]
	s_waitcnt vmcnt(45) lgkmcnt(1)
	v_mul_f64 v[139:140], v[5:6], v[32:33]
	v_mul_f64 v[32:33], v[7:8], v[32:33]
	s_waitcnt vmcnt(44)
	v_fma_f64 v[111:112], v[9:10], v[158:159], -v[111:112]
	v_add_f64 v[13:14], v[13:14], v[25:26]
	v_fma_f64 v[25:26], v[11:12], v[158:159], v[151:152]
	v_add_f64 v[15:16], v[15:16], v[19:20]
	ds_read_b128 v[9:12], v29 offset:976
	s_waitcnt vmcnt(43) lgkmcnt(1)
	v_mul_f64 v[19:20], v[1:2], v[113:114]
	v_mul_f64 v[113:114], v[3:4], v[113:114]
	s_waitcnt vmcnt(41)
	v_fma_f64 v[32:33], v[5:6], v[21:22], -v[32:33]
	v_fma_f64 v[21:22], v[7:8], v[21:22], v[139:140]
	ds_read_b128 v[5:8], v29 offset:992
	v_add_f64 v[13:14], v[13:14], v[111:112]
	v_add_f64 v[15:16], v[15:16], v[25:26]
	s_waitcnt vmcnt(37) lgkmcnt(1)
	v_mul_f64 v[25:26], v[9:10], v[17:18]
	v_mul_f64 v[17:18], v[11:12], v[17:18]
	s_waitcnt vmcnt(36)
	v_fma_f64 v[111:112], v[1:2], v[115:116], -v[113:114]
	v_fma_f64 v[19:20], v[3:4], v[115:116], v[19:20]
	ds_read_b128 v[1:4], v29 offset:1008
	v_add_f64 v[13:14], v[13:14], v[32:33]
	v_add_f64 v[15:16], v[15:16], v[21:22]
	;; [unrolled: 9-line block ×3, first 2 shown]
	s_waitcnt vmcnt(29) lgkmcnt(1)
	v_mul_f64 v[19:20], v[1:2], v[23:24]
	v_mul_f64 v[23:24], v[3:4], v[23:24]
	s_waitcnt vmcnt(28)
	v_fma_f64 v[27:28], v[5:6], v[121:122], -v[32:33]
	v_add_f64 v[13:14], v[13:14], v[17:18]
	v_fma_f64 v[17:18], v[7:8], v[121:122], v[21:22]
	v_add_f64 v[15:16], v[15:16], v[25:26]
	ds_read_b128 v[5:8], v29 offset:1040
	s_waitcnt vmcnt(27) lgkmcnt(1)
	v_mul_f64 v[25:26], v[11:12], v[125:126]
	v_mul_f64 v[21:22], v[9:10], v[125:126]
	s_waitcnt vmcnt(25)
	v_fma_f64 v[23:24], v[1:2], v[34:35], -v[23:24]
	v_fma_f64 v[19:20], v[3:4], v[34:35], v[19:20]
	ds_read_b128 v[1:4], v29 offset:1056
	v_add_f64 v[13:14], v[13:14], v[27:28]
	v_add_f64 v[15:16], v[15:16], v[17:18]
	s_waitcnt vmcnt(21) lgkmcnt(1)
	v_mul_f64 v[27:28], v[7:8], v[30:31]
	s_waitcnt vmcnt(20)
	v_fma_f64 v[25:26], v[9:10], v[129:130], -v[25:26]
	v_mul_f64 v[17:18], v[5:6], v[30:31]
	v_fma_f64 v[21:22], v[11:12], v[129:130], v[21:22]
	ds_read_b128 v[9:12], v29 offset:1072
	v_add_f64 v[13:14], v[13:14], v[23:24]
	v_add_f64 v[15:16], v[15:16], v[19:20]
	s_waitcnt vmcnt(19) lgkmcnt(1)
	v_mul_f64 v[23:24], v[3:4], v[133:134]
	v_mul_f64 v[19:20], v[1:2], v[133:134]
	s_waitcnt vmcnt(17)
	v_fma_f64 v[27:28], v[5:6], v[117:118], -v[27:28]
	v_fma_f64 v[17:18], v[7:8], v[117:118], v[17:18]
	ds_read_b128 v[5:8], v29 offset:1088
	v_add_f64 v[13:14], v[13:14], v[25:26]
	v_add_f64 v[15:16], v[15:16], v[21:22]
	s_waitcnt vmcnt(13) lgkmcnt(1)
	v_mul_f64 v[25:26], v[11:12], v[123:124]
	s_waitcnt vmcnt(12)
	v_fma_f64 v[23:24], v[1:2], v[137:138], -v[23:24]
	v_mul_f64 v[21:22], v[9:10], v[123:124]
	v_fma_f64 v[19:20], v[3:4], v[137:138], v[19:20]
	ds_read_b128 v[1:4], v29 offset:1104
	v_add_f64 v[13:14], v[13:14], v[27:28]
	v_add_f64 v[15:16], v[15:16], v[17:18]
	s_waitcnt vmcnt(11) lgkmcnt(1)
	v_mul_f64 v[27:28], v[7:8], v[141:142]
	v_mul_f64 v[17:18], v[5:6], v[141:142]
	s_waitcnt vmcnt(9)
	v_fma_f64 v[9:10], v[9:10], v[127:128], -v[25:26]
	v_fma_f64 v[11:12], v[11:12], v[127:128], v[21:22]
	v_add_f64 v[13:14], v[13:14], v[23:24]
	v_add_f64 v[15:16], v[15:16], v[19:20]
	s_waitcnt vmcnt(7) lgkmcnt(0)
	v_mul_f64 v[21:22], v[3:4], v[131:132]
	s_waitcnt vmcnt(6)
	v_fma_f64 v[5:6], v[5:6], v[145:146], -v[27:28]
	v_mul_f64 v[19:20], v[1:2], v[131:132]
	v_fma_f64 v[7:8], v[7:8], v[145:146], v[17:18]
	v_add_f64 v[9:10], v[13:14], v[9:10]
	v_add_f64 v[11:12], v[15:16], v[11:12]
	s_waitcnt vmcnt(4)
	v_fma_f64 v[1:2], v[1:2], v[135:136], -v[21:22]
	v_fma_f64 v[3:4], v[3:4], v[135:136], v[19:20]
	v_add_f64 v[5:6], v[9:10], v[5:6]
	v_add_f64 v[7:8], v[11:12], v[7:8]
	;; [unrolled: 1-line block ×4, first 2 shown]
	s_waitcnt vmcnt(2)
	v_add_f64 v[1:2], v[36:37], -v[1:2]
	s_waitcnt vmcnt(0)
	v_add_f64 v[3:4], v[149:150], -v[3:4]
	buffer_store_dword v2, off, s[0:3], 0 offset:52
	buffer_store_dword v1, off, s[0:3], 0 offset:48
	;; [unrolled: 1-line block ×4, first 2 shown]
	v_cmpx_lt_u32_e32 1, v0
	s_cbranch_execz .LBB34_221
; %bb.220:
	v_mov_b32_e32 v4, s46
	v_mov_b32_e32 v5, 0
	s_clause 0x3
	buffer_load_dword v1, v4, s[0:3], 0 offen
	buffer_load_dword v2, v4, s[0:3], 0 offen offset:4
	buffer_load_dword v3, v4, s[0:3], 0 offen offset:8
	;; [unrolled: 1-line block ×3, first 2 shown]
	buffer_store_dword v5, off, s[0:3], 0 offset:32
	buffer_store_dword v5, off, s[0:3], 0 offset:36
	;; [unrolled: 1-line block ×4, first 2 shown]
	s_waitcnt vmcnt(0)
	ds_write_b128 v39, v[1:4]
.LBB34_221:
	s_or_b32 exec_lo, exec_lo, s4
	s_waitcnt lgkmcnt(0)
	s_waitcnt_vscnt null, 0x0
	s_barrier
	buffer_gl0_inv
	s_clause 0x37
	buffer_load_dword v9, off, s[0:3], 0 offset:56
	buffer_load_dword v10, off, s[0:3], 0 offset:60
	;; [unrolled: 1-line block ×56, first 2 shown]
	v_mov_b32_e32 v40, 0
	s_mov_b32 s4, exec_lo
	ds_read_b128 v[111:114], v40 offset:592
	s_clause 0x2
	buffer_load_dword v140, off, s[0:3], 0 offset:284
	buffer_load_dword v144, off, s[0:3], 0 offset:260
	;; [unrolled: 1-line block ×3, first 2 shown]
	ds_read_b128 v[115:118], v40 offset:608
	s_clause 0x4
	buffer_load_dword v148, off, s[0:3], 0 offset:300
	buffer_load_dword v149, off, s[0:3], 0 offset:312
	;; [unrolled: 1-line block ×5, first 2 shown]
	ds_read_b128 v[119:122], v40 offset:624
	s_clause 0x2
	buffer_load_dword v150, off, s[0:3], 0 offset:316
	buffer_load_dword v155, off, s[0:3], 0 offset:292
	;; [unrolled: 1-line block ×3, first 2 shown]
	s_waitcnt vmcnt(62) lgkmcnt(2)
	v_mul_f64 v[145:146], v[113:114], v[9:10]
	v_mul_f64 v[9:10], v[111:112], v[9:10]
	s_waitcnt lgkmcnt(1)
	v_mul_f64 v[152:153], v[117:118], v[5:6]
	s_waitcnt vmcnt(59) lgkmcnt(0)
	v_mul_f64 v[156:157], v[121:122], v[3:4]
	v_fma_f64 v[111:112], v[111:112], v[7:8], -v[145:146]
	v_mul_f64 v[145:146], v[115:116], v[5:6]
	v_fma_f64 v[9:10], v[113:114], v[7:8], v[9:10]
	s_waitcnt vmcnt(57)
	v_fma_f64 v[115:116], v[115:116], v[1:2], -v[152:153]
	ds_read_b128 v[5:8], v40 offset:640
	v_mul_f64 v[113:114], v[119:120], v[3:4]
	s_waitcnt vmcnt(51)
	v_fma_f64 v[119:120], v[119:120], v[25:26], -v[156:157]
	v_add_f64 v[111:112], v[111:112], 0
	v_fma_f64 v[117:118], v[117:118], v[1:2], v[145:146]
	v_add_f64 v[9:10], v[9:10], 0
	s_clause 0x4
	buffer_load_dword v146, off, s[0:3], 0 offset:332
	buffer_load_dword v158, off, s[0:3], 0 offset:344
	;; [unrolled: 1-line block ×5, first 2 shown]
	s_waitcnt lgkmcnt(0)
	v_mul_f64 v[161:162], v[5:6], v[13:14]
	v_mul_f64 v[13:14], v[7:8], v[13:14]
	ds_read_b128 v[1:4], v40 offset:656
	v_fma_f64 v[25:26], v[121:122], v[25:26], v[113:114]
	v_add_f64 v[115:116], v[111:112], v[115:116]
	v_add_f64 v[9:10], v[9:10], v[117:118]
	s_clause 0x2
	buffer_load_dword v159, off, s[0:3], 0 offset:348
	buffer_load_dword v118, off, s[0:3], 0 offset:324
	;; [unrolled: 1-line block ×3, first 2 shown]
	s_waitcnt vmcnt(58) lgkmcnt(0)
	v_mul_f64 v[121:122], v[1:2], v[17:18]
	v_mul_f64 v[17:18], v[3:4], v[17:18]
	s_waitcnt vmcnt(56)
	v_fma_f64 v[13:14], v[5:6], v[19:20], -v[13:14]
	ds_read_b128 v[111:114], v40 offset:672
	v_fma_f64 v[19:20], v[7:8], v[19:20], v[161:162]
	v_add_f64 v[115:116], v[115:116], v[119:120]
	v_add_f64 v[9:10], v[9:10], v[25:26]
	s_clause 0x4
	buffer_load_dword v26, off, s[0:3], 0 offset:364
	buffer_load_dword v119, off, s[0:3], 0 offset:376
	;; [unrolled: 1-line block ×5, first 2 shown]
	ds_read_b128 v[5:8], v40 offset:688
	s_waitcnt vmcnt(57) lgkmcnt(1)
	v_mul_f64 v[162:163], v[111:112], v[21:22]
	v_mul_f64 v[21:22], v[113:114], v[21:22]
	s_waitcnt vmcnt(56)
	v_fma_f64 v[17:18], v[1:2], v[11:12], -v[17:18]
	v_fma_f64 v[11:12], v[3:4], v[11:12], v[121:122]
	v_add_f64 v[13:14], v[115:116], v[13:14]
	v_add_f64 v[9:10], v[9:10], v[19:20]
	s_clause 0x2
	buffer_load_dword v120, off, s[0:3], 0 offset:380
	buffer_load_dword v20, off, s[0:3], 0 offset:356
	;; [unrolled: 1-line block ×3, first 2 shown]
	s_waitcnt vmcnt(58) lgkmcnt(0)
	v_mul_f64 v[115:116], v[5:6], v[27:28]
	v_mul_f64 v[27:28], v[7:8], v[27:28]
	s_waitcnt vmcnt(56)
	v_fma_f64 v[21:22], v[111:112], v[29:30], -v[21:22]
	ds_read_b128 v[1:4], v40 offset:704
	v_add_f64 v[13:14], v[13:14], v[17:18]
	v_fma_f64 v[17:18], v[113:114], v[29:30], v[162:163]
	v_add_f64 v[29:30], v[9:10], v[11:12]
	s_clause 0x4
	buffer_load_dword v112, off, s[0:3], 0 offset:396
	buffer_load_dword v113, off, s[0:3], 0 offset:408
	;; [unrolled: 1-line block ×5, first 2 shown]
	ds_read_b128 v[9:12], v40 offset:720
	s_waitcnt vmcnt(57) lgkmcnt(1)
	v_mul_f64 v[162:163], v[1:2], v[31:32]
	v_mul_f64 v[31:32], v[3:4], v[31:32]
	s_waitcnt vmcnt(56)
	v_fma_f64 v[27:28], v[5:6], v[15:16], -v[27:28]
	v_fma_f64 v[15:16], v[7:8], v[15:16], v[115:116]
	v_add_f64 v[13:14], v[13:14], v[21:22]
	s_clause 0x2
	buffer_load_dword v114, off, s[0:3], 0 offset:412
	buffer_load_dword v22, off, s[0:3], 0 offset:388
	buffer_load_dword v21, off, s[0:3], 0 offset:384
	v_add_f64 v[17:18], v[29:30], v[17:18]
	s_waitcnt vmcnt(58) lgkmcnt(0)
	v_mul_f64 v[29:30], v[9:10], v[35:36]
	v_mul_f64 v[35:36], v[11:12], v[35:36]
	ds_read_b128 v[5:8], v40 offset:736
	s_waitcnt vmcnt(56)
	v_fma_f64 v[31:32], v[1:2], v[37:38], -v[31:32]
	v_add_f64 v[13:14], v[13:14], v[27:28]
	v_fma_f64 v[27:28], v[3:4], v[37:38], v[162:163]
	v_add_f64 v[15:16], v[17:18], v[15:16]
	s_clause 0x4
	buffer_load_dword v18, off, s[0:3], 0 offset:428
	buffer_load_dword v37, off, s[0:3], 0 offset:440
	;; [unrolled: 1-line block ×5, first 2 shown]
	s_waitcnt vmcnt(57) lgkmcnt(0)
	v_mul_f64 v[162:163], v[5:6], v[123:124]
	v_mul_f64 v[123:124], v[7:8], v[123:124]
	s_waitcnt vmcnt(56)
	v_fma_f64 v[35:36], v[9:10], v[23:24], -v[35:36]
	ds_read_b128 v[1:4], v40 offset:752
	v_fma_f64 v[23:24], v[11:12], v[23:24], v[29:30]
	v_add_f64 v[13:14], v[13:14], v[31:32]
	v_add_f64 v[15:16], v[15:16], v[27:28]
	s_clause 0x2
	buffer_load_dword v38, off, s[0:3], 0 offset:444
	buffer_load_dword v28, off, s[0:3], 0 offset:420
	;; [unrolled: 1-line block ×3, first 2 shown]
	ds_read_b128 v[9:12], v40 offset:768
	s_waitcnt vmcnt(58) lgkmcnt(1)
	v_mul_f64 v[31:32], v[3:4], v[125:126]
	s_waitcnt vmcnt(56)
	v_fma_f64 v[123:124], v[5:6], v[127:128], -v[123:124]
	v_mul_f64 v[29:30], v[1:2], v[125:126]
	v_add_f64 v[13:14], v[13:14], v[35:36]
	v_fma_f64 v[35:36], v[7:8], v[127:128], v[162:163]
	v_add_f64 v[15:16], v[15:16], v[23:24]
	s_clause 0x4
	buffer_load_dword v24, off, s[0:3], 0 offset:460
	buffer_load_dword v125, off, s[0:3], 0 offset:472
	;; [unrolled: 1-line block ×5, first 2 shown]
	s_waitcnt vmcnt(57) lgkmcnt(0)
	v_mul_f64 v[162:163], v[9:10], v[129:130]
	v_mul_f64 v[128:129], v[11:12], v[129:130]
	s_waitcnt vmcnt(56)
	v_fma_f64 v[31:32], v[1:2], v[33:34], -v[31:32]
	ds_read_b128 v[5:8], v40 offset:784
	v_fma_f64 v[29:30], v[3:4], v[33:34], v[29:30]
	s_clause 0x2
	buffer_load_dword v126, off, s[0:3], 0 offset:476
	buffer_load_dword v34, off, s[0:3], 0 offset:452
	;; [unrolled: 1-line block ×3, first 2 shown]
	ds_read_b128 v[1:4], v40 offset:800
	v_add_f64 v[13:14], v[13:14], v[123:124]
	v_add_f64 v[15:16], v[15:16], v[35:36]
	s_waitcnt vmcnt(58) lgkmcnt(1)
	v_mul_f64 v[123:124], v[7:8], v[131:132]
	s_waitcnt vmcnt(56)
	v_fma_f64 v[129:130], v[9:10], v[135:136], -v[128:129]
	v_mul_f64 v[35:36], v[5:6], v[131:132]
	v_add_f64 v[13:14], v[13:14], v[31:32]
	v_fma_f64 v[31:32], v[11:12], v[135:136], v[162:163]
	v_add_f64 v[15:16], v[15:16], v[29:30]
	s_clause 0x4
	buffer_load_dword v30, off, s[0:3], 0 offset:492
	buffer_load_dword v131, off, s[0:3], 0 offset:504
	;; [unrolled: 1-line block ×5, first 2 shown]
	s_waitcnt vmcnt(57) lgkmcnt(0)
	v_mul_f64 v[162:163], v[1:2], v[137:138]
	v_mul_f64 v[136:137], v[3:4], v[137:138]
	s_waitcnt vmcnt(56)
	v_fma_f64 v[123:124], v[5:6], v[133:134], -v[123:124]
	ds_read_b128 v[9:12], v40 offset:816
	v_fma_f64 v[35:36], v[7:8], v[133:134], v[35:36]
	v_add_f64 v[13:14], v[13:14], v[129:130]
	v_add_f64 v[15:16], v[15:16], v[31:32]
	s_clause 0x2
	buffer_load_dword v132, off, s[0:3], 0 offset:508
	buffer_load_dword v32, off, s[0:3], 0 offset:484
	;; [unrolled: 1-line block ×3, first 2 shown]
	ds_read_b128 v[5:8], v40 offset:832
	s_waitcnt vmcnt(58) lgkmcnt(1)
	v_mul_f64 v[133:134], v[11:12], v[139:140]
	s_waitcnt vmcnt(56)
	v_fma_f64 v[137:138], v[1:2], v[143:144], -v[136:137]
	v_mul_f64 v[129:130], v[9:10], v[139:140]
	v_add_f64 v[13:14], v[13:14], v[123:124]
	v_fma_f64 v[123:124], v[3:4], v[143:144], v[162:163]
	v_add_f64 v[15:16], v[15:16], v[35:36]
	s_clause 0x4
	buffer_load_dword v36, off, s[0:3], 0 offset:524
	buffer_load_dword v139, off, s[0:3], 0 offset:536
	;; [unrolled: 1-line block ×5, first 2 shown]
	s_waitcnt vmcnt(57) lgkmcnt(0)
	v_mul_f64 v[162:163], v[5:6], v[147:148]
	v_mul_f64 v[147:148], v[7:8], v[147:148]
	s_waitcnt vmcnt(56)
	v_fma_f64 v[133:134], v[9:10], v[141:142], -v[133:134]
	ds_read_b128 v[1:4], v40 offset:848
	v_fma_f64 v[129:130], v[11:12], v[141:142], v[129:130]
	v_add_f64 v[13:14], v[13:14], v[137:138]
	v_add_f64 v[15:16], v[15:16], v[123:124]
	s_clause 0x2
	buffer_load_dword v140, off, s[0:3], 0 offset:540
	buffer_load_dword v124, off, s[0:3], 0 offset:516
	;; [unrolled: 1-line block ×3, first 2 shown]
	ds_read_b128 v[9:12], v40 offset:864
	s_waitcnt vmcnt(58) lgkmcnt(1)
	v_mul_f64 v[141:142], v[3:4], v[149:150]
	s_waitcnt vmcnt(56)
	v_fma_f64 v[147:148], v[5:6], v[154:155], -v[147:148]
	v_mul_f64 v[137:138], v[1:2], v[149:150]
	v_add_f64 v[13:14], v[13:14], v[133:134]
	v_fma_f64 v[133:134], v[7:8], v[154:155], v[162:163]
	v_add_f64 v[15:16], v[15:16], v[129:130]
	s_clause 0x4
	buffer_load_dword v130, off, s[0:3], 0 offset:556
	buffer_load_dword v149, off, s[0:3], 0 offset:568
	;; [unrolled: 1-line block ×5, first 2 shown]
	ds_read_b128 v[5:8], v40 offset:880
	s_waitcnt vmcnt(57) lgkmcnt(1)
	v_mul_f64 v[154:155], v[9:10], v[145:146]
	v_mul_f64 v[145:146], v[11:12], v[145:146]
	s_waitcnt vmcnt(56)
	v_fma_f64 v[141:142], v[1:2], v[151:152], -v[141:142]
	v_fma_f64 v[137:138], v[3:4], v[151:152], v[137:138]
	v_add_f64 v[13:14], v[13:14], v[147:148]
	v_add_f64 v[15:16], v[15:16], v[133:134]
	s_clause 0x2
	buffer_load_dword v150, off, s[0:3], 0 offset:572
	buffer_load_dword v134, off, s[0:3], 0 offset:548
	buffer_load_dword v133, off, s[0:3], 0 offset:544
	ds_read_b128 v[1:4], v40 offset:896
	s_waitcnt vmcnt(58) lgkmcnt(1)
	v_mul_f64 v[151:152], v[7:8], v[158:159]
	v_mul_f64 v[147:148], v[5:6], v[158:159]
	s_waitcnt vmcnt(56)
	v_fma_f64 v[145:146], v[9:10], v[117:118], -v[145:146]
	v_fma_f64 v[117:118], v[11:12], v[117:118], v[154:155]
	buffer_load_dword v154, off, s[0:3], 0 offset:564
	ds_read_b128 v[9:12], v40 offset:912
	v_add_f64 v[13:14], v[13:14], v[141:142]
	v_add_f64 v[15:16], v[15:16], v[137:138]
	s_waitcnt vmcnt(53) lgkmcnt(1)
	v_mul_f64 v[137:138], v[1:2], v[25:26]
	v_mul_f64 v[25:26], v[3:4], v[25:26]
	s_waitcnt vmcnt(52)
	v_fma_f64 v[141:142], v[5:6], v[160:161], -v[151:152]
	v_add_f64 v[13:14], v[13:14], v[145:146]
	v_fma_f64 v[145:146], v[7:8], v[160:161], v[147:148]
	v_add_f64 v[15:16], v[15:16], v[117:118]
	ds_read_b128 v[5:8], v40 offset:928
	s_waitcnt vmcnt(51) lgkmcnt(1)
	v_mul_f64 v[117:118], v[9:10], v[119:120]
	v_mul_f64 v[119:120], v[11:12], v[119:120]
	s_waitcnt vmcnt(49)
	v_fma_f64 v[25:26], v[1:2], v[19:20], -v[25:26]
	v_fma_f64 v[19:20], v[3:4], v[19:20], v[137:138]
	v_add_f64 v[13:14], v[13:14], v[141:142]
	s_clause 0x3
	buffer_load_dword v137, off, s[0:3], 0 offset:32
	buffer_load_dword v138, off, s[0:3], 0 offset:36
	;; [unrolled: 1-line block ×4, first 2 shown]
	v_add_f64 v[15:16], v[15:16], v[145:146]
	ds_read_b128 v[1:4], v40 offset:944
	s_waitcnt vmcnt(49) lgkmcnt(1)
	v_mul_f64 v[145:146], v[5:6], v[111:112]
	v_mul_f64 v[111:112], v[7:8], v[111:112]
	s_waitcnt vmcnt(48)
	v_fma_f64 v[119:120], v[9:10], v[156:157], -v[119:120]
	v_add_f64 v[13:14], v[13:14], v[25:26]
	v_fma_f64 v[25:26], v[11:12], v[156:157], v[117:118]
	v_add_f64 v[15:16], v[15:16], v[19:20]
	ds_read_b128 v[9:12], v40 offset:960
	s_waitcnt vmcnt(47) lgkmcnt(1)
	v_mul_f64 v[19:20], v[1:2], v[113:114]
	v_mul_f64 v[113:114], v[3:4], v[113:114]
	s_waitcnt vmcnt(45)
	v_fma_f64 v[111:112], v[5:6], v[21:22], -v[111:112]
	v_fma_f64 v[21:22], v[7:8], v[21:22], v[145:146]
	ds_read_b128 v[5:8], v40 offset:976
	v_add_f64 v[13:14], v[13:14], v[119:120]
	v_add_f64 v[15:16], v[15:16], v[25:26]
	s_waitcnt vmcnt(41) lgkmcnt(1)
	v_mul_f64 v[25:26], v[9:10], v[17:18]
	v_mul_f64 v[17:18], v[11:12], v[17:18]
	s_waitcnt vmcnt(40)
	v_fma_f64 v[113:114], v[1:2], v[121:122], -v[113:114]
	v_fma_f64 v[19:20], v[3:4], v[121:122], v[19:20]
	ds_read_b128 v[1:4], v40 offset:992
	v_add_f64 v[13:14], v[13:14], v[111:112]
	v_add_f64 v[15:16], v[15:16], v[21:22]
	s_waitcnt vmcnt(39) lgkmcnt(1)
	v_mul_f64 v[21:22], v[5:6], v[37:38]
	v_mul_f64 v[37:38], v[7:8], v[37:38]
	s_waitcnt vmcnt(37)
	v_fma_f64 v[17:18], v[9:10], v[27:28], -v[17:18]
	v_fma_f64 v[25:26], v[11:12], v[27:28], v[25:26]
	ds_read_b128 v[9:12], v40 offset:1008
	v_add_f64 v[13:14], v[13:14], v[113:114]
	v_add_f64 v[15:16], v[15:16], v[19:20]
	s_waitcnt vmcnt(33) lgkmcnt(1)
	v_mul_f64 v[19:20], v[1:2], v[23:24]
	v_mul_f64 v[23:24], v[3:4], v[23:24]
	s_waitcnt vmcnt(32)
	v_fma_f64 v[27:28], v[5:6], v[115:116], -v[37:38]
	v_add_f64 v[13:14], v[13:14], v[17:18]
	v_fma_f64 v[17:18], v[7:8], v[115:116], v[21:22]
	v_add_f64 v[15:16], v[15:16], v[25:26]
	ds_read_b128 v[5:8], v40 offset:1024
	s_waitcnt vmcnt(31) lgkmcnt(1)
	v_mul_f64 v[25:26], v[11:12], v[125:126]
	v_mul_f64 v[21:22], v[9:10], v[125:126]
	s_waitcnt vmcnt(29)
	v_fma_f64 v[19:20], v[3:4], v[33:34], v[19:20]
	v_fma_f64 v[23:24], v[1:2], v[33:34], -v[23:24]
	ds_read_b128 v[1:4], v40 offset:1040
	v_add_f64 v[13:14], v[13:14], v[27:28]
	v_add_f64 v[15:16], v[15:16], v[17:18]
	s_waitcnt vmcnt(25) lgkmcnt(1)
	v_mul_f64 v[27:28], v[7:8], v[29:30]
	s_waitcnt vmcnt(24)
	v_fma_f64 v[25:26], v[9:10], v[127:128], -v[25:26]
	v_mul_f64 v[17:18], v[5:6], v[29:30]
	v_fma_f64 v[21:22], v[11:12], v[127:128], v[21:22]
	ds_read_b128 v[9:12], v40 offset:1056
	v_add_f64 v[13:14], v[13:14], v[23:24]
	v_add_f64 v[15:16], v[15:16], v[19:20]
	s_waitcnt vmcnt(23) lgkmcnt(1)
	v_mul_f64 v[23:24], v[3:4], v[131:132]
	v_mul_f64 v[19:20], v[1:2], v[131:132]
	s_waitcnt vmcnt(21)
	v_fma_f64 v[27:28], v[5:6], v[31:32], -v[27:28]
	v_fma_f64 v[17:18], v[7:8], v[31:32], v[17:18]
	ds_read_b128 v[5:8], v40 offset:1072
	v_add_f64 v[13:14], v[13:14], v[25:26]
	v_add_f64 v[15:16], v[15:16], v[21:22]
	s_waitcnt vmcnt(17) lgkmcnt(1)
	v_mul_f64 v[25:26], v[11:12], v[35:36]
	s_waitcnt vmcnt(16)
	v_fma_f64 v[23:24], v[1:2], v[135:136], -v[23:24]
	v_mul_f64 v[21:22], v[9:10], v[35:36]
	v_fma_f64 v[19:20], v[3:4], v[135:136], v[19:20]
	ds_read_b128 v[1:4], v40 offset:1088
	v_add_f64 v[13:14], v[13:14], v[27:28]
	v_add_f64 v[15:16], v[15:16], v[17:18]
	s_waitcnt vmcnt(15) lgkmcnt(1)
	v_mul_f64 v[27:28], v[7:8], v[139:140]
	v_mul_f64 v[17:18], v[5:6], v[139:140]
	s_waitcnt vmcnt(13)
	v_fma_f64 v[25:26], v[9:10], v[123:124], -v[25:26]
	v_fma_f64 v[21:22], v[11:12], v[123:124], v[21:22]
	ds_read_b128 v[9:12], v40 offset:1104
	v_add_f64 v[13:14], v[13:14], v[23:24]
	v_add_f64 v[15:16], v[15:16], v[19:20]
	s_waitcnt vmcnt(9) lgkmcnt(1)
	v_mul_f64 v[23:24], v[3:4], v[129:130]
	s_waitcnt vmcnt(8)
	v_fma_f64 v[5:6], v[5:6], v[143:144], -v[27:28]
	v_mul_f64 v[19:20], v[1:2], v[129:130]
	v_fma_f64 v[7:8], v[7:8], v[143:144], v[17:18]
	v_add_f64 v[13:14], v[13:14], v[25:26]
	v_add_f64 v[15:16], v[15:16], v[21:22]
	s_waitcnt vmcnt(7) lgkmcnt(0)
	v_mul_f64 v[21:22], v[11:12], v[149:150]
	v_mul_f64 v[17:18], v[9:10], v[149:150]
	s_waitcnt vmcnt(5)
	v_fma_f64 v[1:2], v[1:2], v[133:134], -v[23:24]
	v_fma_f64 v[3:4], v[3:4], v[133:134], v[19:20]
	v_add_f64 v[5:6], v[13:14], v[5:6]
	v_add_f64 v[7:8], v[15:16], v[7:8]
	s_waitcnt vmcnt(4)
	v_fma_f64 v[9:10], v[9:10], v[153:154], -v[21:22]
	v_add_f64 v[1:2], v[5:6], v[1:2]
	v_fma_f64 v[5:6], v[11:12], v[153:154], v[17:18]
	v_add_f64 v[3:4], v[7:8], v[3:4]
	v_add_f64 v[1:2], v[1:2], v[9:10]
	;; [unrolled: 1-line block ×3, first 2 shown]
	s_waitcnt vmcnt(2)
	v_add_f64 v[1:2], v[137:138], -v[1:2]
	s_waitcnt vmcnt(0)
	v_add_f64 v[3:4], v[141:142], -v[3:4]
	buffer_store_dword v2, off, s[0:3], 0 offset:36
	buffer_store_dword v1, off, s[0:3], 0 offset:32
	;; [unrolled: 1-line block ×4, first 2 shown]
	v_cmpx_ne_u32_e32 0, v0
	s_cbranch_execz .LBB34_223
; %bb.222:
	s_clause 0x3
	buffer_load_dword v0, off, s[0:3], 0 offset:16
	buffer_load_dword v1, off, s[0:3], 0 offset:20
	;; [unrolled: 1-line block ×4, first 2 shown]
	buffer_store_dword v40, off, s[0:3], 0 offset:16
	buffer_store_dword v40, off, s[0:3], 0 offset:20
	;; [unrolled: 1-line block ×4, first 2 shown]
	s_waitcnt vmcnt(0)
	ds_write_b128 v39, v[0:3]
.LBB34_223:
	s_or_b32 exec_lo, exec_lo, s4
	s_waitcnt lgkmcnt(0)
	s_waitcnt_vscnt null, 0x0
	s_barrier
	buffer_gl0_inv
	s_clause 0x37
	buffer_load_dword v8, off, s[0:3], 0 offset:40
	buffer_load_dword v9, off, s[0:3], 0 offset:44
	;; [unrolled: 1-line block ×56, first 2 shown]
	ds_read_b128 v[121:124], v40 offset:576
	s_clause 0x2
	buffer_load_dword v140, off, s[0:3], 0 offset:268
	buffer_load_dword v142, off, s[0:3], 0 offset:244
	buffer_load_dword v141, off, s[0:3], 0 offset:240
	ds_read_b128 v[125:128], v40 offset:592
	s_clause 0x4
	buffer_load_dword v146, off, s[0:3], 0 offset:284
	buffer_load_dword v147, off, s[0:3], 0 offset:296
	;; [unrolled: 1-line block ×5, first 2 shown]
	ds_read_b128 v[129:132], v40 offset:608
	s_clause 0x2
	buffer_load_dword v148, off, s[0:3], 0 offset:300
	buffer_load_dword v153, off, s[0:3], 0 offset:276
	;; [unrolled: 1-line block ×3, first 2 shown]
	s_and_b32 vcc_lo, exec_lo, s47
	s_waitcnt vmcnt(62) lgkmcnt(2)
	v_mul_f64 v[143:144], v[123:124], v[8:9]
	v_mul_f64 v[8:9], v[121:122], v[8:9]
	s_waitcnt lgkmcnt(1)
	v_mul_f64 v[150:151], v[127:128], v[4:5]
	s_waitcnt vmcnt(59) lgkmcnt(0)
	v_mul_f64 v[154:155], v[131:132], v[2:3]
	v_fma_f64 v[121:122], v[121:122], v[6:7], -v[143:144]
	v_mul_f64 v[143:144], v[125:126], v[4:5]
	v_fma_f64 v[8:9], v[123:124], v[6:7], v[8:9]
	s_waitcnt vmcnt(57)
	v_fma_f64 v[125:126], v[125:126], v[0:1], -v[150:151]
	ds_read_b128 v[4:7], v40 offset:624
	v_mul_f64 v[123:124], v[129:130], v[2:3]
	s_waitcnt vmcnt(51)
	v_fma_f64 v[129:130], v[129:130], v[24:25], -v[154:155]
	v_add_f64 v[121:122], v[121:122], 0
	v_fma_f64 v[127:128], v[127:128], v[0:1], v[143:144]
	v_add_f64 v[8:9], v[8:9], 0
	s_clause 0x4
	buffer_load_dword v144, off, s[0:3], 0 offset:316
	buffer_load_dword v156, off, s[0:3], 0 offset:328
	;; [unrolled: 1-line block ×5, first 2 shown]
	s_waitcnt lgkmcnt(0)
	v_mul_f64 v[159:160], v[4:5], v[12:13]
	v_mul_f64 v[12:13], v[6:7], v[12:13]
	ds_read_b128 v[0:3], v40 offset:640
	v_fma_f64 v[24:25], v[131:132], v[24:25], v[123:124]
	v_add_f64 v[125:126], v[121:122], v[125:126]
	v_add_f64 v[8:9], v[8:9], v[127:128]
	s_clause 0x2
	buffer_load_dword v157, off, s[0:3], 0 offset:332
	buffer_load_dword v128, off, s[0:3], 0 offset:308
	buffer_load_dword v127, off, s[0:3], 0 offset:304
	s_waitcnt vmcnt(58) lgkmcnt(0)
	v_mul_f64 v[131:132], v[0:1], v[16:17]
	v_mul_f64 v[16:17], v[2:3], v[16:17]
	s_waitcnt vmcnt(56)
	v_fma_f64 v[12:13], v[4:5], v[18:19], -v[12:13]
	ds_read_b128 v[121:124], v40 offset:656
	v_fma_f64 v[18:19], v[6:7], v[18:19], v[159:160]
	v_add_f64 v[125:126], v[125:126], v[129:130]
	v_add_f64 v[8:9], v[8:9], v[24:25]
	s_clause 0x4
	buffer_load_dword v25, off, s[0:3], 0 offset:348
	buffer_load_dword v129, off, s[0:3], 0 offset:360
	;; [unrolled: 1-line block ×5, first 2 shown]
	ds_read_b128 v[4:7], v40 offset:672
	s_waitcnt vmcnt(57) lgkmcnt(1)
	v_mul_f64 v[160:161], v[121:122], v[20:21]
	v_mul_f64 v[20:21], v[123:124], v[20:21]
	s_waitcnt vmcnt(56)
	v_fma_f64 v[16:17], v[0:1], v[10:11], -v[16:17]
	v_fma_f64 v[10:11], v[2:3], v[10:11], v[131:132]
	v_add_f64 v[12:13], v[125:126], v[12:13]
	v_add_f64 v[8:9], v[8:9], v[18:19]
	s_clause 0x2
	buffer_load_dword v130, off, s[0:3], 0 offset:364
	buffer_load_dword v19, off, s[0:3], 0 offset:340
	;; [unrolled: 1-line block ×3, first 2 shown]
	s_waitcnt vmcnt(58) lgkmcnt(0)
	v_mul_f64 v[125:126], v[4:5], v[26:27]
	v_mul_f64 v[26:27], v[6:7], v[26:27]
	s_waitcnt vmcnt(56)
	v_fma_f64 v[20:21], v[121:122], v[28:29], -v[20:21]
	ds_read_b128 v[0:3], v40 offset:688
	v_add_f64 v[12:13], v[12:13], v[16:17]
	v_fma_f64 v[16:17], v[123:124], v[28:29], v[160:161]
	v_add_f64 v[28:29], v[8:9], v[10:11]
	s_clause 0x4
	buffer_load_dword v122, off, s[0:3], 0 offset:380
	buffer_load_dword v123, off, s[0:3], 0 offset:392
	;; [unrolled: 1-line block ×5, first 2 shown]
	ds_read_b128 v[8:11], v40 offset:704
	s_waitcnt vmcnt(57) lgkmcnt(1)
	v_mul_f64 v[160:161], v[0:1], v[30:31]
	v_mul_f64 v[30:31], v[2:3], v[30:31]
	s_waitcnt vmcnt(56)
	v_fma_f64 v[26:27], v[4:5], v[14:15], -v[26:27]
	v_fma_f64 v[14:15], v[6:7], v[14:15], v[125:126]
	v_add_f64 v[12:13], v[12:13], v[20:21]
	s_clause 0x2
	buffer_load_dword v124, off, s[0:3], 0 offset:396
	buffer_load_dword v21, off, s[0:3], 0 offset:372
	;; [unrolled: 1-line block ×3, first 2 shown]
	v_add_f64 v[16:17], v[28:29], v[16:17]
	s_waitcnt vmcnt(58) lgkmcnt(0)
	v_mul_f64 v[28:29], v[8:9], v[34:35]
	v_mul_f64 v[34:35], v[10:11], v[34:35]
	ds_read_b128 v[4:7], v40 offset:720
	s_waitcnt vmcnt(56)
	v_fma_f64 v[30:31], v[0:1], v[36:37], -v[30:31]
	v_add_f64 v[12:13], v[12:13], v[26:27]
	v_fma_f64 v[26:27], v[2:3], v[36:37], v[160:161]
	v_add_f64 v[14:15], v[16:17], v[14:15]
	s_clause 0x4
	buffer_load_dword v17, off, s[0:3], 0 offset:412
	buffer_load_dword v36, off, s[0:3], 0 offset:424
	;; [unrolled: 1-line block ×5, first 2 shown]
	s_waitcnt vmcnt(57) lgkmcnt(0)
	v_mul_f64 v[160:161], v[4:5], v[38:39]
	v_mul_f64 v[38:39], v[6:7], v[38:39]
	s_waitcnt vmcnt(56)
	v_fma_f64 v[34:35], v[8:9], v[22:23], -v[34:35]
	ds_read_b128 v[0:3], v40 offset:736
	v_fma_f64 v[22:23], v[10:11], v[22:23], v[28:29]
	v_add_f64 v[12:13], v[12:13], v[30:31]
	v_add_f64 v[14:15], v[14:15], v[26:27]
	s_clause 0x2
	buffer_load_dword v37, off, s[0:3], 0 offset:428
	buffer_load_dword v27, off, s[0:3], 0 offset:404
	;; [unrolled: 1-line block ×3, first 2 shown]
	ds_read_b128 v[8:11], v40 offset:752
	s_waitcnt vmcnt(58) lgkmcnt(1)
	v_mul_f64 v[30:31], v[2:3], v[113:114]
	s_waitcnt vmcnt(56)
	v_fma_f64 v[38:39], v[4:5], v[115:116], -v[38:39]
	v_mul_f64 v[28:29], v[0:1], v[113:114]
	v_add_f64 v[12:13], v[12:13], v[34:35]
	v_fma_f64 v[34:35], v[6:7], v[115:116], v[160:161]
	v_add_f64 v[14:15], v[14:15], v[22:23]
	s_clause 0x4
	buffer_load_dword v23, off, s[0:3], 0 offset:444
	buffer_load_dword v113, off, s[0:3], 0 offset:456
	;; [unrolled: 1-line block ×5, first 2 shown]
	s_waitcnt vmcnt(57) lgkmcnt(0)
	v_mul_f64 v[160:161], v[8:9], v[117:118]
	v_mul_f64 v[116:117], v[10:11], v[117:118]
	s_waitcnt vmcnt(56)
	v_fma_f64 v[30:31], v[0:1], v[32:33], -v[30:31]
	ds_read_b128 v[4:7], v40 offset:768
	v_fma_f64 v[28:29], v[2:3], v[32:33], v[28:29]
	s_clause 0x2
	buffer_load_dword v114, off, s[0:3], 0 offset:460
	buffer_load_dword v33, off, s[0:3], 0 offset:436
	;; [unrolled: 1-line block ×3, first 2 shown]
	ds_read_b128 v[0:3], v40 offset:784
	v_add_f64 v[12:13], v[12:13], v[38:39]
	v_add_f64 v[14:15], v[14:15], v[34:35]
	s_waitcnt vmcnt(58) lgkmcnt(1)
	v_mul_f64 v[38:39], v[6:7], v[133:134]
	s_waitcnt vmcnt(56)
	v_fma_f64 v[117:118], v[8:9], v[135:136], -v[116:117]
	v_mul_f64 v[34:35], v[4:5], v[133:134]
	v_add_f64 v[12:13], v[12:13], v[30:31]
	v_fma_f64 v[30:31], v[10:11], v[135:136], v[160:161]
	v_add_f64 v[14:15], v[14:15], v[28:29]
	s_clause 0x4
	buffer_load_dword v29, off, s[0:3], 0 offset:476
	buffer_load_dword v133, off, s[0:3], 0 offset:488
	;; [unrolled: 1-line block ×5, first 2 shown]
	s_waitcnt vmcnt(57) lgkmcnt(0)
	v_mul_f64 v[160:161], v[0:1], v[137:138]
	v_mul_f64 v[136:137], v[2:3], v[137:138]
	s_waitcnt vmcnt(56)
	v_fma_f64 v[38:39], v[4:5], v[111:112], -v[38:39]
	ds_read_b128 v[8:11], v40 offset:800
	v_fma_f64 v[34:35], v[6:7], v[111:112], v[34:35]
	v_add_f64 v[12:13], v[12:13], v[117:118]
	v_add_f64 v[14:15], v[14:15], v[30:31]
	s_clause 0x2
	buffer_load_dword v134, off, s[0:3], 0 offset:492
	buffer_load_dword v31, off, s[0:3], 0 offset:468
	;; [unrolled: 1-line block ×3, first 2 shown]
	ds_read_b128 v[4:7], v40 offset:816
	s_waitcnt vmcnt(58) lgkmcnt(1)
	v_mul_f64 v[117:118], v[10:11], v[139:140]
	s_waitcnt vmcnt(56)
	v_fma_f64 v[137:138], v[0:1], v[141:142], -v[136:137]
	v_mul_f64 v[111:112], v[8:9], v[139:140]
	v_add_f64 v[12:13], v[12:13], v[38:39]
	v_fma_f64 v[38:39], v[2:3], v[141:142], v[160:161]
	v_add_f64 v[14:15], v[14:15], v[34:35]
	s_clause 0x4
	buffer_load_dword v35, off, s[0:3], 0 offset:508
	buffer_load_dword v139, off, s[0:3], 0 offset:520
	buffer_load_dword v141, off, s[0:3], 0 offset:512
	buffer_load_dword v34, off, s[0:3], 0 offset:504
	buffer_load_dword v136, off, s[0:3], 0 offset:484
	s_waitcnt vmcnt(57) lgkmcnt(0)
	v_mul_f64 v[160:161], v[4:5], v[145:146]
	v_mul_f64 v[145:146], v[6:7], v[145:146]
	s_waitcnt vmcnt(56)
	v_fma_f64 v[117:118], v[8:9], v[119:120], -v[117:118]
	ds_read_b128 v[0:3], v40 offset:832
	v_fma_f64 v[111:112], v[10:11], v[119:120], v[111:112]
	v_add_f64 v[12:13], v[12:13], v[137:138]
	v_add_f64 v[14:15], v[14:15], v[38:39]
	s_clause 0x2
	buffer_load_dword v140, off, s[0:3], 0 offset:524
	buffer_load_dword v39, off, s[0:3], 0 offset:500
	;; [unrolled: 1-line block ×3, first 2 shown]
	ds_read_b128 v[8:11], v40 offset:848
	s_waitcnt vmcnt(58) lgkmcnt(1)
	v_mul_f64 v[137:138], v[2:3], v[147:148]
	s_waitcnt vmcnt(56)
	v_fma_f64 v[145:146], v[4:5], v[152:153], -v[145:146]
	v_mul_f64 v[119:120], v[0:1], v[147:148]
	v_add_f64 v[12:13], v[12:13], v[117:118]
	v_fma_f64 v[117:118], v[6:7], v[152:153], v[160:161]
	v_add_f64 v[14:15], v[14:15], v[111:112]
	s_clause 0x4
	buffer_load_dword v112, off, s[0:3], 0 offset:540
	buffer_load_dword v147, off, s[0:3], 0 offset:552
	;; [unrolled: 1-line block ×5, first 2 shown]
	ds_read_b128 v[4:7], v40 offset:864
	s_waitcnt vmcnt(57) lgkmcnt(1)
	v_mul_f64 v[152:153], v[8:9], v[143:144]
	v_mul_f64 v[143:144], v[10:11], v[143:144]
	s_waitcnt vmcnt(56)
	v_fma_f64 v[137:138], v[0:1], v[149:150], -v[137:138]
	v_fma_f64 v[119:120], v[2:3], v[149:150], v[119:120]
	v_add_f64 v[12:13], v[12:13], v[145:146]
	v_add_f64 v[14:15], v[14:15], v[117:118]
	s_clause 0x2
	buffer_load_dword v148, off, s[0:3], 0 offset:556
	buffer_load_dword v118, off, s[0:3], 0 offset:532
	;; [unrolled: 1-line block ×3, first 2 shown]
	ds_read_b128 v[0:3], v40 offset:880
	s_waitcnt vmcnt(58) lgkmcnt(1)
	v_mul_f64 v[149:150], v[6:7], v[156:157]
	v_mul_f64 v[145:146], v[4:5], v[156:157]
	s_waitcnt vmcnt(56)
	v_fma_f64 v[143:144], v[8:9], v[127:128], -v[143:144]
	v_fma_f64 v[127:128], v[10:11], v[127:128], v[152:153]
	v_add_f64 v[12:13], v[12:13], v[137:138]
	v_add_f64 v[14:15], v[14:15], v[119:120]
	s_clause 0x2
	buffer_load_dword v120, off, s[0:3], 0 offset:572
	buffer_load_dword v119, off, s[0:3], 0 offset:568
	buffer_load_dword v152, off, s[0:3], 0 offset:548
	ds_read_b128 v[8:11], v40 offset:896
	s_waitcnt vmcnt(55) lgkmcnt(1)
	v_mul_f64 v[137:138], v[0:1], v[24:25]
	v_mul_f64 v[24:25], v[2:3], v[24:25]
	s_waitcnt vmcnt(54)
	v_fma_f64 v[149:150], v[4:5], v[158:159], -v[149:150]
	v_add_f64 v[12:13], v[12:13], v[143:144]
	v_fma_f64 v[143:144], v[6:7], v[158:159], v[145:146]
	v_add_f64 v[14:15], v[14:15], v[127:128]
	s_clause 0x1
	buffer_load_dword v128, off, s[0:3], 0 offset:564
	buffer_load_dword v127, off, s[0:3], 0 offset:560
	ds_read_b128 v[4:7], v40 offset:912
	s_waitcnt vmcnt(55) lgkmcnt(1)
	v_mul_f64 v[145:146], v[8:9], v[129:130]
	v_mul_f64 v[129:130], v[10:11], v[129:130]
	s_waitcnt vmcnt(53)
	v_fma_f64 v[24:25], v[0:1], v[18:19], -v[24:25]
	v_fma_f64 v[18:19], v[2:3], v[18:19], v[137:138]
	ds_read_b128 v[0:3], v40 offset:928
	v_add_f64 v[12:13], v[12:13], v[149:150]
	v_add_f64 v[14:15], v[14:15], v[143:144]
	s_waitcnt vmcnt(49) lgkmcnt(1)
	v_mul_f64 v[137:138], v[4:5], v[121:122]
	v_mul_f64 v[121:122], v[6:7], v[121:122]
	s_waitcnt vmcnt(48)
	v_fma_f64 v[129:130], v[8:9], v[154:155], -v[129:130]
	v_add_f64 v[12:13], v[12:13], v[24:25]
	v_fma_f64 v[24:25], v[10:11], v[154:155], v[145:146]
	v_add_f64 v[14:15], v[14:15], v[18:19]
	s_clause 0x3
	buffer_load_dword v18, off, s[0:3], 0 offset:16
	buffer_load_dword v19, off, s[0:3], 0 offset:20
	;; [unrolled: 1-line block ×4, first 2 shown]
	ds_read_b128 v[8:11], v40 offset:944
	s_waitcnt vmcnt(51) lgkmcnt(1)
	v_mul_f64 v[145:146], v[0:1], v[123:124]
	v_mul_f64 v[123:124], v[2:3], v[123:124]
	s_waitcnt vmcnt(49)
	v_fma_f64 v[121:122], v[4:5], v[20:21], -v[121:122]
	v_fma_f64 v[20:21], v[6:7], v[20:21], v[137:138]
	ds_read_b128 v[4:7], v40 offset:960
	v_add_f64 v[12:13], v[12:13], v[129:130]
	v_add_f64 v[14:15], v[14:15], v[24:25]
	s_waitcnt vmcnt(45) lgkmcnt(1)
	v_mul_f64 v[24:25], v[8:9], v[16:17]
	v_mul_f64 v[16:17], v[10:11], v[16:17]
	s_waitcnt vmcnt(44)
	v_fma_f64 v[123:124], v[0:1], v[131:132], -v[123:124]
	v_add_f64 v[12:13], v[12:13], v[121:122]
	v_fma_f64 v[121:122], v[2:3], v[131:132], v[145:146]
	v_add_f64 v[14:15], v[14:15], v[20:21]
	ds_read_b128 v[0:3], v40 offset:976
	s_waitcnt vmcnt(43) lgkmcnt(1)
	v_mul_f64 v[20:21], v[4:5], v[36:37]
	v_mul_f64 v[36:37], v[6:7], v[36:37]
	s_waitcnt vmcnt(41)
	v_fma_f64 v[16:17], v[8:9], v[26:27], -v[16:17]
	v_fma_f64 v[24:25], v[10:11], v[26:27], v[24:25]
	ds_read_b128 v[8:11], v40 offset:992
	v_add_f64 v[12:13], v[12:13], v[123:124]
	v_add_f64 v[14:15], v[14:15], v[121:122]
	s_waitcnt vmcnt(37) lgkmcnt(1)
	v_mul_f64 v[26:27], v[0:1], v[22:23]
	v_mul_f64 v[22:23], v[2:3], v[22:23]
	s_waitcnt vmcnt(36)
	v_fma_f64 v[36:37], v[4:5], v[125:126], -v[36:37]
	v_add_f64 v[12:13], v[12:13], v[16:17]
	v_fma_f64 v[16:17], v[6:7], v[125:126], v[20:21]
	v_add_f64 v[14:15], v[14:15], v[24:25]
	s_waitcnt vmcnt(35) lgkmcnt(0)
	v_mul_f64 v[24:25], v[10:11], v[113:114]
	ds_read_b128 v[4:7], v40 offset:1008
	v_mul_f64 v[20:21], v[8:9], v[113:114]
	s_waitcnt vmcnt(33)
	v_fma_f64 v[26:27], v[2:3], v[32:33], v[26:27]
	v_fma_f64 v[22:23], v[0:1], v[32:33], -v[22:23]
	ds_read_b128 v[0:3], v40 offset:1024
	v_add_f64 v[12:13], v[12:13], v[36:37]
	v_add_f64 v[14:15], v[14:15], v[16:17]
	s_waitcnt vmcnt(29) lgkmcnt(1)
	v_mul_f64 v[16:17], v[4:5], v[28:29]
	v_mul_f64 v[28:29], v[6:7], v[28:29]
	s_waitcnt vmcnt(28)
	v_fma_f64 v[24:25], v[8:9], v[115:116], -v[24:25]
	v_fma_f64 v[20:21], v[10:11], v[115:116], v[20:21]
	ds_read_b128 v[8:11], v40 offset:1040
	v_add_f64 v[12:13], v[12:13], v[22:23]
	v_add_f64 v[14:15], v[14:15], v[26:27]
	s_waitcnt vmcnt(27) lgkmcnt(1)
	v_mul_f64 v[26:27], v[2:3], v[133:134]
	v_mul_f64 v[22:23], v[0:1], v[133:134]
	s_waitcnt vmcnt(25)
	v_fma_f64 v[28:29], v[4:5], v[30:31], -v[28:29]
	v_fma_f64 v[16:17], v[6:7], v[30:31], v[16:17]
	ds_read_b128 v[4:7], v40 offset:1056
	v_add_f64 v[12:13], v[12:13], v[24:25]
	v_add_f64 v[14:15], v[14:15], v[20:21]
	s_waitcnt vmcnt(21) lgkmcnt(1)
	v_mul_f64 v[24:25], v[10:11], v[34:35]
	s_waitcnt vmcnt(20)
	v_fma_f64 v[26:27], v[0:1], v[135:136], -v[26:27]
	v_mul_f64 v[20:21], v[8:9], v[34:35]
	v_fma_f64 v[22:23], v[2:3], v[135:136], v[22:23]
	ds_read_b128 v[0:3], v40 offset:1072
	v_add_f64 v[12:13], v[12:13], v[28:29]
	v_add_f64 v[14:15], v[14:15], v[16:17]
	s_waitcnt vmcnt(19) lgkmcnt(1)
	v_mul_f64 v[28:29], v[6:7], v[139:140]
	v_mul_f64 v[16:17], v[4:5], v[139:140]
	s_waitcnt vmcnt(17)
	v_fma_f64 v[24:25], v[8:9], v[38:39], -v[24:25]
	v_fma_f64 v[20:21], v[10:11], v[38:39], v[20:21]
	ds_read_b128 v[8:11], v40 offset:1088
	v_add_f64 v[12:13], v[12:13], v[26:27]
	v_add_f64 v[14:15], v[14:15], v[22:23]
	s_waitcnt vmcnt(13) lgkmcnt(1)
	v_mul_f64 v[26:27], v[2:3], v[111:112]
	s_waitcnt vmcnt(12)
	v_fma_f64 v[28:29], v[4:5], v[141:142], -v[28:29]
	v_mul_f64 v[22:23], v[0:1], v[111:112]
	v_fma_f64 v[16:17], v[6:7], v[141:142], v[16:17]
	ds_read_b128 v[4:7], v40 offset:1104
	v_add_f64 v[12:13], v[12:13], v[24:25]
	v_add_f64 v[14:15], v[14:15], v[20:21]
	s_waitcnt vmcnt(11) lgkmcnt(1)
	v_mul_f64 v[24:25], v[10:11], v[147:148]
	v_mul_f64 v[20:21], v[8:9], v[147:148]
	s_waitcnt vmcnt(9)
	v_fma_f64 v[0:1], v[0:1], v[117:118], -v[26:27]
	v_fma_f64 v[2:3], v[2:3], v[117:118], v[22:23]
	v_add_f64 v[12:13], v[12:13], v[28:29]
	v_add_f64 v[14:15], v[14:15], v[16:17]
	s_waitcnt vmcnt(7) lgkmcnt(0)
	v_mul_f64 v[22:23], v[6:7], v[119:120]
	s_waitcnt vmcnt(6)
	v_fma_f64 v[8:9], v[8:9], v[151:152], -v[24:25]
	v_mul_f64 v[16:17], v[4:5], v[119:120]
	v_fma_f64 v[10:11], v[10:11], v[151:152], v[20:21]
	v_add_f64 v[0:1], v[12:13], v[0:1]
	v_add_f64 v[2:3], v[14:15], v[2:3]
	s_waitcnt vmcnt(4)
	v_fma_f64 v[4:5], v[4:5], v[127:128], -v[22:23]
	v_fma_f64 v[6:7], v[6:7], v[127:128], v[16:17]
	v_add_f64 v[0:1], v[0:1], v[8:9]
	v_add_f64 v[2:3], v[2:3], v[10:11]
	;; [unrolled: 1-line block ×4, first 2 shown]
	s_waitcnt vmcnt(2)
	v_add_f64 v[0:1], v[18:19], -v[0:1]
	s_waitcnt vmcnt(0)
	v_add_f64 v[2:3], v[143:144], -v[2:3]
	buffer_store_dword v1, off, s[0:3], 0 offset:20
	buffer_store_dword v0, off, s[0:3], 0 offset:16
	;; [unrolled: 1-line block ×4, first 2 shown]
	s_cbranch_vccz .LBB34_292
; %bb.224:
	v_mov_b32_e32 v0, 0
	global_load_dword v1, v0, s[20:21] offset:132
	s_waitcnt vmcnt(0)
	v_add_nc_u32_e32 v1, -1, v1
	v_cmp_ne_u32_e32 vcc_lo, 33, v1
	s_cbranch_vccz .LBB34_226
; %bb.225:
	v_lshlrev_b32_e32 v1, 4, v1
	v_mov_b32_e32 v2, s9
	v_add_nc_u32_e32 v1, 16, v1
	s_clause 0x7
	buffer_load_dword v3, v1, s[0:3], 0 offen
	buffer_load_dword v4, v1, s[0:3], 0 offen offset:4
	buffer_load_dword v5, v1, s[0:3], 0 offen offset:8
	;; [unrolled: 1-line block ×6, first 2 shown]
	buffer_load_dword v10, v2, s[0:3], 0 offen
	s_waitcnt vmcnt(7)
	buffer_store_dword v3, v2, s[0:3], 0 offen
	s_waitcnt vmcnt(6)
	buffer_store_dword v4, v2, s[0:3], 0 offen offset:4
	s_waitcnt vmcnt(5)
	buffer_store_dword v5, v2, s[0:3], 0 offen offset:8
	;; [unrolled: 2-line block ×6, first 2 shown]
	s_waitcnt vmcnt(0)
	buffer_store_dword v10, v1, s[0:3], 0 offen
.LBB34_226:
	global_load_dword v0, v0, s[20:21] offset:128
	s_waitcnt vmcnt(0)
	v_add_nc_u32_e32 v0, -1, v0
	v_cmp_eq_u32_e32 vcc_lo, 32, v0
	s_cbranch_vccnz .LBB34_228
; %bb.227:
	v_lshlrev_b32_e32 v0, 4, v0
	v_mov_b32_e32 v1, s12
	v_add_nc_u32_e32 v0, 16, v0
	s_clause 0x7
	buffer_load_dword v2, v0, s[0:3], 0 offen
	buffer_load_dword v3, v0, s[0:3], 0 offen offset:4
	buffer_load_dword v4, v0, s[0:3], 0 offen offset:8
	;; [unrolled: 1-line block ×6, first 2 shown]
	buffer_load_dword v9, v1, s[0:3], 0 offen
	s_waitcnt vmcnt(7)
	buffer_store_dword v2, v1, s[0:3], 0 offen
	s_waitcnt vmcnt(6)
	buffer_store_dword v3, v1, s[0:3], 0 offen offset:4
	s_waitcnt vmcnt(5)
	buffer_store_dword v4, v1, s[0:3], 0 offen offset:8
	;; [unrolled: 2-line block ×6, first 2 shown]
	s_waitcnt vmcnt(0)
	buffer_store_dword v9, v0, s[0:3], 0 offen
.LBB34_228:
	v_mov_b32_e32 v0, 0
	global_load_dword v1, v0, s[20:21] offset:124
	s_waitcnt vmcnt(0)
	v_add_nc_u32_e32 v1, -1, v1
	v_cmp_eq_u32_e32 vcc_lo, 31, v1
	s_cbranch_vccnz .LBB34_230
; %bb.229:
	v_lshlrev_b32_e32 v1, 4, v1
	v_mov_b32_e32 v2, s13
	v_add_nc_u32_e32 v1, 16, v1
	s_clause 0x7
	buffer_load_dword v3, v1, s[0:3], 0 offen
	buffer_load_dword v4, v1, s[0:3], 0 offen offset:4
	buffer_load_dword v5, v1, s[0:3], 0 offen offset:8
	;; [unrolled: 1-line block ×6, first 2 shown]
	buffer_load_dword v10, v2, s[0:3], 0 offen
	s_waitcnt vmcnt(7)
	buffer_store_dword v3, v2, s[0:3], 0 offen
	s_waitcnt vmcnt(6)
	buffer_store_dword v4, v2, s[0:3], 0 offen offset:4
	s_waitcnt vmcnt(5)
	buffer_store_dword v5, v2, s[0:3], 0 offen offset:8
	;; [unrolled: 2-line block ×6, first 2 shown]
	s_waitcnt vmcnt(0)
	buffer_store_dword v10, v1, s[0:3], 0 offen
.LBB34_230:
	global_load_dword v0, v0, s[20:21] offset:120
	s_waitcnt vmcnt(0)
	v_add_nc_u32_e32 v0, -1, v0
	v_cmp_eq_u32_e32 vcc_lo, 30, v0
	s_cbranch_vccnz .LBB34_232
; %bb.231:
	v_lshlrev_b32_e32 v0, 4, v0
	v_mov_b32_e32 v1, s14
	v_add_nc_u32_e32 v0, 16, v0
	s_clause 0x7
	buffer_load_dword v2, v0, s[0:3], 0 offen
	buffer_load_dword v3, v0, s[0:3], 0 offen offset:4
	buffer_load_dword v4, v0, s[0:3], 0 offen offset:8
	;; [unrolled: 1-line block ×6, first 2 shown]
	buffer_load_dword v9, v1, s[0:3], 0 offen
	s_waitcnt vmcnt(7)
	buffer_store_dword v2, v1, s[0:3], 0 offen
	s_waitcnt vmcnt(6)
	buffer_store_dword v3, v1, s[0:3], 0 offen offset:4
	s_waitcnt vmcnt(5)
	buffer_store_dword v4, v1, s[0:3], 0 offen offset:8
	;; [unrolled: 2-line block ×6, first 2 shown]
	s_waitcnt vmcnt(0)
	buffer_store_dword v9, v0, s[0:3], 0 offen
.LBB34_232:
	v_mov_b32_e32 v0, 0
	global_load_dword v1, v0, s[20:21] offset:116
	s_waitcnt vmcnt(0)
	v_add_nc_u32_e32 v1, -1, v1
	v_cmp_eq_u32_e32 vcc_lo, 29, v1
	s_cbranch_vccnz .LBB34_234
; %bb.233:
	v_lshlrev_b32_e32 v1, 4, v1
	v_mov_b32_e32 v2, s15
	v_add_nc_u32_e32 v1, 16, v1
	s_clause 0x7
	buffer_load_dword v3, v1, s[0:3], 0 offen
	buffer_load_dword v4, v1, s[0:3], 0 offen offset:4
	buffer_load_dword v5, v1, s[0:3], 0 offen offset:8
	;; [unrolled: 1-line block ×6, first 2 shown]
	buffer_load_dword v10, v2, s[0:3], 0 offen
	s_waitcnt vmcnt(7)
	buffer_store_dword v3, v2, s[0:3], 0 offen
	s_waitcnt vmcnt(6)
	buffer_store_dword v4, v2, s[0:3], 0 offen offset:4
	s_waitcnt vmcnt(5)
	buffer_store_dword v5, v2, s[0:3], 0 offen offset:8
	;; [unrolled: 2-line block ×6, first 2 shown]
	s_waitcnt vmcnt(0)
	buffer_store_dword v10, v1, s[0:3], 0 offen
.LBB34_234:
	global_load_dword v0, v0, s[20:21] offset:112
	s_waitcnt vmcnt(0)
	v_add_nc_u32_e32 v0, -1, v0
	v_cmp_eq_u32_e32 vcc_lo, 28, v0
	s_cbranch_vccnz .LBB34_236
; %bb.235:
	v_lshlrev_b32_e32 v0, 4, v0
	v_mov_b32_e32 v1, s16
	v_add_nc_u32_e32 v0, 16, v0
	s_clause 0x7
	buffer_load_dword v2, v0, s[0:3], 0 offen
	buffer_load_dword v3, v0, s[0:3], 0 offen offset:4
	buffer_load_dword v4, v0, s[0:3], 0 offen offset:8
	;; [unrolled: 1-line block ×6, first 2 shown]
	buffer_load_dword v9, v1, s[0:3], 0 offen
	s_waitcnt vmcnt(7)
	buffer_store_dword v2, v1, s[0:3], 0 offen
	s_waitcnt vmcnt(6)
	buffer_store_dword v3, v1, s[0:3], 0 offen offset:4
	s_waitcnt vmcnt(5)
	buffer_store_dword v4, v1, s[0:3], 0 offen offset:8
	;; [unrolled: 2-line block ×6, first 2 shown]
	s_waitcnt vmcnt(0)
	buffer_store_dword v9, v0, s[0:3], 0 offen
.LBB34_236:
	v_mov_b32_e32 v0, 0
	global_load_dword v1, v0, s[20:21] offset:108
	s_waitcnt vmcnt(0)
	v_add_nc_u32_e32 v1, -1, v1
	v_cmp_eq_u32_e32 vcc_lo, 27, v1
	s_cbranch_vccnz .LBB34_238
; %bb.237:
	v_lshlrev_b32_e32 v1, 4, v1
	v_mov_b32_e32 v2, s17
	v_add_nc_u32_e32 v1, 16, v1
	s_clause 0x7
	buffer_load_dword v3, v1, s[0:3], 0 offen
	buffer_load_dword v4, v1, s[0:3], 0 offen offset:4
	buffer_load_dword v5, v1, s[0:3], 0 offen offset:8
	;; [unrolled: 1-line block ×6, first 2 shown]
	buffer_load_dword v10, v2, s[0:3], 0 offen
	s_waitcnt vmcnt(7)
	buffer_store_dword v3, v2, s[0:3], 0 offen
	s_waitcnt vmcnt(6)
	buffer_store_dword v4, v2, s[0:3], 0 offen offset:4
	s_waitcnt vmcnt(5)
	buffer_store_dword v5, v2, s[0:3], 0 offen offset:8
	;; [unrolled: 2-line block ×6, first 2 shown]
	s_waitcnt vmcnt(0)
	buffer_store_dword v10, v1, s[0:3], 0 offen
.LBB34_238:
	global_load_dword v0, v0, s[20:21] offset:104
	s_waitcnt vmcnt(0)
	v_add_nc_u32_e32 v0, -1, v0
	v_cmp_eq_u32_e32 vcc_lo, 26, v0
	s_cbranch_vccnz .LBB34_240
; %bb.239:
	v_lshlrev_b32_e32 v0, 4, v0
	v_mov_b32_e32 v1, s18
	v_add_nc_u32_e32 v0, 16, v0
	s_clause 0x7
	buffer_load_dword v2, v0, s[0:3], 0 offen
	buffer_load_dword v3, v0, s[0:3], 0 offen offset:4
	buffer_load_dword v4, v0, s[0:3], 0 offen offset:8
	;; [unrolled: 1-line block ×6, first 2 shown]
	buffer_load_dword v9, v1, s[0:3], 0 offen
	s_waitcnt vmcnt(7)
	buffer_store_dword v2, v1, s[0:3], 0 offen
	s_waitcnt vmcnt(6)
	buffer_store_dword v3, v1, s[0:3], 0 offen offset:4
	s_waitcnt vmcnt(5)
	buffer_store_dword v4, v1, s[0:3], 0 offen offset:8
	;; [unrolled: 2-line block ×6, first 2 shown]
	s_waitcnt vmcnt(0)
	buffer_store_dword v9, v0, s[0:3], 0 offen
.LBB34_240:
	v_mov_b32_e32 v0, 0
	global_load_dword v1, v0, s[20:21] offset:100
	s_waitcnt vmcnt(0)
	v_add_nc_u32_e32 v1, -1, v1
	v_cmp_eq_u32_e32 vcc_lo, 25, v1
	s_cbranch_vccnz .LBB34_242
; %bb.241:
	v_lshlrev_b32_e32 v1, 4, v1
	v_mov_b32_e32 v2, s19
	v_add_nc_u32_e32 v1, 16, v1
	s_clause 0x7
	buffer_load_dword v3, v1, s[0:3], 0 offen
	buffer_load_dword v4, v1, s[0:3], 0 offen offset:4
	buffer_load_dword v5, v1, s[0:3], 0 offen offset:8
	;; [unrolled: 1-line block ×6, first 2 shown]
	buffer_load_dword v10, v2, s[0:3], 0 offen
	s_waitcnt vmcnt(7)
	buffer_store_dword v3, v2, s[0:3], 0 offen
	s_waitcnt vmcnt(6)
	buffer_store_dword v4, v2, s[0:3], 0 offen offset:4
	s_waitcnt vmcnt(5)
	buffer_store_dword v5, v2, s[0:3], 0 offen offset:8
	;; [unrolled: 2-line block ×6, first 2 shown]
	s_waitcnt vmcnt(0)
	buffer_store_dword v10, v1, s[0:3], 0 offen
.LBB34_242:
	global_load_dword v0, v0, s[20:21] offset:96
	s_waitcnt vmcnt(0)
	v_add_nc_u32_e32 v0, -1, v0
	v_cmp_eq_u32_e32 vcc_lo, 24, v0
	s_cbranch_vccnz .LBB34_244
; %bb.243:
	v_lshlrev_b32_e32 v0, 4, v0
	v_mov_b32_e32 v1, s22
	v_add_nc_u32_e32 v0, 16, v0
	s_clause 0x7
	buffer_load_dword v2, v0, s[0:3], 0 offen
	buffer_load_dword v3, v0, s[0:3], 0 offen offset:4
	buffer_load_dword v4, v0, s[0:3], 0 offen offset:8
	;; [unrolled: 1-line block ×6, first 2 shown]
	buffer_load_dword v9, v1, s[0:3], 0 offen
	s_waitcnt vmcnt(7)
	buffer_store_dword v2, v1, s[0:3], 0 offen
	s_waitcnt vmcnt(6)
	buffer_store_dword v3, v1, s[0:3], 0 offen offset:4
	s_waitcnt vmcnt(5)
	buffer_store_dword v4, v1, s[0:3], 0 offen offset:8
	;; [unrolled: 2-line block ×6, first 2 shown]
	s_waitcnt vmcnt(0)
	buffer_store_dword v9, v0, s[0:3], 0 offen
.LBB34_244:
	v_mov_b32_e32 v0, 0
	global_load_dword v1, v0, s[20:21] offset:92
	s_waitcnt vmcnt(0)
	v_add_nc_u32_e32 v1, -1, v1
	v_cmp_eq_u32_e32 vcc_lo, 23, v1
	s_cbranch_vccnz .LBB34_246
; %bb.245:
	v_lshlrev_b32_e32 v1, 4, v1
	v_mov_b32_e32 v2, s23
	v_add_nc_u32_e32 v1, 16, v1
	s_clause 0x7
	buffer_load_dword v3, v1, s[0:3], 0 offen
	buffer_load_dword v4, v1, s[0:3], 0 offen offset:4
	buffer_load_dword v5, v1, s[0:3], 0 offen offset:8
	;; [unrolled: 1-line block ×6, first 2 shown]
	buffer_load_dword v10, v2, s[0:3], 0 offen
	s_waitcnt vmcnt(7)
	buffer_store_dword v3, v2, s[0:3], 0 offen
	s_waitcnt vmcnt(6)
	buffer_store_dword v4, v2, s[0:3], 0 offen offset:4
	s_waitcnt vmcnt(5)
	buffer_store_dword v5, v2, s[0:3], 0 offen offset:8
	;; [unrolled: 2-line block ×6, first 2 shown]
	s_waitcnt vmcnt(0)
	buffer_store_dword v10, v1, s[0:3], 0 offen
.LBB34_246:
	global_load_dword v0, v0, s[20:21] offset:88
	s_waitcnt vmcnt(0)
	v_add_nc_u32_e32 v0, -1, v0
	v_cmp_eq_u32_e32 vcc_lo, 22, v0
	s_cbranch_vccnz .LBB34_248
; %bb.247:
	v_lshlrev_b32_e32 v0, 4, v0
	v_mov_b32_e32 v1, s24
	v_add_nc_u32_e32 v0, 16, v0
	s_clause 0x7
	buffer_load_dword v2, v0, s[0:3], 0 offen
	buffer_load_dword v3, v0, s[0:3], 0 offen offset:4
	buffer_load_dword v4, v0, s[0:3], 0 offen offset:8
	;; [unrolled: 1-line block ×6, first 2 shown]
	buffer_load_dword v9, v1, s[0:3], 0 offen
	s_waitcnt vmcnt(7)
	buffer_store_dword v2, v1, s[0:3], 0 offen
	s_waitcnt vmcnt(6)
	buffer_store_dword v3, v1, s[0:3], 0 offen offset:4
	s_waitcnt vmcnt(5)
	buffer_store_dword v4, v1, s[0:3], 0 offen offset:8
	;; [unrolled: 2-line block ×6, first 2 shown]
	s_waitcnt vmcnt(0)
	buffer_store_dword v9, v0, s[0:3], 0 offen
.LBB34_248:
	v_mov_b32_e32 v0, 0
	global_load_dword v1, v0, s[20:21] offset:84
	s_waitcnt vmcnt(0)
	v_add_nc_u32_e32 v1, -1, v1
	v_cmp_eq_u32_e32 vcc_lo, 21, v1
	s_cbranch_vccnz .LBB34_250
; %bb.249:
	v_lshlrev_b32_e32 v1, 4, v1
	v_mov_b32_e32 v2, s25
	v_add_nc_u32_e32 v1, 16, v1
	s_clause 0x7
	buffer_load_dword v3, v1, s[0:3], 0 offen
	buffer_load_dword v4, v1, s[0:3], 0 offen offset:4
	buffer_load_dword v5, v1, s[0:3], 0 offen offset:8
	;; [unrolled: 1-line block ×6, first 2 shown]
	buffer_load_dword v10, v2, s[0:3], 0 offen
	s_waitcnt vmcnt(7)
	buffer_store_dword v3, v2, s[0:3], 0 offen
	s_waitcnt vmcnt(6)
	buffer_store_dword v4, v2, s[0:3], 0 offen offset:4
	s_waitcnt vmcnt(5)
	buffer_store_dword v5, v2, s[0:3], 0 offen offset:8
	;; [unrolled: 2-line block ×6, first 2 shown]
	s_waitcnt vmcnt(0)
	buffer_store_dword v10, v1, s[0:3], 0 offen
.LBB34_250:
	global_load_dword v0, v0, s[20:21] offset:80
	s_waitcnt vmcnt(0)
	v_add_nc_u32_e32 v0, -1, v0
	v_cmp_eq_u32_e32 vcc_lo, 20, v0
	s_cbranch_vccnz .LBB34_252
; %bb.251:
	v_lshlrev_b32_e32 v0, 4, v0
	v_mov_b32_e32 v1, s26
	v_add_nc_u32_e32 v0, 16, v0
	s_clause 0x7
	buffer_load_dword v2, v0, s[0:3], 0 offen
	buffer_load_dword v3, v0, s[0:3], 0 offen offset:4
	buffer_load_dword v4, v0, s[0:3], 0 offen offset:8
	;; [unrolled: 1-line block ×6, first 2 shown]
	buffer_load_dword v9, v1, s[0:3], 0 offen
	s_waitcnt vmcnt(7)
	buffer_store_dword v2, v1, s[0:3], 0 offen
	s_waitcnt vmcnt(6)
	buffer_store_dword v3, v1, s[0:3], 0 offen offset:4
	s_waitcnt vmcnt(5)
	buffer_store_dword v4, v1, s[0:3], 0 offen offset:8
	;; [unrolled: 2-line block ×6, first 2 shown]
	s_waitcnt vmcnt(0)
	buffer_store_dword v9, v0, s[0:3], 0 offen
.LBB34_252:
	v_mov_b32_e32 v0, 0
	global_load_dword v1, v0, s[20:21] offset:76
	s_waitcnt vmcnt(0)
	v_add_nc_u32_e32 v1, -1, v1
	v_cmp_eq_u32_e32 vcc_lo, 19, v1
	s_cbranch_vccnz .LBB34_254
; %bb.253:
	v_lshlrev_b32_e32 v1, 4, v1
	v_mov_b32_e32 v2, s27
	v_add_nc_u32_e32 v1, 16, v1
	s_clause 0x7
	buffer_load_dword v3, v1, s[0:3], 0 offen
	buffer_load_dword v4, v1, s[0:3], 0 offen offset:4
	buffer_load_dword v5, v1, s[0:3], 0 offen offset:8
	;; [unrolled: 1-line block ×6, first 2 shown]
	buffer_load_dword v10, v2, s[0:3], 0 offen
	s_waitcnt vmcnt(7)
	buffer_store_dword v3, v2, s[0:3], 0 offen
	s_waitcnt vmcnt(6)
	buffer_store_dword v4, v2, s[0:3], 0 offen offset:4
	s_waitcnt vmcnt(5)
	buffer_store_dword v5, v2, s[0:3], 0 offen offset:8
	;; [unrolled: 2-line block ×6, first 2 shown]
	s_waitcnt vmcnt(0)
	buffer_store_dword v10, v1, s[0:3], 0 offen
.LBB34_254:
	global_load_dword v0, v0, s[20:21] offset:72
	s_waitcnt vmcnt(0)
	v_add_nc_u32_e32 v0, -1, v0
	v_cmp_eq_u32_e32 vcc_lo, 18, v0
	s_cbranch_vccnz .LBB34_256
; %bb.255:
	v_lshlrev_b32_e32 v0, 4, v0
	v_mov_b32_e32 v1, s28
	v_add_nc_u32_e32 v0, 16, v0
	s_clause 0x7
	buffer_load_dword v2, v0, s[0:3], 0 offen
	buffer_load_dword v3, v0, s[0:3], 0 offen offset:4
	buffer_load_dword v4, v0, s[0:3], 0 offen offset:8
	;; [unrolled: 1-line block ×6, first 2 shown]
	buffer_load_dword v9, v1, s[0:3], 0 offen
	s_waitcnt vmcnt(7)
	buffer_store_dword v2, v1, s[0:3], 0 offen
	s_waitcnt vmcnt(6)
	buffer_store_dword v3, v1, s[0:3], 0 offen offset:4
	s_waitcnt vmcnt(5)
	buffer_store_dword v4, v1, s[0:3], 0 offen offset:8
	;; [unrolled: 2-line block ×6, first 2 shown]
	s_waitcnt vmcnt(0)
	buffer_store_dword v9, v0, s[0:3], 0 offen
.LBB34_256:
	v_mov_b32_e32 v0, 0
	global_load_dword v1, v0, s[20:21] offset:68
	s_waitcnt vmcnt(0)
	v_add_nc_u32_e32 v1, -1, v1
	v_cmp_eq_u32_e32 vcc_lo, 17, v1
	s_cbranch_vccnz .LBB34_258
; %bb.257:
	v_lshlrev_b32_e32 v1, 4, v1
	v_mov_b32_e32 v2, s29
	v_add_nc_u32_e32 v1, 16, v1
	s_clause 0x7
	buffer_load_dword v3, v1, s[0:3], 0 offen
	buffer_load_dword v4, v1, s[0:3], 0 offen offset:4
	buffer_load_dword v5, v1, s[0:3], 0 offen offset:8
	;; [unrolled: 1-line block ×6, first 2 shown]
	buffer_load_dword v10, v2, s[0:3], 0 offen
	s_waitcnt vmcnt(7)
	buffer_store_dword v3, v2, s[0:3], 0 offen
	s_waitcnt vmcnt(6)
	buffer_store_dword v4, v2, s[0:3], 0 offen offset:4
	s_waitcnt vmcnt(5)
	buffer_store_dword v5, v2, s[0:3], 0 offen offset:8
	;; [unrolled: 2-line block ×6, first 2 shown]
	s_waitcnt vmcnt(0)
	buffer_store_dword v10, v1, s[0:3], 0 offen
.LBB34_258:
	global_load_dword v0, v0, s[20:21] offset:64
	s_waitcnt vmcnt(0)
	v_add_nc_u32_e32 v0, -1, v0
	v_cmp_eq_u32_e32 vcc_lo, 16, v0
	s_cbranch_vccnz .LBB34_260
; %bb.259:
	v_lshlrev_b32_e32 v0, 4, v0
	v_mov_b32_e32 v1, s30
	v_add_nc_u32_e32 v0, 16, v0
	s_clause 0x7
	buffer_load_dword v2, v0, s[0:3], 0 offen
	buffer_load_dword v3, v0, s[0:3], 0 offen offset:4
	buffer_load_dword v4, v0, s[0:3], 0 offen offset:8
	;; [unrolled: 1-line block ×6, first 2 shown]
	buffer_load_dword v9, v1, s[0:3], 0 offen
	s_waitcnt vmcnt(7)
	buffer_store_dword v2, v1, s[0:3], 0 offen
	s_waitcnt vmcnt(6)
	buffer_store_dword v3, v1, s[0:3], 0 offen offset:4
	s_waitcnt vmcnt(5)
	buffer_store_dword v4, v1, s[0:3], 0 offen offset:8
	s_waitcnt vmcnt(4)
	buffer_store_dword v5, v1, s[0:3], 0 offen offset:12
	s_waitcnt vmcnt(3)
	buffer_store_dword v6, v0, s[0:3], 0 offen offset:12
	s_waitcnt vmcnt(2)
	buffer_store_dword v7, v0, s[0:3], 0 offen offset:8
	s_waitcnt vmcnt(1)
	buffer_store_dword v8, v0, s[0:3], 0 offen offset:4
	s_waitcnt vmcnt(0)
	buffer_store_dword v9, v0, s[0:3], 0 offen
.LBB34_260:
	v_mov_b32_e32 v0, 0
	global_load_dword v1, v0, s[20:21] offset:60
	s_waitcnt vmcnt(0)
	v_add_nc_u32_e32 v1, -1, v1
	v_cmp_eq_u32_e32 vcc_lo, 15, v1
	s_cbranch_vccnz .LBB34_262
; %bb.261:
	v_lshlrev_b32_e32 v1, 4, v1
	v_mov_b32_e32 v2, s31
	v_add_nc_u32_e32 v1, 16, v1
	s_clause 0x7
	buffer_load_dword v3, v1, s[0:3], 0 offen
	buffer_load_dword v4, v1, s[0:3], 0 offen offset:4
	buffer_load_dword v5, v1, s[0:3], 0 offen offset:8
	;; [unrolled: 1-line block ×6, first 2 shown]
	buffer_load_dword v10, v2, s[0:3], 0 offen
	s_waitcnt vmcnt(7)
	buffer_store_dword v3, v2, s[0:3], 0 offen
	s_waitcnt vmcnt(6)
	buffer_store_dword v4, v2, s[0:3], 0 offen offset:4
	s_waitcnt vmcnt(5)
	buffer_store_dword v5, v2, s[0:3], 0 offen offset:8
	s_waitcnt vmcnt(4)
	buffer_store_dword v6, v2, s[0:3], 0 offen offset:12
	s_waitcnt vmcnt(3)
	buffer_store_dword v7, v1, s[0:3], 0 offen offset:12
	s_waitcnt vmcnt(2)
	buffer_store_dword v8, v1, s[0:3], 0 offen offset:8
	s_waitcnt vmcnt(1)
	buffer_store_dword v9, v1, s[0:3], 0 offen offset:4
	s_waitcnt vmcnt(0)
	buffer_store_dword v10, v1, s[0:3], 0 offen
.LBB34_262:
	global_load_dword v0, v0, s[20:21] offset:56
	s_waitcnt vmcnt(0)
	v_add_nc_u32_e32 v0, -1, v0
	v_cmp_eq_u32_e32 vcc_lo, 14, v0
	s_cbranch_vccnz .LBB34_264
; %bb.263:
	v_lshlrev_b32_e32 v0, 4, v0
	v_mov_b32_e32 v1, s33
	v_add_nc_u32_e32 v0, 16, v0
	s_clause 0x7
	buffer_load_dword v2, v0, s[0:3], 0 offen
	buffer_load_dword v3, v0, s[0:3], 0 offen offset:4
	buffer_load_dword v4, v0, s[0:3], 0 offen offset:8
	;; [unrolled: 1-line block ×6, first 2 shown]
	buffer_load_dword v9, v1, s[0:3], 0 offen
	s_waitcnt vmcnt(7)
	buffer_store_dword v2, v1, s[0:3], 0 offen
	s_waitcnt vmcnt(6)
	buffer_store_dword v3, v1, s[0:3], 0 offen offset:4
	s_waitcnt vmcnt(5)
	buffer_store_dword v4, v1, s[0:3], 0 offen offset:8
	;; [unrolled: 2-line block ×6, first 2 shown]
	s_waitcnt vmcnt(0)
	buffer_store_dword v9, v0, s[0:3], 0 offen
.LBB34_264:
	v_mov_b32_e32 v0, 0
	global_load_dword v1, v0, s[20:21] offset:52
	s_waitcnt vmcnt(0)
	v_add_nc_u32_e32 v1, -1, v1
	v_cmp_eq_u32_e32 vcc_lo, 13, v1
	s_cbranch_vccnz .LBB34_266
; %bb.265:
	v_lshlrev_b32_e32 v1, 4, v1
	v_mov_b32_e32 v2, s34
	v_add_nc_u32_e32 v1, 16, v1
	s_clause 0x7
	buffer_load_dword v3, v1, s[0:3], 0 offen
	buffer_load_dword v4, v1, s[0:3], 0 offen offset:4
	buffer_load_dword v5, v1, s[0:3], 0 offen offset:8
	;; [unrolled: 1-line block ×6, first 2 shown]
	buffer_load_dword v10, v2, s[0:3], 0 offen
	s_waitcnt vmcnt(7)
	buffer_store_dword v3, v2, s[0:3], 0 offen
	s_waitcnt vmcnt(6)
	buffer_store_dword v4, v2, s[0:3], 0 offen offset:4
	s_waitcnt vmcnt(5)
	buffer_store_dword v5, v2, s[0:3], 0 offen offset:8
	;; [unrolled: 2-line block ×6, first 2 shown]
	s_waitcnt vmcnt(0)
	buffer_store_dword v10, v1, s[0:3], 0 offen
.LBB34_266:
	global_load_dword v0, v0, s[20:21] offset:48
	s_waitcnt vmcnt(0)
	v_add_nc_u32_e32 v0, -1, v0
	v_cmp_eq_u32_e32 vcc_lo, 12, v0
	s_cbranch_vccnz .LBB34_268
; %bb.267:
	v_lshlrev_b32_e32 v0, 4, v0
	v_mov_b32_e32 v1, s35
	v_add_nc_u32_e32 v0, 16, v0
	s_clause 0x7
	buffer_load_dword v2, v0, s[0:3], 0 offen
	buffer_load_dword v3, v0, s[0:3], 0 offen offset:4
	buffer_load_dword v4, v0, s[0:3], 0 offen offset:8
	;; [unrolled: 1-line block ×6, first 2 shown]
	buffer_load_dword v9, v1, s[0:3], 0 offen
	s_waitcnt vmcnt(7)
	buffer_store_dword v2, v1, s[0:3], 0 offen
	s_waitcnt vmcnt(6)
	buffer_store_dword v3, v1, s[0:3], 0 offen offset:4
	s_waitcnt vmcnt(5)
	buffer_store_dword v4, v1, s[0:3], 0 offen offset:8
	s_waitcnt vmcnt(4)
	buffer_store_dword v5, v1, s[0:3], 0 offen offset:12
	s_waitcnt vmcnt(3)
	buffer_store_dword v6, v0, s[0:3], 0 offen offset:12
	s_waitcnt vmcnt(2)
	buffer_store_dword v7, v0, s[0:3], 0 offen offset:8
	s_waitcnt vmcnt(1)
	buffer_store_dword v8, v0, s[0:3], 0 offen offset:4
	s_waitcnt vmcnt(0)
	buffer_store_dword v9, v0, s[0:3], 0 offen
.LBB34_268:
	v_mov_b32_e32 v0, 0
	global_load_dword v1, v0, s[20:21] offset:44
	s_waitcnt vmcnt(0)
	v_add_nc_u32_e32 v1, -1, v1
	v_cmp_eq_u32_e32 vcc_lo, 11, v1
	s_cbranch_vccnz .LBB34_270
; %bb.269:
	v_lshlrev_b32_e32 v1, 4, v1
	v_mov_b32_e32 v2, s36
	v_add_nc_u32_e32 v1, 16, v1
	s_clause 0x7
	buffer_load_dword v3, v1, s[0:3], 0 offen
	buffer_load_dword v4, v1, s[0:3], 0 offen offset:4
	buffer_load_dword v5, v1, s[0:3], 0 offen offset:8
	;; [unrolled: 1-line block ×6, first 2 shown]
	buffer_load_dword v10, v2, s[0:3], 0 offen
	s_waitcnt vmcnt(7)
	buffer_store_dword v3, v2, s[0:3], 0 offen
	s_waitcnt vmcnt(6)
	buffer_store_dword v4, v2, s[0:3], 0 offen offset:4
	s_waitcnt vmcnt(5)
	buffer_store_dword v5, v2, s[0:3], 0 offen offset:8
	;; [unrolled: 2-line block ×6, first 2 shown]
	s_waitcnt vmcnt(0)
	buffer_store_dword v10, v1, s[0:3], 0 offen
.LBB34_270:
	global_load_dword v0, v0, s[20:21] offset:40
	s_waitcnt vmcnt(0)
	v_add_nc_u32_e32 v0, -1, v0
	v_cmp_eq_u32_e32 vcc_lo, 10, v0
	s_cbranch_vccnz .LBB34_272
; %bb.271:
	v_lshlrev_b32_e32 v0, 4, v0
	v_mov_b32_e32 v1, s37
	v_add_nc_u32_e32 v0, 16, v0
	s_clause 0x7
	buffer_load_dword v2, v0, s[0:3], 0 offen
	buffer_load_dword v3, v0, s[0:3], 0 offen offset:4
	buffer_load_dword v4, v0, s[0:3], 0 offen offset:8
	;; [unrolled: 1-line block ×6, first 2 shown]
	buffer_load_dword v9, v1, s[0:3], 0 offen
	s_waitcnt vmcnt(7)
	buffer_store_dword v2, v1, s[0:3], 0 offen
	s_waitcnt vmcnt(6)
	buffer_store_dword v3, v1, s[0:3], 0 offen offset:4
	s_waitcnt vmcnt(5)
	buffer_store_dword v4, v1, s[0:3], 0 offen offset:8
	;; [unrolled: 2-line block ×6, first 2 shown]
	s_waitcnt vmcnt(0)
	buffer_store_dword v9, v0, s[0:3], 0 offen
.LBB34_272:
	v_mov_b32_e32 v0, 0
	global_load_dword v1, v0, s[20:21] offset:36
	s_waitcnt vmcnt(0)
	v_add_nc_u32_e32 v1, -1, v1
	v_cmp_eq_u32_e32 vcc_lo, 9, v1
	s_cbranch_vccnz .LBB34_274
; %bb.273:
	v_lshlrev_b32_e32 v1, 4, v1
	v_mov_b32_e32 v2, s38
	v_add_nc_u32_e32 v1, 16, v1
	s_clause 0x7
	buffer_load_dword v3, v1, s[0:3], 0 offen
	buffer_load_dword v4, v1, s[0:3], 0 offen offset:4
	buffer_load_dword v5, v1, s[0:3], 0 offen offset:8
	;; [unrolled: 1-line block ×6, first 2 shown]
	buffer_load_dword v10, v2, s[0:3], 0 offen
	s_waitcnt vmcnt(7)
	buffer_store_dword v3, v2, s[0:3], 0 offen
	s_waitcnt vmcnt(6)
	buffer_store_dword v4, v2, s[0:3], 0 offen offset:4
	s_waitcnt vmcnt(5)
	buffer_store_dword v5, v2, s[0:3], 0 offen offset:8
	;; [unrolled: 2-line block ×6, first 2 shown]
	s_waitcnt vmcnt(0)
	buffer_store_dword v10, v1, s[0:3], 0 offen
.LBB34_274:
	global_load_dword v0, v0, s[20:21] offset:32
	s_waitcnt vmcnt(0)
	v_add_nc_u32_e32 v0, -1, v0
	v_cmp_eq_u32_e32 vcc_lo, 8, v0
	s_cbranch_vccnz .LBB34_276
; %bb.275:
	v_lshlrev_b32_e32 v0, 4, v0
	v_mov_b32_e32 v1, s39
	v_add_nc_u32_e32 v0, 16, v0
	s_clause 0x7
	buffer_load_dword v2, v0, s[0:3], 0 offen
	buffer_load_dword v3, v0, s[0:3], 0 offen offset:4
	buffer_load_dword v4, v0, s[0:3], 0 offen offset:8
	;; [unrolled: 1-line block ×6, first 2 shown]
	buffer_load_dword v9, v1, s[0:3], 0 offen
	s_waitcnt vmcnt(7)
	buffer_store_dword v2, v1, s[0:3], 0 offen
	s_waitcnt vmcnt(6)
	buffer_store_dword v3, v1, s[0:3], 0 offen offset:4
	s_waitcnt vmcnt(5)
	buffer_store_dword v4, v1, s[0:3], 0 offen offset:8
	;; [unrolled: 2-line block ×6, first 2 shown]
	s_waitcnt vmcnt(0)
	buffer_store_dword v9, v0, s[0:3], 0 offen
.LBB34_276:
	v_mov_b32_e32 v0, 0
	global_load_dword v1, v0, s[20:21] offset:28
	s_waitcnt vmcnt(0)
	v_add_nc_u32_e32 v1, -1, v1
	v_cmp_eq_u32_e32 vcc_lo, 7, v1
	s_cbranch_vccnz .LBB34_278
; %bb.277:
	v_lshlrev_b32_e32 v1, 4, v1
	v_mov_b32_e32 v2, s40
	v_add_nc_u32_e32 v1, 16, v1
	s_clause 0x7
	buffer_load_dword v3, v1, s[0:3], 0 offen
	buffer_load_dword v4, v1, s[0:3], 0 offen offset:4
	buffer_load_dword v5, v1, s[0:3], 0 offen offset:8
	;; [unrolled: 1-line block ×6, first 2 shown]
	buffer_load_dword v10, v2, s[0:3], 0 offen
	s_waitcnt vmcnt(7)
	buffer_store_dword v3, v2, s[0:3], 0 offen
	s_waitcnt vmcnt(6)
	buffer_store_dword v4, v2, s[0:3], 0 offen offset:4
	s_waitcnt vmcnt(5)
	buffer_store_dword v5, v2, s[0:3], 0 offen offset:8
	;; [unrolled: 2-line block ×6, first 2 shown]
	s_waitcnt vmcnt(0)
	buffer_store_dword v10, v1, s[0:3], 0 offen
.LBB34_278:
	global_load_dword v0, v0, s[20:21] offset:24
	s_waitcnt vmcnt(0)
	v_add_nc_u32_e32 v0, -1, v0
	v_cmp_eq_u32_e32 vcc_lo, 6, v0
	s_cbranch_vccnz .LBB34_280
; %bb.279:
	v_lshlrev_b32_e32 v0, 4, v0
	v_mov_b32_e32 v1, s41
	v_add_nc_u32_e32 v0, 16, v0
	s_clause 0x7
	buffer_load_dword v2, v0, s[0:3], 0 offen
	buffer_load_dword v3, v0, s[0:3], 0 offen offset:4
	buffer_load_dword v4, v0, s[0:3], 0 offen offset:8
	;; [unrolled: 1-line block ×6, first 2 shown]
	buffer_load_dword v9, v1, s[0:3], 0 offen
	s_waitcnt vmcnt(7)
	buffer_store_dword v2, v1, s[0:3], 0 offen
	s_waitcnt vmcnt(6)
	buffer_store_dword v3, v1, s[0:3], 0 offen offset:4
	s_waitcnt vmcnt(5)
	buffer_store_dword v4, v1, s[0:3], 0 offen offset:8
	;; [unrolled: 2-line block ×6, first 2 shown]
	s_waitcnt vmcnt(0)
	buffer_store_dword v9, v0, s[0:3], 0 offen
.LBB34_280:
	v_mov_b32_e32 v0, 0
	global_load_dword v1, v0, s[20:21] offset:20
	s_waitcnt vmcnt(0)
	v_add_nc_u32_e32 v1, -1, v1
	v_cmp_eq_u32_e32 vcc_lo, 5, v1
	s_cbranch_vccnz .LBB34_282
; %bb.281:
	v_lshlrev_b32_e32 v1, 4, v1
	v_mov_b32_e32 v2, s42
	v_add_nc_u32_e32 v1, 16, v1
	s_clause 0x7
	buffer_load_dword v3, v1, s[0:3], 0 offen
	buffer_load_dword v4, v1, s[0:3], 0 offen offset:4
	buffer_load_dword v5, v1, s[0:3], 0 offen offset:8
	buffer_load_dword v6, v1, s[0:3], 0 offen offset:12
	buffer_load_dword v7, v2, s[0:3], 0 offen offset:12
	buffer_load_dword v8, v2, s[0:3], 0 offen offset:8
	buffer_load_dword v9, v2, s[0:3], 0 offen offset:4
	buffer_load_dword v10, v2, s[0:3], 0 offen
	s_waitcnt vmcnt(7)
	buffer_store_dword v3, v2, s[0:3], 0 offen
	s_waitcnt vmcnt(6)
	buffer_store_dword v4, v2, s[0:3], 0 offen offset:4
	s_waitcnt vmcnt(5)
	buffer_store_dword v5, v2, s[0:3], 0 offen offset:8
	;; [unrolled: 2-line block ×6, first 2 shown]
	s_waitcnt vmcnt(0)
	buffer_store_dword v10, v1, s[0:3], 0 offen
.LBB34_282:
	global_load_dword v0, v0, s[20:21] offset:16
	s_waitcnt vmcnt(0)
	v_add_nc_u32_e32 v0, -1, v0
	v_cmp_eq_u32_e32 vcc_lo, 4, v0
	s_cbranch_vccnz .LBB34_284
; %bb.283:
	v_lshlrev_b32_e32 v0, 4, v0
	v_mov_b32_e32 v1, s43
	v_add_nc_u32_e32 v0, 16, v0
	s_clause 0x7
	buffer_load_dword v2, v0, s[0:3], 0 offen
	buffer_load_dword v3, v0, s[0:3], 0 offen offset:4
	buffer_load_dword v4, v0, s[0:3], 0 offen offset:8
	;; [unrolled: 1-line block ×6, first 2 shown]
	buffer_load_dword v9, v1, s[0:3], 0 offen
	s_waitcnt vmcnt(7)
	buffer_store_dword v2, v1, s[0:3], 0 offen
	s_waitcnt vmcnt(6)
	buffer_store_dword v3, v1, s[0:3], 0 offen offset:4
	s_waitcnt vmcnt(5)
	buffer_store_dword v4, v1, s[0:3], 0 offen offset:8
	;; [unrolled: 2-line block ×6, first 2 shown]
	s_waitcnt vmcnt(0)
	buffer_store_dword v9, v0, s[0:3], 0 offen
.LBB34_284:
	v_mov_b32_e32 v0, 0
	global_load_dword v1, v0, s[20:21] offset:12
	s_waitcnt vmcnt(0)
	v_add_nc_u32_e32 v1, -1, v1
	v_cmp_eq_u32_e32 vcc_lo, 3, v1
	s_cbranch_vccnz .LBB34_286
; %bb.285:
	v_lshlrev_b32_e32 v1, 4, v1
	v_mov_b32_e32 v2, s44
	v_add_nc_u32_e32 v1, 16, v1
	s_clause 0x7
	buffer_load_dword v3, v1, s[0:3], 0 offen
	buffer_load_dword v4, v1, s[0:3], 0 offen offset:4
	buffer_load_dword v5, v1, s[0:3], 0 offen offset:8
	;; [unrolled: 1-line block ×6, first 2 shown]
	buffer_load_dword v10, v2, s[0:3], 0 offen
	s_waitcnt vmcnt(7)
	buffer_store_dword v3, v2, s[0:3], 0 offen
	s_waitcnt vmcnt(6)
	buffer_store_dword v4, v2, s[0:3], 0 offen offset:4
	s_waitcnt vmcnt(5)
	buffer_store_dword v5, v2, s[0:3], 0 offen offset:8
	;; [unrolled: 2-line block ×6, first 2 shown]
	s_waitcnt vmcnt(0)
	buffer_store_dword v10, v1, s[0:3], 0 offen
.LBB34_286:
	global_load_dword v0, v0, s[20:21] offset:8
	s_waitcnt vmcnt(0)
	v_add_nc_u32_e32 v0, -1, v0
	v_cmp_eq_u32_e32 vcc_lo, 2, v0
	s_cbranch_vccnz .LBB34_288
; %bb.287:
	v_lshlrev_b32_e32 v0, 4, v0
	v_mov_b32_e32 v1, s45
	v_add_nc_u32_e32 v0, 16, v0
	s_clause 0x7
	buffer_load_dword v2, v0, s[0:3], 0 offen
	buffer_load_dword v3, v0, s[0:3], 0 offen offset:4
	buffer_load_dword v4, v0, s[0:3], 0 offen offset:8
	;; [unrolled: 1-line block ×6, first 2 shown]
	buffer_load_dword v9, v1, s[0:3], 0 offen
	s_waitcnt vmcnt(7)
	buffer_store_dword v2, v1, s[0:3], 0 offen
	s_waitcnt vmcnt(6)
	buffer_store_dword v3, v1, s[0:3], 0 offen offset:4
	s_waitcnt vmcnt(5)
	buffer_store_dword v4, v1, s[0:3], 0 offen offset:8
	;; [unrolled: 2-line block ×6, first 2 shown]
	s_waitcnt vmcnt(0)
	buffer_store_dword v9, v0, s[0:3], 0 offen
.LBB34_288:
	v_mov_b32_e32 v0, 0
	global_load_dword v1, v0, s[20:21] offset:4
	s_waitcnt vmcnt(0)
	v_add_nc_u32_e32 v1, -1, v1
	v_cmp_eq_u32_e32 vcc_lo, 1, v1
	s_cbranch_vccnz .LBB34_290
; %bb.289:
	v_lshlrev_b32_e32 v1, 4, v1
	v_mov_b32_e32 v2, s46
	v_add_nc_u32_e32 v1, 16, v1
	s_clause 0x7
	buffer_load_dword v3, v1, s[0:3], 0 offen
	buffer_load_dword v4, v1, s[0:3], 0 offen offset:4
	buffer_load_dword v5, v1, s[0:3], 0 offen offset:8
	;; [unrolled: 1-line block ×6, first 2 shown]
	buffer_load_dword v10, v2, s[0:3], 0 offen
	s_waitcnt vmcnt(7)
	buffer_store_dword v3, v2, s[0:3], 0 offen
	s_waitcnt vmcnt(6)
	buffer_store_dword v4, v2, s[0:3], 0 offen offset:4
	s_waitcnt vmcnt(5)
	buffer_store_dword v5, v2, s[0:3], 0 offen offset:8
	;; [unrolled: 2-line block ×6, first 2 shown]
	s_waitcnt vmcnt(0)
	buffer_store_dword v10, v1, s[0:3], 0 offen
.LBB34_290:
	global_load_dword v0, v0, s[20:21]
	s_waitcnt vmcnt(0)
	v_add_nc_u32_e32 v0, -1, v0
	v_cmp_eq_u32_e32 vcc_lo, 0, v0
	s_cbranch_vccnz .LBB34_292
; %bb.291:
	v_lshlrev_b32_e32 v0, 4, v0
	v_add_nc_u32_e32 v0, 16, v0
	s_clause 0x7
	buffer_load_dword v1, v0, s[0:3], 0 offen
	buffer_load_dword v2, v0, s[0:3], 0 offen offset:4
	buffer_load_dword v3, v0, s[0:3], 0 offen offset:8
	;; [unrolled: 1-line block ×3, first 2 shown]
	buffer_load_dword v5, off, s[0:3], 0 offset:28
	buffer_load_dword v6, off, s[0:3], 0 offset:24
	buffer_load_dword v7, off, s[0:3], 0 offset:20
	buffer_load_dword v8, off, s[0:3], 0 offset:16
	s_waitcnt vmcnt(7)
	buffer_store_dword v1, off, s[0:3], 0 offset:16
	s_waitcnt vmcnt(6)
	buffer_store_dword v2, off, s[0:3], 0 offset:20
	;; [unrolled: 2-line block ×4, first 2 shown]
	s_waitcnt vmcnt(3)
	buffer_store_dword v5, v0, s[0:3], 0 offen offset:12
	s_waitcnt vmcnt(2)
	buffer_store_dword v6, v0, s[0:3], 0 offen offset:8
	;; [unrolled: 2-line block ×3, first 2 shown]
	s_waitcnt vmcnt(0)
	buffer_store_dword v8, v0, s[0:3], 0 offen
.LBB34_292:
	v_mov_b32_e32 v7, s46
	v_mov_b32_e32 v11, s45
	;; [unrolled: 1-line block ×3, first 2 shown]
	s_clause 0x3
	buffer_load_dword v0, off, s[0:3], 0 offset:16
	buffer_load_dword v1, off, s[0:3], 0 offset:20
	;; [unrolled: 1-line block ×4, first 2 shown]
	v_mov_b32_e32 v19, s43
	s_clause 0xb
	buffer_load_dword v4, v7, s[0:3], 0 offen
	buffer_load_dword v5, v7, s[0:3], 0 offen offset:4
	buffer_load_dword v6, v7, s[0:3], 0 offen offset:8
	buffer_load_dword v7, v7, s[0:3], 0 offen offset:12
	buffer_load_dword v8, v11, s[0:3], 0 offen
	buffer_load_dword v9, v11, s[0:3], 0 offen offset:4
	buffer_load_dword v10, v11, s[0:3], 0 offen offset:8
	buffer_load_dword v11, v11, s[0:3], 0 offen offset:12
	;; [unrolled: 4-line block ×3, first 2 shown]
	v_mov_b32_e32 v175, s18
	v_mov_b32_e32 v179, s16
	;; [unrolled: 1-line block ×26, first 2 shown]
	s_clause 0x3e
	buffer_load_dword v16, v19, s[0:3], 0 offen
	buffer_load_dword v17, v19, s[0:3], 0 offen offset:4
	buffer_load_dword v18, v19, s[0:3], 0 offen offset:8
	buffer_load_dword v19, v19, s[0:3], 0 offen offset:12
	buffer_load_dword v20, v23, s[0:3], 0 offen
	buffer_load_dword v21, v23, s[0:3], 0 offen offset:4
	buffer_load_dword v22, v23, s[0:3], 0 offen offset:8
	buffer_load_dword v23, v23, s[0:3], 0 offen offset:12
	;; [unrolled: 4-line block ×15, first 2 shown]
	buffer_load_dword v147, v150, s[0:3], 0 offen
	buffer_load_dword v148, v150, s[0:3], 0 offen offset:4
	buffer_load_dword v149, v150, s[0:3], 0 offen offset:8
	s_clause 0x18
	buffer_load_dword v150, v150, s[0:3], 0 offen offset:12
	buffer_load_dword v151, v154, s[0:3], 0 offen
	buffer_load_dword v152, v154, s[0:3], 0 offen offset:4
	buffer_load_dword v153, v154, s[0:3], 0 offen offset:8
	buffer_load_dword v154, v154, s[0:3], 0 offen offset:12
	buffer_load_dword v155, v158, s[0:3], 0 offen
	buffer_load_dword v156, v158, s[0:3], 0 offen offset:4
	buffer_load_dword v157, v158, s[0:3], 0 offen offset:8
	;; [unrolled: 4-line block ×6, first 2 shown]
	buffer_load_dword v174, v174, s[0:3], 0 offen offset:12
	v_mov_b32_e32 v180, s15
	v_mov_b32_e32 v182, s13
	;; [unrolled: 1-line block ×4, first 2 shown]
	s_waitcnt vmcnt(62)
	global_store_dwordx4 v[41:42], v[0:3], off
	s_clause 0x7
	buffer_load_dword v0, v175, s[0:3], 0 offen
	buffer_load_dword v1, v175, s[0:3], 0 offen offset:4
	buffer_load_dword v2, v175, s[0:3], 0 offen offset:8
	buffer_load_dword v3, v175, s[0:3], 0 offen offset:12
	buffer_load_dword v175, v178, s[0:3], 0 offen
	buffer_load_dword v176, v178, s[0:3], 0 offen offset:4
	buffer_load_dword v177, v178, s[0:3], 0 offen offset:8
	buffer_load_dword v178, v178, s[0:3], 0 offen offset:12
	global_store_dwordx4 v[43:44], v[4:7], off
	s_clause 0x7
	buffer_load_dword v4, v179, s[0:3], 0 offen
	buffer_load_dword v5, v179, s[0:3], 0 offen offset:4
	buffer_load_dword v6, v179, s[0:3], 0 offen offset:8
	buffer_load_dword v7, v179, s[0:3], 0 offen offset:12
	buffer_load_dword v40, v180, s[0:3], 0 offen
	buffer_load_dword v41, v180, s[0:3], 0 offen offset:4
	buffer_load_dword v42, v180, s[0:3], 0 offen offset:8
	buffer_load_dword v43, v180, s[0:3], 0 offen offset:12
	;; [unrolled: 10-line block ×4, first 2 shown]
	buffer_load_dword v187, v190, s[0:3], 0 offen
	buffer_load_dword v188, v190, s[0:3], 0 offen offset:4
	buffer_load_dword v189, v190, s[0:3], 0 offen offset:8
	;; [unrolled: 1-line block ×3, first 2 shown]
	global_store_dwordx4 v[47:48], v[16:19], off
	global_store_dwordx4 v[51:52], v[20:23], off
	;; [unrolled: 1-line block ×6, first 2 shown]
	s_waitcnt vmcnt(62)
	global_store_dwordx4 v[61:62], v[111:114], off
	global_store_dwordx4 v[63:64], v[115:118], off
	;; [unrolled: 1-line block ×9, first 2 shown]
	s_waitcnt vmcnt(60)
	global_store_dwordx4 v[79:80], v[147:150], off
	s_waitcnt vmcnt(56)
	global_store_dwordx4 v[81:82], v[151:154], off
	;; [unrolled: 2-line block ×16, first 2 shown]
	s_endpgm
	.section	.rodata,"a",@progbits
	.p2align	6, 0x0
	.amdhsa_kernel _ZN9rocsolver6v33100L18getri_kernel_smallILi35E19rocblas_complex_numIdEPS3_EEvT1_iilPiilS6_bb
		.amdhsa_group_segment_fixed_size 1128
		.amdhsa_private_segment_fixed_size 592
		.amdhsa_kernarg_size 60
		.amdhsa_user_sgpr_count 6
		.amdhsa_user_sgpr_private_segment_buffer 1
		.amdhsa_user_sgpr_dispatch_ptr 0
		.amdhsa_user_sgpr_queue_ptr 0
		.amdhsa_user_sgpr_kernarg_segment_ptr 1
		.amdhsa_user_sgpr_dispatch_id 0
		.amdhsa_user_sgpr_flat_scratch_init 0
		.amdhsa_user_sgpr_private_segment_size 0
		.amdhsa_wavefront_size32 1
		.amdhsa_uses_dynamic_stack 0
		.amdhsa_system_sgpr_private_segment_wavefront_offset 1
		.amdhsa_system_sgpr_workgroup_id_x 1
		.amdhsa_system_sgpr_workgroup_id_y 0
		.amdhsa_system_sgpr_workgroup_id_z 0
		.amdhsa_system_sgpr_workgroup_info 0
		.amdhsa_system_vgpr_workitem_id 0
		.amdhsa_next_free_vgpr 191
		.amdhsa_next_free_sgpr 63
		.amdhsa_reserve_vcc 1
		.amdhsa_reserve_flat_scratch 0
		.amdhsa_float_round_mode_32 0
		.amdhsa_float_round_mode_16_64 0
		.amdhsa_float_denorm_mode_32 3
		.amdhsa_float_denorm_mode_16_64 3
		.amdhsa_dx10_clamp 1
		.amdhsa_ieee_mode 1
		.amdhsa_fp16_overflow 0
		.amdhsa_workgroup_processor_mode 1
		.amdhsa_memory_ordered 1
		.amdhsa_forward_progress 1
		.amdhsa_shared_vgpr_count 0
		.amdhsa_exception_fp_ieee_invalid_op 0
		.amdhsa_exception_fp_denorm_src 0
		.amdhsa_exception_fp_ieee_div_zero 0
		.amdhsa_exception_fp_ieee_overflow 0
		.amdhsa_exception_fp_ieee_underflow 0
		.amdhsa_exception_fp_ieee_inexact 0
		.amdhsa_exception_int_div_zero 0
	.end_amdhsa_kernel
	.section	.text._ZN9rocsolver6v33100L18getri_kernel_smallILi35E19rocblas_complex_numIdEPS3_EEvT1_iilPiilS6_bb,"axG",@progbits,_ZN9rocsolver6v33100L18getri_kernel_smallILi35E19rocblas_complex_numIdEPS3_EEvT1_iilPiilS6_bb,comdat
.Lfunc_end34:
	.size	_ZN9rocsolver6v33100L18getri_kernel_smallILi35E19rocblas_complex_numIdEPS3_EEvT1_iilPiilS6_bb, .Lfunc_end34-_ZN9rocsolver6v33100L18getri_kernel_smallILi35E19rocblas_complex_numIdEPS3_EEvT1_iilPiilS6_bb
                                        ; -- End function
	.set _ZN9rocsolver6v33100L18getri_kernel_smallILi35E19rocblas_complex_numIdEPS3_EEvT1_iilPiilS6_bb.num_vgpr, 191
	.set _ZN9rocsolver6v33100L18getri_kernel_smallILi35E19rocblas_complex_numIdEPS3_EEvT1_iilPiilS6_bb.num_agpr, 0
	.set _ZN9rocsolver6v33100L18getri_kernel_smallILi35E19rocblas_complex_numIdEPS3_EEvT1_iilPiilS6_bb.numbered_sgpr, 63
	.set _ZN9rocsolver6v33100L18getri_kernel_smallILi35E19rocblas_complex_numIdEPS3_EEvT1_iilPiilS6_bb.num_named_barrier, 0
	.set _ZN9rocsolver6v33100L18getri_kernel_smallILi35E19rocblas_complex_numIdEPS3_EEvT1_iilPiilS6_bb.private_seg_size, 592
	.set _ZN9rocsolver6v33100L18getri_kernel_smallILi35E19rocblas_complex_numIdEPS3_EEvT1_iilPiilS6_bb.uses_vcc, 1
	.set _ZN9rocsolver6v33100L18getri_kernel_smallILi35E19rocblas_complex_numIdEPS3_EEvT1_iilPiilS6_bb.uses_flat_scratch, 0
	.set _ZN9rocsolver6v33100L18getri_kernel_smallILi35E19rocblas_complex_numIdEPS3_EEvT1_iilPiilS6_bb.has_dyn_sized_stack, 0
	.set _ZN9rocsolver6v33100L18getri_kernel_smallILi35E19rocblas_complex_numIdEPS3_EEvT1_iilPiilS6_bb.has_recursion, 0
	.set _ZN9rocsolver6v33100L18getri_kernel_smallILi35E19rocblas_complex_numIdEPS3_EEvT1_iilPiilS6_bb.has_indirect_call, 0
	.section	.AMDGPU.csdata,"",@progbits
; Kernel info:
; codeLenInByte = 90988
; TotalNumSgprs: 65
; NumVgprs: 191
; ScratchSize: 592
; MemoryBound: 0
; FloatMode: 240
; IeeeMode: 1
; LDSByteSize: 1128 bytes/workgroup (compile time only)
; SGPRBlocks: 0
; VGPRBlocks: 23
; NumSGPRsForWavesPerEU: 65
; NumVGPRsForWavesPerEU: 191
; Occupancy: 5
; WaveLimiterHint : 1
; COMPUTE_PGM_RSRC2:SCRATCH_EN: 1
; COMPUTE_PGM_RSRC2:USER_SGPR: 6
; COMPUTE_PGM_RSRC2:TRAP_HANDLER: 0
; COMPUTE_PGM_RSRC2:TGID_X_EN: 1
; COMPUTE_PGM_RSRC2:TGID_Y_EN: 0
; COMPUTE_PGM_RSRC2:TGID_Z_EN: 0
; COMPUTE_PGM_RSRC2:TIDIG_COMP_CNT: 0
	.section	.text._ZN9rocsolver6v33100L18getri_kernel_smallILi36E19rocblas_complex_numIdEPS3_EEvT1_iilPiilS6_bb,"axG",@progbits,_ZN9rocsolver6v33100L18getri_kernel_smallILi36E19rocblas_complex_numIdEPS3_EEvT1_iilPiilS6_bb,comdat
	.globl	_ZN9rocsolver6v33100L18getri_kernel_smallILi36E19rocblas_complex_numIdEPS3_EEvT1_iilPiilS6_bb ; -- Begin function _ZN9rocsolver6v33100L18getri_kernel_smallILi36E19rocblas_complex_numIdEPS3_EEvT1_iilPiilS6_bb
	.p2align	8
	.type	_ZN9rocsolver6v33100L18getri_kernel_smallILi36E19rocblas_complex_numIdEPS3_EEvT1_iilPiilS6_bb,@function
_ZN9rocsolver6v33100L18getri_kernel_smallILi36E19rocblas_complex_numIdEPS3_EEvT1_iilPiilS6_bb: ; @_ZN9rocsolver6v33100L18getri_kernel_smallILi36E19rocblas_complex_numIdEPS3_EEvT1_iilPiilS6_bb
; %bb.0:
	s_add_u32 s0, s0, s7
	s_addc_u32 s1, s1, 0
	s_mov_b32 s7, exec_lo
	v_cmpx_gt_u32_e32 36, v0
	s_cbranch_execz .LBB35_158
; %bb.1:
	s_clause 0x2
	s_load_dword s7, s[4:5], 0x38
	s_load_dwordx4 s[16:19], s[4:5], 0x10
	s_load_dwordx4 s[8:11], s[4:5], 0x28
                                        ; implicit-def: $sgpr20_sgpr21
	s_waitcnt lgkmcnt(0)
	s_bitcmp1_b32 s7, 8
	s_cselect_b32 s48, -1, 0
	s_bfe_u32 s12, s7, 0x10008
	s_ashr_i32 s7, s6, 31
	s_cmp_eq_u32 s12, 0
	s_cbranch_scc1 .LBB35_3
; %bb.2:
	s_load_dword s12, s[4:5], 0x20
	s_mul_i32 s13, s8, s7
	s_mul_hi_u32 s14, s8, s6
	s_mul_i32 s9, s9, s6
	s_add_i32 s13, s14, s13
	s_mul_i32 s8, s8, s6
	s_add_i32 s9, s13, s9
	s_lshl_b64 s[8:9], s[8:9], 2
	s_waitcnt lgkmcnt(0)
	s_ashr_i32 s13, s12, 31
	s_add_u32 s14, s18, s8
	s_addc_u32 s15, s19, s9
	s_lshl_b64 s[8:9], s[12:13], 2
	s_add_u32 s20, s14, s8
	s_addc_u32 s21, s15, s9
.LBB35_3:
	s_clause 0x1
	s_load_dwordx4 s[12:15], s[4:5], 0x0
	s_load_dword s49, s[4:5], 0x38
	s_mul_i32 s4, s16, s7
	s_mul_hi_u32 s5, s16, s6
	s_mul_i32 s8, s17, s6
	s_add_i32 s5, s5, s4
	s_mul_i32 s4, s16, s6
	s_add_i32 s5, s5, s8
	v_lshlrev_b32_e32 v121, 4, v0
	s_lshl_b64 s[4:5], s[4:5], 4
	s_movk_i32 s16, 0xc0
	s_movk_i32 s17, 0xd0
	;; [unrolled: 1-line block ×10, first 2 shown]
	s_waitcnt lgkmcnt(0)
	v_add3_u32 v1, s15, s15, v0
	s_ashr_i32 s9, s14, 31
	s_mov_b32 s8, s14
	s_add_u32 s12, s12, s4
	s_addc_u32 s13, s13, s5
	v_add_nc_u32_e32 v5, s15, v1
	s_lshl_b64 s[4:5], s[8:9], 4
	v_ashrrev_i32_e32 v2, 31, v1
	s_add_u32 s4, s12, s4
	s_addc_u32 s5, s13, s5
	v_add_nc_u32_e32 v9, s15, v5
	v_add_co_u32 v49, s12, s4, v121
	s_mov_b32 s8, s15
	s_ashr_i32 s9, s15, 31
	v_lshlrev_b64 v[7:8], 4, v[1:2]
	v_add_co_ci_u32_e64 v50, null, s5, 0, s12
	v_ashrrev_i32_e32 v6, 31, v5
	s_lshl_b64 s[8:9], s[8:9], 4
	v_ashrrev_i32_e32 v10, 31, v9
	v_add_co_u32 v51, vcc_lo, v49, s8
	v_add_co_ci_u32_e64 v52, null, s9, v50, vcc_lo
	v_add_co_u32 v55, vcc_lo, s4, v7
	v_lshlrev_b64 v[5:6], 4, v[5:6]
	v_add_co_ci_u32_e64 v56, null, s5, v8, vcc_lo
	v_add_nc_u32_e32 v7, s15, v9
	v_lshlrev_b64 v[8:9], 4, v[9:10]
	s_clause 0x1
	global_load_dwordx4 v[1:4], v121, s[4:5]
	global_load_dwordx4 v[113:116], v[51:52], off
	v_add_co_u32 v57, vcc_lo, s4, v5
	v_add_nc_u32_e32 v10, s15, v7
	v_add_co_ci_u32_e64 v58, null, s5, v6, vcc_lo
	v_add_co_u32 v53, vcc_lo, s4, v8
	v_ashrrev_i32_e32 v8, 31, v7
	global_load_dwordx4 v[117:120], v[55:56], off
	v_ashrrev_i32_e32 v11, 31, v10
	v_add_co_ci_u32_e64 v54, null, s5, v9, vcc_lo
	v_lshlrev_b64 v[7:8], 4, v[7:8]
	v_add_nc_u32_e32 v5, s15, v10
	v_lshlrev_b64 v[9:10], 4, v[10:11]
	s_clause 0x1
	global_load_dwordx4 v[122:125], v[57:58], off
	global_load_dwordx4 v[126:129], v[53:54], off
	s_movk_i32 s8, 0x60
	v_add_co_u32 v59, vcc_lo, s4, v7
	v_add_co_ci_u32_e64 v60, null, s5, v8, vcc_lo
	v_add_co_u32 v61, vcc_lo, s4, v9
	v_add_co_ci_u32_e64 v62, null, s5, v10, vcc_lo
	global_load_dwordx4 v[130:133], v[59:60], off
	v_ashrrev_i32_e32 v6, 31, v5
	s_movk_i32 s9, 0x70
	global_load_dwordx4 v[134:137], v[61:62], off
	s_movk_i32 s12, 0x80
	s_movk_i32 s13, 0x90
	v_lshlrev_b64 v[6:7], 4, v[5:6]
	v_add_nc_u32_e32 v5, s15, v5
	s_movk_i32 s14, 0xa0
	s_movk_i32 s51, 0x160
	;; [unrolled: 1-line block ×4, first 2 shown]
	v_add_co_u32 v63, vcc_lo, s4, v6
	v_add_co_ci_u32_e64 v64, null, s5, v7, vcc_lo
	v_add_nc_u32_e32 v7, s15, v5
	v_ashrrev_i32_e32 v6, 31, v5
	s_movk_i32 s54, 0x190
	global_load_dwordx4 v[138:141], v[63:64], off
	s_movk_i32 s55, 0x1a0
	v_add_nc_u32_e32 v9, s15, v7
	v_ashrrev_i32_e32 v8, 31, v7
	v_lshlrev_b64 v[5:6], 4, v[5:6]
	s_movk_i32 s56, 0x1b0
	s_movk_i32 s57, 0x1c0
	v_add_nc_u32_e32 v11, s15, v9
	v_ashrrev_i32_e32 v10, 31, v9
	v_lshlrev_b64 v[7:8], 4, v[7:8]
	v_add_co_u32 v65, vcc_lo, s4, v5
	v_add_nc_u32_e32 v13, s15, v11
	v_ashrrev_i32_e32 v12, 31, v11
	v_lshlrev_b64 v[9:10], 4, v[9:10]
	v_add_co_ci_u32_e64 v66, null, s5, v6, vcc_lo
	v_add_nc_u32_e32 v17, s15, v13
	v_ashrrev_i32_e32 v14, 31, v13
	v_lshlrev_b64 v[11:12], 4, v[11:12]
	v_add_co_u32 v67, vcc_lo, s4, v7
	v_add_nc_u32_e32 v21, s15, v17
	v_ashrrev_i32_e32 v18, 31, v17
	v_lshlrev_b64 v[19:20], 4, v[13:14]
	v_add_co_ci_u32_e64 v68, null, s5, v8, vcc_lo
	v_add_nc_u32_e32 v25, s15, v21
	v_ashrrev_i32_e32 v22, 31, v21
	v_add_co_u32 v69, vcc_lo, s4, v9
	v_lshlrev_b64 v[17:18], 4, v[17:18]
	v_add_nc_u32_e32 v29, s15, v25
	v_ashrrev_i32_e32 v26, 31, v25
	v_add_co_ci_u32_e64 v70, null, s5, v10, vcc_lo
	v_add_co_u32 v71, vcc_lo, s4, v11
	v_add_nc_u32_e32 v33, s15, v29
	v_ashrrev_i32_e32 v30, 31, v29
	v_lshlrev_b64 v[27:28], 4, v[21:22]
	v_add_co_ci_u32_e64 v72, null, s5, v12, vcc_lo
	v_add_nc_u32_e32 v37, s15, v33
	v_ashrrev_i32_e32 v34, 31, v33
	v_add_co_u32 v73, vcc_lo, s4, v19
	v_lshlrev_b64 v[25:26], 4, v[25:26]
	v_add_nc_u32_e32 v41, s15, v37
	v_ashrrev_i32_e32 v38, 31, v37
	v_add_co_ci_u32_e64 v74, null, s5, v20, vcc_lo
	v_add_co_u32 v75, vcc_lo, s4, v17
	v_add_nc_u32_e32 v45, s15, v41
	v_lshlrev_b64 v[35:36], 4, v[29:30]
	v_ashrrev_i32_e32 v42, 31, v41
	v_add_co_ci_u32_e64 v76, null, s5, v18, vcc_lo
	v_add_nc_u32_e32 v89, s15, v45
	v_add_co_u32 v77, vcc_lo, s4, v27
	v_lshlrev_b64 v[33:34], 4, v[33:34]
	v_ashrrev_i32_e32 v46, 31, v45
	v_add_nc_u32_e32 v93, s15, v89
	v_add_co_ci_u32_e64 v78, null, s5, v28, vcc_lo
	v_add_co_u32 v79, vcc_lo, s4, v25
	v_lshlrev_b64 v[43:44], 4, v[37:38]
	v_ashrrev_i32_e32 v90, 31, v89
	v_add_co_ci_u32_e64 v80, null, s5, v26, vcc_lo
	v_add_co_u32 v81, vcc_lo, s4, v35
	v_lshlrev_b64 v[41:42], 4, v[41:42]
	v_add_co_ci_u32_e64 v82, null, s5, v36, vcc_lo
	v_add_co_u32 v83, vcc_lo, s4, v33
	v_lshlrev_b64 v[91:92], 4, v[45:46]
	v_add_nc_u32_e32 v97, s15, v93
	v_add_co_ci_u32_e64 v84, null, s5, v34, vcc_lo
	v_add_co_u32 v85, vcc_lo, s4, v43
	v_lshlrev_b64 v[95:96], 4, v[89:90]
	v_add_co_ci_u32_e64 v86, null, s5, v44, vcc_lo
	v_add_co_u32 v87, vcc_lo, s4, v41
	v_ashrrev_i32_e32 v98, 31, v97
	v_add_nc_u32_e32 v99, s15, v97
	v_add_co_ci_u32_e64 v88, null, s5, v42, vcc_lo
	v_add_co_u32 v89, vcc_lo, s4, v91
	v_add_co_ci_u32_e64 v90, null, s5, v92, vcc_lo
	v_add_co_u32 v91, vcc_lo, s4, v95
	v_add_co_ci_u32_e64 v92, null, s5, v96, vcc_lo
	v_lshlrev_b64 v[95:96], 4, v[97:98]
	v_add_nc_u32_e32 v97, s15, v99
	v_ashrrev_i32_e32 v94, 31, v93
	v_ashrrev_i32_e32 v100, 31, v99
	s_clause 0x2
	global_load_dwordx4 v[5:8], v[65:66], off
	global_load_dwordx4 v[9:12], v[67:68], off
	;; [unrolled: 1-line block ×3, first 2 shown]
	v_add_nc_u32_e32 v101, s15, v97
	v_lshlrev_b64 v[93:94], 4, v[93:94]
	v_ashrrev_i32_e32 v98, 31, v97
	v_lshlrev_b64 v[99:100], 4, v[99:100]
	s_clause 0x1
	global_load_dwordx4 v[17:20], v[71:72], off
	global_load_dwordx4 v[21:24], v[73:74], off
	v_add_nc_u32_e32 v105, s15, v101
	v_ashrrev_i32_e32 v102, 31, v101
	v_add_co_u32 v93, vcc_lo, s4, v93
	v_lshlrev_b64 v[103:104], 4, v[97:98]
	v_add_co_ci_u32_e64 v94, null, s5, v94, vcc_lo
	v_add_co_u32 v95, vcc_lo, s4, v95
	v_ashrrev_i32_e32 v106, 31, v105
	v_add_nc_u32_e32 v107, s15, v105
	v_add_co_ci_u32_e64 v96, null, s5, v96, vcc_lo
	v_add_co_u32 v97, vcc_lo, s4, v99
	v_add_co_ci_u32_e64 v98, null, s5, v100, vcc_lo
	v_add_co_u32 v99, vcc_lo, s4, v103
	v_add_co_ci_u32_e64 v100, null, s5, v104, vcc_lo
	v_lshlrev_b64 v[103:104], 4, v[105:106]
	v_add_nc_u32_e32 v105, s15, v107
	v_ashrrev_i32_e32 v108, 31, v107
	v_lshlrev_b64 v[101:102], 4, v[101:102]
	s_clause 0x3
	global_load_dwordx4 v[25:28], v[75:76], off
	global_load_dwordx4 v[29:32], v[77:78], off
	;; [unrolled: 1-line block ×4, first 2 shown]
	v_add_nc_u32_e32 v109, s15, v105
	v_ashrrev_i32_e32 v106, 31, v105
	v_lshlrev_b64 v[107:108], 4, v[107:108]
	v_add_co_u32 v101, vcc_lo, s4, v101
	v_add_nc_u32_e32 v182, s15, v109
	v_ashrrev_i32_e32 v110, 31, v109
	v_lshlrev_b64 v[111:112], 4, v[105:106]
	v_add_co_ci_u32_e64 v102, null, s5, v102, vcc_lo
	v_add_nc_u32_e32 v184, s15, v182
	v_add_co_u32 v103, vcc_lo, s4, v103
	v_lshlrev_b64 v[109:110], 4, v[109:110]
	v_add_co_ci_u32_e64 v104, null, s5, v104, vcc_lo
	v_add_nc_u32_e32 v186, s15, v184
	v_add_co_u32 v105, vcc_lo, s4, v107
	v_add_co_ci_u32_e64 v106, null, s5, v108, vcc_lo
	v_add_co_u32 v107, vcc_lo, s4, v111
	v_ashrrev_i32_e32 v183, 31, v182
	v_add_co_ci_u32_e64 v108, null, s5, v112, vcc_lo
	v_add_co_u32 v109, vcc_lo, s4, v109
	v_add_nc_u32_e32 v190, s15, v186
	v_ashrrev_i32_e32 v185, 31, v184
	v_add_co_ci_u32_e64 v110, null, s5, v110, vcc_lo
	v_ashrrev_i32_e32 v187, 31, v186
	v_lshlrev_b64 v[111:112], 4, v[182:183]
	s_clause 0xb
	global_load_dwordx4 v[41:44], v[83:84], off
	global_load_dwordx4 v[45:48], v[85:86], off
	global_load_dwordx4 v[142:145], v[87:88], off
	global_load_dwordx4 v[146:149], v[89:90], off
	global_load_dwordx4 v[150:153], v[91:92], off
	global_load_dwordx4 v[154:157], v[93:94], off
	global_load_dwordx4 v[158:161], v[95:96], off
	global_load_dwordx4 v[162:165], v[97:98], off
	global_load_dwordx4 v[166:169], v[99:100], off
	global_load_dwordx4 v[170:173], v[101:102], off
	global_load_dwordx4 v[174:177], v[103:104], off
	global_load_dwordx4 v[178:181], v[105:106], off
	v_ashrrev_i32_e32 v191, 31, v190
	v_lshlrev_b64 v[188:189], 4, v[184:185]
	v_add_co_u32 v111, vcc_lo, s4, v111
	v_add_co_ci_u32_e64 v112, null, s5, v112, vcc_lo
	s_movk_i32 s58, 0x1d0
	s_movk_i32 s59, 0x1e0
	;; [unrolled: 1-line block ×7, first 2 shown]
	s_add_i32 s42, s8, 16
	s_add_i32 s41, s9, 16
	s_add_i32 s40, s12, 16
	s_add_i32 s39, s13, 16
	s_add_i32 s38, s14, 16
	s_add_i32 s36, s16, 16
	s_add_i32 s35, s17, 16
	s_add_i32 s34, s18, 16
	s_add_i32 s33, s19, 16
	s_add_i32 s31, s22, 16
	s_add_i32 s30, s23, 16
	s_add_i32 s29, s24, 16
	s_add_i32 s28, s25, 16
	s_add_i32 s27, s26, 16
	s_add_i32 s26, s50, 16
	s_add_i32 s25, s51, 16
	s_add_i32 s24, s52, 16
	s_add_i32 s23, s53, 16
	s_add_i32 s22, s54, 16
	s_add_i32 s19, s55, 16
	s_add_i32 s18, s56, 16
	s_add_i32 s17, s57, 16
	s_add_i32 s16, s58, 16
	s_add_i32 s14, s60, 16
	s_add_i32 s13, s61, 16
	s_add_i32 s12, s62, 16
	s_add_i32 s9, s63, 16
	s_add_i32 s8, s64, 16
	s_mov_b32 s47, 32
	s_mov_b32 s46, 48
	;; [unrolled: 1-line block ×3, first 2 shown]
	s_movk_i32 s44, 0x50
	s_waitcnt vmcnt(28)
	buffer_store_dword v4, off, s[0:3], 0 offset:28
	buffer_store_dword v3, off, s[0:3], 0 offset:24
	;; [unrolled: 1-line block ×4, first 2 shown]
	s_waitcnt vmcnt(27)
	buffer_store_dword v116, off, s[0:3], 0 offset:44
	buffer_store_dword v115, off, s[0:3], 0 offset:40
	;; [unrolled: 1-line block ×4, first 2 shown]
	s_clause 0x1
	global_load_dwordx4 v[1:4], v[107:108], off
	global_load_dwordx4 v[182:185], v[109:110], off
	s_waitcnt vmcnt(28)
	buffer_store_dword v120, off, s[0:3], 0 offset:60
	buffer_store_dword v119, off, s[0:3], 0 offset:56
	;; [unrolled: 1-line block ×4, first 2 shown]
	v_add_nc_u32_e32 v117, s15, v190
	v_lshlrev_b64 v[115:116], 4, v[186:187]
	v_lshlrev_b64 v[119:120], 4, v[190:191]
	v_add_co_u32 v113, vcc_lo, s4, v188
	v_ashrrev_i32_e32 v118, 31, v117
	v_add_co_ci_u32_e64 v114, null, s5, v189, vcc_lo
	v_add_co_u32 v115, vcc_lo, s4, v115
	v_add_co_ci_u32_e64 v116, null, s5, v116, vcc_lo
	v_lshlrev_b64 v[186:187], 4, v[117:118]
	v_add_co_u32 v117, vcc_lo, s4, v119
	v_add_co_ci_u32_e64 v118, null, s5, v120, vcc_lo
	s_waitcnt vmcnt(27)
	buffer_store_dword v125, off, s[0:3], 0 offset:76
	buffer_store_dword v124, off, s[0:3], 0 offset:72
	;; [unrolled: 1-line block ×4, first 2 shown]
	s_waitcnt vmcnt(26)
	buffer_store_dword v129, off, s[0:3], 0 offset:92
	buffer_store_dword v128, off, s[0:3], 0 offset:88
	;; [unrolled: 1-line block ×4, first 2 shown]
	s_clause 0x1
	global_load_dwordx4 v[122:125], v[111:112], off
	global_load_dwordx4 v[126:129], v[113:114], off
	s_waitcnt vmcnt(27)
	buffer_store_dword v133, off, s[0:3], 0 offset:108
	buffer_store_dword v132, off, s[0:3], 0 offset:104
	;; [unrolled: 1-line block ×4, first 2 shown]
	s_waitcnt vmcnt(26)
	buffer_store_dword v137, off, s[0:3], 0 offset:124
	buffer_store_dword v136, off, s[0:3], 0 offset:120
	;; [unrolled: 1-line block ×4, first 2 shown]
	s_clause 0x1
	global_load_dwordx4 v[130:133], v[115:116], off
	global_load_dwordx4 v[134:137], v[117:118], off
	v_add_co_u32 v119, vcc_lo, s4, v186
	v_add_co_ci_u32_e64 v120, null, s5, v187, vcc_lo
	s_waitcnt vmcnt(27)
	buffer_store_dword v141, off, s[0:3], 0 offset:140
	buffer_store_dword v140, off, s[0:3], 0 offset:136
	;; [unrolled: 1-line block ×4, first 2 shown]
	global_load_dwordx4 v[138:141], v[119:120], off
	s_movk_i32 s4, 0x50
	s_movk_i32 s15, 0xb0
	s_add_i32 s43, s4, 16
	s_add_i32 s37, s15, 16
	;; [unrolled: 1-line block ×3, first 2 shown]
	s_mov_b32 s5, -1
	s_bitcmp0_b32 s49, 0
	s_waitcnt vmcnt(27)
	buffer_store_dword v8, off, s[0:3], 0 offset:156
	buffer_store_dword v7, off, s[0:3], 0 offset:152
	buffer_store_dword v6, off, s[0:3], 0 offset:148
	buffer_store_dword v5, off, s[0:3], 0 offset:144
	s_waitcnt vmcnt(26)
	buffer_store_dword v9, off, s[0:3], 0 offset:160
	buffer_store_dword v10, off, s[0:3], 0 offset:164
	buffer_store_dword v11, off, s[0:3], 0 offset:168
	buffer_store_dword v12, off, s[0:3], 0 offset:172
	;; [unrolled: 5-line block ×28, first 2 shown]
	s_cbranch_scc1 .LBB35_156
; %bb.4:
	v_cmp_eq_u32_e64 s4, 0, v0
	s_and_saveexec_b32 s5, s4
; %bb.5:
	v_mov_b32_e32 v1, 0
	ds_write_b32 v1, v1 offset:1152
; %bb.6:
	s_or_b32 exec_lo, exec_lo, s5
	v_lshl_add_u32 v11, v0, 4, 16
	s_waitcnt lgkmcnt(0)
	s_waitcnt_vscnt null, 0x0
	s_barrier
	buffer_gl0_inv
	s_clause 0x3
	buffer_load_dword v1, v11, s[0:3], 0 offen
	buffer_load_dword v2, v11, s[0:3], 0 offen offset:4
	buffer_load_dword v3, v11, s[0:3], 0 offen offset:8
	buffer_load_dword v4, v11, s[0:3], 0 offen offset:12
	s_waitcnt vmcnt(2)
	v_cmp_eq_f64_e32 vcc_lo, 0, v[1:2]
	s_waitcnt vmcnt(0)
	v_cmp_eq_f64_e64 s5, 0, v[3:4]
	s_and_b32 s5, vcc_lo, s5
	s_and_saveexec_b32 s49, s5
	s_cbranch_execz .LBB35_10
; %bb.7:
	v_mov_b32_e32 v1, 0
	s_mov_b32 s50, 0
	ds_read_b32 v2, v1 offset:1152
	s_waitcnt lgkmcnt(0)
	v_readfirstlane_b32 s5, v2
	v_add_nc_u32_e32 v2, 1, v0
	s_cmp_eq_u32 s5, 0
	v_cmp_gt_i32_e32 vcc_lo, s5, v2
	s_cselect_b32 s51, -1, 0
	s_or_b32 s51, s51, vcc_lo
	s_and_b32 exec_lo, exec_lo, s51
	s_cbranch_execz .LBB35_10
; %bb.8:
	v_mov_b32_e32 v3, s5
.LBB35_9:                               ; =>This Inner Loop Header: Depth=1
	ds_cmpst_rtn_b32 v3, v1, v3, v2 offset:1152
	s_waitcnt lgkmcnt(0)
	v_cmp_ne_u32_e32 vcc_lo, 0, v3
	v_cmp_le_i32_e64 s5, v3, v2
	s_and_b32 s5, vcc_lo, s5
	s_and_b32 s5, exec_lo, s5
	s_or_b32 s50, s5, s50
	s_andn2_b32 exec_lo, exec_lo, s50
	s_cbranch_execnz .LBB35_9
.LBB35_10:
	s_or_b32 exec_lo, exec_lo, s49
	v_mov_b32_e32 v1, 0
	s_barrier
	buffer_gl0_inv
	ds_read_b32 v2, v1 offset:1152
	s_and_saveexec_b32 s5, s4
	s_cbranch_execz .LBB35_12
; %bb.11:
	s_lshl_b64 s[50:51], s[6:7], 2
	s_add_u32 s50, s10, s50
	s_addc_u32 s51, s11, s51
	s_waitcnt lgkmcnt(0)
	global_store_dword v1, v2, s[50:51]
.LBB35_12:
	s_or_b32 exec_lo, exec_lo, s5
	s_waitcnt lgkmcnt(0)
	v_cmp_ne_u32_e32 vcc_lo, 0, v2
	s_mov_b32 s5, 0
	s_cbranch_vccnz .LBB35_156
; %bb.13:
	s_clause 0x3
	buffer_load_dword v7, v11, s[0:3], 0 offen
	buffer_load_dword v8, v11, s[0:3], 0 offen offset:4
	buffer_load_dword v9, v11, s[0:3], 0 offen offset:8
	;; [unrolled: 1-line block ×3, first 2 shown]
                                        ; implicit-def: $vgpr5_vgpr6
                                        ; implicit-def: $vgpr3_vgpr4
	s_waitcnt vmcnt(0)
	v_cmp_ngt_f64_e64 s5, |v[7:8]|, |v[9:10]|
	s_and_saveexec_b32 s49, s5
	s_xor_b32 s5, exec_lo, s49
	s_cbranch_execz .LBB35_15
; %bb.14:
	v_div_scale_f64 v[1:2], null, v[9:10], v[9:10], v[7:8]
	v_div_scale_f64 v[12:13], vcc_lo, v[7:8], v[9:10], v[7:8]
	v_rcp_f64_e32 v[3:4], v[1:2]
	v_fma_f64 v[5:6], -v[1:2], v[3:4], 1.0
	v_fma_f64 v[3:4], v[3:4], v[5:6], v[3:4]
	v_fma_f64 v[5:6], -v[1:2], v[3:4], 1.0
	v_fma_f64 v[3:4], v[3:4], v[5:6], v[3:4]
	v_mul_f64 v[5:6], v[12:13], v[3:4]
	v_fma_f64 v[1:2], -v[1:2], v[5:6], v[12:13]
	v_div_fmas_f64 v[1:2], v[1:2], v[3:4], v[5:6]
	v_div_fixup_f64 v[1:2], v[1:2], v[9:10], v[7:8]
	v_fma_f64 v[3:4], v[7:8], v[1:2], v[9:10]
	v_div_scale_f64 v[5:6], null, v[3:4], v[3:4], 1.0
	v_div_scale_f64 v[12:13], vcc_lo, 1.0, v[3:4], 1.0
	v_rcp_f64_e32 v[7:8], v[5:6]
	v_fma_f64 v[9:10], -v[5:6], v[7:8], 1.0
	v_fma_f64 v[7:8], v[7:8], v[9:10], v[7:8]
	v_fma_f64 v[9:10], -v[5:6], v[7:8], 1.0
	v_fma_f64 v[7:8], v[7:8], v[9:10], v[7:8]
	v_mul_f64 v[9:10], v[12:13], v[7:8]
	v_fma_f64 v[5:6], -v[5:6], v[9:10], v[12:13]
	v_div_fmas_f64 v[5:6], v[5:6], v[7:8], v[9:10]
                                        ; implicit-def: $vgpr7_vgpr8
                                        ; implicit-def: $vgpr9_vgpr10
	v_div_fixup_f64 v[3:4], v[5:6], v[3:4], 1.0
	v_mul_f64 v[5:6], v[1:2], v[3:4]
	v_xor_b32_e32 v4, 0x80000000, v4
	v_xor_b32_e32 v2, 0x80000000, v6
	v_mov_b32_e32 v1, v5
.LBB35_15:
	s_andn2_saveexec_b32 s5, s5
	s_cbranch_execz .LBB35_17
; %bb.16:
	v_div_scale_f64 v[1:2], null, v[7:8], v[7:8], v[9:10]
	v_div_scale_f64 v[12:13], vcc_lo, v[9:10], v[7:8], v[9:10]
	v_rcp_f64_e32 v[3:4], v[1:2]
	v_fma_f64 v[5:6], -v[1:2], v[3:4], 1.0
	v_fma_f64 v[3:4], v[3:4], v[5:6], v[3:4]
	v_fma_f64 v[5:6], -v[1:2], v[3:4], 1.0
	v_fma_f64 v[3:4], v[3:4], v[5:6], v[3:4]
	v_mul_f64 v[5:6], v[12:13], v[3:4]
	v_fma_f64 v[1:2], -v[1:2], v[5:6], v[12:13]
	v_div_fmas_f64 v[1:2], v[1:2], v[3:4], v[5:6]
	v_div_fixup_f64 v[1:2], v[1:2], v[7:8], v[9:10]
	v_fma_f64 v[3:4], v[9:10], v[1:2], v[7:8]
	v_div_scale_f64 v[5:6], null, v[3:4], v[3:4], 1.0
	v_rcp_f64_e32 v[7:8], v[5:6]
	v_fma_f64 v[9:10], -v[5:6], v[7:8], 1.0
	v_fma_f64 v[7:8], v[7:8], v[9:10], v[7:8]
	v_fma_f64 v[9:10], -v[5:6], v[7:8], 1.0
	v_fma_f64 v[7:8], v[7:8], v[9:10], v[7:8]
	v_div_scale_f64 v[9:10], vcc_lo, 1.0, v[3:4], 1.0
	v_mul_f64 v[12:13], v[9:10], v[7:8]
	v_fma_f64 v[5:6], -v[5:6], v[12:13], v[9:10]
	v_div_fmas_f64 v[5:6], v[5:6], v[7:8], v[12:13]
	v_div_fixup_f64 v[5:6], v[5:6], v[3:4], 1.0
	v_mul_f64 v[3:4], v[1:2], -v[5:6]
	v_xor_b32_e32 v2, 0x80000000, v6
	v_mov_b32_e32 v1, v5
.LBB35_17:
	s_or_b32 exec_lo, exec_lo, s5
	v_mov_b32_e32 v10, s47
	buffer_store_dword v6, v11, s[0:3], 0 offen offset:4
	buffer_store_dword v5, v11, s[0:3], 0 offen
	buffer_store_dword v4, v11, s[0:3], 0 offen offset:12
	buffer_store_dword v3, v11, s[0:3], 0 offen offset:8
	v_xor_b32_e32 v4, 0x80000000, v4
	v_add_nc_u32_e32 v5, 0x240, v121
	s_clause 0x3
	buffer_load_dword v9, v10, s[0:3], 0 offen offset:12
	buffer_load_dword v8, v10, s[0:3], 0 offen offset:8
	;; [unrolled: 1-line block ×3, first 2 shown]
	buffer_load_dword v6, v10, s[0:3], 0 offen
	ds_write_b128 v121, v[1:4]
	s_waitcnt vmcnt(0)
	ds_write_b128 v121, v[6:9] offset:576
	s_waitcnt lgkmcnt(0)
	s_waitcnt_vscnt null, 0x0
	s_barrier
	buffer_gl0_inv
	s_and_saveexec_b32 s5, s4
	s_cbranch_execz .LBB35_19
; %bb.18:
	s_clause 0x3
	buffer_load_dword v12, v11, s[0:3], 0 offen offset:8
	buffer_load_dword v13, v11, s[0:3], 0 offen offset:12
	buffer_load_dword v14, v11, s[0:3], 0 offen
	buffer_load_dword v15, v11, s[0:3], 0 offen offset:4
	ds_read_b128 v[1:4], v5
	v_mov_b32_e32 v6, 0
	ds_read_b128 v[6:9], v6 offset:16
	s_waitcnt vmcnt(2) lgkmcnt(1)
	v_mul_f64 v[16:17], v[1:2], v[12:13]
	v_mul_f64 v[12:13], v[3:4], v[12:13]
	s_waitcnt vmcnt(0)
	v_fma_f64 v[3:4], v[3:4], v[14:15], v[16:17]
	v_fma_f64 v[1:2], v[1:2], v[14:15], -v[12:13]
	v_add_f64 v[3:4], v[3:4], 0
	v_add_f64 v[1:2], v[1:2], 0
	s_waitcnt lgkmcnt(0)
	v_mul_f64 v[12:13], v[3:4], v[8:9]
	v_mul_f64 v[8:9], v[1:2], v[8:9]
	v_fma_f64 v[1:2], v[1:2], v[6:7], -v[12:13]
	v_fma_f64 v[3:4], v[3:4], v[6:7], v[8:9]
	buffer_store_dword v1, off, s[0:3], 0 offset:32
	buffer_store_dword v2, off, s[0:3], 0 offset:36
	;; [unrolled: 1-line block ×4, first 2 shown]
.LBB35_19:
	s_or_b32 exec_lo, exec_lo, s5
	v_mov_b32_e32 v4, s46
	s_waitcnt_vscnt null, 0x0
	s_barrier
	buffer_gl0_inv
	s_mov_b32 s5, exec_lo
	s_clause 0x3
	buffer_load_dword v1, v4, s[0:3], 0 offen
	buffer_load_dword v2, v4, s[0:3], 0 offen offset:4
	buffer_load_dword v3, v4, s[0:3], 0 offen offset:8
	;; [unrolled: 1-line block ×3, first 2 shown]
	s_waitcnt vmcnt(0)
	ds_write_b128 v5, v[1:4]
	s_waitcnt lgkmcnt(0)
	s_barrier
	buffer_gl0_inv
	v_cmpx_gt_u32_e32 2, v0
	s_cbranch_execz .LBB35_23
; %bb.20:
	s_clause 0x3
	buffer_load_dword v6, v11, s[0:3], 0 offen offset:8
	buffer_load_dword v7, v11, s[0:3], 0 offen offset:12
	buffer_load_dword v8, v11, s[0:3], 0 offen
	buffer_load_dword v9, v11, s[0:3], 0 offen offset:4
	ds_read_b128 v[1:4], v5
	s_waitcnt vmcnt(2) lgkmcnt(0)
	v_mul_f64 v[10:11], v[3:4], v[6:7]
	v_mul_f64 v[6:7], v[1:2], v[6:7]
	s_waitcnt vmcnt(0)
	v_fma_f64 v[1:2], v[1:2], v[8:9], -v[10:11]
	v_fma_f64 v[3:4], v[3:4], v[8:9], v[6:7]
	v_add_f64 v[1:2], v[1:2], 0
	v_add_f64 v[3:4], v[3:4], 0
	s_and_saveexec_b32 s49, s4
	s_cbranch_execz .LBB35_22
; %bb.21:
	s_clause 0x3
	buffer_load_dword v10, off, s[0:3], 0 offset:40
	buffer_load_dword v11, off, s[0:3], 0 offset:44
	;; [unrolled: 1-line block ×4, first 2 shown]
	v_mov_b32_e32 v6, 0
	ds_read_b128 v[6:9], v6 offset:592
	s_waitcnt vmcnt(2) lgkmcnt(0)
	v_mul_f64 v[14:15], v[6:7], v[10:11]
	v_mul_f64 v[10:11], v[8:9], v[10:11]
	s_waitcnt vmcnt(0)
	v_fma_f64 v[8:9], v[8:9], v[12:13], v[14:15]
	v_fma_f64 v[6:7], v[6:7], v[12:13], -v[10:11]
	v_add_f64 v[3:4], v[3:4], v[8:9]
	v_add_f64 v[1:2], v[1:2], v[6:7]
.LBB35_22:
	s_or_b32 exec_lo, exec_lo, s49
	v_mov_b32_e32 v6, 0
	ds_read_b128 v[6:9], v6 offset:32
	s_waitcnt lgkmcnt(0)
	v_mul_f64 v[10:11], v[3:4], v[8:9]
	v_mul_f64 v[8:9], v[1:2], v[8:9]
	v_fma_f64 v[1:2], v[1:2], v[6:7], -v[10:11]
	v_fma_f64 v[3:4], v[3:4], v[6:7], v[8:9]
	buffer_store_dword v2, off, s[0:3], 0 offset:52
	buffer_store_dword v1, off, s[0:3], 0 offset:48
	;; [unrolled: 1-line block ×4, first 2 shown]
.LBB35_23:
	s_or_b32 exec_lo, exec_lo, s5
	v_mov_b32_e32 v4, s45
	s_waitcnt_vscnt null, 0x0
	s_barrier
	buffer_gl0_inv
	v_add_nc_u32_e32 v6, -1, v0
	s_clause 0x3
	buffer_load_dword v1, v4, s[0:3], 0 offen
	buffer_load_dword v2, v4, s[0:3], 0 offen offset:4
	buffer_load_dword v3, v4, s[0:3], 0 offen offset:8
	;; [unrolled: 1-line block ×3, first 2 shown]
	s_mov_b32 s4, exec_lo
	s_waitcnt vmcnt(0)
	ds_write_b128 v5, v[1:4]
	s_waitcnt lgkmcnt(0)
	s_barrier
	buffer_gl0_inv
	v_cmpx_gt_u32_e32 3, v0
	s_cbranch_execz .LBB35_27
; %bb.24:
	v_mov_b32_e32 v1, 0
	v_mov_b32_e32 v3, 0
	v_add_nc_u32_e32 v7, -1, v0
	v_add_nc_u32_e32 v8, 0x240, v121
	v_mov_b32_e32 v2, 0
	v_mov_b32_e32 v4, 0
	v_add_nc_u32_e32 v9, 16, v121
	s_mov_b32 s5, 0
	.p2align	6
.LBB35_25:                              ; =>This Inner Loop Header: Depth=1
	s_clause 0x3
	buffer_load_dword v14, v9, s[0:3], 0 offen offset:8
	buffer_load_dword v15, v9, s[0:3], 0 offen offset:12
	buffer_load_dword v16, v9, s[0:3], 0 offen
	buffer_load_dword v17, v9, s[0:3], 0 offen offset:4
	ds_read_b128 v[10:13], v8
	v_add_nc_u32_e32 v7, 1, v7
	v_add_nc_u32_e32 v8, 16, v8
	;; [unrolled: 1-line block ×3, first 2 shown]
	v_cmp_lt_u32_e32 vcc_lo, 1, v7
	s_or_b32 s5, vcc_lo, s5
	s_waitcnt vmcnt(2) lgkmcnt(0)
	v_mul_f64 v[18:19], v[12:13], v[14:15]
	v_mul_f64 v[14:15], v[10:11], v[14:15]
	s_waitcnt vmcnt(0)
	v_fma_f64 v[10:11], v[10:11], v[16:17], -v[18:19]
	v_fma_f64 v[12:13], v[12:13], v[16:17], v[14:15]
	v_add_f64 v[3:4], v[3:4], v[10:11]
	v_add_f64 v[1:2], v[1:2], v[12:13]
	s_andn2_b32 exec_lo, exec_lo, s5
	s_cbranch_execnz .LBB35_25
; %bb.26:
	s_or_b32 exec_lo, exec_lo, s5
	v_mov_b32_e32 v7, 0
	ds_read_b128 v[7:10], v7 offset:48
	s_waitcnt lgkmcnt(0)
	v_mul_f64 v[11:12], v[1:2], v[9:10]
	v_mul_f64 v[9:10], v[3:4], v[9:10]
	v_fma_f64 v[3:4], v[3:4], v[7:8], -v[11:12]
	v_fma_f64 v[1:2], v[1:2], v[7:8], v[9:10]
	buffer_store_dword v4, off, s[0:3], 0 offset:68
	buffer_store_dword v3, off, s[0:3], 0 offset:64
	;; [unrolled: 1-line block ×4, first 2 shown]
.LBB35_27:
	s_or_b32 exec_lo, exec_lo, s4
	v_mov_b32_e32 v4, s44
	s_waitcnt_vscnt null, 0x0
	s_barrier
	buffer_gl0_inv
	s_mov_b32 s4, exec_lo
	s_clause 0x3
	buffer_load_dword v1, v4, s[0:3], 0 offen
	buffer_load_dword v2, v4, s[0:3], 0 offen offset:4
	buffer_load_dword v3, v4, s[0:3], 0 offen offset:8
	;; [unrolled: 1-line block ×3, first 2 shown]
	s_waitcnt vmcnt(0)
	ds_write_b128 v5, v[1:4]
	s_waitcnt lgkmcnt(0)
	s_barrier
	buffer_gl0_inv
	v_cmpx_gt_u32_e32 4, v0
	s_cbranch_execz .LBB35_31
; %bb.28:
	v_mov_b32_e32 v1, 0
	v_mov_b32_e32 v3, 0
	v_add_nc_u32_e32 v7, -1, v0
	v_add_nc_u32_e32 v8, 0x240, v121
	v_mov_b32_e32 v2, 0
	v_mov_b32_e32 v4, 0
	v_add_nc_u32_e32 v9, 16, v121
	s_mov_b32 s5, 0
	.p2align	6
.LBB35_29:                              ; =>This Inner Loop Header: Depth=1
	s_clause 0x3
	buffer_load_dword v14, v9, s[0:3], 0 offen offset:8
	buffer_load_dword v15, v9, s[0:3], 0 offen offset:12
	buffer_load_dword v16, v9, s[0:3], 0 offen
	buffer_load_dword v17, v9, s[0:3], 0 offen offset:4
	ds_read_b128 v[10:13], v8
	v_add_nc_u32_e32 v7, 1, v7
	v_add_nc_u32_e32 v8, 16, v8
	;; [unrolled: 1-line block ×3, first 2 shown]
	v_cmp_lt_u32_e32 vcc_lo, 2, v7
	s_or_b32 s5, vcc_lo, s5
	s_waitcnt vmcnt(2) lgkmcnt(0)
	v_mul_f64 v[18:19], v[12:13], v[14:15]
	v_mul_f64 v[14:15], v[10:11], v[14:15]
	s_waitcnt vmcnt(0)
	v_fma_f64 v[10:11], v[10:11], v[16:17], -v[18:19]
	v_fma_f64 v[12:13], v[12:13], v[16:17], v[14:15]
	v_add_f64 v[3:4], v[3:4], v[10:11]
	v_add_f64 v[1:2], v[1:2], v[12:13]
	s_andn2_b32 exec_lo, exec_lo, s5
	s_cbranch_execnz .LBB35_29
; %bb.30:
	s_or_b32 exec_lo, exec_lo, s5
	v_mov_b32_e32 v7, 0
	ds_read_b128 v[7:10], v7 offset:64
	s_waitcnt lgkmcnt(0)
	v_mul_f64 v[11:12], v[1:2], v[9:10]
	v_mul_f64 v[9:10], v[3:4], v[9:10]
	v_fma_f64 v[3:4], v[3:4], v[7:8], -v[11:12]
	v_fma_f64 v[1:2], v[1:2], v[7:8], v[9:10]
	buffer_store_dword v4, off, s[0:3], 0 offset:84
	buffer_store_dword v3, off, s[0:3], 0 offset:80
	;; [unrolled: 1-line block ×4, first 2 shown]
.LBB35_31:
	s_or_b32 exec_lo, exec_lo, s4
	v_mov_b32_e32 v4, s43
	s_waitcnt_vscnt null, 0x0
	s_barrier
	buffer_gl0_inv
	s_mov_b32 s4, exec_lo
	s_clause 0x3
	buffer_load_dword v1, v4, s[0:3], 0 offen
	buffer_load_dword v2, v4, s[0:3], 0 offen offset:4
	buffer_load_dword v3, v4, s[0:3], 0 offen offset:8
	;; [unrolled: 1-line block ×3, first 2 shown]
	s_waitcnt vmcnt(0)
	ds_write_b128 v5, v[1:4]
	s_waitcnt lgkmcnt(0)
	s_barrier
	buffer_gl0_inv
	v_cmpx_gt_u32_e32 5, v0
	s_cbranch_execz .LBB35_35
; %bb.32:
	v_mov_b32_e32 v1, 0
	v_mov_b32_e32 v3, 0
	v_add_nc_u32_e32 v7, -1, v0
	v_add_nc_u32_e32 v8, 0x240, v121
	v_mov_b32_e32 v2, 0
	v_mov_b32_e32 v4, 0
	v_add_nc_u32_e32 v9, 16, v121
	s_mov_b32 s5, 0
	.p2align	6
.LBB35_33:                              ; =>This Inner Loop Header: Depth=1
	s_clause 0x3
	buffer_load_dword v14, v9, s[0:3], 0 offen offset:8
	buffer_load_dword v15, v9, s[0:3], 0 offen offset:12
	buffer_load_dword v16, v9, s[0:3], 0 offen
	buffer_load_dword v17, v9, s[0:3], 0 offen offset:4
	ds_read_b128 v[10:13], v8
	v_add_nc_u32_e32 v7, 1, v7
	v_add_nc_u32_e32 v8, 16, v8
	;; [unrolled: 1-line block ×3, first 2 shown]
	v_cmp_lt_u32_e32 vcc_lo, 3, v7
	s_or_b32 s5, vcc_lo, s5
	s_waitcnt vmcnt(2) lgkmcnt(0)
	v_mul_f64 v[18:19], v[12:13], v[14:15]
	v_mul_f64 v[14:15], v[10:11], v[14:15]
	s_waitcnt vmcnt(0)
	v_fma_f64 v[10:11], v[10:11], v[16:17], -v[18:19]
	v_fma_f64 v[12:13], v[12:13], v[16:17], v[14:15]
	v_add_f64 v[3:4], v[3:4], v[10:11]
	v_add_f64 v[1:2], v[1:2], v[12:13]
	s_andn2_b32 exec_lo, exec_lo, s5
	s_cbranch_execnz .LBB35_33
; %bb.34:
	s_or_b32 exec_lo, exec_lo, s5
	v_mov_b32_e32 v7, 0
	ds_read_b128 v[7:10], v7 offset:80
	s_waitcnt lgkmcnt(0)
	v_mul_f64 v[11:12], v[1:2], v[9:10]
	v_mul_f64 v[9:10], v[3:4], v[9:10]
	v_fma_f64 v[3:4], v[3:4], v[7:8], -v[11:12]
	v_fma_f64 v[1:2], v[1:2], v[7:8], v[9:10]
	buffer_store_dword v4, off, s[0:3], 0 offset:100
	buffer_store_dword v3, off, s[0:3], 0 offset:96
	;; [unrolled: 1-line block ×4, first 2 shown]
.LBB35_35:
	s_or_b32 exec_lo, exec_lo, s4
	v_mov_b32_e32 v4, s42
	s_waitcnt_vscnt null, 0x0
	s_barrier
	buffer_gl0_inv
	s_mov_b32 s4, exec_lo
	s_clause 0x3
	buffer_load_dword v1, v4, s[0:3], 0 offen
	buffer_load_dword v2, v4, s[0:3], 0 offen offset:4
	buffer_load_dword v3, v4, s[0:3], 0 offen offset:8
	buffer_load_dword v4, v4, s[0:3], 0 offen offset:12
	s_waitcnt vmcnt(0)
	ds_write_b128 v5, v[1:4]
	s_waitcnt lgkmcnt(0)
	s_barrier
	buffer_gl0_inv
	v_cmpx_gt_u32_e32 6, v0
	s_cbranch_execz .LBB35_39
; %bb.36:
	v_mov_b32_e32 v1, 0
	v_mov_b32_e32 v3, 0
	v_add_nc_u32_e32 v7, -1, v0
	v_add_nc_u32_e32 v8, 0x240, v121
	v_mov_b32_e32 v2, 0
	v_mov_b32_e32 v4, 0
	v_add_nc_u32_e32 v9, 16, v121
	s_mov_b32 s5, 0
	.p2align	6
.LBB35_37:                              ; =>This Inner Loop Header: Depth=1
	s_clause 0x3
	buffer_load_dword v14, v9, s[0:3], 0 offen offset:8
	buffer_load_dword v15, v9, s[0:3], 0 offen offset:12
	buffer_load_dword v16, v9, s[0:3], 0 offen
	buffer_load_dword v17, v9, s[0:3], 0 offen offset:4
	ds_read_b128 v[10:13], v8
	v_add_nc_u32_e32 v7, 1, v7
	v_add_nc_u32_e32 v8, 16, v8
	v_add_nc_u32_e32 v9, 16, v9
	v_cmp_lt_u32_e32 vcc_lo, 4, v7
	s_or_b32 s5, vcc_lo, s5
	s_waitcnt vmcnt(2) lgkmcnt(0)
	v_mul_f64 v[18:19], v[12:13], v[14:15]
	v_mul_f64 v[14:15], v[10:11], v[14:15]
	s_waitcnt vmcnt(0)
	v_fma_f64 v[10:11], v[10:11], v[16:17], -v[18:19]
	v_fma_f64 v[12:13], v[12:13], v[16:17], v[14:15]
	v_add_f64 v[3:4], v[3:4], v[10:11]
	v_add_f64 v[1:2], v[1:2], v[12:13]
	s_andn2_b32 exec_lo, exec_lo, s5
	s_cbranch_execnz .LBB35_37
; %bb.38:
	s_or_b32 exec_lo, exec_lo, s5
	v_mov_b32_e32 v7, 0
	ds_read_b128 v[7:10], v7 offset:96
	s_waitcnt lgkmcnt(0)
	v_mul_f64 v[11:12], v[1:2], v[9:10]
	v_mul_f64 v[9:10], v[3:4], v[9:10]
	v_fma_f64 v[3:4], v[3:4], v[7:8], -v[11:12]
	v_fma_f64 v[1:2], v[1:2], v[7:8], v[9:10]
	buffer_store_dword v4, off, s[0:3], 0 offset:116
	buffer_store_dword v3, off, s[0:3], 0 offset:112
	;; [unrolled: 1-line block ×4, first 2 shown]
.LBB35_39:
	s_or_b32 exec_lo, exec_lo, s4
	v_mov_b32_e32 v4, s41
	s_waitcnt_vscnt null, 0x0
	s_barrier
	buffer_gl0_inv
	s_mov_b32 s4, exec_lo
	s_clause 0x3
	buffer_load_dword v1, v4, s[0:3], 0 offen
	buffer_load_dword v2, v4, s[0:3], 0 offen offset:4
	buffer_load_dword v3, v4, s[0:3], 0 offen offset:8
	;; [unrolled: 1-line block ×3, first 2 shown]
	s_waitcnt vmcnt(0)
	ds_write_b128 v5, v[1:4]
	s_waitcnt lgkmcnt(0)
	s_barrier
	buffer_gl0_inv
	v_cmpx_gt_u32_e32 7, v0
	s_cbranch_execz .LBB35_43
; %bb.40:
	v_mov_b32_e32 v1, 0
	v_mov_b32_e32 v3, 0
	v_add_nc_u32_e32 v7, -1, v0
	v_add_nc_u32_e32 v8, 0x240, v121
	v_mov_b32_e32 v2, 0
	v_mov_b32_e32 v4, 0
	v_add_nc_u32_e32 v9, 16, v121
	s_mov_b32 s5, 0
	.p2align	6
.LBB35_41:                              ; =>This Inner Loop Header: Depth=1
	s_clause 0x3
	buffer_load_dword v14, v9, s[0:3], 0 offen offset:8
	buffer_load_dword v15, v9, s[0:3], 0 offen offset:12
	buffer_load_dword v16, v9, s[0:3], 0 offen
	buffer_load_dword v17, v9, s[0:3], 0 offen offset:4
	ds_read_b128 v[10:13], v8
	v_add_nc_u32_e32 v7, 1, v7
	v_add_nc_u32_e32 v8, 16, v8
	;; [unrolled: 1-line block ×3, first 2 shown]
	v_cmp_lt_u32_e32 vcc_lo, 5, v7
	s_or_b32 s5, vcc_lo, s5
	s_waitcnt vmcnt(2) lgkmcnt(0)
	v_mul_f64 v[18:19], v[12:13], v[14:15]
	v_mul_f64 v[14:15], v[10:11], v[14:15]
	s_waitcnt vmcnt(0)
	v_fma_f64 v[10:11], v[10:11], v[16:17], -v[18:19]
	v_fma_f64 v[12:13], v[12:13], v[16:17], v[14:15]
	v_add_f64 v[3:4], v[3:4], v[10:11]
	v_add_f64 v[1:2], v[1:2], v[12:13]
	s_andn2_b32 exec_lo, exec_lo, s5
	s_cbranch_execnz .LBB35_41
; %bb.42:
	s_or_b32 exec_lo, exec_lo, s5
	v_mov_b32_e32 v7, 0
	ds_read_b128 v[7:10], v7 offset:112
	s_waitcnt lgkmcnt(0)
	v_mul_f64 v[11:12], v[1:2], v[9:10]
	v_mul_f64 v[9:10], v[3:4], v[9:10]
	v_fma_f64 v[3:4], v[3:4], v[7:8], -v[11:12]
	v_fma_f64 v[1:2], v[1:2], v[7:8], v[9:10]
	buffer_store_dword v4, off, s[0:3], 0 offset:132
	buffer_store_dword v3, off, s[0:3], 0 offset:128
	;; [unrolled: 1-line block ×4, first 2 shown]
.LBB35_43:
	s_or_b32 exec_lo, exec_lo, s4
	v_mov_b32_e32 v4, s40
	s_waitcnt_vscnt null, 0x0
	s_barrier
	buffer_gl0_inv
	s_mov_b32 s4, exec_lo
	s_clause 0x3
	buffer_load_dword v1, v4, s[0:3], 0 offen
	buffer_load_dword v2, v4, s[0:3], 0 offen offset:4
	buffer_load_dword v3, v4, s[0:3], 0 offen offset:8
	;; [unrolled: 1-line block ×3, first 2 shown]
	s_waitcnt vmcnt(0)
	ds_write_b128 v5, v[1:4]
	s_waitcnt lgkmcnt(0)
	s_barrier
	buffer_gl0_inv
	v_cmpx_gt_u32_e32 8, v0
	s_cbranch_execz .LBB35_47
; %bb.44:
	v_mov_b32_e32 v1, 0
	v_mov_b32_e32 v3, 0
	v_add_nc_u32_e32 v7, -1, v0
	v_add_nc_u32_e32 v8, 0x240, v121
	v_mov_b32_e32 v2, 0
	v_mov_b32_e32 v4, 0
	v_add_nc_u32_e32 v9, 16, v121
	s_mov_b32 s5, 0
	.p2align	6
.LBB35_45:                              ; =>This Inner Loop Header: Depth=1
	s_clause 0x3
	buffer_load_dword v14, v9, s[0:3], 0 offen offset:8
	buffer_load_dword v15, v9, s[0:3], 0 offen offset:12
	buffer_load_dword v16, v9, s[0:3], 0 offen
	buffer_load_dword v17, v9, s[0:3], 0 offen offset:4
	ds_read_b128 v[10:13], v8
	v_add_nc_u32_e32 v7, 1, v7
	v_add_nc_u32_e32 v8, 16, v8
	;; [unrolled: 1-line block ×3, first 2 shown]
	v_cmp_lt_u32_e32 vcc_lo, 6, v7
	s_or_b32 s5, vcc_lo, s5
	s_waitcnt vmcnt(2) lgkmcnt(0)
	v_mul_f64 v[18:19], v[12:13], v[14:15]
	v_mul_f64 v[14:15], v[10:11], v[14:15]
	s_waitcnt vmcnt(0)
	v_fma_f64 v[10:11], v[10:11], v[16:17], -v[18:19]
	v_fma_f64 v[12:13], v[12:13], v[16:17], v[14:15]
	v_add_f64 v[3:4], v[3:4], v[10:11]
	v_add_f64 v[1:2], v[1:2], v[12:13]
	s_andn2_b32 exec_lo, exec_lo, s5
	s_cbranch_execnz .LBB35_45
; %bb.46:
	s_or_b32 exec_lo, exec_lo, s5
	v_mov_b32_e32 v7, 0
	ds_read_b128 v[7:10], v7 offset:128
	s_waitcnt lgkmcnt(0)
	v_mul_f64 v[11:12], v[1:2], v[9:10]
	v_mul_f64 v[9:10], v[3:4], v[9:10]
	v_fma_f64 v[3:4], v[3:4], v[7:8], -v[11:12]
	v_fma_f64 v[1:2], v[1:2], v[7:8], v[9:10]
	buffer_store_dword v4, off, s[0:3], 0 offset:148
	buffer_store_dword v3, off, s[0:3], 0 offset:144
	;; [unrolled: 1-line block ×4, first 2 shown]
.LBB35_47:
	s_or_b32 exec_lo, exec_lo, s4
	v_mov_b32_e32 v4, s39
	s_waitcnt_vscnt null, 0x0
	s_barrier
	buffer_gl0_inv
	s_mov_b32 s4, exec_lo
	s_clause 0x3
	buffer_load_dword v1, v4, s[0:3], 0 offen
	buffer_load_dword v2, v4, s[0:3], 0 offen offset:4
	buffer_load_dword v3, v4, s[0:3], 0 offen offset:8
	;; [unrolled: 1-line block ×3, first 2 shown]
	s_waitcnt vmcnt(0)
	ds_write_b128 v5, v[1:4]
	s_waitcnt lgkmcnt(0)
	s_barrier
	buffer_gl0_inv
	v_cmpx_gt_u32_e32 9, v0
	s_cbranch_execz .LBB35_51
; %bb.48:
	v_mov_b32_e32 v1, 0
	v_mov_b32_e32 v3, 0
	v_add_nc_u32_e32 v7, -1, v0
	v_add_nc_u32_e32 v8, 0x240, v121
	v_mov_b32_e32 v2, 0
	v_mov_b32_e32 v4, 0
	v_add_nc_u32_e32 v9, 16, v121
	s_mov_b32 s5, 0
	.p2align	6
.LBB35_49:                              ; =>This Inner Loop Header: Depth=1
	s_clause 0x3
	buffer_load_dword v14, v9, s[0:3], 0 offen offset:8
	buffer_load_dword v15, v9, s[0:3], 0 offen offset:12
	buffer_load_dword v16, v9, s[0:3], 0 offen
	buffer_load_dword v17, v9, s[0:3], 0 offen offset:4
	ds_read_b128 v[10:13], v8
	v_add_nc_u32_e32 v7, 1, v7
	v_add_nc_u32_e32 v8, 16, v8
	v_add_nc_u32_e32 v9, 16, v9
	v_cmp_lt_u32_e32 vcc_lo, 7, v7
	s_or_b32 s5, vcc_lo, s5
	s_waitcnt vmcnt(2) lgkmcnt(0)
	v_mul_f64 v[18:19], v[12:13], v[14:15]
	v_mul_f64 v[14:15], v[10:11], v[14:15]
	s_waitcnt vmcnt(0)
	v_fma_f64 v[10:11], v[10:11], v[16:17], -v[18:19]
	v_fma_f64 v[12:13], v[12:13], v[16:17], v[14:15]
	v_add_f64 v[3:4], v[3:4], v[10:11]
	v_add_f64 v[1:2], v[1:2], v[12:13]
	s_andn2_b32 exec_lo, exec_lo, s5
	s_cbranch_execnz .LBB35_49
; %bb.50:
	s_or_b32 exec_lo, exec_lo, s5
	v_mov_b32_e32 v7, 0
	ds_read_b128 v[7:10], v7 offset:144
	s_waitcnt lgkmcnt(0)
	v_mul_f64 v[11:12], v[1:2], v[9:10]
	v_mul_f64 v[9:10], v[3:4], v[9:10]
	v_fma_f64 v[3:4], v[3:4], v[7:8], -v[11:12]
	v_fma_f64 v[1:2], v[1:2], v[7:8], v[9:10]
	buffer_store_dword v4, off, s[0:3], 0 offset:164
	buffer_store_dword v3, off, s[0:3], 0 offset:160
	;; [unrolled: 1-line block ×4, first 2 shown]
.LBB35_51:
	s_or_b32 exec_lo, exec_lo, s4
	v_mov_b32_e32 v4, s38
	s_waitcnt_vscnt null, 0x0
	s_barrier
	buffer_gl0_inv
	s_mov_b32 s4, exec_lo
	s_clause 0x3
	buffer_load_dword v1, v4, s[0:3], 0 offen
	buffer_load_dword v2, v4, s[0:3], 0 offen offset:4
	buffer_load_dword v3, v4, s[0:3], 0 offen offset:8
	;; [unrolled: 1-line block ×3, first 2 shown]
	s_waitcnt vmcnt(0)
	ds_write_b128 v5, v[1:4]
	s_waitcnt lgkmcnt(0)
	s_barrier
	buffer_gl0_inv
	v_cmpx_gt_u32_e32 10, v0
	s_cbranch_execz .LBB35_55
; %bb.52:
	v_mov_b32_e32 v1, 0
	v_mov_b32_e32 v3, 0
	v_add_nc_u32_e32 v7, -1, v0
	v_add_nc_u32_e32 v8, 0x240, v121
	v_mov_b32_e32 v2, 0
	v_mov_b32_e32 v4, 0
	v_add_nc_u32_e32 v9, 16, v121
	s_mov_b32 s5, 0
	.p2align	6
.LBB35_53:                              ; =>This Inner Loop Header: Depth=1
	s_clause 0x3
	buffer_load_dword v14, v9, s[0:3], 0 offen offset:8
	buffer_load_dword v15, v9, s[0:3], 0 offen offset:12
	buffer_load_dword v16, v9, s[0:3], 0 offen
	buffer_load_dword v17, v9, s[0:3], 0 offen offset:4
	ds_read_b128 v[10:13], v8
	v_add_nc_u32_e32 v7, 1, v7
	v_add_nc_u32_e32 v8, 16, v8
	;; [unrolled: 1-line block ×3, first 2 shown]
	v_cmp_lt_u32_e32 vcc_lo, 8, v7
	s_or_b32 s5, vcc_lo, s5
	s_waitcnt vmcnt(2) lgkmcnt(0)
	v_mul_f64 v[18:19], v[12:13], v[14:15]
	v_mul_f64 v[14:15], v[10:11], v[14:15]
	s_waitcnt vmcnt(0)
	v_fma_f64 v[10:11], v[10:11], v[16:17], -v[18:19]
	v_fma_f64 v[12:13], v[12:13], v[16:17], v[14:15]
	v_add_f64 v[3:4], v[3:4], v[10:11]
	v_add_f64 v[1:2], v[1:2], v[12:13]
	s_andn2_b32 exec_lo, exec_lo, s5
	s_cbranch_execnz .LBB35_53
; %bb.54:
	s_or_b32 exec_lo, exec_lo, s5
	v_mov_b32_e32 v7, 0
	ds_read_b128 v[7:10], v7 offset:160
	s_waitcnt lgkmcnt(0)
	v_mul_f64 v[11:12], v[1:2], v[9:10]
	v_mul_f64 v[9:10], v[3:4], v[9:10]
	v_fma_f64 v[3:4], v[3:4], v[7:8], -v[11:12]
	v_fma_f64 v[1:2], v[1:2], v[7:8], v[9:10]
	buffer_store_dword v4, off, s[0:3], 0 offset:180
	buffer_store_dword v3, off, s[0:3], 0 offset:176
	;; [unrolled: 1-line block ×4, first 2 shown]
.LBB35_55:
	s_or_b32 exec_lo, exec_lo, s4
	v_mov_b32_e32 v4, s37
	s_waitcnt_vscnt null, 0x0
	s_barrier
	buffer_gl0_inv
	s_mov_b32 s4, exec_lo
	s_clause 0x3
	buffer_load_dword v1, v4, s[0:3], 0 offen
	buffer_load_dword v2, v4, s[0:3], 0 offen offset:4
	buffer_load_dword v3, v4, s[0:3], 0 offen offset:8
	;; [unrolled: 1-line block ×3, first 2 shown]
	s_waitcnt vmcnt(0)
	ds_write_b128 v5, v[1:4]
	s_waitcnt lgkmcnt(0)
	s_barrier
	buffer_gl0_inv
	v_cmpx_gt_u32_e32 11, v0
	s_cbranch_execz .LBB35_59
; %bb.56:
	v_mov_b32_e32 v1, 0
	v_mov_b32_e32 v3, 0
	v_add_nc_u32_e32 v7, -1, v0
	v_add_nc_u32_e32 v8, 0x240, v121
	v_mov_b32_e32 v2, 0
	v_mov_b32_e32 v4, 0
	v_add_nc_u32_e32 v9, 16, v121
	s_mov_b32 s5, 0
	.p2align	6
.LBB35_57:                              ; =>This Inner Loop Header: Depth=1
	s_clause 0x3
	buffer_load_dword v14, v9, s[0:3], 0 offen offset:8
	buffer_load_dword v15, v9, s[0:3], 0 offen offset:12
	buffer_load_dword v16, v9, s[0:3], 0 offen
	buffer_load_dword v17, v9, s[0:3], 0 offen offset:4
	ds_read_b128 v[10:13], v8
	v_add_nc_u32_e32 v7, 1, v7
	v_add_nc_u32_e32 v8, 16, v8
	;; [unrolled: 1-line block ×3, first 2 shown]
	v_cmp_lt_u32_e32 vcc_lo, 9, v7
	s_or_b32 s5, vcc_lo, s5
	s_waitcnt vmcnt(2) lgkmcnt(0)
	v_mul_f64 v[18:19], v[12:13], v[14:15]
	v_mul_f64 v[14:15], v[10:11], v[14:15]
	s_waitcnt vmcnt(0)
	v_fma_f64 v[10:11], v[10:11], v[16:17], -v[18:19]
	v_fma_f64 v[12:13], v[12:13], v[16:17], v[14:15]
	v_add_f64 v[3:4], v[3:4], v[10:11]
	v_add_f64 v[1:2], v[1:2], v[12:13]
	s_andn2_b32 exec_lo, exec_lo, s5
	s_cbranch_execnz .LBB35_57
; %bb.58:
	s_or_b32 exec_lo, exec_lo, s5
	v_mov_b32_e32 v7, 0
	ds_read_b128 v[7:10], v7 offset:176
	s_waitcnt lgkmcnt(0)
	v_mul_f64 v[11:12], v[1:2], v[9:10]
	v_mul_f64 v[9:10], v[3:4], v[9:10]
	v_fma_f64 v[3:4], v[3:4], v[7:8], -v[11:12]
	v_fma_f64 v[1:2], v[1:2], v[7:8], v[9:10]
	buffer_store_dword v4, off, s[0:3], 0 offset:196
	buffer_store_dword v3, off, s[0:3], 0 offset:192
	;; [unrolled: 1-line block ×4, first 2 shown]
.LBB35_59:
	s_or_b32 exec_lo, exec_lo, s4
	v_mov_b32_e32 v4, s36
	s_waitcnt_vscnt null, 0x0
	s_barrier
	buffer_gl0_inv
	s_mov_b32 s4, exec_lo
	s_clause 0x3
	buffer_load_dword v1, v4, s[0:3], 0 offen
	buffer_load_dword v2, v4, s[0:3], 0 offen offset:4
	buffer_load_dword v3, v4, s[0:3], 0 offen offset:8
	;; [unrolled: 1-line block ×3, first 2 shown]
	s_waitcnt vmcnt(0)
	ds_write_b128 v5, v[1:4]
	s_waitcnt lgkmcnt(0)
	s_barrier
	buffer_gl0_inv
	v_cmpx_gt_u32_e32 12, v0
	s_cbranch_execz .LBB35_63
; %bb.60:
	v_mov_b32_e32 v1, 0
	v_mov_b32_e32 v3, 0
	v_add_nc_u32_e32 v7, -1, v0
	v_add_nc_u32_e32 v8, 0x240, v121
	v_mov_b32_e32 v2, 0
	v_mov_b32_e32 v4, 0
	v_add_nc_u32_e32 v9, 16, v121
	s_mov_b32 s5, 0
	.p2align	6
.LBB35_61:                              ; =>This Inner Loop Header: Depth=1
	s_clause 0x3
	buffer_load_dword v14, v9, s[0:3], 0 offen offset:8
	buffer_load_dword v15, v9, s[0:3], 0 offen offset:12
	buffer_load_dword v16, v9, s[0:3], 0 offen
	buffer_load_dword v17, v9, s[0:3], 0 offen offset:4
	ds_read_b128 v[10:13], v8
	v_add_nc_u32_e32 v7, 1, v7
	v_add_nc_u32_e32 v8, 16, v8
	;; [unrolled: 1-line block ×3, first 2 shown]
	v_cmp_lt_u32_e32 vcc_lo, 10, v7
	s_or_b32 s5, vcc_lo, s5
	s_waitcnt vmcnt(2) lgkmcnt(0)
	v_mul_f64 v[18:19], v[12:13], v[14:15]
	v_mul_f64 v[14:15], v[10:11], v[14:15]
	s_waitcnt vmcnt(0)
	v_fma_f64 v[10:11], v[10:11], v[16:17], -v[18:19]
	v_fma_f64 v[12:13], v[12:13], v[16:17], v[14:15]
	v_add_f64 v[3:4], v[3:4], v[10:11]
	v_add_f64 v[1:2], v[1:2], v[12:13]
	s_andn2_b32 exec_lo, exec_lo, s5
	s_cbranch_execnz .LBB35_61
; %bb.62:
	s_or_b32 exec_lo, exec_lo, s5
	v_mov_b32_e32 v7, 0
	ds_read_b128 v[7:10], v7 offset:192
	s_waitcnt lgkmcnt(0)
	v_mul_f64 v[11:12], v[1:2], v[9:10]
	v_mul_f64 v[9:10], v[3:4], v[9:10]
	v_fma_f64 v[3:4], v[3:4], v[7:8], -v[11:12]
	v_fma_f64 v[1:2], v[1:2], v[7:8], v[9:10]
	buffer_store_dword v4, off, s[0:3], 0 offset:212
	buffer_store_dword v3, off, s[0:3], 0 offset:208
	;; [unrolled: 1-line block ×4, first 2 shown]
.LBB35_63:
	s_or_b32 exec_lo, exec_lo, s4
	v_mov_b32_e32 v4, s35
	s_waitcnt_vscnt null, 0x0
	s_barrier
	buffer_gl0_inv
	s_mov_b32 s4, exec_lo
	s_clause 0x3
	buffer_load_dword v1, v4, s[0:3], 0 offen
	buffer_load_dword v2, v4, s[0:3], 0 offen offset:4
	buffer_load_dword v3, v4, s[0:3], 0 offen offset:8
	;; [unrolled: 1-line block ×3, first 2 shown]
	s_waitcnt vmcnt(0)
	ds_write_b128 v5, v[1:4]
	s_waitcnt lgkmcnt(0)
	s_barrier
	buffer_gl0_inv
	v_cmpx_gt_u32_e32 13, v0
	s_cbranch_execz .LBB35_67
; %bb.64:
	v_mov_b32_e32 v1, 0
	v_mov_b32_e32 v3, 0
	v_add_nc_u32_e32 v7, -1, v0
	v_add_nc_u32_e32 v8, 0x240, v121
	v_mov_b32_e32 v2, 0
	v_mov_b32_e32 v4, 0
	v_add_nc_u32_e32 v9, 16, v121
	s_mov_b32 s5, 0
	.p2align	6
.LBB35_65:                              ; =>This Inner Loop Header: Depth=1
	s_clause 0x3
	buffer_load_dword v14, v9, s[0:3], 0 offen offset:8
	buffer_load_dword v15, v9, s[0:3], 0 offen offset:12
	buffer_load_dword v16, v9, s[0:3], 0 offen
	buffer_load_dword v17, v9, s[0:3], 0 offen offset:4
	ds_read_b128 v[10:13], v8
	v_add_nc_u32_e32 v7, 1, v7
	v_add_nc_u32_e32 v8, 16, v8
	;; [unrolled: 1-line block ×3, first 2 shown]
	v_cmp_lt_u32_e32 vcc_lo, 11, v7
	s_or_b32 s5, vcc_lo, s5
	s_waitcnt vmcnt(2) lgkmcnt(0)
	v_mul_f64 v[18:19], v[12:13], v[14:15]
	v_mul_f64 v[14:15], v[10:11], v[14:15]
	s_waitcnt vmcnt(0)
	v_fma_f64 v[10:11], v[10:11], v[16:17], -v[18:19]
	v_fma_f64 v[12:13], v[12:13], v[16:17], v[14:15]
	v_add_f64 v[3:4], v[3:4], v[10:11]
	v_add_f64 v[1:2], v[1:2], v[12:13]
	s_andn2_b32 exec_lo, exec_lo, s5
	s_cbranch_execnz .LBB35_65
; %bb.66:
	s_or_b32 exec_lo, exec_lo, s5
	v_mov_b32_e32 v7, 0
	ds_read_b128 v[7:10], v7 offset:208
	s_waitcnt lgkmcnt(0)
	v_mul_f64 v[11:12], v[1:2], v[9:10]
	v_mul_f64 v[9:10], v[3:4], v[9:10]
	v_fma_f64 v[3:4], v[3:4], v[7:8], -v[11:12]
	v_fma_f64 v[1:2], v[1:2], v[7:8], v[9:10]
	buffer_store_dword v4, off, s[0:3], 0 offset:228
	buffer_store_dword v3, off, s[0:3], 0 offset:224
	;; [unrolled: 1-line block ×4, first 2 shown]
.LBB35_67:
	s_or_b32 exec_lo, exec_lo, s4
	v_mov_b32_e32 v4, s34
	s_waitcnt_vscnt null, 0x0
	s_barrier
	buffer_gl0_inv
	s_mov_b32 s4, exec_lo
	s_clause 0x3
	buffer_load_dword v1, v4, s[0:3], 0 offen
	buffer_load_dword v2, v4, s[0:3], 0 offen offset:4
	buffer_load_dword v3, v4, s[0:3], 0 offen offset:8
	;; [unrolled: 1-line block ×3, first 2 shown]
	s_waitcnt vmcnt(0)
	ds_write_b128 v5, v[1:4]
	s_waitcnt lgkmcnt(0)
	s_barrier
	buffer_gl0_inv
	v_cmpx_gt_u32_e32 14, v0
	s_cbranch_execz .LBB35_71
; %bb.68:
	v_mov_b32_e32 v1, 0
	v_mov_b32_e32 v3, 0
	v_add_nc_u32_e32 v7, -1, v0
	v_add_nc_u32_e32 v8, 0x240, v121
	v_mov_b32_e32 v2, 0
	v_mov_b32_e32 v4, 0
	v_add_nc_u32_e32 v9, 16, v121
	s_mov_b32 s5, 0
	.p2align	6
.LBB35_69:                              ; =>This Inner Loop Header: Depth=1
	s_clause 0x3
	buffer_load_dword v14, v9, s[0:3], 0 offen offset:8
	buffer_load_dword v15, v9, s[0:3], 0 offen offset:12
	buffer_load_dword v16, v9, s[0:3], 0 offen
	buffer_load_dword v17, v9, s[0:3], 0 offen offset:4
	ds_read_b128 v[10:13], v8
	v_add_nc_u32_e32 v7, 1, v7
	v_add_nc_u32_e32 v8, 16, v8
	;; [unrolled: 1-line block ×3, first 2 shown]
	v_cmp_lt_u32_e32 vcc_lo, 12, v7
	s_or_b32 s5, vcc_lo, s5
	s_waitcnt vmcnt(2) lgkmcnt(0)
	v_mul_f64 v[18:19], v[12:13], v[14:15]
	v_mul_f64 v[14:15], v[10:11], v[14:15]
	s_waitcnt vmcnt(0)
	v_fma_f64 v[10:11], v[10:11], v[16:17], -v[18:19]
	v_fma_f64 v[12:13], v[12:13], v[16:17], v[14:15]
	v_add_f64 v[3:4], v[3:4], v[10:11]
	v_add_f64 v[1:2], v[1:2], v[12:13]
	s_andn2_b32 exec_lo, exec_lo, s5
	s_cbranch_execnz .LBB35_69
; %bb.70:
	s_or_b32 exec_lo, exec_lo, s5
	v_mov_b32_e32 v7, 0
	ds_read_b128 v[7:10], v7 offset:224
	s_waitcnt lgkmcnt(0)
	v_mul_f64 v[11:12], v[1:2], v[9:10]
	v_mul_f64 v[9:10], v[3:4], v[9:10]
	v_fma_f64 v[3:4], v[3:4], v[7:8], -v[11:12]
	v_fma_f64 v[1:2], v[1:2], v[7:8], v[9:10]
	buffer_store_dword v4, off, s[0:3], 0 offset:244
	buffer_store_dword v3, off, s[0:3], 0 offset:240
	;; [unrolled: 1-line block ×4, first 2 shown]
.LBB35_71:
	s_or_b32 exec_lo, exec_lo, s4
	v_mov_b32_e32 v4, s33
	s_waitcnt_vscnt null, 0x0
	s_barrier
	buffer_gl0_inv
	s_mov_b32 s4, exec_lo
	s_clause 0x3
	buffer_load_dword v1, v4, s[0:3], 0 offen
	buffer_load_dword v2, v4, s[0:3], 0 offen offset:4
	buffer_load_dword v3, v4, s[0:3], 0 offen offset:8
	;; [unrolled: 1-line block ×3, first 2 shown]
	s_waitcnt vmcnt(0)
	ds_write_b128 v5, v[1:4]
	s_waitcnt lgkmcnt(0)
	s_barrier
	buffer_gl0_inv
	v_cmpx_gt_u32_e32 15, v0
	s_cbranch_execz .LBB35_75
; %bb.72:
	v_mov_b32_e32 v1, 0
	v_mov_b32_e32 v3, 0
	v_add_nc_u32_e32 v7, -1, v0
	v_add_nc_u32_e32 v8, 0x240, v121
	v_mov_b32_e32 v2, 0
	v_mov_b32_e32 v4, 0
	v_add_nc_u32_e32 v9, 16, v121
	s_mov_b32 s5, 0
	.p2align	6
.LBB35_73:                              ; =>This Inner Loop Header: Depth=1
	s_clause 0x3
	buffer_load_dword v14, v9, s[0:3], 0 offen offset:8
	buffer_load_dword v15, v9, s[0:3], 0 offen offset:12
	buffer_load_dword v16, v9, s[0:3], 0 offen
	buffer_load_dword v17, v9, s[0:3], 0 offen offset:4
	ds_read_b128 v[10:13], v8
	v_add_nc_u32_e32 v7, 1, v7
	v_add_nc_u32_e32 v8, 16, v8
	;; [unrolled: 1-line block ×3, first 2 shown]
	v_cmp_lt_u32_e32 vcc_lo, 13, v7
	s_or_b32 s5, vcc_lo, s5
	s_waitcnt vmcnt(2) lgkmcnt(0)
	v_mul_f64 v[18:19], v[12:13], v[14:15]
	v_mul_f64 v[14:15], v[10:11], v[14:15]
	s_waitcnt vmcnt(0)
	v_fma_f64 v[10:11], v[10:11], v[16:17], -v[18:19]
	v_fma_f64 v[12:13], v[12:13], v[16:17], v[14:15]
	v_add_f64 v[3:4], v[3:4], v[10:11]
	v_add_f64 v[1:2], v[1:2], v[12:13]
	s_andn2_b32 exec_lo, exec_lo, s5
	s_cbranch_execnz .LBB35_73
; %bb.74:
	s_or_b32 exec_lo, exec_lo, s5
	v_mov_b32_e32 v7, 0
	ds_read_b128 v[7:10], v7 offset:240
	s_waitcnt lgkmcnt(0)
	v_mul_f64 v[11:12], v[1:2], v[9:10]
	v_mul_f64 v[9:10], v[3:4], v[9:10]
	v_fma_f64 v[3:4], v[3:4], v[7:8], -v[11:12]
	v_fma_f64 v[1:2], v[1:2], v[7:8], v[9:10]
	buffer_store_dword v4, off, s[0:3], 0 offset:260
	buffer_store_dword v3, off, s[0:3], 0 offset:256
	;; [unrolled: 1-line block ×4, first 2 shown]
.LBB35_75:
	s_or_b32 exec_lo, exec_lo, s4
	v_mov_b32_e32 v4, s31
	s_waitcnt_vscnt null, 0x0
	s_barrier
	buffer_gl0_inv
	s_mov_b32 s4, exec_lo
	s_clause 0x3
	buffer_load_dword v1, v4, s[0:3], 0 offen
	buffer_load_dword v2, v4, s[0:3], 0 offen offset:4
	buffer_load_dword v3, v4, s[0:3], 0 offen offset:8
	;; [unrolled: 1-line block ×3, first 2 shown]
	s_waitcnt vmcnt(0)
	ds_write_b128 v5, v[1:4]
	s_waitcnt lgkmcnt(0)
	s_barrier
	buffer_gl0_inv
	v_cmpx_gt_u32_e32 16, v0
	s_cbranch_execz .LBB35_79
; %bb.76:
	v_mov_b32_e32 v1, 0
	v_mov_b32_e32 v3, 0
	v_add_nc_u32_e32 v7, -1, v0
	v_add_nc_u32_e32 v8, 0x240, v121
	v_mov_b32_e32 v2, 0
	v_mov_b32_e32 v4, 0
	v_add_nc_u32_e32 v9, 16, v121
	s_mov_b32 s5, 0
	.p2align	6
.LBB35_77:                              ; =>This Inner Loop Header: Depth=1
	s_clause 0x3
	buffer_load_dword v14, v9, s[0:3], 0 offen offset:8
	buffer_load_dword v15, v9, s[0:3], 0 offen offset:12
	buffer_load_dword v16, v9, s[0:3], 0 offen
	buffer_load_dword v17, v9, s[0:3], 0 offen offset:4
	ds_read_b128 v[10:13], v8
	v_add_nc_u32_e32 v7, 1, v7
	v_add_nc_u32_e32 v8, 16, v8
	;; [unrolled: 1-line block ×3, first 2 shown]
	v_cmp_lt_u32_e32 vcc_lo, 14, v7
	s_or_b32 s5, vcc_lo, s5
	s_waitcnt vmcnt(2) lgkmcnt(0)
	v_mul_f64 v[18:19], v[12:13], v[14:15]
	v_mul_f64 v[14:15], v[10:11], v[14:15]
	s_waitcnt vmcnt(0)
	v_fma_f64 v[10:11], v[10:11], v[16:17], -v[18:19]
	v_fma_f64 v[12:13], v[12:13], v[16:17], v[14:15]
	v_add_f64 v[3:4], v[3:4], v[10:11]
	v_add_f64 v[1:2], v[1:2], v[12:13]
	s_andn2_b32 exec_lo, exec_lo, s5
	s_cbranch_execnz .LBB35_77
; %bb.78:
	s_or_b32 exec_lo, exec_lo, s5
	v_mov_b32_e32 v7, 0
	ds_read_b128 v[7:10], v7 offset:256
	s_waitcnt lgkmcnt(0)
	v_mul_f64 v[11:12], v[1:2], v[9:10]
	v_mul_f64 v[9:10], v[3:4], v[9:10]
	v_fma_f64 v[3:4], v[3:4], v[7:8], -v[11:12]
	v_fma_f64 v[1:2], v[1:2], v[7:8], v[9:10]
	buffer_store_dword v4, off, s[0:3], 0 offset:276
	buffer_store_dword v3, off, s[0:3], 0 offset:272
	buffer_store_dword v2, off, s[0:3], 0 offset:284
	buffer_store_dword v1, off, s[0:3], 0 offset:280
.LBB35_79:
	s_or_b32 exec_lo, exec_lo, s4
	v_mov_b32_e32 v4, s30
	s_waitcnt_vscnt null, 0x0
	s_barrier
	buffer_gl0_inv
	s_mov_b32 s4, exec_lo
	s_clause 0x3
	buffer_load_dword v1, v4, s[0:3], 0 offen
	buffer_load_dword v2, v4, s[0:3], 0 offen offset:4
	buffer_load_dword v3, v4, s[0:3], 0 offen offset:8
	;; [unrolled: 1-line block ×3, first 2 shown]
	s_waitcnt vmcnt(0)
	ds_write_b128 v5, v[1:4]
	s_waitcnt lgkmcnt(0)
	s_barrier
	buffer_gl0_inv
	v_cmpx_gt_u32_e32 17, v0
	s_cbranch_execz .LBB35_83
; %bb.80:
	v_mov_b32_e32 v1, 0
	v_mov_b32_e32 v3, 0
	v_add_nc_u32_e32 v7, -1, v0
	v_add_nc_u32_e32 v8, 0x240, v121
	v_mov_b32_e32 v2, 0
	v_mov_b32_e32 v4, 0
	v_add_nc_u32_e32 v9, 16, v121
	s_mov_b32 s5, 0
	.p2align	6
.LBB35_81:                              ; =>This Inner Loop Header: Depth=1
	s_clause 0x3
	buffer_load_dword v14, v9, s[0:3], 0 offen offset:8
	buffer_load_dword v15, v9, s[0:3], 0 offen offset:12
	buffer_load_dword v16, v9, s[0:3], 0 offen
	buffer_load_dword v17, v9, s[0:3], 0 offen offset:4
	ds_read_b128 v[10:13], v8
	v_add_nc_u32_e32 v7, 1, v7
	v_add_nc_u32_e32 v8, 16, v8
	;; [unrolled: 1-line block ×3, first 2 shown]
	v_cmp_lt_u32_e32 vcc_lo, 15, v7
	s_or_b32 s5, vcc_lo, s5
	s_waitcnt vmcnt(2) lgkmcnt(0)
	v_mul_f64 v[18:19], v[12:13], v[14:15]
	v_mul_f64 v[14:15], v[10:11], v[14:15]
	s_waitcnt vmcnt(0)
	v_fma_f64 v[10:11], v[10:11], v[16:17], -v[18:19]
	v_fma_f64 v[12:13], v[12:13], v[16:17], v[14:15]
	v_add_f64 v[3:4], v[3:4], v[10:11]
	v_add_f64 v[1:2], v[1:2], v[12:13]
	s_andn2_b32 exec_lo, exec_lo, s5
	s_cbranch_execnz .LBB35_81
; %bb.82:
	s_or_b32 exec_lo, exec_lo, s5
	v_mov_b32_e32 v7, 0
	ds_read_b128 v[7:10], v7 offset:272
	s_waitcnt lgkmcnt(0)
	v_mul_f64 v[11:12], v[1:2], v[9:10]
	v_mul_f64 v[9:10], v[3:4], v[9:10]
	v_fma_f64 v[3:4], v[3:4], v[7:8], -v[11:12]
	v_fma_f64 v[1:2], v[1:2], v[7:8], v[9:10]
	buffer_store_dword v4, off, s[0:3], 0 offset:292
	buffer_store_dword v3, off, s[0:3], 0 offset:288
	buffer_store_dword v2, off, s[0:3], 0 offset:300
	buffer_store_dword v1, off, s[0:3], 0 offset:296
.LBB35_83:
	s_or_b32 exec_lo, exec_lo, s4
	v_mov_b32_e32 v4, s29
	s_waitcnt_vscnt null, 0x0
	s_barrier
	buffer_gl0_inv
	s_mov_b32 s4, exec_lo
	s_clause 0x3
	buffer_load_dword v1, v4, s[0:3], 0 offen
	buffer_load_dword v2, v4, s[0:3], 0 offen offset:4
	buffer_load_dword v3, v4, s[0:3], 0 offen offset:8
	buffer_load_dword v4, v4, s[0:3], 0 offen offset:12
	s_waitcnt vmcnt(0)
	ds_write_b128 v5, v[1:4]
	s_waitcnt lgkmcnt(0)
	s_barrier
	buffer_gl0_inv
	v_cmpx_gt_u32_e32 18, v0
	s_cbranch_execz .LBB35_87
; %bb.84:
	v_mov_b32_e32 v1, 0
	v_mov_b32_e32 v3, 0
	v_add_nc_u32_e32 v7, -1, v0
	v_add_nc_u32_e32 v8, 0x240, v121
	v_mov_b32_e32 v2, 0
	v_mov_b32_e32 v4, 0
	v_add_nc_u32_e32 v9, 16, v121
	s_mov_b32 s5, 0
	.p2align	6
.LBB35_85:                              ; =>This Inner Loop Header: Depth=1
	s_clause 0x3
	buffer_load_dword v14, v9, s[0:3], 0 offen offset:8
	buffer_load_dword v15, v9, s[0:3], 0 offen offset:12
	buffer_load_dword v16, v9, s[0:3], 0 offen
	buffer_load_dword v17, v9, s[0:3], 0 offen offset:4
	ds_read_b128 v[10:13], v8
	v_add_nc_u32_e32 v7, 1, v7
	v_add_nc_u32_e32 v8, 16, v8
	;; [unrolled: 1-line block ×3, first 2 shown]
	v_cmp_lt_u32_e32 vcc_lo, 16, v7
	s_or_b32 s5, vcc_lo, s5
	s_waitcnt vmcnt(2) lgkmcnt(0)
	v_mul_f64 v[18:19], v[12:13], v[14:15]
	v_mul_f64 v[14:15], v[10:11], v[14:15]
	s_waitcnt vmcnt(0)
	v_fma_f64 v[10:11], v[10:11], v[16:17], -v[18:19]
	v_fma_f64 v[12:13], v[12:13], v[16:17], v[14:15]
	v_add_f64 v[3:4], v[3:4], v[10:11]
	v_add_f64 v[1:2], v[1:2], v[12:13]
	s_andn2_b32 exec_lo, exec_lo, s5
	s_cbranch_execnz .LBB35_85
; %bb.86:
	s_or_b32 exec_lo, exec_lo, s5
	v_mov_b32_e32 v7, 0
	ds_read_b128 v[7:10], v7 offset:288
	s_waitcnt lgkmcnt(0)
	v_mul_f64 v[11:12], v[1:2], v[9:10]
	v_mul_f64 v[9:10], v[3:4], v[9:10]
	v_fma_f64 v[3:4], v[3:4], v[7:8], -v[11:12]
	v_fma_f64 v[1:2], v[1:2], v[7:8], v[9:10]
	buffer_store_dword v4, off, s[0:3], 0 offset:308
	buffer_store_dword v3, off, s[0:3], 0 offset:304
	;; [unrolled: 1-line block ×4, first 2 shown]
.LBB35_87:
	s_or_b32 exec_lo, exec_lo, s4
	v_mov_b32_e32 v4, s28
	s_waitcnt_vscnt null, 0x0
	s_barrier
	buffer_gl0_inv
	s_mov_b32 s4, exec_lo
	s_clause 0x3
	buffer_load_dword v1, v4, s[0:3], 0 offen
	buffer_load_dword v2, v4, s[0:3], 0 offen offset:4
	buffer_load_dword v3, v4, s[0:3], 0 offen offset:8
	;; [unrolled: 1-line block ×3, first 2 shown]
	s_waitcnt vmcnt(0)
	ds_write_b128 v5, v[1:4]
	s_waitcnt lgkmcnt(0)
	s_barrier
	buffer_gl0_inv
	v_cmpx_gt_u32_e32 19, v0
	s_cbranch_execz .LBB35_91
; %bb.88:
	v_mov_b32_e32 v1, 0
	v_mov_b32_e32 v3, 0
	v_add_nc_u32_e32 v7, -1, v0
	v_add_nc_u32_e32 v8, 0x240, v121
	v_mov_b32_e32 v2, 0
	v_mov_b32_e32 v4, 0
	v_add_nc_u32_e32 v9, 16, v121
	s_mov_b32 s5, 0
	.p2align	6
.LBB35_89:                              ; =>This Inner Loop Header: Depth=1
	s_clause 0x3
	buffer_load_dword v14, v9, s[0:3], 0 offen offset:8
	buffer_load_dword v15, v9, s[0:3], 0 offen offset:12
	buffer_load_dword v16, v9, s[0:3], 0 offen
	buffer_load_dword v17, v9, s[0:3], 0 offen offset:4
	ds_read_b128 v[10:13], v8
	v_add_nc_u32_e32 v7, 1, v7
	v_add_nc_u32_e32 v8, 16, v8
	;; [unrolled: 1-line block ×3, first 2 shown]
	v_cmp_lt_u32_e32 vcc_lo, 17, v7
	s_or_b32 s5, vcc_lo, s5
	s_waitcnt vmcnt(2) lgkmcnt(0)
	v_mul_f64 v[18:19], v[12:13], v[14:15]
	v_mul_f64 v[14:15], v[10:11], v[14:15]
	s_waitcnt vmcnt(0)
	v_fma_f64 v[10:11], v[10:11], v[16:17], -v[18:19]
	v_fma_f64 v[12:13], v[12:13], v[16:17], v[14:15]
	v_add_f64 v[3:4], v[3:4], v[10:11]
	v_add_f64 v[1:2], v[1:2], v[12:13]
	s_andn2_b32 exec_lo, exec_lo, s5
	s_cbranch_execnz .LBB35_89
; %bb.90:
	s_or_b32 exec_lo, exec_lo, s5
	v_mov_b32_e32 v7, 0
	ds_read_b128 v[7:10], v7 offset:304
	s_waitcnt lgkmcnt(0)
	v_mul_f64 v[11:12], v[1:2], v[9:10]
	v_mul_f64 v[9:10], v[3:4], v[9:10]
	v_fma_f64 v[3:4], v[3:4], v[7:8], -v[11:12]
	v_fma_f64 v[1:2], v[1:2], v[7:8], v[9:10]
	buffer_store_dword v4, off, s[0:3], 0 offset:324
	buffer_store_dword v3, off, s[0:3], 0 offset:320
	;; [unrolled: 1-line block ×4, first 2 shown]
.LBB35_91:
	s_or_b32 exec_lo, exec_lo, s4
	v_mov_b32_e32 v4, s27
	s_waitcnt_vscnt null, 0x0
	s_barrier
	buffer_gl0_inv
	s_mov_b32 s4, exec_lo
	s_clause 0x3
	buffer_load_dword v1, v4, s[0:3], 0 offen
	buffer_load_dword v2, v4, s[0:3], 0 offen offset:4
	buffer_load_dword v3, v4, s[0:3], 0 offen offset:8
	buffer_load_dword v4, v4, s[0:3], 0 offen offset:12
	s_waitcnt vmcnt(0)
	ds_write_b128 v5, v[1:4]
	s_waitcnt lgkmcnt(0)
	s_barrier
	buffer_gl0_inv
	v_cmpx_gt_u32_e32 20, v0
	s_cbranch_execz .LBB35_95
; %bb.92:
	v_mov_b32_e32 v1, 0
	v_mov_b32_e32 v3, 0
	v_add_nc_u32_e32 v7, -1, v0
	v_add_nc_u32_e32 v8, 0x240, v121
	v_mov_b32_e32 v2, 0
	v_mov_b32_e32 v4, 0
	v_add_nc_u32_e32 v9, 16, v121
	s_mov_b32 s5, 0
	.p2align	6
.LBB35_93:                              ; =>This Inner Loop Header: Depth=1
	s_clause 0x3
	buffer_load_dword v14, v9, s[0:3], 0 offen offset:8
	buffer_load_dword v15, v9, s[0:3], 0 offen offset:12
	buffer_load_dword v16, v9, s[0:3], 0 offen
	buffer_load_dword v17, v9, s[0:3], 0 offen offset:4
	ds_read_b128 v[10:13], v8
	v_add_nc_u32_e32 v7, 1, v7
	v_add_nc_u32_e32 v8, 16, v8
	;; [unrolled: 1-line block ×3, first 2 shown]
	v_cmp_lt_u32_e32 vcc_lo, 18, v7
	s_or_b32 s5, vcc_lo, s5
	s_waitcnt vmcnt(2) lgkmcnt(0)
	v_mul_f64 v[18:19], v[12:13], v[14:15]
	v_mul_f64 v[14:15], v[10:11], v[14:15]
	s_waitcnt vmcnt(0)
	v_fma_f64 v[10:11], v[10:11], v[16:17], -v[18:19]
	v_fma_f64 v[12:13], v[12:13], v[16:17], v[14:15]
	v_add_f64 v[3:4], v[3:4], v[10:11]
	v_add_f64 v[1:2], v[1:2], v[12:13]
	s_andn2_b32 exec_lo, exec_lo, s5
	s_cbranch_execnz .LBB35_93
; %bb.94:
	s_or_b32 exec_lo, exec_lo, s5
	v_mov_b32_e32 v7, 0
	ds_read_b128 v[7:10], v7 offset:320
	s_waitcnt lgkmcnt(0)
	v_mul_f64 v[11:12], v[1:2], v[9:10]
	v_mul_f64 v[9:10], v[3:4], v[9:10]
	v_fma_f64 v[3:4], v[3:4], v[7:8], -v[11:12]
	v_fma_f64 v[1:2], v[1:2], v[7:8], v[9:10]
	buffer_store_dword v4, off, s[0:3], 0 offset:340
	buffer_store_dword v3, off, s[0:3], 0 offset:336
	;; [unrolled: 1-line block ×4, first 2 shown]
.LBB35_95:
	s_or_b32 exec_lo, exec_lo, s4
	v_mov_b32_e32 v4, s26
	s_waitcnt_vscnt null, 0x0
	s_barrier
	buffer_gl0_inv
	s_mov_b32 s4, exec_lo
	s_clause 0x3
	buffer_load_dword v1, v4, s[0:3], 0 offen
	buffer_load_dword v2, v4, s[0:3], 0 offen offset:4
	buffer_load_dword v3, v4, s[0:3], 0 offen offset:8
	;; [unrolled: 1-line block ×3, first 2 shown]
	s_waitcnt vmcnt(0)
	ds_write_b128 v5, v[1:4]
	s_waitcnt lgkmcnt(0)
	s_barrier
	buffer_gl0_inv
	v_cmpx_gt_u32_e32 21, v0
	s_cbranch_execz .LBB35_99
; %bb.96:
	v_mov_b32_e32 v1, 0
	v_mov_b32_e32 v3, 0
	v_add_nc_u32_e32 v7, -1, v0
	v_add_nc_u32_e32 v8, 0x240, v121
	v_mov_b32_e32 v2, 0
	v_mov_b32_e32 v4, 0
	v_add_nc_u32_e32 v9, 16, v121
	s_mov_b32 s5, 0
	.p2align	6
.LBB35_97:                              ; =>This Inner Loop Header: Depth=1
	s_clause 0x3
	buffer_load_dword v14, v9, s[0:3], 0 offen offset:8
	buffer_load_dword v15, v9, s[0:3], 0 offen offset:12
	buffer_load_dword v16, v9, s[0:3], 0 offen
	buffer_load_dword v17, v9, s[0:3], 0 offen offset:4
	ds_read_b128 v[10:13], v8
	v_add_nc_u32_e32 v7, 1, v7
	v_add_nc_u32_e32 v8, 16, v8
	;; [unrolled: 1-line block ×3, first 2 shown]
	v_cmp_lt_u32_e32 vcc_lo, 19, v7
	s_or_b32 s5, vcc_lo, s5
	s_waitcnt vmcnt(2) lgkmcnt(0)
	v_mul_f64 v[18:19], v[12:13], v[14:15]
	v_mul_f64 v[14:15], v[10:11], v[14:15]
	s_waitcnt vmcnt(0)
	v_fma_f64 v[10:11], v[10:11], v[16:17], -v[18:19]
	v_fma_f64 v[12:13], v[12:13], v[16:17], v[14:15]
	v_add_f64 v[3:4], v[3:4], v[10:11]
	v_add_f64 v[1:2], v[1:2], v[12:13]
	s_andn2_b32 exec_lo, exec_lo, s5
	s_cbranch_execnz .LBB35_97
; %bb.98:
	s_or_b32 exec_lo, exec_lo, s5
	v_mov_b32_e32 v7, 0
	ds_read_b128 v[7:10], v7 offset:336
	s_waitcnt lgkmcnt(0)
	v_mul_f64 v[11:12], v[1:2], v[9:10]
	v_mul_f64 v[9:10], v[3:4], v[9:10]
	v_fma_f64 v[3:4], v[3:4], v[7:8], -v[11:12]
	v_fma_f64 v[1:2], v[1:2], v[7:8], v[9:10]
	buffer_store_dword v4, off, s[0:3], 0 offset:356
	buffer_store_dword v3, off, s[0:3], 0 offset:352
	;; [unrolled: 1-line block ×4, first 2 shown]
.LBB35_99:
	s_or_b32 exec_lo, exec_lo, s4
	v_mov_b32_e32 v4, s25
	s_waitcnt_vscnt null, 0x0
	s_barrier
	buffer_gl0_inv
	s_mov_b32 s4, exec_lo
	s_clause 0x3
	buffer_load_dword v1, v4, s[0:3], 0 offen
	buffer_load_dword v2, v4, s[0:3], 0 offen offset:4
	buffer_load_dword v3, v4, s[0:3], 0 offen offset:8
	;; [unrolled: 1-line block ×3, first 2 shown]
	s_waitcnt vmcnt(0)
	ds_write_b128 v5, v[1:4]
	s_waitcnt lgkmcnt(0)
	s_barrier
	buffer_gl0_inv
	v_cmpx_gt_u32_e32 22, v0
	s_cbranch_execz .LBB35_103
; %bb.100:
	v_mov_b32_e32 v1, 0
	v_mov_b32_e32 v3, 0
	v_add_nc_u32_e32 v7, -1, v0
	v_add_nc_u32_e32 v8, 0x240, v121
	v_mov_b32_e32 v2, 0
	v_mov_b32_e32 v4, 0
	v_add_nc_u32_e32 v9, 16, v121
	s_mov_b32 s5, 0
	.p2align	6
.LBB35_101:                             ; =>This Inner Loop Header: Depth=1
	s_clause 0x3
	buffer_load_dword v14, v9, s[0:3], 0 offen offset:8
	buffer_load_dword v15, v9, s[0:3], 0 offen offset:12
	buffer_load_dword v16, v9, s[0:3], 0 offen
	buffer_load_dword v17, v9, s[0:3], 0 offen offset:4
	ds_read_b128 v[10:13], v8
	v_add_nc_u32_e32 v7, 1, v7
	v_add_nc_u32_e32 v8, 16, v8
	;; [unrolled: 1-line block ×3, first 2 shown]
	v_cmp_lt_u32_e32 vcc_lo, 20, v7
	s_or_b32 s5, vcc_lo, s5
	s_waitcnt vmcnt(2) lgkmcnt(0)
	v_mul_f64 v[18:19], v[12:13], v[14:15]
	v_mul_f64 v[14:15], v[10:11], v[14:15]
	s_waitcnt vmcnt(0)
	v_fma_f64 v[10:11], v[10:11], v[16:17], -v[18:19]
	v_fma_f64 v[12:13], v[12:13], v[16:17], v[14:15]
	v_add_f64 v[3:4], v[3:4], v[10:11]
	v_add_f64 v[1:2], v[1:2], v[12:13]
	s_andn2_b32 exec_lo, exec_lo, s5
	s_cbranch_execnz .LBB35_101
; %bb.102:
	s_or_b32 exec_lo, exec_lo, s5
	v_mov_b32_e32 v7, 0
	ds_read_b128 v[7:10], v7 offset:352
	s_waitcnt lgkmcnt(0)
	v_mul_f64 v[11:12], v[1:2], v[9:10]
	v_mul_f64 v[9:10], v[3:4], v[9:10]
	v_fma_f64 v[3:4], v[3:4], v[7:8], -v[11:12]
	v_fma_f64 v[1:2], v[1:2], v[7:8], v[9:10]
	buffer_store_dword v4, off, s[0:3], 0 offset:372
	buffer_store_dword v3, off, s[0:3], 0 offset:368
	;; [unrolled: 1-line block ×4, first 2 shown]
.LBB35_103:
	s_or_b32 exec_lo, exec_lo, s4
	v_mov_b32_e32 v4, s24
	s_waitcnt_vscnt null, 0x0
	s_barrier
	buffer_gl0_inv
	s_mov_b32 s4, exec_lo
	s_clause 0x3
	buffer_load_dword v1, v4, s[0:3], 0 offen
	buffer_load_dword v2, v4, s[0:3], 0 offen offset:4
	buffer_load_dword v3, v4, s[0:3], 0 offen offset:8
	;; [unrolled: 1-line block ×3, first 2 shown]
	s_waitcnt vmcnt(0)
	ds_write_b128 v5, v[1:4]
	s_waitcnt lgkmcnt(0)
	s_barrier
	buffer_gl0_inv
	v_cmpx_gt_u32_e32 23, v0
	s_cbranch_execz .LBB35_107
; %bb.104:
	v_mov_b32_e32 v1, 0
	v_mov_b32_e32 v3, 0
	v_add_nc_u32_e32 v7, -1, v0
	v_add_nc_u32_e32 v8, 0x240, v121
	v_mov_b32_e32 v2, 0
	v_mov_b32_e32 v4, 0
	v_add_nc_u32_e32 v9, 16, v121
	s_mov_b32 s5, 0
	.p2align	6
.LBB35_105:                             ; =>This Inner Loop Header: Depth=1
	s_clause 0x3
	buffer_load_dword v14, v9, s[0:3], 0 offen offset:8
	buffer_load_dword v15, v9, s[0:3], 0 offen offset:12
	buffer_load_dword v16, v9, s[0:3], 0 offen
	buffer_load_dword v17, v9, s[0:3], 0 offen offset:4
	ds_read_b128 v[10:13], v8
	v_add_nc_u32_e32 v7, 1, v7
	v_add_nc_u32_e32 v8, 16, v8
	;; [unrolled: 1-line block ×3, first 2 shown]
	v_cmp_lt_u32_e32 vcc_lo, 21, v7
	s_or_b32 s5, vcc_lo, s5
	s_waitcnt vmcnt(2) lgkmcnt(0)
	v_mul_f64 v[18:19], v[12:13], v[14:15]
	v_mul_f64 v[14:15], v[10:11], v[14:15]
	s_waitcnt vmcnt(0)
	v_fma_f64 v[10:11], v[10:11], v[16:17], -v[18:19]
	v_fma_f64 v[12:13], v[12:13], v[16:17], v[14:15]
	v_add_f64 v[3:4], v[3:4], v[10:11]
	v_add_f64 v[1:2], v[1:2], v[12:13]
	s_andn2_b32 exec_lo, exec_lo, s5
	s_cbranch_execnz .LBB35_105
; %bb.106:
	s_or_b32 exec_lo, exec_lo, s5
	v_mov_b32_e32 v7, 0
	ds_read_b128 v[7:10], v7 offset:368
	s_waitcnt lgkmcnt(0)
	v_mul_f64 v[11:12], v[1:2], v[9:10]
	v_mul_f64 v[9:10], v[3:4], v[9:10]
	v_fma_f64 v[3:4], v[3:4], v[7:8], -v[11:12]
	v_fma_f64 v[1:2], v[1:2], v[7:8], v[9:10]
	buffer_store_dword v4, off, s[0:3], 0 offset:388
	buffer_store_dword v3, off, s[0:3], 0 offset:384
	;; [unrolled: 1-line block ×4, first 2 shown]
.LBB35_107:
	s_or_b32 exec_lo, exec_lo, s4
	v_mov_b32_e32 v4, s23
	s_waitcnt_vscnt null, 0x0
	s_barrier
	buffer_gl0_inv
	s_mov_b32 s4, exec_lo
	s_clause 0x3
	buffer_load_dword v1, v4, s[0:3], 0 offen
	buffer_load_dword v2, v4, s[0:3], 0 offen offset:4
	buffer_load_dword v3, v4, s[0:3], 0 offen offset:8
	;; [unrolled: 1-line block ×3, first 2 shown]
	s_waitcnt vmcnt(0)
	ds_write_b128 v5, v[1:4]
	s_waitcnt lgkmcnt(0)
	s_barrier
	buffer_gl0_inv
	v_cmpx_gt_u32_e32 24, v0
	s_cbranch_execz .LBB35_111
; %bb.108:
	v_mov_b32_e32 v1, 0
	v_mov_b32_e32 v3, 0
	v_add_nc_u32_e32 v7, -1, v0
	v_add_nc_u32_e32 v8, 0x240, v121
	v_mov_b32_e32 v2, 0
	v_mov_b32_e32 v4, 0
	v_add_nc_u32_e32 v9, 16, v121
	s_mov_b32 s5, 0
	.p2align	6
.LBB35_109:                             ; =>This Inner Loop Header: Depth=1
	s_clause 0x3
	buffer_load_dword v14, v9, s[0:3], 0 offen offset:8
	buffer_load_dword v15, v9, s[0:3], 0 offen offset:12
	buffer_load_dword v16, v9, s[0:3], 0 offen
	buffer_load_dword v17, v9, s[0:3], 0 offen offset:4
	ds_read_b128 v[10:13], v8
	v_add_nc_u32_e32 v7, 1, v7
	v_add_nc_u32_e32 v8, 16, v8
	;; [unrolled: 1-line block ×3, first 2 shown]
	v_cmp_lt_u32_e32 vcc_lo, 22, v7
	s_or_b32 s5, vcc_lo, s5
	s_waitcnt vmcnt(2) lgkmcnt(0)
	v_mul_f64 v[18:19], v[12:13], v[14:15]
	v_mul_f64 v[14:15], v[10:11], v[14:15]
	s_waitcnt vmcnt(0)
	v_fma_f64 v[10:11], v[10:11], v[16:17], -v[18:19]
	v_fma_f64 v[12:13], v[12:13], v[16:17], v[14:15]
	v_add_f64 v[3:4], v[3:4], v[10:11]
	v_add_f64 v[1:2], v[1:2], v[12:13]
	s_andn2_b32 exec_lo, exec_lo, s5
	s_cbranch_execnz .LBB35_109
; %bb.110:
	s_or_b32 exec_lo, exec_lo, s5
	v_mov_b32_e32 v7, 0
	ds_read_b128 v[7:10], v7 offset:384
	s_waitcnt lgkmcnt(0)
	v_mul_f64 v[11:12], v[1:2], v[9:10]
	v_mul_f64 v[9:10], v[3:4], v[9:10]
	v_fma_f64 v[3:4], v[3:4], v[7:8], -v[11:12]
	v_fma_f64 v[1:2], v[1:2], v[7:8], v[9:10]
	buffer_store_dword v4, off, s[0:3], 0 offset:404
	buffer_store_dword v3, off, s[0:3], 0 offset:400
	;; [unrolled: 1-line block ×4, first 2 shown]
.LBB35_111:
	s_or_b32 exec_lo, exec_lo, s4
	v_mov_b32_e32 v4, s22
	s_waitcnt_vscnt null, 0x0
	s_barrier
	buffer_gl0_inv
	s_mov_b32 s4, exec_lo
	s_clause 0x3
	buffer_load_dword v1, v4, s[0:3], 0 offen
	buffer_load_dword v2, v4, s[0:3], 0 offen offset:4
	buffer_load_dword v3, v4, s[0:3], 0 offen offset:8
	;; [unrolled: 1-line block ×3, first 2 shown]
	s_waitcnt vmcnt(0)
	ds_write_b128 v5, v[1:4]
	s_waitcnt lgkmcnt(0)
	s_barrier
	buffer_gl0_inv
	v_cmpx_gt_u32_e32 25, v0
	s_cbranch_execz .LBB35_115
; %bb.112:
	v_mov_b32_e32 v1, 0
	v_mov_b32_e32 v3, 0
	v_add_nc_u32_e32 v7, -1, v0
	v_add_nc_u32_e32 v8, 0x240, v121
	v_mov_b32_e32 v2, 0
	v_mov_b32_e32 v4, 0
	v_add_nc_u32_e32 v9, 16, v121
	s_mov_b32 s5, 0
	.p2align	6
.LBB35_113:                             ; =>This Inner Loop Header: Depth=1
	s_clause 0x3
	buffer_load_dword v14, v9, s[0:3], 0 offen offset:8
	buffer_load_dword v15, v9, s[0:3], 0 offen offset:12
	buffer_load_dword v16, v9, s[0:3], 0 offen
	buffer_load_dword v17, v9, s[0:3], 0 offen offset:4
	ds_read_b128 v[10:13], v8
	v_add_nc_u32_e32 v7, 1, v7
	v_add_nc_u32_e32 v8, 16, v8
	;; [unrolled: 1-line block ×3, first 2 shown]
	v_cmp_lt_u32_e32 vcc_lo, 23, v7
	s_or_b32 s5, vcc_lo, s5
	s_waitcnt vmcnt(2) lgkmcnt(0)
	v_mul_f64 v[18:19], v[12:13], v[14:15]
	v_mul_f64 v[14:15], v[10:11], v[14:15]
	s_waitcnt vmcnt(0)
	v_fma_f64 v[10:11], v[10:11], v[16:17], -v[18:19]
	v_fma_f64 v[12:13], v[12:13], v[16:17], v[14:15]
	v_add_f64 v[3:4], v[3:4], v[10:11]
	v_add_f64 v[1:2], v[1:2], v[12:13]
	s_andn2_b32 exec_lo, exec_lo, s5
	s_cbranch_execnz .LBB35_113
; %bb.114:
	s_or_b32 exec_lo, exec_lo, s5
	v_mov_b32_e32 v7, 0
	ds_read_b128 v[7:10], v7 offset:400
	s_waitcnt lgkmcnt(0)
	v_mul_f64 v[11:12], v[1:2], v[9:10]
	v_mul_f64 v[9:10], v[3:4], v[9:10]
	v_fma_f64 v[3:4], v[3:4], v[7:8], -v[11:12]
	v_fma_f64 v[1:2], v[1:2], v[7:8], v[9:10]
	buffer_store_dword v4, off, s[0:3], 0 offset:420
	buffer_store_dword v3, off, s[0:3], 0 offset:416
	;; [unrolled: 1-line block ×4, first 2 shown]
.LBB35_115:
	s_or_b32 exec_lo, exec_lo, s4
	v_mov_b32_e32 v4, s19
	s_waitcnt_vscnt null, 0x0
	s_barrier
	buffer_gl0_inv
	s_mov_b32 s4, exec_lo
	s_clause 0x3
	buffer_load_dword v1, v4, s[0:3], 0 offen
	buffer_load_dword v2, v4, s[0:3], 0 offen offset:4
	buffer_load_dword v3, v4, s[0:3], 0 offen offset:8
	;; [unrolled: 1-line block ×3, first 2 shown]
	s_waitcnt vmcnt(0)
	ds_write_b128 v5, v[1:4]
	s_waitcnt lgkmcnt(0)
	s_barrier
	buffer_gl0_inv
	v_cmpx_gt_u32_e32 26, v0
	s_cbranch_execz .LBB35_119
; %bb.116:
	v_mov_b32_e32 v1, 0
	v_mov_b32_e32 v3, 0
	v_add_nc_u32_e32 v7, -1, v0
	v_add_nc_u32_e32 v8, 0x240, v121
	v_mov_b32_e32 v2, 0
	v_mov_b32_e32 v4, 0
	v_add_nc_u32_e32 v9, 16, v121
	s_mov_b32 s5, 0
	.p2align	6
.LBB35_117:                             ; =>This Inner Loop Header: Depth=1
	s_clause 0x3
	buffer_load_dword v14, v9, s[0:3], 0 offen offset:8
	buffer_load_dword v15, v9, s[0:3], 0 offen offset:12
	buffer_load_dword v16, v9, s[0:3], 0 offen
	buffer_load_dword v17, v9, s[0:3], 0 offen offset:4
	ds_read_b128 v[10:13], v8
	v_add_nc_u32_e32 v7, 1, v7
	v_add_nc_u32_e32 v8, 16, v8
	;; [unrolled: 1-line block ×3, first 2 shown]
	v_cmp_lt_u32_e32 vcc_lo, 24, v7
	s_or_b32 s5, vcc_lo, s5
	s_waitcnt vmcnt(2) lgkmcnt(0)
	v_mul_f64 v[18:19], v[12:13], v[14:15]
	v_mul_f64 v[14:15], v[10:11], v[14:15]
	s_waitcnt vmcnt(0)
	v_fma_f64 v[10:11], v[10:11], v[16:17], -v[18:19]
	v_fma_f64 v[12:13], v[12:13], v[16:17], v[14:15]
	v_add_f64 v[3:4], v[3:4], v[10:11]
	v_add_f64 v[1:2], v[1:2], v[12:13]
	s_andn2_b32 exec_lo, exec_lo, s5
	s_cbranch_execnz .LBB35_117
; %bb.118:
	s_or_b32 exec_lo, exec_lo, s5
	v_mov_b32_e32 v7, 0
	ds_read_b128 v[7:10], v7 offset:416
	s_waitcnt lgkmcnt(0)
	v_mul_f64 v[11:12], v[1:2], v[9:10]
	v_mul_f64 v[9:10], v[3:4], v[9:10]
	v_fma_f64 v[3:4], v[3:4], v[7:8], -v[11:12]
	v_fma_f64 v[1:2], v[1:2], v[7:8], v[9:10]
	buffer_store_dword v4, off, s[0:3], 0 offset:436
	buffer_store_dword v3, off, s[0:3], 0 offset:432
	;; [unrolled: 1-line block ×4, first 2 shown]
.LBB35_119:
	s_or_b32 exec_lo, exec_lo, s4
	v_mov_b32_e32 v4, s18
	s_waitcnt_vscnt null, 0x0
	s_barrier
	buffer_gl0_inv
	s_mov_b32 s4, exec_lo
	s_clause 0x3
	buffer_load_dword v1, v4, s[0:3], 0 offen
	buffer_load_dword v2, v4, s[0:3], 0 offen offset:4
	buffer_load_dword v3, v4, s[0:3], 0 offen offset:8
	;; [unrolled: 1-line block ×3, first 2 shown]
	s_waitcnt vmcnt(0)
	ds_write_b128 v5, v[1:4]
	s_waitcnt lgkmcnt(0)
	s_barrier
	buffer_gl0_inv
	v_cmpx_gt_u32_e32 27, v0
	s_cbranch_execz .LBB35_123
; %bb.120:
	v_mov_b32_e32 v1, 0
	v_mov_b32_e32 v3, 0
	v_add_nc_u32_e32 v7, -1, v0
	v_add_nc_u32_e32 v8, 0x240, v121
	v_mov_b32_e32 v2, 0
	v_mov_b32_e32 v4, 0
	v_add_nc_u32_e32 v9, 16, v121
	s_mov_b32 s5, 0
	.p2align	6
.LBB35_121:                             ; =>This Inner Loop Header: Depth=1
	s_clause 0x3
	buffer_load_dword v14, v9, s[0:3], 0 offen offset:8
	buffer_load_dword v15, v9, s[0:3], 0 offen offset:12
	buffer_load_dword v16, v9, s[0:3], 0 offen
	buffer_load_dword v17, v9, s[0:3], 0 offen offset:4
	ds_read_b128 v[10:13], v8
	v_add_nc_u32_e32 v7, 1, v7
	v_add_nc_u32_e32 v8, 16, v8
	;; [unrolled: 1-line block ×3, first 2 shown]
	v_cmp_lt_u32_e32 vcc_lo, 25, v7
	s_or_b32 s5, vcc_lo, s5
	s_waitcnt vmcnt(2) lgkmcnt(0)
	v_mul_f64 v[18:19], v[12:13], v[14:15]
	v_mul_f64 v[14:15], v[10:11], v[14:15]
	s_waitcnt vmcnt(0)
	v_fma_f64 v[10:11], v[10:11], v[16:17], -v[18:19]
	v_fma_f64 v[12:13], v[12:13], v[16:17], v[14:15]
	v_add_f64 v[3:4], v[3:4], v[10:11]
	v_add_f64 v[1:2], v[1:2], v[12:13]
	s_andn2_b32 exec_lo, exec_lo, s5
	s_cbranch_execnz .LBB35_121
; %bb.122:
	s_or_b32 exec_lo, exec_lo, s5
	v_mov_b32_e32 v7, 0
	ds_read_b128 v[7:10], v7 offset:432
	s_waitcnt lgkmcnt(0)
	v_mul_f64 v[11:12], v[1:2], v[9:10]
	v_mul_f64 v[9:10], v[3:4], v[9:10]
	v_fma_f64 v[3:4], v[3:4], v[7:8], -v[11:12]
	v_fma_f64 v[1:2], v[1:2], v[7:8], v[9:10]
	buffer_store_dword v4, off, s[0:3], 0 offset:452
	buffer_store_dword v3, off, s[0:3], 0 offset:448
	;; [unrolled: 1-line block ×4, first 2 shown]
.LBB35_123:
	s_or_b32 exec_lo, exec_lo, s4
	v_mov_b32_e32 v4, s17
	s_waitcnt_vscnt null, 0x0
	s_barrier
	buffer_gl0_inv
	s_mov_b32 s4, exec_lo
	s_clause 0x3
	buffer_load_dword v1, v4, s[0:3], 0 offen
	buffer_load_dword v2, v4, s[0:3], 0 offen offset:4
	buffer_load_dword v3, v4, s[0:3], 0 offen offset:8
	;; [unrolled: 1-line block ×3, first 2 shown]
	s_waitcnt vmcnt(0)
	ds_write_b128 v5, v[1:4]
	s_waitcnt lgkmcnt(0)
	s_barrier
	buffer_gl0_inv
	v_cmpx_gt_u32_e32 28, v0
	s_cbranch_execz .LBB35_127
; %bb.124:
	v_mov_b32_e32 v1, 0
	v_mov_b32_e32 v3, 0
	v_add_nc_u32_e32 v7, -1, v0
	v_add_nc_u32_e32 v8, 0x240, v121
	v_mov_b32_e32 v2, 0
	v_mov_b32_e32 v4, 0
	v_add_nc_u32_e32 v9, 16, v121
	s_mov_b32 s5, 0
	.p2align	6
.LBB35_125:                             ; =>This Inner Loop Header: Depth=1
	s_clause 0x3
	buffer_load_dword v14, v9, s[0:3], 0 offen offset:8
	buffer_load_dword v15, v9, s[0:3], 0 offen offset:12
	buffer_load_dword v16, v9, s[0:3], 0 offen
	buffer_load_dword v17, v9, s[0:3], 0 offen offset:4
	ds_read_b128 v[10:13], v8
	v_add_nc_u32_e32 v7, 1, v7
	v_add_nc_u32_e32 v8, 16, v8
	;; [unrolled: 1-line block ×3, first 2 shown]
	v_cmp_lt_u32_e32 vcc_lo, 26, v7
	s_or_b32 s5, vcc_lo, s5
	s_waitcnt vmcnt(2) lgkmcnt(0)
	v_mul_f64 v[18:19], v[12:13], v[14:15]
	v_mul_f64 v[14:15], v[10:11], v[14:15]
	s_waitcnt vmcnt(0)
	v_fma_f64 v[10:11], v[10:11], v[16:17], -v[18:19]
	v_fma_f64 v[12:13], v[12:13], v[16:17], v[14:15]
	v_add_f64 v[3:4], v[3:4], v[10:11]
	v_add_f64 v[1:2], v[1:2], v[12:13]
	s_andn2_b32 exec_lo, exec_lo, s5
	s_cbranch_execnz .LBB35_125
; %bb.126:
	s_or_b32 exec_lo, exec_lo, s5
	v_mov_b32_e32 v7, 0
	ds_read_b128 v[7:10], v7 offset:448
	s_waitcnt lgkmcnt(0)
	v_mul_f64 v[11:12], v[1:2], v[9:10]
	v_mul_f64 v[9:10], v[3:4], v[9:10]
	v_fma_f64 v[3:4], v[3:4], v[7:8], -v[11:12]
	v_fma_f64 v[1:2], v[1:2], v[7:8], v[9:10]
	buffer_store_dword v4, off, s[0:3], 0 offset:468
	buffer_store_dword v3, off, s[0:3], 0 offset:464
	;; [unrolled: 1-line block ×4, first 2 shown]
.LBB35_127:
	s_or_b32 exec_lo, exec_lo, s4
	v_mov_b32_e32 v4, s16
	s_waitcnt_vscnt null, 0x0
	s_barrier
	buffer_gl0_inv
	s_mov_b32 s4, exec_lo
	s_clause 0x3
	buffer_load_dword v1, v4, s[0:3], 0 offen
	buffer_load_dword v2, v4, s[0:3], 0 offen offset:4
	buffer_load_dword v3, v4, s[0:3], 0 offen offset:8
	;; [unrolled: 1-line block ×3, first 2 shown]
	s_waitcnt vmcnt(0)
	ds_write_b128 v5, v[1:4]
	s_waitcnt lgkmcnt(0)
	s_barrier
	buffer_gl0_inv
	v_cmpx_gt_u32_e32 29, v0
	s_cbranch_execz .LBB35_131
; %bb.128:
	v_mov_b32_e32 v1, 0
	v_mov_b32_e32 v3, 0
	v_add_nc_u32_e32 v7, -1, v0
	v_add_nc_u32_e32 v8, 0x240, v121
	v_mov_b32_e32 v2, 0
	v_mov_b32_e32 v4, 0
	v_add_nc_u32_e32 v9, 16, v121
	s_mov_b32 s5, 0
	.p2align	6
.LBB35_129:                             ; =>This Inner Loop Header: Depth=1
	s_clause 0x3
	buffer_load_dword v14, v9, s[0:3], 0 offen offset:8
	buffer_load_dword v15, v9, s[0:3], 0 offen offset:12
	buffer_load_dword v16, v9, s[0:3], 0 offen
	buffer_load_dword v17, v9, s[0:3], 0 offen offset:4
	ds_read_b128 v[10:13], v8
	v_add_nc_u32_e32 v7, 1, v7
	v_add_nc_u32_e32 v8, 16, v8
	;; [unrolled: 1-line block ×3, first 2 shown]
	v_cmp_lt_u32_e32 vcc_lo, 27, v7
	s_or_b32 s5, vcc_lo, s5
	s_waitcnt vmcnt(2) lgkmcnt(0)
	v_mul_f64 v[18:19], v[12:13], v[14:15]
	v_mul_f64 v[14:15], v[10:11], v[14:15]
	s_waitcnt vmcnt(0)
	v_fma_f64 v[10:11], v[10:11], v[16:17], -v[18:19]
	v_fma_f64 v[12:13], v[12:13], v[16:17], v[14:15]
	v_add_f64 v[3:4], v[3:4], v[10:11]
	v_add_f64 v[1:2], v[1:2], v[12:13]
	s_andn2_b32 exec_lo, exec_lo, s5
	s_cbranch_execnz .LBB35_129
; %bb.130:
	s_or_b32 exec_lo, exec_lo, s5
	v_mov_b32_e32 v7, 0
	ds_read_b128 v[7:10], v7 offset:464
	s_waitcnt lgkmcnt(0)
	v_mul_f64 v[11:12], v[1:2], v[9:10]
	v_mul_f64 v[9:10], v[3:4], v[9:10]
	v_fma_f64 v[3:4], v[3:4], v[7:8], -v[11:12]
	v_fma_f64 v[1:2], v[1:2], v[7:8], v[9:10]
	buffer_store_dword v4, off, s[0:3], 0 offset:484
	buffer_store_dword v3, off, s[0:3], 0 offset:480
	;; [unrolled: 1-line block ×4, first 2 shown]
.LBB35_131:
	s_or_b32 exec_lo, exec_lo, s4
	v_mov_b32_e32 v4, s15
	s_waitcnt_vscnt null, 0x0
	s_barrier
	buffer_gl0_inv
	s_mov_b32 s4, exec_lo
	s_clause 0x3
	buffer_load_dword v1, v4, s[0:3], 0 offen
	buffer_load_dword v2, v4, s[0:3], 0 offen offset:4
	buffer_load_dword v3, v4, s[0:3], 0 offen offset:8
	;; [unrolled: 1-line block ×3, first 2 shown]
	s_waitcnt vmcnt(0)
	ds_write_b128 v5, v[1:4]
	s_waitcnt lgkmcnt(0)
	s_barrier
	buffer_gl0_inv
	v_cmpx_gt_u32_e32 30, v0
	s_cbranch_execz .LBB35_135
; %bb.132:
	v_mov_b32_e32 v1, 0
	v_mov_b32_e32 v3, 0
	v_add_nc_u32_e32 v7, -1, v0
	v_add_nc_u32_e32 v8, 0x240, v121
	v_mov_b32_e32 v2, 0
	v_mov_b32_e32 v4, 0
	v_add_nc_u32_e32 v9, 16, v121
	s_mov_b32 s5, 0
	.p2align	6
.LBB35_133:                             ; =>This Inner Loop Header: Depth=1
	s_clause 0x3
	buffer_load_dword v14, v9, s[0:3], 0 offen offset:8
	buffer_load_dword v15, v9, s[0:3], 0 offen offset:12
	buffer_load_dword v16, v9, s[0:3], 0 offen
	buffer_load_dword v17, v9, s[0:3], 0 offen offset:4
	ds_read_b128 v[10:13], v8
	v_add_nc_u32_e32 v7, 1, v7
	v_add_nc_u32_e32 v8, 16, v8
	;; [unrolled: 1-line block ×3, first 2 shown]
	v_cmp_lt_u32_e32 vcc_lo, 28, v7
	s_or_b32 s5, vcc_lo, s5
	s_waitcnt vmcnt(2) lgkmcnt(0)
	v_mul_f64 v[18:19], v[12:13], v[14:15]
	v_mul_f64 v[14:15], v[10:11], v[14:15]
	s_waitcnt vmcnt(0)
	v_fma_f64 v[10:11], v[10:11], v[16:17], -v[18:19]
	v_fma_f64 v[12:13], v[12:13], v[16:17], v[14:15]
	v_add_f64 v[3:4], v[3:4], v[10:11]
	v_add_f64 v[1:2], v[1:2], v[12:13]
	s_andn2_b32 exec_lo, exec_lo, s5
	s_cbranch_execnz .LBB35_133
; %bb.134:
	s_or_b32 exec_lo, exec_lo, s5
	v_mov_b32_e32 v7, 0
	ds_read_b128 v[7:10], v7 offset:480
	s_waitcnt lgkmcnt(0)
	v_mul_f64 v[11:12], v[1:2], v[9:10]
	v_mul_f64 v[9:10], v[3:4], v[9:10]
	v_fma_f64 v[3:4], v[3:4], v[7:8], -v[11:12]
	v_fma_f64 v[1:2], v[1:2], v[7:8], v[9:10]
	buffer_store_dword v4, off, s[0:3], 0 offset:500
	buffer_store_dword v3, off, s[0:3], 0 offset:496
	;; [unrolled: 1-line block ×4, first 2 shown]
.LBB35_135:
	s_or_b32 exec_lo, exec_lo, s4
	v_mov_b32_e32 v4, s14
	s_waitcnt_vscnt null, 0x0
	s_barrier
	buffer_gl0_inv
	s_mov_b32 s4, exec_lo
	s_clause 0x3
	buffer_load_dword v1, v4, s[0:3], 0 offen
	buffer_load_dword v2, v4, s[0:3], 0 offen offset:4
	buffer_load_dword v3, v4, s[0:3], 0 offen offset:8
	;; [unrolled: 1-line block ×3, first 2 shown]
	s_waitcnt vmcnt(0)
	ds_write_b128 v5, v[1:4]
	s_waitcnt lgkmcnt(0)
	s_barrier
	buffer_gl0_inv
	v_cmpx_gt_u32_e32 31, v0
	s_cbranch_execz .LBB35_139
; %bb.136:
	v_mov_b32_e32 v1, 0
	v_mov_b32_e32 v3, 0
	v_add_nc_u32_e32 v7, -1, v0
	v_add_nc_u32_e32 v8, 0x240, v121
	v_mov_b32_e32 v2, 0
	v_mov_b32_e32 v4, 0
	v_add_nc_u32_e32 v9, 16, v121
	s_mov_b32 s5, 0
	.p2align	6
.LBB35_137:                             ; =>This Inner Loop Header: Depth=1
	s_clause 0x3
	buffer_load_dword v14, v9, s[0:3], 0 offen offset:8
	buffer_load_dword v15, v9, s[0:3], 0 offen offset:12
	buffer_load_dword v16, v9, s[0:3], 0 offen
	buffer_load_dword v17, v9, s[0:3], 0 offen offset:4
	ds_read_b128 v[10:13], v8
	v_add_nc_u32_e32 v7, 1, v7
	v_add_nc_u32_e32 v8, 16, v8
	;; [unrolled: 1-line block ×3, first 2 shown]
	v_cmp_lt_u32_e32 vcc_lo, 29, v7
	s_or_b32 s5, vcc_lo, s5
	s_waitcnt vmcnt(2) lgkmcnt(0)
	v_mul_f64 v[18:19], v[12:13], v[14:15]
	v_mul_f64 v[14:15], v[10:11], v[14:15]
	s_waitcnt vmcnt(0)
	v_fma_f64 v[10:11], v[10:11], v[16:17], -v[18:19]
	v_fma_f64 v[12:13], v[12:13], v[16:17], v[14:15]
	v_add_f64 v[3:4], v[3:4], v[10:11]
	v_add_f64 v[1:2], v[1:2], v[12:13]
	s_andn2_b32 exec_lo, exec_lo, s5
	s_cbranch_execnz .LBB35_137
; %bb.138:
	s_or_b32 exec_lo, exec_lo, s5
	v_mov_b32_e32 v7, 0
	ds_read_b128 v[7:10], v7 offset:496
	s_waitcnt lgkmcnt(0)
	v_mul_f64 v[11:12], v[1:2], v[9:10]
	v_mul_f64 v[9:10], v[3:4], v[9:10]
	v_fma_f64 v[3:4], v[3:4], v[7:8], -v[11:12]
	v_fma_f64 v[1:2], v[1:2], v[7:8], v[9:10]
	buffer_store_dword v4, off, s[0:3], 0 offset:516
	buffer_store_dword v3, off, s[0:3], 0 offset:512
	;; [unrolled: 1-line block ×4, first 2 shown]
.LBB35_139:
	s_or_b32 exec_lo, exec_lo, s4
	v_mov_b32_e32 v4, s13
	s_waitcnt_vscnt null, 0x0
	s_barrier
	buffer_gl0_inv
	s_mov_b32 s4, exec_lo
	s_clause 0x3
	buffer_load_dword v1, v4, s[0:3], 0 offen
	buffer_load_dword v2, v4, s[0:3], 0 offen offset:4
	buffer_load_dword v3, v4, s[0:3], 0 offen offset:8
	;; [unrolled: 1-line block ×3, first 2 shown]
	s_waitcnt vmcnt(0)
	ds_write_b128 v5, v[1:4]
	s_waitcnt lgkmcnt(0)
	s_barrier
	buffer_gl0_inv
	v_cmpx_gt_u32_e32 32, v0
	s_cbranch_execz .LBB35_143
; %bb.140:
	v_mov_b32_e32 v1, 0
	v_mov_b32_e32 v3, 0
	v_add_nc_u32_e32 v7, -1, v0
	v_add_nc_u32_e32 v8, 0x240, v121
	v_mov_b32_e32 v2, 0
	v_mov_b32_e32 v4, 0
	v_add_nc_u32_e32 v9, 16, v121
	s_mov_b32 s5, 0
	.p2align	6
.LBB35_141:                             ; =>This Inner Loop Header: Depth=1
	s_clause 0x3
	buffer_load_dword v14, v9, s[0:3], 0 offen offset:8
	buffer_load_dword v15, v9, s[0:3], 0 offen offset:12
	buffer_load_dword v16, v9, s[0:3], 0 offen
	buffer_load_dword v17, v9, s[0:3], 0 offen offset:4
	ds_read_b128 v[10:13], v8
	v_add_nc_u32_e32 v7, 1, v7
	v_add_nc_u32_e32 v8, 16, v8
	;; [unrolled: 1-line block ×3, first 2 shown]
	v_cmp_lt_u32_e32 vcc_lo, 30, v7
	s_or_b32 s5, vcc_lo, s5
	s_waitcnt vmcnt(2) lgkmcnt(0)
	v_mul_f64 v[18:19], v[12:13], v[14:15]
	v_mul_f64 v[14:15], v[10:11], v[14:15]
	s_waitcnt vmcnt(0)
	v_fma_f64 v[10:11], v[10:11], v[16:17], -v[18:19]
	v_fma_f64 v[12:13], v[12:13], v[16:17], v[14:15]
	v_add_f64 v[3:4], v[3:4], v[10:11]
	v_add_f64 v[1:2], v[1:2], v[12:13]
	s_andn2_b32 exec_lo, exec_lo, s5
	s_cbranch_execnz .LBB35_141
; %bb.142:
	s_or_b32 exec_lo, exec_lo, s5
	v_mov_b32_e32 v7, 0
	ds_read_b128 v[7:10], v7 offset:512
	s_waitcnt lgkmcnt(0)
	v_mul_f64 v[11:12], v[1:2], v[9:10]
	v_mul_f64 v[9:10], v[3:4], v[9:10]
	v_fma_f64 v[3:4], v[3:4], v[7:8], -v[11:12]
	v_fma_f64 v[1:2], v[1:2], v[7:8], v[9:10]
	buffer_store_dword v4, off, s[0:3], 0 offset:532
	buffer_store_dword v3, off, s[0:3], 0 offset:528
	;; [unrolled: 1-line block ×4, first 2 shown]
.LBB35_143:
	s_or_b32 exec_lo, exec_lo, s4
	v_mov_b32_e32 v4, s12
	s_waitcnt_vscnt null, 0x0
	s_barrier
	buffer_gl0_inv
	s_mov_b32 s4, exec_lo
	s_clause 0x3
	buffer_load_dword v1, v4, s[0:3], 0 offen
	buffer_load_dword v2, v4, s[0:3], 0 offen offset:4
	buffer_load_dword v3, v4, s[0:3], 0 offen offset:8
	;; [unrolled: 1-line block ×3, first 2 shown]
	s_waitcnt vmcnt(0)
	ds_write_b128 v5, v[1:4]
	s_waitcnt lgkmcnt(0)
	s_barrier
	buffer_gl0_inv
	v_cmpx_gt_u32_e32 33, v0
	s_cbranch_execz .LBB35_147
; %bb.144:
	v_mov_b32_e32 v1, 0
	v_mov_b32_e32 v3, 0
	v_add_nc_u32_e32 v7, -1, v0
	v_add_nc_u32_e32 v8, 0x240, v121
	v_mov_b32_e32 v2, 0
	v_mov_b32_e32 v4, 0
	v_add_nc_u32_e32 v9, 16, v121
	s_mov_b32 s5, 0
	.p2align	6
.LBB35_145:                             ; =>This Inner Loop Header: Depth=1
	s_clause 0x3
	buffer_load_dword v14, v9, s[0:3], 0 offen offset:8
	buffer_load_dword v15, v9, s[0:3], 0 offen offset:12
	buffer_load_dword v16, v9, s[0:3], 0 offen
	buffer_load_dword v17, v9, s[0:3], 0 offen offset:4
	ds_read_b128 v[10:13], v8
	v_add_nc_u32_e32 v7, 1, v7
	v_add_nc_u32_e32 v8, 16, v8
	v_add_nc_u32_e32 v9, 16, v9
	v_cmp_lt_u32_e32 vcc_lo, 31, v7
	s_or_b32 s5, vcc_lo, s5
	s_waitcnt vmcnt(2) lgkmcnt(0)
	v_mul_f64 v[18:19], v[12:13], v[14:15]
	v_mul_f64 v[14:15], v[10:11], v[14:15]
	s_waitcnt vmcnt(0)
	v_fma_f64 v[10:11], v[10:11], v[16:17], -v[18:19]
	v_fma_f64 v[12:13], v[12:13], v[16:17], v[14:15]
	v_add_f64 v[3:4], v[3:4], v[10:11]
	v_add_f64 v[1:2], v[1:2], v[12:13]
	s_andn2_b32 exec_lo, exec_lo, s5
	s_cbranch_execnz .LBB35_145
; %bb.146:
	s_or_b32 exec_lo, exec_lo, s5
	v_mov_b32_e32 v7, 0
	ds_read_b128 v[7:10], v7 offset:528
	s_waitcnt lgkmcnt(0)
	v_mul_f64 v[11:12], v[1:2], v[9:10]
	v_mul_f64 v[9:10], v[3:4], v[9:10]
	v_fma_f64 v[3:4], v[3:4], v[7:8], -v[11:12]
	v_fma_f64 v[1:2], v[1:2], v[7:8], v[9:10]
	buffer_store_dword v4, off, s[0:3], 0 offset:548
	buffer_store_dword v3, off, s[0:3], 0 offset:544
	;; [unrolled: 1-line block ×4, first 2 shown]
.LBB35_147:
	s_or_b32 exec_lo, exec_lo, s4
	v_mov_b32_e32 v4, s9
	s_waitcnt_vscnt null, 0x0
	s_barrier
	buffer_gl0_inv
	s_mov_b32 s4, exec_lo
	s_clause 0x3
	buffer_load_dword v1, v4, s[0:3], 0 offen
	buffer_load_dword v2, v4, s[0:3], 0 offen offset:4
	buffer_load_dword v3, v4, s[0:3], 0 offen offset:8
	buffer_load_dword v4, v4, s[0:3], 0 offen offset:12
	s_waitcnt vmcnt(0)
	ds_write_b128 v5, v[1:4]
	s_waitcnt lgkmcnt(0)
	s_barrier
	buffer_gl0_inv
	v_cmpx_gt_u32_e32 34, v0
	s_cbranch_execz .LBB35_151
; %bb.148:
	v_mov_b32_e32 v1, 0
	v_mov_b32_e32 v3, 0
	v_add_nc_u32_e32 v7, -1, v0
	v_add_nc_u32_e32 v8, 0x240, v121
	v_mov_b32_e32 v2, 0
	v_mov_b32_e32 v4, 0
	v_add_nc_u32_e32 v9, 16, v121
	s_mov_b32 s5, 0
	.p2align	6
.LBB35_149:                             ; =>This Inner Loop Header: Depth=1
	s_clause 0x3
	buffer_load_dword v14, v9, s[0:3], 0 offen offset:8
	buffer_load_dword v15, v9, s[0:3], 0 offen offset:12
	buffer_load_dword v16, v9, s[0:3], 0 offen
	buffer_load_dword v17, v9, s[0:3], 0 offen offset:4
	ds_read_b128 v[10:13], v8
	v_add_nc_u32_e32 v7, 1, v7
	v_add_nc_u32_e32 v8, 16, v8
	;; [unrolled: 1-line block ×3, first 2 shown]
	v_cmp_lt_u32_e32 vcc_lo, 32, v7
	s_or_b32 s5, vcc_lo, s5
	s_waitcnt vmcnt(2) lgkmcnt(0)
	v_mul_f64 v[18:19], v[12:13], v[14:15]
	v_mul_f64 v[14:15], v[10:11], v[14:15]
	s_waitcnt vmcnt(0)
	v_fma_f64 v[10:11], v[10:11], v[16:17], -v[18:19]
	v_fma_f64 v[12:13], v[12:13], v[16:17], v[14:15]
	v_add_f64 v[3:4], v[3:4], v[10:11]
	v_add_f64 v[1:2], v[1:2], v[12:13]
	s_andn2_b32 exec_lo, exec_lo, s5
	s_cbranch_execnz .LBB35_149
; %bb.150:
	s_or_b32 exec_lo, exec_lo, s5
	v_mov_b32_e32 v7, 0
	ds_read_b128 v[7:10], v7 offset:544
	s_waitcnt lgkmcnt(0)
	v_mul_f64 v[11:12], v[1:2], v[9:10]
	v_mul_f64 v[9:10], v[3:4], v[9:10]
	v_fma_f64 v[3:4], v[3:4], v[7:8], -v[11:12]
	v_fma_f64 v[1:2], v[1:2], v[7:8], v[9:10]
	buffer_store_dword v4, off, s[0:3], 0 offset:564
	buffer_store_dword v3, off, s[0:3], 0 offset:560
	;; [unrolled: 1-line block ×4, first 2 shown]
.LBB35_151:
	s_or_b32 exec_lo, exec_lo, s4
	v_mov_b32_e32 v4, s8
	s_waitcnt_vscnt null, 0x0
	s_barrier
	buffer_gl0_inv
	s_mov_b32 s4, exec_lo
	s_clause 0x3
	buffer_load_dword v1, v4, s[0:3], 0 offen
	buffer_load_dword v2, v4, s[0:3], 0 offen offset:4
	buffer_load_dword v3, v4, s[0:3], 0 offen offset:8
	;; [unrolled: 1-line block ×3, first 2 shown]
	s_waitcnt vmcnt(0)
	ds_write_b128 v5, v[1:4]
	s_waitcnt lgkmcnt(0)
	s_barrier
	buffer_gl0_inv
	v_cmpx_ne_u32_e32 35, v0
	s_cbranch_execz .LBB35_155
; %bb.152:
	v_mov_b32_e32 v1, 0
	v_mov_b32_e32 v3, 0
	;; [unrolled: 1-line block ×4, first 2 shown]
	v_add_nc_u32_e32 v7, 16, v121
	s_mov_b32 s5, 0
	.p2align	6
.LBB35_153:                             ; =>This Inner Loop Header: Depth=1
	s_clause 0x3
	buffer_load_dword v12, v7, s[0:3], 0 offen offset:8
	buffer_load_dword v13, v7, s[0:3], 0 offen offset:12
	buffer_load_dword v14, v7, s[0:3], 0 offen
	buffer_load_dword v15, v7, s[0:3], 0 offen offset:4
	ds_read_b128 v[8:11], v5
	v_add_nc_u32_e32 v6, 1, v6
	v_add_nc_u32_e32 v5, 16, v5
	;; [unrolled: 1-line block ×3, first 2 shown]
	v_cmp_lt_u32_e32 vcc_lo, 33, v6
	s_or_b32 s5, vcc_lo, s5
	s_waitcnt vmcnt(2) lgkmcnt(0)
	v_mul_f64 v[16:17], v[10:11], v[12:13]
	v_mul_f64 v[12:13], v[8:9], v[12:13]
	s_waitcnt vmcnt(0)
	v_fma_f64 v[8:9], v[8:9], v[14:15], -v[16:17]
	v_fma_f64 v[10:11], v[10:11], v[14:15], v[12:13]
	v_add_f64 v[3:4], v[3:4], v[8:9]
	v_add_f64 v[1:2], v[1:2], v[10:11]
	s_andn2_b32 exec_lo, exec_lo, s5
	s_cbranch_execnz .LBB35_153
; %bb.154:
	s_or_b32 exec_lo, exec_lo, s5
	v_mov_b32_e32 v5, 0
	ds_read_b128 v[5:8], v5 offset:560
	s_waitcnt lgkmcnt(0)
	v_mul_f64 v[9:10], v[1:2], v[7:8]
	v_mul_f64 v[7:8], v[3:4], v[7:8]
	v_fma_f64 v[3:4], v[3:4], v[5:6], -v[9:10]
	v_fma_f64 v[1:2], v[1:2], v[5:6], v[7:8]
	buffer_store_dword v4, off, s[0:3], 0 offset:580
	buffer_store_dword v3, off, s[0:3], 0 offset:576
	;; [unrolled: 1-line block ×4, first 2 shown]
.LBB35_155:
	s_or_b32 exec_lo, exec_lo, s4
	s_mov_b32 s5, -1
	s_waitcnt_vscnt null, 0x0
	s_barrier
	buffer_gl0_inv
.LBB35_156:
	s_and_b32 vcc_lo, exec_lo, s5
	s_cbranch_vccz .LBB35_158
; %bb.157:
	s_lshl_b64 s[4:5], s[6:7], 2
	v_mov_b32_e32 v1, 0
	s_add_u32 s4, s10, s4
	s_addc_u32 s5, s11, s5
	global_load_dword v1, v1, s[4:5]
	s_waitcnt vmcnt(0)
	v_cmp_ne_u32_e32 vcc_lo, 0, v1
	s_cbranch_vccz .LBB35_159
.LBB35_158:
	s_endpgm
.LBB35_159:
	v_lshl_add_u32 v123, v0, 4, 0x240
	s_mov_b32 s4, exec_lo
	v_cmpx_eq_u32_e32 35, v0
	s_cbranch_execz .LBB35_161
; %bb.160:
	v_mov_b32_e32 v4, s9
	v_mov_b32_e32 v5, 0
	s_clause 0x3
	buffer_load_dword v1, v4, s[0:3], 0 offen
	buffer_load_dword v2, v4, s[0:3], 0 offen offset:4
	buffer_load_dword v3, v4, s[0:3], 0 offen offset:8
	;; [unrolled: 1-line block ×3, first 2 shown]
	buffer_store_dword v5, off, s[0:3], 0 offset:560
	buffer_store_dword v5, off, s[0:3], 0 offset:564
	;; [unrolled: 1-line block ×4, first 2 shown]
	s_waitcnt vmcnt(0)
	ds_write_b128 v123, v[1:4]
.LBB35_161:
	s_or_b32 exec_lo, exec_lo, s4
	s_waitcnt lgkmcnt(0)
	s_waitcnt_vscnt null, 0x0
	s_barrier
	buffer_gl0_inv
	s_clause 0x7
	buffer_load_dword v6, off, s[0:3], 0 offset:584
	buffer_load_dword v7, off, s[0:3], 0 offset:588
	;; [unrolled: 1-line block ×8, first 2 shown]
	v_mov_b32_e32 v1, 0
	s_mov_b32 s4, exec_lo
	ds_read_b128 v[2:5], v1 offset:1136
	s_waitcnt vmcnt(6) lgkmcnt(0)
	v_mul_f64 v[14:15], v[4:5], v[6:7]
	v_mul_f64 v[6:7], v[2:3], v[6:7]
	s_waitcnt vmcnt(4)
	v_fma_f64 v[2:3], v[2:3], v[8:9], -v[14:15]
	v_fma_f64 v[4:5], v[4:5], v[8:9], v[6:7]
	v_add_f64 v[2:3], v[2:3], 0
	v_add_f64 v[4:5], v[4:5], 0
	s_waitcnt vmcnt(2)
	v_add_f64 v[2:3], v[10:11], -v[2:3]
	s_waitcnt vmcnt(0)
	v_add_f64 v[4:5], v[12:13], -v[4:5]
	buffer_store_dword v2, off, s[0:3], 0 offset:560
	buffer_store_dword v3, off, s[0:3], 0 offset:564
	;; [unrolled: 1-line block ×4, first 2 shown]
	v_cmpx_lt_u32_e32 33, v0
	s_cbranch_execz .LBB35_163
; %bb.162:
	v_mov_b32_e32 v5, s12
	s_clause 0x3
	buffer_load_dword v2, v5, s[0:3], 0 offen
	buffer_load_dword v3, v5, s[0:3], 0 offen offset:4
	buffer_load_dword v4, v5, s[0:3], 0 offen offset:8
	;; [unrolled: 1-line block ×3, first 2 shown]
	buffer_store_dword v1, off, s[0:3], 0 offset:544
	buffer_store_dword v1, off, s[0:3], 0 offset:548
	;; [unrolled: 1-line block ×4, first 2 shown]
	s_waitcnt vmcnt(0)
	ds_write_b128 v123, v[2:5]
.LBB35_163:
	s_or_b32 exec_lo, exec_lo, s4
	s_waitcnt lgkmcnt(0)
	s_waitcnt_vscnt null, 0x0
	s_barrier
	buffer_gl0_inv
	s_clause 0xb
	buffer_load_dword v10, off, s[0:3], 0 offset:568
	buffer_load_dword v11, off, s[0:3], 0 offset:572
	;; [unrolled: 1-line block ×12, first 2 shown]
	ds_read_b128 v[2:5], v1 offset:1120
	ds_read_b128 v[6:9], v1 offset:1136
	s_mov_b32 s4, exec_lo
	s_waitcnt vmcnt(10) lgkmcnt(1)
	v_mul_f64 v[22:23], v[4:5], v[10:11]
	v_mul_f64 v[10:11], v[2:3], v[10:11]
	s_waitcnt vmcnt(8) lgkmcnt(0)
	v_mul_f64 v[24:25], v[8:9], v[12:13]
	v_mul_f64 v[12:13], v[6:7], v[12:13]
	s_waitcnt vmcnt(6)
	v_fma_f64 v[1:2], v[2:3], v[14:15], -v[22:23]
	v_fma_f64 v[3:4], v[4:5], v[14:15], v[10:11]
	s_waitcnt vmcnt(4)
	v_fma_f64 v[5:6], v[6:7], v[16:17], -v[24:25]
	v_fma_f64 v[7:8], v[8:9], v[16:17], v[12:13]
	v_add_f64 v[1:2], v[1:2], 0
	v_add_f64 v[3:4], v[3:4], 0
	;; [unrolled: 1-line block ×4, first 2 shown]
	s_waitcnt vmcnt(2)
	v_add_f64 v[1:2], v[18:19], -v[1:2]
	s_waitcnt vmcnt(0)
	v_add_f64 v[3:4], v[20:21], -v[3:4]
	buffer_store_dword v1, off, s[0:3], 0 offset:544
	buffer_store_dword v2, off, s[0:3], 0 offset:548
	;; [unrolled: 1-line block ×4, first 2 shown]
	v_cmpx_lt_u32_e32 32, v0
	s_cbranch_execz .LBB35_165
; %bb.164:
	v_mov_b32_e32 v4, s13
	v_mov_b32_e32 v5, 0
	s_clause 0x3
	buffer_load_dword v1, v4, s[0:3], 0 offen
	buffer_load_dword v2, v4, s[0:3], 0 offen offset:4
	buffer_load_dword v3, v4, s[0:3], 0 offen offset:8
	;; [unrolled: 1-line block ×3, first 2 shown]
	buffer_store_dword v5, off, s[0:3], 0 offset:528
	buffer_store_dword v5, off, s[0:3], 0 offset:532
	;; [unrolled: 1-line block ×4, first 2 shown]
	s_waitcnt vmcnt(0)
	ds_write_b128 v123, v[1:4]
.LBB35_165:
	s_or_b32 exec_lo, exec_lo, s4
	s_waitcnt lgkmcnt(0)
	s_waitcnt_vscnt null, 0x0
	s_barrier
	buffer_gl0_inv
	s_clause 0xf
	buffer_load_dword v10, off, s[0:3], 0 offset:552
	buffer_load_dword v11, off, s[0:3], 0 offset:556
	;; [unrolled: 1-line block ×16, first 2 shown]
	v_mov_b32_e32 v1, 0
	ds_read_b128 v[2:5], v1 offset:1104
	ds_read_b128 v[6:9], v1 offset:1120
	s_mov_b32 s4, exec_lo
	s_waitcnt vmcnt(14) lgkmcnt(1)
	v_mul_f64 v[28:29], v[4:5], v[10:11]
	v_mul_f64 v[30:31], v[2:3], v[10:11]
	s_waitcnt vmcnt(12) lgkmcnt(0)
	v_mul_f64 v[32:33], v[8:9], v[14:15]
	ds_read_b128 v[10:13], v1 offset:1136
	v_mul_f64 v[14:15], v[6:7], v[14:15]
	s_waitcnt vmcnt(10)
	v_fma_f64 v[2:3], v[2:3], v[16:17], -v[28:29]
	v_fma_f64 v[4:5], v[4:5], v[16:17], v[30:31]
	s_waitcnt vmcnt(8) lgkmcnt(0)
	v_mul_f64 v[16:17], v[10:11], v[18:19]
	v_mul_f64 v[18:19], v[12:13], v[18:19]
	s_waitcnt vmcnt(6)
	v_fma_f64 v[6:7], v[6:7], v[20:21], -v[32:33]
	v_fma_f64 v[8:9], v[8:9], v[20:21], v[14:15]
	v_add_f64 v[2:3], v[2:3], 0
	v_add_f64 v[4:5], v[4:5], 0
	s_waitcnt vmcnt(4)
	v_fma_f64 v[10:11], v[10:11], v[22:23], -v[18:19]
	v_add_f64 v[2:3], v[2:3], v[6:7]
	v_fma_f64 v[6:7], v[12:13], v[22:23], v[16:17]
	v_add_f64 v[4:5], v[4:5], v[8:9]
	v_add_f64 v[2:3], v[2:3], v[10:11]
	;; [unrolled: 1-line block ×3, first 2 shown]
	s_waitcnt vmcnt(2)
	v_add_f64 v[2:3], v[24:25], -v[2:3]
	s_waitcnt vmcnt(0)
	v_add_f64 v[4:5], v[26:27], -v[4:5]
	buffer_store_dword v2, off, s[0:3], 0 offset:528
	buffer_store_dword v3, off, s[0:3], 0 offset:532
	;; [unrolled: 1-line block ×4, first 2 shown]
	v_cmpx_lt_u32_e32 31, v0
	s_cbranch_execz .LBB35_167
; %bb.166:
	v_mov_b32_e32 v5, s14
	s_clause 0x3
	buffer_load_dword v2, v5, s[0:3], 0 offen
	buffer_load_dword v3, v5, s[0:3], 0 offen offset:4
	buffer_load_dword v4, v5, s[0:3], 0 offen offset:8
	;; [unrolled: 1-line block ×3, first 2 shown]
	buffer_store_dword v1, off, s[0:3], 0 offset:512
	buffer_store_dword v1, off, s[0:3], 0 offset:516
	;; [unrolled: 1-line block ×4, first 2 shown]
	s_waitcnt vmcnt(0)
	ds_write_b128 v123, v[2:5]
.LBB35_167:
	s_or_b32 exec_lo, exec_lo, s4
	s_waitcnt lgkmcnt(0)
	s_waitcnt_vscnt null, 0x0
	s_barrier
	buffer_gl0_inv
	s_clause 0x13
	buffer_load_dword v10, off, s[0:3], 0 offset:536
	buffer_load_dword v11, off, s[0:3], 0 offset:540
	;; [unrolled: 1-line block ×20, first 2 shown]
	ds_read_b128 v[2:5], v1 offset:1088
	ds_read_b128 v[6:9], v1 offset:1104
	s_mov_b32 s4, exec_lo
	s_waitcnt vmcnt(18) lgkmcnt(1)
	v_mul_f64 v[32:33], v[4:5], v[10:11]
	v_mul_f64 v[34:35], v[2:3], v[10:11]
	s_waitcnt vmcnt(16) lgkmcnt(0)
	v_mul_f64 v[36:37], v[8:9], v[14:15]
	ds_read_b128 v[10:13], v1 offset:1120
	v_mul_f64 v[14:15], v[6:7], v[14:15]
	s_waitcnt vmcnt(14)
	v_fma_f64 v[32:33], v[2:3], v[16:17], -v[32:33]
	v_fma_f64 v[16:17], v[4:5], v[16:17], v[34:35]
	s_waitcnt vmcnt(12) lgkmcnt(0)
	v_mul_f64 v[34:35], v[10:11], v[18:19]
	v_mul_f64 v[18:19], v[12:13], v[18:19]
	s_waitcnt vmcnt(10)
	v_fma_f64 v[5:6], v[6:7], v[20:21], -v[36:37]
	ds_read_b128 v[1:4], v1 offset:1136
	v_fma_f64 v[7:8], v[8:9], v[20:21], v[14:15]
	v_add_f64 v[32:33], v[32:33], 0
	v_add_f64 v[14:15], v[16:17], 0
	s_waitcnt vmcnt(8) lgkmcnt(0)
	v_mul_f64 v[20:21], v[3:4], v[22:23]
	s_waitcnt vmcnt(6)
	v_fma_f64 v[9:10], v[10:11], v[24:25], -v[18:19]
	v_mul_f64 v[16:17], v[1:2], v[22:23]
	v_fma_f64 v[11:12], v[12:13], v[24:25], v[34:35]
	v_add_f64 v[5:6], v[32:33], v[5:6]
	v_add_f64 v[7:8], v[14:15], v[7:8]
	s_waitcnt vmcnt(4)
	v_fma_f64 v[1:2], v[1:2], v[26:27], -v[20:21]
	v_fma_f64 v[3:4], v[3:4], v[26:27], v[16:17]
	v_add_f64 v[5:6], v[5:6], v[9:10]
	v_add_f64 v[7:8], v[7:8], v[11:12]
	v_add_f64 v[1:2], v[5:6], v[1:2]
	v_add_f64 v[3:4], v[7:8], v[3:4]
	s_waitcnt vmcnt(2)
	v_add_f64 v[1:2], v[28:29], -v[1:2]
	s_waitcnt vmcnt(0)
	v_add_f64 v[3:4], v[30:31], -v[3:4]
	buffer_store_dword v1, off, s[0:3], 0 offset:512
	buffer_store_dword v2, off, s[0:3], 0 offset:516
	buffer_store_dword v3, off, s[0:3], 0 offset:520
	buffer_store_dword v4, off, s[0:3], 0 offset:524
	v_cmpx_lt_u32_e32 30, v0
	s_cbranch_execz .LBB35_169
; %bb.168:
	v_mov_b32_e32 v4, s15
	v_mov_b32_e32 v5, 0
	s_clause 0x3
	buffer_load_dword v1, v4, s[0:3], 0 offen
	buffer_load_dword v2, v4, s[0:3], 0 offen offset:4
	buffer_load_dword v3, v4, s[0:3], 0 offen offset:8
	;; [unrolled: 1-line block ×3, first 2 shown]
	buffer_store_dword v5, off, s[0:3], 0 offset:496
	buffer_store_dword v5, off, s[0:3], 0 offset:500
	;; [unrolled: 1-line block ×4, first 2 shown]
	s_waitcnt vmcnt(0)
	ds_write_b128 v123, v[1:4]
.LBB35_169:
	s_or_b32 exec_lo, exec_lo, s4
	s_waitcnt lgkmcnt(0)
	s_waitcnt_vscnt null, 0x0
	s_barrier
	buffer_gl0_inv
	s_clause 0x17
	buffer_load_dword v10, off, s[0:3], 0 offset:520
	buffer_load_dword v11, off, s[0:3], 0 offset:524
	;; [unrolled: 1-line block ×24, first 2 shown]
	v_mov_b32_e32 v1, 0
	ds_read_b128 v[2:5], v1 offset:1072
	ds_read_b128 v[6:9], v1 offset:1088
	s_mov_b32 s4, exec_lo
	s_waitcnt vmcnt(22) lgkmcnt(1)
	v_mul_f64 v[36:37], v[4:5], v[10:11]
	v_mul_f64 v[38:39], v[2:3], v[10:11]
	s_waitcnt vmcnt(20) lgkmcnt(0)
	v_mul_f64 v[40:41], v[8:9], v[14:15]
	ds_read_b128 v[10:13], v1 offset:1104
	v_mul_f64 v[14:15], v[6:7], v[14:15]
	s_waitcnt vmcnt(18)
	v_fma_f64 v[36:37], v[2:3], v[16:17], -v[36:37]
	v_fma_f64 v[16:17], v[4:5], v[16:17], v[38:39]
	ds_read_b128 v[2:5], v1 offset:1120
	s_waitcnt vmcnt(16) lgkmcnt(1)
	v_mul_f64 v[38:39], v[10:11], v[18:19]
	v_mul_f64 v[18:19], v[12:13], v[18:19]
	s_waitcnt vmcnt(14)
	v_fma_f64 v[40:41], v[6:7], v[20:21], -v[40:41]
	v_fma_f64 v[14:15], v[8:9], v[20:21], v[14:15]
	ds_read_b128 v[6:9], v1 offset:1136
	s_waitcnt vmcnt(10) lgkmcnt(1)
	v_mul_f64 v[20:21], v[2:3], v[22:23]
	v_add_f64 v[36:37], v[36:37], 0
	v_add_f64 v[16:17], v[16:17], 0
	v_mul_f64 v[22:23], v[4:5], v[22:23]
	s_waitcnt vmcnt(8)
	v_fma_f64 v[10:11], v[10:11], v[28:29], -v[18:19]
	v_fma_f64 v[12:13], v[12:13], v[28:29], v[38:39]
	s_waitcnt vmcnt(5)
	v_fma_f64 v[4:5], v[4:5], v[30:31], v[20:21]
	v_add_f64 v[18:19], v[36:37], v[40:41]
	v_add_f64 v[14:15], v[16:17], v[14:15]
	s_waitcnt lgkmcnt(0)
	v_mul_f64 v[16:17], v[6:7], v[24:25]
	v_mul_f64 v[24:25], v[8:9], v[24:25]
	v_fma_f64 v[2:3], v[2:3], v[30:31], -v[22:23]
	v_add_f64 v[10:11], v[18:19], v[10:11]
	v_add_f64 v[12:13], v[14:15], v[12:13]
	s_waitcnt vmcnt(4)
	v_fma_f64 v[8:9], v[8:9], v[26:27], v[16:17]
	v_fma_f64 v[6:7], v[6:7], v[26:27], -v[24:25]
	v_add_f64 v[2:3], v[10:11], v[2:3]
	v_add_f64 v[4:5], v[12:13], v[4:5]
	;; [unrolled: 1-line block ×4, first 2 shown]
	s_waitcnt vmcnt(2)
	v_add_f64 v[2:3], v[32:33], -v[2:3]
	s_waitcnt vmcnt(0)
	v_add_f64 v[4:5], v[34:35], -v[4:5]
	buffer_store_dword v3, off, s[0:3], 0 offset:500
	buffer_store_dword v2, off, s[0:3], 0 offset:496
	;; [unrolled: 1-line block ×4, first 2 shown]
	v_cmpx_lt_u32_e32 29, v0
	s_cbranch_execz .LBB35_171
; %bb.170:
	v_mov_b32_e32 v5, s16
	s_clause 0x3
	buffer_load_dword v2, v5, s[0:3], 0 offen
	buffer_load_dword v3, v5, s[0:3], 0 offen offset:4
	buffer_load_dword v4, v5, s[0:3], 0 offen offset:8
	;; [unrolled: 1-line block ×3, first 2 shown]
	buffer_store_dword v1, off, s[0:3], 0 offset:480
	buffer_store_dword v1, off, s[0:3], 0 offset:484
	;; [unrolled: 1-line block ×4, first 2 shown]
	s_waitcnt vmcnt(0)
	ds_write_b128 v123, v[2:5]
.LBB35_171:
	s_or_b32 exec_lo, exec_lo, s4
	s_waitcnt lgkmcnt(0)
	s_waitcnt_vscnt null, 0x0
	s_barrier
	buffer_gl0_inv
	s_clause 0x1b
	buffer_load_dword v10, off, s[0:3], 0 offset:504
	buffer_load_dword v11, off, s[0:3], 0 offset:508
	;; [unrolled: 1-line block ×28, first 2 shown]
	ds_read_b128 v[2:5], v1 offset:1056
	ds_read_b128 v[6:9], v1 offset:1072
	s_mov_b32 s4, exec_lo
	s_waitcnt vmcnt(26) lgkmcnt(1)
	v_mul_f64 v[40:41], v[4:5], v[10:11]
	v_mul_f64 v[42:43], v[2:3], v[10:11]
	s_waitcnt vmcnt(24) lgkmcnt(0)
	v_mul_f64 v[44:45], v[8:9], v[14:15]
	ds_read_b128 v[10:13], v1 offset:1088
	v_mul_f64 v[14:15], v[6:7], v[14:15]
	s_waitcnt vmcnt(22)
	v_fma_f64 v[40:41], v[2:3], v[16:17], -v[40:41]
	v_fma_f64 v[16:17], v[4:5], v[16:17], v[42:43]
	ds_read_b128 v[2:5], v1 offset:1104
	s_waitcnt vmcnt(20) lgkmcnt(1)
	v_mul_f64 v[42:43], v[10:11], v[18:19]
	v_mul_f64 v[18:19], v[12:13], v[18:19]
	s_waitcnt vmcnt(18)
	v_fma_f64 v[44:45], v[6:7], v[20:21], -v[44:45]
	v_fma_f64 v[14:15], v[8:9], v[20:21], v[14:15]
	ds_read_b128 v[6:9], v1 offset:1120
	s_waitcnt vmcnt(14) lgkmcnt(1)
	v_mul_f64 v[20:21], v[2:3], v[22:23]
	v_add_f64 v[40:41], v[40:41], 0
	v_add_f64 v[16:17], v[16:17], 0
	v_mul_f64 v[22:23], v[4:5], v[22:23]
	s_waitcnt vmcnt(12)
	v_fma_f64 v[18:19], v[10:11], v[28:29], -v[18:19]
	v_fma_f64 v[28:29], v[12:13], v[28:29], v[42:43]
	ds_read_b128 v[10:13], v1 offset:1136
	v_add_f64 v[40:41], v[40:41], v[44:45]
	v_add_f64 v[14:15], v[16:17], v[14:15]
	s_waitcnt vmcnt(11) lgkmcnt(1)
	v_mul_f64 v[16:17], v[6:7], v[24:25]
	v_mul_f64 v[24:25], v[8:9], v[24:25]
	s_waitcnt vmcnt(9)
	v_fma_f64 v[1:2], v[2:3], v[30:31], -v[22:23]
	v_fma_f64 v[3:4], v[4:5], v[30:31], v[20:21]
	s_waitcnt vmcnt(7) lgkmcnt(0)
	v_mul_f64 v[22:23], v[12:13], v[32:33]
	v_mul_f64 v[20:21], v[10:11], v[32:33]
	v_add_f64 v[18:19], v[40:41], v[18:19]
	v_add_f64 v[14:15], v[14:15], v[28:29]
	s_waitcnt vmcnt(6)
	v_fma_f64 v[5:6], v[6:7], v[26:27], -v[24:25]
	v_fma_f64 v[7:8], v[8:9], v[26:27], v[16:17]
	s_waitcnt vmcnt(4)
	v_fma_f64 v[9:10], v[10:11], v[34:35], -v[22:23]
	v_add_f64 v[1:2], v[18:19], v[1:2]
	v_add_f64 v[3:4], v[14:15], v[3:4]
	;; [unrolled: 1-line block ×3, first 2 shown]
	v_fma_f64 v[5:6], v[12:13], v[34:35], v[20:21]
	v_add_f64 v[3:4], v[3:4], v[7:8]
	v_add_f64 v[1:2], v[1:2], v[9:10]
	;; [unrolled: 1-line block ×3, first 2 shown]
	s_waitcnt vmcnt(2)
	v_add_f64 v[1:2], v[36:37], -v[1:2]
	s_waitcnt vmcnt(0)
	v_add_f64 v[3:4], v[38:39], -v[3:4]
	buffer_store_dword v2, off, s[0:3], 0 offset:484
	buffer_store_dword v1, off, s[0:3], 0 offset:480
	;; [unrolled: 1-line block ×4, first 2 shown]
	v_cmpx_lt_u32_e32 28, v0
	s_cbranch_execz .LBB35_173
; %bb.172:
	v_mov_b32_e32 v4, s17
	v_mov_b32_e32 v5, 0
	s_clause 0x3
	buffer_load_dword v1, v4, s[0:3], 0 offen
	buffer_load_dword v2, v4, s[0:3], 0 offen offset:4
	buffer_load_dword v3, v4, s[0:3], 0 offen offset:8
	buffer_load_dword v4, v4, s[0:3], 0 offen offset:12
	buffer_store_dword v5, off, s[0:3], 0 offset:464
	buffer_store_dword v5, off, s[0:3], 0 offset:468
	;; [unrolled: 1-line block ×4, first 2 shown]
	s_waitcnt vmcnt(0)
	ds_write_b128 v123, v[1:4]
.LBB35_173:
	s_or_b32 exec_lo, exec_lo, s4
	s_waitcnt lgkmcnt(0)
	s_waitcnt_vscnt null, 0x0
	s_barrier
	buffer_gl0_inv
	s_clause 0x1f
	buffer_load_dword v10, off, s[0:3], 0 offset:488
	buffer_load_dword v11, off, s[0:3], 0 offset:492
	;; [unrolled: 1-line block ×32, first 2 shown]
	v_mov_b32_e32 v1, 0
	ds_read_b128 v[2:5], v1 offset:1040
	ds_read_b128 v[6:9], v1 offset:1056
	s_mov_b32 s4, exec_lo
	s_waitcnt vmcnt(30) lgkmcnt(1)
	v_mul_f64 v[44:45], v[4:5], v[10:11]
	v_mul_f64 v[46:47], v[2:3], v[10:11]
	s_waitcnt vmcnt(28) lgkmcnt(0)
	v_mul_f64 v[121:122], v[8:9], v[14:15]
	ds_read_b128 v[10:13], v1 offset:1072
	v_mul_f64 v[14:15], v[6:7], v[14:15]
	s_waitcnt vmcnt(26)
	v_fma_f64 v[44:45], v[2:3], v[16:17], -v[44:45]
	v_fma_f64 v[16:17], v[4:5], v[16:17], v[46:47]
	ds_read_b128 v[2:5], v1 offset:1088
	s_waitcnt vmcnt(24) lgkmcnt(1)
	v_mul_f64 v[46:47], v[10:11], v[18:19]
	v_mul_f64 v[18:19], v[12:13], v[18:19]
	s_waitcnt vmcnt(22)
	v_fma_f64 v[121:122], v[6:7], v[20:21], -v[121:122]
	v_fma_f64 v[14:15], v[8:9], v[20:21], v[14:15]
	ds_read_b128 v[6:9], v1 offset:1104
	s_waitcnt vmcnt(18) lgkmcnt(1)
	v_mul_f64 v[20:21], v[2:3], v[22:23]
	v_add_f64 v[44:45], v[44:45], 0
	v_add_f64 v[16:17], v[16:17], 0
	v_mul_f64 v[22:23], v[4:5], v[22:23]
	s_waitcnt vmcnt(16)
	v_fma_f64 v[18:19], v[10:11], v[28:29], -v[18:19]
	v_fma_f64 v[28:29], v[12:13], v[28:29], v[46:47]
	ds_read_b128 v[10:13], v1 offset:1120
	s_waitcnt vmcnt(13)
	v_fma_f64 v[20:21], v[4:5], v[30:31], v[20:21]
	v_add_f64 v[44:45], v[44:45], v[121:122]
	v_add_f64 v[14:15], v[16:17], v[14:15]
	s_waitcnt lgkmcnt(1)
	v_mul_f64 v[16:17], v[6:7], v[24:25]
	v_mul_f64 v[24:25], v[8:9], v[24:25]
	v_fma_f64 v[22:23], v[2:3], v[30:31], -v[22:23]
	s_waitcnt vmcnt(9) lgkmcnt(0)
	v_mul_f64 v[30:31], v[12:13], v[32:33]
	ds_read_b128 v[2:5], v1 offset:1136
	v_add_f64 v[18:19], v[44:45], v[18:19]
	v_add_f64 v[14:15], v[14:15], v[28:29]
	v_mul_f64 v[28:29], v[10:11], v[32:33]
	s_waitcnt vmcnt(8)
	v_fma_f64 v[6:7], v[6:7], v[26:27], -v[24:25]
	v_fma_f64 v[8:9], v[8:9], v[26:27], v[16:17]
	s_waitcnt vmcnt(5)
	v_fma_f64 v[10:11], v[10:11], v[38:39], -v[30:31]
	s_waitcnt lgkmcnt(0)
	v_mul_f64 v[16:17], v[2:3], v[34:35]
	v_add_f64 v[18:19], v[18:19], v[22:23]
	v_add_f64 v[14:15], v[14:15], v[20:21]
	v_mul_f64 v[20:21], v[4:5], v[34:35]
	v_fma_f64 v[12:13], v[12:13], v[38:39], v[28:29]
	s_waitcnt vmcnt(4)
	v_fma_f64 v[4:5], v[4:5], v[36:37], v[16:17]
	v_add_f64 v[6:7], v[18:19], v[6:7]
	v_add_f64 v[8:9], v[14:15], v[8:9]
	v_fma_f64 v[2:3], v[2:3], v[36:37], -v[20:21]
	v_add_f64 v[6:7], v[6:7], v[10:11]
	v_add_f64 v[8:9], v[8:9], v[12:13]
	;; [unrolled: 1-line block ×4, first 2 shown]
	s_waitcnt vmcnt(2)
	v_add_f64 v[2:3], v[40:41], -v[2:3]
	s_waitcnt vmcnt(0)
	v_add_f64 v[4:5], v[42:43], -v[4:5]
	buffer_store_dword v3, off, s[0:3], 0 offset:468
	buffer_store_dword v2, off, s[0:3], 0 offset:464
	;; [unrolled: 1-line block ×4, first 2 shown]
	v_cmpx_lt_u32_e32 27, v0
	s_cbranch_execz .LBB35_175
; %bb.174:
	v_mov_b32_e32 v5, s18
	s_clause 0x3
	buffer_load_dword v2, v5, s[0:3], 0 offen
	buffer_load_dword v3, v5, s[0:3], 0 offen offset:4
	buffer_load_dword v4, v5, s[0:3], 0 offen offset:8
	;; [unrolled: 1-line block ×3, first 2 shown]
	buffer_store_dword v1, off, s[0:3], 0 offset:448
	buffer_store_dword v1, off, s[0:3], 0 offset:452
	;; [unrolled: 1-line block ×4, first 2 shown]
	s_waitcnt vmcnt(0)
	ds_write_b128 v123, v[2:5]
.LBB35_175:
	s_or_b32 exec_lo, exec_lo, s4
	s_waitcnt lgkmcnt(0)
	s_waitcnt_vscnt null, 0x0
	s_barrier
	buffer_gl0_inv
	s_clause 0x23
	buffer_load_dword v10, off, s[0:3], 0 offset:472
	buffer_load_dword v11, off, s[0:3], 0 offset:476
	;; [unrolled: 1-line block ×36, first 2 shown]
	ds_read_b128 v[2:5], v1 offset:1024
	ds_read_b128 v[6:9], v1 offset:1040
	s_mov_b32 s4, exec_lo
	s_waitcnt vmcnt(34) lgkmcnt(1)
	v_mul_f64 v[121:122], v[4:5], v[10:11]
	v_mul_f64 v[124:125], v[2:3], v[10:11]
	s_waitcnt vmcnt(32) lgkmcnt(0)
	v_mul_f64 v[126:127], v[8:9], v[14:15]
	ds_read_b128 v[10:13], v1 offset:1056
	v_mul_f64 v[14:15], v[6:7], v[14:15]
	s_waitcnt vmcnt(30)
	v_fma_f64 v[121:122], v[2:3], v[16:17], -v[121:122]
	v_fma_f64 v[16:17], v[4:5], v[16:17], v[124:125]
	ds_read_b128 v[2:5], v1 offset:1072
	s_waitcnt vmcnt(28) lgkmcnt(1)
	v_mul_f64 v[124:125], v[10:11], v[18:19]
	v_mul_f64 v[18:19], v[12:13], v[18:19]
	s_waitcnt vmcnt(26)
	v_fma_f64 v[126:127], v[6:7], v[20:21], -v[126:127]
	v_fma_f64 v[14:15], v[8:9], v[20:21], v[14:15]
	ds_read_b128 v[6:9], v1 offset:1088
	s_waitcnt vmcnt(22) lgkmcnt(1)
	v_mul_f64 v[20:21], v[2:3], v[22:23]
	v_add_f64 v[121:122], v[121:122], 0
	v_add_f64 v[16:17], v[16:17], 0
	v_mul_f64 v[22:23], v[4:5], v[22:23]
	s_waitcnt vmcnt(20)
	v_fma_f64 v[18:19], v[10:11], v[28:29], -v[18:19]
	v_fma_f64 v[28:29], v[12:13], v[28:29], v[124:125]
	ds_read_b128 v[10:13], v1 offset:1104
	s_waitcnt vmcnt(17)
	v_fma_f64 v[20:21], v[4:5], v[30:31], v[20:21]
	v_add_f64 v[121:122], v[121:122], v[126:127]
	v_add_f64 v[14:15], v[16:17], v[14:15]
	s_waitcnt lgkmcnt(1)
	v_mul_f64 v[16:17], v[6:7], v[24:25]
	v_mul_f64 v[24:25], v[8:9], v[24:25]
	v_fma_f64 v[22:23], v[2:3], v[30:31], -v[22:23]
	s_waitcnt vmcnt(13) lgkmcnt(0)
	v_mul_f64 v[30:31], v[12:13], v[32:33]
	ds_read_b128 v[2:5], v1 offset:1120
	v_add_f64 v[18:19], v[121:122], v[18:19]
	v_add_f64 v[14:15], v[14:15], v[28:29]
	v_mul_f64 v[28:29], v[10:11], v[32:33]
	s_waitcnt vmcnt(12)
	v_fma_f64 v[24:25], v[6:7], v[26:27], -v[24:25]
	v_fma_f64 v[16:17], v[8:9], v[26:27], v[16:17]
	ds_read_b128 v[6:9], v1 offset:1136
	s_waitcnt vmcnt(9)
	v_fma_f64 v[10:11], v[10:11], v[38:39], -v[30:31]
	v_add_f64 v[18:19], v[18:19], v[22:23]
	v_add_f64 v[14:15], v[14:15], v[20:21]
	s_waitcnt lgkmcnt(1)
	v_mul_f64 v[22:23], v[4:5], v[34:35]
	v_mul_f64 v[20:21], v[2:3], v[34:35]
	v_fma_f64 v[12:13], v[12:13], v[38:39], v[28:29]
	v_add_f64 v[18:19], v[18:19], v[24:25]
	v_add_f64 v[14:15], v[14:15], v[16:17]
	s_waitcnt vmcnt(7) lgkmcnt(0)
	v_mul_f64 v[24:25], v[8:9], v[40:41]
	s_waitcnt vmcnt(6)
	v_fma_f64 v[1:2], v[2:3], v[36:37], -v[22:23]
	v_mul_f64 v[16:17], v[6:7], v[40:41]
	v_fma_f64 v[3:4], v[4:5], v[36:37], v[20:21]
	v_add_f64 v[10:11], v[18:19], v[10:11]
	v_add_f64 v[12:13], v[14:15], v[12:13]
	s_waitcnt vmcnt(4)
	v_fma_f64 v[5:6], v[6:7], v[42:43], -v[24:25]
	v_fma_f64 v[7:8], v[8:9], v[42:43], v[16:17]
	v_add_f64 v[1:2], v[10:11], v[1:2]
	v_add_f64 v[3:4], v[12:13], v[3:4]
	;; [unrolled: 1-line block ×4, first 2 shown]
	s_waitcnt vmcnt(2)
	v_add_f64 v[1:2], v[44:45], -v[1:2]
	s_waitcnt vmcnt(0)
	v_add_f64 v[3:4], v[46:47], -v[3:4]
	buffer_store_dword v2, off, s[0:3], 0 offset:452
	buffer_store_dword v1, off, s[0:3], 0 offset:448
	;; [unrolled: 1-line block ×4, first 2 shown]
	v_cmpx_lt_u32_e32 26, v0
	s_cbranch_execz .LBB35_177
; %bb.176:
	v_mov_b32_e32 v4, s19
	v_mov_b32_e32 v5, 0
	s_clause 0x3
	buffer_load_dword v1, v4, s[0:3], 0 offen
	buffer_load_dword v2, v4, s[0:3], 0 offen offset:4
	buffer_load_dword v3, v4, s[0:3], 0 offen offset:8
	;; [unrolled: 1-line block ×3, first 2 shown]
	buffer_store_dword v5, off, s[0:3], 0 offset:432
	buffer_store_dword v5, off, s[0:3], 0 offset:436
	;; [unrolled: 1-line block ×4, first 2 shown]
	s_waitcnt vmcnt(0)
	ds_write_b128 v123, v[1:4]
.LBB35_177:
	s_or_b32 exec_lo, exec_lo, s4
	s_waitcnt lgkmcnt(0)
	s_waitcnt_vscnt null, 0x0
	s_barrier
	buffer_gl0_inv
	s_clause 0x27
	buffer_load_dword v10, off, s[0:3], 0 offset:456
	buffer_load_dword v11, off, s[0:3], 0 offset:460
	buffer_load_dword v14, off, s[0:3], 0 offset:472
	buffer_load_dword v15, off, s[0:3], 0 offset:476
	buffer_load_dword v16, off, s[0:3], 0 offset:448
	buffer_load_dword v17, off, s[0:3], 0 offset:452
	buffer_load_dword v18, off, s[0:3], 0 offset:488
	buffer_load_dword v19, off, s[0:3], 0 offset:492
	buffer_load_dword v20, off, s[0:3], 0 offset:464
	buffer_load_dword v21, off, s[0:3], 0 offset:468
	buffer_load_dword v23, off, s[0:3], 0 offset:508
	buffer_load_dword v24, off, s[0:3], 0 offset:520
	buffer_load_dword v26, off, s[0:3], 0 offset:512
	buffer_load_dword v22, off, s[0:3], 0 offset:504
	buffer_load_dword v28, off, s[0:3], 0 offset:480
	buffer_load_dword v29, off, s[0:3], 0 offset:484
	buffer_load_dword v25, off, s[0:3], 0 offset:524
	buffer_load_dword v31, off, s[0:3], 0 offset:500
	buffer_load_dword v30, off, s[0:3], 0 offset:496
	buffer_load_dword v33, off, s[0:3], 0 offset:540
	buffer_load_dword v34, off, s[0:3], 0 offset:552
	buffer_load_dword v36, off, s[0:3], 0 offset:544
	buffer_load_dword v32, off, s[0:3], 0 offset:536
	buffer_load_dword v27, off, s[0:3], 0 offset:516
	buffer_load_dword v35, off, s[0:3], 0 offset:556
	buffer_load_dword v39, off, s[0:3], 0 offset:532
	buffer_load_dword v38, off, s[0:3], 0 offset:528
	buffer_load_dword v41, off, s[0:3], 0 offset:572
	buffer_load_dword v42, off, s[0:3], 0 offset:584
	buffer_load_dword v44, off, s[0:3], 0 offset:576
	buffer_load_dword v40, off, s[0:3], 0 offset:568
	buffer_load_dword v37, off, s[0:3], 0 offset:548
	buffer_load_dword v43, off, s[0:3], 0 offset:588
	buffer_load_dword v47, off, s[0:3], 0 offset:564
	buffer_load_dword v46, off, s[0:3], 0 offset:560
	buffer_load_dword v45, off, s[0:3], 0 offset:580
	buffer_load_dword v121, off, s[0:3], 0 offset:432
	buffer_load_dword v122, off, s[0:3], 0 offset:436
	buffer_load_dword v124, off, s[0:3], 0 offset:440
	buffer_load_dword v125, off, s[0:3], 0 offset:444
	v_mov_b32_e32 v1, 0
	ds_read_b128 v[2:5], v1 offset:1008
	ds_read_b128 v[6:9], v1 offset:1024
	s_mov_b32 s4, exec_lo
	s_waitcnt vmcnt(38) lgkmcnt(1)
	v_mul_f64 v[126:127], v[4:5], v[10:11]
	v_mul_f64 v[128:129], v[2:3], v[10:11]
	s_waitcnt vmcnt(36) lgkmcnt(0)
	v_mul_f64 v[130:131], v[8:9], v[14:15]
	ds_read_b128 v[10:13], v1 offset:1040
	v_mul_f64 v[14:15], v[6:7], v[14:15]
	s_waitcnt vmcnt(34)
	v_fma_f64 v[126:127], v[2:3], v[16:17], -v[126:127]
	v_fma_f64 v[16:17], v[4:5], v[16:17], v[128:129]
	ds_read_b128 v[2:5], v1 offset:1056
	s_waitcnt vmcnt(32) lgkmcnt(1)
	v_mul_f64 v[128:129], v[10:11], v[18:19]
	v_mul_f64 v[18:19], v[12:13], v[18:19]
	s_waitcnt vmcnt(30)
	v_fma_f64 v[130:131], v[6:7], v[20:21], -v[130:131]
	v_fma_f64 v[14:15], v[8:9], v[20:21], v[14:15]
	ds_read_b128 v[6:9], v1 offset:1072
	s_waitcnt vmcnt(26) lgkmcnt(1)
	v_mul_f64 v[20:21], v[2:3], v[22:23]
	v_add_f64 v[126:127], v[126:127], 0
	v_add_f64 v[16:17], v[16:17], 0
	v_mul_f64 v[22:23], v[4:5], v[22:23]
	s_waitcnt vmcnt(24)
	v_fma_f64 v[18:19], v[10:11], v[28:29], -v[18:19]
	v_fma_f64 v[28:29], v[12:13], v[28:29], v[128:129]
	ds_read_b128 v[10:13], v1 offset:1088
	s_waitcnt vmcnt(21)
	v_fma_f64 v[20:21], v[4:5], v[30:31], v[20:21]
	v_add_f64 v[126:127], v[126:127], v[130:131]
	v_add_f64 v[14:15], v[16:17], v[14:15]
	s_waitcnt lgkmcnt(1)
	v_mul_f64 v[16:17], v[6:7], v[24:25]
	v_mul_f64 v[24:25], v[8:9], v[24:25]
	v_fma_f64 v[22:23], v[2:3], v[30:31], -v[22:23]
	s_waitcnt vmcnt(17) lgkmcnt(0)
	v_mul_f64 v[30:31], v[12:13], v[32:33]
	ds_read_b128 v[2:5], v1 offset:1104
	v_add_f64 v[18:19], v[126:127], v[18:19]
	v_add_f64 v[14:15], v[14:15], v[28:29]
	v_mul_f64 v[28:29], v[10:11], v[32:33]
	s_waitcnt vmcnt(16)
	v_fma_f64 v[24:25], v[6:7], v[26:27], -v[24:25]
	v_fma_f64 v[16:17], v[8:9], v[26:27], v[16:17]
	ds_read_b128 v[6:9], v1 offset:1120
	s_waitcnt vmcnt(13)
	v_fma_f64 v[26:27], v[10:11], v[38:39], -v[30:31]
	v_add_f64 v[18:19], v[18:19], v[22:23]
	v_add_f64 v[14:15], v[14:15], v[20:21]
	s_waitcnt lgkmcnt(1)
	v_mul_f64 v[22:23], v[4:5], v[34:35]
	v_mul_f64 v[20:21], v[2:3], v[34:35]
	v_add_f64 v[18:19], v[18:19], v[24:25]
	v_fma_f64 v[24:25], v[12:13], v[38:39], v[28:29]
	v_add_f64 v[14:15], v[14:15], v[16:17]
	s_waitcnt vmcnt(9) lgkmcnt(0)
	v_mul_f64 v[28:29], v[8:9], v[40:41]
	s_waitcnt vmcnt(8)
	v_fma_f64 v[2:3], v[2:3], v[36:37], -v[22:23]
	ds_read_b128 v[10:13], v1 offset:1136
	v_mul_f64 v[16:17], v[6:7], v[40:41]
	v_fma_f64 v[4:5], v[4:5], v[36:37], v[20:21]
	v_add_f64 v[18:19], v[18:19], v[26:27]
	v_add_f64 v[14:15], v[14:15], v[24:25]
	s_waitcnt vmcnt(7) lgkmcnt(0)
	v_mul_f64 v[22:23], v[12:13], v[42:43]
	s_waitcnt vmcnt(5)
	v_fma_f64 v[6:7], v[6:7], v[46:47], -v[28:29]
	v_mul_f64 v[20:21], v[10:11], v[42:43]
	v_fma_f64 v[8:9], v[8:9], v[46:47], v[16:17]
	v_add_f64 v[2:3], v[18:19], v[2:3]
	v_add_f64 v[4:5], v[14:15], v[4:5]
	s_waitcnt vmcnt(4)
	v_fma_f64 v[10:11], v[10:11], v[44:45], -v[22:23]
	v_add_f64 v[2:3], v[2:3], v[6:7]
	v_fma_f64 v[6:7], v[12:13], v[44:45], v[20:21]
	v_add_f64 v[4:5], v[4:5], v[8:9]
	v_add_f64 v[2:3], v[2:3], v[10:11]
	;; [unrolled: 1-line block ×3, first 2 shown]
	s_waitcnt vmcnt(2)
	v_add_f64 v[2:3], v[121:122], -v[2:3]
	s_waitcnt vmcnt(0)
	v_add_f64 v[4:5], v[124:125], -v[4:5]
	buffer_store_dword v3, off, s[0:3], 0 offset:436
	buffer_store_dword v2, off, s[0:3], 0 offset:432
	;; [unrolled: 1-line block ×4, first 2 shown]
	v_cmpx_lt_u32_e32 25, v0
	s_cbranch_execz .LBB35_179
; %bb.178:
	v_mov_b32_e32 v5, s22
	s_clause 0x3
	buffer_load_dword v2, v5, s[0:3], 0 offen
	buffer_load_dword v3, v5, s[0:3], 0 offen offset:4
	buffer_load_dword v4, v5, s[0:3], 0 offen offset:8
	;; [unrolled: 1-line block ×3, first 2 shown]
	buffer_store_dword v1, off, s[0:3], 0 offset:416
	buffer_store_dword v1, off, s[0:3], 0 offset:420
	;; [unrolled: 1-line block ×4, first 2 shown]
	s_waitcnt vmcnt(0)
	ds_write_b128 v123, v[2:5]
.LBB35_179:
	s_or_b32 exec_lo, exec_lo, s4
	s_waitcnt lgkmcnt(0)
	s_waitcnt_vscnt null, 0x0
	s_barrier
	buffer_gl0_inv
	s_clause 0x2b
	buffer_load_dword v10, off, s[0:3], 0 offset:440
	buffer_load_dword v11, off, s[0:3], 0 offset:444
	;; [unrolled: 1-line block ×44, first 2 shown]
	ds_read_b128 v[2:5], v1 offset:992
	ds_read_b128 v[6:9], v1 offset:1008
	s_mov_b32 s4, exec_lo
	s_waitcnt vmcnt(42) lgkmcnt(1)
	v_mul_f64 v[130:131], v[4:5], v[10:11]
	v_mul_f64 v[132:133], v[2:3], v[10:11]
	s_waitcnt vmcnt(40) lgkmcnt(0)
	v_mul_f64 v[134:135], v[8:9], v[14:15]
	ds_read_b128 v[10:13], v1 offset:1024
	v_mul_f64 v[14:15], v[6:7], v[14:15]
	s_waitcnt vmcnt(38)
	v_fma_f64 v[130:131], v[2:3], v[16:17], -v[130:131]
	v_fma_f64 v[16:17], v[4:5], v[16:17], v[132:133]
	ds_read_b128 v[2:5], v1 offset:1040
	s_waitcnt vmcnt(36) lgkmcnt(1)
	v_mul_f64 v[132:133], v[10:11], v[18:19]
	v_mul_f64 v[18:19], v[12:13], v[18:19]
	s_waitcnt vmcnt(34)
	v_fma_f64 v[134:135], v[6:7], v[20:21], -v[134:135]
	v_fma_f64 v[14:15], v[8:9], v[20:21], v[14:15]
	ds_read_b128 v[6:9], v1 offset:1056
	s_waitcnt vmcnt(30) lgkmcnt(1)
	v_mul_f64 v[20:21], v[2:3], v[22:23]
	v_add_f64 v[130:131], v[130:131], 0
	v_add_f64 v[16:17], v[16:17], 0
	v_mul_f64 v[22:23], v[4:5], v[22:23]
	s_waitcnt vmcnt(28)
	v_fma_f64 v[18:19], v[10:11], v[28:29], -v[18:19]
	v_fma_f64 v[28:29], v[12:13], v[28:29], v[132:133]
	ds_read_b128 v[10:13], v1 offset:1072
	s_waitcnt vmcnt(25)
	v_fma_f64 v[20:21], v[4:5], v[30:31], v[20:21]
	v_add_f64 v[130:131], v[130:131], v[134:135]
	v_add_f64 v[14:15], v[16:17], v[14:15]
	s_waitcnt lgkmcnt(1)
	v_mul_f64 v[16:17], v[6:7], v[24:25]
	v_mul_f64 v[24:25], v[8:9], v[24:25]
	v_fma_f64 v[22:23], v[2:3], v[30:31], -v[22:23]
	s_waitcnt vmcnt(21) lgkmcnt(0)
	v_mul_f64 v[30:31], v[12:13], v[32:33]
	ds_read_b128 v[2:5], v1 offset:1088
	v_add_f64 v[18:19], v[130:131], v[18:19]
	v_add_f64 v[14:15], v[14:15], v[28:29]
	v_mul_f64 v[28:29], v[10:11], v[32:33]
	s_waitcnt vmcnt(20)
	v_fma_f64 v[24:25], v[6:7], v[26:27], -v[24:25]
	v_fma_f64 v[16:17], v[8:9], v[26:27], v[16:17]
	ds_read_b128 v[6:9], v1 offset:1104
	s_waitcnt vmcnt(17)
	v_fma_f64 v[26:27], v[10:11], v[38:39], -v[30:31]
	v_add_f64 v[18:19], v[18:19], v[22:23]
	v_add_f64 v[14:15], v[14:15], v[20:21]
	s_waitcnt lgkmcnt(1)
	v_mul_f64 v[22:23], v[4:5], v[34:35]
	v_mul_f64 v[20:21], v[2:3], v[34:35]
	v_add_f64 v[18:19], v[18:19], v[24:25]
	v_fma_f64 v[24:25], v[12:13], v[38:39], v[28:29]
	v_add_f64 v[14:15], v[14:15], v[16:17]
	s_waitcnt vmcnt(13) lgkmcnt(0)
	v_mul_f64 v[28:29], v[8:9], v[40:41]
	s_waitcnt vmcnt(12)
	v_fma_f64 v[22:23], v[2:3], v[36:37], -v[22:23]
	ds_read_b128 v[10:13], v1 offset:1120
	v_mul_f64 v[16:17], v[6:7], v[40:41]
	v_fma_f64 v[20:21], v[4:5], v[36:37], v[20:21]
	ds_read_b128 v[1:4], v1 offset:1136
	v_add_f64 v[18:19], v[18:19], v[26:27]
	v_add_f64 v[14:15], v[14:15], v[24:25]
	s_waitcnt vmcnt(11) lgkmcnt(1)
	v_mul_f64 v[26:27], v[12:13], v[42:43]
	s_waitcnt vmcnt(9)
	v_fma_f64 v[5:6], v[6:7], v[46:47], -v[28:29]
	v_mul_f64 v[24:25], v[10:11], v[42:43]
	v_fma_f64 v[7:8], v[8:9], v[46:47], v[16:17]
	s_waitcnt vmcnt(7) lgkmcnt(0)
	v_mul_f64 v[16:17], v[1:2], v[121:122]
	v_add_f64 v[18:19], v[18:19], v[22:23]
	v_add_f64 v[14:15], v[14:15], v[20:21]
	v_mul_f64 v[20:21], v[3:4], v[121:122]
	s_waitcnt vmcnt(6)
	v_fma_f64 v[9:10], v[10:11], v[44:45], -v[26:27]
	v_fma_f64 v[11:12], v[12:13], v[44:45], v[24:25]
	s_waitcnt vmcnt(4)
	v_fma_f64 v[3:4], v[3:4], v[124:125], v[16:17]
	v_add_f64 v[5:6], v[18:19], v[5:6]
	v_add_f64 v[7:8], v[14:15], v[7:8]
	v_fma_f64 v[1:2], v[1:2], v[124:125], -v[20:21]
	v_add_f64 v[5:6], v[5:6], v[9:10]
	v_add_f64 v[7:8], v[7:8], v[11:12]
	;; [unrolled: 1-line block ×4, first 2 shown]
	s_waitcnt vmcnt(2)
	v_add_f64 v[1:2], v[126:127], -v[1:2]
	s_waitcnt vmcnt(0)
	v_add_f64 v[3:4], v[128:129], -v[3:4]
	buffer_store_dword v2, off, s[0:3], 0 offset:420
	buffer_store_dword v1, off, s[0:3], 0 offset:416
	;; [unrolled: 1-line block ×4, first 2 shown]
	v_cmpx_lt_u32_e32 24, v0
	s_cbranch_execz .LBB35_181
; %bb.180:
	v_mov_b32_e32 v4, s23
	v_mov_b32_e32 v5, 0
	s_clause 0x3
	buffer_load_dword v1, v4, s[0:3], 0 offen
	buffer_load_dword v2, v4, s[0:3], 0 offen offset:4
	buffer_load_dword v3, v4, s[0:3], 0 offen offset:8
	;; [unrolled: 1-line block ×3, first 2 shown]
	buffer_store_dword v5, off, s[0:3], 0 offset:400
	buffer_store_dword v5, off, s[0:3], 0 offset:404
	;; [unrolled: 1-line block ×4, first 2 shown]
	s_waitcnt vmcnt(0)
	ds_write_b128 v123, v[1:4]
.LBB35_181:
	s_or_b32 exec_lo, exec_lo, s4
	s_waitcnt lgkmcnt(0)
	s_waitcnt_vscnt null, 0x0
	s_barrier
	buffer_gl0_inv
	s_clause 0x2f
	buffer_load_dword v10, off, s[0:3], 0 offset:424
	buffer_load_dword v11, off, s[0:3], 0 offset:428
	;; [unrolled: 1-line block ×48, first 2 shown]
	v_mov_b32_e32 v1, 0
	ds_read_b128 v[2:5], v1 offset:976
	ds_read_b128 v[6:9], v1 offset:992
	s_mov_b32 s4, exec_lo
	s_waitcnt vmcnt(46) lgkmcnt(1)
	v_mul_f64 v[134:135], v[4:5], v[10:11]
	v_mul_f64 v[136:137], v[2:3], v[10:11]
	s_waitcnt vmcnt(44) lgkmcnt(0)
	v_mul_f64 v[138:139], v[8:9], v[14:15]
	ds_read_b128 v[10:13], v1 offset:1008
	v_mul_f64 v[14:15], v[6:7], v[14:15]
	s_waitcnt vmcnt(42)
	v_fma_f64 v[134:135], v[2:3], v[16:17], -v[134:135]
	v_fma_f64 v[16:17], v[4:5], v[16:17], v[136:137]
	ds_read_b128 v[2:5], v1 offset:1024
	s_waitcnt vmcnt(40) lgkmcnt(1)
	v_mul_f64 v[136:137], v[10:11], v[18:19]
	v_mul_f64 v[18:19], v[12:13], v[18:19]
	s_waitcnt vmcnt(38)
	v_fma_f64 v[138:139], v[6:7], v[20:21], -v[138:139]
	v_fma_f64 v[14:15], v[8:9], v[20:21], v[14:15]
	ds_read_b128 v[6:9], v1 offset:1040
	s_waitcnt vmcnt(34) lgkmcnt(1)
	v_mul_f64 v[20:21], v[2:3], v[22:23]
	v_add_f64 v[134:135], v[134:135], 0
	v_add_f64 v[16:17], v[16:17], 0
	v_mul_f64 v[22:23], v[4:5], v[22:23]
	s_waitcnt vmcnt(32)
	v_fma_f64 v[18:19], v[10:11], v[28:29], -v[18:19]
	v_fma_f64 v[28:29], v[12:13], v[28:29], v[136:137]
	ds_read_b128 v[10:13], v1 offset:1056
	s_waitcnt vmcnt(29)
	v_fma_f64 v[20:21], v[4:5], v[30:31], v[20:21]
	v_add_f64 v[134:135], v[134:135], v[138:139]
	v_add_f64 v[14:15], v[16:17], v[14:15]
	s_waitcnt lgkmcnt(1)
	v_mul_f64 v[16:17], v[6:7], v[24:25]
	v_mul_f64 v[24:25], v[8:9], v[24:25]
	v_fma_f64 v[22:23], v[2:3], v[30:31], -v[22:23]
	s_waitcnt vmcnt(25) lgkmcnt(0)
	v_mul_f64 v[30:31], v[12:13], v[32:33]
	ds_read_b128 v[2:5], v1 offset:1072
	v_add_f64 v[18:19], v[134:135], v[18:19]
	v_add_f64 v[14:15], v[14:15], v[28:29]
	v_mul_f64 v[28:29], v[10:11], v[32:33]
	s_waitcnt vmcnt(24)
	v_fma_f64 v[24:25], v[6:7], v[26:27], -v[24:25]
	v_fma_f64 v[16:17], v[8:9], v[26:27], v[16:17]
	ds_read_b128 v[6:9], v1 offset:1088
	s_waitcnt vmcnt(21)
	v_fma_f64 v[26:27], v[10:11], v[38:39], -v[30:31]
	v_add_f64 v[18:19], v[18:19], v[22:23]
	v_add_f64 v[14:15], v[14:15], v[20:21]
	s_waitcnt lgkmcnt(1)
	v_mul_f64 v[22:23], v[4:5], v[34:35]
	v_mul_f64 v[20:21], v[2:3], v[34:35]
	v_add_f64 v[18:19], v[18:19], v[24:25]
	v_fma_f64 v[24:25], v[12:13], v[38:39], v[28:29]
	v_add_f64 v[14:15], v[14:15], v[16:17]
	s_waitcnt vmcnt(17) lgkmcnt(0)
	v_mul_f64 v[28:29], v[8:9], v[40:41]
	s_waitcnt vmcnt(16)
	v_fma_f64 v[22:23], v[2:3], v[36:37], -v[22:23]
	ds_read_b128 v[10:13], v1 offset:1104
	v_mul_f64 v[16:17], v[6:7], v[40:41]
	v_fma_f64 v[20:21], v[4:5], v[36:37], v[20:21]
	ds_read_b128 v[2:5], v1 offset:1120
	v_add_f64 v[18:19], v[18:19], v[26:27]
	v_add_f64 v[14:15], v[14:15], v[24:25]
	s_waitcnt vmcnt(15) lgkmcnt(1)
	v_mul_f64 v[26:27], v[12:13], v[42:43]
	s_waitcnt vmcnt(13)
	v_fma_f64 v[28:29], v[6:7], v[46:47], -v[28:29]
	v_mul_f64 v[24:25], v[10:11], v[42:43]
	v_fma_f64 v[16:17], v[8:9], v[46:47], v[16:17]
	ds_read_b128 v[6:9], v1 offset:1136
	v_add_f64 v[18:19], v[18:19], v[22:23]
	s_waitcnt vmcnt(9) lgkmcnt(1)
	v_mul_f64 v[22:23], v[4:5], v[121:122]
	v_add_f64 v[14:15], v[14:15], v[20:21]
	s_waitcnt vmcnt(8)
	v_fma_f64 v[10:11], v[10:11], v[44:45], -v[26:27]
	v_mul_f64 v[20:21], v[2:3], v[121:122]
	v_fma_f64 v[12:13], v[12:13], v[44:45], v[24:25]
	s_waitcnt vmcnt(7) lgkmcnt(0)
	v_mul_f64 v[24:25], v[8:9], v[124:125]
	v_add_f64 v[18:19], v[18:19], v[28:29]
	s_waitcnt vmcnt(5)
	v_fma_f64 v[2:3], v[2:3], v[128:129], -v[22:23]
	v_add_f64 v[14:15], v[14:15], v[16:17]
	v_mul_f64 v[16:17], v[6:7], v[124:125]
	v_fma_f64 v[4:5], v[4:5], v[128:129], v[20:21]
	s_waitcnt vmcnt(4)
	v_fma_f64 v[6:7], v[6:7], v[126:127], -v[24:25]
	v_add_f64 v[10:11], v[18:19], v[10:11]
	v_add_f64 v[12:13], v[14:15], v[12:13]
	v_fma_f64 v[8:9], v[8:9], v[126:127], v[16:17]
	v_add_f64 v[2:3], v[10:11], v[2:3]
	v_add_f64 v[4:5], v[12:13], v[4:5]
	;; [unrolled: 1-line block ×4, first 2 shown]
	s_waitcnt vmcnt(2)
	v_add_f64 v[2:3], v[130:131], -v[2:3]
	s_waitcnt vmcnt(0)
	v_add_f64 v[4:5], v[132:133], -v[4:5]
	buffer_store_dword v3, off, s[0:3], 0 offset:404
	buffer_store_dword v2, off, s[0:3], 0 offset:400
	;; [unrolled: 1-line block ×4, first 2 shown]
	v_cmpx_lt_u32_e32 23, v0
	s_cbranch_execz .LBB35_183
; %bb.182:
	v_mov_b32_e32 v5, s24
	s_clause 0x3
	buffer_load_dword v2, v5, s[0:3], 0 offen
	buffer_load_dword v3, v5, s[0:3], 0 offen offset:4
	buffer_load_dword v4, v5, s[0:3], 0 offen offset:8
	;; [unrolled: 1-line block ×3, first 2 shown]
	buffer_store_dword v1, off, s[0:3], 0 offset:384
	buffer_store_dword v1, off, s[0:3], 0 offset:388
	;; [unrolled: 1-line block ×4, first 2 shown]
	s_waitcnt vmcnt(0)
	ds_write_b128 v123, v[2:5]
.LBB35_183:
	s_or_b32 exec_lo, exec_lo, s4
	s_waitcnt lgkmcnt(0)
	s_waitcnt_vscnt null, 0x0
	s_barrier
	buffer_gl0_inv
	s_clause 0x2f
	buffer_load_dword v10, off, s[0:3], 0 offset:408
	buffer_load_dword v11, off, s[0:3], 0 offset:412
	;; [unrolled: 1-line block ×48, first 2 shown]
	ds_read_b128 v[2:5], v1 offset:960
	s_clause 0x3
	buffer_load_dword v134, off, s[0:3], 0 offset:384
	buffer_load_dword v135, off, s[0:3], 0 offset:388
	;; [unrolled: 1-line block ×4, first 2 shown]
	ds_read_b128 v[6:9], v1 offset:976
	s_mov_b32 s4, exec_lo
	s_waitcnt vmcnt(50) lgkmcnt(1)
	v_mul_f64 v[138:139], v[4:5], v[10:11]
	v_mul_f64 v[140:141], v[2:3], v[10:11]
	ds_read_b128 v[10:13], v1 offset:992
	s_waitcnt vmcnt(48) lgkmcnt(1)
	v_mul_f64 v[142:143], v[8:9], v[14:15]
	v_mul_f64 v[14:15], v[6:7], v[14:15]
	s_waitcnt vmcnt(46)
	v_fma_f64 v[138:139], v[2:3], v[16:17], -v[138:139]
	v_fma_f64 v[16:17], v[4:5], v[16:17], v[140:141]
	s_waitcnt vmcnt(44) lgkmcnt(0)
	v_mul_f64 v[140:141], v[10:11], v[18:19]
	v_mul_f64 v[18:19], v[12:13], v[18:19]
	s_waitcnt vmcnt(42)
	v_fma_f64 v[142:143], v[6:7], v[20:21], -v[142:143]
	ds_read_b128 v[2:5], v1 offset:1008
	v_fma_f64 v[14:15], v[8:9], v[20:21], v[14:15]
	ds_read_b128 v[6:9], v1 offset:1024
	v_add_f64 v[138:139], v[138:139], 0
	v_add_f64 v[16:17], v[16:17], 0
	s_waitcnt vmcnt(38) lgkmcnt(1)
	v_mul_f64 v[20:21], v[2:3], v[22:23]
	v_mul_f64 v[22:23], v[4:5], v[22:23]
	s_waitcnt vmcnt(36)
	v_fma_f64 v[18:19], v[10:11], v[28:29], -v[18:19]
	v_fma_f64 v[28:29], v[12:13], v[28:29], v[140:141]
	ds_read_b128 v[10:13], v1 offset:1040
	v_add_f64 v[138:139], v[138:139], v[142:143]
	v_add_f64 v[14:15], v[16:17], v[14:15]
	s_waitcnt vmcnt(35) lgkmcnt(1)
	v_mul_f64 v[16:17], v[6:7], v[24:25]
	v_mul_f64 v[24:25], v[8:9], v[24:25]
	s_waitcnt vmcnt(33)
	v_fma_f64 v[22:23], v[2:3], v[30:31], -v[22:23]
	v_fma_f64 v[20:21], v[4:5], v[30:31], v[20:21]
	ds_read_b128 v[2:5], v1 offset:1056
	s_waitcnt vmcnt(29) lgkmcnt(1)
	v_mul_f64 v[30:31], v[12:13], v[32:33]
	v_add_f64 v[18:19], v[138:139], v[18:19]
	v_add_f64 v[14:15], v[14:15], v[28:29]
	v_mul_f64 v[28:29], v[10:11], v[32:33]
	s_waitcnt vmcnt(28)
	v_fma_f64 v[24:25], v[6:7], v[26:27], -v[24:25]
	v_fma_f64 v[16:17], v[8:9], v[26:27], v[16:17]
	ds_read_b128 v[6:9], v1 offset:1072
	s_waitcnt vmcnt(25)
	v_fma_f64 v[26:27], v[10:11], v[38:39], -v[30:31]
	v_add_f64 v[18:19], v[18:19], v[22:23]
	v_add_f64 v[14:15], v[14:15], v[20:21]
	s_waitcnt lgkmcnt(1)
	v_mul_f64 v[22:23], v[4:5], v[34:35]
	v_mul_f64 v[20:21], v[2:3], v[34:35]
	v_add_f64 v[18:19], v[18:19], v[24:25]
	v_fma_f64 v[24:25], v[12:13], v[38:39], v[28:29]
	v_add_f64 v[14:15], v[14:15], v[16:17]
	ds_read_b128 v[10:13], v1 offset:1088
	s_waitcnt vmcnt(21) lgkmcnt(1)
	v_mul_f64 v[28:29], v[8:9], v[40:41]
	s_waitcnt vmcnt(20)
	v_fma_f64 v[22:23], v[2:3], v[36:37], -v[22:23]
	v_mul_f64 v[16:17], v[6:7], v[40:41]
	v_fma_f64 v[20:21], v[4:5], v[36:37], v[20:21]
	ds_read_b128 v[2:5], v1 offset:1104
	v_add_f64 v[18:19], v[18:19], v[26:27]
	s_waitcnt vmcnt(19) lgkmcnt(1)
	v_mul_f64 v[26:27], v[12:13], v[42:43]
	v_add_f64 v[14:15], v[14:15], v[24:25]
	v_mul_f64 v[24:25], v[10:11], v[42:43]
	s_waitcnt vmcnt(17)
	v_fma_f64 v[28:29], v[6:7], v[46:47], -v[28:29]
	v_fma_f64 v[16:17], v[8:9], v[46:47], v[16:17]
	ds_read_b128 v[6:9], v1 offset:1120
	v_add_f64 v[18:19], v[18:19], v[22:23]
	s_waitcnt vmcnt(13) lgkmcnt(1)
	v_mul_f64 v[22:23], v[4:5], v[121:122]
	v_add_f64 v[14:15], v[14:15], v[20:21]
	s_waitcnt vmcnt(12)
	v_fma_f64 v[26:27], v[10:11], v[44:45], -v[26:27]
	v_mul_f64 v[20:21], v[2:3], v[121:122]
	v_fma_f64 v[24:25], v[12:13], v[44:45], v[24:25]
	ds_read_b128 v[10:13], v1 offset:1136
	v_add_f64 v[18:19], v[18:19], v[28:29]
	s_waitcnt vmcnt(11) lgkmcnt(1)
	v_mul_f64 v[28:29], v[8:9], v[124:125]
	v_add_f64 v[14:15], v[14:15], v[16:17]
	s_waitcnt vmcnt(9)
	v_fma_f64 v[1:2], v[2:3], v[128:129], -v[22:23]
	v_mul_f64 v[16:17], v[6:7], v[124:125]
	v_fma_f64 v[3:4], v[4:5], v[128:129], v[20:21]
	s_waitcnt vmcnt(7) lgkmcnt(0)
	v_mul_f64 v[22:23], v[12:13], v[130:131]
	v_mul_f64 v[20:21], v[10:11], v[130:131]
	v_add_f64 v[18:19], v[18:19], v[26:27]
	s_waitcnt vmcnt(6)
	v_fma_f64 v[5:6], v[6:7], v[126:127], -v[28:29]
	v_add_f64 v[14:15], v[14:15], v[24:25]
	v_fma_f64 v[7:8], v[8:9], v[126:127], v[16:17]
	s_waitcnt vmcnt(4)
	v_fma_f64 v[9:10], v[10:11], v[132:133], -v[22:23]
	v_add_f64 v[1:2], v[18:19], v[1:2]
	v_add_f64 v[3:4], v[14:15], v[3:4]
	;; [unrolled: 1-line block ×3, first 2 shown]
	v_fma_f64 v[5:6], v[12:13], v[132:133], v[20:21]
	v_add_f64 v[3:4], v[3:4], v[7:8]
	v_add_f64 v[1:2], v[1:2], v[9:10]
	;; [unrolled: 1-line block ×3, first 2 shown]
	s_waitcnt vmcnt(2)
	v_add_f64 v[1:2], v[134:135], -v[1:2]
	s_waitcnt vmcnt(0)
	v_add_f64 v[3:4], v[136:137], -v[3:4]
	buffer_store_dword v2, off, s[0:3], 0 offset:388
	buffer_store_dword v1, off, s[0:3], 0 offset:384
	buffer_store_dword v4, off, s[0:3], 0 offset:396
	buffer_store_dword v3, off, s[0:3], 0 offset:392
	v_cmpx_lt_u32_e32 22, v0
	s_cbranch_execz .LBB35_185
; %bb.184:
	v_mov_b32_e32 v4, s25
	v_mov_b32_e32 v5, 0
	s_clause 0x3
	buffer_load_dword v1, v4, s[0:3], 0 offen
	buffer_load_dword v2, v4, s[0:3], 0 offen offset:4
	buffer_load_dword v3, v4, s[0:3], 0 offen offset:8
	buffer_load_dword v4, v4, s[0:3], 0 offen offset:12
	buffer_store_dword v5, off, s[0:3], 0 offset:368
	buffer_store_dword v5, off, s[0:3], 0 offset:372
	;; [unrolled: 1-line block ×4, first 2 shown]
	s_waitcnt vmcnt(0)
	ds_write_b128 v123, v[1:4]
.LBB35_185:
	s_or_b32 exec_lo, exec_lo, s4
	s_waitcnt lgkmcnt(0)
	s_waitcnt_vscnt null, 0x0
	s_barrier
	buffer_gl0_inv
	s_clause 0x33
	buffer_load_dword v10, off, s[0:3], 0 offset:392
	buffer_load_dword v11, off, s[0:3], 0 offset:396
	;; [unrolled: 1-line block ×52, first 2 shown]
	v_mov_b32_e32 v1, 0
	ds_read_b128 v[2:5], v1 offset:944
	ds_read_b128 v[6:9], v1 offset:960
	s_clause 0x3
	buffer_load_dword v142, off, s[0:3], 0 offset:368
	buffer_load_dword v143, off, s[0:3], 0 offset:372
	buffer_load_dword v144, off, s[0:3], 0 offset:376
	buffer_load_dword v145, off, s[0:3], 0 offset:380
	s_mov_b32 s4, exec_lo
	s_waitcnt vmcnt(54) lgkmcnt(1)
	v_mul_f64 v[138:139], v[4:5], v[10:11]
	v_mul_f64 v[140:141], v[2:3], v[10:11]
	s_waitcnt vmcnt(52) lgkmcnt(0)
	v_mul_f64 v[146:147], v[8:9], v[14:15]
	ds_read_b128 v[10:13], v1 offset:976
	v_mul_f64 v[14:15], v[6:7], v[14:15]
	s_waitcnt vmcnt(50)
	v_fma_f64 v[138:139], v[2:3], v[16:17], -v[138:139]
	v_fma_f64 v[16:17], v[4:5], v[16:17], v[140:141]
	ds_read_b128 v[2:5], v1 offset:992
	s_waitcnt vmcnt(48) lgkmcnt(1)
	v_mul_f64 v[140:141], v[10:11], v[18:19]
	v_mul_f64 v[18:19], v[12:13], v[18:19]
	s_waitcnt vmcnt(46)
	v_fma_f64 v[146:147], v[6:7], v[20:21], -v[146:147]
	v_fma_f64 v[14:15], v[8:9], v[20:21], v[14:15]
	ds_read_b128 v[6:9], v1 offset:1008
	s_waitcnt vmcnt(42) lgkmcnt(1)
	v_mul_f64 v[20:21], v[2:3], v[22:23]
	v_add_f64 v[138:139], v[138:139], 0
	v_add_f64 v[16:17], v[16:17], 0
	v_mul_f64 v[22:23], v[4:5], v[22:23]
	s_waitcnt vmcnt(40)
	v_fma_f64 v[18:19], v[10:11], v[28:29], -v[18:19]
	v_fma_f64 v[28:29], v[12:13], v[28:29], v[140:141]
	ds_read_b128 v[10:13], v1 offset:1024
	s_waitcnt vmcnt(37)
	v_fma_f64 v[20:21], v[4:5], v[30:31], v[20:21]
	v_add_f64 v[138:139], v[138:139], v[146:147]
	v_add_f64 v[14:15], v[16:17], v[14:15]
	s_waitcnt lgkmcnt(1)
	v_mul_f64 v[16:17], v[6:7], v[24:25]
	v_mul_f64 v[24:25], v[8:9], v[24:25]
	v_fma_f64 v[22:23], v[2:3], v[30:31], -v[22:23]
	s_waitcnt vmcnt(33) lgkmcnt(0)
	v_mul_f64 v[30:31], v[12:13], v[32:33]
	ds_read_b128 v[2:5], v1 offset:1040
	v_add_f64 v[18:19], v[138:139], v[18:19]
	v_add_f64 v[14:15], v[14:15], v[28:29]
	v_mul_f64 v[28:29], v[10:11], v[32:33]
	s_waitcnt vmcnt(32)
	v_fma_f64 v[24:25], v[6:7], v[26:27], -v[24:25]
	v_fma_f64 v[16:17], v[8:9], v[26:27], v[16:17]
	ds_read_b128 v[6:9], v1 offset:1056
	s_waitcnt vmcnt(29)
	v_fma_f64 v[26:27], v[10:11], v[38:39], -v[30:31]
	v_add_f64 v[18:19], v[18:19], v[22:23]
	v_add_f64 v[14:15], v[14:15], v[20:21]
	s_waitcnt lgkmcnt(1)
	v_mul_f64 v[22:23], v[4:5], v[34:35]
	v_mul_f64 v[20:21], v[2:3], v[34:35]
	v_add_f64 v[18:19], v[18:19], v[24:25]
	v_fma_f64 v[24:25], v[12:13], v[38:39], v[28:29]
	v_add_f64 v[14:15], v[14:15], v[16:17]
	s_waitcnt vmcnt(25) lgkmcnt(0)
	v_mul_f64 v[28:29], v[8:9], v[40:41]
	s_waitcnt vmcnt(24)
	v_fma_f64 v[22:23], v[2:3], v[36:37], -v[22:23]
	ds_read_b128 v[10:13], v1 offset:1072
	v_mul_f64 v[16:17], v[6:7], v[40:41]
	v_fma_f64 v[20:21], v[4:5], v[36:37], v[20:21]
	ds_read_b128 v[2:5], v1 offset:1088
	v_add_f64 v[18:19], v[18:19], v[26:27]
	v_add_f64 v[14:15], v[14:15], v[24:25]
	s_waitcnt vmcnt(23) lgkmcnt(1)
	v_mul_f64 v[26:27], v[12:13], v[42:43]
	s_waitcnt vmcnt(21)
	v_fma_f64 v[28:29], v[6:7], v[46:47], -v[28:29]
	v_mul_f64 v[24:25], v[10:11], v[42:43]
	v_fma_f64 v[16:17], v[8:9], v[46:47], v[16:17]
	ds_read_b128 v[6:9], v1 offset:1104
	v_add_f64 v[18:19], v[18:19], v[22:23]
	s_waitcnt vmcnt(17) lgkmcnt(1)
	v_mul_f64 v[22:23], v[4:5], v[121:122]
	v_add_f64 v[14:15], v[14:15], v[20:21]
	s_waitcnt vmcnt(16)
	v_fma_f64 v[26:27], v[10:11], v[44:45], -v[26:27]
	v_mul_f64 v[20:21], v[2:3], v[121:122]
	v_fma_f64 v[24:25], v[12:13], v[44:45], v[24:25]
	ds_read_b128 v[10:13], v1 offset:1120
	v_add_f64 v[18:19], v[18:19], v[28:29]
	s_waitcnt vmcnt(15) lgkmcnt(1)
	v_mul_f64 v[28:29], v[8:9], v[124:125]
	v_add_f64 v[14:15], v[14:15], v[16:17]
	;; [unrolled: 9-line block ×3, first 2 shown]
	s_waitcnt vmcnt(8)
	v_fma_f64 v[6:7], v[6:7], v[126:127], -v[28:29]
	v_mul_f64 v[24:25], v[10:11], v[130:131]
	v_fma_f64 v[8:9], v[8:9], v[126:127], v[16:17]
	s_waitcnt vmcnt(7) lgkmcnt(0)
	v_mul_f64 v[16:17], v[2:3], v[132:133]
	v_add_f64 v[18:19], v[18:19], v[22:23]
	s_waitcnt vmcnt(5)
	v_fma_f64 v[10:11], v[10:11], v[136:137], -v[26:27]
	v_add_f64 v[14:15], v[14:15], v[20:21]
	v_mul_f64 v[20:21], v[4:5], v[132:133]
	v_fma_f64 v[12:13], v[12:13], v[136:137], v[24:25]
	s_waitcnt vmcnt(4)
	v_fma_f64 v[4:5], v[4:5], v[134:135], v[16:17]
	v_add_f64 v[6:7], v[18:19], v[6:7]
	v_add_f64 v[8:9], v[14:15], v[8:9]
	v_fma_f64 v[2:3], v[2:3], v[134:135], -v[20:21]
	v_add_f64 v[6:7], v[6:7], v[10:11]
	v_add_f64 v[8:9], v[8:9], v[12:13]
	;; [unrolled: 1-line block ×4, first 2 shown]
	s_waitcnt vmcnt(2)
	v_add_f64 v[2:3], v[142:143], -v[2:3]
	s_waitcnt vmcnt(0)
	v_add_f64 v[4:5], v[144:145], -v[4:5]
	buffer_store_dword v3, off, s[0:3], 0 offset:372
	buffer_store_dword v2, off, s[0:3], 0 offset:368
	;; [unrolled: 1-line block ×4, first 2 shown]
	v_cmpx_lt_u32_e32 21, v0
	s_cbranch_execz .LBB35_187
; %bb.186:
	v_mov_b32_e32 v5, s26
	s_clause 0x3
	buffer_load_dword v2, v5, s[0:3], 0 offen
	buffer_load_dword v3, v5, s[0:3], 0 offen offset:4
	buffer_load_dword v4, v5, s[0:3], 0 offen offset:8
	buffer_load_dword v5, v5, s[0:3], 0 offen offset:12
	buffer_store_dword v1, off, s[0:3], 0 offset:352
	buffer_store_dword v1, off, s[0:3], 0 offset:356
	;; [unrolled: 1-line block ×4, first 2 shown]
	s_waitcnt vmcnt(0)
	ds_write_b128 v123, v[2:5]
.LBB35_187:
	s_or_b32 exec_lo, exec_lo, s4
	s_waitcnt lgkmcnt(0)
	s_waitcnt_vscnt null, 0x0
	s_barrier
	buffer_gl0_inv
	s_clause 0x35
	buffer_load_dword v10, off, s[0:3], 0 offset:376
	buffer_load_dword v11, off, s[0:3], 0 offset:380
	;; [unrolled: 1-line block ×54, first 2 shown]
	ds_read_b128 v[2:5], v1 offset:928
	s_clause 0x1
	buffer_load_dword v141, off, s[0:3], 0 offset:580
	buffer_load_dword v140, off, s[0:3], 0 offset:576
	ds_read_b128 v[6:9], v1 offset:944
	s_mov_b32 s4, exec_lo
	s_waitcnt vmcnt(54) lgkmcnt(1)
	v_mul_f64 v[142:143], v[4:5], v[10:11]
	v_mul_f64 v[144:145], v[2:3], v[10:11]
	ds_read_b128 v[10:13], v1 offset:960
	s_waitcnt vmcnt(52) lgkmcnt(1)
	v_mul_f64 v[146:147], v[8:9], v[14:15]
	v_mul_f64 v[14:15], v[6:7], v[14:15]
	s_waitcnt vmcnt(48) lgkmcnt(0)
	v_mul_f64 v[150:151], v[10:11], v[18:19]
	v_fma_f64 v[142:143], v[2:3], v[16:17], -v[142:143]
	v_fma_f64 v[16:17], v[4:5], v[16:17], v[144:145]
	s_clause 0x3
	buffer_load_dword v144, off, s[0:3], 0 offset:352
	buffer_load_dword v145, off, s[0:3], 0 offset:356
	;; [unrolled: 1-line block ×4, first 2 shown]
	v_mul_f64 v[18:19], v[12:13], v[18:19]
	s_waitcnt vmcnt(50)
	v_fma_f64 v[146:147], v[6:7], v[20:21], -v[146:147]
	ds_read_b128 v[2:5], v1 offset:976
	v_fma_f64 v[14:15], v[8:9], v[20:21], v[14:15]
	ds_read_b128 v[6:9], v1 offset:992
	v_add_f64 v[142:143], v[142:143], 0
	v_add_f64 v[16:17], v[16:17], 0
	s_waitcnt vmcnt(46) lgkmcnt(1)
	v_mul_f64 v[20:21], v[2:3], v[22:23]
	v_mul_f64 v[22:23], v[4:5], v[22:23]
	s_waitcnt vmcnt(44)
	v_fma_f64 v[18:19], v[10:11], v[28:29], -v[18:19]
	v_fma_f64 v[28:29], v[12:13], v[28:29], v[150:151]
	ds_read_b128 v[10:13], v1 offset:1008
	v_add_f64 v[142:143], v[142:143], v[146:147]
	v_add_f64 v[14:15], v[16:17], v[14:15]
	s_waitcnt vmcnt(43) lgkmcnt(1)
	v_mul_f64 v[16:17], v[6:7], v[24:25]
	v_mul_f64 v[24:25], v[8:9], v[24:25]
	s_waitcnt vmcnt(41)
	v_fma_f64 v[22:23], v[2:3], v[30:31], -v[22:23]
	v_fma_f64 v[20:21], v[4:5], v[30:31], v[20:21]
	ds_read_b128 v[2:5], v1 offset:1024
	s_waitcnt vmcnt(37) lgkmcnt(1)
	v_mul_f64 v[30:31], v[12:13], v[32:33]
	v_add_f64 v[18:19], v[142:143], v[18:19]
	v_add_f64 v[14:15], v[14:15], v[28:29]
	v_mul_f64 v[28:29], v[10:11], v[32:33]
	s_waitcnt vmcnt(36)
	v_fma_f64 v[24:25], v[6:7], v[26:27], -v[24:25]
	v_fma_f64 v[16:17], v[8:9], v[26:27], v[16:17]
	ds_read_b128 v[6:9], v1 offset:1040
	s_waitcnt vmcnt(33)
	v_fma_f64 v[26:27], v[10:11], v[38:39], -v[30:31]
	v_add_f64 v[18:19], v[18:19], v[22:23]
	v_add_f64 v[14:15], v[14:15], v[20:21]
	s_waitcnt lgkmcnt(1)
	v_mul_f64 v[22:23], v[4:5], v[34:35]
	v_mul_f64 v[20:21], v[2:3], v[34:35]
	v_add_f64 v[18:19], v[18:19], v[24:25]
	v_fma_f64 v[24:25], v[12:13], v[38:39], v[28:29]
	v_add_f64 v[14:15], v[14:15], v[16:17]
	ds_read_b128 v[10:13], v1 offset:1056
	s_waitcnt vmcnt(29) lgkmcnt(1)
	v_mul_f64 v[28:29], v[8:9], v[40:41]
	s_waitcnt vmcnt(28)
	v_fma_f64 v[22:23], v[2:3], v[36:37], -v[22:23]
	v_mul_f64 v[16:17], v[6:7], v[40:41]
	v_fma_f64 v[20:21], v[4:5], v[36:37], v[20:21]
	ds_read_b128 v[2:5], v1 offset:1072
	v_add_f64 v[18:19], v[18:19], v[26:27]
	s_waitcnt vmcnt(27) lgkmcnt(1)
	v_mul_f64 v[26:27], v[12:13], v[42:43]
	v_add_f64 v[14:15], v[14:15], v[24:25]
	v_mul_f64 v[24:25], v[10:11], v[42:43]
	s_waitcnt vmcnt(25)
	v_fma_f64 v[28:29], v[6:7], v[46:47], -v[28:29]
	v_fma_f64 v[16:17], v[8:9], v[46:47], v[16:17]
	ds_read_b128 v[6:9], v1 offset:1088
	v_add_f64 v[18:19], v[18:19], v[22:23]
	s_waitcnt vmcnt(21) lgkmcnt(1)
	v_mul_f64 v[22:23], v[4:5], v[121:122]
	v_add_f64 v[14:15], v[14:15], v[20:21]
	s_waitcnt vmcnt(20)
	v_fma_f64 v[26:27], v[10:11], v[44:45], -v[26:27]
	v_mul_f64 v[20:21], v[2:3], v[121:122]
	v_fma_f64 v[24:25], v[12:13], v[44:45], v[24:25]
	ds_read_b128 v[10:13], v1 offset:1104
	v_add_f64 v[18:19], v[18:19], v[28:29]
	s_waitcnt vmcnt(19) lgkmcnt(1)
	v_mul_f64 v[28:29], v[8:9], v[124:125]
	v_add_f64 v[14:15], v[14:15], v[16:17]
	s_waitcnt vmcnt(17)
	v_fma_f64 v[22:23], v[2:3], v[128:129], -v[22:23]
	v_mul_f64 v[16:17], v[6:7], v[124:125]
	;; [unrolled: 9-line block ×4, first 2 shown]
	v_fma_f64 v[12:13], v[12:13], v[136:137], v[24:25]
	s_waitcnt vmcnt(7) lgkmcnt(0)
	v_mul_f64 v[24:25], v[8:9], v[138:139]
	v_add_f64 v[18:19], v[18:19], v[28:29]
	s_waitcnt vmcnt(6)
	v_fma_f64 v[1:2], v[2:3], v[134:135], -v[22:23]
	v_add_f64 v[14:15], v[14:15], v[16:17]
	v_mul_f64 v[16:17], v[6:7], v[138:139]
	v_fma_f64 v[3:4], v[4:5], v[134:135], v[20:21]
	s_waitcnt vmcnt(4)
	v_fma_f64 v[5:6], v[6:7], v[140:141], -v[24:25]
	v_add_f64 v[10:11], v[18:19], v[10:11]
	v_add_f64 v[12:13], v[14:15], v[12:13]
	v_fma_f64 v[7:8], v[8:9], v[140:141], v[16:17]
	v_add_f64 v[1:2], v[10:11], v[1:2]
	v_add_f64 v[3:4], v[12:13], v[3:4]
	;; [unrolled: 1-line block ×4, first 2 shown]
	s_waitcnt vmcnt(2)
	v_add_f64 v[1:2], v[144:145], -v[1:2]
	s_waitcnt vmcnt(0)
	v_add_f64 v[3:4], v[148:149], -v[3:4]
	buffer_store_dword v2, off, s[0:3], 0 offset:356
	buffer_store_dword v1, off, s[0:3], 0 offset:352
	buffer_store_dword v4, off, s[0:3], 0 offset:364
	buffer_store_dword v3, off, s[0:3], 0 offset:360
	v_cmpx_lt_u32_e32 20, v0
	s_cbranch_execz .LBB35_189
; %bb.188:
	v_mov_b32_e32 v4, s27
	v_mov_b32_e32 v5, 0
	s_clause 0x3
	buffer_load_dword v1, v4, s[0:3], 0 offen
	buffer_load_dword v2, v4, s[0:3], 0 offen offset:4
	buffer_load_dword v3, v4, s[0:3], 0 offen offset:8
	;; [unrolled: 1-line block ×3, first 2 shown]
	buffer_store_dword v5, off, s[0:3], 0 offset:336
	buffer_store_dword v5, off, s[0:3], 0 offset:340
	;; [unrolled: 1-line block ×4, first 2 shown]
	s_waitcnt vmcnt(0)
	ds_write_b128 v123, v[1:4]
.LBB35_189:
	s_or_b32 exec_lo, exec_lo, s4
	s_waitcnt lgkmcnt(0)
	s_waitcnt_vscnt null, 0x0
	s_barrier
	buffer_gl0_inv
	s_clause 0x37
	buffer_load_dword v10, off, s[0:3], 0 offset:360
	buffer_load_dword v11, off, s[0:3], 0 offset:364
	;; [unrolled: 1-line block ×56, first 2 shown]
	v_mov_b32_e32 v1, 0
	s_mov_b32 s4, exec_lo
	ds_read_b128 v[2:5], v1 offset:912
	s_clause 0x2
	buffer_load_dword v141, off, s[0:3], 0 offset:588
	buffer_load_dword v145, off, s[0:3], 0 offset:564
	;; [unrolled: 1-line block ×3, first 2 shown]
	ds_read_b128 v[6:9], v1 offset:928
	buffer_load_dword v143, off, s[0:3], 0 offset:580
	s_waitcnt vmcnt(58) lgkmcnt(1)
	v_mul_f64 v[146:147], v[4:5], v[10:11]
	v_mul_f64 v[148:149], v[2:3], v[10:11]
	ds_read_b128 v[10:13], v1 offset:944
	s_waitcnt vmcnt(56) lgkmcnt(1)
	v_mul_f64 v[150:151], v[8:9], v[14:15]
	v_mul_f64 v[14:15], v[6:7], v[14:15]
	s_waitcnt vmcnt(54)
	v_fma_f64 v[146:147], v[2:3], v[16:17], -v[146:147]
	v_fma_f64 v[16:17], v[4:5], v[16:17], v[148:149]
	s_waitcnt vmcnt(52) lgkmcnt(0)
	v_mul_f64 v[148:149], v[10:11], v[18:19]
	v_mul_f64 v[18:19], v[12:13], v[18:19]
	s_waitcnt vmcnt(50)
	v_fma_f64 v[150:151], v[6:7], v[20:21], -v[150:151]
	ds_read_b128 v[2:5], v1 offset:960
	v_fma_f64 v[14:15], v[8:9], v[20:21], v[14:15]
	s_clause 0x3
	buffer_load_dword v20, off, s[0:3], 0 offset:336
	buffer_load_dword v21, off, s[0:3], 0 offset:340
	;; [unrolled: 1-line block ×4, first 2 shown]
	ds_read_b128 v[6:9], v1 offset:976
	v_add_f64 v[146:147], v[146:147], 0
	v_add_f64 v[16:17], v[16:17], 0
	s_waitcnt vmcnt(50) lgkmcnt(1)
	v_mul_f64 v[154:155], v[2:3], v[22:23]
	v_mul_f64 v[22:23], v[4:5], v[22:23]
	s_waitcnt vmcnt(48)
	v_fma_f64 v[18:19], v[10:11], v[28:29], -v[18:19]
	v_fma_f64 v[28:29], v[12:13], v[28:29], v[148:149]
	ds_read_b128 v[10:13], v1 offset:992
	v_add_f64 v[146:147], v[146:147], v[150:151]
	v_add_f64 v[14:15], v[16:17], v[14:15]
	s_waitcnt vmcnt(47) lgkmcnt(1)
	v_mul_f64 v[16:17], v[6:7], v[24:25]
	v_mul_f64 v[24:25], v[8:9], v[24:25]
	s_waitcnt vmcnt(45)
	v_fma_f64 v[22:23], v[2:3], v[30:31], -v[22:23]
	v_fma_f64 v[30:31], v[4:5], v[30:31], v[154:155]
	;; [unrolled: 9-line block ×3, first 2 shown]
	ds_read_b128 v[6:9], v1 offset:1024
	s_waitcnt vmcnt(39) lgkmcnt(1)
	v_mul_f64 v[26:27], v[4:5], v[34:35]
	v_add_f64 v[18:19], v[18:19], v[22:23]
	v_add_f64 v[14:15], v[14:15], v[30:31]
	v_mul_f64 v[22:23], v[2:3], v[34:35]
	s_waitcnt vmcnt(37)
	v_fma_f64 v[30:31], v[10:11], v[38:39], -v[32:33]
	s_waitcnt vmcnt(32)
	v_fma_f64 v[26:27], v[2:3], v[36:37], -v[26:27]
	v_add_f64 v[18:19], v[18:19], v[24:25]
	v_fma_f64 v[24:25], v[12:13], v[38:39], v[28:29]
	v_add_f64 v[14:15], v[14:15], v[16:17]
	s_waitcnt lgkmcnt(0)
	v_mul_f64 v[28:29], v[8:9], v[40:41]
	ds_read_b128 v[10:13], v1 offset:1040
	v_mul_f64 v[16:17], v[6:7], v[40:41]
	v_fma_f64 v[22:23], v[4:5], v[36:37], v[22:23]
	ds_read_b128 v[2:5], v1 offset:1056
	v_add_f64 v[18:19], v[18:19], v[30:31]
	v_add_f64 v[14:15], v[14:15], v[24:25]
	s_waitcnt vmcnt(31) lgkmcnt(1)
	v_mul_f64 v[30:31], v[12:13], v[42:43]
	s_waitcnt vmcnt(29)
	v_fma_f64 v[28:29], v[6:7], v[46:47], -v[28:29]
	v_mul_f64 v[24:25], v[10:11], v[42:43]
	v_fma_f64 v[16:17], v[8:9], v[46:47], v[16:17]
	ds_read_b128 v[6:9], v1 offset:1072
	v_add_f64 v[18:19], v[18:19], v[26:27]
	s_waitcnt vmcnt(25) lgkmcnt(1)
	v_mul_f64 v[26:27], v[4:5], v[121:122]
	v_add_f64 v[14:15], v[14:15], v[22:23]
	s_waitcnt vmcnt(24)
	v_fma_f64 v[30:31], v[10:11], v[44:45], -v[30:31]
	v_mul_f64 v[22:23], v[2:3], v[121:122]
	v_fma_f64 v[24:25], v[12:13], v[44:45], v[24:25]
	ds_read_b128 v[10:13], v1 offset:1088
	v_add_f64 v[18:19], v[18:19], v[28:29]
	s_waitcnt vmcnt(23) lgkmcnt(1)
	v_mul_f64 v[28:29], v[8:9], v[124:125]
	v_add_f64 v[14:15], v[14:15], v[16:17]
	;; [unrolled: 9-line block ×5, first 2 shown]
	s_waitcnt vmcnt(8)
	v_fma_f64 v[2:3], v[2:3], v[134:135], -v[26:27]
	v_mul_f64 v[16:17], v[6:7], v[138:139]
	v_fma_f64 v[4:5], v[4:5], v[134:135], v[22:23]
	s_waitcnt vmcnt(7) lgkmcnt(0)
	v_mul_f64 v[22:23], v[10:11], v[140:141]
	v_add_f64 v[18:19], v[18:19], v[30:31]
	s_waitcnt vmcnt(5)
	v_fma_f64 v[6:7], v[6:7], v[144:145], -v[28:29]
	v_add_f64 v[14:15], v[14:15], v[24:25]
	v_mul_f64 v[24:25], v[12:13], v[140:141]
	v_fma_f64 v[8:9], v[8:9], v[144:145], v[16:17]
	v_add_f64 v[2:3], v[18:19], v[2:3]
	v_add_f64 v[4:5], v[14:15], v[4:5]
	s_waitcnt vmcnt(4)
	v_fma_f64 v[10:11], v[10:11], v[142:143], -v[24:25]
	v_add_f64 v[2:3], v[2:3], v[6:7]
	v_fma_f64 v[6:7], v[12:13], v[142:143], v[22:23]
	v_add_f64 v[4:5], v[4:5], v[8:9]
	v_add_f64 v[2:3], v[2:3], v[10:11]
	;; [unrolled: 1-line block ×3, first 2 shown]
	s_waitcnt vmcnt(2)
	v_add_f64 v[2:3], v[20:21], -v[2:3]
	s_waitcnt vmcnt(0)
	v_add_f64 v[4:5], v[152:153], -v[4:5]
	buffer_store_dword v3, off, s[0:3], 0 offset:340
	buffer_store_dword v2, off, s[0:3], 0 offset:336
	buffer_store_dword v5, off, s[0:3], 0 offset:348
	buffer_store_dword v4, off, s[0:3], 0 offset:344
	v_cmpx_lt_u32_e32 19, v0
	s_cbranch_execz .LBB35_191
; %bb.190:
	v_mov_b32_e32 v5, s28
	s_clause 0x3
	buffer_load_dword v2, v5, s[0:3], 0 offen
	buffer_load_dword v3, v5, s[0:3], 0 offen offset:4
	buffer_load_dword v4, v5, s[0:3], 0 offen offset:8
	buffer_load_dword v5, v5, s[0:3], 0 offen offset:12
	buffer_store_dword v1, off, s[0:3], 0 offset:320
	buffer_store_dword v1, off, s[0:3], 0 offset:324
	;; [unrolled: 1-line block ×4, first 2 shown]
	s_waitcnt vmcnt(0)
	ds_write_b128 v123, v[2:5]
.LBB35_191:
	s_or_b32 exec_lo, exec_lo, s4
	s_waitcnt lgkmcnt(0)
	s_waitcnt_vscnt null, 0x0
	s_barrier
	buffer_gl0_inv
	s_clause 0x37
	buffer_load_dword v10, off, s[0:3], 0 offset:344
	buffer_load_dword v11, off, s[0:3], 0 offset:348
	;; [unrolled: 1-line block ×56, first 2 shown]
	ds_read_b128 v[2:5], v1 offset:896
	s_clause 0x2
	buffer_load_dword v141, off, s[0:3], 0 offset:572
	buffer_load_dword v145, off, s[0:3], 0 offset:548
	;; [unrolled: 1-line block ×3, first 2 shown]
	ds_read_b128 v[6:9], v1 offset:912
	s_clause 0x2
	buffer_load_dword v151, off, s[0:3], 0 offset:588
	buffer_load_dword v150, off, s[0:3], 0 offset:584
	;; [unrolled: 1-line block ×3, first 2 shown]
	s_mov_b32 s4, exec_lo
	s_waitcnt vmcnt(60) lgkmcnt(1)
	v_mul_f64 v[146:147], v[4:5], v[10:11]
	v_mul_f64 v[148:149], v[2:3], v[10:11]
	s_waitcnt vmcnt(58) lgkmcnt(0)
	v_mul_f64 v[152:153], v[8:9], v[14:15]
	ds_read_b128 v[10:13], v1 offset:928
	v_mul_f64 v[14:15], v[6:7], v[14:15]
	s_waitcnt vmcnt(56)
	v_fma_f64 v[146:147], v[2:3], v[16:17], -v[146:147]
	v_fma_f64 v[16:17], v[4:5], v[16:17], v[148:149]
	s_clause 0x1
	buffer_load_dword v149, off, s[0:3], 0 offset:580
	buffer_load_dword v148, off, s[0:3], 0 offset:576
	s_waitcnt vmcnt(56) lgkmcnt(0)
	v_mul_f64 v[154:155], v[10:11], v[18:19]
	v_mul_f64 v[18:19], v[12:13], v[18:19]
	s_waitcnt vmcnt(54)
	v_fma_f64 v[152:153], v[6:7], v[20:21], -v[152:153]
	ds_read_b128 v[2:5], v1 offset:944
	v_fma_f64 v[14:15], v[8:9], v[20:21], v[14:15]
	ds_read_b128 v[6:9], v1 offset:960
	v_add_f64 v[146:147], v[146:147], 0
	v_add_f64 v[16:17], v[16:17], 0
	s_waitcnt vmcnt(50) lgkmcnt(1)
	v_mul_f64 v[20:21], v[2:3], v[22:23]
	v_mul_f64 v[22:23], v[4:5], v[22:23]
	s_waitcnt vmcnt(48)
	v_fma_f64 v[18:19], v[10:11], v[28:29], -v[18:19]
	v_fma_f64 v[28:29], v[12:13], v[28:29], v[154:155]
	s_waitcnt vmcnt(47) lgkmcnt(0)
	v_mul_f64 v[154:155], v[6:7], v[24:25]
	v_mul_f64 v[24:25], v[8:9], v[24:25]
	v_add_f64 v[146:147], v[146:147], v[152:153]
	v_add_f64 v[14:15], v[16:17], v[14:15]
	s_clause 0x3
	buffer_load_dword v16, off, s[0:3], 0 offset:320
	buffer_load_dword v17, off, s[0:3], 0 offset:324
	;; [unrolled: 1-line block ×4, first 2 shown]
	ds_read_b128 v[10:13], v1 offset:976
	s_waitcnt vmcnt(49)
	v_fma_f64 v[20:21], v[4:5], v[30:31], v[20:21]
	v_fma_f64 v[22:23], v[2:3], v[30:31], -v[22:23]
	ds_read_b128 v[2:5], v1 offset:992
	s_waitcnt vmcnt(44)
	v_fma_f64 v[24:25], v[6:7], v[26:27], -v[24:25]
	v_add_f64 v[18:19], v[146:147], v[18:19]
	v_add_f64 v[14:15], v[14:15], v[28:29]
	s_waitcnt lgkmcnt(1)
	v_mul_f64 v[30:31], v[12:13], v[32:33]
	v_mul_f64 v[28:29], v[10:11], v[32:33]
	v_add_f64 v[18:19], v[18:19], v[22:23]
	v_fma_f64 v[22:23], v[8:9], v[26:27], v[154:155]
	v_add_f64 v[14:15], v[14:15], v[20:21]
	s_waitcnt vmcnt(43) lgkmcnt(0)
	v_mul_f64 v[26:27], v[4:5], v[34:35]
	s_waitcnt vmcnt(41)
	v_fma_f64 v[30:31], v[10:11], v[38:39], -v[30:31]
	ds_read_b128 v[6:9], v1 offset:1008
	v_mul_f64 v[20:21], v[2:3], v[34:35]
	v_add_f64 v[18:19], v[18:19], v[24:25]
	v_fma_f64 v[24:25], v[12:13], v[38:39], v[28:29]
	v_add_f64 v[14:15], v[14:15], v[22:23]
	ds_read_b128 v[10:13], v1 offset:1024
	s_waitcnt vmcnt(37) lgkmcnt(1)
	v_mul_f64 v[28:29], v[8:9], v[40:41]
	s_waitcnt vmcnt(36)
	v_fma_f64 v[26:27], v[2:3], v[36:37], -v[26:27]
	v_mul_f64 v[22:23], v[6:7], v[40:41]
	v_fma_f64 v[20:21], v[4:5], v[36:37], v[20:21]
	ds_read_b128 v[2:5], v1 offset:1040
	v_add_f64 v[18:19], v[18:19], v[30:31]
	s_waitcnt vmcnt(35) lgkmcnt(1)
	v_mul_f64 v[30:31], v[12:13], v[42:43]
	v_add_f64 v[14:15], v[14:15], v[24:25]
	v_mul_f64 v[24:25], v[10:11], v[42:43]
	s_waitcnt vmcnt(33)
	v_fma_f64 v[28:29], v[6:7], v[46:47], -v[28:29]
	v_fma_f64 v[22:23], v[8:9], v[46:47], v[22:23]
	ds_read_b128 v[6:9], v1 offset:1056
	v_add_f64 v[18:19], v[18:19], v[26:27]
	s_waitcnt vmcnt(29) lgkmcnt(1)
	v_mul_f64 v[26:27], v[4:5], v[121:122]
	v_add_f64 v[14:15], v[14:15], v[20:21]
	s_waitcnt vmcnt(28)
	v_fma_f64 v[30:31], v[10:11], v[44:45], -v[30:31]
	v_mul_f64 v[20:21], v[2:3], v[121:122]
	v_fma_f64 v[24:25], v[12:13], v[44:45], v[24:25]
	ds_read_b128 v[10:13], v1 offset:1072
	v_add_f64 v[18:19], v[18:19], v[28:29]
	s_waitcnt vmcnt(27) lgkmcnt(1)
	v_mul_f64 v[28:29], v[8:9], v[124:125]
	v_add_f64 v[14:15], v[14:15], v[22:23]
	s_waitcnt vmcnt(25)
	v_fma_f64 v[26:27], v[2:3], v[128:129], -v[26:27]
	v_mul_f64 v[22:23], v[6:7], v[124:125]
	;; [unrolled: 9-line block ×6, first 2 shown]
	v_fma_f64 v[7:8], v[8:9], v[144:145], v[22:23]
	s_waitcnt vmcnt(7) lgkmcnt(0)
	v_mul_f64 v[22:23], v[3:4], v[150:151]
	v_add_f64 v[18:19], v[18:19], v[26:27]
	s_waitcnt vmcnt(6)
	v_fma_f64 v[9:10], v[10:11], v[142:143], -v[30:31]
	v_add_f64 v[14:15], v[14:15], v[20:21]
	v_mul_f64 v[20:21], v[1:2], v[150:151]
	v_fma_f64 v[11:12], v[12:13], v[142:143], v[24:25]
	v_add_f64 v[5:6], v[18:19], v[5:6]
	v_add_f64 v[7:8], v[14:15], v[7:8]
	s_waitcnt vmcnt(4)
	v_fma_f64 v[1:2], v[1:2], v[148:149], -v[22:23]
	v_fma_f64 v[3:4], v[3:4], v[148:149], v[20:21]
	v_add_f64 v[5:6], v[5:6], v[9:10]
	v_add_f64 v[7:8], v[7:8], v[11:12]
	;; [unrolled: 1-line block ×4, first 2 shown]
	s_waitcnt vmcnt(2)
	v_add_f64 v[1:2], v[16:17], -v[1:2]
	s_waitcnt vmcnt(0)
	v_add_f64 v[3:4], v[152:153], -v[3:4]
	buffer_store_dword v2, off, s[0:3], 0 offset:324
	buffer_store_dword v1, off, s[0:3], 0 offset:320
	buffer_store_dword v4, off, s[0:3], 0 offset:332
	buffer_store_dword v3, off, s[0:3], 0 offset:328
	v_cmpx_lt_u32_e32 18, v0
	s_cbranch_execz .LBB35_193
; %bb.192:
	v_mov_b32_e32 v4, s29
	v_mov_b32_e32 v5, 0
	s_clause 0x3
	buffer_load_dword v1, v4, s[0:3], 0 offen
	buffer_load_dword v2, v4, s[0:3], 0 offen offset:4
	buffer_load_dword v3, v4, s[0:3], 0 offen offset:8
	;; [unrolled: 1-line block ×3, first 2 shown]
	buffer_store_dword v5, off, s[0:3], 0 offset:304
	buffer_store_dword v5, off, s[0:3], 0 offset:308
	;; [unrolled: 1-line block ×4, first 2 shown]
	s_waitcnt vmcnt(0)
	ds_write_b128 v123, v[1:4]
.LBB35_193:
	s_or_b32 exec_lo, exec_lo, s4
	s_waitcnt lgkmcnt(0)
	s_waitcnt_vscnt null, 0x0
	s_barrier
	buffer_gl0_inv
	s_clause 0x35
	buffer_load_dword v10, off, s[0:3], 0 offset:328
	buffer_load_dword v11, off, s[0:3], 0 offset:332
	;; [unrolled: 1-line block ×54, first 2 shown]
	v_mov_b32_e32 v1, 0
	s_mov_b32 s4, exec_lo
	ds_read_b128 v[2:5], v1 offset:880
	s_clause 0x3
	buffer_load_dword v140, off, s[0:3], 0 offset:552
	buffer_load_dword v141, off, s[0:3], 0 offset:556
	;; [unrolled: 1-line block ×4, first 2 shown]
	ds_read_b128 v[6:9], v1 offset:896
	s_clause 0x3
	buffer_load_dword v149, off, s[0:3], 0 offset:572
	buffer_load_dword v148, off, s[0:3], 0 offset:568
	;; [unrolled: 1-line block ×4, first 2 shown]
	s_waitcnt vmcnt(60) lgkmcnt(1)
	v_mul_f64 v[144:145], v[4:5], v[10:11]
	v_mul_f64 v[146:147], v[2:3], v[10:11]
	s_waitcnt vmcnt(58) lgkmcnt(0)
	v_mul_f64 v[152:153], v[8:9], v[14:15]
	ds_read_b128 v[10:13], v1 offset:912
	v_mul_f64 v[14:15], v[6:7], v[14:15]
	s_waitcnt vmcnt(56)
	v_fma_f64 v[144:145], v[2:3], v[16:17], -v[144:145]
	v_fma_f64 v[16:17], v[4:5], v[16:17], v[146:147]
	s_clause 0x3
	buffer_load_dword v146, off, s[0:3], 0 offset:584
	buffer_load_dword v147, off, s[0:3], 0 offset:588
	;; [unrolled: 1-line block ×4, first 2 shown]
	s_waitcnt vmcnt(58) lgkmcnt(0)
	v_mul_f64 v[156:157], v[10:11], v[18:19]
	v_mul_f64 v[18:19], v[12:13], v[18:19]
	s_waitcnt vmcnt(56)
	v_fma_f64 v[152:153], v[6:7], v[20:21], -v[152:153]
	ds_read_b128 v[2:5], v1 offset:928
	v_fma_f64 v[14:15], v[8:9], v[20:21], v[14:15]
	s_clause 0x1
	buffer_load_dword v20, off, s[0:3], 0 offset:576
	buffer_load_dword v21, off, s[0:3], 0 offset:580
	ds_read_b128 v[6:9], v1 offset:944
	v_add_f64 v[144:145], v[144:145], 0
	v_add_f64 v[16:17], v[16:17], 0
	s_waitcnt vmcnt(56) lgkmcnt(1)
	v_mul_f64 v[158:159], v[2:3], v[22:23]
	v_mul_f64 v[22:23], v[4:5], v[22:23]
	s_waitcnt vmcnt(54)
	v_fma_f64 v[18:19], v[10:11], v[24:25], -v[18:19]
	v_fma_f64 v[24:25], v[12:13], v[24:25], v[156:157]
	ds_read_b128 v[10:13], v1 offset:960
	v_add_f64 v[144:145], v[144:145], v[152:153]
	v_add_f64 v[14:15], v[16:17], v[14:15]
	s_waitcnt vmcnt(52) lgkmcnt(1)
	v_mul_f64 v[16:17], v[6:7], v[26:27]
	v_mul_f64 v[26:27], v[8:9], v[26:27]
	s_waitcnt vmcnt(50)
	v_fma_f64 v[22:23], v[2:3], v[28:29], -v[22:23]
	v_fma_f64 v[28:29], v[4:5], v[28:29], v[158:159]
	s_waitcnt vmcnt(48) lgkmcnt(0)
	v_mul_f64 v[152:153], v[10:11], v[30:31]
	v_mul_f64 v[30:31], v[12:13], v[30:31]
	v_add_f64 v[18:19], v[144:145], v[18:19]
	v_add_f64 v[14:15], v[14:15], v[24:25]
	s_clause 0x3
	buffer_load_dword v24, off, s[0:3], 0 offset:304
	buffer_load_dword v25, off, s[0:3], 0 offset:308
	;; [unrolled: 1-line block ×4, first 2 shown]
	s_waitcnt vmcnt(50)
	v_fma_f64 v[26:27], v[6:7], v[32:33], -v[26:27]
	ds_read_b128 v[2:5], v1 offset:976
	v_fma_f64 v[16:17], v[8:9], v[32:33], v[16:17]
	ds_read_b128 v[6:9], v1 offset:992
	s_waitcnt vmcnt(46)
	v_fma_f64 v[30:31], v[10:11], v[36:37], -v[30:31]
	v_add_f64 v[18:19], v[18:19], v[22:23]
	v_add_f64 v[14:15], v[14:15], v[28:29]
	s_waitcnt lgkmcnt(1)
	v_mul_f64 v[28:29], v[4:5], v[34:35]
	v_mul_f64 v[22:23], v[2:3], v[34:35]
	s_waitcnt vmcnt(44) lgkmcnt(0)
	v_mul_f64 v[32:33], v[8:9], v[38:39]
	v_add_f64 v[18:19], v[18:19], v[26:27]
	v_fma_f64 v[26:27], v[12:13], v[36:37], v[152:153]
	v_add_f64 v[14:15], v[14:15], v[16:17]
	s_waitcnt vmcnt(42)
	v_fma_f64 v[28:29], v[2:3], v[40:41], -v[28:29]
	ds_read_b128 v[10:13], v1 offset:1008
	v_mul_f64 v[16:17], v[6:7], v[38:39]
	v_fma_f64 v[22:23], v[4:5], v[40:41], v[22:23]
	ds_read_b128 v[2:5], v1 offset:1024
	s_waitcnt vmcnt(38)
	v_fma_f64 v[32:33], v[6:7], v[44:45], -v[32:33]
	v_add_f64 v[18:19], v[18:19], v[30:31]
	v_add_f64 v[14:15], v[14:15], v[26:27]
	s_waitcnt lgkmcnt(1)
	v_mul_f64 v[30:31], v[12:13], v[42:43]
	v_mul_f64 v[26:27], v[10:11], v[42:43]
	v_fma_f64 v[16:17], v[8:9], v[44:45], v[16:17]
	ds_read_b128 v[6:9], v1 offset:1040
	v_add_f64 v[18:19], v[18:19], v[28:29]
	s_waitcnt vmcnt(36) lgkmcnt(1)
	v_mul_f64 v[28:29], v[4:5], v[46:47]
	v_add_f64 v[14:15], v[14:15], v[22:23]
	s_waitcnt vmcnt(34)
	v_fma_f64 v[30:31], v[10:11], v[121:122], -v[30:31]
	v_mul_f64 v[22:23], v[2:3], v[46:47]
	v_fma_f64 v[26:27], v[12:13], v[121:122], v[26:27]
	ds_read_b128 v[10:13], v1 offset:1056
	v_add_f64 v[18:19], v[18:19], v[32:33]
	s_waitcnt vmcnt(32) lgkmcnt(1)
	v_mul_f64 v[32:33], v[8:9], v[124:125]
	v_add_f64 v[14:15], v[14:15], v[16:17]
	s_waitcnt vmcnt(30)
	v_fma_f64 v[28:29], v[2:3], v[126:127], -v[28:29]
	;; [unrolled: 9-line block ×7, first 2 shown]
	v_mul_f64 v[22:23], v[2:3], v[148:149]
	v_fma_f64 v[12:13], v[12:13], v[150:151], v[26:27]
	v_add_f64 v[18:19], v[18:19], v[32:33]
	v_add_f64 v[14:15], v[14:15], v[16:17]
	s_waitcnt vmcnt(8) lgkmcnt(0)
	v_mul_f64 v[26:27], v[8:9], v[146:147]
	v_mul_f64 v[16:17], v[6:7], v[146:147]
	s_waitcnt vmcnt(6)
	v_fma_f64 v[2:3], v[2:3], v[154:155], -v[28:29]
	v_fma_f64 v[4:5], v[4:5], v[154:155], v[22:23]
	v_add_f64 v[10:11], v[18:19], v[10:11]
	v_add_f64 v[12:13], v[14:15], v[12:13]
	s_waitcnt vmcnt(4)
	v_fma_f64 v[6:7], v[6:7], v[20:21], -v[26:27]
	v_fma_f64 v[8:9], v[8:9], v[20:21], v[16:17]
	v_add_f64 v[2:3], v[10:11], v[2:3]
	v_add_f64 v[4:5], v[12:13], v[4:5]
	;; [unrolled: 1-line block ×4, first 2 shown]
	s_waitcnt vmcnt(2)
	v_add_f64 v[2:3], v[24:25], -v[2:3]
	s_waitcnt vmcnt(0)
	v_add_f64 v[4:5], v[144:145], -v[4:5]
	buffer_store_dword v3, off, s[0:3], 0 offset:308
	buffer_store_dword v2, off, s[0:3], 0 offset:304
	;; [unrolled: 1-line block ×4, first 2 shown]
	v_cmpx_lt_u32_e32 17, v0
	s_cbranch_execz .LBB35_195
; %bb.194:
	v_mov_b32_e32 v5, s30
	s_clause 0x3
	buffer_load_dword v2, v5, s[0:3], 0 offen
	buffer_load_dword v3, v5, s[0:3], 0 offen offset:4
	buffer_load_dword v4, v5, s[0:3], 0 offen offset:8
	;; [unrolled: 1-line block ×3, first 2 shown]
	buffer_store_dword v1, off, s[0:3], 0 offset:288
	buffer_store_dword v1, off, s[0:3], 0 offset:292
	buffer_store_dword v1, off, s[0:3], 0 offset:296
	buffer_store_dword v1, off, s[0:3], 0 offset:300
	s_waitcnt vmcnt(0)
	ds_write_b128 v123, v[2:5]
.LBB35_195:
	s_or_b32 exec_lo, exec_lo, s4
	s_waitcnt lgkmcnt(0)
	s_waitcnt_vscnt null, 0x0
	s_barrier
	buffer_gl0_inv
	s_clause 0x37
	buffer_load_dword v10, off, s[0:3], 0 offset:312
	buffer_load_dword v11, off, s[0:3], 0 offset:316
	;; [unrolled: 1-line block ×56, first 2 shown]
	ds_read_b128 v[2:5], v1 offset:864
	s_clause 0x2
	buffer_load_dword v141, off, s[0:3], 0 offset:540
	buffer_load_dword v145, off, s[0:3], 0 offset:516
	;; [unrolled: 1-line block ×3, first 2 shown]
	ds_read_b128 v[6:9], v1 offset:880
	s_clause 0x4
	buffer_load_dword v151, off, s[0:3], 0 offset:556
	buffer_load_dword v152, off, s[0:3], 0 offset:568
	;; [unrolled: 1-line block ×5, first 2 shown]
	s_mov_b32 s4, exec_lo
	s_waitcnt vmcnt(62) lgkmcnt(1)
	v_mul_f64 v[146:147], v[4:5], v[10:11]
	v_mul_f64 v[148:149], v[2:3], v[10:11]
	s_waitcnt vmcnt(60) lgkmcnt(0)
	v_mul_f64 v[155:156], v[8:9], v[14:15]
	ds_read_b128 v[10:13], v1 offset:896
	v_mul_f64 v[14:15], v[6:7], v[14:15]
	s_waitcnt vmcnt(58)
	v_fma_f64 v[146:147], v[2:3], v[16:17], -v[146:147]
	v_fma_f64 v[16:17], v[4:5], v[16:17], v[148:149]
	s_clause 0x2
	buffer_load_dword v153, off, s[0:3], 0 offset:572
	buffer_load_dword v149, off, s[0:3], 0 offset:548
	;; [unrolled: 1-line block ×3, first 2 shown]
	s_waitcnt vmcnt(59) lgkmcnt(0)
	v_mul_f64 v[157:158], v[10:11], v[18:19]
	v_mul_f64 v[18:19], v[12:13], v[18:19]
	s_waitcnt vmcnt(57)
	v_fma_f64 v[159:160], v[6:7], v[20:21], -v[155:156]
	ds_read_b128 v[2:5], v1 offset:912
	v_fma_f64 v[14:15], v[8:9], v[20:21], v[14:15]
	s_clause 0x2
	buffer_load_dword v21, off, s[0:3], 0 offset:588
	buffer_load_dword v20, off, s[0:3], 0 offset:584
	buffer_load_dword v155, off, s[0:3], 0 offset:564
	ds_read_b128 v[6:9], v1 offset:928
	v_add_f64 v[146:147], v[146:147], 0
	v_add_f64 v[16:17], v[16:17], 0
	s_waitcnt vmcnt(56) lgkmcnt(1)
	v_mul_f64 v[161:162], v[2:3], v[22:23]
	v_mul_f64 v[22:23], v[4:5], v[22:23]
	s_waitcnt vmcnt(54)
	v_fma_f64 v[18:19], v[10:11], v[28:29], -v[18:19]
	v_fma_f64 v[28:29], v[12:13], v[28:29], v[157:158]
	s_waitcnt vmcnt(53) lgkmcnt(0)
	v_mul_f64 v[156:157], v[6:7], v[24:25]
	v_mul_f64 v[24:25], v[8:9], v[24:25]
	v_add_f64 v[146:147], v[146:147], v[159:160]
	v_add_f64 v[14:15], v[16:17], v[14:15]
	s_clause 0x1
	buffer_load_dword v17, off, s[0:3], 0 offset:580
	buffer_load_dword v16, off, s[0:3], 0 offset:576
	ds_read_b128 v[10:13], v1 offset:944
	s_waitcnt vmcnt(53)
	v_fma_f64 v[22:23], v[2:3], v[30:31], -v[22:23]
	v_fma_f64 v[30:31], v[4:5], v[30:31], v[161:162]
	ds_read_b128 v[2:5], v1 offset:960
	s_waitcnt vmcnt(48)
	v_fma_f64 v[24:25], v[6:7], v[26:27], -v[24:25]
	v_add_f64 v[18:19], v[146:147], v[18:19]
	v_add_f64 v[14:15], v[14:15], v[28:29]
	s_waitcnt lgkmcnt(1)
	v_mul_f64 v[28:29], v[10:11], v[32:33]
	v_mul_f64 v[32:33], v[12:13], v[32:33]
	s_waitcnt vmcnt(47) lgkmcnt(0)
	v_mul_f64 v[146:147], v[2:3], v[34:35]
	v_mul_f64 v[34:35], v[4:5], v[34:35]
	v_add_f64 v[18:19], v[18:19], v[22:23]
	v_fma_f64 v[22:23], v[8:9], v[26:27], v[156:157]
	v_add_f64 v[14:15], v[14:15], v[30:31]
	s_clause 0x3
	buffer_load_dword v26, off, s[0:3], 0 offset:288
	buffer_load_dword v27, off, s[0:3], 0 offset:292
	;; [unrolled: 1-line block ×4, first 2 shown]
	s_waitcnt vmcnt(49)
	v_fma_f64 v[32:33], v[10:11], v[38:39], -v[32:33]
	ds_read_b128 v[6:9], v1 offset:976
	s_waitcnt vmcnt(44)
	v_fma_f64 v[34:35], v[2:3], v[36:37], -v[34:35]
	v_add_f64 v[18:19], v[18:19], v[24:25]
	v_fma_f64 v[24:25], v[12:13], v[38:39], v[28:29]
	v_add_f64 v[14:15], v[14:15], v[22:23]
	ds_read_b128 v[10:13], v1 offset:992
	s_waitcnt lgkmcnt(1)
	v_mul_f64 v[28:29], v[8:9], v[40:41]
	v_mul_f64 v[22:23], v[6:7], v[40:41]
	v_add_f64 v[18:19], v[18:19], v[32:33]
	v_fma_f64 v[32:33], v[4:5], v[36:37], v[146:147]
	v_add_f64 v[14:15], v[14:15], v[24:25]
	s_waitcnt vmcnt(43) lgkmcnt(0)
	v_mul_f64 v[36:37], v[12:13], v[42:43]
	s_waitcnt vmcnt(41)
	v_fma_f64 v[28:29], v[6:7], v[46:47], -v[28:29]
	ds_read_b128 v[2:5], v1 offset:1008
	v_mul_f64 v[24:25], v[10:11], v[42:43]
	v_fma_f64 v[22:23], v[8:9], v[46:47], v[22:23]
	ds_read_b128 v[6:9], v1 offset:1024
	v_add_f64 v[18:19], v[18:19], v[34:35]
	v_add_f64 v[14:15], v[14:15], v[32:33]
	s_waitcnt vmcnt(37) lgkmcnt(1)
	v_mul_f64 v[34:35], v[4:5], v[121:122]
	s_waitcnt vmcnt(36)
	v_fma_f64 v[36:37], v[10:11], v[44:45], -v[36:37]
	v_mul_f64 v[32:33], v[2:3], v[121:122]
	v_fma_f64 v[24:25], v[12:13], v[44:45], v[24:25]
	ds_read_b128 v[10:13], v1 offset:1040
	v_add_f64 v[18:19], v[18:19], v[28:29]
	s_waitcnt vmcnt(35) lgkmcnt(1)
	v_mul_f64 v[28:29], v[8:9], v[124:125]
	v_add_f64 v[14:15], v[14:15], v[22:23]
	s_waitcnt vmcnt(33)
	v_fma_f64 v[34:35], v[2:3], v[128:129], -v[34:35]
	v_mul_f64 v[22:23], v[6:7], v[124:125]
	v_fma_f64 v[32:33], v[4:5], v[128:129], v[32:33]
	ds_read_b128 v[2:5], v1 offset:1056
	v_add_f64 v[18:19], v[18:19], v[36:37]
	s_waitcnt vmcnt(29) lgkmcnt(1)
	v_mul_f64 v[36:37], v[12:13], v[130:131]
	v_add_f64 v[14:15], v[14:15], v[24:25]
	s_waitcnt vmcnt(28)
	v_fma_f64 v[28:29], v[6:7], v[126:127], -v[28:29]
	v_mul_f64 v[24:25], v[10:11], v[130:131]
	v_fma_f64 v[22:23], v[8:9], v[126:127], v[22:23]
	ds_read_b128 v[6:9], v1 offset:1072
	v_add_f64 v[18:19], v[18:19], v[34:35]
	s_waitcnt vmcnt(27) lgkmcnt(1)
	v_mul_f64 v[34:35], v[4:5], v[132:133]
	v_add_f64 v[14:15], v[14:15], v[32:33]
	s_waitcnt vmcnt(25)
	v_fma_f64 v[36:37], v[10:11], v[136:137], -v[36:37]
	v_mul_f64 v[32:33], v[2:3], v[132:133]
	v_fma_f64 v[24:25], v[12:13], v[136:137], v[24:25]
	ds_read_b128 v[10:13], v1 offset:1088
	v_add_f64 v[18:19], v[18:19], v[28:29]
	s_waitcnt vmcnt(21) lgkmcnt(1)
	v_mul_f64 v[28:29], v[8:9], v[138:139]
	v_add_f64 v[14:15], v[14:15], v[22:23]
	s_waitcnt vmcnt(20)
	v_fma_f64 v[34:35], v[2:3], v[134:135], -v[34:35]
	v_mul_f64 v[22:23], v[6:7], v[138:139]
	v_fma_f64 v[32:33], v[4:5], v[134:135], v[32:33]
	ds_read_b128 v[2:5], v1 offset:1104
	v_add_f64 v[18:19], v[18:19], v[36:37]
	s_waitcnt vmcnt(19) lgkmcnt(1)
	v_mul_f64 v[36:37], v[12:13], v[140:141]
	v_add_f64 v[14:15], v[14:15], v[24:25]
	s_waitcnt vmcnt(17)
	v_fma_f64 v[28:29], v[6:7], v[144:145], -v[28:29]
	v_mul_f64 v[24:25], v[10:11], v[140:141]
	v_fma_f64 v[22:23], v[8:9], v[144:145], v[22:23]
	ds_read_b128 v[6:9], v1 offset:1120
	v_add_f64 v[18:19], v[18:19], v[34:35]
	s_waitcnt vmcnt(13) lgkmcnt(1)
	v_mul_f64 v[34:35], v[4:5], v[150:151]
	v_add_f64 v[14:15], v[14:15], v[32:33]
	s_waitcnt vmcnt(12)
	v_fma_f64 v[36:37], v[10:11], v[142:143], -v[36:37]
	v_mul_f64 v[32:33], v[2:3], v[150:151]
	v_fma_f64 v[24:25], v[12:13], v[142:143], v[24:25]
	ds_read_b128 v[10:13], v1 offset:1136
	v_add_f64 v[18:19], v[18:19], v[28:29]
	v_add_f64 v[14:15], v[14:15], v[22:23]
	s_waitcnt vmcnt(11) lgkmcnt(1)
	v_mul_f64 v[28:29], v[8:9], v[152:153]
	v_mul_f64 v[22:23], v[6:7], v[152:153]
	s_waitcnt vmcnt(9)
	v_fma_f64 v[1:2], v[2:3], v[148:149], -v[34:35]
	v_fma_f64 v[3:4], v[4:5], v[148:149], v[32:33]
	v_add_f64 v[18:19], v[18:19], v[36:37]
	v_add_f64 v[14:15], v[14:15], v[24:25]
	s_waitcnt vmcnt(7) lgkmcnt(0)
	v_mul_f64 v[24:25], v[10:11], v[20:21]
	v_mul_f64 v[20:21], v[12:13], v[20:21]
	s_waitcnt vmcnt(6)
	v_fma_f64 v[5:6], v[6:7], v[154:155], -v[28:29]
	v_fma_f64 v[7:8], v[8:9], v[154:155], v[22:23]
	v_add_f64 v[1:2], v[18:19], v[1:2]
	v_add_f64 v[3:4], v[14:15], v[3:4]
	s_waitcnt vmcnt(4)
	v_fma_f64 v[9:10], v[10:11], v[16:17], -v[20:21]
	v_add_f64 v[1:2], v[1:2], v[5:6]
	v_fma_f64 v[5:6], v[12:13], v[16:17], v[24:25]
	v_add_f64 v[3:4], v[3:4], v[7:8]
	v_add_f64 v[1:2], v[1:2], v[9:10]
	;; [unrolled: 1-line block ×3, first 2 shown]
	s_waitcnt vmcnt(2)
	v_add_f64 v[1:2], v[26:27], -v[1:2]
	s_waitcnt vmcnt(0)
	v_add_f64 v[3:4], v[30:31], -v[3:4]
	buffer_store_dword v2, off, s[0:3], 0 offset:292
	buffer_store_dword v1, off, s[0:3], 0 offset:288
	;; [unrolled: 1-line block ×4, first 2 shown]
	v_cmpx_lt_u32_e32 16, v0
	s_cbranch_execz .LBB35_197
; %bb.196:
	v_mov_b32_e32 v4, s31
	v_mov_b32_e32 v5, 0
	s_clause 0x3
	buffer_load_dword v1, v4, s[0:3], 0 offen
	buffer_load_dword v2, v4, s[0:3], 0 offen offset:4
	buffer_load_dword v3, v4, s[0:3], 0 offen offset:8
	;; [unrolled: 1-line block ×3, first 2 shown]
	buffer_store_dword v5, off, s[0:3], 0 offset:272
	buffer_store_dword v5, off, s[0:3], 0 offset:276
	;; [unrolled: 1-line block ×4, first 2 shown]
	s_waitcnt vmcnt(0)
	ds_write_b128 v123, v[1:4]
.LBB35_197:
	s_or_b32 exec_lo, exec_lo, s4
	s_waitcnt lgkmcnt(0)
	s_waitcnt_vscnt null, 0x0
	s_barrier
	buffer_gl0_inv
	s_clause 0x37
	buffer_load_dword v10, off, s[0:3], 0 offset:296
	buffer_load_dword v11, off, s[0:3], 0 offset:300
	;; [unrolled: 1-line block ×56, first 2 shown]
	v_mov_b32_e32 v1, 0
	s_mov_b32 s4, exec_lo
	ds_read_b128 v[2:5], v1 offset:848
	s_clause 0x2
	buffer_load_dword v141, off, s[0:3], 0 offset:524
	buffer_load_dword v145, off, s[0:3], 0 offset:500
	;; [unrolled: 1-line block ×3, first 2 shown]
	ds_read_b128 v[6:9], v1 offset:864
	s_clause 0x4
	buffer_load_dword v151, off, s[0:3], 0 offset:540
	buffer_load_dword v152, off, s[0:3], 0 offset:552
	;; [unrolled: 1-line block ×5, first 2 shown]
	s_waitcnt vmcnt(62) lgkmcnt(1)
	v_mul_f64 v[146:147], v[4:5], v[10:11]
	v_mul_f64 v[148:149], v[2:3], v[10:11]
	s_waitcnt vmcnt(60) lgkmcnt(0)
	v_mul_f64 v[155:156], v[8:9], v[14:15]
	ds_read_b128 v[10:13], v1 offset:880
	v_mul_f64 v[14:15], v[6:7], v[14:15]
	s_waitcnt vmcnt(58)
	v_fma_f64 v[146:147], v[2:3], v[16:17], -v[146:147]
	v_fma_f64 v[16:17], v[4:5], v[16:17], v[148:149]
	s_clause 0x2
	buffer_load_dword v153, off, s[0:3], 0 offset:556
	buffer_load_dword v149, off, s[0:3], 0 offset:532
	;; [unrolled: 1-line block ×3, first 2 shown]
	s_waitcnt vmcnt(59) lgkmcnt(0)
	v_mul_f64 v[157:158], v[10:11], v[18:19]
	v_mul_f64 v[18:19], v[12:13], v[18:19]
	s_waitcnt vmcnt(57)
	v_fma_f64 v[159:160], v[6:7], v[20:21], -v[155:156]
	ds_read_b128 v[2:5], v1 offset:896
	v_fma_f64 v[14:15], v[8:9], v[20:21], v[14:15]
	s_clause 0x4
	buffer_load_dword v21, off, s[0:3], 0 offset:572
	buffer_load_dword v156, off, s[0:3], 0 offset:584
	buffer_load_dword v161, off, s[0:3], 0 offset:576
	buffer_load_dword v20, off, s[0:3], 0 offset:568
	buffer_load_dword v155, off, s[0:3], 0 offset:548
	ds_read_b128 v[6:9], v1 offset:912
	v_add_f64 v[146:147], v[146:147], 0
	v_add_f64 v[16:17], v[16:17], 0
	s_waitcnt vmcnt(58) lgkmcnt(1)
	v_mul_f64 v[162:163], v[2:3], v[22:23]
	v_mul_f64 v[22:23], v[4:5], v[22:23]
	s_waitcnt vmcnt(56)
	v_fma_f64 v[18:19], v[10:11], v[28:29], -v[18:19]
	v_fma_f64 v[28:29], v[12:13], v[28:29], v[157:158]
	v_add_f64 v[146:147], v[146:147], v[159:160]
	v_add_f64 v[14:15], v[16:17], v[14:15]
	s_clause 0x2
	buffer_load_dword v157, off, s[0:3], 0 offset:588
	buffer_load_dword v17, off, s[0:3], 0 offset:564
	;; [unrolled: 1-line block ×3, first 2 shown]
	s_waitcnt vmcnt(58) lgkmcnt(0)
	v_mul_f64 v[158:159], v[6:7], v[24:25]
	v_mul_f64 v[24:25], v[8:9], v[24:25]
	s_waitcnt vmcnt(56)
	v_fma_f64 v[22:23], v[2:3], v[30:31], -v[22:23]
	ds_read_b128 v[10:13], v1 offset:928
	v_fma_f64 v[30:31], v[4:5], v[30:31], v[162:163]
	buffer_load_dword v162, off, s[0:3], 0 offset:580
	ds_read_b128 v[2:5], v1 offset:944
	v_add_f64 v[18:19], v[146:147], v[18:19]
	v_add_f64 v[14:15], v[14:15], v[28:29]
	s_waitcnt vmcnt(53) lgkmcnt(1)
	v_mul_f64 v[28:29], v[10:11], v[32:33]
	v_mul_f64 v[32:33], v[12:13], v[32:33]
	s_waitcnt vmcnt(52)
	v_fma_f64 v[24:25], v[6:7], v[26:27], -v[24:25]
	v_add_f64 v[18:19], v[18:19], v[22:23]
	v_fma_f64 v[22:23], v[8:9], v[26:27], v[158:159]
	v_add_f64 v[14:15], v[14:15], v[30:31]
	s_waitcnt vmcnt(51) lgkmcnt(0)
	v_mul_f64 v[30:31], v[4:5], v[34:35]
	ds_read_b128 v[6:9], v1 offset:960
	s_waitcnt vmcnt(49)
	v_fma_f64 v[32:33], v[10:11], v[38:39], -v[32:33]
	v_mul_f64 v[26:27], v[2:3], v[34:35]
	v_add_f64 v[18:19], v[18:19], v[24:25]
	v_fma_f64 v[24:25], v[12:13], v[38:39], v[28:29]
	v_add_f64 v[14:15], v[14:15], v[22:23]
	s_clause 0x3
	buffer_load_dword v22, off, s[0:3], 0 offset:272
	buffer_load_dword v23, off, s[0:3], 0 offset:276
	;; [unrolled: 1-line block ×4, first 2 shown]
	s_waitcnt vmcnt(49) lgkmcnt(0)
	v_mul_f64 v[38:39], v[8:9], v[40:41]
	s_waitcnt vmcnt(48)
	v_fma_f64 v[30:31], v[2:3], v[36:37], -v[30:31]
	ds_read_b128 v[10:13], v1 offset:976
	v_mul_f64 v[34:35], v[6:7], v[40:41]
	v_fma_f64 v[26:27], v[4:5], v[36:37], v[26:27]
	ds_read_b128 v[2:5], v1 offset:992
	v_add_f64 v[18:19], v[18:19], v[32:33]
	v_add_f64 v[14:15], v[14:15], v[24:25]
	s_waitcnt vmcnt(47) lgkmcnt(1)
	v_mul_f64 v[32:33], v[12:13], v[42:43]
	s_waitcnt vmcnt(45)
	v_fma_f64 v[36:37], v[6:7], v[46:47], -v[38:39]
	v_mul_f64 v[24:25], v[10:11], v[42:43]
	v_add_f64 v[18:19], v[18:19], v[30:31]
	v_fma_f64 v[30:31], v[8:9], v[46:47], v[34:35]
	v_add_f64 v[14:15], v[14:15], v[26:27]
	s_waitcnt vmcnt(41) lgkmcnt(0)
	v_mul_f64 v[34:35], v[4:5], v[121:122]
	s_waitcnt vmcnt(40)
	v_fma_f64 v[32:33], v[10:11], v[44:45], -v[32:33]
	ds_read_b128 v[6:9], v1 offset:1008
	v_mul_f64 v[26:27], v[2:3], v[121:122]
	v_fma_f64 v[24:25], v[12:13], v[44:45], v[24:25]
	ds_read_b128 v[10:13], v1 offset:1024
	v_add_f64 v[18:19], v[18:19], v[36:37]
	v_add_f64 v[14:15], v[14:15], v[30:31]
	s_waitcnt vmcnt(39) lgkmcnt(1)
	v_mul_f64 v[36:37], v[8:9], v[124:125]
	s_waitcnt vmcnt(37)
	v_fma_f64 v[34:35], v[2:3], v[128:129], -v[34:35]
	v_mul_f64 v[30:31], v[6:7], v[124:125]
	v_fma_f64 v[26:27], v[4:5], v[128:129], v[26:27]
	ds_read_b128 v[2:5], v1 offset:1040
	v_add_f64 v[18:19], v[18:19], v[32:33]
	s_waitcnt vmcnt(33) lgkmcnt(1)
	v_mul_f64 v[32:33], v[12:13], v[130:131]
	v_add_f64 v[14:15], v[14:15], v[24:25]
	s_waitcnt vmcnt(32)
	v_fma_f64 v[36:37], v[6:7], v[126:127], -v[36:37]
	v_mul_f64 v[24:25], v[10:11], v[130:131]
	v_fma_f64 v[30:31], v[8:9], v[126:127], v[30:31]
	ds_read_b128 v[6:9], v1 offset:1056
	v_add_f64 v[18:19], v[18:19], v[34:35]
	s_waitcnt vmcnt(31) lgkmcnt(1)
	v_mul_f64 v[34:35], v[4:5], v[132:133]
	v_add_f64 v[14:15], v[14:15], v[26:27]
	;; [unrolled: 9-line block ×5, first 2 shown]
	s_waitcnt vmcnt(16)
	v_fma_f64 v[32:33], v[10:11], v[142:143], -v[32:33]
	v_mul_f64 v[26:27], v[2:3], v[150:151]
	v_fma_f64 v[24:25], v[12:13], v[142:143], v[24:25]
	ds_read_b128 v[10:13], v1 offset:1120
	v_add_f64 v[18:19], v[18:19], v[36:37]
	v_add_f64 v[14:15], v[14:15], v[30:31]
	s_waitcnt vmcnt(15) lgkmcnt(1)
	v_mul_f64 v[36:37], v[8:9], v[152:153]
	v_mul_f64 v[30:31], v[6:7], v[152:153]
	s_waitcnt vmcnt(13)
	v_fma_f64 v[34:35], v[2:3], v[148:149], -v[34:35]
	v_fma_f64 v[26:27], v[4:5], v[148:149], v[26:27]
	ds_read_b128 v[2:5], v1 offset:1136
	v_add_f64 v[18:19], v[18:19], v[32:33]
	v_add_f64 v[14:15], v[14:15], v[24:25]
	s_waitcnt vmcnt(9) lgkmcnt(1)
	v_mul_f64 v[24:25], v[10:11], v[20:21]
	v_mul_f64 v[20:21], v[12:13], v[20:21]
	s_waitcnt vmcnt(8)
	v_fma_f64 v[6:7], v[6:7], v[154:155], -v[36:37]
	v_fma_f64 v[8:9], v[8:9], v[154:155], v[30:31]
	v_add_f64 v[18:19], v[18:19], v[34:35]
	v_add_f64 v[14:15], v[14:15], v[26:27]
	s_waitcnt vmcnt(7) lgkmcnt(0)
	v_mul_f64 v[30:31], v[4:5], v[156:157]
	v_mul_f64 v[26:27], v[2:3], v[156:157]
	s_waitcnt vmcnt(5)
	v_fma_f64 v[10:11], v[10:11], v[16:17], -v[20:21]
	v_fma_f64 v[12:13], v[12:13], v[16:17], v[24:25]
	v_add_f64 v[6:7], v[18:19], v[6:7]
	v_add_f64 v[8:9], v[14:15], v[8:9]
	s_waitcnt vmcnt(4)
	v_fma_f64 v[2:3], v[2:3], v[161:162], -v[30:31]
	v_fma_f64 v[4:5], v[4:5], v[161:162], v[26:27]
	v_add_f64 v[6:7], v[6:7], v[10:11]
	v_add_f64 v[8:9], v[8:9], v[12:13]
	v_add_f64 v[2:3], v[6:7], v[2:3]
	v_add_f64 v[4:5], v[8:9], v[4:5]
	s_waitcnt vmcnt(2)
	v_add_f64 v[2:3], v[22:23], -v[2:3]
	s_waitcnt vmcnt(0)
	v_add_f64 v[4:5], v[28:29], -v[4:5]
	buffer_store_dword v3, off, s[0:3], 0 offset:276
	buffer_store_dword v2, off, s[0:3], 0 offset:272
	;; [unrolled: 1-line block ×4, first 2 shown]
	v_cmpx_lt_u32_e32 15, v0
	s_cbranch_execz .LBB35_199
; %bb.198:
	v_mov_b32_e32 v5, s33
	s_clause 0x3
	buffer_load_dword v2, v5, s[0:3], 0 offen
	buffer_load_dword v3, v5, s[0:3], 0 offen offset:4
	buffer_load_dword v4, v5, s[0:3], 0 offen offset:8
	;; [unrolled: 1-line block ×3, first 2 shown]
	buffer_store_dword v1, off, s[0:3], 0 offset:256
	buffer_store_dword v1, off, s[0:3], 0 offset:260
	;; [unrolled: 1-line block ×4, first 2 shown]
	s_waitcnt vmcnt(0)
	ds_write_b128 v123, v[2:5]
.LBB35_199:
	s_or_b32 exec_lo, exec_lo, s4
	s_waitcnt lgkmcnt(0)
	s_waitcnt_vscnt null, 0x0
	s_barrier
	buffer_gl0_inv
	s_clause 0x37
	buffer_load_dword v10, off, s[0:3], 0 offset:280
	buffer_load_dword v11, off, s[0:3], 0 offset:284
	;; [unrolled: 1-line block ×56, first 2 shown]
	ds_read_b128 v[2:5], v1 offset:832
	s_clause 0x2
	buffer_load_dword v141, off, s[0:3], 0 offset:508
	buffer_load_dword v145, off, s[0:3], 0 offset:484
	;; [unrolled: 1-line block ×3, first 2 shown]
	ds_read_b128 v[6:9], v1 offset:848
	s_clause 0x4
	buffer_load_dword v151, off, s[0:3], 0 offset:524
	buffer_load_dword v152, off, s[0:3], 0 offset:536
	;; [unrolled: 1-line block ×5, first 2 shown]
	s_mov_b32 s4, exec_lo
	s_waitcnt vmcnt(62) lgkmcnt(1)
	v_mul_f64 v[146:147], v[4:5], v[10:11]
	v_mul_f64 v[148:149], v[2:3], v[10:11]
	s_waitcnt vmcnt(60) lgkmcnt(0)
	v_mul_f64 v[155:156], v[8:9], v[14:15]
	ds_read_b128 v[10:13], v1 offset:864
	v_mul_f64 v[14:15], v[6:7], v[14:15]
	s_waitcnt vmcnt(58)
	v_fma_f64 v[146:147], v[2:3], v[16:17], -v[146:147]
	v_fma_f64 v[16:17], v[4:5], v[16:17], v[148:149]
	s_clause 0x2
	buffer_load_dword v153, off, s[0:3], 0 offset:540
	buffer_load_dword v149, off, s[0:3], 0 offset:516
	;; [unrolled: 1-line block ×3, first 2 shown]
	s_waitcnt vmcnt(59) lgkmcnt(0)
	v_mul_f64 v[157:158], v[10:11], v[18:19]
	v_mul_f64 v[18:19], v[12:13], v[18:19]
	s_waitcnt vmcnt(57)
	v_fma_f64 v[159:160], v[6:7], v[20:21], -v[155:156]
	ds_read_b128 v[2:5], v1 offset:880
	v_fma_f64 v[14:15], v[8:9], v[20:21], v[14:15]
	s_clause 0x4
	buffer_load_dword v21, off, s[0:3], 0 offset:556
	buffer_load_dword v156, off, s[0:3], 0 offset:568
	;; [unrolled: 1-line block ×5, first 2 shown]
	ds_read_b128 v[6:9], v1 offset:896
	v_add_f64 v[146:147], v[146:147], 0
	v_add_f64 v[16:17], v[16:17], 0
	s_waitcnt vmcnt(58) lgkmcnt(1)
	v_mul_f64 v[162:163], v[2:3], v[22:23]
	v_mul_f64 v[22:23], v[4:5], v[22:23]
	s_waitcnt vmcnt(56)
	v_fma_f64 v[18:19], v[10:11], v[28:29], -v[18:19]
	v_fma_f64 v[28:29], v[12:13], v[28:29], v[157:158]
	v_add_f64 v[146:147], v[146:147], v[159:160]
	v_add_f64 v[14:15], v[16:17], v[14:15]
	s_clause 0x2
	buffer_load_dword v157, off, s[0:3], 0 offset:572
	buffer_load_dword v17, off, s[0:3], 0 offset:548
	;; [unrolled: 1-line block ×3, first 2 shown]
	s_waitcnt vmcnt(58) lgkmcnt(0)
	v_mul_f64 v[158:159], v[6:7], v[24:25]
	v_mul_f64 v[24:25], v[8:9], v[24:25]
	s_waitcnt vmcnt(56)
	v_fma_f64 v[22:23], v[2:3], v[30:31], -v[22:23]
	ds_read_b128 v[10:13], v1 offset:912
	v_fma_f64 v[30:31], v[4:5], v[30:31], v[162:163]
	v_add_f64 v[18:19], v[146:147], v[18:19]
	v_add_f64 v[14:15], v[14:15], v[28:29]
	s_clause 0x2
	buffer_load_dword v29, off, s[0:3], 0 offset:588
	buffer_load_dword v28, off, s[0:3], 0 offset:584
	;; [unrolled: 1-line block ×3, first 2 shown]
	ds_read_b128 v[2:5], v1 offset:928
	s_waitcnt vmcnt(55) lgkmcnt(1)
	v_mul_f64 v[146:147], v[10:11], v[32:33]
	v_mul_f64 v[32:33], v[12:13], v[32:33]
	s_waitcnt vmcnt(54)
	v_fma_f64 v[24:25], v[6:7], v[26:27], -v[24:25]
	v_add_f64 v[18:19], v[18:19], v[22:23]
	v_fma_f64 v[22:23], v[8:9], v[26:27], v[158:159]
	v_add_f64 v[14:15], v[14:15], v[30:31]
	s_clause 0x1
	buffer_load_dword v27, off, s[0:3], 0 offset:580
	buffer_load_dword v26, off, s[0:3], 0 offset:576
	s_waitcnt vmcnt(55) lgkmcnt(0)
	v_mul_f64 v[30:31], v[2:3], v[34:35]
	v_mul_f64 v[34:35], v[4:5], v[34:35]
	s_waitcnt vmcnt(53)
	v_fma_f64 v[32:33], v[10:11], v[38:39], -v[32:33]
	ds_read_b128 v[6:9], v1 offset:944
	v_add_f64 v[18:19], v[18:19], v[24:25]
	v_fma_f64 v[24:25], v[12:13], v[38:39], v[146:147]
	v_add_f64 v[14:15], v[14:15], v[22:23]
	ds_read_b128 v[10:13], v1 offset:960
	s_waitcnt vmcnt(48)
	v_fma_f64 v[30:31], v[4:5], v[36:37], v[30:31]
	s_waitcnt lgkmcnt(1)
	v_mul_f64 v[38:39], v[8:9], v[40:41]
	v_fma_f64 v[34:35], v[2:3], v[36:37], -v[34:35]
	v_mul_f64 v[22:23], v[6:7], v[40:41]
	v_add_f64 v[18:19], v[18:19], v[32:33]
	s_waitcnt vmcnt(47) lgkmcnt(0)
	v_mul_f64 v[40:41], v[12:13], v[42:43]
	v_add_f64 v[14:15], v[14:15], v[24:25]
	s_clause 0x3
	buffer_load_dword v24, off, s[0:3], 0 offset:256
	buffer_load_dword v25, off, s[0:3], 0 offset:260
	;; [unrolled: 1-line block ×4, first 2 shown]
	ds_read_b128 v[2:5], v1 offset:976
	s_waitcnt vmcnt(49)
	v_fma_f64 v[38:39], v[6:7], v[46:47], -v[38:39]
	v_mul_f64 v[36:37], v[10:11], v[42:43]
	v_fma_f64 v[22:23], v[8:9], v[46:47], v[22:23]
	ds_read_b128 v[6:9], v1 offset:992
	v_add_f64 v[18:19], v[18:19], v[34:35]
	s_waitcnt vmcnt(44)
	v_fma_f64 v[40:41], v[10:11], v[44:45], -v[40:41]
	v_add_f64 v[14:15], v[14:15], v[30:31]
	s_waitcnt lgkmcnt(1)
	v_mul_f64 v[34:35], v[4:5], v[121:122]
	v_mul_f64 v[30:31], v[2:3], v[121:122]
	v_fma_f64 v[36:37], v[12:13], v[44:45], v[36:37]
	ds_read_b128 v[10:13], v1 offset:1008
	v_add_f64 v[18:19], v[18:19], v[38:39]
	s_waitcnt vmcnt(43) lgkmcnt(1)
	v_mul_f64 v[38:39], v[8:9], v[124:125]
	v_add_f64 v[14:15], v[14:15], v[22:23]
	s_waitcnt vmcnt(41)
	v_fma_f64 v[34:35], v[2:3], v[128:129], -v[34:35]
	v_mul_f64 v[22:23], v[6:7], v[124:125]
	v_fma_f64 v[30:31], v[4:5], v[128:129], v[30:31]
	ds_read_b128 v[2:5], v1 offset:1024
	v_add_f64 v[18:19], v[18:19], v[40:41]
	s_waitcnt vmcnt(37) lgkmcnt(1)
	v_mul_f64 v[40:41], v[12:13], v[130:131]
	v_add_f64 v[14:15], v[14:15], v[36:37]
	s_waitcnt vmcnt(36)
	v_fma_f64 v[38:39], v[6:7], v[126:127], -v[38:39]
	;; [unrolled: 9-line block ×6, first 2 shown]
	v_mul_f64 v[30:31], v[2:3], v[150:151]
	v_fma_f64 v[36:37], v[12:13], v[142:143], v[36:37]
	ds_read_b128 v[10:13], v1 offset:1104
	v_add_f64 v[18:19], v[18:19], v[38:39]
	v_add_f64 v[14:15], v[14:15], v[22:23]
	s_waitcnt vmcnt(19) lgkmcnt(1)
	v_mul_f64 v[38:39], v[8:9], v[152:153]
	v_mul_f64 v[22:23], v[6:7], v[152:153]
	s_waitcnt vmcnt(17)
	v_fma_f64 v[34:35], v[2:3], v[148:149], -v[34:35]
	v_fma_f64 v[30:31], v[4:5], v[148:149], v[30:31]
	ds_read_b128 v[2:5], v1 offset:1120
	v_add_f64 v[18:19], v[18:19], v[40:41]
	v_add_f64 v[14:15], v[14:15], v[36:37]
	s_waitcnt vmcnt(13) lgkmcnt(1)
	v_mul_f64 v[36:37], v[10:11], v[20:21]
	v_mul_f64 v[20:21], v[12:13], v[20:21]
	s_waitcnt vmcnt(12)
	v_fma_f64 v[38:39], v[6:7], v[154:155], -v[38:39]
	;; [unrolled: 9-line block ×3, first 2 shown]
	v_fma_f64 v[12:13], v[12:13], v[16:17], v[36:37]
	v_add_f64 v[18:19], v[18:19], v[38:39]
	v_add_f64 v[14:15], v[14:15], v[22:23]
	s_waitcnt vmcnt(7) lgkmcnt(0)
	v_mul_f64 v[20:21], v[8:9], v[28:29]
	s_waitcnt vmcnt(6)
	v_fma_f64 v[1:2], v[2:3], v[161:162], -v[34:35]
	v_mul_f64 v[16:17], v[6:7], v[28:29]
	v_fma_f64 v[3:4], v[4:5], v[161:162], v[30:31]
	v_add_f64 v[10:11], v[18:19], v[10:11]
	v_add_f64 v[12:13], v[14:15], v[12:13]
	s_waitcnt vmcnt(4)
	v_fma_f64 v[5:6], v[6:7], v[26:27], -v[20:21]
	v_fma_f64 v[7:8], v[8:9], v[26:27], v[16:17]
	v_add_f64 v[1:2], v[10:11], v[1:2]
	v_add_f64 v[3:4], v[12:13], v[3:4]
	;; [unrolled: 1-line block ×4, first 2 shown]
	s_waitcnt vmcnt(2)
	v_add_f64 v[1:2], v[24:25], -v[1:2]
	s_waitcnt vmcnt(0)
	v_add_f64 v[3:4], v[32:33], -v[3:4]
	buffer_store_dword v2, off, s[0:3], 0 offset:260
	buffer_store_dword v1, off, s[0:3], 0 offset:256
	;; [unrolled: 1-line block ×4, first 2 shown]
	v_cmpx_lt_u32_e32 14, v0
	s_cbranch_execz .LBB35_201
; %bb.200:
	v_mov_b32_e32 v4, s34
	v_mov_b32_e32 v5, 0
	s_clause 0x3
	buffer_load_dword v1, v4, s[0:3], 0 offen
	buffer_load_dword v2, v4, s[0:3], 0 offen offset:4
	buffer_load_dword v3, v4, s[0:3], 0 offen offset:8
	;; [unrolled: 1-line block ×3, first 2 shown]
	buffer_store_dword v5, off, s[0:3], 0 offset:240
	buffer_store_dword v5, off, s[0:3], 0 offset:244
	;; [unrolled: 1-line block ×4, first 2 shown]
	s_waitcnt vmcnt(0)
	ds_write_b128 v123, v[1:4]
.LBB35_201:
	s_or_b32 exec_lo, exec_lo, s4
	s_waitcnt lgkmcnt(0)
	s_waitcnt_vscnt null, 0x0
	s_barrier
	buffer_gl0_inv
	s_clause 0x37
	buffer_load_dword v10, off, s[0:3], 0 offset:264
	buffer_load_dword v11, off, s[0:3], 0 offset:268
	;; [unrolled: 1-line block ×56, first 2 shown]
	v_mov_b32_e32 v1, 0
	s_mov_b32 s4, exec_lo
	ds_read_b128 v[2:5], v1 offset:816
	s_clause 0x2
	buffer_load_dword v141, off, s[0:3], 0 offset:492
	buffer_load_dword v145, off, s[0:3], 0 offset:468
	;; [unrolled: 1-line block ×3, first 2 shown]
	ds_read_b128 v[6:9], v1 offset:832
	s_clause 0x4
	buffer_load_dword v151, off, s[0:3], 0 offset:508
	buffer_load_dword v152, off, s[0:3], 0 offset:520
	;; [unrolled: 1-line block ×5, first 2 shown]
	s_waitcnt vmcnt(62) lgkmcnt(1)
	v_mul_f64 v[146:147], v[4:5], v[10:11]
	v_mul_f64 v[148:149], v[2:3], v[10:11]
	s_waitcnt vmcnt(60) lgkmcnt(0)
	v_mul_f64 v[155:156], v[8:9], v[14:15]
	ds_read_b128 v[10:13], v1 offset:848
	v_mul_f64 v[14:15], v[6:7], v[14:15]
	s_waitcnt vmcnt(58)
	v_fma_f64 v[146:147], v[2:3], v[16:17], -v[146:147]
	v_fma_f64 v[16:17], v[4:5], v[16:17], v[148:149]
	s_clause 0x2
	buffer_load_dword v153, off, s[0:3], 0 offset:524
	buffer_load_dword v149, off, s[0:3], 0 offset:500
	;; [unrolled: 1-line block ×3, first 2 shown]
	s_waitcnt vmcnt(59) lgkmcnt(0)
	v_mul_f64 v[157:158], v[10:11], v[18:19]
	v_mul_f64 v[18:19], v[12:13], v[18:19]
	s_waitcnt vmcnt(57)
	v_fma_f64 v[159:160], v[6:7], v[20:21], -v[155:156]
	ds_read_b128 v[2:5], v1 offset:864
	v_fma_f64 v[14:15], v[8:9], v[20:21], v[14:15]
	s_clause 0x4
	buffer_load_dword v21, off, s[0:3], 0 offset:540
	buffer_load_dword v156, off, s[0:3], 0 offset:552
	;; [unrolled: 1-line block ×5, first 2 shown]
	ds_read_b128 v[6:9], v1 offset:880
	v_add_f64 v[146:147], v[146:147], 0
	v_add_f64 v[16:17], v[16:17], 0
	s_waitcnt vmcnt(58) lgkmcnt(1)
	v_mul_f64 v[162:163], v[2:3], v[22:23]
	v_mul_f64 v[22:23], v[4:5], v[22:23]
	s_waitcnt vmcnt(56)
	v_fma_f64 v[18:19], v[10:11], v[28:29], -v[18:19]
	v_fma_f64 v[28:29], v[12:13], v[28:29], v[157:158]
	v_add_f64 v[146:147], v[146:147], v[159:160]
	v_add_f64 v[14:15], v[16:17], v[14:15]
	s_clause 0x2
	buffer_load_dword v157, off, s[0:3], 0 offset:556
	buffer_load_dword v17, off, s[0:3], 0 offset:532
	;; [unrolled: 1-line block ×3, first 2 shown]
	s_waitcnt vmcnt(58) lgkmcnt(0)
	v_mul_f64 v[158:159], v[6:7], v[24:25]
	v_mul_f64 v[24:25], v[8:9], v[24:25]
	s_waitcnt vmcnt(56)
	v_fma_f64 v[22:23], v[2:3], v[30:31], -v[22:23]
	ds_read_b128 v[10:13], v1 offset:896
	v_fma_f64 v[30:31], v[4:5], v[30:31], v[162:163]
	v_add_f64 v[18:19], v[146:147], v[18:19]
	v_add_f64 v[14:15], v[14:15], v[28:29]
	s_clause 0x4
	buffer_load_dword v29, off, s[0:3], 0 offset:572
	buffer_load_dword v146, off, s[0:3], 0 offset:584
	buffer_load_dword v163, off, s[0:3], 0 offset:576
	buffer_load_dword v28, off, s[0:3], 0 offset:568
	buffer_load_dword v162, off, s[0:3], 0 offset:548
	ds_read_b128 v[2:5], v1 offset:912
	s_waitcnt vmcnt(57) lgkmcnt(1)
	v_mul_f64 v[164:165], v[10:11], v[32:33]
	v_mul_f64 v[32:33], v[12:13], v[32:33]
	s_waitcnt vmcnt(56)
	v_fma_f64 v[24:25], v[6:7], v[26:27], -v[24:25]
	v_add_f64 v[18:19], v[18:19], v[22:23]
	v_fma_f64 v[22:23], v[8:9], v[26:27], v[158:159]
	v_add_f64 v[14:15], v[14:15], v[30:31]
	s_clause 0x2
	buffer_load_dword v147, off, s[0:3], 0 offset:588
	buffer_load_dword v27, off, s[0:3], 0 offset:564
	buffer_load_dword v26, off, s[0:3], 0 offset:560
	s_waitcnt vmcnt(58) lgkmcnt(0)
	v_mul_f64 v[30:31], v[2:3], v[34:35]
	v_mul_f64 v[34:35], v[4:5], v[34:35]
	s_waitcnt vmcnt(56)
	v_fma_f64 v[32:33], v[10:11], v[38:39], -v[32:33]
	ds_read_b128 v[6:9], v1 offset:928
	v_add_f64 v[18:19], v[18:19], v[24:25]
	v_fma_f64 v[24:25], v[12:13], v[38:39], v[164:165]
	v_add_f64 v[14:15], v[14:15], v[22:23]
	buffer_load_dword v164, off, s[0:3], 0 offset:580
	ds_read_b128 v[10:13], v1 offset:944
	s_waitcnt vmcnt(53) lgkmcnt(1)
	v_mul_f64 v[38:39], v[8:9], v[40:41]
	s_waitcnt vmcnt(52)
	v_fma_f64 v[34:35], v[2:3], v[36:37], -v[34:35]
	v_mul_f64 v[22:23], v[6:7], v[40:41]
	v_fma_f64 v[30:31], v[4:5], v[36:37], v[30:31]
	ds_read_b128 v[2:5], v1 offset:960
	v_add_f64 v[18:19], v[18:19], v[32:33]
	v_add_f64 v[14:15], v[14:15], v[24:25]
	s_waitcnt vmcnt(51) lgkmcnt(1)
	v_mul_f64 v[32:33], v[12:13], v[42:43]
	v_mul_f64 v[24:25], v[10:11], v[42:43]
	s_waitcnt vmcnt(49)
	v_fma_f64 v[36:37], v[6:7], v[46:47], -v[38:39]
	v_fma_f64 v[22:23], v[8:9], v[46:47], v[22:23]
	s_waitcnt vmcnt(45) lgkmcnt(0)
	v_mul_f64 v[40:41], v[4:5], v[121:122]
	v_mul_f64 v[38:39], v[2:3], v[121:122]
	v_add_f64 v[18:19], v[18:19], v[34:35]
	v_add_f64 v[14:15], v[14:15], v[30:31]
	s_clause 0x3
	buffer_load_dword v30, off, s[0:3], 0 offset:240
	buffer_load_dword v31, off, s[0:3], 0 offset:244
	;; [unrolled: 1-line block ×4, first 2 shown]
	s_waitcnt vmcnt(48)
	v_fma_f64 v[32:33], v[10:11], v[44:45], -v[32:33]
	ds_read_b128 v[6:9], v1 offset:976
	v_fma_f64 v[24:25], v[12:13], v[44:45], v[24:25]
	ds_read_b128 v[10:13], v1 offset:992
	s_waitcnt vmcnt(45)
	v_fma_f64 v[40:41], v[2:3], v[128:129], -v[40:41]
	v_add_f64 v[18:19], v[18:19], v[36:37]
	v_add_f64 v[14:15], v[14:15], v[22:23]
	s_waitcnt lgkmcnt(1)
	v_mul_f64 v[36:37], v[8:9], v[124:125]
	v_mul_f64 v[22:23], v[6:7], v[124:125]
	v_add_f64 v[18:19], v[18:19], v[32:33]
	v_fma_f64 v[32:33], v[4:5], v[128:129], v[38:39]
	v_add_f64 v[14:15], v[14:15], v[24:25]
	s_waitcnt vmcnt(41) lgkmcnt(0)
	v_mul_f64 v[38:39], v[12:13], v[130:131]
	s_waitcnt vmcnt(40)
	v_fma_f64 v[36:37], v[6:7], v[126:127], -v[36:37]
	ds_read_b128 v[2:5], v1 offset:1008
	v_mul_f64 v[24:25], v[10:11], v[130:131]
	v_fma_f64 v[22:23], v[8:9], v[126:127], v[22:23]
	ds_read_b128 v[6:9], v1 offset:1024
	v_add_f64 v[18:19], v[18:19], v[40:41]
	v_add_f64 v[14:15], v[14:15], v[32:33]
	s_waitcnt vmcnt(39) lgkmcnt(1)
	v_mul_f64 v[40:41], v[4:5], v[132:133]
	s_waitcnt vmcnt(37)
	v_fma_f64 v[38:39], v[10:11], v[136:137], -v[38:39]
	v_mul_f64 v[32:33], v[2:3], v[132:133]
	v_fma_f64 v[24:25], v[12:13], v[136:137], v[24:25]
	ds_read_b128 v[10:13], v1 offset:1040
	v_add_f64 v[18:19], v[18:19], v[36:37]
	s_waitcnt vmcnt(33) lgkmcnt(1)
	v_mul_f64 v[36:37], v[8:9], v[138:139]
	v_add_f64 v[14:15], v[14:15], v[22:23]
	s_waitcnt vmcnt(32)
	v_fma_f64 v[40:41], v[2:3], v[134:135], -v[40:41]
	v_mul_f64 v[22:23], v[6:7], v[138:139]
	v_fma_f64 v[32:33], v[4:5], v[134:135], v[32:33]
	ds_read_b128 v[2:5], v1 offset:1056
	v_add_f64 v[18:19], v[18:19], v[38:39]
	s_waitcnt vmcnt(31) lgkmcnt(1)
	v_mul_f64 v[38:39], v[12:13], v[140:141]
	v_add_f64 v[14:15], v[14:15], v[24:25]
	;; [unrolled: 9-line block ×3, first 2 shown]
	s_waitcnt vmcnt(24)
	v_fma_f64 v[38:39], v[10:11], v[142:143], -v[38:39]
	v_mul_f64 v[32:33], v[2:3], v[150:151]
	v_fma_f64 v[24:25], v[12:13], v[142:143], v[24:25]
	ds_read_b128 v[10:13], v1 offset:1088
	v_add_f64 v[18:19], v[18:19], v[36:37]
	v_add_f64 v[14:15], v[14:15], v[22:23]
	s_waitcnt vmcnt(23) lgkmcnt(1)
	v_mul_f64 v[36:37], v[8:9], v[152:153]
	v_mul_f64 v[22:23], v[6:7], v[152:153]
	s_waitcnt vmcnt(21)
	v_fma_f64 v[40:41], v[2:3], v[148:149], -v[40:41]
	v_fma_f64 v[32:33], v[4:5], v[148:149], v[32:33]
	ds_read_b128 v[2:5], v1 offset:1104
	v_add_f64 v[18:19], v[18:19], v[38:39]
	v_add_f64 v[14:15], v[14:15], v[24:25]
	s_waitcnt vmcnt(17) lgkmcnt(1)
	v_mul_f64 v[24:25], v[10:11], v[20:21]
	v_mul_f64 v[20:21], v[12:13], v[20:21]
	s_waitcnt vmcnt(16)
	v_fma_f64 v[36:37], v[6:7], v[154:155], -v[36:37]
	;; [unrolled: 9-line block ×3, first 2 shown]
	v_fma_f64 v[16:17], v[12:13], v[16:17], v[24:25]
	ds_read_b128 v[10:13], v1 offset:1136
	v_add_f64 v[18:19], v[18:19], v[36:37]
	v_add_f64 v[14:15], v[14:15], v[22:23]
	s_waitcnt vmcnt(9) lgkmcnt(1)
	v_mul_f64 v[24:25], v[8:9], v[28:29]
	s_waitcnt vmcnt(8)
	v_fma_f64 v[2:3], v[2:3], v[161:162], -v[38:39]
	v_mul_f64 v[22:23], v[6:7], v[28:29]
	v_fma_f64 v[4:5], v[4:5], v[161:162], v[32:33]
	v_add_f64 v[18:19], v[18:19], v[20:21]
	v_add_f64 v[14:15], v[14:15], v[16:17]
	s_waitcnt vmcnt(7) lgkmcnt(0)
	v_mul_f64 v[20:21], v[12:13], v[146:147]
	v_mul_f64 v[16:17], v[10:11], v[146:147]
	s_waitcnt vmcnt(5)
	v_fma_f64 v[6:7], v[6:7], v[26:27], -v[24:25]
	v_fma_f64 v[8:9], v[8:9], v[26:27], v[22:23]
	v_add_f64 v[2:3], v[18:19], v[2:3]
	v_add_f64 v[4:5], v[14:15], v[4:5]
	s_waitcnt vmcnt(4)
	v_fma_f64 v[10:11], v[10:11], v[163:164], -v[20:21]
	v_add_f64 v[2:3], v[2:3], v[6:7]
	v_fma_f64 v[6:7], v[12:13], v[163:164], v[16:17]
	v_add_f64 v[4:5], v[4:5], v[8:9]
	v_add_f64 v[2:3], v[2:3], v[10:11]
	;; [unrolled: 1-line block ×3, first 2 shown]
	s_waitcnt vmcnt(2)
	v_add_f64 v[2:3], v[30:31], -v[2:3]
	s_waitcnt vmcnt(0)
	v_add_f64 v[4:5], v[34:35], -v[4:5]
	buffer_store_dword v3, off, s[0:3], 0 offset:244
	buffer_store_dword v2, off, s[0:3], 0 offset:240
	;; [unrolled: 1-line block ×4, first 2 shown]
	v_cmpx_lt_u32_e32 13, v0
	s_cbranch_execz .LBB35_203
; %bb.202:
	v_mov_b32_e32 v5, s35
	s_clause 0x3
	buffer_load_dword v2, v5, s[0:3], 0 offen
	buffer_load_dword v3, v5, s[0:3], 0 offen offset:4
	buffer_load_dword v4, v5, s[0:3], 0 offen offset:8
	;; [unrolled: 1-line block ×3, first 2 shown]
	buffer_store_dword v1, off, s[0:3], 0 offset:224
	buffer_store_dword v1, off, s[0:3], 0 offset:228
	;; [unrolled: 1-line block ×4, first 2 shown]
	s_waitcnt vmcnt(0)
	ds_write_b128 v123, v[2:5]
.LBB35_203:
	s_or_b32 exec_lo, exec_lo, s4
	s_waitcnt lgkmcnt(0)
	s_waitcnt_vscnt null, 0x0
	s_barrier
	buffer_gl0_inv
	s_clause 0x37
	buffer_load_dword v10, off, s[0:3], 0 offset:248
	buffer_load_dword v11, off, s[0:3], 0 offset:252
	;; [unrolled: 1-line block ×56, first 2 shown]
	ds_read_b128 v[2:5], v1 offset:800
	s_clause 0x2
	buffer_load_dword v141, off, s[0:3], 0 offset:476
	buffer_load_dword v145, off, s[0:3], 0 offset:452
	;; [unrolled: 1-line block ×3, first 2 shown]
	ds_read_b128 v[6:9], v1 offset:816
	s_clause 0x4
	buffer_load_dword v151, off, s[0:3], 0 offset:492
	buffer_load_dword v152, off, s[0:3], 0 offset:504
	;; [unrolled: 1-line block ×5, first 2 shown]
	s_mov_b32 s4, exec_lo
	s_waitcnt vmcnt(62) lgkmcnt(1)
	v_mul_f64 v[146:147], v[4:5], v[10:11]
	v_mul_f64 v[148:149], v[2:3], v[10:11]
	s_waitcnt vmcnt(60) lgkmcnt(0)
	v_mul_f64 v[155:156], v[8:9], v[14:15]
	ds_read_b128 v[10:13], v1 offset:832
	v_mul_f64 v[14:15], v[6:7], v[14:15]
	s_waitcnt vmcnt(58)
	v_fma_f64 v[146:147], v[2:3], v[16:17], -v[146:147]
	v_fma_f64 v[16:17], v[4:5], v[16:17], v[148:149]
	s_clause 0x2
	buffer_load_dword v153, off, s[0:3], 0 offset:508
	buffer_load_dword v149, off, s[0:3], 0 offset:484
	;; [unrolled: 1-line block ×3, first 2 shown]
	s_waitcnt vmcnt(59) lgkmcnt(0)
	v_mul_f64 v[157:158], v[10:11], v[18:19]
	v_mul_f64 v[18:19], v[12:13], v[18:19]
	s_waitcnt vmcnt(57)
	v_fma_f64 v[159:160], v[6:7], v[20:21], -v[155:156]
	ds_read_b128 v[2:5], v1 offset:848
	v_fma_f64 v[14:15], v[8:9], v[20:21], v[14:15]
	s_clause 0x4
	buffer_load_dword v21, off, s[0:3], 0 offset:524
	buffer_load_dword v156, off, s[0:3], 0 offset:536
	;; [unrolled: 1-line block ×5, first 2 shown]
	ds_read_b128 v[6:9], v1 offset:864
	v_add_f64 v[146:147], v[146:147], 0
	v_add_f64 v[16:17], v[16:17], 0
	s_waitcnt vmcnt(58) lgkmcnt(1)
	v_mul_f64 v[162:163], v[2:3], v[22:23]
	v_mul_f64 v[22:23], v[4:5], v[22:23]
	s_waitcnt vmcnt(56)
	v_fma_f64 v[18:19], v[10:11], v[28:29], -v[18:19]
	v_fma_f64 v[28:29], v[12:13], v[28:29], v[157:158]
	v_add_f64 v[146:147], v[146:147], v[159:160]
	v_add_f64 v[14:15], v[16:17], v[14:15]
	s_clause 0x2
	buffer_load_dword v157, off, s[0:3], 0 offset:540
	buffer_load_dword v17, off, s[0:3], 0 offset:516
	;; [unrolled: 1-line block ×3, first 2 shown]
	s_waitcnt vmcnt(58) lgkmcnt(0)
	v_mul_f64 v[158:159], v[6:7], v[24:25]
	v_mul_f64 v[24:25], v[8:9], v[24:25]
	s_waitcnt vmcnt(56)
	v_fma_f64 v[22:23], v[2:3], v[30:31], -v[22:23]
	ds_read_b128 v[10:13], v1 offset:880
	v_fma_f64 v[30:31], v[4:5], v[30:31], v[162:163]
	v_add_f64 v[18:19], v[146:147], v[18:19]
	v_add_f64 v[14:15], v[14:15], v[28:29]
	s_clause 0x4
	buffer_load_dword v29, off, s[0:3], 0 offset:556
	buffer_load_dword v146, off, s[0:3], 0 offset:568
	;; [unrolled: 1-line block ×5, first 2 shown]
	ds_read_b128 v[2:5], v1 offset:896
	s_waitcnt vmcnt(57) lgkmcnt(1)
	v_mul_f64 v[164:165], v[10:11], v[32:33]
	v_mul_f64 v[32:33], v[12:13], v[32:33]
	s_waitcnt vmcnt(56)
	v_fma_f64 v[24:25], v[6:7], v[26:27], -v[24:25]
	v_add_f64 v[18:19], v[18:19], v[22:23]
	v_fma_f64 v[22:23], v[8:9], v[26:27], v[158:159]
	v_add_f64 v[14:15], v[14:15], v[30:31]
	s_clause 0x2
	buffer_load_dword v147, off, s[0:3], 0 offset:572
	buffer_load_dword v27, off, s[0:3], 0 offset:548
	;; [unrolled: 1-line block ×3, first 2 shown]
	s_waitcnt vmcnt(58) lgkmcnt(0)
	v_mul_f64 v[30:31], v[2:3], v[34:35]
	v_mul_f64 v[34:35], v[4:5], v[34:35]
	s_waitcnt vmcnt(56)
	v_fma_f64 v[32:33], v[10:11], v[38:39], -v[32:33]
	ds_read_b128 v[6:9], v1 offset:912
	v_add_f64 v[18:19], v[18:19], v[24:25]
	v_fma_f64 v[24:25], v[12:13], v[38:39], v[164:165]
	v_add_f64 v[14:15], v[14:15], v[22:23]
	s_clause 0x2
	buffer_load_dword v23, off, s[0:3], 0 offset:588
	buffer_load_dword v22, off, s[0:3], 0 offset:584
	;; [unrolled: 1-line block ×3, first 2 shown]
	ds_read_b128 v[10:13], v1 offset:928
	s_waitcnt vmcnt(55) lgkmcnt(1)
	v_mul_f64 v[38:39], v[6:7], v[40:41]
	v_mul_f64 v[40:41], v[8:9], v[40:41]
	s_waitcnt vmcnt(54)
	v_fma_f64 v[34:35], v[2:3], v[36:37], -v[34:35]
	v_fma_f64 v[30:31], v[4:5], v[36:37], v[30:31]
	v_add_f64 v[18:19], v[18:19], v[32:33]
	v_add_f64 v[14:15], v[14:15], v[24:25]
	s_clause 0x1
	buffer_load_dword v25, off, s[0:3], 0 offset:580
	buffer_load_dword v24, off, s[0:3], 0 offset:576
	s_waitcnt vmcnt(55) lgkmcnt(0)
	v_mul_f64 v[36:37], v[12:13], v[42:43]
	ds_read_b128 v[2:5], v1 offset:944
	s_waitcnt vmcnt(53)
	v_fma_f64 v[40:41], v[6:7], v[46:47], -v[40:41]
	v_mul_f64 v[32:33], v[10:11], v[42:43]
	v_add_f64 v[18:19], v[18:19], v[34:35]
	v_fma_f64 v[34:35], v[8:9], v[46:47], v[38:39]
	v_add_f64 v[14:15], v[14:15], v[30:31]
	ds_read_b128 v[6:9], v1 offset:960
	s_waitcnt vmcnt(49) lgkmcnt(1)
	v_mul_f64 v[38:39], v[4:5], v[121:122]
	s_waitcnt vmcnt(48)
	v_fma_f64 v[36:37], v[10:11], v[44:45], -v[36:37]
	v_mul_f64 v[30:31], v[2:3], v[121:122]
	v_fma_f64 v[32:33], v[12:13], v[44:45], v[32:33]
	v_add_f64 v[18:19], v[18:19], v[40:41]
	s_waitcnt vmcnt(47) lgkmcnt(0)
	v_mul_f64 v[44:45], v[8:9], v[124:125]
	v_add_f64 v[14:15], v[14:15], v[34:35]
	s_clause 0x3
	buffer_load_dword v34, off, s[0:3], 0 offset:224
	buffer_load_dword v35, off, s[0:3], 0 offset:228
	;; [unrolled: 1-line block ×4, first 2 shown]
	s_waitcnt vmcnt(49)
	v_fma_f64 v[38:39], v[2:3], v[128:129], -v[38:39]
	ds_read_b128 v[10:13], v1 offset:976
	v_mul_f64 v[42:43], v[6:7], v[124:125]
	v_fma_f64 v[30:31], v[4:5], v[128:129], v[30:31]
	ds_read_b128 v[2:5], v1 offset:992
	v_add_f64 v[18:19], v[18:19], v[36:37]
	s_waitcnt vmcnt(44)
	v_fma_f64 v[44:45], v[6:7], v[126:127], -v[44:45]
	v_add_f64 v[14:15], v[14:15], v[32:33]
	s_waitcnt lgkmcnt(1)
	v_mul_f64 v[36:37], v[12:13], v[130:131]
	v_mul_f64 v[32:33], v[10:11], v[130:131]
	v_add_f64 v[18:19], v[18:19], v[38:39]
	v_fma_f64 v[38:39], v[8:9], v[126:127], v[42:43]
	v_add_f64 v[14:15], v[14:15], v[30:31]
	s_waitcnt vmcnt(43) lgkmcnt(0)
	v_mul_f64 v[42:43], v[4:5], v[132:133]
	s_waitcnt vmcnt(41)
	v_fma_f64 v[36:37], v[10:11], v[136:137], -v[36:37]
	ds_read_b128 v[6:9], v1 offset:1008
	v_mul_f64 v[30:31], v[2:3], v[132:133]
	v_fma_f64 v[32:33], v[12:13], v[136:137], v[32:33]
	ds_read_b128 v[10:13], v1 offset:1024
	v_add_f64 v[18:19], v[18:19], v[44:45]
	v_add_f64 v[14:15], v[14:15], v[38:39]
	s_waitcnt vmcnt(37) lgkmcnt(1)
	v_mul_f64 v[44:45], v[8:9], v[138:139]
	s_waitcnt vmcnt(36)
	v_fma_f64 v[42:43], v[2:3], v[134:135], -v[42:43]
	v_mul_f64 v[38:39], v[6:7], v[138:139]
	v_fma_f64 v[30:31], v[4:5], v[134:135], v[30:31]
	ds_read_b128 v[2:5], v1 offset:1040
	v_add_f64 v[18:19], v[18:19], v[36:37]
	s_waitcnt vmcnt(35) lgkmcnt(1)
	v_mul_f64 v[36:37], v[12:13], v[140:141]
	v_add_f64 v[14:15], v[14:15], v[32:33]
	s_waitcnt vmcnt(33)
	v_fma_f64 v[44:45], v[6:7], v[144:145], -v[44:45]
	v_mul_f64 v[32:33], v[10:11], v[140:141]
	v_fma_f64 v[38:39], v[8:9], v[144:145], v[38:39]
	ds_read_b128 v[6:9], v1 offset:1056
	v_add_f64 v[18:19], v[18:19], v[42:43]
	s_waitcnt vmcnt(29) lgkmcnt(1)
	v_mul_f64 v[42:43], v[4:5], v[150:151]
	v_add_f64 v[14:15], v[14:15], v[30:31]
	s_waitcnt vmcnt(28)
	v_fma_f64 v[36:37], v[10:11], v[142:143], -v[36:37]
	v_mul_f64 v[30:31], v[2:3], v[150:151]
	v_fma_f64 v[32:33], v[12:13], v[142:143], v[32:33]
	ds_read_b128 v[10:13], v1 offset:1072
	v_add_f64 v[18:19], v[18:19], v[44:45]
	v_add_f64 v[14:15], v[14:15], v[38:39]
	s_waitcnt vmcnt(27) lgkmcnt(1)
	v_mul_f64 v[44:45], v[8:9], v[152:153]
	v_mul_f64 v[38:39], v[6:7], v[152:153]
	s_waitcnt vmcnt(25)
	v_fma_f64 v[42:43], v[2:3], v[148:149], -v[42:43]
	v_fma_f64 v[30:31], v[4:5], v[148:149], v[30:31]
	ds_read_b128 v[2:5], v1 offset:1088
	v_add_f64 v[18:19], v[18:19], v[36:37]
	v_add_f64 v[14:15], v[14:15], v[32:33]
	s_waitcnt vmcnt(21) lgkmcnt(1)
	v_mul_f64 v[32:33], v[10:11], v[20:21]
	v_mul_f64 v[20:21], v[12:13], v[20:21]
	s_waitcnt vmcnt(20)
	v_fma_f64 v[36:37], v[6:7], v[154:155], -v[44:45]
	;; [unrolled: 9-line block ×4, first 2 shown]
	v_add_f64 v[18:19], v[18:19], v[20:21]
	v_fma_f64 v[20:21], v[4:5], v[161:162], v[30:31]
	v_add_f64 v[14:15], v[14:15], v[16:17]
	ds_read_b128 v[1:4], v1 offset:1136
	s_waitcnt vmcnt(11) lgkmcnt(1)
	v_mul_f64 v[30:31], v[12:13], v[146:147]
	v_mul_f64 v[16:17], v[10:11], v[146:147]
	s_waitcnt vmcnt(9)
	v_fma_f64 v[5:6], v[6:7], v[26:27], -v[28:29]
	v_fma_f64 v[7:8], v[8:9], v[26:27], v[32:33]
	v_add_f64 v[18:19], v[18:19], v[36:37]
	v_add_f64 v[14:15], v[14:15], v[20:21]
	s_waitcnt vmcnt(7) lgkmcnt(0)
	v_mul_f64 v[20:21], v[1:2], v[22:23]
	v_mul_f64 v[22:23], v[3:4], v[22:23]
	s_waitcnt vmcnt(6)
	v_fma_f64 v[9:10], v[10:11], v[163:164], -v[30:31]
	v_fma_f64 v[11:12], v[12:13], v[163:164], v[16:17]
	v_add_f64 v[5:6], v[18:19], v[5:6]
	v_add_f64 v[7:8], v[14:15], v[7:8]
	s_waitcnt vmcnt(4)
	v_fma_f64 v[1:2], v[1:2], v[24:25], -v[22:23]
	v_fma_f64 v[3:4], v[3:4], v[24:25], v[20:21]
	v_add_f64 v[5:6], v[5:6], v[9:10]
	v_add_f64 v[7:8], v[7:8], v[11:12]
	;; [unrolled: 1-line block ×4, first 2 shown]
	s_waitcnt vmcnt(2)
	v_add_f64 v[1:2], v[34:35], -v[1:2]
	s_waitcnt vmcnt(0)
	v_add_f64 v[3:4], v[40:41], -v[3:4]
	buffer_store_dword v2, off, s[0:3], 0 offset:228
	buffer_store_dword v1, off, s[0:3], 0 offset:224
	;; [unrolled: 1-line block ×4, first 2 shown]
	v_cmpx_lt_u32_e32 12, v0
	s_cbranch_execz .LBB35_205
; %bb.204:
	v_mov_b32_e32 v4, s36
	v_mov_b32_e32 v5, 0
	s_clause 0x3
	buffer_load_dword v1, v4, s[0:3], 0 offen
	buffer_load_dword v2, v4, s[0:3], 0 offen offset:4
	buffer_load_dword v3, v4, s[0:3], 0 offen offset:8
	;; [unrolled: 1-line block ×3, first 2 shown]
	buffer_store_dword v5, off, s[0:3], 0 offset:208
	buffer_store_dword v5, off, s[0:3], 0 offset:212
	;; [unrolled: 1-line block ×4, first 2 shown]
	s_waitcnt vmcnt(0)
	ds_write_b128 v123, v[1:4]
.LBB35_205:
	s_or_b32 exec_lo, exec_lo, s4
	s_waitcnt lgkmcnt(0)
	s_waitcnt_vscnt null, 0x0
	s_barrier
	buffer_gl0_inv
	s_clause 0x37
	buffer_load_dword v10, off, s[0:3], 0 offset:232
	buffer_load_dword v11, off, s[0:3], 0 offset:236
	;; [unrolled: 1-line block ×56, first 2 shown]
	v_mov_b32_e32 v1, 0
	s_mov_b32 s4, exec_lo
	ds_read_b128 v[2:5], v1 offset:784
	s_clause 0x2
	buffer_load_dword v141, off, s[0:3], 0 offset:460
	buffer_load_dword v145, off, s[0:3], 0 offset:436
	;; [unrolled: 1-line block ×3, first 2 shown]
	ds_read_b128 v[6:9], v1 offset:800
	s_clause 0x4
	buffer_load_dword v151, off, s[0:3], 0 offset:476
	buffer_load_dword v152, off, s[0:3], 0 offset:488
	buffer_load_dword v154, off, s[0:3], 0 offset:480
	buffer_load_dword v150, off, s[0:3], 0 offset:472
	buffer_load_dword v143, off, s[0:3], 0 offset:452
	s_waitcnt vmcnt(62) lgkmcnt(1)
	v_mul_f64 v[146:147], v[4:5], v[10:11]
	v_mul_f64 v[148:149], v[2:3], v[10:11]
	s_waitcnt vmcnt(60) lgkmcnt(0)
	v_mul_f64 v[155:156], v[8:9], v[14:15]
	ds_read_b128 v[10:13], v1 offset:816
	v_mul_f64 v[14:15], v[6:7], v[14:15]
	s_waitcnt vmcnt(58)
	v_fma_f64 v[146:147], v[2:3], v[16:17], -v[146:147]
	v_fma_f64 v[16:17], v[4:5], v[16:17], v[148:149]
	s_clause 0x2
	buffer_load_dword v153, off, s[0:3], 0 offset:492
	buffer_load_dword v149, off, s[0:3], 0 offset:468
	;; [unrolled: 1-line block ×3, first 2 shown]
	s_waitcnt vmcnt(59) lgkmcnt(0)
	v_mul_f64 v[157:158], v[10:11], v[18:19]
	v_mul_f64 v[18:19], v[12:13], v[18:19]
	s_waitcnt vmcnt(57)
	v_fma_f64 v[159:160], v[6:7], v[20:21], -v[155:156]
	ds_read_b128 v[2:5], v1 offset:832
	v_fma_f64 v[14:15], v[8:9], v[20:21], v[14:15]
	s_clause 0x4
	buffer_load_dword v21, off, s[0:3], 0 offset:508
	buffer_load_dword v156, off, s[0:3], 0 offset:520
	;; [unrolled: 1-line block ×5, first 2 shown]
	ds_read_b128 v[6:9], v1 offset:848
	v_add_f64 v[146:147], v[146:147], 0
	v_add_f64 v[16:17], v[16:17], 0
	s_waitcnt vmcnt(58) lgkmcnt(1)
	v_mul_f64 v[162:163], v[2:3], v[22:23]
	v_mul_f64 v[22:23], v[4:5], v[22:23]
	s_waitcnt vmcnt(56)
	v_fma_f64 v[18:19], v[10:11], v[28:29], -v[18:19]
	v_fma_f64 v[28:29], v[12:13], v[28:29], v[157:158]
	v_add_f64 v[146:147], v[146:147], v[159:160]
	v_add_f64 v[14:15], v[16:17], v[14:15]
	s_clause 0x2
	buffer_load_dword v157, off, s[0:3], 0 offset:524
	buffer_load_dword v17, off, s[0:3], 0 offset:500
	;; [unrolled: 1-line block ×3, first 2 shown]
	s_waitcnt vmcnt(58) lgkmcnt(0)
	v_mul_f64 v[158:159], v[6:7], v[24:25]
	v_mul_f64 v[24:25], v[8:9], v[24:25]
	s_waitcnt vmcnt(56)
	v_fma_f64 v[22:23], v[2:3], v[30:31], -v[22:23]
	ds_read_b128 v[10:13], v1 offset:864
	v_fma_f64 v[30:31], v[4:5], v[30:31], v[162:163]
	v_add_f64 v[18:19], v[146:147], v[18:19]
	v_add_f64 v[14:15], v[14:15], v[28:29]
	s_clause 0x4
	buffer_load_dword v29, off, s[0:3], 0 offset:540
	buffer_load_dword v146, off, s[0:3], 0 offset:552
	;; [unrolled: 1-line block ×5, first 2 shown]
	ds_read_b128 v[2:5], v1 offset:880
	s_waitcnt vmcnt(57) lgkmcnt(1)
	v_mul_f64 v[164:165], v[10:11], v[32:33]
	v_mul_f64 v[32:33], v[12:13], v[32:33]
	s_waitcnt vmcnt(56)
	v_fma_f64 v[24:25], v[6:7], v[26:27], -v[24:25]
	v_add_f64 v[18:19], v[18:19], v[22:23]
	v_fma_f64 v[22:23], v[8:9], v[26:27], v[158:159]
	v_add_f64 v[14:15], v[14:15], v[30:31]
	s_clause 0x2
	buffer_load_dword v147, off, s[0:3], 0 offset:556
	buffer_load_dword v27, off, s[0:3], 0 offset:532
	;; [unrolled: 1-line block ×3, first 2 shown]
	s_waitcnt vmcnt(58) lgkmcnt(0)
	v_mul_f64 v[30:31], v[2:3], v[34:35]
	v_mul_f64 v[34:35], v[4:5], v[34:35]
	s_waitcnt vmcnt(56)
	v_fma_f64 v[32:33], v[10:11], v[38:39], -v[32:33]
	ds_read_b128 v[6:9], v1 offset:896
	v_add_f64 v[18:19], v[18:19], v[24:25]
	v_fma_f64 v[24:25], v[12:13], v[38:39], v[164:165]
	v_add_f64 v[14:15], v[14:15], v[22:23]
	s_clause 0x4
	buffer_load_dword v23, off, s[0:3], 0 offset:572
	buffer_load_dword v38, off, s[0:3], 0 offset:584
	;; [unrolled: 1-line block ×5, first 2 shown]
	ds_read_b128 v[10:13], v1 offset:912
	s_waitcnt vmcnt(57) lgkmcnt(1)
	v_mul_f64 v[159:160], v[6:7], v[40:41]
	v_mul_f64 v[40:41], v[8:9], v[40:41]
	s_waitcnt vmcnt(56)
	v_fma_f64 v[34:35], v[2:3], v[36:37], -v[34:35]
	v_fma_f64 v[30:31], v[4:5], v[36:37], v[30:31]
	v_add_f64 v[18:19], v[18:19], v[32:33]
	v_add_f64 v[14:15], v[14:15], v[24:25]
	s_clause 0x2
	buffer_load_dword v39, off, s[0:3], 0 offset:588
	buffer_load_dword v25, off, s[0:3], 0 offset:564
	buffer_load_dword v24, off, s[0:3], 0 offset:560
	s_waitcnt vmcnt(58) lgkmcnt(0)
	v_mul_f64 v[36:37], v[12:13], v[42:43]
	ds_read_b128 v[2:5], v1 offset:928
	s_waitcnt vmcnt(56)
	v_fma_f64 v[40:41], v[6:7], v[46:47], -v[40:41]
	v_mul_f64 v[32:33], v[10:11], v[42:43]
	v_add_f64 v[18:19], v[18:19], v[34:35]
	v_fma_f64 v[34:35], v[8:9], v[46:47], v[159:160]
	v_add_f64 v[14:15], v[14:15], v[30:31]
	buffer_load_dword v159, off, s[0:3], 0 offset:580
	ds_read_b128 v[6:9], v1 offset:944
	s_waitcnt vmcnt(53) lgkmcnt(1)
	v_mul_f64 v[42:43], v[4:5], v[121:122]
	s_waitcnt vmcnt(52)
	v_fma_f64 v[36:37], v[10:11], v[44:45], -v[36:37]
	v_mul_f64 v[30:31], v[2:3], v[121:122]
	v_fma_f64 v[32:33], v[12:13], v[44:45], v[32:33]
	ds_read_b128 v[10:13], v1 offset:960
	v_add_f64 v[18:19], v[18:19], v[40:41]
	v_add_f64 v[14:15], v[14:15], v[34:35]
	s_waitcnt vmcnt(51) lgkmcnt(1)
	v_mul_f64 v[40:41], v[8:9], v[124:125]
	v_mul_f64 v[34:35], v[6:7], v[124:125]
	s_waitcnt vmcnt(49)
	v_fma_f64 v[42:43], v[2:3], v[128:129], -v[42:43]
	v_fma_f64 v[30:31], v[4:5], v[128:129], v[30:31]
	s_waitcnt vmcnt(45) lgkmcnt(0)
	v_mul_f64 v[46:47], v[12:13], v[130:131]
	v_mul_f64 v[44:45], v[10:11], v[130:131]
	v_add_f64 v[18:19], v[18:19], v[36:37]
	v_add_f64 v[14:15], v[14:15], v[32:33]
	s_clause 0x3
	buffer_load_dword v32, off, s[0:3], 0 offset:208
	buffer_load_dword v33, off, s[0:3], 0 offset:212
	;; [unrolled: 1-line block ×4, first 2 shown]
	s_waitcnt vmcnt(48)
	v_fma_f64 v[40:41], v[6:7], v[126:127], -v[40:41]
	ds_read_b128 v[2:5], v1 offset:976
	v_fma_f64 v[34:35], v[8:9], v[126:127], v[34:35]
	ds_read_b128 v[6:9], v1 offset:992
	s_waitcnt vmcnt(45)
	v_fma_f64 v[46:47], v[10:11], v[136:137], -v[46:47]
	v_add_f64 v[18:19], v[18:19], v[42:43]
	v_add_f64 v[14:15], v[14:15], v[30:31]
	s_waitcnt lgkmcnt(1)
	v_mul_f64 v[42:43], v[4:5], v[132:133]
	v_mul_f64 v[30:31], v[2:3], v[132:133]
	v_add_f64 v[18:19], v[18:19], v[40:41]
	v_fma_f64 v[40:41], v[12:13], v[136:137], v[44:45]
	v_add_f64 v[14:15], v[14:15], v[34:35]
	s_waitcnt vmcnt(41) lgkmcnt(0)
	v_mul_f64 v[44:45], v[8:9], v[138:139]
	s_waitcnt vmcnt(40)
	v_fma_f64 v[42:43], v[2:3], v[134:135], -v[42:43]
	ds_read_b128 v[10:13], v1 offset:1008
	v_mul_f64 v[34:35], v[6:7], v[138:139]
	v_fma_f64 v[30:31], v[4:5], v[134:135], v[30:31]
	ds_read_b128 v[2:5], v1 offset:1024
	v_add_f64 v[18:19], v[18:19], v[46:47]
	v_add_f64 v[14:15], v[14:15], v[40:41]
	s_waitcnt vmcnt(39) lgkmcnt(1)
	v_mul_f64 v[46:47], v[12:13], v[140:141]
	s_waitcnt vmcnt(37)
	v_fma_f64 v[44:45], v[6:7], v[144:145], -v[44:45]
	v_mul_f64 v[40:41], v[10:11], v[140:141]
	v_fma_f64 v[34:35], v[8:9], v[144:145], v[34:35]
	ds_read_b128 v[6:9], v1 offset:1040
	v_add_f64 v[18:19], v[18:19], v[42:43]
	s_waitcnt vmcnt(33) lgkmcnt(1)
	v_mul_f64 v[42:43], v[4:5], v[150:151]
	v_add_f64 v[14:15], v[14:15], v[30:31]
	s_waitcnt vmcnt(32)
	v_fma_f64 v[46:47], v[10:11], v[142:143], -v[46:47]
	v_mul_f64 v[30:31], v[2:3], v[150:151]
	v_fma_f64 v[40:41], v[12:13], v[142:143], v[40:41]
	ds_read_b128 v[10:13], v1 offset:1056
	v_add_f64 v[18:19], v[18:19], v[44:45]
	v_add_f64 v[14:15], v[14:15], v[34:35]
	s_waitcnt vmcnt(31) lgkmcnt(1)
	v_mul_f64 v[44:45], v[8:9], v[152:153]
	v_mul_f64 v[34:35], v[6:7], v[152:153]
	s_waitcnt vmcnt(29)
	v_fma_f64 v[42:43], v[2:3], v[148:149], -v[42:43]
	v_fma_f64 v[30:31], v[4:5], v[148:149], v[30:31]
	ds_read_b128 v[2:5], v1 offset:1072
	v_add_f64 v[18:19], v[18:19], v[46:47]
	v_add_f64 v[14:15], v[14:15], v[40:41]
	s_waitcnt vmcnt(25) lgkmcnt(1)
	v_mul_f64 v[40:41], v[10:11], v[20:21]
	v_mul_f64 v[20:21], v[12:13], v[20:21]
	s_waitcnt vmcnt(24)
	v_fma_f64 v[44:45], v[6:7], v[154:155], -v[44:45]
	;; [unrolled: 9-line block ×4, first 2 shown]
	v_add_f64 v[18:19], v[18:19], v[20:21]
	v_fma_f64 v[20:21], v[4:5], v[161:162], v[30:31]
	v_add_f64 v[14:15], v[14:15], v[16:17]
	ds_read_b128 v[2:5], v1 offset:1120
	s_waitcnt vmcnt(15) lgkmcnt(1)
	v_mul_f64 v[30:31], v[12:13], v[146:147]
	v_mul_f64 v[16:17], v[10:11], v[146:147]
	s_waitcnt vmcnt(13)
	v_fma_f64 v[28:29], v[6:7], v[26:27], -v[28:29]
	v_fma_f64 v[26:27], v[8:9], v[26:27], v[34:35]
	ds_read_b128 v[6:9], v1 offset:1136
	v_add_f64 v[18:19], v[18:19], v[40:41]
	v_add_f64 v[14:15], v[14:15], v[20:21]
	s_waitcnt vmcnt(9) lgkmcnt(1)
	v_mul_f64 v[20:21], v[2:3], v[22:23]
	v_mul_f64 v[22:23], v[4:5], v[22:23]
	s_waitcnt vmcnt(8)
	v_fma_f64 v[10:11], v[10:11], v[163:164], -v[30:31]
	v_fma_f64 v[12:13], v[12:13], v[163:164], v[16:17]
	v_add_f64 v[18:19], v[18:19], v[28:29]
	v_add_f64 v[14:15], v[14:15], v[26:27]
	s_waitcnt vmcnt(7) lgkmcnt(0)
	v_mul_f64 v[26:27], v[8:9], v[38:39]
	v_mul_f64 v[16:17], v[6:7], v[38:39]
	s_waitcnt vmcnt(5)
	v_fma_f64 v[2:3], v[2:3], v[24:25], -v[22:23]
	v_fma_f64 v[4:5], v[4:5], v[24:25], v[20:21]
	v_add_f64 v[10:11], v[18:19], v[10:11]
	v_add_f64 v[12:13], v[14:15], v[12:13]
	s_waitcnt vmcnt(4)
	v_fma_f64 v[6:7], v[6:7], v[158:159], -v[26:27]
	v_fma_f64 v[8:9], v[8:9], v[158:159], v[16:17]
	v_add_f64 v[2:3], v[10:11], v[2:3]
	v_add_f64 v[4:5], v[12:13], v[4:5]
	;; [unrolled: 1-line block ×4, first 2 shown]
	s_waitcnt vmcnt(2)
	v_add_f64 v[2:3], v[32:33], -v[2:3]
	s_waitcnt vmcnt(0)
	v_add_f64 v[4:5], v[36:37], -v[4:5]
	buffer_store_dword v3, off, s[0:3], 0 offset:212
	buffer_store_dword v2, off, s[0:3], 0 offset:208
	;; [unrolled: 1-line block ×4, first 2 shown]
	v_cmpx_lt_u32_e32 11, v0
	s_cbranch_execz .LBB35_207
; %bb.206:
	v_mov_b32_e32 v5, s37
	s_clause 0x3
	buffer_load_dword v2, v5, s[0:3], 0 offen
	buffer_load_dword v3, v5, s[0:3], 0 offen offset:4
	buffer_load_dword v4, v5, s[0:3], 0 offen offset:8
	buffer_load_dword v5, v5, s[0:3], 0 offen offset:12
	buffer_store_dword v1, off, s[0:3], 0 offset:192
	buffer_store_dword v1, off, s[0:3], 0 offset:196
	;; [unrolled: 1-line block ×4, first 2 shown]
	s_waitcnt vmcnt(0)
	ds_write_b128 v123, v[2:5]
.LBB35_207:
	s_or_b32 exec_lo, exec_lo, s4
	s_waitcnt lgkmcnt(0)
	s_waitcnt_vscnt null, 0x0
	s_barrier
	buffer_gl0_inv
	s_clause 0x37
	buffer_load_dword v10, off, s[0:3], 0 offset:216
	buffer_load_dword v11, off, s[0:3], 0 offset:220
	buffer_load_dword v14, off, s[0:3], 0 offset:232
	buffer_load_dword v15, off, s[0:3], 0 offset:236
	buffer_load_dword v16, off, s[0:3], 0 offset:208
	buffer_load_dword v17, off, s[0:3], 0 offset:212
	buffer_load_dword v18, off, s[0:3], 0 offset:248
	buffer_load_dword v19, off, s[0:3], 0 offset:252
	buffer_load_dword v20, off, s[0:3], 0 offset:224
	buffer_load_dword v21, off, s[0:3], 0 offset:228
	buffer_load_dword v23, off, s[0:3], 0 offset:268
	buffer_load_dword v24, off, s[0:3], 0 offset:280
	buffer_load_dword v26, off, s[0:3], 0 offset:272
	buffer_load_dword v22, off, s[0:3], 0 offset:264
	buffer_load_dword v28, off, s[0:3], 0 offset:240
	buffer_load_dword v29, off, s[0:3], 0 offset:244
	buffer_load_dword v25, off, s[0:3], 0 offset:284
	buffer_load_dword v31, off, s[0:3], 0 offset:260
	buffer_load_dword v30, off, s[0:3], 0 offset:256
	buffer_load_dword v33, off, s[0:3], 0 offset:300
	buffer_load_dword v34, off, s[0:3], 0 offset:312
	buffer_load_dword v36, off, s[0:3], 0 offset:304
	buffer_load_dword v32, off, s[0:3], 0 offset:296
	buffer_load_dword v27, off, s[0:3], 0 offset:276
	buffer_load_dword v35, off, s[0:3], 0 offset:316
	buffer_load_dword v39, off, s[0:3], 0 offset:292
	buffer_load_dword v38, off, s[0:3], 0 offset:288
	buffer_load_dword v41, off, s[0:3], 0 offset:332
	buffer_load_dword v42, off, s[0:3], 0 offset:344
	buffer_load_dword v44, off, s[0:3], 0 offset:336
	buffer_load_dword v40, off, s[0:3], 0 offset:328
	buffer_load_dword v37, off, s[0:3], 0 offset:308
	buffer_load_dword v43, off, s[0:3], 0 offset:348
	buffer_load_dword v47, off, s[0:3], 0 offset:324
	buffer_load_dword v46, off, s[0:3], 0 offset:320
	buffer_load_dword v122, off, s[0:3], 0 offset:364
	buffer_load_dword v124, off, s[0:3], 0 offset:376
	buffer_load_dword v126, off, s[0:3], 0 offset:368
	buffer_load_dword v121, off, s[0:3], 0 offset:360
	buffer_load_dword v45, off, s[0:3], 0 offset:340
	buffer_load_dword v125, off, s[0:3], 0 offset:380
	buffer_load_dword v129, off, s[0:3], 0 offset:356
	buffer_load_dword v128, off, s[0:3], 0 offset:352
	buffer_load_dword v131, off, s[0:3], 0 offset:396
	buffer_load_dword v132, off, s[0:3], 0 offset:408
	buffer_load_dword v134, off, s[0:3], 0 offset:400
	buffer_load_dword v130, off, s[0:3], 0 offset:392
	buffer_load_dword v127, off, s[0:3], 0 offset:372
	buffer_load_dword v133, off, s[0:3], 0 offset:412
	buffer_load_dword v137, off, s[0:3], 0 offset:388
	buffer_load_dword v136, off, s[0:3], 0 offset:384
	buffer_load_dword v139, off, s[0:3], 0 offset:428
	buffer_load_dword v140, off, s[0:3], 0 offset:440
	buffer_load_dword v142, off, s[0:3], 0 offset:432
	buffer_load_dword v138, off, s[0:3], 0 offset:424
	buffer_load_dword v135, off, s[0:3], 0 offset:404
	ds_read_b128 v[2:5], v1 offset:768
	s_clause 0x2
	buffer_load_dword v141, off, s[0:3], 0 offset:444
	buffer_load_dword v145, off, s[0:3], 0 offset:420
	;; [unrolled: 1-line block ×3, first 2 shown]
	ds_read_b128 v[6:9], v1 offset:784
	s_clause 0x4
	buffer_load_dword v151, off, s[0:3], 0 offset:460
	buffer_load_dword v152, off, s[0:3], 0 offset:472
	;; [unrolled: 1-line block ×5, first 2 shown]
	s_mov_b32 s4, exec_lo
	s_waitcnt vmcnt(62) lgkmcnt(1)
	v_mul_f64 v[146:147], v[4:5], v[10:11]
	v_mul_f64 v[148:149], v[2:3], v[10:11]
	s_waitcnt vmcnt(60) lgkmcnt(0)
	v_mul_f64 v[155:156], v[8:9], v[14:15]
	ds_read_b128 v[10:13], v1 offset:800
	v_mul_f64 v[14:15], v[6:7], v[14:15]
	s_waitcnt vmcnt(58)
	v_fma_f64 v[146:147], v[2:3], v[16:17], -v[146:147]
	v_fma_f64 v[16:17], v[4:5], v[16:17], v[148:149]
	s_clause 0x2
	buffer_load_dword v153, off, s[0:3], 0 offset:476
	buffer_load_dword v149, off, s[0:3], 0 offset:452
	;; [unrolled: 1-line block ×3, first 2 shown]
	s_waitcnt vmcnt(59) lgkmcnt(0)
	v_mul_f64 v[157:158], v[10:11], v[18:19]
	v_mul_f64 v[18:19], v[12:13], v[18:19]
	s_waitcnt vmcnt(57)
	v_fma_f64 v[159:160], v[6:7], v[20:21], -v[155:156]
	ds_read_b128 v[2:5], v1 offset:816
	v_fma_f64 v[14:15], v[8:9], v[20:21], v[14:15]
	s_clause 0x4
	buffer_load_dword v21, off, s[0:3], 0 offset:492
	buffer_load_dword v156, off, s[0:3], 0 offset:504
	;; [unrolled: 1-line block ×5, first 2 shown]
	ds_read_b128 v[6:9], v1 offset:832
	v_add_f64 v[146:147], v[146:147], 0
	v_add_f64 v[16:17], v[16:17], 0
	s_waitcnt vmcnt(58) lgkmcnt(1)
	v_mul_f64 v[162:163], v[2:3], v[22:23]
	v_mul_f64 v[22:23], v[4:5], v[22:23]
	s_waitcnt vmcnt(56)
	v_fma_f64 v[18:19], v[10:11], v[28:29], -v[18:19]
	v_fma_f64 v[28:29], v[12:13], v[28:29], v[157:158]
	v_add_f64 v[146:147], v[146:147], v[159:160]
	v_add_f64 v[14:15], v[16:17], v[14:15]
	s_clause 0x2
	buffer_load_dword v157, off, s[0:3], 0 offset:508
	buffer_load_dword v17, off, s[0:3], 0 offset:484
	;; [unrolled: 1-line block ×3, first 2 shown]
	s_waitcnt vmcnt(58) lgkmcnt(0)
	v_mul_f64 v[158:159], v[6:7], v[24:25]
	v_mul_f64 v[24:25], v[8:9], v[24:25]
	s_waitcnt vmcnt(56)
	v_fma_f64 v[22:23], v[2:3], v[30:31], -v[22:23]
	ds_read_b128 v[10:13], v1 offset:848
	v_fma_f64 v[30:31], v[4:5], v[30:31], v[162:163]
	v_add_f64 v[18:19], v[146:147], v[18:19]
	v_add_f64 v[14:15], v[14:15], v[28:29]
	s_clause 0x4
	buffer_load_dword v29, off, s[0:3], 0 offset:524
	buffer_load_dword v146, off, s[0:3], 0 offset:536
	;; [unrolled: 1-line block ×5, first 2 shown]
	ds_read_b128 v[2:5], v1 offset:864
	s_waitcnt vmcnt(57) lgkmcnt(1)
	v_mul_f64 v[164:165], v[10:11], v[32:33]
	v_mul_f64 v[32:33], v[12:13], v[32:33]
	s_waitcnt vmcnt(56)
	v_fma_f64 v[24:25], v[6:7], v[26:27], -v[24:25]
	v_add_f64 v[18:19], v[18:19], v[22:23]
	v_fma_f64 v[22:23], v[8:9], v[26:27], v[158:159]
	v_add_f64 v[14:15], v[14:15], v[30:31]
	s_clause 0x2
	buffer_load_dword v147, off, s[0:3], 0 offset:540
	buffer_load_dword v27, off, s[0:3], 0 offset:516
	;; [unrolled: 1-line block ×3, first 2 shown]
	s_waitcnt vmcnt(58) lgkmcnt(0)
	v_mul_f64 v[30:31], v[2:3], v[34:35]
	v_mul_f64 v[34:35], v[4:5], v[34:35]
	s_waitcnt vmcnt(56)
	v_fma_f64 v[32:33], v[10:11], v[38:39], -v[32:33]
	ds_read_b128 v[6:9], v1 offset:880
	v_add_f64 v[18:19], v[18:19], v[24:25]
	v_fma_f64 v[24:25], v[12:13], v[38:39], v[164:165]
	v_add_f64 v[14:15], v[14:15], v[22:23]
	s_clause 0x4
	buffer_load_dword v23, off, s[0:3], 0 offset:556
	buffer_load_dword v38, off, s[0:3], 0 offset:568
	;; [unrolled: 1-line block ×5, first 2 shown]
	ds_read_b128 v[10:13], v1 offset:896
	s_waitcnt vmcnt(57) lgkmcnt(1)
	v_mul_f64 v[159:160], v[6:7], v[40:41]
	v_mul_f64 v[40:41], v[8:9], v[40:41]
	s_waitcnt vmcnt(56)
	v_fma_f64 v[34:35], v[2:3], v[36:37], -v[34:35]
	v_fma_f64 v[30:31], v[4:5], v[36:37], v[30:31]
	v_add_f64 v[18:19], v[18:19], v[32:33]
	v_add_f64 v[14:15], v[14:15], v[24:25]
	s_clause 0x2
	buffer_load_dword v39, off, s[0:3], 0 offset:572
	buffer_load_dword v25, off, s[0:3], 0 offset:548
	;; [unrolled: 1-line block ×3, first 2 shown]
	s_waitcnt vmcnt(58) lgkmcnt(0)
	v_mul_f64 v[36:37], v[12:13], v[42:43]
	ds_read_b128 v[2:5], v1 offset:912
	s_waitcnt vmcnt(56)
	v_fma_f64 v[40:41], v[6:7], v[46:47], -v[40:41]
	v_mul_f64 v[32:33], v[10:11], v[42:43]
	v_add_f64 v[18:19], v[18:19], v[34:35]
	v_fma_f64 v[34:35], v[8:9], v[46:47], v[159:160]
	v_add_f64 v[14:15], v[14:15], v[30:31]
	s_clause 0x2
	buffer_load_dword v31, off, s[0:3], 0 offset:588
	buffer_load_dword v30, off, s[0:3], 0 offset:584
	;; [unrolled: 1-line block ×3, first 2 shown]
	s_waitcnt vmcnt(55) lgkmcnt(0)
	v_mul_f64 v[46:47], v[4:5], v[121:122]
	s_waitcnt vmcnt(54)
	v_fma_f64 v[36:37], v[10:11], v[44:45], -v[36:37]
	ds_read_b128 v[6:9], v1 offset:928
	v_mul_f64 v[42:43], v[2:3], v[121:122]
	v_fma_f64 v[32:33], v[12:13], v[44:45], v[32:33]
	v_add_f64 v[18:19], v[18:19], v[40:41]
	v_add_f64 v[14:15], v[14:15], v[34:35]
	s_clause 0x1
	buffer_load_dword v35, off, s[0:3], 0 offset:580
	buffer_load_dword v34, off, s[0:3], 0 offset:576
	s_waitcnt vmcnt(55) lgkmcnt(0)
	v_mul_f64 v[44:45], v[8:9], v[124:125]
	s_waitcnt vmcnt(53)
	v_fma_f64 v[46:47], v[2:3], v[128:129], -v[46:47]
	ds_read_b128 v[10:13], v1 offset:944
	v_mul_f64 v[40:41], v[6:7], v[124:125]
	v_add_f64 v[18:19], v[18:19], v[36:37]
	v_fma_f64 v[36:37], v[4:5], v[128:129], v[42:43]
	v_add_f64 v[14:15], v[14:15], v[32:33]
	ds_read_b128 v[2:5], v1 offset:960
	s_waitcnt vmcnt(49) lgkmcnt(1)
	v_mul_f64 v[42:43], v[12:13], v[130:131]
	s_waitcnt vmcnt(48)
	v_fma_f64 v[44:45], v[6:7], v[126:127], -v[44:45]
	v_mul_f64 v[32:33], v[10:11], v[130:131]
	v_fma_f64 v[40:41], v[8:9], v[126:127], v[40:41]
	v_add_f64 v[18:19], v[18:19], v[46:47]
	s_waitcnt vmcnt(47) lgkmcnt(0)
	v_mul_f64 v[124:125], v[4:5], v[132:133]
	v_add_f64 v[14:15], v[14:15], v[36:37]
	s_clause 0x3
	buffer_load_dword v36, off, s[0:3], 0 offset:192
	buffer_load_dword v37, off, s[0:3], 0 offset:196
	;; [unrolled: 1-line block ×4, first 2 shown]
	s_waitcnt vmcnt(49)
	v_fma_f64 v[42:43], v[10:11], v[136:137], -v[42:43]
	ds_read_b128 v[6:9], v1 offset:976
	v_mul_f64 v[121:122], v[2:3], v[132:133]
	v_fma_f64 v[32:33], v[12:13], v[136:137], v[32:33]
	ds_read_b128 v[10:13], v1 offset:992
	v_add_f64 v[18:19], v[18:19], v[44:45]
	s_waitcnt vmcnt(44)
	v_fma_f64 v[124:125], v[2:3], v[134:135], -v[124:125]
	v_add_f64 v[14:15], v[14:15], v[40:41]
	s_waitcnt lgkmcnt(1)
	v_mul_f64 v[44:45], v[8:9], v[138:139]
	v_mul_f64 v[40:41], v[6:7], v[138:139]
	v_add_f64 v[18:19], v[18:19], v[42:43]
	v_fma_f64 v[42:43], v[4:5], v[134:135], v[121:122]
	v_add_f64 v[14:15], v[14:15], v[32:33]
	s_waitcnt vmcnt(43) lgkmcnt(0)
	v_mul_f64 v[121:122], v[12:13], v[140:141]
	s_waitcnt vmcnt(41)
	v_fma_f64 v[44:45], v[6:7], v[144:145], -v[44:45]
	ds_read_b128 v[2:5], v1 offset:1008
	v_mul_f64 v[32:33], v[10:11], v[140:141]
	v_fma_f64 v[40:41], v[8:9], v[144:145], v[40:41]
	ds_read_b128 v[6:9], v1 offset:1024
	v_add_f64 v[18:19], v[18:19], v[124:125]
	v_add_f64 v[14:15], v[14:15], v[42:43]
	s_waitcnt vmcnt(37) lgkmcnt(1)
	v_mul_f64 v[124:125], v[4:5], v[150:151]
	s_waitcnt vmcnt(36)
	v_fma_f64 v[121:122], v[10:11], v[142:143], -v[121:122]
	v_mul_f64 v[42:43], v[2:3], v[150:151]
	v_fma_f64 v[32:33], v[12:13], v[142:143], v[32:33]
	ds_read_b128 v[10:13], v1 offset:1040
	v_add_f64 v[18:19], v[18:19], v[44:45]
	v_add_f64 v[14:15], v[14:15], v[40:41]
	s_waitcnt vmcnt(35) lgkmcnt(1)
	v_mul_f64 v[44:45], v[8:9], v[152:153]
	v_mul_f64 v[40:41], v[6:7], v[152:153]
	s_waitcnt vmcnt(33)
	v_fma_f64 v[124:125], v[2:3], v[148:149], -v[124:125]
	v_fma_f64 v[42:43], v[4:5], v[148:149], v[42:43]
	ds_read_b128 v[2:5], v1 offset:1056
	v_add_f64 v[18:19], v[18:19], v[121:122]
	v_add_f64 v[14:15], v[14:15], v[32:33]
	s_waitcnt vmcnt(29) lgkmcnt(1)
	v_mul_f64 v[32:33], v[10:11], v[20:21]
	v_mul_f64 v[20:21], v[12:13], v[20:21]
	s_waitcnt vmcnt(28)
	v_fma_f64 v[44:45], v[6:7], v[154:155], -v[44:45]
	v_fma_f64 v[40:41], v[8:9], v[154:155], v[40:41]
	ds_read_b128 v[6:9], v1 offset:1072
	v_add_f64 v[18:19], v[18:19], v[124:125]
	v_add_f64 v[14:15], v[14:15], v[42:43]
	s_waitcnt vmcnt(27) lgkmcnt(1)
	v_mul_f64 v[121:122], v[4:5], v[156:157]
	v_mul_f64 v[42:43], v[2:3], v[156:157]
	s_waitcnt vmcnt(25)
	v_fma_f64 v[20:21], v[10:11], v[16:17], -v[20:21]
	v_fma_f64 v[16:17], v[12:13], v[16:17], v[32:33]
	ds_read_b128 v[10:13], v1 offset:1088
	v_add_f64 v[18:19], v[18:19], v[44:45]
	v_add_f64 v[14:15], v[14:15], v[40:41]
	s_waitcnt vmcnt(21) lgkmcnt(1)
	v_mul_f64 v[32:33], v[6:7], v[28:29]
	v_mul_f64 v[28:29], v[8:9], v[28:29]
	s_waitcnt vmcnt(20)
	v_fma_f64 v[40:41], v[2:3], v[161:162], -v[121:122]
	v_add_f64 v[18:19], v[18:19], v[20:21]
	v_fma_f64 v[20:21], v[4:5], v[161:162], v[42:43]
	v_add_f64 v[14:15], v[14:15], v[16:17]
	ds_read_b128 v[2:5], v1 offset:1104
	s_waitcnt vmcnt(19) lgkmcnt(1)
	v_mul_f64 v[42:43], v[12:13], v[146:147]
	v_mul_f64 v[16:17], v[10:11], v[146:147]
	s_waitcnt vmcnt(17)
	v_fma_f64 v[28:29], v[6:7], v[26:27], -v[28:29]
	v_fma_f64 v[26:27], v[8:9], v[26:27], v[32:33]
	ds_read_b128 v[6:9], v1 offset:1120
	v_add_f64 v[18:19], v[18:19], v[40:41]
	v_add_f64 v[14:15], v[14:15], v[20:21]
	s_waitcnt vmcnt(13) lgkmcnt(1)
	v_mul_f64 v[20:21], v[2:3], v[22:23]
	v_mul_f64 v[22:23], v[4:5], v[22:23]
	s_waitcnt vmcnt(12)
	v_fma_f64 v[32:33], v[10:11], v[163:164], -v[42:43]
	v_fma_f64 v[16:17], v[12:13], v[163:164], v[16:17]
	ds_read_b128 v[10:13], v1 offset:1136
	v_add_f64 v[18:19], v[18:19], v[28:29]
	v_add_f64 v[14:15], v[14:15], v[26:27]
	s_waitcnt vmcnt(11) lgkmcnt(1)
	v_mul_f64 v[28:29], v[8:9], v[38:39]
	v_mul_f64 v[26:27], v[6:7], v[38:39]
	s_waitcnt vmcnt(9)
	v_fma_f64 v[1:2], v[2:3], v[24:25], -v[22:23]
	v_fma_f64 v[3:4], v[4:5], v[24:25], v[20:21]
	v_add_f64 v[18:19], v[18:19], v[32:33]
	v_add_f64 v[14:15], v[14:15], v[16:17]
	s_waitcnt vmcnt(7) lgkmcnt(0)
	v_mul_f64 v[20:21], v[12:13], v[30:31]
	s_waitcnt vmcnt(6)
	v_fma_f64 v[5:6], v[6:7], v[158:159], -v[28:29]
	v_mul_f64 v[16:17], v[10:11], v[30:31]
	v_fma_f64 v[7:8], v[8:9], v[158:159], v[26:27]
	v_add_f64 v[1:2], v[18:19], v[1:2]
	v_add_f64 v[3:4], v[14:15], v[3:4]
	s_waitcnt vmcnt(4)
	v_fma_f64 v[9:10], v[10:11], v[34:35], -v[20:21]
	v_add_f64 v[1:2], v[1:2], v[5:6]
	v_fma_f64 v[5:6], v[12:13], v[34:35], v[16:17]
	v_add_f64 v[3:4], v[3:4], v[7:8]
	v_add_f64 v[1:2], v[1:2], v[9:10]
	;; [unrolled: 1-line block ×3, first 2 shown]
	s_waitcnt vmcnt(2)
	v_add_f64 v[1:2], v[36:37], -v[1:2]
	s_waitcnt vmcnt(0)
	v_add_f64 v[3:4], v[46:47], -v[3:4]
	buffer_store_dword v2, off, s[0:3], 0 offset:196
	buffer_store_dword v1, off, s[0:3], 0 offset:192
	;; [unrolled: 1-line block ×4, first 2 shown]
	v_cmpx_lt_u32_e32 10, v0
	s_cbranch_execz .LBB35_209
; %bb.208:
	v_mov_b32_e32 v4, s38
	v_mov_b32_e32 v5, 0
	s_clause 0x3
	buffer_load_dword v1, v4, s[0:3], 0 offen
	buffer_load_dword v2, v4, s[0:3], 0 offen offset:4
	buffer_load_dword v3, v4, s[0:3], 0 offen offset:8
	;; [unrolled: 1-line block ×3, first 2 shown]
	buffer_store_dword v5, off, s[0:3], 0 offset:176
	buffer_store_dword v5, off, s[0:3], 0 offset:180
	;; [unrolled: 1-line block ×4, first 2 shown]
	s_waitcnt vmcnt(0)
	ds_write_b128 v123, v[1:4]
.LBB35_209:
	s_or_b32 exec_lo, exec_lo, s4
	s_waitcnt lgkmcnt(0)
	s_waitcnt_vscnt null, 0x0
	s_barrier
	buffer_gl0_inv
	s_clause 0x37
	buffer_load_dword v10, off, s[0:3], 0 offset:200
	buffer_load_dword v11, off, s[0:3], 0 offset:204
	;; [unrolled: 1-line block ×56, first 2 shown]
	v_mov_b32_e32 v1, 0
	s_mov_b32 s4, exec_lo
	ds_read_b128 v[2:5], v1 offset:752
	s_clause 0x2
	buffer_load_dword v141, off, s[0:3], 0 offset:428
	buffer_load_dword v145, off, s[0:3], 0 offset:404
	;; [unrolled: 1-line block ×3, first 2 shown]
	ds_read_b128 v[6:9], v1 offset:768
	s_clause 0x4
	buffer_load_dword v151, off, s[0:3], 0 offset:444
	buffer_load_dword v152, off, s[0:3], 0 offset:456
	;; [unrolled: 1-line block ×5, first 2 shown]
	s_waitcnt vmcnt(62) lgkmcnt(1)
	v_mul_f64 v[146:147], v[4:5], v[10:11]
	v_mul_f64 v[148:149], v[2:3], v[10:11]
	s_waitcnt vmcnt(60) lgkmcnt(0)
	v_mul_f64 v[155:156], v[8:9], v[14:15]
	ds_read_b128 v[10:13], v1 offset:784
	v_mul_f64 v[14:15], v[6:7], v[14:15]
	s_waitcnt vmcnt(58)
	v_fma_f64 v[146:147], v[2:3], v[16:17], -v[146:147]
	v_fma_f64 v[16:17], v[4:5], v[16:17], v[148:149]
	s_clause 0x2
	buffer_load_dword v153, off, s[0:3], 0 offset:460
	buffer_load_dword v149, off, s[0:3], 0 offset:436
	;; [unrolled: 1-line block ×3, first 2 shown]
	s_waitcnt vmcnt(59) lgkmcnt(0)
	v_mul_f64 v[157:158], v[10:11], v[18:19]
	v_mul_f64 v[18:19], v[12:13], v[18:19]
	s_waitcnt vmcnt(57)
	v_fma_f64 v[159:160], v[6:7], v[20:21], -v[155:156]
	ds_read_b128 v[2:5], v1 offset:800
	v_fma_f64 v[14:15], v[8:9], v[20:21], v[14:15]
	s_clause 0x4
	buffer_load_dword v21, off, s[0:3], 0 offset:476
	buffer_load_dword v156, off, s[0:3], 0 offset:488
	;; [unrolled: 1-line block ×5, first 2 shown]
	ds_read_b128 v[6:9], v1 offset:816
	v_add_f64 v[146:147], v[146:147], 0
	v_add_f64 v[16:17], v[16:17], 0
	s_waitcnt vmcnt(58) lgkmcnt(1)
	v_mul_f64 v[162:163], v[2:3], v[22:23]
	v_mul_f64 v[22:23], v[4:5], v[22:23]
	s_waitcnt vmcnt(56)
	v_fma_f64 v[18:19], v[10:11], v[28:29], -v[18:19]
	v_fma_f64 v[28:29], v[12:13], v[28:29], v[157:158]
	v_add_f64 v[146:147], v[146:147], v[159:160]
	v_add_f64 v[14:15], v[16:17], v[14:15]
	s_clause 0x2
	buffer_load_dword v157, off, s[0:3], 0 offset:492
	buffer_load_dword v17, off, s[0:3], 0 offset:468
	;; [unrolled: 1-line block ×3, first 2 shown]
	s_waitcnt vmcnt(58) lgkmcnt(0)
	v_mul_f64 v[158:159], v[6:7], v[24:25]
	v_mul_f64 v[24:25], v[8:9], v[24:25]
	s_waitcnt vmcnt(56)
	v_fma_f64 v[22:23], v[2:3], v[30:31], -v[22:23]
	ds_read_b128 v[10:13], v1 offset:832
	v_fma_f64 v[30:31], v[4:5], v[30:31], v[162:163]
	v_add_f64 v[18:19], v[146:147], v[18:19]
	v_add_f64 v[14:15], v[14:15], v[28:29]
	s_clause 0x4
	buffer_load_dword v29, off, s[0:3], 0 offset:508
	buffer_load_dword v146, off, s[0:3], 0 offset:520
	;; [unrolled: 1-line block ×5, first 2 shown]
	ds_read_b128 v[2:5], v1 offset:848
	s_waitcnt vmcnt(57) lgkmcnt(1)
	v_mul_f64 v[164:165], v[10:11], v[32:33]
	v_mul_f64 v[32:33], v[12:13], v[32:33]
	s_waitcnt vmcnt(56)
	v_fma_f64 v[24:25], v[6:7], v[26:27], -v[24:25]
	v_add_f64 v[18:19], v[18:19], v[22:23]
	v_fma_f64 v[22:23], v[8:9], v[26:27], v[158:159]
	v_add_f64 v[14:15], v[14:15], v[30:31]
	s_clause 0x2
	buffer_load_dword v147, off, s[0:3], 0 offset:524
	buffer_load_dword v27, off, s[0:3], 0 offset:500
	;; [unrolled: 1-line block ×3, first 2 shown]
	s_waitcnt vmcnt(58) lgkmcnt(0)
	v_mul_f64 v[30:31], v[2:3], v[34:35]
	v_mul_f64 v[34:35], v[4:5], v[34:35]
	s_waitcnt vmcnt(56)
	v_fma_f64 v[32:33], v[10:11], v[38:39], -v[32:33]
	ds_read_b128 v[6:9], v1 offset:864
	v_add_f64 v[18:19], v[18:19], v[24:25]
	v_fma_f64 v[24:25], v[12:13], v[38:39], v[164:165]
	v_add_f64 v[14:15], v[14:15], v[22:23]
	s_clause 0x4
	buffer_load_dword v23, off, s[0:3], 0 offset:540
	buffer_load_dword v38, off, s[0:3], 0 offset:552
	;; [unrolled: 1-line block ×5, first 2 shown]
	ds_read_b128 v[10:13], v1 offset:880
	s_waitcnt vmcnt(57) lgkmcnt(1)
	v_mul_f64 v[159:160], v[6:7], v[40:41]
	v_mul_f64 v[40:41], v[8:9], v[40:41]
	s_waitcnt vmcnt(56)
	v_fma_f64 v[34:35], v[2:3], v[36:37], -v[34:35]
	v_fma_f64 v[30:31], v[4:5], v[36:37], v[30:31]
	v_add_f64 v[18:19], v[18:19], v[32:33]
	v_add_f64 v[14:15], v[14:15], v[24:25]
	s_clause 0x2
	buffer_load_dword v39, off, s[0:3], 0 offset:556
	buffer_load_dword v25, off, s[0:3], 0 offset:532
	;; [unrolled: 1-line block ×3, first 2 shown]
	s_waitcnt vmcnt(58) lgkmcnt(0)
	v_mul_f64 v[36:37], v[12:13], v[42:43]
	ds_read_b128 v[2:5], v1 offset:896
	s_waitcnt vmcnt(56)
	v_fma_f64 v[40:41], v[6:7], v[46:47], -v[40:41]
	v_mul_f64 v[32:33], v[10:11], v[42:43]
	v_add_f64 v[18:19], v[18:19], v[34:35]
	v_fma_f64 v[34:35], v[8:9], v[46:47], v[159:160]
	v_add_f64 v[14:15], v[14:15], v[30:31]
	s_clause 0x4
	buffer_load_dword v31, off, s[0:3], 0 offset:572
	buffer_load_dword v42, off, s[0:3], 0 offset:584
	;; [unrolled: 1-line block ×5, first 2 shown]
	s_waitcnt vmcnt(57) lgkmcnt(0)
	v_mul_f64 v[47:48], v[2:3], v[121:122]
	v_mul_f64 v[121:122], v[4:5], v[121:122]
	s_waitcnt vmcnt(56)
	v_fma_f64 v[36:37], v[10:11], v[44:45], -v[36:37]
	ds_read_b128 v[6:9], v1 offset:912
	v_fma_f64 v[32:33], v[12:13], v[44:45], v[32:33]
	v_add_f64 v[18:19], v[18:19], v[40:41]
	v_add_f64 v[14:15], v[14:15], v[34:35]
	s_clause 0x2
	buffer_load_dword v43, off, s[0:3], 0 offset:588
	buffer_load_dword v35, off, s[0:3], 0 offset:564
	;; [unrolled: 1-line block ×3, first 2 shown]
	ds_read_b128 v[10:13], v1 offset:928
	s_waitcnt vmcnt(58) lgkmcnt(1)
	v_mul_f64 v[44:45], v[8:9], v[124:125]
	s_waitcnt vmcnt(56)
	v_fma_f64 v[121:122], v[2:3], v[128:129], -v[121:122]
	v_mul_f64 v[40:41], v[6:7], v[124:125]
	v_add_f64 v[18:19], v[18:19], v[36:37]
	v_fma_f64 v[36:37], v[4:5], v[128:129], v[47:48]
	v_add_f64 v[14:15], v[14:15], v[32:33]
	buffer_load_dword v47, off, s[0:3], 0 offset:580
	ds_read_b128 v[2:5], v1 offset:944
	s_waitcnt vmcnt(53) lgkmcnt(1)
	v_mul_f64 v[124:125], v[12:13], v[130:131]
	s_waitcnt vmcnt(52)
	v_fma_f64 v[44:45], v[6:7], v[126:127], -v[44:45]
	v_mul_f64 v[32:33], v[10:11], v[130:131]
	v_fma_f64 v[40:41], v[8:9], v[126:127], v[40:41]
	ds_read_b128 v[6:9], v1 offset:960
	v_add_f64 v[18:19], v[18:19], v[121:122]
	v_add_f64 v[14:15], v[14:15], v[36:37]
	s_waitcnt vmcnt(51) lgkmcnt(1)
	v_mul_f64 v[121:122], v[4:5], v[132:133]
	v_mul_f64 v[36:37], v[2:3], v[132:133]
	s_waitcnt vmcnt(49)
	v_fma_f64 v[124:125], v[10:11], v[136:137], -v[124:125]
	v_fma_f64 v[32:33], v[12:13], v[136:137], v[32:33]
	s_waitcnt vmcnt(45) lgkmcnt(0)
	v_mul_f64 v[128:129], v[8:9], v[138:139]
	v_mul_f64 v[126:127], v[6:7], v[138:139]
	v_add_f64 v[18:19], v[18:19], v[44:45]
	v_add_f64 v[14:15], v[14:15], v[40:41]
	s_clause 0x3
	buffer_load_dword v40, off, s[0:3], 0 offset:176
	buffer_load_dword v41, off, s[0:3], 0 offset:180
	;; [unrolled: 1-line block ×4, first 2 shown]
	s_waitcnt vmcnt(48)
	v_fma_f64 v[121:122], v[2:3], v[134:135], -v[121:122]
	ds_read_b128 v[10:13], v1 offset:976
	v_fma_f64 v[36:37], v[4:5], v[134:135], v[36:37]
	ds_read_b128 v[2:5], v1 offset:992
	s_waitcnt vmcnt(45)
	v_fma_f64 v[128:129], v[6:7], v[144:145], -v[128:129]
	v_add_f64 v[18:19], v[18:19], v[124:125]
	v_add_f64 v[14:15], v[14:15], v[32:33]
	s_waitcnt lgkmcnt(1)
	v_mul_f64 v[124:125], v[12:13], v[140:141]
	v_mul_f64 v[32:33], v[10:11], v[140:141]
	v_add_f64 v[18:19], v[18:19], v[121:122]
	v_fma_f64 v[121:122], v[8:9], v[144:145], v[126:127]
	v_add_f64 v[14:15], v[14:15], v[36:37]
	s_waitcnt vmcnt(41) lgkmcnt(0)
	v_mul_f64 v[126:127], v[4:5], v[150:151]
	s_waitcnt vmcnt(40)
	v_fma_f64 v[124:125], v[10:11], v[142:143], -v[124:125]
	ds_read_b128 v[6:9], v1 offset:1008
	v_mul_f64 v[36:37], v[2:3], v[150:151]
	v_fma_f64 v[32:33], v[12:13], v[142:143], v[32:33]
	ds_read_b128 v[10:13], v1 offset:1024
	v_add_f64 v[18:19], v[18:19], v[128:129]
	v_add_f64 v[14:15], v[14:15], v[121:122]
	s_waitcnt vmcnt(39) lgkmcnt(1)
	v_mul_f64 v[128:129], v[8:9], v[152:153]
	v_mul_f64 v[121:122], v[6:7], v[152:153]
	s_waitcnt vmcnt(37)
	v_fma_f64 v[126:127], v[2:3], v[148:149], -v[126:127]
	v_fma_f64 v[36:37], v[4:5], v[148:149], v[36:37]
	ds_read_b128 v[2:5], v1 offset:1040
	v_add_f64 v[18:19], v[18:19], v[124:125]
	v_add_f64 v[14:15], v[14:15], v[32:33]
	s_waitcnt vmcnt(33) lgkmcnt(1)
	v_mul_f64 v[32:33], v[10:11], v[20:21]
	v_mul_f64 v[20:21], v[12:13], v[20:21]
	s_waitcnt vmcnt(32)
	v_fma_f64 v[124:125], v[6:7], v[154:155], -v[128:129]
	;; [unrolled: 9-line block ×4, first 2 shown]
	v_add_f64 v[18:19], v[18:19], v[20:21]
	v_fma_f64 v[20:21], v[4:5], v[161:162], v[36:37]
	v_add_f64 v[14:15], v[14:15], v[16:17]
	ds_read_b128 v[2:5], v1 offset:1088
	s_waitcnt vmcnt(23) lgkmcnt(1)
	v_mul_f64 v[36:37], v[12:13], v[146:147]
	v_mul_f64 v[16:17], v[10:11], v[146:147]
	s_waitcnt vmcnt(21)
	v_fma_f64 v[28:29], v[6:7], v[26:27], -v[28:29]
	v_fma_f64 v[26:27], v[8:9], v[26:27], v[32:33]
	ds_read_b128 v[6:9], v1 offset:1104
	v_add_f64 v[18:19], v[18:19], v[121:122]
	v_add_f64 v[14:15], v[14:15], v[20:21]
	s_waitcnt vmcnt(17) lgkmcnt(1)
	v_mul_f64 v[20:21], v[2:3], v[22:23]
	v_mul_f64 v[22:23], v[4:5], v[22:23]
	s_waitcnt vmcnt(16)
	v_fma_f64 v[32:33], v[10:11], v[163:164], -v[36:37]
	v_fma_f64 v[16:17], v[12:13], v[163:164], v[16:17]
	ds_read_b128 v[10:13], v1 offset:1120
	v_add_f64 v[18:19], v[18:19], v[28:29]
	v_add_f64 v[14:15], v[14:15], v[26:27]
	;; [unrolled: 9-line block ×3, first 2 shown]
	s_waitcnt vmcnt(9) lgkmcnt(1)
	v_mul_f64 v[24:25], v[12:13], v[30:31]
	s_waitcnt vmcnt(8)
	v_fma_f64 v[6:7], v[6:7], v[158:159], -v[28:29]
	v_mul_f64 v[16:17], v[10:11], v[30:31]
	v_fma_f64 v[8:9], v[8:9], v[158:159], v[26:27]
	v_add_f64 v[18:19], v[18:19], v[22:23]
	v_add_f64 v[14:15], v[14:15], v[20:21]
	s_waitcnt vmcnt(7) lgkmcnt(0)
	v_mul_f64 v[22:23], v[4:5], v[42:43]
	v_mul_f64 v[20:21], v[2:3], v[42:43]
	s_waitcnt vmcnt(5)
	v_fma_f64 v[10:11], v[10:11], v[34:35], -v[24:25]
	v_fma_f64 v[12:13], v[12:13], v[34:35], v[16:17]
	v_add_f64 v[6:7], v[18:19], v[6:7]
	v_add_f64 v[8:9], v[14:15], v[8:9]
	s_waitcnt vmcnt(4)
	v_fma_f64 v[2:3], v[2:3], v[46:47], -v[22:23]
	v_fma_f64 v[4:5], v[4:5], v[46:47], v[20:21]
	v_add_f64 v[6:7], v[6:7], v[10:11]
	v_add_f64 v[8:9], v[8:9], v[12:13]
	;; [unrolled: 1-line block ×4, first 2 shown]
	s_waitcnt vmcnt(2)
	v_add_f64 v[2:3], v[40:41], -v[2:3]
	s_waitcnt vmcnt(0)
	v_add_f64 v[4:5], v[44:45], -v[4:5]
	buffer_store_dword v3, off, s[0:3], 0 offset:180
	buffer_store_dword v2, off, s[0:3], 0 offset:176
	buffer_store_dword v5, off, s[0:3], 0 offset:188
	buffer_store_dword v4, off, s[0:3], 0 offset:184
	v_cmpx_lt_u32_e32 9, v0
	s_cbranch_execz .LBB35_211
; %bb.210:
	v_mov_b32_e32 v5, s39
	s_clause 0x3
	buffer_load_dword v2, v5, s[0:3], 0 offen
	buffer_load_dword v3, v5, s[0:3], 0 offen offset:4
	buffer_load_dword v4, v5, s[0:3], 0 offen offset:8
	;; [unrolled: 1-line block ×3, first 2 shown]
	buffer_store_dword v1, off, s[0:3], 0 offset:160
	buffer_store_dword v1, off, s[0:3], 0 offset:164
	;; [unrolled: 1-line block ×4, first 2 shown]
	s_waitcnt vmcnt(0)
	ds_write_b128 v123, v[2:5]
.LBB35_211:
	s_or_b32 exec_lo, exec_lo, s4
	s_waitcnt lgkmcnt(0)
	s_waitcnt_vscnt null, 0x0
	s_barrier
	buffer_gl0_inv
	s_clause 0x37
	buffer_load_dword v10, off, s[0:3], 0 offset:184
	buffer_load_dword v11, off, s[0:3], 0 offset:188
	;; [unrolled: 1-line block ×56, first 2 shown]
	ds_read_b128 v[2:5], v1 offset:736
	s_clause 0x2
	buffer_load_dword v141, off, s[0:3], 0 offset:412
	buffer_load_dword v145, off, s[0:3], 0 offset:388
	buffer_load_dword v144, off, s[0:3], 0 offset:384
	ds_read_b128 v[6:9], v1 offset:752
	s_clause 0x4
	buffer_load_dword v151, off, s[0:3], 0 offset:428
	buffer_load_dword v152, off, s[0:3], 0 offset:440
	;; [unrolled: 1-line block ×5, first 2 shown]
	s_mov_b32 s4, exec_lo
	s_waitcnt vmcnt(62) lgkmcnt(1)
	v_mul_f64 v[146:147], v[4:5], v[10:11]
	v_mul_f64 v[148:149], v[2:3], v[10:11]
	s_waitcnt vmcnt(60) lgkmcnt(0)
	v_mul_f64 v[155:156], v[8:9], v[14:15]
	ds_read_b128 v[10:13], v1 offset:768
	v_mul_f64 v[14:15], v[6:7], v[14:15]
	s_waitcnt vmcnt(58)
	v_fma_f64 v[146:147], v[2:3], v[16:17], -v[146:147]
	v_fma_f64 v[16:17], v[4:5], v[16:17], v[148:149]
	s_clause 0x2
	buffer_load_dword v153, off, s[0:3], 0 offset:444
	buffer_load_dword v149, off, s[0:3], 0 offset:420
	buffer_load_dword v148, off, s[0:3], 0 offset:416
	s_waitcnt vmcnt(59) lgkmcnt(0)
	v_mul_f64 v[157:158], v[10:11], v[18:19]
	v_mul_f64 v[18:19], v[12:13], v[18:19]
	s_waitcnt vmcnt(57)
	v_fma_f64 v[159:160], v[6:7], v[20:21], -v[155:156]
	ds_read_b128 v[2:5], v1 offset:784
	v_fma_f64 v[14:15], v[8:9], v[20:21], v[14:15]
	s_clause 0x4
	buffer_load_dword v21, off, s[0:3], 0 offset:460
	buffer_load_dword v156, off, s[0:3], 0 offset:472
	;; [unrolled: 1-line block ×5, first 2 shown]
	ds_read_b128 v[6:9], v1 offset:800
	v_add_f64 v[146:147], v[146:147], 0
	v_add_f64 v[16:17], v[16:17], 0
	s_waitcnt vmcnt(58) lgkmcnt(1)
	v_mul_f64 v[162:163], v[2:3], v[22:23]
	v_mul_f64 v[22:23], v[4:5], v[22:23]
	s_waitcnt vmcnt(56)
	v_fma_f64 v[18:19], v[10:11], v[28:29], -v[18:19]
	v_fma_f64 v[28:29], v[12:13], v[28:29], v[157:158]
	v_add_f64 v[146:147], v[146:147], v[159:160]
	v_add_f64 v[14:15], v[16:17], v[14:15]
	s_clause 0x2
	buffer_load_dword v157, off, s[0:3], 0 offset:476
	buffer_load_dword v17, off, s[0:3], 0 offset:452
	;; [unrolled: 1-line block ×3, first 2 shown]
	s_waitcnt vmcnt(58) lgkmcnt(0)
	v_mul_f64 v[158:159], v[6:7], v[24:25]
	v_mul_f64 v[24:25], v[8:9], v[24:25]
	s_waitcnt vmcnt(56)
	v_fma_f64 v[22:23], v[2:3], v[30:31], -v[22:23]
	ds_read_b128 v[10:13], v1 offset:816
	v_fma_f64 v[30:31], v[4:5], v[30:31], v[162:163]
	v_add_f64 v[18:19], v[146:147], v[18:19]
	v_add_f64 v[14:15], v[14:15], v[28:29]
	s_clause 0x4
	buffer_load_dword v29, off, s[0:3], 0 offset:492
	buffer_load_dword v146, off, s[0:3], 0 offset:504
	;; [unrolled: 1-line block ×5, first 2 shown]
	ds_read_b128 v[2:5], v1 offset:832
	s_waitcnt vmcnt(57) lgkmcnt(1)
	v_mul_f64 v[164:165], v[10:11], v[32:33]
	v_mul_f64 v[32:33], v[12:13], v[32:33]
	s_waitcnt vmcnt(56)
	v_fma_f64 v[24:25], v[6:7], v[26:27], -v[24:25]
	v_add_f64 v[18:19], v[18:19], v[22:23]
	v_fma_f64 v[22:23], v[8:9], v[26:27], v[158:159]
	v_add_f64 v[14:15], v[14:15], v[30:31]
	s_clause 0x2
	buffer_load_dword v147, off, s[0:3], 0 offset:508
	buffer_load_dword v27, off, s[0:3], 0 offset:484
	;; [unrolled: 1-line block ×3, first 2 shown]
	s_waitcnt vmcnt(58) lgkmcnt(0)
	v_mul_f64 v[30:31], v[2:3], v[34:35]
	v_mul_f64 v[34:35], v[4:5], v[34:35]
	s_waitcnt vmcnt(56)
	v_fma_f64 v[32:33], v[10:11], v[38:39], -v[32:33]
	ds_read_b128 v[6:9], v1 offset:848
	v_add_f64 v[18:19], v[18:19], v[24:25]
	v_fma_f64 v[24:25], v[12:13], v[38:39], v[164:165]
	v_add_f64 v[14:15], v[14:15], v[22:23]
	s_clause 0x4
	buffer_load_dword v23, off, s[0:3], 0 offset:524
	buffer_load_dword v38, off, s[0:3], 0 offset:536
	;; [unrolled: 1-line block ×5, first 2 shown]
	ds_read_b128 v[10:13], v1 offset:864
	s_waitcnt vmcnt(57) lgkmcnt(1)
	v_mul_f64 v[159:160], v[6:7], v[40:41]
	v_mul_f64 v[40:41], v[8:9], v[40:41]
	s_waitcnt vmcnt(56)
	v_fma_f64 v[34:35], v[2:3], v[36:37], -v[34:35]
	v_fma_f64 v[30:31], v[4:5], v[36:37], v[30:31]
	v_add_f64 v[18:19], v[18:19], v[32:33]
	v_add_f64 v[14:15], v[14:15], v[24:25]
	s_clause 0x2
	buffer_load_dword v39, off, s[0:3], 0 offset:540
	buffer_load_dword v25, off, s[0:3], 0 offset:516
	;; [unrolled: 1-line block ×3, first 2 shown]
	s_waitcnt vmcnt(58) lgkmcnt(0)
	v_mul_f64 v[36:37], v[12:13], v[42:43]
	ds_read_b128 v[2:5], v1 offset:880
	s_waitcnt vmcnt(56)
	v_fma_f64 v[40:41], v[6:7], v[46:47], -v[40:41]
	v_mul_f64 v[32:33], v[10:11], v[42:43]
	v_add_f64 v[18:19], v[18:19], v[34:35]
	v_fma_f64 v[34:35], v[8:9], v[46:47], v[159:160]
	v_add_f64 v[14:15], v[14:15], v[30:31]
	s_clause 0x4
	buffer_load_dword v31, off, s[0:3], 0 offset:556
	buffer_load_dword v42, off, s[0:3], 0 offset:568
	;; [unrolled: 1-line block ×5, first 2 shown]
	s_waitcnt vmcnt(57) lgkmcnt(0)
	v_mul_f64 v[47:48], v[2:3], v[121:122]
	v_mul_f64 v[121:122], v[4:5], v[121:122]
	s_waitcnt vmcnt(56)
	v_fma_f64 v[36:37], v[10:11], v[44:45], -v[36:37]
	ds_read_b128 v[6:9], v1 offset:896
	v_fma_f64 v[32:33], v[12:13], v[44:45], v[32:33]
	v_add_f64 v[18:19], v[18:19], v[40:41]
	v_add_f64 v[14:15], v[14:15], v[34:35]
	s_clause 0x2
	buffer_load_dword v43, off, s[0:3], 0 offset:572
	buffer_load_dword v35, off, s[0:3], 0 offset:548
	;; [unrolled: 1-line block ×3, first 2 shown]
	ds_read_b128 v[10:13], v1 offset:912
	s_waitcnt vmcnt(58) lgkmcnt(1)
	v_mul_f64 v[44:45], v[8:9], v[124:125]
	s_waitcnt vmcnt(56)
	v_fma_f64 v[121:122], v[2:3], v[128:129], -v[121:122]
	v_mul_f64 v[40:41], v[6:7], v[124:125]
	v_add_f64 v[18:19], v[18:19], v[36:37]
	v_fma_f64 v[36:37], v[4:5], v[128:129], v[47:48]
	v_add_f64 v[14:15], v[14:15], v[32:33]
	s_clause 0x2
	buffer_load_dword v33, off, s[0:3], 0 offset:588
	buffer_load_dword v32, off, s[0:3], 0 offset:584
	;; [unrolled: 1-line block ×3, first 2 shown]
	s_waitcnt vmcnt(55) lgkmcnt(0)
	v_mul_f64 v[128:129], v[12:13], v[130:131]
	s_waitcnt vmcnt(54)
	v_fma_f64 v[44:45], v[6:7], v[126:127], -v[44:45]
	ds_read_b128 v[2:5], v1 offset:928
	v_mul_f64 v[124:125], v[10:11], v[130:131]
	v_fma_f64 v[40:41], v[8:9], v[126:127], v[40:41]
	v_add_f64 v[18:19], v[18:19], v[121:122]
	v_add_f64 v[14:15], v[14:15], v[36:37]
	s_clause 0x1
	buffer_load_dword v37, off, s[0:3], 0 offset:580
	buffer_load_dword v36, off, s[0:3], 0 offset:576
	s_waitcnt vmcnt(55) lgkmcnt(0)
	v_mul_f64 v[126:127], v[4:5], v[132:133]
	s_waitcnt vmcnt(53)
	v_fma_f64 v[128:129], v[10:11], v[136:137], -v[128:129]
	ds_read_b128 v[6:9], v1 offset:944
	v_mul_f64 v[121:122], v[2:3], v[132:133]
	v_add_f64 v[18:19], v[18:19], v[44:45]
	v_fma_f64 v[44:45], v[12:13], v[136:137], v[124:125]
	v_add_f64 v[14:15], v[14:15], v[40:41]
	ds_read_b128 v[10:13], v1 offset:960
	s_waitcnt vmcnt(49) lgkmcnt(1)
	v_mul_f64 v[124:125], v[8:9], v[138:139]
	s_waitcnt vmcnt(48)
	v_fma_f64 v[126:127], v[2:3], v[134:135], -v[126:127]
	v_mul_f64 v[40:41], v[6:7], v[138:139]
	v_fma_f64 v[121:122], v[4:5], v[134:135], v[121:122]
	v_add_f64 v[18:19], v[18:19], v[128:129]
	s_waitcnt vmcnt(47) lgkmcnt(0)
	v_mul_f64 v[132:133], v[12:13], v[140:141]
	v_add_f64 v[14:15], v[14:15], v[44:45]
	s_clause 0x3
	buffer_load_dword v44, off, s[0:3], 0 offset:160
	buffer_load_dword v45, off, s[0:3], 0 offset:164
	;; [unrolled: 1-line block ×4, first 2 shown]
	s_waitcnt vmcnt(49)
	v_fma_f64 v[124:125], v[6:7], v[144:145], -v[124:125]
	ds_read_b128 v[2:5], v1 offset:976
	v_mul_f64 v[130:131], v[10:11], v[140:141]
	v_fma_f64 v[40:41], v[8:9], v[144:145], v[40:41]
	ds_read_b128 v[6:9], v1 offset:992
	v_add_f64 v[18:19], v[18:19], v[126:127]
	s_waitcnt vmcnt(44)
	v_fma_f64 v[132:133], v[10:11], v[142:143], -v[132:133]
	v_add_f64 v[14:15], v[14:15], v[121:122]
	s_waitcnt lgkmcnt(1)
	v_mul_f64 v[126:127], v[4:5], v[150:151]
	v_mul_f64 v[121:122], v[2:3], v[150:151]
	v_add_f64 v[18:19], v[18:19], v[124:125]
	v_fma_f64 v[124:125], v[12:13], v[142:143], v[130:131]
	v_add_f64 v[14:15], v[14:15], v[40:41]
	ds_read_b128 v[10:13], v1 offset:1008
	s_waitcnt vmcnt(43) lgkmcnt(1)
	v_mul_f64 v[130:131], v[8:9], v[152:153]
	v_mul_f64 v[40:41], v[6:7], v[152:153]
	s_waitcnt vmcnt(41)
	v_fma_f64 v[126:127], v[2:3], v[148:149], -v[126:127]
	v_fma_f64 v[121:122], v[4:5], v[148:149], v[121:122]
	ds_read_b128 v[2:5], v1 offset:1024
	v_add_f64 v[18:19], v[18:19], v[132:133]
	v_add_f64 v[14:15], v[14:15], v[124:125]
	s_waitcnt vmcnt(37) lgkmcnt(1)
	v_mul_f64 v[124:125], v[10:11], v[20:21]
	v_mul_f64 v[20:21], v[12:13], v[20:21]
	s_waitcnt vmcnt(36)
	v_fma_f64 v[130:131], v[6:7], v[154:155], -v[130:131]
	v_fma_f64 v[40:41], v[8:9], v[154:155], v[40:41]
	ds_read_b128 v[6:9], v1 offset:1040
	v_add_f64 v[18:19], v[18:19], v[126:127]
	v_add_f64 v[14:15], v[14:15], v[121:122]
	;; [unrolled: 9-line block ×3, first 2 shown]
	s_waitcnt vmcnt(29) lgkmcnt(1)
	v_mul_f64 v[40:41], v[6:7], v[28:29]
	v_mul_f64 v[28:29], v[8:9], v[28:29]
	s_waitcnt vmcnt(28)
	v_fma_f64 v[124:125], v[2:3], v[161:162], -v[126:127]
	v_add_f64 v[18:19], v[18:19], v[20:21]
	v_fma_f64 v[20:21], v[4:5], v[161:162], v[121:122]
	v_add_f64 v[14:15], v[14:15], v[16:17]
	ds_read_b128 v[2:5], v1 offset:1072
	s_waitcnt vmcnt(27) lgkmcnt(1)
	v_mul_f64 v[121:122], v[12:13], v[146:147]
	v_mul_f64 v[16:17], v[10:11], v[146:147]
	s_waitcnt vmcnt(25)
	v_fma_f64 v[28:29], v[6:7], v[26:27], -v[28:29]
	v_fma_f64 v[26:27], v[8:9], v[26:27], v[40:41]
	ds_read_b128 v[6:9], v1 offset:1088
	v_add_f64 v[18:19], v[18:19], v[124:125]
	v_add_f64 v[14:15], v[14:15], v[20:21]
	s_waitcnt vmcnt(21) lgkmcnt(1)
	v_mul_f64 v[20:21], v[2:3], v[22:23]
	v_mul_f64 v[22:23], v[4:5], v[22:23]
	s_waitcnt vmcnt(20)
	v_fma_f64 v[40:41], v[10:11], v[163:164], -v[121:122]
	v_fma_f64 v[16:17], v[12:13], v[163:164], v[16:17]
	ds_read_b128 v[10:13], v1 offset:1104
	v_add_f64 v[18:19], v[18:19], v[28:29]
	v_add_f64 v[14:15], v[14:15], v[26:27]
	;; [unrolled: 9-line block ×3, first 2 shown]
	s_waitcnt vmcnt(13) lgkmcnt(1)
	v_mul_f64 v[24:25], v[12:13], v[30:31]
	s_waitcnt vmcnt(12)
	v_fma_f64 v[28:29], v[6:7], v[158:159], -v[28:29]
	v_mul_f64 v[16:17], v[10:11], v[30:31]
	v_add_f64 v[18:19], v[18:19], v[22:23]
	v_fma_f64 v[22:23], v[8:9], v[158:159], v[26:27]
	v_add_f64 v[14:15], v[14:15], v[20:21]
	ds_read_b128 v[6:9], v1 offset:1136
	s_waitcnt vmcnt(11) lgkmcnt(1)
	v_mul_f64 v[26:27], v[4:5], v[42:43]
	v_mul_f64 v[20:21], v[2:3], v[42:43]
	s_waitcnt vmcnt(9)
	v_fma_f64 v[10:11], v[10:11], v[34:35], -v[24:25]
	v_fma_f64 v[12:13], v[12:13], v[34:35], v[16:17]
	v_add_f64 v[18:19], v[18:19], v[28:29]
	v_add_f64 v[14:15], v[14:15], v[22:23]
	s_waitcnt vmcnt(7) lgkmcnt(0)
	v_mul_f64 v[22:23], v[8:9], v[32:33]
	s_waitcnt vmcnt(6)
	v_fma_f64 v[1:2], v[2:3], v[46:47], -v[26:27]
	v_mul_f64 v[16:17], v[6:7], v[32:33]
	v_fma_f64 v[3:4], v[4:5], v[46:47], v[20:21]
	v_add_f64 v[10:11], v[18:19], v[10:11]
	v_add_f64 v[12:13], v[14:15], v[12:13]
	s_waitcnt vmcnt(4)
	v_fma_f64 v[5:6], v[6:7], v[36:37], -v[22:23]
	v_fma_f64 v[7:8], v[8:9], v[36:37], v[16:17]
	v_add_f64 v[1:2], v[10:11], v[1:2]
	v_add_f64 v[3:4], v[12:13], v[3:4]
	v_add_f64 v[1:2], v[1:2], v[5:6]
	v_add_f64 v[3:4], v[3:4], v[7:8]
	s_waitcnt vmcnt(2)
	v_add_f64 v[1:2], v[44:45], -v[1:2]
	s_waitcnt vmcnt(0)
	v_add_f64 v[3:4], v[128:129], -v[3:4]
	buffer_store_dword v2, off, s[0:3], 0 offset:164
	buffer_store_dword v1, off, s[0:3], 0 offset:160
	;; [unrolled: 1-line block ×4, first 2 shown]
	v_cmpx_lt_u32_e32 8, v0
	s_cbranch_execz .LBB35_213
; %bb.212:
	v_mov_b32_e32 v4, s40
	v_mov_b32_e32 v5, 0
	s_clause 0x3
	buffer_load_dword v1, v4, s[0:3], 0 offen
	buffer_load_dword v2, v4, s[0:3], 0 offen offset:4
	buffer_load_dword v3, v4, s[0:3], 0 offen offset:8
	;; [unrolled: 1-line block ×3, first 2 shown]
	buffer_store_dword v5, off, s[0:3], 0 offset:144
	buffer_store_dword v5, off, s[0:3], 0 offset:148
	;; [unrolled: 1-line block ×4, first 2 shown]
	s_waitcnt vmcnt(0)
	ds_write_b128 v123, v[1:4]
.LBB35_213:
	s_or_b32 exec_lo, exec_lo, s4
	s_waitcnt lgkmcnt(0)
	s_waitcnt_vscnt null, 0x0
	s_barrier
	buffer_gl0_inv
	s_clause 0x37
	buffer_load_dword v10, off, s[0:3], 0 offset:168
	buffer_load_dword v11, off, s[0:3], 0 offset:172
	;; [unrolled: 1-line block ×56, first 2 shown]
	v_mov_b32_e32 v1, 0
	s_mov_b32 s4, exec_lo
	ds_read_b128 v[2:5], v1 offset:720
	s_clause 0x2
	buffer_load_dword v141, off, s[0:3], 0 offset:396
	buffer_load_dword v145, off, s[0:3], 0 offset:372
	;; [unrolled: 1-line block ×3, first 2 shown]
	ds_read_b128 v[6:9], v1 offset:736
	s_clause 0x4
	buffer_load_dword v151, off, s[0:3], 0 offset:412
	buffer_load_dword v152, off, s[0:3], 0 offset:424
	;; [unrolled: 1-line block ×5, first 2 shown]
	s_waitcnt vmcnt(62) lgkmcnt(1)
	v_mul_f64 v[146:147], v[4:5], v[10:11]
	v_mul_f64 v[148:149], v[2:3], v[10:11]
	s_waitcnt vmcnt(60) lgkmcnt(0)
	v_mul_f64 v[155:156], v[8:9], v[14:15]
	ds_read_b128 v[10:13], v1 offset:752
	v_mul_f64 v[14:15], v[6:7], v[14:15]
	s_waitcnt vmcnt(58)
	v_fma_f64 v[146:147], v[2:3], v[16:17], -v[146:147]
	v_fma_f64 v[16:17], v[4:5], v[16:17], v[148:149]
	s_clause 0x2
	buffer_load_dword v153, off, s[0:3], 0 offset:428
	buffer_load_dword v149, off, s[0:3], 0 offset:404
	;; [unrolled: 1-line block ×3, first 2 shown]
	s_waitcnt vmcnt(59) lgkmcnt(0)
	v_mul_f64 v[157:158], v[10:11], v[18:19]
	v_mul_f64 v[18:19], v[12:13], v[18:19]
	s_waitcnt vmcnt(57)
	v_fma_f64 v[159:160], v[6:7], v[20:21], -v[155:156]
	ds_read_b128 v[2:5], v1 offset:768
	v_fma_f64 v[14:15], v[8:9], v[20:21], v[14:15]
	s_clause 0x4
	buffer_load_dword v21, off, s[0:3], 0 offset:444
	buffer_load_dword v156, off, s[0:3], 0 offset:456
	;; [unrolled: 1-line block ×5, first 2 shown]
	ds_read_b128 v[6:9], v1 offset:784
	v_add_f64 v[146:147], v[146:147], 0
	v_add_f64 v[16:17], v[16:17], 0
	s_waitcnt vmcnt(58) lgkmcnt(1)
	v_mul_f64 v[162:163], v[2:3], v[22:23]
	v_mul_f64 v[22:23], v[4:5], v[22:23]
	s_waitcnt vmcnt(56)
	v_fma_f64 v[18:19], v[10:11], v[28:29], -v[18:19]
	v_fma_f64 v[28:29], v[12:13], v[28:29], v[157:158]
	v_add_f64 v[146:147], v[146:147], v[159:160]
	v_add_f64 v[14:15], v[16:17], v[14:15]
	s_clause 0x2
	buffer_load_dword v157, off, s[0:3], 0 offset:460
	buffer_load_dword v17, off, s[0:3], 0 offset:436
	;; [unrolled: 1-line block ×3, first 2 shown]
	s_waitcnt vmcnt(58) lgkmcnt(0)
	v_mul_f64 v[158:159], v[6:7], v[24:25]
	v_mul_f64 v[24:25], v[8:9], v[24:25]
	s_waitcnt vmcnt(56)
	v_fma_f64 v[22:23], v[2:3], v[30:31], -v[22:23]
	ds_read_b128 v[10:13], v1 offset:800
	v_fma_f64 v[30:31], v[4:5], v[30:31], v[162:163]
	v_add_f64 v[18:19], v[146:147], v[18:19]
	v_add_f64 v[14:15], v[14:15], v[28:29]
	s_clause 0x4
	buffer_load_dword v29, off, s[0:3], 0 offset:476
	buffer_load_dword v146, off, s[0:3], 0 offset:488
	;; [unrolled: 1-line block ×5, first 2 shown]
	ds_read_b128 v[2:5], v1 offset:816
	s_waitcnt vmcnt(57) lgkmcnt(1)
	v_mul_f64 v[164:165], v[10:11], v[32:33]
	v_mul_f64 v[32:33], v[12:13], v[32:33]
	s_waitcnt vmcnt(56)
	v_fma_f64 v[24:25], v[6:7], v[26:27], -v[24:25]
	v_add_f64 v[18:19], v[18:19], v[22:23]
	v_fma_f64 v[22:23], v[8:9], v[26:27], v[158:159]
	v_add_f64 v[14:15], v[14:15], v[30:31]
	s_clause 0x2
	buffer_load_dword v147, off, s[0:3], 0 offset:492
	buffer_load_dword v27, off, s[0:3], 0 offset:468
	;; [unrolled: 1-line block ×3, first 2 shown]
	s_waitcnt vmcnt(58) lgkmcnt(0)
	v_mul_f64 v[30:31], v[2:3], v[34:35]
	v_mul_f64 v[34:35], v[4:5], v[34:35]
	s_waitcnt vmcnt(56)
	v_fma_f64 v[32:33], v[10:11], v[38:39], -v[32:33]
	ds_read_b128 v[6:9], v1 offset:832
	v_add_f64 v[18:19], v[18:19], v[24:25]
	v_fma_f64 v[24:25], v[12:13], v[38:39], v[164:165]
	v_add_f64 v[14:15], v[14:15], v[22:23]
	s_clause 0x4
	buffer_load_dword v23, off, s[0:3], 0 offset:508
	buffer_load_dword v38, off, s[0:3], 0 offset:520
	;; [unrolled: 1-line block ×5, first 2 shown]
	ds_read_b128 v[10:13], v1 offset:848
	s_waitcnt vmcnt(57) lgkmcnt(1)
	v_mul_f64 v[159:160], v[6:7], v[40:41]
	v_mul_f64 v[40:41], v[8:9], v[40:41]
	s_waitcnt vmcnt(56)
	v_fma_f64 v[34:35], v[2:3], v[36:37], -v[34:35]
	v_fma_f64 v[30:31], v[4:5], v[36:37], v[30:31]
	v_add_f64 v[18:19], v[18:19], v[32:33]
	v_add_f64 v[14:15], v[14:15], v[24:25]
	s_clause 0x2
	buffer_load_dword v39, off, s[0:3], 0 offset:524
	buffer_load_dword v25, off, s[0:3], 0 offset:500
	buffer_load_dword v24, off, s[0:3], 0 offset:496
	s_waitcnt vmcnt(58) lgkmcnt(0)
	v_mul_f64 v[36:37], v[12:13], v[42:43]
	ds_read_b128 v[2:5], v1 offset:864
	s_waitcnt vmcnt(56)
	v_fma_f64 v[40:41], v[6:7], v[46:47], -v[40:41]
	v_mul_f64 v[32:33], v[10:11], v[42:43]
	v_add_f64 v[18:19], v[18:19], v[34:35]
	v_fma_f64 v[34:35], v[8:9], v[46:47], v[159:160]
	v_add_f64 v[14:15], v[14:15], v[30:31]
	s_clause 0x4
	buffer_load_dword v31, off, s[0:3], 0 offset:540
	buffer_load_dword v42, off, s[0:3], 0 offset:552
	;; [unrolled: 1-line block ×5, first 2 shown]
	s_waitcnt vmcnt(57) lgkmcnt(0)
	v_mul_f64 v[47:48], v[2:3], v[121:122]
	v_mul_f64 v[121:122], v[4:5], v[121:122]
	s_waitcnt vmcnt(56)
	v_fma_f64 v[36:37], v[10:11], v[44:45], -v[36:37]
	ds_read_b128 v[6:9], v1 offset:880
	v_fma_f64 v[32:33], v[12:13], v[44:45], v[32:33]
	v_add_f64 v[18:19], v[18:19], v[40:41]
	v_add_f64 v[14:15], v[14:15], v[34:35]
	s_clause 0x2
	buffer_load_dword v43, off, s[0:3], 0 offset:556
	buffer_load_dword v35, off, s[0:3], 0 offset:532
	buffer_load_dword v34, off, s[0:3], 0 offset:528
	ds_read_b128 v[10:13], v1 offset:896
	s_waitcnt vmcnt(58) lgkmcnt(1)
	v_mul_f64 v[44:45], v[8:9], v[124:125]
	s_waitcnt vmcnt(56)
	v_fma_f64 v[121:122], v[2:3], v[128:129], -v[121:122]
	v_mul_f64 v[40:41], v[6:7], v[124:125]
	v_add_f64 v[18:19], v[18:19], v[36:37]
	v_fma_f64 v[36:37], v[4:5], v[128:129], v[47:48]
	v_add_f64 v[14:15], v[14:15], v[32:33]
	s_clause 0x4
	buffer_load_dword v33, off, s[0:3], 0 offset:572
	buffer_load_dword v124, off, s[0:3], 0 offset:584
	;; [unrolled: 1-line block ×5, first 2 shown]
	s_waitcnt vmcnt(57) lgkmcnt(0)
	v_mul_f64 v[165:166], v[10:11], v[130:131]
	v_mul_f64 v[129:130], v[12:13], v[130:131]
	s_waitcnt vmcnt(56)
	v_fma_f64 v[44:45], v[6:7], v[126:127], -v[44:45]
	ds_read_b128 v[2:5], v1 offset:912
	v_fma_f64 v[40:41], v[8:9], v[126:127], v[40:41]
	v_add_f64 v[18:19], v[18:19], v[121:122]
	v_add_f64 v[14:15], v[14:15], v[36:37]
	s_clause 0x2
	buffer_load_dword v125, off, s[0:3], 0 offset:588
	buffer_load_dword v37, off, s[0:3], 0 offset:564
	;; [unrolled: 1-line block ×3, first 2 shown]
	ds_read_b128 v[6:9], v1 offset:928
	s_waitcnt vmcnt(58) lgkmcnt(1)
	v_mul_f64 v[126:127], v[4:5], v[132:133]
	s_waitcnt vmcnt(56)
	v_fma_f64 v[130:131], v[10:11], v[136:137], -v[129:130]
	v_mul_f64 v[121:122], v[2:3], v[132:133]
	buffer_load_dword v129, off, s[0:3], 0 offset:580
	v_add_f64 v[18:19], v[18:19], v[44:45]
	v_fma_f64 v[44:45], v[12:13], v[136:137], v[165:166]
	v_add_f64 v[14:15], v[14:15], v[40:41]
	ds_read_b128 v[10:13], v1 offset:944
	s_waitcnt vmcnt(53) lgkmcnt(1)
	v_mul_f64 v[132:133], v[8:9], v[138:139]
	s_waitcnt vmcnt(52)
	v_fma_f64 v[126:127], v[2:3], v[134:135], -v[126:127]
	v_mul_f64 v[40:41], v[6:7], v[138:139]
	v_fma_f64 v[121:122], v[4:5], v[134:135], v[121:122]
	ds_read_b128 v[2:5], v1 offset:960
	v_add_f64 v[18:19], v[18:19], v[130:131]
	s_waitcnt vmcnt(51) lgkmcnt(1)
	v_mul_f64 v[130:131], v[12:13], v[140:141]
	v_add_f64 v[14:15], v[14:15], v[44:45]
	v_mul_f64 v[44:45], v[10:11], v[140:141]
	s_waitcnt vmcnt(49)
	v_fma_f64 v[132:133], v[6:7], v[144:145], -v[132:133]
	v_fma_f64 v[40:41], v[8:9], v[144:145], v[40:41]
	s_waitcnt vmcnt(45) lgkmcnt(0)
	v_mul_f64 v[136:137], v[4:5], v[150:151]
	v_mul_f64 v[134:135], v[2:3], v[150:151]
	v_add_f64 v[18:19], v[18:19], v[126:127]
	s_waitcnt vmcnt(44)
	v_fma_f64 v[130:131], v[10:11], v[142:143], -v[130:131]
	v_add_f64 v[14:15], v[14:15], v[121:122]
	s_clause 0x3
	buffer_load_dword v121, off, s[0:3], 0 offset:144
	buffer_load_dword v122, off, s[0:3], 0 offset:148
	;; [unrolled: 1-line block ×4, first 2 shown]
	ds_read_b128 v[6:9], v1 offset:976
	v_fma_f64 v[44:45], v[12:13], v[142:143], v[44:45]
	ds_read_b128 v[10:13], v1 offset:992
	v_add_f64 v[18:19], v[18:19], v[132:133]
	v_add_f64 v[14:15], v[14:15], v[40:41]
	s_waitcnt vmcnt(47) lgkmcnt(1)
	v_mul_f64 v[132:133], v[8:9], v[152:153]
	v_mul_f64 v[40:41], v[6:7], v[152:153]
	s_waitcnt vmcnt(45)
	v_fma_f64 v[136:137], v[2:3], v[148:149], -v[136:137]
	v_add_f64 v[18:19], v[18:19], v[130:131]
	v_fma_f64 v[130:131], v[4:5], v[148:149], v[134:135]
	v_add_f64 v[14:15], v[14:15], v[44:45]
	s_waitcnt vmcnt(41) lgkmcnt(0)
	v_mul_f64 v[44:45], v[10:11], v[20:21]
	v_mul_f64 v[20:21], v[12:13], v[20:21]
	ds_read_b128 v[2:5], v1 offset:1008
	s_waitcnt vmcnt(40)
	v_fma_f64 v[132:133], v[6:7], v[154:155], -v[132:133]
	v_fma_f64 v[40:41], v[8:9], v[154:155], v[40:41]
	ds_read_b128 v[6:9], v1 offset:1024
	v_add_f64 v[18:19], v[18:19], v[136:137]
	v_add_f64 v[14:15], v[14:15], v[130:131]
	s_waitcnt vmcnt(39) lgkmcnt(1)
	v_mul_f64 v[134:135], v[4:5], v[156:157]
	v_mul_f64 v[130:131], v[2:3], v[156:157]
	s_waitcnt vmcnt(37)
	v_fma_f64 v[20:21], v[10:11], v[16:17], -v[20:21]
	v_fma_f64 v[16:17], v[12:13], v[16:17], v[44:45]
	ds_read_b128 v[10:13], v1 offset:1040
	v_add_f64 v[18:19], v[18:19], v[132:133]
	v_add_f64 v[14:15], v[14:15], v[40:41]
	s_waitcnt vmcnt(33) lgkmcnt(1)
	v_mul_f64 v[40:41], v[6:7], v[28:29]
	v_mul_f64 v[28:29], v[8:9], v[28:29]
	s_waitcnt vmcnt(32)
	v_fma_f64 v[44:45], v[2:3], v[161:162], -v[134:135]
	v_add_f64 v[18:19], v[18:19], v[20:21]
	v_fma_f64 v[20:21], v[4:5], v[161:162], v[130:131]
	v_add_f64 v[14:15], v[14:15], v[16:17]
	ds_read_b128 v[2:5], v1 offset:1056
	s_waitcnt vmcnt(31) lgkmcnt(1)
	v_mul_f64 v[130:131], v[12:13], v[146:147]
	v_mul_f64 v[16:17], v[10:11], v[146:147]
	s_waitcnt vmcnt(29)
	v_fma_f64 v[28:29], v[6:7], v[26:27], -v[28:29]
	v_fma_f64 v[26:27], v[8:9], v[26:27], v[40:41]
	ds_read_b128 v[6:9], v1 offset:1072
	v_add_f64 v[18:19], v[18:19], v[44:45]
	v_add_f64 v[14:15], v[14:15], v[20:21]
	s_waitcnt vmcnt(25) lgkmcnt(1)
	v_mul_f64 v[20:21], v[2:3], v[22:23]
	v_mul_f64 v[22:23], v[4:5], v[22:23]
	s_waitcnt vmcnt(24)
	v_fma_f64 v[40:41], v[10:11], v[163:164], -v[130:131]
	v_fma_f64 v[16:17], v[12:13], v[163:164], v[16:17]
	ds_read_b128 v[10:13], v1 offset:1088
	v_add_f64 v[18:19], v[18:19], v[28:29]
	v_add_f64 v[14:15], v[14:15], v[26:27]
	;; [unrolled: 9-line block ×3, first 2 shown]
	s_waitcnt vmcnt(17) lgkmcnt(1)
	v_mul_f64 v[24:25], v[12:13], v[30:31]
	s_waitcnt vmcnt(16)
	v_fma_f64 v[28:29], v[6:7], v[158:159], -v[28:29]
	v_mul_f64 v[16:17], v[10:11], v[30:31]
	v_add_f64 v[18:19], v[18:19], v[22:23]
	v_fma_f64 v[22:23], v[8:9], v[158:159], v[26:27]
	v_add_f64 v[14:15], v[14:15], v[20:21]
	ds_read_b128 v[6:9], v1 offset:1120
	s_waitcnt vmcnt(15) lgkmcnt(1)
	v_mul_f64 v[26:27], v[4:5], v[42:43]
	v_mul_f64 v[20:21], v[2:3], v[42:43]
	s_waitcnt vmcnt(13)
	v_fma_f64 v[24:25], v[10:11], v[34:35], -v[24:25]
	v_fma_f64 v[16:17], v[12:13], v[34:35], v[16:17]
	ds_read_b128 v[10:13], v1 offset:1136
	v_add_f64 v[18:19], v[18:19], v[28:29]
	v_add_f64 v[14:15], v[14:15], v[22:23]
	s_waitcnt vmcnt(9) lgkmcnt(1)
	v_mul_f64 v[28:29], v[8:9], v[32:33]
	s_waitcnt vmcnt(8)
	v_fma_f64 v[2:3], v[2:3], v[46:47], -v[26:27]
	v_mul_f64 v[22:23], v[6:7], v[32:33]
	v_fma_f64 v[4:5], v[4:5], v[46:47], v[20:21]
	v_add_f64 v[18:19], v[18:19], v[24:25]
	v_add_f64 v[14:15], v[14:15], v[16:17]
	s_waitcnt vmcnt(7) lgkmcnt(0)
	v_mul_f64 v[20:21], v[12:13], v[124:125]
	v_mul_f64 v[16:17], v[10:11], v[124:125]
	s_waitcnt vmcnt(5)
	v_fma_f64 v[6:7], v[6:7], v[36:37], -v[28:29]
	v_fma_f64 v[8:9], v[8:9], v[36:37], v[22:23]
	v_add_f64 v[2:3], v[18:19], v[2:3]
	v_add_f64 v[4:5], v[14:15], v[4:5]
	s_waitcnt vmcnt(4)
	v_fma_f64 v[10:11], v[10:11], v[128:129], -v[20:21]
	v_add_f64 v[2:3], v[2:3], v[6:7]
	v_fma_f64 v[6:7], v[12:13], v[128:129], v[16:17]
	v_add_f64 v[4:5], v[4:5], v[8:9]
	v_add_f64 v[2:3], v[2:3], v[10:11]
	;; [unrolled: 1-line block ×3, first 2 shown]
	s_waitcnt vmcnt(2)
	v_add_f64 v[2:3], v[121:122], -v[2:3]
	s_waitcnt vmcnt(0)
	v_add_f64 v[4:5], v[126:127], -v[4:5]
	buffer_store_dword v3, off, s[0:3], 0 offset:148
	buffer_store_dword v2, off, s[0:3], 0 offset:144
	;; [unrolled: 1-line block ×4, first 2 shown]
	v_cmpx_lt_u32_e32 7, v0
	s_cbranch_execz .LBB35_215
; %bb.214:
	v_mov_b32_e32 v5, s41
	s_clause 0x3
	buffer_load_dword v2, v5, s[0:3], 0 offen
	buffer_load_dword v3, v5, s[0:3], 0 offen offset:4
	buffer_load_dword v4, v5, s[0:3], 0 offen offset:8
	;; [unrolled: 1-line block ×3, first 2 shown]
	buffer_store_dword v1, off, s[0:3], 0 offset:128
	buffer_store_dword v1, off, s[0:3], 0 offset:132
	;; [unrolled: 1-line block ×4, first 2 shown]
	s_waitcnt vmcnt(0)
	ds_write_b128 v123, v[2:5]
.LBB35_215:
	s_or_b32 exec_lo, exec_lo, s4
	s_waitcnt lgkmcnt(0)
	s_waitcnt_vscnt null, 0x0
	s_barrier
	buffer_gl0_inv
	s_clause 0x37
	buffer_load_dword v10, off, s[0:3], 0 offset:152
	buffer_load_dword v11, off, s[0:3], 0 offset:156
	;; [unrolled: 1-line block ×56, first 2 shown]
	ds_read_b128 v[2:5], v1 offset:704
	s_clause 0x2
	buffer_load_dword v141, off, s[0:3], 0 offset:380
	buffer_load_dword v145, off, s[0:3], 0 offset:356
	;; [unrolled: 1-line block ×3, first 2 shown]
	ds_read_b128 v[6:9], v1 offset:720
	s_clause 0x4
	buffer_load_dword v151, off, s[0:3], 0 offset:396
	buffer_load_dword v152, off, s[0:3], 0 offset:408
	;; [unrolled: 1-line block ×5, first 2 shown]
	s_mov_b32 s4, exec_lo
	s_waitcnt vmcnt(62) lgkmcnt(1)
	v_mul_f64 v[146:147], v[4:5], v[10:11]
	v_mul_f64 v[148:149], v[2:3], v[10:11]
	s_waitcnt vmcnt(60) lgkmcnt(0)
	v_mul_f64 v[155:156], v[8:9], v[14:15]
	ds_read_b128 v[10:13], v1 offset:736
	v_mul_f64 v[14:15], v[6:7], v[14:15]
	s_waitcnt vmcnt(58)
	v_fma_f64 v[146:147], v[2:3], v[16:17], -v[146:147]
	v_fma_f64 v[16:17], v[4:5], v[16:17], v[148:149]
	s_clause 0x2
	buffer_load_dword v153, off, s[0:3], 0 offset:412
	buffer_load_dword v149, off, s[0:3], 0 offset:388
	;; [unrolled: 1-line block ×3, first 2 shown]
	s_waitcnt vmcnt(59) lgkmcnt(0)
	v_mul_f64 v[157:158], v[10:11], v[18:19]
	v_mul_f64 v[18:19], v[12:13], v[18:19]
	s_waitcnt vmcnt(57)
	v_fma_f64 v[159:160], v[6:7], v[20:21], -v[155:156]
	ds_read_b128 v[2:5], v1 offset:752
	v_fma_f64 v[14:15], v[8:9], v[20:21], v[14:15]
	s_clause 0x4
	buffer_load_dword v21, off, s[0:3], 0 offset:428
	buffer_load_dword v156, off, s[0:3], 0 offset:440
	;; [unrolled: 1-line block ×5, first 2 shown]
	ds_read_b128 v[6:9], v1 offset:768
	v_add_f64 v[146:147], v[146:147], 0
	v_add_f64 v[16:17], v[16:17], 0
	s_waitcnt vmcnt(58) lgkmcnt(1)
	v_mul_f64 v[162:163], v[2:3], v[22:23]
	v_mul_f64 v[22:23], v[4:5], v[22:23]
	s_waitcnt vmcnt(56)
	v_fma_f64 v[18:19], v[10:11], v[28:29], -v[18:19]
	v_fma_f64 v[28:29], v[12:13], v[28:29], v[157:158]
	v_add_f64 v[146:147], v[146:147], v[159:160]
	v_add_f64 v[14:15], v[16:17], v[14:15]
	s_clause 0x2
	buffer_load_dword v157, off, s[0:3], 0 offset:444
	buffer_load_dword v17, off, s[0:3], 0 offset:420
	;; [unrolled: 1-line block ×3, first 2 shown]
	s_waitcnt vmcnt(58) lgkmcnt(0)
	v_mul_f64 v[158:159], v[6:7], v[24:25]
	v_mul_f64 v[24:25], v[8:9], v[24:25]
	s_waitcnt vmcnt(56)
	v_fma_f64 v[22:23], v[2:3], v[30:31], -v[22:23]
	ds_read_b128 v[10:13], v1 offset:784
	v_fma_f64 v[30:31], v[4:5], v[30:31], v[162:163]
	v_add_f64 v[18:19], v[146:147], v[18:19]
	v_add_f64 v[14:15], v[14:15], v[28:29]
	s_clause 0x4
	buffer_load_dword v29, off, s[0:3], 0 offset:460
	buffer_load_dword v146, off, s[0:3], 0 offset:472
	;; [unrolled: 1-line block ×5, first 2 shown]
	ds_read_b128 v[2:5], v1 offset:800
	s_waitcnt vmcnt(57) lgkmcnt(1)
	v_mul_f64 v[164:165], v[10:11], v[32:33]
	v_mul_f64 v[32:33], v[12:13], v[32:33]
	s_waitcnt vmcnt(56)
	v_fma_f64 v[24:25], v[6:7], v[26:27], -v[24:25]
	v_add_f64 v[18:19], v[18:19], v[22:23]
	v_fma_f64 v[22:23], v[8:9], v[26:27], v[158:159]
	v_add_f64 v[14:15], v[14:15], v[30:31]
	s_clause 0x2
	buffer_load_dword v147, off, s[0:3], 0 offset:476
	buffer_load_dword v27, off, s[0:3], 0 offset:452
	;; [unrolled: 1-line block ×3, first 2 shown]
	s_waitcnt vmcnt(58) lgkmcnt(0)
	v_mul_f64 v[30:31], v[2:3], v[34:35]
	v_mul_f64 v[34:35], v[4:5], v[34:35]
	s_waitcnt vmcnt(56)
	v_fma_f64 v[32:33], v[10:11], v[38:39], -v[32:33]
	ds_read_b128 v[6:9], v1 offset:816
	v_add_f64 v[18:19], v[18:19], v[24:25]
	v_fma_f64 v[24:25], v[12:13], v[38:39], v[164:165]
	v_add_f64 v[14:15], v[14:15], v[22:23]
	s_clause 0x4
	buffer_load_dword v23, off, s[0:3], 0 offset:492
	buffer_load_dword v38, off, s[0:3], 0 offset:504
	;; [unrolled: 1-line block ×5, first 2 shown]
	ds_read_b128 v[10:13], v1 offset:832
	s_waitcnt vmcnt(57) lgkmcnt(1)
	v_mul_f64 v[159:160], v[6:7], v[40:41]
	v_mul_f64 v[40:41], v[8:9], v[40:41]
	s_waitcnt vmcnt(56)
	v_fma_f64 v[34:35], v[2:3], v[36:37], -v[34:35]
	v_fma_f64 v[30:31], v[4:5], v[36:37], v[30:31]
	v_add_f64 v[18:19], v[18:19], v[32:33]
	v_add_f64 v[14:15], v[14:15], v[24:25]
	s_clause 0x2
	buffer_load_dword v39, off, s[0:3], 0 offset:508
	buffer_load_dword v25, off, s[0:3], 0 offset:484
	;; [unrolled: 1-line block ×3, first 2 shown]
	s_waitcnt vmcnt(58) lgkmcnt(0)
	v_mul_f64 v[36:37], v[12:13], v[42:43]
	ds_read_b128 v[2:5], v1 offset:848
	s_waitcnt vmcnt(56)
	v_fma_f64 v[40:41], v[6:7], v[46:47], -v[40:41]
	v_mul_f64 v[32:33], v[10:11], v[42:43]
	v_add_f64 v[18:19], v[18:19], v[34:35]
	v_fma_f64 v[34:35], v[8:9], v[46:47], v[159:160]
	v_add_f64 v[14:15], v[14:15], v[30:31]
	s_clause 0x4
	buffer_load_dword v31, off, s[0:3], 0 offset:524
	buffer_load_dword v42, off, s[0:3], 0 offset:536
	;; [unrolled: 1-line block ×5, first 2 shown]
	s_waitcnt vmcnt(57) lgkmcnt(0)
	v_mul_f64 v[47:48], v[2:3], v[121:122]
	v_mul_f64 v[121:122], v[4:5], v[121:122]
	s_waitcnt vmcnt(56)
	v_fma_f64 v[36:37], v[10:11], v[44:45], -v[36:37]
	ds_read_b128 v[6:9], v1 offset:864
	v_fma_f64 v[32:33], v[12:13], v[44:45], v[32:33]
	v_add_f64 v[18:19], v[18:19], v[40:41]
	v_add_f64 v[14:15], v[14:15], v[34:35]
	s_clause 0x2
	buffer_load_dword v43, off, s[0:3], 0 offset:540
	buffer_load_dword v35, off, s[0:3], 0 offset:516
	;; [unrolled: 1-line block ×3, first 2 shown]
	ds_read_b128 v[10:13], v1 offset:880
	s_waitcnt vmcnt(58) lgkmcnt(1)
	v_mul_f64 v[44:45], v[8:9], v[124:125]
	s_waitcnt vmcnt(56)
	v_fma_f64 v[121:122], v[2:3], v[128:129], -v[121:122]
	v_mul_f64 v[40:41], v[6:7], v[124:125]
	v_add_f64 v[18:19], v[18:19], v[36:37]
	v_fma_f64 v[36:37], v[4:5], v[128:129], v[47:48]
	v_add_f64 v[14:15], v[14:15], v[32:33]
	s_clause 0x4
	buffer_load_dword v33, off, s[0:3], 0 offset:556
	buffer_load_dword v124, off, s[0:3], 0 offset:568
	;; [unrolled: 1-line block ×5, first 2 shown]
	s_waitcnt vmcnt(57) lgkmcnt(0)
	v_mul_f64 v[165:166], v[10:11], v[130:131]
	v_mul_f64 v[129:130], v[12:13], v[130:131]
	s_waitcnt vmcnt(56)
	v_fma_f64 v[44:45], v[6:7], v[126:127], -v[44:45]
	ds_read_b128 v[2:5], v1 offset:896
	v_fma_f64 v[40:41], v[8:9], v[126:127], v[40:41]
	v_add_f64 v[18:19], v[18:19], v[121:122]
	v_add_f64 v[14:15], v[14:15], v[36:37]
	s_clause 0x2
	buffer_load_dword v125, off, s[0:3], 0 offset:572
	buffer_load_dword v37, off, s[0:3], 0 offset:548
	;; [unrolled: 1-line block ×3, first 2 shown]
	ds_read_b128 v[6:9], v1 offset:912
	s_waitcnt vmcnt(58) lgkmcnt(1)
	v_mul_f64 v[126:127], v[4:5], v[132:133]
	s_waitcnt vmcnt(56)
	v_fma_f64 v[130:131], v[10:11], v[136:137], -v[129:130]
	v_mul_f64 v[121:122], v[2:3], v[132:133]
	v_add_f64 v[18:19], v[18:19], v[44:45]
	v_fma_f64 v[44:45], v[12:13], v[136:137], v[165:166]
	v_add_f64 v[14:15], v[14:15], v[40:41]
	s_clause 0x2
	buffer_load_dword v41, off, s[0:3], 0 offset:588
	buffer_load_dword v40, off, s[0:3], 0 offset:584
	;; [unrolled: 1-line block ×3, first 2 shown]
	s_waitcnt vmcnt(55) lgkmcnt(0)
	v_mul_f64 v[136:137], v[8:9], v[138:139]
	s_waitcnt vmcnt(54)
	v_fma_f64 v[126:127], v[2:3], v[134:135], -v[126:127]
	ds_read_b128 v[10:13], v1 offset:928
	v_mul_f64 v[132:133], v[6:7], v[138:139]
	v_fma_f64 v[121:122], v[4:5], v[134:135], v[121:122]
	v_add_f64 v[18:19], v[18:19], v[130:131]
	v_add_f64 v[14:15], v[14:15], v[44:45]
	s_clause 0x1
	buffer_load_dword v45, off, s[0:3], 0 offset:580
	buffer_load_dword v44, off, s[0:3], 0 offset:576
	s_waitcnt vmcnt(55) lgkmcnt(0)
	v_mul_f64 v[134:135], v[12:13], v[140:141]
	s_waitcnt vmcnt(53)
	v_fma_f64 v[136:137], v[6:7], v[144:145], -v[136:137]
	ds_read_b128 v[2:5], v1 offset:944
	v_mul_f64 v[130:131], v[10:11], v[140:141]
	v_add_f64 v[18:19], v[18:19], v[126:127]
	v_fma_f64 v[126:127], v[8:9], v[144:145], v[132:133]
	v_add_f64 v[14:15], v[14:15], v[121:122]
	ds_read_b128 v[6:9], v1 offset:960
	s_waitcnt vmcnt(49) lgkmcnt(1)
	v_mul_f64 v[132:133], v[4:5], v[150:151]
	s_waitcnt vmcnt(48)
	v_fma_f64 v[134:135], v[10:11], v[142:143], -v[134:135]
	v_mul_f64 v[121:122], v[2:3], v[150:151]
	v_fma_f64 v[130:131], v[12:13], v[142:143], v[130:131]
	v_add_f64 v[18:19], v[18:19], v[136:137]
	v_add_f64 v[14:15], v[14:15], v[126:127]
	s_clause 0x3
	buffer_load_dword v126, off, s[0:3], 0 offset:128
	buffer_load_dword v127, off, s[0:3], 0 offset:132
	;; [unrolled: 1-line block ×4, first 2 shown]
	ds_read_b128 v[10:13], v1 offset:976
	s_waitcnt vmcnt(51) lgkmcnt(1)
	v_mul_f64 v[140:141], v[8:9], v[152:153]
	v_mul_f64 v[138:139], v[6:7], v[152:153]
	s_waitcnt vmcnt(49)
	v_fma_f64 v[132:133], v[2:3], v[148:149], -v[132:133]
	v_fma_f64 v[121:122], v[4:5], v[148:149], v[121:122]
	ds_read_b128 v[2:5], v1 offset:992
	v_add_f64 v[18:19], v[18:19], v[134:135]
	v_add_f64 v[14:15], v[14:15], v[130:131]
	s_waitcnt vmcnt(45) lgkmcnt(1)
	v_mul_f64 v[130:131], v[10:11], v[20:21]
	v_mul_f64 v[20:21], v[12:13], v[20:21]
	s_waitcnt vmcnt(44)
	v_fma_f64 v[134:135], v[6:7], v[154:155], -v[140:141]
	v_add_f64 v[18:19], v[18:19], v[132:133]
	v_fma_f64 v[132:133], v[8:9], v[154:155], v[138:139]
	v_add_f64 v[14:15], v[14:15], v[121:122]
	ds_read_b128 v[6:9], v1 offset:1008
	s_waitcnt vmcnt(43) lgkmcnt(1)
	v_mul_f64 v[138:139], v[4:5], v[156:157]
	v_mul_f64 v[121:122], v[2:3], v[156:157]
	s_waitcnt vmcnt(41)
	v_fma_f64 v[20:21], v[10:11], v[16:17], -v[20:21]
	v_fma_f64 v[16:17], v[12:13], v[16:17], v[130:131]
	ds_read_b128 v[10:13], v1 offset:1024
	v_add_f64 v[18:19], v[18:19], v[134:135]
	v_add_f64 v[14:15], v[14:15], v[132:133]
	s_waitcnt vmcnt(37) lgkmcnt(1)
	v_mul_f64 v[130:131], v[6:7], v[28:29]
	v_mul_f64 v[28:29], v[8:9], v[28:29]
	s_waitcnt vmcnt(36)
	v_fma_f64 v[132:133], v[2:3], v[161:162], -v[138:139]
	v_add_f64 v[18:19], v[18:19], v[20:21]
	v_fma_f64 v[20:21], v[4:5], v[161:162], v[121:122]
	v_add_f64 v[14:15], v[14:15], v[16:17]
	ds_read_b128 v[2:5], v1 offset:1040
	s_waitcnt vmcnt(35) lgkmcnt(1)
	v_mul_f64 v[121:122], v[12:13], v[146:147]
	v_mul_f64 v[16:17], v[10:11], v[146:147]
	s_waitcnt vmcnt(33)
	v_fma_f64 v[28:29], v[6:7], v[26:27], -v[28:29]
	v_fma_f64 v[26:27], v[8:9], v[26:27], v[130:131]
	ds_read_b128 v[6:9], v1 offset:1056
	v_add_f64 v[18:19], v[18:19], v[132:133]
	v_add_f64 v[14:15], v[14:15], v[20:21]
	s_waitcnt vmcnt(29) lgkmcnt(1)
	v_mul_f64 v[20:21], v[2:3], v[22:23]
	v_mul_f64 v[22:23], v[4:5], v[22:23]
	s_waitcnt vmcnt(28)
	v_fma_f64 v[121:122], v[10:11], v[163:164], -v[121:122]
	v_fma_f64 v[16:17], v[12:13], v[163:164], v[16:17]
	ds_read_b128 v[10:13], v1 offset:1072
	v_add_f64 v[18:19], v[18:19], v[28:29]
	v_add_f64 v[14:15], v[14:15], v[26:27]
	;; [unrolled: 9-line block ×3, first 2 shown]
	s_waitcnt vmcnt(21) lgkmcnt(1)
	v_mul_f64 v[24:25], v[12:13], v[30:31]
	s_waitcnt vmcnt(20)
	v_fma_f64 v[28:29], v[6:7], v[158:159], -v[28:29]
	v_mul_f64 v[16:17], v[10:11], v[30:31]
	v_add_f64 v[18:19], v[18:19], v[22:23]
	v_fma_f64 v[22:23], v[8:9], v[158:159], v[26:27]
	v_add_f64 v[14:15], v[14:15], v[20:21]
	ds_read_b128 v[6:9], v1 offset:1104
	s_waitcnt vmcnt(19) lgkmcnt(1)
	v_mul_f64 v[26:27], v[4:5], v[42:43]
	v_mul_f64 v[20:21], v[2:3], v[42:43]
	s_waitcnt vmcnt(17)
	v_fma_f64 v[24:25], v[10:11], v[34:35], -v[24:25]
	v_fma_f64 v[16:17], v[12:13], v[34:35], v[16:17]
	ds_read_b128 v[10:13], v1 offset:1120
	v_add_f64 v[18:19], v[18:19], v[28:29]
	v_add_f64 v[14:15], v[14:15], v[22:23]
	s_waitcnt vmcnt(13) lgkmcnt(1)
	v_mul_f64 v[28:29], v[8:9], v[32:33]
	s_waitcnt vmcnt(12)
	v_fma_f64 v[26:27], v[2:3], v[46:47], -v[26:27]
	v_mul_f64 v[22:23], v[6:7], v[32:33]
	v_fma_f64 v[20:21], v[4:5], v[46:47], v[20:21]
	ds_read_b128 v[1:4], v1 offset:1136
	v_add_f64 v[18:19], v[18:19], v[24:25]
	v_add_f64 v[14:15], v[14:15], v[16:17]
	s_waitcnt vmcnt(11) lgkmcnt(1)
	v_mul_f64 v[24:25], v[12:13], v[124:125]
	v_mul_f64 v[16:17], v[10:11], v[124:125]
	s_waitcnt vmcnt(9)
	v_fma_f64 v[5:6], v[6:7], v[36:37], -v[28:29]
	v_fma_f64 v[7:8], v[8:9], v[36:37], v[22:23]
	v_add_f64 v[18:19], v[18:19], v[26:27]
	v_add_f64 v[14:15], v[14:15], v[20:21]
	s_waitcnt vmcnt(7) lgkmcnt(0)
	v_mul_f64 v[22:23], v[3:4], v[40:41]
	s_waitcnt vmcnt(6)
	v_fma_f64 v[9:10], v[10:11], v[128:129], -v[24:25]
	v_mul_f64 v[20:21], v[1:2], v[40:41]
	v_fma_f64 v[11:12], v[12:13], v[128:129], v[16:17]
	v_add_f64 v[5:6], v[18:19], v[5:6]
	v_add_f64 v[7:8], v[14:15], v[7:8]
	s_waitcnt vmcnt(4)
	v_fma_f64 v[1:2], v[1:2], v[44:45], -v[22:23]
	v_fma_f64 v[3:4], v[3:4], v[44:45], v[20:21]
	v_add_f64 v[5:6], v[5:6], v[9:10]
	v_add_f64 v[7:8], v[7:8], v[11:12]
	;; [unrolled: 1-line block ×4, first 2 shown]
	s_waitcnt vmcnt(2)
	v_add_f64 v[1:2], v[126:127], -v[1:2]
	s_waitcnt vmcnt(0)
	v_add_f64 v[3:4], v[136:137], -v[3:4]
	buffer_store_dword v2, off, s[0:3], 0 offset:132
	buffer_store_dword v1, off, s[0:3], 0 offset:128
	;; [unrolled: 1-line block ×4, first 2 shown]
	v_cmpx_lt_u32_e32 6, v0
	s_cbranch_execz .LBB35_217
; %bb.216:
	v_mov_b32_e32 v4, s42
	v_mov_b32_e32 v5, 0
	s_clause 0x3
	buffer_load_dword v1, v4, s[0:3], 0 offen
	buffer_load_dword v2, v4, s[0:3], 0 offen offset:4
	buffer_load_dword v3, v4, s[0:3], 0 offen offset:8
	;; [unrolled: 1-line block ×3, first 2 shown]
	buffer_store_dword v5, off, s[0:3], 0 offset:112
	buffer_store_dword v5, off, s[0:3], 0 offset:116
	buffer_store_dword v5, off, s[0:3], 0 offset:120
	buffer_store_dword v5, off, s[0:3], 0 offset:124
	s_waitcnt vmcnt(0)
	ds_write_b128 v123, v[1:4]
.LBB35_217:
	s_or_b32 exec_lo, exec_lo, s4
	s_waitcnt lgkmcnt(0)
	s_waitcnt_vscnt null, 0x0
	s_barrier
	buffer_gl0_inv
	s_clause 0x37
	buffer_load_dword v9, off, s[0:3], 0 offset:136
	buffer_load_dword v10, off, s[0:3], 0 offset:140
	;; [unrolled: 1-line block ×56, first 2 shown]
	v_mov_b32_e32 v11, 0
	s_mov_b32 s4, exec_lo
	ds_read_b128 v[5:8], v11 offset:688
	s_clause 0x2
	buffer_load_dword v143, off, s[0:3], 0 offset:364
	buffer_load_dword v147, off, s[0:3], 0 offset:340
	;; [unrolled: 1-line block ×3, first 2 shown]
	ds_read_b128 v[12:15], v11 offset:704
	s_clause 0x4
	buffer_load_dword v151, off, s[0:3], 0 offset:380
	buffer_load_dword v152, off, s[0:3], 0 offset:392
	;; [unrolled: 1-line block ×5, first 2 shown]
	ds_read_b128 v[16:19], v11 offset:720
	s_waitcnt vmcnt(62) lgkmcnt(2)
	v_mul_f64 v[148:149], v[7:8], v[9:10]
	v_mul_f64 v[9:10], v[5:6], v[9:10]
	s_waitcnt vmcnt(60) lgkmcnt(1)
	v_mul_f64 v[155:156], v[14:15], v[20:21]
	v_mul_f64 v[20:21], v[12:13], v[20:21]
	;; [unrolled: 3-line block ×3, first 2 shown]
	v_fma_f64 v[148:149], v[5:6], v[22:23], -v[148:149]
	v_fma_f64 v[9:10], v[7:8], v[22:23], v[9:10]
	s_clause 0x2
	buffer_load_dword v153, off, s[0:3], 0 offset:396
	buffer_load_dword v23, off, s[0:3], 0 offset:372
	;; [unrolled: 1-line block ×3, first 2 shown]
	s_waitcnt vmcnt(57)
	v_fma_f64 v[12:13], v[12:13], v[1:2], -v[155:156]
	ds_read_b128 v[5:8], v11 offset:736
	v_fma_f64 v[14:15], v[14:15], v[1:2], v[20:21]
	s_clause 0x4
	buffer_load_dword v21, off, s[0:3], 0 offset:412
	buffer_load_dword v156, off, s[0:3], 0 offset:424
	;; [unrolled: 1-line block ×5, first 2 shown]
	s_waitcnt vmcnt(56)
	v_fma_f64 v[16:17], v[16:17], v[30:31], -v[159:160]
	ds_read_b128 v[1:4], v11 offset:752
	v_fma_f64 v[18:19], v[18:19], v[30:31], v[157:158]
	s_clause 0x2
	buffer_load_dword v157, off, s[0:3], 0 offset:428
	buffer_load_dword v31, off, s[0:3], 0 offset:404
	;; [unrolled: 1-line block ×3, first 2 shown]
	v_add_f64 v[148:149], v[148:149], 0
	v_add_f64 v[9:10], v[9:10], 0
	s_waitcnt lgkmcnt(1)
	v_mul_f64 v[162:163], v[5:6], v[24:25]
	v_mul_f64 v[24:25], v[7:8], v[24:25]
	s_waitcnt vmcnt(58) lgkmcnt(0)
	v_mul_f64 v[158:159], v[1:2], v[26:27]
	v_mul_f64 v[26:27], v[3:4], v[26:27]
	v_add_f64 v[148:149], v[148:149], v[12:13]
	v_add_f64 v[9:10], v[9:10], v[14:15]
	ds_read_b128 v[12:15], v11 offset:768
	s_waitcnt vmcnt(56)
	v_fma_f64 v[24:25], v[5:6], v[32:33], -v[24:25]
	v_fma_f64 v[32:33], v[7:8], v[32:33], v[162:163]
	s_waitcnt vmcnt(51)
	v_fma_f64 v[26:27], v[1:2], v[28:29], -v[26:27]
	s_waitcnt lgkmcnt(0)
	v_mul_f64 v[164:165], v[12:13], v[34:35]
	v_add_f64 v[16:17], v[148:149], v[16:17]
	v_add_f64 v[9:10], v[9:10], v[18:19]
	s_clause 0x4
	buffer_load_dword v19, off, s[0:3], 0 offset:444
	buffer_load_dword v148, off, s[0:3], 0 offset:456
	buffer_load_dword v163, off, s[0:3], 0 offset:448
	buffer_load_dword v18, off, s[0:3], 0 offset:440
	buffer_load_dword v162, off, s[0:3], 0 offset:420
	v_mul_f64 v[34:35], v[14:15], v[34:35]
	ds_read_b128 v[5:8], v11 offset:784
	v_add_f64 v[16:17], v[16:17], v[24:25]
	v_fma_f64 v[24:25], v[3:4], v[28:29], v[158:159]
	v_add_f64 v[9:10], v[9:10], v[32:33]
	s_clause 0x2
	buffer_load_dword v149, off, s[0:3], 0 offset:460
	buffer_load_dword v29, off, s[0:3], 0 offset:436
	;; [unrolled: 1-line block ×3, first 2 shown]
	s_waitcnt vmcnt(58) lgkmcnt(0)
	v_mul_f64 v[32:33], v[5:6], v[36:37]
	v_mul_f64 v[36:37], v[7:8], v[36:37]
	s_waitcnt vmcnt(56)
	v_fma_f64 v[34:35], v[12:13], v[40:41], -v[34:35]
	ds_read_b128 v[1:4], v11 offset:800
	v_add_f64 v[16:17], v[16:17], v[26:27]
	v_fma_f64 v[26:27], v[14:15], v[40:41], v[164:165]
	v_add_f64 v[9:10], v[9:10], v[24:25]
	s_clause 0x4
	buffer_load_dword v25, off, s[0:3], 0 offset:476
	buffer_load_dword v40, off, s[0:3], 0 offset:488
	;; [unrolled: 1-line block ×5, first 2 shown]
	ds_read_b128 v[12:15], v11 offset:816
	s_waitcnt vmcnt(57) lgkmcnt(1)
	v_mul_f64 v[159:160], v[1:2], v[42:43]
	v_mul_f64 v[42:43], v[3:4], v[42:43]
	s_waitcnt vmcnt(56)
	v_fma_f64 v[36:37], v[5:6], v[38:39], -v[36:37]
	v_fma_f64 v[32:33], v[7:8], v[38:39], v[32:33]
	v_add_f64 v[16:17], v[16:17], v[34:35]
	v_add_f64 v[9:10], v[9:10], v[26:27]
	s_clause 0x2
	buffer_load_dword v41, off, s[0:3], 0 offset:492
	buffer_load_dword v27, off, s[0:3], 0 offset:468
	;; [unrolled: 1-line block ×3, first 2 shown]
	s_waitcnt vmcnt(58) lgkmcnt(0)
	v_mul_f64 v[38:39], v[14:15], v[44:45]
	ds_read_b128 v[5:8], v11 offset:832
	s_waitcnt vmcnt(56)
	v_fma_f64 v[42:43], v[1:2], v[121:122], -v[42:43]
	v_mul_f64 v[34:35], v[12:13], v[44:45]
	v_add_f64 v[16:17], v[16:17], v[36:37]
	v_fma_f64 v[36:37], v[3:4], v[121:122], v[159:160]
	v_add_f64 v[9:10], v[9:10], v[32:33]
	s_clause 0x4
	buffer_load_dword v33, off, s[0:3], 0 offset:508
	buffer_load_dword v44, off, s[0:3], 0 offset:520
	buffer_load_dword v121, off, s[0:3], 0 offset:512
	buffer_load_dword v32, off, s[0:3], 0 offset:504
	buffer_load_dword v159, off, s[0:3], 0 offset:484
	s_waitcnt vmcnt(57) lgkmcnt(0)
	v_mul_f64 v[165:166], v[5:6], v[124:125]
	v_mul_f64 v[124:125], v[7:8], v[124:125]
	s_waitcnt vmcnt(56)
	v_fma_f64 v[38:39], v[12:13], v[46:47], -v[38:39]
	ds_read_b128 v[1:4], v11 offset:848
	v_fma_f64 v[34:35], v[14:15], v[46:47], v[34:35]
	v_add_f64 v[16:17], v[16:17], v[42:43]
	v_add_f64 v[9:10], v[9:10], v[36:37]
	s_clause 0x2
	buffer_load_dword v45, off, s[0:3], 0 offset:524
	buffer_load_dword v37, off, s[0:3], 0 offset:500
	buffer_load_dword v36, off, s[0:3], 0 offset:496
	ds_read_b128 v[12:15], v11 offset:864
	s_waitcnt vmcnt(58) lgkmcnt(1)
	v_mul_f64 v[46:47], v[3:4], v[126:127]
	s_waitcnt vmcnt(56)
	v_fma_f64 v[124:125], v[5:6], v[130:131], -v[124:125]
	v_mul_f64 v[42:43], v[1:2], v[126:127]
	v_add_f64 v[16:17], v[16:17], v[38:39]
	v_fma_f64 v[38:39], v[7:8], v[130:131], v[165:166]
	v_add_f64 v[9:10], v[9:10], v[34:35]
	s_clause 0x4
	buffer_load_dword v35, off, s[0:3], 0 offset:540
	buffer_load_dword v126, off, s[0:3], 0 offset:552
	buffer_load_dword v130, off, s[0:3], 0 offset:544
	buffer_load_dword v34, off, s[0:3], 0 offset:536
	buffer_load_dword v122, off, s[0:3], 0 offset:516
	s_waitcnt vmcnt(57) lgkmcnt(0)
	v_mul_f64 v[165:166], v[12:13], v[132:133]
	v_mul_f64 v[131:132], v[14:15], v[132:133]
	s_waitcnt vmcnt(56)
	v_fma_f64 v[46:47], v[1:2], v[128:129], -v[46:47]
	ds_read_b128 v[5:8], v11 offset:880
	v_fma_f64 v[42:43], v[3:4], v[128:129], v[42:43]
	v_add_f64 v[16:17], v[16:17], v[124:125]
	v_add_f64 v[9:10], v[9:10], v[38:39]
	s_clause 0x2
	buffer_load_dword v127, off, s[0:3], 0 offset:556
	buffer_load_dword v39, off, s[0:3], 0 offset:532
	buffer_load_dword v38, off, s[0:3], 0 offset:528
	ds_read_b128 v[1:4], v11 offset:896
	s_waitcnt vmcnt(58) lgkmcnt(1)
	v_mul_f64 v[128:129], v[7:8], v[134:135]
	;; [unrolled: 28-line block ×3, first 2 shown]
	s_waitcnt vmcnt(56)
	v_fma_f64 v[140:141], v[1:2], v[146:147], -v[139:140]
	v_mul_f64 v[132:133], v[12:13], v[142:143]
	buffer_load_dword v139, off, s[0:3], 0 offset:580
	v_add_f64 v[16:17], v[16:17], v[128:129]
	v_fma_f64 v[128:129], v[3:4], v[146:147], v[165:166]
	v_add_f64 v[9:10], v[9:10], v[124:125]
	ds_read_b128 v[1:4], v11 offset:944
	s_waitcnt vmcnt(53) lgkmcnt(1)
	v_mul_f64 v[142:143], v[7:8], v[150:151]
	s_waitcnt vmcnt(52)
	v_fma_f64 v[136:137], v[12:13], v[144:145], -v[136:137]
	v_mul_f64 v[124:125], v[5:6], v[150:151]
	v_fma_f64 v[132:133], v[14:15], v[144:145], v[132:133]
	ds_read_b128 v[12:15], v11 offset:960
	v_add_f64 v[16:17], v[16:17], v[140:141]
	v_add_f64 v[9:10], v[9:10], v[128:129]
	s_waitcnt vmcnt(51) lgkmcnt(1)
	v_mul_f64 v[140:141], v[3:4], v[152:153]
	v_mul_f64 v[128:129], v[1:2], v[152:153]
	s_waitcnt vmcnt(49)
	v_fma_f64 v[142:143], v[5:6], v[22:23], -v[142:143]
	v_fma_f64 v[22:23], v[7:8], v[22:23], v[124:125]
	v_add_f64 v[16:17], v[16:17], v[136:137]
	s_waitcnt vmcnt(45) lgkmcnt(0)
	v_mul_f64 v[136:137], v[12:13], v[20:21]
	v_add_f64 v[9:10], v[9:10], v[132:133]
	s_clause 0x3
	buffer_load_dword v124, off, s[0:3], 0 offset:112
	buffer_load_dword v125, off, s[0:3], 0 offset:116
	;; [unrolled: 1-line block ×4, first 2 shown]
	v_mul_f64 v[20:21], v[14:15], v[20:21]
	ds_read_b128 v[5:8], v11 offset:976
	s_waitcnt vmcnt(48)
	v_fma_f64 v[140:141], v[1:2], v[154:155], -v[140:141]
	v_fma_f64 v[128:129], v[3:4], v[154:155], v[128:129]
	ds_read_b128 v[1:4], v11 offset:992
	v_add_f64 v[16:17], v[16:17], v[142:143]
	v_add_f64 v[9:10], v[9:10], v[22:23]
	s_waitcnt vmcnt(47) lgkmcnt(1)
	v_mul_f64 v[142:143], v[7:8], v[156:157]
	s_waitcnt vmcnt(45)
	v_fma_f64 v[20:21], v[12:13], v[30:31], -v[20:21]
	v_mul_f64 v[22:23], v[5:6], v[156:157]
	v_fma_f64 v[30:31], v[14:15], v[30:31], v[136:137]
	ds_read_b128 v[12:15], v11 offset:1008
	v_add_f64 v[16:17], v[16:17], v[140:141]
	v_add_f64 v[9:10], v[9:10], v[128:129]
	s_waitcnt vmcnt(41) lgkmcnt(1)
	v_mul_f64 v[128:129], v[1:2], v[18:19]
	v_mul_f64 v[18:19], v[3:4], v[18:19]
	s_waitcnt vmcnt(40)
	v_fma_f64 v[136:137], v[5:6], v[161:162], -v[142:143]
	v_add_f64 v[16:17], v[16:17], v[20:21]
	v_fma_f64 v[20:21], v[7:8], v[161:162], v[22:23]
	v_add_f64 v[9:10], v[9:10], v[30:31]
	ds_read_b128 v[5:8], v11 offset:1024
	s_waitcnt vmcnt(39) lgkmcnt(1)
	v_mul_f64 v[30:31], v[14:15], v[148:149]
	v_mul_f64 v[22:23], v[12:13], v[148:149]
	s_waitcnt vmcnt(37)
	v_fma_f64 v[18:19], v[1:2], v[28:29], -v[18:19]
	v_fma_f64 v[28:29], v[3:4], v[28:29], v[128:129]
	ds_read_b128 v[1:4], v11 offset:1040
	v_add_f64 v[16:17], v[16:17], v[136:137]
	v_add_f64 v[9:10], v[9:10], v[20:21]
	s_waitcnt vmcnt(33) lgkmcnt(1)
	v_mul_f64 v[20:21], v[5:6], v[24:25]
	v_mul_f64 v[24:25], v[7:8], v[24:25]
	s_waitcnt vmcnt(32)
	v_fma_f64 v[30:31], v[12:13], v[163:164], -v[30:31]
	v_add_f64 v[16:17], v[16:17], v[18:19]
	v_fma_f64 v[18:19], v[14:15], v[163:164], v[22:23]
	v_add_f64 v[9:10], v[9:10], v[28:29]
	ds_read_b128 v[12:15], v11 offset:1056
	s_waitcnt vmcnt(31) lgkmcnt(1)
	v_mul_f64 v[28:29], v[3:4], v[40:41]
	v_mul_f64 v[22:23], v[1:2], v[40:41]
	s_waitcnt vmcnt(29)
	v_fma_f64 v[24:25], v[5:6], v[26:27], -v[24:25]
	v_fma_f64 v[20:21], v[7:8], v[26:27], v[20:21]
	ds_read_b128 v[5:8], v11 offset:1072
	v_add_f64 v[16:17], v[16:17], v[30:31]
	v_add_f64 v[9:10], v[9:10], v[18:19]
	s_waitcnt vmcnt(25) lgkmcnt(1)
	v_mul_f64 v[26:27], v[14:15], v[32:33]
	s_waitcnt vmcnt(24)
	v_fma_f64 v[28:29], v[1:2], v[158:159], -v[28:29]
	v_mul_f64 v[18:19], v[12:13], v[32:33]
	v_fma_f64 v[22:23], v[3:4], v[158:159], v[22:23]
	ds_read_b128 v[1:4], v11 offset:1088
	v_add_f64 v[16:17], v[16:17], v[24:25]
	v_add_f64 v[9:10], v[9:10], v[20:21]
	s_waitcnt vmcnt(23) lgkmcnt(1)
	v_mul_f64 v[24:25], v[7:8], v[44:45]
	v_mul_f64 v[20:21], v[5:6], v[44:45]
	s_waitcnt vmcnt(21)
	v_fma_f64 v[26:27], v[12:13], v[36:37], -v[26:27]
	v_fma_f64 v[18:19], v[14:15], v[36:37], v[18:19]
	ds_read_b128 v[12:15], v11 offset:1104
	v_add_f64 v[16:17], v[16:17], v[28:29]
	v_add_f64 v[9:10], v[9:10], v[22:23]
	s_waitcnt vmcnt(17) lgkmcnt(1)
	v_mul_f64 v[28:29], v[3:4], v[34:35]
	s_waitcnt vmcnt(16)
	v_fma_f64 v[24:25], v[5:6], v[121:122], -v[24:25]
	v_mul_f64 v[22:23], v[1:2], v[34:35]
	v_fma_f64 v[20:21], v[7:8], v[121:122], v[20:21]
	ds_read_b128 v[5:8], v11 offset:1120
	v_add_f64 v[16:17], v[16:17], v[26:27]
	v_add_f64 v[9:10], v[9:10], v[18:19]
	s_waitcnt vmcnt(15) lgkmcnt(1)
	v_mul_f64 v[26:27], v[14:15], v[126:127]
	v_mul_f64 v[18:19], v[12:13], v[126:127]
	s_waitcnt vmcnt(13)
	v_fma_f64 v[28:29], v[1:2], v[38:39], -v[28:29]
	v_fma_f64 v[22:23], v[3:4], v[38:39], v[22:23]
	ds_read_b128 v[1:4], v11 offset:1136
	v_add_f64 v[16:17], v[16:17], v[24:25]
	v_add_f64 v[9:10], v[9:10], v[20:21]
	s_waitcnt vmcnt(9) lgkmcnt(1)
	v_mul_f64 v[24:25], v[7:8], v[42:43]
	s_waitcnt vmcnt(8)
	v_fma_f64 v[12:13], v[12:13], v[130:131], -v[26:27]
	v_mul_f64 v[20:21], v[5:6], v[42:43]
	v_fma_f64 v[14:15], v[14:15], v[130:131], v[18:19]
	v_add_f64 v[16:17], v[16:17], v[28:29]
	v_add_f64 v[9:10], v[9:10], v[22:23]
	s_waitcnt vmcnt(7) lgkmcnt(0)
	v_mul_f64 v[22:23], v[3:4], v[134:135]
	v_mul_f64 v[18:19], v[1:2], v[134:135]
	s_waitcnt vmcnt(5)
	v_fma_f64 v[5:6], v[5:6], v[46:47], -v[24:25]
	v_fma_f64 v[7:8], v[7:8], v[46:47], v[20:21]
	v_add_f64 v[12:13], v[16:17], v[12:13]
	v_add_f64 v[9:10], v[9:10], v[14:15]
	s_waitcnt vmcnt(4)
	v_fma_f64 v[1:2], v[1:2], v[138:139], -v[22:23]
	v_fma_f64 v[3:4], v[3:4], v[138:139], v[18:19]
	v_add_f64 v[5:6], v[12:13], v[5:6]
	v_add_f64 v[7:8], v[9:10], v[7:8]
	;; [unrolled: 1-line block ×4, first 2 shown]
	s_waitcnt vmcnt(2)
	v_add_f64 v[1:2], v[124:125], -v[1:2]
	s_waitcnt vmcnt(0)
	v_add_f64 v[3:4], v[132:133], -v[3:4]
	buffer_store_dword v2, off, s[0:3], 0 offset:116
	buffer_store_dword v1, off, s[0:3], 0 offset:112
	;; [unrolled: 1-line block ×4, first 2 shown]
	v_cmpx_lt_u32_e32 5, v0
	s_cbranch_execz .LBB35_219
; %bb.218:
	v_mov_b32_e32 v4, s43
	s_clause 0x3
	buffer_load_dword v1, v4, s[0:3], 0 offen
	buffer_load_dword v2, v4, s[0:3], 0 offen offset:4
	buffer_load_dword v3, v4, s[0:3], 0 offen offset:8
	buffer_load_dword v4, v4, s[0:3], 0 offen offset:12
	buffer_store_dword v11, off, s[0:3], 0 offset:96
	buffer_store_dword v11, off, s[0:3], 0 offset:100
	;; [unrolled: 1-line block ×4, first 2 shown]
	s_waitcnt vmcnt(0)
	ds_write_b128 v123, v[1:4]
.LBB35_219:
	s_or_b32 exec_lo, exec_lo, s4
	s_waitcnt lgkmcnt(0)
	s_waitcnt_vscnt null, 0x0
	s_barrier
	buffer_gl0_inv
	s_clause 0x37
	buffer_load_dword v9, off, s[0:3], 0 offset:120
	buffer_load_dword v10, off, s[0:3], 0 offset:124
	;; [unrolled: 1-line block ×56, first 2 shown]
	ds_read_b128 v[12:15], v11 offset:672
	s_clause 0x2
	buffer_load_dword v143, off, s[0:3], 0 offset:348
	buffer_load_dword v147, off, s[0:3], 0 offset:324
	;; [unrolled: 1-line block ×3, first 2 shown]
	ds_read_b128 v[16:19], v11 offset:688
	s_clause 0x4
	buffer_load_dword v151, off, s[0:3], 0 offset:364
	buffer_load_dword v152, off, s[0:3], 0 offset:376
	buffer_load_dword v154, off, s[0:3], 0 offset:368
	buffer_load_dword v150, off, s[0:3], 0 offset:360
	buffer_load_dword v145, off, s[0:3], 0 offset:340
	ds_read_b128 v[20:23], v11 offset:704
	s_clause 0x2
	buffer_load_dword v153, off, s[0:3], 0 offset:380
	buffer_load_dword v158, off, s[0:3], 0 offset:356
	;; [unrolled: 1-line block ×3, first 2 shown]
	s_mov_b32 s4, exec_lo
	s_waitcnt vmcnt(62) lgkmcnt(2)
	v_mul_f64 v[148:149], v[14:15], v[9:10]
	v_mul_f64 v[9:10], v[12:13], v[9:10]
	s_waitcnt lgkmcnt(1)
	v_mul_f64 v[155:156], v[18:19], v[5:6]
	s_waitcnt vmcnt(59) lgkmcnt(0)
	v_mul_f64 v[159:160], v[22:23], v[3:4]
	v_fma_f64 v[12:13], v[12:13], v[7:8], -v[148:149]
	v_mul_f64 v[148:149], v[16:17], v[5:6]
	v_fma_f64 v[9:10], v[14:15], v[7:8], v[9:10]
	s_waitcnt vmcnt(57)
	v_fma_f64 v[16:17], v[16:17], v[1:2], -v[155:156]
	ds_read_b128 v[5:8], v11 offset:720
	v_mul_f64 v[14:15], v[20:21], v[3:4]
	s_waitcnt vmcnt(51)
	v_fma_f64 v[20:21], v[20:21], v[30:31], -v[159:160]
	v_add_f64 v[12:13], v[12:13], 0
	v_fma_f64 v[18:19], v[18:19], v[1:2], v[148:149]
	v_add_f64 v[9:10], v[9:10], 0
	s_clause 0x4
	buffer_load_dword v149, off, s[0:3], 0 offset:396
	buffer_load_dword v161, off, s[0:3], 0 offset:408
	;; [unrolled: 1-line block ×5, first 2 shown]
	s_waitcnt lgkmcnt(0)
	v_mul_f64 v[164:165], v[5:6], v[24:25]
	v_mul_f64 v[24:25], v[7:8], v[24:25]
	ds_read_b128 v[1:4], v11 offset:736
	v_fma_f64 v[22:23], v[22:23], v[30:31], v[14:15]
	v_add_f64 v[16:17], v[12:13], v[16:17]
	v_add_f64 v[9:10], v[9:10], v[18:19]
	s_clause 0x2
	buffer_load_dword v162, off, s[0:3], 0 offset:412
	buffer_load_dword v19, off, s[0:3], 0 offset:388
	;; [unrolled: 1-line block ×3, first 2 shown]
	s_waitcnt vmcnt(58) lgkmcnt(0)
	v_mul_f64 v[30:31], v[1:2], v[26:27]
	v_mul_f64 v[26:27], v[3:4], v[26:27]
	s_waitcnt vmcnt(56)
	v_fma_f64 v[24:25], v[5:6], v[32:33], -v[24:25]
	ds_read_b128 v[12:15], v11 offset:752
	v_add_f64 v[16:17], v[16:17], v[20:21]
	v_fma_f64 v[20:21], v[7:8], v[32:33], v[164:165]
	v_add_f64 v[9:10], v[9:10], v[22:23]
	s_clause 0x4
	buffer_load_dword v23, off, s[0:3], 0 offset:428
	buffer_load_dword v32, off, s[0:3], 0 offset:440
	;; [unrolled: 1-line block ×5, first 2 shown]
	ds_read_b128 v[5:8], v11 offset:768
	s_waitcnt vmcnt(57) lgkmcnt(1)
	v_mul_f64 v[165:166], v[12:13], v[34:35]
	v_mul_f64 v[34:35], v[14:15], v[34:35]
	s_waitcnt vmcnt(56)
	v_fma_f64 v[26:27], v[1:2], v[28:29], -v[26:27]
	v_add_f64 v[16:17], v[16:17], v[24:25]
	v_fma_f64 v[24:25], v[3:4], v[28:29], v[30:31]
	v_add_f64 v[9:10], v[9:10], v[20:21]
	s_clause 0x2
	buffer_load_dword v33, off, s[0:3], 0 offset:444
	buffer_load_dword v21, off, s[0:3], 0 offset:420
	;; [unrolled: 1-line block ×3, first 2 shown]
	s_waitcnt vmcnt(58) lgkmcnt(0)
	v_mul_f64 v[30:31], v[7:8], v[36:37]
	ds_read_b128 v[1:4], v11 offset:784
	s_waitcnt vmcnt(56)
	v_fma_f64 v[34:35], v[12:13], v[40:41], -v[34:35]
	v_mul_f64 v[28:29], v[5:6], v[36:37]
	v_add_f64 v[16:17], v[16:17], v[26:27]
	v_fma_f64 v[26:27], v[14:15], v[40:41], v[165:166]
	v_add_f64 v[9:10], v[9:10], v[24:25]
	s_clause 0x4
	buffer_load_dword v25, off, s[0:3], 0 offset:460
	buffer_load_dword v36, off, s[0:3], 0 offset:472
	buffer_load_dword v40, off, s[0:3], 0 offset:464
	buffer_load_dword v24, off, s[0:3], 0 offset:456
	buffer_load_dword v160, off, s[0:3], 0 offset:436
	s_waitcnt vmcnt(57) lgkmcnt(0)
	v_mul_f64 v[165:166], v[1:2], v[42:43]
	v_mul_f64 v[41:42], v[3:4], v[42:43]
	s_waitcnt vmcnt(56)
	v_fma_f64 v[30:31], v[5:6], v[38:39], -v[30:31]
	ds_read_b128 v[12:15], v11 offset:800
	v_fma_f64 v[28:29], v[7:8], v[38:39], v[28:29]
	v_add_f64 v[16:17], v[16:17], v[34:35]
	v_add_f64 v[9:10], v[9:10], v[26:27]
	s_clause 0x2
	buffer_load_dword v37, off, s[0:3], 0 offset:476
	buffer_load_dword v27, off, s[0:3], 0 offset:452
	buffer_load_dword v26, off, s[0:3], 0 offset:448
	ds_read_b128 v[5:8], v11 offset:816
	s_waitcnt vmcnt(58) lgkmcnt(1)
	v_mul_f64 v[38:39], v[14:15], v[44:45]
	s_waitcnt vmcnt(56)
	v_fma_f64 v[42:43], v[1:2], v[121:122], -v[41:42]
	v_mul_f64 v[34:35], v[12:13], v[44:45]
	v_add_f64 v[16:17], v[16:17], v[30:31]
	v_fma_f64 v[30:31], v[3:4], v[121:122], v[165:166]
	v_add_f64 v[9:10], v[9:10], v[28:29]
	s_clause 0x4
	buffer_load_dword v29, off, s[0:3], 0 offset:492
	buffer_load_dword v44, off, s[0:3], 0 offset:504
	buffer_load_dword v121, off, s[0:3], 0 offset:496
	buffer_load_dword v28, off, s[0:3], 0 offset:488
	buffer_load_dword v41, off, s[0:3], 0 offset:468
	s_waitcnt vmcnt(57) lgkmcnt(0)
	v_mul_f64 v[165:166], v[5:6], v[124:125]
	v_mul_f64 v[124:125], v[7:8], v[124:125]
	s_waitcnt vmcnt(56)
	v_fma_f64 v[38:39], v[12:13], v[46:47], -v[38:39]
	ds_read_b128 v[1:4], v11 offset:832
	v_fma_f64 v[34:35], v[14:15], v[46:47], v[34:35]
	v_add_f64 v[16:17], v[16:17], v[42:43]
	v_add_f64 v[9:10], v[9:10], v[30:31]
	s_clause 0x2
	buffer_load_dword v45, off, s[0:3], 0 offset:508
	buffer_load_dword v31, off, s[0:3], 0 offset:484
	buffer_load_dword v30, off, s[0:3], 0 offset:480
	ds_read_b128 v[12:15], v11 offset:848
	s_waitcnt vmcnt(58) lgkmcnt(1)
	v_mul_f64 v[46:47], v[3:4], v[126:127]
	;; [unrolled: 28-line block ×4, first 2 shown]
	s_waitcnt vmcnt(56)
	v_fma_f64 v[140:141], v[1:2], v[146:147], -v[139:140]
	v_mul_f64 v[132:133], v[12:13], v[142:143]
	v_add_f64 v[16:17], v[16:17], v[128:129]
	v_fma_f64 v[128:129], v[3:4], v[146:147], v[165:166]
	v_add_f64 v[9:10], v[9:10], v[124:125]
	s_clause 0x2
	buffer_load_dword v125, off, s[0:3], 0 offset:588
	buffer_load_dword v124, off, s[0:3], 0 offset:584
	;; [unrolled: 1-line block ×3, first 2 shown]
	s_waitcnt vmcnt(55) lgkmcnt(0)
	v_mul_f64 v[146:147], v[7:8], v[150:151]
	s_waitcnt vmcnt(54)
	v_fma_f64 v[136:137], v[12:13], v[144:145], -v[136:137]
	ds_read_b128 v[1:4], v11 offset:928
	v_mul_f64 v[142:143], v[5:6], v[150:151]
	v_fma_f64 v[132:133], v[14:15], v[144:145], v[132:133]
	v_add_f64 v[16:17], v[16:17], v[140:141]
	v_add_f64 v[9:10], v[9:10], v[128:129]
	s_clause 0x1
	buffer_load_dword v129, off, s[0:3], 0 offset:580
	buffer_load_dword v128, off, s[0:3], 0 offset:576
	s_waitcnt vmcnt(55) lgkmcnt(0)
	v_mul_f64 v[144:145], v[3:4], v[152:153]
	s_waitcnt vmcnt(53)
	v_fma_f64 v[146:147], v[5:6], v[157:158], -v[146:147]
	ds_read_b128 v[12:15], v11 offset:944
	v_mul_f64 v[140:141], v[1:2], v[152:153]
	v_add_f64 v[16:17], v[16:17], v[136:137]
	v_fma_f64 v[136:137], v[7:8], v[157:158], v[142:143]
	v_add_f64 v[9:10], v[9:10], v[132:133]
	ds_read_b128 v[5:8], v11 offset:960
	s_waitcnt vmcnt(49) lgkmcnt(1)
	v_mul_f64 v[142:143], v[14:15], v[148:149]
	s_waitcnt vmcnt(48)
	v_fma_f64 v[144:145], v[1:2], v[154:155], -v[144:145]
	v_mul_f64 v[132:133], v[12:13], v[148:149]
	v_fma_f64 v[140:141], v[3:4], v[154:155], v[140:141]
	v_add_f64 v[16:17], v[16:17], v[146:147]
	v_add_f64 v[9:10], v[9:10], v[136:137]
	s_clause 0x3
	buffer_load_dword v136, off, s[0:3], 0 offset:96
	buffer_load_dword v137, off, s[0:3], 0 offset:100
	;; [unrolled: 1-line block ×4, first 2 shown]
	ds_read_b128 v[1:4], v11 offset:976
	s_waitcnt vmcnt(51) lgkmcnt(1)
	v_mul_f64 v[150:151], v[7:8], v[161:162]
	v_mul_f64 v[148:149], v[5:6], v[161:162]
	s_waitcnt vmcnt(49)
	v_fma_f64 v[142:143], v[12:13], v[18:19], -v[142:143]
	v_fma_f64 v[18:19], v[14:15], v[18:19], v[132:133]
	ds_read_b128 v[12:15], v11 offset:992
	v_add_f64 v[16:17], v[16:17], v[144:145]
	v_add_f64 v[9:10], v[9:10], v[140:141]
	s_waitcnt vmcnt(45) lgkmcnt(1)
	v_mul_f64 v[132:133], v[1:2], v[22:23]
	v_mul_f64 v[22:23], v[3:4], v[22:23]
	s_waitcnt vmcnt(44)
	v_fma_f64 v[140:141], v[5:6], v[163:164], -v[150:151]
	v_add_f64 v[16:17], v[16:17], v[142:143]
	v_fma_f64 v[142:143], v[7:8], v[163:164], v[148:149]
	v_add_f64 v[9:10], v[9:10], v[18:19]
	ds_read_b128 v[5:8], v11 offset:1008
	s_waitcnt vmcnt(43) lgkmcnt(1)
	v_mul_f64 v[18:19], v[12:13], v[32:33]
	v_mul_f64 v[32:33], v[14:15], v[32:33]
	s_waitcnt vmcnt(41)
	v_fma_f64 v[22:23], v[1:2], v[20:21], -v[22:23]
	v_fma_f64 v[20:21], v[3:4], v[20:21], v[132:133]
	ds_read_b128 v[1:4], v11 offset:1024
	v_add_f64 v[16:17], v[16:17], v[140:141]
	v_add_f64 v[9:10], v[9:10], v[142:143]
	s_waitcnt vmcnt(37) lgkmcnt(1)
	v_mul_f64 v[132:133], v[5:6], v[24:25]
	v_mul_f64 v[24:25], v[7:8], v[24:25]
	s_waitcnt vmcnt(36)
	v_fma_f64 v[32:33], v[12:13], v[159:160], -v[32:33]
	v_fma_f64 v[18:19], v[14:15], v[159:160], v[18:19]
	ds_read_b128 v[12:15], v11 offset:1040
	v_add_f64 v[16:17], v[16:17], v[22:23]
	v_add_f64 v[9:10], v[9:10], v[20:21]
	;; [unrolled: 9-line block ×5, first 2 shown]
	s_waitcnt vmcnt(21) lgkmcnt(1)
	v_mul_f64 v[22:23], v[3:4], v[34:35]
	s_waitcnt vmcnt(20)
	v_fma_f64 v[26:27], v[5:6], v[121:122], -v[26:27]
	v_mul_f64 v[20:21], v[1:2], v[34:35]
	v_fma_f64 v[24:25], v[7:8], v[121:122], v[24:25]
	ds_read_b128 v[5:8], v11 offset:1104
	v_add_f64 v[16:17], v[16:17], v[28:29]
	v_add_f64 v[9:10], v[9:10], v[18:19]
	s_waitcnt vmcnt(19) lgkmcnt(1)
	v_mul_f64 v[28:29], v[14:15], v[126:127]
	v_mul_f64 v[18:19], v[12:13], v[126:127]
	s_waitcnt vmcnt(17)
	v_fma_f64 v[22:23], v[1:2], v[38:39], -v[22:23]
	v_fma_f64 v[20:21], v[3:4], v[38:39], v[20:21]
	ds_read_b128 v[1:4], v11 offset:1120
	v_add_f64 v[16:17], v[16:17], v[26:27]
	v_add_f64 v[9:10], v[9:10], v[24:25]
	s_waitcnt vmcnt(13) lgkmcnt(1)
	v_mul_f64 v[26:27], v[7:8], v[42:43]
	s_waitcnt vmcnt(12)
	v_fma_f64 v[28:29], v[12:13], v[130:131], -v[28:29]
	v_mul_f64 v[24:25], v[5:6], v[42:43]
	v_fma_f64 v[13:14], v[14:15], v[130:131], v[18:19]
	v_add_f64 v[16:17], v[16:17], v[22:23]
	v_add_f64 v[18:19], v[9:10], v[20:21]
	ds_read_b128 v[9:12], v11 offset:1136
	s_waitcnt vmcnt(11) lgkmcnt(1)
	v_mul_f64 v[22:23], v[3:4], v[134:135]
	v_mul_f64 v[20:21], v[1:2], v[134:135]
	s_waitcnt vmcnt(9)
	v_fma_f64 v[5:6], v[5:6], v[46:47], -v[26:27]
	v_fma_f64 v[7:8], v[7:8], v[46:47], v[24:25]
	v_add_f64 v[15:16], v[16:17], v[28:29]
	v_add_f64 v[13:14], v[18:19], v[13:14]
	s_waitcnt vmcnt(7) lgkmcnt(0)
	v_mul_f64 v[24:25], v[11:12], v[124:125]
	s_waitcnt vmcnt(6)
	v_fma_f64 v[1:2], v[1:2], v[138:139], -v[22:23]
	v_mul_f64 v[17:18], v[9:10], v[124:125]
	v_fma_f64 v[3:4], v[3:4], v[138:139], v[20:21]
	v_add_f64 v[5:6], v[15:16], v[5:6]
	v_add_f64 v[7:8], v[13:14], v[7:8]
	s_waitcnt vmcnt(4)
	v_fma_f64 v[9:10], v[9:10], v[128:129], -v[24:25]
	v_add_f64 v[1:2], v[5:6], v[1:2]
	v_fma_f64 v[5:6], v[11:12], v[128:129], v[17:18]
	v_add_f64 v[3:4], v[7:8], v[3:4]
	v_add_f64 v[1:2], v[1:2], v[9:10]
	;; [unrolled: 1-line block ×3, first 2 shown]
	s_waitcnt vmcnt(2)
	v_add_f64 v[1:2], v[136:137], -v[1:2]
	s_waitcnt vmcnt(0)
	v_add_f64 v[3:4], v[146:147], -v[3:4]
	buffer_store_dword v2, off, s[0:3], 0 offset:100
	buffer_store_dword v1, off, s[0:3], 0 offset:96
	;; [unrolled: 1-line block ×4, first 2 shown]
	v_cmpx_lt_u32_e32 4, v0
	s_cbranch_execz .LBB35_221
; %bb.220:
	v_mov_b32_e32 v4, s44
	v_mov_b32_e32 v5, 0
	s_clause 0x3
	buffer_load_dword v1, v4, s[0:3], 0 offen
	buffer_load_dword v2, v4, s[0:3], 0 offen offset:4
	buffer_load_dword v3, v4, s[0:3], 0 offen offset:8
	;; [unrolled: 1-line block ×3, first 2 shown]
	buffer_store_dword v5, off, s[0:3], 0 offset:80
	buffer_store_dword v5, off, s[0:3], 0 offset:84
	buffer_store_dword v5, off, s[0:3], 0 offset:88
	buffer_store_dword v5, off, s[0:3], 0 offset:92
	s_waitcnt vmcnt(0)
	ds_write_b128 v123, v[1:4]
.LBB35_221:
	s_or_b32 exec_lo, exec_lo, s4
	s_waitcnt lgkmcnt(0)
	s_waitcnt_vscnt null, 0x0
	s_barrier
	buffer_gl0_inv
	s_clause 0x37
	buffer_load_dword v9, off, s[0:3], 0 offset:104
	buffer_load_dword v10, off, s[0:3], 0 offset:108
	;; [unrolled: 1-line block ×56, first 2 shown]
	v_mov_b32_e32 v29, 0
	s_mov_b32 s4, exec_lo
	ds_read_b128 v[17:20], v29 offset:656
	s_clause 0x2
	buffer_load_dword v143, off, s[0:3], 0 offset:332
	buffer_load_dword v147, off, s[0:3], 0 offset:308
	;; [unrolled: 1-line block ×3, first 2 shown]
	ds_read_b128 v[21:24], v29 offset:672
	s_clause 0x4
	buffer_load_dword v151, off, s[0:3], 0 offset:348
	buffer_load_dword v152, off, s[0:3], 0 offset:360
	;; [unrolled: 1-line block ×5, first 2 shown]
	ds_read_b128 v[25:28], v29 offset:688
	s_clause 0x2
	buffer_load_dword v153, off, s[0:3], 0 offset:364
	buffer_load_dword v158, off, s[0:3], 0 offset:340
	;; [unrolled: 1-line block ×3, first 2 shown]
	s_waitcnt vmcnt(62) lgkmcnt(2)
	v_mul_f64 v[148:149], v[19:20], v[9:10]
	v_mul_f64 v[9:10], v[17:18], v[9:10]
	s_waitcnt lgkmcnt(1)
	v_mul_f64 v[155:156], v[23:24], v[5:6]
	s_waitcnt vmcnt(59) lgkmcnt(0)
	v_mul_f64 v[159:160], v[27:28], v[3:4]
	v_fma_f64 v[17:18], v[17:18], v[7:8], -v[148:149]
	v_mul_f64 v[148:149], v[21:22], v[5:6]
	v_fma_f64 v[9:10], v[19:20], v[7:8], v[9:10]
	s_waitcnt vmcnt(57)
	v_fma_f64 v[21:22], v[21:22], v[1:2], -v[155:156]
	ds_read_b128 v[5:8], v29 offset:704
	v_mul_f64 v[19:20], v[25:26], v[3:4]
	s_waitcnt vmcnt(51)
	v_fma_f64 v[25:26], v[25:26], v[32:33], -v[159:160]
	v_add_f64 v[17:18], v[17:18], 0
	v_fma_f64 v[23:24], v[23:24], v[1:2], v[148:149]
	v_add_f64 v[9:10], v[9:10], 0
	s_clause 0x4
	buffer_load_dword v149, off, s[0:3], 0 offset:380
	buffer_load_dword v161, off, s[0:3], 0 offset:392
	;; [unrolled: 1-line block ×5, first 2 shown]
	s_waitcnt lgkmcnt(0)
	v_mul_f64 v[164:165], v[5:6], v[13:14]
	v_mul_f64 v[13:14], v[7:8], v[13:14]
	ds_read_b128 v[1:4], v29 offset:720
	v_fma_f64 v[27:28], v[27:28], v[32:33], v[19:20]
	v_add_f64 v[21:22], v[17:18], v[21:22]
	v_add_f64 v[9:10], v[9:10], v[23:24]
	s_clause 0x2
	buffer_load_dword v162, off, s[0:3], 0 offset:396
	buffer_load_dword v24, off, s[0:3], 0 offset:372
	;; [unrolled: 1-line block ×3, first 2 shown]
	s_waitcnt vmcnt(58) lgkmcnt(0)
	v_mul_f64 v[32:33], v[1:2], v[30:31]
	v_mul_f64 v[30:31], v[3:4], v[30:31]
	s_waitcnt vmcnt(56)
	v_fma_f64 v[13:14], v[5:6], v[34:35], -v[13:14]
	ds_read_b128 v[17:20], v29 offset:736
	v_add_f64 v[21:22], v[21:22], v[25:26]
	v_fma_f64 v[25:26], v[7:8], v[34:35], v[164:165]
	v_add_f64 v[9:10], v[9:10], v[27:28]
	s_clause 0x4
	buffer_load_dword v28, off, s[0:3], 0 offset:412
	buffer_load_dword v34, off, s[0:3], 0 offset:424
	;; [unrolled: 1-line block ×5, first 2 shown]
	ds_read_b128 v[5:8], v29 offset:752
	s_waitcnt vmcnt(57) lgkmcnt(1)
	v_mul_f64 v[165:166], v[17:18], v[36:37]
	v_mul_f64 v[36:37], v[19:20], v[36:37]
	s_waitcnt vmcnt(56)
	v_fma_f64 v[30:31], v[1:2], v[11:12], -v[30:31]
	v_fma_f64 v[11:12], v[3:4], v[11:12], v[32:33]
	v_add_f64 v[13:14], v[21:22], v[13:14]
	s_clause 0x2
	buffer_load_dword v35, off, s[0:3], 0 offset:428
	buffer_load_dword v22, off, s[0:3], 0 offset:404
	;; [unrolled: 1-line block ×3, first 2 shown]
	v_add_f64 v[9:10], v[9:10], v[25:26]
	s_waitcnt vmcnt(58) lgkmcnt(0)
	v_mul_f64 v[32:33], v[7:8], v[38:39]
	ds_read_b128 v[1:4], v29 offset:768
	v_mul_f64 v[25:26], v[5:6], v[38:39]
	s_waitcnt vmcnt(56)
	v_fma_f64 v[17:18], v[17:18], v[40:41], -v[36:37]
	v_fma_f64 v[19:20], v[19:20], v[40:41], v[165:166]
	s_clause 0x4
	buffer_load_dword v37, off, s[0:3], 0 offset:444
	buffer_load_dword v38, off, s[0:3], 0 offset:456
	buffer_load_dword v40, off, s[0:3], 0 offset:448
	buffer_load_dword v36, off, s[0:3], 0 offset:440
	buffer_load_dword v160, off, s[0:3], 0 offset:420
	v_add_f64 v[13:14], v[13:14], v[30:31]
	v_add_f64 v[30:31], v[9:10], v[11:12]
	s_waitcnt vmcnt(57) lgkmcnt(0)
	v_mul_f64 v[165:166], v[1:2], v[42:43]
	v_mul_f64 v[41:42], v[3:4], v[42:43]
	s_waitcnt vmcnt(56)
	v_fma_f64 v[32:33], v[5:6], v[15:16], -v[32:33]
	ds_read_b128 v[9:12], v29 offset:784
	v_fma_f64 v[15:16], v[7:8], v[15:16], v[25:26]
	v_add_f64 v[13:14], v[13:14], v[17:18]
	v_add_f64 v[17:18], v[30:31], v[19:20]
	s_clause 0x2
	buffer_load_dword v39, off, s[0:3], 0 offset:460
	buffer_load_dword v20, off, s[0:3], 0 offset:436
	;; [unrolled: 1-line block ×3, first 2 shown]
	s_waitcnt vmcnt(58) lgkmcnt(0)
	v_mul_f64 v[30:31], v[11:12], v[44:45]
	s_waitcnt vmcnt(56)
	v_fma_f64 v[42:43], v[1:2], v[121:122], -v[41:42]
	ds_read_b128 v[5:8], v29 offset:800
	v_mul_f64 v[25:26], v[9:10], v[44:45]
	v_add_f64 v[13:14], v[13:14], v[32:33]
	v_fma_f64 v[32:33], v[3:4], v[121:122], v[165:166]
	v_add_f64 v[15:16], v[17:18], v[15:16]
	s_clause 0x4
	buffer_load_dword v18, off, s[0:3], 0 offset:476
	buffer_load_dword v44, off, s[0:3], 0 offset:488
	buffer_load_dword v121, off, s[0:3], 0 offset:480
	buffer_load_dword v17, off, s[0:3], 0 offset:472
	buffer_load_dword v41, off, s[0:3], 0 offset:452
	s_waitcnt vmcnt(57) lgkmcnt(0)
	v_mul_f64 v[165:166], v[5:6], v[124:125]
	v_mul_f64 v[124:125], v[7:8], v[124:125]
	s_waitcnt vmcnt(56)
	v_fma_f64 v[30:31], v[9:10], v[46:47], -v[30:31]
	ds_read_b128 v[1:4], v29 offset:816
	v_fma_f64 v[25:26], v[11:12], v[46:47], v[25:26]
	v_add_f64 v[13:14], v[13:14], v[42:43]
	v_add_f64 v[15:16], v[15:16], v[32:33]
	s_clause 0x2
	buffer_load_dword v45, off, s[0:3], 0 offset:492
	buffer_load_dword v33, off, s[0:3], 0 offset:468
	buffer_load_dword v32, off, s[0:3], 0 offset:464
	ds_read_b128 v[9:12], v29 offset:832
	s_waitcnt vmcnt(58) lgkmcnt(1)
	v_mul_f64 v[46:47], v[3:4], v[126:127]
	s_waitcnt vmcnt(56)
	v_fma_f64 v[124:125], v[5:6], v[130:131], -v[124:125]
	v_mul_f64 v[42:43], v[1:2], v[126:127]
	v_add_f64 v[13:14], v[13:14], v[30:31]
	v_fma_f64 v[30:31], v[7:8], v[130:131], v[165:166]
	v_add_f64 v[15:16], v[15:16], v[25:26]
	s_clause 0x4
	buffer_load_dword v26, off, s[0:3], 0 offset:508
	buffer_load_dword v126, off, s[0:3], 0 offset:520
	buffer_load_dword v130, off, s[0:3], 0 offset:512
	buffer_load_dword v25, off, s[0:3], 0 offset:504
	buffer_load_dword v122, off, s[0:3], 0 offset:484
	s_waitcnt vmcnt(57) lgkmcnt(0)
	v_mul_f64 v[165:166], v[9:10], v[132:133]
	v_mul_f64 v[131:132], v[11:12], v[132:133]
	s_waitcnt vmcnt(56)
	v_fma_f64 v[46:47], v[1:2], v[128:129], -v[46:47]
	ds_read_b128 v[5:8], v29 offset:848
	v_fma_f64 v[42:43], v[3:4], v[128:129], v[42:43]
	v_add_f64 v[13:14], v[13:14], v[124:125]
	v_add_f64 v[15:16], v[15:16], v[30:31]
	s_clause 0x2
	buffer_load_dword v127, off, s[0:3], 0 offset:524
	buffer_load_dword v31, off, s[0:3], 0 offset:500
	buffer_load_dword v30, off, s[0:3], 0 offset:496
	ds_read_b128 v[1:4], v29 offset:864
	s_waitcnt vmcnt(58) lgkmcnt(1)
	v_mul_f64 v[128:129], v[7:8], v[134:135]
	s_waitcnt vmcnt(56)
	v_fma_f64 v[132:133], v[9:10], v[138:139], -v[131:132]
	;; [unrolled: 28-line block ×4, first 2 shown]
	v_mul_f64 v[140:141], v[1:2], v[152:153]
	buffer_load_dword v147, off, s[0:3], 0 offset:580
	v_add_f64 v[13:14], v[13:14], v[136:137]
	v_fma_f64 v[136:137], v[7:8], v[157:158], v[165:166]
	v_add_f64 v[15:16], v[15:16], v[132:133]
	ds_read_b128 v[5:8], v29 offset:944
	s_waitcnt vmcnt(53) lgkmcnt(1)
	v_mul_f64 v[132:133], v[9:10], v[148:149]
	v_mul_f64 v[148:149], v[11:12], v[148:149]
	s_waitcnt vmcnt(52)
	v_fma_f64 v[144:145], v[1:2], v[154:155], -v[144:145]
	v_fma_f64 v[140:141], v[3:4], v[154:155], v[140:141]
	ds_read_b128 v[1:4], v29 offset:960
	v_add_f64 v[13:14], v[13:14], v[150:151]
	v_add_f64 v[15:16], v[15:16], v[136:137]
	s_waitcnt vmcnt(51) lgkmcnt(1)
	v_mul_f64 v[150:151], v[7:8], v[161:162]
	v_mul_f64 v[136:137], v[5:6], v[161:162]
	s_waitcnt vmcnt(49)
	v_fma_f64 v[148:149], v[9:10], v[23:24], -v[148:149]
	v_fma_f64 v[23:24], v[11:12], v[23:24], v[132:133]
	v_add_f64 v[13:14], v[13:14], v[144:145]
	v_add_f64 v[15:16], v[15:16], v[140:141]
	s_clause 0x3
	buffer_load_dword v132, off, s[0:3], 0 offset:80
	buffer_load_dword v133, off, s[0:3], 0 offset:84
	;; [unrolled: 1-line block ×4, first 2 shown]
	ds_read_b128 v[9:12], v29 offset:976
	s_waitcnt vmcnt(49) lgkmcnt(1)
	v_mul_f64 v[144:145], v[1:2], v[27:28]
	v_mul_f64 v[27:28], v[3:4], v[27:28]
	s_waitcnt vmcnt(48)
	v_fma_f64 v[150:151], v[5:6], v[163:164], -v[150:151]
	v_fma_f64 v[136:137], v[7:8], v[163:164], v[136:137]
	ds_read_b128 v[5:8], v29 offset:992
	v_add_f64 v[13:14], v[13:14], v[148:149]
	v_add_f64 v[15:16], v[15:16], v[23:24]
	s_waitcnt vmcnt(47) lgkmcnt(1)
	v_mul_f64 v[23:24], v[9:10], v[34:35]
	v_mul_f64 v[34:35], v[11:12], v[34:35]
	s_waitcnt vmcnt(45)
	v_fma_f64 v[27:28], v[1:2], v[21:22], -v[27:28]
	v_fma_f64 v[21:22], v[3:4], v[21:22], v[144:145]
	ds_read_b128 v[1:4], v29 offset:1008
	v_add_f64 v[13:14], v[13:14], v[150:151]
	v_add_f64 v[15:16], v[15:16], v[136:137]
	s_waitcnt vmcnt(41) lgkmcnt(1)
	v_mul_f64 v[136:137], v[5:6], v[36:37]
	v_mul_f64 v[36:37], v[7:8], v[36:37]
	s_waitcnt vmcnt(40)
	v_fma_f64 v[23:24], v[11:12], v[159:160], v[23:24]
	v_fma_f64 v[34:35], v[9:10], v[159:160], -v[34:35]
	ds_read_b128 v[9:12], v29 offset:1024
	v_add_f64 v[13:14], v[13:14], v[27:28]
	v_add_f64 v[15:16], v[15:16], v[21:22]
	s_waitcnt vmcnt(39) lgkmcnt(1)
	v_mul_f64 v[27:28], v[3:4], v[38:39]
	v_mul_f64 v[21:22], v[1:2], v[38:39]
	s_waitcnt vmcnt(37)
	v_fma_f64 v[36:37], v[5:6], v[19:20], -v[36:37]
	v_fma_f64 v[19:20], v[7:8], v[19:20], v[136:137]
	ds_read_b128 v[5:8], v29 offset:1040
	v_add_f64 v[13:14], v[13:14], v[34:35]
	v_add_f64 v[15:16], v[15:16], v[23:24]
	s_waitcnt vmcnt(33) lgkmcnt(1)
	v_mul_f64 v[23:24], v[9:10], v[17:18]
	v_mul_f64 v[17:18], v[11:12], v[17:18]
	s_waitcnt vmcnt(32)
	v_fma_f64 v[27:28], v[1:2], v[40:41], -v[27:28]
	v_fma_f64 v[21:22], v[3:4], v[40:41], v[21:22]
	;; [unrolled: 9-line block ×3, first 2 shown]
	ds_read_b128 v[9:12], v29 offset:1072
	v_add_f64 v[13:14], v[13:14], v[27:28]
	v_add_f64 v[15:16], v[15:16], v[21:22]
	s_waitcnt vmcnt(25) lgkmcnt(1)
	v_mul_f64 v[21:22], v[1:2], v[25:26]
	v_mul_f64 v[25:26], v[3:4], v[25:26]
	s_waitcnt vmcnt(24)
	v_fma_f64 v[27:28], v[5:6], v[121:122], -v[34:35]
	v_add_f64 v[13:14], v[13:14], v[17:18]
	v_fma_f64 v[17:18], v[7:8], v[121:122], v[19:20]
	v_add_f64 v[15:16], v[15:16], v[23:24]
	ds_read_b128 v[5:8], v29 offset:1088
	s_waitcnt vmcnt(23) lgkmcnt(1)
	v_mul_f64 v[23:24], v[11:12], v[126:127]
	v_mul_f64 v[19:20], v[9:10], v[126:127]
	s_waitcnt vmcnt(21)
	v_fma_f64 v[25:26], v[1:2], v[30:31], -v[25:26]
	v_fma_f64 v[21:22], v[3:4], v[30:31], v[21:22]
	ds_read_b128 v[1:4], v29 offset:1104
	v_add_f64 v[13:14], v[13:14], v[27:28]
	v_add_f64 v[15:16], v[15:16], v[17:18]
	s_waitcnt vmcnt(17) lgkmcnt(1)
	v_mul_f64 v[27:28], v[7:8], v[42:43]
	s_waitcnt vmcnt(16)
	v_fma_f64 v[23:24], v[9:10], v[130:131], -v[23:24]
	v_mul_f64 v[17:18], v[5:6], v[42:43]
	v_fma_f64 v[19:20], v[11:12], v[130:131], v[19:20]
	ds_read_b128 v[9:12], v29 offset:1120
	v_add_f64 v[13:14], v[13:14], v[25:26]
	v_add_f64 v[15:16], v[15:16], v[21:22]
	s_waitcnt vmcnt(15) lgkmcnt(1)
	v_mul_f64 v[25:26], v[3:4], v[134:135]
	v_mul_f64 v[21:22], v[1:2], v[134:135]
	s_waitcnt vmcnt(13)
	v_fma_f64 v[27:28], v[5:6], v[46:47], -v[27:28]
	v_fma_f64 v[17:18], v[7:8], v[46:47], v[17:18]
	ds_read_b128 v[5:8], v29 offset:1136
	v_add_f64 v[13:14], v[13:14], v[23:24]
	v_add_f64 v[15:16], v[15:16], v[19:20]
	s_waitcnt vmcnt(9) lgkmcnt(1)
	v_mul_f64 v[23:24], v[11:12], v[124:125]
	s_waitcnt vmcnt(8)
	v_fma_f64 v[1:2], v[1:2], v[138:139], -v[25:26]
	v_mul_f64 v[19:20], v[9:10], v[124:125]
	v_fma_f64 v[3:4], v[3:4], v[138:139], v[21:22]
	v_add_f64 v[13:14], v[13:14], v[27:28]
	v_add_f64 v[15:16], v[15:16], v[17:18]
	s_waitcnt vmcnt(7) lgkmcnt(0)
	v_mul_f64 v[21:22], v[7:8], v[142:143]
	v_mul_f64 v[17:18], v[5:6], v[142:143]
	s_waitcnt vmcnt(5)
	v_fma_f64 v[9:10], v[9:10], v[128:129], -v[23:24]
	v_fma_f64 v[11:12], v[11:12], v[128:129], v[19:20]
	v_add_f64 v[1:2], v[13:14], v[1:2]
	v_add_f64 v[3:4], v[15:16], v[3:4]
	s_waitcnt vmcnt(4)
	v_fma_f64 v[5:6], v[5:6], v[146:147], -v[21:22]
	v_fma_f64 v[7:8], v[7:8], v[146:147], v[17:18]
	v_add_f64 v[1:2], v[1:2], v[9:10]
	v_add_f64 v[3:4], v[3:4], v[11:12]
	v_add_f64 v[1:2], v[1:2], v[5:6]
	v_add_f64 v[3:4], v[3:4], v[7:8]
	s_waitcnt vmcnt(2)
	v_add_f64 v[1:2], v[132:133], -v[1:2]
	s_waitcnt vmcnt(0)
	v_add_f64 v[3:4], v[140:141], -v[3:4]
	buffer_store_dword v2, off, s[0:3], 0 offset:84
	buffer_store_dword v1, off, s[0:3], 0 offset:80
	;; [unrolled: 1-line block ×4, first 2 shown]
	v_cmpx_lt_u32_e32 3, v0
	s_cbranch_execz .LBB35_223
; %bb.222:
	v_mov_b32_e32 v4, s45
	s_clause 0x3
	buffer_load_dword v1, v4, s[0:3], 0 offen
	buffer_load_dword v2, v4, s[0:3], 0 offen offset:4
	buffer_load_dword v3, v4, s[0:3], 0 offen offset:8
	;; [unrolled: 1-line block ×3, first 2 shown]
	buffer_store_dword v29, off, s[0:3], 0 offset:64
	buffer_store_dword v29, off, s[0:3], 0 offset:68
	;; [unrolled: 1-line block ×4, first 2 shown]
	s_waitcnt vmcnt(0)
	ds_write_b128 v123, v[1:4]
.LBB35_223:
	s_or_b32 exec_lo, exec_lo, s4
	s_waitcnt lgkmcnt(0)
	s_waitcnt_vscnt null, 0x0
	s_barrier
	buffer_gl0_inv
	s_clause 0x37
	buffer_load_dword v9, off, s[0:3], 0 offset:88
	buffer_load_dword v10, off, s[0:3], 0 offset:92
	;; [unrolled: 1-line block ×56, first 2 shown]
	ds_read_b128 v[30:33], v29 offset:640
	s_clause 0x2
	buffer_load_dword v143, off, s[0:3], 0 offset:316
	buffer_load_dword v147, off, s[0:3], 0 offset:292
	;; [unrolled: 1-line block ×3, first 2 shown]
	ds_read_b128 v[34:37], v29 offset:656
	s_clause 0x4
	buffer_load_dword v151, off, s[0:3], 0 offset:332
	buffer_load_dword v152, off, s[0:3], 0 offset:344
	;; [unrolled: 1-line block ×5, first 2 shown]
	ds_read_b128 v[38:41], v29 offset:672
	s_clause 0x2
	buffer_load_dword v153, off, s[0:3], 0 offset:348
	buffer_load_dword v158, off, s[0:3], 0 offset:324
	;; [unrolled: 1-line block ×3, first 2 shown]
	s_mov_b32 s4, exec_lo
	s_waitcnt vmcnt(62) lgkmcnt(2)
	v_mul_f64 v[148:149], v[32:33], v[9:10]
	v_mul_f64 v[9:10], v[30:31], v[9:10]
	s_waitcnt lgkmcnt(1)
	v_mul_f64 v[155:156], v[36:37], v[5:6]
	s_waitcnt vmcnt(59) lgkmcnt(0)
	v_mul_f64 v[159:160], v[40:41], v[3:4]
	v_fma_f64 v[30:31], v[30:31], v[7:8], -v[148:149]
	v_mul_f64 v[148:149], v[34:35], v[5:6]
	v_fma_f64 v[9:10], v[32:33], v[7:8], v[9:10]
	s_waitcnt vmcnt(57)
	v_fma_f64 v[34:35], v[34:35], v[1:2], -v[155:156]
	ds_read_b128 v[5:8], v29 offset:688
	v_mul_f64 v[32:33], v[38:39], v[3:4]
	s_waitcnt vmcnt(51)
	v_fma_f64 v[38:39], v[38:39], v[25:26], -v[159:160]
	v_add_f64 v[30:31], v[30:31], 0
	v_fma_f64 v[36:37], v[36:37], v[1:2], v[148:149]
	v_add_f64 v[9:10], v[9:10], 0
	s_clause 0x4
	buffer_load_dword v149, off, s[0:3], 0 offset:364
	buffer_load_dword v161, off, s[0:3], 0 offset:376
	;; [unrolled: 1-line block ×5, first 2 shown]
	s_waitcnt lgkmcnt(0)
	v_mul_f64 v[164:165], v[5:6], v[13:14]
	v_mul_f64 v[13:14], v[7:8], v[13:14]
	ds_read_b128 v[1:4], v29 offset:704
	v_fma_f64 v[25:26], v[40:41], v[25:26], v[32:33]
	v_add_f64 v[34:35], v[30:31], v[34:35]
	v_add_f64 v[9:10], v[9:10], v[36:37]
	s_clause 0x2
	buffer_load_dword v162, off, s[0:3], 0 offset:380
	buffer_load_dword v37, off, s[0:3], 0 offset:356
	;; [unrolled: 1-line block ×3, first 2 shown]
	s_waitcnt vmcnt(58) lgkmcnt(0)
	v_mul_f64 v[40:41], v[1:2], v[17:18]
	v_mul_f64 v[17:18], v[3:4], v[17:18]
	s_waitcnt vmcnt(56)
	v_fma_f64 v[13:14], v[5:6], v[19:20], -v[13:14]
	ds_read_b128 v[30:33], v29 offset:720
	v_fma_f64 v[19:20], v[7:8], v[19:20], v[164:165]
	v_add_f64 v[34:35], v[34:35], v[38:39]
	v_add_f64 v[9:10], v[9:10], v[25:26]
	s_clause 0x4
	buffer_load_dword v26, off, s[0:3], 0 offset:396
	buffer_load_dword v38, off, s[0:3], 0 offset:408
	;; [unrolled: 1-line block ×5, first 2 shown]
	ds_read_b128 v[5:8], v29 offset:736
	s_waitcnt vmcnt(57) lgkmcnt(1)
	v_mul_f64 v[165:166], v[30:31], v[21:22]
	v_mul_f64 v[21:22], v[32:33], v[21:22]
	s_waitcnt vmcnt(56)
	v_fma_f64 v[17:18], v[1:2], v[11:12], -v[17:18]
	v_fma_f64 v[11:12], v[3:4], v[11:12], v[40:41]
	v_add_f64 v[13:14], v[34:35], v[13:14]
	v_add_f64 v[9:10], v[9:10], v[19:20]
	s_clause 0x2
	buffer_load_dword v39, off, s[0:3], 0 offset:412
	buffer_load_dword v20, off, s[0:3], 0 offset:388
	;; [unrolled: 1-line block ×3, first 2 shown]
	s_waitcnt vmcnt(58) lgkmcnt(0)
	v_mul_f64 v[34:35], v[5:6], v[27:28]
	v_mul_f64 v[27:28], v[7:8], v[27:28]
	s_waitcnt vmcnt(56)
	v_fma_f64 v[21:22], v[30:31], v[42:43], -v[21:22]
	ds_read_b128 v[1:4], v29 offset:752
	v_add_f64 v[13:14], v[13:14], v[17:18]
	v_fma_f64 v[17:18], v[32:33], v[42:43], v[165:166]
	v_add_f64 v[30:31], v[9:10], v[11:12]
	s_clause 0x4
	buffer_load_dword v33, off, s[0:3], 0 offset:428
	buffer_load_dword v40, off, s[0:3], 0 offset:440
	;; [unrolled: 1-line block ×5, first 2 shown]
	ds_read_b128 v[9:12], v29 offset:768
	s_waitcnt vmcnt(57) lgkmcnt(1)
	v_mul_f64 v[165:166], v[1:2], v[44:45]
	v_mul_f64 v[43:44], v[3:4], v[44:45]
	s_waitcnt vmcnt(56)
	v_fma_f64 v[27:28], v[5:6], v[15:16], -v[27:28]
	v_fma_f64 v[15:16], v[7:8], v[15:16], v[34:35]
	v_add_f64 v[13:14], v[13:14], v[21:22]
	s_clause 0x2
	buffer_load_dword v41, off, s[0:3], 0 offset:444
	buffer_load_dword v22, off, s[0:3], 0 offset:420
	;; [unrolled: 1-line block ×3, first 2 shown]
	v_add_f64 v[17:18], v[30:31], v[17:18]
	s_waitcnt vmcnt(58) lgkmcnt(0)
	v_mul_f64 v[34:35], v[11:12], v[46:47]
	ds_read_b128 v[5:8], v29 offset:784
	v_mul_f64 v[30:31], v[9:10], v[46:47]
	s_waitcnt vmcnt(56)
	v_fma_f64 v[44:45], v[1:2], v[121:122], -v[43:44]
	v_add_f64 v[13:14], v[13:14], v[27:28]
	v_fma_f64 v[27:28], v[3:4], v[121:122], v[165:166]
	v_add_f64 v[15:16], v[17:18], v[15:16]
	s_clause 0x4
	buffer_load_dword v18, off, s[0:3], 0 offset:460
	buffer_load_dword v46, off, s[0:3], 0 offset:472
	buffer_load_dword v121, off, s[0:3], 0 offset:464
	buffer_load_dword v17, off, s[0:3], 0 offset:456
	buffer_load_dword v43, off, s[0:3], 0 offset:436
	s_waitcnt vmcnt(57) lgkmcnt(0)
	v_mul_f64 v[165:166], v[5:6], v[124:125]
	v_mul_f64 v[124:125], v[7:8], v[124:125]
	s_waitcnt vmcnt(56)
	v_fma_f64 v[34:35], v[9:10], v[23:24], -v[34:35]
	ds_read_b128 v[1:4], v29 offset:800
	v_fma_f64 v[23:24], v[11:12], v[23:24], v[30:31]
	v_add_f64 v[13:14], v[13:14], v[44:45]
	v_add_f64 v[15:16], v[15:16], v[27:28]
	s_clause 0x2
	buffer_load_dword v47, off, s[0:3], 0 offset:476
	buffer_load_dword v28, off, s[0:3], 0 offset:452
	buffer_load_dword v27, off, s[0:3], 0 offset:448
	ds_read_b128 v[9:12], v29 offset:816
	s_waitcnt vmcnt(58) lgkmcnt(1)
	v_mul_f64 v[44:45], v[3:4], v[126:127]
	s_waitcnt vmcnt(56)
	v_fma_f64 v[124:125], v[5:6], v[130:131], -v[124:125]
	v_mul_f64 v[30:31], v[1:2], v[126:127]
	v_add_f64 v[13:14], v[13:14], v[34:35]
	v_fma_f64 v[34:35], v[7:8], v[130:131], v[165:166]
	v_add_f64 v[15:16], v[15:16], v[23:24]
	s_clause 0x4
	buffer_load_dword v24, off, s[0:3], 0 offset:492
	buffer_load_dword v126, off, s[0:3], 0 offset:504
	buffer_load_dword v130, off, s[0:3], 0 offset:496
	buffer_load_dword v23, off, s[0:3], 0 offset:488
	buffer_load_dword v122, off, s[0:3], 0 offset:468
	s_waitcnt vmcnt(57) lgkmcnt(0)
	v_mul_f64 v[165:166], v[9:10], v[132:133]
	v_mul_f64 v[131:132], v[11:12], v[132:133]
	s_waitcnt vmcnt(56)
	v_fma_f64 v[44:45], v[1:2], v[128:129], -v[44:45]
	ds_read_b128 v[5:8], v29 offset:832
	v_fma_f64 v[30:31], v[3:4], v[128:129], v[30:31]
	v_add_f64 v[13:14], v[13:14], v[124:125]
	v_add_f64 v[15:16], v[15:16], v[34:35]
	s_clause 0x2
	buffer_load_dword v127, off, s[0:3], 0 offset:508
	buffer_load_dword v35, off, s[0:3], 0 offset:484
	buffer_load_dword v34, off, s[0:3], 0 offset:480
	ds_read_b128 v[1:4], v29 offset:848
	s_waitcnt vmcnt(58) lgkmcnt(1)
	v_mul_f64 v[128:129], v[7:8], v[134:135]
	s_waitcnt vmcnt(56)
	v_fma_f64 v[132:133], v[9:10], v[138:139], -v[131:132]
	v_mul_f64 v[124:125], v[5:6], v[134:135]
	;; [unrolled: 28-line block ×4, first 2 shown]
	v_add_f64 v[13:14], v[13:14], v[136:137]
	v_fma_f64 v[136:137], v[7:8], v[157:158], v[165:166]
	v_add_f64 v[15:16], v[15:16], v[132:133]
	s_clause 0x2
	buffer_load_dword v133, off, s[0:3], 0 offset:588
	buffer_load_dword v132, off, s[0:3], 0 offset:584
	;; [unrolled: 1-line block ×3, first 2 shown]
	ds_read_b128 v[5:8], v29 offset:928
	s_waitcnt vmcnt(55) lgkmcnt(1)
	v_mul_f64 v[152:153], v[9:10], v[148:149]
	v_mul_f64 v[148:149], v[11:12], v[148:149]
	s_waitcnt vmcnt(54)
	v_fma_f64 v[144:145], v[1:2], v[154:155], -v[144:145]
	v_fma_f64 v[140:141], v[3:4], v[154:155], v[140:141]
	v_add_f64 v[13:14], v[13:14], v[150:151]
	v_add_f64 v[15:16], v[15:16], v[136:137]
	s_clause 0x1
	buffer_load_dword v137, off, s[0:3], 0 offset:580
	buffer_load_dword v136, off, s[0:3], 0 offset:576
	ds_read_b128 v[1:4], v29 offset:944
	s_waitcnt vmcnt(55) lgkmcnt(1)
	v_mul_f64 v[154:155], v[7:8], v[161:162]
	v_mul_f64 v[150:151], v[5:6], v[161:162]
	s_waitcnt vmcnt(53)
	v_fma_f64 v[148:149], v[9:10], v[36:37], -v[148:149]
	v_fma_f64 v[36:37], v[11:12], v[36:37], v[152:153]
	ds_read_b128 v[9:12], v29 offset:960
	v_add_f64 v[13:14], v[13:14], v[144:145]
	v_add_f64 v[15:16], v[15:16], v[140:141]
	s_waitcnt vmcnt(49) lgkmcnt(1)
	v_mul_f64 v[140:141], v[1:2], v[25:26]
	v_mul_f64 v[25:26], v[3:4], v[25:26]
	s_waitcnt vmcnt(48)
	v_fma_f64 v[144:145], v[5:6], v[163:164], -v[154:155]
	v_add_f64 v[13:14], v[13:14], v[148:149]
	v_fma_f64 v[148:149], v[7:8], v[163:164], v[150:151]
	v_add_f64 v[15:16], v[15:16], v[36:37]
	s_clause 0x3
	buffer_load_dword v36, off, s[0:3], 0 offset:64
	buffer_load_dword v37, off, s[0:3], 0 offset:68
	;; [unrolled: 1-line block ×4, first 2 shown]
	ds_read_b128 v[5:8], v29 offset:976
	s_waitcnt vmcnt(51) lgkmcnt(1)
	v_mul_f64 v[152:153], v[9:10], v[38:39]
	v_mul_f64 v[38:39], v[11:12], v[38:39]
	s_waitcnt vmcnt(49)
	v_fma_f64 v[25:26], v[1:2], v[19:20], -v[25:26]
	v_fma_f64 v[19:20], v[3:4], v[19:20], v[140:141]
	ds_read_b128 v[1:4], v29 offset:992
	v_add_f64 v[13:14], v[13:14], v[144:145]
	v_add_f64 v[15:16], v[15:16], v[148:149]
	s_waitcnt vmcnt(45) lgkmcnt(1)
	v_mul_f64 v[140:141], v[5:6], v[32:33]
	v_mul_f64 v[32:33], v[7:8], v[32:33]
	s_waitcnt vmcnt(44)
	v_fma_f64 v[38:39], v[9:10], v[159:160], -v[38:39]
	v_add_f64 v[13:14], v[13:14], v[25:26]
	v_fma_f64 v[25:26], v[11:12], v[159:160], v[152:153]
	v_add_f64 v[15:16], v[15:16], v[19:20]
	ds_read_b128 v[9:12], v29 offset:1008
	s_waitcnt vmcnt(43) lgkmcnt(1)
	v_mul_f64 v[19:20], v[1:2], v[40:41]
	v_mul_f64 v[40:41], v[3:4], v[40:41]
	s_waitcnt vmcnt(41)
	v_fma_f64 v[32:33], v[5:6], v[21:22], -v[32:33]
	v_fma_f64 v[21:22], v[7:8], v[21:22], v[140:141]
	ds_read_b128 v[5:8], v29 offset:1024
	v_add_f64 v[13:14], v[13:14], v[38:39]
	v_add_f64 v[15:16], v[15:16], v[25:26]
	s_waitcnt vmcnt(37) lgkmcnt(1)
	v_mul_f64 v[25:26], v[9:10], v[17:18]
	v_mul_f64 v[17:18], v[11:12], v[17:18]
	s_waitcnt vmcnt(36)
	v_fma_f64 v[38:39], v[1:2], v[42:43], -v[40:41]
	v_fma_f64 v[19:20], v[3:4], v[42:43], v[19:20]
	ds_read_b128 v[1:4], v29 offset:1040
	v_add_f64 v[13:14], v[13:14], v[32:33]
	v_add_f64 v[15:16], v[15:16], v[21:22]
	;; [unrolled: 9-line block ×3, first 2 shown]
	s_waitcnt vmcnt(29) lgkmcnt(1)
	v_mul_f64 v[19:20], v[1:2], v[23:24]
	v_mul_f64 v[23:24], v[3:4], v[23:24]
	s_waitcnt vmcnt(28)
	v_fma_f64 v[27:28], v[5:6], v[121:122], -v[32:33]
	v_add_f64 v[13:14], v[13:14], v[17:18]
	v_fma_f64 v[17:18], v[7:8], v[121:122], v[21:22]
	v_add_f64 v[15:16], v[15:16], v[25:26]
	ds_read_b128 v[5:8], v29 offset:1072
	s_waitcnt vmcnt(27) lgkmcnt(1)
	v_mul_f64 v[25:26], v[11:12], v[126:127]
	v_mul_f64 v[21:22], v[9:10], v[126:127]
	s_waitcnt vmcnt(25)
	v_fma_f64 v[23:24], v[1:2], v[34:35], -v[23:24]
	v_fma_f64 v[19:20], v[3:4], v[34:35], v[19:20]
	ds_read_b128 v[1:4], v29 offset:1088
	v_add_f64 v[13:14], v[13:14], v[27:28]
	v_add_f64 v[15:16], v[15:16], v[17:18]
	s_waitcnt vmcnt(21) lgkmcnt(1)
	v_mul_f64 v[27:28], v[7:8], v[30:31]
	s_waitcnt vmcnt(20)
	v_fma_f64 v[25:26], v[9:10], v[130:131], -v[25:26]
	v_mul_f64 v[17:18], v[5:6], v[30:31]
	v_fma_f64 v[21:22], v[11:12], v[130:131], v[21:22]
	ds_read_b128 v[9:12], v29 offset:1104
	v_add_f64 v[13:14], v[13:14], v[23:24]
	v_add_f64 v[15:16], v[15:16], v[19:20]
	s_waitcnt vmcnt(19) lgkmcnt(1)
	v_mul_f64 v[23:24], v[3:4], v[134:135]
	v_mul_f64 v[19:20], v[1:2], v[134:135]
	s_waitcnt vmcnt(17)
	v_fma_f64 v[27:28], v[5:6], v[44:45], -v[27:28]
	v_fma_f64 v[17:18], v[7:8], v[44:45], v[17:18]
	ds_read_b128 v[5:8], v29 offset:1120
	v_add_f64 v[13:14], v[13:14], v[25:26]
	v_add_f64 v[15:16], v[15:16], v[21:22]
	s_waitcnt vmcnt(13) lgkmcnt(1)
	v_mul_f64 v[25:26], v[11:12], v[124:125]
	s_waitcnt vmcnt(12)
	v_fma_f64 v[23:24], v[1:2], v[138:139], -v[23:24]
	v_mul_f64 v[21:22], v[9:10], v[124:125]
	v_fma_f64 v[19:20], v[3:4], v[138:139], v[19:20]
	ds_read_b128 v[1:4], v29 offset:1136
	v_add_f64 v[13:14], v[13:14], v[27:28]
	v_add_f64 v[15:16], v[15:16], v[17:18]
	s_waitcnt vmcnt(11) lgkmcnt(1)
	v_mul_f64 v[27:28], v[7:8], v[142:143]
	v_mul_f64 v[17:18], v[5:6], v[142:143]
	s_waitcnt vmcnt(9)
	v_fma_f64 v[9:10], v[9:10], v[128:129], -v[25:26]
	v_fma_f64 v[11:12], v[11:12], v[128:129], v[21:22]
	v_add_f64 v[13:14], v[13:14], v[23:24]
	v_add_f64 v[15:16], v[15:16], v[19:20]
	s_waitcnt vmcnt(7) lgkmcnt(0)
	v_mul_f64 v[21:22], v[3:4], v[132:133]
	s_waitcnt vmcnt(6)
	v_fma_f64 v[5:6], v[5:6], v[146:147], -v[27:28]
	v_mul_f64 v[19:20], v[1:2], v[132:133]
	v_fma_f64 v[7:8], v[7:8], v[146:147], v[17:18]
	v_add_f64 v[9:10], v[13:14], v[9:10]
	v_add_f64 v[11:12], v[15:16], v[11:12]
	s_waitcnt vmcnt(4)
	v_fma_f64 v[1:2], v[1:2], v[136:137], -v[21:22]
	v_fma_f64 v[3:4], v[3:4], v[136:137], v[19:20]
	v_add_f64 v[5:6], v[9:10], v[5:6]
	v_add_f64 v[7:8], v[11:12], v[7:8]
	;; [unrolled: 1-line block ×4, first 2 shown]
	s_waitcnt vmcnt(2)
	v_add_f64 v[1:2], v[36:37], -v[1:2]
	s_waitcnt vmcnt(0)
	v_add_f64 v[3:4], v[150:151], -v[3:4]
	buffer_store_dword v2, off, s[0:3], 0 offset:68
	buffer_store_dword v1, off, s[0:3], 0 offset:64
	;; [unrolled: 1-line block ×4, first 2 shown]
	v_cmpx_lt_u32_e32 2, v0
	s_cbranch_execz .LBB35_225
; %bb.224:
	v_mov_b32_e32 v4, s46
	v_mov_b32_e32 v5, 0
	s_clause 0x3
	buffer_load_dword v1, v4, s[0:3], 0 offen
	buffer_load_dword v2, v4, s[0:3], 0 offen offset:4
	buffer_load_dword v3, v4, s[0:3], 0 offen offset:8
	buffer_load_dword v4, v4, s[0:3], 0 offen offset:12
	buffer_store_dword v5, off, s[0:3], 0 offset:48
	buffer_store_dword v5, off, s[0:3], 0 offset:52
	buffer_store_dword v5, off, s[0:3], 0 offset:56
	buffer_store_dword v5, off, s[0:3], 0 offset:60
	s_waitcnt vmcnt(0)
	ds_write_b128 v123, v[1:4]
.LBB35_225:
	s_or_b32 exec_lo, exec_lo, s4
	s_waitcnt lgkmcnt(0)
	s_waitcnt_vscnt null, 0x0
	s_barrier
	buffer_gl0_inv
	s_clause 0x37
	buffer_load_dword v9, off, s[0:3], 0 offset:72
	buffer_load_dword v10, off, s[0:3], 0 offset:76
	;; [unrolled: 1-line block ×56, first 2 shown]
	v_mov_b32_e32 v124, 0
	s_mov_b32 s4, exec_lo
	ds_read_b128 v[39:42], v124 offset:624
	s_clause 0x2
	buffer_load_dword v142, off, s[0:3], 0 offset:300
	buffer_load_dword v146, off, s[0:3], 0 offset:276
	;; [unrolled: 1-line block ×3, first 2 shown]
	ds_read_b128 v[43:46], v124 offset:640
	s_clause 0x4
	buffer_load_dword v150, off, s[0:3], 0 offset:316
	buffer_load_dword v151, off, s[0:3], 0 offset:328
	;; [unrolled: 1-line block ×5, first 2 shown]
	ds_read_b128 v[125:128], v124 offset:656
	s_clause 0x2
	buffer_load_dword v152, off, s[0:3], 0 offset:332
	buffer_load_dword v157, off, s[0:3], 0 offset:308
	;; [unrolled: 1-line block ×3, first 2 shown]
	s_waitcnt vmcnt(62) lgkmcnt(2)
	v_mul_f64 v[147:148], v[41:42], v[9:10]
	v_mul_f64 v[9:10], v[39:40], v[9:10]
	s_waitcnt lgkmcnt(1)
	v_mul_f64 v[154:155], v[45:46], v[5:6]
	s_waitcnt vmcnt(59) lgkmcnt(0)
	v_mul_f64 v[158:159], v[127:128], v[3:4]
	v_fma_f64 v[39:40], v[39:40], v[7:8], -v[147:148]
	v_mul_f64 v[147:148], v[43:44], v[5:6]
	v_fma_f64 v[9:10], v[41:42], v[7:8], v[9:10]
	s_waitcnt vmcnt(57)
	v_fma_f64 v[43:44], v[43:44], v[1:2], -v[154:155]
	ds_read_b128 v[5:8], v124 offset:672
	v_mul_f64 v[41:42], v[125:126], v[3:4]
	s_waitcnt vmcnt(51)
	v_fma_f64 v[125:126], v[125:126], v[25:26], -v[158:159]
	v_add_f64 v[39:40], v[39:40], 0
	v_fma_f64 v[45:46], v[45:46], v[1:2], v[147:148]
	v_add_f64 v[9:10], v[9:10], 0
	s_clause 0x4
	buffer_load_dword v148, off, s[0:3], 0 offset:348
	buffer_load_dword v160, off, s[0:3], 0 offset:360
	;; [unrolled: 1-line block ×5, first 2 shown]
	s_waitcnt lgkmcnt(0)
	v_mul_f64 v[163:164], v[5:6], v[13:14]
	v_mul_f64 v[13:14], v[7:8], v[13:14]
	ds_read_b128 v[1:4], v124 offset:688
	v_fma_f64 v[25:26], v[127:128], v[25:26], v[41:42]
	v_add_f64 v[43:44], v[39:40], v[43:44]
	v_add_f64 v[9:10], v[9:10], v[45:46]
	s_clause 0x2
	buffer_load_dword v161, off, s[0:3], 0 offset:364
	buffer_load_dword v46, off, s[0:3], 0 offset:340
	;; [unrolled: 1-line block ×3, first 2 shown]
	s_waitcnt vmcnt(58) lgkmcnt(0)
	v_mul_f64 v[127:128], v[1:2], v[17:18]
	v_mul_f64 v[17:18], v[3:4], v[17:18]
	s_waitcnt vmcnt(56)
	v_fma_f64 v[13:14], v[5:6], v[19:20], -v[13:14]
	ds_read_b128 v[39:42], v124 offset:704
	v_fma_f64 v[19:20], v[7:8], v[19:20], v[163:164]
	v_add_f64 v[43:44], v[43:44], v[125:126]
	v_add_f64 v[9:10], v[9:10], v[25:26]
	s_clause 0x4
	buffer_load_dword v26, off, s[0:3], 0 offset:380
	buffer_load_dword v125, off, s[0:3], 0 offset:392
	;; [unrolled: 1-line block ×5, first 2 shown]
	ds_read_b128 v[5:8], v124 offset:720
	s_waitcnt vmcnt(57) lgkmcnt(1)
	v_mul_f64 v[164:165], v[39:40], v[21:22]
	v_mul_f64 v[21:22], v[41:42], v[21:22]
	s_waitcnt vmcnt(56)
	v_fma_f64 v[17:18], v[1:2], v[11:12], -v[17:18]
	v_fma_f64 v[11:12], v[3:4], v[11:12], v[127:128]
	v_add_f64 v[13:14], v[43:44], v[13:14]
	v_add_f64 v[9:10], v[9:10], v[19:20]
	s_clause 0x2
	buffer_load_dword v126, off, s[0:3], 0 offset:396
	buffer_load_dword v20, off, s[0:3], 0 offset:372
	;; [unrolled: 1-line block ×3, first 2 shown]
	s_waitcnt vmcnt(58) lgkmcnt(0)
	v_mul_f64 v[43:44], v[5:6], v[27:28]
	v_mul_f64 v[27:28], v[7:8], v[27:28]
	s_waitcnt vmcnt(56)
	v_fma_f64 v[21:22], v[39:40], v[29:30], -v[21:22]
	ds_read_b128 v[1:4], v124 offset:736
	v_add_f64 v[13:14], v[13:14], v[17:18]
	v_fma_f64 v[17:18], v[41:42], v[29:30], v[164:165]
	v_add_f64 v[29:30], v[9:10], v[11:12]
	s_clause 0x4
	buffer_load_dword v40, off, s[0:3], 0 offset:412
	buffer_load_dword v41, off, s[0:3], 0 offset:424
	;; [unrolled: 1-line block ×5, first 2 shown]
	ds_read_b128 v[9:12], v124 offset:752
	s_waitcnt vmcnt(57) lgkmcnt(1)
	v_mul_f64 v[164:165], v[1:2], v[31:32]
	v_mul_f64 v[31:32], v[3:4], v[31:32]
	s_waitcnt vmcnt(56)
	v_fma_f64 v[27:28], v[5:6], v[15:16], -v[27:28]
	v_fma_f64 v[15:16], v[7:8], v[15:16], v[43:44]
	v_add_f64 v[13:14], v[13:14], v[21:22]
	s_clause 0x2
	buffer_load_dword v42, off, s[0:3], 0 offset:428
	buffer_load_dword v22, off, s[0:3], 0 offset:404
	;; [unrolled: 1-line block ×3, first 2 shown]
	v_add_f64 v[17:18], v[29:30], v[17:18]
	s_waitcnt vmcnt(58) lgkmcnt(0)
	v_mul_f64 v[29:30], v[9:10], v[35:36]
	v_mul_f64 v[35:36], v[11:12], v[35:36]
	ds_read_b128 v[5:8], v124 offset:768
	s_waitcnt vmcnt(56)
	v_fma_f64 v[31:32], v[1:2], v[37:38], -v[31:32]
	v_add_f64 v[13:14], v[13:14], v[27:28]
	v_fma_f64 v[27:28], v[3:4], v[37:38], v[164:165]
	v_add_f64 v[15:16], v[17:18], v[15:16]
	s_clause 0x4
	buffer_load_dword v18, off, s[0:3], 0 offset:444
	buffer_load_dword v37, off, s[0:3], 0 offset:456
	;; [unrolled: 1-line block ×5, first 2 shown]
	s_waitcnt vmcnt(57) lgkmcnt(0)
	v_mul_f64 v[164:165], v[5:6], v[47:48]
	v_mul_f64 v[47:48], v[7:8], v[47:48]
	s_waitcnt vmcnt(56)
	v_fma_f64 v[35:36], v[9:10], v[23:24], -v[35:36]
	ds_read_b128 v[1:4], v124 offset:784
	v_fma_f64 v[23:24], v[11:12], v[23:24], v[29:30]
	v_add_f64 v[13:14], v[13:14], v[31:32]
	v_add_f64 v[15:16], v[15:16], v[27:28]
	s_clause 0x2
	buffer_load_dword v38, off, s[0:3], 0 offset:460
	buffer_load_dword v28, off, s[0:3], 0 offset:436
	;; [unrolled: 1-line block ×3, first 2 shown]
	ds_read_b128 v[9:12], v124 offset:800
	s_waitcnt vmcnt(58) lgkmcnt(1)
	v_mul_f64 v[31:32], v[3:4], v[121:122]
	s_waitcnt vmcnt(56)
	v_fma_f64 v[47:48], v[5:6], v[129:130], -v[47:48]
	v_mul_f64 v[29:30], v[1:2], v[121:122]
	v_add_f64 v[13:14], v[13:14], v[35:36]
	v_fma_f64 v[35:36], v[7:8], v[129:130], v[164:165]
	v_add_f64 v[15:16], v[15:16], v[23:24]
	s_clause 0x4
	buffer_load_dword v24, off, s[0:3], 0 offset:476
	buffer_load_dword v121, off, s[0:3], 0 offset:488
	;; [unrolled: 1-line block ×5, first 2 shown]
	s_waitcnt vmcnt(57) lgkmcnt(0)
	v_mul_f64 v[164:165], v[9:10], v[131:132]
	v_mul_f64 v[130:131], v[11:12], v[131:132]
	s_waitcnt vmcnt(56)
	v_fma_f64 v[31:32], v[1:2], v[33:34], -v[31:32]
	ds_read_b128 v[5:8], v124 offset:816
	v_fma_f64 v[29:30], v[3:4], v[33:34], v[29:30]
	s_clause 0x2
	buffer_load_dword v122, off, s[0:3], 0 offset:492
	buffer_load_dword v34, off, s[0:3], 0 offset:468
	;; [unrolled: 1-line block ×3, first 2 shown]
	ds_read_b128 v[1:4], v124 offset:832
	v_add_f64 v[13:14], v[13:14], v[47:48]
	v_add_f64 v[15:16], v[15:16], v[35:36]
	s_waitcnt vmcnt(58) lgkmcnt(1)
	v_mul_f64 v[47:48], v[7:8], v[133:134]
	s_waitcnt vmcnt(56)
	v_fma_f64 v[131:132], v[9:10], v[137:138], -v[130:131]
	v_mul_f64 v[35:36], v[5:6], v[133:134]
	v_add_f64 v[13:14], v[13:14], v[31:32]
	v_fma_f64 v[31:32], v[11:12], v[137:138], v[164:165]
	v_add_f64 v[15:16], v[15:16], v[29:30]
	s_clause 0x4
	buffer_load_dword v30, off, s[0:3], 0 offset:508
	buffer_load_dword v133, off, s[0:3], 0 offset:520
	;; [unrolled: 1-line block ×5, first 2 shown]
	s_waitcnt vmcnt(57) lgkmcnt(0)
	v_mul_f64 v[164:165], v[1:2], v[139:140]
	v_mul_f64 v[138:139], v[3:4], v[139:140]
	s_waitcnt vmcnt(56)
	v_fma_f64 v[47:48], v[5:6], v[135:136], -v[47:48]
	ds_read_b128 v[9:12], v124 offset:848
	v_fma_f64 v[35:36], v[7:8], v[135:136], v[35:36]
	v_add_f64 v[13:14], v[13:14], v[131:132]
	v_add_f64 v[15:16], v[15:16], v[31:32]
	s_clause 0x2
	buffer_load_dword v134, off, s[0:3], 0 offset:524
	buffer_load_dword v32, off, s[0:3], 0 offset:500
	buffer_load_dword v31, off, s[0:3], 0 offset:496
	ds_read_b128 v[5:8], v124 offset:864
	s_waitcnt vmcnt(58) lgkmcnt(1)
	v_mul_f64 v[135:136], v[11:12], v[141:142]
	s_waitcnt vmcnt(56)
	v_fma_f64 v[139:140], v[1:2], v[145:146], -v[138:139]
	v_mul_f64 v[131:132], v[9:10], v[141:142]
	v_add_f64 v[13:14], v[13:14], v[47:48]
	v_fma_f64 v[47:48], v[3:4], v[145:146], v[164:165]
	v_add_f64 v[15:16], v[15:16], v[35:36]
	s_clause 0x4
	buffer_load_dword v36, off, s[0:3], 0 offset:540
	buffer_load_dword v141, off, s[0:3], 0 offset:552
	buffer_load_dword v145, off, s[0:3], 0 offset:544
	buffer_load_dword v35, off, s[0:3], 0 offset:536
	buffer_load_dword v138, off, s[0:3], 0 offset:516
	s_waitcnt vmcnt(57) lgkmcnt(0)
	v_mul_f64 v[164:165], v[5:6], v[149:150]
	v_mul_f64 v[149:150], v[7:8], v[149:150]
	s_waitcnt vmcnt(56)
	v_fma_f64 v[135:136], v[9:10], v[143:144], -v[135:136]
	ds_read_b128 v[1:4], v124 offset:880
	v_fma_f64 v[131:132], v[11:12], v[143:144], v[131:132]
	v_add_f64 v[13:14], v[13:14], v[139:140]
	v_add_f64 v[15:16], v[15:16], v[47:48]
	s_clause 0x2
	buffer_load_dword v142, off, s[0:3], 0 offset:556
	buffer_load_dword v48, off, s[0:3], 0 offset:532
	;; [unrolled: 1-line block ×3, first 2 shown]
	ds_read_b128 v[9:12], v124 offset:896
	s_waitcnt vmcnt(58) lgkmcnt(1)
	v_mul_f64 v[143:144], v[3:4], v[151:152]
	s_waitcnt vmcnt(56)
	v_fma_f64 v[149:150], v[5:6], v[156:157], -v[149:150]
	v_mul_f64 v[139:140], v[1:2], v[151:152]
	v_add_f64 v[13:14], v[13:14], v[135:136]
	v_fma_f64 v[135:136], v[7:8], v[156:157], v[164:165]
	v_add_f64 v[15:16], v[15:16], v[131:132]
	s_clause 0x4
	buffer_load_dword v132, off, s[0:3], 0 offset:572
	buffer_load_dword v151, off, s[0:3], 0 offset:584
	;; [unrolled: 1-line block ×5, first 2 shown]
	ds_read_b128 v[5:8], v124 offset:912
	s_waitcnt vmcnt(57) lgkmcnt(1)
	v_mul_f64 v[156:157], v[9:10], v[147:148]
	v_mul_f64 v[147:148], v[11:12], v[147:148]
	s_waitcnt vmcnt(56)
	v_fma_f64 v[143:144], v[1:2], v[153:154], -v[143:144]
	v_fma_f64 v[139:140], v[3:4], v[153:154], v[139:140]
	v_add_f64 v[13:14], v[13:14], v[149:150]
	v_add_f64 v[15:16], v[15:16], v[135:136]
	s_clause 0x2
	buffer_load_dword v152, off, s[0:3], 0 offset:588
	buffer_load_dword v136, off, s[0:3], 0 offset:564
	buffer_load_dword v135, off, s[0:3], 0 offset:560
	ds_read_b128 v[1:4], v124 offset:928
	s_waitcnt vmcnt(58) lgkmcnt(1)
	v_mul_f64 v[153:154], v[7:8], v[160:161]
	v_mul_f64 v[149:150], v[5:6], v[160:161]
	s_waitcnt vmcnt(56)
	v_fma_f64 v[147:148], v[9:10], v[45:46], -v[147:148]
	v_fma_f64 v[45:46], v[11:12], v[45:46], v[156:157]
	buffer_load_dword v156, off, s[0:3], 0 offset:580
	ds_read_b128 v[9:12], v124 offset:944
	v_add_f64 v[13:14], v[13:14], v[143:144]
	v_add_f64 v[15:16], v[15:16], v[139:140]
	s_waitcnt vmcnt(53) lgkmcnt(1)
	v_mul_f64 v[139:140], v[1:2], v[25:26]
	v_mul_f64 v[25:26], v[3:4], v[25:26]
	s_waitcnt vmcnt(52)
	v_fma_f64 v[143:144], v[5:6], v[162:163], -v[153:154]
	v_add_f64 v[13:14], v[13:14], v[147:148]
	v_fma_f64 v[147:148], v[7:8], v[162:163], v[149:150]
	v_add_f64 v[15:16], v[15:16], v[45:46]
	ds_read_b128 v[5:8], v124 offset:960
	s_waitcnt vmcnt(51) lgkmcnt(1)
	v_mul_f64 v[45:46], v[9:10], v[125:126]
	v_mul_f64 v[125:126], v[11:12], v[125:126]
	s_waitcnt vmcnt(49)
	v_fma_f64 v[25:26], v[1:2], v[19:20], -v[25:26]
	v_fma_f64 v[19:20], v[3:4], v[19:20], v[139:140]
	v_add_f64 v[13:14], v[13:14], v[143:144]
	s_clause 0x3
	buffer_load_dword v139, off, s[0:3], 0 offset:48
	buffer_load_dword v140, off, s[0:3], 0 offset:52
	;; [unrolled: 1-line block ×4, first 2 shown]
	v_add_f64 v[15:16], v[15:16], v[147:148]
	ds_read_b128 v[1:4], v124 offset:976
	s_waitcnt vmcnt(49) lgkmcnt(1)
	v_mul_f64 v[147:148], v[5:6], v[39:40]
	v_mul_f64 v[39:40], v[7:8], v[39:40]
	s_waitcnt vmcnt(48)
	v_fma_f64 v[125:126], v[9:10], v[158:159], -v[125:126]
	v_add_f64 v[13:14], v[13:14], v[25:26]
	v_fma_f64 v[25:26], v[11:12], v[158:159], v[45:46]
	v_add_f64 v[15:16], v[15:16], v[19:20]
	ds_read_b128 v[9:12], v124 offset:992
	s_waitcnt vmcnt(47) lgkmcnt(1)
	v_mul_f64 v[19:20], v[1:2], v[41:42]
	v_mul_f64 v[41:42], v[3:4], v[41:42]
	s_waitcnt vmcnt(45)
	v_fma_f64 v[39:40], v[5:6], v[21:22], -v[39:40]
	v_fma_f64 v[21:22], v[7:8], v[21:22], v[147:148]
	ds_read_b128 v[5:8], v124 offset:1008
	v_add_f64 v[13:14], v[13:14], v[125:126]
	v_add_f64 v[15:16], v[15:16], v[25:26]
	s_waitcnt vmcnt(41) lgkmcnt(1)
	v_mul_f64 v[25:26], v[9:10], v[17:18]
	v_mul_f64 v[17:18], v[11:12], v[17:18]
	s_waitcnt vmcnt(40)
	v_fma_f64 v[41:42], v[1:2], v[127:128], -v[41:42]
	v_fma_f64 v[19:20], v[3:4], v[127:128], v[19:20]
	ds_read_b128 v[1:4], v124 offset:1024
	v_add_f64 v[13:14], v[13:14], v[39:40]
	v_add_f64 v[15:16], v[15:16], v[21:22]
	;; [unrolled: 9-line block ×3, first 2 shown]
	s_waitcnt vmcnt(33) lgkmcnt(1)
	v_mul_f64 v[19:20], v[1:2], v[23:24]
	v_mul_f64 v[23:24], v[3:4], v[23:24]
	s_waitcnt vmcnt(32)
	v_fma_f64 v[27:28], v[5:6], v[43:44], -v[37:38]
	v_add_f64 v[13:14], v[13:14], v[17:18]
	v_fma_f64 v[17:18], v[7:8], v[43:44], v[21:22]
	v_add_f64 v[15:16], v[15:16], v[25:26]
	ds_read_b128 v[5:8], v124 offset:1056
	s_waitcnt vmcnt(31) lgkmcnt(1)
	v_mul_f64 v[25:26], v[11:12], v[121:122]
	v_mul_f64 v[21:22], v[9:10], v[121:122]
	s_waitcnt vmcnt(29)
	v_fma_f64 v[19:20], v[3:4], v[33:34], v[19:20]
	v_fma_f64 v[23:24], v[1:2], v[33:34], -v[23:24]
	ds_read_b128 v[1:4], v124 offset:1072
	v_add_f64 v[13:14], v[13:14], v[27:28]
	v_add_f64 v[15:16], v[15:16], v[17:18]
	s_waitcnt vmcnt(25) lgkmcnt(1)
	v_mul_f64 v[27:28], v[7:8], v[29:30]
	s_waitcnt vmcnt(24)
	v_fma_f64 v[25:26], v[9:10], v[129:130], -v[25:26]
	v_mul_f64 v[17:18], v[5:6], v[29:30]
	v_fma_f64 v[21:22], v[11:12], v[129:130], v[21:22]
	ds_read_b128 v[9:12], v124 offset:1088
	v_add_f64 v[13:14], v[13:14], v[23:24]
	v_add_f64 v[15:16], v[15:16], v[19:20]
	s_waitcnt vmcnt(23) lgkmcnt(1)
	v_mul_f64 v[23:24], v[3:4], v[133:134]
	v_mul_f64 v[19:20], v[1:2], v[133:134]
	s_waitcnt vmcnt(21)
	v_fma_f64 v[27:28], v[5:6], v[31:32], -v[27:28]
	v_fma_f64 v[17:18], v[7:8], v[31:32], v[17:18]
	ds_read_b128 v[5:8], v124 offset:1104
	v_add_f64 v[13:14], v[13:14], v[25:26]
	v_add_f64 v[15:16], v[15:16], v[21:22]
	s_waitcnt vmcnt(17) lgkmcnt(1)
	v_mul_f64 v[25:26], v[11:12], v[35:36]
	s_waitcnt vmcnt(16)
	v_fma_f64 v[23:24], v[1:2], v[137:138], -v[23:24]
	v_mul_f64 v[21:22], v[9:10], v[35:36]
	v_fma_f64 v[19:20], v[3:4], v[137:138], v[19:20]
	ds_read_b128 v[1:4], v124 offset:1120
	v_add_f64 v[13:14], v[13:14], v[27:28]
	v_add_f64 v[15:16], v[15:16], v[17:18]
	s_waitcnt vmcnt(15) lgkmcnt(1)
	v_mul_f64 v[27:28], v[7:8], v[141:142]
	v_mul_f64 v[17:18], v[5:6], v[141:142]
	s_waitcnt vmcnt(13)
	v_fma_f64 v[25:26], v[9:10], v[47:48], -v[25:26]
	v_fma_f64 v[21:22], v[11:12], v[47:48], v[21:22]
	ds_read_b128 v[9:12], v124 offset:1136
	v_add_f64 v[13:14], v[13:14], v[23:24]
	v_add_f64 v[15:16], v[15:16], v[19:20]
	s_waitcnt vmcnt(9) lgkmcnt(1)
	v_mul_f64 v[23:24], v[3:4], v[131:132]
	s_waitcnt vmcnt(8)
	v_fma_f64 v[5:6], v[5:6], v[145:146], -v[27:28]
	v_mul_f64 v[19:20], v[1:2], v[131:132]
	v_fma_f64 v[7:8], v[7:8], v[145:146], v[17:18]
	v_add_f64 v[13:14], v[13:14], v[25:26]
	v_add_f64 v[15:16], v[15:16], v[21:22]
	s_waitcnt vmcnt(7) lgkmcnt(0)
	v_mul_f64 v[21:22], v[11:12], v[151:152]
	v_mul_f64 v[17:18], v[9:10], v[151:152]
	s_waitcnt vmcnt(5)
	v_fma_f64 v[1:2], v[1:2], v[135:136], -v[23:24]
	v_fma_f64 v[3:4], v[3:4], v[135:136], v[19:20]
	v_add_f64 v[5:6], v[13:14], v[5:6]
	v_add_f64 v[7:8], v[15:16], v[7:8]
	s_waitcnt vmcnt(4)
	v_fma_f64 v[9:10], v[9:10], v[155:156], -v[21:22]
	v_add_f64 v[1:2], v[5:6], v[1:2]
	v_fma_f64 v[5:6], v[11:12], v[155:156], v[17:18]
	v_add_f64 v[3:4], v[7:8], v[3:4]
	v_add_f64 v[1:2], v[1:2], v[9:10]
	;; [unrolled: 1-line block ×3, first 2 shown]
	s_waitcnt vmcnt(2)
	v_add_f64 v[1:2], v[139:140], -v[1:2]
	s_waitcnt vmcnt(0)
	v_add_f64 v[3:4], v[143:144], -v[3:4]
	buffer_store_dword v2, off, s[0:3], 0 offset:52
	buffer_store_dword v1, off, s[0:3], 0 offset:48
	;; [unrolled: 1-line block ×4, first 2 shown]
	v_cmpx_lt_u32_e32 1, v0
	s_cbranch_execz .LBB35_227
; %bb.226:
	v_mov_b32_e32 v4, s47
	s_clause 0x3
	buffer_load_dword v1, v4, s[0:3], 0 offen
	buffer_load_dword v2, v4, s[0:3], 0 offen offset:4
	buffer_load_dword v3, v4, s[0:3], 0 offen offset:8
	;; [unrolled: 1-line block ×3, first 2 shown]
	buffer_store_dword v124, off, s[0:3], 0 offset:32
	buffer_store_dword v124, off, s[0:3], 0 offset:36
	;; [unrolled: 1-line block ×4, first 2 shown]
	s_waitcnt vmcnt(0)
	ds_write_b128 v123, v[1:4]
.LBB35_227:
	s_or_b32 exec_lo, exec_lo, s4
	s_waitcnt lgkmcnt(0)
	s_waitcnt_vscnt null, 0x0
	s_barrier
	buffer_gl0_inv
	s_clause 0x37
	buffer_load_dword v9, off, s[0:3], 0 offset:56
	buffer_load_dword v10, off, s[0:3], 0 offset:60
	;; [unrolled: 1-line block ×56, first 2 shown]
	ds_read_b128 v[125:128], v124 offset:608
	s_clause 0x2
	buffer_load_dword v144, off, s[0:3], 0 offset:284
	buffer_load_dword v146, off, s[0:3], 0 offset:260
	buffer_load_dword v145, off, s[0:3], 0 offset:256
	ds_read_b128 v[129:132], v124 offset:624
	s_clause 0x4
	buffer_load_dword v150, off, s[0:3], 0 offset:300
	buffer_load_dword v151, off, s[0:3], 0 offset:312
	;; [unrolled: 1-line block ×5, first 2 shown]
	ds_read_b128 v[133:136], v124 offset:640
	s_clause 0x2
	buffer_load_dword v152, off, s[0:3], 0 offset:316
	buffer_load_dword v157, off, s[0:3], 0 offset:292
	;; [unrolled: 1-line block ×3, first 2 shown]
	s_mov_b32 s4, exec_lo
	s_waitcnt vmcnt(62) lgkmcnt(2)
	v_mul_f64 v[147:148], v[127:128], v[9:10]
	v_mul_f64 v[9:10], v[125:126], v[9:10]
	s_waitcnt lgkmcnt(1)
	v_mul_f64 v[154:155], v[131:132], v[5:6]
	s_waitcnt vmcnt(59) lgkmcnt(0)
	v_mul_f64 v[158:159], v[135:136], v[3:4]
	v_fma_f64 v[125:126], v[125:126], v[7:8], -v[147:148]
	v_mul_f64 v[147:148], v[129:130], v[5:6]
	v_fma_f64 v[9:10], v[127:128], v[7:8], v[9:10]
	s_waitcnt vmcnt(57)
	v_fma_f64 v[129:130], v[129:130], v[1:2], -v[154:155]
	ds_read_b128 v[5:8], v124 offset:656
	v_mul_f64 v[127:128], v[133:134], v[3:4]
	s_waitcnt vmcnt(51)
	v_fma_f64 v[133:134], v[133:134], v[25:26], -v[158:159]
	v_add_f64 v[125:126], v[125:126], 0
	v_fma_f64 v[131:132], v[131:132], v[1:2], v[147:148]
	v_add_f64 v[9:10], v[9:10], 0
	s_clause 0x4
	buffer_load_dword v148, off, s[0:3], 0 offset:332
	buffer_load_dword v160, off, s[0:3], 0 offset:344
	;; [unrolled: 1-line block ×5, first 2 shown]
	s_waitcnt lgkmcnt(0)
	v_mul_f64 v[163:164], v[5:6], v[13:14]
	v_mul_f64 v[13:14], v[7:8], v[13:14]
	ds_read_b128 v[1:4], v124 offset:672
	v_fma_f64 v[25:26], v[135:136], v[25:26], v[127:128]
	v_add_f64 v[129:130], v[125:126], v[129:130]
	v_add_f64 v[9:10], v[9:10], v[131:132]
	s_clause 0x2
	buffer_load_dword v161, off, s[0:3], 0 offset:348
	buffer_load_dword v132, off, s[0:3], 0 offset:324
	;; [unrolled: 1-line block ×3, first 2 shown]
	s_waitcnt vmcnt(58) lgkmcnt(0)
	v_mul_f64 v[135:136], v[1:2], v[17:18]
	v_mul_f64 v[17:18], v[3:4], v[17:18]
	s_waitcnt vmcnt(56)
	v_fma_f64 v[13:14], v[5:6], v[19:20], -v[13:14]
	ds_read_b128 v[125:128], v124 offset:688
	v_fma_f64 v[19:20], v[7:8], v[19:20], v[163:164]
	v_add_f64 v[129:130], v[129:130], v[133:134]
	v_add_f64 v[9:10], v[9:10], v[25:26]
	s_clause 0x4
	buffer_load_dword v26, off, s[0:3], 0 offset:364
	buffer_load_dword v133, off, s[0:3], 0 offset:376
	;; [unrolled: 1-line block ×5, first 2 shown]
	ds_read_b128 v[5:8], v124 offset:704
	s_waitcnt vmcnt(57) lgkmcnt(1)
	v_mul_f64 v[164:165], v[125:126], v[21:22]
	v_mul_f64 v[21:22], v[127:128], v[21:22]
	s_waitcnt vmcnt(56)
	v_fma_f64 v[17:18], v[1:2], v[11:12], -v[17:18]
	v_fma_f64 v[11:12], v[3:4], v[11:12], v[135:136]
	v_add_f64 v[13:14], v[129:130], v[13:14]
	v_add_f64 v[9:10], v[9:10], v[19:20]
	s_clause 0x2
	buffer_load_dword v134, off, s[0:3], 0 offset:380
	buffer_load_dword v20, off, s[0:3], 0 offset:356
	;; [unrolled: 1-line block ×3, first 2 shown]
	s_waitcnt vmcnt(58) lgkmcnt(0)
	v_mul_f64 v[129:130], v[5:6], v[27:28]
	v_mul_f64 v[27:28], v[7:8], v[27:28]
	s_waitcnt vmcnt(56)
	v_fma_f64 v[21:22], v[125:126], v[29:30], -v[21:22]
	ds_read_b128 v[1:4], v124 offset:720
	v_add_f64 v[13:14], v[13:14], v[17:18]
	v_fma_f64 v[17:18], v[127:128], v[29:30], v[164:165]
	v_add_f64 v[29:30], v[9:10], v[11:12]
	s_clause 0x4
	buffer_load_dword v126, off, s[0:3], 0 offset:396
	buffer_load_dword v127, off, s[0:3], 0 offset:408
	;; [unrolled: 1-line block ×5, first 2 shown]
	ds_read_b128 v[9:12], v124 offset:736
	s_waitcnt vmcnt(57) lgkmcnt(1)
	v_mul_f64 v[164:165], v[1:2], v[31:32]
	v_mul_f64 v[31:32], v[3:4], v[31:32]
	s_waitcnt vmcnt(56)
	v_fma_f64 v[27:28], v[5:6], v[15:16], -v[27:28]
	v_fma_f64 v[15:16], v[7:8], v[15:16], v[129:130]
	v_add_f64 v[13:14], v[13:14], v[21:22]
	s_clause 0x2
	buffer_load_dword v128, off, s[0:3], 0 offset:412
	buffer_load_dword v22, off, s[0:3], 0 offset:388
	;; [unrolled: 1-line block ×3, first 2 shown]
	v_add_f64 v[17:18], v[29:30], v[17:18]
	s_waitcnt vmcnt(58) lgkmcnt(0)
	v_mul_f64 v[29:30], v[9:10], v[35:36]
	v_mul_f64 v[35:36], v[11:12], v[35:36]
	ds_read_b128 v[5:8], v124 offset:752
	s_waitcnt vmcnt(56)
	v_fma_f64 v[31:32], v[1:2], v[37:38], -v[31:32]
	v_add_f64 v[13:14], v[13:14], v[27:28]
	v_fma_f64 v[27:28], v[3:4], v[37:38], v[164:165]
	v_add_f64 v[15:16], v[17:18], v[15:16]
	s_clause 0x4
	buffer_load_dword v18, off, s[0:3], 0 offset:428
	buffer_load_dword v37, off, s[0:3], 0 offset:440
	;; [unrolled: 1-line block ×5, first 2 shown]
	s_waitcnt vmcnt(57) lgkmcnt(0)
	v_mul_f64 v[164:165], v[5:6], v[39:40]
	v_mul_f64 v[39:40], v[7:8], v[39:40]
	s_waitcnt vmcnt(56)
	v_fma_f64 v[35:36], v[9:10], v[23:24], -v[35:36]
	ds_read_b128 v[1:4], v124 offset:768
	v_fma_f64 v[23:24], v[11:12], v[23:24], v[29:30]
	v_add_f64 v[13:14], v[13:14], v[31:32]
	v_add_f64 v[15:16], v[15:16], v[27:28]
	s_clause 0x2
	buffer_load_dword v38, off, s[0:3], 0 offset:444
	buffer_load_dword v28, off, s[0:3], 0 offset:420
	;; [unrolled: 1-line block ×3, first 2 shown]
	ds_read_b128 v[9:12], v124 offset:784
	s_waitcnt vmcnt(58) lgkmcnt(1)
	v_mul_f64 v[31:32], v[3:4], v[43:44]
	s_waitcnt vmcnt(56)
	v_fma_f64 v[39:40], v[5:6], v[45:46], -v[39:40]
	v_mul_f64 v[29:30], v[1:2], v[43:44]
	v_add_f64 v[13:14], v[13:14], v[35:36]
	v_fma_f64 v[35:36], v[7:8], v[45:46], v[164:165]
	v_add_f64 v[15:16], v[15:16], v[23:24]
	s_clause 0x4
	buffer_load_dword v24, off, s[0:3], 0 offset:460
	buffer_load_dword v43, off, s[0:3], 0 offset:472
	;; [unrolled: 1-line block ×5, first 2 shown]
	s_waitcnt vmcnt(57) lgkmcnt(0)
	v_mul_f64 v[164:165], v[9:10], v[47:48]
	v_mul_f64 v[46:47], v[11:12], v[47:48]
	s_waitcnt vmcnt(56)
	v_fma_f64 v[31:32], v[1:2], v[33:34], -v[31:32]
	ds_read_b128 v[5:8], v124 offset:800
	v_fma_f64 v[29:30], v[3:4], v[33:34], v[29:30]
	s_clause 0x2
	buffer_load_dword v44, off, s[0:3], 0 offset:476
	buffer_load_dword v34, off, s[0:3], 0 offset:452
	;; [unrolled: 1-line block ×3, first 2 shown]
	ds_read_b128 v[1:4], v124 offset:816
	v_add_f64 v[13:14], v[13:14], v[39:40]
	v_add_f64 v[15:16], v[15:16], v[35:36]
	s_waitcnt vmcnt(58) lgkmcnt(1)
	v_mul_f64 v[39:40], v[7:8], v[137:138]
	s_waitcnt vmcnt(56)
	v_fma_f64 v[47:48], v[9:10], v[139:140], -v[46:47]
	v_mul_f64 v[35:36], v[5:6], v[137:138]
	v_add_f64 v[13:14], v[13:14], v[31:32]
	v_fma_f64 v[31:32], v[11:12], v[139:140], v[164:165]
	v_add_f64 v[15:16], v[15:16], v[29:30]
	s_clause 0x4
	buffer_load_dword v30, off, s[0:3], 0 offset:492
	buffer_load_dword v137, off, s[0:3], 0 offset:504
	;; [unrolled: 1-line block ×5, first 2 shown]
	s_waitcnt vmcnt(57) lgkmcnt(0)
	v_mul_f64 v[164:165], v[1:2], v[141:142]
	v_mul_f64 v[140:141], v[3:4], v[141:142]
	s_waitcnt vmcnt(56)
	v_fma_f64 v[39:40], v[5:6], v[41:42], -v[39:40]
	ds_read_b128 v[9:12], v124 offset:832
	v_fma_f64 v[35:36], v[7:8], v[41:42], v[35:36]
	v_add_f64 v[13:14], v[13:14], v[47:48]
	v_add_f64 v[15:16], v[15:16], v[31:32]
	s_clause 0x2
	buffer_load_dword v138, off, s[0:3], 0 offset:508
	buffer_load_dword v32, off, s[0:3], 0 offset:484
	;; [unrolled: 1-line block ×3, first 2 shown]
	ds_read_b128 v[5:8], v124 offset:848
	s_waitcnt vmcnt(58) lgkmcnt(1)
	v_mul_f64 v[47:48], v[11:12], v[143:144]
	s_waitcnt vmcnt(56)
	v_fma_f64 v[141:142], v[1:2], v[145:146], -v[140:141]
	v_mul_f64 v[41:42], v[9:10], v[143:144]
	v_add_f64 v[13:14], v[13:14], v[39:40]
	v_fma_f64 v[39:40], v[3:4], v[145:146], v[164:165]
	v_add_f64 v[15:16], v[15:16], v[35:36]
	s_clause 0x4
	buffer_load_dword v36, off, s[0:3], 0 offset:524
	buffer_load_dword v143, off, s[0:3], 0 offset:536
	;; [unrolled: 1-line block ×5, first 2 shown]
	s_waitcnt vmcnt(57) lgkmcnt(0)
	v_mul_f64 v[164:165], v[5:6], v[149:150]
	v_mul_f64 v[149:150], v[7:8], v[149:150]
	s_waitcnt vmcnt(56)
	v_fma_f64 v[47:48], v[9:10], v[121:122], -v[47:48]
	ds_read_b128 v[1:4], v124 offset:864
	v_fma_f64 v[41:42], v[11:12], v[121:122], v[41:42]
	v_add_f64 v[13:14], v[13:14], v[141:142]
	v_add_f64 v[15:16], v[15:16], v[39:40]
	s_clause 0x2
	buffer_load_dword v144, off, s[0:3], 0 offset:540
	buffer_load_dword v40, off, s[0:3], 0 offset:516
	;; [unrolled: 1-line block ×3, first 2 shown]
	ds_read_b128 v[9:12], v124 offset:880
	s_waitcnt vmcnt(58) lgkmcnt(1)
	v_mul_f64 v[141:142], v[3:4], v[151:152]
	s_waitcnt vmcnt(56)
	v_fma_f64 v[149:150], v[5:6], v[156:157], -v[149:150]
	v_mul_f64 v[121:122], v[1:2], v[151:152]
	v_add_f64 v[13:14], v[13:14], v[47:48]
	v_fma_f64 v[47:48], v[7:8], v[156:157], v[164:165]
	v_add_f64 v[15:16], v[15:16], v[41:42]
	s_clause 0x4
	buffer_load_dword v42, off, s[0:3], 0 offset:556
	buffer_load_dword v151, off, s[0:3], 0 offset:568
	;; [unrolled: 1-line block ×5, first 2 shown]
	ds_read_b128 v[5:8], v124 offset:896
	s_waitcnt vmcnt(57) lgkmcnt(1)
	v_mul_f64 v[156:157], v[9:10], v[147:148]
	v_mul_f64 v[147:148], v[11:12], v[147:148]
	s_waitcnt vmcnt(56)
	v_fma_f64 v[141:142], v[1:2], v[153:154], -v[141:142]
	v_fma_f64 v[121:122], v[3:4], v[153:154], v[121:122]
	v_add_f64 v[13:14], v[13:14], v[149:150]
	v_add_f64 v[15:16], v[15:16], v[47:48]
	s_clause 0x2
	buffer_load_dword v152, off, s[0:3], 0 offset:572
	buffer_load_dword v48, off, s[0:3], 0 offset:548
	;; [unrolled: 1-line block ×3, first 2 shown]
	ds_read_b128 v[1:4], v124 offset:912
	s_waitcnt vmcnt(58) lgkmcnt(1)
	v_mul_f64 v[153:154], v[7:8], v[160:161]
	v_mul_f64 v[149:150], v[5:6], v[160:161]
	s_waitcnt vmcnt(56)
	v_fma_f64 v[147:148], v[9:10], v[131:132], -v[147:148]
	v_fma_f64 v[131:132], v[11:12], v[131:132], v[156:157]
	v_add_f64 v[13:14], v[13:14], v[141:142]
	v_add_f64 v[15:16], v[15:16], v[121:122]
	s_clause 0x2
	buffer_load_dword v122, off, s[0:3], 0 offset:588
	buffer_load_dword v121, off, s[0:3], 0 offset:584
	;; [unrolled: 1-line block ×3, first 2 shown]
	ds_read_b128 v[9:12], v124 offset:928
	s_waitcnt vmcnt(55) lgkmcnt(1)
	v_mul_f64 v[141:142], v[1:2], v[25:26]
	v_mul_f64 v[25:26], v[3:4], v[25:26]
	s_waitcnt vmcnt(54)
	v_fma_f64 v[153:154], v[5:6], v[162:163], -v[153:154]
	v_add_f64 v[13:14], v[13:14], v[147:148]
	v_fma_f64 v[147:148], v[7:8], v[162:163], v[149:150]
	v_add_f64 v[15:16], v[15:16], v[131:132]
	s_clause 0x1
	buffer_load_dword v132, off, s[0:3], 0 offset:580
	buffer_load_dword v131, off, s[0:3], 0 offset:576
	ds_read_b128 v[5:8], v124 offset:944
	s_waitcnt vmcnt(55) lgkmcnt(1)
	v_mul_f64 v[149:150], v[9:10], v[133:134]
	v_mul_f64 v[133:134], v[11:12], v[133:134]
	s_waitcnt vmcnt(53)
	v_fma_f64 v[25:26], v[1:2], v[19:20], -v[25:26]
	v_fma_f64 v[19:20], v[3:4], v[19:20], v[141:142]
	ds_read_b128 v[1:4], v124 offset:960
	v_add_f64 v[13:14], v[13:14], v[153:154]
	v_add_f64 v[15:16], v[15:16], v[147:148]
	s_waitcnt vmcnt(49) lgkmcnt(1)
	v_mul_f64 v[141:142], v[5:6], v[125:126]
	v_mul_f64 v[125:126], v[7:8], v[125:126]
	s_waitcnt vmcnt(48)
	v_fma_f64 v[133:134], v[9:10], v[158:159], -v[133:134]
	v_add_f64 v[13:14], v[13:14], v[25:26]
	v_fma_f64 v[25:26], v[11:12], v[158:159], v[149:150]
	v_add_f64 v[15:16], v[15:16], v[19:20]
	s_clause 0x3
	buffer_load_dword v19, off, s[0:3], 0 offset:32
	buffer_load_dword v20, off, s[0:3], 0 offset:36
	;; [unrolled: 1-line block ×4, first 2 shown]
	ds_read_b128 v[9:12], v124 offset:976
	s_waitcnt vmcnt(51) lgkmcnt(1)
	v_mul_f64 v[149:150], v[1:2], v[127:128]
	v_mul_f64 v[127:128], v[3:4], v[127:128]
	s_waitcnt vmcnt(49)
	v_fma_f64 v[125:126], v[5:6], v[21:22], -v[125:126]
	v_fma_f64 v[21:22], v[7:8], v[21:22], v[141:142]
	ds_read_b128 v[5:8], v124 offset:992
	v_add_f64 v[13:14], v[13:14], v[133:134]
	v_add_f64 v[15:16], v[15:16], v[25:26]
	s_waitcnt vmcnt(45) lgkmcnt(1)
	v_mul_f64 v[25:26], v[9:10], v[17:18]
	v_mul_f64 v[17:18], v[11:12], v[17:18]
	s_waitcnt vmcnt(44)
	v_fma_f64 v[127:128], v[1:2], v[135:136], -v[127:128]
	v_add_f64 v[13:14], v[13:14], v[125:126]
	v_fma_f64 v[125:126], v[3:4], v[135:136], v[149:150]
	v_add_f64 v[15:16], v[15:16], v[21:22]
	ds_read_b128 v[1:4], v124 offset:1008
	s_waitcnt vmcnt(43) lgkmcnt(1)
	v_mul_f64 v[21:22], v[5:6], v[37:38]
	v_mul_f64 v[37:38], v[7:8], v[37:38]
	s_waitcnt vmcnt(41)
	v_fma_f64 v[17:18], v[9:10], v[27:28], -v[17:18]
	v_fma_f64 v[25:26], v[11:12], v[27:28], v[25:26]
	ds_read_b128 v[9:12], v124 offset:1024
	v_add_f64 v[13:14], v[13:14], v[127:128]
	v_add_f64 v[15:16], v[15:16], v[125:126]
	s_waitcnt vmcnt(37) lgkmcnt(1)
	v_mul_f64 v[27:28], v[1:2], v[23:24]
	v_mul_f64 v[23:24], v[3:4], v[23:24]
	s_waitcnt vmcnt(36)
	v_fma_f64 v[37:38], v[5:6], v[129:130], -v[37:38]
	v_add_f64 v[13:14], v[13:14], v[17:18]
	v_fma_f64 v[17:18], v[7:8], v[129:130], v[21:22]
	v_add_f64 v[15:16], v[15:16], v[25:26]
	s_waitcnt vmcnt(35) lgkmcnt(0)
	v_mul_f64 v[25:26], v[11:12], v[43:44]
	ds_read_b128 v[5:8], v124 offset:1040
	v_mul_f64 v[21:22], v[9:10], v[43:44]
	s_waitcnt vmcnt(33)
	v_fma_f64 v[27:28], v[3:4], v[33:34], v[27:28]
	v_fma_f64 v[23:24], v[1:2], v[33:34], -v[23:24]
	ds_read_b128 v[1:4], v124 offset:1056
	v_add_f64 v[13:14], v[13:14], v[37:38]
	v_add_f64 v[15:16], v[15:16], v[17:18]
	s_waitcnt vmcnt(29) lgkmcnt(1)
	v_mul_f64 v[17:18], v[5:6], v[29:30]
	v_mul_f64 v[29:30], v[7:8], v[29:30]
	s_waitcnt vmcnt(28)
	v_fma_f64 v[25:26], v[9:10], v[45:46], -v[25:26]
	v_fma_f64 v[21:22], v[11:12], v[45:46], v[21:22]
	ds_read_b128 v[9:12], v124 offset:1072
	v_add_f64 v[13:14], v[13:14], v[23:24]
	v_add_f64 v[15:16], v[15:16], v[27:28]
	s_waitcnt vmcnt(27) lgkmcnt(1)
	v_mul_f64 v[27:28], v[3:4], v[137:138]
	v_mul_f64 v[23:24], v[1:2], v[137:138]
	s_waitcnt vmcnt(25)
	v_fma_f64 v[29:30], v[5:6], v[31:32], -v[29:30]
	v_fma_f64 v[17:18], v[7:8], v[31:32], v[17:18]
	ds_read_b128 v[5:8], v124 offset:1088
	v_add_f64 v[13:14], v[13:14], v[25:26]
	v_add_f64 v[15:16], v[15:16], v[21:22]
	s_waitcnt vmcnt(21) lgkmcnt(1)
	v_mul_f64 v[25:26], v[11:12], v[35:36]
	s_waitcnt vmcnt(20)
	v_fma_f64 v[27:28], v[1:2], v[139:140], -v[27:28]
	v_mul_f64 v[21:22], v[9:10], v[35:36]
	v_fma_f64 v[23:24], v[3:4], v[139:140], v[23:24]
	ds_read_b128 v[1:4], v124 offset:1104
	v_add_f64 v[13:14], v[13:14], v[29:30]
	v_add_f64 v[15:16], v[15:16], v[17:18]
	s_waitcnt vmcnt(19) lgkmcnt(1)
	v_mul_f64 v[29:30], v[7:8], v[143:144]
	v_mul_f64 v[17:18], v[5:6], v[143:144]
	s_waitcnt vmcnt(17)
	v_fma_f64 v[25:26], v[9:10], v[39:40], -v[25:26]
	v_fma_f64 v[21:22], v[11:12], v[39:40], v[21:22]
	ds_read_b128 v[9:12], v124 offset:1120
	v_add_f64 v[13:14], v[13:14], v[27:28]
	v_add_f64 v[15:16], v[15:16], v[23:24]
	s_waitcnt vmcnt(13) lgkmcnt(1)
	v_mul_f64 v[27:28], v[3:4], v[41:42]
	s_waitcnt vmcnt(12)
	v_fma_f64 v[29:30], v[5:6], v[145:146], -v[29:30]
	v_mul_f64 v[23:24], v[1:2], v[41:42]
	v_fma_f64 v[17:18], v[7:8], v[145:146], v[17:18]
	ds_read_b128 v[5:8], v124 offset:1136
	v_add_f64 v[13:14], v[13:14], v[25:26]
	v_add_f64 v[15:16], v[15:16], v[21:22]
	s_waitcnt vmcnt(11) lgkmcnt(1)
	v_mul_f64 v[25:26], v[11:12], v[151:152]
	v_mul_f64 v[21:22], v[9:10], v[151:152]
	s_waitcnt vmcnt(9)
	v_fma_f64 v[1:2], v[1:2], v[47:48], -v[27:28]
	v_fma_f64 v[3:4], v[3:4], v[47:48], v[23:24]
	v_add_f64 v[13:14], v[13:14], v[29:30]
	v_add_f64 v[15:16], v[15:16], v[17:18]
	s_waitcnt vmcnt(7) lgkmcnt(0)
	v_mul_f64 v[23:24], v[7:8], v[121:122]
	s_waitcnt vmcnt(6)
	v_fma_f64 v[9:10], v[9:10], v[155:156], -v[25:26]
	v_mul_f64 v[17:18], v[5:6], v[121:122]
	v_fma_f64 v[11:12], v[11:12], v[155:156], v[21:22]
	v_add_f64 v[1:2], v[13:14], v[1:2]
	v_add_f64 v[3:4], v[15:16], v[3:4]
	s_waitcnt vmcnt(4)
	v_fma_f64 v[5:6], v[5:6], v[131:132], -v[23:24]
	v_fma_f64 v[7:8], v[7:8], v[131:132], v[17:18]
	v_add_f64 v[1:2], v[1:2], v[9:10]
	v_add_f64 v[3:4], v[3:4], v[11:12]
	;; [unrolled: 1-line block ×4, first 2 shown]
	s_waitcnt vmcnt(2)
	v_add_f64 v[1:2], v[19:20], -v[1:2]
	s_waitcnt vmcnt(0)
	v_add_f64 v[3:4], v[147:148], -v[3:4]
	buffer_store_dword v2, off, s[0:3], 0 offset:36
	buffer_store_dword v1, off, s[0:3], 0 offset:32
	;; [unrolled: 1-line block ×4, first 2 shown]
	v_cmpx_ne_u32_e32 0, v0
	s_cbranch_execz .LBB35_229
; %bb.228:
	s_clause 0x3
	buffer_load_dword v0, off, s[0:3], 0 offset:16
	buffer_load_dword v1, off, s[0:3], 0 offset:20
	buffer_load_dword v2, off, s[0:3], 0 offset:24
	buffer_load_dword v3, off, s[0:3], 0 offset:28
	v_mov_b32_e32 v4, 0
	buffer_store_dword v4, off, s[0:3], 0 offset:16
	buffer_store_dword v4, off, s[0:3], 0 offset:20
	;; [unrolled: 1-line block ×4, first 2 shown]
	s_waitcnt vmcnt(0)
	ds_write_b128 v123, v[0:3]
.LBB35_229:
	s_or_b32 exec_lo, exec_lo, s4
	s_waitcnt lgkmcnt(0)
	s_waitcnt_vscnt null, 0x0
	s_barrier
	buffer_gl0_inv
	s_clause 0x37
	buffer_load_dword v8, off, s[0:3], 0 offset:40
	buffer_load_dword v9, off, s[0:3], 0 offset:44
	;; [unrolled: 1-line block ×56, first 2 shown]
	v_mov_b32_e32 v48, 0
	s_and_b32 vcc_lo, exec_lo, s48
	ds_read_b128 v[131:134], v48 offset:592
	s_clause 0x2
	buffer_load_dword v130, off, s[0:3], 0 offset:268
	buffer_load_dword v144, off, s[0:3], 0 offset:244
	;; [unrolled: 1-line block ×3, first 2 shown]
	ds_read_b128 v[135:138], v48 offset:608
	s_clause 0x4
	buffer_load_dword v148, off, s[0:3], 0 offset:284
	buffer_load_dword v149, off, s[0:3], 0 offset:296
	;; [unrolled: 1-line block ×5, first 2 shown]
	ds_read_b128 v[139:142], v48 offset:624
	s_clause 0x2
	buffer_load_dword v150, off, s[0:3], 0 offset:300
	buffer_load_dword v155, off, s[0:3], 0 offset:276
	;; [unrolled: 1-line block ×3, first 2 shown]
	s_waitcnt vmcnt(62) lgkmcnt(2)
	v_mul_f64 v[145:146], v[133:134], v[8:9]
	v_mul_f64 v[8:9], v[131:132], v[8:9]
	s_waitcnt lgkmcnt(1)
	v_mul_f64 v[152:153], v[137:138], v[4:5]
	s_waitcnt vmcnt(59) lgkmcnt(0)
	v_mul_f64 v[156:157], v[141:142], v[2:3]
	v_fma_f64 v[131:132], v[131:132], v[6:7], -v[145:146]
	v_mul_f64 v[145:146], v[135:136], v[4:5]
	v_fma_f64 v[8:9], v[133:134], v[6:7], v[8:9]
	s_waitcnt vmcnt(57)
	v_fma_f64 v[135:136], v[135:136], v[0:1], -v[152:153]
	ds_read_b128 v[4:7], v48 offset:640
	v_mul_f64 v[133:134], v[139:140], v[2:3]
	s_waitcnt vmcnt(51)
	v_fma_f64 v[139:140], v[139:140], v[24:25], -v[156:157]
	v_add_f64 v[131:132], v[131:132], 0
	v_fma_f64 v[137:138], v[137:138], v[0:1], v[145:146]
	v_add_f64 v[8:9], v[8:9], 0
	s_clause 0x4
	buffer_load_dword v146, off, s[0:3], 0 offset:316
	buffer_load_dword v158, off, s[0:3], 0 offset:328
	;; [unrolled: 1-line block ×5, first 2 shown]
	s_waitcnt lgkmcnt(0)
	v_mul_f64 v[161:162], v[4:5], v[12:13]
	v_mul_f64 v[12:13], v[6:7], v[12:13]
	ds_read_b128 v[0:3], v48 offset:656
	v_fma_f64 v[24:25], v[141:142], v[24:25], v[133:134]
	v_add_f64 v[135:136], v[131:132], v[135:136]
	v_add_f64 v[8:9], v[8:9], v[137:138]
	s_clause 0x2
	buffer_load_dword v159, off, s[0:3], 0 offset:332
	buffer_load_dword v138, off, s[0:3], 0 offset:308
	;; [unrolled: 1-line block ×3, first 2 shown]
	s_waitcnt vmcnt(58) lgkmcnt(0)
	v_mul_f64 v[141:142], v[0:1], v[16:17]
	v_mul_f64 v[16:17], v[2:3], v[16:17]
	s_waitcnt vmcnt(56)
	v_fma_f64 v[12:13], v[4:5], v[18:19], -v[12:13]
	ds_read_b128 v[131:134], v48 offset:672
	v_fma_f64 v[18:19], v[6:7], v[18:19], v[161:162]
	v_add_f64 v[135:136], v[135:136], v[139:140]
	v_add_f64 v[8:9], v[8:9], v[24:25]
	s_clause 0x4
	buffer_load_dword v25, off, s[0:3], 0 offset:348
	buffer_load_dword v139, off, s[0:3], 0 offset:360
	buffer_load_dword v156, off, s[0:3], 0 offset:352
	buffer_load_dword v24, off, s[0:3], 0 offset:344
	buffer_load_dword v161, off, s[0:3], 0 offset:324
	ds_read_b128 v[4:7], v48 offset:688
	s_waitcnt vmcnt(57) lgkmcnt(1)
	v_mul_f64 v[162:163], v[131:132], v[20:21]
	v_mul_f64 v[20:21], v[133:134], v[20:21]
	s_waitcnt vmcnt(56)
	v_fma_f64 v[16:17], v[0:1], v[10:11], -v[16:17]
	v_fma_f64 v[10:11], v[2:3], v[10:11], v[141:142]
	v_add_f64 v[12:13], v[135:136], v[12:13]
	v_add_f64 v[8:9], v[8:9], v[18:19]
	s_clause 0x2
	buffer_load_dword v140, off, s[0:3], 0 offset:364
	buffer_load_dword v19, off, s[0:3], 0 offset:340
	;; [unrolled: 1-line block ×3, first 2 shown]
	s_waitcnt vmcnt(58) lgkmcnt(0)
	v_mul_f64 v[135:136], v[4:5], v[26:27]
	v_mul_f64 v[26:27], v[6:7], v[26:27]
	s_waitcnt vmcnt(56)
	v_fma_f64 v[20:21], v[131:132], v[28:29], -v[20:21]
	ds_read_b128 v[0:3], v48 offset:704
	v_add_f64 v[12:13], v[12:13], v[16:17]
	v_fma_f64 v[16:17], v[133:134], v[28:29], v[162:163]
	v_add_f64 v[28:29], v[8:9], v[10:11]
	s_clause 0x4
	buffer_load_dword v132, off, s[0:3], 0 offset:380
	buffer_load_dword v133, off, s[0:3], 0 offset:392
	;; [unrolled: 1-line block ×5, first 2 shown]
	ds_read_b128 v[8:11], v48 offset:720
	s_waitcnt vmcnt(57) lgkmcnt(1)
	v_mul_f64 v[162:163], v[0:1], v[30:31]
	v_mul_f64 v[30:31], v[2:3], v[30:31]
	s_waitcnt vmcnt(56)
	v_fma_f64 v[26:27], v[4:5], v[14:15], -v[26:27]
	v_fma_f64 v[14:15], v[6:7], v[14:15], v[135:136]
	v_add_f64 v[12:13], v[12:13], v[20:21]
	s_clause 0x2
	buffer_load_dword v134, off, s[0:3], 0 offset:396
	buffer_load_dword v21, off, s[0:3], 0 offset:372
	;; [unrolled: 1-line block ×3, first 2 shown]
	v_add_f64 v[16:17], v[28:29], v[16:17]
	s_waitcnt vmcnt(58) lgkmcnt(0)
	v_mul_f64 v[28:29], v[8:9], v[34:35]
	v_mul_f64 v[34:35], v[10:11], v[34:35]
	ds_read_b128 v[4:7], v48 offset:736
	s_waitcnt vmcnt(56)
	v_fma_f64 v[30:31], v[0:1], v[36:37], -v[30:31]
	v_add_f64 v[12:13], v[12:13], v[26:27]
	v_fma_f64 v[26:27], v[2:3], v[36:37], v[162:163]
	v_add_f64 v[14:15], v[16:17], v[14:15]
	s_clause 0x4
	buffer_load_dword v17, off, s[0:3], 0 offset:412
	buffer_load_dword v36, off, s[0:3], 0 offset:424
	;; [unrolled: 1-line block ×5, first 2 shown]
	s_waitcnt vmcnt(57) lgkmcnt(0)
	v_mul_f64 v[162:163], v[4:5], v[38:39]
	v_mul_f64 v[38:39], v[6:7], v[38:39]
	s_waitcnt vmcnt(56)
	v_fma_f64 v[34:35], v[8:9], v[22:23], -v[34:35]
	ds_read_b128 v[0:3], v48 offset:752
	v_fma_f64 v[22:23], v[10:11], v[22:23], v[28:29]
	v_add_f64 v[12:13], v[12:13], v[30:31]
	v_add_f64 v[14:15], v[14:15], v[26:27]
	s_clause 0x2
	buffer_load_dword v37, off, s[0:3], 0 offset:428
	buffer_load_dword v27, off, s[0:3], 0 offset:404
	;; [unrolled: 1-line block ×3, first 2 shown]
	ds_read_b128 v[8:11], v48 offset:768
	s_waitcnt vmcnt(58) lgkmcnt(1)
	v_mul_f64 v[30:31], v[2:3], v[42:43]
	s_waitcnt vmcnt(56)
	v_fma_f64 v[38:39], v[4:5], v[44:45], -v[38:39]
	v_mul_f64 v[28:29], v[0:1], v[42:43]
	v_add_f64 v[12:13], v[12:13], v[34:35]
	v_fma_f64 v[34:35], v[6:7], v[44:45], v[162:163]
	v_add_f64 v[14:15], v[14:15], v[22:23]
	s_clause 0x4
	buffer_load_dword v23, off, s[0:3], 0 offset:444
	buffer_load_dword v42, off, s[0:3], 0 offset:456
	;; [unrolled: 1-line block ×5, first 2 shown]
	s_waitcnt vmcnt(57) lgkmcnt(0)
	v_mul_f64 v[162:163], v[8:9], v[46:47]
	v_mul_f64 v[45:46], v[10:11], v[46:47]
	s_waitcnt vmcnt(56)
	v_fma_f64 v[30:31], v[0:1], v[32:33], -v[30:31]
	ds_read_b128 v[4:7], v48 offset:784
	v_fma_f64 v[28:29], v[2:3], v[32:33], v[28:29]
	s_clause 0x2
	buffer_load_dword v43, off, s[0:3], 0 offset:460
	buffer_load_dword v33, off, s[0:3], 0 offset:436
	buffer_load_dword v32, off, s[0:3], 0 offset:432
	ds_read_b128 v[0:3], v48 offset:800
	v_add_f64 v[12:13], v[12:13], v[38:39]
	v_add_f64 v[14:15], v[14:15], v[34:35]
	s_waitcnt vmcnt(58) lgkmcnt(1)
	v_mul_f64 v[38:39], v[6:7], v[123:124]
	s_waitcnt vmcnt(56)
	v_fma_f64 v[46:47], v[8:9], v[125:126], -v[45:46]
	v_mul_f64 v[34:35], v[4:5], v[123:124]
	v_add_f64 v[12:13], v[12:13], v[30:31]
	v_fma_f64 v[30:31], v[10:11], v[125:126], v[162:163]
	v_add_f64 v[14:15], v[14:15], v[28:29]
	s_clause 0x4
	buffer_load_dword v29, off, s[0:3], 0 offset:476
	buffer_load_dword v123, off, s[0:3], 0 offset:488
	;; [unrolled: 1-line block ×5, first 2 shown]
	s_waitcnt vmcnt(57) lgkmcnt(0)
	v_mul_f64 v[162:163], v[0:1], v[127:128]
	v_mul_f64 v[126:127], v[2:3], v[127:128]
	s_waitcnt vmcnt(56)
	v_fma_f64 v[38:39], v[4:5], v[40:41], -v[38:39]
	ds_read_b128 v[8:11], v48 offset:816
	v_fma_f64 v[34:35], v[6:7], v[40:41], v[34:35]
	v_add_f64 v[12:13], v[12:13], v[46:47]
	v_add_f64 v[14:15], v[14:15], v[30:31]
	s_clause 0x2
	buffer_load_dword v124, off, s[0:3], 0 offset:492
	buffer_load_dword v31, off, s[0:3], 0 offset:468
	;; [unrolled: 1-line block ×3, first 2 shown]
	ds_read_b128 v[4:7], v48 offset:832
	s_waitcnt vmcnt(58) lgkmcnt(1)
	v_mul_f64 v[46:47], v[10:11], v[129:130]
	s_waitcnt vmcnt(56)
	v_fma_f64 v[127:128], v[0:1], v[143:144], -v[126:127]
	v_mul_f64 v[40:41], v[8:9], v[129:130]
	v_add_f64 v[12:13], v[12:13], v[38:39]
	v_fma_f64 v[38:39], v[2:3], v[143:144], v[162:163]
	v_add_f64 v[14:15], v[14:15], v[34:35]
	s_clause 0x4
	buffer_load_dword v35, off, s[0:3], 0 offset:508
	buffer_load_dword v129, off, s[0:3], 0 offset:520
	buffer_load_dword v143, off, s[0:3], 0 offset:512
	buffer_load_dword v34, off, s[0:3], 0 offset:504
	buffer_load_dword v126, off, s[0:3], 0 offset:484
	s_waitcnt vmcnt(57) lgkmcnt(0)
	v_mul_f64 v[162:163], v[4:5], v[147:148]
	v_mul_f64 v[147:148], v[6:7], v[147:148]
	s_waitcnt vmcnt(56)
	v_fma_f64 v[46:47], v[8:9], v[121:122], -v[46:47]
	ds_read_b128 v[0:3], v48 offset:848
	v_fma_f64 v[40:41], v[10:11], v[121:122], v[40:41]
	v_add_f64 v[12:13], v[12:13], v[127:128]
	v_add_f64 v[14:15], v[14:15], v[38:39]
	s_clause 0x2
	buffer_load_dword v130, off, s[0:3], 0 offset:524
	buffer_load_dword v39, off, s[0:3], 0 offset:500
	;; [unrolled: 1-line block ×3, first 2 shown]
	ds_read_b128 v[8:11], v48 offset:864
	s_waitcnt vmcnt(58) lgkmcnt(1)
	v_mul_f64 v[127:128], v[2:3], v[149:150]
	s_waitcnt vmcnt(56)
	v_fma_f64 v[147:148], v[4:5], v[154:155], -v[147:148]
	v_mul_f64 v[121:122], v[0:1], v[149:150]
	v_add_f64 v[12:13], v[12:13], v[46:47]
	v_fma_f64 v[46:47], v[6:7], v[154:155], v[162:163]
	v_add_f64 v[14:15], v[14:15], v[40:41]
	s_clause 0x4
	buffer_load_dword v41, off, s[0:3], 0 offset:540
	buffer_load_dword v149, off, s[0:3], 0 offset:552
	;; [unrolled: 1-line block ×5, first 2 shown]
	ds_read_b128 v[4:7], v48 offset:880
	s_waitcnt vmcnt(57) lgkmcnt(1)
	v_mul_f64 v[154:155], v[8:9], v[145:146]
	v_mul_f64 v[145:146], v[10:11], v[145:146]
	s_waitcnt vmcnt(56)
	v_fma_f64 v[127:128], v[0:1], v[151:152], -v[127:128]
	v_fma_f64 v[121:122], v[2:3], v[151:152], v[121:122]
	v_add_f64 v[12:13], v[12:13], v[147:148]
	v_add_f64 v[14:15], v[14:15], v[46:47]
	s_clause 0x2
	buffer_load_dword v150, off, s[0:3], 0 offset:556
	buffer_load_dword v47, off, s[0:3], 0 offset:532
	buffer_load_dword v46, off, s[0:3], 0 offset:528
	ds_read_b128 v[0:3], v48 offset:896
	s_waitcnt vmcnt(58) lgkmcnt(1)
	v_mul_f64 v[151:152], v[6:7], v[158:159]
	v_mul_f64 v[147:148], v[4:5], v[158:159]
	s_waitcnt vmcnt(56)
	v_fma_f64 v[145:146], v[8:9], v[137:138], -v[145:146]
	v_add_f64 v[12:13], v[12:13], v[127:128]
	v_fma_f64 v[127:128], v[10:11], v[137:138], v[154:155]
	v_add_f64 v[14:15], v[14:15], v[121:122]
	s_clause 0x4
	buffer_load_dword v122, off, s[0:3], 0 offset:572
	buffer_load_dword v137, off, s[0:3], 0 offset:584
	buffer_load_dword v158, off, s[0:3], 0 offset:576
	buffer_load_dword v121, off, s[0:3], 0 offset:568
	buffer_load_dword v154, off, s[0:3], 0 offset:548
	ds_read_b128 v[8:11], v48 offset:912
	s_waitcnt vmcnt(57) lgkmcnt(1)
	v_mul_f64 v[162:163], v[0:1], v[24:25]
	v_mul_f64 v[24:25], v[2:3], v[24:25]
	s_waitcnt vmcnt(56)
	v_fma_f64 v[151:152], v[4:5], v[160:161], -v[151:152]
	v_add_f64 v[12:13], v[12:13], v[145:146]
	v_fma_f64 v[145:146], v[6:7], v[160:161], v[147:148]
	v_add_f64 v[14:15], v[14:15], v[127:128]
	s_clause 0x2
	buffer_load_dword v138, off, s[0:3], 0 offset:588
	buffer_load_dword v128, off, s[0:3], 0 offset:564
	;; [unrolled: 1-line block ×3, first 2 shown]
	ds_read_b128 v[4:7], v48 offset:928
	buffer_load_dword v159, off, s[0:3], 0 offset:580
	s_waitcnt vmcnt(59) lgkmcnt(1)
	v_mul_f64 v[147:148], v[8:9], v[139:140]
	v_mul_f64 v[139:140], v[10:11], v[139:140]
	s_waitcnt vmcnt(57)
	v_fma_f64 v[24:25], v[0:1], v[18:19], -v[24:25]
	v_fma_f64 v[18:19], v[2:3], v[18:19], v[162:163]
	ds_read_b128 v[0:3], v48 offset:944
	v_add_f64 v[12:13], v[12:13], v[151:152]
	v_add_f64 v[14:15], v[14:15], v[145:146]
	s_waitcnt vmcnt(53) lgkmcnt(1)
	v_mul_f64 v[145:146], v[4:5], v[131:132]
	v_mul_f64 v[131:132], v[6:7], v[131:132]
	s_waitcnt vmcnt(52)
	v_fma_f64 v[139:140], v[8:9], v[156:157], -v[139:140]
	v_add_f64 v[12:13], v[12:13], v[24:25]
	v_fma_f64 v[24:25], v[10:11], v[156:157], v[147:148]
	v_add_f64 v[14:15], v[14:15], v[18:19]
	ds_read_b128 v[8:11], v48 offset:960
	s_waitcnt vmcnt(51) lgkmcnt(1)
	v_mul_f64 v[18:19], v[0:1], v[133:134]
	v_mul_f64 v[133:134], v[2:3], v[133:134]
	s_waitcnt vmcnt(49)
	v_fma_f64 v[131:132], v[4:5], v[20:21], -v[131:132]
	v_fma_f64 v[20:21], v[6:7], v[20:21], v[145:146]
	v_add_f64 v[12:13], v[12:13], v[139:140]
	v_add_f64 v[14:15], v[14:15], v[24:25]
	s_clause 0x3
	buffer_load_dword v24, off, s[0:3], 0 offset:16
	buffer_load_dword v25, off, s[0:3], 0 offset:20
	;; [unrolled: 1-line block ×4, first 2 shown]
	ds_read_b128 v[4:7], v48 offset:976
	s_waitcnt vmcnt(49) lgkmcnt(1)
	v_mul_f64 v[145:146], v[8:9], v[16:17]
	v_mul_f64 v[16:17], v[10:11], v[16:17]
	s_waitcnt vmcnt(48)
	v_fma_f64 v[133:134], v[0:1], v[141:142], -v[133:134]
	v_fma_f64 v[18:19], v[2:3], v[141:142], v[18:19]
	ds_read_b128 v[0:3], v48 offset:992
	v_add_f64 v[12:13], v[12:13], v[131:132]
	v_add_f64 v[14:15], v[14:15], v[20:21]
	s_waitcnt vmcnt(47) lgkmcnt(1)
	v_mul_f64 v[20:21], v[4:5], v[36:37]
	v_mul_f64 v[36:37], v[6:7], v[36:37]
	s_waitcnt vmcnt(45)
	v_fma_f64 v[16:17], v[8:9], v[26:27], -v[16:17]
	v_fma_f64 v[26:27], v[10:11], v[26:27], v[145:146]
	ds_read_b128 v[8:11], v48 offset:1008
	v_add_f64 v[12:13], v[12:13], v[133:134]
	v_add_f64 v[14:15], v[14:15], v[18:19]
	s_waitcnt vmcnt(41) lgkmcnt(1)
	v_mul_f64 v[18:19], v[0:1], v[22:23]
	v_mul_f64 v[22:23], v[2:3], v[22:23]
	s_waitcnt vmcnt(40)
	v_fma_f64 v[36:37], v[4:5], v[135:136], -v[36:37]
	v_add_f64 v[12:13], v[12:13], v[16:17]
	v_fma_f64 v[16:17], v[6:7], v[135:136], v[20:21]
	v_add_f64 v[14:15], v[14:15], v[26:27]
	ds_read_b128 v[4:7], v48 offset:1024
	s_waitcnt vmcnt(39) lgkmcnt(1)
	v_mul_f64 v[26:27], v[10:11], v[42:43]
	v_mul_f64 v[20:21], v[8:9], v[42:43]
	s_waitcnt vmcnt(37)
	v_fma_f64 v[18:19], v[2:3], v[32:33], v[18:19]
	v_fma_f64 v[22:23], v[0:1], v[32:33], -v[22:23]
	ds_read_b128 v[0:3], v48 offset:1040
	v_add_f64 v[12:13], v[12:13], v[36:37]
	v_add_f64 v[14:15], v[14:15], v[16:17]
	s_waitcnt vmcnt(33) lgkmcnt(1)
	v_mul_f64 v[16:17], v[4:5], v[28:29]
	v_mul_f64 v[28:29], v[6:7], v[28:29]
	s_waitcnt vmcnt(32)
	v_fma_f64 v[26:27], v[8:9], v[44:45], -v[26:27]
	v_fma_f64 v[20:21], v[10:11], v[44:45], v[20:21]
	ds_read_b128 v[8:11], v48 offset:1056
	v_add_f64 v[12:13], v[12:13], v[22:23]
	v_add_f64 v[14:15], v[14:15], v[18:19]
	s_waitcnt vmcnt(31) lgkmcnt(1)
	v_mul_f64 v[22:23], v[2:3], v[123:124]
	v_mul_f64 v[18:19], v[0:1], v[123:124]
	s_waitcnt vmcnt(29)
	v_fma_f64 v[28:29], v[4:5], v[30:31], -v[28:29]
	v_fma_f64 v[16:17], v[6:7], v[30:31], v[16:17]
	ds_read_b128 v[4:7], v48 offset:1072
	v_add_f64 v[12:13], v[12:13], v[26:27]
	v_add_f64 v[14:15], v[14:15], v[20:21]
	s_waitcnt vmcnt(25) lgkmcnt(1)
	v_mul_f64 v[26:27], v[10:11], v[34:35]
	s_waitcnt vmcnt(24)
	v_fma_f64 v[22:23], v[0:1], v[125:126], -v[22:23]
	v_mul_f64 v[20:21], v[8:9], v[34:35]
	v_fma_f64 v[18:19], v[2:3], v[125:126], v[18:19]
	ds_read_b128 v[0:3], v48 offset:1088
	v_add_f64 v[12:13], v[12:13], v[28:29]
	v_add_f64 v[14:15], v[14:15], v[16:17]
	s_waitcnt vmcnt(23) lgkmcnt(1)
	v_mul_f64 v[28:29], v[6:7], v[129:130]
	v_mul_f64 v[16:17], v[4:5], v[129:130]
	s_waitcnt vmcnt(21)
	v_fma_f64 v[26:27], v[8:9], v[38:39], -v[26:27]
	v_fma_f64 v[20:21], v[10:11], v[38:39], v[20:21]
	ds_read_b128 v[8:11], v48 offset:1104
	v_add_f64 v[12:13], v[12:13], v[22:23]
	v_add_f64 v[14:15], v[14:15], v[18:19]
	s_waitcnt vmcnt(17) lgkmcnt(1)
	v_mul_f64 v[22:23], v[2:3], v[40:41]
	s_waitcnt vmcnt(16)
	v_fma_f64 v[28:29], v[4:5], v[143:144], -v[28:29]
	v_mul_f64 v[18:19], v[0:1], v[40:41]
	;; [unrolled: 18-line block ×3, first 2 shown]
	v_fma_f64 v[10:11], v[10:11], v[153:154], v[20:21]
	v_add_f64 v[12:13], v[12:13], v[22:23]
	v_add_f64 v[14:15], v[14:15], v[18:19]
	s_waitcnt vmcnt(7) lgkmcnt(0)
	v_mul_f64 v[20:21], v[2:3], v[137:138]
	v_mul_f64 v[18:19], v[0:1], v[137:138]
	s_waitcnt vmcnt(5)
	v_fma_f64 v[4:5], v[4:5], v[127:128], -v[28:29]
	v_fma_f64 v[6:7], v[6:7], v[127:128], v[16:17]
	v_add_f64 v[8:9], v[12:13], v[8:9]
	v_add_f64 v[10:11], v[14:15], v[10:11]
	s_waitcnt vmcnt(4)
	v_fma_f64 v[0:1], v[0:1], v[158:159], -v[20:21]
	v_fma_f64 v[2:3], v[2:3], v[158:159], v[18:19]
	v_add_f64 v[4:5], v[8:9], v[4:5]
	v_add_f64 v[6:7], v[10:11], v[6:7]
	;; [unrolled: 1-line block ×4, first 2 shown]
	s_waitcnt vmcnt(2)
	v_add_f64 v[0:1], v[24:25], -v[0:1]
	s_waitcnt vmcnt(0)
	v_add_f64 v[2:3], v[139:140], -v[2:3]
	buffer_store_dword v1, off, s[0:3], 0 offset:20
	buffer_store_dword v0, off, s[0:3], 0 offset:16
	;; [unrolled: 1-line block ×4, first 2 shown]
	s_cbranch_vccz .LBB35_300
; %bb.230:
	global_load_dword v0, v48, s[20:21] offset:136
	s_waitcnt vmcnt(0)
	v_add_nc_u32_e32 v0, -1, v0
	v_cmp_ne_u32_e32 vcc_lo, 34, v0
	s_cbranch_vccz .LBB35_232
; %bb.231:
	v_lshlrev_b32_e32 v0, 4, v0
	v_mov_b32_e32 v1, s9
	v_add_nc_u32_e32 v0, 16, v0
	s_clause 0x7
	buffer_load_dword v2, v0, s[0:3], 0 offen
	buffer_load_dword v3, v0, s[0:3], 0 offen offset:4
	buffer_load_dword v4, v0, s[0:3], 0 offen offset:8
	;; [unrolled: 1-line block ×6, first 2 shown]
	buffer_load_dword v9, v1, s[0:3], 0 offen
	s_waitcnt vmcnt(7)
	buffer_store_dword v2, v1, s[0:3], 0 offen
	s_waitcnt vmcnt(6)
	buffer_store_dword v3, v1, s[0:3], 0 offen offset:4
	s_waitcnt vmcnt(5)
	buffer_store_dword v4, v1, s[0:3], 0 offen offset:8
	;; [unrolled: 2-line block ×6, first 2 shown]
	s_waitcnt vmcnt(0)
	buffer_store_dword v9, v0, s[0:3], 0 offen
.LBB35_232:
	v_mov_b32_e32 v0, 0
	global_load_dword v1, v0, s[20:21] offset:132
	s_waitcnt vmcnt(0)
	v_add_nc_u32_e32 v1, -1, v1
	v_cmp_eq_u32_e32 vcc_lo, 33, v1
	s_cbranch_vccnz .LBB35_234
; %bb.233:
	v_lshlrev_b32_e32 v1, 4, v1
	v_mov_b32_e32 v2, s12
	v_add_nc_u32_e32 v1, 16, v1
	s_clause 0x7
	buffer_load_dword v3, v1, s[0:3], 0 offen
	buffer_load_dword v4, v1, s[0:3], 0 offen offset:4
	buffer_load_dword v5, v1, s[0:3], 0 offen offset:8
	;; [unrolled: 1-line block ×6, first 2 shown]
	buffer_load_dword v10, v2, s[0:3], 0 offen
	s_waitcnt vmcnt(7)
	buffer_store_dword v3, v2, s[0:3], 0 offen
	s_waitcnt vmcnt(6)
	buffer_store_dword v4, v2, s[0:3], 0 offen offset:4
	s_waitcnt vmcnt(5)
	buffer_store_dword v5, v2, s[0:3], 0 offen offset:8
	;; [unrolled: 2-line block ×6, first 2 shown]
	s_waitcnt vmcnt(0)
	buffer_store_dword v10, v1, s[0:3], 0 offen
.LBB35_234:
	global_load_dword v0, v0, s[20:21] offset:128
	s_waitcnt vmcnt(0)
	v_add_nc_u32_e32 v0, -1, v0
	v_cmp_eq_u32_e32 vcc_lo, 32, v0
	s_cbranch_vccnz .LBB35_236
; %bb.235:
	v_lshlrev_b32_e32 v0, 4, v0
	v_mov_b32_e32 v1, s13
	v_add_nc_u32_e32 v0, 16, v0
	s_clause 0x7
	buffer_load_dword v2, v0, s[0:3], 0 offen
	buffer_load_dword v3, v0, s[0:3], 0 offen offset:4
	buffer_load_dword v4, v0, s[0:3], 0 offen offset:8
	;; [unrolled: 1-line block ×6, first 2 shown]
	buffer_load_dword v9, v1, s[0:3], 0 offen
	s_waitcnt vmcnt(7)
	buffer_store_dword v2, v1, s[0:3], 0 offen
	s_waitcnt vmcnt(6)
	buffer_store_dword v3, v1, s[0:3], 0 offen offset:4
	s_waitcnt vmcnt(5)
	buffer_store_dword v4, v1, s[0:3], 0 offen offset:8
	;; [unrolled: 2-line block ×6, first 2 shown]
	s_waitcnt vmcnt(0)
	buffer_store_dword v9, v0, s[0:3], 0 offen
.LBB35_236:
	v_mov_b32_e32 v0, 0
	global_load_dword v1, v0, s[20:21] offset:124
	s_waitcnt vmcnt(0)
	v_add_nc_u32_e32 v1, -1, v1
	v_cmp_eq_u32_e32 vcc_lo, 31, v1
	s_cbranch_vccnz .LBB35_238
; %bb.237:
	v_lshlrev_b32_e32 v1, 4, v1
	v_mov_b32_e32 v2, s14
	v_add_nc_u32_e32 v1, 16, v1
	s_clause 0x7
	buffer_load_dword v3, v1, s[0:3], 0 offen
	buffer_load_dword v4, v1, s[0:3], 0 offen offset:4
	buffer_load_dword v5, v1, s[0:3], 0 offen offset:8
	buffer_load_dword v6, v1, s[0:3], 0 offen offset:12
	buffer_load_dword v7, v2, s[0:3], 0 offen offset:12
	buffer_load_dword v8, v2, s[0:3], 0 offen offset:8
	buffer_load_dword v9, v2, s[0:3], 0 offen offset:4
	buffer_load_dword v10, v2, s[0:3], 0 offen
	s_waitcnt vmcnt(7)
	buffer_store_dword v3, v2, s[0:3], 0 offen
	s_waitcnt vmcnt(6)
	buffer_store_dword v4, v2, s[0:3], 0 offen offset:4
	s_waitcnt vmcnt(5)
	buffer_store_dword v5, v2, s[0:3], 0 offen offset:8
	;; [unrolled: 2-line block ×6, first 2 shown]
	s_waitcnt vmcnt(0)
	buffer_store_dword v10, v1, s[0:3], 0 offen
.LBB35_238:
	global_load_dword v0, v0, s[20:21] offset:120
	s_waitcnt vmcnt(0)
	v_add_nc_u32_e32 v0, -1, v0
	v_cmp_eq_u32_e32 vcc_lo, 30, v0
	s_cbranch_vccnz .LBB35_240
; %bb.239:
	v_lshlrev_b32_e32 v0, 4, v0
	v_mov_b32_e32 v1, s15
	v_add_nc_u32_e32 v0, 16, v0
	s_clause 0x7
	buffer_load_dword v2, v0, s[0:3], 0 offen
	buffer_load_dword v3, v0, s[0:3], 0 offen offset:4
	buffer_load_dword v4, v0, s[0:3], 0 offen offset:8
	;; [unrolled: 1-line block ×6, first 2 shown]
	buffer_load_dword v9, v1, s[0:3], 0 offen
	s_waitcnt vmcnt(7)
	buffer_store_dword v2, v1, s[0:3], 0 offen
	s_waitcnt vmcnt(6)
	buffer_store_dword v3, v1, s[0:3], 0 offen offset:4
	s_waitcnt vmcnt(5)
	buffer_store_dword v4, v1, s[0:3], 0 offen offset:8
	s_waitcnt vmcnt(4)
	buffer_store_dword v5, v1, s[0:3], 0 offen offset:12
	s_waitcnt vmcnt(3)
	buffer_store_dword v6, v0, s[0:3], 0 offen offset:12
	s_waitcnt vmcnt(2)
	buffer_store_dword v7, v0, s[0:3], 0 offen offset:8
	s_waitcnt vmcnt(1)
	buffer_store_dword v8, v0, s[0:3], 0 offen offset:4
	s_waitcnt vmcnt(0)
	buffer_store_dword v9, v0, s[0:3], 0 offen
.LBB35_240:
	v_mov_b32_e32 v0, 0
	global_load_dword v1, v0, s[20:21] offset:116
	s_waitcnt vmcnt(0)
	v_add_nc_u32_e32 v1, -1, v1
	v_cmp_eq_u32_e32 vcc_lo, 29, v1
	s_cbranch_vccnz .LBB35_242
; %bb.241:
	v_lshlrev_b32_e32 v1, 4, v1
	v_mov_b32_e32 v2, s16
	v_add_nc_u32_e32 v1, 16, v1
	s_clause 0x7
	buffer_load_dword v3, v1, s[0:3], 0 offen
	buffer_load_dword v4, v1, s[0:3], 0 offen offset:4
	buffer_load_dword v5, v1, s[0:3], 0 offen offset:8
	;; [unrolled: 1-line block ×6, first 2 shown]
	buffer_load_dword v10, v2, s[0:3], 0 offen
	s_waitcnt vmcnt(7)
	buffer_store_dword v3, v2, s[0:3], 0 offen
	s_waitcnt vmcnt(6)
	buffer_store_dword v4, v2, s[0:3], 0 offen offset:4
	s_waitcnt vmcnt(5)
	buffer_store_dword v5, v2, s[0:3], 0 offen offset:8
	;; [unrolled: 2-line block ×6, first 2 shown]
	s_waitcnt vmcnt(0)
	buffer_store_dword v10, v1, s[0:3], 0 offen
.LBB35_242:
	global_load_dword v0, v0, s[20:21] offset:112
	s_waitcnt vmcnt(0)
	v_add_nc_u32_e32 v0, -1, v0
	v_cmp_eq_u32_e32 vcc_lo, 28, v0
	s_cbranch_vccnz .LBB35_244
; %bb.243:
	v_lshlrev_b32_e32 v0, 4, v0
	v_mov_b32_e32 v1, s17
	v_add_nc_u32_e32 v0, 16, v0
	s_clause 0x7
	buffer_load_dword v2, v0, s[0:3], 0 offen
	buffer_load_dword v3, v0, s[0:3], 0 offen offset:4
	buffer_load_dword v4, v0, s[0:3], 0 offen offset:8
	;; [unrolled: 1-line block ×6, first 2 shown]
	buffer_load_dword v9, v1, s[0:3], 0 offen
	s_waitcnt vmcnt(7)
	buffer_store_dword v2, v1, s[0:3], 0 offen
	s_waitcnt vmcnt(6)
	buffer_store_dword v3, v1, s[0:3], 0 offen offset:4
	s_waitcnt vmcnt(5)
	buffer_store_dword v4, v1, s[0:3], 0 offen offset:8
	;; [unrolled: 2-line block ×6, first 2 shown]
	s_waitcnt vmcnt(0)
	buffer_store_dword v9, v0, s[0:3], 0 offen
.LBB35_244:
	v_mov_b32_e32 v0, 0
	global_load_dword v1, v0, s[20:21] offset:108
	s_waitcnt vmcnt(0)
	v_add_nc_u32_e32 v1, -1, v1
	v_cmp_eq_u32_e32 vcc_lo, 27, v1
	s_cbranch_vccnz .LBB35_246
; %bb.245:
	v_lshlrev_b32_e32 v1, 4, v1
	v_mov_b32_e32 v2, s18
	v_add_nc_u32_e32 v1, 16, v1
	s_clause 0x7
	buffer_load_dword v3, v1, s[0:3], 0 offen
	buffer_load_dword v4, v1, s[0:3], 0 offen offset:4
	buffer_load_dword v5, v1, s[0:3], 0 offen offset:8
	;; [unrolled: 1-line block ×6, first 2 shown]
	buffer_load_dword v10, v2, s[0:3], 0 offen
	s_waitcnt vmcnt(7)
	buffer_store_dword v3, v2, s[0:3], 0 offen
	s_waitcnt vmcnt(6)
	buffer_store_dword v4, v2, s[0:3], 0 offen offset:4
	s_waitcnt vmcnt(5)
	buffer_store_dword v5, v2, s[0:3], 0 offen offset:8
	;; [unrolled: 2-line block ×6, first 2 shown]
	s_waitcnt vmcnt(0)
	buffer_store_dword v10, v1, s[0:3], 0 offen
.LBB35_246:
	global_load_dword v0, v0, s[20:21] offset:104
	s_waitcnt vmcnt(0)
	v_add_nc_u32_e32 v0, -1, v0
	v_cmp_eq_u32_e32 vcc_lo, 26, v0
	s_cbranch_vccnz .LBB35_248
; %bb.247:
	v_lshlrev_b32_e32 v0, 4, v0
	v_mov_b32_e32 v1, s19
	v_add_nc_u32_e32 v0, 16, v0
	s_clause 0x7
	buffer_load_dword v2, v0, s[0:3], 0 offen
	buffer_load_dword v3, v0, s[0:3], 0 offen offset:4
	buffer_load_dword v4, v0, s[0:3], 0 offen offset:8
	;; [unrolled: 1-line block ×6, first 2 shown]
	buffer_load_dword v9, v1, s[0:3], 0 offen
	s_waitcnt vmcnt(7)
	buffer_store_dword v2, v1, s[0:3], 0 offen
	s_waitcnt vmcnt(6)
	buffer_store_dword v3, v1, s[0:3], 0 offen offset:4
	s_waitcnt vmcnt(5)
	buffer_store_dword v4, v1, s[0:3], 0 offen offset:8
	;; [unrolled: 2-line block ×6, first 2 shown]
	s_waitcnt vmcnt(0)
	buffer_store_dword v9, v0, s[0:3], 0 offen
.LBB35_248:
	v_mov_b32_e32 v0, 0
	global_load_dword v1, v0, s[20:21] offset:100
	s_waitcnt vmcnt(0)
	v_add_nc_u32_e32 v1, -1, v1
	v_cmp_eq_u32_e32 vcc_lo, 25, v1
	s_cbranch_vccnz .LBB35_250
; %bb.249:
	v_lshlrev_b32_e32 v1, 4, v1
	v_mov_b32_e32 v2, s22
	v_add_nc_u32_e32 v1, 16, v1
	s_clause 0x7
	buffer_load_dword v3, v1, s[0:3], 0 offen
	buffer_load_dword v4, v1, s[0:3], 0 offen offset:4
	buffer_load_dword v5, v1, s[0:3], 0 offen offset:8
	;; [unrolled: 1-line block ×6, first 2 shown]
	buffer_load_dword v10, v2, s[0:3], 0 offen
	s_waitcnt vmcnt(7)
	buffer_store_dword v3, v2, s[0:3], 0 offen
	s_waitcnt vmcnt(6)
	buffer_store_dword v4, v2, s[0:3], 0 offen offset:4
	s_waitcnt vmcnt(5)
	buffer_store_dword v5, v2, s[0:3], 0 offen offset:8
	;; [unrolled: 2-line block ×6, first 2 shown]
	s_waitcnt vmcnt(0)
	buffer_store_dword v10, v1, s[0:3], 0 offen
.LBB35_250:
	global_load_dword v0, v0, s[20:21] offset:96
	s_waitcnt vmcnt(0)
	v_add_nc_u32_e32 v0, -1, v0
	v_cmp_eq_u32_e32 vcc_lo, 24, v0
	s_cbranch_vccnz .LBB35_252
; %bb.251:
	v_lshlrev_b32_e32 v0, 4, v0
	v_mov_b32_e32 v1, s23
	v_add_nc_u32_e32 v0, 16, v0
	s_clause 0x7
	buffer_load_dword v2, v0, s[0:3], 0 offen
	buffer_load_dword v3, v0, s[0:3], 0 offen offset:4
	buffer_load_dword v4, v0, s[0:3], 0 offen offset:8
	;; [unrolled: 1-line block ×6, first 2 shown]
	buffer_load_dword v9, v1, s[0:3], 0 offen
	s_waitcnt vmcnt(7)
	buffer_store_dword v2, v1, s[0:3], 0 offen
	s_waitcnt vmcnt(6)
	buffer_store_dword v3, v1, s[0:3], 0 offen offset:4
	s_waitcnt vmcnt(5)
	buffer_store_dword v4, v1, s[0:3], 0 offen offset:8
	;; [unrolled: 2-line block ×6, first 2 shown]
	s_waitcnt vmcnt(0)
	buffer_store_dword v9, v0, s[0:3], 0 offen
.LBB35_252:
	v_mov_b32_e32 v0, 0
	global_load_dword v1, v0, s[20:21] offset:92
	s_waitcnt vmcnt(0)
	v_add_nc_u32_e32 v1, -1, v1
	v_cmp_eq_u32_e32 vcc_lo, 23, v1
	s_cbranch_vccnz .LBB35_254
; %bb.253:
	v_lshlrev_b32_e32 v1, 4, v1
	v_mov_b32_e32 v2, s24
	v_add_nc_u32_e32 v1, 16, v1
	s_clause 0x7
	buffer_load_dword v3, v1, s[0:3], 0 offen
	buffer_load_dword v4, v1, s[0:3], 0 offen offset:4
	buffer_load_dword v5, v1, s[0:3], 0 offen offset:8
	;; [unrolled: 1-line block ×6, first 2 shown]
	buffer_load_dword v10, v2, s[0:3], 0 offen
	s_waitcnt vmcnt(7)
	buffer_store_dword v3, v2, s[0:3], 0 offen
	s_waitcnt vmcnt(6)
	buffer_store_dword v4, v2, s[0:3], 0 offen offset:4
	s_waitcnt vmcnt(5)
	buffer_store_dword v5, v2, s[0:3], 0 offen offset:8
	;; [unrolled: 2-line block ×6, first 2 shown]
	s_waitcnt vmcnt(0)
	buffer_store_dword v10, v1, s[0:3], 0 offen
.LBB35_254:
	global_load_dword v0, v0, s[20:21] offset:88
	s_waitcnt vmcnt(0)
	v_add_nc_u32_e32 v0, -1, v0
	v_cmp_eq_u32_e32 vcc_lo, 22, v0
	s_cbranch_vccnz .LBB35_256
; %bb.255:
	v_lshlrev_b32_e32 v0, 4, v0
	v_mov_b32_e32 v1, s25
	v_add_nc_u32_e32 v0, 16, v0
	s_clause 0x7
	buffer_load_dword v2, v0, s[0:3], 0 offen
	buffer_load_dword v3, v0, s[0:3], 0 offen offset:4
	buffer_load_dword v4, v0, s[0:3], 0 offen offset:8
	;; [unrolled: 1-line block ×6, first 2 shown]
	buffer_load_dword v9, v1, s[0:3], 0 offen
	s_waitcnt vmcnt(7)
	buffer_store_dword v2, v1, s[0:3], 0 offen
	s_waitcnt vmcnt(6)
	buffer_store_dword v3, v1, s[0:3], 0 offen offset:4
	s_waitcnt vmcnt(5)
	buffer_store_dword v4, v1, s[0:3], 0 offen offset:8
	;; [unrolled: 2-line block ×6, first 2 shown]
	s_waitcnt vmcnt(0)
	buffer_store_dword v9, v0, s[0:3], 0 offen
.LBB35_256:
	v_mov_b32_e32 v0, 0
	global_load_dword v1, v0, s[20:21] offset:84
	s_waitcnt vmcnt(0)
	v_add_nc_u32_e32 v1, -1, v1
	v_cmp_eq_u32_e32 vcc_lo, 21, v1
	s_cbranch_vccnz .LBB35_258
; %bb.257:
	v_lshlrev_b32_e32 v1, 4, v1
	v_mov_b32_e32 v2, s26
	v_add_nc_u32_e32 v1, 16, v1
	s_clause 0x7
	buffer_load_dword v3, v1, s[0:3], 0 offen
	buffer_load_dword v4, v1, s[0:3], 0 offen offset:4
	buffer_load_dword v5, v1, s[0:3], 0 offen offset:8
	;; [unrolled: 1-line block ×6, first 2 shown]
	buffer_load_dword v10, v2, s[0:3], 0 offen
	s_waitcnt vmcnt(7)
	buffer_store_dword v3, v2, s[0:3], 0 offen
	s_waitcnt vmcnt(6)
	buffer_store_dword v4, v2, s[0:3], 0 offen offset:4
	s_waitcnt vmcnt(5)
	buffer_store_dword v5, v2, s[0:3], 0 offen offset:8
	;; [unrolled: 2-line block ×6, first 2 shown]
	s_waitcnt vmcnt(0)
	buffer_store_dword v10, v1, s[0:3], 0 offen
.LBB35_258:
	global_load_dword v0, v0, s[20:21] offset:80
	s_waitcnt vmcnt(0)
	v_add_nc_u32_e32 v0, -1, v0
	v_cmp_eq_u32_e32 vcc_lo, 20, v0
	s_cbranch_vccnz .LBB35_260
; %bb.259:
	v_lshlrev_b32_e32 v0, 4, v0
	v_mov_b32_e32 v1, s27
	v_add_nc_u32_e32 v0, 16, v0
	s_clause 0x7
	buffer_load_dword v2, v0, s[0:3], 0 offen
	buffer_load_dword v3, v0, s[0:3], 0 offen offset:4
	buffer_load_dword v4, v0, s[0:3], 0 offen offset:8
	;; [unrolled: 1-line block ×6, first 2 shown]
	buffer_load_dword v9, v1, s[0:3], 0 offen
	s_waitcnt vmcnt(7)
	buffer_store_dword v2, v1, s[0:3], 0 offen
	s_waitcnt vmcnt(6)
	buffer_store_dword v3, v1, s[0:3], 0 offen offset:4
	s_waitcnt vmcnt(5)
	buffer_store_dword v4, v1, s[0:3], 0 offen offset:8
	;; [unrolled: 2-line block ×6, first 2 shown]
	s_waitcnt vmcnt(0)
	buffer_store_dword v9, v0, s[0:3], 0 offen
.LBB35_260:
	v_mov_b32_e32 v0, 0
	global_load_dword v1, v0, s[20:21] offset:76
	s_waitcnt vmcnt(0)
	v_add_nc_u32_e32 v1, -1, v1
	v_cmp_eq_u32_e32 vcc_lo, 19, v1
	s_cbranch_vccnz .LBB35_262
; %bb.261:
	v_lshlrev_b32_e32 v1, 4, v1
	v_mov_b32_e32 v2, s28
	v_add_nc_u32_e32 v1, 16, v1
	s_clause 0x7
	buffer_load_dword v3, v1, s[0:3], 0 offen
	buffer_load_dword v4, v1, s[0:3], 0 offen offset:4
	buffer_load_dword v5, v1, s[0:3], 0 offen offset:8
	buffer_load_dword v6, v1, s[0:3], 0 offen offset:12
	buffer_load_dword v7, v2, s[0:3], 0 offen offset:12
	buffer_load_dword v8, v2, s[0:3], 0 offen offset:8
	buffer_load_dword v9, v2, s[0:3], 0 offen offset:4
	buffer_load_dword v10, v2, s[0:3], 0 offen
	s_waitcnt vmcnt(7)
	buffer_store_dword v3, v2, s[0:3], 0 offen
	s_waitcnt vmcnt(6)
	buffer_store_dword v4, v2, s[0:3], 0 offen offset:4
	s_waitcnt vmcnt(5)
	buffer_store_dword v5, v2, s[0:3], 0 offen offset:8
	;; [unrolled: 2-line block ×6, first 2 shown]
	s_waitcnt vmcnt(0)
	buffer_store_dword v10, v1, s[0:3], 0 offen
.LBB35_262:
	global_load_dword v0, v0, s[20:21] offset:72
	s_waitcnt vmcnt(0)
	v_add_nc_u32_e32 v0, -1, v0
	v_cmp_eq_u32_e32 vcc_lo, 18, v0
	s_cbranch_vccnz .LBB35_264
; %bb.263:
	v_lshlrev_b32_e32 v0, 4, v0
	v_mov_b32_e32 v1, s29
	v_add_nc_u32_e32 v0, 16, v0
	s_clause 0x7
	buffer_load_dword v2, v0, s[0:3], 0 offen
	buffer_load_dword v3, v0, s[0:3], 0 offen offset:4
	buffer_load_dword v4, v0, s[0:3], 0 offen offset:8
	;; [unrolled: 1-line block ×6, first 2 shown]
	buffer_load_dword v9, v1, s[0:3], 0 offen
	s_waitcnt vmcnt(7)
	buffer_store_dword v2, v1, s[0:3], 0 offen
	s_waitcnt vmcnt(6)
	buffer_store_dword v3, v1, s[0:3], 0 offen offset:4
	s_waitcnt vmcnt(5)
	buffer_store_dword v4, v1, s[0:3], 0 offen offset:8
	;; [unrolled: 2-line block ×6, first 2 shown]
	s_waitcnt vmcnt(0)
	buffer_store_dword v9, v0, s[0:3], 0 offen
.LBB35_264:
	v_mov_b32_e32 v0, 0
	global_load_dword v1, v0, s[20:21] offset:68
	s_waitcnt vmcnt(0)
	v_add_nc_u32_e32 v1, -1, v1
	v_cmp_eq_u32_e32 vcc_lo, 17, v1
	s_cbranch_vccnz .LBB35_266
; %bb.265:
	v_lshlrev_b32_e32 v1, 4, v1
	v_mov_b32_e32 v2, s30
	v_add_nc_u32_e32 v1, 16, v1
	s_clause 0x7
	buffer_load_dword v3, v1, s[0:3], 0 offen
	buffer_load_dword v4, v1, s[0:3], 0 offen offset:4
	buffer_load_dword v5, v1, s[0:3], 0 offen offset:8
	;; [unrolled: 1-line block ×6, first 2 shown]
	buffer_load_dword v10, v2, s[0:3], 0 offen
	s_waitcnt vmcnt(7)
	buffer_store_dword v3, v2, s[0:3], 0 offen
	s_waitcnt vmcnt(6)
	buffer_store_dword v4, v2, s[0:3], 0 offen offset:4
	s_waitcnt vmcnt(5)
	buffer_store_dword v5, v2, s[0:3], 0 offen offset:8
	;; [unrolled: 2-line block ×6, first 2 shown]
	s_waitcnt vmcnt(0)
	buffer_store_dword v10, v1, s[0:3], 0 offen
.LBB35_266:
	global_load_dword v0, v0, s[20:21] offset:64
	s_waitcnt vmcnt(0)
	v_add_nc_u32_e32 v0, -1, v0
	v_cmp_eq_u32_e32 vcc_lo, 16, v0
	s_cbranch_vccnz .LBB35_268
; %bb.267:
	v_lshlrev_b32_e32 v0, 4, v0
	v_mov_b32_e32 v1, s31
	v_add_nc_u32_e32 v0, 16, v0
	s_clause 0x7
	buffer_load_dword v2, v0, s[0:3], 0 offen
	buffer_load_dword v3, v0, s[0:3], 0 offen offset:4
	buffer_load_dword v4, v0, s[0:3], 0 offen offset:8
	;; [unrolled: 1-line block ×6, first 2 shown]
	buffer_load_dword v9, v1, s[0:3], 0 offen
	s_waitcnt vmcnt(7)
	buffer_store_dword v2, v1, s[0:3], 0 offen
	s_waitcnt vmcnt(6)
	buffer_store_dword v3, v1, s[0:3], 0 offen offset:4
	s_waitcnt vmcnt(5)
	buffer_store_dword v4, v1, s[0:3], 0 offen offset:8
	;; [unrolled: 2-line block ×6, first 2 shown]
	s_waitcnt vmcnt(0)
	buffer_store_dword v9, v0, s[0:3], 0 offen
.LBB35_268:
	v_mov_b32_e32 v0, 0
	global_load_dword v1, v0, s[20:21] offset:60
	s_waitcnt vmcnt(0)
	v_add_nc_u32_e32 v1, -1, v1
	v_cmp_eq_u32_e32 vcc_lo, 15, v1
	s_cbranch_vccnz .LBB35_270
; %bb.269:
	v_lshlrev_b32_e32 v1, 4, v1
	v_mov_b32_e32 v2, s33
	v_add_nc_u32_e32 v1, 16, v1
	s_clause 0x7
	buffer_load_dword v3, v1, s[0:3], 0 offen
	buffer_load_dword v4, v1, s[0:3], 0 offen offset:4
	buffer_load_dword v5, v1, s[0:3], 0 offen offset:8
	;; [unrolled: 1-line block ×6, first 2 shown]
	buffer_load_dword v10, v2, s[0:3], 0 offen
	s_waitcnt vmcnt(7)
	buffer_store_dword v3, v2, s[0:3], 0 offen
	s_waitcnt vmcnt(6)
	buffer_store_dword v4, v2, s[0:3], 0 offen offset:4
	s_waitcnt vmcnt(5)
	buffer_store_dword v5, v2, s[0:3], 0 offen offset:8
	;; [unrolled: 2-line block ×6, first 2 shown]
	s_waitcnt vmcnt(0)
	buffer_store_dword v10, v1, s[0:3], 0 offen
.LBB35_270:
	global_load_dword v0, v0, s[20:21] offset:56
	s_waitcnt vmcnt(0)
	v_add_nc_u32_e32 v0, -1, v0
	v_cmp_eq_u32_e32 vcc_lo, 14, v0
	s_cbranch_vccnz .LBB35_272
; %bb.271:
	v_lshlrev_b32_e32 v0, 4, v0
	v_mov_b32_e32 v1, s34
	v_add_nc_u32_e32 v0, 16, v0
	s_clause 0x7
	buffer_load_dword v2, v0, s[0:3], 0 offen
	buffer_load_dword v3, v0, s[0:3], 0 offen offset:4
	buffer_load_dword v4, v0, s[0:3], 0 offen offset:8
	;; [unrolled: 1-line block ×6, first 2 shown]
	buffer_load_dword v9, v1, s[0:3], 0 offen
	s_waitcnt vmcnt(7)
	buffer_store_dword v2, v1, s[0:3], 0 offen
	s_waitcnt vmcnt(6)
	buffer_store_dword v3, v1, s[0:3], 0 offen offset:4
	s_waitcnt vmcnt(5)
	buffer_store_dword v4, v1, s[0:3], 0 offen offset:8
	;; [unrolled: 2-line block ×6, first 2 shown]
	s_waitcnt vmcnt(0)
	buffer_store_dword v9, v0, s[0:3], 0 offen
.LBB35_272:
	v_mov_b32_e32 v0, 0
	global_load_dword v1, v0, s[20:21] offset:52
	s_waitcnt vmcnt(0)
	v_add_nc_u32_e32 v1, -1, v1
	v_cmp_eq_u32_e32 vcc_lo, 13, v1
	s_cbranch_vccnz .LBB35_274
; %bb.273:
	v_lshlrev_b32_e32 v1, 4, v1
	v_mov_b32_e32 v2, s35
	v_add_nc_u32_e32 v1, 16, v1
	s_clause 0x7
	buffer_load_dword v3, v1, s[0:3], 0 offen
	buffer_load_dword v4, v1, s[0:3], 0 offen offset:4
	buffer_load_dword v5, v1, s[0:3], 0 offen offset:8
	;; [unrolled: 1-line block ×6, first 2 shown]
	buffer_load_dword v10, v2, s[0:3], 0 offen
	s_waitcnt vmcnt(7)
	buffer_store_dword v3, v2, s[0:3], 0 offen
	s_waitcnt vmcnt(6)
	buffer_store_dword v4, v2, s[0:3], 0 offen offset:4
	s_waitcnt vmcnt(5)
	buffer_store_dword v5, v2, s[0:3], 0 offen offset:8
	;; [unrolled: 2-line block ×6, first 2 shown]
	s_waitcnt vmcnt(0)
	buffer_store_dword v10, v1, s[0:3], 0 offen
.LBB35_274:
	global_load_dword v0, v0, s[20:21] offset:48
	s_waitcnt vmcnt(0)
	v_add_nc_u32_e32 v0, -1, v0
	v_cmp_eq_u32_e32 vcc_lo, 12, v0
	s_cbranch_vccnz .LBB35_276
; %bb.275:
	v_lshlrev_b32_e32 v0, 4, v0
	v_mov_b32_e32 v1, s36
	v_add_nc_u32_e32 v0, 16, v0
	s_clause 0x7
	buffer_load_dword v2, v0, s[0:3], 0 offen
	buffer_load_dword v3, v0, s[0:3], 0 offen offset:4
	buffer_load_dword v4, v0, s[0:3], 0 offen offset:8
	;; [unrolled: 1-line block ×6, first 2 shown]
	buffer_load_dword v9, v1, s[0:3], 0 offen
	s_waitcnt vmcnt(7)
	buffer_store_dword v2, v1, s[0:3], 0 offen
	s_waitcnt vmcnt(6)
	buffer_store_dword v3, v1, s[0:3], 0 offen offset:4
	s_waitcnt vmcnt(5)
	buffer_store_dword v4, v1, s[0:3], 0 offen offset:8
	;; [unrolled: 2-line block ×6, first 2 shown]
	s_waitcnt vmcnt(0)
	buffer_store_dword v9, v0, s[0:3], 0 offen
.LBB35_276:
	v_mov_b32_e32 v0, 0
	global_load_dword v1, v0, s[20:21] offset:44
	s_waitcnt vmcnt(0)
	v_add_nc_u32_e32 v1, -1, v1
	v_cmp_eq_u32_e32 vcc_lo, 11, v1
	s_cbranch_vccnz .LBB35_278
; %bb.277:
	v_lshlrev_b32_e32 v1, 4, v1
	v_mov_b32_e32 v2, s37
	v_add_nc_u32_e32 v1, 16, v1
	s_clause 0x7
	buffer_load_dword v3, v1, s[0:3], 0 offen
	buffer_load_dword v4, v1, s[0:3], 0 offen offset:4
	buffer_load_dword v5, v1, s[0:3], 0 offen offset:8
	;; [unrolled: 1-line block ×6, first 2 shown]
	buffer_load_dword v10, v2, s[0:3], 0 offen
	s_waitcnt vmcnt(7)
	buffer_store_dword v3, v2, s[0:3], 0 offen
	s_waitcnt vmcnt(6)
	buffer_store_dword v4, v2, s[0:3], 0 offen offset:4
	s_waitcnt vmcnt(5)
	buffer_store_dword v5, v2, s[0:3], 0 offen offset:8
	;; [unrolled: 2-line block ×6, first 2 shown]
	s_waitcnt vmcnt(0)
	buffer_store_dword v10, v1, s[0:3], 0 offen
.LBB35_278:
	global_load_dword v0, v0, s[20:21] offset:40
	s_waitcnt vmcnt(0)
	v_add_nc_u32_e32 v0, -1, v0
	v_cmp_eq_u32_e32 vcc_lo, 10, v0
	s_cbranch_vccnz .LBB35_280
; %bb.279:
	v_lshlrev_b32_e32 v0, 4, v0
	v_mov_b32_e32 v1, s38
	v_add_nc_u32_e32 v0, 16, v0
	s_clause 0x7
	buffer_load_dword v2, v0, s[0:3], 0 offen
	buffer_load_dword v3, v0, s[0:3], 0 offen offset:4
	buffer_load_dword v4, v0, s[0:3], 0 offen offset:8
	;; [unrolled: 1-line block ×6, first 2 shown]
	buffer_load_dword v9, v1, s[0:3], 0 offen
	s_waitcnt vmcnt(7)
	buffer_store_dword v2, v1, s[0:3], 0 offen
	s_waitcnt vmcnt(6)
	buffer_store_dword v3, v1, s[0:3], 0 offen offset:4
	s_waitcnt vmcnt(5)
	buffer_store_dword v4, v1, s[0:3], 0 offen offset:8
	;; [unrolled: 2-line block ×6, first 2 shown]
	s_waitcnt vmcnt(0)
	buffer_store_dword v9, v0, s[0:3], 0 offen
.LBB35_280:
	v_mov_b32_e32 v0, 0
	global_load_dword v1, v0, s[20:21] offset:36
	s_waitcnt vmcnt(0)
	v_add_nc_u32_e32 v1, -1, v1
	v_cmp_eq_u32_e32 vcc_lo, 9, v1
	s_cbranch_vccnz .LBB35_282
; %bb.281:
	v_lshlrev_b32_e32 v1, 4, v1
	v_mov_b32_e32 v2, s39
	v_add_nc_u32_e32 v1, 16, v1
	s_clause 0x7
	buffer_load_dword v3, v1, s[0:3], 0 offen
	buffer_load_dword v4, v1, s[0:3], 0 offen offset:4
	buffer_load_dword v5, v1, s[0:3], 0 offen offset:8
	;; [unrolled: 1-line block ×6, first 2 shown]
	buffer_load_dword v10, v2, s[0:3], 0 offen
	s_waitcnt vmcnt(7)
	buffer_store_dword v3, v2, s[0:3], 0 offen
	s_waitcnt vmcnt(6)
	buffer_store_dword v4, v2, s[0:3], 0 offen offset:4
	s_waitcnt vmcnt(5)
	buffer_store_dword v5, v2, s[0:3], 0 offen offset:8
	;; [unrolled: 2-line block ×6, first 2 shown]
	s_waitcnt vmcnt(0)
	buffer_store_dword v10, v1, s[0:3], 0 offen
.LBB35_282:
	global_load_dword v0, v0, s[20:21] offset:32
	s_waitcnt vmcnt(0)
	v_add_nc_u32_e32 v0, -1, v0
	v_cmp_eq_u32_e32 vcc_lo, 8, v0
	s_cbranch_vccnz .LBB35_284
; %bb.283:
	v_lshlrev_b32_e32 v0, 4, v0
	v_mov_b32_e32 v1, s40
	v_add_nc_u32_e32 v0, 16, v0
	s_clause 0x7
	buffer_load_dword v2, v0, s[0:3], 0 offen
	buffer_load_dword v3, v0, s[0:3], 0 offen offset:4
	buffer_load_dword v4, v0, s[0:3], 0 offen offset:8
	;; [unrolled: 1-line block ×6, first 2 shown]
	buffer_load_dword v9, v1, s[0:3], 0 offen
	s_waitcnt vmcnt(7)
	buffer_store_dword v2, v1, s[0:3], 0 offen
	s_waitcnt vmcnt(6)
	buffer_store_dword v3, v1, s[0:3], 0 offen offset:4
	s_waitcnt vmcnt(5)
	buffer_store_dword v4, v1, s[0:3], 0 offen offset:8
	s_waitcnt vmcnt(4)
	buffer_store_dword v5, v1, s[0:3], 0 offen offset:12
	s_waitcnt vmcnt(3)
	buffer_store_dword v6, v0, s[0:3], 0 offen offset:12
	s_waitcnt vmcnt(2)
	buffer_store_dword v7, v0, s[0:3], 0 offen offset:8
	s_waitcnt vmcnt(1)
	buffer_store_dword v8, v0, s[0:3], 0 offen offset:4
	s_waitcnt vmcnt(0)
	buffer_store_dword v9, v0, s[0:3], 0 offen
.LBB35_284:
	v_mov_b32_e32 v0, 0
	global_load_dword v1, v0, s[20:21] offset:28
	s_waitcnt vmcnt(0)
	v_add_nc_u32_e32 v1, -1, v1
	v_cmp_eq_u32_e32 vcc_lo, 7, v1
	s_cbranch_vccnz .LBB35_286
; %bb.285:
	v_lshlrev_b32_e32 v1, 4, v1
	v_mov_b32_e32 v2, s41
	v_add_nc_u32_e32 v1, 16, v1
	s_clause 0x7
	buffer_load_dword v3, v1, s[0:3], 0 offen
	buffer_load_dword v4, v1, s[0:3], 0 offen offset:4
	buffer_load_dword v5, v1, s[0:3], 0 offen offset:8
	buffer_load_dword v6, v1, s[0:3], 0 offen offset:12
	buffer_load_dword v7, v2, s[0:3], 0 offen offset:12
	buffer_load_dword v8, v2, s[0:3], 0 offen offset:8
	buffer_load_dword v9, v2, s[0:3], 0 offen offset:4
	buffer_load_dword v10, v2, s[0:3], 0 offen
	s_waitcnt vmcnt(7)
	buffer_store_dword v3, v2, s[0:3], 0 offen
	s_waitcnt vmcnt(6)
	buffer_store_dword v4, v2, s[0:3], 0 offen offset:4
	s_waitcnt vmcnt(5)
	buffer_store_dword v5, v2, s[0:3], 0 offen offset:8
	;; [unrolled: 2-line block ×6, first 2 shown]
	s_waitcnt vmcnt(0)
	buffer_store_dword v10, v1, s[0:3], 0 offen
.LBB35_286:
	global_load_dword v0, v0, s[20:21] offset:24
	s_waitcnt vmcnt(0)
	v_add_nc_u32_e32 v0, -1, v0
	v_cmp_eq_u32_e32 vcc_lo, 6, v0
	s_cbranch_vccnz .LBB35_288
; %bb.287:
	v_lshlrev_b32_e32 v0, 4, v0
	v_mov_b32_e32 v1, s42
	v_add_nc_u32_e32 v0, 16, v0
	s_clause 0x7
	buffer_load_dword v2, v0, s[0:3], 0 offen
	buffer_load_dword v3, v0, s[0:3], 0 offen offset:4
	buffer_load_dword v4, v0, s[0:3], 0 offen offset:8
	;; [unrolled: 1-line block ×6, first 2 shown]
	buffer_load_dword v9, v1, s[0:3], 0 offen
	s_waitcnt vmcnt(7)
	buffer_store_dword v2, v1, s[0:3], 0 offen
	s_waitcnt vmcnt(6)
	buffer_store_dword v3, v1, s[0:3], 0 offen offset:4
	s_waitcnt vmcnt(5)
	buffer_store_dword v4, v1, s[0:3], 0 offen offset:8
	;; [unrolled: 2-line block ×6, first 2 shown]
	s_waitcnt vmcnt(0)
	buffer_store_dword v9, v0, s[0:3], 0 offen
.LBB35_288:
	v_mov_b32_e32 v0, 0
	global_load_dword v1, v0, s[20:21] offset:20
	s_waitcnt vmcnt(0)
	v_add_nc_u32_e32 v1, -1, v1
	v_cmp_eq_u32_e32 vcc_lo, 5, v1
	s_cbranch_vccnz .LBB35_290
; %bb.289:
	v_lshlrev_b32_e32 v1, 4, v1
	v_mov_b32_e32 v2, s43
	v_add_nc_u32_e32 v1, 16, v1
	s_clause 0x7
	buffer_load_dword v3, v1, s[0:3], 0 offen
	buffer_load_dword v4, v1, s[0:3], 0 offen offset:4
	buffer_load_dword v5, v1, s[0:3], 0 offen offset:8
	;; [unrolled: 1-line block ×6, first 2 shown]
	buffer_load_dword v10, v2, s[0:3], 0 offen
	s_waitcnt vmcnt(7)
	buffer_store_dword v3, v2, s[0:3], 0 offen
	s_waitcnt vmcnt(6)
	buffer_store_dword v4, v2, s[0:3], 0 offen offset:4
	s_waitcnt vmcnt(5)
	buffer_store_dword v5, v2, s[0:3], 0 offen offset:8
	s_waitcnt vmcnt(4)
	buffer_store_dword v6, v2, s[0:3], 0 offen offset:12
	s_waitcnt vmcnt(3)
	buffer_store_dword v7, v1, s[0:3], 0 offen offset:12
	s_waitcnt vmcnt(2)
	buffer_store_dword v8, v1, s[0:3], 0 offen offset:8
	s_waitcnt vmcnt(1)
	buffer_store_dword v9, v1, s[0:3], 0 offen offset:4
	s_waitcnt vmcnt(0)
	buffer_store_dword v10, v1, s[0:3], 0 offen
.LBB35_290:
	global_load_dword v0, v0, s[20:21] offset:16
	s_waitcnt vmcnt(0)
	v_add_nc_u32_e32 v0, -1, v0
	v_cmp_eq_u32_e32 vcc_lo, 4, v0
	s_cbranch_vccnz .LBB35_292
; %bb.291:
	v_lshlrev_b32_e32 v0, 4, v0
	v_mov_b32_e32 v1, s44
	v_add_nc_u32_e32 v0, 16, v0
	s_clause 0x7
	buffer_load_dword v2, v0, s[0:3], 0 offen
	buffer_load_dword v3, v0, s[0:3], 0 offen offset:4
	buffer_load_dword v4, v0, s[0:3], 0 offen offset:8
	;; [unrolled: 1-line block ×6, first 2 shown]
	buffer_load_dword v9, v1, s[0:3], 0 offen
	s_waitcnt vmcnt(7)
	buffer_store_dword v2, v1, s[0:3], 0 offen
	s_waitcnt vmcnt(6)
	buffer_store_dword v3, v1, s[0:3], 0 offen offset:4
	s_waitcnt vmcnt(5)
	buffer_store_dword v4, v1, s[0:3], 0 offen offset:8
	;; [unrolled: 2-line block ×6, first 2 shown]
	s_waitcnt vmcnt(0)
	buffer_store_dword v9, v0, s[0:3], 0 offen
.LBB35_292:
	v_mov_b32_e32 v0, 0
	global_load_dword v1, v0, s[20:21] offset:12
	s_waitcnt vmcnt(0)
	v_add_nc_u32_e32 v1, -1, v1
	v_cmp_eq_u32_e32 vcc_lo, 3, v1
	s_cbranch_vccnz .LBB35_294
; %bb.293:
	v_lshlrev_b32_e32 v1, 4, v1
	v_mov_b32_e32 v2, s45
	v_add_nc_u32_e32 v1, 16, v1
	s_clause 0x7
	buffer_load_dword v3, v1, s[0:3], 0 offen
	buffer_load_dword v4, v1, s[0:3], 0 offen offset:4
	buffer_load_dword v5, v1, s[0:3], 0 offen offset:8
	;; [unrolled: 1-line block ×6, first 2 shown]
	buffer_load_dword v10, v2, s[0:3], 0 offen
	s_waitcnt vmcnt(7)
	buffer_store_dword v3, v2, s[0:3], 0 offen
	s_waitcnt vmcnt(6)
	buffer_store_dword v4, v2, s[0:3], 0 offen offset:4
	s_waitcnt vmcnt(5)
	buffer_store_dword v5, v2, s[0:3], 0 offen offset:8
	;; [unrolled: 2-line block ×6, first 2 shown]
	s_waitcnt vmcnt(0)
	buffer_store_dword v10, v1, s[0:3], 0 offen
.LBB35_294:
	global_load_dword v0, v0, s[20:21] offset:8
	s_waitcnt vmcnt(0)
	v_add_nc_u32_e32 v0, -1, v0
	v_cmp_eq_u32_e32 vcc_lo, 2, v0
	s_cbranch_vccnz .LBB35_296
; %bb.295:
	v_lshlrev_b32_e32 v0, 4, v0
	v_mov_b32_e32 v1, s46
	v_add_nc_u32_e32 v0, 16, v0
	s_clause 0x7
	buffer_load_dword v2, v0, s[0:3], 0 offen
	buffer_load_dword v3, v0, s[0:3], 0 offen offset:4
	buffer_load_dword v4, v0, s[0:3], 0 offen offset:8
	;; [unrolled: 1-line block ×6, first 2 shown]
	buffer_load_dword v9, v1, s[0:3], 0 offen
	s_waitcnt vmcnt(7)
	buffer_store_dword v2, v1, s[0:3], 0 offen
	s_waitcnt vmcnt(6)
	buffer_store_dword v3, v1, s[0:3], 0 offen offset:4
	s_waitcnt vmcnt(5)
	buffer_store_dword v4, v1, s[0:3], 0 offen offset:8
	;; [unrolled: 2-line block ×6, first 2 shown]
	s_waitcnt vmcnt(0)
	buffer_store_dword v9, v0, s[0:3], 0 offen
.LBB35_296:
	v_mov_b32_e32 v0, 0
	global_load_dword v1, v0, s[20:21] offset:4
	s_waitcnt vmcnt(0)
	v_add_nc_u32_e32 v1, -1, v1
	v_cmp_eq_u32_e32 vcc_lo, 1, v1
	s_cbranch_vccnz .LBB35_298
; %bb.297:
	v_lshlrev_b32_e32 v1, 4, v1
	v_mov_b32_e32 v2, s47
	v_add_nc_u32_e32 v1, 16, v1
	s_clause 0x7
	buffer_load_dword v3, v1, s[0:3], 0 offen
	buffer_load_dword v4, v1, s[0:3], 0 offen offset:4
	buffer_load_dword v5, v1, s[0:3], 0 offen offset:8
	;; [unrolled: 1-line block ×6, first 2 shown]
	buffer_load_dword v10, v2, s[0:3], 0 offen
	s_waitcnt vmcnt(7)
	buffer_store_dword v3, v2, s[0:3], 0 offen
	s_waitcnt vmcnt(6)
	buffer_store_dword v4, v2, s[0:3], 0 offen offset:4
	s_waitcnt vmcnt(5)
	buffer_store_dword v5, v2, s[0:3], 0 offen offset:8
	;; [unrolled: 2-line block ×6, first 2 shown]
	s_waitcnt vmcnt(0)
	buffer_store_dword v10, v1, s[0:3], 0 offen
.LBB35_298:
	global_load_dword v0, v0, s[20:21]
	s_waitcnt vmcnt(0)
	v_add_nc_u32_e32 v0, -1, v0
	v_cmp_eq_u32_e32 vcc_lo, 0, v0
	s_cbranch_vccnz .LBB35_300
; %bb.299:
	v_lshlrev_b32_e32 v0, 4, v0
	v_add_nc_u32_e32 v0, 16, v0
	s_clause 0x7
	buffer_load_dword v1, v0, s[0:3], 0 offen
	buffer_load_dword v2, v0, s[0:3], 0 offen offset:4
	buffer_load_dword v3, v0, s[0:3], 0 offen offset:8
	;; [unrolled: 1-line block ×3, first 2 shown]
	buffer_load_dword v5, off, s[0:3], 0 offset:28
	buffer_load_dword v6, off, s[0:3], 0 offset:24
	;; [unrolled: 1-line block ×4, first 2 shown]
	s_waitcnt vmcnt(7)
	buffer_store_dword v1, off, s[0:3], 0 offset:16
	s_waitcnt vmcnt(6)
	buffer_store_dword v2, off, s[0:3], 0 offset:20
	;; [unrolled: 2-line block ×4, first 2 shown]
	s_waitcnt vmcnt(3)
	buffer_store_dword v5, v0, s[0:3], 0 offen offset:12
	s_waitcnt vmcnt(2)
	buffer_store_dword v6, v0, s[0:3], 0 offen offset:8
	;; [unrolled: 2-line block ×3, first 2 shown]
	s_waitcnt vmcnt(0)
	buffer_store_dword v8, v0, s[0:3], 0 offen
.LBB35_300:
	v_mov_b32_e32 v7, s47
	v_mov_b32_e32 v11, s46
	v_mov_b32_e32 v15, s45
	v_mov_b32_e32 v19, s44
	s_clause 0x13
	buffer_load_dword v0, off, s[0:3], 0 offset:16
	buffer_load_dword v1, off, s[0:3], 0 offset:20
	;; [unrolled: 1-line block ×4, first 2 shown]
	buffer_load_dword v4, v7, s[0:3], 0 offen
	buffer_load_dword v5, v7, s[0:3], 0 offen offset:4
	buffer_load_dword v6, v7, s[0:3], 0 offen offset:8
	buffer_load_dword v7, v7, s[0:3], 0 offen offset:12
	buffer_load_dword v8, v11, s[0:3], 0 offen
	buffer_load_dword v9, v11, s[0:3], 0 offen offset:4
	buffer_load_dword v10, v11, s[0:3], 0 offen offset:8
	buffer_load_dword v11, v11, s[0:3], 0 offen offset:12
	;; [unrolled: 4-line block ×4, first 2 shown]
	v_mov_b32_e32 v23, s43
	v_mov_b32_e32 v177, s19
	;; [unrolled: 1-line block ×27, first 2 shown]
	s_clause 0x3e
	buffer_load_dword v20, v23, s[0:3], 0 offen
	buffer_load_dword v21, v23, s[0:3], 0 offen offset:4
	buffer_load_dword v22, v23, s[0:3], 0 offen offset:8
	buffer_load_dword v23, v23, s[0:3], 0 offen offset:12
	buffer_load_dword v24, v27, s[0:3], 0 offen
	buffer_load_dword v25, v27, s[0:3], 0 offen offset:4
	buffer_load_dword v26, v27, s[0:3], 0 offen offset:8
	buffer_load_dword v27, v27, s[0:3], 0 offen offset:12
	buffer_load_dword v28, v31, s[0:3], 0 offen
	buffer_load_dword v29, v31, s[0:3], 0 offen offset:4
	buffer_load_dword v30, v31, s[0:3], 0 offen offset:8
	buffer_load_dword v31, v31, s[0:3], 0 offen offset:12
	buffer_load_dword v32, v35, s[0:3], 0 offen
	buffer_load_dword v33, v35, s[0:3], 0 offen offset:4
	buffer_load_dword v34, v35, s[0:3], 0 offen offset:8
	buffer_load_dword v35, v35, s[0:3], 0 offen offset:12
	buffer_load_dword v36, v39, s[0:3], 0 offen
	buffer_load_dword v37, v39, s[0:3], 0 offen offset:4
	buffer_load_dword v38, v39, s[0:3], 0 offen offset:8
	buffer_load_dword v39, v39, s[0:3], 0 offen offset:12
	buffer_load_dword v40, v43, s[0:3], 0 offen
	buffer_load_dword v41, v43, s[0:3], 0 offen offset:4
	buffer_load_dword v42, v43, s[0:3], 0 offen offset:8
	buffer_load_dword v43, v43, s[0:3], 0 offen offset:12
	buffer_load_dword v44, v47, s[0:3], 0 offen
	buffer_load_dword v45, v47, s[0:3], 0 offen offset:4
	buffer_load_dword v46, v47, s[0:3], 0 offen offset:8
	buffer_load_dword v47, v47, s[0:3], 0 offen offset:12
	buffer_load_dword v121, v48, s[0:3], 0 offen
	buffer_load_dword v122, v48, s[0:3], 0 offen offset:4
	buffer_load_dword v123, v48, s[0:3], 0 offen offset:8
	buffer_load_dword v124, v48, s[0:3], 0 offen offset:12
	buffer_load_dword v125, v128, s[0:3], 0 offen
	buffer_load_dword v126, v128, s[0:3], 0 offen offset:4
	buffer_load_dword v127, v128, s[0:3], 0 offen offset:8
	buffer_load_dword v128, v128, s[0:3], 0 offen offset:12
	buffer_load_dword v129, v132, s[0:3], 0 offen
	buffer_load_dword v130, v132, s[0:3], 0 offen offset:4
	buffer_load_dword v131, v132, s[0:3], 0 offen offset:8
	buffer_load_dword v132, v132, s[0:3], 0 offen offset:12
	buffer_load_dword v133, v136, s[0:3], 0 offen
	buffer_load_dword v134, v136, s[0:3], 0 offen offset:4
	buffer_load_dword v135, v136, s[0:3], 0 offen offset:8
	buffer_load_dword v136, v136, s[0:3], 0 offen offset:12
	buffer_load_dword v137, v140, s[0:3], 0 offen
	buffer_load_dword v138, v140, s[0:3], 0 offen offset:4
	buffer_load_dword v139, v140, s[0:3], 0 offen offset:8
	buffer_load_dword v140, v140, s[0:3], 0 offen offset:12
	buffer_load_dword v141, v144, s[0:3], 0 offen
	buffer_load_dword v142, v144, s[0:3], 0 offen offset:4
	buffer_load_dword v143, v144, s[0:3], 0 offen offset:8
	buffer_load_dword v144, v144, s[0:3], 0 offen offset:12
	buffer_load_dword v145, v148, s[0:3], 0 offen
	buffer_load_dword v146, v148, s[0:3], 0 offen offset:4
	buffer_load_dword v147, v148, s[0:3], 0 offen offset:8
	buffer_load_dword v148, v148, s[0:3], 0 offen offset:12
	buffer_load_dword v149, v152, s[0:3], 0 offen
	buffer_load_dword v150, v152, s[0:3], 0 offen offset:4
	buffer_load_dword v151, v152, s[0:3], 0 offen offset:8
	buffer_load_dword v152, v152, s[0:3], 0 offen offset:12
	buffer_load_dword v153, v156, s[0:3], 0 offen
	buffer_load_dword v154, v156, s[0:3], 0 offen offset:4
	buffer_load_dword v155, v156, s[0:3], 0 offen offset:8
	s_clause 0x14
	buffer_load_dword v156, v156, s[0:3], 0 offen offset:12
	buffer_load_dword v157, v160, s[0:3], 0 offen
	buffer_load_dword v158, v160, s[0:3], 0 offen offset:4
	buffer_load_dword v159, v160, s[0:3], 0 offen offset:8
	buffer_load_dword v160, v160, s[0:3], 0 offen offset:12
	buffer_load_dword v161, v164, s[0:3], 0 offen
	buffer_load_dword v162, v164, s[0:3], 0 offen offset:4
	buffer_load_dword v163, v164, s[0:3], 0 offen offset:8
	buffer_load_dword v164, v164, s[0:3], 0 offen offset:12
	buffer_load_dword v165, v168, s[0:3], 0 offen
	buffer_load_dword v166, v168, s[0:3], 0 offen offset:4
	buffer_load_dword v167, v168, s[0:3], 0 offen offset:8
	buffer_load_dword v168, v168, s[0:3], 0 offen offset:12
	buffer_load_dword v169, v172, s[0:3], 0 offen
	buffer_load_dword v170, v172, s[0:3], 0 offen offset:4
	buffer_load_dword v171, v172, s[0:3], 0 offen offset:8
	buffer_load_dword v172, v172, s[0:3], 0 offen offset:12
	buffer_load_dword v173, v176, s[0:3], 0 offen
	buffer_load_dword v174, v176, s[0:3], 0 offen offset:4
	buffer_load_dword v175, v176, s[0:3], 0 offen offset:8
	buffer_load_dword v176, v176, s[0:3], 0 offen offset:12
	v_mov_b32_e32 v182, s16
	v_mov_b32_e32 v184, s14
	;; [unrolled: 1-line block ×4, first 2 shown]
	s_waitcnt vmcnt(62)
	global_store_dwordx4 v[49:50], v[0:3], off
	s_clause 0x7
	buffer_load_dword v0, v177, s[0:3], 0 offen
	buffer_load_dword v1, v177, s[0:3], 0 offen offset:4
	buffer_load_dword v2, v177, s[0:3], 0 offen offset:8
	buffer_load_dword v3, v177, s[0:3], 0 offen offset:12
	buffer_load_dword v177, v180, s[0:3], 0 offen
	buffer_load_dword v178, v180, s[0:3], 0 offen offset:4
	buffer_load_dword v179, v180, s[0:3], 0 offen offset:8
	buffer_load_dword v180, v180, s[0:3], 0 offen offset:12
	global_store_dwordx4 v[51:52], v[4:7], off
	s_clause 0x7
	buffer_load_dword v4, v181, s[0:3], 0 offen
	buffer_load_dword v5, v181, s[0:3], 0 offen offset:4
	buffer_load_dword v6, v181, s[0:3], 0 offen offset:8
	buffer_load_dword v7, v181, s[0:3], 0 offen offset:12
	buffer_load_dword v48, v182, s[0:3], 0 offen
	buffer_load_dword v49, v182, s[0:3], 0 offen offset:4
	buffer_load_dword v50, v182, s[0:3], 0 offen offset:8
	buffer_load_dword v51, v182, s[0:3], 0 offen offset:12
	;; [unrolled: 10-line block ×5, first 2 shown]
	global_store_dwordx4 v[59:60], v[20:23], off
	global_store_dwordx4 v[61:62], v[24:27], off
	;; [unrolled: 1-line block ×5, first 2 shown]
	s_waitcnt vmcnt(62)
	global_store_dwordx4 v[69:70], v[40:43], off
	global_store_dwordx4 v[71:72], v[44:47], off
	;; [unrolled: 1-line block ×10, first 2 shown]
	s_waitcnt vmcnt(60)
	global_store_dwordx4 v[89:90], v[153:156], off
	s_waitcnt vmcnt(56)
	global_store_dwordx4 v[91:92], v[157:160], off
	;; [unrolled: 2-line block ×16, first 2 shown]
	s_endpgm
	.section	.rodata,"a",@progbits
	.p2align	6, 0x0
	.amdhsa_kernel _ZN9rocsolver6v33100L18getri_kernel_smallILi36E19rocblas_complex_numIdEPS3_EEvT1_iilPiilS6_bb
		.amdhsa_group_segment_fixed_size 1160
		.amdhsa_private_segment_fixed_size 608
		.amdhsa_kernarg_size 60
		.amdhsa_user_sgpr_count 6
		.amdhsa_user_sgpr_private_segment_buffer 1
		.amdhsa_user_sgpr_dispatch_ptr 0
		.amdhsa_user_sgpr_queue_ptr 0
		.amdhsa_user_sgpr_kernarg_segment_ptr 1
		.amdhsa_user_sgpr_dispatch_id 0
		.amdhsa_user_sgpr_flat_scratch_init 0
		.amdhsa_user_sgpr_private_segment_size 0
		.amdhsa_wavefront_size32 1
		.amdhsa_uses_dynamic_stack 0
		.amdhsa_system_sgpr_private_segment_wavefront_offset 1
		.amdhsa_system_sgpr_workgroup_id_x 1
		.amdhsa_system_sgpr_workgroup_id_y 0
		.amdhsa_system_sgpr_workgroup_id_z 0
		.amdhsa_system_sgpr_workgroup_info 0
		.amdhsa_system_vgpr_workitem_id 0
		.amdhsa_next_free_vgpr 192
		.amdhsa_next_free_sgpr 65
		.amdhsa_reserve_vcc 1
		.amdhsa_reserve_flat_scratch 0
		.amdhsa_float_round_mode_32 0
		.amdhsa_float_round_mode_16_64 0
		.amdhsa_float_denorm_mode_32 3
		.amdhsa_float_denorm_mode_16_64 3
		.amdhsa_dx10_clamp 1
		.amdhsa_ieee_mode 1
		.amdhsa_fp16_overflow 0
		.amdhsa_workgroup_processor_mode 1
		.amdhsa_memory_ordered 1
		.amdhsa_forward_progress 1
		.amdhsa_shared_vgpr_count 0
		.amdhsa_exception_fp_ieee_invalid_op 0
		.amdhsa_exception_fp_denorm_src 0
		.amdhsa_exception_fp_ieee_div_zero 0
		.amdhsa_exception_fp_ieee_overflow 0
		.amdhsa_exception_fp_ieee_underflow 0
		.amdhsa_exception_fp_ieee_inexact 0
		.amdhsa_exception_int_div_zero 0
	.end_amdhsa_kernel
	.section	.text._ZN9rocsolver6v33100L18getri_kernel_smallILi36E19rocblas_complex_numIdEPS3_EEvT1_iilPiilS6_bb,"axG",@progbits,_ZN9rocsolver6v33100L18getri_kernel_smallILi36E19rocblas_complex_numIdEPS3_EEvT1_iilPiilS6_bb,comdat
.Lfunc_end35:
	.size	_ZN9rocsolver6v33100L18getri_kernel_smallILi36E19rocblas_complex_numIdEPS3_EEvT1_iilPiilS6_bb, .Lfunc_end35-_ZN9rocsolver6v33100L18getri_kernel_smallILi36E19rocblas_complex_numIdEPS3_EEvT1_iilPiilS6_bb
                                        ; -- End function
	.set _ZN9rocsolver6v33100L18getri_kernel_smallILi36E19rocblas_complex_numIdEPS3_EEvT1_iilPiilS6_bb.num_vgpr, 192
	.set _ZN9rocsolver6v33100L18getri_kernel_smallILi36E19rocblas_complex_numIdEPS3_EEvT1_iilPiilS6_bb.num_agpr, 0
	.set _ZN9rocsolver6v33100L18getri_kernel_smallILi36E19rocblas_complex_numIdEPS3_EEvT1_iilPiilS6_bb.numbered_sgpr, 65
	.set _ZN9rocsolver6v33100L18getri_kernel_smallILi36E19rocblas_complex_numIdEPS3_EEvT1_iilPiilS6_bb.num_named_barrier, 0
	.set _ZN9rocsolver6v33100L18getri_kernel_smallILi36E19rocblas_complex_numIdEPS3_EEvT1_iilPiilS6_bb.private_seg_size, 608
	.set _ZN9rocsolver6v33100L18getri_kernel_smallILi36E19rocblas_complex_numIdEPS3_EEvT1_iilPiilS6_bb.uses_vcc, 1
	.set _ZN9rocsolver6v33100L18getri_kernel_smallILi36E19rocblas_complex_numIdEPS3_EEvT1_iilPiilS6_bb.uses_flat_scratch, 0
	.set _ZN9rocsolver6v33100L18getri_kernel_smallILi36E19rocblas_complex_numIdEPS3_EEvT1_iilPiilS6_bb.has_dyn_sized_stack, 0
	.set _ZN9rocsolver6v33100L18getri_kernel_smallILi36E19rocblas_complex_numIdEPS3_EEvT1_iilPiilS6_bb.has_recursion, 0
	.set _ZN9rocsolver6v33100L18getri_kernel_smallILi36E19rocblas_complex_numIdEPS3_EEvT1_iilPiilS6_bb.has_indirect_call, 0
	.section	.AMDGPU.csdata,"",@progbits
; Kernel info:
; codeLenInByte = 95348
; TotalNumSgprs: 67
; NumVgprs: 192
; ScratchSize: 608
; MemoryBound: 0
; FloatMode: 240
; IeeeMode: 1
; LDSByteSize: 1160 bytes/workgroup (compile time only)
; SGPRBlocks: 0
; VGPRBlocks: 23
; NumSGPRsForWavesPerEU: 67
; NumVGPRsForWavesPerEU: 192
; Occupancy: 5
; WaveLimiterHint : 1
; COMPUTE_PGM_RSRC2:SCRATCH_EN: 1
; COMPUTE_PGM_RSRC2:USER_SGPR: 6
; COMPUTE_PGM_RSRC2:TRAP_HANDLER: 0
; COMPUTE_PGM_RSRC2:TGID_X_EN: 1
; COMPUTE_PGM_RSRC2:TGID_Y_EN: 0
; COMPUTE_PGM_RSRC2:TGID_Z_EN: 0
; COMPUTE_PGM_RSRC2:TIDIG_COMP_CNT: 0
	.section	.text._ZN9rocsolver6v33100L18getri_kernel_smallILi37E19rocblas_complex_numIdEPS3_EEvT1_iilPiilS6_bb,"axG",@progbits,_ZN9rocsolver6v33100L18getri_kernel_smallILi37E19rocblas_complex_numIdEPS3_EEvT1_iilPiilS6_bb,comdat
	.globl	_ZN9rocsolver6v33100L18getri_kernel_smallILi37E19rocblas_complex_numIdEPS3_EEvT1_iilPiilS6_bb ; -- Begin function _ZN9rocsolver6v33100L18getri_kernel_smallILi37E19rocblas_complex_numIdEPS3_EEvT1_iilPiilS6_bb
	.p2align	8
	.type	_ZN9rocsolver6v33100L18getri_kernel_smallILi37E19rocblas_complex_numIdEPS3_EEvT1_iilPiilS6_bb,@function
_ZN9rocsolver6v33100L18getri_kernel_smallILi37E19rocblas_complex_numIdEPS3_EEvT1_iilPiilS6_bb: ; @_ZN9rocsolver6v33100L18getri_kernel_smallILi37E19rocblas_complex_numIdEPS3_EEvT1_iilPiilS6_bb
; %bb.0:
	s_add_u32 s0, s0, s7
	s_addc_u32 s1, s1, 0
	s_mov_b32 s7, exec_lo
	v_cmpx_gt_u32_e32 37, v0
	s_cbranch_execz .LBB36_162
; %bb.1:
	s_clause 0x2
	s_load_dword s7, s[4:5], 0x38
	s_load_dwordx4 s[16:19], s[4:5], 0x10
	s_load_dwordx4 s[8:11], s[4:5], 0x28
                                        ; implicit-def: $sgpr20_sgpr21
	s_waitcnt lgkmcnt(0)
	s_bitcmp1_b32 s7, 8
	s_cselect_b32 s49, -1, 0
	s_bfe_u32 s12, s7, 0x10008
	s_ashr_i32 s7, s6, 31
	s_cmp_eq_u32 s12, 0
	s_cbranch_scc1 .LBB36_3
; %bb.2:
	s_load_dword s12, s[4:5], 0x20
	s_mul_i32 s13, s8, s7
	s_mul_hi_u32 s14, s8, s6
	s_mul_i32 s9, s9, s6
	s_add_i32 s13, s14, s13
	s_mul_i32 s8, s8, s6
	s_add_i32 s9, s13, s9
	s_lshl_b64 s[8:9], s[8:9], 2
	s_waitcnt lgkmcnt(0)
	s_ashr_i32 s13, s12, 31
	s_add_u32 s14, s18, s8
	s_addc_u32 s15, s19, s9
	s_lshl_b64 s[8:9], s[12:13], 2
	s_add_u32 s20, s14, s8
	s_addc_u32 s21, s15, s9
.LBB36_3:
	s_clause 0x1
	s_load_dwordx4 s[12:15], s[4:5], 0x0
	s_load_dword s50, s[4:5], 0x38
	s_mul_i32 s4, s16, s7
	s_mul_hi_u32 s5, s16, s6
	s_mul_i32 s8, s17, s6
	s_add_i32 s5, s5, s4
	s_mul_i32 s4, s16, s6
	s_add_i32 s5, s5, s8
	v_lshlrev_b32_e32 v119, 4, v0
	s_lshl_b64 s[4:5], s[4:5], 4
	s_movk_i32 s16, 0xc0
	s_movk_i32 s17, 0xd0
	s_movk_i32 s18, 0xe0
	s_movk_i32 s19, 0xf0
	s_movk_i32 s22, 0x100
	s_movk_i32 s23, 0x110
	s_movk_i32 s24, 0x120
	s_movk_i32 s25, 0x130
	s_movk_i32 s26, 0x140
	s_movk_i32 s27, 0x150
	s_waitcnt lgkmcnt(0)
	v_add3_u32 v5, s15, s15, v0
	s_ashr_i32 s9, s14, 31
	s_mov_b32 s8, s14
	s_add_u32 s12, s12, s4
	s_addc_u32 s13, s13, s5
	v_add_nc_u32_e32 v7, s15, v5
	s_lshl_b64 s[4:5], s[8:9], 4
	v_ashrrev_i32_e32 v6, 31, v5
	s_add_u32 s4, s12, s4
	s_addc_u32 s5, s13, s5
	v_add_nc_u32_e32 v9, s15, v7
	v_add_co_u32 v45, s12, s4, v119
	v_ashrrev_i32_e32 v8, 31, v7
	s_mov_b32 s8, s15
	s_ashr_i32 s9, s15, 31
	v_lshlrev_b64 v[5:6], 4, v[5:6]
	v_add_co_ci_u32_e64 v46, null, s5, 0, s12
	s_lshl_b64 s[8:9], s[8:9], 4
	v_ashrrev_i32_e32 v10, 31, v9
	v_add_co_u32 v47, vcc_lo, v45, s8
	v_lshlrev_b64 v[7:8], 4, v[7:8]
	v_add_co_ci_u32_e64 v48, null, s9, v46, vcc_lo
	v_add_co_u32 v49, vcc_lo, s4, v5
	v_add_co_ci_u32_e64 v50, null, s5, v6, vcc_lo
	v_lshlrev_b64 v[5:6], 4, v[9:10]
	v_add_co_u32 v51, vcc_lo, s4, v7
	v_add_co_ci_u32_e64 v52, null, s5, v8, vcc_lo
	s_clause 0x1
	global_load_dwordx4 v[1:4], v119, s[4:5]
	global_load_dwordx4 v[120:123], v[47:48], off
	v_add_co_u32 v53, vcc_lo, s4, v5
	v_add_co_ci_u32_e64 v54, null, s5, v6, vcc_lo
	s_clause 0x1
	global_load_dwordx4 v[124:127], v[49:50], off
	global_load_dwordx4 v[128:131], v[51:52], off
	v_add_nc_u32_e32 v11, s15, v9
	global_load_dwordx4 v[132:135], v[53:54], off
	s_movk_i32 s8, 0x60
	s_movk_i32 s9, 0x70
	;; [unrolled: 1-line block ×3, first 2 shown]
	v_ashrrev_i32_e32 v12, 31, v11
	v_add_nc_u32_e32 v9, s15, v11
	s_movk_i32 s13, 0x90
	s_movk_i32 s14, 0xa0
	s_movk_i32 s51, 0x160
	v_lshlrev_b64 v[7:8], 4, v[11:12]
	v_ashrrev_i32_e32 v10, 31, v9
	v_add_nc_u32_e32 v11, s15, v9
	s_movk_i32 s52, 0x170
	s_movk_i32 s53, 0x180
	;; [unrolled: 1-line block ×3, first 2 shown]
	v_lshlrev_b64 v[5:6], 4, v[9:10]
	v_add_nc_u32_e32 v9, s15, v11
	v_ashrrev_i32_e32 v12, 31, v11
	v_add_co_u32 v57, vcc_lo, s4, v7
	v_add_co_ci_u32_e64 v58, null, s5, v8, vcc_lo
	v_ashrrev_i32_e32 v10, 31, v9
	v_lshlrev_b64 v[7:8], 4, v[11:12]
	v_add_co_u32 v55, vcc_lo, s4, v5
	v_add_co_ci_u32_e64 v56, null, s5, v6, vcc_lo
	v_lshlrev_b64 v[5:6], 4, v[9:10]
	global_load_dwordx4 v[136:139], v[57:58], off
	v_add_co_u32 v59, vcc_lo, s4, v7
	v_add_co_ci_u32_e64 v60, null, s5, v8, vcc_lo
	v_add_co_u32 v61, vcc_lo, s4, v5
	global_load_dwordx4 v[140:143], v[55:56], off
	v_add_co_ci_u32_e64 v62, null, s5, v6, vcc_lo
	s_clause 0x1
	global_load_dwordx4 v[144:147], v[59:60], off
	global_load_dwordx4 v[148:151], v[61:62], off
	v_add_nc_u32_e32 v5, s15, v9
	s_movk_i32 s55, 0x1a0
	s_movk_i32 s56, 0x1b0
	;; [unrolled: 1-line block ×4, first 2 shown]
	v_add_nc_u32_e32 v7, s15, v5
	v_ashrrev_i32_e32 v6, 31, v5
	s_movk_i32 s59, 0x1e0
	s_movk_i32 s60, 0x1f0
	;; [unrolled: 1-line block ×3, first 2 shown]
	v_add_nc_u32_e32 v9, s15, v7
	v_lshlrev_b64 v[5:6], 4, v[5:6]
	v_ashrrev_i32_e32 v8, 31, v7
	s_movk_i32 s62, 0x210
	s_movk_i32 s63, 0x220
	v_add_nc_u32_e32 v11, s15, v9
	v_ashrrev_i32_e32 v10, 31, v9
	v_lshlrev_b64 v[7:8], 4, v[7:8]
	v_add_co_u32 v63, vcc_lo, s4, v5
	v_add_nc_u32_e32 v13, s15, v11
	v_ashrrev_i32_e32 v12, 31, v11
	v_add_co_ci_u32_e64 v64, null, s5, v6, vcc_lo
	v_lshlrev_b64 v[5:6], 4, v[9:10]
	v_add_nc_u32_e32 v17, s15, v13
	v_ashrrev_i32_e32 v14, 31, v13
	v_lshlrev_b64 v[15:16], 4, v[11:12]
	v_add_co_u32 v65, vcc_lo, s4, v7
	v_add_nc_u32_e32 v21, s15, v17
	v_ashrrev_i32_e32 v18, 31, v17
	v_lshlrev_b64 v[13:14], 4, v[13:14]
	v_add_co_ci_u32_e64 v66, null, s5, v8, vcc_lo
	v_add_nc_u32_e32 v25, s15, v21
	v_ashrrev_i32_e32 v22, 31, v21
	v_add_co_u32 v67, vcc_lo, s4, v5
	v_lshlrev_b64 v[23:24], 4, v[17:18]
	v_add_nc_u32_e32 v29, s15, v25
	v_ashrrev_i32_e32 v26, 31, v25
	v_add_co_ci_u32_e64 v68, null, s5, v6, vcc_lo
	v_add_co_u32 v69, vcc_lo, s4, v15
	v_add_nc_u32_e32 v33, s15, v29
	v_ashrrev_i32_e32 v30, 31, v29
	v_lshlrev_b64 v[21:22], 4, v[21:22]
	v_add_co_ci_u32_e64 v70, null, s5, v16, vcc_lo
	v_add_nc_u32_e32 v37, s15, v33
	v_ashrrev_i32_e32 v34, 31, v33
	v_add_co_u32 v71, vcc_lo, s4, v13
	v_lshlrev_b64 v[31:32], 4, v[25:26]
	v_add_nc_u32_e32 v41, s15, v37
	v_ashrrev_i32_e32 v38, 31, v37
	v_add_co_ci_u32_e64 v72, null, s5, v14, vcc_lo
	v_add_co_u32 v73, vcc_lo, s4, v23
	v_add_nc_u32_e32 v85, s15, v41
	v_lshlrev_b64 v[29:30], 4, v[29:30]
	v_ashrrev_i32_e32 v42, 31, v41
	v_add_co_ci_u32_e64 v74, null, s5, v24, vcc_lo
	v_add_nc_u32_e32 v89, s15, v85
	v_add_co_u32 v75, vcc_lo, s4, v21
	v_lshlrev_b64 v[39:40], 4, v[33:34]
	v_ashrrev_i32_e32 v86, 31, v85
	v_add_co_ci_u32_e64 v76, null, s5, v22, vcc_lo
	v_add_co_u32 v77, vcc_lo, s4, v31
	v_lshlrev_b64 v[37:38], 4, v[37:38]
	v_add_co_ci_u32_e64 v78, null, s5, v32, vcc_lo
	v_add_co_u32 v79, vcc_lo, s4, v29
	v_lshlrev_b64 v[87:88], 4, v[41:42]
	v_add_nc_u32_e32 v93, s15, v89
	v_add_co_ci_u32_e64 v80, null, s5, v30, vcc_lo
	v_add_co_u32 v81, vcc_lo, s4, v39
	v_lshlrev_b64 v[91:92], 4, v[85:86]
	v_add_co_ci_u32_e64 v82, null, s5, v40, vcc_lo
	v_add_co_u32 v83, vcc_lo, s4, v37
	v_ashrrev_i32_e32 v94, 31, v93
	v_add_nc_u32_e32 v95, s15, v93
	v_add_co_ci_u32_e64 v84, null, s5, v38, vcc_lo
	v_add_co_u32 v85, vcc_lo, s4, v87
	v_add_co_ci_u32_e64 v86, null, s5, v88, vcc_lo
	v_add_co_u32 v87, vcc_lo, s4, v91
	v_add_co_ci_u32_e64 v88, null, s5, v92, vcc_lo
	v_lshlrev_b64 v[91:92], 4, v[93:94]
	v_add_nc_u32_e32 v93, s15, v95
	v_ashrrev_i32_e32 v90, 31, v89
	v_ashrrev_i32_e32 v96, 31, v95
	s_clause 0x3
	global_load_dwordx4 v[5:8], v[63:64], off
	global_load_dwordx4 v[9:12], v[65:66], off
	;; [unrolled: 1-line block ×4, first 2 shown]
	v_add_nc_u32_e32 v97, s15, v93
	v_lshlrev_b64 v[89:90], 4, v[89:90]
	v_ashrrev_i32_e32 v94, 31, v93
	v_lshlrev_b64 v[95:96], 4, v[95:96]
	s_clause 0x1
	global_load_dwordx4 v[21:24], v[71:72], off
	global_load_dwordx4 v[25:28], v[73:74], off
	v_add_nc_u32_e32 v101, s15, v97
	v_ashrrev_i32_e32 v98, 31, v97
	v_add_co_u32 v89, vcc_lo, s4, v89
	v_lshlrev_b64 v[99:100], 4, v[93:94]
	v_add_co_ci_u32_e64 v90, null, s5, v90, vcc_lo
	v_add_co_u32 v91, vcc_lo, s4, v91
	v_ashrrev_i32_e32 v102, 31, v101
	v_add_nc_u32_e32 v103, s15, v101
	v_add_co_ci_u32_e64 v92, null, s5, v92, vcc_lo
	v_add_co_u32 v93, vcc_lo, s4, v95
	v_add_co_ci_u32_e64 v94, null, s5, v96, vcc_lo
	v_add_co_u32 v95, vcc_lo, s4, v99
	v_add_co_ci_u32_e64 v96, null, s5, v100, vcc_lo
	v_lshlrev_b64 v[99:100], 4, v[101:102]
	v_add_nc_u32_e32 v101, s15, v103
	v_ashrrev_i32_e32 v104, 31, v103
	v_lshlrev_b64 v[97:98], 4, v[97:98]
	s_clause 0x3
	global_load_dwordx4 v[29:32], v[75:76], off
	global_load_dwordx4 v[33:36], v[77:78], off
	;; [unrolled: 1-line block ×4, first 2 shown]
	v_add_nc_u32_e32 v105, s15, v101
	v_ashrrev_i32_e32 v102, 31, v101
	v_lshlrev_b64 v[103:104], 4, v[103:104]
	v_add_co_u32 v97, vcc_lo, s4, v97
	v_add_nc_u32_e32 v109, s15, v105
	v_lshlrev_b64 v[107:108], 4, v[101:102]
	v_add_co_ci_u32_e64 v98, null, s5, v98, vcc_lo
	v_add_co_u32 v99, vcc_lo, s4, v99
	v_ashrrev_i32_e32 v110, 31, v109
	v_add_nc_u32_e32 v111, s15, v109
	v_add_co_ci_u32_e64 v100, null, s5, v100, vcc_lo
	v_add_co_u32 v101, vcc_lo, s4, v103
	v_add_co_ci_u32_e64 v102, null, s5, v104, vcc_lo
	v_add_co_u32 v103, vcc_lo, s4, v107
	v_add_co_ci_u32_e64 v104, null, s5, v108, vcc_lo
	v_lshlrev_b64 v[107:108], 4, v[109:110]
	v_add_nc_u32_e32 v109, s15, v111
	v_ashrrev_i32_e32 v106, 31, v105
	v_ashrrev_i32_e32 v112, 31, v111
	s_clause 0x3
	global_load_dwordx4 v[152:155], v[83:84], off
	global_load_dwordx4 v[156:159], v[85:86], off
	;; [unrolled: 1-line block ×4, first 2 shown]
	v_add_nc_u32_e32 v113, s15, v109
	v_lshlrev_b64 v[105:106], 4, v[105:106]
	v_ashrrev_i32_e32 v110, 31, v109
	v_lshlrev_b64 v[111:112], 4, v[111:112]
	s_clause 0x1
	global_load_dwordx4 v[168:171], v[91:92], off
	global_load_dwordx4 v[172:175], v[93:94], off
	v_add_nc_u32_e32 v117, s15, v113
	v_ashrrev_i32_e32 v114, 31, v113
	v_add_co_u32 v105, vcc_lo, s4, v105
	v_lshlrev_b64 v[115:116], 4, v[109:110]
	v_add_nc_u32_e32 v184, s15, v117
	v_add_co_ci_u32_e64 v106, null, s5, v106, vcc_lo
	v_add_co_u32 v107, vcc_lo, s4, v107
	v_ashrrev_i32_e32 v118, 31, v117
	v_add_co_ci_u32_e64 v108, null, s5, v108, vcc_lo
	v_add_co_u32 v109, vcc_lo, s4, v111
	v_ashrrev_i32_e32 v185, 31, v184
	v_add_co_ci_u32_e64 v110, null, s5, v112, vcc_lo
	v_lshlrev_b64 v[113:114], 4, v[113:114]
	v_add_co_u32 v111, vcc_lo, s4, v115
	v_add_co_ci_u32_e64 v112, null, s5, v116, vcc_lo
	v_lshlrev_b64 v[115:116], 4, v[117:118]
	v_lshlrev_b64 v[184:185], 4, v[184:185]
	v_add_co_u32 v113, vcc_lo, s4, v113
	v_add_co_ci_u32_e64 v114, null, s5, v114, vcc_lo
	v_add_co_u32 v117, vcc_lo, s4, v115
	v_add_co_ci_u32_e64 v118, null, s5, v116, vcc_lo
	v_add_co_u32 v115, vcc_lo, s4, v184
	s_clause 0x1
	global_load_dwordx4 v[176:179], v[95:96], off
	global_load_dwordx4 v[180:183], v[97:98], off
	v_add_co_ci_u32_e64 v116, null, s5, v185, vcc_lo
	s_movk_i32 s4, 0x50
	s_movk_i32 s15, 0xb0
	;; [unrolled: 1-line block ×4, first 2 shown]
	s_add_i32 s44, s4, 16
	s_add_i32 s43, s8, 16
	;; [unrolled: 1-line block ×23, first 2 shown]
	s_waitcnt vmcnt(26)
	buffer_store_dword v4, off, s[0:3], 0 offset:28
	buffer_store_dword v3, off, s[0:3], 0 offset:24
	buffer_store_dword v2, off, s[0:3], 0 offset:20
	buffer_store_dword v1, off, s[0:3], 0 offset:16
	s_clause 0x1
	global_load_dwordx4 v[1:4], v[99:100], off
	global_load_dwordx4 v[184:187], v[101:102], off
	s_waitcnt vmcnt(27)
	buffer_store_dword v123, off, s[0:3], 0 offset:44
	buffer_store_dword v122, off, s[0:3], 0 offset:40
	buffer_store_dword v121, off, s[0:3], 0 offset:36
	buffer_store_dword v120, off, s[0:3], 0 offset:32
	s_waitcnt vmcnt(26)
	buffer_store_dword v127, off, s[0:3], 0 offset:60
	buffer_store_dword v126, off, s[0:3], 0 offset:56
	buffer_store_dword v125, off, s[0:3], 0 offset:52
	buffer_store_dword v124, off, s[0:3], 0 offset:48
	s_clause 0x1
	global_load_dwordx4 v[120:123], v[103:104], off
	global_load_dwordx4 v[124:127], v[105:106], off
	s_waitcnt vmcnt(27)
	buffer_store_dword v131, off, s[0:3], 0 offset:76
	buffer_store_dword v130, off, s[0:3], 0 offset:72
	buffer_store_dword v129, off, s[0:3], 0 offset:68
	buffer_store_dword v128, off, s[0:3], 0 offset:64
	s_waitcnt vmcnt(26)
	buffer_store_dword v135, off, s[0:3], 0 offset:92
	buffer_store_dword v134, off, s[0:3], 0 offset:88
	buffer_store_dword v133, off, s[0:3], 0 offset:84
	buffer_store_dword v132, off, s[0:3], 0 offset:80
	s_clause 0x1
	global_load_dwordx4 v[128:131], v[107:108], off
	global_load_dwordx4 v[132:135], v[109:110], off
	s_waitcnt vmcnt(27)
	buffer_store_dword v139, off, s[0:3], 0 offset:108
	buffer_store_dword v138, off, s[0:3], 0 offset:104
	buffer_store_dword v137, off, s[0:3], 0 offset:100
	buffer_store_dword v136, off, s[0:3], 0 offset:96
	global_load_dwordx4 v[136:139], v[111:112], off
	s_waitcnt vmcnt(27)
	buffer_store_dword v143, off, s[0:3], 0 offset:124
	buffer_store_dword v142, off, s[0:3], 0 offset:120
	buffer_store_dword v141, off, s[0:3], 0 offset:116
	buffer_store_dword v140, off, s[0:3], 0 offset:112
	global_load_dwordx4 v[140:143], v[113:114], off
	s_waitcnt vmcnt(27)
	buffer_store_dword v147, off, s[0:3], 0 offset:140
	buffer_store_dword v146, off, s[0:3], 0 offset:136
	buffer_store_dword v145, off, s[0:3], 0 offset:132
	buffer_store_dword v144, off, s[0:3], 0 offset:128
	;; [unrolled: 6-line block ×3, first 2 shown]
	global_load_dwordx4 v[148:151], v[115:116], off
	s_add_i32 s18, s57, 16
	s_add_i32 s17, s58, 16
	;; [unrolled: 1-line block ×9, first 2 shown]
	s_mov_b32 s5, -1
	s_mov_b32 s48, 32
	s_mov_b32 s47, 48
	;; [unrolled: 1-line block ×3, first 2 shown]
	s_movk_i32 s45, 0x50
	s_bitcmp0_b32 s50, 0
	s_waitcnt vmcnt(27)
	buffer_store_dword v5, off, s[0:3], 0 offset:160
	buffer_store_dword v6, off, s[0:3], 0 offset:164
	buffer_store_dword v7, off, s[0:3], 0 offset:168
	buffer_store_dword v8, off, s[0:3], 0 offset:172
	s_waitcnt vmcnt(26)
	buffer_store_dword v9, off, s[0:3], 0 offset:176
	buffer_store_dword v10, off, s[0:3], 0 offset:180
	buffer_store_dword v11, off, s[0:3], 0 offset:184
	buffer_store_dword v12, off, s[0:3], 0 offset:188
	;; [unrolled: 5-line block ×28, first 2 shown]
	s_cbranch_scc1 .LBB36_160
; %bb.4:
	v_cmp_eq_u32_e64 s4, 0, v0
	s_and_saveexec_b32 s5, s4
; %bb.5:
	v_mov_b32_e32 v1, 0
	ds_write_b32 v1, v1 offset:1184
; %bb.6:
	s_or_b32 exec_lo, exec_lo, s5
	v_lshl_add_u32 v11, v0, 4, 16
	s_waitcnt lgkmcnt(0)
	s_waitcnt_vscnt null, 0x0
	s_barrier
	buffer_gl0_inv
	s_clause 0x3
	buffer_load_dword v1, v11, s[0:3], 0 offen
	buffer_load_dword v2, v11, s[0:3], 0 offen offset:4
	buffer_load_dword v3, v11, s[0:3], 0 offen offset:8
	;; [unrolled: 1-line block ×3, first 2 shown]
	s_waitcnt vmcnt(2)
	v_cmp_eq_f64_e32 vcc_lo, 0, v[1:2]
	s_waitcnt vmcnt(0)
	v_cmp_eq_f64_e64 s5, 0, v[3:4]
	s_and_b32 s5, vcc_lo, s5
	s_and_saveexec_b32 s50, s5
	s_cbranch_execz .LBB36_10
; %bb.7:
	v_mov_b32_e32 v1, 0
	s_mov_b32 s51, 0
	ds_read_b32 v2, v1 offset:1184
	s_waitcnt lgkmcnt(0)
	v_readfirstlane_b32 s5, v2
	v_add_nc_u32_e32 v2, 1, v0
	s_cmp_eq_u32 s5, 0
	v_cmp_gt_i32_e32 vcc_lo, s5, v2
	s_cselect_b32 s52, -1, 0
	s_or_b32 s52, s52, vcc_lo
	s_and_b32 exec_lo, exec_lo, s52
	s_cbranch_execz .LBB36_10
; %bb.8:
	v_mov_b32_e32 v3, s5
.LBB36_9:                               ; =>This Inner Loop Header: Depth=1
	ds_cmpst_rtn_b32 v3, v1, v3, v2 offset:1184
	s_waitcnt lgkmcnt(0)
	v_cmp_ne_u32_e32 vcc_lo, 0, v3
	v_cmp_le_i32_e64 s5, v3, v2
	s_and_b32 s5, vcc_lo, s5
	s_and_b32 s5, exec_lo, s5
	s_or_b32 s51, s5, s51
	s_andn2_b32 exec_lo, exec_lo, s51
	s_cbranch_execnz .LBB36_9
.LBB36_10:
	s_or_b32 exec_lo, exec_lo, s50
	v_mov_b32_e32 v1, 0
	s_barrier
	buffer_gl0_inv
	ds_read_b32 v2, v1 offset:1184
	s_and_saveexec_b32 s5, s4
	s_cbranch_execz .LBB36_12
; %bb.11:
	s_lshl_b64 s[50:51], s[6:7], 2
	s_add_u32 s50, s10, s50
	s_addc_u32 s51, s11, s51
	s_waitcnt lgkmcnt(0)
	global_store_dword v1, v2, s[50:51]
.LBB36_12:
	s_or_b32 exec_lo, exec_lo, s5
	s_waitcnt lgkmcnt(0)
	v_cmp_ne_u32_e32 vcc_lo, 0, v2
	s_mov_b32 s5, 0
	s_cbranch_vccnz .LBB36_160
; %bb.13:
	s_clause 0x3
	buffer_load_dword v7, v11, s[0:3], 0 offen
	buffer_load_dword v8, v11, s[0:3], 0 offen offset:4
	buffer_load_dword v9, v11, s[0:3], 0 offen offset:8
	;; [unrolled: 1-line block ×3, first 2 shown]
                                        ; implicit-def: $vgpr5_vgpr6
                                        ; implicit-def: $vgpr3_vgpr4
	s_waitcnt vmcnt(0)
	v_cmp_ngt_f64_e64 s5, |v[7:8]|, |v[9:10]|
	s_and_saveexec_b32 s50, s5
	s_xor_b32 s5, exec_lo, s50
	s_cbranch_execz .LBB36_15
; %bb.14:
	v_div_scale_f64 v[1:2], null, v[9:10], v[9:10], v[7:8]
	v_div_scale_f64 v[12:13], vcc_lo, v[7:8], v[9:10], v[7:8]
	v_rcp_f64_e32 v[3:4], v[1:2]
	v_fma_f64 v[5:6], -v[1:2], v[3:4], 1.0
	v_fma_f64 v[3:4], v[3:4], v[5:6], v[3:4]
	v_fma_f64 v[5:6], -v[1:2], v[3:4], 1.0
	v_fma_f64 v[3:4], v[3:4], v[5:6], v[3:4]
	v_mul_f64 v[5:6], v[12:13], v[3:4]
	v_fma_f64 v[1:2], -v[1:2], v[5:6], v[12:13]
	v_div_fmas_f64 v[1:2], v[1:2], v[3:4], v[5:6]
	v_div_fixup_f64 v[1:2], v[1:2], v[9:10], v[7:8]
	v_fma_f64 v[3:4], v[7:8], v[1:2], v[9:10]
	v_div_scale_f64 v[5:6], null, v[3:4], v[3:4], 1.0
	v_div_scale_f64 v[12:13], vcc_lo, 1.0, v[3:4], 1.0
	v_rcp_f64_e32 v[7:8], v[5:6]
	v_fma_f64 v[9:10], -v[5:6], v[7:8], 1.0
	v_fma_f64 v[7:8], v[7:8], v[9:10], v[7:8]
	v_fma_f64 v[9:10], -v[5:6], v[7:8], 1.0
	v_fma_f64 v[7:8], v[7:8], v[9:10], v[7:8]
	v_mul_f64 v[9:10], v[12:13], v[7:8]
	v_fma_f64 v[5:6], -v[5:6], v[9:10], v[12:13]
	v_div_fmas_f64 v[5:6], v[5:6], v[7:8], v[9:10]
                                        ; implicit-def: $vgpr7_vgpr8
                                        ; implicit-def: $vgpr9_vgpr10
	v_div_fixup_f64 v[3:4], v[5:6], v[3:4], 1.0
	v_mul_f64 v[5:6], v[1:2], v[3:4]
	v_xor_b32_e32 v4, 0x80000000, v4
	v_xor_b32_e32 v2, 0x80000000, v6
	v_mov_b32_e32 v1, v5
.LBB36_15:
	s_andn2_saveexec_b32 s5, s5
	s_cbranch_execz .LBB36_17
; %bb.16:
	v_div_scale_f64 v[1:2], null, v[7:8], v[7:8], v[9:10]
	v_div_scale_f64 v[12:13], vcc_lo, v[9:10], v[7:8], v[9:10]
	v_rcp_f64_e32 v[3:4], v[1:2]
	v_fma_f64 v[5:6], -v[1:2], v[3:4], 1.0
	v_fma_f64 v[3:4], v[3:4], v[5:6], v[3:4]
	v_fma_f64 v[5:6], -v[1:2], v[3:4], 1.0
	v_fma_f64 v[3:4], v[3:4], v[5:6], v[3:4]
	v_mul_f64 v[5:6], v[12:13], v[3:4]
	v_fma_f64 v[1:2], -v[1:2], v[5:6], v[12:13]
	v_div_fmas_f64 v[1:2], v[1:2], v[3:4], v[5:6]
	v_div_fixup_f64 v[1:2], v[1:2], v[7:8], v[9:10]
	v_fma_f64 v[3:4], v[9:10], v[1:2], v[7:8]
	v_div_scale_f64 v[5:6], null, v[3:4], v[3:4], 1.0
	v_rcp_f64_e32 v[7:8], v[5:6]
	v_fma_f64 v[9:10], -v[5:6], v[7:8], 1.0
	v_fma_f64 v[7:8], v[7:8], v[9:10], v[7:8]
	v_fma_f64 v[9:10], -v[5:6], v[7:8], 1.0
	v_fma_f64 v[7:8], v[7:8], v[9:10], v[7:8]
	v_div_scale_f64 v[9:10], vcc_lo, 1.0, v[3:4], 1.0
	v_mul_f64 v[12:13], v[9:10], v[7:8]
	v_fma_f64 v[5:6], -v[5:6], v[12:13], v[9:10]
	v_div_fmas_f64 v[5:6], v[5:6], v[7:8], v[12:13]
	v_div_fixup_f64 v[5:6], v[5:6], v[3:4], 1.0
	v_mul_f64 v[3:4], v[1:2], -v[5:6]
	v_xor_b32_e32 v2, 0x80000000, v6
	v_mov_b32_e32 v1, v5
.LBB36_17:
	s_or_b32 exec_lo, exec_lo, s5
	v_mov_b32_e32 v10, s48
	buffer_store_dword v6, v11, s[0:3], 0 offen offset:4
	buffer_store_dword v5, v11, s[0:3], 0 offen
	buffer_store_dword v4, v11, s[0:3], 0 offen offset:12
	buffer_store_dword v3, v11, s[0:3], 0 offen offset:8
	v_xor_b32_e32 v4, 0x80000000, v4
	v_add_nc_u32_e32 v5, 0x250, v119
	s_clause 0x3
	buffer_load_dword v9, v10, s[0:3], 0 offen offset:12
	buffer_load_dword v8, v10, s[0:3], 0 offen offset:8
	;; [unrolled: 1-line block ×3, first 2 shown]
	buffer_load_dword v6, v10, s[0:3], 0 offen
	ds_write_b128 v119, v[1:4]
	s_waitcnt vmcnt(0)
	ds_write_b128 v119, v[6:9] offset:592
	s_waitcnt lgkmcnt(0)
	s_waitcnt_vscnt null, 0x0
	s_barrier
	buffer_gl0_inv
	s_and_saveexec_b32 s5, s4
	s_cbranch_execz .LBB36_19
; %bb.18:
	s_clause 0x3
	buffer_load_dword v12, v11, s[0:3], 0 offen offset:8
	buffer_load_dword v13, v11, s[0:3], 0 offen offset:12
	buffer_load_dword v14, v11, s[0:3], 0 offen
	buffer_load_dword v15, v11, s[0:3], 0 offen offset:4
	ds_read_b128 v[1:4], v5
	v_mov_b32_e32 v6, 0
	ds_read_b128 v[6:9], v6 offset:16
	s_waitcnt vmcnt(2) lgkmcnt(1)
	v_mul_f64 v[16:17], v[1:2], v[12:13]
	v_mul_f64 v[12:13], v[3:4], v[12:13]
	s_waitcnt vmcnt(0)
	v_fma_f64 v[3:4], v[3:4], v[14:15], v[16:17]
	v_fma_f64 v[1:2], v[1:2], v[14:15], -v[12:13]
	v_add_f64 v[3:4], v[3:4], 0
	v_add_f64 v[1:2], v[1:2], 0
	s_waitcnt lgkmcnt(0)
	v_mul_f64 v[12:13], v[3:4], v[8:9]
	v_mul_f64 v[8:9], v[1:2], v[8:9]
	v_fma_f64 v[1:2], v[1:2], v[6:7], -v[12:13]
	v_fma_f64 v[3:4], v[3:4], v[6:7], v[8:9]
	buffer_store_dword v1, off, s[0:3], 0 offset:32
	buffer_store_dword v2, off, s[0:3], 0 offset:36
	buffer_store_dword v3, off, s[0:3], 0 offset:40
	buffer_store_dword v4, off, s[0:3], 0 offset:44
.LBB36_19:
	s_or_b32 exec_lo, exec_lo, s5
	v_mov_b32_e32 v4, s47
	s_waitcnt_vscnt null, 0x0
	s_barrier
	buffer_gl0_inv
	s_mov_b32 s5, exec_lo
	s_clause 0x3
	buffer_load_dword v1, v4, s[0:3], 0 offen
	buffer_load_dword v2, v4, s[0:3], 0 offen offset:4
	buffer_load_dword v3, v4, s[0:3], 0 offen offset:8
	buffer_load_dword v4, v4, s[0:3], 0 offen offset:12
	s_waitcnt vmcnt(0)
	ds_write_b128 v5, v[1:4]
	s_waitcnt lgkmcnt(0)
	s_barrier
	buffer_gl0_inv
	v_cmpx_gt_u32_e32 2, v0
	s_cbranch_execz .LBB36_23
; %bb.20:
	s_clause 0x3
	buffer_load_dword v6, v11, s[0:3], 0 offen offset:8
	buffer_load_dword v7, v11, s[0:3], 0 offen offset:12
	buffer_load_dword v8, v11, s[0:3], 0 offen
	buffer_load_dword v9, v11, s[0:3], 0 offen offset:4
	ds_read_b128 v[1:4], v5
	s_waitcnt vmcnt(2) lgkmcnt(0)
	v_mul_f64 v[10:11], v[3:4], v[6:7]
	v_mul_f64 v[6:7], v[1:2], v[6:7]
	s_waitcnt vmcnt(0)
	v_fma_f64 v[1:2], v[1:2], v[8:9], -v[10:11]
	v_fma_f64 v[3:4], v[3:4], v[8:9], v[6:7]
	v_add_f64 v[1:2], v[1:2], 0
	v_add_f64 v[3:4], v[3:4], 0
	s_and_saveexec_b32 s50, s4
	s_cbranch_execz .LBB36_22
; %bb.21:
	s_clause 0x3
	buffer_load_dword v10, off, s[0:3], 0 offset:40
	buffer_load_dword v11, off, s[0:3], 0 offset:44
	;; [unrolled: 1-line block ×4, first 2 shown]
	v_mov_b32_e32 v6, 0
	ds_read_b128 v[6:9], v6 offset:608
	s_waitcnt vmcnt(2) lgkmcnt(0)
	v_mul_f64 v[14:15], v[6:7], v[10:11]
	v_mul_f64 v[10:11], v[8:9], v[10:11]
	s_waitcnt vmcnt(0)
	v_fma_f64 v[8:9], v[8:9], v[12:13], v[14:15]
	v_fma_f64 v[6:7], v[6:7], v[12:13], -v[10:11]
	v_add_f64 v[3:4], v[3:4], v[8:9]
	v_add_f64 v[1:2], v[1:2], v[6:7]
.LBB36_22:
	s_or_b32 exec_lo, exec_lo, s50
	v_mov_b32_e32 v6, 0
	ds_read_b128 v[6:9], v6 offset:32
	s_waitcnt lgkmcnt(0)
	v_mul_f64 v[10:11], v[3:4], v[8:9]
	v_mul_f64 v[8:9], v[1:2], v[8:9]
	v_fma_f64 v[1:2], v[1:2], v[6:7], -v[10:11]
	v_fma_f64 v[3:4], v[3:4], v[6:7], v[8:9]
	buffer_store_dword v2, off, s[0:3], 0 offset:52
	buffer_store_dword v1, off, s[0:3], 0 offset:48
	;; [unrolled: 1-line block ×4, first 2 shown]
.LBB36_23:
	s_or_b32 exec_lo, exec_lo, s5
	v_mov_b32_e32 v4, s46
	s_waitcnt_vscnt null, 0x0
	s_barrier
	buffer_gl0_inv
	v_add_nc_u32_e32 v6, -1, v0
	s_clause 0x3
	buffer_load_dword v1, v4, s[0:3], 0 offen
	buffer_load_dword v2, v4, s[0:3], 0 offen offset:4
	buffer_load_dword v3, v4, s[0:3], 0 offen offset:8
	;; [unrolled: 1-line block ×3, first 2 shown]
	s_mov_b32 s4, exec_lo
	s_waitcnt vmcnt(0)
	ds_write_b128 v5, v[1:4]
	s_waitcnt lgkmcnt(0)
	s_barrier
	buffer_gl0_inv
	v_cmpx_gt_u32_e32 3, v0
	s_cbranch_execz .LBB36_27
; %bb.24:
	v_mov_b32_e32 v1, 0
	v_mov_b32_e32 v3, 0
	v_add_nc_u32_e32 v7, -1, v0
	v_add_nc_u32_e32 v8, 0x250, v119
	v_mov_b32_e32 v2, 0
	v_mov_b32_e32 v4, 0
	v_add_nc_u32_e32 v9, 16, v119
	s_mov_b32 s5, 0
	.p2align	6
.LBB36_25:                              ; =>This Inner Loop Header: Depth=1
	s_clause 0x3
	buffer_load_dword v14, v9, s[0:3], 0 offen offset:8
	buffer_load_dword v15, v9, s[0:3], 0 offen offset:12
	buffer_load_dword v16, v9, s[0:3], 0 offen
	buffer_load_dword v17, v9, s[0:3], 0 offen offset:4
	ds_read_b128 v[10:13], v8
	v_add_nc_u32_e32 v7, 1, v7
	v_add_nc_u32_e32 v8, 16, v8
	;; [unrolled: 1-line block ×3, first 2 shown]
	v_cmp_lt_u32_e32 vcc_lo, 1, v7
	s_or_b32 s5, vcc_lo, s5
	s_waitcnt vmcnt(2) lgkmcnt(0)
	v_mul_f64 v[18:19], v[12:13], v[14:15]
	v_mul_f64 v[14:15], v[10:11], v[14:15]
	s_waitcnt vmcnt(0)
	v_fma_f64 v[10:11], v[10:11], v[16:17], -v[18:19]
	v_fma_f64 v[12:13], v[12:13], v[16:17], v[14:15]
	v_add_f64 v[3:4], v[3:4], v[10:11]
	v_add_f64 v[1:2], v[1:2], v[12:13]
	s_andn2_b32 exec_lo, exec_lo, s5
	s_cbranch_execnz .LBB36_25
; %bb.26:
	s_or_b32 exec_lo, exec_lo, s5
	v_mov_b32_e32 v7, 0
	ds_read_b128 v[7:10], v7 offset:48
	s_waitcnt lgkmcnt(0)
	v_mul_f64 v[11:12], v[1:2], v[9:10]
	v_mul_f64 v[9:10], v[3:4], v[9:10]
	v_fma_f64 v[3:4], v[3:4], v[7:8], -v[11:12]
	v_fma_f64 v[1:2], v[1:2], v[7:8], v[9:10]
	buffer_store_dword v4, off, s[0:3], 0 offset:68
	buffer_store_dword v3, off, s[0:3], 0 offset:64
	;; [unrolled: 1-line block ×4, first 2 shown]
.LBB36_27:
	s_or_b32 exec_lo, exec_lo, s4
	v_mov_b32_e32 v4, s45
	s_waitcnt_vscnt null, 0x0
	s_barrier
	buffer_gl0_inv
	s_mov_b32 s4, exec_lo
	s_clause 0x3
	buffer_load_dword v1, v4, s[0:3], 0 offen
	buffer_load_dword v2, v4, s[0:3], 0 offen offset:4
	buffer_load_dword v3, v4, s[0:3], 0 offen offset:8
	;; [unrolled: 1-line block ×3, first 2 shown]
	s_waitcnt vmcnt(0)
	ds_write_b128 v5, v[1:4]
	s_waitcnt lgkmcnt(0)
	s_barrier
	buffer_gl0_inv
	v_cmpx_gt_u32_e32 4, v0
	s_cbranch_execz .LBB36_31
; %bb.28:
	v_mov_b32_e32 v1, 0
	v_mov_b32_e32 v3, 0
	v_add_nc_u32_e32 v7, -1, v0
	v_add_nc_u32_e32 v8, 0x250, v119
	v_mov_b32_e32 v2, 0
	v_mov_b32_e32 v4, 0
	v_add_nc_u32_e32 v9, 16, v119
	s_mov_b32 s5, 0
	.p2align	6
.LBB36_29:                              ; =>This Inner Loop Header: Depth=1
	s_clause 0x3
	buffer_load_dword v14, v9, s[0:3], 0 offen offset:8
	buffer_load_dword v15, v9, s[0:3], 0 offen offset:12
	buffer_load_dword v16, v9, s[0:3], 0 offen
	buffer_load_dword v17, v9, s[0:3], 0 offen offset:4
	ds_read_b128 v[10:13], v8
	v_add_nc_u32_e32 v7, 1, v7
	v_add_nc_u32_e32 v8, 16, v8
	;; [unrolled: 1-line block ×3, first 2 shown]
	v_cmp_lt_u32_e32 vcc_lo, 2, v7
	s_or_b32 s5, vcc_lo, s5
	s_waitcnt vmcnt(2) lgkmcnt(0)
	v_mul_f64 v[18:19], v[12:13], v[14:15]
	v_mul_f64 v[14:15], v[10:11], v[14:15]
	s_waitcnt vmcnt(0)
	v_fma_f64 v[10:11], v[10:11], v[16:17], -v[18:19]
	v_fma_f64 v[12:13], v[12:13], v[16:17], v[14:15]
	v_add_f64 v[3:4], v[3:4], v[10:11]
	v_add_f64 v[1:2], v[1:2], v[12:13]
	s_andn2_b32 exec_lo, exec_lo, s5
	s_cbranch_execnz .LBB36_29
; %bb.30:
	s_or_b32 exec_lo, exec_lo, s5
	v_mov_b32_e32 v7, 0
	ds_read_b128 v[7:10], v7 offset:64
	s_waitcnt lgkmcnt(0)
	v_mul_f64 v[11:12], v[1:2], v[9:10]
	v_mul_f64 v[9:10], v[3:4], v[9:10]
	v_fma_f64 v[3:4], v[3:4], v[7:8], -v[11:12]
	v_fma_f64 v[1:2], v[1:2], v[7:8], v[9:10]
	buffer_store_dword v4, off, s[0:3], 0 offset:84
	buffer_store_dword v3, off, s[0:3], 0 offset:80
	;; [unrolled: 1-line block ×4, first 2 shown]
.LBB36_31:
	s_or_b32 exec_lo, exec_lo, s4
	v_mov_b32_e32 v4, s44
	s_waitcnt_vscnt null, 0x0
	s_barrier
	buffer_gl0_inv
	s_mov_b32 s4, exec_lo
	s_clause 0x3
	buffer_load_dword v1, v4, s[0:3], 0 offen
	buffer_load_dword v2, v4, s[0:3], 0 offen offset:4
	buffer_load_dword v3, v4, s[0:3], 0 offen offset:8
	;; [unrolled: 1-line block ×3, first 2 shown]
	s_waitcnt vmcnt(0)
	ds_write_b128 v5, v[1:4]
	s_waitcnt lgkmcnt(0)
	s_barrier
	buffer_gl0_inv
	v_cmpx_gt_u32_e32 5, v0
	s_cbranch_execz .LBB36_35
; %bb.32:
	v_mov_b32_e32 v1, 0
	v_mov_b32_e32 v3, 0
	v_add_nc_u32_e32 v7, -1, v0
	v_add_nc_u32_e32 v8, 0x250, v119
	v_mov_b32_e32 v2, 0
	v_mov_b32_e32 v4, 0
	v_add_nc_u32_e32 v9, 16, v119
	s_mov_b32 s5, 0
	.p2align	6
.LBB36_33:                              ; =>This Inner Loop Header: Depth=1
	s_clause 0x3
	buffer_load_dword v14, v9, s[0:3], 0 offen offset:8
	buffer_load_dword v15, v9, s[0:3], 0 offen offset:12
	buffer_load_dword v16, v9, s[0:3], 0 offen
	buffer_load_dword v17, v9, s[0:3], 0 offen offset:4
	ds_read_b128 v[10:13], v8
	v_add_nc_u32_e32 v7, 1, v7
	v_add_nc_u32_e32 v8, 16, v8
	;; [unrolled: 1-line block ×3, first 2 shown]
	v_cmp_lt_u32_e32 vcc_lo, 3, v7
	s_or_b32 s5, vcc_lo, s5
	s_waitcnt vmcnt(2) lgkmcnt(0)
	v_mul_f64 v[18:19], v[12:13], v[14:15]
	v_mul_f64 v[14:15], v[10:11], v[14:15]
	s_waitcnt vmcnt(0)
	v_fma_f64 v[10:11], v[10:11], v[16:17], -v[18:19]
	v_fma_f64 v[12:13], v[12:13], v[16:17], v[14:15]
	v_add_f64 v[3:4], v[3:4], v[10:11]
	v_add_f64 v[1:2], v[1:2], v[12:13]
	s_andn2_b32 exec_lo, exec_lo, s5
	s_cbranch_execnz .LBB36_33
; %bb.34:
	s_or_b32 exec_lo, exec_lo, s5
	v_mov_b32_e32 v7, 0
	ds_read_b128 v[7:10], v7 offset:80
	s_waitcnt lgkmcnt(0)
	v_mul_f64 v[11:12], v[1:2], v[9:10]
	v_mul_f64 v[9:10], v[3:4], v[9:10]
	v_fma_f64 v[3:4], v[3:4], v[7:8], -v[11:12]
	v_fma_f64 v[1:2], v[1:2], v[7:8], v[9:10]
	buffer_store_dword v4, off, s[0:3], 0 offset:100
	buffer_store_dword v3, off, s[0:3], 0 offset:96
	;; [unrolled: 1-line block ×4, first 2 shown]
.LBB36_35:
	s_or_b32 exec_lo, exec_lo, s4
	v_mov_b32_e32 v4, s43
	s_waitcnt_vscnt null, 0x0
	s_barrier
	buffer_gl0_inv
	s_mov_b32 s4, exec_lo
	s_clause 0x3
	buffer_load_dword v1, v4, s[0:3], 0 offen
	buffer_load_dword v2, v4, s[0:3], 0 offen offset:4
	buffer_load_dword v3, v4, s[0:3], 0 offen offset:8
	;; [unrolled: 1-line block ×3, first 2 shown]
	s_waitcnt vmcnt(0)
	ds_write_b128 v5, v[1:4]
	s_waitcnt lgkmcnt(0)
	s_barrier
	buffer_gl0_inv
	v_cmpx_gt_u32_e32 6, v0
	s_cbranch_execz .LBB36_39
; %bb.36:
	v_mov_b32_e32 v1, 0
	v_mov_b32_e32 v3, 0
	v_add_nc_u32_e32 v7, -1, v0
	v_add_nc_u32_e32 v8, 0x250, v119
	v_mov_b32_e32 v2, 0
	v_mov_b32_e32 v4, 0
	v_add_nc_u32_e32 v9, 16, v119
	s_mov_b32 s5, 0
	.p2align	6
.LBB36_37:                              ; =>This Inner Loop Header: Depth=1
	s_clause 0x3
	buffer_load_dword v14, v9, s[0:3], 0 offen offset:8
	buffer_load_dword v15, v9, s[0:3], 0 offen offset:12
	buffer_load_dword v16, v9, s[0:3], 0 offen
	buffer_load_dword v17, v9, s[0:3], 0 offen offset:4
	ds_read_b128 v[10:13], v8
	v_add_nc_u32_e32 v7, 1, v7
	v_add_nc_u32_e32 v8, 16, v8
	;; [unrolled: 1-line block ×3, first 2 shown]
	v_cmp_lt_u32_e32 vcc_lo, 4, v7
	s_or_b32 s5, vcc_lo, s5
	s_waitcnt vmcnt(2) lgkmcnt(0)
	v_mul_f64 v[18:19], v[12:13], v[14:15]
	v_mul_f64 v[14:15], v[10:11], v[14:15]
	s_waitcnt vmcnt(0)
	v_fma_f64 v[10:11], v[10:11], v[16:17], -v[18:19]
	v_fma_f64 v[12:13], v[12:13], v[16:17], v[14:15]
	v_add_f64 v[3:4], v[3:4], v[10:11]
	v_add_f64 v[1:2], v[1:2], v[12:13]
	s_andn2_b32 exec_lo, exec_lo, s5
	s_cbranch_execnz .LBB36_37
; %bb.38:
	s_or_b32 exec_lo, exec_lo, s5
	v_mov_b32_e32 v7, 0
	ds_read_b128 v[7:10], v7 offset:96
	s_waitcnt lgkmcnt(0)
	v_mul_f64 v[11:12], v[1:2], v[9:10]
	v_mul_f64 v[9:10], v[3:4], v[9:10]
	v_fma_f64 v[3:4], v[3:4], v[7:8], -v[11:12]
	v_fma_f64 v[1:2], v[1:2], v[7:8], v[9:10]
	buffer_store_dword v4, off, s[0:3], 0 offset:116
	buffer_store_dword v3, off, s[0:3], 0 offset:112
	;; [unrolled: 1-line block ×4, first 2 shown]
.LBB36_39:
	s_or_b32 exec_lo, exec_lo, s4
	v_mov_b32_e32 v4, s42
	s_waitcnt_vscnt null, 0x0
	s_barrier
	buffer_gl0_inv
	s_mov_b32 s4, exec_lo
	s_clause 0x3
	buffer_load_dword v1, v4, s[0:3], 0 offen
	buffer_load_dword v2, v4, s[0:3], 0 offen offset:4
	buffer_load_dword v3, v4, s[0:3], 0 offen offset:8
	;; [unrolled: 1-line block ×3, first 2 shown]
	s_waitcnt vmcnt(0)
	ds_write_b128 v5, v[1:4]
	s_waitcnt lgkmcnt(0)
	s_barrier
	buffer_gl0_inv
	v_cmpx_gt_u32_e32 7, v0
	s_cbranch_execz .LBB36_43
; %bb.40:
	v_mov_b32_e32 v1, 0
	v_mov_b32_e32 v3, 0
	v_add_nc_u32_e32 v7, -1, v0
	v_add_nc_u32_e32 v8, 0x250, v119
	v_mov_b32_e32 v2, 0
	v_mov_b32_e32 v4, 0
	v_add_nc_u32_e32 v9, 16, v119
	s_mov_b32 s5, 0
	.p2align	6
.LBB36_41:                              ; =>This Inner Loop Header: Depth=1
	s_clause 0x3
	buffer_load_dword v14, v9, s[0:3], 0 offen offset:8
	buffer_load_dword v15, v9, s[0:3], 0 offen offset:12
	buffer_load_dword v16, v9, s[0:3], 0 offen
	buffer_load_dword v17, v9, s[0:3], 0 offen offset:4
	ds_read_b128 v[10:13], v8
	v_add_nc_u32_e32 v7, 1, v7
	v_add_nc_u32_e32 v8, 16, v8
	;; [unrolled: 1-line block ×3, first 2 shown]
	v_cmp_lt_u32_e32 vcc_lo, 5, v7
	s_or_b32 s5, vcc_lo, s5
	s_waitcnt vmcnt(2) lgkmcnt(0)
	v_mul_f64 v[18:19], v[12:13], v[14:15]
	v_mul_f64 v[14:15], v[10:11], v[14:15]
	s_waitcnt vmcnt(0)
	v_fma_f64 v[10:11], v[10:11], v[16:17], -v[18:19]
	v_fma_f64 v[12:13], v[12:13], v[16:17], v[14:15]
	v_add_f64 v[3:4], v[3:4], v[10:11]
	v_add_f64 v[1:2], v[1:2], v[12:13]
	s_andn2_b32 exec_lo, exec_lo, s5
	s_cbranch_execnz .LBB36_41
; %bb.42:
	s_or_b32 exec_lo, exec_lo, s5
	v_mov_b32_e32 v7, 0
	ds_read_b128 v[7:10], v7 offset:112
	s_waitcnt lgkmcnt(0)
	v_mul_f64 v[11:12], v[1:2], v[9:10]
	v_mul_f64 v[9:10], v[3:4], v[9:10]
	v_fma_f64 v[3:4], v[3:4], v[7:8], -v[11:12]
	v_fma_f64 v[1:2], v[1:2], v[7:8], v[9:10]
	buffer_store_dword v4, off, s[0:3], 0 offset:132
	buffer_store_dword v3, off, s[0:3], 0 offset:128
	;; [unrolled: 1-line block ×4, first 2 shown]
.LBB36_43:
	s_or_b32 exec_lo, exec_lo, s4
	v_mov_b32_e32 v4, s41
	s_waitcnt_vscnt null, 0x0
	s_barrier
	buffer_gl0_inv
	s_mov_b32 s4, exec_lo
	s_clause 0x3
	buffer_load_dword v1, v4, s[0:3], 0 offen
	buffer_load_dword v2, v4, s[0:3], 0 offen offset:4
	buffer_load_dword v3, v4, s[0:3], 0 offen offset:8
	;; [unrolled: 1-line block ×3, first 2 shown]
	s_waitcnt vmcnt(0)
	ds_write_b128 v5, v[1:4]
	s_waitcnt lgkmcnt(0)
	s_barrier
	buffer_gl0_inv
	v_cmpx_gt_u32_e32 8, v0
	s_cbranch_execz .LBB36_47
; %bb.44:
	v_mov_b32_e32 v1, 0
	v_mov_b32_e32 v3, 0
	v_add_nc_u32_e32 v7, -1, v0
	v_add_nc_u32_e32 v8, 0x250, v119
	v_mov_b32_e32 v2, 0
	v_mov_b32_e32 v4, 0
	v_add_nc_u32_e32 v9, 16, v119
	s_mov_b32 s5, 0
	.p2align	6
.LBB36_45:                              ; =>This Inner Loop Header: Depth=1
	s_clause 0x3
	buffer_load_dword v14, v9, s[0:3], 0 offen offset:8
	buffer_load_dword v15, v9, s[0:3], 0 offen offset:12
	buffer_load_dword v16, v9, s[0:3], 0 offen
	buffer_load_dword v17, v9, s[0:3], 0 offen offset:4
	ds_read_b128 v[10:13], v8
	v_add_nc_u32_e32 v7, 1, v7
	v_add_nc_u32_e32 v8, 16, v8
	;; [unrolled: 1-line block ×3, first 2 shown]
	v_cmp_lt_u32_e32 vcc_lo, 6, v7
	s_or_b32 s5, vcc_lo, s5
	s_waitcnt vmcnt(2) lgkmcnt(0)
	v_mul_f64 v[18:19], v[12:13], v[14:15]
	v_mul_f64 v[14:15], v[10:11], v[14:15]
	s_waitcnt vmcnt(0)
	v_fma_f64 v[10:11], v[10:11], v[16:17], -v[18:19]
	v_fma_f64 v[12:13], v[12:13], v[16:17], v[14:15]
	v_add_f64 v[3:4], v[3:4], v[10:11]
	v_add_f64 v[1:2], v[1:2], v[12:13]
	s_andn2_b32 exec_lo, exec_lo, s5
	s_cbranch_execnz .LBB36_45
; %bb.46:
	s_or_b32 exec_lo, exec_lo, s5
	v_mov_b32_e32 v7, 0
	ds_read_b128 v[7:10], v7 offset:128
	s_waitcnt lgkmcnt(0)
	v_mul_f64 v[11:12], v[1:2], v[9:10]
	v_mul_f64 v[9:10], v[3:4], v[9:10]
	v_fma_f64 v[3:4], v[3:4], v[7:8], -v[11:12]
	v_fma_f64 v[1:2], v[1:2], v[7:8], v[9:10]
	buffer_store_dword v4, off, s[0:3], 0 offset:148
	buffer_store_dword v3, off, s[0:3], 0 offset:144
	;; [unrolled: 1-line block ×4, first 2 shown]
.LBB36_47:
	s_or_b32 exec_lo, exec_lo, s4
	v_mov_b32_e32 v4, s40
	s_waitcnt_vscnt null, 0x0
	s_barrier
	buffer_gl0_inv
	s_mov_b32 s4, exec_lo
	s_clause 0x3
	buffer_load_dword v1, v4, s[0:3], 0 offen
	buffer_load_dword v2, v4, s[0:3], 0 offen offset:4
	buffer_load_dword v3, v4, s[0:3], 0 offen offset:8
	;; [unrolled: 1-line block ×3, first 2 shown]
	s_waitcnt vmcnt(0)
	ds_write_b128 v5, v[1:4]
	s_waitcnt lgkmcnt(0)
	s_barrier
	buffer_gl0_inv
	v_cmpx_gt_u32_e32 9, v0
	s_cbranch_execz .LBB36_51
; %bb.48:
	v_mov_b32_e32 v1, 0
	v_mov_b32_e32 v3, 0
	v_add_nc_u32_e32 v7, -1, v0
	v_add_nc_u32_e32 v8, 0x250, v119
	v_mov_b32_e32 v2, 0
	v_mov_b32_e32 v4, 0
	v_add_nc_u32_e32 v9, 16, v119
	s_mov_b32 s5, 0
	.p2align	6
.LBB36_49:                              ; =>This Inner Loop Header: Depth=1
	s_clause 0x3
	buffer_load_dword v14, v9, s[0:3], 0 offen offset:8
	buffer_load_dword v15, v9, s[0:3], 0 offen offset:12
	buffer_load_dword v16, v9, s[0:3], 0 offen
	buffer_load_dword v17, v9, s[0:3], 0 offen offset:4
	ds_read_b128 v[10:13], v8
	v_add_nc_u32_e32 v7, 1, v7
	v_add_nc_u32_e32 v8, 16, v8
	;; [unrolled: 1-line block ×3, first 2 shown]
	v_cmp_lt_u32_e32 vcc_lo, 7, v7
	s_or_b32 s5, vcc_lo, s5
	s_waitcnt vmcnt(2) lgkmcnt(0)
	v_mul_f64 v[18:19], v[12:13], v[14:15]
	v_mul_f64 v[14:15], v[10:11], v[14:15]
	s_waitcnt vmcnt(0)
	v_fma_f64 v[10:11], v[10:11], v[16:17], -v[18:19]
	v_fma_f64 v[12:13], v[12:13], v[16:17], v[14:15]
	v_add_f64 v[3:4], v[3:4], v[10:11]
	v_add_f64 v[1:2], v[1:2], v[12:13]
	s_andn2_b32 exec_lo, exec_lo, s5
	s_cbranch_execnz .LBB36_49
; %bb.50:
	s_or_b32 exec_lo, exec_lo, s5
	v_mov_b32_e32 v7, 0
	ds_read_b128 v[7:10], v7 offset:144
	s_waitcnt lgkmcnt(0)
	v_mul_f64 v[11:12], v[1:2], v[9:10]
	v_mul_f64 v[9:10], v[3:4], v[9:10]
	v_fma_f64 v[3:4], v[3:4], v[7:8], -v[11:12]
	v_fma_f64 v[1:2], v[1:2], v[7:8], v[9:10]
	buffer_store_dword v4, off, s[0:3], 0 offset:164
	buffer_store_dword v3, off, s[0:3], 0 offset:160
	buffer_store_dword v2, off, s[0:3], 0 offset:172
	buffer_store_dword v1, off, s[0:3], 0 offset:168
.LBB36_51:
	s_or_b32 exec_lo, exec_lo, s4
	v_mov_b32_e32 v4, s39
	s_waitcnt_vscnt null, 0x0
	s_barrier
	buffer_gl0_inv
	s_mov_b32 s4, exec_lo
	s_clause 0x3
	buffer_load_dword v1, v4, s[0:3], 0 offen
	buffer_load_dword v2, v4, s[0:3], 0 offen offset:4
	buffer_load_dword v3, v4, s[0:3], 0 offen offset:8
	;; [unrolled: 1-line block ×3, first 2 shown]
	s_waitcnt vmcnt(0)
	ds_write_b128 v5, v[1:4]
	s_waitcnt lgkmcnt(0)
	s_barrier
	buffer_gl0_inv
	v_cmpx_gt_u32_e32 10, v0
	s_cbranch_execz .LBB36_55
; %bb.52:
	v_mov_b32_e32 v1, 0
	v_mov_b32_e32 v3, 0
	v_add_nc_u32_e32 v7, -1, v0
	v_add_nc_u32_e32 v8, 0x250, v119
	v_mov_b32_e32 v2, 0
	v_mov_b32_e32 v4, 0
	v_add_nc_u32_e32 v9, 16, v119
	s_mov_b32 s5, 0
	.p2align	6
.LBB36_53:                              ; =>This Inner Loop Header: Depth=1
	s_clause 0x3
	buffer_load_dword v14, v9, s[0:3], 0 offen offset:8
	buffer_load_dword v15, v9, s[0:3], 0 offen offset:12
	buffer_load_dword v16, v9, s[0:3], 0 offen
	buffer_load_dword v17, v9, s[0:3], 0 offen offset:4
	ds_read_b128 v[10:13], v8
	v_add_nc_u32_e32 v7, 1, v7
	v_add_nc_u32_e32 v8, 16, v8
	;; [unrolled: 1-line block ×3, first 2 shown]
	v_cmp_lt_u32_e32 vcc_lo, 8, v7
	s_or_b32 s5, vcc_lo, s5
	s_waitcnt vmcnt(2) lgkmcnt(0)
	v_mul_f64 v[18:19], v[12:13], v[14:15]
	v_mul_f64 v[14:15], v[10:11], v[14:15]
	s_waitcnt vmcnt(0)
	v_fma_f64 v[10:11], v[10:11], v[16:17], -v[18:19]
	v_fma_f64 v[12:13], v[12:13], v[16:17], v[14:15]
	v_add_f64 v[3:4], v[3:4], v[10:11]
	v_add_f64 v[1:2], v[1:2], v[12:13]
	s_andn2_b32 exec_lo, exec_lo, s5
	s_cbranch_execnz .LBB36_53
; %bb.54:
	s_or_b32 exec_lo, exec_lo, s5
	v_mov_b32_e32 v7, 0
	ds_read_b128 v[7:10], v7 offset:160
	s_waitcnt lgkmcnt(0)
	v_mul_f64 v[11:12], v[1:2], v[9:10]
	v_mul_f64 v[9:10], v[3:4], v[9:10]
	v_fma_f64 v[3:4], v[3:4], v[7:8], -v[11:12]
	v_fma_f64 v[1:2], v[1:2], v[7:8], v[9:10]
	buffer_store_dword v4, off, s[0:3], 0 offset:180
	buffer_store_dword v3, off, s[0:3], 0 offset:176
	;; [unrolled: 1-line block ×4, first 2 shown]
.LBB36_55:
	s_or_b32 exec_lo, exec_lo, s4
	v_mov_b32_e32 v4, s38
	s_waitcnt_vscnt null, 0x0
	s_barrier
	buffer_gl0_inv
	s_mov_b32 s4, exec_lo
	s_clause 0x3
	buffer_load_dword v1, v4, s[0:3], 0 offen
	buffer_load_dword v2, v4, s[0:3], 0 offen offset:4
	buffer_load_dword v3, v4, s[0:3], 0 offen offset:8
	;; [unrolled: 1-line block ×3, first 2 shown]
	s_waitcnt vmcnt(0)
	ds_write_b128 v5, v[1:4]
	s_waitcnt lgkmcnt(0)
	s_barrier
	buffer_gl0_inv
	v_cmpx_gt_u32_e32 11, v0
	s_cbranch_execz .LBB36_59
; %bb.56:
	v_mov_b32_e32 v1, 0
	v_mov_b32_e32 v3, 0
	v_add_nc_u32_e32 v7, -1, v0
	v_add_nc_u32_e32 v8, 0x250, v119
	v_mov_b32_e32 v2, 0
	v_mov_b32_e32 v4, 0
	v_add_nc_u32_e32 v9, 16, v119
	s_mov_b32 s5, 0
	.p2align	6
.LBB36_57:                              ; =>This Inner Loop Header: Depth=1
	s_clause 0x3
	buffer_load_dword v14, v9, s[0:3], 0 offen offset:8
	buffer_load_dword v15, v9, s[0:3], 0 offen offset:12
	buffer_load_dword v16, v9, s[0:3], 0 offen
	buffer_load_dword v17, v9, s[0:3], 0 offen offset:4
	ds_read_b128 v[10:13], v8
	v_add_nc_u32_e32 v7, 1, v7
	v_add_nc_u32_e32 v8, 16, v8
	v_add_nc_u32_e32 v9, 16, v9
	v_cmp_lt_u32_e32 vcc_lo, 9, v7
	s_or_b32 s5, vcc_lo, s5
	s_waitcnt vmcnt(2) lgkmcnt(0)
	v_mul_f64 v[18:19], v[12:13], v[14:15]
	v_mul_f64 v[14:15], v[10:11], v[14:15]
	s_waitcnt vmcnt(0)
	v_fma_f64 v[10:11], v[10:11], v[16:17], -v[18:19]
	v_fma_f64 v[12:13], v[12:13], v[16:17], v[14:15]
	v_add_f64 v[3:4], v[3:4], v[10:11]
	v_add_f64 v[1:2], v[1:2], v[12:13]
	s_andn2_b32 exec_lo, exec_lo, s5
	s_cbranch_execnz .LBB36_57
; %bb.58:
	s_or_b32 exec_lo, exec_lo, s5
	v_mov_b32_e32 v7, 0
	ds_read_b128 v[7:10], v7 offset:176
	s_waitcnt lgkmcnt(0)
	v_mul_f64 v[11:12], v[1:2], v[9:10]
	v_mul_f64 v[9:10], v[3:4], v[9:10]
	v_fma_f64 v[3:4], v[3:4], v[7:8], -v[11:12]
	v_fma_f64 v[1:2], v[1:2], v[7:8], v[9:10]
	buffer_store_dword v4, off, s[0:3], 0 offset:196
	buffer_store_dword v3, off, s[0:3], 0 offset:192
	buffer_store_dword v2, off, s[0:3], 0 offset:204
	buffer_store_dword v1, off, s[0:3], 0 offset:200
.LBB36_59:
	s_or_b32 exec_lo, exec_lo, s4
	v_mov_b32_e32 v4, s37
	s_waitcnt_vscnt null, 0x0
	s_barrier
	buffer_gl0_inv
	s_mov_b32 s4, exec_lo
	s_clause 0x3
	buffer_load_dword v1, v4, s[0:3], 0 offen
	buffer_load_dword v2, v4, s[0:3], 0 offen offset:4
	buffer_load_dword v3, v4, s[0:3], 0 offen offset:8
	;; [unrolled: 1-line block ×3, first 2 shown]
	s_waitcnt vmcnt(0)
	ds_write_b128 v5, v[1:4]
	s_waitcnt lgkmcnt(0)
	s_barrier
	buffer_gl0_inv
	v_cmpx_gt_u32_e32 12, v0
	s_cbranch_execz .LBB36_63
; %bb.60:
	v_mov_b32_e32 v1, 0
	v_mov_b32_e32 v3, 0
	v_add_nc_u32_e32 v7, -1, v0
	v_add_nc_u32_e32 v8, 0x250, v119
	v_mov_b32_e32 v2, 0
	v_mov_b32_e32 v4, 0
	v_add_nc_u32_e32 v9, 16, v119
	s_mov_b32 s5, 0
	.p2align	6
.LBB36_61:                              ; =>This Inner Loop Header: Depth=1
	s_clause 0x3
	buffer_load_dword v14, v9, s[0:3], 0 offen offset:8
	buffer_load_dword v15, v9, s[0:3], 0 offen offset:12
	buffer_load_dword v16, v9, s[0:3], 0 offen
	buffer_load_dword v17, v9, s[0:3], 0 offen offset:4
	ds_read_b128 v[10:13], v8
	v_add_nc_u32_e32 v7, 1, v7
	v_add_nc_u32_e32 v8, 16, v8
	v_add_nc_u32_e32 v9, 16, v9
	v_cmp_lt_u32_e32 vcc_lo, 10, v7
	s_or_b32 s5, vcc_lo, s5
	s_waitcnt vmcnt(2) lgkmcnt(0)
	v_mul_f64 v[18:19], v[12:13], v[14:15]
	v_mul_f64 v[14:15], v[10:11], v[14:15]
	s_waitcnt vmcnt(0)
	v_fma_f64 v[10:11], v[10:11], v[16:17], -v[18:19]
	v_fma_f64 v[12:13], v[12:13], v[16:17], v[14:15]
	v_add_f64 v[3:4], v[3:4], v[10:11]
	v_add_f64 v[1:2], v[1:2], v[12:13]
	s_andn2_b32 exec_lo, exec_lo, s5
	s_cbranch_execnz .LBB36_61
; %bb.62:
	s_or_b32 exec_lo, exec_lo, s5
	v_mov_b32_e32 v7, 0
	ds_read_b128 v[7:10], v7 offset:192
	s_waitcnt lgkmcnt(0)
	v_mul_f64 v[11:12], v[1:2], v[9:10]
	v_mul_f64 v[9:10], v[3:4], v[9:10]
	v_fma_f64 v[3:4], v[3:4], v[7:8], -v[11:12]
	v_fma_f64 v[1:2], v[1:2], v[7:8], v[9:10]
	buffer_store_dword v4, off, s[0:3], 0 offset:212
	buffer_store_dword v3, off, s[0:3], 0 offset:208
	;; [unrolled: 1-line block ×4, first 2 shown]
.LBB36_63:
	s_or_b32 exec_lo, exec_lo, s4
	v_mov_b32_e32 v4, s36
	s_waitcnt_vscnt null, 0x0
	s_barrier
	buffer_gl0_inv
	s_mov_b32 s4, exec_lo
	s_clause 0x3
	buffer_load_dword v1, v4, s[0:3], 0 offen
	buffer_load_dword v2, v4, s[0:3], 0 offen offset:4
	buffer_load_dword v3, v4, s[0:3], 0 offen offset:8
	;; [unrolled: 1-line block ×3, first 2 shown]
	s_waitcnt vmcnt(0)
	ds_write_b128 v5, v[1:4]
	s_waitcnt lgkmcnt(0)
	s_barrier
	buffer_gl0_inv
	v_cmpx_gt_u32_e32 13, v0
	s_cbranch_execz .LBB36_67
; %bb.64:
	v_mov_b32_e32 v1, 0
	v_mov_b32_e32 v3, 0
	v_add_nc_u32_e32 v7, -1, v0
	v_add_nc_u32_e32 v8, 0x250, v119
	v_mov_b32_e32 v2, 0
	v_mov_b32_e32 v4, 0
	v_add_nc_u32_e32 v9, 16, v119
	s_mov_b32 s5, 0
	.p2align	6
.LBB36_65:                              ; =>This Inner Loop Header: Depth=1
	s_clause 0x3
	buffer_load_dword v14, v9, s[0:3], 0 offen offset:8
	buffer_load_dword v15, v9, s[0:3], 0 offen offset:12
	buffer_load_dword v16, v9, s[0:3], 0 offen
	buffer_load_dword v17, v9, s[0:3], 0 offen offset:4
	ds_read_b128 v[10:13], v8
	v_add_nc_u32_e32 v7, 1, v7
	v_add_nc_u32_e32 v8, 16, v8
	;; [unrolled: 1-line block ×3, first 2 shown]
	v_cmp_lt_u32_e32 vcc_lo, 11, v7
	s_or_b32 s5, vcc_lo, s5
	s_waitcnt vmcnt(2) lgkmcnt(0)
	v_mul_f64 v[18:19], v[12:13], v[14:15]
	v_mul_f64 v[14:15], v[10:11], v[14:15]
	s_waitcnt vmcnt(0)
	v_fma_f64 v[10:11], v[10:11], v[16:17], -v[18:19]
	v_fma_f64 v[12:13], v[12:13], v[16:17], v[14:15]
	v_add_f64 v[3:4], v[3:4], v[10:11]
	v_add_f64 v[1:2], v[1:2], v[12:13]
	s_andn2_b32 exec_lo, exec_lo, s5
	s_cbranch_execnz .LBB36_65
; %bb.66:
	s_or_b32 exec_lo, exec_lo, s5
	v_mov_b32_e32 v7, 0
	ds_read_b128 v[7:10], v7 offset:208
	s_waitcnt lgkmcnt(0)
	v_mul_f64 v[11:12], v[1:2], v[9:10]
	v_mul_f64 v[9:10], v[3:4], v[9:10]
	v_fma_f64 v[3:4], v[3:4], v[7:8], -v[11:12]
	v_fma_f64 v[1:2], v[1:2], v[7:8], v[9:10]
	buffer_store_dword v4, off, s[0:3], 0 offset:228
	buffer_store_dword v3, off, s[0:3], 0 offset:224
	buffer_store_dword v2, off, s[0:3], 0 offset:236
	buffer_store_dword v1, off, s[0:3], 0 offset:232
.LBB36_67:
	s_or_b32 exec_lo, exec_lo, s4
	v_mov_b32_e32 v4, s35
	s_waitcnt_vscnt null, 0x0
	s_barrier
	buffer_gl0_inv
	s_mov_b32 s4, exec_lo
	s_clause 0x3
	buffer_load_dword v1, v4, s[0:3], 0 offen
	buffer_load_dword v2, v4, s[0:3], 0 offen offset:4
	buffer_load_dword v3, v4, s[0:3], 0 offen offset:8
	;; [unrolled: 1-line block ×3, first 2 shown]
	s_waitcnt vmcnt(0)
	ds_write_b128 v5, v[1:4]
	s_waitcnt lgkmcnt(0)
	s_barrier
	buffer_gl0_inv
	v_cmpx_gt_u32_e32 14, v0
	s_cbranch_execz .LBB36_71
; %bb.68:
	v_mov_b32_e32 v1, 0
	v_mov_b32_e32 v3, 0
	v_add_nc_u32_e32 v7, -1, v0
	v_add_nc_u32_e32 v8, 0x250, v119
	v_mov_b32_e32 v2, 0
	v_mov_b32_e32 v4, 0
	v_add_nc_u32_e32 v9, 16, v119
	s_mov_b32 s5, 0
	.p2align	6
.LBB36_69:                              ; =>This Inner Loop Header: Depth=1
	s_clause 0x3
	buffer_load_dword v14, v9, s[0:3], 0 offen offset:8
	buffer_load_dword v15, v9, s[0:3], 0 offen offset:12
	buffer_load_dword v16, v9, s[0:3], 0 offen
	buffer_load_dword v17, v9, s[0:3], 0 offen offset:4
	ds_read_b128 v[10:13], v8
	v_add_nc_u32_e32 v7, 1, v7
	v_add_nc_u32_e32 v8, 16, v8
	;; [unrolled: 1-line block ×3, first 2 shown]
	v_cmp_lt_u32_e32 vcc_lo, 12, v7
	s_or_b32 s5, vcc_lo, s5
	s_waitcnt vmcnt(2) lgkmcnt(0)
	v_mul_f64 v[18:19], v[12:13], v[14:15]
	v_mul_f64 v[14:15], v[10:11], v[14:15]
	s_waitcnt vmcnt(0)
	v_fma_f64 v[10:11], v[10:11], v[16:17], -v[18:19]
	v_fma_f64 v[12:13], v[12:13], v[16:17], v[14:15]
	v_add_f64 v[3:4], v[3:4], v[10:11]
	v_add_f64 v[1:2], v[1:2], v[12:13]
	s_andn2_b32 exec_lo, exec_lo, s5
	s_cbranch_execnz .LBB36_69
; %bb.70:
	s_or_b32 exec_lo, exec_lo, s5
	v_mov_b32_e32 v7, 0
	ds_read_b128 v[7:10], v7 offset:224
	s_waitcnt lgkmcnt(0)
	v_mul_f64 v[11:12], v[1:2], v[9:10]
	v_mul_f64 v[9:10], v[3:4], v[9:10]
	v_fma_f64 v[3:4], v[3:4], v[7:8], -v[11:12]
	v_fma_f64 v[1:2], v[1:2], v[7:8], v[9:10]
	buffer_store_dword v4, off, s[0:3], 0 offset:244
	buffer_store_dword v3, off, s[0:3], 0 offset:240
	;; [unrolled: 1-line block ×4, first 2 shown]
.LBB36_71:
	s_or_b32 exec_lo, exec_lo, s4
	v_mov_b32_e32 v4, s34
	s_waitcnt_vscnt null, 0x0
	s_barrier
	buffer_gl0_inv
	s_mov_b32 s4, exec_lo
	s_clause 0x3
	buffer_load_dword v1, v4, s[0:3], 0 offen
	buffer_load_dword v2, v4, s[0:3], 0 offen offset:4
	buffer_load_dword v3, v4, s[0:3], 0 offen offset:8
	buffer_load_dword v4, v4, s[0:3], 0 offen offset:12
	s_waitcnt vmcnt(0)
	ds_write_b128 v5, v[1:4]
	s_waitcnt lgkmcnt(0)
	s_barrier
	buffer_gl0_inv
	v_cmpx_gt_u32_e32 15, v0
	s_cbranch_execz .LBB36_75
; %bb.72:
	v_mov_b32_e32 v1, 0
	v_mov_b32_e32 v3, 0
	v_add_nc_u32_e32 v7, -1, v0
	v_add_nc_u32_e32 v8, 0x250, v119
	v_mov_b32_e32 v2, 0
	v_mov_b32_e32 v4, 0
	v_add_nc_u32_e32 v9, 16, v119
	s_mov_b32 s5, 0
	.p2align	6
.LBB36_73:                              ; =>This Inner Loop Header: Depth=1
	s_clause 0x3
	buffer_load_dword v14, v9, s[0:3], 0 offen offset:8
	buffer_load_dword v15, v9, s[0:3], 0 offen offset:12
	buffer_load_dword v16, v9, s[0:3], 0 offen
	buffer_load_dword v17, v9, s[0:3], 0 offen offset:4
	ds_read_b128 v[10:13], v8
	v_add_nc_u32_e32 v7, 1, v7
	v_add_nc_u32_e32 v8, 16, v8
	;; [unrolled: 1-line block ×3, first 2 shown]
	v_cmp_lt_u32_e32 vcc_lo, 13, v7
	s_or_b32 s5, vcc_lo, s5
	s_waitcnt vmcnt(2) lgkmcnt(0)
	v_mul_f64 v[18:19], v[12:13], v[14:15]
	v_mul_f64 v[14:15], v[10:11], v[14:15]
	s_waitcnt vmcnt(0)
	v_fma_f64 v[10:11], v[10:11], v[16:17], -v[18:19]
	v_fma_f64 v[12:13], v[12:13], v[16:17], v[14:15]
	v_add_f64 v[3:4], v[3:4], v[10:11]
	v_add_f64 v[1:2], v[1:2], v[12:13]
	s_andn2_b32 exec_lo, exec_lo, s5
	s_cbranch_execnz .LBB36_73
; %bb.74:
	s_or_b32 exec_lo, exec_lo, s5
	v_mov_b32_e32 v7, 0
	ds_read_b128 v[7:10], v7 offset:240
	s_waitcnt lgkmcnt(0)
	v_mul_f64 v[11:12], v[1:2], v[9:10]
	v_mul_f64 v[9:10], v[3:4], v[9:10]
	v_fma_f64 v[3:4], v[3:4], v[7:8], -v[11:12]
	v_fma_f64 v[1:2], v[1:2], v[7:8], v[9:10]
	buffer_store_dword v4, off, s[0:3], 0 offset:260
	buffer_store_dword v3, off, s[0:3], 0 offset:256
	;; [unrolled: 1-line block ×4, first 2 shown]
.LBB36_75:
	s_or_b32 exec_lo, exec_lo, s4
	v_mov_b32_e32 v4, s33
	s_waitcnt_vscnt null, 0x0
	s_barrier
	buffer_gl0_inv
	s_mov_b32 s4, exec_lo
	s_clause 0x3
	buffer_load_dword v1, v4, s[0:3], 0 offen
	buffer_load_dword v2, v4, s[0:3], 0 offen offset:4
	buffer_load_dword v3, v4, s[0:3], 0 offen offset:8
	;; [unrolled: 1-line block ×3, first 2 shown]
	s_waitcnt vmcnt(0)
	ds_write_b128 v5, v[1:4]
	s_waitcnt lgkmcnt(0)
	s_barrier
	buffer_gl0_inv
	v_cmpx_gt_u32_e32 16, v0
	s_cbranch_execz .LBB36_79
; %bb.76:
	v_mov_b32_e32 v1, 0
	v_mov_b32_e32 v3, 0
	v_add_nc_u32_e32 v7, -1, v0
	v_add_nc_u32_e32 v8, 0x250, v119
	v_mov_b32_e32 v2, 0
	v_mov_b32_e32 v4, 0
	v_add_nc_u32_e32 v9, 16, v119
	s_mov_b32 s5, 0
	.p2align	6
.LBB36_77:                              ; =>This Inner Loop Header: Depth=1
	s_clause 0x3
	buffer_load_dword v14, v9, s[0:3], 0 offen offset:8
	buffer_load_dword v15, v9, s[0:3], 0 offen offset:12
	buffer_load_dword v16, v9, s[0:3], 0 offen
	buffer_load_dword v17, v9, s[0:3], 0 offen offset:4
	ds_read_b128 v[10:13], v8
	v_add_nc_u32_e32 v7, 1, v7
	v_add_nc_u32_e32 v8, 16, v8
	;; [unrolled: 1-line block ×3, first 2 shown]
	v_cmp_lt_u32_e32 vcc_lo, 14, v7
	s_or_b32 s5, vcc_lo, s5
	s_waitcnt vmcnt(2) lgkmcnt(0)
	v_mul_f64 v[18:19], v[12:13], v[14:15]
	v_mul_f64 v[14:15], v[10:11], v[14:15]
	s_waitcnt vmcnt(0)
	v_fma_f64 v[10:11], v[10:11], v[16:17], -v[18:19]
	v_fma_f64 v[12:13], v[12:13], v[16:17], v[14:15]
	v_add_f64 v[3:4], v[3:4], v[10:11]
	v_add_f64 v[1:2], v[1:2], v[12:13]
	s_andn2_b32 exec_lo, exec_lo, s5
	s_cbranch_execnz .LBB36_77
; %bb.78:
	s_or_b32 exec_lo, exec_lo, s5
	v_mov_b32_e32 v7, 0
	ds_read_b128 v[7:10], v7 offset:256
	s_waitcnt lgkmcnt(0)
	v_mul_f64 v[11:12], v[1:2], v[9:10]
	v_mul_f64 v[9:10], v[3:4], v[9:10]
	v_fma_f64 v[3:4], v[3:4], v[7:8], -v[11:12]
	v_fma_f64 v[1:2], v[1:2], v[7:8], v[9:10]
	buffer_store_dword v4, off, s[0:3], 0 offset:276
	buffer_store_dword v3, off, s[0:3], 0 offset:272
	;; [unrolled: 1-line block ×4, first 2 shown]
.LBB36_79:
	s_or_b32 exec_lo, exec_lo, s4
	v_mov_b32_e32 v4, s31
	s_waitcnt_vscnt null, 0x0
	s_barrier
	buffer_gl0_inv
	s_mov_b32 s4, exec_lo
	s_clause 0x3
	buffer_load_dword v1, v4, s[0:3], 0 offen
	buffer_load_dword v2, v4, s[0:3], 0 offen offset:4
	buffer_load_dword v3, v4, s[0:3], 0 offen offset:8
	;; [unrolled: 1-line block ×3, first 2 shown]
	s_waitcnt vmcnt(0)
	ds_write_b128 v5, v[1:4]
	s_waitcnt lgkmcnt(0)
	s_barrier
	buffer_gl0_inv
	v_cmpx_gt_u32_e32 17, v0
	s_cbranch_execz .LBB36_83
; %bb.80:
	v_mov_b32_e32 v1, 0
	v_mov_b32_e32 v3, 0
	v_add_nc_u32_e32 v7, -1, v0
	v_add_nc_u32_e32 v8, 0x250, v119
	v_mov_b32_e32 v2, 0
	v_mov_b32_e32 v4, 0
	v_add_nc_u32_e32 v9, 16, v119
	s_mov_b32 s5, 0
	.p2align	6
.LBB36_81:                              ; =>This Inner Loop Header: Depth=1
	s_clause 0x3
	buffer_load_dword v14, v9, s[0:3], 0 offen offset:8
	buffer_load_dword v15, v9, s[0:3], 0 offen offset:12
	buffer_load_dword v16, v9, s[0:3], 0 offen
	buffer_load_dword v17, v9, s[0:3], 0 offen offset:4
	ds_read_b128 v[10:13], v8
	v_add_nc_u32_e32 v7, 1, v7
	v_add_nc_u32_e32 v8, 16, v8
	;; [unrolled: 1-line block ×3, first 2 shown]
	v_cmp_lt_u32_e32 vcc_lo, 15, v7
	s_or_b32 s5, vcc_lo, s5
	s_waitcnt vmcnt(2) lgkmcnt(0)
	v_mul_f64 v[18:19], v[12:13], v[14:15]
	v_mul_f64 v[14:15], v[10:11], v[14:15]
	s_waitcnt vmcnt(0)
	v_fma_f64 v[10:11], v[10:11], v[16:17], -v[18:19]
	v_fma_f64 v[12:13], v[12:13], v[16:17], v[14:15]
	v_add_f64 v[3:4], v[3:4], v[10:11]
	v_add_f64 v[1:2], v[1:2], v[12:13]
	s_andn2_b32 exec_lo, exec_lo, s5
	s_cbranch_execnz .LBB36_81
; %bb.82:
	s_or_b32 exec_lo, exec_lo, s5
	v_mov_b32_e32 v7, 0
	ds_read_b128 v[7:10], v7 offset:272
	s_waitcnt lgkmcnt(0)
	v_mul_f64 v[11:12], v[1:2], v[9:10]
	v_mul_f64 v[9:10], v[3:4], v[9:10]
	v_fma_f64 v[3:4], v[3:4], v[7:8], -v[11:12]
	v_fma_f64 v[1:2], v[1:2], v[7:8], v[9:10]
	buffer_store_dword v4, off, s[0:3], 0 offset:292
	buffer_store_dword v3, off, s[0:3], 0 offset:288
	;; [unrolled: 1-line block ×4, first 2 shown]
.LBB36_83:
	s_or_b32 exec_lo, exec_lo, s4
	v_mov_b32_e32 v4, s30
	s_waitcnt_vscnt null, 0x0
	s_barrier
	buffer_gl0_inv
	s_mov_b32 s4, exec_lo
	s_clause 0x3
	buffer_load_dword v1, v4, s[0:3], 0 offen
	buffer_load_dword v2, v4, s[0:3], 0 offen offset:4
	buffer_load_dword v3, v4, s[0:3], 0 offen offset:8
	;; [unrolled: 1-line block ×3, first 2 shown]
	s_waitcnt vmcnt(0)
	ds_write_b128 v5, v[1:4]
	s_waitcnt lgkmcnt(0)
	s_barrier
	buffer_gl0_inv
	v_cmpx_gt_u32_e32 18, v0
	s_cbranch_execz .LBB36_87
; %bb.84:
	v_mov_b32_e32 v1, 0
	v_mov_b32_e32 v3, 0
	v_add_nc_u32_e32 v7, -1, v0
	v_add_nc_u32_e32 v8, 0x250, v119
	v_mov_b32_e32 v2, 0
	v_mov_b32_e32 v4, 0
	v_add_nc_u32_e32 v9, 16, v119
	s_mov_b32 s5, 0
	.p2align	6
.LBB36_85:                              ; =>This Inner Loop Header: Depth=1
	s_clause 0x3
	buffer_load_dword v14, v9, s[0:3], 0 offen offset:8
	buffer_load_dword v15, v9, s[0:3], 0 offen offset:12
	buffer_load_dword v16, v9, s[0:3], 0 offen
	buffer_load_dword v17, v9, s[0:3], 0 offen offset:4
	ds_read_b128 v[10:13], v8
	v_add_nc_u32_e32 v7, 1, v7
	v_add_nc_u32_e32 v8, 16, v8
	;; [unrolled: 1-line block ×3, first 2 shown]
	v_cmp_lt_u32_e32 vcc_lo, 16, v7
	s_or_b32 s5, vcc_lo, s5
	s_waitcnt vmcnt(2) lgkmcnt(0)
	v_mul_f64 v[18:19], v[12:13], v[14:15]
	v_mul_f64 v[14:15], v[10:11], v[14:15]
	s_waitcnt vmcnt(0)
	v_fma_f64 v[10:11], v[10:11], v[16:17], -v[18:19]
	v_fma_f64 v[12:13], v[12:13], v[16:17], v[14:15]
	v_add_f64 v[3:4], v[3:4], v[10:11]
	v_add_f64 v[1:2], v[1:2], v[12:13]
	s_andn2_b32 exec_lo, exec_lo, s5
	s_cbranch_execnz .LBB36_85
; %bb.86:
	s_or_b32 exec_lo, exec_lo, s5
	v_mov_b32_e32 v7, 0
	ds_read_b128 v[7:10], v7 offset:288
	s_waitcnt lgkmcnt(0)
	v_mul_f64 v[11:12], v[1:2], v[9:10]
	v_mul_f64 v[9:10], v[3:4], v[9:10]
	v_fma_f64 v[3:4], v[3:4], v[7:8], -v[11:12]
	v_fma_f64 v[1:2], v[1:2], v[7:8], v[9:10]
	buffer_store_dword v4, off, s[0:3], 0 offset:308
	buffer_store_dword v3, off, s[0:3], 0 offset:304
	;; [unrolled: 1-line block ×4, first 2 shown]
.LBB36_87:
	s_or_b32 exec_lo, exec_lo, s4
	v_mov_b32_e32 v4, s29
	s_waitcnt_vscnt null, 0x0
	s_barrier
	buffer_gl0_inv
	s_mov_b32 s4, exec_lo
	s_clause 0x3
	buffer_load_dword v1, v4, s[0:3], 0 offen
	buffer_load_dword v2, v4, s[0:3], 0 offen offset:4
	buffer_load_dword v3, v4, s[0:3], 0 offen offset:8
	buffer_load_dword v4, v4, s[0:3], 0 offen offset:12
	s_waitcnt vmcnt(0)
	ds_write_b128 v5, v[1:4]
	s_waitcnt lgkmcnt(0)
	s_barrier
	buffer_gl0_inv
	v_cmpx_gt_u32_e32 19, v0
	s_cbranch_execz .LBB36_91
; %bb.88:
	v_mov_b32_e32 v1, 0
	v_mov_b32_e32 v3, 0
	v_add_nc_u32_e32 v7, -1, v0
	v_add_nc_u32_e32 v8, 0x250, v119
	v_mov_b32_e32 v2, 0
	v_mov_b32_e32 v4, 0
	v_add_nc_u32_e32 v9, 16, v119
	s_mov_b32 s5, 0
	.p2align	6
.LBB36_89:                              ; =>This Inner Loop Header: Depth=1
	s_clause 0x3
	buffer_load_dword v14, v9, s[0:3], 0 offen offset:8
	buffer_load_dword v15, v9, s[0:3], 0 offen offset:12
	buffer_load_dword v16, v9, s[0:3], 0 offen
	buffer_load_dword v17, v9, s[0:3], 0 offen offset:4
	ds_read_b128 v[10:13], v8
	v_add_nc_u32_e32 v7, 1, v7
	v_add_nc_u32_e32 v8, 16, v8
	;; [unrolled: 1-line block ×3, first 2 shown]
	v_cmp_lt_u32_e32 vcc_lo, 17, v7
	s_or_b32 s5, vcc_lo, s5
	s_waitcnt vmcnt(2) lgkmcnt(0)
	v_mul_f64 v[18:19], v[12:13], v[14:15]
	v_mul_f64 v[14:15], v[10:11], v[14:15]
	s_waitcnt vmcnt(0)
	v_fma_f64 v[10:11], v[10:11], v[16:17], -v[18:19]
	v_fma_f64 v[12:13], v[12:13], v[16:17], v[14:15]
	v_add_f64 v[3:4], v[3:4], v[10:11]
	v_add_f64 v[1:2], v[1:2], v[12:13]
	s_andn2_b32 exec_lo, exec_lo, s5
	s_cbranch_execnz .LBB36_89
; %bb.90:
	s_or_b32 exec_lo, exec_lo, s5
	v_mov_b32_e32 v7, 0
	ds_read_b128 v[7:10], v7 offset:304
	s_waitcnt lgkmcnt(0)
	v_mul_f64 v[11:12], v[1:2], v[9:10]
	v_mul_f64 v[9:10], v[3:4], v[9:10]
	v_fma_f64 v[3:4], v[3:4], v[7:8], -v[11:12]
	v_fma_f64 v[1:2], v[1:2], v[7:8], v[9:10]
	buffer_store_dword v4, off, s[0:3], 0 offset:324
	buffer_store_dword v3, off, s[0:3], 0 offset:320
	buffer_store_dword v2, off, s[0:3], 0 offset:332
	buffer_store_dword v1, off, s[0:3], 0 offset:328
.LBB36_91:
	s_or_b32 exec_lo, exec_lo, s4
	v_mov_b32_e32 v4, s28
	s_waitcnt_vscnt null, 0x0
	s_barrier
	buffer_gl0_inv
	s_mov_b32 s4, exec_lo
	s_clause 0x3
	buffer_load_dword v1, v4, s[0:3], 0 offen
	buffer_load_dword v2, v4, s[0:3], 0 offen offset:4
	buffer_load_dword v3, v4, s[0:3], 0 offen offset:8
	;; [unrolled: 1-line block ×3, first 2 shown]
	s_waitcnt vmcnt(0)
	ds_write_b128 v5, v[1:4]
	s_waitcnt lgkmcnt(0)
	s_barrier
	buffer_gl0_inv
	v_cmpx_gt_u32_e32 20, v0
	s_cbranch_execz .LBB36_95
; %bb.92:
	v_mov_b32_e32 v1, 0
	v_mov_b32_e32 v3, 0
	v_add_nc_u32_e32 v7, -1, v0
	v_add_nc_u32_e32 v8, 0x250, v119
	v_mov_b32_e32 v2, 0
	v_mov_b32_e32 v4, 0
	v_add_nc_u32_e32 v9, 16, v119
	s_mov_b32 s5, 0
	.p2align	6
.LBB36_93:                              ; =>This Inner Loop Header: Depth=1
	s_clause 0x3
	buffer_load_dword v14, v9, s[0:3], 0 offen offset:8
	buffer_load_dword v15, v9, s[0:3], 0 offen offset:12
	buffer_load_dword v16, v9, s[0:3], 0 offen
	buffer_load_dword v17, v9, s[0:3], 0 offen offset:4
	ds_read_b128 v[10:13], v8
	v_add_nc_u32_e32 v7, 1, v7
	v_add_nc_u32_e32 v8, 16, v8
	;; [unrolled: 1-line block ×3, first 2 shown]
	v_cmp_lt_u32_e32 vcc_lo, 18, v7
	s_or_b32 s5, vcc_lo, s5
	s_waitcnt vmcnt(2) lgkmcnt(0)
	v_mul_f64 v[18:19], v[12:13], v[14:15]
	v_mul_f64 v[14:15], v[10:11], v[14:15]
	s_waitcnt vmcnt(0)
	v_fma_f64 v[10:11], v[10:11], v[16:17], -v[18:19]
	v_fma_f64 v[12:13], v[12:13], v[16:17], v[14:15]
	v_add_f64 v[3:4], v[3:4], v[10:11]
	v_add_f64 v[1:2], v[1:2], v[12:13]
	s_andn2_b32 exec_lo, exec_lo, s5
	s_cbranch_execnz .LBB36_93
; %bb.94:
	s_or_b32 exec_lo, exec_lo, s5
	v_mov_b32_e32 v7, 0
	ds_read_b128 v[7:10], v7 offset:320
	s_waitcnt lgkmcnt(0)
	v_mul_f64 v[11:12], v[1:2], v[9:10]
	v_mul_f64 v[9:10], v[3:4], v[9:10]
	v_fma_f64 v[3:4], v[3:4], v[7:8], -v[11:12]
	v_fma_f64 v[1:2], v[1:2], v[7:8], v[9:10]
	buffer_store_dword v4, off, s[0:3], 0 offset:340
	buffer_store_dword v3, off, s[0:3], 0 offset:336
	;; [unrolled: 1-line block ×4, first 2 shown]
.LBB36_95:
	s_or_b32 exec_lo, exec_lo, s4
	v_mov_b32_e32 v4, s27
	s_waitcnt_vscnt null, 0x0
	s_barrier
	buffer_gl0_inv
	s_mov_b32 s4, exec_lo
	s_clause 0x3
	buffer_load_dword v1, v4, s[0:3], 0 offen
	buffer_load_dword v2, v4, s[0:3], 0 offen offset:4
	buffer_load_dword v3, v4, s[0:3], 0 offen offset:8
	;; [unrolled: 1-line block ×3, first 2 shown]
	s_waitcnt vmcnt(0)
	ds_write_b128 v5, v[1:4]
	s_waitcnt lgkmcnt(0)
	s_barrier
	buffer_gl0_inv
	v_cmpx_gt_u32_e32 21, v0
	s_cbranch_execz .LBB36_99
; %bb.96:
	v_mov_b32_e32 v1, 0
	v_mov_b32_e32 v3, 0
	v_add_nc_u32_e32 v7, -1, v0
	v_add_nc_u32_e32 v8, 0x250, v119
	v_mov_b32_e32 v2, 0
	v_mov_b32_e32 v4, 0
	v_add_nc_u32_e32 v9, 16, v119
	s_mov_b32 s5, 0
	.p2align	6
.LBB36_97:                              ; =>This Inner Loop Header: Depth=1
	s_clause 0x3
	buffer_load_dword v14, v9, s[0:3], 0 offen offset:8
	buffer_load_dword v15, v9, s[0:3], 0 offen offset:12
	buffer_load_dword v16, v9, s[0:3], 0 offen
	buffer_load_dword v17, v9, s[0:3], 0 offen offset:4
	ds_read_b128 v[10:13], v8
	v_add_nc_u32_e32 v7, 1, v7
	v_add_nc_u32_e32 v8, 16, v8
	;; [unrolled: 1-line block ×3, first 2 shown]
	v_cmp_lt_u32_e32 vcc_lo, 19, v7
	s_or_b32 s5, vcc_lo, s5
	s_waitcnt vmcnt(2) lgkmcnt(0)
	v_mul_f64 v[18:19], v[12:13], v[14:15]
	v_mul_f64 v[14:15], v[10:11], v[14:15]
	s_waitcnt vmcnt(0)
	v_fma_f64 v[10:11], v[10:11], v[16:17], -v[18:19]
	v_fma_f64 v[12:13], v[12:13], v[16:17], v[14:15]
	v_add_f64 v[3:4], v[3:4], v[10:11]
	v_add_f64 v[1:2], v[1:2], v[12:13]
	s_andn2_b32 exec_lo, exec_lo, s5
	s_cbranch_execnz .LBB36_97
; %bb.98:
	s_or_b32 exec_lo, exec_lo, s5
	v_mov_b32_e32 v7, 0
	ds_read_b128 v[7:10], v7 offset:336
	s_waitcnt lgkmcnt(0)
	v_mul_f64 v[11:12], v[1:2], v[9:10]
	v_mul_f64 v[9:10], v[3:4], v[9:10]
	v_fma_f64 v[3:4], v[3:4], v[7:8], -v[11:12]
	v_fma_f64 v[1:2], v[1:2], v[7:8], v[9:10]
	buffer_store_dword v4, off, s[0:3], 0 offset:356
	buffer_store_dword v3, off, s[0:3], 0 offset:352
	;; [unrolled: 1-line block ×4, first 2 shown]
.LBB36_99:
	s_or_b32 exec_lo, exec_lo, s4
	v_mov_b32_e32 v4, s26
	s_waitcnt_vscnt null, 0x0
	s_barrier
	buffer_gl0_inv
	s_mov_b32 s4, exec_lo
	s_clause 0x3
	buffer_load_dword v1, v4, s[0:3], 0 offen
	buffer_load_dword v2, v4, s[0:3], 0 offen offset:4
	buffer_load_dword v3, v4, s[0:3], 0 offen offset:8
	buffer_load_dword v4, v4, s[0:3], 0 offen offset:12
	s_waitcnt vmcnt(0)
	ds_write_b128 v5, v[1:4]
	s_waitcnt lgkmcnt(0)
	s_barrier
	buffer_gl0_inv
	v_cmpx_gt_u32_e32 22, v0
	s_cbranch_execz .LBB36_103
; %bb.100:
	v_mov_b32_e32 v1, 0
	v_mov_b32_e32 v3, 0
	v_add_nc_u32_e32 v7, -1, v0
	v_add_nc_u32_e32 v8, 0x250, v119
	v_mov_b32_e32 v2, 0
	v_mov_b32_e32 v4, 0
	v_add_nc_u32_e32 v9, 16, v119
	s_mov_b32 s5, 0
	.p2align	6
.LBB36_101:                             ; =>This Inner Loop Header: Depth=1
	s_clause 0x3
	buffer_load_dword v14, v9, s[0:3], 0 offen offset:8
	buffer_load_dword v15, v9, s[0:3], 0 offen offset:12
	buffer_load_dword v16, v9, s[0:3], 0 offen
	buffer_load_dword v17, v9, s[0:3], 0 offen offset:4
	ds_read_b128 v[10:13], v8
	v_add_nc_u32_e32 v7, 1, v7
	v_add_nc_u32_e32 v8, 16, v8
	v_add_nc_u32_e32 v9, 16, v9
	v_cmp_lt_u32_e32 vcc_lo, 20, v7
	s_or_b32 s5, vcc_lo, s5
	s_waitcnt vmcnt(2) lgkmcnt(0)
	v_mul_f64 v[18:19], v[12:13], v[14:15]
	v_mul_f64 v[14:15], v[10:11], v[14:15]
	s_waitcnt vmcnt(0)
	v_fma_f64 v[10:11], v[10:11], v[16:17], -v[18:19]
	v_fma_f64 v[12:13], v[12:13], v[16:17], v[14:15]
	v_add_f64 v[3:4], v[3:4], v[10:11]
	v_add_f64 v[1:2], v[1:2], v[12:13]
	s_andn2_b32 exec_lo, exec_lo, s5
	s_cbranch_execnz .LBB36_101
; %bb.102:
	s_or_b32 exec_lo, exec_lo, s5
	v_mov_b32_e32 v7, 0
	ds_read_b128 v[7:10], v7 offset:352
	s_waitcnt lgkmcnt(0)
	v_mul_f64 v[11:12], v[1:2], v[9:10]
	v_mul_f64 v[9:10], v[3:4], v[9:10]
	v_fma_f64 v[3:4], v[3:4], v[7:8], -v[11:12]
	v_fma_f64 v[1:2], v[1:2], v[7:8], v[9:10]
	buffer_store_dword v4, off, s[0:3], 0 offset:372
	buffer_store_dword v3, off, s[0:3], 0 offset:368
	;; [unrolled: 1-line block ×4, first 2 shown]
.LBB36_103:
	s_or_b32 exec_lo, exec_lo, s4
	v_mov_b32_e32 v4, s25
	s_waitcnt_vscnt null, 0x0
	s_barrier
	buffer_gl0_inv
	s_mov_b32 s4, exec_lo
	s_clause 0x3
	buffer_load_dword v1, v4, s[0:3], 0 offen
	buffer_load_dword v2, v4, s[0:3], 0 offen offset:4
	buffer_load_dword v3, v4, s[0:3], 0 offen offset:8
	;; [unrolled: 1-line block ×3, first 2 shown]
	s_waitcnt vmcnt(0)
	ds_write_b128 v5, v[1:4]
	s_waitcnt lgkmcnt(0)
	s_barrier
	buffer_gl0_inv
	v_cmpx_gt_u32_e32 23, v0
	s_cbranch_execz .LBB36_107
; %bb.104:
	v_mov_b32_e32 v1, 0
	v_mov_b32_e32 v3, 0
	v_add_nc_u32_e32 v7, -1, v0
	v_add_nc_u32_e32 v8, 0x250, v119
	v_mov_b32_e32 v2, 0
	v_mov_b32_e32 v4, 0
	v_add_nc_u32_e32 v9, 16, v119
	s_mov_b32 s5, 0
	.p2align	6
.LBB36_105:                             ; =>This Inner Loop Header: Depth=1
	s_clause 0x3
	buffer_load_dword v14, v9, s[0:3], 0 offen offset:8
	buffer_load_dword v15, v9, s[0:3], 0 offen offset:12
	buffer_load_dword v16, v9, s[0:3], 0 offen
	buffer_load_dword v17, v9, s[0:3], 0 offen offset:4
	ds_read_b128 v[10:13], v8
	v_add_nc_u32_e32 v7, 1, v7
	v_add_nc_u32_e32 v8, 16, v8
	v_add_nc_u32_e32 v9, 16, v9
	v_cmp_lt_u32_e32 vcc_lo, 21, v7
	s_or_b32 s5, vcc_lo, s5
	s_waitcnt vmcnt(2) lgkmcnt(0)
	v_mul_f64 v[18:19], v[12:13], v[14:15]
	v_mul_f64 v[14:15], v[10:11], v[14:15]
	s_waitcnt vmcnt(0)
	v_fma_f64 v[10:11], v[10:11], v[16:17], -v[18:19]
	v_fma_f64 v[12:13], v[12:13], v[16:17], v[14:15]
	v_add_f64 v[3:4], v[3:4], v[10:11]
	v_add_f64 v[1:2], v[1:2], v[12:13]
	s_andn2_b32 exec_lo, exec_lo, s5
	s_cbranch_execnz .LBB36_105
; %bb.106:
	s_or_b32 exec_lo, exec_lo, s5
	v_mov_b32_e32 v7, 0
	ds_read_b128 v[7:10], v7 offset:368
	s_waitcnt lgkmcnt(0)
	v_mul_f64 v[11:12], v[1:2], v[9:10]
	v_mul_f64 v[9:10], v[3:4], v[9:10]
	v_fma_f64 v[3:4], v[3:4], v[7:8], -v[11:12]
	v_fma_f64 v[1:2], v[1:2], v[7:8], v[9:10]
	buffer_store_dword v4, off, s[0:3], 0 offset:388
	buffer_store_dword v3, off, s[0:3], 0 offset:384
	;; [unrolled: 1-line block ×4, first 2 shown]
.LBB36_107:
	s_or_b32 exec_lo, exec_lo, s4
	v_mov_b32_e32 v4, s24
	s_waitcnt_vscnt null, 0x0
	s_barrier
	buffer_gl0_inv
	s_mov_b32 s4, exec_lo
	s_clause 0x3
	buffer_load_dword v1, v4, s[0:3], 0 offen
	buffer_load_dword v2, v4, s[0:3], 0 offen offset:4
	buffer_load_dword v3, v4, s[0:3], 0 offen offset:8
	;; [unrolled: 1-line block ×3, first 2 shown]
	s_waitcnt vmcnt(0)
	ds_write_b128 v5, v[1:4]
	s_waitcnt lgkmcnt(0)
	s_barrier
	buffer_gl0_inv
	v_cmpx_gt_u32_e32 24, v0
	s_cbranch_execz .LBB36_111
; %bb.108:
	v_mov_b32_e32 v1, 0
	v_mov_b32_e32 v3, 0
	v_add_nc_u32_e32 v7, -1, v0
	v_add_nc_u32_e32 v8, 0x250, v119
	v_mov_b32_e32 v2, 0
	v_mov_b32_e32 v4, 0
	v_add_nc_u32_e32 v9, 16, v119
	s_mov_b32 s5, 0
	.p2align	6
.LBB36_109:                             ; =>This Inner Loop Header: Depth=1
	s_clause 0x3
	buffer_load_dword v14, v9, s[0:3], 0 offen offset:8
	buffer_load_dword v15, v9, s[0:3], 0 offen offset:12
	buffer_load_dword v16, v9, s[0:3], 0 offen
	buffer_load_dword v17, v9, s[0:3], 0 offen offset:4
	ds_read_b128 v[10:13], v8
	v_add_nc_u32_e32 v7, 1, v7
	v_add_nc_u32_e32 v8, 16, v8
	;; [unrolled: 1-line block ×3, first 2 shown]
	v_cmp_lt_u32_e32 vcc_lo, 22, v7
	s_or_b32 s5, vcc_lo, s5
	s_waitcnt vmcnt(2) lgkmcnt(0)
	v_mul_f64 v[18:19], v[12:13], v[14:15]
	v_mul_f64 v[14:15], v[10:11], v[14:15]
	s_waitcnt vmcnt(0)
	v_fma_f64 v[10:11], v[10:11], v[16:17], -v[18:19]
	v_fma_f64 v[12:13], v[12:13], v[16:17], v[14:15]
	v_add_f64 v[3:4], v[3:4], v[10:11]
	v_add_f64 v[1:2], v[1:2], v[12:13]
	s_andn2_b32 exec_lo, exec_lo, s5
	s_cbranch_execnz .LBB36_109
; %bb.110:
	s_or_b32 exec_lo, exec_lo, s5
	v_mov_b32_e32 v7, 0
	ds_read_b128 v[7:10], v7 offset:384
	s_waitcnt lgkmcnt(0)
	v_mul_f64 v[11:12], v[1:2], v[9:10]
	v_mul_f64 v[9:10], v[3:4], v[9:10]
	v_fma_f64 v[3:4], v[3:4], v[7:8], -v[11:12]
	v_fma_f64 v[1:2], v[1:2], v[7:8], v[9:10]
	buffer_store_dword v4, off, s[0:3], 0 offset:404
	buffer_store_dword v3, off, s[0:3], 0 offset:400
	;; [unrolled: 1-line block ×4, first 2 shown]
.LBB36_111:
	s_or_b32 exec_lo, exec_lo, s4
	v_mov_b32_e32 v4, s23
	s_waitcnt_vscnt null, 0x0
	s_barrier
	buffer_gl0_inv
	s_mov_b32 s4, exec_lo
	s_clause 0x3
	buffer_load_dword v1, v4, s[0:3], 0 offen
	buffer_load_dword v2, v4, s[0:3], 0 offen offset:4
	buffer_load_dword v3, v4, s[0:3], 0 offen offset:8
	;; [unrolled: 1-line block ×3, first 2 shown]
	s_waitcnt vmcnt(0)
	ds_write_b128 v5, v[1:4]
	s_waitcnt lgkmcnt(0)
	s_barrier
	buffer_gl0_inv
	v_cmpx_gt_u32_e32 25, v0
	s_cbranch_execz .LBB36_115
; %bb.112:
	v_mov_b32_e32 v1, 0
	v_mov_b32_e32 v3, 0
	v_add_nc_u32_e32 v7, -1, v0
	v_add_nc_u32_e32 v8, 0x250, v119
	v_mov_b32_e32 v2, 0
	v_mov_b32_e32 v4, 0
	v_add_nc_u32_e32 v9, 16, v119
	s_mov_b32 s5, 0
	.p2align	6
.LBB36_113:                             ; =>This Inner Loop Header: Depth=1
	s_clause 0x3
	buffer_load_dword v14, v9, s[0:3], 0 offen offset:8
	buffer_load_dword v15, v9, s[0:3], 0 offen offset:12
	buffer_load_dword v16, v9, s[0:3], 0 offen
	buffer_load_dword v17, v9, s[0:3], 0 offen offset:4
	ds_read_b128 v[10:13], v8
	v_add_nc_u32_e32 v7, 1, v7
	v_add_nc_u32_e32 v8, 16, v8
	v_add_nc_u32_e32 v9, 16, v9
	v_cmp_lt_u32_e32 vcc_lo, 23, v7
	s_or_b32 s5, vcc_lo, s5
	s_waitcnt vmcnt(2) lgkmcnt(0)
	v_mul_f64 v[18:19], v[12:13], v[14:15]
	v_mul_f64 v[14:15], v[10:11], v[14:15]
	s_waitcnt vmcnt(0)
	v_fma_f64 v[10:11], v[10:11], v[16:17], -v[18:19]
	v_fma_f64 v[12:13], v[12:13], v[16:17], v[14:15]
	v_add_f64 v[3:4], v[3:4], v[10:11]
	v_add_f64 v[1:2], v[1:2], v[12:13]
	s_andn2_b32 exec_lo, exec_lo, s5
	s_cbranch_execnz .LBB36_113
; %bb.114:
	s_or_b32 exec_lo, exec_lo, s5
	v_mov_b32_e32 v7, 0
	ds_read_b128 v[7:10], v7 offset:400
	s_waitcnt lgkmcnt(0)
	v_mul_f64 v[11:12], v[1:2], v[9:10]
	v_mul_f64 v[9:10], v[3:4], v[9:10]
	v_fma_f64 v[3:4], v[3:4], v[7:8], -v[11:12]
	v_fma_f64 v[1:2], v[1:2], v[7:8], v[9:10]
	buffer_store_dword v4, off, s[0:3], 0 offset:420
	buffer_store_dword v3, off, s[0:3], 0 offset:416
	buffer_store_dword v2, off, s[0:3], 0 offset:428
	buffer_store_dword v1, off, s[0:3], 0 offset:424
.LBB36_115:
	s_or_b32 exec_lo, exec_lo, s4
	v_mov_b32_e32 v4, s22
	s_waitcnt_vscnt null, 0x0
	s_barrier
	buffer_gl0_inv
	s_mov_b32 s4, exec_lo
	s_clause 0x3
	buffer_load_dword v1, v4, s[0:3], 0 offen
	buffer_load_dword v2, v4, s[0:3], 0 offen offset:4
	buffer_load_dword v3, v4, s[0:3], 0 offen offset:8
	;; [unrolled: 1-line block ×3, first 2 shown]
	s_waitcnt vmcnt(0)
	ds_write_b128 v5, v[1:4]
	s_waitcnt lgkmcnt(0)
	s_barrier
	buffer_gl0_inv
	v_cmpx_gt_u32_e32 26, v0
	s_cbranch_execz .LBB36_119
; %bb.116:
	v_mov_b32_e32 v1, 0
	v_mov_b32_e32 v3, 0
	v_add_nc_u32_e32 v7, -1, v0
	v_add_nc_u32_e32 v8, 0x250, v119
	v_mov_b32_e32 v2, 0
	v_mov_b32_e32 v4, 0
	v_add_nc_u32_e32 v9, 16, v119
	s_mov_b32 s5, 0
	.p2align	6
.LBB36_117:                             ; =>This Inner Loop Header: Depth=1
	s_clause 0x3
	buffer_load_dword v14, v9, s[0:3], 0 offen offset:8
	buffer_load_dword v15, v9, s[0:3], 0 offen offset:12
	buffer_load_dword v16, v9, s[0:3], 0 offen
	buffer_load_dword v17, v9, s[0:3], 0 offen offset:4
	ds_read_b128 v[10:13], v8
	v_add_nc_u32_e32 v7, 1, v7
	v_add_nc_u32_e32 v8, 16, v8
	;; [unrolled: 1-line block ×3, first 2 shown]
	v_cmp_lt_u32_e32 vcc_lo, 24, v7
	s_or_b32 s5, vcc_lo, s5
	s_waitcnt vmcnt(2) lgkmcnt(0)
	v_mul_f64 v[18:19], v[12:13], v[14:15]
	v_mul_f64 v[14:15], v[10:11], v[14:15]
	s_waitcnt vmcnt(0)
	v_fma_f64 v[10:11], v[10:11], v[16:17], -v[18:19]
	v_fma_f64 v[12:13], v[12:13], v[16:17], v[14:15]
	v_add_f64 v[3:4], v[3:4], v[10:11]
	v_add_f64 v[1:2], v[1:2], v[12:13]
	s_andn2_b32 exec_lo, exec_lo, s5
	s_cbranch_execnz .LBB36_117
; %bb.118:
	s_or_b32 exec_lo, exec_lo, s5
	v_mov_b32_e32 v7, 0
	ds_read_b128 v[7:10], v7 offset:416
	s_waitcnt lgkmcnt(0)
	v_mul_f64 v[11:12], v[1:2], v[9:10]
	v_mul_f64 v[9:10], v[3:4], v[9:10]
	v_fma_f64 v[3:4], v[3:4], v[7:8], -v[11:12]
	v_fma_f64 v[1:2], v[1:2], v[7:8], v[9:10]
	buffer_store_dword v4, off, s[0:3], 0 offset:436
	buffer_store_dword v3, off, s[0:3], 0 offset:432
	;; [unrolled: 1-line block ×4, first 2 shown]
.LBB36_119:
	s_or_b32 exec_lo, exec_lo, s4
	v_mov_b32_e32 v4, s19
	s_waitcnt_vscnt null, 0x0
	s_barrier
	buffer_gl0_inv
	s_mov_b32 s4, exec_lo
	s_clause 0x3
	buffer_load_dword v1, v4, s[0:3], 0 offen
	buffer_load_dword v2, v4, s[0:3], 0 offen offset:4
	buffer_load_dword v3, v4, s[0:3], 0 offen offset:8
	buffer_load_dword v4, v4, s[0:3], 0 offen offset:12
	s_waitcnt vmcnt(0)
	ds_write_b128 v5, v[1:4]
	s_waitcnt lgkmcnt(0)
	s_barrier
	buffer_gl0_inv
	v_cmpx_gt_u32_e32 27, v0
	s_cbranch_execz .LBB36_123
; %bb.120:
	v_mov_b32_e32 v1, 0
	v_mov_b32_e32 v3, 0
	v_add_nc_u32_e32 v7, -1, v0
	v_add_nc_u32_e32 v8, 0x250, v119
	v_mov_b32_e32 v2, 0
	v_mov_b32_e32 v4, 0
	v_add_nc_u32_e32 v9, 16, v119
	s_mov_b32 s5, 0
	.p2align	6
.LBB36_121:                             ; =>This Inner Loop Header: Depth=1
	s_clause 0x3
	buffer_load_dword v14, v9, s[0:3], 0 offen offset:8
	buffer_load_dword v15, v9, s[0:3], 0 offen offset:12
	buffer_load_dword v16, v9, s[0:3], 0 offen
	buffer_load_dword v17, v9, s[0:3], 0 offen offset:4
	ds_read_b128 v[10:13], v8
	v_add_nc_u32_e32 v7, 1, v7
	v_add_nc_u32_e32 v8, 16, v8
	;; [unrolled: 1-line block ×3, first 2 shown]
	v_cmp_lt_u32_e32 vcc_lo, 25, v7
	s_or_b32 s5, vcc_lo, s5
	s_waitcnt vmcnt(2) lgkmcnt(0)
	v_mul_f64 v[18:19], v[12:13], v[14:15]
	v_mul_f64 v[14:15], v[10:11], v[14:15]
	s_waitcnt vmcnt(0)
	v_fma_f64 v[10:11], v[10:11], v[16:17], -v[18:19]
	v_fma_f64 v[12:13], v[12:13], v[16:17], v[14:15]
	v_add_f64 v[3:4], v[3:4], v[10:11]
	v_add_f64 v[1:2], v[1:2], v[12:13]
	s_andn2_b32 exec_lo, exec_lo, s5
	s_cbranch_execnz .LBB36_121
; %bb.122:
	s_or_b32 exec_lo, exec_lo, s5
	v_mov_b32_e32 v7, 0
	ds_read_b128 v[7:10], v7 offset:432
	s_waitcnt lgkmcnt(0)
	v_mul_f64 v[11:12], v[1:2], v[9:10]
	v_mul_f64 v[9:10], v[3:4], v[9:10]
	v_fma_f64 v[3:4], v[3:4], v[7:8], -v[11:12]
	v_fma_f64 v[1:2], v[1:2], v[7:8], v[9:10]
	buffer_store_dword v4, off, s[0:3], 0 offset:452
	buffer_store_dword v3, off, s[0:3], 0 offset:448
	;; [unrolled: 1-line block ×4, first 2 shown]
.LBB36_123:
	s_or_b32 exec_lo, exec_lo, s4
	v_mov_b32_e32 v4, s18
	s_waitcnt_vscnt null, 0x0
	s_barrier
	buffer_gl0_inv
	s_mov_b32 s4, exec_lo
	s_clause 0x3
	buffer_load_dword v1, v4, s[0:3], 0 offen
	buffer_load_dword v2, v4, s[0:3], 0 offen offset:4
	buffer_load_dword v3, v4, s[0:3], 0 offen offset:8
	;; [unrolled: 1-line block ×3, first 2 shown]
	s_waitcnt vmcnt(0)
	ds_write_b128 v5, v[1:4]
	s_waitcnt lgkmcnt(0)
	s_barrier
	buffer_gl0_inv
	v_cmpx_gt_u32_e32 28, v0
	s_cbranch_execz .LBB36_127
; %bb.124:
	v_mov_b32_e32 v1, 0
	v_mov_b32_e32 v3, 0
	v_add_nc_u32_e32 v7, -1, v0
	v_add_nc_u32_e32 v8, 0x250, v119
	v_mov_b32_e32 v2, 0
	v_mov_b32_e32 v4, 0
	v_add_nc_u32_e32 v9, 16, v119
	s_mov_b32 s5, 0
	.p2align	6
.LBB36_125:                             ; =>This Inner Loop Header: Depth=1
	s_clause 0x3
	buffer_load_dword v14, v9, s[0:3], 0 offen offset:8
	buffer_load_dword v15, v9, s[0:3], 0 offen offset:12
	buffer_load_dword v16, v9, s[0:3], 0 offen
	buffer_load_dword v17, v9, s[0:3], 0 offen offset:4
	ds_read_b128 v[10:13], v8
	v_add_nc_u32_e32 v7, 1, v7
	v_add_nc_u32_e32 v8, 16, v8
	v_add_nc_u32_e32 v9, 16, v9
	v_cmp_lt_u32_e32 vcc_lo, 26, v7
	s_or_b32 s5, vcc_lo, s5
	s_waitcnt vmcnt(2) lgkmcnt(0)
	v_mul_f64 v[18:19], v[12:13], v[14:15]
	v_mul_f64 v[14:15], v[10:11], v[14:15]
	s_waitcnt vmcnt(0)
	v_fma_f64 v[10:11], v[10:11], v[16:17], -v[18:19]
	v_fma_f64 v[12:13], v[12:13], v[16:17], v[14:15]
	v_add_f64 v[3:4], v[3:4], v[10:11]
	v_add_f64 v[1:2], v[1:2], v[12:13]
	s_andn2_b32 exec_lo, exec_lo, s5
	s_cbranch_execnz .LBB36_125
; %bb.126:
	s_or_b32 exec_lo, exec_lo, s5
	v_mov_b32_e32 v7, 0
	ds_read_b128 v[7:10], v7 offset:448
	s_waitcnt lgkmcnt(0)
	v_mul_f64 v[11:12], v[1:2], v[9:10]
	v_mul_f64 v[9:10], v[3:4], v[9:10]
	v_fma_f64 v[3:4], v[3:4], v[7:8], -v[11:12]
	v_fma_f64 v[1:2], v[1:2], v[7:8], v[9:10]
	buffer_store_dword v4, off, s[0:3], 0 offset:468
	buffer_store_dword v3, off, s[0:3], 0 offset:464
	;; [unrolled: 1-line block ×4, first 2 shown]
.LBB36_127:
	s_or_b32 exec_lo, exec_lo, s4
	v_mov_b32_e32 v4, s17
	s_waitcnt_vscnt null, 0x0
	s_barrier
	buffer_gl0_inv
	s_mov_b32 s4, exec_lo
	s_clause 0x3
	buffer_load_dword v1, v4, s[0:3], 0 offen
	buffer_load_dword v2, v4, s[0:3], 0 offen offset:4
	buffer_load_dword v3, v4, s[0:3], 0 offen offset:8
	;; [unrolled: 1-line block ×3, first 2 shown]
	s_waitcnt vmcnt(0)
	ds_write_b128 v5, v[1:4]
	s_waitcnt lgkmcnt(0)
	s_barrier
	buffer_gl0_inv
	v_cmpx_gt_u32_e32 29, v0
	s_cbranch_execz .LBB36_131
; %bb.128:
	v_mov_b32_e32 v1, 0
	v_mov_b32_e32 v3, 0
	v_add_nc_u32_e32 v7, -1, v0
	v_add_nc_u32_e32 v8, 0x250, v119
	v_mov_b32_e32 v2, 0
	v_mov_b32_e32 v4, 0
	v_add_nc_u32_e32 v9, 16, v119
	s_mov_b32 s5, 0
	.p2align	6
.LBB36_129:                             ; =>This Inner Loop Header: Depth=1
	s_clause 0x3
	buffer_load_dword v14, v9, s[0:3], 0 offen offset:8
	buffer_load_dword v15, v9, s[0:3], 0 offen offset:12
	buffer_load_dword v16, v9, s[0:3], 0 offen
	buffer_load_dword v17, v9, s[0:3], 0 offen offset:4
	ds_read_b128 v[10:13], v8
	v_add_nc_u32_e32 v7, 1, v7
	v_add_nc_u32_e32 v8, 16, v8
	;; [unrolled: 1-line block ×3, first 2 shown]
	v_cmp_lt_u32_e32 vcc_lo, 27, v7
	s_or_b32 s5, vcc_lo, s5
	s_waitcnt vmcnt(2) lgkmcnt(0)
	v_mul_f64 v[18:19], v[12:13], v[14:15]
	v_mul_f64 v[14:15], v[10:11], v[14:15]
	s_waitcnt vmcnt(0)
	v_fma_f64 v[10:11], v[10:11], v[16:17], -v[18:19]
	v_fma_f64 v[12:13], v[12:13], v[16:17], v[14:15]
	v_add_f64 v[3:4], v[3:4], v[10:11]
	v_add_f64 v[1:2], v[1:2], v[12:13]
	s_andn2_b32 exec_lo, exec_lo, s5
	s_cbranch_execnz .LBB36_129
; %bb.130:
	s_or_b32 exec_lo, exec_lo, s5
	v_mov_b32_e32 v7, 0
	ds_read_b128 v[7:10], v7 offset:464
	s_waitcnt lgkmcnt(0)
	v_mul_f64 v[11:12], v[1:2], v[9:10]
	v_mul_f64 v[9:10], v[3:4], v[9:10]
	v_fma_f64 v[3:4], v[3:4], v[7:8], -v[11:12]
	v_fma_f64 v[1:2], v[1:2], v[7:8], v[9:10]
	buffer_store_dword v4, off, s[0:3], 0 offset:484
	buffer_store_dword v3, off, s[0:3], 0 offset:480
	;; [unrolled: 1-line block ×4, first 2 shown]
.LBB36_131:
	s_or_b32 exec_lo, exec_lo, s4
	v_mov_b32_e32 v4, s16
	s_waitcnt_vscnt null, 0x0
	s_barrier
	buffer_gl0_inv
	s_mov_b32 s4, exec_lo
	s_clause 0x3
	buffer_load_dword v1, v4, s[0:3], 0 offen
	buffer_load_dword v2, v4, s[0:3], 0 offen offset:4
	buffer_load_dword v3, v4, s[0:3], 0 offen offset:8
	;; [unrolled: 1-line block ×3, first 2 shown]
	s_waitcnt vmcnt(0)
	ds_write_b128 v5, v[1:4]
	s_waitcnt lgkmcnt(0)
	s_barrier
	buffer_gl0_inv
	v_cmpx_gt_u32_e32 30, v0
	s_cbranch_execz .LBB36_135
; %bb.132:
	v_mov_b32_e32 v1, 0
	v_mov_b32_e32 v3, 0
	v_add_nc_u32_e32 v7, -1, v0
	v_add_nc_u32_e32 v8, 0x250, v119
	v_mov_b32_e32 v2, 0
	v_mov_b32_e32 v4, 0
	v_add_nc_u32_e32 v9, 16, v119
	s_mov_b32 s5, 0
	.p2align	6
.LBB36_133:                             ; =>This Inner Loop Header: Depth=1
	s_clause 0x3
	buffer_load_dword v14, v9, s[0:3], 0 offen offset:8
	buffer_load_dword v15, v9, s[0:3], 0 offen offset:12
	buffer_load_dword v16, v9, s[0:3], 0 offen
	buffer_load_dword v17, v9, s[0:3], 0 offen offset:4
	ds_read_b128 v[10:13], v8
	v_add_nc_u32_e32 v7, 1, v7
	v_add_nc_u32_e32 v8, 16, v8
	;; [unrolled: 1-line block ×3, first 2 shown]
	v_cmp_lt_u32_e32 vcc_lo, 28, v7
	s_or_b32 s5, vcc_lo, s5
	s_waitcnt vmcnt(2) lgkmcnt(0)
	v_mul_f64 v[18:19], v[12:13], v[14:15]
	v_mul_f64 v[14:15], v[10:11], v[14:15]
	s_waitcnt vmcnt(0)
	v_fma_f64 v[10:11], v[10:11], v[16:17], -v[18:19]
	v_fma_f64 v[12:13], v[12:13], v[16:17], v[14:15]
	v_add_f64 v[3:4], v[3:4], v[10:11]
	v_add_f64 v[1:2], v[1:2], v[12:13]
	s_andn2_b32 exec_lo, exec_lo, s5
	s_cbranch_execnz .LBB36_133
; %bb.134:
	s_or_b32 exec_lo, exec_lo, s5
	v_mov_b32_e32 v7, 0
	ds_read_b128 v[7:10], v7 offset:480
	s_waitcnt lgkmcnt(0)
	v_mul_f64 v[11:12], v[1:2], v[9:10]
	v_mul_f64 v[9:10], v[3:4], v[9:10]
	v_fma_f64 v[3:4], v[3:4], v[7:8], -v[11:12]
	v_fma_f64 v[1:2], v[1:2], v[7:8], v[9:10]
	buffer_store_dword v4, off, s[0:3], 0 offset:500
	buffer_store_dword v3, off, s[0:3], 0 offset:496
	;; [unrolled: 1-line block ×4, first 2 shown]
.LBB36_135:
	s_or_b32 exec_lo, exec_lo, s4
	v_mov_b32_e32 v4, s15
	s_waitcnt_vscnt null, 0x0
	s_barrier
	buffer_gl0_inv
	s_mov_b32 s4, exec_lo
	s_clause 0x3
	buffer_load_dword v1, v4, s[0:3], 0 offen
	buffer_load_dword v2, v4, s[0:3], 0 offen offset:4
	buffer_load_dword v3, v4, s[0:3], 0 offen offset:8
	;; [unrolled: 1-line block ×3, first 2 shown]
	s_waitcnt vmcnt(0)
	ds_write_b128 v5, v[1:4]
	s_waitcnt lgkmcnt(0)
	s_barrier
	buffer_gl0_inv
	v_cmpx_gt_u32_e32 31, v0
	s_cbranch_execz .LBB36_139
; %bb.136:
	v_mov_b32_e32 v1, 0
	v_mov_b32_e32 v3, 0
	v_add_nc_u32_e32 v7, -1, v0
	v_add_nc_u32_e32 v8, 0x250, v119
	v_mov_b32_e32 v2, 0
	v_mov_b32_e32 v4, 0
	v_add_nc_u32_e32 v9, 16, v119
	s_mov_b32 s5, 0
	.p2align	6
.LBB36_137:                             ; =>This Inner Loop Header: Depth=1
	s_clause 0x3
	buffer_load_dword v14, v9, s[0:3], 0 offen offset:8
	buffer_load_dword v15, v9, s[0:3], 0 offen offset:12
	buffer_load_dword v16, v9, s[0:3], 0 offen
	buffer_load_dword v17, v9, s[0:3], 0 offen offset:4
	ds_read_b128 v[10:13], v8
	v_add_nc_u32_e32 v7, 1, v7
	v_add_nc_u32_e32 v8, 16, v8
	;; [unrolled: 1-line block ×3, first 2 shown]
	v_cmp_lt_u32_e32 vcc_lo, 29, v7
	s_or_b32 s5, vcc_lo, s5
	s_waitcnt vmcnt(2) lgkmcnt(0)
	v_mul_f64 v[18:19], v[12:13], v[14:15]
	v_mul_f64 v[14:15], v[10:11], v[14:15]
	s_waitcnt vmcnt(0)
	v_fma_f64 v[10:11], v[10:11], v[16:17], -v[18:19]
	v_fma_f64 v[12:13], v[12:13], v[16:17], v[14:15]
	v_add_f64 v[3:4], v[3:4], v[10:11]
	v_add_f64 v[1:2], v[1:2], v[12:13]
	s_andn2_b32 exec_lo, exec_lo, s5
	s_cbranch_execnz .LBB36_137
; %bb.138:
	s_or_b32 exec_lo, exec_lo, s5
	v_mov_b32_e32 v7, 0
	ds_read_b128 v[7:10], v7 offset:496
	s_waitcnt lgkmcnt(0)
	v_mul_f64 v[11:12], v[1:2], v[9:10]
	v_mul_f64 v[9:10], v[3:4], v[9:10]
	v_fma_f64 v[3:4], v[3:4], v[7:8], -v[11:12]
	v_fma_f64 v[1:2], v[1:2], v[7:8], v[9:10]
	buffer_store_dword v4, off, s[0:3], 0 offset:516
	buffer_store_dword v3, off, s[0:3], 0 offset:512
	;; [unrolled: 1-line block ×4, first 2 shown]
.LBB36_139:
	s_or_b32 exec_lo, exec_lo, s4
	v_mov_b32_e32 v4, s14
	s_waitcnt_vscnt null, 0x0
	s_barrier
	buffer_gl0_inv
	s_mov_b32 s4, exec_lo
	s_clause 0x3
	buffer_load_dword v1, v4, s[0:3], 0 offen
	buffer_load_dword v2, v4, s[0:3], 0 offen offset:4
	buffer_load_dword v3, v4, s[0:3], 0 offen offset:8
	;; [unrolled: 1-line block ×3, first 2 shown]
	s_waitcnt vmcnt(0)
	ds_write_b128 v5, v[1:4]
	s_waitcnt lgkmcnt(0)
	s_barrier
	buffer_gl0_inv
	v_cmpx_gt_u32_e32 32, v0
	s_cbranch_execz .LBB36_143
; %bb.140:
	v_mov_b32_e32 v1, 0
	v_mov_b32_e32 v3, 0
	v_add_nc_u32_e32 v7, -1, v0
	v_add_nc_u32_e32 v8, 0x250, v119
	v_mov_b32_e32 v2, 0
	v_mov_b32_e32 v4, 0
	v_add_nc_u32_e32 v9, 16, v119
	s_mov_b32 s5, 0
	.p2align	6
.LBB36_141:                             ; =>This Inner Loop Header: Depth=1
	s_clause 0x3
	buffer_load_dword v14, v9, s[0:3], 0 offen offset:8
	buffer_load_dword v15, v9, s[0:3], 0 offen offset:12
	buffer_load_dword v16, v9, s[0:3], 0 offen
	buffer_load_dword v17, v9, s[0:3], 0 offen offset:4
	ds_read_b128 v[10:13], v8
	v_add_nc_u32_e32 v7, 1, v7
	v_add_nc_u32_e32 v8, 16, v8
	;; [unrolled: 1-line block ×3, first 2 shown]
	v_cmp_lt_u32_e32 vcc_lo, 30, v7
	s_or_b32 s5, vcc_lo, s5
	s_waitcnt vmcnt(2) lgkmcnt(0)
	v_mul_f64 v[18:19], v[12:13], v[14:15]
	v_mul_f64 v[14:15], v[10:11], v[14:15]
	s_waitcnt vmcnt(0)
	v_fma_f64 v[10:11], v[10:11], v[16:17], -v[18:19]
	v_fma_f64 v[12:13], v[12:13], v[16:17], v[14:15]
	v_add_f64 v[3:4], v[3:4], v[10:11]
	v_add_f64 v[1:2], v[1:2], v[12:13]
	s_andn2_b32 exec_lo, exec_lo, s5
	s_cbranch_execnz .LBB36_141
; %bb.142:
	s_or_b32 exec_lo, exec_lo, s5
	v_mov_b32_e32 v7, 0
	ds_read_b128 v[7:10], v7 offset:512
	s_waitcnt lgkmcnt(0)
	v_mul_f64 v[11:12], v[1:2], v[9:10]
	v_mul_f64 v[9:10], v[3:4], v[9:10]
	v_fma_f64 v[3:4], v[3:4], v[7:8], -v[11:12]
	v_fma_f64 v[1:2], v[1:2], v[7:8], v[9:10]
	buffer_store_dword v4, off, s[0:3], 0 offset:532
	buffer_store_dword v3, off, s[0:3], 0 offset:528
	;; [unrolled: 1-line block ×4, first 2 shown]
.LBB36_143:
	s_or_b32 exec_lo, exec_lo, s4
	v_mov_b32_e32 v4, s13
	s_waitcnt_vscnt null, 0x0
	s_barrier
	buffer_gl0_inv
	s_mov_b32 s4, exec_lo
	s_clause 0x3
	buffer_load_dword v1, v4, s[0:3], 0 offen
	buffer_load_dword v2, v4, s[0:3], 0 offen offset:4
	buffer_load_dword v3, v4, s[0:3], 0 offen offset:8
	;; [unrolled: 1-line block ×3, first 2 shown]
	s_waitcnt vmcnt(0)
	ds_write_b128 v5, v[1:4]
	s_waitcnt lgkmcnt(0)
	s_barrier
	buffer_gl0_inv
	v_cmpx_gt_u32_e32 33, v0
	s_cbranch_execz .LBB36_147
; %bb.144:
	v_mov_b32_e32 v1, 0
	v_mov_b32_e32 v3, 0
	v_add_nc_u32_e32 v7, -1, v0
	v_add_nc_u32_e32 v8, 0x250, v119
	v_mov_b32_e32 v2, 0
	v_mov_b32_e32 v4, 0
	v_add_nc_u32_e32 v9, 16, v119
	s_mov_b32 s5, 0
	.p2align	6
.LBB36_145:                             ; =>This Inner Loop Header: Depth=1
	s_clause 0x3
	buffer_load_dword v14, v9, s[0:3], 0 offen offset:8
	buffer_load_dword v15, v9, s[0:3], 0 offen offset:12
	buffer_load_dword v16, v9, s[0:3], 0 offen
	buffer_load_dword v17, v9, s[0:3], 0 offen offset:4
	ds_read_b128 v[10:13], v8
	v_add_nc_u32_e32 v7, 1, v7
	v_add_nc_u32_e32 v8, 16, v8
	;; [unrolled: 1-line block ×3, first 2 shown]
	v_cmp_lt_u32_e32 vcc_lo, 31, v7
	s_or_b32 s5, vcc_lo, s5
	s_waitcnt vmcnt(2) lgkmcnt(0)
	v_mul_f64 v[18:19], v[12:13], v[14:15]
	v_mul_f64 v[14:15], v[10:11], v[14:15]
	s_waitcnt vmcnt(0)
	v_fma_f64 v[10:11], v[10:11], v[16:17], -v[18:19]
	v_fma_f64 v[12:13], v[12:13], v[16:17], v[14:15]
	v_add_f64 v[3:4], v[3:4], v[10:11]
	v_add_f64 v[1:2], v[1:2], v[12:13]
	s_andn2_b32 exec_lo, exec_lo, s5
	s_cbranch_execnz .LBB36_145
; %bb.146:
	s_or_b32 exec_lo, exec_lo, s5
	v_mov_b32_e32 v7, 0
	ds_read_b128 v[7:10], v7 offset:528
	s_waitcnt lgkmcnt(0)
	v_mul_f64 v[11:12], v[1:2], v[9:10]
	v_mul_f64 v[9:10], v[3:4], v[9:10]
	v_fma_f64 v[3:4], v[3:4], v[7:8], -v[11:12]
	v_fma_f64 v[1:2], v[1:2], v[7:8], v[9:10]
	buffer_store_dword v4, off, s[0:3], 0 offset:548
	buffer_store_dword v3, off, s[0:3], 0 offset:544
	;; [unrolled: 1-line block ×4, first 2 shown]
.LBB36_147:
	s_or_b32 exec_lo, exec_lo, s4
	v_mov_b32_e32 v4, s12
	s_waitcnt_vscnt null, 0x0
	s_barrier
	buffer_gl0_inv
	s_mov_b32 s4, exec_lo
	s_clause 0x3
	buffer_load_dword v1, v4, s[0:3], 0 offen
	buffer_load_dword v2, v4, s[0:3], 0 offen offset:4
	buffer_load_dword v3, v4, s[0:3], 0 offen offset:8
	;; [unrolled: 1-line block ×3, first 2 shown]
	s_waitcnt vmcnt(0)
	ds_write_b128 v5, v[1:4]
	s_waitcnt lgkmcnt(0)
	s_barrier
	buffer_gl0_inv
	v_cmpx_gt_u32_e32 34, v0
	s_cbranch_execz .LBB36_151
; %bb.148:
	v_mov_b32_e32 v1, 0
	v_mov_b32_e32 v3, 0
	v_add_nc_u32_e32 v7, -1, v0
	v_add_nc_u32_e32 v8, 0x250, v119
	v_mov_b32_e32 v2, 0
	v_mov_b32_e32 v4, 0
	v_add_nc_u32_e32 v9, 16, v119
	s_mov_b32 s5, 0
	.p2align	6
.LBB36_149:                             ; =>This Inner Loop Header: Depth=1
	s_clause 0x3
	buffer_load_dword v14, v9, s[0:3], 0 offen offset:8
	buffer_load_dword v15, v9, s[0:3], 0 offen offset:12
	buffer_load_dword v16, v9, s[0:3], 0 offen
	buffer_load_dword v17, v9, s[0:3], 0 offen offset:4
	ds_read_b128 v[10:13], v8
	v_add_nc_u32_e32 v7, 1, v7
	v_add_nc_u32_e32 v8, 16, v8
	;; [unrolled: 1-line block ×3, first 2 shown]
	v_cmp_lt_u32_e32 vcc_lo, 32, v7
	s_or_b32 s5, vcc_lo, s5
	s_waitcnt vmcnt(2) lgkmcnt(0)
	v_mul_f64 v[18:19], v[12:13], v[14:15]
	v_mul_f64 v[14:15], v[10:11], v[14:15]
	s_waitcnt vmcnt(0)
	v_fma_f64 v[10:11], v[10:11], v[16:17], -v[18:19]
	v_fma_f64 v[12:13], v[12:13], v[16:17], v[14:15]
	v_add_f64 v[3:4], v[3:4], v[10:11]
	v_add_f64 v[1:2], v[1:2], v[12:13]
	s_andn2_b32 exec_lo, exec_lo, s5
	s_cbranch_execnz .LBB36_149
; %bb.150:
	s_or_b32 exec_lo, exec_lo, s5
	v_mov_b32_e32 v7, 0
	ds_read_b128 v[7:10], v7 offset:544
	s_waitcnt lgkmcnt(0)
	v_mul_f64 v[11:12], v[1:2], v[9:10]
	v_mul_f64 v[9:10], v[3:4], v[9:10]
	v_fma_f64 v[3:4], v[3:4], v[7:8], -v[11:12]
	v_fma_f64 v[1:2], v[1:2], v[7:8], v[9:10]
	buffer_store_dword v4, off, s[0:3], 0 offset:564
	buffer_store_dword v3, off, s[0:3], 0 offset:560
	;; [unrolled: 1-line block ×4, first 2 shown]
.LBB36_151:
	s_or_b32 exec_lo, exec_lo, s4
	v_mov_b32_e32 v4, s9
	s_waitcnt_vscnt null, 0x0
	s_barrier
	buffer_gl0_inv
	s_mov_b32 s4, exec_lo
	s_clause 0x3
	buffer_load_dword v1, v4, s[0:3], 0 offen
	buffer_load_dword v2, v4, s[0:3], 0 offen offset:4
	buffer_load_dword v3, v4, s[0:3], 0 offen offset:8
	;; [unrolled: 1-line block ×3, first 2 shown]
	s_waitcnt vmcnt(0)
	ds_write_b128 v5, v[1:4]
	s_waitcnt lgkmcnt(0)
	s_barrier
	buffer_gl0_inv
	v_cmpx_gt_u32_e32 35, v0
	s_cbranch_execz .LBB36_155
; %bb.152:
	v_mov_b32_e32 v1, 0
	v_mov_b32_e32 v3, 0
	v_add_nc_u32_e32 v7, -1, v0
	v_add_nc_u32_e32 v8, 0x250, v119
	v_mov_b32_e32 v2, 0
	v_mov_b32_e32 v4, 0
	v_add_nc_u32_e32 v9, 16, v119
	s_mov_b32 s5, 0
	.p2align	6
.LBB36_153:                             ; =>This Inner Loop Header: Depth=1
	s_clause 0x3
	buffer_load_dword v14, v9, s[0:3], 0 offen offset:8
	buffer_load_dword v15, v9, s[0:3], 0 offen offset:12
	buffer_load_dword v16, v9, s[0:3], 0 offen
	buffer_load_dword v17, v9, s[0:3], 0 offen offset:4
	ds_read_b128 v[10:13], v8
	v_add_nc_u32_e32 v7, 1, v7
	v_add_nc_u32_e32 v8, 16, v8
	;; [unrolled: 1-line block ×3, first 2 shown]
	v_cmp_lt_u32_e32 vcc_lo, 33, v7
	s_or_b32 s5, vcc_lo, s5
	s_waitcnt vmcnt(2) lgkmcnt(0)
	v_mul_f64 v[18:19], v[12:13], v[14:15]
	v_mul_f64 v[14:15], v[10:11], v[14:15]
	s_waitcnt vmcnt(0)
	v_fma_f64 v[10:11], v[10:11], v[16:17], -v[18:19]
	v_fma_f64 v[12:13], v[12:13], v[16:17], v[14:15]
	v_add_f64 v[3:4], v[3:4], v[10:11]
	v_add_f64 v[1:2], v[1:2], v[12:13]
	s_andn2_b32 exec_lo, exec_lo, s5
	s_cbranch_execnz .LBB36_153
; %bb.154:
	s_or_b32 exec_lo, exec_lo, s5
	v_mov_b32_e32 v7, 0
	ds_read_b128 v[7:10], v7 offset:560
	s_waitcnt lgkmcnt(0)
	v_mul_f64 v[11:12], v[1:2], v[9:10]
	v_mul_f64 v[9:10], v[3:4], v[9:10]
	v_fma_f64 v[3:4], v[3:4], v[7:8], -v[11:12]
	v_fma_f64 v[1:2], v[1:2], v[7:8], v[9:10]
	buffer_store_dword v4, off, s[0:3], 0 offset:580
	buffer_store_dword v3, off, s[0:3], 0 offset:576
	;; [unrolled: 1-line block ×4, first 2 shown]
.LBB36_155:
	s_or_b32 exec_lo, exec_lo, s4
	v_mov_b32_e32 v4, s8
	s_waitcnt_vscnt null, 0x0
	s_barrier
	buffer_gl0_inv
	s_mov_b32 s4, exec_lo
	s_clause 0x3
	buffer_load_dword v1, v4, s[0:3], 0 offen
	buffer_load_dword v2, v4, s[0:3], 0 offen offset:4
	buffer_load_dword v3, v4, s[0:3], 0 offen offset:8
	;; [unrolled: 1-line block ×3, first 2 shown]
	s_waitcnt vmcnt(0)
	ds_write_b128 v5, v[1:4]
	s_waitcnt lgkmcnt(0)
	s_barrier
	buffer_gl0_inv
	v_cmpx_ne_u32_e32 36, v0
	s_cbranch_execz .LBB36_159
; %bb.156:
	v_mov_b32_e32 v1, 0
	v_mov_b32_e32 v3, 0
	;; [unrolled: 1-line block ×4, first 2 shown]
	v_add_nc_u32_e32 v7, 16, v119
	s_mov_b32 s5, 0
	.p2align	6
.LBB36_157:                             ; =>This Inner Loop Header: Depth=1
	s_clause 0x3
	buffer_load_dword v12, v7, s[0:3], 0 offen offset:8
	buffer_load_dword v13, v7, s[0:3], 0 offen offset:12
	buffer_load_dword v14, v7, s[0:3], 0 offen
	buffer_load_dword v15, v7, s[0:3], 0 offen offset:4
	ds_read_b128 v[8:11], v5
	v_add_nc_u32_e32 v6, 1, v6
	v_add_nc_u32_e32 v5, 16, v5
	;; [unrolled: 1-line block ×3, first 2 shown]
	v_cmp_lt_u32_e32 vcc_lo, 34, v6
	s_or_b32 s5, vcc_lo, s5
	s_waitcnt vmcnt(2) lgkmcnt(0)
	v_mul_f64 v[16:17], v[10:11], v[12:13]
	v_mul_f64 v[12:13], v[8:9], v[12:13]
	s_waitcnt vmcnt(0)
	v_fma_f64 v[8:9], v[8:9], v[14:15], -v[16:17]
	v_fma_f64 v[10:11], v[10:11], v[14:15], v[12:13]
	v_add_f64 v[3:4], v[3:4], v[8:9]
	v_add_f64 v[1:2], v[1:2], v[10:11]
	s_andn2_b32 exec_lo, exec_lo, s5
	s_cbranch_execnz .LBB36_157
; %bb.158:
	s_or_b32 exec_lo, exec_lo, s5
	v_mov_b32_e32 v5, 0
	ds_read_b128 v[5:8], v5 offset:576
	s_waitcnt lgkmcnt(0)
	v_mul_f64 v[9:10], v[1:2], v[7:8]
	v_mul_f64 v[7:8], v[3:4], v[7:8]
	v_fma_f64 v[3:4], v[3:4], v[5:6], -v[9:10]
	v_fma_f64 v[1:2], v[1:2], v[5:6], v[7:8]
	buffer_store_dword v4, off, s[0:3], 0 offset:596
	buffer_store_dword v3, off, s[0:3], 0 offset:592
	;; [unrolled: 1-line block ×4, first 2 shown]
.LBB36_159:
	s_or_b32 exec_lo, exec_lo, s4
	s_mov_b32 s5, -1
	s_waitcnt_vscnt null, 0x0
	s_barrier
	buffer_gl0_inv
.LBB36_160:
	s_and_b32 vcc_lo, exec_lo, s5
	s_cbranch_vccz .LBB36_162
; %bb.161:
	s_lshl_b64 s[4:5], s[6:7], 2
	v_mov_b32_e32 v1, 0
	s_add_u32 s4, s10, s4
	s_addc_u32 s5, s11, s5
	global_load_dword v1, v1, s[4:5]
	s_waitcnt vmcnt(0)
	v_cmp_ne_u32_e32 vcc_lo, 0, v1
	s_cbranch_vccz .LBB36_163
.LBB36_162:
	s_endpgm
.LBB36_163:
	v_lshl_add_u32 v133, v0, 4, 0x250
	s_mov_b32 s4, exec_lo
	v_cmpx_eq_u32_e32 36, v0
	s_cbranch_execz .LBB36_165
; %bb.164:
	v_mov_b32_e32 v4, s9
	v_mov_b32_e32 v5, 0
	s_clause 0x3
	buffer_load_dword v1, v4, s[0:3], 0 offen
	buffer_load_dword v2, v4, s[0:3], 0 offen offset:4
	buffer_load_dword v3, v4, s[0:3], 0 offen offset:8
	;; [unrolled: 1-line block ×3, first 2 shown]
	buffer_store_dword v5, off, s[0:3], 0 offset:576
	buffer_store_dword v5, off, s[0:3], 0 offset:580
	;; [unrolled: 1-line block ×4, first 2 shown]
	s_waitcnt vmcnt(0)
	ds_write_b128 v133, v[1:4]
.LBB36_165:
	s_or_b32 exec_lo, exec_lo, s4
	s_waitcnt lgkmcnt(0)
	s_waitcnt_vscnt null, 0x0
	s_barrier
	buffer_gl0_inv
	s_clause 0x7
	buffer_load_dword v6, off, s[0:3], 0 offset:600
	buffer_load_dword v7, off, s[0:3], 0 offset:604
	;; [unrolled: 1-line block ×8, first 2 shown]
	v_mov_b32_e32 v1, 0
	s_mov_b32 s4, exec_lo
	ds_read_b128 v[2:5], v1 offset:1168
	s_waitcnt vmcnt(6) lgkmcnt(0)
	v_mul_f64 v[14:15], v[4:5], v[6:7]
	v_mul_f64 v[6:7], v[2:3], v[6:7]
	s_waitcnt vmcnt(4)
	v_fma_f64 v[2:3], v[2:3], v[8:9], -v[14:15]
	v_fma_f64 v[4:5], v[4:5], v[8:9], v[6:7]
	v_add_f64 v[2:3], v[2:3], 0
	v_add_f64 v[4:5], v[4:5], 0
	s_waitcnt vmcnt(2)
	v_add_f64 v[2:3], v[10:11], -v[2:3]
	s_waitcnt vmcnt(0)
	v_add_f64 v[4:5], v[12:13], -v[4:5]
	buffer_store_dword v2, off, s[0:3], 0 offset:576
	buffer_store_dword v3, off, s[0:3], 0 offset:580
	;; [unrolled: 1-line block ×4, first 2 shown]
	v_cmpx_lt_u32_e32 34, v0
	s_cbranch_execz .LBB36_167
; %bb.166:
	v_mov_b32_e32 v5, s12
	s_clause 0x3
	buffer_load_dword v2, v5, s[0:3], 0 offen
	buffer_load_dword v3, v5, s[0:3], 0 offen offset:4
	buffer_load_dword v4, v5, s[0:3], 0 offen offset:8
	;; [unrolled: 1-line block ×3, first 2 shown]
	buffer_store_dword v1, off, s[0:3], 0 offset:560
	buffer_store_dword v1, off, s[0:3], 0 offset:564
	;; [unrolled: 1-line block ×4, first 2 shown]
	s_waitcnt vmcnt(0)
	ds_write_b128 v133, v[2:5]
.LBB36_167:
	s_or_b32 exec_lo, exec_lo, s4
	s_waitcnt lgkmcnt(0)
	s_waitcnt_vscnt null, 0x0
	s_barrier
	buffer_gl0_inv
	s_clause 0xb
	buffer_load_dword v10, off, s[0:3], 0 offset:584
	buffer_load_dword v11, off, s[0:3], 0 offset:588
	;; [unrolled: 1-line block ×12, first 2 shown]
	ds_read_b128 v[2:5], v1 offset:1152
	ds_read_b128 v[6:9], v1 offset:1168
	s_mov_b32 s4, exec_lo
	s_waitcnt vmcnt(10) lgkmcnt(1)
	v_mul_f64 v[22:23], v[4:5], v[10:11]
	v_mul_f64 v[10:11], v[2:3], v[10:11]
	s_waitcnt vmcnt(8) lgkmcnt(0)
	v_mul_f64 v[24:25], v[8:9], v[12:13]
	v_mul_f64 v[12:13], v[6:7], v[12:13]
	s_waitcnt vmcnt(6)
	v_fma_f64 v[1:2], v[2:3], v[14:15], -v[22:23]
	v_fma_f64 v[3:4], v[4:5], v[14:15], v[10:11]
	s_waitcnt vmcnt(4)
	v_fma_f64 v[5:6], v[6:7], v[16:17], -v[24:25]
	v_fma_f64 v[7:8], v[8:9], v[16:17], v[12:13]
	v_add_f64 v[1:2], v[1:2], 0
	v_add_f64 v[3:4], v[3:4], 0
	;; [unrolled: 1-line block ×4, first 2 shown]
	s_waitcnt vmcnt(2)
	v_add_f64 v[1:2], v[18:19], -v[1:2]
	s_waitcnt vmcnt(0)
	v_add_f64 v[3:4], v[20:21], -v[3:4]
	buffer_store_dword v1, off, s[0:3], 0 offset:560
	buffer_store_dword v2, off, s[0:3], 0 offset:564
	;; [unrolled: 1-line block ×4, first 2 shown]
	v_cmpx_lt_u32_e32 33, v0
	s_cbranch_execz .LBB36_169
; %bb.168:
	v_mov_b32_e32 v4, s13
	v_mov_b32_e32 v5, 0
	s_clause 0x3
	buffer_load_dword v1, v4, s[0:3], 0 offen
	buffer_load_dword v2, v4, s[0:3], 0 offen offset:4
	buffer_load_dword v3, v4, s[0:3], 0 offen offset:8
	;; [unrolled: 1-line block ×3, first 2 shown]
	buffer_store_dword v5, off, s[0:3], 0 offset:544
	buffer_store_dword v5, off, s[0:3], 0 offset:548
	;; [unrolled: 1-line block ×4, first 2 shown]
	s_waitcnt vmcnt(0)
	ds_write_b128 v133, v[1:4]
.LBB36_169:
	s_or_b32 exec_lo, exec_lo, s4
	s_waitcnt lgkmcnt(0)
	s_waitcnt_vscnt null, 0x0
	s_barrier
	buffer_gl0_inv
	s_clause 0xf
	buffer_load_dword v10, off, s[0:3], 0 offset:568
	buffer_load_dword v11, off, s[0:3], 0 offset:572
	;; [unrolled: 1-line block ×16, first 2 shown]
	v_mov_b32_e32 v1, 0
	ds_read_b128 v[2:5], v1 offset:1136
	ds_read_b128 v[6:9], v1 offset:1152
	s_mov_b32 s4, exec_lo
	s_waitcnt vmcnt(14) lgkmcnt(1)
	v_mul_f64 v[28:29], v[4:5], v[10:11]
	v_mul_f64 v[30:31], v[2:3], v[10:11]
	s_waitcnt vmcnt(12) lgkmcnt(0)
	v_mul_f64 v[32:33], v[8:9], v[14:15]
	ds_read_b128 v[10:13], v1 offset:1168
	v_mul_f64 v[14:15], v[6:7], v[14:15]
	s_waitcnt vmcnt(10)
	v_fma_f64 v[2:3], v[2:3], v[16:17], -v[28:29]
	v_fma_f64 v[4:5], v[4:5], v[16:17], v[30:31]
	s_waitcnt vmcnt(8) lgkmcnt(0)
	v_mul_f64 v[16:17], v[10:11], v[18:19]
	v_mul_f64 v[18:19], v[12:13], v[18:19]
	s_waitcnt vmcnt(6)
	v_fma_f64 v[6:7], v[6:7], v[20:21], -v[32:33]
	v_fma_f64 v[8:9], v[8:9], v[20:21], v[14:15]
	v_add_f64 v[2:3], v[2:3], 0
	v_add_f64 v[4:5], v[4:5], 0
	s_waitcnt vmcnt(4)
	v_fma_f64 v[10:11], v[10:11], v[22:23], -v[18:19]
	v_add_f64 v[2:3], v[2:3], v[6:7]
	v_fma_f64 v[6:7], v[12:13], v[22:23], v[16:17]
	v_add_f64 v[4:5], v[4:5], v[8:9]
	v_add_f64 v[2:3], v[2:3], v[10:11]
	;; [unrolled: 1-line block ×3, first 2 shown]
	s_waitcnt vmcnt(2)
	v_add_f64 v[2:3], v[24:25], -v[2:3]
	s_waitcnt vmcnt(0)
	v_add_f64 v[4:5], v[26:27], -v[4:5]
	buffer_store_dword v2, off, s[0:3], 0 offset:544
	buffer_store_dword v3, off, s[0:3], 0 offset:548
	;; [unrolled: 1-line block ×4, first 2 shown]
	v_cmpx_lt_u32_e32 32, v0
	s_cbranch_execz .LBB36_171
; %bb.170:
	v_mov_b32_e32 v5, s14
	s_clause 0x3
	buffer_load_dword v2, v5, s[0:3], 0 offen
	buffer_load_dword v3, v5, s[0:3], 0 offen offset:4
	buffer_load_dword v4, v5, s[0:3], 0 offen offset:8
	;; [unrolled: 1-line block ×3, first 2 shown]
	buffer_store_dword v1, off, s[0:3], 0 offset:528
	buffer_store_dword v1, off, s[0:3], 0 offset:532
	;; [unrolled: 1-line block ×4, first 2 shown]
	s_waitcnt vmcnt(0)
	ds_write_b128 v133, v[2:5]
.LBB36_171:
	s_or_b32 exec_lo, exec_lo, s4
	s_waitcnt lgkmcnt(0)
	s_waitcnt_vscnt null, 0x0
	s_barrier
	buffer_gl0_inv
	s_clause 0x13
	buffer_load_dword v10, off, s[0:3], 0 offset:552
	buffer_load_dword v11, off, s[0:3], 0 offset:556
	;; [unrolled: 1-line block ×20, first 2 shown]
	ds_read_b128 v[2:5], v1 offset:1120
	ds_read_b128 v[6:9], v1 offset:1136
	s_mov_b32 s4, exec_lo
	s_waitcnt vmcnt(18) lgkmcnt(1)
	v_mul_f64 v[32:33], v[4:5], v[10:11]
	v_mul_f64 v[34:35], v[2:3], v[10:11]
	s_waitcnt vmcnt(16) lgkmcnt(0)
	v_mul_f64 v[36:37], v[8:9], v[14:15]
	ds_read_b128 v[10:13], v1 offset:1152
	v_mul_f64 v[14:15], v[6:7], v[14:15]
	s_waitcnt vmcnt(14)
	v_fma_f64 v[32:33], v[2:3], v[16:17], -v[32:33]
	v_fma_f64 v[16:17], v[4:5], v[16:17], v[34:35]
	s_waitcnt vmcnt(12) lgkmcnt(0)
	v_mul_f64 v[34:35], v[10:11], v[18:19]
	v_mul_f64 v[18:19], v[12:13], v[18:19]
	s_waitcnt vmcnt(10)
	v_fma_f64 v[5:6], v[6:7], v[20:21], -v[36:37]
	ds_read_b128 v[1:4], v1 offset:1168
	v_fma_f64 v[7:8], v[8:9], v[20:21], v[14:15]
	v_add_f64 v[32:33], v[32:33], 0
	v_add_f64 v[14:15], v[16:17], 0
	s_waitcnt vmcnt(8) lgkmcnt(0)
	v_mul_f64 v[20:21], v[3:4], v[22:23]
	s_waitcnt vmcnt(6)
	v_fma_f64 v[9:10], v[10:11], v[24:25], -v[18:19]
	v_mul_f64 v[16:17], v[1:2], v[22:23]
	v_fma_f64 v[11:12], v[12:13], v[24:25], v[34:35]
	v_add_f64 v[5:6], v[32:33], v[5:6]
	v_add_f64 v[7:8], v[14:15], v[7:8]
	s_waitcnt vmcnt(4)
	v_fma_f64 v[1:2], v[1:2], v[26:27], -v[20:21]
	v_fma_f64 v[3:4], v[3:4], v[26:27], v[16:17]
	v_add_f64 v[5:6], v[5:6], v[9:10]
	v_add_f64 v[7:8], v[7:8], v[11:12]
	;; [unrolled: 1-line block ×4, first 2 shown]
	s_waitcnt vmcnt(2)
	v_add_f64 v[1:2], v[28:29], -v[1:2]
	s_waitcnt vmcnt(0)
	v_add_f64 v[3:4], v[30:31], -v[3:4]
	buffer_store_dword v1, off, s[0:3], 0 offset:528
	buffer_store_dword v2, off, s[0:3], 0 offset:532
	;; [unrolled: 1-line block ×4, first 2 shown]
	v_cmpx_lt_u32_e32 31, v0
	s_cbranch_execz .LBB36_173
; %bb.172:
	v_mov_b32_e32 v4, s15
	v_mov_b32_e32 v5, 0
	s_clause 0x3
	buffer_load_dword v1, v4, s[0:3], 0 offen
	buffer_load_dword v2, v4, s[0:3], 0 offen offset:4
	buffer_load_dword v3, v4, s[0:3], 0 offen offset:8
	;; [unrolled: 1-line block ×3, first 2 shown]
	buffer_store_dword v5, off, s[0:3], 0 offset:512
	buffer_store_dword v5, off, s[0:3], 0 offset:516
	;; [unrolled: 1-line block ×4, first 2 shown]
	s_waitcnt vmcnt(0)
	ds_write_b128 v133, v[1:4]
.LBB36_173:
	s_or_b32 exec_lo, exec_lo, s4
	s_waitcnt lgkmcnt(0)
	s_waitcnt_vscnt null, 0x0
	s_barrier
	buffer_gl0_inv
	s_clause 0x17
	buffer_load_dword v10, off, s[0:3], 0 offset:536
	buffer_load_dword v11, off, s[0:3], 0 offset:540
	;; [unrolled: 1-line block ×24, first 2 shown]
	v_mov_b32_e32 v1, 0
	ds_read_b128 v[2:5], v1 offset:1104
	ds_read_b128 v[6:9], v1 offset:1120
	s_mov_b32 s4, exec_lo
	s_waitcnt vmcnt(22) lgkmcnt(1)
	v_mul_f64 v[36:37], v[4:5], v[10:11]
	v_mul_f64 v[38:39], v[2:3], v[10:11]
	s_waitcnt vmcnt(20) lgkmcnt(0)
	v_mul_f64 v[40:41], v[8:9], v[14:15]
	ds_read_b128 v[10:13], v1 offset:1136
	v_mul_f64 v[14:15], v[6:7], v[14:15]
	s_waitcnt vmcnt(18)
	v_fma_f64 v[36:37], v[2:3], v[16:17], -v[36:37]
	v_fma_f64 v[16:17], v[4:5], v[16:17], v[38:39]
	ds_read_b128 v[2:5], v1 offset:1152
	s_waitcnt vmcnt(16) lgkmcnt(1)
	v_mul_f64 v[38:39], v[10:11], v[18:19]
	v_mul_f64 v[18:19], v[12:13], v[18:19]
	s_waitcnt vmcnt(14)
	v_fma_f64 v[40:41], v[6:7], v[20:21], -v[40:41]
	v_fma_f64 v[14:15], v[8:9], v[20:21], v[14:15]
	ds_read_b128 v[6:9], v1 offset:1168
	s_waitcnt vmcnt(10) lgkmcnt(1)
	v_mul_f64 v[20:21], v[2:3], v[22:23]
	v_add_f64 v[36:37], v[36:37], 0
	v_add_f64 v[16:17], v[16:17], 0
	v_mul_f64 v[22:23], v[4:5], v[22:23]
	s_waitcnt vmcnt(8)
	v_fma_f64 v[10:11], v[10:11], v[28:29], -v[18:19]
	v_fma_f64 v[12:13], v[12:13], v[28:29], v[38:39]
	s_waitcnt vmcnt(5)
	v_fma_f64 v[4:5], v[4:5], v[30:31], v[20:21]
	v_add_f64 v[18:19], v[36:37], v[40:41]
	v_add_f64 v[14:15], v[16:17], v[14:15]
	s_waitcnt lgkmcnt(0)
	v_mul_f64 v[16:17], v[6:7], v[24:25]
	v_mul_f64 v[24:25], v[8:9], v[24:25]
	v_fma_f64 v[2:3], v[2:3], v[30:31], -v[22:23]
	v_add_f64 v[10:11], v[18:19], v[10:11]
	v_add_f64 v[12:13], v[14:15], v[12:13]
	s_waitcnt vmcnt(4)
	v_fma_f64 v[8:9], v[8:9], v[26:27], v[16:17]
	v_fma_f64 v[6:7], v[6:7], v[26:27], -v[24:25]
	v_add_f64 v[2:3], v[10:11], v[2:3]
	v_add_f64 v[4:5], v[12:13], v[4:5]
	;; [unrolled: 1-line block ×4, first 2 shown]
	s_waitcnt vmcnt(2)
	v_add_f64 v[2:3], v[32:33], -v[2:3]
	s_waitcnt vmcnt(0)
	v_add_f64 v[4:5], v[34:35], -v[4:5]
	buffer_store_dword v3, off, s[0:3], 0 offset:516
	buffer_store_dword v2, off, s[0:3], 0 offset:512
	;; [unrolled: 1-line block ×4, first 2 shown]
	v_cmpx_lt_u32_e32 30, v0
	s_cbranch_execz .LBB36_175
; %bb.174:
	v_mov_b32_e32 v5, s16
	s_clause 0x3
	buffer_load_dword v2, v5, s[0:3], 0 offen
	buffer_load_dword v3, v5, s[0:3], 0 offen offset:4
	buffer_load_dword v4, v5, s[0:3], 0 offen offset:8
	buffer_load_dword v5, v5, s[0:3], 0 offen offset:12
	buffer_store_dword v1, off, s[0:3], 0 offset:496
	buffer_store_dword v1, off, s[0:3], 0 offset:500
	;; [unrolled: 1-line block ×4, first 2 shown]
	s_waitcnt vmcnt(0)
	ds_write_b128 v133, v[2:5]
.LBB36_175:
	s_or_b32 exec_lo, exec_lo, s4
	s_waitcnt lgkmcnt(0)
	s_waitcnt_vscnt null, 0x0
	s_barrier
	buffer_gl0_inv
	s_clause 0x1b
	buffer_load_dword v10, off, s[0:3], 0 offset:520
	buffer_load_dword v11, off, s[0:3], 0 offset:524
	;; [unrolled: 1-line block ×28, first 2 shown]
	ds_read_b128 v[2:5], v1 offset:1088
	ds_read_b128 v[6:9], v1 offset:1104
	s_mov_b32 s4, exec_lo
	s_waitcnt vmcnt(26) lgkmcnt(1)
	v_mul_f64 v[40:41], v[4:5], v[10:11]
	v_mul_f64 v[42:43], v[2:3], v[10:11]
	s_waitcnt vmcnt(24) lgkmcnt(0)
	v_mul_f64 v[119:120], v[8:9], v[14:15]
	ds_read_b128 v[10:13], v1 offset:1120
	v_mul_f64 v[14:15], v[6:7], v[14:15]
	s_waitcnt vmcnt(22)
	v_fma_f64 v[40:41], v[2:3], v[16:17], -v[40:41]
	v_fma_f64 v[16:17], v[4:5], v[16:17], v[42:43]
	ds_read_b128 v[2:5], v1 offset:1136
	s_waitcnt vmcnt(20) lgkmcnt(1)
	v_mul_f64 v[42:43], v[10:11], v[18:19]
	v_mul_f64 v[18:19], v[12:13], v[18:19]
	s_waitcnt vmcnt(18)
	v_fma_f64 v[119:120], v[6:7], v[20:21], -v[119:120]
	v_fma_f64 v[14:15], v[8:9], v[20:21], v[14:15]
	ds_read_b128 v[6:9], v1 offset:1152
	s_waitcnt vmcnt(14) lgkmcnt(1)
	v_mul_f64 v[20:21], v[2:3], v[22:23]
	v_add_f64 v[40:41], v[40:41], 0
	v_add_f64 v[16:17], v[16:17], 0
	v_mul_f64 v[22:23], v[4:5], v[22:23]
	s_waitcnt vmcnt(12)
	v_fma_f64 v[18:19], v[10:11], v[28:29], -v[18:19]
	v_fma_f64 v[28:29], v[12:13], v[28:29], v[42:43]
	ds_read_b128 v[10:13], v1 offset:1168
	v_add_f64 v[40:41], v[40:41], v[119:120]
	v_add_f64 v[14:15], v[16:17], v[14:15]
	s_waitcnt vmcnt(11) lgkmcnt(1)
	v_mul_f64 v[16:17], v[6:7], v[24:25]
	v_mul_f64 v[24:25], v[8:9], v[24:25]
	s_waitcnt vmcnt(9)
	v_fma_f64 v[1:2], v[2:3], v[30:31], -v[22:23]
	v_fma_f64 v[3:4], v[4:5], v[30:31], v[20:21]
	s_waitcnt vmcnt(7) lgkmcnt(0)
	v_mul_f64 v[22:23], v[12:13], v[32:33]
	v_mul_f64 v[20:21], v[10:11], v[32:33]
	v_add_f64 v[18:19], v[40:41], v[18:19]
	v_add_f64 v[14:15], v[14:15], v[28:29]
	s_waitcnt vmcnt(6)
	v_fma_f64 v[5:6], v[6:7], v[26:27], -v[24:25]
	v_fma_f64 v[7:8], v[8:9], v[26:27], v[16:17]
	s_waitcnt vmcnt(4)
	v_fma_f64 v[9:10], v[10:11], v[34:35], -v[22:23]
	v_add_f64 v[1:2], v[18:19], v[1:2]
	v_add_f64 v[3:4], v[14:15], v[3:4]
	;; [unrolled: 1-line block ×3, first 2 shown]
	v_fma_f64 v[5:6], v[12:13], v[34:35], v[20:21]
	v_add_f64 v[3:4], v[3:4], v[7:8]
	v_add_f64 v[1:2], v[1:2], v[9:10]
	;; [unrolled: 1-line block ×3, first 2 shown]
	s_waitcnt vmcnt(2)
	v_add_f64 v[1:2], v[36:37], -v[1:2]
	s_waitcnt vmcnt(0)
	v_add_f64 v[3:4], v[38:39], -v[3:4]
	buffer_store_dword v2, off, s[0:3], 0 offset:500
	buffer_store_dword v1, off, s[0:3], 0 offset:496
	;; [unrolled: 1-line block ×4, first 2 shown]
	v_cmpx_lt_u32_e32 29, v0
	s_cbranch_execz .LBB36_177
; %bb.176:
	v_mov_b32_e32 v4, s17
	v_mov_b32_e32 v5, 0
	s_clause 0x3
	buffer_load_dword v1, v4, s[0:3], 0 offen
	buffer_load_dword v2, v4, s[0:3], 0 offen offset:4
	buffer_load_dword v3, v4, s[0:3], 0 offen offset:8
	;; [unrolled: 1-line block ×3, first 2 shown]
	buffer_store_dword v5, off, s[0:3], 0 offset:480
	buffer_store_dword v5, off, s[0:3], 0 offset:484
	;; [unrolled: 1-line block ×4, first 2 shown]
	s_waitcnt vmcnt(0)
	ds_write_b128 v133, v[1:4]
.LBB36_177:
	s_or_b32 exec_lo, exec_lo, s4
	s_waitcnt lgkmcnt(0)
	s_waitcnt_vscnt null, 0x0
	s_barrier
	buffer_gl0_inv
	s_clause 0x1f
	buffer_load_dword v10, off, s[0:3], 0 offset:504
	buffer_load_dword v11, off, s[0:3], 0 offset:508
	;; [unrolled: 1-line block ×32, first 2 shown]
	v_mov_b32_e32 v1, 0
	ds_read_b128 v[2:5], v1 offset:1072
	ds_read_b128 v[6:9], v1 offset:1088
	s_mov_b32 s4, exec_lo
	s_waitcnt vmcnt(30) lgkmcnt(1)
	v_mul_f64 v[119:120], v[4:5], v[10:11]
	v_mul_f64 v[121:122], v[2:3], v[10:11]
	s_waitcnt vmcnt(28) lgkmcnt(0)
	v_mul_f64 v[123:124], v[8:9], v[14:15]
	ds_read_b128 v[10:13], v1 offset:1104
	v_mul_f64 v[14:15], v[6:7], v[14:15]
	s_waitcnt vmcnt(26)
	v_fma_f64 v[119:120], v[2:3], v[16:17], -v[119:120]
	v_fma_f64 v[16:17], v[4:5], v[16:17], v[121:122]
	ds_read_b128 v[2:5], v1 offset:1120
	s_waitcnt vmcnt(24) lgkmcnt(1)
	v_mul_f64 v[121:122], v[10:11], v[18:19]
	v_mul_f64 v[18:19], v[12:13], v[18:19]
	s_waitcnt vmcnt(22)
	v_fma_f64 v[123:124], v[6:7], v[20:21], -v[123:124]
	v_fma_f64 v[14:15], v[8:9], v[20:21], v[14:15]
	ds_read_b128 v[6:9], v1 offset:1136
	s_waitcnt vmcnt(18) lgkmcnt(1)
	v_mul_f64 v[20:21], v[2:3], v[22:23]
	v_add_f64 v[119:120], v[119:120], 0
	v_add_f64 v[16:17], v[16:17], 0
	v_mul_f64 v[22:23], v[4:5], v[22:23]
	s_waitcnt vmcnt(16)
	v_fma_f64 v[18:19], v[10:11], v[28:29], -v[18:19]
	v_fma_f64 v[28:29], v[12:13], v[28:29], v[121:122]
	ds_read_b128 v[10:13], v1 offset:1152
	s_waitcnt vmcnt(13)
	v_fma_f64 v[20:21], v[4:5], v[30:31], v[20:21]
	v_add_f64 v[119:120], v[119:120], v[123:124]
	v_add_f64 v[14:15], v[16:17], v[14:15]
	s_waitcnt lgkmcnt(1)
	v_mul_f64 v[16:17], v[6:7], v[24:25]
	v_mul_f64 v[24:25], v[8:9], v[24:25]
	v_fma_f64 v[22:23], v[2:3], v[30:31], -v[22:23]
	s_waitcnt vmcnt(9) lgkmcnt(0)
	v_mul_f64 v[30:31], v[12:13], v[32:33]
	ds_read_b128 v[2:5], v1 offset:1168
	v_add_f64 v[18:19], v[119:120], v[18:19]
	v_add_f64 v[14:15], v[14:15], v[28:29]
	v_mul_f64 v[28:29], v[10:11], v[32:33]
	s_waitcnt vmcnt(8)
	v_fma_f64 v[6:7], v[6:7], v[26:27], -v[24:25]
	v_fma_f64 v[8:9], v[8:9], v[26:27], v[16:17]
	s_waitcnt vmcnt(5)
	v_fma_f64 v[10:11], v[10:11], v[38:39], -v[30:31]
	s_waitcnt lgkmcnt(0)
	v_mul_f64 v[16:17], v[2:3], v[34:35]
	v_add_f64 v[18:19], v[18:19], v[22:23]
	v_add_f64 v[14:15], v[14:15], v[20:21]
	v_mul_f64 v[20:21], v[4:5], v[34:35]
	v_fma_f64 v[12:13], v[12:13], v[38:39], v[28:29]
	s_waitcnt vmcnt(4)
	v_fma_f64 v[4:5], v[4:5], v[36:37], v[16:17]
	v_add_f64 v[6:7], v[18:19], v[6:7]
	v_add_f64 v[8:9], v[14:15], v[8:9]
	v_fma_f64 v[2:3], v[2:3], v[36:37], -v[20:21]
	v_add_f64 v[6:7], v[6:7], v[10:11]
	v_add_f64 v[8:9], v[8:9], v[12:13]
	;; [unrolled: 1-line block ×4, first 2 shown]
	s_waitcnt vmcnt(2)
	v_add_f64 v[2:3], v[40:41], -v[2:3]
	s_waitcnt vmcnt(0)
	v_add_f64 v[4:5], v[42:43], -v[4:5]
	buffer_store_dword v3, off, s[0:3], 0 offset:484
	buffer_store_dword v2, off, s[0:3], 0 offset:480
	;; [unrolled: 1-line block ×4, first 2 shown]
	v_cmpx_lt_u32_e32 28, v0
	s_cbranch_execz .LBB36_179
; %bb.178:
	v_mov_b32_e32 v5, s18
	s_clause 0x3
	buffer_load_dword v2, v5, s[0:3], 0 offen
	buffer_load_dword v3, v5, s[0:3], 0 offen offset:4
	buffer_load_dword v4, v5, s[0:3], 0 offen offset:8
	;; [unrolled: 1-line block ×3, first 2 shown]
	buffer_store_dword v1, off, s[0:3], 0 offset:464
	buffer_store_dword v1, off, s[0:3], 0 offset:468
	;; [unrolled: 1-line block ×4, first 2 shown]
	s_waitcnt vmcnt(0)
	ds_write_b128 v133, v[2:5]
.LBB36_179:
	s_or_b32 exec_lo, exec_lo, s4
	s_waitcnt lgkmcnt(0)
	s_waitcnt_vscnt null, 0x0
	s_barrier
	buffer_gl0_inv
	s_clause 0x23
	buffer_load_dword v10, off, s[0:3], 0 offset:488
	buffer_load_dword v11, off, s[0:3], 0 offset:492
	;; [unrolled: 1-line block ×36, first 2 shown]
	ds_read_b128 v[2:5], v1 offset:1056
	ds_read_b128 v[6:9], v1 offset:1072
	s_mov_b32 s4, exec_lo
	s_waitcnt vmcnt(34) lgkmcnt(1)
	v_mul_f64 v[123:124], v[4:5], v[10:11]
	v_mul_f64 v[125:126], v[2:3], v[10:11]
	s_waitcnt vmcnt(32) lgkmcnt(0)
	v_mul_f64 v[127:128], v[8:9], v[14:15]
	ds_read_b128 v[10:13], v1 offset:1088
	v_mul_f64 v[14:15], v[6:7], v[14:15]
	s_waitcnt vmcnt(30)
	v_fma_f64 v[123:124], v[2:3], v[16:17], -v[123:124]
	v_fma_f64 v[16:17], v[4:5], v[16:17], v[125:126]
	ds_read_b128 v[2:5], v1 offset:1104
	s_waitcnt vmcnt(28) lgkmcnt(1)
	v_mul_f64 v[125:126], v[10:11], v[18:19]
	v_mul_f64 v[18:19], v[12:13], v[18:19]
	s_waitcnt vmcnt(26)
	v_fma_f64 v[127:128], v[6:7], v[20:21], -v[127:128]
	v_fma_f64 v[14:15], v[8:9], v[20:21], v[14:15]
	ds_read_b128 v[6:9], v1 offset:1120
	s_waitcnt vmcnt(22) lgkmcnt(1)
	v_mul_f64 v[20:21], v[2:3], v[22:23]
	v_add_f64 v[123:124], v[123:124], 0
	v_add_f64 v[16:17], v[16:17], 0
	v_mul_f64 v[22:23], v[4:5], v[22:23]
	s_waitcnt vmcnt(20)
	v_fma_f64 v[18:19], v[10:11], v[28:29], -v[18:19]
	v_fma_f64 v[28:29], v[12:13], v[28:29], v[125:126]
	ds_read_b128 v[10:13], v1 offset:1136
	s_waitcnt vmcnt(17)
	v_fma_f64 v[20:21], v[4:5], v[30:31], v[20:21]
	v_add_f64 v[123:124], v[123:124], v[127:128]
	v_add_f64 v[14:15], v[16:17], v[14:15]
	s_waitcnt lgkmcnt(1)
	v_mul_f64 v[16:17], v[6:7], v[24:25]
	v_mul_f64 v[24:25], v[8:9], v[24:25]
	v_fma_f64 v[22:23], v[2:3], v[30:31], -v[22:23]
	s_waitcnt vmcnt(13) lgkmcnt(0)
	v_mul_f64 v[30:31], v[12:13], v[32:33]
	ds_read_b128 v[2:5], v1 offset:1152
	v_add_f64 v[18:19], v[123:124], v[18:19]
	v_add_f64 v[14:15], v[14:15], v[28:29]
	v_mul_f64 v[28:29], v[10:11], v[32:33]
	s_waitcnt vmcnt(12)
	v_fma_f64 v[24:25], v[6:7], v[26:27], -v[24:25]
	v_fma_f64 v[16:17], v[8:9], v[26:27], v[16:17]
	ds_read_b128 v[6:9], v1 offset:1168
	s_waitcnt vmcnt(9)
	v_fma_f64 v[10:11], v[10:11], v[38:39], -v[30:31]
	v_add_f64 v[18:19], v[18:19], v[22:23]
	v_add_f64 v[14:15], v[14:15], v[20:21]
	s_waitcnt lgkmcnt(1)
	v_mul_f64 v[22:23], v[4:5], v[34:35]
	v_mul_f64 v[20:21], v[2:3], v[34:35]
	v_fma_f64 v[12:13], v[12:13], v[38:39], v[28:29]
	v_add_f64 v[18:19], v[18:19], v[24:25]
	v_add_f64 v[14:15], v[14:15], v[16:17]
	s_waitcnt vmcnt(7) lgkmcnt(0)
	v_mul_f64 v[24:25], v[8:9], v[40:41]
	s_waitcnt vmcnt(6)
	v_fma_f64 v[1:2], v[2:3], v[36:37], -v[22:23]
	v_mul_f64 v[16:17], v[6:7], v[40:41]
	v_fma_f64 v[3:4], v[4:5], v[36:37], v[20:21]
	v_add_f64 v[10:11], v[18:19], v[10:11]
	v_add_f64 v[12:13], v[14:15], v[12:13]
	s_waitcnt vmcnt(4)
	v_fma_f64 v[5:6], v[6:7], v[42:43], -v[24:25]
	v_fma_f64 v[7:8], v[8:9], v[42:43], v[16:17]
	v_add_f64 v[1:2], v[10:11], v[1:2]
	v_add_f64 v[3:4], v[12:13], v[3:4]
	;; [unrolled: 1-line block ×4, first 2 shown]
	s_waitcnt vmcnt(2)
	v_add_f64 v[1:2], v[119:120], -v[1:2]
	s_waitcnt vmcnt(0)
	v_add_f64 v[3:4], v[121:122], -v[3:4]
	buffer_store_dword v2, off, s[0:3], 0 offset:468
	buffer_store_dword v1, off, s[0:3], 0 offset:464
	;; [unrolled: 1-line block ×4, first 2 shown]
	v_cmpx_lt_u32_e32 27, v0
	s_cbranch_execz .LBB36_181
; %bb.180:
	v_mov_b32_e32 v4, s19
	v_mov_b32_e32 v5, 0
	s_clause 0x3
	buffer_load_dword v1, v4, s[0:3], 0 offen
	buffer_load_dword v2, v4, s[0:3], 0 offen offset:4
	buffer_load_dword v3, v4, s[0:3], 0 offen offset:8
	;; [unrolled: 1-line block ×3, first 2 shown]
	buffer_store_dword v5, off, s[0:3], 0 offset:448
	buffer_store_dword v5, off, s[0:3], 0 offset:452
	buffer_store_dword v5, off, s[0:3], 0 offset:456
	buffer_store_dword v5, off, s[0:3], 0 offset:460
	s_waitcnt vmcnt(0)
	ds_write_b128 v133, v[1:4]
.LBB36_181:
	s_or_b32 exec_lo, exec_lo, s4
	s_waitcnt lgkmcnt(0)
	s_waitcnt_vscnt null, 0x0
	s_barrier
	buffer_gl0_inv
	s_clause 0x27
	buffer_load_dword v10, off, s[0:3], 0 offset:472
	buffer_load_dword v11, off, s[0:3], 0 offset:476
	buffer_load_dword v14, off, s[0:3], 0 offset:488
	buffer_load_dword v15, off, s[0:3], 0 offset:492
	buffer_load_dword v16, off, s[0:3], 0 offset:464
	buffer_load_dword v17, off, s[0:3], 0 offset:468
	buffer_load_dword v18, off, s[0:3], 0 offset:504
	buffer_load_dword v19, off, s[0:3], 0 offset:508
	buffer_load_dword v20, off, s[0:3], 0 offset:480
	buffer_load_dword v21, off, s[0:3], 0 offset:484
	buffer_load_dword v23, off, s[0:3], 0 offset:524
	buffer_load_dword v24, off, s[0:3], 0 offset:536
	buffer_load_dword v26, off, s[0:3], 0 offset:528
	buffer_load_dword v22, off, s[0:3], 0 offset:520
	buffer_load_dword v28, off, s[0:3], 0 offset:496
	buffer_load_dword v29, off, s[0:3], 0 offset:500
	buffer_load_dword v25, off, s[0:3], 0 offset:540
	buffer_load_dword v31, off, s[0:3], 0 offset:516
	buffer_load_dword v30, off, s[0:3], 0 offset:512
	buffer_load_dword v33, off, s[0:3], 0 offset:556
	buffer_load_dword v34, off, s[0:3], 0 offset:568
	buffer_load_dword v36, off, s[0:3], 0 offset:560
	buffer_load_dword v32, off, s[0:3], 0 offset:552
	buffer_load_dword v27, off, s[0:3], 0 offset:532
	buffer_load_dword v35, off, s[0:3], 0 offset:572
	buffer_load_dword v39, off, s[0:3], 0 offset:548
	buffer_load_dword v38, off, s[0:3], 0 offset:544
	buffer_load_dword v41, off, s[0:3], 0 offset:588
	buffer_load_dword v42, off, s[0:3], 0 offset:600
	buffer_load_dword v119, off, s[0:3], 0 offset:592
	buffer_load_dword v40, off, s[0:3], 0 offset:584
	buffer_load_dword v37, off, s[0:3], 0 offset:564
	buffer_load_dword v43, off, s[0:3], 0 offset:604
	buffer_load_dword v122, off, s[0:3], 0 offset:580
	buffer_load_dword v121, off, s[0:3], 0 offset:576
	buffer_load_dword v120, off, s[0:3], 0 offset:596
	buffer_load_dword v123, off, s[0:3], 0 offset:448
	buffer_load_dword v124, off, s[0:3], 0 offset:452
	buffer_load_dword v125, off, s[0:3], 0 offset:456
	buffer_load_dword v126, off, s[0:3], 0 offset:460
	v_mov_b32_e32 v1, 0
	ds_read_b128 v[2:5], v1 offset:1040
	ds_read_b128 v[6:9], v1 offset:1056
	s_mov_b32 s4, exec_lo
	s_waitcnt vmcnt(38) lgkmcnt(1)
	v_mul_f64 v[127:128], v[4:5], v[10:11]
	v_mul_f64 v[129:130], v[2:3], v[10:11]
	s_waitcnt vmcnt(36) lgkmcnt(0)
	v_mul_f64 v[131:132], v[8:9], v[14:15]
	ds_read_b128 v[10:13], v1 offset:1072
	v_mul_f64 v[14:15], v[6:7], v[14:15]
	s_waitcnt vmcnt(34)
	v_fma_f64 v[127:128], v[2:3], v[16:17], -v[127:128]
	v_fma_f64 v[16:17], v[4:5], v[16:17], v[129:130]
	ds_read_b128 v[2:5], v1 offset:1088
	s_waitcnt vmcnt(32) lgkmcnt(1)
	v_mul_f64 v[129:130], v[10:11], v[18:19]
	v_mul_f64 v[18:19], v[12:13], v[18:19]
	s_waitcnt vmcnt(30)
	v_fma_f64 v[131:132], v[6:7], v[20:21], -v[131:132]
	v_fma_f64 v[14:15], v[8:9], v[20:21], v[14:15]
	ds_read_b128 v[6:9], v1 offset:1104
	s_waitcnt vmcnt(26) lgkmcnt(1)
	v_mul_f64 v[20:21], v[2:3], v[22:23]
	v_add_f64 v[127:128], v[127:128], 0
	v_add_f64 v[16:17], v[16:17], 0
	v_mul_f64 v[22:23], v[4:5], v[22:23]
	s_waitcnt vmcnt(24)
	v_fma_f64 v[18:19], v[10:11], v[28:29], -v[18:19]
	v_fma_f64 v[28:29], v[12:13], v[28:29], v[129:130]
	ds_read_b128 v[10:13], v1 offset:1120
	s_waitcnt vmcnt(21)
	v_fma_f64 v[20:21], v[4:5], v[30:31], v[20:21]
	v_add_f64 v[127:128], v[127:128], v[131:132]
	v_add_f64 v[14:15], v[16:17], v[14:15]
	s_waitcnt lgkmcnt(1)
	v_mul_f64 v[16:17], v[6:7], v[24:25]
	v_mul_f64 v[24:25], v[8:9], v[24:25]
	v_fma_f64 v[22:23], v[2:3], v[30:31], -v[22:23]
	s_waitcnt vmcnt(17) lgkmcnt(0)
	v_mul_f64 v[30:31], v[12:13], v[32:33]
	ds_read_b128 v[2:5], v1 offset:1136
	v_add_f64 v[18:19], v[127:128], v[18:19]
	v_add_f64 v[14:15], v[14:15], v[28:29]
	v_mul_f64 v[28:29], v[10:11], v[32:33]
	s_waitcnt vmcnt(16)
	v_fma_f64 v[24:25], v[6:7], v[26:27], -v[24:25]
	v_fma_f64 v[16:17], v[8:9], v[26:27], v[16:17]
	ds_read_b128 v[6:9], v1 offset:1152
	s_waitcnt vmcnt(13)
	v_fma_f64 v[26:27], v[10:11], v[38:39], -v[30:31]
	v_add_f64 v[18:19], v[18:19], v[22:23]
	v_add_f64 v[14:15], v[14:15], v[20:21]
	s_waitcnt lgkmcnt(1)
	v_mul_f64 v[22:23], v[4:5], v[34:35]
	v_mul_f64 v[20:21], v[2:3], v[34:35]
	v_add_f64 v[18:19], v[18:19], v[24:25]
	v_fma_f64 v[24:25], v[12:13], v[38:39], v[28:29]
	v_add_f64 v[14:15], v[14:15], v[16:17]
	s_waitcnt vmcnt(9) lgkmcnt(0)
	v_mul_f64 v[28:29], v[8:9], v[40:41]
	s_waitcnt vmcnt(8)
	v_fma_f64 v[2:3], v[2:3], v[36:37], -v[22:23]
	ds_read_b128 v[10:13], v1 offset:1168
	v_mul_f64 v[16:17], v[6:7], v[40:41]
	v_fma_f64 v[4:5], v[4:5], v[36:37], v[20:21]
	v_add_f64 v[18:19], v[18:19], v[26:27]
	v_add_f64 v[14:15], v[14:15], v[24:25]
	s_waitcnt vmcnt(7) lgkmcnt(0)
	v_mul_f64 v[22:23], v[12:13], v[42:43]
	s_waitcnt vmcnt(5)
	v_fma_f64 v[6:7], v[6:7], v[121:122], -v[28:29]
	v_mul_f64 v[20:21], v[10:11], v[42:43]
	v_fma_f64 v[8:9], v[8:9], v[121:122], v[16:17]
	v_add_f64 v[2:3], v[18:19], v[2:3]
	v_add_f64 v[4:5], v[14:15], v[4:5]
	s_waitcnt vmcnt(4)
	v_fma_f64 v[10:11], v[10:11], v[119:120], -v[22:23]
	v_add_f64 v[2:3], v[2:3], v[6:7]
	v_fma_f64 v[6:7], v[12:13], v[119:120], v[20:21]
	v_add_f64 v[4:5], v[4:5], v[8:9]
	v_add_f64 v[2:3], v[2:3], v[10:11]
	;; [unrolled: 1-line block ×3, first 2 shown]
	s_waitcnt vmcnt(2)
	v_add_f64 v[2:3], v[123:124], -v[2:3]
	s_waitcnt vmcnt(0)
	v_add_f64 v[4:5], v[125:126], -v[4:5]
	buffer_store_dword v3, off, s[0:3], 0 offset:452
	buffer_store_dword v2, off, s[0:3], 0 offset:448
	;; [unrolled: 1-line block ×4, first 2 shown]
	v_cmpx_lt_u32_e32 26, v0
	s_cbranch_execz .LBB36_183
; %bb.182:
	v_mov_b32_e32 v5, s22
	s_clause 0x3
	buffer_load_dword v2, v5, s[0:3], 0 offen
	buffer_load_dword v3, v5, s[0:3], 0 offen offset:4
	buffer_load_dword v4, v5, s[0:3], 0 offen offset:8
	;; [unrolled: 1-line block ×3, first 2 shown]
	buffer_store_dword v1, off, s[0:3], 0 offset:432
	buffer_store_dword v1, off, s[0:3], 0 offset:436
	;; [unrolled: 1-line block ×4, first 2 shown]
	s_waitcnt vmcnt(0)
	ds_write_b128 v133, v[2:5]
.LBB36_183:
	s_or_b32 exec_lo, exec_lo, s4
	s_waitcnt lgkmcnt(0)
	s_waitcnt_vscnt null, 0x0
	s_barrier
	buffer_gl0_inv
	s_clause 0x2b
	buffer_load_dword v10, off, s[0:3], 0 offset:456
	buffer_load_dword v11, off, s[0:3], 0 offset:460
	;; [unrolled: 1-line block ×44, first 2 shown]
	ds_read_b128 v[2:5], v1 offset:1024
	ds_read_b128 v[6:9], v1 offset:1040
	s_mov_b32 s4, exec_lo
	s_waitcnt vmcnt(42) lgkmcnt(1)
	v_mul_f64 v[131:132], v[4:5], v[10:11]
	v_mul_f64 v[134:135], v[2:3], v[10:11]
	s_waitcnt vmcnt(40) lgkmcnt(0)
	v_mul_f64 v[136:137], v[8:9], v[14:15]
	ds_read_b128 v[10:13], v1 offset:1056
	v_mul_f64 v[14:15], v[6:7], v[14:15]
	s_waitcnt vmcnt(38)
	v_fma_f64 v[131:132], v[2:3], v[16:17], -v[131:132]
	v_fma_f64 v[16:17], v[4:5], v[16:17], v[134:135]
	ds_read_b128 v[2:5], v1 offset:1072
	s_waitcnt vmcnt(36) lgkmcnt(1)
	v_mul_f64 v[134:135], v[10:11], v[18:19]
	v_mul_f64 v[18:19], v[12:13], v[18:19]
	s_waitcnt vmcnt(34)
	v_fma_f64 v[136:137], v[6:7], v[20:21], -v[136:137]
	v_fma_f64 v[14:15], v[8:9], v[20:21], v[14:15]
	ds_read_b128 v[6:9], v1 offset:1088
	s_waitcnt vmcnt(30) lgkmcnt(1)
	v_mul_f64 v[20:21], v[2:3], v[22:23]
	v_add_f64 v[131:132], v[131:132], 0
	v_add_f64 v[16:17], v[16:17], 0
	v_mul_f64 v[22:23], v[4:5], v[22:23]
	s_waitcnt vmcnt(28)
	v_fma_f64 v[18:19], v[10:11], v[28:29], -v[18:19]
	v_fma_f64 v[28:29], v[12:13], v[28:29], v[134:135]
	ds_read_b128 v[10:13], v1 offset:1104
	s_waitcnt vmcnt(25)
	v_fma_f64 v[20:21], v[4:5], v[30:31], v[20:21]
	v_add_f64 v[131:132], v[131:132], v[136:137]
	v_add_f64 v[14:15], v[16:17], v[14:15]
	s_waitcnt lgkmcnt(1)
	v_mul_f64 v[16:17], v[6:7], v[24:25]
	v_mul_f64 v[24:25], v[8:9], v[24:25]
	v_fma_f64 v[22:23], v[2:3], v[30:31], -v[22:23]
	s_waitcnt vmcnt(21) lgkmcnt(0)
	v_mul_f64 v[30:31], v[12:13], v[32:33]
	ds_read_b128 v[2:5], v1 offset:1120
	v_add_f64 v[18:19], v[131:132], v[18:19]
	v_add_f64 v[14:15], v[14:15], v[28:29]
	v_mul_f64 v[28:29], v[10:11], v[32:33]
	s_waitcnt vmcnt(20)
	v_fma_f64 v[24:25], v[6:7], v[26:27], -v[24:25]
	v_fma_f64 v[16:17], v[8:9], v[26:27], v[16:17]
	ds_read_b128 v[6:9], v1 offset:1136
	s_waitcnt vmcnt(17)
	v_fma_f64 v[26:27], v[10:11], v[38:39], -v[30:31]
	v_add_f64 v[18:19], v[18:19], v[22:23]
	v_add_f64 v[14:15], v[14:15], v[20:21]
	s_waitcnt lgkmcnt(1)
	v_mul_f64 v[22:23], v[4:5], v[34:35]
	v_mul_f64 v[20:21], v[2:3], v[34:35]
	v_add_f64 v[18:19], v[18:19], v[24:25]
	v_fma_f64 v[24:25], v[12:13], v[38:39], v[28:29]
	v_add_f64 v[14:15], v[14:15], v[16:17]
	s_waitcnt vmcnt(13) lgkmcnt(0)
	v_mul_f64 v[28:29], v[8:9], v[40:41]
	s_waitcnt vmcnt(12)
	v_fma_f64 v[22:23], v[2:3], v[36:37], -v[22:23]
	ds_read_b128 v[10:13], v1 offset:1152
	v_mul_f64 v[16:17], v[6:7], v[40:41]
	v_fma_f64 v[20:21], v[4:5], v[36:37], v[20:21]
	ds_read_b128 v[1:4], v1 offset:1168
	v_add_f64 v[18:19], v[18:19], v[26:27]
	v_add_f64 v[14:15], v[14:15], v[24:25]
	s_waitcnt vmcnt(11) lgkmcnt(1)
	v_mul_f64 v[26:27], v[12:13], v[42:43]
	s_waitcnt vmcnt(9)
	v_fma_f64 v[5:6], v[6:7], v[121:122], -v[28:29]
	v_mul_f64 v[24:25], v[10:11], v[42:43]
	v_fma_f64 v[7:8], v[8:9], v[121:122], v[16:17]
	s_waitcnt vmcnt(7) lgkmcnt(0)
	v_mul_f64 v[16:17], v[1:2], v[123:124]
	v_add_f64 v[18:19], v[18:19], v[22:23]
	v_add_f64 v[14:15], v[14:15], v[20:21]
	v_mul_f64 v[20:21], v[3:4], v[123:124]
	s_waitcnt vmcnt(6)
	v_fma_f64 v[9:10], v[10:11], v[119:120], -v[26:27]
	v_fma_f64 v[11:12], v[12:13], v[119:120], v[24:25]
	s_waitcnt vmcnt(4)
	v_fma_f64 v[3:4], v[3:4], v[125:126], v[16:17]
	v_add_f64 v[5:6], v[18:19], v[5:6]
	v_add_f64 v[7:8], v[14:15], v[7:8]
	v_fma_f64 v[1:2], v[1:2], v[125:126], -v[20:21]
	v_add_f64 v[5:6], v[5:6], v[9:10]
	v_add_f64 v[7:8], v[7:8], v[11:12]
	;; [unrolled: 1-line block ×4, first 2 shown]
	s_waitcnt vmcnt(2)
	v_add_f64 v[1:2], v[127:128], -v[1:2]
	s_waitcnt vmcnt(0)
	v_add_f64 v[3:4], v[129:130], -v[3:4]
	buffer_store_dword v2, off, s[0:3], 0 offset:436
	buffer_store_dword v1, off, s[0:3], 0 offset:432
	;; [unrolled: 1-line block ×4, first 2 shown]
	v_cmpx_lt_u32_e32 25, v0
	s_cbranch_execz .LBB36_185
; %bb.184:
	v_mov_b32_e32 v4, s23
	v_mov_b32_e32 v5, 0
	s_clause 0x3
	buffer_load_dword v1, v4, s[0:3], 0 offen
	buffer_load_dword v2, v4, s[0:3], 0 offen offset:4
	buffer_load_dword v3, v4, s[0:3], 0 offen offset:8
	;; [unrolled: 1-line block ×3, first 2 shown]
	buffer_store_dword v5, off, s[0:3], 0 offset:416
	buffer_store_dword v5, off, s[0:3], 0 offset:420
	;; [unrolled: 1-line block ×4, first 2 shown]
	s_waitcnt vmcnt(0)
	ds_write_b128 v133, v[1:4]
.LBB36_185:
	s_or_b32 exec_lo, exec_lo, s4
	s_waitcnt lgkmcnt(0)
	s_waitcnt_vscnt null, 0x0
	s_barrier
	buffer_gl0_inv
	s_clause 0x2f
	buffer_load_dword v10, off, s[0:3], 0 offset:440
	buffer_load_dword v11, off, s[0:3], 0 offset:444
	;; [unrolled: 1-line block ×48, first 2 shown]
	v_mov_b32_e32 v1, 0
	ds_read_b128 v[2:5], v1 offset:1008
	ds_read_b128 v[6:9], v1 offset:1024
	s_mov_b32 s4, exec_lo
	s_waitcnt vmcnt(46) lgkmcnt(1)
	v_mul_f64 v[136:137], v[4:5], v[10:11]
	v_mul_f64 v[138:139], v[2:3], v[10:11]
	s_waitcnt vmcnt(44) lgkmcnt(0)
	v_mul_f64 v[140:141], v[8:9], v[14:15]
	ds_read_b128 v[10:13], v1 offset:1040
	v_mul_f64 v[14:15], v[6:7], v[14:15]
	s_waitcnt vmcnt(42)
	v_fma_f64 v[136:137], v[2:3], v[16:17], -v[136:137]
	v_fma_f64 v[16:17], v[4:5], v[16:17], v[138:139]
	ds_read_b128 v[2:5], v1 offset:1056
	s_waitcnt vmcnt(40) lgkmcnt(1)
	v_mul_f64 v[138:139], v[10:11], v[18:19]
	v_mul_f64 v[18:19], v[12:13], v[18:19]
	s_waitcnt vmcnt(38)
	v_fma_f64 v[140:141], v[6:7], v[20:21], -v[140:141]
	v_fma_f64 v[14:15], v[8:9], v[20:21], v[14:15]
	ds_read_b128 v[6:9], v1 offset:1072
	s_waitcnt vmcnt(34) lgkmcnt(1)
	v_mul_f64 v[20:21], v[2:3], v[22:23]
	v_add_f64 v[136:137], v[136:137], 0
	v_add_f64 v[16:17], v[16:17], 0
	v_mul_f64 v[22:23], v[4:5], v[22:23]
	s_waitcnt vmcnt(32)
	v_fma_f64 v[18:19], v[10:11], v[28:29], -v[18:19]
	v_fma_f64 v[28:29], v[12:13], v[28:29], v[138:139]
	ds_read_b128 v[10:13], v1 offset:1088
	s_waitcnt vmcnt(29)
	v_fma_f64 v[20:21], v[4:5], v[30:31], v[20:21]
	v_add_f64 v[136:137], v[136:137], v[140:141]
	v_add_f64 v[14:15], v[16:17], v[14:15]
	s_waitcnt lgkmcnt(1)
	v_mul_f64 v[16:17], v[6:7], v[24:25]
	v_mul_f64 v[24:25], v[8:9], v[24:25]
	v_fma_f64 v[22:23], v[2:3], v[30:31], -v[22:23]
	s_waitcnt vmcnt(25) lgkmcnt(0)
	v_mul_f64 v[30:31], v[12:13], v[32:33]
	ds_read_b128 v[2:5], v1 offset:1104
	v_add_f64 v[18:19], v[136:137], v[18:19]
	v_add_f64 v[14:15], v[14:15], v[28:29]
	v_mul_f64 v[28:29], v[10:11], v[32:33]
	s_waitcnt vmcnt(24)
	v_fma_f64 v[24:25], v[6:7], v[26:27], -v[24:25]
	v_fma_f64 v[16:17], v[8:9], v[26:27], v[16:17]
	ds_read_b128 v[6:9], v1 offset:1120
	s_waitcnt vmcnt(21)
	v_fma_f64 v[26:27], v[10:11], v[38:39], -v[30:31]
	v_add_f64 v[18:19], v[18:19], v[22:23]
	v_add_f64 v[14:15], v[14:15], v[20:21]
	s_waitcnt lgkmcnt(1)
	v_mul_f64 v[22:23], v[4:5], v[34:35]
	v_mul_f64 v[20:21], v[2:3], v[34:35]
	v_add_f64 v[18:19], v[18:19], v[24:25]
	v_fma_f64 v[24:25], v[12:13], v[38:39], v[28:29]
	v_add_f64 v[14:15], v[14:15], v[16:17]
	s_waitcnt vmcnt(17) lgkmcnt(0)
	v_mul_f64 v[28:29], v[8:9], v[40:41]
	s_waitcnt vmcnt(16)
	v_fma_f64 v[22:23], v[2:3], v[36:37], -v[22:23]
	ds_read_b128 v[10:13], v1 offset:1136
	v_mul_f64 v[16:17], v[6:7], v[40:41]
	v_fma_f64 v[20:21], v[4:5], v[36:37], v[20:21]
	ds_read_b128 v[2:5], v1 offset:1152
	v_add_f64 v[18:19], v[18:19], v[26:27]
	v_add_f64 v[14:15], v[14:15], v[24:25]
	s_waitcnt vmcnt(15) lgkmcnt(1)
	v_mul_f64 v[26:27], v[12:13], v[42:43]
	s_waitcnt vmcnt(13)
	v_fma_f64 v[28:29], v[6:7], v[121:122], -v[28:29]
	v_mul_f64 v[24:25], v[10:11], v[42:43]
	v_fma_f64 v[16:17], v[8:9], v[121:122], v[16:17]
	ds_read_b128 v[6:9], v1 offset:1168
	v_add_f64 v[18:19], v[18:19], v[22:23]
	s_waitcnt vmcnt(9) lgkmcnt(1)
	v_mul_f64 v[22:23], v[4:5], v[123:124]
	v_add_f64 v[14:15], v[14:15], v[20:21]
	s_waitcnt vmcnt(8)
	v_fma_f64 v[10:11], v[10:11], v[119:120], -v[26:27]
	v_mul_f64 v[20:21], v[2:3], v[123:124]
	v_fma_f64 v[12:13], v[12:13], v[119:120], v[24:25]
	s_waitcnt vmcnt(7) lgkmcnt(0)
	v_mul_f64 v[24:25], v[8:9], v[125:126]
	v_add_f64 v[18:19], v[18:19], v[28:29]
	s_waitcnt vmcnt(5)
	v_fma_f64 v[2:3], v[2:3], v[129:130], -v[22:23]
	v_add_f64 v[14:15], v[14:15], v[16:17]
	v_mul_f64 v[16:17], v[6:7], v[125:126]
	v_fma_f64 v[4:5], v[4:5], v[129:130], v[20:21]
	s_waitcnt vmcnt(4)
	v_fma_f64 v[6:7], v[6:7], v[127:128], -v[24:25]
	v_add_f64 v[10:11], v[18:19], v[10:11]
	v_add_f64 v[12:13], v[14:15], v[12:13]
	v_fma_f64 v[8:9], v[8:9], v[127:128], v[16:17]
	v_add_f64 v[2:3], v[10:11], v[2:3]
	v_add_f64 v[4:5], v[12:13], v[4:5]
	;; [unrolled: 1-line block ×4, first 2 shown]
	s_waitcnt vmcnt(2)
	v_add_f64 v[2:3], v[131:132], -v[2:3]
	s_waitcnt vmcnt(0)
	v_add_f64 v[4:5], v[134:135], -v[4:5]
	buffer_store_dword v3, off, s[0:3], 0 offset:420
	buffer_store_dword v2, off, s[0:3], 0 offset:416
	;; [unrolled: 1-line block ×4, first 2 shown]
	v_cmpx_lt_u32_e32 24, v0
	s_cbranch_execz .LBB36_187
; %bb.186:
	v_mov_b32_e32 v5, s24
	s_clause 0x3
	buffer_load_dword v2, v5, s[0:3], 0 offen
	buffer_load_dword v3, v5, s[0:3], 0 offen offset:4
	buffer_load_dword v4, v5, s[0:3], 0 offen offset:8
	;; [unrolled: 1-line block ×3, first 2 shown]
	buffer_store_dword v1, off, s[0:3], 0 offset:400
	buffer_store_dword v1, off, s[0:3], 0 offset:404
	;; [unrolled: 1-line block ×4, first 2 shown]
	s_waitcnt vmcnt(0)
	ds_write_b128 v133, v[2:5]
.LBB36_187:
	s_or_b32 exec_lo, exec_lo, s4
	s_waitcnt lgkmcnt(0)
	s_waitcnt_vscnt null, 0x0
	s_barrier
	buffer_gl0_inv
	s_clause 0x2f
	buffer_load_dword v10, off, s[0:3], 0 offset:424
	buffer_load_dword v11, off, s[0:3], 0 offset:428
	;; [unrolled: 1-line block ×48, first 2 shown]
	ds_read_b128 v[2:5], v1 offset:992
	s_clause 0x3
	buffer_load_dword v136, off, s[0:3], 0 offset:400
	buffer_load_dword v137, off, s[0:3], 0 offset:404
	;; [unrolled: 1-line block ×4, first 2 shown]
	ds_read_b128 v[6:9], v1 offset:1008
	s_mov_b32 s4, exec_lo
	s_waitcnt vmcnt(50) lgkmcnt(1)
	v_mul_f64 v[140:141], v[4:5], v[10:11]
	v_mul_f64 v[142:143], v[2:3], v[10:11]
	ds_read_b128 v[10:13], v1 offset:1024
	s_waitcnt vmcnt(48) lgkmcnt(1)
	v_mul_f64 v[144:145], v[8:9], v[14:15]
	v_mul_f64 v[14:15], v[6:7], v[14:15]
	s_waitcnt vmcnt(46)
	v_fma_f64 v[140:141], v[2:3], v[16:17], -v[140:141]
	v_fma_f64 v[16:17], v[4:5], v[16:17], v[142:143]
	s_waitcnt vmcnt(44) lgkmcnt(0)
	v_mul_f64 v[142:143], v[10:11], v[18:19]
	v_mul_f64 v[18:19], v[12:13], v[18:19]
	s_waitcnt vmcnt(42)
	v_fma_f64 v[144:145], v[6:7], v[20:21], -v[144:145]
	ds_read_b128 v[2:5], v1 offset:1040
	v_fma_f64 v[14:15], v[8:9], v[20:21], v[14:15]
	ds_read_b128 v[6:9], v1 offset:1056
	v_add_f64 v[140:141], v[140:141], 0
	v_add_f64 v[16:17], v[16:17], 0
	s_waitcnt vmcnt(38) lgkmcnt(1)
	v_mul_f64 v[20:21], v[2:3], v[22:23]
	v_mul_f64 v[22:23], v[4:5], v[22:23]
	s_waitcnt vmcnt(36)
	v_fma_f64 v[18:19], v[10:11], v[28:29], -v[18:19]
	v_fma_f64 v[28:29], v[12:13], v[28:29], v[142:143]
	ds_read_b128 v[10:13], v1 offset:1072
	v_add_f64 v[140:141], v[140:141], v[144:145]
	v_add_f64 v[14:15], v[16:17], v[14:15]
	s_waitcnt vmcnt(35) lgkmcnt(1)
	v_mul_f64 v[16:17], v[6:7], v[24:25]
	v_mul_f64 v[24:25], v[8:9], v[24:25]
	s_waitcnt vmcnt(33)
	v_fma_f64 v[22:23], v[2:3], v[30:31], -v[22:23]
	v_fma_f64 v[20:21], v[4:5], v[30:31], v[20:21]
	ds_read_b128 v[2:5], v1 offset:1088
	s_waitcnt vmcnt(29) lgkmcnt(1)
	v_mul_f64 v[30:31], v[12:13], v[32:33]
	v_add_f64 v[18:19], v[140:141], v[18:19]
	v_add_f64 v[14:15], v[14:15], v[28:29]
	v_mul_f64 v[28:29], v[10:11], v[32:33]
	s_waitcnt vmcnt(28)
	v_fma_f64 v[24:25], v[6:7], v[26:27], -v[24:25]
	v_fma_f64 v[16:17], v[8:9], v[26:27], v[16:17]
	ds_read_b128 v[6:9], v1 offset:1104
	s_waitcnt vmcnt(25)
	v_fma_f64 v[26:27], v[10:11], v[38:39], -v[30:31]
	v_add_f64 v[18:19], v[18:19], v[22:23]
	v_add_f64 v[14:15], v[14:15], v[20:21]
	s_waitcnt lgkmcnt(1)
	v_mul_f64 v[22:23], v[4:5], v[34:35]
	v_mul_f64 v[20:21], v[2:3], v[34:35]
	v_add_f64 v[18:19], v[18:19], v[24:25]
	v_fma_f64 v[24:25], v[12:13], v[38:39], v[28:29]
	v_add_f64 v[14:15], v[14:15], v[16:17]
	ds_read_b128 v[10:13], v1 offset:1120
	s_waitcnt vmcnt(21) lgkmcnt(1)
	v_mul_f64 v[28:29], v[8:9], v[40:41]
	s_waitcnt vmcnt(20)
	v_fma_f64 v[22:23], v[2:3], v[36:37], -v[22:23]
	v_mul_f64 v[16:17], v[6:7], v[40:41]
	v_fma_f64 v[20:21], v[4:5], v[36:37], v[20:21]
	ds_read_b128 v[2:5], v1 offset:1136
	v_add_f64 v[18:19], v[18:19], v[26:27]
	s_waitcnt vmcnt(19) lgkmcnt(1)
	v_mul_f64 v[26:27], v[12:13], v[42:43]
	v_add_f64 v[14:15], v[14:15], v[24:25]
	v_mul_f64 v[24:25], v[10:11], v[42:43]
	s_waitcnt vmcnt(17)
	v_fma_f64 v[28:29], v[6:7], v[121:122], -v[28:29]
	v_fma_f64 v[16:17], v[8:9], v[121:122], v[16:17]
	ds_read_b128 v[6:9], v1 offset:1152
	v_add_f64 v[18:19], v[18:19], v[22:23]
	s_waitcnt vmcnt(13) lgkmcnt(1)
	v_mul_f64 v[22:23], v[4:5], v[123:124]
	v_add_f64 v[14:15], v[14:15], v[20:21]
	s_waitcnt vmcnt(12)
	v_fma_f64 v[26:27], v[10:11], v[119:120], -v[26:27]
	v_mul_f64 v[20:21], v[2:3], v[123:124]
	v_fma_f64 v[24:25], v[12:13], v[119:120], v[24:25]
	ds_read_b128 v[10:13], v1 offset:1168
	v_add_f64 v[18:19], v[18:19], v[28:29]
	s_waitcnt vmcnt(11) lgkmcnt(1)
	v_mul_f64 v[28:29], v[8:9], v[125:126]
	v_add_f64 v[14:15], v[14:15], v[16:17]
	s_waitcnt vmcnt(9)
	v_fma_f64 v[1:2], v[2:3], v[129:130], -v[22:23]
	v_mul_f64 v[16:17], v[6:7], v[125:126]
	v_fma_f64 v[3:4], v[4:5], v[129:130], v[20:21]
	s_waitcnt vmcnt(7) lgkmcnt(0)
	v_mul_f64 v[22:23], v[12:13], v[131:132]
	v_mul_f64 v[20:21], v[10:11], v[131:132]
	v_add_f64 v[18:19], v[18:19], v[26:27]
	s_waitcnt vmcnt(6)
	v_fma_f64 v[5:6], v[6:7], v[127:128], -v[28:29]
	v_add_f64 v[14:15], v[14:15], v[24:25]
	v_fma_f64 v[7:8], v[8:9], v[127:128], v[16:17]
	s_waitcnt vmcnt(4)
	v_fma_f64 v[9:10], v[10:11], v[134:135], -v[22:23]
	v_add_f64 v[1:2], v[18:19], v[1:2]
	v_add_f64 v[3:4], v[14:15], v[3:4]
	;; [unrolled: 1-line block ×3, first 2 shown]
	v_fma_f64 v[5:6], v[12:13], v[134:135], v[20:21]
	v_add_f64 v[3:4], v[3:4], v[7:8]
	v_add_f64 v[1:2], v[1:2], v[9:10]
	;; [unrolled: 1-line block ×3, first 2 shown]
	s_waitcnt vmcnt(2)
	v_add_f64 v[1:2], v[136:137], -v[1:2]
	s_waitcnt vmcnt(0)
	v_add_f64 v[3:4], v[138:139], -v[3:4]
	buffer_store_dword v2, off, s[0:3], 0 offset:404
	buffer_store_dword v1, off, s[0:3], 0 offset:400
	;; [unrolled: 1-line block ×4, first 2 shown]
	v_cmpx_lt_u32_e32 23, v0
	s_cbranch_execz .LBB36_189
; %bb.188:
	v_mov_b32_e32 v4, s25
	v_mov_b32_e32 v5, 0
	s_clause 0x3
	buffer_load_dword v1, v4, s[0:3], 0 offen
	buffer_load_dword v2, v4, s[0:3], 0 offen offset:4
	buffer_load_dword v3, v4, s[0:3], 0 offen offset:8
	;; [unrolled: 1-line block ×3, first 2 shown]
	buffer_store_dword v5, off, s[0:3], 0 offset:384
	buffer_store_dword v5, off, s[0:3], 0 offset:388
	;; [unrolled: 1-line block ×4, first 2 shown]
	s_waitcnt vmcnt(0)
	ds_write_b128 v133, v[1:4]
.LBB36_189:
	s_or_b32 exec_lo, exec_lo, s4
	s_waitcnt lgkmcnt(0)
	s_waitcnt_vscnt null, 0x0
	s_barrier
	buffer_gl0_inv
	s_clause 0x33
	buffer_load_dword v10, off, s[0:3], 0 offset:408
	buffer_load_dword v11, off, s[0:3], 0 offset:412
	;; [unrolled: 1-line block ×52, first 2 shown]
	v_mov_b32_e32 v1, 0
	ds_read_b128 v[2:5], v1 offset:976
	ds_read_b128 v[6:9], v1 offset:992
	s_clause 0x3
	buffer_load_dword v144, off, s[0:3], 0 offset:384
	buffer_load_dword v145, off, s[0:3], 0 offset:388
	;; [unrolled: 1-line block ×4, first 2 shown]
	s_mov_b32 s4, exec_lo
	s_waitcnt vmcnt(54) lgkmcnt(1)
	v_mul_f64 v[140:141], v[4:5], v[10:11]
	v_mul_f64 v[142:143], v[2:3], v[10:11]
	s_waitcnt vmcnt(52) lgkmcnt(0)
	v_mul_f64 v[148:149], v[8:9], v[14:15]
	ds_read_b128 v[10:13], v1 offset:1008
	v_mul_f64 v[14:15], v[6:7], v[14:15]
	s_waitcnt vmcnt(50)
	v_fma_f64 v[140:141], v[2:3], v[16:17], -v[140:141]
	v_fma_f64 v[16:17], v[4:5], v[16:17], v[142:143]
	ds_read_b128 v[2:5], v1 offset:1024
	s_waitcnt vmcnt(48) lgkmcnt(1)
	v_mul_f64 v[142:143], v[10:11], v[18:19]
	v_mul_f64 v[18:19], v[12:13], v[18:19]
	s_waitcnt vmcnt(46)
	v_fma_f64 v[148:149], v[6:7], v[20:21], -v[148:149]
	v_fma_f64 v[14:15], v[8:9], v[20:21], v[14:15]
	ds_read_b128 v[6:9], v1 offset:1040
	s_waitcnt vmcnt(42) lgkmcnt(1)
	v_mul_f64 v[20:21], v[2:3], v[22:23]
	v_add_f64 v[140:141], v[140:141], 0
	v_add_f64 v[16:17], v[16:17], 0
	v_mul_f64 v[22:23], v[4:5], v[22:23]
	s_waitcnt vmcnt(40)
	v_fma_f64 v[18:19], v[10:11], v[28:29], -v[18:19]
	v_fma_f64 v[28:29], v[12:13], v[28:29], v[142:143]
	ds_read_b128 v[10:13], v1 offset:1056
	s_waitcnt vmcnt(37)
	v_fma_f64 v[20:21], v[4:5], v[30:31], v[20:21]
	v_add_f64 v[140:141], v[140:141], v[148:149]
	v_add_f64 v[14:15], v[16:17], v[14:15]
	s_waitcnt lgkmcnt(1)
	v_mul_f64 v[16:17], v[6:7], v[24:25]
	v_mul_f64 v[24:25], v[8:9], v[24:25]
	v_fma_f64 v[22:23], v[2:3], v[30:31], -v[22:23]
	s_waitcnt vmcnt(33) lgkmcnt(0)
	v_mul_f64 v[30:31], v[12:13], v[32:33]
	ds_read_b128 v[2:5], v1 offset:1072
	v_add_f64 v[18:19], v[140:141], v[18:19]
	v_add_f64 v[14:15], v[14:15], v[28:29]
	v_mul_f64 v[28:29], v[10:11], v[32:33]
	s_waitcnt vmcnt(32)
	v_fma_f64 v[24:25], v[6:7], v[26:27], -v[24:25]
	v_fma_f64 v[16:17], v[8:9], v[26:27], v[16:17]
	ds_read_b128 v[6:9], v1 offset:1088
	s_waitcnt vmcnt(29)
	v_fma_f64 v[26:27], v[10:11], v[38:39], -v[30:31]
	v_add_f64 v[18:19], v[18:19], v[22:23]
	v_add_f64 v[14:15], v[14:15], v[20:21]
	s_waitcnt lgkmcnt(1)
	v_mul_f64 v[22:23], v[4:5], v[34:35]
	v_mul_f64 v[20:21], v[2:3], v[34:35]
	v_add_f64 v[18:19], v[18:19], v[24:25]
	v_fma_f64 v[24:25], v[12:13], v[38:39], v[28:29]
	v_add_f64 v[14:15], v[14:15], v[16:17]
	s_waitcnt vmcnt(25) lgkmcnt(0)
	v_mul_f64 v[28:29], v[8:9], v[40:41]
	s_waitcnt vmcnt(24)
	v_fma_f64 v[22:23], v[2:3], v[36:37], -v[22:23]
	ds_read_b128 v[10:13], v1 offset:1104
	v_mul_f64 v[16:17], v[6:7], v[40:41]
	v_fma_f64 v[20:21], v[4:5], v[36:37], v[20:21]
	ds_read_b128 v[2:5], v1 offset:1120
	v_add_f64 v[18:19], v[18:19], v[26:27]
	v_add_f64 v[14:15], v[14:15], v[24:25]
	s_waitcnt vmcnt(23) lgkmcnt(1)
	v_mul_f64 v[26:27], v[12:13], v[42:43]
	s_waitcnt vmcnt(21)
	v_fma_f64 v[28:29], v[6:7], v[121:122], -v[28:29]
	v_mul_f64 v[24:25], v[10:11], v[42:43]
	v_fma_f64 v[16:17], v[8:9], v[121:122], v[16:17]
	ds_read_b128 v[6:9], v1 offset:1136
	v_add_f64 v[18:19], v[18:19], v[22:23]
	s_waitcnt vmcnt(17) lgkmcnt(1)
	v_mul_f64 v[22:23], v[4:5], v[123:124]
	v_add_f64 v[14:15], v[14:15], v[20:21]
	s_waitcnt vmcnt(16)
	v_fma_f64 v[26:27], v[10:11], v[119:120], -v[26:27]
	v_mul_f64 v[20:21], v[2:3], v[123:124]
	v_fma_f64 v[24:25], v[12:13], v[119:120], v[24:25]
	ds_read_b128 v[10:13], v1 offset:1152
	v_add_f64 v[18:19], v[18:19], v[28:29]
	s_waitcnt vmcnt(15) lgkmcnt(1)
	v_mul_f64 v[28:29], v[8:9], v[125:126]
	v_add_f64 v[14:15], v[14:15], v[16:17]
	;; [unrolled: 9-line block ×3, first 2 shown]
	s_waitcnt vmcnt(8)
	v_fma_f64 v[6:7], v[6:7], v[127:128], -v[28:29]
	v_mul_f64 v[24:25], v[10:11], v[131:132]
	v_fma_f64 v[8:9], v[8:9], v[127:128], v[16:17]
	s_waitcnt vmcnt(7) lgkmcnt(0)
	v_mul_f64 v[16:17], v[2:3], v[134:135]
	v_add_f64 v[18:19], v[18:19], v[22:23]
	s_waitcnt vmcnt(5)
	v_fma_f64 v[10:11], v[10:11], v[138:139], -v[26:27]
	v_add_f64 v[14:15], v[14:15], v[20:21]
	v_mul_f64 v[20:21], v[4:5], v[134:135]
	v_fma_f64 v[12:13], v[12:13], v[138:139], v[24:25]
	s_waitcnt vmcnt(4)
	v_fma_f64 v[4:5], v[4:5], v[136:137], v[16:17]
	v_add_f64 v[6:7], v[18:19], v[6:7]
	v_add_f64 v[8:9], v[14:15], v[8:9]
	v_fma_f64 v[2:3], v[2:3], v[136:137], -v[20:21]
	v_add_f64 v[6:7], v[6:7], v[10:11]
	v_add_f64 v[8:9], v[8:9], v[12:13]
	;; [unrolled: 1-line block ×4, first 2 shown]
	s_waitcnt vmcnt(2)
	v_add_f64 v[2:3], v[144:145], -v[2:3]
	s_waitcnt vmcnt(0)
	v_add_f64 v[4:5], v[146:147], -v[4:5]
	buffer_store_dword v3, off, s[0:3], 0 offset:388
	buffer_store_dword v2, off, s[0:3], 0 offset:384
	buffer_store_dword v5, off, s[0:3], 0 offset:396
	buffer_store_dword v4, off, s[0:3], 0 offset:392
	v_cmpx_lt_u32_e32 22, v0
	s_cbranch_execz .LBB36_191
; %bb.190:
	v_mov_b32_e32 v5, s26
	s_clause 0x3
	buffer_load_dword v2, v5, s[0:3], 0 offen
	buffer_load_dword v3, v5, s[0:3], 0 offen offset:4
	buffer_load_dword v4, v5, s[0:3], 0 offen offset:8
	;; [unrolled: 1-line block ×3, first 2 shown]
	buffer_store_dword v1, off, s[0:3], 0 offset:368
	buffer_store_dword v1, off, s[0:3], 0 offset:372
	;; [unrolled: 1-line block ×4, first 2 shown]
	s_waitcnt vmcnt(0)
	ds_write_b128 v133, v[2:5]
.LBB36_191:
	s_or_b32 exec_lo, exec_lo, s4
	s_waitcnt lgkmcnt(0)
	s_waitcnt_vscnt null, 0x0
	s_barrier
	buffer_gl0_inv
	s_clause 0x35
	buffer_load_dword v10, off, s[0:3], 0 offset:392
	buffer_load_dword v11, off, s[0:3], 0 offset:396
	;; [unrolled: 1-line block ×54, first 2 shown]
	ds_read_b128 v[2:5], v1 offset:960
	s_clause 0x1
	buffer_load_dword v143, off, s[0:3], 0 offset:596
	buffer_load_dword v142, off, s[0:3], 0 offset:592
	ds_read_b128 v[6:9], v1 offset:976
	s_mov_b32 s4, exec_lo
	s_waitcnt vmcnt(54) lgkmcnt(1)
	v_mul_f64 v[144:145], v[4:5], v[10:11]
	v_mul_f64 v[146:147], v[2:3], v[10:11]
	ds_read_b128 v[10:13], v1 offset:992
	s_waitcnt vmcnt(52) lgkmcnt(1)
	v_mul_f64 v[148:149], v[8:9], v[14:15]
	v_mul_f64 v[14:15], v[6:7], v[14:15]
	s_waitcnt vmcnt(48) lgkmcnt(0)
	v_mul_f64 v[152:153], v[10:11], v[18:19]
	v_fma_f64 v[144:145], v[2:3], v[16:17], -v[144:145]
	v_fma_f64 v[16:17], v[4:5], v[16:17], v[146:147]
	s_clause 0x3
	buffer_load_dword v146, off, s[0:3], 0 offset:368
	buffer_load_dword v147, off, s[0:3], 0 offset:372
	buffer_load_dword v150, off, s[0:3], 0 offset:376
	buffer_load_dword v151, off, s[0:3], 0 offset:380
	v_mul_f64 v[18:19], v[12:13], v[18:19]
	s_waitcnt vmcnt(50)
	v_fma_f64 v[148:149], v[6:7], v[20:21], -v[148:149]
	ds_read_b128 v[2:5], v1 offset:1008
	v_fma_f64 v[14:15], v[8:9], v[20:21], v[14:15]
	ds_read_b128 v[6:9], v1 offset:1024
	v_add_f64 v[144:145], v[144:145], 0
	v_add_f64 v[16:17], v[16:17], 0
	s_waitcnt vmcnt(46) lgkmcnt(1)
	v_mul_f64 v[20:21], v[2:3], v[22:23]
	v_mul_f64 v[22:23], v[4:5], v[22:23]
	s_waitcnt vmcnt(44)
	v_fma_f64 v[18:19], v[10:11], v[28:29], -v[18:19]
	v_fma_f64 v[28:29], v[12:13], v[28:29], v[152:153]
	ds_read_b128 v[10:13], v1 offset:1040
	v_add_f64 v[144:145], v[144:145], v[148:149]
	v_add_f64 v[14:15], v[16:17], v[14:15]
	s_waitcnt vmcnt(43) lgkmcnt(1)
	v_mul_f64 v[16:17], v[6:7], v[24:25]
	v_mul_f64 v[24:25], v[8:9], v[24:25]
	s_waitcnt vmcnt(41)
	v_fma_f64 v[22:23], v[2:3], v[30:31], -v[22:23]
	v_fma_f64 v[20:21], v[4:5], v[30:31], v[20:21]
	ds_read_b128 v[2:5], v1 offset:1056
	s_waitcnt vmcnt(37) lgkmcnt(1)
	v_mul_f64 v[30:31], v[12:13], v[32:33]
	v_add_f64 v[18:19], v[144:145], v[18:19]
	v_add_f64 v[14:15], v[14:15], v[28:29]
	v_mul_f64 v[28:29], v[10:11], v[32:33]
	s_waitcnt vmcnt(36)
	v_fma_f64 v[24:25], v[6:7], v[26:27], -v[24:25]
	v_fma_f64 v[16:17], v[8:9], v[26:27], v[16:17]
	ds_read_b128 v[6:9], v1 offset:1072
	s_waitcnt vmcnt(33)
	v_fma_f64 v[26:27], v[10:11], v[38:39], -v[30:31]
	v_add_f64 v[18:19], v[18:19], v[22:23]
	v_add_f64 v[14:15], v[14:15], v[20:21]
	s_waitcnt lgkmcnt(1)
	v_mul_f64 v[22:23], v[4:5], v[34:35]
	v_mul_f64 v[20:21], v[2:3], v[34:35]
	v_add_f64 v[18:19], v[18:19], v[24:25]
	v_fma_f64 v[24:25], v[12:13], v[38:39], v[28:29]
	v_add_f64 v[14:15], v[14:15], v[16:17]
	ds_read_b128 v[10:13], v1 offset:1088
	s_waitcnt vmcnt(29) lgkmcnt(1)
	v_mul_f64 v[28:29], v[8:9], v[40:41]
	s_waitcnt vmcnt(28)
	v_fma_f64 v[22:23], v[2:3], v[36:37], -v[22:23]
	v_mul_f64 v[16:17], v[6:7], v[40:41]
	v_fma_f64 v[20:21], v[4:5], v[36:37], v[20:21]
	ds_read_b128 v[2:5], v1 offset:1104
	v_add_f64 v[18:19], v[18:19], v[26:27]
	s_waitcnt vmcnt(27) lgkmcnt(1)
	v_mul_f64 v[26:27], v[12:13], v[42:43]
	v_add_f64 v[14:15], v[14:15], v[24:25]
	v_mul_f64 v[24:25], v[10:11], v[42:43]
	s_waitcnt vmcnt(25)
	v_fma_f64 v[28:29], v[6:7], v[121:122], -v[28:29]
	v_fma_f64 v[16:17], v[8:9], v[121:122], v[16:17]
	ds_read_b128 v[6:9], v1 offset:1120
	v_add_f64 v[18:19], v[18:19], v[22:23]
	s_waitcnt vmcnt(21) lgkmcnt(1)
	v_mul_f64 v[22:23], v[4:5], v[123:124]
	v_add_f64 v[14:15], v[14:15], v[20:21]
	s_waitcnt vmcnt(20)
	v_fma_f64 v[26:27], v[10:11], v[119:120], -v[26:27]
	v_mul_f64 v[20:21], v[2:3], v[123:124]
	v_fma_f64 v[24:25], v[12:13], v[119:120], v[24:25]
	ds_read_b128 v[10:13], v1 offset:1136
	v_add_f64 v[18:19], v[18:19], v[28:29]
	s_waitcnt vmcnt(19) lgkmcnt(1)
	v_mul_f64 v[28:29], v[8:9], v[125:126]
	v_add_f64 v[14:15], v[14:15], v[16:17]
	s_waitcnt vmcnt(17)
	v_fma_f64 v[22:23], v[2:3], v[129:130], -v[22:23]
	v_mul_f64 v[16:17], v[6:7], v[125:126]
	;; [unrolled: 9-line block ×4, first 2 shown]
	v_fma_f64 v[12:13], v[12:13], v[138:139], v[24:25]
	s_waitcnt vmcnt(7) lgkmcnt(0)
	v_mul_f64 v[24:25], v[8:9], v[140:141]
	v_add_f64 v[18:19], v[18:19], v[28:29]
	s_waitcnt vmcnt(6)
	v_fma_f64 v[1:2], v[2:3], v[136:137], -v[22:23]
	v_add_f64 v[14:15], v[14:15], v[16:17]
	v_mul_f64 v[16:17], v[6:7], v[140:141]
	v_fma_f64 v[3:4], v[4:5], v[136:137], v[20:21]
	s_waitcnt vmcnt(4)
	v_fma_f64 v[5:6], v[6:7], v[142:143], -v[24:25]
	v_add_f64 v[10:11], v[18:19], v[10:11]
	v_add_f64 v[12:13], v[14:15], v[12:13]
	v_fma_f64 v[7:8], v[8:9], v[142:143], v[16:17]
	v_add_f64 v[1:2], v[10:11], v[1:2]
	v_add_f64 v[3:4], v[12:13], v[3:4]
	;; [unrolled: 1-line block ×4, first 2 shown]
	s_waitcnt vmcnt(2)
	v_add_f64 v[1:2], v[146:147], -v[1:2]
	s_waitcnt vmcnt(0)
	v_add_f64 v[3:4], v[150:151], -v[3:4]
	buffer_store_dword v2, off, s[0:3], 0 offset:372
	buffer_store_dword v1, off, s[0:3], 0 offset:368
	;; [unrolled: 1-line block ×4, first 2 shown]
	v_cmpx_lt_u32_e32 21, v0
	s_cbranch_execz .LBB36_193
; %bb.192:
	v_mov_b32_e32 v4, s27
	v_mov_b32_e32 v5, 0
	s_clause 0x3
	buffer_load_dword v1, v4, s[0:3], 0 offen
	buffer_load_dword v2, v4, s[0:3], 0 offen offset:4
	buffer_load_dword v3, v4, s[0:3], 0 offen offset:8
	;; [unrolled: 1-line block ×3, first 2 shown]
	buffer_store_dword v5, off, s[0:3], 0 offset:352
	buffer_store_dword v5, off, s[0:3], 0 offset:356
	;; [unrolled: 1-line block ×4, first 2 shown]
	s_waitcnt vmcnt(0)
	ds_write_b128 v133, v[1:4]
.LBB36_193:
	s_or_b32 exec_lo, exec_lo, s4
	s_waitcnt lgkmcnt(0)
	s_waitcnt_vscnt null, 0x0
	s_barrier
	buffer_gl0_inv
	s_clause 0x37
	buffer_load_dword v10, off, s[0:3], 0 offset:376
	buffer_load_dword v11, off, s[0:3], 0 offset:380
	;; [unrolled: 1-line block ×56, first 2 shown]
	v_mov_b32_e32 v1, 0
	s_mov_b32 s4, exec_lo
	ds_read_b128 v[2:5], v1 offset:944
	s_clause 0x2
	buffer_load_dword v143, off, s[0:3], 0 offset:604
	buffer_load_dword v147, off, s[0:3], 0 offset:580
	;; [unrolled: 1-line block ×3, first 2 shown]
	ds_read_b128 v[6:9], v1 offset:960
	buffer_load_dword v145, off, s[0:3], 0 offset:596
	s_waitcnt vmcnt(58) lgkmcnt(1)
	v_mul_f64 v[148:149], v[4:5], v[10:11]
	v_mul_f64 v[150:151], v[2:3], v[10:11]
	ds_read_b128 v[10:13], v1 offset:976
	s_waitcnt vmcnt(56) lgkmcnt(1)
	v_mul_f64 v[152:153], v[8:9], v[14:15]
	v_mul_f64 v[14:15], v[6:7], v[14:15]
	s_waitcnt vmcnt(54)
	v_fma_f64 v[148:149], v[2:3], v[16:17], -v[148:149]
	v_fma_f64 v[16:17], v[4:5], v[16:17], v[150:151]
	s_waitcnt vmcnt(52) lgkmcnt(0)
	v_mul_f64 v[150:151], v[10:11], v[18:19]
	v_mul_f64 v[18:19], v[12:13], v[18:19]
	s_waitcnt vmcnt(50)
	v_fma_f64 v[152:153], v[6:7], v[20:21], -v[152:153]
	ds_read_b128 v[2:5], v1 offset:992
	v_fma_f64 v[14:15], v[8:9], v[20:21], v[14:15]
	s_clause 0x3
	buffer_load_dword v20, off, s[0:3], 0 offset:352
	buffer_load_dword v21, off, s[0:3], 0 offset:356
	buffer_load_dword v154, off, s[0:3], 0 offset:360
	buffer_load_dword v155, off, s[0:3], 0 offset:364
	ds_read_b128 v[6:9], v1 offset:1008
	v_add_f64 v[148:149], v[148:149], 0
	v_add_f64 v[16:17], v[16:17], 0
	s_waitcnt vmcnt(50) lgkmcnt(1)
	v_mul_f64 v[156:157], v[2:3], v[22:23]
	v_mul_f64 v[22:23], v[4:5], v[22:23]
	s_waitcnt vmcnt(48)
	v_fma_f64 v[18:19], v[10:11], v[28:29], -v[18:19]
	v_fma_f64 v[28:29], v[12:13], v[28:29], v[150:151]
	ds_read_b128 v[10:13], v1 offset:1024
	v_add_f64 v[148:149], v[148:149], v[152:153]
	v_add_f64 v[14:15], v[16:17], v[14:15]
	s_waitcnt vmcnt(47) lgkmcnt(1)
	v_mul_f64 v[16:17], v[6:7], v[24:25]
	v_mul_f64 v[24:25], v[8:9], v[24:25]
	s_waitcnt vmcnt(45)
	v_fma_f64 v[22:23], v[2:3], v[30:31], -v[22:23]
	v_fma_f64 v[30:31], v[4:5], v[30:31], v[156:157]
	;; [unrolled: 9-line block ×3, first 2 shown]
	ds_read_b128 v[6:9], v1 offset:1056
	s_waitcnt vmcnt(39) lgkmcnt(1)
	v_mul_f64 v[26:27], v[4:5], v[34:35]
	v_add_f64 v[18:19], v[18:19], v[22:23]
	v_add_f64 v[14:15], v[14:15], v[30:31]
	v_mul_f64 v[22:23], v[2:3], v[34:35]
	s_waitcnt vmcnt(37)
	v_fma_f64 v[30:31], v[10:11], v[38:39], -v[32:33]
	s_waitcnt vmcnt(32)
	v_fma_f64 v[26:27], v[2:3], v[36:37], -v[26:27]
	v_add_f64 v[18:19], v[18:19], v[24:25]
	v_fma_f64 v[24:25], v[12:13], v[38:39], v[28:29]
	v_add_f64 v[14:15], v[14:15], v[16:17]
	s_waitcnt lgkmcnt(0)
	v_mul_f64 v[28:29], v[8:9], v[40:41]
	ds_read_b128 v[10:13], v1 offset:1072
	v_mul_f64 v[16:17], v[6:7], v[40:41]
	v_fma_f64 v[22:23], v[4:5], v[36:37], v[22:23]
	ds_read_b128 v[2:5], v1 offset:1088
	v_add_f64 v[18:19], v[18:19], v[30:31]
	v_add_f64 v[14:15], v[14:15], v[24:25]
	s_waitcnt vmcnt(31) lgkmcnt(1)
	v_mul_f64 v[30:31], v[12:13], v[42:43]
	s_waitcnt vmcnt(29)
	v_fma_f64 v[28:29], v[6:7], v[121:122], -v[28:29]
	v_mul_f64 v[24:25], v[10:11], v[42:43]
	v_fma_f64 v[16:17], v[8:9], v[121:122], v[16:17]
	ds_read_b128 v[6:9], v1 offset:1104
	v_add_f64 v[18:19], v[18:19], v[26:27]
	s_waitcnt vmcnt(25) lgkmcnt(1)
	v_mul_f64 v[26:27], v[4:5], v[123:124]
	v_add_f64 v[14:15], v[14:15], v[22:23]
	s_waitcnt vmcnt(24)
	v_fma_f64 v[30:31], v[10:11], v[119:120], -v[30:31]
	v_mul_f64 v[22:23], v[2:3], v[123:124]
	v_fma_f64 v[24:25], v[12:13], v[119:120], v[24:25]
	ds_read_b128 v[10:13], v1 offset:1120
	v_add_f64 v[18:19], v[18:19], v[28:29]
	s_waitcnt vmcnt(23) lgkmcnt(1)
	v_mul_f64 v[28:29], v[8:9], v[125:126]
	v_add_f64 v[14:15], v[14:15], v[16:17]
	;; [unrolled: 9-line block ×5, first 2 shown]
	s_waitcnt vmcnt(8)
	v_fma_f64 v[2:3], v[2:3], v[136:137], -v[26:27]
	v_mul_f64 v[16:17], v[6:7], v[140:141]
	v_fma_f64 v[4:5], v[4:5], v[136:137], v[22:23]
	s_waitcnt vmcnt(7) lgkmcnt(0)
	v_mul_f64 v[22:23], v[10:11], v[142:143]
	v_add_f64 v[18:19], v[18:19], v[30:31]
	s_waitcnt vmcnt(5)
	v_fma_f64 v[6:7], v[6:7], v[146:147], -v[28:29]
	v_add_f64 v[14:15], v[14:15], v[24:25]
	v_mul_f64 v[24:25], v[12:13], v[142:143]
	v_fma_f64 v[8:9], v[8:9], v[146:147], v[16:17]
	v_add_f64 v[2:3], v[18:19], v[2:3]
	v_add_f64 v[4:5], v[14:15], v[4:5]
	s_waitcnt vmcnt(4)
	v_fma_f64 v[10:11], v[10:11], v[144:145], -v[24:25]
	v_add_f64 v[2:3], v[2:3], v[6:7]
	v_fma_f64 v[6:7], v[12:13], v[144:145], v[22:23]
	v_add_f64 v[4:5], v[4:5], v[8:9]
	v_add_f64 v[2:3], v[2:3], v[10:11]
	;; [unrolled: 1-line block ×3, first 2 shown]
	s_waitcnt vmcnt(2)
	v_add_f64 v[2:3], v[20:21], -v[2:3]
	s_waitcnt vmcnt(0)
	v_add_f64 v[4:5], v[154:155], -v[4:5]
	buffer_store_dword v3, off, s[0:3], 0 offset:356
	buffer_store_dword v2, off, s[0:3], 0 offset:352
	;; [unrolled: 1-line block ×4, first 2 shown]
	v_cmpx_lt_u32_e32 20, v0
	s_cbranch_execz .LBB36_195
; %bb.194:
	v_mov_b32_e32 v5, s28
	s_clause 0x3
	buffer_load_dword v2, v5, s[0:3], 0 offen
	buffer_load_dword v3, v5, s[0:3], 0 offen offset:4
	buffer_load_dword v4, v5, s[0:3], 0 offen offset:8
	;; [unrolled: 1-line block ×3, first 2 shown]
	buffer_store_dword v1, off, s[0:3], 0 offset:336
	buffer_store_dword v1, off, s[0:3], 0 offset:340
	;; [unrolled: 1-line block ×4, first 2 shown]
	s_waitcnt vmcnt(0)
	ds_write_b128 v133, v[2:5]
.LBB36_195:
	s_or_b32 exec_lo, exec_lo, s4
	s_waitcnt lgkmcnt(0)
	s_waitcnt_vscnt null, 0x0
	s_barrier
	buffer_gl0_inv
	s_clause 0x37
	buffer_load_dword v10, off, s[0:3], 0 offset:360
	buffer_load_dword v11, off, s[0:3], 0 offset:364
	;; [unrolled: 1-line block ×56, first 2 shown]
	ds_read_b128 v[2:5], v1 offset:928
	s_clause 0x2
	buffer_load_dword v143, off, s[0:3], 0 offset:588
	buffer_load_dword v147, off, s[0:3], 0 offset:564
	;; [unrolled: 1-line block ×3, first 2 shown]
	ds_read_b128 v[6:9], v1 offset:944
	s_clause 0x2
	buffer_load_dword v153, off, s[0:3], 0 offset:604
	buffer_load_dword v152, off, s[0:3], 0 offset:600
	;; [unrolled: 1-line block ×3, first 2 shown]
	s_mov_b32 s4, exec_lo
	s_waitcnt vmcnt(60) lgkmcnt(1)
	v_mul_f64 v[148:149], v[4:5], v[10:11]
	v_mul_f64 v[150:151], v[2:3], v[10:11]
	s_waitcnt vmcnt(58) lgkmcnt(0)
	v_mul_f64 v[154:155], v[8:9], v[14:15]
	ds_read_b128 v[10:13], v1 offset:960
	v_mul_f64 v[14:15], v[6:7], v[14:15]
	s_waitcnt vmcnt(56)
	v_fma_f64 v[148:149], v[2:3], v[16:17], -v[148:149]
	v_fma_f64 v[16:17], v[4:5], v[16:17], v[150:151]
	s_clause 0x1
	buffer_load_dword v151, off, s[0:3], 0 offset:596
	buffer_load_dword v150, off, s[0:3], 0 offset:592
	s_waitcnt vmcnt(56) lgkmcnt(0)
	v_mul_f64 v[156:157], v[10:11], v[18:19]
	v_mul_f64 v[18:19], v[12:13], v[18:19]
	s_waitcnt vmcnt(54)
	v_fma_f64 v[154:155], v[6:7], v[20:21], -v[154:155]
	ds_read_b128 v[2:5], v1 offset:976
	v_fma_f64 v[14:15], v[8:9], v[20:21], v[14:15]
	ds_read_b128 v[6:9], v1 offset:992
	v_add_f64 v[148:149], v[148:149], 0
	v_add_f64 v[16:17], v[16:17], 0
	s_waitcnt vmcnt(50) lgkmcnt(1)
	v_mul_f64 v[20:21], v[2:3], v[22:23]
	v_mul_f64 v[22:23], v[4:5], v[22:23]
	s_waitcnt vmcnt(48)
	v_fma_f64 v[18:19], v[10:11], v[28:29], -v[18:19]
	v_fma_f64 v[28:29], v[12:13], v[28:29], v[156:157]
	s_waitcnt vmcnt(47) lgkmcnt(0)
	v_mul_f64 v[156:157], v[6:7], v[24:25]
	v_mul_f64 v[24:25], v[8:9], v[24:25]
	v_add_f64 v[148:149], v[148:149], v[154:155]
	v_add_f64 v[14:15], v[16:17], v[14:15]
	s_clause 0x3
	buffer_load_dword v16, off, s[0:3], 0 offset:336
	buffer_load_dword v17, off, s[0:3], 0 offset:340
	;; [unrolled: 1-line block ×4, first 2 shown]
	ds_read_b128 v[10:13], v1 offset:1008
	s_waitcnt vmcnt(49)
	v_fma_f64 v[20:21], v[4:5], v[30:31], v[20:21]
	v_fma_f64 v[22:23], v[2:3], v[30:31], -v[22:23]
	ds_read_b128 v[2:5], v1 offset:1024
	s_waitcnt vmcnt(44)
	v_fma_f64 v[24:25], v[6:7], v[26:27], -v[24:25]
	v_add_f64 v[18:19], v[148:149], v[18:19]
	v_add_f64 v[14:15], v[14:15], v[28:29]
	s_waitcnt lgkmcnt(1)
	v_mul_f64 v[30:31], v[12:13], v[32:33]
	v_mul_f64 v[28:29], v[10:11], v[32:33]
	v_add_f64 v[18:19], v[18:19], v[22:23]
	v_fma_f64 v[22:23], v[8:9], v[26:27], v[156:157]
	v_add_f64 v[14:15], v[14:15], v[20:21]
	s_waitcnt vmcnt(43) lgkmcnt(0)
	v_mul_f64 v[26:27], v[4:5], v[34:35]
	s_waitcnt vmcnt(41)
	v_fma_f64 v[30:31], v[10:11], v[38:39], -v[30:31]
	ds_read_b128 v[6:9], v1 offset:1040
	v_mul_f64 v[20:21], v[2:3], v[34:35]
	v_add_f64 v[18:19], v[18:19], v[24:25]
	v_fma_f64 v[24:25], v[12:13], v[38:39], v[28:29]
	v_add_f64 v[14:15], v[14:15], v[22:23]
	ds_read_b128 v[10:13], v1 offset:1056
	s_waitcnt vmcnt(37) lgkmcnt(1)
	v_mul_f64 v[28:29], v[8:9], v[40:41]
	s_waitcnt vmcnt(36)
	v_fma_f64 v[26:27], v[2:3], v[36:37], -v[26:27]
	v_mul_f64 v[22:23], v[6:7], v[40:41]
	v_fma_f64 v[20:21], v[4:5], v[36:37], v[20:21]
	ds_read_b128 v[2:5], v1 offset:1072
	v_add_f64 v[18:19], v[18:19], v[30:31]
	s_waitcnt vmcnt(35) lgkmcnt(1)
	v_mul_f64 v[30:31], v[12:13], v[42:43]
	v_add_f64 v[14:15], v[14:15], v[24:25]
	v_mul_f64 v[24:25], v[10:11], v[42:43]
	s_waitcnt vmcnt(33)
	v_fma_f64 v[28:29], v[6:7], v[121:122], -v[28:29]
	v_fma_f64 v[22:23], v[8:9], v[121:122], v[22:23]
	ds_read_b128 v[6:9], v1 offset:1088
	v_add_f64 v[18:19], v[18:19], v[26:27]
	s_waitcnt vmcnt(29) lgkmcnt(1)
	v_mul_f64 v[26:27], v[4:5], v[123:124]
	v_add_f64 v[14:15], v[14:15], v[20:21]
	s_waitcnt vmcnt(28)
	v_fma_f64 v[30:31], v[10:11], v[119:120], -v[30:31]
	v_mul_f64 v[20:21], v[2:3], v[123:124]
	v_fma_f64 v[24:25], v[12:13], v[119:120], v[24:25]
	ds_read_b128 v[10:13], v1 offset:1104
	v_add_f64 v[18:19], v[18:19], v[28:29]
	s_waitcnt vmcnt(27) lgkmcnt(1)
	v_mul_f64 v[28:29], v[8:9], v[125:126]
	v_add_f64 v[14:15], v[14:15], v[22:23]
	s_waitcnt vmcnt(25)
	v_fma_f64 v[26:27], v[2:3], v[129:130], -v[26:27]
	v_mul_f64 v[22:23], v[6:7], v[125:126]
	;; [unrolled: 9-line block ×6, first 2 shown]
	v_fma_f64 v[7:8], v[8:9], v[146:147], v[22:23]
	s_waitcnt vmcnt(7) lgkmcnt(0)
	v_mul_f64 v[22:23], v[3:4], v[152:153]
	v_add_f64 v[18:19], v[18:19], v[26:27]
	s_waitcnt vmcnt(6)
	v_fma_f64 v[9:10], v[10:11], v[144:145], -v[30:31]
	v_add_f64 v[14:15], v[14:15], v[20:21]
	v_mul_f64 v[20:21], v[1:2], v[152:153]
	v_fma_f64 v[11:12], v[12:13], v[144:145], v[24:25]
	v_add_f64 v[5:6], v[18:19], v[5:6]
	v_add_f64 v[7:8], v[14:15], v[7:8]
	s_waitcnt vmcnt(4)
	v_fma_f64 v[1:2], v[1:2], v[150:151], -v[22:23]
	v_fma_f64 v[3:4], v[3:4], v[150:151], v[20:21]
	v_add_f64 v[5:6], v[5:6], v[9:10]
	v_add_f64 v[7:8], v[7:8], v[11:12]
	;; [unrolled: 1-line block ×4, first 2 shown]
	s_waitcnt vmcnt(2)
	v_add_f64 v[1:2], v[16:17], -v[1:2]
	s_waitcnt vmcnt(0)
	v_add_f64 v[3:4], v[154:155], -v[3:4]
	buffer_store_dword v2, off, s[0:3], 0 offset:340
	buffer_store_dword v1, off, s[0:3], 0 offset:336
	;; [unrolled: 1-line block ×4, first 2 shown]
	v_cmpx_lt_u32_e32 19, v0
	s_cbranch_execz .LBB36_197
; %bb.196:
	v_mov_b32_e32 v4, s29
	v_mov_b32_e32 v5, 0
	s_clause 0x3
	buffer_load_dword v1, v4, s[0:3], 0 offen
	buffer_load_dword v2, v4, s[0:3], 0 offen offset:4
	buffer_load_dword v3, v4, s[0:3], 0 offen offset:8
	;; [unrolled: 1-line block ×3, first 2 shown]
	buffer_store_dword v5, off, s[0:3], 0 offset:320
	buffer_store_dword v5, off, s[0:3], 0 offset:324
	;; [unrolled: 1-line block ×4, first 2 shown]
	s_waitcnt vmcnt(0)
	ds_write_b128 v133, v[1:4]
.LBB36_197:
	s_or_b32 exec_lo, exec_lo, s4
	s_waitcnt lgkmcnt(0)
	s_waitcnt_vscnt null, 0x0
	s_barrier
	buffer_gl0_inv
	s_clause 0x35
	buffer_load_dword v10, off, s[0:3], 0 offset:344
	buffer_load_dword v11, off, s[0:3], 0 offset:348
	;; [unrolled: 1-line block ×54, first 2 shown]
	v_mov_b32_e32 v1, 0
	s_mov_b32 s4, exec_lo
	ds_read_b128 v[2:5], v1 offset:912
	s_clause 0x3
	buffer_load_dword v142, off, s[0:3], 0 offset:568
	buffer_load_dword v143, off, s[0:3], 0 offset:572
	;; [unrolled: 1-line block ×4, first 2 shown]
	ds_read_b128 v[6:9], v1 offset:928
	s_clause 0x3
	buffer_load_dword v151, off, s[0:3], 0 offset:588
	buffer_load_dword v150, off, s[0:3], 0 offset:584
	;; [unrolled: 1-line block ×4, first 2 shown]
	s_waitcnt vmcnt(60) lgkmcnt(1)
	v_mul_f64 v[146:147], v[4:5], v[10:11]
	v_mul_f64 v[148:149], v[2:3], v[10:11]
	s_waitcnt vmcnt(58) lgkmcnt(0)
	v_mul_f64 v[154:155], v[8:9], v[14:15]
	ds_read_b128 v[10:13], v1 offset:944
	v_mul_f64 v[14:15], v[6:7], v[14:15]
	s_waitcnt vmcnt(56)
	v_fma_f64 v[146:147], v[2:3], v[16:17], -v[146:147]
	v_fma_f64 v[16:17], v[4:5], v[16:17], v[148:149]
	s_clause 0x3
	buffer_load_dword v148, off, s[0:3], 0 offset:600
	buffer_load_dword v149, off, s[0:3], 0 offset:604
	buffer_load_dword v157, off, s[0:3], 0 offset:580
	buffer_load_dword v156, off, s[0:3], 0 offset:576
	s_waitcnt vmcnt(58) lgkmcnt(0)
	v_mul_f64 v[158:159], v[10:11], v[18:19]
	v_mul_f64 v[18:19], v[12:13], v[18:19]
	s_waitcnt vmcnt(56)
	v_fma_f64 v[154:155], v[6:7], v[20:21], -v[154:155]
	ds_read_b128 v[2:5], v1 offset:960
	v_fma_f64 v[14:15], v[8:9], v[20:21], v[14:15]
	s_clause 0x1
	buffer_load_dword v20, off, s[0:3], 0 offset:592
	buffer_load_dword v21, off, s[0:3], 0 offset:596
	ds_read_b128 v[6:9], v1 offset:976
	v_add_f64 v[146:147], v[146:147], 0
	v_add_f64 v[16:17], v[16:17], 0
	s_waitcnt vmcnt(56) lgkmcnt(1)
	v_mul_f64 v[160:161], v[2:3], v[22:23]
	v_mul_f64 v[22:23], v[4:5], v[22:23]
	s_waitcnt vmcnt(54)
	v_fma_f64 v[18:19], v[10:11], v[24:25], -v[18:19]
	v_fma_f64 v[24:25], v[12:13], v[24:25], v[158:159]
	ds_read_b128 v[10:13], v1 offset:992
	v_add_f64 v[146:147], v[146:147], v[154:155]
	v_add_f64 v[14:15], v[16:17], v[14:15]
	s_waitcnt vmcnt(52) lgkmcnt(1)
	v_mul_f64 v[16:17], v[6:7], v[26:27]
	v_mul_f64 v[26:27], v[8:9], v[26:27]
	s_waitcnt vmcnt(50)
	v_fma_f64 v[22:23], v[2:3], v[28:29], -v[22:23]
	v_fma_f64 v[28:29], v[4:5], v[28:29], v[160:161]
	s_waitcnt vmcnt(48) lgkmcnt(0)
	v_mul_f64 v[154:155], v[10:11], v[30:31]
	v_mul_f64 v[30:31], v[12:13], v[30:31]
	v_add_f64 v[18:19], v[146:147], v[18:19]
	v_add_f64 v[14:15], v[14:15], v[24:25]
	s_clause 0x3
	buffer_load_dword v24, off, s[0:3], 0 offset:320
	buffer_load_dword v25, off, s[0:3], 0 offset:324
	;; [unrolled: 1-line block ×4, first 2 shown]
	s_waitcnt vmcnt(50)
	v_fma_f64 v[26:27], v[6:7], v[32:33], -v[26:27]
	ds_read_b128 v[2:5], v1 offset:1008
	v_fma_f64 v[16:17], v[8:9], v[32:33], v[16:17]
	ds_read_b128 v[6:9], v1 offset:1024
	s_waitcnt vmcnt(46)
	v_fma_f64 v[30:31], v[10:11], v[36:37], -v[30:31]
	v_add_f64 v[18:19], v[18:19], v[22:23]
	v_add_f64 v[14:15], v[14:15], v[28:29]
	s_waitcnt lgkmcnt(1)
	v_mul_f64 v[28:29], v[4:5], v[34:35]
	v_mul_f64 v[22:23], v[2:3], v[34:35]
	s_waitcnt vmcnt(44) lgkmcnt(0)
	v_mul_f64 v[32:33], v[8:9], v[38:39]
	v_add_f64 v[18:19], v[18:19], v[26:27]
	v_fma_f64 v[26:27], v[12:13], v[36:37], v[154:155]
	v_add_f64 v[14:15], v[14:15], v[16:17]
	s_waitcnt vmcnt(42)
	v_fma_f64 v[28:29], v[2:3], v[40:41], -v[28:29]
	ds_read_b128 v[10:13], v1 offset:1040
	v_mul_f64 v[16:17], v[6:7], v[38:39]
	v_fma_f64 v[22:23], v[4:5], v[40:41], v[22:23]
	ds_read_b128 v[2:5], v1 offset:1056
	s_waitcnt vmcnt(38)
	v_fma_f64 v[32:33], v[6:7], v[119:120], -v[32:33]
	v_add_f64 v[18:19], v[18:19], v[30:31]
	v_add_f64 v[14:15], v[14:15], v[26:27]
	s_waitcnt lgkmcnt(1)
	v_mul_f64 v[30:31], v[12:13], v[42:43]
	v_mul_f64 v[26:27], v[10:11], v[42:43]
	v_fma_f64 v[16:17], v[8:9], v[119:120], v[16:17]
	ds_read_b128 v[6:9], v1 offset:1072
	v_add_f64 v[18:19], v[18:19], v[28:29]
	s_waitcnt vmcnt(36) lgkmcnt(1)
	v_mul_f64 v[28:29], v[4:5], v[121:122]
	v_add_f64 v[14:15], v[14:15], v[22:23]
	s_waitcnt vmcnt(34)
	v_fma_f64 v[30:31], v[10:11], v[123:124], -v[30:31]
	v_mul_f64 v[22:23], v[2:3], v[121:122]
	v_fma_f64 v[26:27], v[12:13], v[123:124], v[26:27]
	ds_read_b128 v[10:13], v1 offset:1088
	v_add_f64 v[18:19], v[18:19], v[32:33]
	s_waitcnt vmcnt(32) lgkmcnt(1)
	v_mul_f64 v[32:33], v[8:9], v[125:126]
	v_add_f64 v[14:15], v[14:15], v[16:17]
	s_waitcnt vmcnt(30)
	v_fma_f64 v[28:29], v[2:3], v[127:128], -v[28:29]
	;; [unrolled: 9-line block ×7, first 2 shown]
	v_mul_f64 v[22:23], v[2:3], v[150:151]
	v_fma_f64 v[12:13], v[12:13], v[152:153], v[26:27]
	v_add_f64 v[18:19], v[18:19], v[32:33]
	v_add_f64 v[14:15], v[14:15], v[16:17]
	s_waitcnt vmcnt(8) lgkmcnt(0)
	v_mul_f64 v[26:27], v[8:9], v[148:149]
	v_mul_f64 v[16:17], v[6:7], v[148:149]
	s_waitcnt vmcnt(6)
	v_fma_f64 v[2:3], v[2:3], v[156:157], -v[28:29]
	v_fma_f64 v[4:5], v[4:5], v[156:157], v[22:23]
	v_add_f64 v[10:11], v[18:19], v[10:11]
	v_add_f64 v[12:13], v[14:15], v[12:13]
	s_waitcnt vmcnt(4)
	v_fma_f64 v[6:7], v[6:7], v[20:21], -v[26:27]
	v_fma_f64 v[8:9], v[8:9], v[20:21], v[16:17]
	v_add_f64 v[2:3], v[10:11], v[2:3]
	v_add_f64 v[4:5], v[12:13], v[4:5]
	;; [unrolled: 1-line block ×4, first 2 shown]
	s_waitcnt vmcnt(2)
	v_add_f64 v[2:3], v[24:25], -v[2:3]
	s_waitcnt vmcnt(0)
	v_add_f64 v[4:5], v[146:147], -v[4:5]
	buffer_store_dword v3, off, s[0:3], 0 offset:324
	buffer_store_dword v2, off, s[0:3], 0 offset:320
	;; [unrolled: 1-line block ×4, first 2 shown]
	v_cmpx_lt_u32_e32 18, v0
	s_cbranch_execz .LBB36_199
; %bb.198:
	v_mov_b32_e32 v5, s30
	s_clause 0x3
	buffer_load_dword v2, v5, s[0:3], 0 offen
	buffer_load_dword v3, v5, s[0:3], 0 offen offset:4
	buffer_load_dword v4, v5, s[0:3], 0 offen offset:8
	;; [unrolled: 1-line block ×3, first 2 shown]
	buffer_store_dword v1, off, s[0:3], 0 offset:304
	buffer_store_dword v1, off, s[0:3], 0 offset:308
	buffer_store_dword v1, off, s[0:3], 0 offset:312
	buffer_store_dword v1, off, s[0:3], 0 offset:316
	s_waitcnt vmcnt(0)
	ds_write_b128 v133, v[2:5]
.LBB36_199:
	s_or_b32 exec_lo, exec_lo, s4
	s_waitcnt lgkmcnt(0)
	s_waitcnt_vscnt null, 0x0
	s_barrier
	buffer_gl0_inv
	s_clause 0x37
	buffer_load_dword v10, off, s[0:3], 0 offset:328
	buffer_load_dword v11, off, s[0:3], 0 offset:332
	;; [unrolled: 1-line block ×56, first 2 shown]
	ds_read_b128 v[2:5], v1 offset:896
	s_clause 0x2
	buffer_load_dword v143, off, s[0:3], 0 offset:556
	buffer_load_dword v147, off, s[0:3], 0 offset:532
	;; [unrolled: 1-line block ×3, first 2 shown]
	ds_read_b128 v[6:9], v1 offset:912
	s_clause 0x4
	buffer_load_dword v153, off, s[0:3], 0 offset:572
	buffer_load_dword v154, off, s[0:3], 0 offset:584
	;; [unrolled: 1-line block ×5, first 2 shown]
	s_mov_b32 s4, exec_lo
	s_waitcnt vmcnt(62) lgkmcnt(1)
	v_mul_f64 v[148:149], v[4:5], v[10:11]
	v_mul_f64 v[150:151], v[2:3], v[10:11]
	s_waitcnt vmcnt(60) lgkmcnt(0)
	v_mul_f64 v[157:158], v[8:9], v[14:15]
	ds_read_b128 v[10:13], v1 offset:928
	v_mul_f64 v[14:15], v[6:7], v[14:15]
	s_waitcnt vmcnt(58)
	v_fma_f64 v[148:149], v[2:3], v[16:17], -v[148:149]
	v_fma_f64 v[16:17], v[4:5], v[16:17], v[150:151]
	s_clause 0x2
	buffer_load_dword v155, off, s[0:3], 0 offset:588
	buffer_load_dword v151, off, s[0:3], 0 offset:564
	buffer_load_dword v150, off, s[0:3], 0 offset:560
	s_waitcnt vmcnt(59) lgkmcnt(0)
	v_mul_f64 v[159:160], v[10:11], v[18:19]
	v_mul_f64 v[18:19], v[12:13], v[18:19]
	s_waitcnt vmcnt(57)
	v_fma_f64 v[161:162], v[6:7], v[20:21], -v[157:158]
	ds_read_b128 v[2:5], v1 offset:944
	v_fma_f64 v[14:15], v[8:9], v[20:21], v[14:15]
	s_clause 0x2
	buffer_load_dword v21, off, s[0:3], 0 offset:604
	buffer_load_dword v20, off, s[0:3], 0 offset:600
	buffer_load_dword v157, off, s[0:3], 0 offset:580
	ds_read_b128 v[6:9], v1 offset:960
	v_add_f64 v[148:149], v[148:149], 0
	v_add_f64 v[16:17], v[16:17], 0
	s_waitcnt vmcnt(56) lgkmcnt(1)
	v_mul_f64 v[163:164], v[2:3], v[22:23]
	v_mul_f64 v[22:23], v[4:5], v[22:23]
	s_waitcnt vmcnt(54)
	v_fma_f64 v[18:19], v[10:11], v[28:29], -v[18:19]
	v_fma_f64 v[28:29], v[12:13], v[28:29], v[159:160]
	s_waitcnt vmcnt(53) lgkmcnt(0)
	v_mul_f64 v[158:159], v[6:7], v[24:25]
	v_mul_f64 v[24:25], v[8:9], v[24:25]
	v_add_f64 v[148:149], v[148:149], v[161:162]
	v_add_f64 v[14:15], v[16:17], v[14:15]
	s_clause 0x1
	buffer_load_dword v17, off, s[0:3], 0 offset:596
	buffer_load_dword v16, off, s[0:3], 0 offset:592
	ds_read_b128 v[10:13], v1 offset:976
	s_waitcnt vmcnt(53)
	v_fma_f64 v[22:23], v[2:3], v[30:31], -v[22:23]
	v_fma_f64 v[30:31], v[4:5], v[30:31], v[163:164]
	ds_read_b128 v[2:5], v1 offset:992
	s_waitcnt vmcnt(48)
	v_fma_f64 v[24:25], v[6:7], v[26:27], -v[24:25]
	v_add_f64 v[18:19], v[148:149], v[18:19]
	v_add_f64 v[14:15], v[14:15], v[28:29]
	s_waitcnt lgkmcnt(1)
	v_mul_f64 v[28:29], v[10:11], v[32:33]
	v_mul_f64 v[32:33], v[12:13], v[32:33]
	s_waitcnt vmcnt(47) lgkmcnt(0)
	v_mul_f64 v[148:149], v[2:3], v[34:35]
	v_mul_f64 v[34:35], v[4:5], v[34:35]
	v_add_f64 v[18:19], v[18:19], v[22:23]
	v_fma_f64 v[22:23], v[8:9], v[26:27], v[158:159]
	v_add_f64 v[14:15], v[14:15], v[30:31]
	s_clause 0x3
	buffer_load_dword v26, off, s[0:3], 0 offset:304
	buffer_load_dword v27, off, s[0:3], 0 offset:308
	;; [unrolled: 1-line block ×4, first 2 shown]
	s_waitcnt vmcnt(49)
	v_fma_f64 v[32:33], v[10:11], v[38:39], -v[32:33]
	ds_read_b128 v[6:9], v1 offset:1008
	s_waitcnt vmcnt(44)
	v_fma_f64 v[34:35], v[2:3], v[36:37], -v[34:35]
	v_add_f64 v[18:19], v[18:19], v[24:25]
	v_fma_f64 v[24:25], v[12:13], v[38:39], v[28:29]
	v_add_f64 v[14:15], v[14:15], v[22:23]
	ds_read_b128 v[10:13], v1 offset:1024
	s_waitcnt lgkmcnt(1)
	v_mul_f64 v[28:29], v[8:9], v[40:41]
	v_mul_f64 v[22:23], v[6:7], v[40:41]
	v_add_f64 v[18:19], v[18:19], v[32:33]
	v_fma_f64 v[32:33], v[4:5], v[36:37], v[148:149]
	v_add_f64 v[14:15], v[14:15], v[24:25]
	s_waitcnt vmcnt(43) lgkmcnt(0)
	v_mul_f64 v[36:37], v[12:13], v[42:43]
	s_waitcnt vmcnt(41)
	v_fma_f64 v[28:29], v[6:7], v[121:122], -v[28:29]
	ds_read_b128 v[2:5], v1 offset:1040
	v_mul_f64 v[24:25], v[10:11], v[42:43]
	v_fma_f64 v[22:23], v[8:9], v[121:122], v[22:23]
	ds_read_b128 v[6:9], v1 offset:1056
	v_add_f64 v[18:19], v[18:19], v[34:35]
	v_add_f64 v[14:15], v[14:15], v[32:33]
	s_waitcnt vmcnt(37) lgkmcnt(1)
	v_mul_f64 v[34:35], v[4:5], v[123:124]
	s_waitcnt vmcnt(36)
	v_fma_f64 v[36:37], v[10:11], v[119:120], -v[36:37]
	v_mul_f64 v[32:33], v[2:3], v[123:124]
	v_fma_f64 v[24:25], v[12:13], v[119:120], v[24:25]
	ds_read_b128 v[10:13], v1 offset:1072
	v_add_f64 v[18:19], v[18:19], v[28:29]
	s_waitcnt vmcnt(35) lgkmcnt(1)
	v_mul_f64 v[28:29], v[8:9], v[125:126]
	v_add_f64 v[14:15], v[14:15], v[22:23]
	s_waitcnt vmcnt(33)
	v_fma_f64 v[34:35], v[2:3], v[129:130], -v[34:35]
	v_mul_f64 v[22:23], v[6:7], v[125:126]
	v_fma_f64 v[32:33], v[4:5], v[129:130], v[32:33]
	ds_read_b128 v[2:5], v1 offset:1088
	v_add_f64 v[18:19], v[18:19], v[36:37]
	s_waitcnt vmcnt(29) lgkmcnt(1)
	v_mul_f64 v[36:37], v[12:13], v[131:132]
	v_add_f64 v[14:15], v[14:15], v[24:25]
	;; [unrolled: 9-line block ×6, first 2 shown]
	s_waitcnt vmcnt(12)
	v_fma_f64 v[36:37], v[10:11], v[144:145], -v[36:37]
	v_mul_f64 v[32:33], v[2:3], v[152:153]
	v_fma_f64 v[24:25], v[12:13], v[144:145], v[24:25]
	ds_read_b128 v[10:13], v1 offset:1168
	v_add_f64 v[18:19], v[18:19], v[28:29]
	v_add_f64 v[14:15], v[14:15], v[22:23]
	s_waitcnt vmcnt(11) lgkmcnt(1)
	v_mul_f64 v[28:29], v[8:9], v[154:155]
	v_mul_f64 v[22:23], v[6:7], v[154:155]
	s_waitcnt vmcnt(9)
	v_fma_f64 v[1:2], v[2:3], v[150:151], -v[34:35]
	v_fma_f64 v[3:4], v[4:5], v[150:151], v[32:33]
	v_add_f64 v[18:19], v[18:19], v[36:37]
	v_add_f64 v[14:15], v[14:15], v[24:25]
	s_waitcnt vmcnt(7) lgkmcnt(0)
	v_mul_f64 v[24:25], v[10:11], v[20:21]
	v_mul_f64 v[20:21], v[12:13], v[20:21]
	s_waitcnt vmcnt(6)
	v_fma_f64 v[5:6], v[6:7], v[156:157], -v[28:29]
	v_fma_f64 v[7:8], v[8:9], v[156:157], v[22:23]
	v_add_f64 v[1:2], v[18:19], v[1:2]
	v_add_f64 v[3:4], v[14:15], v[3:4]
	s_waitcnt vmcnt(4)
	v_fma_f64 v[9:10], v[10:11], v[16:17], -v[20:21]
	v_add_f64 v[1:2], v[1:2], v[5:6]
	v_fma_f64 v[5:6], v[12:13], v[16:17], v[24:25]
	v_add_f64 v[3:4], v[3:4], v[7:8]
	v_add_f64 v[1:2], v[1:2], v[9:10]
	;; [unrolled: 1-line block ×3, first 2 shown]
	s_waitcnt vmcnt(2)
	v_add_f64 v[1:2], v[26:27], -v[1:2]
	s_waitcnt vmcnt(0)
	v_add_f64 v[3:4], v[30:31], -v[3:4]
	buffer_store_dword v2, off, s[0:3], 0 offset:308
	buffer_store_dword v1, off, s[0:3], 0 offset:304
	;; [unrolled: 1-line block ×4, first 2 shown]
	v_cmpx_lt_u32_e32 17, v0
	s_cbranch_execz .LBB36_201
; %bb.200:
	v_mov_b32_e32 v4, s31
	v_mov_b32_e32 v5, 0
	s_clause 0x3
	buffer_load_dword v1, v4, s[0:3], 0 offen
	buffer_load_dword v2, v4, s[0:3], 0 offen offset:4
	buffer_load_dword v3, v4, s[0:3], 0 offen offset:8
	;; [unrolled: 1-line block ×3, first 2 shown]
	buffer_store_dword v5, off, s[0:3], 0 offset:288
	buffer_store_dword v5, off, s[0:3], 0 offset:292
	;; [unrolled: 1-line block ×4, first 2 shown]
	s_waitcnt vmcnt(0)
	ds_write_b128 v133, v[1:4]
.LBB36_201:
	s_or_b32 exec_lo, exec_lo, s4
	s_waitcnt lgkmcnt(0)
	s_waitcnt_vscnt null, 0x0
	s_barrier
	buffer_gl0_inv
	s_clause 0x37
	buffer_load_dword v10, off, s[0:3], 0 offset:312
	buffer_load_dword v11, off, s[0:3], 0 offset:316
	;; [unrolled: 1-line block ×56, first 2 shown]
	v_mov_b32_e32 v1, 0
	s_mov_b32 s4, exec_lo
	ds_read_b128 v[2:5], v1 offset:880
	s_clause 0x2
	buffer_load_dword v143, off, s[0:3], 0 offset:540
	buffer_load_dword v147, off, s[0:3], 0 offset:516
	;; [unrolled: 1-line block ×3, first 2 shown]
	ds_read_b128 v[6:9], v1 offset:896
	s_clause 0x4
	buffer_load_dword v153, off, s[0:3], 0 offset:556
	buffer_load_dword v154, off, s[0:3], 0 offset:568
	;; [unrolled: 1-line block ×5, first 2 shown]
	s_waitcnt vmcnt(62) lgkmcnt(1)
	v_mul_f64 v[148:149], v[4:5], v[10:11]
	v_mul_f64 v[150:151], v[2:3], v[10:11]
	s_waitcnt vmcnt(60) lgkmcnt(0)
	v_mul_f64 v[157:158], v[8:9], v[14:15]
	ds_read_b128 v[10:13], v1 offset:912
	v_mul_f64 v[14:15], v[6:7], v[14:15]
	s_waitcnt vmcnt(58)
	v_fma_f64 v[148:149], v[2:3], v[16:17], -v[148:149]
	v_fma_f64 v[16:17], v[4:5], v[16:17], v[150:151]
	s_clause 0x2
	buffer_load_dword v155, off, s[0:3], 0 offset:572
	buffer_load_dword v151, off, s[0:3], 0 offset:548
	;; [unrolled: 1-line block ×3, first 2 shown]
	s_waitcnt vmcnt(59) lgkmcnt(0)
	v_mul_f64 v[159:160], v[10:11], v[18:19]
	v_mul_f64 v[18:19], v[12:13], v[18:19]
	s_waitcnt vmcnt(57)
	v_fma_f64 v[161:162], v[6:7], v[20:21], -v[157:158]
	ds_read_b128 v[2:5], v1 offset:928
	v_fma_f64 v[14:15], v[8:9], v[20:21], v[14:15]
	s_clause 0x4
	buffer_load_dword v21, off, s[0:3], 0 offset:588
	buffer_load_dword v158, off, s[0:3], 0 offset:600
	;; [unrolled: 1-line block ×5, first 2 shown]
	ds_read_b128 v[6:9], v1 offset:944
	v_add_f64 v[148:149], v[148:149], 0
	v_add_f64 v[16:17], v[16:17], 0
	s_waitcnt vmcnt(58) lgkmcnt(1)
	v_mul_f64 v[164:165], v[2:3], v[22:23]
	v_mul_f64 v[22:23], v[4:5], v[22:23]
	s_waitcnt vmcnt(56)
	v_fma_f64 v[18:19], v[10:11], v[28:29], -v[18:19]
	v_fma_f64 v[28:29], v[12:13], v[28:29], v[159:160]
	v_add_f64 v[148:149], v[148:149], v[161:162]
	v_add_f64 v[14:15], v[16:17], v[14:15]
	s_clause 0x2
	buffer_load_dword v159, off, s[0:3], 0 offset:604
	buffer_load_dword v17, off, s[0:3], 0 offset:580
	;; [unrolled: 1-line block ×3, first 2 shown]
	s_waitcnt vmcnt(58) lgkmcnt(0)
	v_mul_f64 v[160:161], v[6:7], v[24:25]
	v_mul_f64 v[24:25], v[8:9], v[24:25]
	s_waitcnt vmcnt(56)
	v_fma_f64 v[22:23], v[2:3], v[30:31], -v[22:23]
	ds_read_b128 v[10:13], v1 offset:960
	v_fma_f64 v[30:31], v[4:5], v[30:31], v[164:165]
	buffer_load_dword v164, off, s[0:3], 0 offset:596
	ds_read_b128 v[2:5], v1 offset:976
	v_add_f64 v[18:19], v[148:149], v[18:19]
	v_add_f64 v[14:15], v[14:15], v[28:29]
	s_waitcnt vmcnt(53) lgkmcnt(1)
	v_mul_f64 v[28:29], v[10:11], v[32:33]
	v_mul_f64 v[32:33], v[12:13], v[32:33]
	s_waitcnt vmcnt(52)
	v_fma_f64 v[24:25], v[6:7], v[26:27], -v[24:25]
	v_add_f64 v[18:19], v[18:19], v[22:23]
	v_fma_f64 v[22:23], v[8:9], v[26:27], v[160:161]
	v_add_f64 v[14:15], v[14:15], v[30:31]
	s_waitcnt vmcnt(51) lgkmcnt(0)
	v_mul_f64 v[30:31], v[4:5], v[34:35]
	ds_read_b128 v[6:9], v1 offset:992
	s_waitcnt vmcnt(49)
	v_fma_f64 v[32:33], v[10:11], v[38:39], -v[32:33]
	v_mul_f64 v[26:27], v[2:3], v[34:35]
	v_add_f64 v[18:19], v[18:19], v[24:25]
	v_fma_f64 v[24:25], v[12:13], v[38:39], v[28:29]
	v_add_f64 v[14:15], v[14:15], v[22:23]
	s_clause 0x3
	buffer_load_dword v22, off, s[0:3], 0 offset:288
	buffer_load_dword v23, off, s[0:3], 0 offset:292
	;; [unrolled: 1-line block ×4, first 2 shown]
	s_waitcnt vmcnt(49) lgkmcnt(0)
	v_mul_f64 v[38:39], v[8:9], v[40:41]
	s_waitcnt vmcnt(48)
	v_fma_f64 v[30:31], v[2:3], v[36:37], -v[30:31]
	ds_read_b128 v[10:13], v1 offset:1008
	v_mul_f64 v[34:35], v[6:7], v[40:41]
	v_fma_f64 v[26:27], v[4:5], v[36:37], v[26:27]
	ds_read_b128 v[2:5], v1 offset:1024
	v_add_f64 v[18:19], v[18:19], v[32:33]
	v_add_f64 v[14:15], v[14:15], v[24:25]
	s_waitcnt vmcnt(47) lgkmcnt(1)
	v_mul_f64 v[32:33], v[12:13], v[42:43]
	s_waitcnt vmcnt(45)
	v_fma_f64 v[36:37], v[6:7], v[121:122], -v[38:39]
	v_mul_f64 v[24:25], v[10:11], v[42:43]
	v_add_f64 v[18:19], v[18:19], v[30:31]
	v_fma_f64 v[30:31], v[8:9], v[121:122], v[34:35]
	v_add_f64 v[14:15], v[14:15], v[26:27]
	s_waitcnt vmcnt(41) lgkmcnt(0)
	v_mul_f64 v[34:35], v[4:5], v[123:124]
	s_waitcnt vmcnt(40)
	v_fma_f64 v[32:33], v[10:11], v[119:120], -v[32:33]
	ds_read_b128 v[6:9], v1 offset:1040
	v_mul_f64 v[26:27], v[2:3], v[123:124]
	v_fma_f64 v[24:25], v[12:13], v[119:120], v[24:25]
	ds_read_b128 v[10:13], v1 offset:1056
	v_add_f64 v[18:19], v[18:19], v[36:37]
	v_add_f64 v[14:15], v[14:15], v[30:31]
	s_waitcnt vmcnt(39) lgkmcnt(1)
	v_mul_f64 v[36:37], v[8:9], v[125:126]
	s_waitcnt vmcnt(37)
	v_fma_f64 v[34:35], v[2:3], v[129:130], -v[34:35]
	v_mul_f64 v[30:31], v[6:7], v[125:126]
	v_fma_f64 v[26:27], v[4:5], v[129:130], v[26:27]
	ds_read_b128 v[2:5], v1 offset:1072
	v_add_f64 v[18:19], v[18:19], v[32:33]
	s_waitcnt vmcnt(33) lgkmcnt(1)
	v_mul_f64 v[32:33], v[12:13], v[131:132]
	v_add_f64 v[14:15], v[14:15], v[24:25]
	s_waitcnt vmcnt(32)
	v_fma_f64 v[36:37], v[6:7], v[127:128], -v[36:37]
	v_mul_f64 v[24:25], v[10:11], v[131:132]
	v_fma_f64 v[30:31], v[8:9], v[127:128], v[30:31]
	ds_read_b128 v[6:9], v1 offset:1088
	v_add_f64 v[18:19], v[18:19], v[34:35]
	s_waitcnt vmcnt(31) lgkmcnt(1)
	v_mul_f64 v[34:35], v[4:5], v[134:135]
	v_add_f64 v[14:15], v[14:15], v[26:27]
	;; [unrolled: 9-line block ×5, first 2 shown]
	s_waitcnt vmcnt(16)
	v_fma_f64 v[32:33], v[10:11], v[144:145], -v[32:33]
	v_mul_f64 v[26:27], v[2:3], v[152:153]
	v_fma_f64 v[24:25], v[12:13], v[144:145], v[24:25]
	ds_read_b128 v[10:13], v1 offset:1152
	v_add_f64 v[18:19], v[18:19], v[36:37]
	v_add_f64 v[14:15], v[14:15], v[30:31]
	s_waitcnt vmcnt(15) lgkmcnt(1)
	v_mul_f64 v[36:37], v[8:9], v[154:155]
	v_mul_f64 v[30:31], v[6:7], v[154:155]
	s_waitcnt vmcnt(13)
	v_fma_f64 v[34:35], v[2:3], v[150:151], -v[34:35]
	v_fma_f64 v[26:27], v[4:5], v[150:151], v[26:27]
	ds_read_b128 v[2:5], v1 offset:1168
	v_add_f64 v[18:19], v[18:19], v[32:33]
	v_add_f64 v[14:15], v[14:15], v[24:25]
	s_waitcnt vmcnt(9) lgkmcnt(1)
	v_mul_f64 v[24:25], v[10:11], v[20:21]
	v_mul_f64 v[20:21], v[12:13], v[20:21]
	s_waitcnt vmcnt(8)
	v_fma_f64 v[6:7], v[6:7], v[156:157], -v[36:37]
	v_fma_f64 v[8:9], v[8:9], v[156:157], v[30:31]
	v_add_f64 v[18:19], v[18:19], v[34:35]
	v_add_f64 v[14:15], v[14:15], v[26:27]
	s_waitcnt vmcnt(7) lgkmcnt(0)
	v_mul_f64 v[30:31], v[4:5], v[158:159]
	v_mul_f64 v[26:27], v[2:3], v[158:159]
	s_waitcnt vmcnt(5)
	v_fma_f64 v[10:11], v[10:11], v[16:17], -v[20:21]
	v_fma_f64 v[12:13], v[12:13], v[16:17], v[24:25]
	v_add_f64 v[6:7], v[18:19], v[6:7]
	v_add_f64 v[8:9], v[14:15], v[8:9]
	s_waitcnt vmcnt(4)
	v_fma_f64 v[2:3], v[2:3], v[163:164], -v[30:31]
	v_fma_f64 v[4:5], v[4:5], v[163:164], v[26:27]
	v_add_f64 v[6:7], v[6:7], v[10:11]
	v_add_f64 v[8:9], v[8:9], v[12:13]
	;; [unrolled: 1-line block ×4, first 2 shown]
	s_waitcnt vmcnt(2)
	v_add_f64 v[2:3], v[22:23], -v[2:3]
	s_waitcnt vmcnt(0)
	v_add_f64 v[4:5], v[28:29], -v[4:5]
	buffer_store_dword v3, off, s[0:3], 0 offset:292
	buffer_store_dword v2, off, s[0:3], 0 offset:288
	buffer_store_dword v5, off, s[0:3], 0 offset:300
	buffer_store_dword v4, off, s[0:3], 0 offset:296
	v_cmpx_lt_u32_e32 16, v0
	s_cbranch_execz .LBB36_203
; %bb.202:
	v_mov_b32_e32 v5, s33
	s_clause 0x3
	buffer_load_dword v2, v5, s[0:3], 0 offen
	buffer_load_dword v3, v5, s[0:3], 0 offen offset:4
	buffer_load_dword v4, v5, s[0:3], 0 offen offset:8
	buffer_load_dword v5, v5, s[0:3], 0 offen offset:12
	buffer_store_dword v1, off, s[0:3], 0 offset:272
	buffer_store_dword v1, off, s[0:3], 0 offset:276
	buffer_store_dword v1, off, s[0:3], 0 offset:280
	buffer_store_dword v1, off, s[0:3], 0 offset:284
	s_waitcnt vmcnt(0)
	ds_write_b128 v133, v[2:5]
.LBB36_203:
	s_or_b32 exec_lo, exec_lo, s4
	s_waitcnt lgkmcnt(0)
	s_waitcnt_vscnt null, 0x0
	s_barrier
	buffer_gl0_inv
	s_clause 0x37
	buffer_load_dword v10, off, s[0:3], 0 offset:296
	buffer_load_dword v11, off, s[0:3], 0 offset:300
	;; [unrolled: 1-line block ×56, first 2 shown]
	ds_read_b128 v[2:5], v1 offset:864
	s_clause 0x2
	buffer_load_dword v143, off, s[0:3], 0 offset:524
	buffer_load_dword v147, off, s[0:3], 0 offset:500
	;; [unrolled: 1-line block ×3, first 2 shown]
	ds_read_b128 v[6:9], v1 offset:880
	s_clause 0x4
	buffer_load_dword v153, off, s[0:3], 0 offset:540
	buffer_load_dword v154, off, s[0:3], 0 offset:552
	;; [unrolled: 1-line block ×5, first 2 shown]
	s_mov_b32 s4, exec_lo
	s_waitcnt vmcnt(62) lgkmcnt(1)
	v_mul_f64 v[148:149], v[4:5], v[10:11]
	v_mul_f64 v[150:151], v[2:3], v[10:11]
	s_waitcnt vmcnt(60) lgkmcnt(0)
	v_mul_f64 v[157:158], v[8:9], v[14:15]
	ds_read_b128 v[10:13], v1 offset:896
	v_mul_f64 v[14:15], v[6:7], v[14:15]
	s_waitcnt vmcnt(58)
	v_fma_f64 v[148:149], v[2:3], v[16:17], -v[148:149]
	v_fma_f64 v[16:17], v[4:5], v[16:17], v[150:151]
	s_clause 0x2
	buffer_load_dword v155, off, s[0:3], 0 offset:556
	buffer_load_dword v151, off, s[0:3], 0 offset:532
	;; [unrolled: 1-line block ×3, first 2 shown]
	s_waitcnt vmcnt(59) lgkmcnt(0)
	v_mul_f64 v[159:160], v[10:11], v[18:19]
	v_mul_f64 v[18:19], v[12:13], v[18:19]
	s_waitcnt vmcnt(57)
	v_fma_f64 v[161:162], v[6:7], v[20:21], -v[157:158]
	ds_read_b128 v[2:5], v1 offset:912
	v_fma_f64 v[14:15], v[8:9], v[20:21], v[14:15]
	s_clause 0x4
	buffer_load_dword v21, off, s[0:3], 0 offset:572
	buffer_load_dword v158, off, s[0:3], 0 offset:584
	;; [unrolled: 1-line block ×5, first 2 shown]
	ds_read_b128 v[6:9], v1 offset:928
	v_add_f64 v[148:149], v[148:149], 0
	v_add_f64 v[16:17], v[16:17], 0
	s_waitcnt vmcnt(58) lgkmcnt(1)
	v_mul_f64 v[164:165], v[2:3], v[22:23]
	v_mul_f64 v[22:23], v[4:5], v[22:23]
	s_waitcnt vmcnt(56)
	v_fma_f64 v[18:19], v[10:11], v[28:29], -v[18:19]
	v_fma_f64 v[28:29], v[12:13], v[28:29], v[159:160]
	v_add_f64 v[148:149], v[148:149], v[161:162]
	v_add_f64 v[14:15], v[16:17], v[14:15]
	s_clause 0x2
	buffer_load_dword v159, off, s[0:3], 0 offset:588
	buffer_load_dword v17, off, s[0:3], 0 offset:564
	;; [unrolled: 1-line block ×3, first 2 shown]
	s_waitcnt vmcnt(58) lgkmcnt(0)
	v_mul_f64 v[160:161], v[6:7], v[24:25]
	v_mul_f64 v[24:25], v[8:9], v[24:25]
	s_waitcnt vmcnt(56)
	v_fma_f64 v[22:23], v[2:3], v[30:31], -v[22:23]
	ds_read_b128 v[10:13], v1 offset:944
	v_fma_f64 v[30:31], v[4:5], v[30:31], v[164:165]
	v_add_f64 v[18:19], v[148:149], v[18:19]
	v_add_f64 v[14:15], v[14:15], v[28:29]
	s_clause 0x2
	buffer_load_dword v29, off, s[0:3], 0 offset:604
	buffer_load_dword v28, off, s[0:3], 0 offset:600
	;; [unrolled: 1-line block ×3, first 2 shown]
	ds_read_b128 v[2:5], v1 offset:960
	s_waitcnt vmcnt(55) lgkmcnt(1)
	v_mul_f64 v[148:149], v[10:11], v[32:33]
	v_mul_f64 v[32:33], v[12:13], v[32:33]
	s_waitcnt vmcnt(54)
	v_fma_f64 v[24:25], v[6:7], v[26:27], -v[24:25]
	v_add_f64 v[18:19], v[18:19], v[22:23]
	v_fma_f64 v[22:23], v[8:9], v[26:27], v[160:161]
	v_add_f64 v[14:15], v[14:15], v[30:31]
	s_clause 0x1
	buffer_load_dword v27, off, s[0:3], 0 offset:596
	buffer_load_dword v26, off, s[0:3], 0 offset:592
	s_waitcnt vmcnt(55) lgkmcnt(0)
	v_mul_f64 v[30:31], v[2:3], v[34:35]
	v_mul_f64 v[34:35], v[4:5], v[34:35]
	s_waitcnt vmcnt(53)
	v_fma_f64 v[32:33], v[10:11], v[38:39], -v[32:33]
	ds_read_b128 v[6:9], v1 offset:976
	v_add_f64 v[18:19], v[18:19], v[24:25]
	v_fma_f64 v[24:25], v[12:13], v[38:39], v[148:149]
	v_add_f64 v[14:15], v[14:15], v[22:23]
	ds_read_b128 v[10:13], v1 offset:992
	s_waitcnt vmcnt(48)
	v_fma_f64 v[30:31], v[4:5], v[36:37], v[30:31]
	s_waitcnt lgkmcnt(1)
	v_mul_f64 v[38:39], v[8:9], v[40:41]
	v_fma_f64 v[34:35], v[2:3], v[36:37], -v[34:35]
	v_mul_f64 v[22:23], v[6:7], v[40:41]
	v_add_f64 v[18:19], v[18:19], v[32:33]
	s_waitcnt vmcnt(47) lgkmcnt(0)
	v_mul_f64 v[40:41], v[12:13], v[42:43]
	v_add_f64 v[14:15], v[14:15], v[24:25]
	s_clause 0x3
	buffer_load_dword v24, off, s[0:3], 0 offset:272
	buffer_load_dword v25, off, s[0:3], 0 offset:276
	;; [unrolled: 1-line block ×4, first 2 shown]
	ds_read_b128 v[2:5], v1 offset:1008
	s_waitcnt vmcnt(49)
	v_fma_f64 v[38:39], v[6:7], v[121:122], -v[38:39]
	v_mul_f64 v[36:37], v[10:11], v[42:43]
	v_fma_f64 v[22:23], v[8:9], v[121:122], v[22:23]
	ds_read_b128 v[6:9], v1 offset:1024
	v_add_f64 v[18:19], v[18:19], v[34:35]
	s_waitcnt vmcnt(44)
	v_fma_f64 v[40:41], v[10:11], v[119:120], -v[40:41]
	v_add_f64 v[14:15], v[14:15], v[30:31]
	s_waitcnt lgkmcnt(1)
	v_mul_f64 v[34:35], v[4:5], v[123:124]
	v_mul_f64 v[30:31], v[2:3], v[123:124]
	v_fma_f64 v[36:37], v[12:13], v[119:120], v[36:37]
	ds_read_b128 v[10:13], v1 offset:1040
	v_add_f64 v[18:19], v[18:19], v[38:39]
	s_waitcnt vmcnt(43) lgkmcnt(1)
	v_mul_f64 v[38:39], v[8:9], v[125:126]
	v_add_f64 v[14:15], v[14:15], v[22:23]
	s_waitcnt vmcnt(41)
	v_fma_f64 v[34:35], v[2:3], v[129:130], -v[34:35]
	v_mul_f64 v[22:23], v[6:7], v[125:126]
	v_fma_f64 v[30:31], v[4:5], v[129:130], v[30:31]
	ds_read_b128 v[2:5], v1 offset:1056
	v_add_f64 v[18:19], v[18:19], v[40:41]
	s_waitcnt vmcnt(37) lgkmcnt(1)
	v_mul_f64 v[40:41], v[12:13], v[131:132]
	v_add_f64 v[14:15], v[14:15], v[36:37]
	s_waitcnt vmcnt(36)
	v_fma_f64 v[38:39], v[6:7], v[127:128], -v[38:39]
	;; [unrolled: 9-line block ×6, first 2 shown]
	v_mul_f64 v[30:31], v[2:3], v[152:153]
	v_fma_f64 v[36:37], v[12:13], v[144:145], v[36:37]
	ds_read_b128 v[10:13], v1 offset:1136
	v_add_f64 v[18:19], v[18:19], v[38:39]
	v_add_f64 v[14:15], v[14:15], v[22:23]
	s_waitcnt vmcnt(19) lgkmcnt(1)
	v_mul_f64 v[38:39], v[8:9], v[154:155]
	v_mul_f64 v[22:23], v[6:7], v[154:155]
	s_waitcnt vmcnt(17)
	v_fma_f64 v[34:35], v[2:3], v[150:151], -v[34:35]
	v_fma_f64 v[30:31], v[4:5], v[150:151], v[30:31]
	ds_read_b128 v[2:5], v1 offset:1152
	v_add_f64 v[18:19], v[18:19], v[40:41]
	v_add_f64 v[14:15], v[14:15], v[36:37]
	s_waitcnt vmcnt(13) lgkmcnt(1)
	v_mul_f64 v[36:37], v[10:11], v[20:21]
	v_mul_f64 v[20:21], v[12:13], v[20:21]
	s_waitcnt vmcnt(12)
	v_fma_f64 v[38:39], v[6:7], v[156:157], -v[38:39]
	v_fma_f64 v[22:23], v[8:9], v[156:157], v[22:23]
	ds_read_b128 v[6:9], v1 offset:1168
	v_add_f64 v[18:19], v[18:19], v[34:35]
	v_add_f64 v[14:15], v[14:15], v[30:31]
	s_waitcnt vmcnt(11) lgkmcnt(1)
	v_mul_f64 v[34:35], v[4:5], v[158:159]
	v_mul_f64 v[30:31], v[2:3], v[158:159]
	s_waitcnt vmcnt(9)
	v_fma_f64 v[10:11], v[10:11], v[16:17], -v[20:21]
	v_fma_f64 v[12:13], v[12:13], v[16:17], v[36:37]
	v_add_f64 v[18:19], v[18:19], v[38:39]
	v_add_f64 v[14:15], v[14:15], v[22:23]
	s_waitcnt vmcnt(7) lgkmcnt(0)
	v_mul_f64 v[20:21], v[8:9], v[28:29]
	s_waitcnt vmcnt(6)
	v_fma_f64 v[1:2], v[2:3], v[163:164], -v[34:35]
	v_mul_f64 v[16:17], v[6:7], v[28:29]
	v_fma_f64 v[3:4], v[4:5], v[163:164], v[30:31]
	v_add_f64 v[10:11], v[18:19], v[10:11]
	v_add_f64 v[12:13], v[14:15], v[12:13]
	s_waitcnt vmcnt(4)
	v_fma_f64 v[5:6], v[6:7], v[26:27], -v[20:21]
	v_fma_f64 v[7:8], v[8:9], v[26:27], v[16:17]
	v_add_f64 v[1:2], v[10:11], v[1:2]
	v_add_f64 v[3:4], v[12:13], v[3:4]
	;; [unrolled: 1-line block ×4, first 2 shown]
	s_waitcnt vmcnt(2)
	v_add_f64 v[1:2], v[24:25], -v[1:2]
	s_waitcnt vmcnt(0)
	v_add_f64 v[3:4], v[32:33], -v[3:4]
	buffer_store_dword v2, off, s[0:3], 0 offset:276
	buffer_store_dword v1, off, s[0:3], 0 offset:272
	;; [unrolled: 1-line block ×4, first 2 shown]
	v_cmpx_lt_u32_e32 15, v0
	s_cbranch_execz .LBB36_205
; %bb.204:
	v_mov_b32_e32 v4, s34
	v_mov_b32_e32 v5, 0
	s_clause 0x3
	buffer_load_dword v1, v4, s[0:3], 0 offen
	buffer_load_dword v2, v4, s[0:3], 0 offen offset:4
	buffer_load_dword v3, v4, s[0:3], 0 offen offset:8
	;; [unrolled: 1-line block ×3, first 2 shown]
	buffer_store_dword v5, off, s[0:3], 0 offset:256
	buffer_store_dword v5, off, s[0:3], 0 offset:260
	buffer_store_dword v5, off, s[0:3], 0 offset:264
	buffer_store_dword v5, off, s[0:3], 0 offset:268
	s_waitcnt vmcnt(0)
	ds_write_b128 v133, v[1:4]
.LBB36_205:
	s_or_b32 exec_lo, exec_lo, s4
	s_waitcnt lgkmcnt(0)
	s_waitcnt_vscnt null, 0x0
	s_barrier
	buffer_gl0_inv
	s_clause 0x37
	buffer_load_dword v10, off, s[0:3], 0 offset:280
	buffer_load_dword v11, off, s[0:3], 0 offset:284
	;; [unrolled: 1-line block ×56, first 2 shown]
	v_mov_b32_e32 v1, 0
	s_mov_b32 s4, exec_lo
	ds_read_b128 v[2:5], v1 offset:848
	s_clause 0x2
	buffer_load_dword v143, off, s[0:3], 0 offset:508
	buffer_load_dword v147, off, s[0:3], 0 offset:484
	;; [unrolled: 1-line block ×3, first 2 shown]
	ds_read_b128 v[6:9], v1 offset:864
	s_clause 0x4
	buffer_load_dword v153, off, s[0:3], 0 offset:524
	buffer_load_dword v154, off, s[0:3], 0 offset:536
	buffer_load_dword v156, off, s[0:3], 0 offset:528
	buffer_load_dword v152, off, s[0:3], 0 offset:520
	buffer_load_dword v145, off, s[0:3], 0 offset:500
	s_waitcnt vmcnt(62) lgkmcnt(1)
	v_mul_f64 v[148:149], v[4:5], v[10:11]
	v_mul_f64 v[150:151], v[2:3], v[10:11]
	s_waitcnt vmcnt(60) lgkmcnt(0)
	v_mul_f64 v[157:158], v[8:9], v[14:15]
	ds_read_b128 v[10:13], v1 offset:880
	v_mul_f64 v[14:15], v[6:7], v[14:15]
	s_waitcnt vmcnt(58)
	v_fma_f64 v[148:149], v[2:3], v[16:17], -v[148:149]
	v_fma_f64 v[16:17], v[4:5], v[16:17], v[150:151]
	s_clause 0x2
	buffer_load_dword v155, off, s[0:3], 0 offset:540
	buffer_load_dword v151, off, s[0:3], 0 offset:516
	;; [unrolled: 1-line block ×3, first 2 shown]
	s_waitcnt vmcnt(59) lgkmcnt(0)
	v_mul_f64 v[159:160], v[10:11], v[18:19]
	v_mul_f64 v[18:19], v[12:13], v[18:19]
	s_waitcnt vmcnt(57)
	v_fma_f64 v[161:162], v[6:7], v[20:21], -v[157:158]
	ds_read_b128 v[2:5], v1 offset:896
	v_fma_f64 v[14:15], v[8:9], v[20:21], v[14:15]
	s_clause 0x4
	buffer_load_dword v21, off, s[0:3], 0 offset:556
	buffer_load_dword v158, off, s[0:3], 0 offset:568
	;; [unrolled: 1-line block ×5, first 2 shown]
	ds_read_b128 v[6:9], v1 offset:912
	v_add_f64 v[148:149], v[148:149], 0
	v_add_f64 v[16:17], v[16:17], 0
	s_waitcnt vmcnt(58) lgkmcnt(1)
	v_mul_f64 v[164:165], v[2:3], v[22:23]
	v_mul_f64 v[22:23], v[4:5], v[22:23]
	s_waitcnt vmcnt(56)
	v_fma_f64 v[18:19], v[10:11], v[28:29], -v[18:19]
	v_fma_f64 v[28:29], v[12:13], v[28:29], v[159:160]
	v_add_f64 v[148:149], v[148:149], v[161:162]
	v_add_f64 v[14:15], v[16:17], v[14:15]
	s_clause 0x2
	buffer_load_dword v159, off, s[0:3], 0 offset:572
	buffer_load_dword v17, off, s[0:3], 0 offset:548
	;; [unrolled: 1-line block ×3, first 2 shown]
	s_waitcnt vmcnt(58) lgkmcnt(0)
	v_mul_f64 v[160:161], v[6:7], v[24:25]
	v_mul_f64 v[24:25], v[8:9], v[24:25]
	s_waitcnt vmcnt(56)
	v_fma_f64 v[22:23], v[2:3], v[30:31], -v[22:23]
	ds_read_b128 v[10:13], v1 offset:928
	v_fma_f64 v[30:31], v[4:5], v[30:31], v[164:165]
	v_add_f64 v[18:19], v[148:149], v[18:19]
	v_add_f64 v[14:15], v[14:15], v[28:29]
	s_clause 0x4
	buffer_load_dword v29, off, s[0:3], 0 offset:588
	buffer_load_dword v148, off, s[0:3], 0 offset:600
	;; [unrolled: 1-line block ×5, first 2 shown]
	ds_read_b128 v[2:5], v1 offset:944
	s_waitcnt vmcnt(57) lgkmcnt(1)
	v_mul_f64 v[166:167], v[10:11], v[32:33]
	v_mul_f64 v[32:33], v[12:13], v[32:33]
	s_waitcnt vmcnt(56)
	v_fma_f64 v[24:25], v[6:7], v[26:27], -v[24:25]
	v_add_f64 v[18:19], v[18:19], v[22:23]
	v_fma_f64 v[22:23], v[8:9], v[26:27], v[160:161]
	v_add_f64 v[14:15], v[14:15], v[30:31]
	s_clause 0x2
	buffer_load_dword v149, off, s[0:3], 0 offset:604
	buffer_load_dword v27, off, s[0:3], 0 offset:580
	;; [unrolled: 1-line block ×3, first 2 shown]
	s_waitcnt vmcnt(58) lgkmcnt(0)
	v_mul_f64 v[30:31], v[2:3], v[34:35]
	v_mul_f64 v[34:35], v[4:5], v[34:35]
	s_waitcnt vmcnt(56)
	v_fma_f64 v[32:33], v[10:11], v[38:39], -v[32:33]
	ds_read_b128 v[6:9], v1 offset:960
	v_add_f64 v[18:19], v[18:19], v[24:25]
	v_fma_f64 v[24:25], v[12:13], v[38:39], v[166:167]
	v_add_f64 v[14:15], v[14:15], v[22:23]
	buffer_load_dword v166, off, s[0:3], 0 offset:596
	ds_read_b128 v[10:13], v1 offset:976
	s_waitcnt vmcnt(53) lgkmcnt(1)
	v_mul_f64 v[38:39], v[8:9], v[40:41]
	s_waitcnt vmcnt(52)
	v_fma_f64 v[34:35], v[2:3], v[36:37], -v[34:35]
	v_mul_f64 v[22:23], v[6:7], v[40:41]
	v_fma_f64 v[30:31], v[4:5], v[36:37], v[30:31]
	ds_read_b128 v[2:5], v1 offset:992
	v_add_f64 v[18:19], v[18:19], v[32:33]
	v_add_f64 v[14:15], v[14:15], v[24:25]
	s_waitcnt vmcnt(51) lgkmcnt(1)
	v_mul_f64 v[32:33], v[12:13], v[42:43]
	v_mul_f64 v[24:25], v[10:11], v[42:43]
	s_waitcnt vmcnt(49)
	v_fma_f64 v[36:37], v[6:7], v[121:122], -v[38:39]
	v_fma_f64 v[22:23], v[8:9], v[121:122], v[22:23]
	s_waitcnt vmcnt(45) lgkmcnt(0)
	v_mul_f64 v[40:41], v[4:5], v[123:124]
	v_mul_f64 v[38:39], v[2:3], v[123:124]
	v_add_f64 v[18:19], v[18:19], v[34:35]
	v_add_f64 v[14:15], v[14:15], v[30:31]
	s_clause 0x3
	buffer_load_dword v30, off, s[0:3], 0 offset:256
	buffer_load_dword v31, off, s[0:3], 0 offset:260
	;; [unrolled: 1-line block ×4, first 2 shown]
	s_waitcnt vmcnt(48)
	v_fma_f64 v[32:33], v[10:11], v[119:120], -v[32:33]
	ds_read_b128 v[6:9], v1 offset:1008
	v_fma_f64 v[24:25], v[12:13], v[119:120], v[24:25]
	ds_read_b128 v[10:13], v1 offset:1024
	s_waitcnt vmcnt(45)
	v_fma_f64 v[40:41], v[2:3], v[129:130], -v[40:41]
	v_add_f64 v[18:19], v[18:19], v[36:37]
	v_add_f64 v[14:15], v[14:15], v[22:23]
	s_waitcnt lgkmcnt(1)
	v_mul_f64 v[36:37], v[8:9], v[125:126]
	v_mul_f64 v[22:23], v[6:7], v[125:126]
	v_add_f64 v[18:19], v[18:19], v[32:33]
	v_fma_f64 v[32:33], v[4:5], v[129:130], v[38:39]
	v_add_f64 v[14:15], v[14:15], v[24:25]
	s_waitcnt vmcnt(41) lgkmcnt(0)
	v_mul_f64 v[38:39], v[12:13], v[131:132]
	s_waitcnt vmcnt(40)
	v_fma_f64 v[36:37], v[6:7], v[127:128], -v[36:37]
	ds_read_b128 v[2:5], v1 offset:1040
	v_mul_f64 v[24:25], v[10:11], v[131:132]
	v_fma_f64 v[22:23], v[8:9], v[127:128], v[22:23]
	ds_read_b128 v[6:9], v1 offset:1056
	v_add_f64 v[18:19], v[18:19], v[40:41]
	v_add_f64 v[14:15], v[14:15], v[32:33]
	s_waitcnt vmcnt(39) lgkmcnt(1)
	v_mul_f64 v[40:41], v[4:5], v[134:135]
	s_waitcnt vmcnt(37)
	v_fma_f64 v[38:39], v[10:11], v[138:139], -v[38:39]
	v_mul_f64 v[32:33], v[2:3], v[134:135]
	v_fma_f64 v[24:25], v[12:13], v[138:139], v[24:25]
	ds_read_b128 v[10:13], v1 offset:1072
	v_add_f64 v[18:19], v[18:19], v[36:37]
	s_waitcnt vmcnt(33) lgkmcnt(1)
	v_mul_f64 v[36:37], v[8:9], v[140:141]
	v_add_f64 v[14:15], v[14:15], v[22:23]
	s_waitcnt vmcnt(32)
	v_fma_f64 v[40:41], v[2:3], v[136:137], -v[40:41]
	v_mul_f64 v[22:23], v[6:7], v[140:141]
	v_fma_f64 v[32:33], v[4:5], v[136:137], v[32:33]
	ds_read_b128 v[2:5], v1 offset:1088
	v_add_f64 v[18:19], v[18:19], v[38:39]
	s_waitcnt vmcnt(31) lgkmcnt(1)
	v_mul_f64 v[38:39], v[12:13], v[142:143]
	v_add_f64 v[14:15], v[14:15], v[24:25]
	;; [unrolled: 9-line block ×3, first 2 shown]
	s_waitcnt vmcnt(24)
	v_fma_f64 v[38:39], v[10:11], v[144:145], -v[38:39]
	v_mul_f64 v[32:33], v[2:3], v[152:153]
	v_fma_f64 v[24:25], v[12:13], v[144:145], v[24:25]
	ds_read_b128 v[10:13], v1 offset:1120
	v_add_f64 v[18:19], v[18:19], v[36:37]
	v_add_f64 v[14:15], v[14:15], v[22:23]
	s_waitcnt vmcnt(23) lgkmcnt(1)
	v_mul_f64 v[36:37], v[8:9], v[154:155]
	v_mul_f64 v[22:23], v[6:7], v[154:155]
	s_waitcnt vmcnt(21)
	v_fma_f64 v[40:41], v[2:3], v[150:151], -v[40:41]
	v_fma_f64 v[32:33], v[4:5], v[150:151], v[32:33]
	ds_read_b128 v[2:5], v1 offset:1136
	v_add_f64 v[18:19], v[18:19], v[38:39]
	v_add_f64 v[14:15], v[14:15], v[24:25]
	s_waitcnt vmcnt(17) lgkmcnt(1)
	v_mul_f64 v[24:25], v[10:11], v[20:21]
	v_mul_f64 v[20:21], v[12:13], v[20:21]
	s_waitcnt vmcnt(16)
	v_fma_f64 v[36:37], v[6:7], v[156:157], -v[36:37]
	;; [unrolled: 9-line block ×3, first 2 shown]
	v_fma_f64 v[16:17], v[12:13], v[16:17], v[24:25]
	ds_read_b128 v[10:13], v1 offset:1168
	v_add_f64 v[18:19], v[18:19], v[36:37]
	v_add_f64 v[14:15], v[14:15], v[22:23]
	s_waitcnt vmcnt(9) lgkmcnt(1)
	v_mul_f64 v[24:25], v[8:9], v[28:29]
	s_waitcnt vmcnt(8)
	v_fma_f64 v[2:3], v[2:3], v[163:164], -v[38:39]
	v_mul_f64 v[22:23], v[6:7], v[28:29]
	v_fma_f64 v[4:5], v[4:5], v[163:164], v[32:33]
	v_add_f64 v[18:19], v[18:19], v[20:21]
	v_add_f64 v[14:15], v[14:15], v[16:17]
	s_waitcnt vmcnt(7) lgkmcnt(0)
	v_mul_f64 v[20:21], v[12:13], v[148:149]
	v_mul_f64 v[16:17], v[10:11], v[148:149]
	s_waitcnt vmcnt(5)
	v_fma_f64 v[6:7], v[6:7], v[26:27], -v[24:25]
	v_fma_f64 v[8:9], v[8:9], v[26:27], v[22:23]
	v_add_f64 v[2:3], v[18:19], v[2:3]
	v_add_f64 v[4:5], v[14:15], v[4:5]
	s_waitcnt vmcnt(4)
	v_fma_f64 v[10:11], v[10:11], v[165:166], -v[20:21]
	v_add_f64 v[2:3], v[2:3], v[6:7]
	v_fma_f64 v[6:7], v[12:13], v[165:166], v[16:17]
	v_add_f64 v[4:5], v[4:5], v[8:9]
	v_add_f64 v[2:3], v[2:3], v[10:11]
	;; [unrolled: 1-line block ×3, first 2 shown]
	s_waitcnt vmcnt(2)
	v_add_f64 v[2:3], v[30:31], -v[2:3]
	s_waitcnt vmcnt(0)
	v_add_f64 v[4:5], v[34:35], -v[4:5]
	buffer_store_dword v3, off, s[0:3], 0 offset:260
	buffer_store_dword v2, off, s[0:3], 0 offset:256
	;; [unrolled: 1-line block ×4, first 2 shown]
	v_cmpx_lt_u32_e32 14, v0
	s_cbranch_execz .LBB36_207
; %bb.206:
	v_mov_b32_e32 v5, s35
	s_clause 0x3
	buffer_load_dword v2, v5, s[0:3], 0 offen
	buffer_load_dword v3, v5, s[0:3], 0 offen offset:4
	buffer_load_dword v4, v5, s[0:3], 0 offen offset:8
	;; [unrolled: 1-line block ×3, first 2 shown]
	buffer_store_dword v1, off, s[0:3], 0 offset:240
	buffer_store_dword v1, off, s[0:3], 0 offset:244
	buffer_store_dword v1, off, s[0:3], 0 offset:248
	buffer_store_dword v1, off, s[0:3], 0 offset:252
	s_waitcnt vmcnt(0)
	ds_write_b128 v133, v[2:5]
.LBB36_207:
	s_or_b32 exec_lo, exec_lo, s4
	s_waitcnt lgkmcnt(0)
	s_waitcnt_vscnt null, 0x0
	s_barrier
	buffer_gl0_inv
	s_clause 0x37
	buffer_load_dword v10, off, s[0:3], 0 offset:264
	buffer_load_dword v11, off, s[0:3], 0 offset:268
	;; [unrolled: 1-line block ×56, first 2 shown]
	ds_read_b128 v[2:5], v1 offset:832
	s_clause 0x2
	buffer_load_dword v143, off, s[0:3], 0 offset:492
	buffer_load_dword v147, off, s[0:3], 0 offset:468
	;; [unrolled: 1-line block ×3, first 2 shown]
	ds_read_b128 v[6:9], v1 offset:848
	s_clause 0x4
	buffer_load_dword v153, off, s[0:3], 0 offset:508
	buffer_load_dword v154, off, s[0:3], 0 offset:520
	;; [unrolled: 1-line block ×5, first 2 shown]
	s_mov_b32 s4, exec_lo
	s_waitcnt vmcnt(62) lgkmcnt(1)
	v_mul_f64 v[148:149], v[4:5], v[10:11]
	v_mul_f64 v[150:151], v[2:3], v[10:11]
	s_waitcnt vmcnt(60) lgkmcnt(0)
	v_mul_f64 v[157:158], v[8:9], v[14:15]
	ds_read_b128 v[10:13], v1 offset:864
	v_mul_f64 v[14:15], v[6:7], v[14:15]
	s_waitcnt vmcnt(58)
	v_fma_f64 v[148:149], v[2:3], v[16:17], -v[148:149]
	v_fma_f64 v[16:17], v[4:5], v[16:17], v[150:151]
	s_clause 0x2
	buffer_load_dword v155, off, s[0:3], 0 offset:524
	buffer_load_dword v151, off, s[0:3], 0 offset:500
	;; [unrolled: 1-line block ×3, first 2 shown]
	s_waitcnt vmcnt(59) lgkmcnt(0)
	v_mul_f64 v[159:160], v[10:11], v[18:19]
	v_mul_f64 v[18:19], v[12:13], v[18:19]
	s_waitcnt vmcnt(57)
	v_fma_f64 v[161:162], v[6:7], v[20:21], -v[157:158]
	ds_read_b128 v[2:5], v1 offset:880
	v_fma_f64 v[14:15], v[8:9], v[20:21], v[14:15]
	s_clause 0x4
	buffer_load_dword v21, off, s[0:3], 0 offset:540
	buffer_load_dword v158, off, s[0:3], 0 offset:552
	buffer_load_dword v163, off, s[0:3], 0 offset:544
	buffer_load_dword v20, off, s[0:3], 0 offset:536
	buffer_load_dword v157, off, s[0:3], 0 offset:516
	ds_read_b128 v[6:9], v1 offset:896
	v_add_f64 v[148:149], v[148:149], 0
	v_add_f64 v[16:17], v[16:17], 0
	s_waitcnt vmcnt(58) lgkmcnt(1)
	v_mul_f64 v[164:165], v[2:3], v[22:23]
	v_mul_f64 v[22:23], v[4:5], v[22:23]
	s_waitcnt vmcnt(56)
	v_fma_f64 v[18:19], v[10:11], v[28:29], -v[18:19]
	v_fma_f64 v[28:29], v[12:13], v[28:29], v[159:160]
	v_add_f64 v[148:149], v[148:149], v[161:162]
	v_add_f64 v[14:15], v[16:17], v[14:15]
	s_clause 0x2
	buffer_load_dword v159, off, s[0:3], 0 offset:556
	buffer_load_dword v17, off, s[0:3], 0 offset:532
	;; [unrolled: 1-line block ×3, first 2 shown]
	s_waitcnt vmcnt(58) lgkmcnt(0)
	v_mul_f64 v[160:161], v[6:7], v[24:25]
	v_mul_f64 v[24:25], v[8:9], v[24:25]
	s_waitcnt vmcnt(56)
	v_fma_f64 v[22:23], v[2:3], v[30:31], -v[22:23]
	ds_read_b128 v[10:13], v1 offset:912
	v_fma_f64 v[30:31], v[4:5], v[30:31], v[164:165]
	v_add_f64 v[18:19], v[148:149], v[18:19]
	v_add_f64 v[14:15], v[14:15], v[28:29]
	s_clause 0x4
	buffer_load_dword v29, off, s[0:3], 0 offset:572
	buffer_load_dword v148, off, s[0:3], 0 offset:584
	;; [unrolled: 1-line block ×5, first 2 shown]
	ds_read_b128 v[2:5], v1 offset:928
	s_waitcnt vmcnt(57) lgkmcnt(1)
	v_mul_f64 v[166:167], v[10:11], v[32:33]
	v_mul_f64 v[32:33], v[12:13], v[32:33]
	s_waitcnt vmcnt(56)
	v_fma_f64 v[24:25], v[6:7], v[26:27], -v[24:25]
	v_add_f64 v[18:19], v[18:19], v[22:23]
	v_fma_f64 v[22:23], v[8:9], v[26:27], v[160:161]
	v_add_f64 v[14:15], v[14:15], v[30:31]
	s_clause 0x2
	buffer_load_dword v149, off, s[0:3], 0 offset:588
	buffer_load_dword v27, off, s[0:3], 0 offset:564
	;; [unrolled: 1-line block ×3, first 2 shown]
	s_waitcnt vmcnt(58) lgkmcnt(0)
	v_mul_f64 v[30:31], v[2:3], v[34:35]
	v_mul_f64 v[34:35], v[4:5], v[34:35]
	s_waitcnt vmcnt(56)
	v_fma_f64 v[32:33], v[10:11], v[38:39], -v[32:33]
	ds_read_b128 v[6:9], v1 offset:944
	v_add_f64 v[18:19], v[18:19], v[24:25]
	v_fma_f64 v[24:25], v[12:13], v[38:39], v[166:167]
	v_add_f64 v[14:15], v[14:15], v[22:23]
	s_clause 0x2
	buffer_load_dword v23, off, s[0:3], 0 offset:604
	buffer_load_dword v22, off, s[0:3], 0 offset:600
	;; [unrolled: 1-line block ×3, first 2 shown]
	ds_read_b128 v[10:13], v1 offset:960
	s_waitcnt vmcnt(55) lgkmcnt(1)
	v_mul_f64 v[38:39], v[6:7], v[40:41]
	v_mul_f64 v[40:41], v[8:9], v[40:41]
	s_waitcnt vmcnt(54)
	v_fma_f64 v[34:35], v[2:3], v[36:37], -v[34:35]
	v_fma_f64 v[30:31], v[4:5], v[36:37], v[30:31]
	v_add_f64 v[18:19], v[18:19], v[32:33]
	v_add_f64 v[14:15], v[14:15], v[24:25]
	s_clause 0x1
	buffer_load_dword v25, off, s[0:3], 0 offset:596
	buffer_load_dword v24, off, s[0:3], 0 offset:592
	s_waitcnt vmcnt(55) lgkmcnt(0)
	v_mul_f64 v[36:37], v[12:13], v[42:43]
	ds_read_b128 v[2:5], v1 offset:976
	s_waitcnt vmcnt(53)
	v_fma_f64 v[40:41], v[6:7], v[121:122], -v[40:41]
	v_mul_f64 v[32:33], v[10:11], v[42:43]
	v_add_f64 v[18:19], v[18:19], v[34:35]
	v_fma_f64 v[34:35], v[8:9], v[121:122], v[38:39]
	v_add_f64 v[14:15], v[14:15], v[30:31]
	ds_read_b128 v[6:9], v1 offset:992
	s_waitcnt vmcnt(49) lgkmcnt(1)
	v_mul_f64 v[38:39], v[4:5], v[123:124]
	s_waitcnt vmcnt(48)
	v_fma_f64 v[36:37], v[10:11], v[119:120], -v[36:37]
	v_mul_f64 v[30:31], v[2:3], v[123:124]
	v_fma_f64 v[32:33], v[12:13], v[119:120], v[32:33]
	v_add_f64 v[18:19], v[18:19], v[40:41]
	s_waitcnt vmcnt(47) lgkmcnt(0)
	v_mul_f64 v[119:120], v[8:9], v[125:126]
	v_add_f64 v[14:15], v[14:15], v[34:35]
	s_clause 0x3
	buffer_load_dword v34, off, s[0:3], 0 offset:240
	buffer_load_dword v35, off, s[0:3], 0 offset:244
	;; [unrolled: 1-line block ×4, first 2 shown]
	s_waitcnt vmcnt(49)
	v_fma_f64 v[38:39], v[2:3], v[129:130], -v[38:39]
	ds_read_b128 v[10:13], v1 offset:1008
	v_mul_f64 v[42:43], v[6:7], v[125:126]
	v_fma_f64 v[30:31], v[4:5], v[129:130], v[30:31]
	ds_read_b128 v[2:5], v1 offset:1024
	v_add_f64 v[18:19], v[18:19], v[36:37]
	s_waitcnt vmcnt(44)
	v_fma_f64 v[119:120], v[6:7], v[127:128], -v[119:120]
	v_add_f64 v[14:15], v[14:15], v[32:33]
	s_waitcnt lgkmcnt(1)
	v_mul_f64 v[36:37], v[12:13], v[131:132]
	v_mul_f64 v[32:33], v[10:11], v[131:132]
	v_add_f64 v[18:19], v[18:19], v[38:39]
	v_fma_f64 v[38:39], v[8:9], v[127:128], v[42:43]
	v_add_f64 v[14:15], v[14:15], v[30:31]
	s_waitcnt vmcnt(43) lgkmcnt(0)
	v_mul_f64 v[42:43], v[4:5], v[134:135]
	s_waitcnt vmcnt(41)
	v_fma_f64 v[36:37], v[10:11], v[138:139], -v[36:37]
	ds_read_b128 v[6:9], v1 offset:1040
	v_mul_f64 v[30:31], v[2:3], v[134:135]
	v_fma_f64 v[32:33], v[12:13], v[138:139], v[32:33]
	ds_read_b128 v[10:13], v1 offset:1056
	v_add_f64 v[18:19], v[18:19], v[119:120]
	v_add_f64 v[14:15], v[14:15], v[38:39]
	s_waitcnt vmcnt(37) lgkmcnt(1)
	v_mul_f64 v[119:120], v[8:9], v[140:141]
	s_waitcnt vmcnt(36)
	v_fma_f64 v[42:43], v[2:3], v[136:137], -v[42:43]
	v_mul_f64 v[38:39], v[6:7], v[140:141]
	v_fma_f64 v[30:31], v[4:5], v[136:137], v[30:31]
	ds_read_b128 v[2:5], v1 offset:1072
	v_add_f64 v[18:19], v[18:19], v[36:37]
	s_waitcnt vmcnt(35) lgkmcnt(1)
	v_mul_f64 v[36:37], v[12:13], v[142:143]
	v_add_f64 v[14:15], v[14:15], v[32:33]
	s_waitcnt vmcnt(33)
	v_fma_f64 v[119:120], v[6:7], v[146:147], -v[119:120]
	v_mul_f64 v[32:33], v[10:11], v[142:143]
	v_fma_f64 v[38:39], v[8:9], v[146:147], v[38:39]
	ds_read_b128 v[6:9], v1 offset:1088
	v_add_f64 v[18:19], v[18:19], v[42:43]
	s_waitcnt vmcnt(29) lgkmcnt(1)
	v_mul_f64 v[42:43], v[4:5], v[152:153]
	v_add_f64 v[14:15], v[14:15], v[30:31]
	s_waitcnt vmcnt(28)
	v_fma_f64 v[36:37], v[10:11], v[144:145], -v[36:37]
	v_mul_f64 v[30:31], v[2:3], v[152:153]
	v_fma_f64 v[32:33], v[12:13], v[144:145], v[32:33]
	ds_read_b128 v[10:13], v1 offset:1104
	v_add_f64 v[18:19], v[18:19], v[119:120]
	v_add_f64 v[14:15], v[14:15], v[38:39]
	s_waitcnt vmcnt(27) lgkmcnt(1)
	v_mul_f64 v[119:120], v[8:9], v[154:155]
	v_mul_f64 v[38:39], v[6:7], v[154:155]
	s_waitcnt vmcnt(25)
	v_fma_f64 v[42:43], v[2:3], v[150:151], -v[42:43]
	v_fma_f64 v[30:31], v[4:5], v[150:151], v[30:31]
	ds_read_b128 v[2:5], v1 offset:1120
	v_add_f64 v[18:19], v[18:19], v[36:37]
	v_add_f64 v[14:15], v[14:15], v[32:33]
	s_waitcnt vmcnt(21) lgkmcnt(1)
	v_mul_f64 v[32:33], v[10:11], v[20:21]
	v_mul_f64 v[20:21], v[12:13], v[20:21]
	s_waitcnt vmcnt(20)
	v_fma_f64 v[36:37], v[6:7], v[156:157], -v[119:120]
	;; [unrolled: 9-line block ×4, first 2 shown]
	v_add_f64 v[18:19], v[18:19], v[20:21]
	v_fma_f64 v[20:21], v[4:5], v[163:164], v[30:31]
	v_add_f64 v[14:15], v[14:15], v[16:17]
	ds_read_b128 v[1:4], v1 offset:1168
	s_waitcnt vmcnt(11) lgkmcnt(1)
	v_mul_f64 v[30:31], v[12:13], v[148:149]
	v_mul_f64 v[16:17], v[10:11], v[148:149]
	s_waitcnt vmcnt(9)
	v_fma_f64 v[5:6], v[6:7], v[26:27], -v[28:29]
	v_fma_f64 v[7:8], v[8:9], v[26:27], v[32:33]
	v_add_f64 v[18:19], v[18:19], v[36:37]
	v_add_f64 v[14:15], v[14:15], v[20:21]
	s_waitcnt vmcnt(7) lgkmcnt(0)
	v_mul_f64 v[20:21], v[1:2], v[22:23]
	v_mul_f64 v[22:23], v[3:4], v[22:23]
	s_waitcnt vmcnt(6)
	v_fma_f64 v[9:10], v[10:11], v[165:166], -v[30:31]
	v_fma_f64 v[11:12], v[12:13], v[165:166], v[16:17]
	v_add_f64 v[5:6], v[18:19], v[5:6]
	v_add_f64 v[7:8], v[14:15], v[7:8]
	s_waitcnt vmcnt(4)
	v_fma_f64 v[1:2], v[1:2], v[24:25], -v[22:23]
	v_fma_f64 v[3:4], v[3:4], v[24:25], v[20:21]
	v_add_f64 v[5:6], v[5:6], v[9:10]
	v_add_f64 v[7:8], v[7:8], v[11:12]
	v_add_f64 v[1:2], v[5:6], v[1:2]
	v_add_f64 v[3:4], v[7:8], v[3:4]
	s_waitcnt vmcnt(2)
	v_add_f64 v[1:2], v[34:35], -v[1:2]
	s_waitcnt vmcnt(0)
	v_add_f64 v[3:4], v[40:41], -v[3:4]
	buffer_store_dword v2, off, s[0:3], 0 offset:244
	buffer_store_dword v1, off, s[0:3], 0 offset:240
	;; [unrolled: 1-line block ×4, first 2 shown]
	v_cmpx_lt_u32_e32 13, v0
	s_cbranch_execz .LBB36_209
; %bb.208:
	v_mov_b32_e32 v4, s36
	v_mov_b32_e32 v5, 0
	s_clause 0x3
	buffer_load_dword v1, v4, s[0:3], 0 offen
	buffer_load_dword v2, v4, s[0:3], 0 offen offset:4
	buffer_load_dword v3, v4, s[0:3], 0 offen offset:8
	;; [unrolled: 1-line block ×3, first 2 shown]
	buffer_store_dword v5, off, s[0:3], 0 offset:224
	buffer_store_dword v5, off, s[0:3], 0 offset:228
	;; [unrolled: 1-line block ×4, first 2 shown]
	s_waitcnt vmcnt(0)
	ds_write_b128 v133, v[1:4]
.LBB36_209:
	s_or_b32 exec_lo, exec_lo, s4
	s_waitcnt lgkmcnt(0)
	s_waitcnt_vscnt null, 0x0
	s_barrier
	buffer_gl0_inv
	s_clause 0x37
	buffer_load_dword v10, off, s[0:3], 0 offset:248
	buffer_load_dword v11, off, s[0:3], 0 offset:252
	buffer_load_dword v14, off, s[0:3], 0 offset:264
	buffer_load_dword v15, off, s[0:3], 0 offset:268
	buffer_load_dword v16, off, s[0:3], 0 offset:240
	buffer_load_dword v17, off, s[0:3], 0 offset:244
	buffer_load_dword v18, off, s[0:3], 0 offset:280
	buffer_load_dword v19, off, s[0:3], 0 offset:284
	buffer_load_dword v20, off, s[0:3], 0 offset:256
	buffer_load_dword v21, off, s[0:3], 0 offset:260
	buffer_load_dword v23, off, s[0:3], 0 offset:300
	buffer_load_dword v24, off, s[0:3], 0 offset:312
	buffer_load_dword v26, off, s[0:3], 0 offset:304
	buffer_load_dword v22, off, s[0:3], 0 offset:296
	buffer_load_dword v28, off, s[0:3], 0 offset:272
	buffer_load_dword v29, off, s[0:3], 0 offset:276
	buffer_load_dword v25, off, s[0:3], 0 offset:316
	buffer_load_dword v31, off, s[0:3], 0 offset:292
	buffer_load_dword v30, off, s[0:3], 0 offset:288
	buffer_load_dword v33, off, s[0:3], 0 offset:332
	buffer_load_dword v34, off, s[0:3], 0 offset:344
	buffer_load_dword v36, off, s[0:3], 0 offset:336
	buffer_load_dword v32, off, s[0:3], 0 offset:328
	buffer_load_dword v27, off, s[0:3], 0 offset:308
	buffer_load_dword v35, off, s[0:3], 0 offset:348
	buffer_load_dword v39, off, s[0:3], 0 offset:324
	buffer_load_dword v38, off, s[0:3], 0 offset:320
	buffer_load_dword v41, off, s[0:3], 0 offset:364
	buffer_load_dword v42, off, s[0:3], 0 offset:376
	buffer_load_dword v119, off, s[0:3], 0 offset:368
	buffer_load_dword v40, off, s[0:3], 0 offset:360
	buffer_load_dword v37, off, s[0:3], 0 offset:340
	buffer_load_dword v43, off, s[0:3], 0 offset:380
	buffer_load_dword v122, off, s[0:3], 0 offset:356
	buffer_load_dword v121, off, s[0:3], 0 offset:352
	buffer_load_dword v124, off, s[0:3], 0 offset:396
	buffer_load_dword v125, off, s[0:3], 0 offset:408
	buffer_load_dword v127, off, s[0:3], 0 offset:400
	buffer_load_dword v123, off, s[0:3], 0 offset:392
	buffer_load_dword v120, off, s[0:3], 0 offset:372
	buffer_load_dword v126, off, s[0:3], 0 offset:412
	buffer_load_dword v130, off, s[0:3], 0 offset:388
	buffer_load_dword v129, off, s[0:3], 0 offset:384
	buffer_load_dword v132, off, s[0:3], 0 offset:428
	buffer_load_dword v134, off, s[0:3], 0 offset:440
	buffer_load_dword v136, off, s[0:3], 0 offset:432
	buffer_load_dword v131, off, s[0:3], 0 offset:424
	buffer_load_dword v128, off, s[0:3], 0 offset:404
	buffer_load_dword v135, off, s[0:3], 0 offset:444
	buffer_load_dword v139, off, s[0:3], 0 offset:420
	buffer_load_dword v138, off, s[0:3], 0 offset:416
	buffer_load_dword v141, off, s[0:3], 0 offset:460
	buffer_load_dword v142, off, s[0:3], 0 offset:472
	buffer_load_dword v144, off, s[0:3], 0 offset:464
	buffer_load_dword v140, off, s[0:3], 0 offset:456
	buffer_load_dword v137, off, s[0:3], 0 offset:436
	v_mov_b32_e32 v1, 0
	s_mov_b32 s4, exec_lo
	ds_read_b128 v[2:5], v1 offset:816
	s_clause 0x2
	buffer_load_dword v143, off, s[0:3], 0 offset:476
	buffer_load_dword v147, off, s[0:3], 0 offset:452
	;; [unrolled: 1-line block ×3, first 2 shown]
	ds_read_b128 v[6:9], v1 offset:832
	s_clause 0x4
	buffer_load_dword v153, off, s[0:3], 0 offset:492
	buffer_load_dword v154, off, s[0:3], 0 offset:504
	;; [unrolled: 1-line block ×5, first 2 shown]
	s_waitcnt vmcnt(62) lgkmcnt(1)
	v_mul_f64 v[148:149], v[4:5], v[10:11]
	v_mul_f64 v[150:151], v[2:3], v[10:11]
	s_waitcnt vmcnt(60) lgkmcnt(0)
	v_mul_f64 v[157:158], v[8:9], v[14:15]
	ds_read_b128 v[10:13], v1 offset:848
	v_mul_f64 v[14:15], v[6:7], v[14:15]
	s_waitcnt vmcnt(58)
	v_fma_f64 v[148:149], v[2:3], v[16:17], -v[148:149]
	v_fma_f64 v[16:17], v[4:5], v[16:17], v[150:151]
	s_clause 0x2
	buffer_load_dword v155, off, s[0:3], 0 offset:508
	buffer_load_dword v151, off, s[0:3], 0 offset:484
	;; [unrolled: 1-line block ×3, first 2 shown]
	s_waitcnt vmcnt(59) lgkmcnt(0)
	v_mul_f64 v[159:160], v[10:11], v[18:19]
	v_mul_f64 v[18:19], v[12:13], v[18:19]
	s_waitcnt vmcnt(57)
	v_fma_f64 v[161:162], v[6:7], v[20:21], -v[157:158]
	ds_read_b128 v[2:5], v1 offset:864
	v_fma_f64 v[14:15], v[8:9], v[20:21], v[14:15]
	s_clause 0x4
	buffer_load_dword v21, off, s[0:3], 0 offset:524
	buffer_load_dword v158, off, s[0:3], 0 offset:536
	;; [unrolled: 1-line block ×5, first 2 shown]
	ds_read_b128 v[6:9], v1 offset:880
	v_add_f64 v[148:149], v[148:149], 0
	v_add_f64 v[16:17], v[16:17], 0
	s_waitcnt vmcnt(58) lgkmcnt(1)
	v_mul_f64 v[164:165], v[2:3], v[22:23]
	v_mul_f64 v[22:23], v[4:5], v[22:23]
	s_waitcnt vmcnt(56)
	v_fma_f64 v[18:19], v[10:11], v[28:29], -v[18:19]
	v_fma_f64 v[28:29], v[12:13], v[28:29], v[159:160]
	v_add_f64 v[148:149], v[148:149], v[161:162]
	v_add_f64 v[14:15], v[16:17], v[14:15]
	s_clause 0x2
	buffer_load_dword v159, off, s[0:3], 0 offset:540
	buffer_load_dword v17, off, s[0:3], 0 offset:516
	buffer_load_dword v16, off, s[0:3], 0 offset:512
	s_waitcnt vmcnt(58) lgkmcnt(0)
	v_mul_f64 v[160:161], v[6:7], v[24:25]
	v_mul_f64 v[24:25], v[8:9], v[24:25]
	s_waitcnt vmcnt(56)
	v_fma_f64 v[22:23], v[2:3], v[30:31], -v[22:23]
	ds_read_b128 v[10:13], v1 offset:896
	v_fma_f64 v[30:31], v[4:5], v[30:31], v[164:165]
	v_add_f64 v[18:19], v[148:149], v[18:19]
	v_add_f64 v[14:15], v[14:15], v[28:29]
	s_clause 0x4
	buffer_load_dword v29, off, s[0:3], 0 offset:556
	buffer_load_dword v148, off, s[0:3], 0 offset:568
	buffer_load_dword v165, off, s[0:3], 0 offset:560
	buffer_load_dword v28, off, s[0:3], 0 offset:552
	buffer_load_dword v164, off, s[0:3], 0 offset:532
	ds_read_b128 v[2:5], v1 offset:912
	s_waitcnt vmcnt(57) lgkmcnt(1)
	v_mul_f64 v[166:167], v[10:11], v[32:33]
	v_mul_f64 v[32:33], v[12:13], v[32:33]
	s_waitcnt vmcnt(56)
	v_fma_f64 v[24:25], v[6:7], v[26:27], -v[24:25]
	v_add_f64 v[18:19], v[18:19], v[22:23]
	v_fma_f64 v[22:23], v[8:9], v[26:27], v[160:161]
	v_add_f64 v[14:15], v[14:15], v[30:31]
	s_clause 0x2
	buffer_load_dword v149, off, s[0:3], 0 offset:572
	buffer_load_dword v27, off, s[0:3], 0 offset:548
	;; [unrolled: 1-line block ×3, first 2 shown]
	s_waitcnt vmcnt(58) lgkmcnt(0)
	v_mul_f64 v[30:31], v[2:3], v[34:35]
	v_mul_f64 v[34:35], v[4:5], v[34:35]
	s_waitcnt vmcnt(56)
	v_fma_f64 v[32:33], v[10:11], v[38:39], -v[32:33]
	ds_read_b128 v[6:9], v1 offset:928
	v_add_f64 v[18:19], v[18:19], v[24:25]
	v_fma_f64 v[24:25], v[12:13], v[38:39], v[166:167]
	v_add_f64 v[14:15], v[14:15], v[22:23]
	s_clause 0x4
	buffer_load_dword v23, off, s[0:3], 0 offset:588
	buffer_load_dword v38, off, s[0:3], 0 offset:600
	;; [unrolled: 1-line block ×5, first 2 shown]
	ds_read_b128 v[10:13], v1 offset:944
	s_waitcnt vmcnt(57) lgkmcnt(1)
	v_mul_f64 v[161:162], v[6:7], v[40:41]
	v_mul_f64 v[40:41], v[8:9], v[40:41]
	s_waitcnt vmcnt(56)
	v_fma_f64 v[34:35], v[2:3], v[36:37], -v[34:35]
	v_fma_f64 v[30:31], v[4:5], v[36:37], v[30:31]
	v_add_f64 v[18:19], v[18:19], v[32:33]
	v_add_f64 v[14:15], v[14:15], v[24:25]
	s_clause 0x2
	buffer_load_dword v39, off, s[0:3], 0 offset:604
	buffer_load_dword v25, off, s[0:3], 0 offset:580
	;; [unrolled: 1-line block ×3, first 2 shown]
	s_waitcnt vmcnt(58) lgkmcnt(0)
	v_mul_f64 v[36:37], v[12:13], v[42:43]
	ds_read_b128 v[2:5], v1 offset:960
	s_waitcnt vmcnt(56)
	v_fma_f64 v[40:41], v[6:7], v[121:122], -v[40:41]
	v_mul_f64 v[32:33], v[10:11], v[42:43]
	v_add_f64 v[18:19], v[18:19], v[34:35]
	v_fma_f64 v[34:35], v[8:9], v[121:122], v[161:162]
	v_add_f64 v[14:15], v[14:15], v[30:31]
	buffer_load_dword v161, off, s[0:3], 0 offset:596
	ds_read_b128 v[6:9], v1 offset:976
	s_waitcnt vmcnt(53) lgkmcnt(1)
	v_mul_f64 v[42:43], v[4:5], v[123:124]
	s_waitcnt vmcnt(52)
	v_fma_f64 v[36:37], v[10:11], v[119:120], -v[36:37]
	v_mul_f64 v[30:31], v[2:3], v[123:124]
	v_fma_f64 v[32:33], v[12:13], v[119:120], v[32:33]
	ds_read_b128 v[10:13], v1 offset:992
	v_add_f64 v[18:19], v[18:19], v[40:41]
	v_add_f64 v[14:15], v[14:15], v[34:35]
	s_waitcnt vmcnt(51) lgkmcnt(1)
	v_mul_f64 v[40:41], v[8:9], v[125:126]
	v_mul_f64 v[34:35], v[6:7], v[125:126]
	s_waitcnt vmcnt(49)
	v_fma_f64 v[42:43], v[2:3], v[129:130], -v[42:43]
	v_fma_f64 v[30:31], v[4:5], v[129:130], v[30:31]
	s_waitcnt vmcnt(45) lgkmcnt(0)
	v_mul_f64 v[121:122], v[12:13], v[131:132]
	v_mul_f64 v[119:120], v[10:11], v[131:132]
	v_add_f64 v[18:19], v[18:19], v[36:37]
	v_add_f64 v[14:15], v[14:15], v[32:33]
	s_clause 0x3
	buffer_load_dword v32, off, s[0:3], 0 offset:224
	buffer_load_dword v33, off, s[0:3], 0 offset:228
	;; [unrolled: 1-line block ×4, first 2 shown]
	s_waitcnt vmcnt(48)
	v_fma_f64 v[40:41], v[6:7], v[127:128], -v[40:41]
	ds_read_b128 v[2:5], v1 offset:1008
	v_fma_f64 v[34:35], v[8:9], v[127:128], v[34:35]
	ds_read_b128 v[6:9], v1 offset:1024
	s_waitcnt vmcnt(45)
	v_fma_f64 v[121:122], v[10:11], v[138:139], -v[121:122]
	v_add_f64 v[18:19], v[18:19], v[42:43]
	v_add_f64 v[14:15], v[14:15], v[30:31]
	s_waitcnt lgkmcnt(1)
	v_mul_f64 v[42:43], v[4:5], v[134:135]
	v_mul_f64 v[30:31], v[2:3], v[134:135]
	v_add_f64 v[18:19], v[18:19], v[40:41]
	v_fma_f64 v[40:41], v[12:13], v[138:139], v[119:120]
	v_add_f64 v[14:15], v[14:15], v[34:35]
	s_waitcnt vmcnt(41) lgkmcnt(0)
	v_mul_f64 v[119:120], v[8:9], v[140:141]
	s_waitcnt vmcnt(40)
	v_fma_f64 v[42:43], v[2:3], v[136:137], -v[42:43]
	ds_read_b128 v[10:13], v1 offset:1040
	v_mul_f64 v[34:35], v[6:7], v[140:141]
	v_fma_f64 v[30:31], v[4:5], v[136:137], v[30:31]
	ds_read_b128 v[2:5], v1 offset:1056
	v_add_f64 v[18:19], v[18:19], v[121:122]
	v_add_f64 v[14:15], v[14:15], v[40:41]
	s_waitcnt vmcnt(39) lgkmcnt(1)
	v_mul_f64 v[121:122], v[12:13], v[142:143]
	s_waitcnt vmcnt(37)
	v_fma_f64 v[119:120], v[6:7], v[146:147], -v[119:120]
	v_mul_f64 v[40:41], v[10:11], v[142:143]
	v_fma_f64 v[34:35], v[8:9], v[146:147], v[34:35]
	ds_read_b128 v[6:9], v1 offset:1072
	v_add_f64 v[18:19], v[18:19], v[42:43]
	s_waitcnt vmcnt(33) lgkmcnt(1)
	v_mul_f64 v[42:43], v[4:5], v[152:153]
	v_add_f64 v[14:15], v[14:15], v[30:31]
	s_waitcnt vmcnt(32)
	v_fma_f64 v[121:122], v[10:11], v[144:145], -v[121:122]
	v_mul_f64 v[30:31], v[2:3], v[152:153]
	v_fma_f64 v[40:41], v[12:13], v[144:145], v[40:41]
	ds_read_b128 v[10:13], v1 offset:1088
	v_add_f64 v[18:19], v[18:19], v[119:120]
	v_add_f64 v[14:15], v[14:15], v[34:35]
	s_waitcnt vmcnt(31) lgkmcnt(1)
	v_mul_f64 v[119:120], v[8:9], v[154:155]
	v_mul_f64 v[34:35], v[6:7], v[154:155]
	s_waitcnt vmcnt(29)
	v_fma_f64 v[42:43], v[2:3], v[150:151], -v[42:43]
	v_fma_f64 v[30:31], v[4:5], v[150:151], v[30:31]
	ds_read_b128 v[2:5], v1 offset:1104
	v_add_f64 v[18:19], v[18:19], v[121:122]
	v_add_f64 v[14:15], v[14:15], v[40:41]
	s_waitcnt vmcnt(25) lgkmcnt(1)
	v_mul_f64 v[40:41], v[10:11], v[20:21]
	v_mul_f64 v[20:21], v[12:13], v[20:21]
	s_waitcnt vmcnt(24)
	v_fma_f64 v[119:120], v[6:7], v[156:157], -v[119:120]
	;; [unrolled: 9-line block ×4, first 2 shown]
	v_add_f64 v[18:19], v[18:19], v[20:21]
	v_fma_f64 v[20:21], v[4:5], v[163:164], v[30:31]
	v_add_f64 v[14:15], v[14:15], v[16:17]
	ds_read_b128 v[2:5], v1 offset:1152
	s_waitcnt vmcnt(15) lgkmcnt(1)
	v_mul_f64 v[30:31], v[12:13], v[148:149]
	v_mul_f64 v[16:17], v[10:11], v[148:149]
	s_waitcnt vmcnt(13)
	v_fma_f64 v[28:29], v[6:7], v[26:27], -v[28:29]
	v_fma_f64 v[26:27], v[8:9], v[26:27], v[34:35]
	ds_read_b128 v[6:9], v1 offset:1168
	v_add_f64 v[18:19], v[18:19], v[40:41]
	v_add_f64 v[14:15], v[14:15], v[20:21]
	s_waitcnt vmcnt(9) lgkmcnt(1)
	v_mul_f64 v[20:21], v[2:3], v[22:23]
	v_mul_f64 v[22:23], v[4:5], v[22:23]
	s_waitcnt vmcnt(8)
	v_fma_f64 v[10:11], v[10:11], v[165:166], -v[30:31]
	v_fma_f64 v[12:13], v[12:13], v[165:166], v[16:17]
	v_add_f64 v[18:19], v[18:19], v[28:29]
	v_add_f64 v[14:15], v[14:15], v[26:27]
	s_waitcnt vmcnt(7) lgkmcnt(0)
	v_mul_f64 v[26:27], v[8:9], v[38:39]
	v_mul_f64 v[16:17], v[6:7], v[38:39]
	s_waitcnt vmcnt(5)
	v_fma_f64 v[2:3], v[2:3], v[24:25], -v[22:23]
	v_fma_f64 v[4:5], v[4:5], v[24:25], v[20:21]
	v_add_f64 v[10:11], v[18:19], v[10:11]
	v_add_f64 v[12:13], v[14:15], v[12:13]
	s_waitcnt vmcnt(4)
	v_fma_f64 v[6:7], v[6:7], v[160:161], -v[26:27]
	v_fma_f64 v[8:9], v[8:9], v[160:161], v[16:17]
	v_add_f64 v[2:3], v[10:11], v[2:3]
	v_add_f64 v[4:5], v[12:13], v[4:5]
	;; [unrolled: 1-line block ×4, first 2 shown]
	s_waitcnt vmcnt(2)
	v_add_f64 v[2:3], v[32:33], -v[2:3]
	s_waitcnt vmcnt(0)
	v_add_f64 v[4:5], v[36:37], -v[4:5]
	buffer_store_dword v3, off, s[0:3], 0 offset:228
	buffer_store_dword v2, off, s[0:3], 0 offset:224
	;; [unrolled: 1-line block ×4, first 2 shown]
	v_cmpx_lt_u32_e32 12, v0
	s_cbranch_execz .LBB36_211
; %bb.210:
	v_mov_b32_e32 v5, s37
	s_clause 0x3
	buffer_load_dword v2, v5, s[0:3], 0 offen
	buffer_load_dword v3, v5, s[0:3], 0 offen offset:4
	buffer_load_dword v4, v5, s[0:3], 0 offen offset:8
	;; [unrolled: 1-line block ×3, first 2 shown]
	buffer_store_dword v1, off, s[0:3], 0 offset:208
	buffer_store_dword v1, off, s[0:3], 0 offset:212
	buffer_store_dword v1, off, s[0:3], 0 offset:216
	buffer_store_dword v1, off, s[0:3], 0 offset:220
	s_waitcnt vmcnt(0)
	ds_write_b128 v133, v[2:5]
.LBB36_211:
	s_or_b32 exec_lo, exec_lo, s4
	s_waitcnt lgkmcnt(0)
	s_waitcnt_vscnt null, 0x0
	s_barrier
	buffer_gl0_inv
	s_clause 0x37
	buffer_load_dword v10, off, s[0:3], 0 offset:232
	buffer_load_dword v11, off, s[0:3], 0 offset:236
	;; [unrolled: 1-line block ×56, first 2 shown]
	ds_read_b128 v[2:5], v1 offset:800
	s_clause 0x2
	buffer_load_dword v143, off, s[0:3], 0 offset:460
	buffer_load_dword v147, off, s[0:3], 0 offset:436
	buffer_load_dword v146, off, s[0:3], 0 offset:432
	ds_read_b128 v[6:9], v1 offset:816
	s_clause 0x4
	buffer_load_dword v153, off, s[0:3], 0 offset:476
	buffer_load_dword v154, off, s[0:3], 0 offset:488
	;; [unrolled: 1-line block ×5, first 2 shown]
	s_mov_b32 s4, exec_lo
	s_waitcnt vmcnt(62) lgkmcnt(1)
	v_mul_f64 v[148:149], v[4:5], v[10:11]
	v_mul_f64 v[150:151], v[2:3], v[10:11]
	s_waitcnt vmcnt(60) lgkmcnt(0)
	v_mul_f64 v[157:158], v[8:9], v[14:15]
	ds_read_b128 v[10:13], v1 offset:832
	v_mul_f64 v[14:15], v[6:7], v[14:15]
	s_waitcnt vmcnt(58)
	v_fma_f64 v[148:149], v[2:3], v[16:17], -v[148:149]
	v_fma_f64 v[16:17], v[4:5], v[16:17], v[150:151]
	s_clause 0x2
	buffer_load_dword v155, off, s[0:3], 0 offset:492
	buffer_load_dword v151, off, s[0:3], 0 offset:468
	;; [unrolled: 1-line block ×3, first 2 shown]
	s_waitcnt vmcnt(59) lgkmcnt(0)
	v_mul_f64 v[159:160], v[10:11], v[18:19]
	v_mul_f64 v[18:19], v[12:13], v[18:19]
	s_waitcnt vmcnt(57)
	v_fma_f64 v[161:162], v[6:7], v[20:21], -v[157:158]
	ds_read_b128 v[2:5], v1 offset:848
	v_fma_f64 v[14:15], v[8:9], v[20:21], v[14:15]
	s_clause 0x4
	buffer_load_dword v21, off, s[0:3], 0 offset:508
	buffer_load_dword v158, off, s[0:3], 0 offset:520
	;; [unrolled: 1-line block ×5, first 2 shown]
	ds_read_b128 v[6:9], v1 offset:864
	v_add_f64 v[148:149], v[148:149], 0
	v_add_f64 v[16:17], v[16:17], 0
	s_waitcnt vmcnt(58) lgkmcnt(1)
	v_mul_f64 v[164:165], v[2:3], v[22:23]
	v_mul_f64 v[22:23], v[4:5], v[22:23]
	s_waitcnt vmcnt(56)
	v_fma_f64 v[18:19], v[10:11], v[28:29], -v[18:19]
	v_fma_f64 v[28:29], v[12:13], v[28:29], v[159:160]
	v_add_f64 v[148:149], v[148:149], v[161:162]
	v_add_f64 v[14:15], v[16:17], v[14:15]
	s_clause 0x2
	buffer_load_dword v159, off, s[0:3], 0 offset:524
	buffer_load_dword v17, off, s[0:3], 0 offset:500
	;; [unrolled: 1-line block ×3, first 2 shown]
	s_waitcnt vmcnt(58) lgkmcnt(0)
	v_mul_f64 v[160:161], v[6:7], v[24:25]
	v_mul_f64 v[24:25], v[8:9], v[24:25]
	s_waitcnt vmcnt(56)
	v_fma_f64 v[22:23], v[2:3], v[30:31], -v[22:23]
	ds_read_b128 v[10:13], v1 offset:880
	v_fma_f64 v[30:31], v[4:5], v[30:31], v[164:165]
	v_add_f64 v[18:19], v[148:149], v[18:19]
	v_add_f64 v[14:15], v[14:15], v[28:29]
	s_clause 0x4
	buffer_load_dword v29, off, s[0:3], 0 offset:540
	buffer_load_dword v148, off, s[0:3], 0 offset:552
	;; [unrolled: 1-line block ×5, first 2 shown]
	ds_read_b128 v[2:5], v1 offset:896
	s_waitcnt vmcnt(57) lgkmcnt(1)
	v_mul_f64 v[166:167], v[10:11], v[32:33]
	v_mul_f64 v[32:33], v[12:13], v[32:33]
	s_waitcnt vmcnt(56)
	v_fma_f64 v[24:25], v[6:7], v[26:27], -v[24:25]
	v_add_f64 v[18:19], v[18:19], v[22:23]
	v_fma_f64 v[22:23], v[8:9], v[26:27], v[160:161]
	v_add_f64 v[14:15], v[14:15], v[30:31]
	s_clause 0x2
	buffer_load_dword v149, off, s[0:3], 0 offset:556
	buffer_load_dword v27, off, s[0:3], 0 offset:532
	;; [unrolled: 1-line block ×3, first 2 shown]
	s_waitcnt vmcnt(58) lgkmcnt(0)
	v_mul_f64 v[30:31], v[2:3], v[34:35]
	v_mul_f64 v[34:35], v[4:5], v[34:35]
	s_waitcnt vmcnt(56)
	v_fma_f64 v[32:33], v[10:11], v[38:39], -v[32:33]
	ds_read_b128 v[6:9], v1 offset:912
	v_add_f64 v[18:19], v[18:19], v[24:25]
	v_fma_f64 v[24:25], v[12:13], v[38:39], v[166:167]
	v_add_f64 v[14:15], v[14:15], v[22:23]
	s_clause 0x4
	buffer_load_dword v23, off, s[0:3], 0 offset:572
	buffer_load_dword v38, off, s[0:3], 0 offset:584
	;; [unrolled: 1-line block ×5, first 2 shown]
	ds_read_b128 v[10:13], v1 offset:928
	s_waitcnt vmcnt(57) lgkmcnt(1)
	v_mul_f64 v[161:162], v[6:7], v[40:41]
	v_mul_f64 v[40:41], v[8:9], v[40:41]
	s_waitcnt vmcnt(56)
	v_fma_f64 v[34:35], v[2:3], v[36:37], -v[34:35]
	v_fma_f64 v[30:31], v[4:5], v[36:37], v[30:31]
	v_add_f64 v[18:19], v[18:19], v[32:33]
	v_add_f64 v[14:15], v[14:15], v[24:25]
	s_clause 0x2
	buffer_load_dword v39, off, s[0:3], 0 offset:588
	buffer_load_dword v25, off, s[0:3], 0 offset:564
	;; [unrolled: 1-line block ×3, first 2 shown]
	s_waitcnt vmcnt(58) lgkmcnt(0)
	v_mul_f64 v[36:37], v[12:13], v[42:43]
	ds_read_b128 v[2:5], v1 offset:944
	s_waitcnt vmcnt(56)
	v_fma_f64 v[40:41], v[6:7], v[121:122], -v[40:41]
	v_mul_f64 v[32:33], v[10:11], v[42:43]
	v_add_f64 v[18:19], v[18:19], v[34:35]
	v_fma_f64 v[34:35], v[8:9], v[121:122], v[161:162]
	v_add_f64 v[14:15], v[14:15], v[30:31]
	s_clause 0x2
	buffer_load_dword v31, off, s[0:3], 0 offset:604
	buffer_load_dword v30, off, s[0:3], 0 offset:600
	;; [unrolled: 1-line block ×3, first 2 shown]
	s_waitcnt vmcnt(55) lgkmcnt(0)
	v_mul_f64 v[121:122], v[4:5], v[123:124]
	s_waitcnt vmcnt(54)
	v_fma_f64 v[36:37], v[10:11], v[119:120], -v[36:37]
	ds_read_b128 v[6:9], v1 offset:960
	v_mul_f64 v[42:43], v[2:3], v[123:124]
	v_fma_f64 v[32:33], v[12:13], v[119:120], v[32:33]
	v_add_f64 v[18:19], v[18:19], v[40:41]
	v_add_f64 v[14:15], v[14:15], v[34:35]
	s_clause 0x1
	buffer_load_dword v35, off, s[0:3], 0 offset:596
	buffer_load_dword v34, off, s[0:3], 0 offset:592
	s_waitcnt vmcnt(55) lgkmcnt(0)
	v_mul_f64 v[119:120], v[8:9], v[125:126]
	s_waitcnt vmcnt(53)
	v_fma_f64 v[121:122], v[2:3], v[129:130], -v[121:122]
	ds_read_b128 v[10:13], v1 offset:976
	v_mul_f64 v[40:41], v[6:7], v[125:126]
	v_add_f64 v[18:19], v[18:19], v[36:37]
	v_fma_f64 v[36:37], v[4:5], v[129:130], v[42:43]
	v_add_f64 v[14:15], v[14:15], v[32:33]
	ds_read_b128 v[2:5], v1 offset:992
	s_waitcnt vmcnt(49) lgkmcnt(1)
	v_mul_f64 v[42:43], v[12:13], v[131:132]
	s_waitcnt vmcnt(48)
	v_fma_f64 v[119:120], v[6:7], v[127:128], -v[119:120]
	v_mul_f64 v[32:33], v[10:11], v[131:132]
	v_fma_f64 v[40:41], v[8:9], v[127:128], v[40:41]
	v_add_f64 v[18:19], v[18:19], v[121:122]
	s_waitcnt vmcnt(47) lgkmcnt(0)
	v_mul_f64 v[125:126], v[4:5], v[134:135]
	v_add_f64 v[14:15], v[14:15], v[36:37]
	s_clause 0x3
	buffer_load_dword v36, off, s[0:3], 0 offset:208
	buffer_load_dword v37, off, s[0:3], 0 offset:212
	buffer_load_dword v121, off, s[0:3], 0 offset:216
	buffer_load_dword v122, off, s[0:3], 0 offset:220
	s_waitcnt vmcnt(49)
	v_fma_f64 v[42:43], v[10:11], v[138:139], -v[42:43]
	ds_read_b128 v[6:9], v1 offset:1008
	v_mul_f64 v[123:124], v[2:3], v[134:135]
	v_fma_f64 v[32:33], v[12:13], v[138:139], v[32:33]
	ds_read_b128 v[10:13], v1 offset:1024
	v_add_f64 v[18:19], v[18:19], v[119:120]
	s_waitcnt vmcnt(44)
	v_fma_f64 v[125:126], v[2:3], v[136:137], -v[125:126]
	v_add_f64 v[14:15], v[14:15], v[40:41]
	s_waitcnt lgkmcnt(1)
	v_mul_f64 v[119:120], v[8:9], v[140:141]
	v_mul_f64 v[40:41], v[6:7], v[140:141]
	v_add_f64 v[18:19], v[18:19], v[42:43]
	v_fma_f64 v[42:43], v[4:5], v[136:137], v[123:124]
	v_add_f64 v[14:15], v[14:15], v[32:33]
	s_waitcnt vmcnt(43) lgkmcnt(0)
	v_mul_f64 v[123:124], v[12:13], v[142:143]
	s_waitcnt vmcnt(41)
	v_fma_f64 v[119:120], v[6:7], v[146:147], -v[119:120]
	ds_read_b128 v[2:5], v1 offset:1040
	v_mul_f64 v[32:33], v[10:11], v[142:143]
	v_fma_f64 v[40:41], v[8:9], v[146:147], v[40:41]
	ds_read_b128 v[6:9], v1 offset:1056
	v_add_f64 v[18:19], v[18:19], v[125:126]
	v_add_f64 v[14:15], v[14:15], v[42:43]
	s_waitcnt vmcnt(37) lgkmcnt(1)
	v_mul_f64 v[125:126], v[4:5], v[152:153]
	s_waitcnt vmcnt(36)
	v_fma_f64 v[123:124], v[10:11], v[144:145], -v[123:124]
	v_mul_f64 v[42:43], v[2:3], v[152:153]
	v_fma_f64 v[32:33], v[12:13], v[144:145], v[32:33]
	ds_read_b128 v[10:13], v1 offset:1072
	v_add_f64 v[18:19], v[18:19], v[119:120]
	v_add_f64 v[14:15], v[14:15], v[40:41]
	s_waitcnt vmcnt(35) lgkmcnt(1)
	v_mul_f64 v[119:120], v[8:9], v[154:155]
	v_mul_f64 v[40:41], v[6:7], v[154:155]
	s_waitcnt vmcnt(33)
	v_fma_f64 v[125:126], v[2:3], v[150:151], -v[125:126]
	v_fma_f64 v[42:43], v[4:5], v[150:151], v[42:43]
	ds_read_b128 v[2:5], v1 offset:1088
	v_add_f64 v[18:19], v[18:19], v[123:124]
	v_add_f64 v[14:15], v[14:15], v[32:33]
	s_waitcnt vmcnt(29) lgkmcnt(1)
	v_mul_f64 v[32:33], v[10:11], v[20:21]
	v_mul_f64 v[20:21], v[12:13], v[20:21]
	s_waitcnt vmcnt(28)
	v_fma_f64 v[119:120], v[6:7], v[156:157], -v[119:120]
	;; [unrolled: 9-line block ×4, first 2 shown]
	v_add_f64 v[18:19], v[18:19], v[20:21]
	v_fma_f64 v[20:21], v[4:5], v[163:164], v[42:43]
	v_add_f64 v[14:15], v[14:15], v[16:17]
	ds_read_b128 v[2:5], v1 offset:1136
	s_waitcnt vmcnt(19) lgkmcnt(1)
	v_mul_f64 v[42:43], v[12:13], v[148:149]
	v_mul_f64 v[16:17], v[10:11], v[148:149]
	s_waitcnt vmcnt(17)
	v_fma_f64 v[28:29], v[6:7], v[26:27], -v[28:29]
	v_fma_f64 v[26:27], v[8:9], v[26:27], v[32:33]
	ds_read_b128 v[6:9], v1 offset:1152
	v_add_f64 v[18:19], v[18:19], v[40:41]
	v_add_f64 v[14:15], v[14:15], v[20:21]
	s_waitcnt vmcnt(13) lgkmcnt(1)
	v_mul_f64 v[20:21], v[2:3], v[22:23]
	v_mul_f64 v[22:23], v[4:5], v[22:23]
	s_waitcnt vmcnt(12)
	v_fma_f64 v[32:33], v[10:11], v[165:166], -v[42:43]
	v_fma_f64 v[16:17], v[12:13], v[165:166], v[16:17]
	ds_read_b128 v[10:13], v1 offset:1168
	v_add_f64 v[18:19], v[18:19], v[28:29]
	v_add_f64 v[14:15], v[14:15], v[26:27]
	s_waitcnt vmcnt(11) lgkmcnt(1)
	v_mul_f64 v[28:29], v[8:9], v[38:39]
	v_mul_f64 v[26:27], v[6:7], v[38:39]
	s_waitcnt vmcnt(9)
	v_fma_f64 v[1:2], v[2:3], v[24:25], -v[22:23]
	v_fma_f64 v[3:4], v[4:5], v[24:25], v[20:21]
	v_add_f64 v[18:19], v[18:19], v[32:33]
	v_add_f64 v[14:15], v[14:15], v[16:17]
	s_waitcnt vmcnt(7) lgkmcnt(0)
	v_mul_f64 v[20:21], v[12:13], v[30:31]
	s_waitcnt vmcnt(6)
	v_fma_f64 v[5:6], v[6:7], v[160:161], -v[28:29]
	v_mul_f64 v[16:17], v[10:11], v[30:31]
	v_fma_f64 v[7:8], v[8:9], v[160:161], v[26:27]
	v_add_f64 v[1:2], v[18:19], v[1:2]
	v_add_f64 v[3:4], v[14:15], v[3:4]
	s_waitcnt vmcnt(4)
	v_fma_f64 v[9:10], v[10:11], v[34:35], -v[20:21]
	v_add_f64 v[1:2], v[1:2], v[5:6]
	v_fma_f64 v[5:6], v[12:13], v[34:35], v[16:17]
	v_add_f64 v[3:4], v[3:4], v[7:8]
	v_add_f64 v[1:2], v[1:2], v[9:10]
	;; [unrolled: 1-line block ×3, first 2 shown]
	s_waitcnt vmcnt(2)
	v_add_f64 v[1:2], v[36:37], -v[1:2]
	s_waitcnt vmcnt(0)
	v_add_f64 v[3:4], v[121:122], -v[3:4]
	buffer_store_dword v2, off, s[0:3], 0 offset:212
	buffer_store_dword v1, off, s[0:3], 0 offset:208
	;; [unrolled: 1-line block ×4, first 2 shown]
	v_cmpx_lt_u32_e32 11, v0
	s_cbranch_execz .LBB36_213
; %bb.212:
	v_mov_b32_e32 v4, s38
	v_mov_b32_e32 v5, 0
	s_clause 0x3
	buffer_load_dword v1, v4, s[0:3], 0 offen
	buffer_load_dword v2, v4, s[0:3], 0 offen offset:4
	buffer_load_dword v3, v4, s[0:3], 0 offen offset:8
	buffer_load_dword v4, v4, s[0:3], 0 offen offset:12
	buffer_store_dword v5, off, s[0:3], 0 offset:192
	buffer_store_dword v5, off, s[0:3], 0 offset:196
	;; [unrolled: 1-line block ×4, first 2 shown]
	s_waitcnt vmcnt(0)
	ds_write_b128 v133, v[1:4]
.LBB36_213:
	s_or_b32 exec_lo, exec_lo, s4
	s_waitcnt lgkmcnt(0)
	s_waitcnt_vscnt null, 0x0
	s_barrier
	buffer_gl0_inv
	s_clause 0x37
	buffer_load_dword v10, off, s[0:3], 0 offset:216
	buffer_load_dword v11, off, s[0:3], 0 offset:220
	;; [unrolled: 1-line block ×56, first 2 shown]
	v_mov_b32_e32 v1, 0
	s_mov_b32 s4, exec_lo
	ds_read_b128 v[2:5], v1 offset:784
	s_clause 0x2
	buffer_load_dword v143, off, s[0:3], 0 offset:444
	buffer_load_dword v147, off, s[0:3], 0 offset:420
	;; [unrolled: 1-line block ×3, first 2 shown]
	ds_read_b128 v[6:9], v1 offset:800
	s_clause 0x4
	buffer_load_dword v153, off, s[0:3], 0 offset:460
	buffer_load_dword v154, off, s[0:3], 0 offset:472
	;; [unrolled: 1-line block ×5, first 2 shown]
	s_waitcnt vmcnt(62) lgkmcnt(1)
	v_mul_f64 v[148:149], v[4:5], v[10:11]
	v_mul_f64 v[150:151], v[2:3], v[10:11]
	s_waitcnt vmcnt(60) lgkmcnt(0)
	v_mul_f64 v[157:158], v[8:9], v[14:15]
	ds_read_b128 v[10:13], v1 offset:816
	v_mul_f64 v[14:15], v[6:7], v[14:15]
	s_waitcnt vmcnt(58)
	v_fma_f64 v[148:149], v[2:3], v[16:17], -v[148:149]
	v_fma_f64 v[16:17], v[4:5], v[16:17], v[150:151]
	s_clause 0x2
	buffer_load_dword v155, off, s[0:3], 0 offset:476
	buffer_load_dword v151, off, s[0:3], 0 offset:452
	;; [unrolled: 1-line block ×3, first 2 shown]
	s_waitcnt vmcnt(59) lgkmcnt(0)
	v_mul_f64 v[159:160], v[10:11], v[18:19]
	v_mul_f64 v[18:19], v[12:13], v[18:19]
	s_waitcnt vmcnt(57)
	v_fma_f64 v[161:162], v[6:7], v[20:21], -v[157:158]
	ds_read_b128 v[2:5], v1 offset:832
	v_fma_f64 v[14:15], v[8:9], v[20:21], v[14:15]
	s_clause 0x4
	buffer_load_dword v21, off, s[0:3], 0 offset:492
	buffer_load_dword v158, off, s[0:3], 0 offset:504
	;; [unrolled: 1-line block ×5, first 2 shown]
	ds_read_b128 v[6:9], v1 offset:848
	v_add_f64 v[148:149], v[148:149], 0
	v_add_f64 v[16:17], v[16:17], 0
	s_waitcnt vmcnt(58) lgkmcnt(1)
	v_mul_f64 v[164:165], v[2:3], v[22:23]
	v_mul_f64 v[22:23], v[4:5], v[22:23]
	s_waitcnt vmcnt(56)
	v_fma_f64 v[18:19], v[10:11], v[28:29], -v[18:19]
	v_fma_f64 v[28:29], v[12:13], v[28:29], v[159:160]
	v_add_f64 v[148:149], v[148:149], v[161:162]
	v_add_f64 v[14:15], v[16:17], v[14:15]
	s_clause 0x2
	buffer_load_dword v159, off, s[0:3], 0 offset:508
	buffer_load_dword v17, off, s[0:3], 0 offset:484
	;; [unrolled: 1-line block ×3, first 2 shown]
	s_waitcnt vmcnt(58) lgkmcnt(0)
	v_mul_f64 v[160:161], v[6:7], v[24:25]
	v_mul_f64 v[24:25], v[8:9], v[24:25]
	s_waitcnt vmcnt(56)
	v_fma_f64 v[22:23], v[2:3], v[30:31], -v[22:23]
	ds_read_b128 v[10:13], v1 offset:864
	v_fma_f64 v[30:31], v[4:5], v[30:31], v[164:165]
	v_add_f64 v[18:19], v[148:149], v[18:19]
	v_add_f64 v[14:15], v[14:15], v[28:29]
	s_clause 0x4
	buffer_load_dword v29, off, s[0:3], 0 offset:524
	buffer_load_dword v148, off, s[0:3], 0 offset:536
	;; [unrolled: 1-line block ×5, first 2 shown]
	ds_read_b128 v[2:5], v1 offset:880
	s_waitcnt vmcnt(57) lgkmcnt(1)
	v_mul_f64 v[166:167], v[10:11], v[32:33]
	v_mul_f64 v[32:33], v[12:13], v[32:33]
	s_waitcnt vmcnt(56)
	v_fma_f64 v[24:25], v[6:7], v[26:27], -v[24:25]
	v_add_f64 v[18:19], v[18:19], v[22:23]
	v_fma_f64 v[22:23], v[8:9], v[26:27], v[160:161]
	v_add_f64 v[14:15], v[14:15], v[30:31]
	s_clause 0x2
	buffer_load_dword v149, off, s[0:3], 0 offset:540
	buffer_load_dword v27, off, s[0:3], 0 offset:516
	;; [unrolled: 1-line block ×3, first 2 shown]
	s_waitcnt vmcnt(58) lgkmcnt(0)
	v_mul_f64 v[30:31], v[2:3], v[34:35]
	v_mul_f64 v[34:35], v[4:5], v[34:35]
	s_waitcnt vmcnt(56)
	v_fma_f64 v[32:33], v[10:11], v[38:39], -v[32:33]
	ds_read_b128 v[6:9], v1 offset:896
	v_add_f64 v[18:19], v[18:19], v[24:25]
	v_fma_f64 v[24:25], v[12:13], v[38:39], v[166:167]
	v_add_f64 v[14:15], v[14:15], v[22:23]
	s_clause 0x4
	buffer_load_dword v23, off, s[0:3], 0 offset:556
	buffer_load_dword v38, off, s[0:3], 0 offset:568
	;; [unrolled: 1-line block ×5, first 2 shown]
	ds_read_b128 v[10:13], v1 offset:912
	s_waitcnt vmcnt(57) lgkmcnt(1)
	v_mul_f64 v[161:162], v[6:7], v[40:41]
	v_mul_f64 v[40:41], v[8:9], v[40:41]
	s_waitcnt vmcnt(56)
	v_fma_f64 v[34:35], v[2:3], v[36:37], -v[34:35]
	v_fma_f64 v[30:31], v[4:5], v[36:37], v[30:31]
	v_add_f64 v[18:19], v[18:19], v[32:33]
	v_add_f64 v[14:15], v[14:15], v[24:25]
	s_clause 0x2
	buffer_load_dword v39, off, s[0:3], 0 offset:572
	buffer_load_dword v25, off, s[0:3], 0 offset:548
	;; [unrolled: 1-line block ×3, first 2 shown]
	s_waitcnt vmcnt(58) lgkmcnt(0)
	v_mul_f64 v[36:37], v[12:13], v[42:43]
	ds_read_b128 v[2:5], v1 offset:928
	s_waitcnt vmcnt(56)
	v_fma_f64 v[40:41], v[6:7], v[121:122], -v[40:41]
	v_mul_f64 v[32:33], v[10:11], v[42:43]
	v_add_f64 v[18:19], v[18:19], v[34:35]
	v_fma_f64 v[34:35], v[8:9], v[121:122], v[161:162]
	v_add_f64 v[14:15], v[14:15], v[30:31]
	s_clause 0x4
	buffer_load_dword v31, off, s[0:3], 0 offset:588
	buffer_load_dword v42, off, s[0:3], 0 offset:600
	;; [unrolled: 1-line block ×5, first 2 shown]
	s_waitcnt vmcnt(57) lgkmcnt(0)
	v_mul_f64 v[167:168], v[2:3], v[123:124]
	v_mul_f64 v[122:123], v[4:5], v[123:124]
	s_waitcnt vmcnt(56)
	v_fma_f64 v[36:37], v[10:11], v[119:120], -v[36:37]
	ds_read_b128 v[6:9], v1 offset:944
	v_fma_f64 v[32:33], v[12:13], v[119:120], v[32:33]
	v_add_f64 v[18:19], v[18:19], v[40:41]
	v_add_f64 v[14:15], v[14:15], v[34:35]
	s_clause 0x2
	buffer_load_dword v43, off, s[0:3], 0 offset:604
	buffer_load_dword v35, off, s[0:3], 0 offset:580
	;; [unrolled: 1-line block ×3, first 2 shown]
	ds_read_b128 v[10:13], v1 offset:960
	s_waitcnt vmcnt(58) lgkmcnt(1)
	v_mul_f64 v[119:120], v[8:9], v[125:126]
	s_waitcnt vmcnt(56)
	v_fma_f64 v[123:124], v[2:3], v[129:130], -v[122:123]
	v_mul_f64 v[40:41], v[6:7], v[125:126]
	buffer_load_dword v122, off, s[0:3], 0 offset:596
	v_add_f64 v[18:19], v[18:19], v[36:37]
	v_fma_f64 v[36:37], v[4:5], v[129:130], v[167:168]
	v_add_f64 v[14:15], v[14:15], v[32:33]
	ds_read_b128 v[2:5], v1 offset:976
	s_waitcnt vmcnt(53) lgkmcnt(1)
	v_mul_f64 v[125:126], v[12:13], v[131:132]
	s_waitcnt vmcnt(52)
	v_fma_f64 v[119:120], v[6:7], v[127:128], -v[119:120]
	v_mul_f64 v[32:33], v[10:11], v[131:132]
	v_fma_f64 v[40:41], v[8:9], v[127:128], v[40:41]
	ds_read_b128 v[6:9], v1 offset:992
	v_add_f64 v[18:19], v[18:19], v[123:124]
	s_waitcnt vmcnt(51) lgkmcnt(1)
	v_mul_f64 v[123:124], v[4:5], v[134:135]
	v_add_f64 v[14:15], v[14:15], v[36:37]
	v_mul_f64 v[36:37], v[2:3], v[134:135]
	s_waitcnt vmcnt(49)
	v_fma_f64 v[125:126], v[10:11], v[138:139], -v[125:126]
	v_fma_f64 v[32:33], v[12:13], v[138:139], v[32:33]
	s_waitcnt vmcnt(45) lgkmcnt(0)
	v_mul_f64 v[129:130], v[8:9], v[140:141]
	v_mul_f64 v[127:128], v[6:7], v[140:141]
	v_add_f64 v[18:19], v[18:19], v[119:120]
	s_waitcnt vmcnt(44)
	v_fma_f64 v[123:124], v[2:3], v[136:137], -v[123:124]
	v_add_f64 v[14:15], v[14:15], v[40:41]
	s_clause 0x3
	buffer_load_dword v40, off, s[0:3], 0 offset:192
	buffer_load_dword v41, off, s[0:3], 0 offset:196
	;; [unrolled: 1-line block ×4, first 2 shown]
	ds_read_b128 v[10:13], v1 offset:1008
	v_fma_f64 v[36:37], v[4:5], v[136:137], v[36:37]
	ds_read_b128 v[2:5], v1 offset:1024
	s_waitcnt vmcnt(45)
	v_fma_f64 v[129:130], v[6:7], v[146:147], -v[129:130]
	v_add_f64 v[18:19], v[18:19], v[125:126]
	v_add_f64 v[14:15], v[14:15], v[32:33]
	s_waitcnt lgkmcnt(1)
	v_mul_f64 v[125:126], v[12:13], v[142:143]
	v_mul_f64 v[32:33], v[10:11], v[142:143]
	v_add_f64 v[18:19], v[18:19], v[123:124]
	v_fma_f64 v[123:124], v[8:9], v[146:147], v[127:128]
	v_add_f64 v[14:15], v[14:15], v[36:37]
	s_waitcnt vmcnt(41) lgkmcnt(0)
	v_mul_f64 v[127:128], v[4:5], v[152:153]
	s_waitcnt vmcnt(40)
	v_fma_f64 v[125:126], v[10:11], v[144:145], -v[125:126]
	ds_read_b128 v[6:9], v1 offset:1040
	v_mul_f64 v[36:37], v[2:3], v[152:153]
	v_fma_f64 v[32:33], v[12:13], v[144:145], v[32:33]
	ds_read_b128 v[10:13], v1 offset:1056
	v_add_f64 v[18:19], v[18:19], v[129:130]
	v_add_f64 v[14:15], v[14:15], v[123:124]
	s_waitcnt vmcnt(39) lgkmcnt(1)
	v_mul_f64 v[129:130], v[8:9], v[154:155]
	v_mul_f64 v[123:124], v[6:7], v[154:155]
	s_waitcnt vmcnt(37)
	v_fma_f64 v[127:128], v[2:3], v[150:151], -v[127:128]
	v_fma_f64 v[36:37], v[4:5], v[150:151], v[36:37]
	ds_read_b128 v[2:5], v1 offset:1072
	v_add_f64 v[18:19], v[18:19], v[125:126]
	v_add_f64 v[14:15], v[14:15], v[32:33]
	s_waitcnt vmcnt(33) lgkmcnt(1)
	v_mul_f64 v[32:33], v[10:11], v[20:21]
	v_mul_f64 v[20:21], v[12:13], v[20:21]
	s_waitcnt vmcnt(32)
	v_fma_f64 v[125:126], v[6:7], v[156:157], -v[129:130]
	;; [unrolled: 9-line block ×4, first 2 shown]
	v_add_f64 v[18:19], v[18:19], v[20:21]
	v_fma_f64 v[20:21], v[4:5], v[163:164], v[36:37]
	v_add_f64 v[14:15], v[14:15], v[16:17]
	ds_read_b128 v[2:5], v1 offset:1120
	s_waitcnt vmcnt(23) lgkmcnt(1)
	v_mul_f64 v[36:37], v[12:13], v[148:149]
	v_mul_f64 v[16:17], v[10:11], v[148:149]
	s_waitcnt vmcnt(21)
	v_fma_f64 v[28:29], v[6:7], v[26:27], -v[28:29]
	v_fma_f64 v[26:27], v[8:9], v[26:27], v[32:33]
	ds_read_b128 v[6:9], v1 offset:1136
	v_add_f64 v[18:19], v[18:19], v[123:124]
	v_add_f64 v[14:15], v[14:15], v[20:21]
	s_waitcnt vmcnt(17) lgkmcnt(1)
	v_mul_f64 v[20:21], v[2:3], v[22:23]
	v_mul_f64 v[22:23], v[4:5], v[22:23]
	s_waitcnt vmcnt(16)
	v_fma_f64 v[32:33], v[10:11], v[165:166], -v[36:37]
	v_fma_f64 v[16:17], v[12:13], v[165:166], v[16:17]
	ds_read_b128 v[10:13], v1 offset:1152
	v_add_f64 v[18:19], v[18:19], v[28:29]
	v_add_f64 v[14:15], v[14:15], v[26:27]
	;; [unrolled: 9-line block ×3, first 2 shown]
	s_waitcnt vmcnt(9) lgkmcnt(1)
	v_mul_f64 v[24:25], v[12:13], v[30:31]
	s_waitcnt vmcnt(8)
	v_fma_f64 v[6:7], v[6:7], v[160:161], -v[28:29]
	v_mul_f64 v[16:17], v[10:11], v[30:31]
	v_fma_f64 v[8:9], v[8:9], v[160:161], v[26:27]
	v_add_f64 v[18:19], v[18:19], v[22:23]
	v_add_f64 v[14:15], v[14:15], v[20:21]
	s_waitcnt vmcnt(7) lgkmcnt(0)
	v_mul_f64 v[22:23], v[4:5], v[42:43]
	v_mul_f64 v[20:21], v[2:3], v[42:43]
	s_waitcnt vmcnt(5)
	v_fma_f64 v[10:11], v[10:11], v[34:35], -v[24:25]
	v_fma_f64 v[12:13], v[12:13], v[34:35], v[16:17]
	v_add_f64 v[6:7], v[18:19], v[6:7]
	v_add_f64 v[8:9], v[14:15], v[8:9]
	s_waitcnt vmcnt(4)
	v_fma_f64 v[2:3], v[2:3], v[121:122], -v[22:23]
	v_fma_f64 v[4:5], v[4:5], v[121:122], v[20:21]
	v_add_f64 v[6:7], v[6:7], v[10:11]
	v_add_f64 v[8:9], v[8:9], v[12:13]
	v_add_f64 v[2:3], v[6:7], v[2:3]
	v_add_f64 v[4:5], v[8:9], v[4:5]
	s_waitcnt vmcnt(2)
	v_add_f64 v[2:3], v[40:41], -v[2:3]
	s_waitcnt vmcnt(0)
	v_add_f64 v[4:5], v[119:120], -v[4:5]
	buffer_store_dword v3, off, s[0:3], 0 offset:196
	buffer_store_dword v2, off, s[0:3], 0 offset:192
	;; [unrolled: 1-line block ×4, first 2 shown]
	v_cmpx_lt_u32_e32 10, v0
	s_cbranch_execz .LBB36_215
; %bb.214:
	v_mov_b32_e32 v5, s39
	s_clause 0x3
	buffer_load_dword v2, v5, s[0:3], 0 offen
	buffer_load_dword v3, v5, s[0:3], 0 offen offset:4
	buffer_load_dword v4, v5, s[0:3], 0 offen offset:8
	;; [unrolled: 1-line block ×3, first 2 shown]
	buffer_store_dword v1, off, s[0:3], 0 offset:176
	buffer_store_dword v1, off, s[0:3], 0 offset:180
	;; [unrolled: 1-line block ×4, first 2 shown]
	s_waitcnt vmcnt(0)
	ds_write_b128 v133, v[2:5]
.LBB36_215:
	s_or_b32 exec_lo, exec_lo, s4
	s_waitcnt lgkmcnt(0)
	s_waitcnt_vscnt null, 0x0
	s_barrier
	buffer_gl0_inv
	s_clause 0x37
	buffer_load_dword v10, off, s[0:3], 0 offset:200
	buffer_load_dword v11, off, s[0:3], 0 offset:204
	buffer_load_dword v14, off, s[0:3], 0 offset:216
	buffer_load_dword v15, off, s[0:3], 0 offset:220
	buffer_load_dword v16, off, s[0:3], 0 offset:192
	buffer_load_dword v17, off, s[0:3], 0 offset:196
	buffer_load_dword v18, off, s[0:3], 0 offset:232
	buffer_load_dword v19, off, s[0:3], 0 offset:236
	buffer_load_dword v20, off, s[0:3], 0 offset:208
	buffer_load_dword v21, off, s[0:3], 0 offset:212
	buffer_load_dword v23, off, s[0:3], 0 offset:252
	buffer_load_dword v24, off, s[0:3], 0 offset:264
	buffer_load_dword v26, off, s[0:3], 0 offset:256
	buffer_load_dword v22, off, s[0:3], 0 offset:248
	buffer_load_dword v28, off, s[0:3], 0 offset:224
	buffer_load_dword v29, off, s[0:3], 0 offset:228
	buffer_load_dword v25, off, s[0:3], 0 offset:268
	buffer_load_dword v31, off, s[0:3], 0 offset:244
	buffer_load_dword v30, off, s[0:3], 0 offset:240
	buffer_load_dword v33, off, s[0:3], 0 offset:284
	buffer_load_dword v34, off, s[0:3], 0 offset:296
	buffer_load_dword v36, off, s[0:3], 0 offset:288
	buffer_load_dword v32, off, s[0:3], 0 offset:280
	buffer_load_dword v27, off, s[0:3], 0 offset:260
	buffer_load_dword v35, off, s[0:3], 0 offset:300
	buffer_load_dword v39, off, s[0:3], 0 offset:276
	buffer_load_dword v38, off, s[0:3], 0 offset:272
	buffer_load_dword v41, off, s[0:3], 0 offset:316
	buffer_load_dword v42, off, s[0:3], 0 offset:328
	buffer_load_dword v119, off, s[0:3], 0 offset:320
	buffer_load_dword v40, off, s[0:3], 0 offset:312
	buffer_load_dword v37, off, s[0:3], 0 offset:292
	buffer_load_dword v43, off, s[0:3], 0 offset:332
	buffer_load_dword v122, off, s[0:3], 0 offset:308
	buffer_load_dword v121, off, s[0:3], 0 offset:304
	buffer_load_dword v124, off, s[0:3], 0 offset:348
	buffer_load_dword v125, off, s[0:3], 0 offset:360
	buffer_load_dword v127, off, s[0:3], 0 offset:352
	buffer_load_dword v123, off, s[0:3], 0 offset:344
	buffer_load_dword v120, off, s[0:3], 0 offset:324
	buffer_load_dword v126, off, s[0:3], 0 offset:364
	buffer_load_dword v130, off, s[0:3], 0 offset:340
	buffer_load_dword v129, off, s[0:3], 0 offset:336
	buffer_load_dword v132, off, s[0:3], 0 offset:380
	buffer_load_dword v134, off, s[0:3], 0 offset:392
	buffer_load_dword v136, off, s[0:3], 0 offset:384
	buffer_load_dword v131, off, s[0:3], 0 offset:376
	buffer_load_dword v128, off, s[0:3], 0 offset:356
	buffer_load_dword v135, off, s[0:3], 0 offset:396
	buffer_load_dword v139, off, s[0:3], 0 offset:372
	buffer_load_dword v138, off, s[0:3], 0 offset:368
	buffer_load_dword v141, off, s[0:3], 0 offset:412
	buffer_load_dword v142, off, s[0:3], 0 offset:424
	buffer_load_dword v144, off, s[0:3], 0 offset:416
	buffer_load_dword v140, off, s[0:3], 0 offset:408
	buffer_load_dword v137, off, s[0:3], 0 offset:388
	ds_read_b128 v[2:5], v1 offset:768
	s_clause 0x2
	buffer_load_dword v143, off, s[0:3], 0 offset:428
	buffer_load_dword v147, off, s[0:3], 0 offset:404
	;; [unrolled: 1-line block ×3, first 2 shown]
	ds_read_b128 v[6:9], v1 offset:784
	s_clause 0x4
	buffer_load_dword v153, off, s[0:3], 0 offset:444
	buffer_load_dword v154, off, s[0:3], 0 offset:456
	;; [unrolled: 1-line block ×5, first 2 shown]
	s_mov_b32 s4, exec_lo
	s_waitcnt vmcnt(62) lgkmcnt(1)
	v_mul_f64 v[148:149], v[4:5], v[10:11]
	v_mul_f64 v[150:151], v[2:3], v[10:11]
	s_waitcnt vmcnt(60) lgkmcnt(0)
	v_mul_f64 v[157:158], v[8:9], v[14:15]
	ds_read_b128 v[10:13], v1 offset:800
	v_mul_f64 v[14:15], v[6:7], v[14:15]
	s_waitcnt vmcnt(58)
	v_fma_f64 v[148:149], v[2:3], v[16:17], -v[148:149]
	v_fma_f64 v[16:17], v[4:5], v[16:17], v[150:151]
	s_clause 0x2
	buffer_load_dword v155, off, s[0:3], 0 offset:460
	buffer_load_dword v151, off, s[0:3], 0 offset:436
	;; [unrolled: 1-line block ×3, first 2 shown]
	s_waitcnt vmcnt(59) lgkmcnt(0)
	v_mul_f64 v[159:160], v[10:11], v[18:19]
	v_mul_f64 v[18:19], v[12:13], v[18:19]
	s_waitcnt vmcnt(57)
	v_fma_f64 v[161:162], v[6:7], v[20:21], -v[157:158]
	ds_read_b128 v[2:5], v1 offset:816
	v_fma_f64 v[14:15], v[8:9], v[20:21], v[14:15]
	s_clause 0x4
	buffer_load_dword v21, off, s[0:3], 0 offset:476
	buffer_load_dword v158, off, s[0:3], 0 offset:488
	buffer_load_dword v163, off, s[0:3], 0 offset:480
	buffer_load_dword v20, off, s[0:3], 0 offset:472
	buffer_load_dword v157, off, s[0:3], 0 offset:452
	ds_read_b128 v[6:9], v1 offset:832
	v_add_f64 v[148:149], v[148:149], 0
	v_add_f64 v[16:17], v[16:17], 0
	s_waitcnt vmcnt(58) lgkmcnt(1)
	v_mul_f64 v[164:165], v[2:3], v[22:23]
	v_mul_f64 v[22:23], v[4:5], v[22:23]
	s_waitcnt vmcnt(56)
	v_fma_f64 v[18:19], v[10:11], v[28:29], -v[18:19]
	v_fma_f64 v[28:29], v[12:13], v[28:29], v[159:160]
	v_add_f64 v[148:149], v[148:149], v[161:162]
	v_add_f64 v[14:15], v[16:17], v[14:15]
	s_clause 0x2
	buffer_load_dword v159, off, s[0:3], 0 offset:492
	buffer_load_dword v17, off, s[0:3], 0 offset:468
	;; [unrolled: 1-line block ×3, first 2 shown]
	s_waitcnt vmcnt(58) lgkmcnt(0)
	v_mul_f64 v[160:161], v[6:7], v[24:25]
	v_mul_f64 v[24:25], v[8:9], v[24:25]
	s_waitcnt vmcnt(56)
	v_fma_f64 v[22:23], v[2:3], v[30:31], -v[22:23]
	ds_read_b128 v[10:13], v1 offset:848
	v_fma_f64 v[30:31], v[4:5], v[30:31], v[164:165]
	v_add_f64 v[18:19], v[148:149], v[18:19]
	v_add_f64 v[14:15], v[14:15], v[28:29]
	s_clause 0x4
	buffer_load_dword v29, off, s[0:3], 0 offset:508
	buffer_load_dword v148, off, s[0:3], 0 offset:520
	;; [unrolled: 1-line block ×5, first 2 shown]
	ds_read_b128 v[2:5], v1 offset:864
	s_waitcnt vmcnt(57) lgkmcnt(1)
	v_mul_f64 v[166:167], v[10:11], v[32:33]
	v_mul_f64 v[32:33], v[12:13], v[32:33]
	s_waitcnt vmcnt(56)
	v_fma_f64 v[24:25], v[6:7], v[26:27], -v[24:25]
	v_add_f64 v[18:19], v[18:19], v[22:23]
	v_fma_f64 v[22:23], v[8:9], v[26:27], v[160:161]
	v_add_f64 v[14:15], v[14:15], v[30:31]
	s_clause 0x2
	buffer_load_dword v149, off, s[0:3], 0 offset:524
	buffer_load_dword v27, off, s[0:3], 0 offset:500
	;; [unrolled: 1-line block ×3, first 2 shown]
	s_waitcnt vmcnt(58) lgkmcnt(0)
	v_mul_f64 v[30:31], v[2:3], v[34:35]
	v_mul_f64 v[34:35], v[4:5], v[34:35]
	s_waitcnt vmcnt(56)
	v_fma_f64 v[32:33], v[10:11], v[38:39], -v[32:33]
	ds_read_b128 v[6:9], v1 offset:880
	v_add_f64 v[18:19], v[18:19], v[24:25]
	v_fma_f64 v[24:25], v[12:13], v[38:39], v[166:167]
	v_add_f64 v[14:15], v[14:15], v[22:23]
	s_clause 0x4
	buffer_load_dword v23, off, s[0:3], 0 offset:540
	buffer_load_dword v38, off, s[0:3], 0 offset:552
	;; [unrolled: 1-line block ×5, first 2 shown]
	ds_read_b128 v[10:13], v1 offset:896
	s_waitcnt vmcnt(57) lgkmcnt(1)
	v_mul_f64 v[161:162], v[6:7], v[40:41]
	v_mul_f64 v[40:41], v[8:9], v[40:41]
	s_waitcnt vmcnt(56)
	v_fma_f64 v[34:35], v[2:3], v[36:37], -v[34:35]
	v_fma_f64 v[30:31], v[4:5], v[36:37], v[30:31]
	v_add_f64 v[18:19], v[18:19], v[32:33]
	v_add_f64 v[14:15], v[14:15], v[24:25]
	s_clause 0x2
	buffer_load_dword v39, off, s[0:3], 0 offset:556
	buffer_load_dword v25, off, s[0:3], 0 offset:532
	;; [unrolled: 1-line block ×3, first 2 shown]
	s_waitcnt vmcnt(58) lgkmcnt(0)
	v_mul_f64 v[36:37], v[12:13], v[42:43]
	ds_read_b128 v[2:5], v1 offset:912
	s_waitcnt vmcnt(56)
	v_fma_f64 v[40:41], v[6:7], v[121:122], -v[40:41]
	v_mul_f64 v[32:33], v[10:11], v[42:43]
	v_add_f64 v[18:19], v[18:19], v[34:35]
	v_fma_f64 v[34:35], v[8:9], v[121:122], v[161:162]
	v_add_f64 v[14:15], v[14:15], v[30:31]
	s_clause 0x4
	buffer_load_dword v31, off, s[0:3], 0 offset:572
	buffer_load_dword v42, off, s[0:3], 0 offset:584
	;; [unrolled: 1-line block ×5, first 2 shown]
	s_waitcnt vmcnt(57) lgkmcnt(0)
	v_mul_f64 v[167:168], v[2:3], v[123:124]
	v_mul_f64 v[122:123], v[4:5], v[123:124]
	s_waitcnt vmcnt(56)
	v_fma_f64 v[36:37], v[10:11], v[119:120], -v[36:37]
	ds_read_b128 v[6:9], v1 offset:928
	v_fma_f64 v[32:33], v[12:13], v[119:120], v[32:33]
	v_add_f64 v[18:19], v[18:19], v[40:41]
	v_add_f64 v[14:15], v[14:15], v[34:35]
	s_clause 0x2
	buffer_load_dword v43, off, s[0:3], 0 offset:588
	buffer_load_dword v35, off, s[0:3], 0 offset:564
	;; [unrolled: 1-line block ×3, first 2 shown]
	ds_read_b128 v[10:13], v1 offset:944
	s_waitcnt vmcnt(58) lgkmcnt(1)
	v_mul_f64 v[119:120], v[8:9], v[125:126]
	s_waitcnt vmcnt(56)
	v_fma_f64 v[123:124], v[2:3], v[129:130], -v[122:123]
	v_mul_f64 v[40:41], v[6:7], v[125:126]
	v_add_f64 v[18:19], v[18:19], v[36:37]
	v_fma_f64 v[36:37], v[4:5], v[129:130], v[167:168]
	v_add_f64 v[14:15], v[14:15], v[32:33]
	s_clause 0x2
	buffer_load_dword v33, off, s[0:3], 0 offset:604
	buffer_load_dword v32, off, s[0:3], 0 offset:600
	;; [unrolled: 1-line block ×3, first 2 shown]
	s_waitcnt vmcnt(55) lgkmcnt(0)
	v_mul_f64 v[129:130], v[12:13], v[131:132]
	s_waitcnt vmcnt(54)
	v_fma_f64 v[119:120], v[6:7], v[127:128], -v[119:120]
	ds_read_b128 v[2:5], v1 offset:960
	v_mul_f64 v[125:126], v[10:11], v[131:132]
	v_fma_f64 v[40:41], v[8:9], v[127:128], v[40:41]
	v_add_f64 v[18:19], v[18:19], v[123:124]
	v_add_f64 v[14:15], v[14:15], v[36:37]
	s_clause 0x1
	buffer_load_dword v37, off, s[0:3], 0 offset:596
	buffer_load_dword v36, off, s[0:3], 0 offset:592
	s_waitcnt vmcnt(55) lgkmcnt(0)
	v_mul_f64 v[127:128], v[4:5], v[134:135]
	s_waitcnt vmcnt(53)
	v_fma_f64 v[129:130], v[10:11], v[138:139], -v[129:130]
	ds_read_b128 v[6:9], v1 offset:976
	v_mul_f64 v[123:124], v[2:3], v[134:135]
	v_add_f64 v[18:19], v[18:19], v[119:120]
	v_fma_f64 v[119:120], v[12:13], v[138:139], v[125:126]
	v_add_f64 v[14:15], v[14:15], v[40:41]
	ds_read_b128 v[10:13], v1 offset:992
	s_waitcnt vmcnt(49) lgkmcnt(1)
	v_mul_f64 v[125:126], v[8:9], v[140:141]
	s_waitcnt vmcnt(48)
	v_fma_f64 v[127:128], v[2:3], v[136:137], -v[127:128]
	v_mul_f64 v[40:41], v[6:7], v[140:141]
	v_fma_f64 v[123:124], v[4:5], v[136:137], v[123:124]
	v_add_f64 v[18:19], v[18:19], v[129:130]
	s_waitcnt vmcnt(47) lgkmcnt(0)
	v_mul_f64 v[134:135], v[12:13], v[142:143]
	v_add_f64 v[14:15], v[14:15], v[119:120]
	s_clause 0x3
	buffer_load_dword v119, off, s[0:3], 0 offset:176
	buffer_load_dword v120, off, s[0:3], 0 offset:180
	;; [unrolled: 1-line block ×4, first 2 shown]
	s_waitcnt vmcnt(49)
	v_fma_f64 v[125:126], v[6:7], v[146:147], -v[125:126]
	ds_read_b128 v[2:5], v1 offset:1008
	v_mul_f64 v[131:132], v[10:11], v[142:143]
	v_fma_f64 v[40:41], v[8:9], v[146:147], v[40:41]
	ds_read_b128 v[6:9], v1 offset:1024
	v_add_f64 v[18:19], v[18:19], v[127:128]
	s_waitcnt vmcnt(44)
	v_fma_f64 v[134:135], v[10:11], v[144:145], -v[134:135]
	v_add_f64 v[14:15], v[14:15], v[123:124]
	s_waitcnt lgkmcnt(1)
	v_mul_f64 v[127:128], v[4:5], v[152:153]
	v_mul_f64 v[123:124], v[2:3], v[152:153]
	v_add_f64 v[18:19], v[18:19], v[125:126]
	v_fma_f64 v[125:126], v[12:13], v[144:145], v[131:132]
	v_add_f64 v[14:15], v[14:15], v[40:41]
	ds_read_b128 v[10:13], v1 offset:1040
	s_waitcnt vmcnt(43) lgkmcnt(1)
	v_mul_f64 v[131:132], v[8:9], v[154:155]
	v_mul_f64 v[40:41], v[6:7], v[154:155]
	s_waitcnt vmcnt(41)
	v_fma_f64 v[127:128], v[2:3], v[150:151], -v[127:128]
	v_fma_f64 v[123:124], v[4:5], v[150:151], v[123:124]
	ds_read_b128 v[2:5], v1 offset:1056
	v_add_f64 v[18:19], v[18:19], v[134:135]
	v_add_f64 v[14:15], v[14:15], v[125:126]
	s_waitcnt vmcnt(37) lgkmcnt(1)
	v_mul_f64 v[125:126], v[10:11], v[20:21]
	v_mul_f64 v[20:21], v[12:13], v[20:21]
	s_waitcnt vmcnt(36)
	v_fma_f64 v[131:132], v[6:7], v[156:157], -v[131:132]
	v_fma_f64 v[40:41], v[8:9], v[156:157], v[40:41]
	ds_read_b128 v[6:9], v1 offset:1072
	v_add_f64 v[18:19], v[18:19], v[127:128]
	v_add_f64 v[14:15], v[14:15], v[123:124]
	;; [unrolled: 9-line block ×3, first 2 shown]
	s_waitcnt vmcnt(29) lgkmcnt(1)
	v_mul_f64 v[40:41], v[6:7], v[28:29]
	v_mul_f64 v[28:29], v[8:9], v[28:29]
	s_waitcnt vmcnt(28)
	v_fma_f64 v[125:126], v[2:3], v[163:164], -v[127:128]
	v_add_f64 v[18:19], v[18:19], v[20:21]
	v_fma_f64 v[20:21], v[4:5], v[163:164], v[123:124]
	v_add_f64 v[14:15], v[14:15], v[16:17]
	ds_read_b128 v[2:5], v1 offset:1104
	s_waitcnt vmcnt(27) lgkmcnt(1)
	v_mul_f64 v[123:124], v[12:13], v[148:149]
	v_mul_f64 v[16:17], v[10:11], v[148:149]
	s_waitcnt vmcnt(25)
	v_fma_f64 v[28:29], v[6:7], v[26:27], -v[28:29]
	v_fma_f64 v[26:27], v[8:9], v[26:27], v[40:41]
	ds_read_b128 v[6:9], v1 offset:1120
	v_add_f64 v[18:19], v[18:19], v[125:126]
	v_add_f64 v[14:15], v[14:15], v[20:21]
	s_waitcnt vmcnt(21) lgkmcnt(1)
	v_mul_f64 v[20:21], v[2:3], v[22:23]
	v_mul_f64 v[22:23], v[4:5], v[22:23]
	s_waitcnt vmcnt(20)
	v_fma_f64 v[40:41], v[10:11], v[165:166], -v[123:124]
	v_fma_f64 v[16:17], v[12:13], v[165:166], v[16:17]
	ds_read_b128 v[10:13], v1 offset:1136
	v_add_f64 v[18:19], v[18:19], v[28:29]
	v_add_f64 v[14:15], v[14:15], v[26:27]
	;; [unrolled: 9-line block ×3, first 2 shown]
	s_waitcnt vmcnt(13) lgkmcnt(1)
	v_mul_f64 v[24:25], v[12:13], v[30:31]
	s_waitcnt vmcnt(12)
	v_fma_f64 v[28:29], v[6:7], v[160:161], -v[28:29]
	v_mul_f64 v[16:17], v[10:11], v[30:31]
	v_add_f64 v[18:19], v[18:19], v[22:23]
	v_fma_f64 v[22:23], v[8:9], v[160:161], v[26:27]
	v_add_f64 v[14:15], v[14:15], v[20:21]
	ds_read_b128 v[6:9], v1 offset:1168
	s_waitcnt vmcnt(11) lgkmcnt(1)
	v_mul_f64 v[26:27], v[4:5], v[42:43]
	v_mul_f64 v[20:21], v[2:3], v[42:43]
	s_waitcnt vmcnt(9)
	v_fma_f64 v[10:11], v[10:11], v[34:35], -v[24:25]
	v_fma_f64 v[12:13], v[12:13], v[34:35], v[16:17]
	v_add_f64 v[18:19], v[18:19], v[28:29]
	v_add_f64 v[14:15], v[14:15], v[22:23]
	s_waitcnt vmcnt(7) lgkmcnt(0)
	v_mul_f64 v[22:23], v[8:9], v[32:33]
	s_waitcnt vmcnt(6)
	v_fma_f64 v[1:2], v[2:3], v[121:122], -v[26:27]
	v_mul_f64 v[16:17], v[6:7], v[32:33]
	v_fma_f64 v[3:4], v[4:5], v[121:122], v[20:21]
	v_add_f64 v[10:11], v[18:19], v[10:11]
	v_add_f64 v[12:13], v[14:15], v[12:13]
	s_waitcnt vmcnt(4)
	v_fma_f64 v[5:6], v[6:7], v[36:37], -v[22:23]
	v_fma_f64 v[7:8], v[8:9], v[36:37], v[16:17]
	v_add_f64 v[1:2], v[10:11], v[1:2]
	v_add_f64 v[3:4], v[12:13], v[3:4]
	;; [unrolled: 1-line block ×4, first 2 shown]
	s_waitcnt vmcnt(2)
	v_add_f64 v[1:2], v[119:120], -v[1:2]
	s_waitcnt vmcnt(0)
	v_add_f64 v[3:4], v[129:130], -v[3:4]
	buffer_store_dword v2, off, s[0:3], 0 offset:180
	buffer_store_dword v1, off, s[0:3], 0 offset:176
	;; [unrolled: 1-line block ×4, first 2 shown]
	v_cmpx_lt_u32_e32 9, v0
	s_cbranch_execz .LBB36_217
; %bb.216:
	v_mov_b32_e32 v4, s40
	v_mov_b32_e32 v5, 0
	s_clause 0x3
	buffer_load_dword v1, v4, s[0:3], 0 offen
	buffer_load_dword v2, v4, s[0:3], 0 offen offset:4
	buffer_load_dword v3, v4, s[0:3], 0 offen offset:8
	;; [unrolled: 1-line block ×3, first 2 shown]
	buffer_store_dword v5, off, s[0:3], 0 offset:160
	buffer_store_dword v5, off, s[0:3], 0 offset:164
	;; [unrolled: 1-line block ×4, first 2 shown]
	s_waitcnt vmcnt(0)
	ds_write_b128 v133, v[1:4]
.LBB36_217:
	s_or_b32 exec_lo, exec_lo, s4
	s_waitcnt lgkmcnt(0)
	s_waitcnt_vscnt null, 0x0
	s_barrier
	buffer_gl0_inv
	s_clause 0x37
	buffer_load_dword v10, off, s[0:3], 0 offset:184
	buffer_load_dword v11, off, s[0:3], 0 offset:188
	;; [unrolled: 1-line block ×56, first 2 shown]
	v_mov_b32_e32 v1, 0
	s_mov_b32 s4, exec_lo
	ds_read_b128 v[2:5], v1 offset:752
	s_clause 0x2
	buffer_load_dword v143, off, s[0:3], 0 offset:412
	buffer_load_dword v147, off, s[0:3], 0 offset:388
	buffer_load_dword v146, off, s[0:3], 0 offset:384
	ds_read_b128 v[6:9], v1 offset:768
	s_clause 0x4
	buffer_load_dword v153, off, s[0:3], 0 offset:428
	buffer_load_dword v154, off, s[0:3], 0 offset:440
	;; [unrolled: 1-line block ×5, first 2 shown]
	s_waitcnt vmcnt(62) lgkmcnt(1)
	v_mul_f64 v[148:149], v[4:5], v[10:11]
	v_mul_f64 v[150:151], v[2:3], v[10:11]
	s_waitcnt vmcnt(60) lgkmcnt(0)
	v_mul_f64 v[157:158], v[8:9], v[14:15]
	ds_read_b128 v[10:13], v1 offset:784
	v_mul_f64 v[14:15], v[6:7], v[14:15]
	s_waitcnt vmcnt(58)
	v_fma_f64 v[148:149], v[2:3], v[16:17], -v[148:149]
	v_fma_f64 v[16:17], v[4:5], v[16:17], v[150:151]
	s_clause 0x2
	buffer_load_dword v155, off, s[0:3], 0 offset:444
	buffer_load_dword v151, off, s[0:3], 0 offset:420
	buffer_load_dword v150, off, s[0:3], 0 offset:416
	s_waitcnt vmcnt(59) lgkmcnt(0)
	v_mul_f64 v[159:160], v[10:11], v[18:19]
	v_mul_f64 v[18:19], v[12:13], v[18:19]
	s_waitcnt vmcnt(57)
	v_fma_f64 v[161:162], v[6:7], v[20:21], -v[157:158]
	ds_read_b128 v[2:5], v1 offset:800
	v_fma_f64 v[14:15], v[8:9], v[20:21], v[14:15]
	s_clause 0x4
	buffer_load_dword v21, off, s[0:3], 0 offset:460
	buffer_load_dword v158, off, s[0:3], 0 offset:472
	;; [unrolled: 1-line block ×5, first 2 shown]
	ds_read_b128 v[6:9], v1 offset:816
	v_add_f64 v[148:149], v[148:149], 0
	v_add_f64 v[16:17], v[16:17], 0
	s_waitcnt vmcnt(58) lgkmcnt(1)
	v_mul_f64 v[164:165], v[2:3], v[22:23]
	v_mul_f64 v[22:23], v[4:5], v[22:23]
	s_waitcnt vmcnt(56)
	v_fma_f64 v[18:19], v[10:11], v[28:29], -v[18:19]
	v_fma_f64 v[28:29], v[12:13], v[28:29], v[159:160]
	v_add_f64 v[148:149], v[148:149], v[161:162]
	v_add_f64 v[14:15], v[16:17], v[14:15]
	s_clause 0x2
	buffer_load_dword v159, off, s[0:3], 0 offset:476
	buffer_load_dword v17, off, s[0:3], 0 offset:452
	;; [unrolled: 1-line block ×3, first 2 shown]
	s_waitcnt vmcnt(58) lgkmcnt(0)
	v_mul_f64 v[160:161], v[6:7], v[24:25]
	v_mul_f64 v[24:25], v[8:9], v[24:25]
	s_waitcnt vmcnt(56)
	v_fma_f64 v[22:23], v[2:3], v[30:31], -v[22:23]
	ds_read_b128 v[10:13], v1 offset:832
	v_fma_f64 v[30:31], v[4:5], v[30:31], v[164:165]
	v_add_f64 v[18:19], v[148:149], v[18:19]
	v_add_f64 v[14:15], v[14:15], v[28:29]
	s_clause 0x4
	buffer_load_dword v29, off, s[0:3], 0 offset:492
	buffer_load_dword v148, off, s[0:3], 0 offset:504
	;; [unrolled: 1-line block ×5, first 2 shown]
	ds_read_b128 v[2:5], v1 offset:848
	s_waitcnt vmcnt(57) lgkmcnt(1)
	v_mul_f64 v[166:167], v[10:11], v[32:33]
	v_mul_f64 v[32:33], v[12:13], v[32:33]
	s_waitcnt vmcnt(56)
	v_fma_f64 v[24:25], v[6:7], v[26:27], -v[24:25]
	v_add_f64 v[18:19], v[18:19], v[22:23]
	v_fma_f64 v[22:23], v[8:9], v[26:27], v[160:161]
	v_add_f64 v[14:15], v[14:15], v[30:31]
	s_clause 0x2
	buffer_load_dword v149, off, s[0:3], 0 offset:508
	buffer_load_dword v27, off, s[0:3], 0 offset:484
	buffer_load_dword v26, off, s[0:3], 0 offset:480
	s_waitcnt vmcnt(58) lgkmcnt(0)
	v_mul_f64 v[30:31], v[2:3], v[34:35]
	v_mul_f64 v[34:35], v[4:5], v[34:35]
	s_waitcnt vmcnt(56)
	v_fma_f64 v[32:33], v[10:11], v[38:39], -v[32:33]
	ds_read_b128 v[6:9], v1 offset:864
	v_add_f64 v[18:19], v[18:19], v[24:25]
	v_fma_f64 v[24:25], v[12:13], v[38:39], v[166:167]
	v_add_f64 v[14:15], v[14:15], v[22:23]
	s_clause 0x4
	buffer_load_dword v23, off, s[0:3], 0 offset:524
	buffer_load_dword v38, off, s[0:3], 0 offset:536
	;; [unrolled: 1-line block ×5, first 2 shown]
	ds_read_b128 v[10:13], v1 offset:880
	s_waitcnt vmcnt(57) lgkmcnt(1)
	v_mul_f64 v[161:162], v[6:7], v[40:41]
	v_mul_f64 v[40:41], v[8:9], v[40:41]
	s_waitcnt vmcnt(56)
	v_fma_f64 v[34:35], v[2:3], v[36:37], -v[34:35]
	v_fma_f64 v[30:31], v[4:5], v[36:37], v[30:31]
	v_add_f64 v[18:19], v[18:19], v[32:33]
	v_add_f64 v[14:15], v[14:15], v[24:25]
	s_clause 0x2
	buffer_load_dword v39, off, s[0:3], 0 offset:540
	buffer_load_dword v25, off, s[0:3], 0 offset:516
	;; [unrolled: 1-line block ×3, first 2 shown]
	s_waitcnt vmcnt(58) lgkmcnt(0)
	v_mul_f64 v[36:37], v[12:13], v[42:43]
	ds_read_b128 v[2:5], v1 offset:896
	s_waitcnt vmcnt(56)
	v_fma_f64 v[40:41], v[6:7], v[121:122], -v[40:41]
	v_mul_f64 v[32:33], v[10:11], v[42:43]
	v_add_f64 v[18:19], v[18:19], v[34:35]
	v_fma_f64 v[34:35], v[8:9], v[121:122], v[161:162]
	v_add_f64 v[14:15], v[14:15], v[30:31]
	s_clause 0x4
	buffer_load_dword v31, off, s[0:3], 0 offset:556
	buffer_load_dword v42, off, s[0:3], 0 offset:568
	;; [unrolled: 1-line block ×5, first 2 shown]
	s_waitcnt vmcnt(57) lgkmcnt(0)
	v_mul_f64 v[167:168], v[2:3], v[123:124]
	v_mul_f64 v[122:123], v[4:5], v[123:124]
	s_waitcnt vmcnt(56)
	v_fma_f64 v[36:37], v[10:11], v[119:120], -v[36:37]
	ds_read_b128 v[6:9], v1 offset:912
	v_fma_f64 v[32:33], v[12:13], v[119:120], v[32:33]
	v_add_f64 v[18:19], v[18:19], v[40:41]
	v_add_f64 v[14:15], v[14:15], v[34:35]
	s_clause 0x2
	buffer_load_dword v43, off, s[0:3], 0 offset:572
	buffer_load_dword v35, off, s[0:3], 0 offset:548
	;; [unrolled: 1-line block ×3, first 2 shown]
	ds_read_b128 v[10:13], v1 offset:928
	s_waitcnt vmcnt(58) lgkmcnt(1)
	v_mul_f64 v[119:120], v[8:9], v[125:126]
	s_waitcnt vmcnt(56)
	v_fma_f64 v[123:124], v[2:3], v[129:130], -v[122:123]
	v_mul_f64 v[40:41], v[6:7], v[125:126]
	v_add_f64 v[18:19], v[18:19], v[36:37]
	v_fma_f64 v[36:37], v[4:5], v[129:130], v[167:168]
	v_add_f64 v[14:15], v[14:15], v[32:33]
	s_clause 0x4
	buffer_load_dword v33, off, s[0:3], 0 offset:588
	buffer_load_dword v125, off, s[0:3], 0 offset:600
	buffer_load_dword v129, off, s[0:3], 0 offset:592
	buffer_load_dword v32, off, s[0:3], 0 offset:584
	buffer_load_dword v122, off, s[0:3], 0 offset:564
	s_waitcnt vmcnt(57) lgkmcnt(0)
	v_mul_f64 v[167:168], v[10:11], v[131:132]
	v_mul_f64 v[130:131], v[12:13], v[131:132]
	s_waitcnt vmcnt(56)
	v_fma_f64 v[119:120], v[6:7], v[127:128], -v[119:120]
	ds_read_b128 v[2:5], v1 offset:944
	v_fma_f64 v[40:41], v[8:9], v[127:128], v[40:41]
	v_add_f64 v[18:19], v[18:19], v[123:124]
	v_add_f64 v[14:15], v[14:15], v[36:37]
	s_clause 0x2
	buffer_load_dword v126, off, s[0:3], 0 offset:604
	buffer_load_dword v37, off, s[0:3], 0 offset:580
	;; [unrolled: 1-line block ×3, first 2 shown]
	ds_read_b128 v[6:9], v1 offset:960
	s_waitcnt vmcnt(58) lgkmcnt(1)
	v_mul_f64 v[127:128], v[4:5], v[134:135]
	s_waitcnt vmcnt(56)
	v_fma_f64 v[131:132], v[10:11], v[138:139], -v[130:131]
	v_mul_f64 v[123:124], v[2:3], v[134:135]
	buffer_load_dword v130, off, s[0:3], 0 offset:596
	v_add_f64 v[18:19], v[18:19], v[119:120]
	v_fma_f64 v[119:120], v[12:13], v[138:139], v[167:168]
	v_add_f64 v[14:15], v[14:15], v[40:41]
	ds_read_b128 v[10:13], v1 offset:976
	s_waitcnt vmcnt(53) lgkmcnt(1)
	v_mul_f64 v[134:135], v[8:9], v[140:141]
	s_waitcnt vmcnt(52)
	v_fma_f64 v[127:128], v[2:3], v[136:137], -v[127:128]
	v_mul_f64 v[40:41], v[6:7], v[140:141]
	v_fma_f64 v[123:124], v[4:5], v[136:137], v[123:124]
	ds_read_b128 v[2:5], v1 offset:992
	v_add_f64 v[18:19], v[18:19], v[131:132]
	s_waitcnt vmcnt(51) lgkmcnt(1)
	v_mul_f64 v[131:132], v[12:13], v[142:143]
	v_add_f64 v[14:15], v[14:15], v[119:120]
	v_mul_f64 v[119:120], v[10:11], v[142:143]
	s_waitcnt vmcnt(49)
	v_fma_f64 v[134:135], v[6:7], v[146:147], -v[134:135]
	v_fma_f64 v[40:41], v[8:9], v[146:147], v[40:41]
	s_waitcnt vmcnt(45) lgkmcnt(0)
	v_mul_f64 v[138:139], v[4:5], v[152:153]
	v_mul_f64 v[136:137], v[2:3], v[152:153]
	v_add_f64 v[18:19], v[18:19], v[127:128]
	s_waitcnt vmcnt(44)
	v_fma_f64 v[131:132], v[10:11], v[144:145], -v[131:132]
	v_add_f64 v[14:15], v[14:15], v[123:124]
	s_clause 0x3
	buffer_load_dword v123, off, s[0:3], 0 offset:160
	buffer_load_dword v124, off, s[0:3], 0 offset:164
	;; [unrolled: 1-line block ×4, first 2 shown]
	ds_read_b128 v[6:9], v1 offset:1008
	v_fma_f64 v[119:120], v[12:13], v[144:145], v[119:120]
	ds_read_b128 v[10:13], v1 offset:1024
	v_add_f64 v[18:19], v[18:19], v[134:135]
	v_add_f64 v[14:15], v[14:15], v[40:41]
	s_waitcnt vmcnt(47) lgkmcnt(1)
	v_mul_f64 v[134:135], v[8:9], v[154:155]
	v_mul_f64 v[40:41], v[6:7], v[154:155]
	s_waitcnt vmcnt(45)
	v_fma_f64 v[138:139], v[2:3], v[150:151], -v[138:139]
	v_add_f64 v[18:19], v[18:19], v[131:132]
	v_fma_f64 v[131:132], v[4:5], v[150:151], v[136:137]
	v_add_f64 v[14:15], v[14:15], v[119:120]
	s_waitcnt vmcnt(41) lgkmcnt(0)
	v_mul_f64 v[119:120], v[10:11], v[20:21]
	v_mul_f64 v[20:21], v[12:13], v[20:21]
	ds_read_b128 v[2:5], v1 offset:1040
	s_waitcnt vmcnt(40)
	v_fma_f64 v[134:135], v[6:7], v[156:157], -v[134:135]
	v_fma_f64 v[40:41], v[8:9], v[156:157], v[40:41]
	ds_read_b128 v[6:9], v1 offset:1056
	v_add_f64 v[18:19], v[18:19], v[138:139]
	v_add_f64 v[14:15], v[14:15], v[131:132]
	s_waitcnt vmcnt(39) lgkmcnt(1)
	v_mul_f64 v[136:137], v[4:5], v[158:159]
	v_mul_f64 v[131:132], v[2:3], v[158:159]
	s_waitcnt vmcnt(37)
	v_fma_f64 v[20:21], v[10:11], v[16:17], -v[20:21]
	v_fma_f64 v[16:17], v[12:13], v[16:17], v[119:120]
	ds_read_b128 v[10:13], v1 offset:1072
	v_add_f64 v[18:19], v[18:19], v[134:135]
	v_add_f64 v[14:15], v[14:15], v[40:41]
	s_waitcnt vmcnt(33) lgkmcnt(1)
	v_mul_f64 v[40:41], v[6:7], v[28:29]
	v_mul_f64 v[28:29], v[8:9], v[28:29]
	s_waitcnt vmcnt(32)
	v_fma_f64 v[119:120], v[2:3], v[163:164], -v[136:137]
	v_add_f64 v[18:19], v[18:19], v[20:21]
	v_fma_f64 v[20:21], v[4:5], v[163:164], v[131:132]
	v_add_f64 v[14:15], v[14:15], v[16:17]
	ds_read_b128 v[2:5], v1 offset:1088
	s_waitcnt vmcnt(31) lgkmcnt(1)
	v_mul_f64 v[131:132], v[12:13], v[148:149]
	v_mul_f64 v[16:17], v[10:11], v[148:149]
	s_waitcnt vmcnt(29)
	v_fma_f64 v[28:29], v[6:7], v[26:27], -v[28:29]
	v_fma_f64 v[26:27], v[8:9], v[26:27], v[40:41]
	ds_read_b128 v[6:9], v1 offset:1104
	v_add_f64 v[18:19], v[18:19], v[119:120]
	v_add_f64 v[14:15], v[14:15], v[20:21]
	s_waitcnt vmcnt(25) lgkmcnt(1)
	v_mul_f64 v[20:21], v[2:3], v[22:23]
	v_mul_f64 v[22:23], v[4:5], v[22:23]
	s_waitcnt vmcnt(24)
	v_fma_f64 v[40:41], v[10:11], v[165:166], -v[131:132]
	v_fma_f64 v[16:17], v[12:13], v[165:166], v[16:17]
	ds_read_b128 v[10:13], v1 offset:1120
	v_add_f64 v[18:19], v[18:19], v[28:29]
	v_add_f64 v[14:15], v[14:15], v[26:27]
	;; [unrolled: 9-line block ×3, first 2 shown]
	s_waitcnt vmcnt(17) lgkmcnt(1)
	v_mul_f64 v[24:25], v[12:13], v[30:31]
	s_waitcnt vmcnt(16)
	v_fma_f64 v[28:29], v[6:7], v[160:161], -v[28:29]
	v_mul_f64 v[16:17], v[10:11], v[30:31]
	v_add_f64 v[18:19], v[18:19], v[22:23]
	v_fma_f64 v[22:23], v[8:9], v[160:161], v[26:27]
	v_add_f64 v[14:15], v[14:15], v[20:21]
	ds_read_b128 v[6:9], v1 offset:1152
	s_waitcnt vmcnt(15) lgkmcnt(1)
	v_mul_f64 v[26:27], v[4:5], v[42:43]
	v_mul_f64 v[20:21], v[2:3], v[42:43]
	s_waitcnt vmcnt(13)
	v_fma_f64 v[24:25], v[10:11], v[34:35], -v[24:25]
	v_fma_f64 v[16:17], v[12:13], v[34:35], v[16:17]
	ds_read_b128 v[10:13], v1 offset:1168
	v_add_f64 v[18:19], v[18:19], v[28:29]
	v_add_f64 v[14:15], v[14:15], v[22:23]
	s_waitcnt vmcnt(9) lgkmcnt(1)
	v_mul_f64 v[28:29], v[8:9], v[32:33]
	s_waitcnt vmcnt(8)
	v_fma_f64 v[2:3], v[2:3], v[121:122], -v[26:27]
	v_mul_f64 v[22:23], v[6:7], v[32:33]
	v_fma_f64 v[4:5], v[4:5], v[121:122], v[20:21]
	v_add_f64 v[18:19], v[18:19], v[24:25]
	v_add_f64 v[14:15], v[14:15], v[16:17]
	s_waitcnt vmcnt(7) lgkmcnt(0)
	v_mul_f64 v[20:21], v[12:13], v[125:126]
	v_mul_f64 v[16:17], v[10:11], v[125:126]
	s_waitcnt vmcnt(5)
	v_fma_f64 v[6:7], v[6:7], v[36:37], -v[28:29]
	v_fma_f64 v[8:9], v[8:9], v[36:37], v[22:23]
	v_add_f64 v[2:3], v[18:19], v[2:3]
	v_add_f64 v[4:5], v[14:15], v[4:5]
	s_waitcnt vmcnt(4)
	v_fma_f64 v[10:11], v[10:11], v[129:130], -v[20:21]
	v_add_f64 v[2:3], v[2:3], v[6:7]
	v_fma_f64 v[6:7], v[12:13], v[129:130], v[16:17]
	v_add_f64 v[4:5], v[4:5], v[8:9]
	v_add_f64 v[2:3], v[2:3], v[10:11]
	;; [unrolled: 1-line block ×3, first 2 shown]
	s_waitcnt vmcnt(2)
	v_add_f64 v[2:3], v[123:124], -v[2:3]
	s_waitcnt vmcnt(0)
	v_add_f64 v[4:5], v[127:128], -v[4:5]
	buffer_store_dword v3, off, s[0:3], 0 offset:164
	buffer_store_dword v2, off, s[0:3], 0 offset:160
	;; [unrolled: 1-line block ×4, first 2 shown]
	v_cmpx_lt_u32_e32 8, v0
	s_cbranch_execz .LBB36_219
; %bb.218:
	v_mov_b32_e32 v5, s41
	s_clause 0x3
	buffer_load_dword v2, v5, s[0:3], 0 offen
	buffer_load_dword v3, v5, s[0:3], 0 offen offset:4
	buffer_load_dword v4, v5, s[0:3], 0 offen offset:8
	;; [unrolled: 1-line block ×3, first 2 shown]
	buffer_store_dword v1, off, s[0:3], 0 offset:144
	buffer_store_dword v1, off, s[0:3], 0 offset:148
	;; [unrolled: 1-line block ×4, first 2 shown]
	s_waitcnt vmcnt(0)
	ds_write_b128 v133, v[2:5]
.LBB36_219:
	s_or_b32 exec_lo, exec_lo, s4
	s_waitcnt lgkmcnt(0)
	s_waitcnt_vscnt null, 0x0
	s_barrier
	buffer_gl0_inv
	s_clause 0x37
	buffer_load_dword v10, off, s[0:3], 0 offset:168
	buffer_load_dword v11, off, s[0:3], 0 offset:172
	;; [unrolled: 1-line block ×56, first 2 shown]
	ds_read_b128 v[2:5], v1 offset:736
	s_clause 0x2
	buffer_load_dword v143, off, s[0:3], 0 offset:396
	buffer_load_dword v147, off, s[0:3], 0 offset:372
	;; [unrolled: 1-line block ×3, first 2 shown]
	ds_read_b128 v[6:9], v1 offset:752
	s_clause 0x4
	buffer_load_dword v153, off, s[0:3], 0 offset:412
	buffer_load_dword v154, off, s[0:3], 0 offset:424
	;; [unrolled: 1-line block ×5, first 2 shown]
	s_mov_b32 s4, exec_lo
	s_waitcnt vmcnt(62) lgkmcnt(1)
	v_mul_f64 v[148:149], v[4:5], v[10:11]
	v_mul_f64 v[150:151], v[2:3], v[10:11]
	s_waitcnt vmcnt(60) lgkmcnt(0)
	v_mul_f64 v[157:158], v[8:9], v[14:15]
	ds_read_b128 v[10:13], v1 offset:768
	v_mul_f64 v[14:15], v[6:7], v[14:15]
	s_waitcnt vmcnt(58)
	v_fma_f64 v[148:149], v[2:3], v[16:17], -v[148:149]
	v_fma_f64 v[16:17], v[4:5], v[16:17], v[150:151]
	s_clause 0x2
	buffer_load_dword v155, off, s[0:3], 0 offset:428
	buffer_load_dword v151, off, s[0:3], 0 offset:404
	;; [unrolled: 1-line block ×3, first 2 shown]
	s_waitcnt vmcnt(59) lgkmcnt(0)
	v_mul_f64 v[159:160], v[10:11], v[18:19]
	v_mul_f64 v[18:19], v[12:13], v[18:19]
	s_waitcnt vmcnt(57)
	v_fma_f64 v[161:162], v[6:7], v[20:21], -v[157:158]
	ds_read_b128 v[2:5], v1 offset:784
	v_fma_f64 v[14:15], v[8:9], v[20:21], v[14:15]
	s_clause 0x4
	buffer_load_dword v21, off, s[0:3], 0 offset:444
	buffer_load_dword v158, off, s[0:3], 0 offset:456
	;; [unrolled: 1-line block ×5, first 2 shown]
	ds_read_b128 v[6:9], v1 offset:800
	v_add_f64 v[148:149], v[148:149], 0
	v_add_f64 v[16:17], v[16:17], 0
	s_waitcnt vmcnt(58) lgkmcnt(1)
	v_mul_f64 v[164:165], v[2:3], v[22:23]
	v_mul_f64 v[22:23], v[4:5], v[22:23]
	s_waitcnt vmcnt(56)
	v_fma_f64 v[18:19], v[10:11], v[28:29], -v[18:19]
	v_fma_f64 v[28:29], v[12:13], v[28:29], v[159:160]
	v_add_f64 v[148:149], v[148:149], v[161:162]
	v_add_f64 v[14:15], v[16:17], v[14:15]
	s_clause 0x2
	buffer_load_dword v159, off, s[0:3], 0 offset:460
	buffer_load_dword v17, off, s[0:3], 0 offset:436
	;; [unrolled: 1-line block ×3, first 2 shown]
	s_waitcnt vmcnt(58) lgkmcnt(0)
	v_mul_f64 v[160:161], v[6:7], v[24:25]
	v_mul_f64 v[24:25], v[8:9], v[24:25]
	s_waitcnt vmcnt(56)
	v_fma_f64 v[22:23], v[2:3], v[30:31], -v[22:23]
	ds_read_b128 v[10:13], v1 offset:816
	v_fma_f64 v[30:31], v[4:5], v[30:31], v[164:165]
	v_add_f64 v[18:19], v[148:149], v[18:19]
	v_add_f64 v[14:15], v[14:15], v[28:29]
	s_clause 0x4
	buffer_load_dword v29, off, s[0:3], 0 offset:476
	buffer_load_dword v148, off, s[0:3], 0 offset:488
	;; [unrolled: 1-line block ×5, first 2 shown]
	ds_read_b128 v[2:5], v1 offset:832
	s_waitcnt vmcnt(57) lgkmcnt(1)
	v_mul_f64 v[166:167], v[10:11], v[32:33]
	v_mul_f64 v[32:33], v[12:13], v[32:33]
	s_waitcnt vmcnt(56)
	v_fma_f64 v[24:25], v[6:7], v[26:27], -v[24:25]
	v_add_f64 v[18:19], v[18:19], v[22:23]
	v_fma_f64 v[22:23], v[8:9], v[26:27], v[160:161]
	v_add_f64 v[14:15], v[14:15], v[30:31]
	s_clause 0x2
	buffer_load_dword v149, off, s[0:3], 0 offset:492
	buffer_load_dword v27, off, s[0:3], 0 offset:468
	;; [unrolled: 1-line block ×3, first 2 shown]
	s_waitcnt vmcnt(58) lgkmcnt(0)
	v_mul_f64 v[30:31], v[2:3], v[34:35]
	v_mul_f64 v[34:35], v[4:5], v[34:35]
	s_waitcnt vmcnt(56)
	v_fma_f64 v[32:33], v[10:11], v[38:39], -v[32:33]
	ds_read_b128 v[6:9], v1 offset:848
	v_add_f64 v[18:19], v[18:19], v[24:25]
	v_fma_f64 v[24:25], v[12:13], v[38:39], v[166:167]
	v_add_f64 v[14:15], v[14:15], v[22:23]
	s_clause 0x4
	buffer_load_dword v23, off, s[0:3], 0 offset:508
	buffer_load_dword v38, off, s[0:3], 0 offset:520
	;; [unrolled: 1-line block ×5, first 2 shown]
	ds_read_b128 v[10:13], v1 offset:864
	s_waitcnt vmcnt(57) lgkmcnt(1)
	v_mul_f64 v[161:162], v[6:7], v[40:41]
	v_mul_f64 v[40:41], v[8:9], v[40:41]
	s_waitcnt vmcnt(56)
	v_fma_f64 v[34:35], v[2:3], v[36:37], -v[34:35]
	v_fma_f64 v[30:31], v[4:5], v[36:37], v[30:31]
	v_add_f64 v[18:19], v[18:19], v[32:33]
	v_add_f64 v[14:15], v[14:15], v[24:25]
	s_clause 0x2
	buffer_load_dword v39, off, s[0:3], 0 offset:524
	buffer_load_dword v25, off, s[0:3], 0 offset:500
	;; [unrolled: 1-line block ×3, first 2 shown]
	s_waitcnt vmcnt(58) lgkmcnt(0)
	v_mul_f64 v[36:37], v[12:13], v[42:43]
	ds_read_b128 v[2:5], v1 offset:880
	s_waitcnt vmcnt(56)
	v_fma_f64 v[40:41], v[6:7], v[121:122], -v[40:41]
	v_mul_f64 v[32:33], v[10:11], v[42:43]
	v_add_f64 v[18:19], v[18:19], v[34:35]
	v_fma_f64 v[34:35], v[8:9], v[121:122], v[161:162]
	v_add_f64 v[14:15], v[14:15], v[30:31]
	s_clause 0x4
	buffer_load_dword v31, off, s[0:3], 0 offset:540
	buffer_load_dword v42, off, s[0:3], 0 offset:552
	;; [unrolled: 1-line block ×5, first 2 shown]
	s_waitcnt vmcnt(57) lgkmcnt(0)
	v_mul_f64 v[167:168], v[2:3], v[123:124]
	v_mul_f64 v[122:123], v[4:5], v[123:124]
	s_waitcnt vmcnt(56)
	v_fma_f64 v[36:37], v[10:11], v[119:120], -v[36:37]
	ds_read_b128 v[6:9], v1 offset:896
	v_fma_f64 v[32:33], v[12:13], v[119:120], v[32:33]
	v_add_f64 v[18:19], v[18:19], v[40:41]
	v_add_f64 v[14:15], v[14:15], v[34:35]
	s_clause 0x2
	buffer_load_dword v43, off, s[0:3], 0 offset:556
	buffer_load_dword v35, off, s[0:3], 0 offset:532
	;; [unrolled: 1-line block ×3, first 2 shown]
	ds_read_b128 v[10:13], v1 offset:912
	s_waitcnt vmcnt(58) lgkmcnt(1)
	v_mul_f64 v[119:120], v[8:9], v[125:126]
	s_waitcnt vmcnt(56)
	v_fma_f64 v[123:124], v[2:3], v[129:130], -v[122:123]
	v_mul_f64 v[40:41], v[6:7], v[125:126]
	v_add_f64 v[18:19], v[18:19], v[36:37]
	v_fma_f64 v[36:37], v[4:5], v[129:130], v[167:168]
	v_add_f64 v[14:15], v[14:15], v[32:33]
	s_clause 0x4
	buffer_load_dword v33, off, s[0:3], 0 offset:572
	buffer_load_dword v125, off, s[0:3], 0 offset:584
	;; [unrolled: 1-line block ×5, first 2 shown]
	s_waitcnt vmcnt(57) lgkmcnt(0)
	v_mul_f64 v[167:168], v[10:11], v[131:132]
	v_mul_f64 v[130:131], v[12:13], v[131:132]
	s_waitcnt vmcnt(56)
	v_fma_f64 v[119:120], v[6:7], v[127:128], -v[119:120]
	ds_read_b128 v[2:5], v1 offset:928
	v_fma_f64 v[40:41], v[8:9], v[127:128], v[40:41]
	v_add_f64 v[18:19], v[18:19], v[123:124]
	v_add_f64 v[14:15], v[14:15], v[36:37]
	s_clause 0x2
	buffer_load_dword v126, off, s[0:3], 0 offset:588
	buffer_load_dword v37, off, s[0:3], 0 offset:564
	;; [unrolled: 1-line block ×3, first 2 shown]
	ds_read_b128 v[6:9], v1 offset:944
	s_waitcnt vmcnt(58) lgkmcnt(1)
	v_mul_f64 v[127:128], v[4:5], v[134:135]
	s_waitcnt vmcnt(56)
	v_fma_f64 v[131:132], v[10:11], v[138:139], -v[130:131]
	v_mul_f64 v[123:124], v[2:3], v[134:135]
	v_add_f64 v[18:19], v[18:19], v[119:120]
	v_fma_f64 v[119:120], v[12:13], v[138:139], v[167:168]
	v_add_f64 v[14:15], v[14:15], v[40:41]
	s_clause 0x2
	buffer_load_dword v41, off, s[0:3], 0 offset:604
	buffer_load_dword v40, off, s[0:3], 0 offset:600
	;; [unrolled: 1-line block ×3, first 2 shown]
	s_waitcnt vmcnt(55) lgkmcnt(0)
	v_mul_f64 v[138:139], v[8:9], v[140:141]
	s_waitcnt vmcnt(54)
	v_fma_f64 v[127:128], v[2:3], v[136:137], -v[127:128]
	ds_read_b128 v[10:13], v1 offset:960
	v_mul_f64 v[134:135], v[6:7], v[140:141]
	v_fma_f64 v[123:124], v[4:5], v[136:137], v[123:124]
	v_add_f64 v[18:19], v[18:19], v[131:132]
	v_add_f64 v[14:15], v[14:15], v[119:120]
	s_clause 0x1
	buffer_load_dword v120, off, s[0:3], 0 offset:596
	buffer_load_dword v119, off, s[0:3], 0 offset:592
	s_waitcnt vmcnt(55) lgkmcnt(0)
	v_mul_f64 v[136:137], v[12:13], v[142:143]
	s_waitcnt vmcnt(53)
	v_fma_f64 v[138:139], v[6:7], v[146:147], -v[138:139]
	ds_read_b128 v[2:5], v1 offset:976
	v_mul_f64 v[131:132], v[10:11], v[142:143]
	v_add_f64 v[18:19], v[18:19], v[127:128]
	v_fma_f64 v[127:128], v[8:9], v[146:147], v[134:135]
	v_add_f64 v[14:15], v[14:15], v[123:124]
	ds_read_b128 v[6:9], v1 offset:992
	s_waitcnt vmcnt(49) lgkmcnt(1)
	v_mul_f64 v[134:135], v[4:5], v[152:153]
	s_waitcnt vmcnt(48)
	v_fma_f64 v[136:137], v[10:11], v[144:145], -v[136:137]
	v_mul_f64 v[123:124], v[2:3], v[152:153]
	v_fma_f64 v[131:132], v[12:13], v[144:145], v[131:132]
	v_add_f64 v[18:19], v[18:19], v[138:139]
	v_add_f64 v[14:15], v[14:15], v[127:128]
	s_clause 0x3
	buffer_load_dword v127, off, s[0:3], 0 offset:144
	buffer_load_dword v128, off, s[0:3], 0 offset:148
	;; [unrolled: 1-line block ×4, first 2 shown]
	ds_read_b128 v[10:13], v1 offset:1008
	s_waitcnt vmcnt(51) lgkmcnt(1)
	v_mul_f64 v[142:143], v[8:9], v[154:155]
	v_mul_f64 v[140:141], v[6:7], v[154:155]
	s_waitcnt vmcnt(49)
	v_fma_f64 v[134:135], v[2:3], v[150:151], -v[134:135]
	v_fma_f64 v[123:124], v[4:5], v[150:151], v[123:124]
	ds_read_b128 v[2:5], v1 offset:1024
	v_add_f64 v[18:19], v[18:19], v[136:137]
	v_add_f64 v[14:15], v[14:15], v[131:132]
	s_waitcnt vmcnt(45) lgkmcnt(1)
	v_mul_f64 v[131:132], v[10:11], v[20:21]
	v_mul_f64 v[20:21], v[12:13], v[20:21]
	s_waitcnt vmcnt(44)
	v_fma_f64 v[136:137], v[6:7], v[156:157], -v[142:143]
	v_add_f64 v[18:19], v[18:19], v[134:135]
	v_fma_f64 v[134:135], v[8:9], v[156:157], v[140:141]
	v_add_f64 v[14:15], v[14:15], v[123:124]
	ds_read_b128 v[6:9], v1 offset:1040
	s_waitcnt vmcnt(43) lgkmcnt(1)
	v_mul_f64 v[140:141], v[4:5], v[158:159]
	v_mul_f64 v[123:124], v[2:3], v[158:159]
	s_waitcnt vmcnt(41)
	v_fma_f64 v[20:21], v[10:11], v[16:17], -v[20:21]
	v_fma_f64 v[16:17], v[12:13], v[16:17], v[131:132]
	ds_read_b128 v[10:13], v1 offset:1056
	v_add_f64 v[18:19], v[18:19], v[136:137]
	v_add_f64 v[14:15], v[14:15], v[134:135]
	s_waitcnt vmcnt(37) lgkmcnt(1)
	v_mul_f64 v[131:132], v[6:7], v[28:29]
	v_mul_f64 v[28:29], v[8:9], v[28:29]
	s_waitcnt vmcnt(36)
	v_fma_f64 v[134:135], v[2:3], v[163:164], -v[140:141]
	v_add_f64 v[18:19], v[18:19], v[20:21]
	v_fma_f64 v[20:21], v[4:5], v[163:164], v[123:124]
	v_add_f64 v[14:15], v[14:15], v[16:17]
	ds_read_b128 v[2:5], v1 offset:1072
	s_waitcnt vmcnt(35) lgkmcnt(1)
	v_mul_f64 v[123:124], v[12:13], v[148:149]
	v_mul_f64 v[16:17], v[10:11], v[148:149]
	s_waitcnt vmcnt(33)
	v_fma_f64 v[28:29], v[6:7], v[26:27], -v[28:29]
	v_fma_f64 v[26:27], v[8:9], v[26:27], v[131:132]
	ds_read_b128 v[6:9], v1 offset:1088
	v_add_f64 v[18:19], v[18:19], v[134:135]
	v_add_f64 v[14:15], v[14:15], v[20:21]
	s_waitcnt vmcnt(29) lgkmcnt(1)
	v_mul_f64 v[20:21], v[2:3], v[22:23]
	v_mul_f64 v[22:23], v[4:5], v[22:23]
	s_waitcnt vmcnt(28)
	v_fma_f64 v[123:124], v[10:11], v[165:166], -v[123:124]
	v_fma_f64 v[16:17], v[12:13], v[165:166], v[16:17]
	ds_read_b128 v[10:13], v1 offset:1104
	v_add_f64 v[18:19], v[18:19], v[28:29]
	v_add_f64 v[14:15], v[14:15], v[26:27]
	;; [unrolled: 9-line block ×3, first 2 shown]
	s_waitcnt vmcnt(21) lgkmcnt(1)
	v_mul_f64 v[24:25], v[12:13], v[30:31]
	s_waitcnt vmcnt(20)
	v_fma_f64 v[28:29], v[6:7], v[160:161], -v[28:29]
	v_mul_f64 v[16:17], v[10:11], v[30:31]
	v_add_f64 v[18:19], v[18:19], v[22:23]
	v_fma_f64 v[22:23], v[8:9], v[160:161], v[26:27]
	v_add_f64 v[14:15], v[14:15], v[20:21]
	ds_read_b128 v[6:9], v1 offset:1136
	s_waitcnt vmcnt(19) lgkmcnt(1)
	v_mul_f64 v[26:27], v[4:5], v[42:43]
	v_mul_f64 v[20:21], v[2:3], v[42:43]
	s_waitcnt vmcnt(17)
	v_fma_f64 v[24:25], v[10:11], v[34:35], -v[24:25]
	v_fma_f64 v[16:17], v[12:13], v[34:35], v[16:17]
	ds_read_b128 v[10:13], v1 offset:1152
	v_add_f64 v[18:19], v[18:19], v[28:29]
	v_add_f64 v[14:15], v[14:15], v[22:23]
	s_waitcnt vmcnt(13) lgkmcnt(1)
	v_mul_f64 v[28:29], v[8:9], v[32:33]
	s_waitcnt vmcnt(12)
	v_fma_f64 v[26:27], v[2:3], v[121:122], -v[26:27]
	v_mul_f64 v[22:23], v[6:7], v[32:33]
	v_fma_f64 v[20:21], v[4:5], v[121:122], v[20:21]
	ds_read_b128 v[1:4], v1 offset:1168
	v_add_f64 v[18:19], v[18:19], v[24:25]
	v_add_f64 v[14:15], v[14:15], v[16:17]
	s_waitcnt vmcnt(11) lgkmcnt(1)
	v_mul_f64 v[24:25], v[12:13], v[125:126]
	v_mul_f64 v[16:17], v[10:11], v[125:126]
	s_waitcnt vmcnt(9)
	v_fma_f64 v[5:6], v[6:7], v[36:37], -v[28:29]
	v_fma_f64 v[7:8], v[8:9], v[36:37], v[22:23]
	v_add_f64 v[18:19], v[18:19], v[26:27]
	v_add_f64 v[14:15], v[14:15], v[20:21]
	s_waitcnt vmcnt(7) lgkmcnt(0)
	v_mul_f64 v[22:23], v[3:4], v[40:41]
	s_waitcnt vmcnt(6)
	v_fma_f64 v[9:10], v[10:11], v[129:130], -v[24:25]
	v_mul_f64 v[20:21], v[1:2], v[40:41]
	v_fma_f64 v[11:12], v[12:13], v[129:130], v[16:17]
	v_add_f64 v[5:6], v[18:19], v[5:6]
	v_add_f64 v[7:8], v[14:15], v[7:8]
	s_waitcnt vmcnt(4)
	v_fma_f64 v[1:2], v[1:2], v[119:120], -v[22:23]
	v_fma_f64 v[3:4], v[3:4], v[119:120], v[20:21]
	v_add_f64 v[5:6], v[5:6], v[9:10]
	v_add_f64 v[7:8], v[7:8], v[11:12]
	;; [unrolled: 1-line block ×4, first 2 shown]
	s_waitcnt vmcnt(2)
	v_add_f64 v[1:2], v[127:128], -v[1:2]
	s_waitcnt vmcnt(0)
	v_add_f64 v[3:4], v[138:139], -v[3:4]
	buffer_store_dword v2, off, s[0:3], 0 offset:148
	buffer_store_dword v1, off, s[0:3], 0 offset:144
	;; [unrolled: 1-line block ×4, first 2 shown]
	v_cmpx_lt_u32_e32 7, v0
	s_cbranch_execz .LBB36_221
; %bb.220:
	v_mov_b32_e32 v4, s42
	v_mov_b32_e32 v5, 0
	s_clause 0x3
	buffer_load_dword v1, v4, s[0:3], 0 offen
	buffer_load_dword v2, v4, s[0:3], 0 offen offset:4
	buffer_load_dword v3, v4, s[0:3], 0 offen offset:8
	;; [unrolled: 1-line block ×3, first 2 shown]
	buffer_store_dword v5, off, s[0:3], 0 offset:128
	buffer_store_dword v5, off, s[0:3], 0 offset:132
	;; [unrolled: 1-line block ×4, first 2 shown]
	s_waitcnt vmcnt(0)
	ds_write_b128 v133, v[1:4]
.LBB36_221:
	s_or_b32 exec_lo, exec_lo, s4
	s_waitcnt lgkmcnt(0)
	s_waitcnt_vscnt null, 0x0
	s_barrier
	buffer_gl0_inv
	s_clause 0x37
	buffer_load_dword v9, off, s[0:3], 0 offset:152
	buffer_load_dword v10, off, s[0:3], 0 offset:156
	;; [unrolled: 1-line block ×56, first 2 shown]
	v_mov_b32_e32 v11, 0
	s_mov_b32 s4, exec_lo
	ds_read_b128 v[5:8], v11 offset:720
	s_clause 0x2
	buffer_load_dword v145, off, s[0:3], 0 offset:380
	buffer_load_dword v149, off, s[0:3], 0 offset:356
	;; [unrolled: 1-line block ×3, first 2 shown]
	ds_read_b128 v[12:15], v11 offset:736
	s_clause 0x4
	buffer_load_dword v153, off, s[0:3], 0 offset:396
	buffer_load_dword v154, off, s[0:3], 0 offset:408
	;; [unrolled: 1-line block ×5, first 2 shown]
	ds_read_b128 v[16:19], v11 offset:752
	s_waitcnt vmcnt(62) lgkmcnt(2)
	v_mul_f64 v[150:151], v[7:8], v[9:10]
	v_mul_f64 v[9:10], v[5:6], v[9:10]
	s_waitcnt vmcnt(60) lgkmcnt(1)
	v_mul_f64 v[157:158], v[14:15], v[20:21]
	v_mul_f64 v[20:21], v[12:13], v[20:21]
	;; [unrolled: 3-line block ×3, first 2 shown]
	v_fma_f64 v[150:151], v[5:6], v[22:23], -v[150:151]
	v_fma_f64 v[9:10], v[7:8], v[22:23], v[9:10]
	s_clause 0x2
	buffer_load_dword v155, off, s[0:3], 0 offset:412
	buffer_load_dword v23, off, s[0:3], 0 offset:388
	;; [unrolled: 1-line block ×3, first 2 shown]
	s_waitcnt vmcnt(57)
	v_fma_f64 v[12:13], v[12:13], v[1:2], -v[157:158]
	ds_read_b128 v[5:8], v11 offset:768
	v_fma_f64 v[14:15], v[14:15], v[1:2], v[20:21]
	s_clause 0x4
	buffer_load_dword v21, off, s[0:3], 0 offset:428
	buffer_load_dword v158, off, s[0:3], 0 offset:440
	;; [unrolled: 1-line block ×5, first 2 shown]
	s_waitcnt vmcnt(56)
	v_fma_f64 v[16:17], v[16:17], v[30:31], -v[161:162]
	ds_read_b128 v[1:4], v11 offset:784
	v_fma_f64 v[18:19], v[18:19], v[30:31], v[159:160]
	s_clause 0x2
	buffer_load_dword v159, off, s[0:3], 0 offset:444
	buffer_load_dword v31, off, s[0:3], 0 offset:420
	;; [unrolled: 1-line block ×3, first 2 shown]
	v_add_f64 v[150:151], v[150:151], 0
	v_add_f64 v[9:10], v[9:10], 0
	s_waitcnt lgkmcnt(1)
	v_mul_f64 v[164:165], v[5:6], v[24:25]
	v_mul_f64 v[24:25], v[7:8], v[24:25]
	s_waitcnt vmcnt(58) lgkmcnt(0)
	v_mul_f64 v[160:161], v[1:2], v[26:27]
	v_mul_f64 v[26:27], v[3:4], v[26:27]
	v_add_f64 v[150:151], v[150:151], v[12:13]
	v_add_f64 v[9:10], v[9:10], v[14:15]
	ds_read_b128 v[12:15], v11 offset:800
	s_waitcnt vmcnt(56)
	v_fma_f64 v[24:25], v[5:6], v[32:33], -v[24:25]
	v_fma_f64 v[32:33], v[7:8], v[32:33], v[164:165]
	s_waitcnt vmcnt(51)
	v_fma_f64 v[26:27], v[1:2], v[28:29], -v[26:27]
	s_waitcnt lgkmcnt(0)
	v_mul_f64 v[166:167], v[12:13], v[34:35]
	v_add_f64 v[16:17], v[150:151], v[16:17]
	v_add_f64 v[9:10], v[9:10], v[18:19]
	s_clause 0x4
	buffer_load_dword v19, off, s[0:3], 0 offset:460
	buffer_load_dword v150, off, s[0:3], 0 offset:472
	;; [unrolled: 1-line block ×5, first 2 shown]
	v_mul_f64 v[34:35], v[14:15], v[34:35]
	ds_read_b128 v[5:8], v11 offset:816
	v_add_f64 v[16:17], v[16:17], v[24:25]
	v_fma_f64 v[24:25], v[3:4], v[28:29], v[160:161]
	v_add_f64 v[9:10], v[9:10], v[32:33]
	s_clause 0x2
	buffer_load_dword v151, off, s[0:3], 0 offset:476
	buffer_load_dword v29, off, s[0:3], 0 offset:452
	;; [unrolled: 1-line block ×3, first 2 shown]
	s_waitcnt vmcnt(58) lgkmcnt(0)
	v_mul_f64 v[32:33], v[5:6], v[36:37]
	v_mul_f64 v[36:37], v[7:8], v[36:37]
	s_waitcnt vmcnt(56)
	v_fma_f64 v[34:35], v[12:13], v[40:41], -v[34:35]
	ds_read_b128 v[1:4], v11 offset:832
	v_add_f64 v[16:17], v[16:17], v[26:27]
	v_fma_f64 v[26:27], v[14:15], v[40:41], v[166:167]
	v_add_f64 v[9:10], v[9:10], v[24:25]
	s_clause 0x4
	buffer_load_dword v25, off, s[0:3], 0 offset:492
	buffer_load_dword v40, off, s[0:3], 0 offset:504
	buffer_load_dword v160, off, s[0:3], 0 offset:496
	buffer_load_dword v24, off, s[0:3], 0 offset:488
	buffer_load_dword v166, off, s[0:3], 0 offset:468
	ds_read_b128 v[12:15], v11 offset:848
	s_waitcnt vmcnt(57) lgkmcnt(1)
	v_mul_f64 v[161:162], v[1:2], v[42:43]
	v_mul_f64 v[42:43], v[3:4], v[42:43]
	s_waitcnt vmcnt(56)
	v_fma_f64 v[36:37], v[5:6], v[38:39], -v[36:37]
	v_fma_f64 v[32:33], v[7:8], v[38:39], v[32:33]
	v_add_f64 v[16:17], v[16:17], v[34:35]
	v_add_f64 v[9:10], v[9:10], v[26:27]
	s_clause 0x2
	buffer_load_dword v41, off, s[0:3], 0 offset:508
	buffer_load_dword v27, off, s[0:3], 0 offset:484
	;; [unrolled: 1-line block ×3, first 2 shown]
	s_waitcnt vmcnt(58) lgkmcnt(0)
	v_mul_f64 v[38:39], v[14:15], v[119:120]
	ds_read_b128 v[5:8], v11 offset:864
	s_waitcnt vmcnt(56)
	v_fma_f64 v[42:43], v[1:2], v[123:124], -v[42:43]
	v_mul_f64 v[34:35], v[12:13], v[119:120]
	v_add_f64 v[16:17], v[16:17], v[36:37]
	v_fma_f64 v[36:37], v[3:4], v[123:124], v[161:162]
	v_add_f64 v[9:10], v[9:10], v[32:33]
	s_clause 0x4
	buffer_load_dword v33, off, s[0:3], 0 offset:524
	buffer_load_dword v119, off, s[0:3], 0 offset:536
	buffer_load_dword v123, off, s[0:3], 0 offset:528
	buffer_load_dword v32, off, s[0:3], 0 offset:520
	buffer_load_dword v161, off, s[0:3], 0 offset:500
	s_waitcnt vmcnt(57) lgkmcnt(0)
	v_mul_f64 v[167:168], v[5:6], v[125:126]
	v_mul_f64 v[124:125], v[7:8], v[125:126]
	s_waitcnt vmcnt(56)
	v_fma_f64 v[38:39], v[12:13], v[121:122], -v[38:39]
	ds_read_b128 v[1:4], v11 offset:880
	v_fma_f64 v[34:35], v[14:15], v[121:122], v[34:35]
	v_add_f64 v[16:17], v[16:17], v[42:43]
	v_add_f64 v[9:10], v[9:10], v[36:37]
	s_clause 0x2
	buffer_load_dword v120, off, s[0:3], 0 offset:540
	buffer_load_dword v37, off, s[0:3], 0 offset:516
	buffer_load_dword v36, off, s[0:3], 0 offset:512
	ds_read_b128 v[12:15], v11 offset:896
	s_waitcnt vmcnt(58) lgkmcnt(1)
	v_mul_f64 v[121:122], v[3:4], v[127:128]
	s_waitcnt vmcnt(56)
	v_fma_f64 v[125:126], v[5:6], v[131:132], -v[124:125]
	v_mul_f64 v[42:43], v[1:2], v[127:128]
	v_add_f64 v[16:17], v[16:17], v[38:39]
	v_fma_f64 v[38:39], v[7:8], v[131:132], v[167:168]
	v_add_f64 v[9:10], v[9:10], v[34:35]
	s_clause 0x4
	buffer_load_dword v35, off, s[0:3], 0 offset:556
	buffer_load_dword v127, off, s[0:3], 0 offset:568
	buffer_load_dword v131, off, s[0:3], 0 offset:560
	buffer_load_dword v34, off, s[0:3], 0 offset:552
	buffer_load_dword v124, off, s[0:3], 0 offset:532
	s_waitcnt vmcnt(57) lgkmcnt(0)
	v_mul_f64 v[167:168], v[12:13], v[134:135]
	v_mul_f64 v[134:135], v[14:15], v[134:135]
	s_waitcnt vmcnt(56)
	v_fma_f64 v[121:122], v[1:2], v[129:130], -v[121:122]
	ds_read_b128 v[5:8], v11 offset:912
	v_fma_f64 v[42:43], v[3:4], v[129:130], v[42:43]
	v_add_f64 v[16:17], v[16:17], v[125:126]
	v_add_f64 v[9:10], v[9:10], v[38:39]
	s_clause 0x2
	buffer_load_dword v128, off, s[0:3], 0 offset:572
	buffer_load_dword v39, off, s[0:3], 0 offset:548
	buffer_load_dword v38, off, s[0:3], 0 offset:544
	ds_read_b128 v[1:4], v11 offset:928
	s_waitcnt vmcnt(58) lgkmcnt(1)
	v_mul_f64 v[129:130], v[7:8], v[136:137]
	;; [unrolled: 28-line block ×3, first 2 shown]
	s_waitcnt vmcnt(56)
	v_fma_f64 v[142:143], v[1:2], v[148:149], -v[141:142]
	v_mul_f64 v[134:135], v[12:13], v[144:145]
	buffer_load_dword v141, off, s[0:3], 0 offset:596
	v_add_f64 v[16:17], v[16:17], v[129:130]
	v_fma_f64 v[129:130], v[3:4], v[148:149], v[167:168]
	v_add_f64 v[9:10], v[9:10], v[125:126]
	ds_read_b128 v[1:4], v11 offset:976
	s_waitcnt vmcnt(53) lgkmcnt(1)
	v_mul_f64 v[144:145], v[7:8], v[152:153]
	s_waitcnt vmcnt(52)
	v_fma_f64 v[138:139], v[12:13], v[146:147], -v[138:139]
	v_mul_f64 v[125:126], v[5:6], v[152:153]
	v_fma_f64 v[134:135], v[14:15], v[146:147], v[134:135]
	ds_read_b128 v[12:15], v11 offset:992
	v_add_f64 v[16:17], v[16:17], v[142:143]
	v_add_f64 v[9:10], v[9:10], v[129:130]
	s_waitcnt vmcnt(51) lgkmcnt(1)
	v_mul_f64 v[142:143], v[3:4], v[154:155]
	v_mul_f64 v[129:130], v[1:2], v[154:155]
	s_waitcnt vmcnt(49)
	v_fma_f64 v[144:145], v[5:6], v[22:23], -v[144:145]
	v_fma_f64 v[22:23], v[7:8], v[22:23], v[125:126]
	v_add_f64 v[16:17], v[16:17], v[138:139]
	s_waitcnt vmcnt(45) lgkmcnt(0)
	v_mul_f64 v[138:139], v[12:13], v[20:21]
	v_add_f64 v[9:10], v[9:10], v[134:135]
	s_clause 0x3
	buffer_load_dword v125, off, s[0:3], 0 offset:128
	buffer_load_dword v126, off, s[0:3], 0 offset:132
	;; [unrolled: 1-line block ×4, first 2 shown]
	v_mul_f64 v[20:21], v[14:15], v[20:21]
	ds_read_b128 v[5:8], v11 offset:1008
	s_waitcnt vmcnt(48)
	v_fma_f64 v[142:143], v[1:2], v[156:157], -v[142:143]
	v_fma_f64 v[129:130], v[3:4], v[156:157], v[129:130]
	ds_read_b128 v[1:4], v11 offset:1024
	v_add_f64 v[16:17], v[16:17], v[144:145]
	v_add_f64 v[9:10], v[9:10], v[22:23]
	s_waitcnt vmcnt(47) lgkmcnt(1)
	v_mul_f64 v[144:145], v[7:8], v[158:159]
	s_waitcnt vmcnt(45)
	v_fma_f64 v[20:21], v[12:13], v[30:31], -v[20:21]
	v_mul_f64 v[22:23], v[5:6], v[158:159]
	v_fma_f64 v[30:31], v[14:15], v[30:31], v[138:139]
	ds_read_b128 v[12:15], v11 offset:1040
	v_add_f64 v[16:17], v[16:17], v[142:143]
	v_add_f64 v[9:10], v[9:10], v[129:130]
	s_waitcnt vmcnt(41) lgkmcnt(1)
	v_mul_f64 v[129:130], v[1:2], v[18:19]
	v_mul_f64 v[18:19], v[3:4], v[18:19]
	s_waitcnt vmcnt(40)
	v_fma_f64 v[138:139], v[5:6], v[163:164], -v[144:145]
	v_add_f64 v[16:17], v[16:17], v[20:21]
	v_fma_f64 v[20:21], v[7:8], v[163:164], v[22:23]
	v_add_f64 v[9:10], v[9:10], v[30:31]
	ds_read_b128 v[5:8], v11 offset:1056
	s_waitcnt vmcnt(39) lgkmcnt(1)
	v_mul_f64 v[30:31], v[14:15], v[150:151]
	v_mul_f64 v[22:23], v[12:13], v[150:151]
	s_waitcnt vmcnt(37)
	v_fma_f64 v[18:19], v[1:2], v[28:29], -v[18:19]
	v_fma_f64 v[28:29], v[3:4], v[28:29], v[129:130]
	ds_read_b128 v[1:4], v11 offset:1072
	v_add_f64 v[16:17], v[16:17], v[138:139]
	v_add_f64 v[9:10], v[9:10], v[20:21]
	s_waitcnt vmcnt(33) lgkmcnt(1)
	v_mul_f64 v[20:21], v[5:6], v[24:25]
	v_mul_f64 v[24:25], v[7:8], v[24:25]
	s_waitcnt vmcnt(32)
	v_fma_f64 v[30:31], v[12:13], v[165:166], -v[30:31]
	v_add_f64 v[16:17], v[16:17], v[18:19]
	v_fma_f64 v[18:19], v[14:15], v[165:166], v[22:23]
	v_add_f64 v[9:10], v[9:10], v[28:29]
	ds_read_b128 v[12:15], v11 offset:1088
	s_waitcnt vmcnt(31) lgkmcnt(1)
	v_mul_f64 v[28:29], v[3:4], v[40:41]
	v_mul_f64 v[22:23], v[1:2], v[40:41]
	s_waitcnt vmcnt(29)
	v_fma_f64 v[24:25], v[5:6], v[26:27], -v[24:25]
	v_fma_f64 v[20:21], v[7:8], v[26:27], v[20:21]
	ds_read_b128 v[5:8], v11 offset:1104
	v_add_f64 v[16:17], v[16:17], v[30:31]
	v_add_f64 v[9:10], v[9:10], v[18:19]
	s_waitcnt vmcnt(25) lgkmcnt(1)
	v_mul_f64 v[26:27], v[14:15], v[32:33]
	s_waitcnt vmcnt(24)
	v_fma_f64 v[28:29], v[1:2], v[160:161], -v[28:29]
	v_mul_f64 v[18:19], v[12:13], v[32:33]
	v_fma_f64 v[22:23], v[3:4], v[160:161], v[22:23]
	ds_read_b128 v[1:4], v11 offset:1120
	v_add_f64 v[16:17], v[16:17], v[24:25]
	v_add_f64 v[9:10], v[9:10], v[20:21]
	s_waitcnt vmcnt(23) lgkmcnt(1)
	v_mul_f64 v[24:25], v[7:8], v[119:120]
	v_mul_f64 v[20:21], v[5:6], v[119:120]
	s_waitcnt vmcnt(21)
	v_fma_f64 v[26:27], v[12:13], v[36:37], -v[26:27]
	v_fma_f64 v[18:19], v[14:15], v[36:37], v[18:19]
	ds_read_b128 v[12:15], v11 offset:1136
	v_add_f64 v[16:17], v[16:17], v[28:29]
	v_add_f64 v[9:10], v[9:10], v[22:23]
	s_waitcnt vmcnt(17) lgkmcnt(1)
	v_mul_f64 v[28:29], v[3:4], v[34:35]
	s_waitcnt vmcnt(16)
	v_fma_f64 v[24:25], v[5:6], v[123:124], -v[24:25]
	v_mul_f64 v[22:23], v[1:2], v[34:35]
	v_fma_f64 v[20:21], v[7:8], v[123:124], v[20:21]
	ds_read_b128 v[5:8], v11 offset:1152
	v_add_f64 v[16:17], v[16:17], v[26:27]
	v_add_f64 v[9:10], v[9:10], v[18:19]
	s_waitcnt vmcnt(15) lgkmcnt(1)
	v_mul_f64 v[26:27], v[14:15], v[127:128]
	v_mul_f64 v[18:19], v[12:13], v[127:128]
	s_waitcnt vmcnt(13)
	v_fma_f64 v[28:29], v[1:2], v[38:39], -v[28:29]
	v_fma_f64 v[22:23], v[3:4], v[38:39], v[22:23]
	ds_read_b128 v[1:4], v11 offset:1168
	v_add_f64 v[16:17], v[16:17], v[24:25]
	v_add_f64 v[9:10], v[9:10], v[20:21]
	s_waitcnt vmcnt(9) lgkmcnt(1)
	v_mul_f64 v[24:25], v[7:8], v[42:43]
	s_waitcnt vmcnt(8)
	v_fma_f64 v[12:13], v[12:13], v[131:132], -v[26:27]
	v_mul_f64 v[20:21], v[5:6], v[42:43]
	v_fma_f64 v[14:15], v[14:15], v[131:132], v[18:19]
	v_add_f64 v[16:17], v[16:17], v[28:29]
	v_add_f64 v[9:10], v[9:10], v[22:23]
	s_waitcnt vmcnt(7) lgkmcnt(0)
	v_mul_f64 v[22:23], v[3:4], v[136:137]
	v_mul_f64 v[18:19], v[1:2], v[136:137]
	s_waitcnt vmcnt(5)
	v_fma_f64 v[5:6], v[5:6], v[121:122], -v[24:25]
	v_fma_f64 v[7:8], v[7:8], v[121:122], v[20:21]
	v_add_f64 v[12:13], v[16:17], v[12:13]
	v_add_f64 v[9:10], v[9:10], v[14:15]
	s_waitcnt vmcnt(4)
	v_fma_f64 v[1:2], v[1:2], v[140:141], -v[22:23]
	v_fma_f64 v[3:4], v[3:4], v[140:141], v[18:19]
	v_add_f64 v[5:6], v[12:13], v[5:6]
	v_add_f64 v[7:8], v[9:10], v[7:8]
	;; [unrolled: 1-line block ×4, first 2 shown]
	s_waitcnt vmcnt(2)
	v_add_f64 v[1:2], v[125:126], -v[1:2]
	s_waitcnt vmcnt(0)
	v_add_f64 v[3:4], v[134:135], -v[3:4]
	buffer_store_dword v2, off, s[0:3], 0 offset:132
	buffer_store_dword v1, off, s[0:3], 0 offset:128
	;; [unrolled: 1-line block ×4, first 2 shown]
	v_cmpx_lt_u32_e32 6, v0
	s_cbranch_execz .LBB36_223
; %bb.222:
	v_mov_b32_e32 v4, s43
	s_clause 0x3
	buffer_load_dword v1, v4, s[0:3], 0 offen
	buffer_load_dword v2, v4, s[0:3], 0 offen offset:4
	buffer_load_dword v3, v4, s[0:3], 0 offen offset:8
	;; [unrolled: 1-line block ×3, first 2 shown]
	buffer_store_dword v11, off, s[0:3], 0 offset:112
	buffer_store_dword v11, off, s[0:3], 0 offset:116
	;; [unrolled: 1-line block ×4, first 2 shown]
	s_waitcnt vmcnt(0)
	ds_write_b128 v133, v[1:4]
.LBB36_223:
	s_or_b32 exec_lo, exec_lo, s4
	s_waitcnt lgkmcnt(0)
	s_waitcnt_vscnt null, 0x0
	s_barrier
	buffer_gl0_inv
	s_clause 0x37
	buffer_load_dword v9, off, s[0:3], 0 offset:136
	buffer_load_dword v10, off, s[0:3], 0 offset:140
	;; [unrolled: 1-line block ×56, first 2 shown]
	ds_read_b128 v[12:15], v11 offset:704
	s_clause 0x2
	buffer_load_dword v145, off, s[0:3], 0 offset:364
	buffer_load_dword v149, off, s[0:3], 0 offset:340
	;; [unrolled: 1-line block ×3, first 2 shown]
	ds_read_b128 v[16:19], v11 offset:720
	s_clause 0x4
	buffer_load_dword v153, off, s[0:3], 0 offset:380
	buffer_load_dword v154, off, s[0:3], 0 offset:392
	;; [unrolled: 1-line block ×5, first 2 shown]
	ds_read_b128 v[20:23], v11 offset:736
	s_clause 0x2
	buffer_load_dword v155, off, s[0:3], 0 offset:396
	buffer_load_dword v160, off, s[0:3], 0 offset:372
	;; [unrolled: 1-line block ×3, first 2 shown]
	s_mov_b32 s4, exec_lo
	s_waitcnt vmcnt(62) lgkmcnt(2)
	v_mul_f64 v[150:151], v[14:15], v[9:10]
	v_mul_f64 v[9:10], v[12:13], v[9:10]
	s_waitcnt lgkmcnt(1)
	v_mul_f64 v[157:158], v[18:19], v[5:6]
	s_waitcnt vmcnt(59) lgkmcnt(0)
	v_mul_f64 v[161:162], v[22:23], v[3:4]
	v_fma_f64 v[12:13], v[12:13], v[7:8], -v[150:151]
	v_mul_f64 v[150:151], v[16:17], v[5:6]
	v_fma_f64 v[9:10], v[14:15], v[7:8], v[9:10]
	s_waitcnt vmcnt(57)
	v_fma_f64 v[16:17], v[16:17], v[1:2], -v[157:158]
	ds_read_b128 v[5:8], v11 offset:752
	v_mul_f64 v[14:15], v[20:21], v[3:4]
	s_waitcnt vmcnt(51)
	v_fma_f64 v[20:21], v[20:21], v[30:31], -v[161:162]
	v_add_f64 v[12:13], v[12:13], 0
	v_fma_f64 v[18:19], v[18:19], v[1:2], v[150:151]
	v_add_f64 v[9:10], v[9:10], 0
	s_clause 0x4
	buffer_load_dword v151, off, s[0:3], 0 offset:412
	buffer_load_dword v163, off, s[0:3], 0 offset:424
	;; [unrolled: 1-line block ×5, first 2 shown]
	s_waitcnt lgkmcnt(0)
	v_mul_f64 v[166:167], v[5:6], v[24:25]
	v_mul_f64 v[24:25], v[7:8], v[24:25]
	ds_read_b128 v[1:4], v11 offset:768
	v_fma_f64 v[22:23], v[22:23], v[30:31], v[14:15]
	v_add_f64 v[16:17], v[12:13], v[16:17]
	v_add_f64 v[9:10], v[9:10], v[18:19]
	s_clause 0x2
	buffer_load_dword v164, off, s[0:3], 0 offset:428
	buffer_load_dword v19, off, s[0:3], 0 offset:404
	;; [unrolled: 1-line block ×3, first 2 shown]
	s_waitcnt vmcnt(58) lgkmcnt(0)
	v_mul_f64 v[30:31], v[1:2], v[26:27]
	v_mul_f64 v[26:27], v[3:4], v[26:27]
	s_waitcnt vmcnt(56)
	v_fma_f64 v[24:25], v[5:6], v[32:33], -v[24:25]
	ds_read_b128 v[12:15], v11 offset:784
	v_add_f64 v[16:17], v[16:17], v[20:21]
	v_fma_f64 v[20:21], v[7:8], v[32:33], v[166:167]
	v_add_f64 v[9:10], v[9:10], v[22:23]
	s_clause 0x4
	buffer_load_dword v23, off, s[0:3], 0 offset:444
	buffer_load_dword v32, off, s[0:3], 0 offset:456
	;; [unrolled: 1-line block ×5, first 2 shown]
	ds_read_b128 v[5:8], v11 offset:800
	s_waitcnt vmcnt(57) lgkmcnt(1)
	v_mul_f64 v[167:168], v[12:13], v[34:35]
	v_mul_f64 v[34:35], v[14:15], v[34:35]
	s_waitcnt vmcnt(56)
	v_fma_f64 v[26:27], v[1:2], v[28:29], -v[26:27]
	v_add_f64 v[16:17], v[16:17], v[24:25]
	v_fma_f64 v[24:25], v[3:4], v[28:29], v[30:31]
	v_add_f64 v[9:10], v[9:10], v[20:21]
	s_clause 0x2
	buffer_load_dword v33, off, s[0:3], 0 offset:460
	buffer_load_dword v21, off, s[0:3], 0 offset:436
	;; [unrolled: 1-line block ×3, first 2 shown]
	s_waitcnt vmcnt(58) lgkmcnt(0)
	v_mul_f64 v[30:31], v[7:8], v[36:37]
	ds_read_b128 v[1:4], v11 offset:816
	s_waitcnt vmcnt(56)
	v_fma_f64 v[34:35], v[12:13], v[40:41], -v[34:35]
	v_mul_f64 v[28:29], v[5:6], v[36:37]
	v_add_f64 v[16:17], v[16:17], v[26:27]
	v_fma_f64 v[26:27], v[14:15], v[40:41], v[167:168]
	v_add_f64 v[9:10], v[9:10], v[24:25]
	s_clause 0x4
	buffer_load_dword v25, off, s[0:3], 0 offset:476
	buffer_load_dword v36, off, s[0:3], 0 offset:488
	buffer_load_dword v40, off, s[0:3], 0 offset:480
	buffer_load_dword v24, off, s[0:3], 0 offset:472
	buffer_load_dword v162, off, s[0:3], 0 offset:452
	s_waitcnt vmcnt(57) lgkmcnt(0)
	v_mul_f64 v[167:168], v[1:2], v[42:43]
	v_mul_f64 v[41:42], v[3:4], v[42:43]
	s_waitcnt vmcnt(56)
	v_fma_f64 v[30:31], v[5:6], v[38:39], -v[30:31]
	ds_read_b128 v[12:15], v11 offset:832
	v_fma_f64 v[28:29], v[7:8], v[38:39], v[28:29]
	v_add_f64 v[16:17], v[16:17], v[34:35]
	v_add_f64 v[9:10], v[9:10], v[26:27]
	s_clause 0x2
	buffer_load_dword v37, off, s[0:3], 0 offset:492
	buffer_load_dword v27, off, s[0:3], 0 offset:468
	buffer_load_dword v26, off, s[0:3], 0 offset:464
	ds_read_b128 v[5:8], v11 offset:848
	s_waitcnt vmcnt(58) lgkmcnt(1)
	v_mul_f64 v[38:39], v[14:15], v[119:120]
	s_waitcnt vmcnt(56)
	v_fma_f64 v[42:43], v[1:2], v[123:124], -v[41:42]
	v_mul_f64 v[34:35], v[12:13], v[119:120]
	v_add_f64 v[16:17], v[16:17], v[30:31]
	v_fma_f64 v[30:31], v[3:4], v[123:124], v[167:168]
	v_add_f64 v[9:10], v[9:10], v[28:29]
	s_clause 0x4
	buffer_load_dword v29, off, s[0:3], 0 offset:508
	buffer_load_dword v119, off, s[0:3], 0 offset:520
	buffer_load_dword v123, off, s[0:3], 0 offset:512
	buffer_load_dword v28, off, s[0:3], 0 offset:504
	buffer_load_dword v41, off, s[0:3], 0 offset:484
	s_waitcnt vmcnt(57) lgkmcnt(0)
	v_mul_f64 v[167:168], v[5:6], v[125:126]
	v_mul_f64 v[124:125], v[7:8], v[125:126]
	s_waitcnt vmcnt(56)
	v_fma_f64 v[38:39], v[12:13], v[121:122], -v[38:39]
	ds_read_b128 v[1:4], v11 offset:864
	v_fma_f64 v[34:35], v[14:15], v[121:122], v[34:35]
	v_add_f64 v[16:17], v[16:17], v[42:43]
	v_add_f64 v[9:10], v[9:10], v[30:31]
	s_clause 0x2
	buffer_load_dword v120, off, s[0:3], 0 offset:524
	buffer_load_dword v31, off, s[0:3], 0 offset:500
	buffer_load_dword v30, off, s[0:3], 0 offset:496
	ds_read_b128 v[12:15], v11 offset:880
	s_waitcnt vmcnt(58) lgkmcnt(1)
	v_mul_f64 v[121:122], v[3:4], v[127:128]
	s_waitcnt vmcnt(56)
	v_fma_f64 v[125:126], v[5:6], v[131:132], -v[124:125]
	v_mul_f64 v[42:43], v[1:2], v[127:128]
	v_add_f64 v[16:17], v[16:17], v[38:39]
	v_fma_f64 v[38:39], v[7:8], v[131:132], v[167:168]
	v_add_f64 v[9:10], v[9:10], v[34:35]
	s_clause 0x4
	buffer_load_dword v35, off, s[0:3], 0 offset:540
	buffer_load_dword v127, off, s[0:3], 0 offset:552
	buffer_load_dword v131, off, s[0:3], 0 offset:544
	buffer_load_dword v34, off, s[0:3], 0 offset:536
	buffer_load_dword v124, off, s[0:3], 0 offset:516
	s_waitcnt vmcnt(57) lgkmcnt(0)
	v_mul_f64 v[167:168], v[12:13], v[134:135]
	v_mul_f64 v[134:135], v[14:15], v[134:135]
	s_waitcnt vmcnt(56)
	v_fma_f64 v[121:122], v[1:2], v[129:130], -v[121:122]
	ds_read_b128 v[5:8], v11 offset:896
	v_fma_f64 v[42:43], v[3:4], v[129:130], v[42:43]
	v_add_f64 v[16:17], v[16:17], v[125:126]
	v_add_f64 v[9:10], v[9:10], v[38:39]
	s_clause 0x2
	buffer_load_dword v128, off, s[0:3], 0 offset:556
	buffer_load_dword v39, off, s[0:3], 0 offset:532
	buffer_load_dword v38, off, s[0:3], 0 offset:528
	ds_read_b128 v[1:4], v11 offset:912
	s_waitcnt vmcnt(58) lgkmcnt(1)
	v_mul_f64 v[129:130], v[7:8], v[136:137]
	s_waitcnt vmcnt(56)
	v_fma_f64 v[134:135], v[12:13], v[140:141], -v[134:135]
	v_mul_f64 v[125:126], v[5:6], v[136:137]
	v_add_f64 v[16:17], v[16:17], v[121:122]
	v_fma_f64 v[121:122], v[14:15], v[140:141], v[167:168]
	v_add_f64 v[9:10], v[9:10], v[42:43]
	s_clause 0x4
	buffer_load_dword v43, off, s[0:3], 0 offset:572
	buffer_load_dword v136, off, s[0:3], 0 offset:584
	buffer_load_dword v140, off, s[0:3], 0 offset:576
	buffer_load_dword v42, off, s[0:3], 0 offset:568
	buffer_load_dword v132, off, s[0:3], 0 offset:548
	s_waitcnt vmcnt(57) lgkmcnt(0)
	v_mul_f64 v[167:168], v[1:2], v[142:143]
	v_mul_f64 v[141:142], v[3:4], v[142:143]
	s_waitcnt vmcnt(56)
	v_fma_f64 v[129:130], v[5:6], v[138:139], -v[129:130]
	ds_read_b128 v[12:15], v11 offset:928
	v_fma_f64 v[125:126], v[7:8], v[138:139], v[125:126]
	v_add_f64 v[16:17], v[16:17], v[134:135]
	v_add_f64 v[9:10], v[9:10], v[121:122]
	s_clause 0x2
	buffer_load_dword v137, off, s[0:3], 0 offset:588
	buffer_load_dword v122, off, s[0:3], 0 offset:564
	buffer_load_dword v121, off, s[0:3], 0 offset:560
	ds_read_b128 v[5:8], v11 offset:944
	s_waitcnt vmcnt(58) lgkmcnt(1)
	v_mul_f64 v[138:139], v[14:15], v[144:145]
	s_waitcnt vmcnt(56)
	v_fma_f64 v[142:143], v[1:2], v[148:149], -v[141:142]
	v_mul_f64 v[134:135], v[12:13], v[144:145]
	v_add_f64 v[16:17], v[16:17], v[129:130]
	v_fma_f64 v[129:130], v[3:4], v[148:149], v[167:168]
	v_add_f64 v[9:10], v[9:10], v[125:126]
	s_clause 0x2
	buffer_load_dword v126, off, s[0:3], 0 offset:604
	buffer_load_dword v125, off, s[0:3], 0 offset:600
	buffer_load_dword v141, off, s[0:3], 0 offset:580
	s_waitcnt vmcnt(55) lgkmcnt(0)
	v_mul_f64 v[148:149], v[7:8], v[152:153]
	s_waitcnt vmcnt(54)
	v_fma_f64 v[138:139], v[12:13], v[146:147], -v[138:139]
	ds_read_b128 v[1:4], v11 offset:960
	v_mul_f64 v[144:145], v[5:6], v[152:153]
	v_fma_f64 v[134:135], v[14:15], v[146:147], v[134:135]
	v_add_f64 v[16:17], v[16:17], v[142:143]
	v_add_f64 v[9:10], v[9:10], v[129:130]
	s_clause 0x1
	buffer_load_dword v130, off, s[0:3], 0 offset:596
	buffer_load_dword v129, off, s[0:3], 0 offset:592
	s_waitcnt vmcnt(55) lgkmcnt(0)
	v_mul_f64 v[146:147], v[3:4], v[154:155]
	s_waitcnt vmcnt(53)
	v_fma_f64 v[148:149], v[5:6], v[159:160], -v[148:149]
	ds_read_b128 v[12:15], v11 offset:976
	v_mul_f64 v[142:143], v[1:2], v[154:155]
	v_add_f64 v[16:17], v[16:17], v[138:139]
	v_fma_f64 v[138:139], v[7:8], v[159:160], v[144:145]
	v_add_f64 v[9:10], v[9:10], v[134:135]
	ds_read_b128 v[5:8], v11 offset:992
	s_waitcnt vmcnt(49) lgkmcnt(1)
	v_mul_f64 v[144:145], v[14:15], v[150:151]
	s_waitcnt vmcnt(48)
	v_fma_f64 v[146:147], v[1:2], v[156:157], -v[146:147]
	v_mul_f64 v[134:135], v[12:13], v[150:151]
	v_fma_f64 v[142:143], v[3:4], v[156:157], v[142:143]
	v_add_f64 v[16:17], v[16:17], v[148:149]
	v_add_f64 v[9:10], v[9:10], v[138:139]
	s_clause 0x3
	buffer_load_dword v138, off, s[0:3], 0 offset:112
	buffer_load_dword v139, off, s[0:3], 0 offset:116
	;; [unrolled: 1-line block ×4, first 2 shown]
	ds_read_b128 v[1:4], v11 offset:1008
	s_waitcnt vmcnt(51) lgkmcnt(1)
	v_mul_f64 v[152:153], v[7:8], v[163:164]
	v_mul_f64 v[150:151], v[5:6], v[163:164]
	s_waitcnt vmcnt(49)
	v_fma_f64 v[144:145], v[12:13], v[18:19], -v[144:145]
	v_fma_f64 v[18:19], v[14:15], v[18:19], v[134:135]
	ds_read_b128 v[12:15], v11 offset:1024
	v_add_f64 v[16:17], v[16:17], v[146:147]
	v_add_f64 v[9:10], v[9:10], v[142:143]
	s_waitcnt vmcnt(45) lgkmcnt(1)
	v_mul_f64 v[134:135], v[1:2], v[22:23]
	v_mul_f64 v[22:23], v[3:4], v[22:23]
	s_waitcnt vmcnt(44)
	v_fma_f64 v[142:143], v[5:6], v[165:166], -v[152:153]
	v_add_f64 v[16:17], v[16:17], v[144:145]
	v_fma_f64 v[144:145], v[7:8], v[165:166], v[150:151]
	v_add_f64 v[9:10], v[9:10], v[18:19]
	ds_read_b128 v[5:8], v11 offset:1040
	s_waitcnt vmcnt(43) lgkmcnt(1)
	v_mul_f64 v[18:19], v[12:13], v[32:33]
	v_mul_f64 v[32:33], v[14:15], v[32:33]
	s_waitcnt vmcnt(41)
	v_fma_f64 v[22:23], v[1:2], v[20:21], -v[22:23]
	v_fma_f64 v[20:21], v[3:4], v[20:21], v[134:135]
	ds_read_b128 v[1:4], v11 offset:1056
	v_add_f64 v[16:17], v[16:17], v[142:143]
	v_add_f64 v[9:10], v[9:10], v[144:145]
	s_waitcnt vmcnt(37) lgkmcnt(1)
	v_mul_f64 v[134:135], v[5:6], v[24:25]
	v_mul_f64 v[24:25], v[7:8], v[24:25]
	s_waitcnt vmcnt(36)
	v_fma_f64 v[32:33], v[12:13], v[161:162], -v[32:33]
	v_fma_f64 v[18:19], v[14:15], v[161:162], v[18:19]
	ds_read_b128 v[12:15], v11 offset:1072
	v_add_f64 v[16:17], v[16:17], v[22:23]
	v_add_f64 v[9:10], v[9:10], v[20:21]
	;; [unrolled: 9-line block ×5, first 2 shown]
	s_waitcnt vmcnt(21) lgkmcnt(1)
	v_mul_f64 v[22:23], v[3:4], v[34:35]
	s_waitcnt vmcnt(20)
	v_fma_f64 v[26:27], v[5:6], v[123:124], -v[26:27]
	v_mul_f64 v[20:21], v[1:2], v[34:35]
	v_fma_f64 v[24:25], v[7:8], v[123:124], v[24:25]
	ds_read_b128 v[5:8], v11 offset:1136
	v_add_f64 v[16:17], v[16:17], v[28:29]
	v_add_f64 v[9:10], v[9:10], v[18:19]
	s_waitcnt vmcnt(19) lgkmcnt(1)
	v_mul_f64 v[28:29], v[14:15], v[127:128]
	v_mul_f64 v[18:19], v[12:13], v[127:128]
	s_waitcnt vmcnt(17)
	v_fma_f64 v[22:23], v[1:2], v[38:39], -v[22:23]
	v_fma_f64 v[20:21], v[3:4], v[38:39], v[20:21]
	ds_read_b128 v[1:4], v11 offset:1152
	v_add_f64 v[16:17], v[16:17], v[26:27]
	v_add_f64 v[9:10], v[9:10], v[24:25]
	s_waitcnt vmcnt(13) lgkmcnt(1)
	v_mul_f64 v[26:27], v[7:8], v[42:43]
	s_waitcnt vmcnt(12)
	v_fma_f64 v[28:29], v[12:13], v[131:132], -v[28:29]
	v_mul_f64 v[24:25], v[5:6], v[42:43]
	v_fma_f64 v[13:14], v[14:15], v[131:132], v[18:19]
	v_add_f64 v[16:17], v[16:17], v[22:23]
	v_add_f64 v[18:19], v[9:10], v[20:21]
	ds_read_b128 v[9:12], v11 offset:1168
	s_waitcnt vmcnt(11) lgkmcnt(1)
	v_mul_f64 v[22:23], v[3:4], v[136:137]
	v_mul_f64 v[20:21], v[1:2], v[136:137]
	s_waitcnt vmcnt(9)
	v_fma_f64 v[5:6], v[5:6], v[121:122], -v[26:27]
	v_fma_f64 v[7:8], v[7:8], v[121:122], v[24:25]
	v_add_f64 v[15:16], v[16:17], v[28:29]
	v_add_f64 v[13:14], v[18:19], v[13:14]
	s_waitcnt vmcnt(7) lgkmcnt(0)
	v_mul_f64 v[24:25], v[11:12], v[125:126]
	s_waitcnt vmcnt(6)
	v_fma_f64 v[1:2], v[1:2], v[140:141], -v[22:23]
	v_mul_f64 v[17:18], v[9:10], v[125:126]
	v_fma_f64 v[3:4], v[3:4], v[140:141], v[20:21]
	v_add_f64 v[5:6], v[15:16], v[5:6]
	v_add_f64 v[7:8], v[13:14], v[7:8]
	s_waitcnt vmcnt(4)
	v_fma_f64 v[9:10], v[9:10], v[129:130], -v[24:25]
	v_add_f64 v[1:2], v[5:6], v[1:2]
	v_fma_f64 v[5:6], v[11:12], v[129:130], v[17:18]
	v_add_f64 v[3:4], v[7:8], v[3:4]
	v_add_f64 v[1:2], v[1:2], v[9:10]
	;; [unrolled: 1-line block ×3, first 2 shown]
	s_waitcnt vmcnt(2)
	v_add_f64 v[1:2], v[138:139], -v[1:2]
	s_waitcnt vmcnt(0)
	v_add_f64 v[3:4], v[148:149], -v[3:4]
	buffer_store_dword v2, off, s[0:3], 0 offset:116
	buffer_store_dword v1, off, s[0:3], 0 offset:112
	;; [unrolled: 1-line block ×4, first 2 shown]
	v_cmpx_lt_u32_e32 5, v0
	s_cbranch_execz .LBB36_225
; %bb.224:
	v_mov_b32_e32 v4, s44
	v_mov_b32_e32 v5, 0
	s_clause 0x3
	buffer_load_dword v1, v4, s[0:3], 0 offen
	buffer_load_dword v2, v4, s[0:3], 0 offen offset:4
	buffer_load_dword v3, v4, s[0:3], 0 offen offset:8
	;; [unrolled: 1-line block ×3, first 2 shown]
	buffer_store_dword v5, off, s[0:3], 0 offset:96
	buffer_store_dword v5, off, s[0:3], 0 offset:100
	;; [unrolled: 1-line block ×4, first 2 shown]
	s_waitcnt vmcnt(0)
	ds_write_b128 v133, v[1:4]
.LBB36_225:
	s_or_b32 exec_lo, exec_lo, s4
	s_waitcnt lgkmcnt(0)
	s_waitcnt_vscnt null, 0x0
	s_barrier
	buffer_gl0_inv
	s_clause 0x37
	buffer_load_dword v9, off, s[0:3], 0 offset:120
	buffer_load_dword v10, off, s[0:3], 0 offset:124
	;; [unrolled: 1-line block ×56, first 2 shown]
	v_mov_b32_e32 v29, 0
	s_mov_b32 s4, exec_lo
	ds_read_b128 v[17:20], v29 offset:688
	s_clause 0x2
	buffer_load_dword v145, off, s[0:3], 0 offset:348
	buffer_load_dword v149, off, s[0:3], 0 offset:324
	buffer_load_dword v148, off, s[0:3], 0 offset:320
	ds_read_b128 v[21:24], v29 offset:704
	s_clause 0x4
	buffer_load_dword v153, off, s[0:3], 0 offset:364
	buffer_load_dword v154, off, s[0:3], 0 offset:376
	;; [unrolled: 1-line block ×5, first 2 shown]
	ds_read_b128 v[25:28], v29 offset:720
	s_clause 0x2
	buffer_load_dword v155, off, s[0:3], 0 offset:380
	buffer_load_dword v160, off, s[0:3], 0 offset:356
	buffer_load_dword v159, off, s[0:3], 0 offset:352
	s_waitcnt vmcnt(62) lgkmcnt(2)
	v_mul_f64 v[150:151], v[19:20], v[9:10]
	v_mul_f64 v[9:10], v[17:18], v[9:10]
	s_waitcnt lgkmcnt(1)
	v_mul_f64 v[157:158], v[23:24], v[5:6]
	s_waitcnt vmcnt(59) lgkmcnt(0)
	v_mul_f64 v[161:162], v[27:28], v[3:4]
	v_fma_f64 v[17:18], v[17:18], v[7:8], -v[150:151]
	v_mul_f64 v[150:151], v[21:22], v[5:6]
	v_fma_f64 v[9:10], v[19:20], v[7:8], v[9:10]
	s_waitcnt vmcnt(57)
	v_fma_f64 v[21:22], v[21:22], v[1:2], -v[157:158]
	ds_read_b128 v[5:8], v29 offset:736
	v_mul_f64 v[19:20], v[25:26], v[3:4]
	s_waitcnt vmcnt(51)
	v_fma_f64 v[25:26], v[25:26], v[32:33], -v[161:162]
	v_add_f64 v[17:18], v[17:18], 0
	v_fma_f64 v[23:24], v[23:24], v[1:2], v[150:151]
	v_add_f64 v[9:10], v[9:10], 0
	s_clause 0x4
	buffer_load_dword v151, off, s[0:3], 0 offset:396
	buffer_load_dword v163, off, s[0:3], 0 offset:408
	;; [unrolled: 1-line block ×5, first 2 shown]
	s_waitcnt lgkmcnt(0)
	v_mul_f64 v[166:167], v[5:6], v[13:14]
	v_mul_f64 v[13:14], v[7:8], v[13:14]
	ds_read_b128 v[1:4], v29 offset:752
	v_fma_f64 v[27:28], v[27:28], v[32:33], v[19:20]
	v_add_f64 v[21:22], v[17:18], v[21:22]
	v_add_f64 v[9:10], v[9:10], v[23:24]
	s_clause 0x2
	buffer_load_dword v164, off, s[0:3], 0 offset:412
	buffer_load_dword v24, off, s[0:3], 0 offset:388
	;; [unrolled: 1-line block ×3, first 2 shown]
	s_waitcnt vmcnt(58) lgkmcnt(0)
	v_mul_f64 v[32:33], v[1:2], v[30:31]
	v_mul_f64 v[30:31], v[3:4], v[30:31]
	s_waitcnt vmcnt(56)
	v_fma_f64 v[13:14], v[5:6], v[34:35], -v[13:14]
	ds_read_b128 v[17:20], v29 offset:768
	v_add_f64 v[21:22], v[21:22], v[25:26]
	v_fma_f64 v[25:26], v[7:8], v[34:35], v[166:167]
	v_add_f64 v[9:10], v[9:10], v[27:28]
	s_clause 0x4
	buffer_load_dword v28, off, s[0:3], 0 offset:428
	buffer_load_dword v34, off, s[0:3], 0 offset:440
	;; [unrolled: 1-line block ×5, first 2 shown]
	ds_read_b128 v[5:8], v29 offset:784
	s_waitcnt vmcnt(57) lgkmcnt(1)
	v_mul_f64 v[167:168], v[17:18], v[36:37]
	v_mul_f64 v[36:37], v[19:20], v[36:37]
	s_waitcnt vmcnt(56)
	v_fma_f64 v[30:31], v[1:2], v[11:12], -v[30:31]
	v_fma_f64 v[11:12], v[3:4], v[11:12], v[32:33]
	v_add_f64 v[13:14], v[21:22], v[13:14]
	s_clause 0x2
	buffer_load_dword v35, off, s[0:3], 0 offset:444
	buffer_load_dword v22, off, s[0:3], 0 offset:420
	;; [unrolled: 1-line block ×3, first 2 shown]
	v_add_f64 v[9:10], v[9:10], v[25:26]
	s_waitcnt vmcnt(58) lgkmcnt(0)
	v_mul_f64 v[32:33], v[7:8], v[38:39]
	ds_read_b128 v[1:4], v29 offset:800
	v_mul_f64 v[25:26], v[5:6], v[38:39]
	s_waitcnt vmcnt(56)
	v_fma_f64 v[17:18], v[17:18], v[40:41], -v[36:37]
	v_fma_f64 v[19:20], v[19:20], v[40:41], v[167:168]
	s_clause 0x4
	buffer_load_dword v37, off, s[0:3], 0 offset:460
	buffer_load_dword v38, off, s[0:3], 0 offset:472
	;; [unrolled: 1-line block ×5, first 2 shown]
	v_add_f64 v[13:14], v[13:14], v[30:31]
	v_add_f64 v[30:31], v[9:10], v[11:12]
	s_waitcnt vmcnt(57) lgkmcnt(0)
	v_mul_f64 v[167:168], v[1:2], v[42:43]
	v_mul_f64 v[41:42], v[3:4], v[42:43]
	s_waitcnt vmcnt(56)
	v_fma_f64 v[32:33], v[5:6], v[15:16], -v[32:33]
	ds_read_b128 v[9:12], v29 offset:816
	v_fma_f64 v[15:16], v[7:8], v[15:16], v[25:26]
	v_add_f64 v[13:14], v[13:14], v[17:18]
	v_add_f64 v[17:18], v[30:31], v[19:20]
	s_clause 0x2
	buffer_load_dword v39, off, s[0:3], 0 offset:476
	buffer_load_dword v20, off, s[0:3], 0 offset:452
	;; [unrolled: 1-line block ×3, first 2 shown]
	s_waitcnt vmcnt(58) lgkmcnt(0)
	v_mul_f64 v[30:31], v[11:12], v[119:120]
	s_waitcnt vmcnt(56)
	v_fma_f64 v[42:43], v[1:2], v[123:124], -v[41:42]
	ds_read_b128 v[5:8], v29 offset:832
	v_mul_f64 v[25:26], v[9:10], v[119:120]
	v_add_f64 v[13:14], v[13:14], v[32:33]
	v_fma_f64 v[32:33], v[3:4], v[123:124], v[167:168]
	v_add_f64 v[15:16], v[17:18], v[15:16]
	s_clause 0x4
	buffer_load_dword v18, off, s[0:3], 0 offset:492
	buffer_load_dword v119, off, s[0:3], 0 offset:504
	buffer_load_dword v123, off, s[0:3], 0 offset:496
	buffer_load_dword v17, off, s[0:3], 0 offset:488
	buffer_load_dword v41, off, s[0:3], 0 offset:468
	s_waitcnt vmcnt(57) lgkmcnt(0)
	v_mul_f64 v[167:168], v[5:6], v[125:126]
	v_mul_f64 v[124:125], v[7:8], v[125:126]
	s_waitcnt vmcnt(56)
	v_fma_f64 v[30:31], v[9:10], v[121:122], -v[30:31]
	ds_read_b128 v[1:4], v29 offset:848
	v_fma_f64 v[25:26], v[11:12], v[121:122], v[25:26]
	v_add_f64 v[13:14], v[13:14], v[42:43]
	v_add_f64 v[15:16], v[15:16], v[32:33]
	s_clause 0x2
	buffer_load_dword v120, off, s[0:3], 0 offset:508
	buffer_load_dword v33, off, s[0:3], 0 offset:484
	buffer_load_dword v32, off, s[0:3], 0 offset:480
	ds_read_b128 v[9:12], v29 offset:864
	s_waitcnt vmcnt(58) lgkmcnt(1)
	v_mul_f64 v[121:122], v[3:4], v[127:128]
	s_waitcnt vmcnt(56)
	v_fma_f64 v[125:126], v[5:6], v[131:132], -v[124:125]
	v_mul_f64 v[42:43], v[1:2], v[127:128]
	v_add_f64 v[13:14], v[13:14], v[30:31]
	v_fma_f64 v[30:31], v[7:8], v[131:132], v[167:168]
	v_add_f64 v[15:16], v[15:16], v[25:26]
	s_clause 0x4
	buffer_load_dword v26, off, s[0:3], 0 offset:524
	buffer_load_dword v127, off, s[0:3], 0 offset:536
	buffer_load_dword v131, off, s[0:3], 0 offset:528
	buffer_load_dword v25, off, s[0:3], 0 offset:520
	buffer_load_dword v124, off, s[0:3], 0 offset:500
	s_waitcnt vmcnt(57) lgkmcnt(0)
	v_mul_f64 v[167:168], v[9:10], v[134:135]
	v_mul_f64 v[134:135], v[11:12], v[134:135]
	s_waitcnt vmcnt(56)
	v_fma_f64 v[121:122], v[1:2], v[129:130], -v[121:122]
	ds_read_b128 v[5:8], v29 offset:880
	v_fma_f64 v[42:43], v[3:4], v[129:130], v[42:43]
	v_add_f64 v[13:14], v[13:14], v[125:126]
	v_add_f64 v[15:16], v[15:16], v[30:31]
	s_clause 0x2
	buffer_load_dword v128, off, s[0:3], 0 offset:540
	buffer_load_dword v31, off, s[0:3], 0 offset:516
	buffer_load_dword v30, off, s[0:3], 0 offset:512
	ds_read_b128 v[1:4], v29 offset:896
	s_waitcnt vmcnt(58) lgkmcnt(1)
	v_mul_f64 v[129:130], v[7:8], v[136:137]
	s_waitcnt vmcnt(56)
	v_fma_f64 v[134:135], v[9:10], v[140:141], -v[134:135]
	;; [unrolled: 28-line block ×4, first 2 shown]
	v_mul_f64 v[142:143], v[1:2], v[154:155]
	buffer_load_dword v149, off, s[0:3], 0 offset:596
	v_add_f64 v[13:14], v[13:14], v[138:139]
	v_fma_f64 v[138:139], v[7:8], v[159:160], v[167:168]
	v_add_f64 v[15:16], v[15:16], v[134:135]
	ds_read_b128 v[5:8], v29 offset:976
	s_waitcnt vmcnt(53) lgkmcnt(1)
	v_mul_f64 v[134:135], v[9:10], v[150:151]
	v_mul_f64 v[150:151], v[11:12], v[150:151]
	s_waitcnt vmcnt(52)
	v_fma_f64 v[146:147], v[1:2], v[156:157], -v[146:147]
	v_fma_f64 v[142:143], v[3:4], v[156:157], v[142:143]
	ds_read_b128 v[1:4], v29 offset:992
	v_add_f64 v[13:14], v[13:14], v[152:153]
	v_add_f64 v[15:16], v[15:16], v[138:139]
	s_waitcnt vmcnt(51) lgkmcnt(1)
	v_mul_f64 v[152:153], v[7:8], v[163:164]
	v_mul_f64 v[138:139], v[5:6], v[163:164]
	s_waitcnt vmcnt(49)
	v_fma_f64 v[150:151], v[9:10], v[23:24], -v[150:151]
	v_fma_f64 v[23:24], v[11:12], v[23:24], v[134:135]
	v_add_f64 v[13:14], v[13:14], v[146:147]
	v_add_f64 v[15:16], v[15:16], v[142:143]
	s_clause 0x3
	buffer_load_dword v134, off, s[0:3], 0 offset:96
	buffer_load_dword v135, off, s[0:3], 0 offset:100
	;; [unrolled: 1-line block ×4, first 2 shown]
	ds_read_b128 v[9:12], v29 offset:1008
	s_waitcnt vmcnt(49) lgkmcnt(1)
	v_mul_f64 v[146:147], v[1:2], v[27:28]
	v_mul_f64 v[27:28], v[3:4], v[27:28]
	s_waitcnt vmcnt(48)
	v_fma_f64 v[152:153], v[5:6], v[165:166], -v[152:153]
	v_fma_f64 v[138:139], v[7:8], v[165:166], v[138:139]
	ds_read_b128 v[5:8], v29 offset:1024
	v_add_f64 v[13:14], v[13:14], v[150:151]
	v_add_f64 v[15:16], v[15:16], v[23:24]
	s_waitcnt vmcnt(47) lgkmcnt(1)
	v_mul_f64 v[23:24], v[9:10], v[34:35]
	v_mul_f64 v[34:35], v[11:12], v[34:35]
	s_waitcnt vmcnt(45)
	v_fma_f64 v[27:28], v[1:2], v[21:22], -v[27:28]
	v_fma_f64 v[21:22], v[3:4], v[21:22], v[146:147]
	ds_read_b128 v[1:4], v29 offset:1040
	v_add_f64 v[13:14], v[13:14], v[152:153]
	v_add_f64 v[15:16], v[15:16], v[138:139]
	s_waitcnt vmcnt(41) lgkmcnt(1)
	v_mul_f64 v[138:139], v[5:6], v[36:37]
	v_mul_f64 v[36:37], v[7:8], v[36:37]
	s_waitcnt vmcnt(40)
	v_fma_f64 v[23:24], v[11:12], v[161:162], v[23:24]
	v_fma_f64 v[34:35], v[9:10], v[161:162], -v[34:35]
	ds_read_b128 v[9:12], v29 offset:1056
	v_add_f64 v[13:14], v[13:14], v[27:28]
	v_add_f64 v[15:16], v[15:16], v[21:22]
	s_waitcnt vmcnt(39) lgkmcnt(1)
	v_mul_f64 v[27:28], v[3:4], v[38:39]
	v_mul_f64 v[21:22], v[1:2], v[38:39]
	s_waitcnt vmcnt(37)
	v_fma_f64 v[36:37], v[5:6], v[19:20], -v[36:37]
	v_fma_f64 v[19:20], v[7:8], v[19:20], v[138:139]
	ds_read_b128 v[5:8], v29 offset:1072
	v_add_f64 v[13:14], v[13:14], v[34:35]
	v_add_f64 v[15:16], v[15:16], v[23:24]
	s_waitcnt vmcnt(33) lgkmcnt(1)
	v_mul_f64 v[23:24], v[9:10], v[17:18]
	v_mul_f64 v[17:18], v[11:12], v[17:18]
	s_waitcnt vmcnt(32)
	v_fma_f64 v[27:28], v[1:2], v[40:41], -v[27:28]
	v_fma_f64 v[21:22], v[3:4], v[40:41], v[21:22]
	;; [unrolled: 9-line block ×3, first 2 shown]
	ds_read_b128 v[9:12], v29 offset:1104
	v_add_f64 v[13:14], v[13:14], v[27:28]
	v_add_f64 v[15:16], v[15:16], v[21:22]
	s_waitcnt vmcnt(25) lgkmcnt(1)
	v_mul_f64 v[21:22], v[1:2], v[25:26]
	v_mul_f64 v[25:26], v[3:4], v[25:26]
	s_waitcnt vmcnt(24)
	v_fma_f64 v[27:28], v[5:6], v[123:124], -v[34:35]
	v_add_f64 v[13:14], v[13:14], v[17:18]
	v_fma_f64 v[17:18], v[7:8], v[123:124], v[19:20]
	v_add_f64 v[15:16], v[15:16], v[23:24]
	ds_read_b128 v[5:8], v29 offset:1120
	s_waitcnt vmcnt(23) lgkmcnt(1)
	v_mul_f64 v[23:24], v[11:12], v[127:128]
	v_mul_f64 v[19:20], v[9:10], v[127:128]
	s_waitcnt vmcnt(21)
	v_fma_f64 v[25:26], v[1:2], v[30:31], -v[25:26]
	v_fma_f64 v[21:22], v[3:4], v[30:31], v[21:22]
	ds_read_b128 v[1:4], v29 offset:1136
	v_add_f64 v[13:14], v[13:14], v[27:28]
	v_add_f64 v[15:16], v[15:16], v[17:18]
	s_waitcnt vmcnt(17) lgkmcnt(1)
	v_mul_f64 v[27:28], v[7:8], v[42:43]
	s_waitcnt vmcnt(16)
	v_fma_f64 v[23:24], v[9:10], v[131:132], -v[23:24]
	v_mul_f64 v[17:18], v[5:6], v[42:43]
	v_fma_f64 v[19:20], v[11:12], v[131:132], v[19:20]
	ds_read_b128 v[9:12], v29 offset:1152
	v_add_f64 v[13:14], v[13:14], v[25:26]
	v_add_f64 v[15:16], v[15:16], v[21:22]
	s_waitcnt vmcnt(15) lgkmcnt(1)
	v_mul_f64 v[25:26], v[3:4], v[136:137]
	v_mul_f64 v[21:22], v[1:2], v[136:137]
	s_waitcnt vmcnt(13)
	v_fma_f64 v[27:28], v[5:6], v[121:122], -v[27:28]
	v_fma_f64 v[17:18], v[7:8], v[121:122], v[17:18]
	ds_read_b128 v[5:8], v29 offset:1168
	v_add_f64 v[13:14], v[13:14], v[23:24]
	v_add_f64 v[15:16], v[15:16], v[19:20]
	s_waitcnt vmcnt(9) lgkmcnt(1)
	v_mul_f64 v[23:24], v[11:12], v[125:126]
	s_waitcnt vmcnt(8)
	v_fma_f64 v[1:2], v[1:2], v[140:141], -v[25:26]
	v_mul_f64 v[19:20], v[9:10], v[125:126]
	v_fma_f64 v[3:4], v[3:4], v[140:141], v[21:22]
	v_add_f64 v[13:14], v[13:14], v[27:28]
	v_add_f64 v[15:16], v[15:16], v[17:18]
	s_waitcnt vmcnt(7) lgkmcnt(0)
	v_mul_f64 v[21:22], v[7:8], v[144:145]
	v_mul_f64 v[17:18], v[5:6], v[144:145]
	s_waitcnt vmcnt(5)
	v_fma_f64 v[9:10], v[9:10], v[129:130], -v[23:24]
	v_fma_f64 v[11:12], v[11:12], v[129:130], v[19:20]
	v_add_f64 v[1:2], v[13:14], v[1:2]
	v_add_f64 v[3:4], v[15:16], v[3:4]
	s_waitcnt vmcnt(4)
	v_fma_f64 v[5:6], v[5:6], v[148:149], -v[21:22]
	v_fma_f64 v[7:8], v[7:8], v[148:149], v[17:18]
	v_add_f64 v[1:2], v[1:2], v[9:10]
	v_add_f64 v[3:4], v[3:4], v[11:12]
	;; [unrolled: 1-line block ×4, first 2 shown]
	s_waitcnt vmcnt(2)
	v_add_f64 v[1:2], v[134:135], -v[1:2]
	s_waitcnt vmcnt(0)
	v_add_f64 v[3:4], v[142:143], -v[3:4]
	buffer_store_dword v2, off, s[0:3], 0 offset:100
	buffer_store_dword v1, off, s[0:3], 0 offset:96
	;; [unrolled: 1-line block ×4, first 2 shown]
	v_cmpx_lt_u32_e32 4, v0
	s_cbranch_execz .LBB36_227
; %bb.226:
	v_mov_b32_e32 v4, s45
	s_clause 0x3
	buffer_load_dword v1, v4, s[0:3], 0 offen
	buffer_load_dword v2, v4, s[0:3], 0 offen offset:4
	buffer_load_dword v3, v4, s[0:3], 0 offen offset:8
	;; [unrolled: 1-line block ×3, first 2 shown]
	buffer_store_dword v29, off, s[0:3], 0 offset:80
	buffer_store_dword v29, off, s[0:3], 0 offset:84
	;; [unrolled: 1-line block ×4, first 2 shown]
	s_waitcnt vmcnt(0)
	ds_write_b128 v133, v[1:4]
.LBB36_227:
	s_or_b32 exec_lo, exec_lo, s4
	s_waitcnt lgkmcnt(0)
	s_waitcnt_vscnt null, 0x0
	s_barrier
	buffer_gl0_inv
	s_clause 0x37
	buffer_load_dword v9, off, s[0:3], 0 offset:104
	buffer_load_dword v10, off, s[0:3], 0 offset:108
	;; [unrolled: 1-line block ×56, first 2 shown]
	ds_read_b128 v[30:33], v29 offset:672
	s_clause 0x2
	buffer_load_dword v145, off, s[0:3], 0 offset:332
	buffer_load_dword v149, off, s[0:3], 0 offset:308
	;; [unrolled: 1-line block ×3, first 2 shown]
	ds_read_b128 v[34:37], v29 offset:688
	s_clause 0x4
	buffer_load_dword v153, off, s[0:3], 0 offset:348
	buffer_load_dword v154, off, s[0:3], 0 offset:360
	;; [unrolled: 1-line block ×5, first 2 shown]
	ds_read_b128 v[38:41], v29 offset:704
	s_clause 0x2
	buffer_load_dword v155, off, s[0:3], 0 offset:364
	buffer_load_dword v160, off, s[0:3], 0 offset:340
	;; [unrolled: 1-line block ×3, first 2 shown]
	s_mov_b32 s4, exec_lo
	s_waitcnt vmcnt(62) lgkmcnt(2)
	v_mul_f64 v[150:151], v[32:33], v[9:10]
	v_mul_f64 v[9:10], v[30:31], v[9:10]
	s_waitcnt lgkmcnt(1)
	v_mul_f64 v[157:158], v[36:37], v[5:6]
	s_waitcnt vmcnt(59) lgkmcnt(0)
	v_mul_f64 v[161:162], v[40:41], v[3:4]
	v_fma_f64 v[30:31], v[30:31], v[7:8], -v[150:151]
	v_mul_f64 v[150:151], v[34:35], v[5:6]
	v_fma_f64 v[9:10], v[32:33], v[7:8], v[9:10]
	s_waitcnt vmcnt(57)
	v_fma_f64 v[34:35], v[34:35], v[1:2], -v[157:158]
	ds_read_b128 v[5:8], v29 offset:720
	v_mul_f64 v[32:33], v[38:39], v[3:4]
	s_waitcnt vmcnt(51)
	v_fma_f64 v[38:39], v[38:39], v[25:26], -v[161:162]
	v_add_f64 v[30:31], v[30:31], 0
	v_fma_f64 v[36:37], v[36:37], v[1:2], v[150:151]
	v_add_f64 v[9:10], v[9:10], 0
	s_clause 0x4
	buffer_load_dword v151, off, s[0:3], 0 offset:380
	buffer_load_dword v163, off, s[0:3], 0 offset:392
	;; [unrolled: 1-line block ×5, first 2 shown]
	s_waitcnt lgkmcnt(0)
	v_mul_f64 v[166:167], v[5:6], v[13:14]
	v_mul_f64 v[13:14], v[7:8], v[13:14]
	ds_read_b128 v[1:4], v29 offset:736
	v_fma_f64 v[25:26], v[40:41], v[25:26], v[32:33]
	v_add_f64 v[34:35], v[30:31], v[34:35]
	v_add_f64 v[9:10], v[9:10], v[36:37]
	s_clause 0x2
	buffer_load_dword v164, off, s[0:3], 0 offset:396
	buffer_load_dword v37, off, s[0:3], 0 offset:372
	;; [unrolled: 1-line block ×3, first 2 shown]
	s_waitcnt vmcnt(58) lgkmcnt(0)
	v_mul_f64 v[40:41], v[1:2], v[17:18]
	v_mul_f64 v[17:18], v[3:4], v[17:18]
	s_waitcnt vmcnt(56)
	v_fma_f64 v[13:14], v[5:6], v[19:20], -v[13:14]
	ds_read_b128 v[30:33], v29 offset:752
	v_fma_f64 v[19:20], v[7:8], v[19:20], v[166:167]
	v_add_f64 v[34:35], v[34:35], v[38:39]
	v_add_f64 v[9:10], v[9:10], v[25:26]
	s_clause 0x4
	buffer_load_dword v26, off, s[0:3], 0 offset:412
	buffer_load_dword v38, off, s[0:3], 0 offset:424
	;; [unrolled: 1-line block ×5, first 2 shown]
	ds_read_b128 v[5:8], v29 offset:768
	s_waitcnt vmcnt(57) lgkmcnt(1)
	v_mul_f64 v[167:168], v[30:31], v[21:22]
	v_mul_f64 v[21:22], v[32:33], v[21:22]
	s_waitcnt vmcnt(56)
	v_fma_f64 v[17:18], v[1:2], v[11:12], -v[17:18]
	v_fma_f64 v[11:12], v[3:4], v[11:12], v[40:41]
	v_add_f64 v[13:14], v[34:35], v[13:14]
	v_add_f64 v[9:10], v[9:10], v[19:20]
	s_clause 0x2
	buffer_load_dword v39, off, s[0:3], 0 offset:428
	buffer_load_dword v20, off, s[0:3], 0 offset:404
	;; [unrolled: 1-line block ×3, first 2 shown]
	s_waitcnt vmcnt(58) lgkmcnt(0)
	v_mul_f64 v[34:35], v[5:6], v[27:28]
	v_mul_f64 v[27:28], v[7:8], v[27:28]
	s_waitcnt vmcnt(56)
	v_fma_f64 v[21:22], v[30:31], v[42:43], -v[21:22]
	ds_read_b128 v[1:4], v29 offset:784
	v_add_f64 v[13:14], v[13:14], v[17:18]
	v_fma_f64 v[17:18], v[32:33], v[42:43], v[167:168]
	v_add_f64 v[30:31], v[9:10], v[11:12]
	s_clause 0x4
	buffer_load_dword v33, off, s[0:3], 0 offset:444
	buffer_load_dword v40, off, s[0:3], 0 offset:456
	;; [unrolled: 1-line block ×5, first 2 shown]
	ds_read_b128 v[9:12], v29 offset:800
	s_waitcnt vmcnt(57) lgkmcnt(1)
	v_mul_f64 v[43:44], v[1:2], v[119:120]
	v_mul_f64 v[119:120], v[3:4], v[119:120]
	s_waitcnt vmcnt(56)
	v_fma_f64 v[27:28], v[5:6], v[15:16], -v[27:28]
	v_fma_f64 v[15:16], v[7:8], v[15:16], v[34:35]
	v_add_f64 v[13:14], v[13:14], v[21:22]
	s_clause 0x2
	buffer_load_dword v41, off, s[0:3], 0 offset:460
	buffer_load_dword v22, off, s[0:3], 0 offset:436
	;; [unrolled: 1-line block ×3, first 2 shown]
	v_add_f64 v[17:18], v[30:31], v[17:18]
	s_waitcnt vmcnt(58) lgkmcnt(0)
	v_mul_f64 v[34:35], v[11:12], v[121:122]
	ds_read_b128 v[5:8], v29 offset:816
	v_mul_f64 v[30:31], v[9:10], v[121:122]
	s_waitcnt vmcnt(56)
	v_fma_f64 v[119:120], v[1:2], v[123:124], -v[119:120]
	v_add_f64 v[13:14], v[13:14], v[27:28]
	v_fma_f64 v[27:28], v[3:4], v[123:124], v[43:44]
	v_add_f64 v[15:16], v[17:18], v[15:16]
	s_clause 0x4
	buffer_load_dword v18, off, s[0:3], 0 offset:476
	buffer_load_dword v121, off, s[0:3], 0 offset:488
	buffer_load_dword v123, off, s[0:3], 0 offset:480
	buffer_load_dword v17, off, s[0:3], 0 offset:472
	buffer_load_dword v43, off, s[0:3], 0 offset:452
	s_waitcnt vmcnt(57) lgkmcnt(0)
	v_mul_f64 v[167:168], v[5:6], v[125:126]
	v_mul_f64 v[124:125], v[7:8], v[125:126]
	s_waitcnt vmcnt(56)
	v_fma_f64 v[34:35], v[9:10], v[23:24], -v[34:35]
	ds_read_b128 v[1:4], v29 offset:832
	v_fma_f64 v[23:24], v[11:12], v[23:24], v[30:31]
	v_add_f64 v[13:14], v[13:14], v[119:120]
	v_add_f64 v[15:16], v[15:16], v[27:28]
	s_clause 0x2
	buffer_load_dword v122, off, s[0:3], 0 offset:492
	buffer_load_dword v28, off, s[0:3], 0 offset:468
	buffer_load_dword v27, off, s[0:3], 0 offset:464
	ds_read_b128 v[9:12], v29 offset:848
	s_waitcnt vmcnt(58) lgkmcnt(1)
	v_mul_f64 v[119:120], v[3:4], v[127:128]
	s_waitcnt vmcnt(56)
	v_fma_f64 v[125:126], v[5:6], v[131:132], -v[124:125]
	v_mul_f64 v[30:31], v[1:2], v[127:128]
	v_add_f64 v[13:14], v[13:14], v[34:35]
	v_fma_f64 v[34:35], v[7:8], v[131:132], v[167:168]
	v_add_f64 v[15:16], v[15:16], v[23:24]
	s_clause 0x4
	buffer_load_dword v24, off, s[0:3], 0 offset:508
	buffer_load_dword v127, off, s[0:3], 0 offset:520
	buffer_load_dword v131, off, s[0:3], 0 offset:512
	buffer_load_dword v23, off, s[0:3], 0 offset:504
	buffer_load_dword v124, off, s[0:3], 0 offset:484
	s_waitcnt vmcnt(57) lgkmcnt(0)
	v_mul_f64 v[167:168], v[9:10], v[134:135]
	v_mul_f64 v[134:135], v[11:12], v[134:135]
	s_waitcnt vmcnt(56)
	v_fma_f64 v[119:120], v[1:2], v[129:130], -v[119:120]
	ds_read_b128 v[5:8], v29 offset:864
	v_fma_f64 v[30:31], v[3:4], v[129:130], v[30:31]
	v_add_f64 v[13:14], v[13:14], v[125:126]
	v_add_f64 v[15:16], v[15:16], v[34:35]
	s_clause 0x2
	buffer_load_dword v128, off, s[0:3], 0 offset:524
	buffer_load_dword v35, off, s[0:3], 0 offset:500
	buffer_load_dword v34, off, s[0:3], 0 offset:496
	ds_read_b128 v[1:4], v29 offset:880
	s_waitcnt vmcnt(58) lgkmcnt(1)
	v_mul_f64 v[129:130], v[7:8], v[136:137]
	s_waitcnt vmcnt(56)
	v_fma_f64 v[134:135], v[9:10], v[140:141], -v[134:135]
	v_mul_f64 v[125:126], v[5:6], v[136:137]
	;; [unrolled: 28-line block ×4, first 2 shown]
	v_add_f64 v[13:14], v[13:14], v[138:139]
	v_fma_f64 v[138:139], v[7:8], v[159:160], v[167:168]
	v_add_f64 v[15:16], v[15:16], v[134:135]
	s_clause 0x2
	buffer_load_dword v135, off, s[0:3], 0 offset:604
	buffer_load_dword v134, off, s[0:3], 0 offset:600
	buffer_load_dword v149, off, s[0:3], 0 offset:580
	ds_read_b128 v[5:8], v29 offset:960
	s_waitcnt vmcnt(55) lgkmcnt(1)
	v_mul_f64 v[154:155], v[9:10], v[150:151]
	v_mul_f64 v[150:151], v[11:12], v[150:151]
	s_waitcnt vmcnt(54)
	v_fma_f64 v[146:147], v[1:2], v[156:157], -v[146:147]
	v_fma_f64 v[142:143], v[3:4], v[156:157], v[142:143]
	v_add_f64 v[13:14], v[13:14], v[152:153]
	v_add_f64 v[15:16], v[15:16], v[138:139]
	s_clause 0x1
	buffer_load_dword v139, off, s[0:3], 0 offset:596
	buffer_load_dword v138, off, s[0:3], 0 offset:592
	ds_read_b128 v[1:4], v29 offset:976
	s_waitcnt vmcnt(55) lgkmcnt(1)
	v_mul_f64 v[156:157], v[7:8], v[163:164]
	v_mul_f64 v[152:153], v[5:6], v[163:164]
	s_waitcnt vmcnt(53)
	v_fma_f64 v[150:151], v[9:10], v[36:37], -v[150:151]
	v_fma_f64 v[36:37], v[11:12], v[36:37], v[154:155]
	ds_read_b128 v[9:12], v29 offset:992
	v_add_f64 v[13:14], v[13:14], v[146:147]
	v_add_f64 v[15:16], v[15:16], v[142:143]
	s_waitcnt vmcnt(49) lgkmcnt(1)
	v_mul_f64 v[142:143], v[1:2], v[25:26]
	v_mul_f64 v[25:26], v[3:4], v[25:26]
	s_waitcnt vmcnt(48)
	v_fma_f64 v[146:147], v[5:6], v[165:166], -v[156:157]
	v_add_f64 v[13:14], v[13:14], v[150:151]
	v_fma_f64 v[150:151], v[7:8], v[165:166], v[152:153]
	v_add_f64 v[15:16], v[15:16], v[36:37]
	s_clause 0x3
	buffer_load_dword v36, off, s[0:3], 0 offset:80
	buffer_load_dword v37, off, s[0:3], 0 offset:84
	;; [unrolled: 1-line block ×4, first 2 shown]
	ds_read_b128 v[5:8], v29 offset:1008
	s_waitcnt vmcnt(51) lgkmcnt(1)
	v_mul_f64 v[154:155], v[9:10], v[38:39]
	v_mul_f64 v[38:39], v[11:12], v[38:39]
	s_waitcnt vmcnt(49)
	v_fma_f64 v[25:26], v[1:2], v[19:20], -v[25:26]
	v_fma_f64 v[19:20], v[3:4], v[19:20], v[142:143]
	ds_read_b128 v[1:4], v29 offset:1024
	v_add_f64 v[13:14], v[13:14], v[146:147]
	v_add_f64 v[15:16], v[15:16], v[150:151]
	s_waitcnt vmcnt(45) lgkmcnt(1)
	v_mul_f64 v[142:143], v[5:6], v[32:33]
	v_mul_f64 v[32:33], v[7:8], v[32:33]
	s_waitcnt vmcnt(44)
	v_fma_f64 v[38:39], v[9:10], v[161:162], -v[38:39]
	v_add_f64 v[13:14], v[13:14], v[25:26]
	v_fma_f64 v[25:26], v[11:12], v[161:162], v[154:155]
	v_add_f64 v[15:16], v[15:16], v[19:20]
	ds_read_b128 v[9:12], v29 offset:1040
	s_waitcnt vmcnt(43) lgkmcnt(1)
	v_mul_f64 v[19:20], v[1:2], v[40:41]
	v_mul_f64 v[40:41], v[3:4], v[40:41]
	s_waitcnt vmcnt(41)
	v_fma_f64 v[32:33], v[5:6], v[21:22], -v[32:33]
	v_fma_f64 v[21:22], v[7:8], v[21:22], v[142:143]
	ds_read_b128 v[5:8], v29 offset:1056
	v_add_f64 v[13:14], v[13:14], v[38:39]
	v_add_f64 v[15:16], v[15:16], v[25:26]
	s_waitcnt vmcnt(37) lgkmcnt(1)
	v_mul_f64 v[25:26], v[9:10], v[17:18]
	v_mul_f64 v[17:18], v[11:12], v[17:18]
	s_waitcnt vmcnt(36)
	v_fma_f64 v[38:39], v[1:2], v[42:43], -v[40:41]
	v_fma_f64 v[19:20], v[3:4], v[42:43], v[19:20]
	ds_read_b128 v[1:4], v29 offset:1072
	v_add_f64 v[13:14], v[13:14], v[32:33]
	v_add_f64 v[15:16], v[15:16], v[21:22]
	;; [unrolled: 9-line block ×3, first 2 shown]
	s_waitcnt vmcnt(29) lgkmcnt(1)
	v_mul_f64 v[19:20], v[1:2], v[23:24]
	v_mul_f64 v[23:24], v[3:4], v[23:24]
	s_waitcnt vmcnt(28)
	v_fma_f64 v[27:28], v[5:6], v[123:124], -v[32:33]
	v_add_f64 v[13:14], v[13:14], v[17:18]
	v_fma_f64 v[17:18], v[7:8], v[123:124], v[21:22]
	v_add_f64 v[15:16], v[15:16], v[25:26]
	ds_read_b128 v[5:8], v29 offset:1104
	s_waitcnt vmcnt(27) lgkmcnt(1)
	v_mul_f64 v[25:26], v[11:12], v[127:128]
	v_mul_f64 v[21:22], v[9:10], v[127:128]
	s_waitcnt vmcnt(25)
	v_fma_f64 v[23:24], v[1:2], v[34:35], -v[23:24]
	v_fma_f64 v[19:20], v[3:4], v[34:35], v[19:20]
	ds_read_b128 v[1:4], v29 offset:1120
	v_add_f64 v[13:14], v[13:14], v[27:28]
	v_add_f64 v[15:16], v[15:16], v[17:18]
	s_waitcnt vmcnt(21) lgkmcnt(1)
	v_mul_f64 v[27:28], v[7:8], v[30:31]
	s_waitcnt vmcnt(20)
	v_fma_f64 v[25:26], v[9:10], v[131:132], -v[25:26]
	v_mul_f64 v[17:18], v[5:6], v[30:31]
	v_fma_f64 v[21:22], v[11:12], v[131:132], v[21:22]
	ds_read_b128 v[9:12], v29 offset:1136
	v_add_f64 v[13:14], v[13:14], v[23:24]
	v_add_f64 v[15:16], v[15:16], v[19:20]
	s_waitcnt vmcnt(19) lgkmcnt(1)
	v_mul_f64 v[23:24], v[3:4], v[136:137]
	v_mul_f64 v[19:20], v[1:2], v[136:137]
	s_waitcnt vmcnt(17)
	v_fma_f64 v[27:28], v[5:6], v[119:120], -v[27:28]
	v_fma_f64 v[17:18], v[7:8], v[119:120], v[17:18]
	ds_read_b128 v[5:8], v29 offset:1152
	v_add_f64 v[13:14], v[13:14], v[25:26]
	v_add_f64 v[15:16], v[15:16], v[21:22]
	s_waitcnt vmcnt(13) lgkmcnt(1)
	v_mul_f64 v[25:26], v[11:12], v[125:126]
	s_waitcnt vmcnt(12)
	v_fma_f64 v[23:24], v[1:2], v[140:141], -v[23:24]
	v_mul_f64 v[21:22], v[9:10], v[125:126]
	v_fma_f64 v[19:20], v[3:4], v[140:141], v[19:20]
	ds_read_b128 v[1:4], v29 offset:1168
	v_add_f64 v[13:14], v[13:14], v[27:28]
	v_add_f64 v[15:16], v[15:16], v[17:18]
	s_waitcnt vmcnt(11) lgkmcnt(1)
	v_mul_f64 v[27:28], v[7:8], v[144:145]
	v_mul_f64 v[17:18], v[5:6], v[144:145]
	s_waitcnt vmcnt(9)
	v_fma_f64 v[9:10], v[9:10], v[129:130], -v[25:26]
	v_fma_f64 v[11:12], v[11:12], v[129:130], v[21:22]
	v_add_f64 v[13:14], v[13:14], v[23:24]
	v_add_f64 v[15:16], v[15:16], v[19:20]
	s_waitcnt vmcnt(7) lgkmcnt(0)
	v_mul_f64 v[21:22], v[3:4], v[134:135]
	s_waitcnt vmcnt(6)
	v_fma_f64 v[5:6], v[5:6], v[148:149], -v[27:28]
	v_mul_f64 v[19:20], v[1:2], v[134:135]
	v_fma_f64 v[7:8], v[7:8], v[148:149], v[17:18]
	v_add_f64 v[9:10], v[13:14], v[9:10]
	v_add_f64 v[11:12], v[15:16], v[11:12]
	s_waitcnt vmcnt(4)
	v_fma_f64 v[1:2], v[1:2], v[138:139], -v[21:22]
	v_fma_f64 v[3:4], v[3:4], v[138:139], v[19:20]
	v_add_f64 v[5:6], v[9:10], v[5:6]
	v_add_f64 v[7:8], v[11:12], v[7:8]
	;; [unrolled: 1-line block ×4, first 2 shown]
	s_waitcnt vmcnt(2)
	v_add_f64 v[1:2], v[36:37], -v[1:2]
	s_waitcnt vmcnt(0)
	v_add_f64 v[3:4], v[152:153], -v[3:4]
	buffer_store_dword v2, off, s[0:3], 0 offset:84
	buffer_store_dword v1, off, s[0:3], 0 offset:80
	;; [unrolled: 1-line block ×4, first 2 shown]
	v_cmpx_lt_u32_e32 3, v0
	s_cbranch_execz .LBB36_229
; %bb.228:
	v_mov_b32_e32 v4, s46
	v_mov_b32_e32 v5, 0
	s_clause 0x3
	buffer_load_dword v1, v4, s[0:3], 0 offen
	buffer_load_dword v2, v4, s[0:3], 0 offen offset:4
	buffer_load_dword v3, v4, s[0:3], 0 offen offset:8
	;; [unrolled: 1-line block ×3, first 2 shown]
	buffer_store_dword v5, off, s[0:3], 0 offset:64
	buffer_store_dword v5, off, s[0:3], 0 offset:68
	buffer_store_dword v5, off, s[0:3], 0 offset:72
	buffer_store_dword v5, off, s[0:3], 0 offset:76
	s_waitcnt vmcnt(0)
	ds_write_b128 v133, v[1:4]
.LBB36_229:
	s_or_b32 exec_lo, exec_lo, s4
	s_waitcnt lgkmcnt(0)
	s_waitcnt_vscnt null, 0x0
	s_barrier
	buffer_gl0_inv
	s_clause 0x37
	buffer_load_dword v9, off, s[0:3], 0 offset:88
	buffer_load_dword v10, off, s[0:3], 0 offset:92
	;; [unrolled: 1-line block ×56, first 2 shown]
	v_mov_b32_e32 v125, 0
	s_mov_b32 s4, exec_lo
	ds_read_b128 v[39:42], v125 offset:656
	s_clause 0x2
	buffer_load_dword v145, off, s[0:3], 0 offset:316
	buffer_load_dword v149, off, s[0:3], 0 offset:292
	;; [unrolled: 1-line block ×3, first 2 shown]
	ds_read_b128 v[119:122], v125 offset:672
	s_clause 0x4
	buffer_load_dword v153, off, s[0:3], 0 offset:332
	buffer_load_dword v154, off, s[0:3], 0 offset:344
	;; [unrolled: 1-line block ×5, first 2 shown]
	ds_read_b128 v[126:129], v125 offset:688
	s_clause 0x2
	buffer_load_dword v155, off, s[0:3], 0 offset:348
	buffer_load_dword v160, off, s[0:3], 0 offset:324
	;; [unrolled: 1-line block ×3, first 2 shown]
	s_waitcnt vmcnt(62) lgkmcnt(2)
	v_mul_f64 v[150:151], v[41:42], v[9:10]
	v_mul_f64 v[9:10], v[39:40], v[9:10]
	s_waitcnt lgkmcnt(1)
	v_mul_f64 v[157:158], v[121:122], v[5:6]
	s_waitcnt vmcnt(59) lgkmcnt(0)
	v_mul_f64 v[161:162], v[128:129], v[3:4]
	v_fma_f64 v[39:40], v[39:40], v[7:8], -v[150:151]
	v_mul_f64 v[150:151], v[119:120], v[5:6]
	v_fma_f64 v[9:10], v[41:42], v[7:8], v[9:10]
	s_waitcnt vmcnt(57)
	v_fma_f64 v[119:120], v[119:120], v[1:2], -v[157:158]
	ds_read_b128 v[5:8], v125 offset:704
	v_mul_f64 v[41:42], v[126:127], v[3:4]
	s_waitcnt vmcnt(51)
	v_fma_f64 v[126:127], v[126:127], v[25:26], -v[161:162]
	v_add_f64 v[39:40], v[39:40], 0
	v_fma_f64 v[121:122], v[121:122], v[1:2], v[150:151]
	v_add_f64 v[9:10], v[9:10], 0
	s_clause 0x4
	buffer_load_dword v151, off, s[0:3], 0 offset:364
	buffer_load_dword v163, off, s[0:3], 0 offset:376
	;; [unrolled: 1-line block ×5, first 2 shown]
	s_waitcnt lgkmcnt(0)
	v_mul_f64 v[166:167], v[5:6], v[13:14]
	v_mul_f64 v[13:14], v[7:8], v[13:14]
	ds_read_b128 v[1:4], v125 offset:720
	v_fma_f64 v[25:26], v[128:129], v[25:26], v[41:42]
	v_add_f64 v[119:120], v[39:40], v[119:120]
	v_add_f64 v[9:10], v[9:10], v[121:122]
	s_clause 0x2
	buffer_load_dword v164, off, s[0:3], 0 offset:380
	buffer_load_dword v122, off, s[0:3], 0 offset:356
	;; [unrolled: 1-line block ×3, first 2 shown]
	s_waitcnt vmcnt(58) lgkmcnt(0)
	v_mul_f64 v[128:129], v[1:2], v[17:18]
	v_mul_f64 v[17:18], v[3:4], v[17:18]
	s_waitcnt vmcnt(56)
	v_fma_f64 v[13:14], v[5:6], v[19:20], -v[13:14]
	ds_read_b128 v[39:42], v125 offset:736
	v_fma_f64 v[19:20], v[7:8], v[19:20], v[166:167]
	v_add_f64 v[119:120], v[119:120], v[126:127]
	v_add_f64 v[9:10], v[9:10], v[25:26]
	s_clause 0x4
	buffer_load_dword v26, off, s[0:3], 0 offset:396
	buffer_load_dword v126, off, s[0:3], 0 offset:408
	;; [unrolled: 1-line block ×5, first 2 shown]
	ds_read_b128 v[5:8], v125 offset:752
	s_waitcnt vmcnt(57) lgkmcnt(1)
	v_mul_f64 v[167:168], v[39:40], v[21:22]
	v_mul_f64 v[21:22], v[41:42], v[21:22]
	s_waitcnt vmcnt(56)
	v_fma_f64 v[17:18], v[1:2], v[11:12], -v[17:18]
	v_fma_f64 v[11:12], v[3:4], v[11:12], v[128:129]
	v_add_f64 v[13:14], v[119:120], v[13:14]
	v_add_f64 v[9:10], v[9:10], v[19:20]
	s_clause 0x2
	buffer_load_dword v127, off, s[0:3], 0 offset:412
	buffer_load_dword v20, off, s[0:3], 0 offset:388
	;; [unrolled: 1-line block ×3, first 2 shown]
	s_waitcnt vmcnt(58) lgkmcnt(0)
	v_mul_f64 v[119:120], v[5:6], v[27:28]
	v_mul_f64 v[27:28], v[7:8], v[27:28]
	s_waitcnt vmcnt(56)
	v_fma_f64 v[21:22], v[39:40], v[29:30], -v[21:22]
	ds_read_b128 v[1:4], v125 offset:768
	v_add_f64 v[13:14], v[13:14], v[17:18]
	v_fma_f64 v[17:18], v[41:42], v[29:30], v[167:168]
	v_add_f64 v[29:30], v[9:10], v[11:12]
	s_clause 0x4
	buffer_load_dword v40, off, s[0:3], 0 offset:428
	buffer_load_dword v41, off, s[0:3], 0 offset:440
	buffer_load_dword v128, off, s[0:3], 0 offset:432
	buffer_load_dword v39, off, s[0:3], 0 offset:424
	buffer_load_dword v162, off, s[0:3], 0 offset:404
	ds_read_b128 v[9:12], v125 offset:784
	s_waitcnt vmcnt(57) lgkmcnt(1)
	v_mul_f64 v[167:168], v[1:2], v[31:32]
	v_mul_f64 v[31:32], v[3:4], v[31:32]
	s_waitcnt vmcnt(56)
	v_fma_f64 v[27:28], v[5:6], v[15:16], -v[27:28]
	v_fma_f64 v[15:16], v[7:8], v[15:16], v[119:120]
	v_add_f64 v[13:14], v[13:14], v[21:22]
	s_clause 0x2
	buffer_load_dword v42, off, s[0:3], 0 offset:444
	buffer_load_dword v22, off, s[0:3], 0 offset:420
	;; [unrolled: 1-line block ×3, first 2 shown]
	v_add_f64 v[17:18], v[29:30], v[17:18]
	s_waitcnt vmcnt(58) lgkmcnt(0)
	v_mul_f64 v[29:30], v[9:10], v[35:36]
	v_mul_f64 v[35:36], v[11:12], v[35:36]
	ds_read_b128 v[5:8], v125 offset:800
	s_waitcnt vmcnt(56)
	v_fma_f64 v[31:32], v[1:2], v[37:38], -v[31:32]
	v_add_f64 v[13:14], v[13:14], v[27:28]
	v_fma_f64 v[27:28], v[3:4], v[37:38], v[167:168]
	v_add_f64 v[15:16], v[17:18], v[15:16]
	s_clause 0x4
	buffer_load_dword v18, off, s[0:3], 0 offset:460
	buffer_load_dword v37, off, s[0:3], 0 offset:472
	;; [unrolled: 1-line block ×5, first 2 shown]
	s_waitcnt vmcnt(57) lgkmcnt(0)
	v_mul_f64 v[167:168], v[5:6], v[43:44]
	v_mul_f64 v[43:44], v[7:8], v[43:44]
	s_waitcnt vmcnt(56)
	v_fma_f64 v[35:36], v[9:10], v[23:24], -v[35:36]
	ds_read_b128 v[1:4], v125 offset:816
	v_fma_f64 v[23:24], v[11:12], v[23:24], v[29:30]
	v_add_f64 v[13:14], v[13:14], v[31:32]
	v_add_f64 v[15:16], v[15:16], v[27:28]
	s_clause 0x2
	buffer_load_dword v38, off, s[0:3], 0 offset:476
	buffer_load_dword v28, off, s[0:3], 0 offset:452
	;; [unrolled: 1-line block ×3, first 2 shown]
	ds_read_b128 v[9:12], v125 offset:832
	s_waitcnt vmcnt(58) lgkmcnt(1)
	v_mul_f64 v[31:32], v[3:4], v[123:124]
	s_waitcnt vmcnt(56)
	v_fma_f64 v[43:44], v[5:6], v[130:131], -v[43:44]
	v_mul_f64 v[29:30], v[1:2], v[123:124]
	v_add_f64 v[13:14], v[13:14], v[35:36]
	v_fma_f64 v[35:36], v[7:8], v[130:131], v[167:168]
	v_add_f64 v[15:16], v[15:16], v[23:24]
	s_clause 0x4
	buffer_load_dword v24, off, s[0:3], 0 offset:492
	buffer_load_dword v123, off, s[0:3], 0 offset:504
	;; [unrolled: 1-line block ×5, first 2 shown]
	s_waitcnt vmcnt(57) lgkmcnt(0)
	v_mul_f64 v[131:132], v[9:10], v[134:135]
	v_mul_f64 v[134:135], v[11:12], v[134:135]
	s_waitcnt vmcnt(56)
	v_fma_f64 v[31:32], v[1:2], v[33:34], -v[31:32]
	ds_read_b128 v[5:8], v125 offset:848
	v_fma_f64 v[29:30], v[3:4], v[33:34], v[29:30]
	s_clause 0x2
	buffer_load_dword v124, off, s[0:3], 0 offset:508
	buffer_load_dword v34, off, s[0:3], 0 offset:484
	;; [unrolled: 1-line block ×3, first 2 shown]
	ds_read_b128 v[1:4], v125 offset:864
	v_add_f64 v[13:14], v[13:14], v[43:44]
	v_add_f64 v[15:16], v[15:16], v[35:36]
	s_waitcnt vmcnt(58) lgkmcnt(1)
	v_mul_f64 v[43:44], v[7:8], v[136:137]
	s_waitcnt vmcnt(56)
	v_fma_f64 v[134:135], v[9:10], v[140:141], -v[134:135]
	v_mul_f64 v[35:36], v[5:6], v[136:137]
	s_waitcnt vmcnt(52) lgkmcnt(0)
	v_mul_f64 v[167:168], v[1:2], v[142:143]
	v_add_f64 v[13:14], v[13:14], v[31:32]
	v_fma_f64 v[31:32], v[11:12], v[140:141], v[131:132]
	v_add_f64 v[15:16], v[15:16], v[29:30]
	s_clause 0x4
	buffer_load_dword v30, off, s[0:3], 0 offset:524
	buffer_load_dword v136, off, s[0:3], 0 offset:536
	;; [unrolled: 1-line block ×5, first 2 shown]
	v_mul_f64 v[141:142], v[3:4], v[142:143]
	s_waitcnt vmcnt(56)
	v_fma_f64 v[43:44], v[5:6], v[138:139], -v[43:44]
	ds_read_b128 v[9:12], v125 offset:880
	v_fma_f64 v[35:36], v[7:8], v[138:139], v[35:36]
	v_add_f64 v[13:14], v[13:14], v[134:135]
	v_add_f64 v[15:16], v[15:16], v[31:32]
	s_clause 0x2
	buffer_load_dword v137, off, s[0:3], 0 offset:540
	buffer_load_dword v32, off, s[0:3], 0 offset:516
	;; [unrolled: 1-line block ×3, first 2 shown]
	s_waitcnt vmcnt(58) lgkmcnt(0)
	v_mul_f64 v[138:139], v[11:12], v[144:145]
	s_waitcnt vmcnt(56)
	v_fma_f64 v[142:143], v[1:2], v[148:149], -v[141:142]
	ds_read_b128 v[5:8], v125 offset:896
	v_mul_f64 v[134:135], v[9:10], v[144:145]
	v_add_f64 v[13:14], v[13:14], v[43:44]
	v_fma_f64 v[43:44], v[3:4], v[148:149], v[167:168]
	v_add_f64 v[15:16], v[15:16], v[35:36]
	s_clause 0x4
	buffer_load_dword v36, off, s[0:3], 0 offset:556
	buffer_load_dword v144, off, s[0:3], 0 offset:568
	;; [unrolled: 1-line block ×5, first 2 shown]
	s_waitcnt vmcnt(57) lgkmcnt(0)
	v_mul_f64 v[167:168], v[5:6], v[152:153]
	v_mul_f64 v[152:153], v[7:8], v[152:153]
	s_waitcnt vmcnt(56)
	v_fma_f64 v[138:139], v[9:10], v[146:147], -v[138:139]
	ds_read_b128 v[1:4], v125 offset:912
	v_fma_f64 v[134:135], v[11:12], v[146:147], v[134:135]
	v_add_f64 v[13:14], v[13:14], v[142:143]
	v_add_f64 v[15:16], v[15:16], v[43:44]
	s_clause 0x2
	buffer_load_dword v145, off, s[0:3], 0 offset:572
	buffer_load_dword v44, off, s[0:3], 0 offset:548
	;; [unrolled: 1-line block ×3, first 2 shown]
	ds_read_b128 v[9:12], v125 offset:928
	s_waitcnt vmcnt(58) lgkmcnt(1)
	v_mul_f64 v[146:147], v[3:4], v[154:155]
	s_waitcnt vmcnt(56)
	v_fma_f64 v[152:153], v[5:6], v[159:160], -v[152:153]
	v_mul_f64 v[142:143], v[1:2], v[154:155]
	v_add_f64 v[13:14], v[13:14], v[138:139]
	v_fma_f64 v[138:139], v[7:8], v[159:160], v[167:168]
	v_add_f64 v[15:16], v[15:16], v[134:135]
	s_clause 0x4
	buffer_load_dword v135, off, s[0:3], 0 offset:588
	buffer_load_dword v154, off, s[0:3], 0 offset:600
	;; [unrolled: 1-line block ×5, first 2 shown]
	ds_read_b128 v[5:8], v125 offset:944
	s_waitcnt vmcnt(57) lgkmcnt(1)
	v_mul_f64 v[159:160], v[9:10], v[150:151]
	v_mul_f64 v[150:151], v[11:12], v[150:151]
	s_waitcnt vmcnt(56)
	v_fma_f64 v[146:147], v[1:2], v[156:157], -v[146:147]
	v_fma_f64 v[142:143], v[3:4], v[156:157], v[142:143]
	v_add_f64 v[13:14], v[13:14], v[152:153]
	v_add_f64 v[15:16], v[15:16], v[138:139]
	s_clause 0x2
	buffer_load_dword v155, off, s[0:3], 0 offset:604
	buffer_load_dword v139, off, s[0:3], 0 offset:580
	;; [unrolled: 1-line block ×3, first 2 shown]
	ds_read_b128 v[1:4], v125 offset:960
	s_waitcnt vmcnt(58) lgkmcnt(1)
	v_mul_f64 v[156:157], v[7:8], v[163:164]
	v_mul_f64 v[152:153], v[5:6], v[163:164]
	s_waitcnt vmcnt(56)
	v_fma_f64 v[150:151], v[9:10], v[121:122], -v[150:151]
	v_fma_f64 v[121:122], v[11:12], v[121:122], v[159:160]
	buffer_load_dword v159, off, s[0:3], 0 offset:596
	ds_read_b128 v[9:12], v125 offset:976
	v_add_f64 v[13:14], v[13:14], v[146:147]
	v_add_f64 v[15:16], v[15:16], v[142:143]
	s_waitcnt vmcnt(53) lgkmcnt(1)
	v_mul_f64 v[142:143], v[1:2], v[25:26]
	v_mul_f64 v[25:26], v[3:4], v[25:26]
	s_waitcnt vmcnt(52)
	v_fma_f64 v[146:147], v[5:6], v[165:166], -v[156:157]
	v_add_f64 v[13:14], v[13:14], v[150:151]
	v_fma_f64 v[150:151], v[7:8], v[165:166], v[152:153]
	v_add_f64 v[15:16], v[15:16], v[121:122]
	ds_read_b128 v[5:8], v125 offset:992
	s_waitcnt vmcnt(51) lgkmcnt(1)
	v_mul_f64 v[121:122], v[9:10], v[126:127]
	v_mul_f64 v[126:127], v[11:12], v[126:127]
	s_waitcnt vmcnt(49)
	v_fma_f64 v[25:26], v[1:2], v[19:20], -v[25:26]
	v_fma_f64 v[19:20], v[3:4], v[19:20], v[142:143]
	v_add_f64 v[13:14], v[13:14], v[146:147]
	s_clause 0x3
	buffer_load_dword v142, off, s[0:3], 0 offset:64
	buffer_load_dword v143, off, s[0:3], 0 offset:68
	;; [unrolled: 1-line block ×4, first 2 shown]
	v_add_f64 v[15:16], v[15:16], v[150:151]
	ds_read_b128 v[1:4], v125 offset:1008
	s_waitcnt vmcnt(49) lgkmcnt(1)
	v_mul_f64 v[150:151], v[5:6], v[39:40]
	v_mul_f64 v[39:40], v[7:8], v[39:40]
	s_waitcnt vmcnt(48)
	v_fma_f64 v[126:127], v[9:10], v[161:162], -v[126:127]
	v_add_f64 v[13:14], v[13:14], v[25:26]
	v_fma_f64 v[25:26], v[11:12], v[161:162], v[121:122]
	v_add_f64 v[15:16], v[15:16], v[19:20]
	ds_read_b128 v[9:12], v125 offset:1024
	s_waitcnt vmcnt(47) lgkmcnt(1)
	v_mul_f64 v[19:20], v[1:2], v[41:42]
	v_mul_f64 v[41:42], v[3:4], v[41:42]
	s_waitcnt vmcnt(45)
	v_fma_f64 v[39:40], v[5:6], v[21:22], -v[39:40]
	v_fma_f64 v[21:22], v[7:8], v[21:22], v[150:151]
	ds_read_b128 v[5:8], v125 offset:1040
	v_add_f64 v[13:14], v[13:14], v[126:127]
	v_add_f64 v[15:16], v[15:16], v[25:26]
	s_waitcnt vmcnt(41) lgkmcnt(1)
	v_mul_f64 v[25:26], v[9:10], v[17:18]
	v_mul_f64 v[17:18], v[11:12], v[17:18]
	s_waitcnt vmcnt(40)
	v_fma_f64 v[41:42], v[1:2], v[128:129], -v[41:42]
	v_fma_f64 v[19:20], v[3:4], v[128:129], v[19:20]
	ds_read_b128 v[1:4], v125 offset:1056
	v_add_f64 v[13:14], v[13:14], v[39:40]
	v_add_f64 v[15:16], v[15:16], v[21:22]
	;; [unrolled: 9-line block ×3, first 2 shown]
	s_waitcnt vmcnt(33) lgkmcnt(1)
	v_mul_f64 v[19:20], v[1:2], v[23:24]
	v_mul_f64 v[23:24], v[3:4], v[23:24]
	s_waitcnt vmcnt(32)
	v_fma_f64 v[27:28], v[5:6], v[119:120], -v[37:38]
	v_add_f64 v[13:14], v[13:14], v[17:18]
	v_fma_f64 v[17:18], v[7:8], v[119:120], v[21:22]
	v_add_f64 v[15:16], v[15:16], v[25:26]
	ds_read_b128 v[5:8], v125 offset:1088
	s_waitcnt vmcnt(31) lgkmcnt(1)
	v_mul_f64 v[25:26], v[11:12], v[123:124]
	v_mul_f64 v[21:22], v[9:10], v[123:124]
	s_waitcnt vmcnt(29)
	v_fma_f64 v[19:20], v[3:4], v[33:34], v[19:20]
	v_fma_f64 v[23:24], v[1:2], v[33:34], -v[23:24]
	ds_read_b128 v[1:4], v125 offset:1104
	v_add_f64 v[13:14], v[13:14], v[27:28]
	v_add_f64 v[15:16], v[15:16], v[17:18]
	s_waitcnt vmcnt(25) lgkmcnt(1)
	v_mul_f64 v[27:28], v[7:8], v[29:30]
	s_waitcnt vmcnt(24)
	v_fma_f64 v[25:26], v[9:10], v[130:131], -v[25:26]
	v_mul_f64 v[17:18], v[5:6], v[29:30]
	v_fma_f64 v[21:22], v[11:12], v[130:131], v[21:22]
	ds_read_b128 v[9:12], v125 offset:1120
	v_add_f64 v[13:14], v[13:14], v[23:24]
	v_add_f64 v[15:16], v[15:16], v[19:20]
	s_waitcnt vmcnt(23) lgkmcnt(1)
	v_mul_f64 v[23:24], v[3:4], v[136:137]
	v_mul_f64 v[19:20], v[1:2], v[136:137]
	s_waitcnt vmcnt(21)
	v_fma_f64 v[27:28], v[5:6], v[31:32], -v[27:28]
	v_fma_f64 v[17:18], v[7:8], v[31:32], v[17:18]
	ds_read_b128 v[5:8], v125 offset:1136
	v_add_f64 v[13:14], v[13:14], v[25:26]
	v_add_f64 v[15:16], v[15:16], v[21:22]
	s_waitcnt vmcnt(17) lgkmcnt(1)
	v_mul_f64 v[25:26], v[11:12], v[35:36]
	s_waitcnt vmcnt(16)
	v_fma_f64 v[23:24], v[1:2], v[140:141], -v[23:24]
	v_mul_f64 v[21:22], v[9:10], v[35:36]
	v_fma_f64 v[19:20], v[3:4], v[140:141], v[19:20]
	ds_read_b128 v[1:4], v125 offset:1152
	v_add_f64 v[13:14], v[13:14], v[27:28]
	v_add_f64 v[15:16], v[15:16], v[17:18]
	s_waitcnt vmcnt(15) lgkmcnt(1)
	v_mul_f64 v[27:28], v[7:8], v[144:145]
	v_mul_f64 v[17:18], v[5:6], v[144:145]
	s_waitcnt vmcnt(13)
	v_fma_f64 v[25:26], v[9:10], v[43:44], -v[25:26]
	v_fma_f64 v[21:22], v[11:12], v[43:44], v[21:22]
	ds_read_b128 v[9:12], v125 offset:1168
	v_add_f64 v[13:14], v[13:14], v[23:24]
	v_add_f64 v[15:16], v[15:16], v[19:20]
	s_waitcnt vmcnt(9) lgkmcnt(1)
	v_mul_f64 v[23:24], v[3:4], v[134:135]
	s_waitcnt vmcnt(8)
	v_fma_f64 v[5:6], v[5:6], v[148:149], -v[27:28]
	v_mul_f64 v[19:20], v[1:2], v[134:135]
	v_fma_f64 v[7:8], v[7:8], v[148:149], v[17:18]
	v_add_f64 v[13:14], v[13:14], v[25:26]
	v_add_f64 v[15:16], v[15:16], v[21:22]
	s_waitcnt vmcnt(7) lgkmcnt(0)
	v_mul_f64 v[21:22], v[11:12], v[154:155]
	v_mul_f64 v[17:18], v[9:10], v[154:155]
	s_waitcnt vmcnt(5)
	v_fma_f64 v[1:2], v[1:2], v[138:139], -v[23:24]
	v_fma_f64 v[3:4], v[3:4], v[138:139], v[19:20]
	v_add_f64 v[5:6], v[13:14], v[5:6]
	v_add_f64 v[7:8], v[15:16], v[7:8]
	s_waitcnt vmcnt(4)
	v_fma_f64 v[9:10], v[9:10], v[158:159], -v[21:22]
	v_add_f64 v[1:2], v[5:6], v[1:2]
	v_fma_f64 v[5:6], v[11:12], v[158:159], v[17:18]
	v_add_f64 v[3:4], v[7:8], v[3:4]
	v_add_f64 v[1:2], v[1:2], v[9:10]
	;; [unrolled: 1-line block ×3, first 2 shown]
	s_waitcnt vmcnt(2)
	v_add_f64 v[1:2], v[142:143], -v[1:2]
	s_waitcnt vmcnt(0)
	v_add_f64 v[3:4], v[146:147], -v[3:4]
	buffer_store_dword v2, off, s[0:3], 0 offset:68
	buffer_store_dword v1, off, s[0:3], 0 offset:64
	;; [unrolled: 1-line block ×4, first 2 shown]
	v_cmpx_lt_u32_e32 2, v0
	s_cbranch_execz .LBB36_231
; %bb.230:
	v_mov_b32_e32 v4, s47
	s_clause 0x3
	buffer_load_dword v1, v4, s[0:3], 0 offen
	buffer_load_dword v2, v4, s[0:3], 0 offen offset:4
	buffer_load_dword v3, v4, s[0:3], 0 offen offset:8
	;; [unrolled: 1-line block ×3, first 2 shown]
	buffer_store_dword v125, off, s[0:3], 0 offset:48
	buffer_store_dword v125, off, s[0:3], 0 offset:52
	;; [unrolled: 1-line block ×4, first 2 shown]
	s_waitcnt vmcnt(0)
	ds_write_b128 v133, v[1:4]
.LBB36_231:
	s_or_b32 exec_lo, exec_lo, s4
	s_waitcnt lgkmcnt(0)
	s_waitcnt_vscnt null, 0x0
	s_barrier
	buffer_gl0_inv
	s_clause 0x37
	buffer_load_dword v9, off, s[0:3], 0 offset:72
	buffer_load_dword v10, off, s[0:3], 0 offset:76
	;; [unrolled: 1-line block ×56, first 2 shown]
	ds_read_b128 v[126:129], v125 offset:640
	s_clause 0x2
	buffer_load_dword v147, off, s[0:3], 0 offset:300
	buffer_load_dword v149, off, s[0:3], 0 offset:276
	;; [unrolled: 1-line block ×3, first 2 shown]
	ds_read_b128 v[134:137], v125 offset:656
	s_clause 0x4
	buffer_load_dword v153, off, s[0:3], 0 offset:316
	buffer_load_dword v154, off, s[0:3], 0 offset:328
	;; [unrolled: 1-line block ×5, first 2 shown]
	ds_read_b128 v[138:141], v125 offset:672
	s_clause 0x2
	buffer_load_dword v155, off, s[0:3], 0 offset:332
	buffer_load_dword v160, off, s[0:3], 0 offset:308
	;; [unrolled: 1-line block ×3, first 2 shown]
	s_mov_b32 s4, exec_lo
	s_waitcnt vmcnt(62) lgkmcnt(2)
	v_mul_f64 v[150:151], v[128:129], v[9:10]
	v_mul_f64 v[9:10], v[126:127], v[9:10]
	s_waitcnt lgkmcnt(1)
	v_mul_f64 v[157:158], v[136:137], v[5:6]
	s_waitcnt vmcnt(59) lgkmcnt(0)
	v_mul_f64 v[161:162], v[140:141], v[3:4]
	v_fma_f64 v[126:127], v[126:127], v[7:8], -v[150:151]
	v_mul_f64 v[150:151], v[134:135], v[5:6]
	v_fma_f64 v[9:10], v[128:129], v[7:8], v[9:10]
	s_waitcnt vmcnt(57)
	v_fma_f64 v[134:135], v[134:135], v[1:2], -v[157:158]
	ds_read_b128 v[5:8], v125 offset:688
	v_mul_f64 v[128:129], v[138:139], v[3:4]
	s_waitcnt vmcnt(51)
	v_fma_f64 v[138:139], v[138:139], v[25:26], -v[161:162]
	v_add_f64 v[126:127], v[126:127], 0
	v_fma_f64 v[136:137], v[136:137], v[1:2], v[150:151]
	v_add_f64 v[9:10], v[9:10], 0
	s_clause 0x4
	buffer_load_dword v151, off, s[0:3], 0 offset:348
	buffer_load_dword v163, off, s[0:3], 0 offset:360
	;; [unrolled: 1-line block ×5, first 2 shown]
	s_waitcnt lgkmcnt(0)
	v_mul_f64 v[166:167], v[5:6], v[13:14]
	v_mul_f64 v[13:14], v[7:8], v[13:14]
	ds_read_b128 v[1:4], v125 offset:704
	v_fma_f64 v[25:26], v[140:141], v[25:26], v[128:129]
	v_add_f64 v[134:135], v[126:127], v[134:135]
	v_add_f64 v[9:10], v[9:10], v[136:137]
	s_clause 0x2
	buffer_load_dword v164, off, s[0:3], 0 offset:364
	buffer_load_dword v137, off, s[0:3], 0 offset:340
	;; [unrolled: 1-line block ×3, first 2 shown]
	s_waitcnt vmcnt(58) lgkmcnt(0)
	v_mul_f64 v[140:141], v[1:2], v[17:18]
	v_mul_f64 v[17:18], v[3:4], v[17:18]
	s_waitcnt vmcnt(56)
	v_fma_f64 v[13:14], v[5:6], v[19:20], -v[13:14]
	ds_read_b128 v[126:129], v125 offset:720
	v_fma_f64 v[19:20], v[7:8], v[19:20], v[166:167]
	v_add_f64 v[134:135], v[134:135], v[138:139]
	v_add_f64 v[9:10], v[9:10], v[25:26]
	s_clause 0x4
	buffer_load_dword v26, off, s[0:3], 0 offset:380
	buffer_load_dword v138, off, s[0:3], 0 offset:392
	;; [unrolled: 1-line block ×5, first 2 shown]
	ds_read_b128 v[5:8], v125 offset:736
	s_waitcnt vmcnt(57) lgkmcnt(1)
	v_mul_f64 v[167:168], v[126:127], v[21:22]
	v_mul_f64 v[21:22], v[128:129], v[21:22]
	s_waitcnt vmcnt(56)
	v_fma_f64 v[17:18], v[1:2], v[11:12], -v[17:18]
	v_fma_f64 v[11:12], v[3:4], v[11:12], v[140:141]
	v_add_f64 v[13:14], v[134:135], v[13:14]
	v_add_f64 v[9:10], v[9:10], v[19:20]
	s_clause 0x2
	buffer_load_dword v139, off, s[0:3], 0 offset:396
	buffer_load_dword v20, off, s[0:3], 0 offset:372
	;; [unrolled: 1-line block ×3, first 2 shown]
	s_waitcnt vmcnt(58) lgkmcnt(0)
	v_mul_f64 v[134:135], v[5:6], v[27:28]
	v_mul_f64 v[27:28], v[7:8], v[27:28]
	s_waitcnt vmcnt(56)
	v_fma_f64 v[21:22], v[126:127], v[29:30], -v[21:22]
	ds_read_b128 v[1:4], v125 offset:752
	v_add_f64 v[13:14], v[13:14], v[17:18]
	v_fma_f64 v[17:18], v[128:129], v[29:30], v[167:168]
	v_add_f64 v[29:30], v[9:10], v[11:12]
	s_clause 0x4
	buffer_load_dword v127, off, s[0:3], 0 offset:412
	buffer_load_dword v128, off, s[0:3], 0 offset:424
	;; [unrolled: 1-line block ×5, first 2 shown]
	ds_read_b128 v[9:12], v125 offset:768
	s_waitcnt vmcnt(57) lgkmcnt(1)
	v_mul_f64 v[167:168], v[1:2], v[31:32]
	v_mul_f64 v[31:32], v[3:4], v[31:32]
	s_waitcnt vmcnt(56)
	v_fma_f64 v[27:28], v[5:6], v[15:16], -v[27:28]
	v_fma_f64 v[15:16], v[7:8], v[15:16], v[134:135]
	v_add_f64 v[13:14], v[13:14], v[21:22]
	s_clause 0x2
	buffer_load_dword v129, off, s[0:3], 0 offset:428
	buffer_load_dword v22, off, s[0:3], 0 offset:404
	buffer_load_dword v21, off, s[0:3], 0 offset:400
	v_add_f64 v[17:18], v[29:30], v[17:18]
	s_waitcnt vmcnt(58) lgkmcnt(0)
	v_mul_f64 v[29:30], v[9:10], v[35:36]
	v_mul_f64 v[35:36], v[11:12], v[35:36]
	ds_read_b128 v[5:8], v125 offset:784
	s_waitcnt vmcnt(56)
	v_fma_f64 v[31:32], v[1:2], v[37:38], -v[31:32]
	v_add_f64 v[13:14], v[13:14], v[27:28]
	v_fma_f64 v[27:28], v[3:4], v[37:38], v[167:168]
	v_add_f64 v[15:16], v[17:18], v[15:16]
	s_clause 0x4
	buffer_load_dword v18, off, s[0:3], 0 offset:444
	buffer_load_dword v37, off, s[0:3], 0 offset:456
	;; [unrolled: 1-line block ×5, first 2 shown]
	s_waitcnt vmcnt(57) lgkmcnt(0)
	v_mul_f64 v[167:168], v[5:6], v[39:40]
	v_mul_f64 v[39:40], v[7:8], v[39:40]
	s_waitcnt vmcnt(56)
	v_fma_f64 v[35:36], v[9:10], v[23:24], -v[35:36]
	ds_read_b128 v[1:4], v125 offset:800
	v_fma_f64 v[23:24], v[11:12], v[23:24], v[29:30]
	v_add_f64 v[13:14], v[13:14], v[31:32]
	v_add_f64 v[15:16], v[15:16], v[27:28]
	s_clause 0x2
	buffer_load_dword v38, off, s[0:3], 0 offset:460
	buffer_load_dword v28, off, s[0:3], 0 offset:436
	;; [unrolled: 1-line block ×3, first 2 shown]
	ds_read_b128 v[9:12], v125 offset:816
	s_waitcnt vmcnt(58) lgkmcnt(1)
	v_mul_f64 v[31:32], v[3:4], v[43:44]
	s_waitcnt vmcnt(56)
	v_fma_f64 v[39:40], v[5:6], v[119:120], -v[39:40]
	v_mul_f64 v[29:30], v[1:2], v[43:44]
	v_add_f64 v[13:14], v[13:14], v[35:36]
	v_fma_f64 v[35:36], v[7:8], v[119:120], v[167:168]
	v_add_f64 v[15:16], v[15:16], v[23:24]
	s_clause 0x4
	buffer_load_dword v24, off, s[0:3], 0 offset:476
	buffer_load_dword v43, off, s[0:3], 0 offset:488
	;; [unrolled: 1-line block ×5, first 2 shown]
	s_waitcnt vmcnt(57) lgkmcnt(0)
	v_mul_f64 v[167:168], v[9:10], v[121:122]
	v_mul_f64 v[120:121], v[11:12], v[121:122]
	s_waitcnt vmcnt(56)
	v_fma_f64 v[31:32], v[1:2], v[33:34], -v[31:32]
	ds_read_b128 v[5:8], v125 offset:832
	v_fma_f64 v[29:30], v[3:4], v[33:34], v[29:30]
	s_clause 0x2
	buffer_load_dword v44, off, s[0:3], 0 offset:492
	buffer_load_dword v34, off, s[0:3], 0 offset:468
	;; [unrolled: 1-line block ×3, first 2 shown]
	ds_read_b128 v[1:4], v125 offset:848
	v_add_f64 v[13:14], v[13:14], v[39:40]
	v_add_f64 v[15:16], v[15:16], v[35:36]
	s_waitcnt vmcnt(58) lgkmcnt(1)
	v_mul_f64 v[39:40], v[7:8], v[130:131]
	s_waitcnt vmcnt(56)
	v_fma_f64 v[121:122], v[9:10], v[142:143], -v[120:121]
	v_mul_f64 v[35:36], v[5:6], v[130:131]
	v_add_f64 v[13:14], v[13:14], v[31:32]
	v_fma_f64 v[31:32], v[11:12], v[142:143], v[167:168]
	v_add_f64 v[15:16], v[15:16], v[29:30]
	s_clause 0x4
	buffer_load_dword v30, off, s[0:3], 0 offset:508
	buffer_load_dword v130, off, s[0:3], 0 offset:520
	;; [unrolled: 1-line block ×5, first 2 shown]
	s_waitcnt vmcnt(57) lgkmcnt(0)
	v_mul_f64 v[167:168], v[1:2], v[144:145]
	v_mul_f64 v[143:144], v[3:4], v[144:145]
	s_waitcnt vmcnt(56)
	v_fma_f64 v[39:40], v[5:6], v[41:42], -v[39:40]
	ds_read_b128 v[9:12], v125 offset:864
	v_fma_f64 v[35:36], v[7:8], v[41:42], v[35:36]
	v_add_f64 v[13:14], v[13:14], v[121:122]
	v_add_f64 v[15:16], v[15:16], v[31:32]
	s_clause 0x2
	buffer_load_dword v131, off, s[0:3], 0 offset:524
	buffer_load_dword v32, off, s[0:3], 0 offset:500
	;; [unrolled: 1-line block ×3, first 2 shown]
	ds_read_b128 v[5:8], v125 offset:880
	s_waitcnt vmcnt(58) lgkmcnt(1)
	v_mul_f64 v[121:122], v[11:12], v[146:147]
	s_waitcnt vmcnt(56)
	v_fma_f64 v[144:145], v[1:2], v[148:149], -v[143:144]
	v_mul_f64 v[41:42], v[9:10], v[146:147]
	v_add_f64 v[13:14], v[13:14], v[39:40]
	v_fma_f64 v[39:40], v[3:4], v[148:149], v[167:168]
	v_add_f64 v[15:16], v[15:16], v[35:36]
	s_clause 0x4
	buffer_load_dword v36, off, s[0:3], 0 offset:540
	buffer_load_dword v146, off, s[0:3], 0 offset:552
	;; [unrolled: 1-line block ×5, first 2 shown]
	s_waitcnt vmcnt(57) lgkmcnt(0)
	v_mul_f64 v[167:168], v[5:6], v[152:153]
	v_mul_f64 v[152:153], v[7:8], v[152:153]
	s_waitcnt vmcnt(56)
	v_fma_f64 v[121:122], v[9:10], v[123:124], -v[121:122]
	ds_read_b128 v[1:4], v125 offset:896
	v_fma_f64 v[41:42], v[11:12], v[123:124], v[41:42]
	v_add_f64 v[13:14], v[13:14], v[144:145]
	v_add_f64 v[15:16], v[15:16], v[39:40]
	s_clause 0x2
	buffer_load_dword v147, off, s[0:3], 0 offset:556
	buffer_load_dword v40, off, s[0:3], 0 offset:532
	;; [unrolled: 1-line block ×3, first 2 shown]
	ds_read_b128 v[9:12], v125 offset:912
	s_waitcnt vmcnt(58) lgkmcnt(1)
	v_mul_f64 v[144:145], v[3:4], v[154:155]
	s_waitcnt vmcnt(56)
	v_fma_f64 v[152:153], v[5:6], v[159:160], -v[152:153]
	v_mul_f64 v[123:124], v[1:2], v[154:155]
	v_add_f64 v[13:14], v[13:14], v[121:122]
	v_fma_f64 v[121:122], v[7:8], v[159:160], v[167:168]
	v_add_f64 v[15:16], v[15:16], v[41:42]
	s_clause 0x4
	buffer_load_dword v42, off, s[0:3], 0 offset:572
	buffer_load_dword v154, off, s[0:3], 0 offset:584
	;; [unrolled: 1-line block ×5, first 2 shown]
	ds_read_b128 v[5:8], v125 offset:928
	s_waitcnt vmcnt(57) lgkmcnt(1)
	v_mul_f64 v[159:160], v[9:10], v[150:151]
	v_mul_f64 v[150:151], v[11:12], v[150:151]
	s_waitcnt vmcnt(56)
	v_fma_f64 v[144:145], v[1:2], v[156:157], -v[144:145]
	v_fma_f64 v[123:124], v[3:4], v[156:157], v[123:124]
	v_add_f64 v[13:14], v[13:14], v[152:153]
	v_add_f64 v[15:16], v[15:16], v[121:122]
	s_clause 0x2
	buffer_load_dword v155, off, s[0:3], 0 offset:588
	buffer_load_dword v122, off, s[0:3], 0 offset:564
	;; [unrolled: 1-line block ×3, first 2 shown]
	ds_read_b128 v[1:4], v125 offset:944
	s_waitcnt vmcnt(58) lgkmcnt(1)
	v_mul_f64 v[156:157], v[7:8], v[163:164]
	v_mul_f64 v[152:153], v[5:6], v[163:164]
	s_waitcnt vmcnt(56)
	v_fma_f64 v[150:151], v[9:10], v[136:137], -v[150:151]
	v_fma_f64 v[136:137], v[11:12], v[136:137], v[159:160]
	v_add_f64 v[13:14], v[13:14], v[144:145]
	v_add_f64 v[15:16], v[15:16], v[123:124]
	s_clause 0x2
	buffer_load_dword v124, off, s[0:3], 0 offset:604
	buffer_load_dword v123, off, s[0:3], 0 offset:600
	;; [unrolled: 1-line block ×3, first 2 shown]
	ds_read_b128 v[9:12], v125 offset:960
	s_waitcnt vmcnt(55) lgkmcnt(1)
	v_mul_f64 v[144:145], v[1:2], v[25:26]
	v_mul_f64 v[25:26], v[3:4], v[25:26]
	s_waitcnt vmcnt(54)
	v_fma_f64 v[156:157], v[5:6], v[165:166], -v[156:157]
	v_add_f64 v[13:14], v[13:14], v[150:151]
	v_fma_f64 v[150:151], v[7:8], v[165:166], v[152:153]
	v_add_f64 v[15:16], v[15:16], v[136:137]
	s_clause 0x1
	buffer_load_dword v137, off, s[0:3], 0 offset:596
	buffer_load_dword v136, off, s[0:3], 0 offset:592
	ds_read_b128 v[5:8], v125 offset:976
	s_waitcnt vmcnt(55) lgkmcnt(1)
	v_mul_f64 v[152:153], v[9:10], v[138:139]
	v_mul_f64 v[138:139], v[11:12], v[138:139]
	s_waitcnt vmcnt(53)
	v_fma_f64 v[25:26], v[1:2], v[19:20], -v[25:26]
	v_fma_f64 v[19:20], v[3:4], v[19:20], v[144:145]
	ds_read_b128 v[1:4], v125 offset:992
	v_add_f64 v[13:14], v[13:14], v[156:157]
	v_add_f64 v[15:16], v[15:16], v[150:151]
	s_waitcnt vmcnt(49) lgkmcnt(1)
	v_mul_f64 v[144:145], v[5:6], v[126:127]
	v_mul_f64 v[126:127], v[7:8], v[126:127]
	s_waitcnt vmcnt(48)
	v_fma_f64 v[138:139], v[9:10], v[161:162], -v[138:139]
	v_add_f64 v[13:14], v[13:14], v[25:26]
	v_fma_f64 v[25:26], v[11:12], v[161:162], v[152:153]
	v_add_f64 v[15:16], v[15:16], v[19:20]
	s_clause 0x3
	buffer_load_dword v19, off, s[0:3], 0 offset:48
	buffer_load_dword v20, off, s[0:3], 0 offset:52
	;; [unrolled: 1-line block ×4, first 2 shown]
	ds_read_b128 v[9:12], v125 offset:1008
	s_waitcnt vmcnt(51) lgkmcnt(1)
	v_mul_f64 v[152:153], v[1:2], v[128:129]
	v_mul_f64 v[128:129], v[3:4], v[128:129]
	s_waitcnt vmcnt(49)
	v_fma_f64 v[126:127], v[5:6], v[21:22], -v[126:127]
	v_fma_f64 v[21:22], v[7:8], v[21:22], v[144:145]
	ds_read_b128 v[5:8], v125 offset:1024
	v_add_f64 v[13:14], v[13:14], v[138:139]
	v_add_f64 v[15:16], v[15:16], v[25:26]
	s_waitcnt vmcnt(45) lgkmcnt(1)
	v_mul_f64 v[25:26], v[9:10], v[17:18]
	v_mul_f64 v[17:18], v[11:12], v[17:18]
	s_waitcnt vmcnt(44)
	v_fma_f64 v[128:129], v[1:2], v[140:141], -v[128:129]
	v_add_f64 v[13:14], v[13:14], v[126:127]
	v_fma_f64 v[126:127], v[3:4], v[140:141], v[152:153]
	v_add_f64 v[15:16], v[15:16], v[21:22]
	ds_read_b128 v[1:4], v125 offset:1040
	s_waitcnt vmcnt(43) lgkmcnt(1)
	v_mul_f64 v[21:22], v[5:6], v[37:38]
	v_mul_f64 v[37:38], v[7:8], v[37:38]
	s_waitcnt vmcnt(41)
	v_fma_f64 v[17:18], v[9:10], v[27:28], -v[17:18]
	v_fma_f64 v[25:26], v[11:12], v[27:28], v[25:26]
	ds_read_b128 v[9:12], v125 offset:1056
	v_add_f64 v[13:14], v[13:14], v[128:129]
	v_add_f64 v[15:16], v[15:16], v[126:127]
	s_waitcnt vmcnt(37) lgkmcnt(1)
	v_mul_f64 v[27:28], v[1:2], v[23:24]
	v_mul_f64 v[23:24], v[3:4], v[23:24]
	s_waitcnt vmcnt(36)
	v_fma_f64 v[37:38], v[5:6], v[134:135], -v[37:38]
	v_add_f64 v[13:14], v[13:14], v[17:18]
	v_fma_f64 v[17:18], v[7:8], v[134:135], v[21:22]
	v_add_f64 v[15:16], v[15:16], v[25:26]
	s_waitcnt vmcnt(35) lgkmcnt(0)
	v_mul_f64 v[25:26], v[11:12], v[43:44]
	ds_read_b128 v[5:8], v125 offset:1072
	v_mul_f64 v[21:22], v[9:10], v[43:44]
	s_waitcnt vmcnt(33)
	v_fma_f64 v[27:28], v[3:4], v[33:34], v[27:28]
	v_fma_f64 v[23:24], v[1:2], v[33:34], -v[23:24]
	ds_read_b128 v[1:4], v125 offset:1088
	v_add_f64 v[13:14], v[13:14], v[37:38]
	v_add_f64 v[15:16], v[15:16], v[17:18]
	s_waitcnt vmcnt(29) lgkmcnt(1)
	v_mul_f64 v[17:18], v[5:6], v[29:30]
	v_mul_f64 v[29:30], v[7:8], v[29:30]
	s_waitcnt vmcnt(28)
	v_fma_f64 v[25:26], v[9:10], v[119:120], -v[25:26]
	v_fma_f64 v[21:22], v[11:12], v[119:120], v[21:22]
	ds_read_b128 v[9:12], v125 offset:1104
	v_add_f64 v[13:14], v[13:14], v[23:24]
	v_add_f64 v[15:16], v[15:16], v[27:28]
	s_waitcnt vmcnt(27) lgkmcnt(1)
	v_mul_f64 v[27:28], v[3:4], v[130:131]
	v_mul_f64 v[23:24], v[1:2], v[130:131]
	s_waitcnt vmcnt(25)
	v_fma_f64 v[29:30], v[5:6], v[31:32], -v[29:30]
	v_fma_f64 v[17:18], v[7:8], v[31:32], v[17:18]
	ds_read_b128 v[5:8], v125 offset:1120
	v_add_f64 v[13:14], v[13:14], v[25:26]
	v_add_f64 v[15:16], v[15:16], v[21:22]
	s_waitcnt vmcnt(21) lgkmcnt(1)
	v_mul_f64 v[25:26], v[11:12], v[35:36]
	s_waitcnt vmcnt(20)
	v_fma_f64 v[27:28], v[1:2], v[142:143], -v[27:28]
	v_mul_f64 v[21:22], v[9:10], v[35:36]
	v_fma_f64 v[23:24], v[3:4], v[142:143], v[23:24]
	ds_read_b128 v[1:4], v125 offset:1136
	v_add_f64 v[13:14], v[13:14], v[29:30]
	v_add_f64 v[15:16], v[15:16], v[17:18]
	s_waitcnt vmcnt(19) lgkmcnt(1)
	v_mul_f64 v[29:30], v[7:8], v[146:147]
	v_mul_f64 v[17:18], v[5:6], v[146:147]
	s_waitcnt vmcnt(17)
	v_fma_f64 v[25:26], v[9:10], v[39:40], -v[25:26]
	v_fma_f64 v[21:22], v[11:12], v[39:40], v[21:22]
	ds_read_b128 v[9:12], v125 offset:1152
	v_add_f64 v[13:14], v[13:14], v[27:28]
	v_add_f64 v[15:16], v[15:16], v[23:24]
	s_waitcnt vmcnt(13) lgkmcnt(1)
	v_mul_f64 v[27:28], v[3:4], v[41:42]
	s_waitcnt vmcnt(12)
	v_fma_f64 v[29:30], v[5:6], v[148:149], -v[29:30]
	v_mul_f64 v[23:24], v[1:2], v[41:42]
	v_fma_f64 v[17:18], v[7:8], v[148:149], v[17:18]
	ds_read_b128 v[5:8], v125 offset:1168
	v_add_f64 v[13:14], v[13:14], v[25:26]
	v_add_f64 v[15:16], v[15:16], v[21:22]
	s_waitcnt vmcnt(11) lgkmcnt(1)
	v_mul_f64 v[25:26], v[11:12], v[154:155]
	v_mul_f64 v[21:22], v[9:10], v[154:155]
	s_waitcnt vmcnt(9)
	v_fma_f64 v[1:2], v[1:2], v[121:122], -v[27:28]
	v_fma_f64 v[3:4], v[3:4], v[121:122], v[23:24]
	v_add_f64 v[13:14], v[13:14], v[29:30]
	v_add_f64 v[15:16], v[15:16], v[17:18]
	s_waitcnt vmcnt(7) lgkmcnt(0)
	v_mul_f64 v[23:24], v[7:8], v[123:124]
	s_waitcnt vmcnt(6)
	v_fma_f64 v[9:10], v[9:10], v[158:159], -v[25:26]
	v_mul_f64 v[17:18], v[5:6], v[123:124]
	v_fma_f64 v[11:12], v[11:12], v[158:159], v[21:22]
	v_add_f64 v[1:2], v[13:14], v[1:2]
	v_add_f64 v[3:4], v[15:16], v[3:4]
	s_waitcnt vmcnt(4)
	v_fma_f64 v[5:6], v[5:6], v[136:137], -v[23:24]
	v_fma_f64 v[7:8], v[7:8], v[136:137], v[17:18]
	v_add_f64 v[1:2], v[1:2], v[9:10]
	v_add_f64 v[3:4], v[3:4], v[11:12]
	;; [unrolled: 1-line block ×4, first 2 shown]
	s_waitcnt vmcnt(2)
	v_add_f64 v[1:2], v[19:20], -v[1:2]
	s_waitcnt vmcnt(0)
	v_add_f64 v[3:4], v[150:151], -v[3:4]
	buffer_store_dword v2, off, s[0:3], 0 offset:52
	buffer_store_dword v1, off, s[0:3], 0 offset:48
	;; [unrolled: 1-line block ×4, first 2 shown]
	v_cmpx_lt_u32_e32 1, v0
	s_cbranch_execz .LBB36_233
; %bb.232:
	v_mov_b32_e32 v4, s48
	v_mov_b32_e32 v5, 0
	s_clause 0x3
	buffer_load_dword v1, v4, s[0:3], 0 offen
	buffer_load_dword v2, v4, s[0:3], 0 offen offset:4
	buffer_load_dword v3, v4, s[0:3], 0 offen offset:8
	;; [unrolled: 1-line block ×3, first 2 shown]
	buffer_store_dword v5, off, s[0:3], 0 offset:32
	buffer_store_dword v5, off, s[0:3], 0 offset:36
	;; [unrolled: 1-line block ×4, first 2 shown]
	s_waitcnt vmcnt(0)
	ds_write_b128 v133, v[1:4]
.LBB36_233:
	s_or_b32 exec_lo, exec_lo, s4
	s_waitcnt lgkmcnt(0)
	s_waitcnt_vscnt null, 0x0
	s_barrier
	buffer_gl0_inv
	s_clause 0x37
	buffer_load_dword v9, off, s[0:3], 0 offset:56
	buffer_load_dword v10, off, s[0:3], 0 offset:60
	;; [unrolled: 1-line block ×56, first 2 shown]
	v_mov_b32_e32 v135, 0
	s_mov_b32 s4, exec_lo
	ds_read_b128 v[136:139], v135 offset:624
	s_clause 0x2
	buffer_load_dword v132, off, s[0:3], 0 offset:284
	buffer_load_dword v149, off, s[0:3], 0 offset:260
	;; [unrolled: 1-line block ×3, first 2 shown]
	ds_read_b128 v[140:143], v135 offset:640
	s_clause 0x4
	buffer_load_dword v153, off, s[0:3], 0 offset:300
	buffer_load_dword v154, off, s[0:3], 0 offset:312
	;; [unrolled: 1-line block ×5, first 2 shown]
	ds_read_b128 v[144:147], v135 offset:656
	s_clause 0x2
	buffer_load_dword v155, off, s[0:3], 0 offset:316
	buffer_load_dword v160, off, s[0:3], 0 offset:292
	;; [unrolled: 1-line block ×3, first 2 shown]
	s_waitcnt vmcnt(62) lgkmcnt(2)
	v_mul_f64 v[150:151], v[138:139], v[9:10]
	v_mul_f64 v[9:10], v[136:137], v[9:10]
	s_waitcnt lgkmcnt(1)
	v_mul_f64 v[157:158], v[142:143], v[5:6]
	s_waitcnt vmcnt(59) lgkmcnt(0)
	v_mul_f64 v[161:162], v[146:147], v[3:4]
	v_fma_f64 v[136:137], v[136:137], v[7:8], -v[150:151]
	v_mul_f64 v[150:151], v[140:141], v[5:6]
	v_fma_f64 v[9:10], v[138:139], v[7:8], v[9:10]
	s_waitcnt vmcnt(57)
	v_fma_f64 v[140:141], v[140:141], v[1:2], -v[157:158]
	ds_read_b128 v[5:8], v135 offset:672
	v_mul_f64 v[138:139], v[144:145], v[3:4]
	s_waitcnt vmcnt(51)
	v_fma_f64 v[144:145], v[144:145], v[25:26], -v[161:162]
	v_add_f64 v[136:137], v[136:137], 0
	v_fma_f64 v[142:143], v[142:143], v[1:2], v[150:151]
	v_add_f64 v[9:10], v[9:10], 0
	s_clause 0x4
	buffer_load_dword v151, off, s[0:3], 0 offset:332
	buffer_load_dword v163, off, s[0:3], 0 offset:344
	;; [unrolled: 1-line block ×5, first 2 shown]
	s_waitcnt lgkmcnt(0)
	v_mul_f64 v[166:167], v[5:6], v[13:14]
	v_mul_f64 v[13:14], v[7:8], v[13:14]
	ds_read_b128 v[1:4], v135 offset:688
	v_fma_f64 v[25:26], v[146:147], v[25:26], v[138:139]
	v_add_f64 v[140:141], v[136:137], v[140:141]
	v_add_f64 v[9:10], v[9:10], v[142:143]
	s_clause 0x2
	buffer_load_dword v164, off, s[0:3], 0 offset:348
	buffer_load_dword v143, off, s[0:3], 0 offset:324
	;; [unrolled: 1-line block ×3, first 2 shown]
	s_waitcnt vmcnt(58) lgkmcnt(0)
	v_mul_f64 v[146:147], v[1:2], v[17:18]
	v_mul_f64 v[17:18], v[3:4], v[17:18]
	s_waitcnt vmcnt(56)
	v_fma_f64 v[13:14], v[5:6], v[19:20], -v[13:14]
	ds_read_b128 v[136:139], v135 offset:704
	v_fma_f64 v[19:20], v[7:8], v[19:20], v[166:167]
	v_add_f64 v[140:141], v[140:141], v[144:145]
	v_add_f64 v[9:10], v[9:10], v[25:26]
	s_clause 0x4
	buffer_load_dword v26, off, s[0:3], 0 offset:364
	buffer_load_dword v144, off, s[0:3], 0 offset:376
	;; [unrolled: 1-line block ×5, first 2 shown]
	ds_read_b128 v[5:8], v135 offset:720
	s_waitcnt vmcnt(57) lgkmcnt(1)
	v_mul_f64 v[167:168], v[136:137], v[21:22]
	v_mul_f64 v[21:22], v[138:139], v[21:22]
	s_waitcnt vmcnt(56)
	v_fma_f64 v[17:18], v[1:2], v[11:12], -v[17:18]
	v_fma_f64 v[11:12], v[3:4], v[11:12], v[146:147]
	v_add_f64 v[13:14], v[140:141], v[13:14]
	v_add_f64 v[9:10], v[9:10], v[19:20]
	s_clause 0x2
	buffer_load_dword v145, off, s[0:3], 0 offset:380
	buffer_load_dword v20, off, s[0:3], 0 offset:356
	;; [unrolled: 1-line block ×3, first 2 shown]
	s_waitcnt vmcnt(58) lgkmcnt(0)
	v_mul_f64 v[140:141], v[5:6], v[27:28]
	v_mul_f64 v[27:28], v[7:8], v[27:28]
	s_waitcnt vmcnt(56)
	v_fma_f64 v[21:22], v[136:137], v[29:30], -v[21:22]
	ds_read_b128 v[1:4], v135 offset:736
	v_add_f64 v[13:14], v[13:14], v[17:18]
	v_fma_f64 v[17:18], v[138:139], v[29:30], v[167:168]
	v_add_f64 v[29:30], v[9:10], v[11:12]
	s_clause 0x4
	buffer_load_dword v137, off, s[0:3], 0 offset:396
	buffer_load_dword v138, off, s[0:3], 0 offset:408
	;; [unrolled: 1-line block ×5, first 2 shown]
	ds_read_b128 v[9:12], v135 offset:752
	s_waitcnt vmcnt(57) lgkmcnt(1)
	v_mul_f64 v[167:168], v[1:2], v[31:32]
	v_mul_f64 v[31:32], v[3:4], v[31:32]
	s_waitcnt vmcnt(56)
	v_fma_f64 v[27:28], v[5:6], v[15:16], -v[27:28]
	v_fma_f64 v[15:16], v[7:8], v[15:16], v[140:141]
	v_add_f64 v[13:14], v[13:14], v[21:22]
	s_clause 0x2
	buffer_load_dword v139, off, s[0:3], 0 offset:412
	buffer_load_dword v22, off, s[0:3], 0 offset:388
	;; [unrolled: 1-line block ×3, first 2 shown]
	v_add_f64 v[17:18], v[29:30], v[17:18]
	s_waitcnt vmcnt(58) lgkmcnt(0)
	v_mul_f64 v[29:30], v[9:10], v[35:36]
	v_mul_f64 v[35:36], v[11:12], v[35:36]
	ds_read_b128 v[5:8], v135 offset:768
	s_waitcnt vmcnt(56)
	v_fma_f64 v[31:32], v[1:2], v[37:38], -v[31:32]
	v_add_f64 v[13:14], v[13:14], v[27:28]
	v_fma_f64 v[27:28], v[3:4], v[37:38], v[167:168]
	v_add_f64 v[15:16], v[17:18], v[15:16]
	s_clause 0x4
	buffer_load_dword v18, off, s[0:3], 0 offset:428
	buffer_load_dword v37, off, s[0:3], 0 offset:440
	;; [unrolled: 1-line block ×5, first 2 shown]
	s_waitcnt vmcnt(57) lgkmcnt(0)
	v_mul_f64 v[167:168], v[5:6], v[39:40]
	v_mul_f64 v[39:40], v[7:8], v[39:40]
	s_waitcnt vmcnt(56)
	v_fma_f64 v[35:36], v[9:10], v[23:24], -v[35:36]
	ds_read_b128 v[1:4], v135 offset:784
	v_fma_f64 v[23:24], v[11:12], v[23:24], v[29:30]
	v_add_f64 v[13:14], v[13:14], v[31:32]
	v_add_f64 v[15:16], v[15:16], v[27:28]
	s_clause 0x2
	buffer_load_dword v38, off, s[0:3], 0 offset:444
	buffer_load_dword v28, off, s[0:3], 0 offset:420
	;; [unrolled: 1-line block ×3, first 2 shown]
	ds_read_b128 v[9:12], v135 offset:800
	s_waitcnt vmcnt(58) lgkmcnt(1)
	v_mul_f64 v[31:32], v[3:4], v[43:44]
	s_waitcnt vmcnt(56)
	v_fma_f64 v[39:40], v[5:6], v[119:120], -v[39:40]
	v_mul_f64 v[29:30], v[1:2], v[43:44]
	v_add_f64 v[13:14], v[13:14], v[35:36]
	v_fma_f64 v[35:36], v[7:8], v[119:120], v[167:168]
	v_add_f64 v[15:16], v[15:16], v[23:24]
	s_clause 0x4
	buffer_load_dword v24, off, s[0:3], 0 offset:460
	buffer_load_dword v43, off, s[0:3], 0 offset:472
	;; [unrolled: 1-line block ×5, first 2 shown]
	s_waitcnt vmcnt(57) lgkmcnt(0)
	v_mul_f64 v[167:168], v[9:10], v[121:122]
	v_mul_f64 v[120:121], v[11:12], v[121:122]
	s_waitcnt vmcnt(56)
	v_fma_f64 v[31:32], v[1:2], v[33:34], -v[31:32]
	ds_read_b128 v[5:8], v135 offset:816
	v_fma_f64 v[29:30], v[3:4], v[33:34], v[29:30]
	s_clause 0x2
	buffer_load_dword v44, off, s[0:3], 0 offset:476
	buffer_load_dword v34, off, s[0:3], 0 offset:452
	;; [unrolled: 1-line block ×3, first 2 shown]
	ds_read_b128 v[1:4], v135 offset:832
	v_add_f64 v[13:14], v[13:14], v[39:40]
	v_add_f64 v[15:16], v[15:16], v[35:36]
	s_waitcnt vmcnt(58) lgkmcnt(1)
	v_mul_f64 v[39:40], v[7:8], v[125:126]
	s_waitcnt vmcnt(56)
	v_fma_f64 v[121:122], v[9:10], v[127:128], -v[120:121]
	v_mul_f64 v[35:36], v[5:6], v[125:126]
	v_add_f64 v[13:14], v[13:14], v[31:32]
	v_fma_f64 v[31:32], v[11:12], v[127:128], v[167:168]
	v_add_f64 v[15:16], v[15:16], v[29:30]
	s_clause 0x4
	buffer_load_dword v30, off, s[0:3], 0 offset:492
	buffer_load_dword v125, off, s[0:3], 0 offset:504
	;; [unrolled: 1-line block ×5, first 2 shown]
	s_waitcnt vmcnt(57) lgkmcnt(0)
	v_mul_f64 v[167:168], v[1:2], v[129:130]
	v_mul_f64 v[128:129], v[3:4], v[129:130]
	s_waitcnt vmcnt(56)
	v_fma_f64 v[39:40], v[5:6], v[41:42], -v[39:40]
	ds_read_b128 v[9:12], v135 offset:848
	v_fma_f64 v[35:36], v[7:8], v[41:42], v[35:36]
	v_add_f64 v[13:14], v[13:14], v[121:122]
	v_add_f64 v[15:16], v[15:16], v[31:32]
	s_clause 0x2
	buffer_load_dword v126, off, s[0:3], 0 offset:508
	buffer_load_dword v32, off, s[0:3], 0 offset:484
	;; [unrolled: 1-line block ×3, first 2 shown]
	ds_read_b128 v[5:8], v135 offset:864
	s_waitcnt vmcnt(58) lgkmcnt(1)
	v_mul_f64 v[121:122], v[11:12], v[131:132]
	s_waitcnt vmcnt(56)
	v_fma_f64 v[129:130], v[1:2], v[148:149], -v[128:129]
	v_mul_f64 v[41:42], v[9:10], v[131:132]
	v_add_f64 v[13:14], v[13:14], v[39:40]
	v_fma_f64 v[39:40], v[3:4], v[148:149], v[167:168]
	v_add_f64 v[15:16], v[15:16], v[35:36]
	s_clause 0x4
	buffer_load_dword v36, off, s[0:3], 0 offset:524
	buffer_load_dword v131, off, s[0:3], 0 offset:536
	;; [unrolled: 1-line block ×5, first 2 shown]
	s_waitcnt vmcnt(57) lgkmcnt(0)
	v_mul_f64 v[167:168], v[5:6], v[152:153]
	v_mul_f64 v[152:153], v[7:8], v[152:153]
	s_waitcnt vmcnt(56)
	v_fma_f64 v[121:122], v[9:10], v[123:124], -v[121:122]
	ds_read_b128 v[1:4], v135 offset:880
	v_fma_f64 v[41:42], v[11:12], v[123:124], v[41:42]
	v_add_f64 v[13:14], v[13:14], v[129:130]
	v_add_f64 v[15:16], v[15:16], v[39:40]
	s_clause 0x2
	buffer_load_dword v132, off, s[0:3], 0 offset:540
	buffer_load_dword v40, off, s[0:3], 0 offset:516
	;; [unrolled: 1-line block ×3, first 2 shown]
	ds_read_b128 v[9:12], v135 offset:896
	s_waitcnt vmcnt(58) lgkmcnt(1)
	v_mul_f64 v[129:130], v[3:4], v[154:155]
	s_waitcnt vmcnt(56)
	v_fma_f64 v[152:153], v[5:6], v[159:160], -v[152:153]
	v_mul_f64 v[123:124], v[1:2], v[154:155]
	v_add_f64 v[13:14], v[13:14], v[121:122]
	v_fma_f64 v[121:122], v[7:8], v[159:160], v[167:168]
	v_add_f64 v[15:16], v[15:16], v[41:42]
	s_clause 0x4
	buffer_load_dword v42, off, s[0:3], 0 offset:556
	buffer_load_dword v154, off, s[0:3], 0 offset:568
	;; [unrolled: 1-line block ×5, first 2 shown]
	ds_read_b128 v[5:8], v135 offset:912
	s_waitcnt vmcnt(57) lgkmcnt(1)
	v_mul_f64 v[159:160], v[9:10], v[150:151]
	v_mul_f64 v[150:151], v[11:12], v[150:151]
	s_waitcnt vmcnt(56)
	v_fma_f64 v[129:130], v[1:2], v[156:157], -v[129:130]
	v_fma_f64 v[123:124], v[3:4], v[156:157], v[123:124]
	v_add_f64 v[13:14], v[13:14], v[152:153]
	v_add_f64 v[15:16], v[15:16], v[121:122]
	s_clause 0x2
	buffer_load_dword v155, off, s[0:3], 0 offset:572
	buffer_load_dword v122, off, s[0:3], 0 offset:548
	;; [unrolled: 1-line block ×3, first 2 shown]
	ds_read_b128 v[1:4], v135 offset:928
	s_waitcnt vmcnt(58) lgkmcnt(1)
	v_mul_f64 v[156:157], v[7:8], v[163:164]
	v_mul_f64 v[152:153], v[5:6], v[163:164]
	s_waitcnt vmcnt(56)
	v_fma_f64 v[150:151], v[9:10], v[142:143], -v[150:151]
	v_add_f64 v[13:14], v[13:14], v[129:130]
	v_fma_f64 v[129:130], v[11:12], v[142:143], v[159:160]
	v_add_f64 v[15:16], v[15:16], v[123:124]
	s_clause 0x4
	buffer_load_dword v124, off, s[0:3], 0 offset:588
	buffer_load_dword v142, off, s[0:3], 0 offset:600
	;; [unrolled: 1-line block ×5, first 2 shown]
	ds_read_b128 v[9:12], v135 offset:944
	s_waitcnt vmcnt(57) lgkmcnt(1)
	v_mul_f64 v[167:168], v[1:2], v[25:26]
	v_mul_f64 v[25:26], v[3:4], v[25:26]
	s_waitcnt vmcnt(56)
	v_fma_f64 v[156:157], v[5:6], v[165:166], -v[156:157]
	v_add_f64 v[13:14], v[13:14], v[150:151]
	v_fma_f64 v[150:151], v[7:8], v[165:166], v[152:153]
	v_add_f64 v[15:16], v[15:16], v[129:130]
	s_clause 0x2
	buffer_load_dword v143, off, s[0:3], 0 offset:604
	buffer_load_dword v130, off, s[0:3], 0 offset:580
	;; [unrolled: 1-line block ×3, first 2 shown]
	ds_read_b128 v[5:8], v135 offset:960
	buffer_load_dword v164, off, s[0:3], 0 offset:596
	s_waitcnt vmcnt(59) lgkmcnt(1)
	v_mul_f64 v[152:153], v[9:10], v[144:145]
	v_mul_f64 v[144:145], v[11:12], v[144:145]
	s_waitcnt vmcnt(57)
	v_fma_f64 v[25:26], v[1:2], v[19:20], -v[25:26]
	v_fma_f64 v[19:20], v[3:4], v[19:20], v[167:168]
	ds_read_b128 v[1:4], v135 offset:976
	v_add_f64 v[13:14], v[13:14], v[156:157]
	v_add_f64 v[15:16], v[15:16], v[150:151]
	s_waitcnt vmcnt(53) lgkmcnt(1)
	v_mul_f64 v[150:151], v[5:6], v[136:137]
	v_mul_f64 v[136:137], v[7:8], v[136:137]
	s_waitcnt vmcnt(52)
	v_fma_f64 v[144:145], v[9:10], v[161:162], -v[144:145]
	v_add_f64 v[13:14], v[13:14], v[25:26]
	v_fma_f64 v[25:26], v[11:12], v[161:162], v[152:153]
	v_add_f64 v[15:16], v[15:16], v[19:20]
	ds_read_b128 v[9:12], v135 offset:992
	s_waitcnt vmcnt(51) lgkmcnt(1)
	v_mul_f64 v[19:20], v[1:2], v[138:139]
	v_mul_f64 v[138:139], v[3:4], v[138:139]
	s_waitcnt vmcnt(49)
	v_fma_f64 v[136:137], v[5:6], v[21:22], -v[136:137]
	v_fma_f64 v[21:22], v[7:8], v[21:22], v[150:151]
	v_add_f64 v[13:14], v[13:14], v[144:145]
	v_add_f64 v[15:16], v[15:16], v[25:26]
	s_clause 0x3
	buffer_load_dword v25, off, s[0:3], 0 offset:32
	buffer_load_dword v26, off, s[0:3], 0 offset:36
	;; [unrolled: 1-line block ×4, first 2 shown]
	ds_read_b128 v[5:8], v135 offset:1008
	s_waitcnt vmcnt(49) lgkmcnt(1)
	v_mul_f64 v[150:151], v[9:10], v[17:18]
	v_mul_f64 v[17:18], v[11:12], v[17:18]
	s_waitcnt vmcnt(48)
	v_fma_f64 v[138:139], v[1:2], v[146:147], -v[138:139]
	v_fma_f64 v[19:20], v[3:4], v[146:147], v[19:20]
	ds_read_b128 v[1:4], v135 offset:1024
	v_add_f64 v[13:14], v[13:14], v[136:137]
	v_add_f64 v[15:16], v[15:16], v[21:22]
	s_waitcnt vmcnt(47) lgkmcnt(1)
	v_mul_f64 v[21:22], v[5:6], v[37:38]
	v_mul_f64 v[37:38], v[7:8], v[37:38]
	s_waitcnt vmcnt(45)
	v_fma_f64 v[17:18], v[9:10], v[27:28], -v[17:18]
	v_fma_f64 v[27:28], v[11:12], v[27:28], v[150:151]
	ds_read_b128 v[9:12], v135 offset:1040
	v_add_f64 v[13:14], v[13:14], v[138:139]
	v_add_f64 v[15:16], v[15:16], v[19:20]
	s_waitcnt vmcnt(41) lgkmcnt(1)
	v_mul_f64 v[19:20], v[1:2], v[23:24]
	v_mul_f64 v[23:24], v[3:4], v[23:24]
	s_waitcnt vmcnt(40)
	v_fma_f64 v[37:38], v[5:6], v[140:141], -v[37:38]
	v_add_f64 v[13:14], v[13:14], v[17:18]
	v_fma_f64 v[17:18], v[7:8], v[140:141], v[21:22]
	v_add_f64 v[15:16], v[15:16], v[27:28]
	ds_read_b128 v[5:8], v135 offset:1056
	s_waitcnt vmcnt(39) lgkmcnt(1)
	v_mul_f64 v[27:28], v[11:12], v[43:44]
	v_mul_f64 v[21:22], v[9:10], v[43:44]
	s_waitcnt vmcnt(37)
	v_fma_f64 v[19:20], v[3:4], v[33:34], v[19:20]
	v_fma_f64 v[23:24], v[1:2], v[33:34], -v[23:24]
	ds_read_b128 v[1:4], v135 offset:1072
	v_add_f64 v[13:14], v[13:14], v[37:38]
	v_add_f64 v[15:16], v[15:16], v[17:18]
	s_waitcnt vmcnt(33) lgkmcnt(1)
	v_mul_f64 v[17:18], v[5:6], v[29:30]
	v_mul_f64 v[29:30], v[7:8], v[29:30]
	s_waitcnt vmcnt(32)
	v_fma_f64 v[27:28], v[9:10], v[119:120], -v[27:28]
	v_fma_f64 v[21:22], v[11:12], v[119:120], v[21:22]
	ds_read_b128 v[9:12], v135 offset:1088
	v_add_f64 v[13:14], v[13:14], v[23:24]
	v_add_f64 v[15:16], v[15:16], v[19:20]
	s_waitcnt vmcnt(31) lgkmcnt(1)
	v_mul_f64 v[23:24], v[3:4], v[125:126]
	v_mul_f64 v[19:20], v[1:2], v[125:126]
	s_waitcnt vmcnt(29)
	v_fma_f64 v[29:30], v[5:6], v[31:32], -v[29:30]
	v_fma_f64 v[17:18], v[7:8], v[31:32], v[17:18]
	ds_read_b128 v[5:8], v135 offset:1104
	v_add_f64 v[13:14], v[13:14], v[27:28]
	v_add_f64 v[15:16], v[15:16], v[21:22]
	s_waitcnt vmcnt(25) lgkmcnt(1)
	v_mul_f64 v[27:28], v[11:12], v[35:36]
	s_waitcnt vmcnt(24)
	v_fma_f64 v[23:24], v[1:2], v[127:128], -v[23:24]
	v_mul_f64 v[21:22], v[9:10], v[35:36]
	v_fma_f64 v[19:20], v[3:4], v[127:128], v[19:20]
	ds_read_b128 v[1:4], v135 offset:1120
	v_add_f64 v[13:14], v[13:14], v[29:30]
	v_add_f64 v[15:16], v[15:16], v[17:18]
	s_waitcnt vmcnt(23) lgkmcnt(1)
	v_mul_f64 v[29:30], v[7:8], v[131:132]
	v_mul_f64 v[17:18], v[5:6], v[131:132]
	s_waitcnt vmcnt(21)
	v_fma_f64 v[27:28], v[9:10], v[39:40], -v[27:28]
	v_fma_f64 v[21:22], v[11:12], v[39:40], v[21:22]
	ds_read_b128 v[9:12], v135 offset:1136
	v_add_f64 v[13:14], v[13:14], v[23:24]
	v_add_f64 v[15:16], v[15:16], v[19:20]
	s_waitcnt vmcnt(17) lgkmcnt(1)
	v_mul_f64 v[23:24], v[3:4], v[41:42]
	s_waitcnt vmcnt(16)
	v_fma_f64 v[29:30], v[5:6], v[148:149], -v[29:30]
	v_mul_f64 v[19:20], v[1:2], v[41:42]
	v_fma_f64 v[17:18], v[7:8], v[148:149], v[17:18]
	ds_read_b128 v[5:8], v135 offset:1152
	v_add_f64 v[13:14], v[13:14], v[27:28]
	v_add_f64 v[15:16], v[15:16], v[21:22]
	s_waitcnt vmcnt(15) lgkmcnt(1)
	v_mul_f64 v[27:28], v[11:12], v[154:155]
	v_mul_f64 v[21:22], v[9:10], v[154:155]
	s_waitcnt vmcnt(13)
	v_fma_f64 v[23:24], v[1:2], v[121:122], -v[23:24]
	v_fma_f64 v[19:20], v[3:4], v[121:122], v[19:20]
	ds_read_b128 v[1:4], v135 offset:1168
	v_add_f64 v[13:14], v[13:14], v[29:30]
	v_add_f64 v[15:16], v[15:16], v[17:18]
	s_waitcnt vmcnt(9) lgkmcnt(1)
	v_mul_f64 v[29:30], v[7:8], v[123:124]
	s_waitcnt vmcnt(8)
	v_fma_f64 v[9:10], v[9:10], v[158:159], -v[27:28]
	v_mul_f64 v[17:18], v[5:6], v[123:124]
	v_fma_f64 v[11:12], v[11:12], v[158:159], v[21:22]
	v_add_f64 v[13:14], v[13:14], v[23:24]
	v_add_f64 v[15:16], v[15:16], v[19:20]
	s_waitcnt vmcnt(7) lgkmcnt(0)
	v_mul_f64 v[21:22], v[3:4], v[142:143]
	v_mul_f64 v[19:20], v[1:2], v[142:143]
	s_waitcnt vmcnt(5)
	v_fma_f64 v[5:6], v[5:6], v[129:130], -v[29:30]
	v_fma_f64 v[7:8], v[7:8], v[129:130], v[17:18]
	v_add_f64 v[9:10], v[13:14], v[9:10]
	v_add_f64 v[11:12], v[15:16], v[11:12]
	s_waitcnt vmcnt(4)
	v_fma_f64 v[1:2], v[1:2], v[163:164], -v[21:22]
	v_fma_f64 v[3:4], v[3:4], v[163:164], v[19:20]
	v_add_f64 v[5:6], v[9:10], v[5:6]
	v_add_f64 v[7:8], v[11:12], v[7:8]
	;; [unrolled: 1-line block ×4, first 2 shown]
	s_waitcnt vmcnt(2)
	v_add_f64 v[1:2], v[25:26], -v[1:2]
	s_waitcnt vmcnt(0)
	v_add_f64 v[3:4], v[144:145], -v[3:4]
	buffer_store_dword v2, off, s[0:3], 0 offset:36
	buffer_store_dword v1, off, s[0:3], 0 offset:32
	;; [unrolled: 1-line block ×4, first 2 shown]
	v_cmpx_ne_u32_e32 0, v0
	s_cbranch_execz .LBB36_235
; %bb.234:
	s_clause 0x3
	buffer_load_dword v0, off, s[0:3], 0 offset:16
	buffer_load_dword v1, off, s[0:3], 0 offset:20
	;; [unrolled: 1-line block ×4, first 2 shown]
	buffer_store_dword v135, off, s[0:3], 0 offset:16
	buffer_store_dword v135, off, s[0:3], 0 offset:20
	;; [unrolled: 1-line block ×4, first 2 shown]
	s_waitcnt vmcnt(0)
	ds_write_b128 v133, v[0:3]
.LBB36_235:
	s_or_b32 exec_lo, exec_lo, s4
	s_waitcnt lgkmcnt(0)
	s_waitcnt_vscnt null, 0x0
	s_barrier
	buffer_gl0_inv
	s_clause 0x37
	buffer_load_dword v8, off, s[0:3], 0 offset:40
	buffer_load_dword v9, off, s[0:3], 0 offset:44
	;; [unrolled: 1-line block ×56, first 2 shown]
	ds_read_b128 v[136:139], v135 offset:608
	s_clause 0x2
	buffer_load_dword v132, off, s[0:3], 0 offset:268
	buffer_load_dword v134, off, s[0:3], 0 offset:244
	;; [unrolled: 1-line block ×3, first 2 shown]
	ds_read_b128 v[140:143], v135 offset:624
	s_clause 0x4
	buffer_load_dword v151, off, s[0:3], 0 offset:284
	buffer_load_dword v152, off, s[0:3], 0 offset:296
	;; [unrolled: 1-line block ×5, first 2 shown]
	ds_read_b128 v[144:147], v135 offset:640
	s_clause 0x2
	buffer_load_dword v153, off, s[0:3], 0 offset:300
	buffer_load_dword v158, off, s[0:3], 0 offset:276
	;; [unrolled: 1-line block ×3, first 2 shown]
	s_and_b32 vcc_lo, exec_lo, s49
	s_waitcnt vmcnt(62) lgkmcnt(2)
	v_mul_f64 v[148:149], v[138:139], v[8:9]
	v_mul_f64 v[8:9], v[136:137], v[8:9]
	s_waitcnt lgkmcnt(1)
	v_mul_f64 v[155:156], v[142:143], v[4:5]
	s_waitcnt vmcnt(59) lgkmcnt(0)
	v_mul_f64 v[159:160], v[146:147], v[2:3]
	v_fma_f64 v[136:137], v[136:137], v[6:7], -v[148:149]
	v_mul_f64 v[148:149], v[140:141], v[4:5]
	v_fma_f64 v[8:9], v[138:139], v[6:7], v[8:9]
	s_waitcnt vmcnt(57)
	v_fma_f64 v[140:141], v[140:141], v[0:1], -v[155:156]
	ds_read_b128 v[4:7], v135 offset:656
	v_mul_f64 v[138:139], v[144:145], v[2:3]
	s_waitcnt vmcnt(51)
	v_fma_f64 v[144:145], v[144:145], v[24:25], -v[159:160]
	v_add_f64 v[136:137], v[136:137], 0
	v_fma_f64 v[142:143], v[142:143], v[0:1], v[148:149]
	v_add_f64 v[8:9], v[8:9], 0
	s_clause 0x4
	buffer_load_dword v149, off, s[0:3], 0 offset:316
	buffer_load_dword v161, off, s[0:3], 0 offset:328
	;; [unrolled: 1-line block ×5, first 2 shown]
	s_waitcnt lgkmcnt(0)
	v_mul_f64 v[164:165], v[4:5], v[12:13]
	v_mul_f64 v[12:13], v[6:7], v[12:13]
	ds_read_b128 v[0:3], v135 offset:672
	v_fma_f64 v[24:25], v[146:147], v[24:25], v[138:139]
	v_add_f64 v[140:141], v[136:137], v[140:141]
	v_add_f64 v[8:9], v[8:9], v[142:143]
	s_clause 0x2
	buffer_load_dword v162, off, s[0:3], 0 offset:332
	buffer_load_dword v143, off, s[0:3], 0 offset:308
	;; [unrolled: 1-line block ×3, first 2 shown]
	s_waitcnt vmcnt(58) lgkmcnt(0)
	v_mul_f64 v[146:147], v[0:1], v[16:17]
	v_mul_f64 v[16:17], v[2:3], v[16:17]
	s_waitcnt vmcnt(56)
	v_fma_f64 v[12:13], v[4:5], v[18:19], -v[12:13]
	ds_read_b128 v[136:139], v135 offset:688
	v_fma_f64 v[18:19], v[6:7], v[18:19], v[164:165]
	v_add_f64 v[140:141], v[140:141], v[144:145]
	v_add_f64 v[8:9], v[8:9], v[24:25]
	s_clause 0x4
	buffer_load_dword v25, off, s[0:3], 0 offset:348
	buffer_load_dword v144, off, s[0:3], 0 offset:360
	;; [unrolled: 1-line block ×5, first 2 shown]
	ds_read_b128 v[4:7], v135 offset:704
	s_waitcnt vmcnt(57) lgkmcnt(1)
	v_mul_f64 v[165:166], v[136:137], v[20:21]
	v_mul_f64 v[20:21], v[138:139], v[20:21]
	s_waitcnt vmcnt(56)
	v_fma_f64 v[16:17], v[0:1], v[10:11], -v[16:17]
	v_fma_f64 v[10:11], v[2:3], v[10:11], v[146:147]
	v_add_f64 v[12:13], v[140:141], v[12:13]
	v_add_f64 v[8:9], v[8:9], v[18:19]
	s_clause 0x2
	buffer_load_dword v145, off, s[0:3], 0 offset:364
	buffer_load_dword v19, off, s[0:3], 0 offset:340
	;; [unrolled: 1-line block ×3, first 2 shown]
	s_waitcnt vmcnt(58) lgkmcnt(0)
	v_mul_f64 v[140:141], v[4:5], v[26:27]
	v_mul_f64 v[26:27], v[6:7], v[26:27]
	s_waitcnt vmcnt(56)
	v_fma_f64 v[20:21], v[136:137], v[28:29], -v[20:21]
	ds_read_b128 v[0:3], v135 offset:720
	v_add_f64 v[12:13], v[12:13], v[16:17]
	v_fma_f64 v[16:17], v[138:139], v[28:29], v[165:166]
	v_add_f64 v[28:29], v[8:9], v[10:11]
	s_clause 0x4
	buffer_load_dword v137, off, s[0:3], 0 offset:380
	buffer_load_dword v138, off, s[0:3], 0 offset:392
	;; [unrolled: 1-line block ×5, first 2 shown]
	ds_read_b128 v[8:11], v135 offset:736
	s_waitcnt vmcnt(57) lgkmcnt(1)
	v_mul_f64 v[165:166], v[0:1], v[30:31]
	v_mul_f64 v[30:31], v[2:3], v[30:31]
	s_waitcnt vmcnt(56)
	v_fma_f64 v[26:27], v[4:5], v[14:15], -v[26:27]
	v_fma_f64 v[14:15], v[6:7], v[14:15], v[140:141]
	v_add_f64 v[12:13], v[12:13], v[20:21]
	s_clause 0x2
	buffer_load_dword v139, off, s[0:3], 0 offset:396
	buffer_load_dword v21, off, s[0:3], 0 offset:372
	;; [unrolled: 1-line block ×3, first 2 shown]
	v_add_f64 v[16:17], v[28:29], v[16:17]
	s_waitcnt vmcnt(58) lgkmcnt(0)
	v_mul_f64 v[28:29], v[8:9], v[34:35]
	v_mul_f64 v[34:35], v[10:11], v[34:35]
	ds_read_b128 v[4:7], v135 offset:752
	s_waitcnt vmcnt(56)
	v_fma_f64 v[30:31], v[0:1], v[36:37], -v[30:31]
	v_add_f64 v[12:13], v[12:13], v[26:27]
	v_fma_f64 v[26:27], v[2:3], v[36:37], v[165:166]
	v_add_f64 v[14:15], v[16:17], v[14:15]
	s_clause 0x4
	buffer_load_dword v17, off, s[0:3], 0 offset:412
	buffer_load_dword v36, off, s[0:3], 0 offset:424
	;; [unrolled: 1-line block ×5, first 2 shown]
	s_waitcnt vmcnt(57) lgkmcnt(0)
	v_mul_f64 v[165:166], v[4:5], v[38:39]
	v_mul_f64 v[38:39], v[6:7], v[38:39]
	s_waitcnt vmcnt(56)
	v_fma_f64 v[34:35], v[8:9], v[22:23], -v[34:35]
	ds_read_b128 v[0:3], v135 offset:768
	v_fma_f64 v[22:23], v[10:11], v[22:23], v[28:29]
	v_add_f64 v[12:13], v[12:13], v[30:31]
	v_add_f64 v[14:15], v[14:15], v[26:27]
	s_clause 0x2
	buffer_load_dword v37, off, s[0:3], 0 offset:428
	buffer_load_dword v27, off, s[0:3], 0 offset:404
	;; [unrolled: 1-line block ×3, first 2 shown]
	ds_read_b128 v[8:11], v135 offset:784
	s_waitcnt vmcnt(58) lgkmcnt(1)
	v_mul_f64 v[30:31], v[2:3], v[42:43]
	s_waitcnt vmcnt(56)
	v_fma_f64 v[38:39], v[4:5], v[119:120], -v[38:39]
	v_mul_f64 v[28:29], v[0:1], v[42:43]
	v_add_f64 v[12:13], v[12:13], v[34:35]
	v_fma_f64 v[34:35], v[6:7], v[119:120], v[165:166]
	v_add_f64 v[14:15], v[14:15], v[22:23]
	s_clause 0x4
	buffer_load_dword v23, off, s[0:3], 0 offset:444
	buffer_load_dword v42, off, s[0:3], 0 offset:456
	;; [unrolled: 1-line block ×5, first 2 shown]
	s_waitcnt vmcnt(57) lgkmcnt(0)
	v_mul_f64 v[165:166], v[8:9], v[121:122]
	v_mul_f64 v[120:121], v[10:11], v[121:122]
	s_waitcnt vmcnt(56)
	v_fma_f64 v[30:31], v[0:1], v[32:33], -v[30:31]
	ds_read_b128 v[4:7], v135 offset:800
	v_fma_f64 v[28:29], v[2:3], v[32:33], v[28:29]
	s_clause 0x2
	buffer_load_dword v43, off, s[0:3], 0 offset:460
	buffer_load_dword v33, off, s[0:3], 0 offset:436
	buffer_load_dword v32, off, s[0:3], 0 offset:432
	ds_read_b128 v[0:3], v135 offset:816
	v_add_f64 v[12:13], v[12:13], v[38:39]
	v_add_f64 v[14:15], v[14:15], v[34:35]
	s_waitcnt vmcnt(58) lgkmcnt(1)
	v_mul_f64 v[38:39], v[6:7], v[125:126]
	s_waitcnt vmcnt(56)
	v_fma_f64 v[121:122], v[8:9], v[127:128], -v[120:121]
	v_mul_f64 v[34:35], v[4:5], v[125:126]
	v_add_f64 v[12:13], v[12:13], v[30:31]
	v_fma_f64 v[30:31], v[10:11], v[127:128], v[165:166]
	v_add_f64 v[14:15], v[14:15], v[28:29]
	s_clause 0x4
	buffer_load_dword v29, off, s[0:3], 0 offset:476
	buffer_load_dword v125, off, s[0:3], 0 offset:488
	buffer_load_dword v127, off, s[0:3], 0 offset:480
	buffer_load_dword v28, off, s[0:3], 0 offset:472
	buffer_load_dword v120, off, s[0:3], 0 offset:452
	s_waitcnt vmcnt(57) lgkmcnt(0)
	v_mul_f64 v[165:166], v[0:1], v[129:130]
	v_mul_f64 v[128:129], v[2:3], v[129:130]
	s_waitcnt vmcnt(56)
	v_fma_f64 v[38:39], v[4:5], v[40:41], -v[38:39]
	ds_read_b128 v[8:11], v135 offset:832
	v_fma_f64 v[34:35], v[6:7], v[40:41], v[34:35]
	v_add_f64 v[12:13], v[12:13], v[121:122]
	v_add_f64 v[14:15], v[14:15], v[30:31]
	s_clause 0x2
	buffer_load_dword v126, off, s[0:3], 0 offset:492
	buffer_load_dword v31, off, s[0:3], 0 offset:468
	;; [unrolled: 1-line block ×3, first 2 shown]
	ds_read_b128 v[4:7], v135 offset:848
	s_waitcnt vmcnt(58) lgkmcnt(1)
	v_mul_f64 v[121:122], v[10:11], v[131:132]
	s_waitcnt vmcnt(56)
	v_fma_f64 v[129:130], v[0:1], v[133:134], -v[128:129]
	v_mul_f64 v[40:41], v[8:9], v[131:132]
	v_add_f64 v[12:13], v[12:13], v[38:39]
	v_fma_f64 v[38:39], v[2:3], v[133:134], v[165:166]
	v_add_f64 v[14:15], v[14:15], v[34:35]
	s_clause 0x4
	buffer_load_dword v35, off, s[0:3], 0 offset:508
	buffer_load_dword v131, off, s[0:3], 0 offset:520
	;; [unrolled: 1-line block ×5, first 2 shown]
	s_waitcnt vmcnt(57) lgkmcnt(0)
	v_mul_f64 v[165:166], v[4:5], v[150:151]
	v_mul_f64 v[150:151], v[6:7], v[150:151]
	s_waitcnt vmcnt(56)
	v_fma_f64 v[121:122], v[8:9], v[123:124], -v[121:122]
	ds_read_b128 v[0:3], v135 offset:864
	v_fma_f64 v[40:41], v[10:11], v[123:124], v[40:41]
	v_add_f64 v[12:13], v[12:13], v[129:130]
	v_add_f64 v[14:15], v[14:15], v[38:39]
	s_clause 0x2
	buffer_load_dword v132, off, s[0:3], 0 offset:524
	buffer_load_dword v39, off, s[0:3], 0 offset:500
	;; [unrolled: 1-line block ×3, first 2 shown]
	ds_read_b128 v[8:11], v135 offset:880
	s_waitcnt vmcnt(58) lgkmcnt(1)
	v_mul_f64 v[129:130], v[2:3], v[152:153]
	s_waitcnt vmcnt(56)
	v_fma_f64 v[150:151], v[4:5], v[157:158], -v[150:151]
	v_mul_f64 v[123:124], v[0:1], v[152:153]
	v_add_f64 v[12:13], v[12:13], v[121:122]
	v_fma_f64 v[121:122], v[6:7], v[157:158], v[165:166]
	v_add_f64 v[14:15], v[14:15], v[40:41]
	s_clause 0x4
	buffer_load_dword v41, off, s[0:3], 0 offset:540
	buffer_load_dword v152, off, s[0:3], 0 offset:552
	;; [unrolled: 1-line block ×5, first 2 shown]
	ds_read_b128 v[4:7], v135 offset:896
	s_waitcnt vmcnt(57) lgkmcnt(1)
	v_mul_f64 v[157:158], v[8:9], v[148:149]
	v_mul_f64 v[148:149], v[10:11], v[148:149]
	s_waitcnt vmcnt(56)
	v_fma_f64 v[129:130], v[0:1], v[154:155], -v[129:130]
	v_fma_f64 v[123:124], v[2:3], v[154:155], v[123:124]
	v_add_f64 v[12:13], v[12:13], v[150:151]
	v_add_f64 v[14:15], v[14:15], v[121:122]
	s_clause 0x2
	buffer_load_dword v153, off, s[0:3], 0 offset:556
	buffer_load_dword v122, off, s[0:3], 0 offset:532
	;; [unrolled: 1-line block ×3, first 2 shown]
	ds_read_b128 v[0:3], v135 offset:912
	s_waitcnt vmcnt(58) lgkmcnt(1)
	v_mul_f64 v[154:155], v[6:7], v[161:162]
	v_mul_f64 v[150:151], v[4:5], v[161:162]
	s_waitcnt vmcnt(56)
	v_fma_f64 v[148:149], v[8:9], v[142:143], -v[148:149]
	v_add_f64 v[12:13], v[12:13], v[129:130]
	v_fma_f64 v[129:130], v[10:11], v[142:143], v[157:158]
	v_add_f64 v[14:15], v[14:15], v[123:124]
	s_clause 0x4
	buffer_load_dword v124, off, s[0:3], 0 offset:572
	buffer_load_dword v142, off, s[0:3], 0 offset:584
	;; [unrolled: 1-line block ×5, first 2 shown]
	ds_read_b128 v[8:11], v135 offset:928
	s_waitcnt vmcnt(57) lgkmcnt(1)
	v_mul_f64 v[165:166], v[0:1], v[24:25]
	v_mul_f64 v[24:25], v[2:3], v[24:25]
	s_waitcnt vmcnt(56)
	v_fma_f64 v[154:155], v[4:5], v[163:164], -v[154:155]
	v_add_f64 v[12:13], v[12:13], v[148:149]
	v_fma_f64 v[148:149], v[6:7], v[163:164], v[150:151]
	v_add_f64 v[14:15], v[14:15], v[129:130]
	s_clause 0x2
	buffer_load_dword v143, off, s[0:3], 0 offset:588
	buffer_load_dword v130, off, s[0:3], 0 offset:564
	;; [unrolled: 1-line block ×3, first 2 shown]
	ds_read_b128 v[4:7], v135 offset:944
	s_waitcnt vmcnt(58) lgkmcnt(1)
	v_mul_f64 v[150:151], v[8:9], v[144:145]
	v_mul_f64 v[144:145], v[10:11], v[144:145]
	s_waitcnt vmcnt(56)
	v_fma_f64 v[24:25], v[0:1], v[18:19], -v[24:25]
	v_fma_f64 v[18:19], v[2:3], v[18:19], v[165:166]
	v_add_f64 v[12:13], v[12:13], v[154:155]
	v_add_f64 v[14:15], v[14:15], v[148:149]
	s_clause 0x2
	buffer_load_dword v149, off, s[0:3], 0 offset:604
	buffer_load_dword v148, off, s[0:3], 0 offset:600
	;; [unrolled: 1-line block ×3, first 2 shown]
	ds_read_b128 v[0:3], v135 offset:960
	s_waitcnt vmcnt(55) lgkmcnt(1)
	v_mul_f64 v[154:155], v[4:5], v[136:137]
	v_mul_f64 v[136:137], v[6:7], v[136:137]
	s_waitcnt vmcnt(54)
	v_fma_f64 v[144:145], v[8:9], v[159:160], -v[144:145]
	v_add_f64 v[12:13], v[12:13], v[24:25]
	v_fma_f64 v[24:25], v[10:11], v[159:160], v[150:151]
	v_add_f64 v[14:15], v[14:15], v[18:19]
	s_clause 0x1
	buffer_load_dword v19, off, s[0:3], 0 offset:596
	buffer_load_dword v18, off, s[0:3], 0 offset:592
	ds_read_b128 v[8:11], v135 offset:976
	s_waitcnt vmcnt(55) lgkmcnt(1)
	v_mul_f64 v[150:151], v[0:1], v[138:139]
	v_mul_f64 v[138:139], v[2:3], v[138:139]
	s_waitcnt vmcnt(53)
	v_fma_f64 v[136:137], v[4:5], v[20:21], -v[136:137]
	v_fma_f64 v[20:21], v[6:7], v[20:21], v[154:155]
	ds_read_b128 v[4:7], v135 offset:992
	v_add_f64 v[12:13], v[12:13], v[144:145]
	v_add_f64 v[14:15], v[14:15], v[24:25]
	s_waitcnt vmcnt(49) lgkmcnt(1)
	v_mul_f64 v[24:25], v[8:9], v[16:17]
	v_mul_f64 v[16:17], v[10:11], v[16:17]
	s_waitcnt vmcnt(48)
	v_fma_f64 v[138:139], v[0:1], v[146:147], -v[138:139]
	v_add_f64 v[12:13], v[12:13], v[136:137]
	v_fma_f64 v[136:137], v[2:3], v[146:147], v[150:151]
	v_add_f64 v[14:15], v[14:15], v[20:21]
	s_clause 0x3
	buffer_load_dword v20, off, s[0:3], 0 offset:16
	buffer_load_dword v21, off, s[0:3], 0 offset:20
	;; [unrolled: 1-line block ×4, first 2 shown]
	ds_read_b128 v[0:3], v135 offset:1008
	s_waitcnt vmcnt(51) lgkmcnt(1)
	v_mul_f64 v[146:147], v[4:5], v[36:37]
	v_mul_f64 v[36:37], v[6:7], v[36:37]
	s_waitcnt vmcnt(49)
	v_fma_f64 v[16:17], v[8:9], v[26:27], -v[16:17]
	v_fma_f64 v[24:25], v[10:11], v[26:27], v[24:25]
	ds_read_b128 v[8:11], v135 offset:1024
	v_add_f64 v[12:13], v[12:13], v[138:139]
	v_add_f64 v[14:15], v[14:15], v[136:137]
	s_waitcnt vmcnt(45) lgkmcnt(1)
	v_mul_f64 v[26:27], v[0:1], v[22:23]
	v_mul_f64 v[22:23], v[2:3], v[22:23]
	s_waitcnt vmcnt(44)
	v_fma_f64 v[36:37], v[4:5], v[140:141], -v[36:37]
	v_add_f64 v[12:13], v[12:13], v[16:17]
	v_fma_f64 v[16:17], v[6:7], v[140:141], v[146:147]
	v_add_f64 v[14:15], v[14:15], v[24:25]
	s_waitcnt vmcnt(43) lgkmcnt(0)
	v_mul_f64 v[24:25], v[8:9], v[42:43]
	v_mul_f64 v[42:43], v[10:11], v[42:43]
	ds_read_b128 v[4:7], v135 offset:1040
	s_waitcnt vmcnt(41)
	v_fma_f64 v[26:27], v[2:3], v[32:33], v[26:27]
	v_fma_f64 v[22:23], v[0:1], v[32:33], -v[22:23]
	ds_read_b128 v[0:3], v135 offset:1056
	v_add_f64 v[12:13], v[12:13], v[36:37]
	v_add_f64 v[14:15], v[14:15], v[16:17]
	s_waitcnt vmcnt(37) lgkmcnt(1)
	v_mul_f64 v[16:17], v[4:5], v[28:29]
	v_mul_f64 v[28:29], v[6:7], v[28:29]
	s_waitcnt vmcnt(36)
	v_fma_f64 v[32:33], v[8:9], v[119:120], -v[42:43]
	v_add_f64 v[12:13], v[12:13], v[22:23]
	v_fma_f64 v[22:23], v[10:11], v[119:120], v[24:25]
	v_add_f64 v[14:15], v[14:15], v[26:27]
	ds_read_b128 v[8:11], v135 offset:1072
	s_waitcnt vmcnt(35) lgkmcnt(1)
	v_mul_f64 v[26:27], v[2:3], v[125:126]
	v_mul_f64 v[24:25], v[0:1], v[125:126]
	s_waitcnt vmcnt(33)
	v_fma_f64 v[28:29], v[4:5], v[30:31], -v[28:29]
	v_fma_f64 v[16:17], v[6:7], v[30:31], v[16:17]
	ds_read_b128 v[4:7], v135 offset:1088
	v_add_f64 v[12:13], v[12:13], v[32:33]
	v_add_f64 v[14:15], v[14:15], v[22:23]
	s_waitcnt vmcnt(29) lgkmcnt(1)
	v_mul_f64 v[30:31], v[10:11], v[34:35]
	s_waitcnt vmcnt(28)
	v_fma_f64 v[26:27], v[0:1], v[127:128], -v[26:27]
	v_mul_f64 v[22:23], v[8:9], v[34:35]
	v_fma_f64 v[24:25], v[2:3], v[127:128], v[24:25]
	ds_read_b128 v[0:3], v135 offset:1104
	v_add_f64 v[12:13], v[12:13], v[28:29]
	v_add_f64 v[14:15], v[14:15], v[16:17]
	s_waitcnt vmcnt(27) lgkmcnt(1)
	v_mul_f64 v[28:29], v[6:7], v[131:132]
	v_mul_f64 v[16:17], v[4:5], v[131:132]
	s_waitcnt vmcnt(25)
	v_fma_f64 v[30:31], v[8:9], v[38:39], -v[30:31]
	v_fma_f64 v[22:23], v[10:11], v[38:39], v[22:23]
	ds_read_b128 v[8:11], v135 offset:1120
	v_add_f64 v[12:13], v[12:13], v[26:27]
	v_add_f64 v[14:15], v[14:15], v[24:25]
	s_waitcnt vmcnt(21) lgkmcnt(1)
	v_mul_f64 v[26:27], v[2:3], v[40:41]
	s_waitcnt vmcnt(20)
	v_fma_f64 v[28:29], v[4:5], v[133:134], -v[28:29]
	v_mul_f64 v[24:25], v[0:1], v[40:41]
	v_fma_f64 v[16:17], v[6:7], v[133:134], v[16:17]
	ds_read_b128 v[4:7], v135 offset:1136
	v_add_f64 v[12:13], v[12:13], v[30:31]
	v_add_f64 v[14:15], v[14:15], v[22:23]
	;; [unrolled: 18-line block ×3, first 2 shown]
	s_waitcnt vmcnt(11) lgkmcnt(1)
	v_mul_f64 v[26:27], v[2:3], v[142:143]
	v_mul_f64 v[24:25], v[0:1], v[142:143]
	s_waitcnt vmcnt(9)
	v_fma_f64 v[4:5], v[4:5], v[129:130], -v[28:29]
	v_fma_f64 v[6:7], v[6:7], v[129:130], v[16:17]
	v_add_f64 v[12:13], v[12:13], v[30:31]
	v_add_f64 v[14:15], v[14:15], v[22:23]
	s_waitcnt vmcnt(7) lgkmcnt(0)
	v_mul_f64 v[22:23], v[10:11], v[148:149]
	s_waitcnt vmcnt(6)
	v_fma_f64 v[0:1], v[0:1], v[161:162], -v[26:27]
	v_mul_f64 v[16:17], v[8:9], v[148:149]
	v_fma_f64 v[2:3], v[2:3], v[161:162], v[24:25]
	v_add_f64 v[4:5], v[12:13], v[4:5]
	v_add_f64 v[6:7], v[14:15], v[6:7]
	s_waitcnt vmcnt(4)
	v_fma_f64 v[8:9], v[8:9], v[18:19], -v[22:23]
	v_add_f64 v[0:1], v[4:5], v[0:1]
	v_fma_f64 v[4:5], v[10:11], v[18:19], v[16:17]
	v_add_f64 v[2:3], v[6:7], v[2:3]
	v_add_f64 v[0:1], v[0:1], v[8:9]
	;; [unrolled: 1-line block ×3, first 2 shown]
	s_waitcnt vmcnt(2)
	v_add_f64 v[0:1], v[20:21], -v[0:1]
	s_waitcnt vmcnt(0)
	v_add_f64 v[2:3], v[144:145], -v[2:3]
	buffer_store_dword v1, off, s[0:3], 0 offset:20
	buffer_store_dword v0, off, s[0:3], 0 offset:16
	;; [unrolled: 1-line block ×4, first 2 shown]
	s_cbranch_vccz .LBB36_308
; %bb.236:
	v_mov_b32_e32 v0, 0
	global_load_dword v1, v0, s[20:21] offset:140
	s_waitcnt vmcnt(0)
	v_add_nc_u32_e32 v1, -1, v1
	v_cmp_ne_u32_e32 vcc_lo, 35, v1
	s_cbranch_vccz .LBB36_238
; %bb.237:
	v_lshlrev_b32_e32 v1, 4, v1
	v_mov_b32_e32 v2, s9
	v_add_nc_u32_e32 v1, 16, v1
	s_clause 0x7
	buffer_load_dword v3, v1, s[0:3], 0 offen
	buffer_load_dword v4, v1, s[0:3], 0 offen offset:4
	buffer_load_dword v5, v1, s[0:3], 0 offen offset:8
	;; [unrolled: 1-line block ×6, first 2 shown]
	buffer_load_dword v10, v2, s[0:3], 0 offen
	s_waitcnt vmcnt(7)
	buffer_store_dword v3, v2, s[0:3], 0 offen
	s_waitcnt vmcnt(6)
	buffer_store_dword v4, v2, s[0:3], 0 offen offset:4
	s_waitcnt vmcnt(5)
	buffer_store_dword v5, v2, s[0:3], 0 offen offset:8
	;; [unrolled: 2-line block ×6, first 2 shown]
	s_waitcnt vmcnt(0)
	buffer_store_dword v10, v1, s[0:3], 0 offen
.LBB36_238:
	global_load_dword v0, v0, s[20:21] offset:136
	s_waitcnt vmcnt(0)
	v_add_nc_u32_e32 v0, -1, v0
	v_cmp_eq_u32_e32 vcc_lo, 34, v0
	s_cbranch_vccnz .LBB36_240
; %bb.239:
	v_lshlrev_b32_e32 v0, 4, v0
	v_mov_b32_e32 v1, s12
	v_add_nc_u32_e32 v0, 16, v0
	s_clause 0x7
	buffer_load_dword v2, v0, s[0:3], 0 offen
	buffer_load_dword v3, v0, s[0:3], 0 offen offset:4
	buffer_load_dword v4, v0, s[0:3], 0 offen offset:8
	;; [unrolled: 1-line block ×6, first 2 shown]
	buffer_load_dword v9, v1, s[0:3], 0 offen
	s_waitcnt vmcnt(7)
	buffer_store_dword v2, v1, s[0:3], 0 offen
	s_waitcnt vmcnt(6)
	buffer_store_dword v3, v1, s[0:3], 0 offen offset:4
	s_waitcnt vmcnt(5)
	buffer_store_dword v4, v1, s[0:3], 0 offen offset:8
	;; [unrolled: 2-line block ×6, first 2 shown]
	s_waitcnt vmcnt(0)
	buffer_store_dword v9, v0, s[0:3], 0 offen
.LBB36_240:
	v_mov_b32_e32 v0, 0
	global_load_dword v1, v0, s[20:21] offset:132
	s_waitcnt vmcnt(0)
	v_add_nc_u32_e32 v1, -1, v1
	v_cmp_eq_u32_e32 vcc_lo, 33, v1
	s_cbranch_vccnz .LBB36_242
; %bb.241:
	v_lshlrev_b32_e32 v1, 4, v1
	v_mov_b32_e32 v2, s13
	v_add_nc_u32_e32 v1, 16, v1
	s_clause 0x7
	buffer_load_dword v3, v1, s[0:3], 0 offen
	buffer_load_dword v4, v1, s[0:3], 0 offen offset:4
	buffer_load_dword v5, v1, s[0:3], 0 offen offset:8
	;; [unrolled: 1-line block ×6, first 2 shown]
	buffer_load_dword v10, v2, s[0:3], 0 offen
	s_waitcnt vmcnt(7)
	buffer_store_dword v3, v2, s[0:3], 0 offen
	s_waitcnt vmcnt(6)
	buffer_store_dword v4, v2, s[0:3], 0 offen offset:4
	s_waitcnt vmcnt(5)
	buffer_store_dword v5, v2, s[0:3], 0 offen offset:8
	;; [unrolled: 2-line block ×6, first 2 shown]
	s_waitcnt vmcnt(0)
	buffer_store_dword v10, v1, s[0:3], 0 offen
.LBB36_242:
	global_load_dword v0, v0, s[20:21] offset:128
	s_waitcnt vmcnt(0)
	v_add_nc_u32_e32 v0, -1, v0
	v_cmp_eq_u32_e32 vcc_lo, 32, v0
	s_cbranch_vccnz .LBB36_244
; %bb.243:
	v_lshlrev_b32_e32 v0, 4, v0
	v_mov_b32_e32 v1, s14
	v_add_nc_u32_e32 v0, 16, v0
	s_clause 0x7
	buffer_load_dword v2, v0, s[0:3], 0 offen
	buffer_load_dword v3, v0, s[0:3], 0 offen offset:4
	buffer_load_dword v4, v0, s[0:3], 0 offen offset:8
	;; [unrolled: 1-line block ×6, first 2 shown]
	buffer_load_dword v9, v1, s[0:3], 0 offen
	s_waitcnt vmcnt(7)
	buffer_store_dword v2, v1, s[0:3], 0 offen
	s_waitcnt vmcnt(6)
	buffer_store_dword v3, v1, s[0:3], 0 offen offset:4
	s_waitcnt vmcnt(5)
	buffer_store_dword v4, v1, s[0:3], 0 offen offset:8
	;; [unrolled: 2-line block ×6, first 2 shown]
	s_waitcnt vmcnt(0)
	buffer_store_dword v9, v0, s[0:3], 0 offen
.LBB36_244:
	v_mov_b32_e32 v0, 0
	global_load_dword v1, v0, s[20:21] offset:124
	s_waitcnt vmcnt(0)
	v_add_nc_u32_e32 v1, -1, v1
	v_cmp_eq_u32_e32 vcc_lo, 31, v1
	s_cbranch_vccnz .LBB36_246
; %bb.245:
	v_lshlrev_b32_e32 v1, 4, v1
	v_mov_b32_e32 v2, s15
	v_add_nc_u32_e32 v1, 16, v1
	s_clause 0x7
	buffer_load_dword v3, v1, s[0:3], 0 offen
	buffer_load_dword v4, v1, s[0:3], 0 offen offset:4
	buffer_load_dword v5, v1, s[0:3], 0 offen offset:8
	;; [unrolled: 1-line block ×6, first 2 shown]
	buffer_load_dword v10, v2, s[0:3], 0 offen
	s_waitcnt vmcnt(7)
	buffer_store_dword v3, v2, s[0:3], 0 offen
	s_waitcnt vmcnt(6)
	buffer_store_dword v4, v2, s[0:3], 0 offen offset:4
	s_waitcnt vmcnt(5)
	buffer_store_dword v5, v2, s[0:3], 0 offen offset:8
	;; [unrolled: 2-line block ×6, first 2 shown]
	s_waitcnt vmcnt(0)
	buffer_store_dword v10, v1, s[0:3], 0 offen
.LBB36_246:
	global_load_dword v0, v0, s[20:21] offset:120
	s_waitcnt vmcnt(0)
	v_add_nc_u32_e32 v0, -1, v0
	v_cmp_eq_u32_e32 vcc_lo, 30, v0
	s_cbranch_vccnz .LBB36_248
; %bb.247:
	v_lshlrev_b32_e32 v0, 4, v0
	v_mov_b32_e32 v1, s16
	v_add_nc_u32_e32 v0, 16, v0
	s_clause 0x7
	buffer_load_dword v2, v0, s[0:3], 0 offen
	buffer_load_dword v3, v0, s[0:3], 0 offen offset:4
	buffer_load_dword v4, v0, s[0:3], 0 offen offset:8
	;; [unrolled: 1-line block ×6, first 2 shown]
	buffer_load_dword v9, v1, s[0:3], 0 offen
	s_waitcnt vmcnt(7)
	buffer_store_dword v2, v1, s[0:3], 0 offen
	s_waitcnt vmcnt(6)
	buffer_store_dword v3, v1, s[0:3], 0 offen offset:4
	s_waitcnt vmcnt(5)
	buffer_store_dword v4, v1, s[0:3], 0 offen offset:8
	;; [unrolled: 2-line block ×6, first 2 shown]
	s_waitcnt vmcnt(0)
	buffer_store_dword v9, v0, s[0:3], 0 offen
.LBB36_248:
	v_mov_b32_e32 v0, 0
	global_load_dword v1, v0, s[20:21] offset:116
	s_waitcnt vmcnt(0)
	v_add_nc_u32_e32 v1, -1, v1
	v_cmp_eq_u32_e32 vcc_lo, 29, v1
	s_cbranch_vccnz .LBB36_250
; %bb.249:
	v_lshlrev_b32_e32 v1, 4, v1
	v_mov_b32_e32 v2, s17
	v_add_nc_u32_e32 v1, 16, v1
	s_clause 0x7
	buffer_load_dword v3, v1, s[0:3], 0 offen
	buffer_load_dword v4, v1, s[0:3], 0 offen offset:4
	buffer_load_dword v5, v1, s[0:3], 0 offen offset:8
	;; [unrolled: 1-line block ×6, first 2 shown]
	buffer_load_dword v10, v2, s[0:3], 0 offen
	s_waitcnt vmcnt(7)
	buffer_store_dword v3, v2, s[0:3], 0 offen
	s_waitcnt vmcnt(6)
	buffer_store_dword v4, v2, s[0:3], 0 offen offset:4
	s_waitcnt vmcnt(5)
	buffer_store_dword v5, v2, s[0:3], 0 offen offset:8
	s_waitcnt vmcnt(4)
	buffer_store_dword v6, v2, s[0:3], 0 offen offset:12
	s_waitcnt vmcnt(3)
	buffer_store_dword v7, v1, s[0:3], 0 offen offset:12
	s_waitcnt vmcnt(2)
	buffer_store_dword v8, v1, s[0:3], 0 offen offset:8
	s_waitcnt vmcnt(1)
	buffer_store_dword v9, v1, s[0:3], 0 offen offset:4
	s_waitcnt vmcnt(0)
	buffer_store_dword v10, v1, s[0:3], 0 offen
.LBB36_250:
	global_load_dword v0, v0, s[20:21] offset:112
	s_waitcnt vmcnt(0)
	v_add_nc_u32_e32 v0, -1, v0
	v_cmp_eq_u32_e32 vcc_lo, 28, v0
	s_cbranch_vccnz .LBB36_252
; %bb.251:
	v_lshlrev_b32_e32 v0, 4, v0
	v_mov_b32_e32 v1, s18
	v_add_nc_u32_e32 v0, 16, v0
	s_clause 0x7
	buffer_load_dword v2, v0, s[0:3], 0 offen
	buffer_load_dword v3, v0, s[0:3], 0 offen offset:4
	buffer_load_dword v4, v0, s[0:3], 0 offen offset:8
	;; [unrolled: 1-line block ×6, first 2 shown]
	buffer_load_dword v9, v1, s[0:3], 0 offen
	s_waitcnt vmcnt(7)
	buffer_store_dword v2, v1, s[0:3], 0 offen
	s_waitcnt vmcnt(6)
	buffer_store_dword v3, v1, s[0:3], 0 offen offset:4
	s_waitcnt vmcnt(5)
	buffer_store_dword v4, v1, s[0:3], 0 offen offset:8
	;; [unrolled: 2-line block ×6, first 2 shown]
	s_waitcnt vmcnt(0)
	buffer_store_dword v9, v0, s[0:3], 0 offen
.LBB36_252:
	v_mov_b32_e32 v0, 0
	global_load_dword v1, v0, s[20:21] offset:108
	s_waitcnt vmcnt(0)
	v_add_nc_u32_e32 v1, -1, v1
	v_cmp_eq_u32_e32 vcc_lo, 27, v1
	s_cbranch_vccnz .LBB36_254
; %bb.253:
	v_lshlrev_b32_e32 v1, 4, v1
	v_mov_b32_e32 v2, s19
	v_add_nc_u32_e32 v1, 16, v1
	s_clause 0x7
	buffer_load_dword v3, v1, s[0:3], 0 offen
	buffer_load_dword v4, v1, s[0:3], 0 offen offset:4
	buffer_load_dword v5, v1, s[0:3], 0 offen offset:8
	;; [unrolled: 1-line block ×6, first 2 shown]
	buffer_load_dword v10, v2, s[0:3], 0 offen
	s_waitcnt vmcnt(7)
	buffer_store_dword v3, v2, s[0:3], 0 offen
	s_waitcnt vmcnt(6)
	buffer_store_dword v4, v2, s[0:3], 0 offen offset:4
	s_waitcnt vmcnt(5)
	buffer_store_dword v5, v2, s[0:3], 0 offen offset:8
	s_waitcnt vmcnt(4)
	buffer_store_dword v6, v2, s[0:3], 0 offen offset:12
	s_waitcnt vmcnt(3)
	buffer_store_dword v7, v1, s[0:3], 0 offen offset:12
	s_waitcnt vmcnt(2)
	buffer_store_dword v8, v1, s[0:3], 0 offen offset:8
	s_waitcnt vmcnt(1)
	buffer_store_dword v9, v1, s[0:3], 0 offen offset:4
	s_waitcnt vmcnt(0)
	buffer_store_dword v10, v1, s[0:3], 0 offen
.LBB36_254:
	global_load_dword v0, v0, s[20:21] offset:104
	s_waitcnt vmcnt(0)
	v_add_nc_u32_e32 v0, -1, v0
	v_cmp_eq_u32_e32 vcc_lo, 26, v0
	s_cbranch_vccnz .LBB36_256
; %bb.255:
	v_lshlrev_b32_e32 v0, 4, v0
	v_mov_b32_e32 v1, s22
	v_add_nc_u32_e32 v0, 16, v0
	s_clause 0x7
	buffer_load_dword v2, v0, s[0:3], 0 offen
	buffer_load_dword v3, v0, s[0:3], 0 offen offset:4
	buffer_load_dword v4, v0, s[0:3], 0 offen offset:8
	;; [unrolled: 1-line block ×6, first 2 shown]
	buffer_load_dword v9, v1, s[0:3], 0 offen
	s_waitcnt vmcnt(7)
	buffer_store_dword v2, v1, s[0:3], 0 offen
	s_waitcnt vmcnt(6)
	buffer_store_dword v3, v1, s[0:3], 0 offen offset:4
	s_waitcnt vmcnt(5)
	buffer_store_dword v4, v1, s[0:3], 0 offen offset:8
	;; [unrolled: 2-line block ×6, first 2 shown]
	s_waitcnt vmcnt(0)
	buffer_store_dword v9, v0, s[0:3], 0 offen
.LBB36_256:
	v_mov_b32_e32 v0, 0
	global_load_dword v1, v0, s[20:21] offset:100
	s_waitcnt vmcnt(0)
	v_add_nc_u32_e32 v1, -1, v1
	v_cmp_eq_u32_e32 vcc_lo, 25, v1
	s_cbranch_vccnz .LBB36_258
; %bb.257:
	v_lshlrev_b32_e32 v1, 4, v1
	v_mov_b32_e32 v2, s23
	v_add_nc_u32_e32 v1, 16, v1
	s_clause 0x7
	buffer_load_dword v3, v1, s[0:3], 0 offen
	buffer_load_dword v4, v1, s[0:3], 0 offen offset:4
	buffer_load_dword v5, v1, s[0:3], 0 offen offset:8
	;; [unrolled: 1-line block ×6, first 2 shown]
	buffer_load_dword v10, v2, s[0:3], 0 offen
	s_waitcnt vmcnt(7)
	buffer_store_dword v3, v2, s[0:3], 0 offen
	s_waitcnt vmcnt(6)
	buffer_store_dword v4, v2, s[0:3], 0 offen offset:4
	s_waitcnt vmcnt(5)
	buffer_store_dword v5, v2, s[0:3], 0 offen offset:8
	;; [unrolled: 2-line block ×6, first 2 shown]
	s_waitcnt vmcnt(0)
	buffer_store_dword v10, v1, s[0:3], 0 offen
.LBB36_258:
	global_load_dword v0, v0, s[20:21] offset:96
	s_waitcnt vmcnt(0)
	v_add_nc_u32_e32 v0, -1, v0
	v_cmp_eq_u32_e32 vcc_lo, 24, v0
	s_cbranch_vccnz .LBB36_260
; %bb.259:
	v_lshlrev_b32_e32 v0, 4, v0
	v_mov_b32_e32 v1, s24
	v_add_nc_u32_e32 v0, 16, v0
	s_clause 0x7
	buffer_load_dword v2, v0, s[0:3], 0 offen
	buffer_load_dword v3, v0, s[0:3], 0 offen offset:4
	buffer_load_dword v4, v0, s[0:3], 0 offen offset:8
	;; [unrolled: 1-line block ×6, first 2 shown]
	buffer_load_dword v9, v1, s[0:3], 0 offen
	s_waitcnt vmcnt(7)
	buffer_store_dword v2, v1, s[0:3], 0 offen
	s_waitcnt vmcnt(6)
	buffer_store_dword v3, v1, s[0:3], 0 offen offset:4
	s_waitcnt vmcnt(5)
	buffer_store_dword v4, v1, s[0:3], 0 offen offset:8
	;; [unrolled: 2-line block ×6, first 2 shown]
	s_waitcnt vmcnt(0)
	buffer_store_dword v9, v0, s[0:3], 0 offen
.LBB36_260:
	v_mov_b32_e32 v0, 0
	global_load_dword v1, v0, s[20:21] offset:92
	s_waitcnt vmcnt(0)
	v_add_nc_u32_e32 v1, -1, v1
	v_cmp_eq_u32_e32 vcc_lo, 23, v1
	s_cbranch_vccnz .LBB36_262
; %bb.261:
	v_lshlrev_b32_e32 v1, 4, v1
	v_mov_b32_e32 v2, s25
	v_add_nc_u32_e32 v1, 16, v1
	s_clause 0x7
	buffer_load_dword v3, v1, s[0:3], 0 offen
	buffer_load_dword v4, v1, s[0:3], 0 offen offset:4
	buffer_load_dword v5, v1, s[0:3], 0 offen offset:8
	;; [unrolled: 1-line block ×6, first 2 shown]
	buffer_load_dword v10, v2, s[0:3], 0 offen
	s_waitcnt vmcnt(7)
	buffer_store_dword v3, v2, s[0:3], 0 offen
	s_waitcnt vmcnt(6)
	buffer_store_dword v4, v2, s[0:3], 0 offen offset:4
	s_waitcnt vmcnt(5)
	buffer_store_dword v5, v2, s[0:3], 0 offen offset:8
	;; [unrolled: 2-line block ×6, first 2 shown]
	s_waitcnt vmcnt(0)
	buffer_store_dword v10, v1, s[0:3], 0 offen
.LBB36_262:
	global_load_dword v0, v0, s[20:21] offset:88
	s_waitcnt vmcnt(0)
	v_add_nc_u32_e32 v0, -1, v0
	v_cmp_eq_u32_e32 vcc_lo, 22, v0
	s_cbranch_vccnz .LBB36_264
; %bb.263:
	v_lshlrev_b32_e32 v0, 4, v0
	v_mov_b32_e32 v1, s26
	v_add_nc_u32_e32 v0, 16, v0
	s_clause 0x7
	buffer_load_dword v2, v0, s[0:3], 0 offen
	buffer_load_dword v3, v0, s[0:3], 0 offen offset:4
	buffer_load_dword v4, v0, s[0:3], 0 offen offset:8
	;; [unrolled: 1-line block ×6, first 2 shown]
	buffer_load_dword v9, v1, s[0:3], 0 offen
	s_waitcnt vmcnt(7)
	buffer_store_dword v2, v1, s[0:3], 0 offen
	s_waitcnt vmcnt(6)
	buffer_store_dword v3, v1, s[0:3], 0 offen offset:4
	s_waitcnt vmcnt(5)
	buffer_store_dword v4, v1, s[0:3], 0 offen offset:8
	;; [unrolled: 2-line block ×6, first 2 shown]
	s_waitcnt vmcnt(0)
	buffer_store_dword v9, v0, s[0:3], 0 offen
.LBB36_264:
	v_mov_b32_e32 v0, 0
	global_load_dword v1, v0, s[20:21] offset:84
	s_waitcnt vmcnt(0)
	v_add_nc_u32_e32 v1, -1, v1
	v_cmp_eq_u32_e32 vcc_lo, 21, v1
	s_cbranch_vccnz .LBB36_266
; %bb.265:
	v_lshlrev_b32_e32 v1, 4, v1
	v_mov_b32_e32 v2, s27
	v_add_nc_u32_e32 v1, 16, v1
	s_clause 0x7
	buffer_load_dword v3, v1, s[0:3], 0 offen
	buffer_load_dword v4, v1, s[0:3], 0 offen offset:4
	buffer_load_dword v5, v1, s[0:3], 0 offen offset:8
	;; [unrolled: 1-line block ×6, first 2 shown]
	buffer_load_dword v10, v2, s[0:3], 0 offen
	s_waitcnt vmcnt(7)
	buffer_store_dword v3, v2, s[0:3], 0 offen
	s_waitcnt vmcnt(6)
	buffer_store_dword v4, v2, s[0:3], 0 offen offset:4
	s_waitcnt vmcnt(5)
	buffer_store_dword v5, v2, s[0:3], 0 offen offset:8
	;; [unrolled: 2-line block ×6, first 2 shown]
	s_waitcnt vmcnt(0)
	buffer_store_dword v10, v1, s[0:3], 0 offen
.LBB36_266:
	global_load_dword v0, v0, s[20:21] offset:80
	s_waitcnt vmcnt(0)
	v_add_nc_u32_e32 v0, -1, v0
	v_cmp_eq_u32_e32 vcc_lo, 20, v0
	s_cbranch_vccnz .LBB36_268
; %bb.267:
	v_lshlrev_b32_e32 v0, 4, v0
	v_mov_b32_e32 v1, s28
	v_add_nc_u32_e32 v0, 16, v0
	s_clause 0x7
	buffer_load_dword v2, v0, s[0:3], 0 offen
	buffer_load_dword v3, v0, s[0:3], 0 offen offset:4
	buffer_load_dword v4, v0, s[0:3], 0 offen offset:8
	;; [unrolled: 1-line block ×6, first 2 shown]
	buffer_load_dword v9, v1, s[0:3], 0 offen
	s_waitcnt vmcnt(7)
	buffer_store_dword v2, v1, s[0:3], 0 offen
	s_waitcnt vmcnt(6)
	buffer_store_dword v3, v1, s[0:3], 0 offen offset:4
	s_waitcnt vmcnt(5)
	buffer_store_dword v4, v1, s[0:3], 0 offen offset:8
	;; [unrolled: 2-line block ×6, first 2 shown]
	s_waitcnt vmcnt(0)
	buffer_store_dword v9, v0, s[0:3], 0 offen
.LBB36_268:
	v_mov_b32_e32 v0, 0
	global_load_dword v1, v0, s[20:21] offset:76
	s_waitcnt vmcnt(0)
	v_add_nc_u32_e32 v1, -1, v1
	v_cmp_eq_u32_e32 vcc_lo, 19, v1
	s_cbranch_vccnz .LBB36_270
; %bb.269:
	v_lshlrev_b32_e32 v1, 4, v1
	v_mov_b32_e32 v2, s29
	v_add_nc_u32_e32 v1, 16, v1
	s_clause 0x7
	buffer_load_dword v3, v1, s[0:3], 0 offen
	buffer_load_dword v4, v1, s[0:3], 0 offen offset:4
	buffer_load_dword v5, v1, s[0:3], 0 offen offset:8
	;; [unrolled: 1-line block ×6, first 2 shown]
	buffer_load_dword v10, v2, s[0:3], 0 offen
	s_waitcnt vmcnt(7)
	buffer_store_dword v3, v2, s[0:3], 0 offen
	s_waitcnt vmcnt(6)
	buffer_store_dword v4, v2, s[0:3], 0 offen offset:4
	s_waitcnt vmcnt(5)
	buffer_store_dword v5, v2, s[0:3], 0 offen offset:8
	;; [unrolled: 2-line block ×6, first 2 shown]
	s_waitcnt vmcnt(0)
	buffer_store_dword v10, v1, s[0:3], 0 offen
.LBB36_270:
	global_load_dword v0, v0, s[20:21] offset:72
	s_waitcnt vmcnt(0)
	v_add_nc_u32_e32 v0, -1, v0
	v_cmp_eq_u32_e32 vcc_lo, 18, v0
	s_cbranch_vccnz .LBB36_272
; %bb.271:
	v_lshlrev_b32_e32 v0, 4, v0
	v_mov_b32_e32 v1, s30
	v_add_nc_u32_e32 v0, 16, v0
	s_clause 0x7
	buffer_load_dword v2, v0, s[0:3], 0 offen
	buffer_load_dword v3, v0, s[0:3], 0 offen offset:4
	buffer_load_dword v4, v0, s[0:3], 0 offen offset:8
	;; [unrolled: 1-line block ×6, first 2 shown]
	buffer_load_dword v9, v1, s[0:3], 0 offen
	s_waitcnt vmcnt(7)
	buffer_store_dword v2, v1, s[0:3], 0 offen
	s_waitcnt vmcnt(6)
	buffer_store_dword v3, v1, s[0:3], 0 offen offset:4
	s_waitcnt vmcnt(5)
	buffer_store_dword v4, v1, s[0:3], 0 offen offset:8
	;; [unrolled: 2-line block ×6, first 2 shown]
	s_waitcnt vmcnt(0)
	buffer_store_dword v9, v0, s[0:3], 0 offen
.LBB36_272:
	v_mov_b32_e32 v0, 0
	global_load_dword v1, v0, s[20:21] offset:68
	s_waitcnt vmcnt(0)
	v_add_nc_u32_e32 v1, -1, v1
	v_cmp_eq_u32_e32 vcc_lo, 17, v1
	s_cbranch_vccnz .LBB36_274
; %bb.273:
	v_lshlrev_b32_e32 v1, 4, v1
	v_mov_b32_e32 v2, s31
	v_add_nc_u32_e32 v1, 16, v1
	s_clause 0x7
	buffer_load_dword v3, v1, s[0:3], 0 offen
	buffer_load_dword v4, v1, s[0:3], 0 offen offset:4
	buffer_load_dword v5, v1, s[0:3], 0 offen offset:8
	;; [unrolled: 1-line block ×6, first 2 shown]
	buffer_load_dword v10, v2, s[0:3], 0 offen
	s_waitcnt vmcnt(7)
	buffer_store_dword v3, v2, s[0:3], 0 offen
	s_waitcnt vmcnt(6)
	buffer_store_dword v4, v2, s[0:3], 0 offen offset:4
	s_waitcnt vmcnt(5)
	buffer_store_dword v5, v2, s[0:3], 0 offen offset:8
	;; [unrolled: 2-line block ×6, first 2 shown]
	s_waitcnt vmcnt(0)
	buffer_store_dword v10, v1, s[0:3], 0 offen
.LBB36_274:
	global_load_dword v0, v0, s[20:21] offset:64
	s_waitcnt vmcnt(0)
	v_add_nc_u32_e32 v0, -1, v0
	v_cmp_eq_u32_e32 vcc_lo, 16, v0
	s_cbranch_vccnz .LBB36_276
; %bb.275:
	v_lshlrev_b32_e32 v0, 4, v0
	v_mov_b32_e32 v1, s33
	v_add_nc_u32_e32 v0, 16, v0
	s_clause 0x7
	buffer_load_dword v2, v0, s[0:3], 0 offen
	buffer_load_dword v3, v0, s[0:3], 0 offen offset:4
	buffer_load_dword v4, v0, s[0:3], 0 offen offset:8
	;; [unrolled: 1-line block ×6, first 2 shown]
	buffer_load_dword v9, v1, s[0:3], 0 offen
	s_waitcnt vmcnt(7)
	buffer_store_dword v2, v1, s[0:3], 0 offen
	s_waitcnt vmcnt(6)
	buffer_store_dword v3, v1, s[0:3], 0 offen offset:4
	s_waitcnt vmcnt(5)
	buffer_store_dword v4, v1, s[0:3], 0 offen offset:8
	;; [unrolled: 2-line block ×6, first 2 shown]
	s_waitcnt vmcnt(0)
	buffer_store_dword v9, v0, s[0:3], 0 offen
.LBB36_276:
	v_mov_b32_e32 v0, 0
	global_load_dword v1, v0, s[20:21] offset:60
	s_waitcnt vmcnt(0)
	v_add_nc_u32_e32 v1, -1, v1
	v_cmp_eq_u32_e32 vcc_lo, 15, v1
	s_cbranch_vccnz .LBB36_278
; %bb.277:
	v_lshlrev_b32_e32 v1, 4, v1
	v_mov_b32_e32 v2, s34
	v_add_nc_u32_e32 v1, 16, v1
	s_clause 0x7
	buffer_load_dword v3, v1, s[0:3], 0 offen
	buffer_load_dword v4, v1, s[0:3], 0 offen offset:4
	buffer_load_dword v5, v1, s[0:3], 0 offen offset:8
	;; [unrolled: 1-line block ×6, first 2 shown]
	buffer_load_dword v10, v2, s[0:3], 0 offen
	s_waitcnt vmcnt(7)
	buffer_store_dword v3, v2, s[0:3], 0 offen
	s_waitcnt vmcnt(6)
	buffer_store_dword v4, v2, s[0:3], 0 offen offset:4
	s_waitcnt vmcnt(5)
	buffer_store_dword v5, v2, s[0:3], 0 offen offset:8
	;; [unrolled: 2-line block ×6, first 2 shown]
	s_waitcnt vmcnt(0)
	buffer_store_dword v10, v1, s[0:3], 0 offen
.LBB36_278:
	global_load_dword v0, v0, s[20:21] offset:56
	s_waitcnt vmcnt(0)
	v_add_nc_u32_e32 v0, -1, v0
	v_cmp_eq_u32_e32 vcc_lo, 14, v0
	s_cbranch_vccnz .LBB36_280
; %bb.279:
	v_lshlrev_b32_e32 v0, 4, v0
	v_mov_b32_e32 v1, s35
	v_add_nc_u32_e32 v0, 16, v0
	s_clause 0x7
	buffer_load_dword v2, v0, s[0:3], 0 offen
	buffer_load_dword v3, v0, s[0:3], 0 offen offset:4
	buffer_load_dword v4, v0, s[0:3], 0 offen offset:8
	;; [unrolled: 1-line block ×6, first 2 shown]
	buffer_load_dword v9, v1, s[0:3], 0 offen
	s_waitcnt vmcnt(7)
	buffer_store_dword v2, v1, s[0:3], 0 offen
	s_waitcnt vmcnt(6)
	buffer_store_dword v3, v1, s[0:3], 0 offen offset:4
	s_waitcnt vmcnt(5)
	buffer_store_dword v4, v1, s[0:3], 0 offen offset:8
	;; [unrolled: 2-line block ×6, first 2 shown]
	s_waitcnt vmcnt(0)
	buffer_store_dword v9, v0, s[0:3], 0 offen
.LBB36_280:
	v_mov_b32_e32 v0, 0
	global_load_dword v1, v0, s[20:21] offset:52
	s_waitcnt vmcnt(0)
	v_add_nc_u32_e32 v1, -1, v1
	v_cmp_eq_u32_e32 vcc_lo, 13, v1
	s_cbranch_vccnz .LBB36_282
; %bb.281:
	v_lshlrev_b32_e32 v1, 4, v1
	v_mov_b32_e32 v2, s36
	v_add_nc_u32_e32 v1, 16, v1
	s_clause 0x7
	buffer_load_dword v3, v1, s[0:3], 0 offen
	buffer_load_dword v4, v1, s[0:3], 0 offen offset:4
	buffer_load_dword v5, v1, s[0:3], 0 offen offset:8
	;; [unrolled: 1-line block ×6, first 2 shown]
	buffer_load_dword v10, v2, s[0:3], 0 offen
	s_waitcnt vmcnt(7)
	buffer_store_dword v3, v2, s[0:3], 0 offen
	s_waitcnt vmcnt(6)
	buffer_store_dword v4, v2, s[0:3], 0 offen offset:4
	s_waitcnt vmcnt(5)
	buffer_store_dword v5, v2, s[0:3], 0 offen offset:8
	s_waitcnt vmcnt(4)
	buffer_store_dword v6, v2, s[0:3], 0 offen offset:12
	s_waitcnt vmcnt(3)
	buffer_store_dword v7, v1, s[0:3], 0 offen offset:12
	s_waitcnt vmcnt(2)
	buffer_store_dword v8, v1, s[0:3], 0 offen offset:8
	s_waitcnt vmcnt(1)
	buffer_store_dword v9, v1, s[0:3], 0 offen offset:4
	s_waitcnt vmcnt(0)
	buffer_store_dword v10, v1, s[0:3], 0 offen
.LBB36_282:
	global_load_dword v0, v0, s[20:21] offset:48
	s_waitcnt vmcnt(0)
	v_add_nc_u32_e32 v0, -1, v0
	v_cmp_eq_u32_e32 vcc_lo, 12, v0
	s_cbranch_vccnz .LBB36_284
; %bb.283:
	v_lshlrev_b32_e32 v0, 4, v0
	v_mov_b32_e32 v1, s37
	v_add_nc_u32_e32 v0, 16, v0
	s_clause 0x7
	buffer_load_dword v2, v0, s[0:3], 0 offen
	buffer_load_dword v3, v0, s[0:3], 0 offen offset:4
	buffer_load_dword v4, v0, s[0:3], 0 offen offset:8
	;; [unrolled: 1-line block ×6, first 2 shown]
	buffer_load_dword v9, v1, s[0:3], 0 offen
	s_waitcnt vmcnt(7)
	buffer_store_dword v2, v1, s[0:3], 0 offen
	s_waitcnt vmcnt(6)
	buffer_store_dword v3, v1, s[0:3], 0 offen offset:4
	s_waitcnt vmcnt(5)
	buffer_store_dword v4, v1, s[0:3], 0 offen offset:8
	;; [unrolled: 2-line block ×6, first 2 shown]
	s_waitcnt vmcnt(0)
	buffer_store_dword v9, v0, s[0:3], 0 offen
.LBB36_284:
	v_mov_b32_e32 v0, 0
	global_load_dword v1, v0, s[20:21] offset:44
	s_waitcnt vmcnt(0)
	v_add_nc_u32_e32 v1, -1, v1
	v_cmp_eq_u32_e32 vcc_lo, 11, v1
	s_cbranch_vccnz .LBB36_286
; %bb.285:
	v_lshlrev_b32_e32 v1, 4, v1
	v_mov_b32_e32 v2, s38
	v_add_nc_u32_e32 v1, 16, v1
	s_clause 0x7
	buffer_load_dword v3, v1, s[0:3], 0 offen
	buffer_load_dword v4, v1, s[0:3], 0 offen offset:4
	buffer_load_dword v5, v1, s[0:3], 0 offen offset:8
	;; [unrolled: 1-line block ×6, first 2 shown]
	buffer_load_dword v10, v2, s[0:3], 0 offen
	s_waitcnt vmcnt(7)
	buffer_store_dword v3, v2, s[0:3], 0 offen
	s_waitcnt vmcnt(6)
	buffer_store_dword v4, v2, s[0:3], 0 offen offset:4
	s_waitcnt vmcnt(5)
	buffer_store_dword v5, v2, s[0:3], 0 offen offset:8
	;; [unrolled: 2-line block ×6, first 2 shown]
	s_waitcnt vmcnt(0)
	buffer_store_dword v10, v1, s[0:3], 0 offen
.LBB36_286:
	global_load_dword v0, v0, s[20:21] offset:40
	s_waitcnt vmcnt(0)
	v_add_nc_u32_e32 v0, -1, v0
	v_cmp_eq_u32_e32 vcc_lo, 10, v0
	s_cbranch_vccnz .LBB36_288
; %bb.287:
	v_lshlrev_b32_e32 v0, 4, v0
	v_mov_b32_e32 v1, s39
	v_add_nc_u32_e32 v0, 16, v0
	s_clause 0x7
	buffer_load_dword v2, v0, s[0:3], 0 offen
	buffer_load_dword v3, v0, s[0:3], 0 offen offset:4
	buffer_load_dword v4, v0, s[0:3], 0 offen offset:8
	;; [unrolled: 1-line block ×6, first 2 shown]
	buffer_load_dword v9, v1, s[0:3], 0 offen
	s_waitcnt vmcnt(7)
	buffer_store_dword v2, v1, s[0:3], 0 offen
	s_waitcnt vmcnt(6)
	buffer_store_dword v3, v1, s[0:3], 0 offen offset:4
	s_waitcnt vmcnt(5)
	buffer_store_dword v4, v1, s[0:3], 0 offen offset:8
	;; [unrolled: 2-line block ×6, first 2 shown]
	s_waitcnt vmcnt(0)
	buffer_store_dword v9, v0, s[0:3], 0 offen
.LBB36_288:
	v_mov_b32_e32 v0, 0
	global_load_dword v1, v0, s[20:21] offset:36
	s_waitcnt vmcnt(0)
	v_add_nc_u32_e32 v1, -1, v1
	v_cmp_eq_u32_e32 vcc_lo, 9, v1
	s_cbranch_vccnz .LBB36_290
; %bb.289:
	v_lshlrev_b32_e32 v1, 4, v1
	v_mov_b32_e32 v2, s40
	v_add_nc_u32_e32 v1, 16, v1
	s_clause 0x7
	buffer_load_dword v3, v1, s[0:3], 0 offen
	buffer_load_dword v4, v1, s[0:3], 0 offen offset:4
	buffer_load_dword v5, v1, s[0:3], 0 offen offset:8
	;; [unrolled: 1-line block ×6, first 2 shown]
	buffer_load_dword v10, v2, s[0:3], 0 offen
	s_waitcnt vmcnt(7)
	buffer_store_dword v3, v2, s[0:3], 0 offen
	s_waitcnt vmcnt(6)
	buffer_store_dword v4, v2, s[0:3], 0 offen offset:4
	s_waitcnt vmcnt(5)
	buffer_store_dword v5, v2, s[0:3], 0 offen offset:8
	;; [unrolled: 2-line block ×6, first 2 shown]
	s_waitcnt vmcnt(0)
	buffer_store_dword v10, v1, s[0:3], 0 offen
.LBB36_290:
	global_load_dword v0, v0, s[20:21] offset:32
	s_waitcnt vmcnt(0)
	v_add_nc_u32_e32 v0, -1, v0
	v_cmp_eq_u32_e32 vcc_lo, 8, v0
	s_cbranch_vccnz .LBB36_292
; %bb.291:
	v_lshlrev_b32_e32 v0, 4, v0
	v_mov_b32_e32 v1, s41
	v_add_nc_u32_e32 v0, 16, v0
	s_clause 0x7
	buffer_load_dword v2, v0, s[0:3], 0 offen
	buffer_load_dword v3, v0, s[0:3], 0 offen offset:4
	buffer_load_dword v4, v0, s[0:3], 0 offen offset:8
	;; [unrolled: 1-line block ×6, first 2 shown]
	buffer_load_dword v9, v1, s[0:3], 0 offen
	s_waitcnt vmcnt(7)
	buffer_store_dword v2, v1, s[0:3], 0 offen
	s_waitcnt vmcnt(6)
	buffer_store_dword v3, v1, s[0:3], 0 offen offset:4
	s_waitcnt vmcnt(5)
	buffer_store_dword v4, v1, s[0:3], 0 offen offset:8
	;; [unrolled: 2-line block ×6, first 2 shown]
	s_waitcnt vmcnt(0)
	buffer_store_dword v9, v0, s[0:3], 0 offen
.LBB36_292:
	v_mov_b32_e32 v0, 0
	global_load_dword v1, v0, s[20:21] offset:28
	s_waitcnt vmcnt(0)
	v_add_nc_u32_e32 v1, -1, v1
	v_cmp_eq_u32_e32 vcc_lo, 7, v1
	s_cbranch_vccnz .LBB36_294
; %bb.293:
	v_lshlrev_b32_e32 v1, 4, v1
	v_mov_b32_e32 v2, s42
	v_add_nc_u32_e32 v1, 16, v1
	s_clause 0x7
	buffer_load_dword v3, v1, s[0:3], 0 offen
	buffer_load_dword v4, v1, s[0:3], 0 offen offset:4
	buffer_load_dword v5, v1, s[0:3], 0 offen offset:8
	;; [unrolled: 1-line block ×6, first 2 shown]
	buffer_load_dword v10, v2, s[0:3], 0 offen
	s_waitcnt vmcnt(7)
	buffer_store_dword v3, v2, s[0:3], 0 offen
	s_waitcnt vmcnt(6)
	buffer_store_dword v4, v2, s[0:3], 0 offen offset:4
	s_waitcnt vmcnt(5)
	buffer_store_dword v5, v2, s[0:3], 0 offen offset:8
	s_waitcnt vmcnt(4)
	buffer_store_dword v6, v2, s[0:3], 0 offen offset:12
	s_waitcnt vmcnt(3)
	buffer_store_dword v7, v1, s[0:3], 0 offen offset:12
	s_waitcnt vmcnt(2)
	buffer_store_dword v8, v1, s[0:3], 0 offen offset:8
	s_waitcnt vmcnt(1)
	buffer_store_dword v9, v1, s[0:3], 0 offen offset:4
	s_waitcnt vmcnt(0)
	buffer_store_dword v10, v1, s[0:3], 0 offen
.LBB36_294:
	global_load_dword v0, v0, s[20:21] offset:24
	s_waitcnt vmcnt(0)
	v_add_nc_u32_e32 v0, -1, v0
	v_cmp_eq_u32_e32 vcc_lo, 6, v0
	s_cbranch_vccnz .LBB36_296
; %bb.295:
	v_lshlrev_b32_e32 v0, 4, v0
	v_mov_b32_e32 v1, s43
	v_add_nc_u32_e32 v0, 16, v0
	s_clause 0x7
	buffer_load_dword v2, v0, s[0:3], 0 offen
	buffer_load_dword v3, v0, s[0:3], 0 offen offset:4
	buffer_load_dword v4, v0, s[0:3], 0 offen offset:8
	;; [unrolled: 1-line block ×6, first 2 shown]
	buffer_load_dword v9, v1, s[0:3], 0 offen
	s_waitcnt vmcnt(7)
	buffer_store_dword v2, v1, s[0:3], 0 offen
	s_waitcnt vmcnt(6)
	buffer_store_dword v3, v1, s[0:3], 0 offen offset:4
	s_waitcnt vmcnt(5)
	buffer_store_dword v4, v1, s[0:3], 0 offen offset:8
	s_waitcnt vmcnt(4)
	buffer_store_dword v5, v1, s[0:3], 0 offen offset:12
	s_waitcnt vmcnt(3)
	buffer_store_dword v6, v0, s[0:3], 0 offen offset:12
	s_waitcnt vmcnt(2)
	buffer_store_dword v7, v0, s[0:3], 0 offen offset:8
	s_waitcnt vmcnt(1)
	buffer_store_dword v8, v0, s[0:3], 0 offen offset:4
	s_waitcnt vmcnt(0)
	buffer_store_dword v9, v0, s[0:3], 0 offen
.LBB36_296:
	v_mov_b32_e32 v0, 0
	global_load_dword v1, v0, s[20:21] offset:20
	s_waitcnt vmcnt(0)
	v_add_nc_u32_e32 v1, -1, v1
	v_cmp_eq_u32_e32 vcc_lo, 5, v1
	s_cbranch_vccnz .LBB36_298
; %bb.297:
	v_lshlrev_b32_e32 v1, 4, v1
	v_mov_b32_e32 v2, s44
	v_add_nc_u32_e32 v1, 16, v1
	s_clause 0x7
	buffer_load_dword v3, v1, s[0:3], 0 offen
	buffer_load_dword v4, v1, s[0:3], 0 offen offset:4
	buffer_load_dword v5, v1, s[0:3], 0 offen offset:8
	;; [unrolled: 1-line block ×6, first 2 shown]
	buffer_load_dword v10, v2, s[0:3], 0 offen
	s_waitcnt vmcnt(7)
	buffer_store_dword v3, v2, s[0:3], 0 offen
	s_waitcnt vmcnt(6)
	buffer_store_dword v4, v2, s[0:3], 0 offen offset:4
	s_waitcnt vmcnt(5)
	buffer_store_dword v5, v2, s[0:3], 0 offen offset:8
	;; [unrolled: 2-line block ×6, first 2 shown]
	s_waitcnt vmcnt(0)
	buffer_store_dword v10, v1, s[0:3], 0 offen
.LBB36_298:
	global_load_dword v0, v0, s[20:21] offset:16
	s_waitcnt vmcnt(0)
	v_add_nc_u32_e32 v0, -1, v0
	v_cmp_eq_u32_e32 vcc_lo, 4, v0
	s_cbranch_vccnz .LBB36_300
; %bb.299:
	v_lshlrev_b32_e32 v0, 4, v0
	v_mov_b32_e32 v1, s45
	v_add_nc_u32_e32 v0, 16, v0
	s_clause 0x7
	buffer_load_dword v2, v0, s[0:3], 0 offen
	buffer_load_dword v3, v0, s[0:3], 0 offen offset:4
	buffer_load_dword v4, v0, s[0:3], 0 offen offset:8
	;; [unrolled: 1-line block ×6, first 2 shown]
	buffer_load_dword v9, v1, s[0:3], 0 offen
	s_waitcnt vmcnt(7)
	buffer_store_dword v2, v1, s[0:3], 0 offen
	s_waitcnt vmcnt(6)
	buffer_store_dword v3, v1, s[0:3], 0 offen offset:4
	s_waitcnt vmcnt(5)
	buffer_store_dword v4, v1, s[0:3], 0 offen offset:8
	;; [unrolled: 2-line block ×6, first 2 shown]
	s_waitcnt vmcnt(0)
	buffer_store_dword v9, v0, s[0:3], 0 offen
.LBB36_300:
	v_mov_b32_e32 v0, 0
	global_load_dword v1, v0, s[20:21] offset:12
	s_waitcnt vmcnt(0)
	v_add_nc_u32_e32 v1, -1, v1
	v_cmp_eq_u32_e32 vcc_lo, 3, v1
	s_cbranch_vccnz .LBB36_302
; %bb.301:
	v_lshlrev_b32_e32 v1, 4, v1
	v_mov_b32_e32 v2, s46
	v_add_nc_u32_e32 v1, 16, v1
	s_clause 0x7
	buffer_load_dword v3, v1, s[0:3], 0 offen
	buffer_load_dword v4, v1, s[0:3], 0 offen offset:4
	buffer_load_dword v5, v1, s[0:3], 0 offen offset:8
	;; [unrolled: 1-line block ×6, first 2 shown]
	buffer_load_dword v10, v2, s[0:3], 0 offen
	s_waitcnt vmcnt(7)
	buffer_store_dword v3, v2, s[0:3], 0 offen
	s_waitcnt vmcnt(6)
	buffer_store_dword v4, v2, s[0:3], 0 offen offset:4
	s_waitcnt vmcnt(5)
	buffer_store_dword v5, v2, s[0:3], 0 offen offset:8
	;; [unrolled: 2-line block ×6, first 2 shown]
	s_waitcnt vmcnt(0)
	buffer_store_dword v10, v1, s[0:3], 0 offen
.LBB36_302:
	global_load_dword v0, v0, s[20:21] offset:8
	s_waitcnt vmcnt(0)
	v_add_nc_u32_e32 v0, -1, v0
	v_cmp_eq_u32_e32 vcc_lo, 2, v0
	s_cbranch_vccnz .LBB36_304
; %bb.303:
	v_lshlrev_b32_e32 v0, 4, v0
	v_mov_b32_e32 v1, s47
	v_add_nc_u32_e32 v0, 16, v0
	s_clause 0x7
	buffer_load_dword v2, v0, s[0:3], 0 offen
	buffer_load_dword v3, v0, s[0:3], 0 offen offset:4
	buffer_load_dword v4, v0, s[0:3], 0 offen offset:8
	;; [unrolled: 1-line block ×6, first 2 shown]
	buffer_load_dword v9, v1, s[0:3], 0 offen
	s_waitcnt vmcnt(7)
	buffer_store_dword v2, v1, s[0:3], 0 offen
	s_waitcnt vmcnt(6)
	buffer_store_dword v3, v1, s[0:3], 0 offen offset:4
	s_waitcnt vmcnt(5)
	buffer_store_dword v4, v1, s[0:3], 0 offen offset:8
	;; [unrolled: 2-line block ×6, first 2 shown]
	s_waitcnt vmcnt(0)
	buffer_store_dword v9, v0, s[0:3], 0 offen
.LBB36_304:
	v_mov_b32_e32 v0, 0
	global_load_dword v1, v0, s[20:21] offset:4
	s_waitcnt vmcnt(0)
	v_add_nc_u32_e32 v1, -1, v1
	v_cmp_eq_u32_e32 vcc_lo, 1, v1
	s_cbranch_vccnz .LBB36_306
; %bb.305:
	v_lshlrev_b32_e32 v1, 4, v1
	v_mov_b32_e32 v2, s48
	v_add_nc_u32_e32 v1, 16, v1
	s_clause 0x7
	buffer_load_dword v3, v1, s[0:3], 0 offen
	buffer_load_dword v4, v1, s[0:3], 0 offen offset:4
	buffer_load_dword v5, v1, s[0:3], 0 offen offset:8
	;; [unrolled: 1-line block ×6, first 2 shown]
	buffer_load_dword v10, v2, s[0:3], 0 offen
	s_waitcnt vmcnt(7)
	buffer_store_dword v3, v2, s[0:3], 0 offen
	s_waitcnt vmcnt(6)
	buffer_store_dword v4, v2, s[0:3], 0 offen offset:4
	s_waitcnt vmcnt(5)
	buffer_store_dword v5, v2, s[0:3], 0 offen offset:8
	;; [unrolled: 2-line block ×6, first 2 shown]
	s_waitcnt vmcnt(0)
	buffer_store_dword v10, v1, s[0:3], 0 offen
.LBB36_306:
	global_load_dword v0, v0, s[20:21]
	s_waitcnt vmcnt(0)
	v_add_nc_u32_e32 v0, -1, v0
	v_cmp_eq_u32_e32 vcc_lo, 0, v0
	s_cbranch_vccnz .LBB36_308
; %bb.307:
	v_lshlrev_b32_e32 v0, 4, v0
	v_add_nc_u32_e32 v0, 16, v0
	s_clause 0x7
	buffer_load_dword v1, v0, s[0:3], 0 offen
	buffer_load_dword v2, v0, s[0:3], 0 offen offset:4
	buffer_load_dword v3, v0, s[0:3], 0 offen offset:8
	;; [unrolled: 1-line block ×3, first 2 shown]
	buffer_load_dword v5, off, s[0:3], 0 offset:28
	buffer_load_dword v6, off, s[0:3], 0 offset:24
	;; [unrolled: 1-line block ×4, first 2 shown]
	s_waitcnt vmcnt(7)
	buffer_store_dword v1, off, s[0:3], 0 offset:16
	s_waitcnt vmcnt(6)
	buffer_store_dword v2, off, s[0:3], 0 offset:20
	;; [unrolled: 2-line block ×4, first 2 shown]
	s_waitcnt vmcnt(3)
	buffer_store_dword v5, v0, s[0:3], 0 offen offset:12
	s_waitcnt vmcnt(2)
	buffer_store_dword v6, v0, s[0:3], 0 offen offset:8
	;; [unrolled: 2-line block ×3, first 2 shown]
	s_waitcnt vmcnt(0)
	buffer_store_dword v8, v0, s[0:3], 0 offen
.LBB36_308:
	v_mov_b32_e32 v7, s48
	v_mov_b32_e32 v11, s47
	;; [unrolled: 1-line block ×4, first 2 shown]
	s_clause 0x3
	buffer_load_dword v0, off, s[0:3], 0 offset:16
	buffer_load_dword v1, off, s[0:3], 0 offset:20
	;; [unrolled: 1-line block ×4, first 2 shown]
	v_mov_b32_e32 v23, s44
	s_clause 0x13
	buffer_load_dword v4, v7, s[0:3], 0 offen
	buffer_load_dword v5, v7, s[0:3], 0 offen offset:4
	buffer_load_dword v6, v7, s[0:3], 0 offen offset:8
	buffer_load_dword v7, v7, s[0:3], 0 offen offset:12
	buffer_load_dword v8, v11, s[0:3], 0 offen
	buffer_load_dword v9, v11, s[0:3], 0 offen offset:4
	buffer_load_dword v10, v11, s[0:3], 0 offen offset:8
	buffer_load_dword v11, v11, s[0:3], 0 offen offset:12
	;; [unrolled: 4-line block ×5, first 2 shown]
	v_mov_b32_e32 v27, s43
	v_mov_b32_e32 v171, s24
	;; [unrolled: 1-line block ×24, first 2 shown]
	s_clause 0x3e
	buffer_load_dword v24, v27, s[0:3], 0 offen
	buffer_load_dword v25, v27, s[0:3], 0 offen offset:4
	buffer_load_dword v26, v27, s[0:3], 0 offen offset:8
	buffer_load_dword v27, v27, s[0:3], 0 offen offset:12
	buffer_load_dword v28, v31, s[0:3], 0 offen
	buffer_load_dword v29, v31, s[0:3], 0 offen offset:4
	buffer_load_dword v30, v31, s[0:3], 0 offen offset:8
	buffer_load_dword v31, v31, s[0:3], 0 offen offset:12
	;; [unrolled: 4-line block ×15, first 2 shown]
	buffer_load_dword v159, v162, s[0:3], 0 offen
	buffer_load_dword v160, v162, s[0:3], 0 offen offset:4
	buffer_load_dword v161, v162, s[0:3], 0 offen offset:8
	s_clause 0x8
	buffer_load_dword v162, v162, s[0:3], 0 offen offset:12
	buffer_load_dword v163, v166, s[0:3], 0 offen
	buffer_load_dword v164, v166, s[0:3], 0 offen offset:4
	buffer_load_dword v165, v166, s[0:3], 0 offen offset:8
	;; [unrolled: 1-line block ×3, first 2 shown]
	buffer_load_dword v167, v170, s[0:3], 0 offen
	buffer_load_dword v168, v170, s[0:3], 0 offen offset:4
	buffer_load_dword v169, v170, s[0:3], 0 offen offset:8
	buffer_load_dword v170, v170, s[0:3], 0 offen offset:12
	v_mov_b32_e32 v176, s19
	v_mov_b32_e32 v183, s12
	;; [unrolled: 1-line block ×7, first 2 shown]
	s_waitcnt vmcnt(62)
	global_store_dwordx4 v[45:46], v[0:3], off
	s_clause 0x7
	buffer_load_dword v0, v171, s[0:3], 0 offen
	buffer_load_dword v1, v171, s[0:3], 0 offen offset:4
	buffer_load_dword v2, v171, s[0:3], 0 offen offset:8
	buffer_load_dword v3, v171, s[0:3], 0 offen offset:12
	buffer_load_dword v171, v174, s[0:3], 0 offen
	buffer_load_dword v172, v174, s[0:3], 0 offen offset:4
	buffer_load_dword v173, v174, s[0:3], 0 offen offset:8
	buffer_load_dword v174, v174, s[0:3], 0 offen offset:12
	global_store_dwordx4 v[47:48], v[4:7], off
	s_clause 0x7
	buffer_load_dword v4, v175, s[0:3], 0 offen
	buffer_load_dword v5, v175, s[0:3], 0 offen offset:4
	buffer_load_dword v6, v175, s[0:3], 0 offen offset:8
	buffer_load_dword v7, v175, s[0:3], 0 offen offset:12
	buffer_load_dword v44, v176, s[0:3], 0 offen
	buffer_load_dword v45, v176, s[0:3], 0 offen offset:4
	buffer_load_dword v46, v176, s[0:3], 0 offen offset:8
	buffer_load_dword v47, v176, s[0:3], 0 offen offset:12
	;; [unrolled: 10-line block ×6, first 2 shown]
	buffer_load_dword v187, v190, s[0:3], 0 offen
	buffer_load_dword v188, v190, s[0:3], 0 offen offset:4
	buffer_load_dword v189, v190, s[0:3], 0 offen offset:8
	;; [unrolled: 1-line block ×3, first 2 shown]
	global_store_dwordx4 v[55:56], v[24:27], off
	global_store_dwordx4 v[59:60], v[28:31], off
	s_waitcnt vmcnt(62)
	global_store_dwordx4 v[61:62], v[32:35], off
	global_store_dwordx4 v[63:64], v[36:39], off
	;; [unrolled: 1-line block ×13, first 2 shown]
	s_waitcnt vmcnt(60)
	global_store_dwordx4 v[87:88], v[159:162], off
	s_waitcnt vmcnt(56)
	global_store_dwordx4 v[89:90], v[163:166], off
	;; [unrolled: 2-line block ×16, first 2 shown]
	s_endpgm
	.section	.rodata,"a",@progbits
	.p2align	6, 0x0
	.amdhsa_kernel _ZN9rocsolver6v33100L18getri_kernel_smallILi37E19rocblas_complex_numIdEPS3_EEvT1_iilPiilS6_bb
		.amdhsa_group_segment_fixed_size 1192
		.amdhsa_private_segment_fixed_size 624
		.amdhsa_kernarg_size 60
		.amdhsa_user_sgpr_count 6
		.amdhsa_user_sgpr_private_segment_buffer 1
		.amdhsa_user_sgpr_dispatch_ptr 0
		.amdhsa_user_sgpr_queue_ptr 0
		.amdhsa_user_sgpr_kernarg_segment_ptr 1
		.amdhsa_user_sgpr_dispatch_id 0
		.amdhsa_user_sgpr_flat_scratch_init 0
		.amdhsa_user_sgpr_private_segment_size 0
		.amdhsa_wavefront_size32 1
		.amdhsa_uses_dynamic_stack 0
		.amdhsa_system_sgpr_private_segment_wavefront_offset 1
		.amdhsa_system_sgpr_workgroup_id_x 1
		.amdhsa_system_sgpr_workgroup_id_y 0
		.amdhsa_system_sgpr_workgroup_id_z 0
		.amdhsa_system_sgpr_workgroup_info 0
		.amdhsa_system_vgpr_workitem_id 0
		.amdhsa_next_free_vgpr 191
		.amdhsa_next_free_sgpr 66
		.amdhsa_reserve_vcc 1
		.amdhsa_reserve_flat_scratch 0
		.amdhsa_float_round_mode_32 0
		.amdhsa_float_round_mode_16_64 0
		.amdhsa_float_denorm_mode_32 3
		.amdhsa_float_denorm_mode_16_64 3
		.amdhsa_dx10_clamp 1
		.amdhsa_ieee_mode 1
		.amdhsa_fp16_overflow 0
		.amdhsa_workgroup_processor_mode 1
		.amdhsa_memory_ordered 1
		.amdhsa_forward_progress 1
		.amdhsa_shared_vgpr_count 0
		.amdhsa_exception_fp_ieee_invalid_op 0
		.amdhsa_exception_fp_denorm_src 0
		.amdhsa_exception_fp_ieee_div_zero 0
		.amdhsa_exception_fp_ieee_overflow 0
		.amdhsa_exception_fp_ieee_underflow 0
		.amdhsa_exception_fp_ieee_inexact 0
		.amdhsa_exception_int_div_zero 0
	.end_amdhsa_kernel
	.section	.text._ZN9rocsolver6v33100L18getri_kernel_smallILi37E19rocblas_complex_numIdEPS3_EEvT1_iilPiilS6_bb,"axG",@progbits,_ZN9rocsolver6v33100L18getri_kernel_smallILi37E19rocblas_complex_numIdEPS3_EEvT1_iilPiilS6_bb,comdat
.Lfunc_end36:
	.size	_ZN9rocsolver6v33100L18getri_kernel_smallILi37E19rocblas_complex_numIdEPS3_EEvT1_iilPiilS6_bb, .Lfunc_end36-_ZN9rocsolver6v33100L18getri_kernel_smallILi37E19rocblas_complex_numIdEPS3_EEvT1_iilPiilS6_bb
                                        ; -- End function
	.set _ZN9rocsolver6v33100L18getri_kernel_smallILi37E19rocblas_complex_numIdEPS3_EEvT1_iilPiilS6_bb.num_vgpr, 191
	.set _ZN9rocsolver6v33100L18getri_kernel_smallILi37E19rocblas_complex_numIdEPS3_EEvT1_iilPiilS6_bb.num_agpr, 0
	.set _ZN9rocsolver6v33100L18getri_kernel_smallILi37E19rocblas_complex_numIdEPS3_EEvT1_iilPiilS6_bb.numbered_sgpr, 66
	.set _ZN9rocsolver6v33100L18getri_kernel_smallILi37E19rocblas_complex_numIdEPS3_EEvT1_iilPiilS6_bb.num_named_barrier, 0
	.set _ZN9rocsolver6v33100L18getri_kernel_smallILi37E19rocblas_complex_numIdEPS3_EEvT1_iilPiilS6_bb.private_seg_size, 624
	.set _ZN9rocsolver6v33100L18getri_kernel_smallILi37E19rocblas_complex_numIdEPS3_EEvT1_iilPiilS6_bb.uses_vcc, 1
	.set _ZN9rocsolver6v33100L18getri_kernel_smallILi37E19rocblas_complex_numIdEPS3_EEvT1_iilPiilS6_bb.uses_flat_scratch, 0
	.set _ZN9rocsolver6v33100L18getri_kernel_smallILi37E19rocblas_complex_numIdEPS3_EEvT1_iilPiilS6_bb.has_dyn_sized_stack, 0
	.set _ZN9rocsolver6v33100L18getri_kernel_smallILi37E19rocblas_complex_numIdEPS3_EEvT1_iilPiilS6_bb.has_recursion, 0
	.set _ZN9rocsolver6v33100L18getri_kernel_smallILi37E19rocblas_complex_numIdEPS3_EEvT1_iilPiilS6_bb.has_indirect_call, 0
	.section	.AMDGPU.csdata,"",@progbits
; Kernel info:
; codeLenInByte = 99812
; TotalNumSgprs: 68
; NumVgprs: 191
; ScratchSize: 624
; MemoryBound: 0
; FloatMode: 240
; IeeeMode: 1
; LDSByteSize: 1192 bytes/workgroup (compile time only)
; SGPRBlocks: 0
; VGPRBlocks: 23
; NumSGPRsForWavesPerEU: 68
; NumVGPRsForWavesPerEU: 191
; Occupancy: 5
; WaveLimiterHint : 1
; COMPUTE_PGM_RSRC2:SCRATCH_EN: 1
; COMPUTE_PGM_RSRC2:USER_SGPR: 6
; COMPUTE_PGM_RSRC2:TRAP_HANDLER: 0
; COMPUTE_PGM_RSRC2:TGID_X_EN: 1
; COMPUTE_PGM_RSRC2:TGID_Y_EN: 0
; COMPUTE_PGM_RSRC2:TGID_Z_EN: 0
; COMPUTE_PGM_RSRC2:TIDIG_COMP_CNT: 0
	.section	.text._ZN9rocsolver6v33100L18getri_kernel_smallILi38E19rocblas_complex_numIdEPS3_EEvT1_iilPiilS6_bb,"axG",@progbits,_ZN9rocsolver6v33100L18getri_kernel_smallILi38E19rocblas_complex_numIdEPS3_EEvT1_iilPiilS6_bb,comdat
	.globl	_ZN9rocsolver6v33100L18getri_kernel_smallILi38E19rocblas_complex_numIdEPS3_EEvT1_iilPiilS6_bb ; -- Begin function _ZN9rocsolver6v33100L18getri_kernel_smallILi38E19rocblas_complex_numIdEPS3_EEvT1_iilPiilS6_bb
	.p2align	8
	.type	_ZN9rocsolver6v33100L18getri_kernel_smallILi38E19rocblas_complex_numIdEPS3_EEvT1_iilPiilS6_bb,@function
_ZN9rocsolver6v33100L18getri_kernel_smallILi38E19rocblas_complex_numIdEPS3_EEvT1_iilPiilS6_bb: ; @_ZN9rocsolver6v33100L18getri_kernel_smallILi38E19rocblas_complex_numIdEPS3_EEvT1_iilPiilS6_bb
; %bb.0:
	s_add_u32 s0, s0, s7
	s_addc_u32 s1, s1, 0
	s_mov_b32 s7, exec_lo
	v_cmpx_gt_u32_e32 38, v0
	s_cbranch_execz .LBB37_166
; %bb.1:
	s_clause 0x2
	s_load_dword s7, s[4:5], 0x38
	s_load_dwordx4 s[16:19], s[4:5], 0x10
	s_load_dwordx4 s[8:11], s[4:5], 0x28
                                        ; implicit-def: $sgpr20_sgpr21
	s_waitcnt lgkmcnt(0)
	s_bitcmp1_b32 s7, 8
	s_cselect_b32 s50, -1, 0
	s_bfe_u32 s12, s7, 0x10008
	s_ashr_i32 s7, s6, 31
	s_cmp_eq_u32 s12, 0
	s_cbranch_scc1 .LBB37_3
; %bb.2:
	s_load_dword s12, s[4:5], 0x20
	s_mul_i32 s13, s8, s7
	s_mul_hi_u32 s14, s8, s6
	s_mul_i32 s9, s9, s6
	s_add_i32 s13, s14, s13
	s_mul_i32 s8, s8, s6
	s_add_i32 s9, s13, s9
	s_lshl_b64 s[8:9], s[8:9], 2
	s_waitcnt lgkmcnt(0)
	s_ashr_i32 s13, s12, 31
	s_add_u32 s14, s18, s8
	s_addc_u32 s15, s19, s9
	s_lshl_b64 s[8:9], s[12:13], 2
	s_add_u32 s20, s14, s8
	s_addc_u32 s21, s15, s9
.LBB37_3:
	s_clause 0x1
	s_load_dwordx4 s[12:15], s[4:5], 0x0
	s_load_dword s51, s[4:5], 0x38
	s_mul_i32 s4, s16, s7
	s_mul_hi_u32 s5, s16, s6
	s_mul_i32 s8, s17, s6
	s_add_i32 s5, s5, s4
	s_mul_i32 s4, s16, s6
	s_add_i32 s5, s5, s8
	v_lshlrev_b32_e32 v121, 4, v0
	s_lshl_b64 s[4:5], s[4:5], 4
	s_movk_i32 s16, 0xd0
	s_movk_i32 s17, 0xe0
	;; [unrolled: 1-line block ×10, first 2 shown]
	s_waitcnt lgkmcnt(0)
	v_add3_u32 v1, s15, s15, v0
	s_ashr_i32 s9, s14, 31
	s_mov_b32 s8, s14
	s_add_u32 s12, s12, s4
	s_addc_u32 s13, s13, s5
	s_lshl_b64 s[4:5], s[8:9], 4
	v_ashrrev_i32_e32 v2, 31, v1
	s_add_u32 s4, s12, s4
	s_addc_u32 s5, s13, s5
	v_add_nc_u32_e32 v5, s15, v1
	v_add_co_u32 v45, s12, s4, v121
	s_mov_b32 s8, s15
	s_ashr_i32 s9, s15, 31
	v_lshlrev_b64 v[6:7], 4, v[1:2]
	v_add_co_ci_u32_e64 v46, null, s5, 0, s12
	s_lshl_b64 s[8:9], s[8:9], 4
	v_add_nc_u32_e32 v8, s15, v5
	v_add_co_u32 v47, vcc_lo, v45, s8
	v_add_co_ci_u32_e64 v48, null, s9, v46, vcc_lo
	v_add_co_u32 v51, vcc_lo, s4, v6
	v_ashrrev_i32_e32 v6, 31, v5
	v_add_co_ci_u32_e64 v52, null, s5, v7, vcc_lo
	v_ashrrev_i32_e32 v9, 31, v8
	v_add_nc_u32_e32 v7, s15, v8
	v_lshlrev_b64 v[5:6], 4, v[5:6]
	s_clause 0x1
	global_load_dwordx4 v[1:4], v121, s[4:5]
	global_load_dwordx4 v[109:112], v[47:48], off
	v_lshlrev_b64 v[9:10], 4, v[8:9]
	v_ashrrev_i32_e32 v8, 31, v7
	v_add_nc_u32_e32 v11, s15, v7
	v_add_co_u32 v57, vcc_lo, s4, v5
	v_add_co_ci_u32_e64 v58, null, s5, v6, vcc_lo
	v_lshlrev_b64 v[5:6], 4, v[7:8]
	v_add_nc_u32_e32 v7, s15, v11
	v_ashrrev_i32_e32 v12, 31, v11
	v_add_co_u32 v49, vcc_lo, s4, v9
	v_add_co_ci_u32_e64 v50, null, s5, v10, vcc_lo
	v_ashrrev_i32_e32 v8, 31, v7
	v_add_co_u32 v55, vcc_lo, s4, v5
	v_lshlrev_b64 v[9:10], 4, v[11:12]
	v_add_nc_u32_e32 v5, s15, v7
	s_clause 0x1
	global_load_dwordx4 v[113:116], v[51:52], off
	global_load_dwordx4 v[122:125], v[49:50], off
	v_add_co_ci_u32_e64 v56, null, s5, v6, vcc_lo
	v_lshlrev_b64 v[6:7], 4, v[7:8]
	v_add_nc_u32_e32 v8, s15, v5
	v_add_co_u32 v59, vcc_lo, s4, v9
	v_add_co_ci_u32_e64 v60, null, s5, v10, vcc_lo
	v_add_co_u32 v53, vcc_lo, s4, v6
	v_ashrrev_i32_e32 v6, 31, v5
	v_add_co_ci_u32_e64 v54, null, s5, v7, vcc_lo
	v_ashrrev_i32_e32 v9, 31, v8
	v_add_nc_u32_e32 v7, s15, v8
	s_clause 0x1
	global_load_dwordx4 v[117:120], v[57:58], off
	global_load_dwordx4 v[130:133], v[59:60], off
	v_lshlrev_b64 v[5:6], 4, v[5:6]
	v_lshlrev_b64 v[9:10], 4, v[8:9]
	v_ashrrev_i32_e32 v8, 31, v7
	s_clause 0x1
	global_load_dwordx4 v[126:129], v[55:56], off
	global_load_dwordx4 v[134:137], v[53:54], off
	s_movk_i32 s8, 0x70
	v_add_co_u32 v61, vcc_lo, s4, v5
	v_add_co_ci_u32_e64 v62, null, s5, v6, vcc_lo
	v_lshlrev_b64 v[5:6], 4, v[7:8]
	v_add_co_u32 v63, vcc_lo, s4, v9
	v_add_co_ci_u32_e64 v64, null, s5, v10, vcc_lo
	global_load_dwordx4 v[138:141], v[61:62], off
	v_add_co_u32 v65, vcc_lo, s4, v5
	v_add_co_ci_u32_e64 v66, null, s5, v6, vcc_lo
	global_load_dwordx4 v[142:145], v[63:64], off
	v_add_nc_u32_e32 v5, s15, v7
	s_movk_i32 s9, 0x80
	global_load_dwordx4 v[146:149], v[65:66], off
	s_movk_i32 s12, 0x90
	s_movk_i32 s13, 0xa0
	v_add_nc_u32_e32 v7, s15, v5
	v_ashrrev_i32_e32 v6, 31, v5
	s_movk_i32 s14, 0xb0
	s_movk_i32 s52, 0x170
	;; [unrolled: 1-line block ×3, first 2 shown]
	v_add_nc_u32_e32 v9, s15, v7
	v_lshlrev_b64 v[5:6], 4, v[5:6]
	v_ashrrev_i32_e32 v8, 31, v7
	s_movk_i32 s54, 0x190
	s_movk_i32 s55, 0x1a0
	v_add_nc_u32_e32 v11, s15, v9
	v_ashrrev_i32_e32 v10, 31, v9
	v_lshlrev_b64 v[7:8], 4, v[7:8]
	v_add_co_u32 v67, vcc_lo, s4, v5
	v_add_nc_u32_e32 v13, s15, v11
	v_ashrrev_i32_e32 v12, 31, v11
	v_add_co_ci_u32_e64 v68, null, s5, v6, vcc_lo
	v_lshlrev_b64 v[5:6], 4, v[9:10]
	v_add_nc_u32_e32 v17, s15, v13
	v_ashrrev_i32_e32 v14, 31, v13
	v_lshlrev_b64 v[15:16], 4, v[11:12]
	v_add_co_u32 v69, vcc_lo, s4, v7
	v_add_nc_u32_e32 v21, s15, v17
	v_ashrrev_i32_e32 v18, 31, v17
	v_lshlrev_b64 v[13:14], 4, v[13:14]
	v_add_co_ci_u32_e64 v70, null, s5, v8, vcc_lo
	v_add_nc_u32_e32 v25, s15, v21
	v_ashrrev_i32_e32 v22, 31, v21
	v_add_co_u32 v71, vcc_lo, s4, v5
	v_lshlrev_b64 v[23:24], 4, v[17:18]
	v_add_nc_u32_e32 v29, s15, v25
	v_ashrrev_i32_e32 v26, 31, v25
	v_add_co_ci_u32_e64 v72, null, s5, v6, vcc_lo
	v_add_co_u32 v73, vcc_lo, s4, v15
	v_add_nc_u32_e32 v33, s15, v29
	v_ashrrev_i32_e32 v30, 31, v29
	v_lshlrev_b64 v[21:22], 4, v[21:22]
	v_add_co_ci_u32_e64 v74, null, s5, v16, vcc_lo
	v_add_nc_u32_e32 v37, s15, v33
	v_ashrrev_i32_e32 v34, 31, v33
	v_add_co_u32 v75, vcc_lo, s4, v13
	v_lshlrev_b64 v[31:32], 4, v[25:26]
	v_add_nc_u32_e32 v41, s15, v37
	v_ashrrev_i32_e32 v38, 31, v37
	v_add_co_ci_u32_e64 v76, null, s5, v14, vcc_lo
	v_add_co_u32 v77, vcc_lo, s4, v23
	v_add_nc_u32_e32 v89, s15, v41
	v_lshlrev_b64 v[29:30], 4, v[29:30]
	v_ashrrev_i32_e32 v42, 31, v41
	v_add_co_ci_u32_e64 v78, null, s5, v24, vcc_lo
	v_add_nc_u32_e32 v93, s15, v89
	v_add_co_u32 v79, vcc_lo, s4, v21
	v_lshlrev_b64 v[39:40], 4, v[33:34]
	v_ashrrev_i32_e32 v90, 31, v89
	v_add_co_ci_u32_e64 v80, null, s5, v22, vcc_lo
	v_add_co_u32 v81, vcc_lo, s4, v31
	v_lshlrev_b64 v[37:38], 4, v[37:38]
	v_add_co_ci_u32_e64 v82, null, s5, v32, vcc_lo
	v_add_co_u32 v83, vcc_lo, s4, v29
	v_lshlrev_b64 v[91:92], 4, v[41:42]
	v_add_nc_u32_e32 v97, s15, v93
	v_add_co_ci_u32_e64 v84, null, s5, v30, vcc_lo
	v_add_co_u32 v85, vcc_lo, s4, v39
	v_lshlrev_b64 v[95:96], 4, v[89:90]
	v_add_co_ci_u32_e64 v86, null, s5, v40, vcc_lo
	v_add_co_u32 v87, vcc_lo, s4, v37
	v_ashrrev_i32_e32 v98, 31, v97
	v_add_nc_u32_e32 v99, s15, v97
	v_add_co_ci_u32_e64 v88, null, s5, v38, vcc_lo
	v_add_co_u32 v89, vcc_lo, s4, v91
	v_add_co_ci_u32_e64 v90, null, s5, v92, vcc_lo
	v_add_co_u32 v91, vcc_lo, s4, v95
	v_add_co_ci_u32_e64 v92, null, s5, v96, vcc_lo
	v_lshlrev_b64 v[95:96], 4, v[97:98]
	v_add_nc_u32_e32 v97, s15, v99
	v_ashrrev_i32_e32 v94, 31, v93
	v_ashrrev_i32_e32 v100, 31, v99
	s_clause 0x3
	global_load_dwordx4 v[5:8], v[67:68], off
	global_load_dwordx4 v[9:12], v[69:70], off
	;; [unrolled: 1-line block ×4, first 2 shown]
	v_add_nc_u32_e32 v101, s15, v97
	v_lshlrev_b64 v[93:94], 4, v[93:94]
	v_ashrrev_i32_e32 v98, 31, v97
	v_lshlrev_b64 v[99:100], 4, v[99:100]
	s_clause 0x1
	global_load_dwordx4 v[21:24], v[75:76], off
	global_load_dwordx4 v[25:28], v[77:78], off
	v_add_nc_u32_e32 v105, s15, v101
	v_ashrrev_i32_e32 v102, 31, v101
	v_add_co_u32 v93, vcc_lo, s4, v93
	v_lshlrev_b64 v[103:104], 4, v[97:98]
	v_add_co_ci_u32_e64 v94, null, s5, v94, vcc_lo
	v_add_co_u32 v95, vcc_lo, s4, v95
	v_ashrrev_i32_e32 v106, 31, v105
	v_add_nc_u32_e32 v107, s15, v105
	v_add_co_ci_u32_e64 v96, null, s5, v96, vcc_lo
	v_add_co_u32 v97, vcc_lo, s4, v99
	v_add_co_ci_u32_e64 v98, null, s5, v100, vcc_lo
	v_add_co_u32 v99, vcc_lo, s4, v103
	v_add_co_ci_u32_e64 v100, null, s5, v104, vcc_lo
	v_lshlrev_b64 v[103:104], 4, v[105:106]
	v_add_nc_u32_e32 v105, s15, v107
	v_ashrrev_i32_e32 v108, 31, v107
	v_lshlrev_b64 v[101:102], 4, v[101:102]
	s_clause 0x3
	global_load_dwordx4 v[29:32], v[79:80], off
	global_load_dwordx4 v[33:36], v[81:82], off
	;; [unrolled: 1-line block ×4, first 2 shown]
	v_add_nc_u32_e32 v182, s15, v105
	v_ashrrev_i32_e32 v106, 31, v105
	v_lshlrev_b64 v[107:108], 4, v[107:108]
	v_add_co_u32 v101, vcc_lo, s4, v101
	v_add_nc_u32_e32 v186, s15, v182
	v_add_co_ci_u32_e64 v102, null, s5, v102, vcc_lo
	v_add_co_u32 v103, vcc_lo, s4, v103
	v_lshlrev_b64 v[184:185], 4, v[105:106]
	v_add_co_ci_u32_e64 v104, null, s5, v104, vcc_lo
	v_add_co_u32 v105, vcc_lo, s4, v107
	v_ashrrev_i32_e32 v183, 31, v182
	v_add_nc_u32_e32 v190, s15, v186
	v_add_co_ci_u32_e64 v106, null, s5, v108, vcc_lo
	v_add_co_u32 v107, vcc_lo, s4, v184
	s_clause 0x7
	global_load_dwordx4 v[150:153], v[87:88], off
	global_load_dwordx4 v[154:157], v[89:90], off
	;; [unrolled: 1-line block ×8, first 2 shown]
	v_lshlrev_b64 v[188:189], 4, v[182:183]
	v_add_co_ci_u32_e64 v108, null, s5, v185, vcc_lo
	v_ashrrev_i32_e32 v191, 31, v190
	v_ashrrev_i32_e32 v187, 31, v186
	s_movk_i32 s56, 0x1b0
	s_movk_i32 s57, 0x1c0
	;; [unrolled: 1-line block ×11, first 2 shown]
	s_add_i32 s43, s8, 16
	s_add_i32 s42, s9, 16
	;; [unrolled: 1-line block ×29, first 2 shown]
	s_mov_b32 s49, 32
	s_mov_b32 s48, 48
	;; [unrolled: 1-line block ×3, first 2 shown]
	s_movk_i32 s46, 0x50
	s_waitcnt vmcnt(28)
	buffer_store_dword v4, off, s[0:3], 0 offset:28
	buffer_store_dword v3, off, s[0:3], 0 offset:24
	;; [unrolled: 1-line block ×4, first 2 shown]
	s_waitcnt vmcnt(27)
	buffer_store_dword v112, off, s[0:3], 0 offset:44
	buffer_store_dword v111, off, s[0:3], 0 offset:40
	;; [unrolled: 1-line block ×4, first 2 shown]
	s_clause 0x1
	global_load_dwordx4 v[1:4], v[103:104], off
	global_load_dwordx4 v[182:185], v[105:106], off
	s_waitcnt vmcnt(28)
	buffer_store_dword v116, off, s[0:3], 0 offset:60
	buffer_store_dword v115, off, s[0:3], 0 offset:56
	buffer_store_dword v114, off, s[0:3], 0 offset:52
	buffer_store_dword v113, off, s[0:3], 0 offset:48
	v_add_nc_u32_e32 v113, s15, v190
	v_lshlrev_b64 v[115:116], 4, v[190:191]
	s_waitcnt vmcnt(26)
	buffer_store_dword v120, off, s[0:3], 0 offset:76
	buffer_store_dword v119, off, s[0:3], 0 offset:72
	;; [unrolled: 1-line block ×8, first 2 shown]
	v_add_nc_u32_e32 v190, s15, v113
	v_ashrrev_i32_e32 v114, 31, v113
	v_lshlrev_b64 v[111:112], 4, v[186:187]
	v_add_co_u32 v109, vcc_lo, s4, v188
	v_add_nc_u32_e32 v119, s15, v190
	v_ashrrev_i32_e32 v191, 31, v190
	v_lshlrev_b64 v[117:118], 4, v[113:114]
	v_add_co_ci_u32_e64 v110, null, s5, v189, vcc_lo
	v_ashrrev_i32_e32 v120, 31, v119
	v_add_co_u32 v111, vcc_lo, s4, v111
	v_lshlrev_b64 v[190:191], 4, v[190:191]
	v_add_co_ci_u32_e64 v112, null, s5, v112, vcc_lo
	v_add_co_u32 v113, vcc_lo, s4, v115
	v_lshlrev_b64 v[119:120], 4, v[119:120]
	v_add_co_ci_u32_e64 v114, null, s5, v116, vcc_lo
	v_add_co_u32 v115, vcc_lo, s4, v117
	v_add_co_ci_u32_e64 v116, null, s5, v118, vcc_lo
	v_add_co_u32 v117, vcc_lo, s4, v190
	;; [unrolled: 2-line block ×3, first 2 shown]
	v_add_co_ci_u32_e64 v120, null, s5, v120, vcc_lo
	s_clause 0x1
	global_load_dwordx4 v[122:125], v[107:108], off
	global_load_dwordx4 v[186:189], v[109:110], off
	s_waitcnt vmcnt(26)
	buffer_store_dword v129, off, s[0:3], 0 offset:108
	buffer_store_dword v128, off, s[0:3], 0 offset:104
	;; [unrolled: 1-line block ×8, first 2 shown]
	s_waitcnt vmcnt(25)
	buffer_store_dword v137, off, s[0:3], 0 offset:140
	buffer_store_dword v136, off, s[0:3], 0 offset:136
	;; [unrolled: 1-line block ×4, first 2 shown]
	s_clause 0x1
	global_load_dwordx4 v[126:129], v[111:112], off
	global_load_dwordx4 v[130:133], v[113:114], off
	s_waitcnt vmcnt(26)
	buffer_store_dword v141, off, s[0:3], 0 offset:156
	buffer_store_dword v140, off, s[0:3], 0 offset:152
	;; [unrolled: 1-line block ×4, first 2 shown]
	s_waitcnt vmcnt(25)
	buffer_store_dword v142, off, s[0:3], 0 offset:160
	buffer_store_dword v143, off, s[0:3], 0 offset:164
	;; [unrolled: 1-line block ×4, first 2 shown]
	s_clause 0x1
	global_load_dwordx4 v[134:137], v[115:116], off
	global_load_dwordx4 v[138:141], v[117:118], off
	s_waitcnt vmcnt(26)
	buffer_store_dword v146, off, s[0:3], 0 offset:176
	buffer_store_dword v147, off, s[0:3], 0 offset:180
	;; [unrolled: 1-line block ×4, first 2 shown]
	global_load_dwordx4 v[142:145], v[119:120], off
	s_movk_i32 s4, 0x50
	s_movk_i32 s5, 0x60
	;; [unrolled: 1-line block ×3, first 2 shown]
	s_add_i32 s45, s4, 16
	s_add_i32 s44, s5, 16
	;; [unrolled: 1-line block ×4, first 2 shown]
	s_bitcmp0_b32 s51, 0
	s_mov_b32 s5, -1
	s_waitcnt vmcnt(26)
	buffer_store_dword v5, off, s[0:3], 0 offset:192
	buffer_store_dword v6, off, s[0:3], 0 offset:196
	buffer_store_dword v7, off, s[0:3], 0 offset:200
	buffer_store_dword v8, off, s[0:3], 0 offset:204
	s_waitcnt vmcnt(25)
	buffer_store_dword v12, off, s[0:3], 0 offset:220
	buffer_store_dword v11, off, s[0:3], 0 offset:216
	buffer_store_dword v10, off, s[0:3], 0 offset:212
	buffer_store_dword v9, off, s[0:3], 0 offset:208
	;; [unrolled: 5-line block ×27, first 2 shown]
	s_cbranch_scc1 .LBB37_164
; %bb.4:
	v_cmp_eq_u32_e64 s4, 0, v0
	s_and_saveexec_b32 s5, s4
; %bb.5:
	v_mov_b32_e32 v1, 0
	ds_write_b32 v1, v1 offset:1216
; %bb.6:
	s_or_b32 exec_lo, exec_lo, s5
	v_lshl_add_u32 v11, v0, 4, 16
	s_waitcnt lgkmcnt(0)
	s_waitcnt_vscnt null, 0x0
	s_barrier
	buffer_gl0_inv
	s_clause 0x3
	buffer_load_dword v1, v11, s[0:3], 0 offen
	buffer_load_dword v2, v11, s[0:3], 0 offen offset:4
	buffer_load_dword v3, v11, s[0:3], 0 offen offset:8
	;; [unrolled: 1-line block ×3, first 2 shown]
	s_waitcnt vmcnt(2)
	v_cmp_eq_f64_e32 vcc_lo, 0, v[1:2]
	s_waitcnt vmcnt(0)
	v_cmp_eq_f64_e64 s5, 0, v[3:4]
	s_and_b32 s5, vcc_lo, s5
	s_and_saveexec_b32 s51, s5
	s_cbranch_execz .LBB37_10
; %bb.7:
	v_mov_b32_e32 v1, 0
	s_mov_b32 s52, 0
	ds_read_b32 v2, v1 offset:1216
	s_waitcnt lgkmcnt(0)
	v_readfirstlane_b32 s5, v2
	v_add_nc_u32_e32 v2, 1, v0
	s_cmp_eq_u32 s5, 0
	v_cmp_gt_i32_e32 vcc_lo, s5, v2
	s_cselect_b32 s53, -1, 0
	s_or_b32 s53, s53, vcc_lo
	s_and_b32 exec_lo, exec_lo, s53
	s_cbranch_execz .LBB37_10
; %bb.8:
	v_mov_b32_e32 v3, s5
.LBB37_9:                               ; =>This Inner Loop Header: Depth=1
	ds_cmpst_rtn_b32 v3, v1, v3, v2 offset:1216
	s_waitcnt lgkmcnt(0)
	v_cmp_ne_u32_e32 vcc_lo, 0, v3
	v_cmp_le_i32_e64 s5, v3, v2
	s_and_b32 s5, vcc_lo, s5
	s_and_b32 s5, exec_lo, s5
	s_or_b32 s52, s5, s52
	s_andn2_b32 exec_lo, exec_lo, s52
	s_cbranch_execnz .LBB37_9
.LBB37_10:
	s_or_b32 exec_lo, exec_lo, s51
	v_mov_b32_e32 v1, 0
	s_barrier
	buffer_gl0_inv
	ds_read_b32 v2, v1 offset:1216
	s_and_saveexec_b32 s5, s4
	s_cbranch_execz .LBB37_12
; %bb.11:
	s_lshl_b64 s[52:53], s[6:7], 2
	s_add_u32 s52, s10, s52
	s_addc_u32 s53, s11, s53
	s_waitcnt lgkmcnt(0)
	global_store_dword v1, v2, s[52:53]
.LBB37_12:
	s_or_b32 exec_lo, exec_lo, s5
	s_waitcnt lgkmcnt(0)
	v_cmp_ne_u32_e32 vcc_lo, 0, v2
	s_mov_b32 s5, 0
	s_cbranch_vccnz .LBB37_164
; %bb.13:
	s_clause 0x3
	buffer_load_dword v7, v11, s[0:3], 0 offen
	buffer_load_dword v8, v11, s[0:3], 0 offen offset:4
	buffer_load_dword v9, v11, s[0:3], 0 offen offset:8
	;; [unrolled: 1-line block ×3, first 2 shown]
                                        ; implicit-def: $vgpr5_vgpr6
                                        ; implicit-def: $vgpr3_vgpr4
	s_waitcnt vmcnt(0)
	v_cmp_ngt_f64_e64 s5, |v[7:8]|, |v[9:10]|
	s_and_saveexec_b32 s51, s5
	s_xor_b32 s5, exec_lo, s51
	s_cbranch_execz .LBB37_15
; %bb.14:
	v_div_scale_f64 v[1:2], null, v[9:10], v[9:10], v[7:8]
	v_div_scale_f64 v[12:13], vcc_lo, v[7:8], v[9:10], v[7:8]
	v_rcp_f64_e32 v[3:4], v[1:2]
	v_fma_f64 v[5:6], -v[1:2], v[3:4], 1.0
	v_fma_f64 v[3:4], v[3:4], v[5:6], v[3:4]
	v_fma_f64 v[5:6], -v[1:2], v[3:4], 1.0
	v_fma_f64 v[3:4], v[3:4], v[5:6], v[3:4]
	v_mul_f64 v[5:6], v[12:13], v[3:4]
	v_fma_f64 v[1:2], -v[1:2], v[5:6], v[12:13]
	v_div_fmas_f64 v[1:2], v[1:2], v[3:4], v[5:6]
	v_div_fixup_f64 v[1:2], v[1:2], v[9:10], v[7:8]
	v_fma_f64 v[3:4], v[7:8], v[1:2], v[9:10]
	v_div_scale_f64 v[5:6], null, v[3:4], v[3:4], 1.0
	v_div_scale_f64 v[12:13], vcc_lo, 1.0, v[3:4], 1.0
	v_rcp_f64_e32 v[7:8], v[5:6]
	v_fma_f64 v[9:10], -v[5:6], v[7:8], 1.0
	v_fma_f64 v[7:8], v[7:8], v[9:10], v[7:8]
	v_fma_f64 v[9:10], -v[5:6], v[7:8], 1.0
	v_fma_f64 v[7:8], v[7:8], v[9:10], v[7:8]
	v_mul_f64 v[9:10], v[12:13], v[7:8]
	v_fma_f64 v[5:6], -v[5:6], v[9:10], v[12:13]
	v_div_fmas_f64 v[5:6], v[5:6], v[7:8], v[9:10]
                                        ; implicit-def: $vgpr7_vgpr8
                                        ; implicit-def: $vgpr9_vgpr10
	v_div_fixup_f64 v[3:4], v[5:6], v[3:4], 1.0
	v_mul_f64 v[5:6], v[1:2], v[3:4]
	v_xor_b32_e32 v4, 0x80000000, v4
	v_xor_b32_e32 v2, 0x80000000, v6
	v_mov_b32_e32 v1, v5
.LBB37_15:
	s_andn2_saveexec_b32 s5, s5
	s_cbranch_execz .LBB37_17
; %bb.16:
	v_div_scale_f64 v[1:2], null, v[7:8], v[7:8], v[9:10]
	v_div_scale_f64 v[12:13], vcc_lo, v[9:10], v[7:8], v[9:10]
	v_rcp_f64_e32 v[3:4], v[1:2]
	v_fma_f64 v[5:6], -v[1:2], v[3:4], 1.0
	v_fma_f64 v[3:4], v[3:4], v[5:6], v[3:4]
	v_fma_f64 v[5:6], -v[1:2], v[3:4], 1.0
	v_fma_f64 v[3:4], v[3:4], v[5:6], v[3:4]
	v_mul_f64 v[5:6], v[12:13], v[3:4]
	v_fma_f64 v[1:2], -v[1:2], v[5:6], v[12:13]
	v_div_fmas_f64 v[1:2], v[1:2], v[3:4], v[5:6]
	v_div_fixup_f64 v[1:2], v[1:2], v[7:8], v[9:10]
	v_fma_f64 v[3:4], v[9:10], v[1:2], v[7:8]
	v_div_scale_f64 v[5:6], null, v[3:4], v[3:4], 1.0
	v_rcp_f64_e32 v[7:8], v[5:6]
	v_fma_f64 v[9:10], -v[5:6], v[7:8], 1.0
	v_fma_f64 v[7:8], v[7:8], v[9:10], v[7:8]
	v_fma_f64 v[9:10], -v[5:6], v[7:8], 1.0
	v_fma_f64 v[7:8], v[7:8], v[9:10], v[7:8]
	v_div_scale_f64 v[9:10], vcc_lo, 1.0, v[3:4], 1.0
	v_mul_f64 v[12:13], v[9:10], v[7:8]
	v_fma_f64 v[5:6], -v[5:6], v[12:13], v[9:10]
	v_div_fmas_f64 v[5:6], v[5:6], v[7:8], v[12:13]
	v_div_fixup_f64 v[5:6], v[5:6], v[3:4], 1.0
	v_mul_f64 v[3:4], v[1:2], -v[5:6]
	v_xor_b32_e32 v2, 0x80000000, v6
	v_mov_b32_e32 v1, v5
.LBB37_17:
	s_or_b32 exec_lo, exec_lo, s5
	v_mov_b32_e32 v10, s49
	buffer_store_dword v6, v11, s[0:3], 0 offen offset:4
	buffer_store_dword v5, v11, s[0:3], 0 offen
	buffer_store_dword v4, v11, s[0:3], 0 offen offset:12
	buffer_store_dword v3, v11, s[0:3], 0 offen offset:8
	v_xor_b32_e32 v4, 0x80000000, v4
	v_add_nc_u32_e32 v5, 0x260, v121
	s_clause 0x3
	buffer_load_dword v9, v10, s[0:3], 0 offen offset:12
	buffer_load_dword v8, v10, s[0:3], 0 offen offset:8
	;; [unrolled: 1-line block ×3, first 2 shown]
	buffer_load_dword v6, v10, s[0:3], 0 offen
	ds_write_b128 v121, v[1:4]
	s_waitcnt vmcnt(0)
	ds_write_b128 v121, v[6:9] offset:608
	s_waitcnt lgkmcnt(0)
	s_waitcnt_vscnt null, 0x0
	s_barrier
	buffer_gl0_inv
	s_and_saveexec_b32 s5, s4
	s_cbranch_execz .LBB37_19
; %bb.18:
	s_clause 0x3
	buffer_load_dword v12, v11, s[0:3], 0 offen offset:8
	buffer_load_dword v13, v11, s[0:3], 0 offen offset:12
	buffer_load_dword v14, v11, s[0:3], 0 offen
	buffer_load_dword v15, v11, s[0:3], 0 offen offset:4
	ds_read_b128 v[1:4], v5
	v_mov_b32_e32 v6, 0
	ds_read_b128 v[6:9], v6 offset:16
	s_waitcnt vmcnt(2) lgkmcnt(1)
	v_mul_f64 v[16:17], v[1:2], v[12:13]
	v_mul_f64 v[12:13], v[3:4], v[12:13]
	s_waitcnt vmcnt(0)
	v_fma_f64 v[3:4], v[3:4], v[14:15], v[16:17]
	v_fma_f64 v[1:2], v[1:2], v[14:15], -v[12:13]
	v_add_f64 v[3:4], v[3:4], 0
	v_add_f64 v[1:2], v[1:2], 0
	s_waitcnt lgkmcnt(0)
	v_mul_f64 v[12:13], v[3:4], v[8:9]
	v_mul_f64 v[8:9], v[1:2], v[8:9]
	v_fma_f64 v[1:2], v[1:2], v[6:7], -v[12:13]
	v_fma_f64 v[3:4], v[3:4], v[6:7], v[8:9]
	buffer_store_dword v1, off, s[0:3], 0 offset:32
	buffer_store_dword v2, off, s[0:3], 0 offset:36
	buffer_store_dword v3, off, s[0:3], 0 offset:40
	buffer_store_dword v4, off, s[0:3], 0 offset:44
.LBB37_19:
	s_or_b32 exec_lo, exec_lo, s5
	v_mov_b32_e32 v4, s48
	s_waitcnt_vscnt null, 0x0
	s_barrier
	buffer_gl0_inv
	s_mov_b32 s5, exec_lo
	s_clause 0x3
	buffer_load_dword v1, v4, s[0:3], 0 offen
	buffer_load_dword v2, v4, s[0:3], 0 offen offset:4
	buffer_load_dword v3, v4, s[0:3], 0 offen offset:8
	;; [unrolled: 1-line block ×3, first 2 shown]
	s_waitcnt vmcnt(0)
	ds_write_b128 v5, v[1:4]
	s_waitcnt lgkmcnt(0)
	s_barrier
	buffer_gl0_inv
	v_cmpx_gt_u32_e32 2, v0
	s_cbranch_execz .LBB37_23
; %bb.20:
	s_clause 0x3
	buffer_load_dword v6, v11, s[0:3], 0 offen offset:8
	buffer_load_dword v7, v11, s[0:3], 0 offen offset:12
	buffer_load_dword v8, v11, s[0:3], 0 offen
	buffer_load_dword v9, v11, s[0:3], 0 offen offset:4
	ds_read_b128 v[1:4], v5
	s_waitcnt vmcnt(2) lgkmcnt(0)
	v_mul_f64 v[10:11], v[3:4], v[6:7]
	v_mul_f64 v[6:7], v[1:2], v[6:7]
	s_waitcnt vmcnt(0)
	v_fma_f64 v[1:2], v[1:2], v[8:9], -v[10:11]
	v_fma_f64 v[3:4], v[3:4], v[8:9], v[6:7]
	v_add_f64 v[1:2], v[1:2], 0
	v_add_f64 v[3:4], v[3:4], 0
	s_and_saveexec_b32 s51, s4
	s_cbranch_execz .LBB37_22
; %bb.21:
	s_clause 0x3
	buffer_load_dword v10, off, s[0:3], 0 offset:40
	buffer_load_dword v11, off, s[0:3], 0 offset:44
	buffer_load_dword v12, off, s[0:3], 0 offset:32
	buffer_load_dword v13, off, s[0:3], 0 offset:36
	v_mov_b32_e32 v6, 0
	ds_read_b128 v[6:9], v6 offset:624
	s_waitcnt vmcnt(2) lgkmcnt(0)
	v_mul_f64 v[14:15], v[6:7], v[10:11]
	v_mul_f64 v[10:11], v[8:9], v[10:11]
	s_waitcnt vmcnt(0)
	v_fma_f64 v[8:9], v[8:9], v[12:13], v[14:15]
	v_fma_f64 v[6:7], v[6:7], v[12:13], -v[10:11]
	v_add_f64 v[3:4], v[3:4], v[8:9]
	v_add_f64 v[1:2], v[1:2], v[6:7]
.LBB37_22:
	s_or_b32 exec_lo, exec_lo, s51
	v_mov_b32_e32 v6, 0
	ds_read_b128 v[6:9], v6 offset:32
	s_waitcnt lgkmcnt(0)
	v_mul_f64 v[10:11], v[3:4], v[8:9]
	v_mul_f64 v[8:9], v[1:2], v[8:9]
	v_fma_f64 v[1:2], v[1:2], v[6:7], -v[10:11]
	v_fma_f64 v[3:4], v[3:4], v[6:7], v[8:9]
	buffer_store_dword v2, off, s[0:3], 0 offset:52
	buffer_store_dword v1, off, s[0:3], 0 offset:48
	;; [unrolled: 1-line block ×4, first 2 shown]
.LBB37_23:
	s_or_b32 exec_lo, exec_lo, s5
	v_mov_b32_e32 v4, s47
	s_waitcnt_vscnt null, 0x0
	s_barrier
	buffer_gl0_inv
	v_add_nc_u32_e32 v6, -1, v0
	s_clause 0x3
	buffer_load_dword v1, v4, s[0:3], 0 offen
	buffer_load_dword v2, v4, s[0:3], 0 offen offset:4
	buffer_load_dword v3, v4, s[0:3], 0 offen offset:8
	;; [unrolled: 1-line block ×3, first 2 shown]
	s_mov_b32 s4, exec_lo
	s_waitcnt vmcnt(0)
	ds_write_b128 v5, v[1:4]
	s_waitcnt lgkmcnt(0)
	s_barrier
	buffer_gl0_inv
	v_cmpx_gt_u32_e32 3, v0
	s_cbranch_execz .LBB37_27
; %bb.24:
	v_mov_b32_e32 v1, 0
	v_mov_b32_e32 v3, 0
	v_add_nc_u32_e32 v7, -1, v0
	v_add_nc_u32_e32 v8, 0x260, v121
	v_mov_b32_e32 v2, 0
	v_mov_b32_e32 v4, 0
	v_add_nc_u32_e32 v9, 16, v121
	s_mov_b32 s5, 0
	.p2align	6
.LBB37_25:                              ; =>This Inner Loop Header: Depth=1
	s_clause 0x3
	buffer_load_dword v14, v9, s[0:3], 0 offen offset:8
	buffer_load_dword v15, v9, s[0:3], 0 offen offset:12
	buffer_load_dword v16, v9, s[0:3], 0 offen
	buffer_load_dword v17, v9, s[0:3], 0 offen offset:4
	ds_read_b128 v[10:13], v8
	v_add_nc_u32_e32 v7, 1, v7
	v_add_nc_u32_e32 v8, 16, v8
	;; [unrolled: 1-line block ×3, first 2 shown]
	v_cmp_lt_u32_e32 vcc_lo, 1, v7
	s_or_b32 s5, vcc_lo, s5
	s_waitcnt vmcnt(2) lgkmcnt(0)
	v_mul_f64 v[18:19], v[12:13], v[14:15]
	v_mul_f64 v[14:15], v[10:11], v[14:15]
	s_waitcnt vmcnt(0)
	v_fma_f64 v[10:11], v[10:11], v[16:17], -v[18:19]
	v_fma_f64 v[12:13], v[12:13], v[16:17], v[14:15]
	v_add_f64 v[3:4], v[3:4], v[10:11]
	v_add_f64 v[1:2], v[1:2], v[12:13]
	s_andn2_b32 exec_lo, exec_lo, s5
	s_cbranch_execnz .LBB37_25
; %bb.26:
	s_or_b32 exec_lo, exec_lo, s5
	v_mov_b32_e32 v7, 0
	ds_read_b128 v[7:10], v7 offset:48
	s_waitcnt lgkmcnt(0)
	v_mul_f64 v[11:12], v[1:2], v[9:10]
	v_mul_f64 v[9:10], v[3:4], v[9:10]
	v_fma_f64 v[3:4], v[3:4], v[7:8], -v[11:12]
	v_fma_f64 v[1:2], v[1:2], v[7:8], v[9:10]
	buffer_store_dword v4, off, s[0:3], 0 offset:68
	buffer_store_dword v3, off, s[0:3], 0 offset:64
	buffer_store_dword v2, off, s[0:3], 0 offset:76
	buffer_store_dword v1, off, s[0:3], 0 offset:72
.LBB37_27:
	s_or_b32 exec_lo, exec_lo, s4
	v_mov_b32_e32 v4, s46
	s_waitcnt_vscnt null, 0x0
	s_barrier
	buffer_gl0_inv
	s_mov_b32 s4, exec_lo
	s_clause 0x3
	buffer_load_dword v1, v4, s[0:3], 0 offen
	buffer_load_dword v2, v4, s[0:3], 0 offen offset:4
	buffer_load_dword v3, v4, s[0:3], 0 offen offset:8
	;; [unrolled: 1-line block ×3, first 2 shown]
	s_waitcnt vmcnt(0)
	ds_write_b128 v5, v[1:4]
	s_waitcnt lgkmcnt(0)
	s_barrier
	buffer_gl0_inv
	v_cmpx_gt_u32_e32 4, v0
	s_cbranch_execz .LBB37_31
; %bb.28:
	v_mov_b32_e32 v1, 0
	v_mov_b32_e32 v3, 0
	v_add_nc_u32_e32 v7, -1, v0
	v_add_nc_u32_e32 v8, 0x260, v121
	v_mov_b32_e32 v2, 0
	v_mov_b32_e32 v4, 0
	v_add_nc_u32_e32 v9, 16, v121
	s_mov_b32 s5, 0
	.p2align	6
.LBB37_29:                              ; =>This Inner Loop Header: Depth=1
	s_clause 0x3
	buffer_load_dword v14, v9, s[0:3], 0 offen offset:8
	buffer_load_dword v15, v9, s[0:3], 0 offen offset:12
	buffer_load_dword v16, v9, s[0:3], 0 offen
	buffer_load_dword v17, v9, s[0:3], 0 offen offset:4
	ds_read_b128 v[10:13], v8
	v_add_nc_u32_e32 v7, 1, v7
	v_add_nc_u32_e32 v8, 16, v8
	;; [unrolled: 1-line block ×3, first 2 shown]
	v_cmp_lt_u32_e32 vcc_lo, 2, v7
	s_or_b32 s5, vcc_lo, s5
	s_waitcnt vmcnt(2) lgkmcnt(0)
	v_mul_f64 v[18:19], v[12:13], v[14:15]
	v_mul_f64 v[14:15], v[10:11], v[14:15]
	s_waitcnt vmcnt(0)
	v_fma_f64 v[10:11], v[10:11], v[16:17], -v[18:19]
	v_fma_f64 v[12:13], v[12:13], v[16:17], v[14:15]
	v_add_f64 v[3:4], v[3:4], v[10:11]
	v_add_f64 v[1:2], v[1:2], v[12:13]
	s_andn2_b32 exec_lo, exec_lo, s5
	s_cbranch_execnz .LBB37_29
; %bb.30:
	s_or_b32 exec_lo, exec_lo, s5
	v_mov_b32_e32 v7, 0
	ds_read_b128 v[7:10], v7 offset:64
	s_waitcnt lgkmcnt(0)
	v_mul_f64 v[11:12], v[1:2], v[9:10]
	v_mul_f64 v[9:10], v[3:4], v[9:10]
	v_fma_f64 v[3:4], v[3:4], v[7:8], -v[11:12]
	v_fma_f64 v[1:2], v[1:2], v[7:8], v[9:10]
	buffer_store_dword v4, off, s[0:3], 0 offset:84
	buffer_store_dword v3, off, s[0:3], 0 offset:80
	;; [unrolled: 1-line block ×4, first 2 shown]
.LBB37_31:
	s_or_b32 exec_lo, exec_lo, s4
	v_mov_b32_e32 v4, s45
	s_waitcnt_vscnt null, 0x0
	s_barrier
	buffer_gl0_inv
	s_mov_b32 s4, exec_lo
	s_clause 0x3
	buffer_load_dword v1, v4, s[0:3], 0 offen
	buffer_load_dword v2, v4, s[0:3], 0 offen offset:4
	buffer_load_dword v3, v4, s[0:3], 0 offen offset:8
	;; [unrolled: 1-line block ×3, first 2 shown]
	s_waitcnt vmcnt(0)
	ds_write_b128 v5, v[1:4]
	s_waitcnt lgkmcnt(0)
	s_barrier
	buffer_gl0_inv
	v_cmpx_gt_u32_e32 5, v0
	s_cbranch_execz .LBB37_35
; %bb.32:
	v_mov_b32_e32 v1, 0
	v_mov_b32_e32 v3, 0
	v_add_nc_u32_e32 v7, -1, v0
	v_add_nc_u32_e32 v8, 0x260, v121
	v_mov_b32_e32 v2, 0
	v_mov_b32_e32 v4, 0
	v_add_nc_u32_e32 v9, 16, v121
	s_mov_b32 s5, 0
	.p2align	6
.LBB37_33:                              ; =>This Inner Loop Header: Depth=1
	s_clause 0x3
	buffer_load_dword v14, v9, s[0:3], 0 offen offset:8
	buffer_load_dword v15, v9, s[0:3], 0 offen offset:12
	buffer_load_dword v16, v9, s[0:3], 0 offen
	buffer_load_dword v17, v9, s[0:3], 0 offen offset:4
	ds_read_b128 v[10:13], v8
	v_add_nc_u32_e32 v7, 1, v7
	v_add_nc_u32_e32 v8, 16, v8
	;; [unrolled: 1-line block ×3, first 2 shown]
	v_cmp_lt_u32_e32 vcc_lo, 3, v7
	s_or_b32 s5, vcc_lo, s5
	s_waitcnt vmcnt(2) lgkmcnt(0)
	v_mul_f64 v[18:19], v[12:13], v[14:15]
	v_mul_f64 v[14:15], v[10:11], v[14:15]
	s_waitcnt vmcnt(0)
	v_fma_f64 v[10:11], v[10:11], v[16:17], -v[18:19]
	v_fma_f64 v[12:13], v[12:13], v[16:17], v[14:15]
	v_add_f64 v[3:4], v[3:4], v[10:11]
	v_add_f64 v[1:2], v[1:2], v[12:13]
	s_andn2_b32 exec_lo, exec_lo, s5
	s_cbranch_execnz .LBB37_33
; %bb.34:
	s_or_b32 exec_lo, exec_lo, s5
	v_mov_b32_e32 v7, 0
	ds_read_b128 v[7:10], v7 offset:80
	s_waitcnt lgkmcnt(0)
	v_mul_f64 v[11:12], v[1:2], v[9:10]
	v_mul_f64 v[9:10], v[3:4], v[9:10]
	v_fma_f64 v[3:4], v[3:4], v[7:8], -v[11:12]
	v_fma_f64 v[1:2], v[1:2], v[7:8], v[9:10]
	buffer_store_dword v4, off, s[0:3], 0 offset:100
	buffer_store_dword v3, off, s[0:3], 0 offset:96
	;; [unrolled: 1-line block ×4, first 2 shown]
.LBB37_35:
	s_or_b32 exec_lo, exec_lo, s4
	v_mov_b32_e32 v4, s44
	s_waitcnt_vscnt null, 0x0
	s_barrier
	buffer_gl0_inv
	s_mov_b32 s4, exec_lo
	s_clause 0x3
	buffer_load_dword v1, v4, s[0:3], 0 offen
	buffer_load_dword v2, v4, s[0:3], 0 offen offset:4
	buffer_load_dword v3, v4, s[0:3], 0 offen offset:8
	;; [unrolled: 1-line block ×3, first 2 shown]
	s_waitcnt vmcnt(0)
	ds_write_b128 v5, v[1:4]
	s_waitcnt lgkmcnt(0)
	s_barrier
	buffer_gl0_inv
	v_cmpx_gt_u32_e32 6, v0
	s_cbranch_execz .LBB37_39
; %bb.36:
	v_mov_b32_e32 v1, 0
	v_mov_b32_e32 v3, 0
	v_add_nc_u32_e32 v7, -1, v0
	v_add_nc_u32_e32 v8, 0x260, v121
	v_mov_b32_e32 v2, 0
	v_mov_b32_e32 v4, 0
	v_add_nc_u32_e32 v9, 16, v121
	s_mov_b32 s5, 0
	.p2align	6
.LBB37_37:                              ; =>This Inner Loop Header: Depth=1
	s_clause 0x3
	buffer_load_dword v14, v9, s[0:3], 0 offen offset:8
	buffer_load_dword v15, v9, s[0:3], 0 offen offset:12
	buffer_load_dword v16, v9, s[0:3], 0 offen
	buffer_load_dword v17, v9, s[0:3], 0 offen offset:4
	ds_read_b128 v[10:13], v8
	v_add_nc_u32_e32 v7, 1, v7
	v_add_nc_u32_e32 v8, 16, v8
	;; [unrolled: 1-line block ×3, first 2 shown]
	v_cmp_lt_u32_e32 vcc_lo, 4, v7
	s_or_b32 s5, vcc_lo, s5
	s_waitcnt vmcnt(2) lgkmcnt(0)
	v_mul_f64 v[18:19], v[12:13], v[14:15]
	v_mul_f64 v[14:15], v[10:11], v[14:15]
	s_waitcnt vmcnt(0)
	v_fma_f64 v[10:11], v[10:11], v[16:17], -v[18:19]
	v_fma_f64 v[12:13], v[12:13], v[16:17], v[14:15]
	v_add_f64 v[3:4], v[3:4], v[10:11]
	v_add_f64 v[1:2], v[1:2], v[12:13]
	s_andn2_b32 exec_lo, exec_lo, s5
	s_cbranch_execnz .LBB37_37
; %bb.38:
	s_or_b32 exec_lo, exec_lo, s5
	v_mov_b32_e32 v7, 0
	ds_read_b128 v[7:10], v7 offset:96
	s_waitcnt lgkmcnt(0)
	v_mul_f64 v[11:12], v[1:2], v[9:10]
	v_mul_f64 v[9:10], v[3:4], v[9:10]
	v_fma_f64 v[3:4], v[3:4], v[7:8], -v[11:12]
	v_fma_f64 v[1:2], v[1:2], v[7:8], v[9:10]
	buffer_store_dword v4, off, s[0:3], 0 offset:116
	buffer_store_dword v3, off, s[0:3], 0 offset:112
	;; [unrolled: 1-line block ×4, first 2 shown]
.LBB37_39:
	s_or_b32 exec_lo, exec_lo, s4
	v_mov_b32_e32 v4, s43
	s_waitcnt_vscnt null, 0x0
	s_barrier
	buffer_gl0_inv
	s_mov_b32 s4, exec_lo
	s_clause 0x3
	buffer_load_dword v1, v4, s[0:3], 0 offen
	buffer_load_dword v2, v4, s[0:3], 0 offen offset:4
	buffer_load_dword v3, v4, s[0:3], 0 offen offset:8
	;; [unrolled: 1-line block ×3, first 2 shown]
	s_waitcnt vmcnt(0)
	ds_write_b128 v5, v[1:4]
	s_waitcnt lgkmcnt(0)
	s_barrier
	buffer_gl0_inv
	v_cmpx_gt_u32_e32 7, v0
	s_cbranch_execz .LBB37_43
; %bb.40:
	v_mov_b32_e32 v1, 0
	v_mov_b32_e32 v3, 0
	v_add_nc_u32_e32 v7, -1, v0
	v_add_nc_u32_e32 v8, 0x260, v121
	v_mov_b32_e32 v2, 0
	v_mov_b32_e32 v4, 0
	v_add_nc_u32_e32 v9, 16, v121
	s_mov_b32 s5, 0
	.p2align	6
.LBB37_41:                              ; =>This Inner Loop Header: Depth=1
	s_clause 0x3
	buffer_load_dword v14, v9, s[0:3], 0 offen offset:8
	buffer_load_dword v15, v9, s[0:3], 0 offen offset:12
	buffer_load_dword v16, v9, s[0:3], 0 offen
	buffer_load_dword v17, v9, s[0:3], 0 offen offset:4
	ds_read_b128 v[10:13], v8
	v_add_nc_u32_e32 v7, 1, v7
	v_add_nc_u32_e32 v8, 16, v8
	;; [unrolled: 1-line block ×3, first 2 shown]
	v_cmp_lt_u32_e32 vcc_lo, 5, v7
	s_or_b32 s5, vcc_lo, s5
	s_waitcnt vmcnt(2) lgkmcnt(0)
	v_mul_f64 v[18:19], v[12:13], v[14:15]
	v_mul_f64 v[14:15], v[10:11], v[14:15]
	s_waitcnt vmcnt(0)
	v_fma_f64 v[10:11], v[10:11], v[16:17], -v[18:19]
	v_fma_f64 v[12:13], v[12:13], v[16:17], v[14:15]
	v_add_f64 v[3:4], v[3:4], v[10:11]
	v_add_f64 v[1:2], v[1:2], v[12:13]
	s_andn2_b32 exec_lo, exec_lo, s5
	s_cbranch_execnz .LBB37_41
; %bb.42:
	s_or_b32 exec_lo, exec_lo, s5
	v_mov_b32_e32 v7, 0
	ds_read_b128 v[7:10], v7 offset:112
	s_waitcnt lgkmcnt(0)
	v_mul_f64 v[11:12], v[1:2], v[9:10]
	v_mul_f64 v[9:10], v[3:4], v[9:10]
	v_fma_f64 v[3:4], v[3:4], v[7:8], -v[11:12]
	v_fma_f64 v[1:2], v[1:2], v[7:8], v[9:10]
	buffer_store_dword v4, off, s[0:3], 0 offset:132
	buffer_store_dword v3, off, s[0:3], 0 offset:128
	;; [unrolled: 1-line block ×4, first 2 shown]
.LBB37_43:
	s_or_b32 exec_lo, exec_lo, s4
	v_mov_b32_e32 v4, s42
	s_waitcnt_vscnt null, 0x0
	s_barrier
	buffer_gl0_inv
	s_mov_b32 s4, exec_lo
	s_clause 0x3
	buffer_load_dword v1, v4, s[0:3], 0 offen
	buffer_load_dword v2, v4, s[0:3], 0 offen offset:4
	buffer_load_dword v3, v4, s[0:3], 0 offen offset:8
	;; [unrolled: 1-line block ×3, first 2 shown]
	s_waitcnt vmcnt(0)
	ds_write_b128 v5, v[1:4]
	s_waitcnt lgkmcnt(0)
	s_barrier
	buffer_gl0_inv
	v_cmpx_gt_u32_e32 8, v0
	s_cbranch_execz .LBB37_47
; %bb.44:
	v_mov_b32_e32 v1, 0
	v_mov_b32_e32 v3, 0
	v_add_nc_u32_e32 v7, -1, v0
	v_add_nc_u32_e32 v8, 0x260, v121
	v_mov_b32_e32 v2, 0
	v_mov_b32_e32 v4, 0
	v_add_nc_u32_e32 v9, 16, v121
	s_mov_b32 s5, 0
	.p2align	6
.LBB37_45:                              ; =>This Inner Loop Header: Depth=1
	s_clause 0x3
	buffer_load_dword v14, v9, s[0:3], 0 offen offset:8
	buffer_load_dword v15, v9, s[0:3], 0 offen offset:12
	buffer_load_dword v16, v9, s[0:3], 0 offen
	buffer_load_dword v17, v9, s[0:3], 0 offen offset:4
	ds_read_b128 v[10:13], v8
	v_add_nc_u32_e32 v7, 1, v7
	v_add_nc_u32_e32 v8, 16, v8
	;; [unrolled: 1-line block ×3, first 2 shown]
	v_cmp_lt_u32_e32 vcc_lo, 6, v7
	s_or_b32 s5, vcc_lo, s5
	s_waitcnt vmcnt(2) lgkmcnt(0)
	v_mul_f64 v[18:19], v[12:13], v[14:15]
	v_mul_f64 v[14:15], v[10:11], v[14:15]
	s_waitcnt vmcnt(0)
	v_fma_f64 v[10:11], v[10:11], v[16:17], -v[18:19]
	v_fma_f64 v[12:13], v[12:13], v[16:17], v[14:15]
	v_add_f64 v[3:4], v[3:4], v[10:11]
	v_add_f64 v[1:2], v[1:2], v[12:13]
	s_andn2_b32 exec_lo, exec_lo, s5
	s_cbranch_execnz .LBB37_45
; %bb.46:
	s_or_b32 exec_lo, exec_lo, s5
	v_mov_b32_e32 v7, 0
	ds_read_b128 v[7:10], v7 offset:128
	s_waitcnt lgkmcnt(0)
	v_mul_f64 v[11:12], v[1:2], v[9:10]
	v_mul_f64 v[9:10], v[3:4], v[9:10]
	v_fma_f64 v[3:4], v[3:4], v[7:8], -v[11:12]
	v_fma_f64 v[1:2], v[1:2], v[7:8], v[9:10]
	buffer_store_dword v4, off, s[0:3], 0 offset:148
	buffer_store_dword v3, off, s[0:3], 0 offset:144
	;; [unrolled: 1-line block ×4, first 2 shown]
.LBB37_47:
	s_or_b32 exec_lo, exec_lo, s4
	v_mov_b32_e32 v4, s41
	s_waitcnt_vscnt null, 0x0
	s_barrier
	buffer_gl0_inv
	s_mov_b32 s4, exec_lo
	s_clause 0x3
	buffer_load_dword v1, v4, s[0:3], 0 offen
	buffer_load_dword v2, v4, s[0:3], 0 offen offset:4
	buffer_load_dword v3, v4, s[0:3], 0 offen offset:8
	;; [unrolled: 1-line block ×3, first 2 shown]
	s_waitcnt vmcnt(0)
	ds_write_b128 v5, v[1:4]
	s_waitcnt lgkmcnt(0)
	s_barrier
	buffer_gl0_inv
	v_cmpx_gt_u32_e32 9, v0
	s_cbranch_execz .LBB37_51
; %bb.48:
	v_mov_b32_e32 v1, 0
	v_mov_b32_e32 v3, 0
	v_add_nc_u32_e32 v7, -1, v0
	v_add_nc_u32_e32 v8, 0x260, v121
	v_mov_b32_e32 v2, 0
	v_mov_b32_e32 v4, 0
	v_add_nc_u32_e32 v9, 16, v121
	s_mov_b32 s5, 0
	.p2align	6
.LBB37_49:                              ; =>This Inner Loop Header: Depth=1
	s_clause 0x3
	buffer_load_dword v14, v9, s[0:3], 0 offen offset:8
	buffer_load_dword v15, v9, s[0:3], 0 offen offset:12
	buffer_load_dword v16, v9, s[0:3], 0 offen
	buffer_load_dword v17, v9, s[0:3], 0 offen offset:4
	ds_read_b128 v[10:13], v8
	v_add_nc_u32_e32 v7, 1, v7
	v_add_nc_u32_e32 v8, 16, v8
	;; [unrolled: 1-line block ×3, first 2 shown]
	v_cmp_lt_u32_e32 vcc_lo, 7, v7
	s_or_b32 s5, vcc_lo, s5
	s_waitcnt vmcnt(2) lgkmcnt(0)
	v_mul_f64 v[18:19], v[12:13], v[14:15]
	v_mul_f64 v[14:15], v[10:11], v[14:15]
	s_waitcnt vmcnt(0)
	v_fma_f64 v[10:11], v[10:11], v[16:17], -v[18:19]
	v_fma_f64 v[12:13], v[12:13], v[16:17], v[14:15]
	v_add_f64 v[3:4], v[3:4], v[10:11]
	v_add_f64 v[1:2], v[1:2], v[12:13]
	s_andn2_b32 exec_lo, exec_lo, s5
	s_cbranch_execnz .LBB37_49
; %bb.50:
	s_or_b32 exec_lo, exec_lo, s5
	v_mov_b32_e32 v7, 0
	ds_read_b128 v[7:10], v7 offset:144
	s_waitcnt lgkmcnt(0)
	v_mul_f64 v[11:12], v[1:2], v[9:10]
	v_mul_f64 v[9:10], v[3:4], v[9:10]
	v_fma_f64 v[3:4], v[3:4], v[7:8], -v[11:12]
	v_fma_f64 v[1:2], v[1:2], v[7:8], v[9:10]
	buffer_store_dword v4, off, s[0:3], 0 offset:164
	buffer_store_dword v3, off, s[0:3], 0 offset:160
	;; [unrolled: 1-line block ×4, first 2 shown]
.LBB37_51:
	s_or_b32 exec_lo, exec_lo, s4
	v_mov_b32_e32 v4, s40
	s_waitcnt_vscnt null, 0x0
	s_barrier
	buffer_gl0_inv
	s_mov_b32 s4, exec_lo
	s_clause 0x3
	buffer_load_dword v1, v4, s[0:3], 0 offen
	buffer_load_dword v2, v4, s[0:3], 0 offen offset:4
	buffer_load_dword v3, v4, s[0:3], 0 offen offset:8
	;; [unrolled: 1-line block ×3, first 2 shown]
	s_waitcnt vmcnt(0)
	ds_write_b128 v5, v[1:4]
	s_waitcnt lgkmcnt(0)
	s_barrier
	buffer_gl0_inv
	v_cmpx_gt_u32_e32 10, v0
	s_cbranch_execz .LBB37_55
; %bb.52:
	v_mov_b32_e32 v1, 0
	v_mov_b32_e32 v3, 0
	v_add_nc_u32_e32 v7, -1, v0
	v_add_nc_u32_e32 v8, 0x260, v121
	v_mov_b32_e32 v2, 0
	v_mov_b32_e32 v4, 0
	v_add_nc_u32_e32 v9, 16, v121
	s_mov_b32 s5, 0
	.p2align	6
.LBB37_53:                              ; =>This Inner Loop Header: Depth=1
	s_clause 0x3
	buffer_load_dword v14, v9, s[0:3], 0 offen offset:8
	buffer_load_dword v15, v9, s[0:3], 0 offen offset:12
	buffer_load_dword v16, v9, s[0:3], 0 offen
	buffer_load_dword v17, v9, s[0:3], 0 offen offset:4
	ds_read_b128 v[10:13], v8
	v_add_nc_u32_e32 v7, 1, v7
	v_add_nc_u32_e32 v8, 16, v8
	;; [unrolled: 1-line block ×3, first 2 shown]
	v_cmp_lt_u32_e32 vcc_lo, 8, v7
	s_or_b32 s5, vcc_lo, s5
	s_waitcnt vmcnt(2) lgkmcnt(0)
	v_mul_f64 v[18:19], v[12:13], v[14:15]
	v_mul_f64 v[14:15], v[10:11], v[14:15]
	s_waitcnt vmcnt(0)
	v_fma_f64 v[10:11], v[10:11], v[16:17], -v[18:19]
	v_fma_f64 v[12:13], v[12:13], v[16:17], v[14:15]
	v_add_f64 v[3:4], v[3:4], v[10:11]
	v_add_f64 v[1:2], v[1:2], v[12:13]
	s_andn2_b32 exec_lo, exec_lo, s5
	s_cbranch_execnz .LBB37_53
; %bb.54:
	s_or_b32 exec_lo, exec_lo, s5
	v_mov_b32_e32 v7, 0
	ds_read_b128 v[7:10], v7 offset:160
	s_waitcnt lgkmcnt(0)
	v_mul_f64 v[11:12], v[1:2], v[9:10]
	v_mul_f64 v[9:10], v[3:4], v[9:10]
	v_fma_f64 v[3:4], v[3:4], v[7:8], -v[11:12]
	v_fma_f64 v[1:2], v[1:2], v[7:8], v[9:10]
	buffer_store_dword v4, off, s[0:3], 0 offset:180
	buffer_store_dword v3, off, s[0:3], 0 offset:176
	;; [unrolled: 1-line block ×4, first 2 shown]
.LBB37_55:
	s_or_b32 exec_lo, exec_lo, s4
	v_mov_b32_e32 v4, s39
	s_waitcnt_vscnt null, 0x0
	s_barrier
	buffer_gl0_inv
	s_mov_b32 s4, exec_lo
	s_clause 0x3
	buffer_load_dword v1, v4, s[0:3], 0 offen
	buffer_load_dword v2, v4, s[0:3], 0 offen offset:4
	buffer_load_dword v3, v4, s[0:3], 0 offen offset:8
	;; [unrolled: 1-line block ×3, first 2 shown]
	s_waitcnt vmcnt(0)
	ds_write_b128 v5, v[1:4]
	s_waitcnt lgkmcnt(0)
	s_barrier
	buffer_gl0_inv
	v_cmpx_gt_u32_e32 11, v0
	s_cbranch_execz .LBB37_59
; %bb.56:
	v_mov_b32_e32 v1, 0
	v_mov_b32_e32 v3, 0
	v_add_nc_u32_e32 v7, -1, v0
	v_add_nc_u32_e32 v8, 0x260, v121
	v_mov_b32_e32 v2, 0
	v_mov_b32_e32 v4, 0
	v_add_nc_u32_e32 v9, 16, v121
	s_mov_b32 s5, 0
	.p2align	6
.LBB37_57:                              ; =>This Inner Loop Header: Depth=1
	s_clause 0x3
	buffer_load_dword v14, v9, s[0:3], 0 offen offset:8
	buffer_load_dword v15, v9, s[0:3], 0 offen offset:12
	buffer_load_dword v16, v9, s[0:3], 0 offen
	buffer_load_dword v17, v9, s[0:3], 0 offen offset:4
	ds_read_b128 v[10:13], v8
	v_add_nc_u32_e32 v7, 1, v7
	v_add_nc_u32_e32 v8, 16, v8
	;; [unrolled: 1-line block ×3, first 2 shown]
	v_cmp_lt_u32_e32 vcc_lo, 9, v7
	s_or_b32 s5, vcc_lo, s5
	s_waitcnt vmcnt(2) lgkmcnt(0)
	v_mul_f64 v[18:19], v[12:13], v[14:15]
	v_mul_f64 v[14:15], v[10:11], v[14:15]
	s_waitcnt vmcnt(0)
	v_fma_f64 v[10:11], v[10:11], v[16:17], -v[18:19]
	v_fma_f64 v[12:13], v[12:13], v[16:17], v[14:15]
	v_add_f64 v[3:4], v[3:4], v[10:11]
	v_add_f64 v[1:2], v[1:2], v[12:13]
	s_andn2_b32 exec_lo, exec_lo, s5
	s_cbranch_execnz .LBB37_57
; %bb.58:
	s_or_b32 exec_lo, exec_lo, s5
	v_mov_b32_e32 v7, 0
	ds_read_b128 v[7:10], v7 offset:176
	s_waitcnt lgkmcnt(0)
	v_mul_f64 v[11:12], v[1:2], v[9:10]
	v_mul_f64 v[9:10], v[3:4], v[9:10]
	v_fma_f64 v[3:4], v[3:4], v[7:8], -v[11:12]
	v_fma_f64 v[1:2], v[1:2], v[7:8], v[9:10]
	buffer_store_dword v4, off, s[0:3], 0 offset:196
	buffer_store_dword v3, off, s[0:3], 0 offset:192
	buffer_store_dword v2, off, s[0:3], 0 offset:204
	buffer_store_dword v1, off, s[0:3], 0 offset:200
.LBB37_59:
	s_or_b32 exec_lo, exec_lo, s4
	v_mov_b32_e32 v4, s38
	s_waitcnt_vscnt null, 0x0
	s_barrier
	buffer_gl0_inv
	s_mov_b32 s4, exec_lo
	s_clause 0x3
	buffer_load_dword v1, v4, s[0:3], 0 offen
	buffer_load_dword v2, v4, s[0:3], 0 offen offset:4
	buffer_load_dword v3, v4, s[0:3], 0 offen offset:8
	;; [unrolled: 1-line block ×3, first 2 shown]
	s_waitcnt vmcnt(0)
	ds_write_b128 v5, v[1:4]
	s_waitcnt lgkmcnt(0)
	s_barrier
	buffer_gl0_inv
	v_cmpx_gt_u32_e32 12, v0
	s_cbranch_execz .LBB37_63
; %bb.60:
	v_mov_b32_e32 v1, 0
	v_mov_b32_e32 v3, 0
	v_add_nc_u32_e32 v7, -1, v0
	v_add_nc_u32_e32 v8, 0x260, v121
	v_mov_b32_e32 v2, 0
	v_mov_b32_e32 v4, 0
	v_add_nc_u32_e32 v9, 16, v121
	s_mov_b32 s5, 0
	.p2align	6
.LBB37_61:                              ; =>This Inner Loop Header: Depth=1
	s_clause 0x3
	buffer_load_dword v14, v9, s[0:3], 0 offen offset:8
	buffer_load_dword v15, v9, s[0:3], 0 offen offset:12
	buffer_load_dword v16, v9, s[0:3], 0 offen
	buffer_load_dword v17, v9, s[0:3], 0 offen offset:4
	ds_read_b128 v[10:13], v8
	v_add_nc_u32_e32 v7, 1, v7
	v_add_nc_u32_e32 v8, 16, v8
	;; [unrolled: 1-line block ×3, first 2 shown]
	v_cmp_lt_u32_e32 vcc_lo, 10, v7
	s_or_b32 s5, vcc_lo, s5
	s_waitcnt vmcnt(2) lgkmcnt(0)
	v_mul_f64 v[18:19], v[12:13], v[14:15]
	v_mul_f64 v[14:15], v[10:11], v[14:15]
	s_waitcnt vmcnt(0)
	v_fma_f64 v[10:11], v[10:11], v[16:17], -v[18:19]
	v_fma_f64 v[12:13], v[12:13], v[16:17], v[14:15]
	v_add_f64 v[3:4], v[3:4], v[10:11]
	v_add_f64 v[1:2], v[1:2], v[12:13]
	s_andn2_b32 exec_lo, exec_lo, s5
	s_cbranch_execnz .LBB37_61
; %bb.62:
	s_or_b32 exec_lo, exec_lo, s5
	v_mov_b32_e32 v7, 0
	ds_read_b128 v[7:10], v7 offset:192
	s_waitcnt lgkmcnt(0)
	v_mul_f64 v[11:12], v[1:2], v[9:10]
	v_mul_f64 v[9:10], v[3:4], v[9:10]
	v_fma_f64 v[3:4], v[3:4], v[7:8], -v[11:12]
	v_fma_f64 v[1:2], v[1:2], v[7:8], v[9:10]
	buffer_store_dword v4, off, s[0:3], 0 offset:212
	buffer_store_dword v3, off, s[0:3], 0 offset:208
	;; [unrolled: 1-line block ×4, first 2 shown]
.LBB37_63:
	s_or_b32 exec_lo, exec_lo, s4
	v_mov_b32_e32 v4, s37
	s_waitcnt_vscnt null, 0x0
	s_barrier
	buffer_gl0_inv
	s_mov_b32 s4, exec_lo
	s_clause 0x3
	buffer_load_dword v1, v4, s[0:3], 0 offen
	buffer_load_dword v2, v4, s[0:3], 0 offen offset:4
	buffer_load_dword v3, v4, s[0:3], 0 offen offset:8
	;; [unrolled: 1-line block ×3, first 2 shown]
	s_waitcnt vmcnt(0)
	ds_write_b128 v5, v[1:4]
	s_waitcnt lgkmcnt(0)
	s_barrier
	buffer_gl0_inv
	v_cmpx_gt_u32_e32 13, v0
	s_cbranch_execz .LBB37_67
; %bb.64:
	v_mov_b32_e32 v1, 0
	v_mov_b32_e32 v3, 0
	v_add_nc_u32_e32 v7, -1, v0
	v_add_nc_u32_e32 v8, 0x260, v121
	v_mov_b32_e32 v2, 0
	v_mov_b32_e32 v4, 0
	v_add_nc_u32_e32 v9, 16, v121
	s_mov_b32 s5, 0
	.p2align	6
.LBB37_65:                              ; =>This Inner Loop Header: Depth=1
	s_clause 0x3
	buffer_load_dword v14, v9, s[0:3], 0 offen offset:8
	buffer_load_dword v15, v9, s[0:3], 0 offen offset:12
	buffer_load_dword v16, v9, s[0:3], 0 offen
	buffer_load_dword v17, v9, s[0:3], 0 offen offset:4
	ds_read_b128 v[10:13], v8
	v_add_nc_u32_e32 v7, 1, v7
	v_add_nc_u32_e32 v8, 16, v8
	;; [unrolled: 1-line block ×3, first 2 shown]
	v_cmp_lt_u32_e32 vcc_lo, 11, v7
	s_or_b32 s5, vcc_lo, s5
	s_waitcnt vmcnt(2) lgkmcnt(0)
	v_mul_f64 v[18:19], v[12:13], v[14:15]
	v_mul_f64 v[14:15], v[10:11], v[14:15]
	s_waitcnt vmcnt(0)
	v_fma_f64 v[10:11], v[10:11], v[16:17], -v[18:19]
	v_fma_f64 v[12:13], v[12:13], v[16:17], v[14:15]
	v_add_f64 v[3:4], v[3:4], v[10:11]
	v_add_f64 v[1:2], v[1:2], v[12:13]
	s_andn2_b32 exec_lo, exec_lo, s5
	s_cbranch_execnz .LBB37_65
; %bb.66:
	s_or_b32 exec_lo, exec_lo, s5
	v_mov_b32_e32 v7, 0
	ds_read_b128 v[7:10], v7 offset:208
	s_waitcnt lgkmcnt(0)
	v_mul_f64 v[11:12], v[1:2], v[9:10]
	v_mul_f64 v[9:10], v[3:4], v[9:10]
	v_fma_f64 v[3:4], v[3:4], v[7:8], -v[11:12]
	v_fma_f64 v[1:2], v[1:2], v[7:8], v[9:10]
	buffer_store_dword v4, off, s[0:3], 0 offset:228
	buffer_store_dword v3, off, s[0:3], 0 offset:224
	;; [unrolled: 1-line block ×4, first 2 shown]
.LBB37_67:
	s_or_b32 exec_lo, exec_lo, s4
	v_mov_b32_e32 v4, s36
	s_waitcnt_vscnt null, 0x0
	s_barrier
	buffer_gl0_inv
	s_mov_b32 s4, exec_lo
	s_clause 0x3
	buffer_load_dword v1, v4, s[0:3], 0 offen
	buffer_load_dword v2, v4, s[0:3], 0 offen offset:4
	buffer_load_dword v3, v4, s[0:3], 0 offen offset:8
	;; [unrolled: 1-line block ×3, first 2 shown]
	s_waitcnt vmcnt(0)
	ds_write_b128 v5, v[1:4]
	s_waitcnt lgkmcnt(0)
	s_barrier
	buffer_gl0_inv
	v_cmpx_gt_u32_e32 14, v0
	s_cbranch_execz .LBB37_71
; %bb.68:
	v_mov_b32_e32 v1, 0
	v_mov_b32_e32 v3, 0
	v_add_nc_u32_e32 v7, -1, v0
	v_add_nc_u32_e32 v8, 0x260, v121
	v_mov_b32_e32 v2, 0
	v_mov_b32_e32 v4, 0
	v_add_nc_u32_e32 v9, 16, v121
	s_mov_b32 s5, 0
	.p2align	6
.LBB37_69:                              ; =>This Inner Loop Header: Depth=1
	s_clause 0x3
	buffer_load_dword v14, v9, s[0:3], 0 offen offset:8
	buffer_load_dword v15, v9, s[0:3], 0 offen offset:12
	buffer_load_dword v16, v9, s[0:3], 0 offen
	buffer_load_dword v17, v9, s[0:3], 0 offen offset:4
	ds_read_b128 v[10:13], v8
	v_add_nc_u32_e32 v7, 1, v7
	v_add_nc_u32_e32 v8, 16, v8
	;; [unrolled: 1-line block ×3, first 2 shown]
	v_cmp_lt_u32_e32 vcc_lo, 12, v7
	s_or_b32 s5, vcc_lo, s5
	s_waitcnt vmcnt(2) lgkmcnt(0)
	v_mul_f64 v[18:19], v[12:13], v[14:15]
	v_mul_f64 v[14:15], v[10:11], v[14:15]
	s_waitcnt vmcnt(0)
	v_fma_f64 v[10:11], v[10:11], v[16:17], -v[18:19]
	v_fma_f64 v[12:13], v[12:13], v[16:17], v[14:15]
	v_add_f64 v[3:4], v[3:4], v[10:11]
	v_add_f64 v[1:2], v[1:2], v[12:13]
	s_andn2_b32 exec_lo, exec_lo, s5
	s_cbranch_execnz .LBB37_69
; %bb.70:
	s_or_b32 exec_lo, exec_lo, s5
	v_mov_b32_e32 v7, 0
	ds_read_b128 v[7:10], v7 offset:224
	s_waitcnt lgkmcnt(0)
	v_mul_f64 v[11:12], v[1:2], v[9:10]
	v_mul_f64 v[9:10], v[3:4], v[9:10]
	v_fma_f64 v[3:4], v[3:4], v[7:8], -v[11:12]
	v_fma_f64 v[1:2], v[1:2], v[7:8], v[9:10]
	buffer_store_dword v4, off, s[0:3], 0 offset:244
	buffer_store_dword v3, off, s[0:3], 0 offset:240
	;; [unrolled: 1-line block ×4, first 2 shown]
.LBB37_71:
	s_or_b32 exec_lo, exec_lo, s4
	v_mov_b32_e32 v4, s35
	s_waitcnt_vscnt null, 0x0
	s_barrier
	buffer_gl0_inv
	s_mov_b32 s4, exec_lo
	s_clause 0x3
	buffer_load_dword v1, v4, s[0:3], 0 offen
	buffer_load_dword v2, v4, s[0:3], 0 offen offset:4
	buffer_load_dword v3, v4, s[0:3], 0 offen offset:8
	;; [unrolled: 1-line block ×3, first 2 shown]
	s_waitcnt vmcnt(0)
	ds_write_b128 v5, v[1:4]
	s_waitcnt lgkmcnt(0)
	s_barrier
	buffer_gl0_inv
	v_cmpx_gt_u32_e32 15, v0
	s_cbranch_execz .LBB37_75
; %bb.72:
	v_mov_b32_e32 v1, 0
	v_mov_b32_e32 v3, 0
	v_add_nc_u32_e32 v7, -1, v0
	v_add_nc_u32_e32 v8, 0x260, v121
	v_mov_b32_e32 v2, 0
	v_mov_b32_e32 v4, 0
	v_add_nc_u32_e32 v9, 16, v121
	s_mov_b32 s5, 0
	.p2align	6
.LBB37_73:                              ; =>This Inner Loop Header: Depth=1
	s_clause 0x3
	buffer_load_dword v14, v9, s[0:3], 0 offen offset:8
	buffer_load_dword v15, v9, s[0:3], 0 offen offset:12
	buffer_load_dword v16, v9, s[0:3], 0 offen
	buffer_load_dword v17, v9, s[0:3], 0 offen offset:4
	ds_read_b128 v[10:13], v8
	v_add_nc_u32_e32 v7, 1, v7
	v_add_nc_u32_e32 v8, 16, v8
	;; [unrolled: 1-line block ×3, first 2 shown]
	v_cmp_lt_u32_e32 vcc_lo, 13, v7
	s_or_b32 s5, vcc_lo, s5
	s_waitcnt vmcnt(2) lgkmcnt(0)
	v_mul_f64 v[18:19], v[12:13], v[14:15]
	v_mul_f64 v[14:15], v[10:11], v[14:15]
	s_waitcnt vmcnt(0)
	v_fma_f64 v[10:11], v[10:11], v[16:17], -v[18:19]
	v_fma_f64 v[12:13], v[12:13], v[16:17], v[14:15]
	v_add_f64 v[3:4], v[3:4], v[10:11]
	v_add_f64 v[1:2], v[1:2], v[12:13]
	s_andn2_b32 exec_lo, exec_lo, s5
	s_cbranch_execnz .LBB37_73
; %bb.74:
	s_or_b32 exec_lo, exec_lo, s5
	v_mov_b32_e32 v7, 0
	ds_read_b128 v[7:10], v7 offset:240
	s_waitcnt lgkmcnt(0)
	v_mul_f64 v[11:12], v[1:2], v[9:10]
	v_mul_f64 v[9:10], v[3:4], v[9:10]
	v_fma_f64 v[3:4], v[3:4], v[7:8], -v[11:12]
	v_fma_f64 v[1:2], v[1:2], v[7:8], v[9:10]
	buffer_store_dword v4, off, s[0:3], 0 offset:260
	buffer_store_dword v3, off, s[0:3], 0 offset:256
	;; [unrolled: 1-line block ×4, first 2 shown]
.LBB37_75:
	s_or_b32 exec_lo, exec_lo, s4
	v_mov_b32_e32 v4, s34
	s_waitcnt_vscnt null, 0x0
	s_barrier
	buffer_gl0_inv
	s_mov_b32 s4, exec_lo
	s_clause 0x3
	buffer_load_dword v1, v4, s[0:3], 0 offen
	buffer_load_dword v2, v4, s[0:3], 0 offen offset:4
	buffer_load_dword v3, v4, s[0:3], 0 offen offset:8
	;; [unrolled: 1-line block ×3, first 2 shown]
	s_waitcnt vmcnt(0)
	ds_write_b128 v5, v[1:4]
	s_waitcnt lgkmcnt(0)
	s_barrier
	buffer_gl0_inv
	v_cmpx_gt_u32_e32 16, v0
	s_cbranch_execz .LBB37_79
; %bb.76:
	v_mov_b32_e32 v1, 0
	v_mov_b32_e32 v3, 0
	v_add_nc_u32_e32 v7, -1, v0
	v_add_nc_u32_e32 v8, 0x260, v121
	v_mov_b32_e32 v2, 0
	v_mov_b32_e32 v4, 0
	v_add_nc_u32_e32 v9, 16, v121
	s_mov_b32 s5, 0
	.p2align	6
.LBB37_77:                              ; =>This Inner Loop Header: Depth=1
	s_clause 0x3
	buffer_load_dword v14, v9, s[0:3], 0 offen offset:8
	buffer_load_dword v15, v9, s[0:3], 0 offen offset:12
	buffer_load_dword v16, v9, s[0:3], 0 offen
	buffer_load_dword v17, v9, s[0:3], 0 offen offset:4
	ds_read_b128 v[10:13], v8
	v_add_nc_u32_e32 v7, 1, v7
	v_add_nc_u32_e32 v8, 16, v8
	;; [unrolled: 1-line block ×3, first 2 shown]
	v_cmp_lt_u32_e32 vcc_lo, 14, v7
	s_or_b32 s5, vcc_lo, s5
	s_waitcnt vmcnt(2) lgkmcnt(0)
	v_mul_f64 v[18:19], v[12:13], v[14:15]
	v_mul_f64 v[14:15], v[10:11], v[14:15]
	s_waitcnt vmcnt(0)
	v_fma_f64 v[10:11], v[10:11], v[16:17], -v[18:19]
	v_fma_f64 v[12:13], v[12:13], v[16:17], v[14:15]
	v_add_f64 v[3:4], v[3:4], v[10:11]
	v_add_f64 v[1:2], v[1:2], v[12:13]
	s_andn2_b32 exec_lo, exec_lo, s5
	s_cbranch_execnz .LBB37_77
; %bb.78:
	s_or_b32 exec_lo, exec_lo, s5
	v_mov_b32_e32 v7, 0
	ds_read_b128 v[7:10], v7 offset:256
	s_waitcnt lgkmcnt(0)
	v_mul_f64 v[11:12], v[1:2], v[9:10]
	v_mul_f64 v[9:10], v[3:4], v[9:10]
	v_fma_f64 v[3:4], v[3:4], v[7:8], -v[11:12]
	v_fma_f64 v[1:2], v[1:2], v[7:8], v[9:10]
	buffer_store_dword v4, off, s[0:3], 0 offset:276
	buffer_store_dword v3, off, s[0:3], 0 offset:272
	;; [unrolled: 1-line block ×4, first 2 shown]
.LBB37_79:
	s_or_b32 exec_lo, exec_lo, s4
	v_mov_b32_e32 v4, s33
	s_waitcnt_vscnt null, 0x0
	s_barrier
	buffer_gl0_inv
	s_mov_b32 s4, exec_lo
	s_clause 0x3
	buffer_load_dword v1, v4, s[0:3], 0 offen
	buffer_load_dword v2, v4, s[0:3], 0 offen offset:4
	buffer_load_dword v3, v4, s[0:3], 0 offen offset:8
	buffer_load_dword v4, v4, s[0:3], 0 offen offset:12
	s_waitcnt vmcnt(0)
	ds_write_b128 v5, v[1:4]
	s_waitcnt lgkmcnt(0)
	s_barrier
	buffer_gl0_inv
	v_cmpx_gt_u32_e32 17, v0
	s_cbranch_execz .LBB37_83
; %bb.80:
	v_mov_b32_e32 v1, 0
	v_mov_b32_e32 v3, 0
	v_add_nc_u32_e32 v7, -1, v0
	v_add_nc_u32_e32 v8, 0x260, v121
	v_mov_b32_e32 v2, 0
	v_mov_b32_e32 v4, 0
	v_add_nc_u32_e32 v9, 16, v121
	s_mov_b32 s5, 0
	.p2align	6
.LBB37_81:                              ; =>This Inner Loop Header: Depth=1
	s_clause 0x3
	buffer_load_dword v14, v9, s[0:3], 0 offen offset:8
	buffer_load_dword v15, v9, s[0:3], 0 offen offset:12
	buffer_load_dword v16, v9, s[0:3], 0 offen
	buffer_load_dword v17, v9, s[0:3], 0 offen offset:4
	ds_read_b128 v[10:13], v8
	v_add_nc_u32_e32 v7, 1, v7
	v_add_nc_u32_e32 v8, 16, v8
	;; [unrolled: 1-line block ×3, first 2 shown]
	v_cmp_lt_u32_e32 vcc_lo, 15, v7
	s_or_b32 s5, vcc_lo, s5
	s_waitcnt vmcnt(2) lgkmcnt(0)
	v_mul_f64 v[18:19], v[12:13], v[14:15]
	v_mul_f64 v[14:15], v[10:11], v[14:15]
	s_waitcnt vmcnt(0)
	v_fma_f64 v[10:11], v[10:11], v[16:17], -v[18:19]
	v_fma_f64 v[12:13], v[12:13], v[16:17], v[14:15]
	v_add_f64 v[3:4], v[3:4], v[10:11]
	v_add_f64 v[1:2], v[1:2], v[12:13]
	s_andn2_b32 exec_lo, exec_lo, s5
	s_cbranch_execnz .LBB37_81
; %bb.82:
	s_or_b32 exec_lo, exec_lo, s5
	v_mov_b32_e32 v7, 0
	ds_read_b128 v[7:10], v7 offset:272
	s_waitcnt lgkmcnt(0)
	v_mul_f64 v[11:12], v[1:2], v[9:10]
	v_mul_f64 v[9:10], v[3:4], v[9:10]
	v_fma_f64 v[3:4], v[3:4], v[7:8], -v[11:12]
	v_fma_f64 v[1:2], v[1:2], v[7:8], v[9:10]
	buffer_store_dword v4, off, s[0:3], 0 offset:292
	buffer_store_dword v3, off, s[0:3], 0 offset:288
	buffer_store_dword v2, off, s[0:3], 0 offset:300
	buffer_store_dword v1, off, s[0:3], 0 offset:296
.LBB37_83:
	s_or_b32 exec_lo, exec_lo, s4
	v_mov_b32_e32 v4, s31
	s_waitcnt_vscnt null, 0x0
	s_barrier
	buffer_gl0_inv
	s_mov_b32 s4, exec_lo
	s_clause 0x3
	buffer_load_dword v1, v4, s[0:3], 0 offen
	buffer_load_dword v2, v4, s[0:3], 0 offen offset:4
	buffer_load_dword v3, v4, s[0:3], 0 offen offset:8
	;; [unrolled: 1-line block ×3, first 2 shown]
	s_waitcnt vmcnt(0)
	ds_write_b128 v5, v[1:4]
	s_waitcnt lgkmcnt(0)
	s_barrier
	buffer_gl0_inv
	v_cmpx_gt_u32_e32 18, v0
	s_cbranch_execz .LBB37_87
; %bb.84:
	v_mov_b32_e32 v1, 0
	v_mov_b32_e32 v3, 0
	v_add_nc_u32_e32 v7, -1, v0
	v_add_nc_u32_e32 v8, 0x260, v121
	v_mov_b32_e32 v2, 0
	v_mov_b32_e32 v4, 0
	v_add_nc_u32_e32 v9, 16, v121
	s_mov_b32 s5, 0
	.p2align	6
.LBB37_85:                              ; =>This Inner Loop Header: Depth=1
	s_clause 0x3
	buffer_load_dword v14, v9, s[0:3], 0 offen offset:8
	buffer_load_dword v15, v9, s[0:3], 0 offen offset:12
	buffer_load_dword v16, v9, s[0:3], 0 offen
	buffer_load_dword v17, v9, s[0:3], 0 offen offset:4
	ds_read_b128 v[10:13], v8
	v_add_nc_u32_e32 v7, 1, v7
	v_add_nc_u32_e32 v8, 16, v8
	;; [unrolled: 1-line block ×3, first 2 shown]
	v_cmp_lt_u32_e32 vcc_lo, 16, v7
	s_or_b32 s5, vcc_lo, s5
	s_waitcnt vmcnt(2) lgkmcnt(0)
	v_mul_f64 v[18:19], v[12:13], v[14:15]
	v_mul_f64 v[14:15], v[10:11], v[14:15]
	s_waitcnt vmcnt(0)
	v_fma_f64 v[10:11], v[10:11], v[16:17], -v[18:19]
	v_fma_f64 v[12:13], v[12:13], v[16:17], v[14:15]
	v_add_f64 v[3:4], v[3:4], v[10:11]
	v_add_f64 v[1:2], v[1:2], v[12:13]
	s_andn2_b32 exec_lo, exec_lo, s5
	s_cbranch_execnz .LBB37_85
; %bb.86:
	s_or_b32 exec_lo, exec_lo, s5
	v_mov_b32_e32 v7, 0
	ds_read_b128 v[7:10], v7 offset:288
	s_waitcnt lgkmcnt(0)
	v_mul_f64 v[11:12], v[1:2], v[9:10]
	v_mul_f64 v[9:10], v[3:4], v[9:10]
	v_fma_f64 v[3:4], v[3:4], v[7:8], -v[11:12]
	v_fma_f64 v[1:2], v[1:2], v[7:8], v[9:10]
	buffer_store_dword v4, off, s[0:3], 0 offset:308
	buffer_store_dword v3, off, s[0:3], 0 offset:304
	;; [unrolled: 1-line block ×4, first 2 shown]
.LBB37_87:
	s_or_b32 exec_lo, exec_lo, s4
	v_mov_b32_e32 v4, s30
	s_waitcnt_vscnt null, 0x0
	s_barrier
	buffer_gl0_inv
	s_mov_b32 s4, exec_lo
	s_clause 0x3
	buffer_load_dword v1, v4, s[0:3], 0 offen
	buffer_load_dword v2, v4, s[0:3], 0 offen offset:4
	buffer_load_dword v3, v4, s[0:3], 0 offen offset:8
	;; [unrolled: 1-line block ×3, first 2 shown]
	s_waitcnt vmcnt(0)
	ds_write_b128 v5, v[1:4]
	s_waitcnt lgkmcnt(0)
	s_barrier
	buffer_gl0_inv
	v_cmpx_gt_u32_e32 19, v0
	s_cbranch_execz .LBB37_91
; %bb.88:
	v_mov_b32_e32 v1, 0
	v_mov_b32_e32 v3, 0
	v_add_nc_u32_e32 v7, -1, v0
	v_add_nc_u32_e32 v8, 0x260, v121
	v_mov_b32_e32 v2, 0
	v_mov_b32_e32 v4, 0
	v_add_nc_u32_e32 v9, 16, v121
	s_mov_b32 s5, 0
	.p2align	6
.LBB37_89:                              ; =>This Inner Loop Header: Depth=1
	s_clause 0x3
	buffer_load_dword v14, v9, s[0:3], 0 offen offset:8
	buffer_load_dword v15, v9, s[0:3], 0 offen offset:12
	buffer_load_dword v16, v9, s[0:3], 0 offen
	buffer_load_dword v17, v9, s[0:3], 0 offen offset:4
	ds_read_b128 v[10:13], v8
	v_add_nc_u32_e32 v7, 1, v7
	v_add_nc_u32_e32 v8, 16, v8
	;; [unrolled: 1-line block ×3, first 2 shown]
	v_cmp_lt_u32_e32 vcc_lo, 17, v7
	s_or_b32 s5, vcc_lo, s5
	s_waitcnt vmcnt(2) lgkmcnt(0)
	v_mul_f64 v[18:19], v[12:13], v[14:15]
	v_mul_f64 v[14:15], v[10:11], v[14:15]
	s_waitcnt vmcnt(0)
	v_fma_f64 v[10:11], v[10:11], v[16:17], -v[18:19]
	v_fma_f64 v[12:13], v[12:13], v[16:17], v[14:15]
	v_add_f64 v[3:4], v[3:4], v[10:11]
	v_add_f64 v[1:2], v[1:2], v[12:13]
	s_andn2_b32 exec_lo, exec_lo, s5
	s_cbranch_execnz .LBB37_89
; %bb.90:
	s_or_b32 exec_lo, exec_lo, s5
	v_mov_b32_e32 v7, 0
	ds_read_b128 v[7:10], v7 offset:304
	s_waitcnt lgkmcnt(0)
	v_mul_f64 v[11:12], v[1:2], v[9:10]
	v_mul_f64 v[9:10], v[3:4], v[9:10]
	v_fma_f64 v[3:4], v[3:4], v[7:8], -v[11:12]
	v_fma_f64 v[1:2], v[1:2], v[7:8], v[9:10]
	buffer_store_dword v4, off, s[0:3], 0 offset:324
	buffer_store_dword v3, off, s[0:3], 0 offset:320
	;; [unrolled: 1-line block ×4, first 2 shown]
.LBB37_91:
	s_or_b32 exec_lo, exec_lo, s4
	v_mov_b32_e32 v4, s29
	s_waitcnt_vscnt null, 0x0
	s_barrier
	buffer_gl0_inv
	s_mov_b32 s4, exec_lo
	s_clause 0x3
	buffer_load_dword v1, v4, s[0:3], 0 offen
	buffer_load_dword v2, v4, s[0:3], 0 offen offset:4
	buffer_load_dword v3, v4, s[0:3], 0 offen offset:8
	;; [unrolled: 1-line block ×3, first 2 shown]
	s_waitcnt vmcnt(0)
	ds_write_b128 v5, v[1:4]
	s_waitcnt lgkmcnt(0)
	s_barrier
	buffer_gl0_inv
	v_cmpx_gt_u32_e32 20, v0
	s_cbranch_execz .LBB37_95
; %bb.92:
	v_mov_b32_e32 v1, 0
	v_mov_b32_e32 v3, 0
	v_add_nc_u32_e32 v7, -1, v0
	v_add_nc_u32_e32 v8, 0x260, v121
	v_mov_b32_e32 v2, 0
	v_mov_b32_e32 v4, 0
	v_add_nc_u32_e32 v9, 16, v121
	s_mov_b32 s5, 0
	.p2align	6
.LBB37_93:                              ; =>This Inner Loop Header: Depth=1
	s_clause 0x3
	buffer_load_dword v14, v9, s[0:3], 0 offen offset:8
	buffer_load_dword v15, v9, s[0:3], 0 offen offset:12
	buffer_load_dword v16, v9, s[0:3], 0 offen
	buffer_load_dword v17, v9, s[0:3], 0 offen offset:4
	ds_read_b128 v[10:13], v8
	v_add_nc_u32_e32 v7, 1, v7
	v_add_nc_u32_e32 v8, 16, v8
	;; [unrolled: 1-line block ×3, first 2 shown]
	v_cmp_lt_u32_e32 vcc_lo, 18, v7
	s_or_b32 s5, vcc_lo, s5
	s_waitcnt vmcnt(2) lgkmcnt(0)
	v_mul_f64 v[18:19], v[12:13], v[14:15]
	v_mul_f64 v[14:15], v[10:11], v[14:15]
	s_waitcnt vmcnt(0)
	v_fma_f64 v[10:11], v[10:11], v[16:17], -v[18:19]
	v_fma_f64 v[12:13], v[12:13], v[16:17], v[14:15]
	v_add_f64 v[3:4], v[3:4], v[10:11]
	v_add_f64 v[1:2], v[1:2], v[12:13]
	s_andn2_b32 exec_lo, exec_lo, s5
	s_cbranch_execnz .LBB37_93
; %bb.94:
	s_or_b32 exec_lo, exec_lo, s5
	v_mov_b32_e32 v7, 0
	ds_read_b128 v[7:10], v7 offset:320
	s_waitcnt lgkmcnt(0)
	v_mul_f64 v[11:12], v[1:2], v[9:10]
	v_mul_f64 v[9:10], v[3:4], v[9:10]
	v_fma_f64 v[3:4], v[3:4], v[7:8], -v[11:12]
	v_fma_f64 v[1:2], v[1:2], v[7:8], v[9:10]
	buffer_store_dword v4, off, s[0:3], 0 offset:340
	buffer_store_dword v3, off, s[0:3], 0 offset:336
	;; [unrolled: 1-line block ×4, first 2 shown]
.LBB37_95:
	s_or_b32 exec_lo, exec_lo, s4
	v_mov_b32_e32 v4, s28
	s_waitcnt_vscnt null, 0x0
	s_barrier
	buffer_gl0_inv
	s_mov_b32 s4, exec_lo
	s_clause 0x3
	buffer_load_dword v1, v4, s[0:3], 0 offen
	buffer_load_dword v2, v4, s[0:3], 0 offen offset:4
	buffer_load_dword v3, v4, s[0:3], 0 offen offset:8
	;; [unrolled: 1-line block ×3, first 2 shown]
	s_waitcnt vmcnt(0)
	ds_write_b128 v5, v[1:4]
	s_waitcnt lgkmcnt(0)
	s_barrier
	buffer_gl0_inv
	v_cmpx_gt_u32_e32 21, v0
	s_cbranch_execz .LBB37_99
; %bb.96:
	v_mov_b32_e32 v1, 0
	v_mov_b32_e32 v3, 0
	v_add_nc_u32_e32 v7, -1, v0
	v_add_nc_u32_e32 v8, 0x260, v121
	v_mov_b32_e32 v2, 0
	v_mov_b32_e32 v4, 0
	v_add_nc_u32_e32 v9, 16, v121
	s_mov_b32 s5, 0
	.p2align	6
.LBB37_97:                              ; =>This Inner Loop Header: Depth=1
	s_clause 0x3
	buffer_load_dword v14, v9, s[0:3], 0 offen offset:8
	buffer_load_dword v15, v9, s[0:3], 0 offen offset:12
	buffer_load_dword v16, v9, s[0:3], 0 offen
	buffer_load_dword v17, v9, s[0:3], 0 offen offset:4
	ds_read_b128 v[10:13], v8
	v_add_nc_u32_e32 v7, 1, v7
	v_add_nc_u32_e32 v8, 16, v8
	;; [unrolled: 1-line block ×3, first 2 shown]
	v_cmp_lt_u32_e32 vcc_lo, 19, v7
	s_or_b32 s5, vcc_lo, s5
	s_waitcnt vmcnt(2) lgkmcnt(0)
	v_mul_f64 v[18:19], v[12:13], v[14:15]
	v_mul_f64 v[14:15], v[10:11], v[14:15]
	s_waitcnt vmcnt(0)
	v_fma_f64 v[10:11], v[10:11], v[16:17], -v[18:19]
	v_fma_f64 v[12:13], v[12:13], v[16:17], v[14:15]
	v_add_f64 v[3:4], v[3:4], v[10:11]
	v_add_f64 v[1:2], v[1:2], v[12:13]
	s_andn2_b32 exec_lo, exec_lo, s5
	s_cbranch_execnz .LBB37_97
; %bb.98:
	s_or_b32 exec_lo, exec_lo, s5
	v_mov_b32_e32 v7, 0
	ds_read_b128 v[7:10], v7 offset:336
	s_waitcnt lgkmcnt(0)
	v_mul_f64 v[11:12], v[1:2], v[9:10]
	v_mul_f64 v[9:10], v[3:4], v[9:10]
	v_fma_f64 v[3:4], v[3:4], v[7:8], -v[11:12]
	v_fma_f64 v[1:2], v[1:2], v[7:8], v[9:10]
	buffer_store_dword v4, off, s[0:3], 0 offset:356
	buffer_store_dword v3, off, s[0:3], 0 offset:352
	;; [unrolled: 1-line block ×4, first 2 shown]
.LBB37_99:
	s_or_b32 exec_lo, exec_lo, s4
	v_mov_b32_e32 v4, s27
	s_waitcnt_vscnt null, 0x0
	s_barrier
	buffer_gl0_inv
	s_mov_b32 s4, exec_lo
	s_clause 0x3
	buffer_load_dword v1, v4, s[0:3], 0 offen
	buffer_load_dword v2, v4, s[0:3], 0 offen offset:4
	buffer_load_dword v3, v4, s[0:3], 0 offen offset:8
	;; [unrolled: 1-line block ×3, first 2 shown]
	s_waitcnt vmcnt(0)
	ds_write_b128 v5, v[1:4]
	s_waitcnt lgkmcnt(0)
	s_barrier
	buffer_gl0_inv
	v_cmpx_gt_u32_e32 22, v0
	s_cbranch_execz .LBB37_103
; %bb.100:
	v_mov_b32_e32 v1, 0
	v_mov_b32_e32 v3, 0
	v_add_nc_u32_e32 v7, -1, v0
	v_add_nc_u32_e32 v8, 0x260, v121
	v_mov_b32_e32 v2, 0
	v_mov_b32_e32 v4, 0
	v_add_nc_u32_e32 v9, 16, v121
	s_mov_b32 s5, 0
	.p2align	6
.LBB37_101:                             ; =>This Inner Loop Header: Depth=1
	s_clause 0x3
	buffer_load_dword v14, v9, s[0:3], 0 offen offset:8
	buffer_load_dword v15, v9, s[0:3], 0 offen offset:12
	buffer_load_dword v16, v9, s[0:3], 0 offen
	buffer_load_dword v17, v9, s[0:3], 0 offen offset:4
	ds_read_b128 v[10:13], v8
	v_add_nc_u32_e32 v7, 1, v7
	v_add_nc_u32_e32 v8, 16, v8
	;; [unrolled: 1-line block ×3, first 2 shown]
	v_cmp_lt_u32_e32 vcc_lo, 20, v7
	s_or_b32 s5, vcc_lo, s5
	s_waitcnt vmcnt(2) lgkmcnt(0)
	v_mul_f64 v[18:19], v[12:13], v[14:15]
	v_mul_f64 v[14:15], v[10:11], v[14:15]
	s_waitcnt vmcnt(0)
	v_fma_f64 v[10:11], v[10:11], v[16:17], -v[18:19]
	v_fma_f64 v[12:13], v[12:13], v[16:17], v[14:15]
	v_add_f64 v[3:4], v[3:4], v[10:11]
	v_add_f64 v[1:2], v[1:2], v[12:13]
	s_andn2_b32 exec_lo, exec_lo, s5
	s_cbranch_execnz .LBB37_101
; %bb.102:
	s_or_b32 exec_lo, exec_lo, s5
	v_mov_b32_e32 v7, 0
	ds_read_b128 v[7:10], v7 offset:352
	s_waitcnt lgkmcnt(0)
	v_mul_f64 v[11:12], v[1:2], v[9:10]
	v_mul_f64 v[9:10], v[3:4], v[9:10]
	v_fma_f64 v[3:4], v[3:4], v[7:8], -v[11:12]
	v_fma_f64 v[1:2], v[1:2], v[7:8], v[9:10]
	buffer_store_dword v4, off, s[0:3], 0 offset:372
	buffer_store_dword v3, off, s[0:3], 0 offset:368
	;; [unrolled: 1-line block ×4, first 2 shown]
.LBB37_103:
	s_or_b32 exec_lo, exec_lo, s4
	v_mov_b32_e32 v4, s26
	s_waitcnt_vscnt null, 0x0
	s_barrier
	buffer_gl0_inv
	s_mov_b32 s4, exec_lo
	s_clause 0x3
	buffer_load_dword v1, v4, s[0:3], 0 offen
	buffer_load_dword v2, v4, s[0:3], 0 offen offset:4
	buffer_load_dword v3, v4, s[0:3], 0 offen offset:8
	;; [unrolled: 1-line block ×3, first 2 shown]
	s_waitcnt vmcnt(0)
	ds_write_b128 v5, v[1:4]
	s_waitcnt lgkmcnt(0)
	s_barrier
	buffer_gl0_inv
	v_cmpx_gt_u32_e32 23, v0
	s_cbranch_execz .LBB37_107
; %bb.104:
	v_mov_b32_e32 v1, 0
	v_mov_b32_e32 v3, 0
	v_add_nc_u32_e32 v7, -1, v0
	v_add_nc_u32_e32 v8, 0x260, v121
	v_mov_b32_e32 v2, 0
	v_mov_b32_e32 v4, 0
	v_add_nc_u32_e32 v9, 16, v121
	s_mov_b32 s5, 0
	.p2align	6
.LBB37_105:                             ; =>This Inner Loop Header: Depth=1
	s_clause 0x3
	buffer_load_dword v14, v9, s[0:3], 0 offen offset:8
	buffer_load_dword v15, v9, s[0:3], 0 offen offset:12
	buffer_load_dword v16, v9, s[0:3], 0 offen
	buffer_load_dword v17, v9, s[0:3], 0 offen offset:4
	ds_read_b128 v[10:13], v8
	v_add_nc_u32_e32 v7, 1, v7
	v_add_nc_u32_e32 v8, 16, v8
	;; [unrolled: 1-line block ×3, first 2 shown]
	v_cmp_lt_u32_e32 vcc_lo, 21, v7
	s_or_b32 s5, vcc_lo, s5
	s_waitcnt vmcnt(2) lgkmcnt(0)
	v_mul_f64 v[18:19], v[12:13], v[14:15]
	v_mul_f64 v[14:15], v[10:11], v[14:15]
	s_waitcnt vmcnt(0)
	v_fma_f64 v[10:11], v[10:11], v[16:17], -v[18:19]
	v_fma_f64 v[12:13], v[12:13], v[16:17], v[14:15]
	v_add_f64 v[3:4], v[3:4], v[10:11]
	v_add_f64 v[1:2], v[1:2], v[12:13]
	s_andn2_b32 exec_lo, exec_lo, s5
	s_cbranch_execnz .LBB37_105
; %bb.106:
	s_or_b32 exec_lo, exec_lo, s5
	v_mov_b32_e32 v7, 0
	ds_read_b128 v[7:10], v7 offset:368
	s_waitcnt lgkmcnt(0)
	v_mul_f64 v[11:12], v[1:2], v[9:10]
	v_mul_f64 v[9:10], v[3:4], v[9:10]
	v_fma_f64 v[3:4], v[3:4], v[7:8], -v[11:12]
	v_fma_f64 v[1:2], v[1:2], v[7:8], v[9:10]
	buffer_store_dword v4, off, s[0:3], 0 offset:388
	buffer_store_dword v3, off, s[0:3], 0 offset:384
	;; [unrolled: 1-line block ×4, first 2 shown]
.LBB37_107:
	s_or_b32 exec_lo, exec_lo, s4
	v_mov_b32_e32 v4, s25
	s_waitcnt_vscnt null, 0x0
	s_barrier
	buffer_gl0_inv
	s_mov_b32 s4, exec_lo
	s_clause 0x3
	buffer_load_dword v1, v4, s[0:3], 0 offen
	buffer_load_dword v2, v4, s[0:3], 0 offen offset:4
	buffer_load_dword v3, v4, s[0:3], 0 offen offset:8
	;; [unrolled: 1-line block ×3, first 2 shown]
	s_waitcnt vmcnt(0)
	ds_write_b128 v5, v[1:4]
	s_waitcnt lgkmcnt(0)
	s_barrier
	buffer_gl0_inv
	v_cmpx_gt_u32_e32 24, v0
	s_cbranch_execz .LBB37_111
; %bb.108:
	v_mov_b32_e32 v1, 0
	v_mov_b32_e32 v3, 0
	v_add_nc_u32_e32 v7, -1, v0
	v_add_nc_u32_e32 v8, 0x260, v121
	v_mov_b32_e32 v2, 0
	v_mov_b32_e32 v4, 0
	v_add_nc_u32_e32 v9, 16, v121
	s_mov_b32 s5, 0
	.p2align	6
.LBB37_109:                             ; =>This Inner Loop Header: Depth=1
	s_clause 0x3
	buffer_load_dword v14, v9, s[0:3], 0 offen offset:8
	buffer_load_dword v15, v9, s[0:3], 0 offen offset:12
	buffer_load_dword v16, v9, s[0:3], 0 offen
	buffer_load_dword v17, v9, s[0:3], 0 offen offset:4
	ds_read_b128 v[10:13], v8
	v_add_nc_u32_e32 v7, 1, v7
	v_add_nc_u32_e32 v8, 16, v8
	;; [unrolled: 1-line block ×3, first 2 shown]
	v_cmp_lt_u32_e32 vcc_lo, 22, v7
	s_or_b32 s5, vcc_lo, s5
	s_waitcnt vmcnt(2) lgkmcnt(0)
	v_mul_f64 v[18:19], v[12:13], v[14:15]
	v_mul_f64 v[14:15], v[10:11], v[14:15]
	s_waitcnt vmcnt(0)
	v_fma_f64 v[10:11], v[10:11], v[16:17], -v[18:19]
	v_fma_f64 v[12:13], v[12:13], v[16:17], v[14:15]
	v_add_f64 v[3:4], v[3:4], v[10:11]
	v_add_f64 v[1:2], v[1:2], v[12:13]
	s_andn2_b32 exec_lo, exec_lo, s5
	s_cbranch_execnz .LBB37_109
; %bb.110:
	s_or_b32 exec_lo, exec_lo, s5
	v_mov_b32_e32 v7, 0
	ds_read_b128 v[7:10], v7 offset:384
	s_waitcnt lgkmcnt(0)
	v_mul_f64 v[11:12], v[1:2], v[9:10]
	v_mul_f64 v[9:10], v[3:4], v[9:10]
	v_fma_f64 v[3:4], v[3:4], v[7:8], -v[11:12]
	v_fma_f64 v[1:2], v[1:2], v[7:8], v[9:10]
	buffer_store_dword v4, off, s[0:3], 0 offset:404
	buffer_store_dword v3, off, s[0:3], 0 offset:400
	;; [unrolled: 1-line block ×4, first 2 shown]
.LBB37_111:
	s_or_b32 exec_lo, exec_lo, s4
	v_mov_b32_e32 v4, s23
	s_waitcnt_vscnt null, 0x0
	s_barrier
	buffer_gl0_inv
	s_mov_b32 s4, exec_lo
	s_clause 0x3
	buffer_load_dword v1, v4, s[0:3], 0 offen
	buffer_load_dword v2, v4, s[0:3], 0 offen offset:4
	buffer_load_dword v3, v4, s[0:3], 0 offen offset:8
	;; [unrolled: 1-line block ×3, first 2 shown]
	s_waitcnt vmcnt(0)
	ds_write_b128 v5, v[1:4]
	s_waitcnt lgkmcnt(0)
	s_barrier
	buffer_gl0_inv
	v_cmpx_gt_u32_e32 25, v0
	s_cbranch_execz .LBB37_115
; %bb.112:
	v_mov_b32_e32 v1, 0
	v_mov_b32_e32 v3, 0
	v_add_nc_u32_e32 v7, -1, v0
	v_add_nc_u32_e32 v8, 0x260, v121
	v_mov_b32_e32 v2, 0
	v_mov_b32_e32 v4, 0
	v_add_nc_u32_e32 v9, 16, v121
	s_mov_b32 s5, 0
	.p2align	6
.LBB37_113:                             ; =>This Inner Loop Header: Depth=1
	s_clause 0x3
	buffer_load_dword v14, v9, s[0:3], 0 offen offset:8
	buffer_load_dword v15, v9, s[0:3], 0 offen offset:12
	buffer_load_dword v16, v9, s[0:3], 0 offen
	buffer_load_dword v17, v9, s[0:3], 0 offen offset:4
	ds_read_b128 v[10:13], v8
	v_add_nc_u32_e32 v7, 1, v7
	v_add_nc_u32_e32 v8, 16, v8
	;; [unrolled: 1-line block ×3, first 2 shown]
	v_cmp_lt_u32_e32 vcc_lo, 23, v7
	s_or_b32 s5, vcc_lo, s5
	s_waitcnt vmcnt(2) lgkmcnt(0)
	v_mul_f64 v[18:19], v[12:13], v[14:15]
	v_mul_f64 v[14:15], v[10:11], v[14:15]
	s_waitcnt vmcnt(0)
	v_fma_f64 v[10:11], v[10:11], v[16:17], -v[18:19]
	v_fma_f64 v[12:13], v[12:13], v[16:17], v[14:15]
	v_add_f64 v[3:4], v[3:4], v[10:11]
	v_add_f64 v[1:2], v[1:2], v[12:13]
	s_andn2_b32 exec_lo, exec_lo, s5
	s_cbranch_execnz .LBB37_113
; %bb.114:
	s_or_b32 exec_lo, exec_lo, s5
	v_mov_b32_e32 v7, 0
	ds_read_b128 v[7:10], v7 offset:400
	s_waitcnt lgkmcnt(0)
	v_mul_f64 v[11:12], v[1:2], v[9:10]
	v_mul_f64 v[9:10], v[3:4], v[9:10]
	v_fma_f64 v[3:4], v[3:4], v[7:8], -v[11:12]
	v_fma_f64 v[1:2], v[1:2], v[7:8], v[9:10]
	buffer_store_dword v4, off, s[0:3], 0 offset:420
	buffer_store_dword v3, off, s[0:3], 0 offset:416
	buffer_store_dword v2, off, s[0:3], 0 offset:428
	buffer_store_dword v1, off, s[0:3], 0 offset:424
.LBB37_115:
	s_or_b32 exec_lo, exec_lo, s4
	v_mov_b32_e32 v4, s19
	s_waitcnt_vscnt null, 0x0
	s_barrier
	buffer_gl0_inv
	s_mov_b32 s4, exec_lo
	s_clause 0x3
	buffer_load_dword v1, v4, s[0:3], 0 offen
	buffer_load_dword v2, v4, s[0:3], 0 offen offset:4
	buffer_load_dword v3, v4, s[0:3], 0 offen offset:8
	;; [unrolled: 1-line block ×3, first 2 shown]
	s_waitcnt vmcnt(0)
	ds_write_b128 v5, v[1:4]
	s_waitcnt lgkmcnt(0)
	s_barrier
	buffer_gl0_inv
	v_cmpx_gt_u32_e32 26, v0
	s_cbranch_execz .LBB37_119
; %bb.116:
	v_mov_b32_e32 v1, 0
	v_mov_b32_e32 v3, 0
	v_add_nc_u32_e32 v7, -1, v0
	v_add_nc_u32_e32 v8, 0x260, v121
	v_mov_b32_e32 v2, 0
	v_mov_b32_e32 v4, 0
	v_add_nc_u32_e32 v9, 16, v121
	s_mov_b32 s5, 0
	.p2align	6
.LBB37_117:                             ; =>This Inner Loop Header: Depth=1
	s_clause 0x3
	buffer_load_dword v14, v9, s[0:3], 0 offen offset:8
	buffer_load_dword v15, v9, s[0:3], 0 offen offset:12
	buffer_load_dword v16, v9, s[0:3], 0 offen
	buffer_load_dword v17, v9, s[0:3], 0 offen offset:4
	ds_read_b128 v[10:13], v8
	v_add_nc_u32_e32 v7, 1, v7
	v_add_nc_u32_e32 v8, 16, v8
	;; [unrolled: 1-line block ×3, first 2 shown]
	v_cmp_lt_u32_e32 vcc_lo, 24, v7
	s_or_b32 s5, vcc_lo, s5
	s_waitcnt vmcnt(2) lgkmcnt(0)
	v_mul_f64 v[18:19], v[12:13], v[14:15]
	v_mul_f64 v[14:15], v[10:11], v[14:15]
	s_waitcnt vmcnt(0)
	v_fma_f64 v[10:11], v[10:11], v[16:17], -v[18:19]
	v_fma_f64 v[12:13], v[12:13], v[16:17], v[14:15]
	v_add_f64 v[3:4], v[3:4], v[10:11]
	v_add_f64 v[1:2], v[1:2], v[12:13]
	s_andn2_b32 exec_lo, exec_lo, s5
	s_cbranch_execnz .LBB37_117
; %bb.118:
	s_or_b32 exec_lo, exec_lo, s5
	v_mov_b32_e32 v7, 0
	ds_read_b128 v[7:10], v7 offset:416
	s_waitcnt lgkmcnt(0)
	v_mul_f64 v[11:12], v[1:2], v[9:10]
	v_mul_f64 v[9:10], v[3:4], v[9:10]
	v_fma_f64 v[3:4], v[3:4], v[7:8], -v[11:12]
	v_fma_f64 v[1:2], v[1:2], v[7:8], v[9:10]
	buffer_store_dword v4, off, s[0:3], 0 offset:436
	buffer_store_dword v3, off, s[0:3], 0 offset:432
	;; [unrolled: 1-line block ×4, first 2 shown]
.LBB37_119:
	s_or_b32 exec_lo, exec_lo, s4
	v_mov_b32_e32 v4, s18
	s_waitcnt_vscnt null, 0x0
	s_barrier
	buffer_gl0_inv
	s_mov_b32 s4, exec_lo
	s_clause 0x3
	buffer_load_dword v1, v4, s[0:3], 0 offen
	buffer_load_dword v2, v4, s[0:3], 0 offen offset:4
	buffer_load_dword v3, v4, s[0:3], 0 offen offset:8
	buffer_load_dword v4, v4, s[0:3], 0 offen offset:12
	s_waitcnt vmcnt(0)
	ds_write_b128 v5, v[1:4]
	s_waitcnt lgkmcnt(0)
	s_barrier
	buffer_gl0_inv
	v_cmpx_gt_u32_e32 27, v0
	s_cbranch_execz .LBB37_123
; %bb.120:
	v_mov_b32_e32 v1, 0
	v_mov_b32_e32 v3, 0
	v_add_nc_u32_e32 v7, -1, v0
	v_add_nc_u32_e32 v8, 0x260, v121
	v_mov_b32_e32 v2, 0
	v_mov_b32_e32 v4, 0
	v_add_nc_u32_e32 v9, 16, v121
	s_mov_b32 s5, 0
	.p2align	6
.LBB37_121:                             ; =>This Inner Loop Header: Depth=1
	s_clause 0x3
	buffer_load_dword v14, v9, s[0:3], 0 offen offset:8
	buffer_load_dword v15, v9, s[0:3], 0 offen offset:12
	buffer_load_dword v16, v9, s[0:3], 0 offen
	buffer_load_dword v17, v9, s[0:3], 0 offen offset:4
	ds_read_b128 v[10:13], v8
	v_add_nc_u32_e32 v7, 1, v7
	v_add_nc_u32_e32 v8, 16, v8
	;; [unrolled: 1-line block ×3, first 2 shown]
	v_cmp_lt_u32_e32 vcc_lo, 25, v7
	s_or_b32 s5, vcc_lo, s5
	s_waitcnt vmcnt(2) lgkmcnt(0)
	v_mul_f64 v[18:19], v[12:13], v[14:15]
	v_mul_f64 v[14:15], v[10:11], v[14:15]
	s_waitcnt vmcnt(0)
	v_fma_f64 v[10:11], v[10:11], v[16:17], -v[18:19]
	v_fma_f64 v[12:13], v[12:13], v[16:17], v[14:15]
	v_add_f64 v[3:4], v[3:4], v[10:11]
	v_add_f64 v[1:2], v[1:2], v[12:13]
	s_andn2_b32 exec_lo, exec_lo, s5
	s_cbranch_execnz .LBB37_121
; %bb.122:
	s_or_b32 exec_lo, exec_lo, s5
	v_mov_b32_e32 v7, 0
	ds_read_b128 v[7:10], v7 offset:432
	s_waitcnt lgkmcnt(0)
	v_mul_f64 v[11:12], v[1:2], v[9:10]
	v_mul_f64 v[9:10], v[3:4], v[9:10]
	v_fma_f64 v[3:4], v[3:4], v[7:8], -v[11:12]
	v_fma_f64 v[1:2], v[1:2], v[7:8], v[9:10]
	buffer_store_dword v4, off, s[0:3], 0 offset:452
	buffer_store_dword v3, off, s[0:3], 0 offset:448
	buffer_store_dword v2, off, s[0:3], 0 offset:460
	buffer_store_dword v1, off, s[0:3], 0 offset:456
.LBB37_123:
	s_or_b32 exec_lo, exec_lo, s4
	v_mov_b32_e32 v4, s17
	s_waitcnt_vscnt null, 0x0
	s_barrier
	buffer_gl0_inv
	s_mov_b32 s4, exec_lo
	s_clause 0x3
	buffer_load_dword v1, v4, s[0:3], 0 offen
	buffer_load_dword v2, v4, s[0:3], 0 offen offset:4
	buffer_load_dword v3, v4, s[0:3], 0 offen offset:8
	buffer_load_dword v4, v4, s[0:3], 0 offen offset:12
	s_waitcnt vmcnt(0)
	ds_write_b128 v5, v[1:4]
	s_waitcnt lgkmcnt(0)
	s_barrier
	buffer_gl0_inv
	v_cmpx_gt_u32_e32 28, v0
	s_cbranch_execz .LBB37_127
; %bb.124:
	v_mov_b32_e32 v1, 0
	v_mov_b32_e32 v3, 0
	v_add_nc_u32_e32 v7, -1, v0
	v_add_nc_u32_e32 v8, 0x260, v121
	v_mov_b32_e32 v2, 0
	v_mov_b32_e32 v4, 0
	v_add_nc_u32_e32 v9, 16, v121
	s_mov_b32 s5, 0
	.p2align	6
.LBB37_125:                             ; =>This Inner Loop Header: Depth=1
	s_clause 0x3
	buffer_load_dword v14, v9, s[0:3], 0 offen offset:8
	buffer_load_dword v15, v9, s[0:3], 0 offen offset:12
	buffer_load_dword v16, v9, s[0:3], 0 offen
	buffer_load_dword v17, v9, s[0:3], 0 offen offset:4
	ds_read_b128 v[10:13], v8
	v_add_nc_u32_e32 v7, 1, v7
	v_add_nc_u32_e32 v8, 16, v8
	;; [unrolled: 1-line block ×3, first 2 shown]
	v_cmp_lt_u32_e32 vcc_lo, 26, v7
	s_or_b32 s5, vcc_lo, s5
	s_waitcnt vmcnt(2) lgkmcnt(0)
	v_mul_f64 v[18:19], v[12:13], v[14:15]
	v_mul_f64 v[14:15], v[10:11], v[14:15]
	s_waitcnt vmcnt(0)
	v_fma_f64 v[10:11], v[10:11], v[16:17], -v[18:19]
	v_fma_f64 v[12:13], v[12:13], v[16:17], v[14:15]
	v_add_f64 v[3:4], v[3:4], v[10:11]
	v_add_f64 v[1:2], v[1:2], v[12:13]
	s_andn2_b32 exec_lo, exec_lo, s5
	s_cbranch_execnz .LBB37_125
; %bb.126:
	s_or_b32 exec_lo, exec_lo, s5
	v_mov_b32_e32 v7, 0
	ds_read_b128 v[7:10], v7 offset:448
	s_waitcnt lgkmcnt(0)
	v_mul_f64 v[11:12], v[1:2], v[9:10]
	v_mul_f64 v[9:10], v[3:4], v[9:10]
	v_fma_f64 v[3:4], v[3:4], v[7:8], -v[11:12]
	v_fma_f64 v[1:2], v[1:2], v[7:8], v[9:10]
	buffer_store_dword v4, off, s[0:3], 0 offset:468
	buffer_store_dword v3, off, s[0:3], 0 offset:464
	buffer_store_dword v2, off, s[0:3], 0 offset:476
	buffer_store_dword v1, off, s[0:3], 0 offset:472
.LBB37_127:
	s_or_b32 exec_lo, exec_lo, s4
	v_mov_b32_e32 v4, s16
	s_waitcnt_vscnt null, 0x0
	s_barrier
	buffer_gl0_inv
	s_mov_b32 s4, exec_lo
	s_clause 0x3
	buffer_load_dword v1, v4, s[0:3], 0 offen
	buffer_load_dword v2, v4, s[0:3], 0 offen offset:4
	buffer_load_dword v3, v4, s[0:3], 0 offen offset:8
	buffer_load_dword v4, v4, s[0:3], 0 offen offset:12
	s_waitcnt vmcnt(0)
	ds_write_b128 v5, v[1:4]
	s_waitcnt lgkmcnt(0)
	s_barrier
	buffer_gl0_inv
	v_cmpx_gt_u32_e32 29, v0
	s_cbranch_execz .LBB37_131
; %bb.128:
	v_mov_b32_e32 v1, 0
	v_mov_b32_e32 v3, 0
	v_add_nc_u32_e32 v7, -1, v0
	v_add_nc_u32_e32 v8, 0x260, v121
	v_mov_b32_e32 v2, 0
	v_mov_b32_e32 v4, 0
	v_add_nc_u32_e32 v9, 16, v121
	s_mov_b32 s5, 0
	.p2align	6
.LBB37_129:                             ; =>This Inner Loop Header: Depth=1
	s_clause 0x3
	buffer_load_dword v14, v9, s[0:3], 0 offen offset:8
	buffer_load_dword v15, v9, s[0:3], 0 offen offset:12
	buffer_load_dword v16, v9, s[0:3], 0 offen
	buffer_load_dword v17, v9, s[0:3], 0 offen offset:4
	ds_read_b128 v[10:13], v8
	v_add_nc_u32_e32 v7, 1, v7
	v_add_nc_u32_e32 v8, 16, v8
	;; [unrolled: 1-line block ×3, first 2 shown]
	v_cmp_lt_u32_e32 vcc_lo, 27, v7
	s_or_b32 s5, vcc_lo, s5
	s_waitcnt vmcnt(2) lgkmcnt(0)
	v_mul_f64 v[18:19], v[12:13], v[14:15]
	v_mul_f64 v[14:15], v[10:11], v[14:15]
	s_waitcnt vmcnt(0)
	v_fma_f64 v[10:11], v[10:11], v[16:17], -v[18:19]
	v_fma_f64 v[12:13], v[12:13], v[16:17], v[14:15]
	v_add_f64 v[3:4], v[3:4], v[10:11]
	v_add_f64 v[1:2], v[1:2], v[12:13]
	s_andn2_b32 exec_lo, exec_lo, s5
	s_cbranch_execnz .LBB37_129
; %bb.130:
	s_or_b32 exec_lo, exec_lo, s5
	v_mov_b32_e32 v7, 0
	ds_read_b128 v[7:10], v7 offset:464
	s_waitcnt lgkmcnt(0)
	v_mul_f64 v[11:12], v[1:2], v[9:10]
	v_mul_f64 v[9:10], v[3:4], v[9:10]
	v_fma_f64 v[3:4], v[3:4], v[7:8], -v[11:12]
	v_fma_f64 v[1:2], v[1:2], v[7:8], v[9:10]
	buffer_store_dword v4, off, s[0:3], 0 offset:484
	buffer_store_dword v3, off, s[0:3], 0 offset:480
	;; [unrolled: 1-line block ×4, first 2 shown]
.LBB37_131:
	s_or_b32 exec_lo, exec_lo, s4
	v_mov_b32_e32 v4, s15
	s_waitcnt_vscnt null, 0x0
	s_barrier
	buffer_gl0_inv
	s_mov_b32 s4, exec_lo
	s_clause 0x3
	buffer_load_dword v1, v4, s[0:3], 0 offen
	buffer_load_dword v2, v4, s[0:3], 0 offen offset:4
	buffer_load_dword v3, v4, s[0:3], 0 offen offset:8
	;; [unrolled: 1-line block ×3, first 2 shown]
	s_waitcnt vmcnt(0)
	ds_write_b128 v5, v[1:4]
	s_waitcnt lgkmcnt(0)
	s_barrier
	buffer_gl0_inv
	v_cmpx_gt_u32_e32 30, v0
	s_cbranch_execz .LBB37_135
; %bb.132:
	v_mov_b32_e32 v1, 0
	v_mov_b32_e32 v3, 0
	v_add_nc_u32_e32 v7, -1, v0
	v_add_nc_u32_e32 v8, 0x260, v121
	v_mov_b32_e32 v2, 0
	v_mov_b32_e32 v4, 0
	v_add_nc_u32_e32 v9, 16, v121
	s_mov_b32 s5, 0
	.p2align	6
.LBB37_133:                             ; =>This Inner Loop Header: Depth=1
	s_clause 0x3
	buffer_load_dword v14, v9, s[0:3], 0 offen offset:8
	buffer_load_dword v15, v9, s[0:3], 0 offen offset:12
	buffer_load_dword v16, v9, s[0:3], 0 offen
	buffer_load_dword v17, v9, s[0:3], 0 offen offset:4
	ds_read_b128 v[10:13], v8
	v_add_nc_u32_e32 v7, 1, v7
	v_add_nc_u32_e32 v8, 16, v8
	;; [unrolled: 1-line block ×3, first 2 shown]
	v_cmp_lt_u32_e32 vcc_lo, 28, v7
	s_or_b32 s5, vcc_lo, s5
	s_waitcnt vmcnt(2) lgkmcnt(0)
	v_mul_f64 v[18:19], v[12:13], v[14:15]
	v_mul_f64 v[14:15], v[10:11], v[14:15]
	s_waitcnt vmcnt(0)
	v_fma_f64 v[10:11], v[10:11], v[16:17], -v[18:19]
	v_fma_f64 v[12:13], v[12:13], v[16:17], v[14:15]
	v_add_f64 v[3:4], v[3:4], v[10:11]
	v_add_f64 v[1:2], v[1:2], v[12:13]
	s_andn2_b32 exec_lo, exec_lo, s5
	s_cbranch_execnz .LBB37_133
; %bb.134:
	s_or_b32 exec_lo, exec_lo, s5
	v_mov_b32_e32 v7, 0
	ds_read_b128 v[7:10], v7 offset:480
	s_waitcnt lgkmcnt(0)
	v_mul_f64 v[11:12], v[1:2], v[9:10]
	v_mul_f64 v[9:10], v[3:4], v[9:10]
	v_fma_f64 v[3:4], v[3:4], v[7:8], -v[11:12]
	v_fma_f64 v[1:2], v[1:2], v[7:8], v[9:10]
	buffer_store_dword v4, off, s[0:3], 0 offset:500
	buffer_store_dword v3, off, s[0:3], 0 offset:496
	;; [unrolled: 1-line block ×4, first 2 shown]
.LBB37_135:
	s_or_b32 exec_lo, exec_lo, s4
	v_mov_b32_e32 v4, s14
	s_waitcnt_vscnt null, 0x0
	s_barrier
	buffer_gl0_inv
	s_mov_b32 s4, exec_lo
	s_clause 0x3
	buffer_load_dword v1, v4, s[0:3], 0 offen
	buffer_load_dword v2, v4, s[0:3], 0 offen offset:4
	buffer_load_dword v3, v4, s[0:3], 0 offen offset:8
	;; [unrolled: 1-line block ×3, first 2 shown]
	s_waitcnt vmcnt(0)
	ds_write_b128 v5, v[1:4]
	s_waitcnt lgkmcnt(0)
	s_barrier
	buffer_gl0_inv
	v_cmpx_gt_u32_e32 31, v0
	s_cbranch_execz .LBB37_139
; %bb.136:
	v_mov_b32_e32 v1, 0
	v_mov_b32_e32 v3, 0
	v_add_nc_u32_e32 v7, -1, v0
	v_add_nc_u32_e32 v8, 0x260, v121
	v_mov_b32_e32 v2, 0
	v_mov_b32_e32 v4, 0
	v_add_nc_u32_e32 v9, 16, v121
	s_mov_b32 s5, 0
	.p2align	6
.LBB37_137:                             ; =>This Inner Loop Header: Depth=1
	s_clause 0x3
	buffer_load_dword v14, v9, s[0:3], 0 offen offset:8
	buffer_load_dword v15, v9, s[0:3], 0 offen offset:12
	buffer_load_dword v16, v9, s[0:3], 0 offen
	buffer_load_dword v17, v9, s[0:3], 0 offen offset:4
	ds_read_b128 v[10:13], v8
	v_add_nc_u32_e32 v7, 1, v7
	v_add_nc_u32_e32 v8, 16, v8
	;; [unrolled: 1-line block ×3, first 2 shown]
	v_cmp_lt_u32_e32 vcc_lo, 29, v7
	s_or_b32 s5, vcc_lo, s5
	s_waitcnt vmcnt(2) lgkmcnt(0)
	v_mul_f64 v[18:19], v[12:13], v[14:15]
	v_mul_f64 v[14:15], v[10:11], v[14:15]
	s_waitcnt vmcnt(0)
	v_fma_f64 v[10:11], v[10:11], v[16:17], -v[18:19]
	v_fma_f64 v[12:13], v[12:13], v[16:17], v[14:15]
	v_add_f64 v[3:4], v[3:4], v[10:11]
	v_add_f64 v[1:2], v[1:2], v[12:13]
	s_andn2_b32 exec_lo, exec_lo, s5
	s_cbranch_execnz .LBB37_137
; %bb.138:
	s_or_b32 exec_lo, exec_lo, s5
	v_mov_b32_e32 v7, 0
	ds_read_b128 v[7:10], v7 offset:496
	s_waitcnt lgkmcnt(0)
	v_mul_f64 v[11:12], v[1:2], v[9:10]
	v_mul_f64 v[9:10], v[3:4], v[9:10]
	v_fma_f64 v[3:4], v[3:4], v[7:8], -v[11:12]
	v_fma_f64 v[1:2], v[1:2], v[7:8], v[9:10]
	buffer_store_dword v4, off, s[0:3], 0 offset:516
	buffer_store_dword v3, off, s[0:3], 0 offset:512
	;; [unrolled: 1-line block ×4, first 2 shown]
.LBB37_139:
	s_or_b32 exec_lo, exec_lo, s4
	v_mov_b32_e32 v4, s13
	s_waitcnt_vscnt null, 0x0
	s_barrier
	buffer_gl0_inv
	s_mov_b32 s4, exec_lo
	s_clause 0x3
	buffer_load_dword v1, v4, s[0:3], 0 offen
	buffer_load_dword v2, v4, s[0:3], 0 offen offset:4
	buffer_load_dword v3, v4, s[0:3], 0 offen offset:8
	;; [unrolled: 1-line block ×3, first 2 shown]
	s_waitcnt vmcnt(0)
	ds_write_b128 v5, v[1:4]
	s_waitcnt lgkmcnt(0)
	s_barrier
	buffer_gl0_inv
	v_cmpx_gt_u32_e32 32, v0
	s_cbranch_execz .LBB37_143
; %bb.140:
	v_mov_b32_e32 v1, 0
	v_mov_b32_e32 v3, 0
	v_add_nc_u32_e32 v7, -1, v0
	v_add_nc_u32_e32 v8, 0x260, v121
	v_mov_b32_e32 v2, 0
	v_mov_b32_e32 v4, 0
	v_add_nc_u32_e32 v9, 16, v121
	s_mov_b32 s5, 0
	.p2align	6
.LBB37_141:                             ; =>This Inner Loop Header: Depth=1
	s_clause 0x3
	buffer_load_dword v14, v9, s[0:3], 0 offen offset:8
	buffer_load_dword v15, v9, s[0:3], 0 offen offset:12
	buffer_load_dword v16, v9, s[0:3], 0 offen
	buffer_load_dword v17, v9, s[0:3], 0 offen offset:4
	ds_read_b128 v[10:13], v8
	v_add_nc_u32_e32 v7, 1, v7
	v_add_nc_u32_e32 v8, 16, v8
	;; [unrolled: 1-line block ×3, first 2 shown]
	v_cmp_lt_u32_e32 vcc_lo, 30, v7
	s_or_b32 s5, vcc_lo, s5
	s_waitcnt vmcnt(2) lgkmcnt(0)
	v_mul_f64 v[18:19], v[12:13], v[14:15]
	v_mul_f64 v[14:15], v[10:11], v[14:15]
	s_waitcnt vmcnt(0)
	v_fma_f64 v[10:11], v[10:11], v[16:17], -v[18:19]
	v_fma_f64 v[12:13], v[12:13], v[16:17], v[14:15]
	v_add_f64 v[3:4], v[3:4], v[10:11]
	v_add_f64 v[1:2], v[1:2], v[12:13]
	s_andn2_b32 exec_lo, exec_lo, s5
	s_cbranch_execnz .LBB37_141
; %bb.142:
	s_or_b32 exec_lo, exec_lo, s5
	v_mov_b32_e32 v7, 0
	ds_read_b128 v[7:10], v7 offset:512
	s_waitcnt lgkmcnt(0)
	v_mul_f64 v[11:12], v[1:2], v[9:10]
	v_mul_f64 v[9:10], v[3:4], v[9:10]
	v_fma_f64 v[3:4], v[3:4], v[7:8], -v[11:12]
	v_fma_f64 v[1:2], v[1:2], v[7:8], v[9:10]
	buffer_store_dword v4, off, s[0:3], 0 offset:532
	buffer_store_dword v3, off, s[0:3], 0 offset:528
	;; [unrolled: 1-line block ×4, first 2 shown]
.LBB37_143:
	s_or_b32 exec_lo, exec_lo, s4
	v_mov_b32_e32 v4, s12
	s_waitcnt_vscnt null, 0x0
	s_barrier
	buffer_gl0_inv
	s_mov_b32 s4, exec_lo
	s_clause 0x3
	buffer_load_dword v1, v4, s[0:3], 0 offen
	buffer_load_dword v2, v4, s[0:3], 0 offen offset:4
	buffer_load_dword v3, v4, s[0:3], 0 offen offset:8
	;; [unrolled: 1-line block ×3, first 2 shown]
	s_waitcnt vmcnt(0)
	ds_write_b128 v5, v[1:4]
	s_waitcnt lgkmcnt(0)
	s_barrier
	buffer_gl0_inv
	v_cmpx_gt_u32_e32 33, v0
	s_cbranch_execz .LBB37_147
; %bb.144:
	v_mov_b32_e32 v1, 0
	v_mov_b32_e32 v3, 0
	v_add_nc_u32_e32 v7, -1, v0
	v_add_nc_u32_e32 v8, 0x260, v121
	v_mov_b32_e32 v2, 0
	v_mov_b32_e32 v4, 0
	v_add_nc_u32_e32 v9, 16, v121
	s_mov_b32 s5, 0
	.p2align	6
.LBB37_145:                             ; =>This Inner Loop Header: Depth=1
	s_clause 0x3
	buffer_load_dword v14, v9, s[0:3], 0 offen offset:8
	buffer_load_dword v15, v9, s[0:3], 0 offen offset:12
	buffer_load_dword v16, v9, s[0:3], 0 offen
	buffer_load_dword v17, v9, s[0:3], 0 offen offset:4
	ds_read_b128 v[10:13], v8
	v_add_nc_u32_e32 v7, 1, v7
	v_add_nc_u32_e32 v8, 16, v8
	;; [unrolled: 1-line block ×3, first 2 shown]
	v_cmp_lt_u32_e32 vcc_lo, 31, v7
	s_or_b32 s5, vcc_lo, s5
	s_waitcnt vmcnt(2) lgkmcnt(0)
	v_mul_f64 v[18:19], v[12:13], v[14:15]
	v_mul_f64 v[14:15], v[10:11], v[14:15]
	s_waitcnt vmcnt(0)
	v_fma_f64 v[10:11], v[10:11], v[16:17], -v[18:19]
	v_fma_f64 v[12:13], v[12:13], v[16:17], v[14:15]
	v_add_f64 v[3:4], v[3:4], v[10:11]
	v_add_f64 v[1:2], v[1:2], v[12:13]
	s_andn2_b32 exec_lo, exec_lo, s5
	s_cbranch_execnz .LBB37_145
; %bb.146:
	s_or_b32 exec_lo, exec_lo, s5
	v_mov_b32_e32 v7, 0
	ds_read_b128 v[7:10], v7 offset:528
	s_waitcnt lgkmcnt(0)
	v_mul_f64 v[11:12], v[1:2], v[9:10]
	v_mul_f64 v[9:10], v[3:4], v[9:10]
	v_fma_f64 v[3:4], v[3:4], v[7:8], -v[11:12]
	v_fma_f64 v[1:2], v[1:2], v[7:8], v[9:10]
	buffer_store_dword v4, off, s[0:3], 0 offset:548
	buffer_store_dword v3, off, s[0:3], 0 offset:544
	;; [unrolled: 1-line block ×4, first 2 shown]
.LBB37_147:
	s_or_b32 exec_lo, exec_lo, s4
	v_mov_b32_e32 v4, s9
	s_waitcnt_vscnt null, 0x0
	s_barrier
	buffer_gl0_inv
	s_mov_b32 s4, exec_lo
	s_clause 0x3
	buffer_load_dword v1, v4, s[0:3], 0 offen
	buffer_load_dword v2, v4, s[0:3], 0 offen offset:4
	buffer_load_dword v3, v4, s[0:3], 0 offen offset:8
	;; [unrolled: 1-line block ×3, first 2 shown]
	s_waitcnt vmcnt(0)
	ds_write_b128 v5, v[1:4]
	s_waitcnt lgkmcnt(0)
	s_barrier
	buffer_gl0_inv
	v_cmpx_gt_u32_e32 34, v0
	s_cbranch_execz .LBB37_151
; %bb.148:
	v_mov_b32_e32 v1, 0
	v_mov_b32_e32 v3, 0
	v_add_nc_u32_e32 v7, -1, v0
	v_add_nc_u32_e32 v8, 0x260, v121
	v_mov_b32_e32 v2, 0
	v_mov_b32_e32 v4, 0
	v_add_nc_u32_e32 v9, 16, v121
	s_mov_b32 s5, 0
	.p2align	6
.LBB37_149:                             ; =>This Inner Loop Header: Depth=1
	s_clause 0x3
	buffer_load_dword v14, v9, s[0:3], 0 offen offset:8
	buffer_load_dword v15, v9, s[0:3], 0 offen offset:12
	buffer_load_dword v16, v9, s[0:3], 0 offen
	buffer_load_dword v17, v9, s[0:3], 0 offen offset:4
	ds_read_b128 v[10:13], v8
	v_add_nc_u32_e32 v7, 1, v7
	v_add_nc_u32_e32 v8, 16, v8
	;; [unrolled: 1-line block ×3, first 2 shown]
	v_cmp_lt_u32_e32 vcc_lo, 32, v7
	s_or_b32 s5, vcc_lo, s5
	s_waitcnt vmcnt(2) lgkmcnt(0)
	v_mul_f64 v[18:19], v[12:13], v[14:15]
	v_mul_f64 v[14:15], v[10:11], v[14:15]
	s_waitcnt vmcnt(0)
	v_fma_f64 v[10:11], v[10:11], v[16:17], -v[18:19]
	v_fma_f64 v[12:13], v[12:13], v[16:17], v[14:15]
	v_add_f64 v[3:4], v[3:4], v[10:11]
	v_add_f64 v[1:2], v[1:2], v[12:13]
	s_andn2_b32 exec_lo, exec_lo, s5
	s_cbranch_execnz .LBB37_149
; %bb.150:
	s_or_b32 exec_lo, exec_lo, s5
	v_mov_b32_e32 v7, 0
	ds_read_b128 v[7:10], v7 offset:544
	s_waitcnt lgkmcnt(0)
	v_mul_f64 v[11:12], v[1:2], v[9:10]
	v_mul_f64 v[9:10], v[3:4], v[9:10]
	v_fma_f64 v[3:4], v[3:4], v[7:8], -v[11:12]
	v_fma_f64 v[1:2], v[1:2], v[7:8], v[9:10]
	buffer_store_dword v4, off, s[0:3], 0 offset:564
	buffer_store_dword v3, off, s[0:3], 0 offset:560
	;; [unrolled: 1-line block ×4, first 2 shown]
.LBB37_151:
	s_or_b32 exec_lo, exec_lo, s4
	v_mov_b32_e32 v4, s8
	s_waitcnt_vscnt null, 0x0
	s_barrier
	buffer_gl0_inv
	s_mov_b32 s4, exec_lo
	s_clause 0x3
	buffer_load_dword v1, v4, s[0:3], 0 offen
	buffer_load_dword v2, v4, s[0:3], 0 offen offset:4
	buffer_load_dword v3, v4, s[0:3], 0 offen offset:8
	;; [unrolled: 1-line block ×3, first 2 shown]
	s_waitcnt vmcnt(0)
	ds_write_b128 v5, v[1:4]
	s_waitcnt lgkmcnt(0)
	s_barrier
	buffer_gl0_inv
	v_cmpx_gt_u32_e32 35, v0
	s_cbranch_execz .LBB37_155
; %bb.152:
	v_mov_b32_e32 v1, 0
	v_mov_b32_e32 v3, 0
	v_add_nc_u32_e32 v7, -1, v0
	v_add_nc_u32_e32 v8, 0x260, v121
	v_mov_b32_e32 v2, 0
	v_mov_b32_e32 v4, 0
	v_add_nc_u32_e32 v9, 16, v121
	s_mov_b32 s5, 0
	.p2align	6
.LBB37_153:                             ; =>This Inner Loop Header: Depth=1
	s_clause 0x3
	buffer_load_dword v14, v9, s[0:3], 0 offen offset:8
	buffer_load_dword v15, v9, s[0:3], 0 offen offset:12
	buffer_load_dword v16, v9, s[0:3], 0 offen
	buffer_load_dword v17, v9, s[0:3], 0 offen offset:4
	ds_read_b128 v[10:13], v8
	v_add_nc_u32_e32 v7, 1, v7
	v_add_nc_u32_e32 v8, 16, v8
	;; [unrolled: 1-line block ×3, first 2 shown]
	v_cmp_lt_u32_e32 vcc_lo, 33, v7
	s_or_b32 s5, vcc_lo, s5
	s_waitcnt vmcnt(2) lgkmcnt(0)
	v_mul_f64 v[18:19], v[12:13], v[14:15]
	v_mul_f64 v[14:15], v[10:11], v[14:15]
	s_waitcnt vmcnt(0)
	v_fma_f64 v[10:11], v[10:11], v[16:17], -v[18:19]
	v_fma_f64 v[12:13], v[12:13], v[16:17], v[14:15]
	v_add_f64 v[3:4], v[3:4], v[10:11]
	v_add_f64 v[1:2], v[1:2], v[12:13]
	s_andn2_b32 exec_lo, exec_lo, s5
	s_cbranch_execnz .LBB37_153
; %bb.154:
	s_or_b32 exec_lo, exec_lo, s5
	v_mov_b32_e32 v7, 0
	ds_read_b128 v[7:10], v7 offset:560
	s_waitcnt lgkmcnt(0)
	v_mul_f64 v[11:12], v[1:2], v[9:10]
	v_mul_f64 v[9:10], v[3:4], v[9:10]
	v_fma_f64 v[3:4], v[3:4], v[7:8], -v[11:12]
	v_fma_f64 v[1:2], v[1:2], v[7:8], v[9:10]
	buffer_store_dword v4, off, s[0:3], 0 offset:580
	buffer_store_dword v3, off, s[0:3], 0 offset:576
	;; [unrolled: 1-line block ×4, first 2 shown]
.LBB37_155:
	s_or_b32 exec_lo, exec_lo, s4
	v_mov_b32_e32 v4, s24
	s_waitcnt_vscnt null, 0x0
	s_barrier
	buffer_gl0_inv
	s_mov_b32 s4, exec_lo
	s_clause 0x3
	buffer_load_dword v1, v4, s[0:3], 0 offen
	buffer_load_dword v2, v4, s[0:3], 0 offen offset:4
	buffer_load_dword v3, v4, s[0:3], 0 offen offset:8
	;; [unrolled: 1-line block ×3, first 2 shown]
	s_waitcnt vmcnt(0)
	ds_write_b128 v5, v[1:4]
	s_waitcnt lgkmcnt(0)
	s_barrier
	buffer_gl0_inv
	v_cmpx_gt_u32_e32 36, v0
	s_cbranch_execz .LBB37_159
; %bb.156:
	v_mov_b32_e32 v1, 0
	v_mov_b32_e32 v3, 0
	v_add_nc_u32_e32 v7, -1, v0
	v_add_nc_u32_e32 v8, 0x260, v121
	v_mov_b32_e32 v2, 0
	v_mov_b32_e32 v4, 0
	v_add_nc_u32_e32 v9, 16, v121
	s_mov_b32 s5, 0
	.p2align	6
.LBB37_157:                             ; =>This Inner Loop Header: Depth=1
	s_clause 0x3
	buffer_load_dword v14, v9, s[0:3], 0 offen offset:8
	buffer_load_dword v15, v9, s[0:3], 0 offen offset:12
	buffer_load_dword v16, v9, s[0:3], 0 offen
	buffer_load_dword v17, v9, s[0:3], 0 offen offset:4
	ds_read_b128 v[10:13], v8
	v_add_nc_u32_e32 v7, 1, v7
	v_add_nc_u32_e32 v8, 16, v8
	;; [unrolled: 1-line block ×3, first 2 shown]
	v_cmp_lt_u32_e32 vcc_lo, 34, v7
	s_or_b32 s5, vcc_lo, s5
	s_waitcnt vmcnt(2) lgkmcnt(0)
	v_mul_f64 v[18:19], v[12:13], v[14:15]
	v_mul_f64 v[14:15], v[10:11], v[14:15]
	s_waitcnt vmcnt(0)
	v_fma_f64 v[10:11], v[10:11], v[16:17], -v[18:19]
	v_fma_f64 v[12:13], v[12:13], v[16:17], v[14:15]
	v_add_f64 v[3:4], v[3:4], v[10:11]
	v_add_f64 v[1:2], v[1:2], v[12:13]
	s_andn2_b32 exec_lo, exec_lo, s5
	s_cbranch_execnz .LBB37_157
; %bb.158:
	s_or_b32 exec_lo, exec_lo, s5
	v_mov_b32_e32 v7, 0
	ds_read_b128 v[7:10], v7 offset:576
	s_waitcnt lgkmcnt(0)
	v_mul_f64 v[11:12], v[1:2], v[9:10]
	v_mul_f64 v[9:10], v[3:4], v[9:10]
	v_fma_f64 v[3:4], v[3:4], v[7:8], -v[11:12]
	v_fma_f64 v[1:2], v[1:2], v[7:8], v[9:10]
	buffer_store_dword v4, off, s[0:3], 0 offset:596
	buffer_store_dword v3, off, s[0:3], 0 offset:592
	;; [unrolled: 1-line block ×4, first 2 shown]
.LBB37_159:
	s_or_b32 exec_lo, exec_lo, s4
	v_mov_b32_e32 v4, s22
	s_waitcnt_vscnt null, 0x0
	s_barrier
	buffer_gl0_inv
	s_mov_b32 s4, exec_lo
	s_clause 0x3
	buffer_load_dword v1, v4, s[0:3], 0 offen
	buffer_load_dword v2, v4, s[0:3], 0 offen offset:4
	buffer_load_dword v3, v4, s[0:3], 0 offen offset:8
	;; [unrolled: 1-line block ×3, first 2 shown]
	s_waitcnt vmcnt(0)
	ds_write_b128 v5, v[1:4]
	s_waitcnt lgkmcnt(0)
	s_barrier
	buffer_gl0_inv
	v_cmpx_ne_u32_e32 37, v0
	s_cbranch_execz .LBB37_163
; %bb.160:
	v_mov_b32_e32 v1, 0
	v_mov_b32_e32 v3, 0
	;; [unrolled: 1-line block ×4, first 2 shown]
	v_add_nc_u32_e32 v7, 16, v121
	s_mov_b32 s5, 0
	.p2align	6
.LBB37_161:                             ; =>This Inner Loop Header: Depth=1
	s_clause 0x3
	buffer_load_dword v12, v7, s[0:3], 0 offen offset:8
	buffer_load_dword v13, v7, s[0:3], 0 offen offset:12
	buffer_load_dword v14, v7, s[0:3], 0 offen
	buffer_load_dword v15, v7, s[0:3], 0 offen offset:4
	ds_read_b128 v[8:11], v5
	v_add_nc_u32_e32 v6, 1, v6
	v_add_nc_u32_e32 v5, 16, v5
	;; [unrolled: 1-line block ×3, first 2 shown]
	v_cmp_lt_u32_e32 vcc_lo, 35, v6
	s_or_b32 s5, vcc_lo, s5
	s_waitcnt vmcnt(2) lgkmcnt(0)
	v_mul_f64 v[16:17], v[10:11], v[12:13]
	v_mul_f64 v[12:13], v[8:9], v[12:13]
	s_waitcnt vmcnt(0)
	v_fma_f64 v[8:9], v[8:9], v[14:15], -v[16:17]
	v_fma_f64 v[10:11], v[10:11], v[14:15], v[12:13]
	v_add_f64 v[3:4], v[3:4], v[8:9]
	v_add_f64 v[1:2], v[1:2], v[10:11]
	s_andn2_b32 exec_lo, exec_lo, s5
	s_cbranch_execnz .LBB37_161
; %bb.162:
	s_or_b32 exec_lo, exec_lo, s5
	v_mov_b32_e32 v5, 0
	ds_read_b128 v[5:8], v5 offset:592
	s_waitcnt lgkmcnt(0)
	v_mul_f64 v[9:10], v[1:2], v[7:8]
	v_mul_f64 v[7:8], v[3:4], v[7:8]
	v_fma_f64 v[3:4], v[3:4], v[5:6], -v[9:10]
	v_fma_f64 v[1:2], v[1:2], v[5:6], v[7:8]
	buffer_store_dword v4, off, s[0:3], 0 offset:612
	buffer_store_dword v3, off, s[0:3], 0 offset:608
	;; [unrolled: 1-line block ×4, first 2 shown]
.LBB37_163:
	s_or_b32 exec_lo, exec_lo, s4
	s_mov_b32 s5, -1
	s_waitcnt_vscnt null, 0x0
	s_barrier
	buffer_gl0_inv
.LBB37_164:
	s_and_b32 vcc_lo, exec_lo, s5
	s_cbranch_vccz .LBB37_166
; %bb.165:
	s_lshl_b64 s[4:5], s[6:7], 2
	v_mov_b32_e32 v1, 0
	s_add_u32 s4, s10, s4
	s_addc_u32 s5, s11, s5
	global_load_dword v1, v1, s[4:5]
	s_waitcnt vmcnt(0)
	v_cmp_ne_u32_e32 vcc_lo, 0, v1
	s_cbranch_vccz .LBB37_167
.LBB37_166:
	s_endpgm
.LBB37_167:
	v_lshl_add_u32 v137, v0, 4, 0x260
	s_mov_b32 s4, exec_lo
	v_cmpx_eq_u32_e32 37, v0
	s_cbranch_execz .LBB37_169
; %bb.168:
	v_mov_b32_e32 v4, s24
	v_mov_b32_e32 v5, 0
	s_clause 0x3
	buffer_load_dword v1, v4, s[0:3], 0 offen
	buffer_load_dword v2, v4, s[0:3], 0 offen offset:4
	buffer_load_dword v3, v4, s[0:3], 0 offen offset:8
	;; [unrolled: 1-line block ×3, first 2 shown]
	buffer_store_dword v5, off, s[0:3], 0 offset:592
	buffer_store_dword v5, off, s[0:3], 0 offset:596
	;; [unrolled: 1-line block ×4, first 2 shown]
	s_waitcnt vmcnt(0)
	ds_write_b128 v137, v[1:4]
.LBB37_169:
	s_or_b32 exec_lo, exec_lo, s4
	s_waitcnt lgkmcnt(0)
	s_waitcnt_vscnt null, 0x0
	s_barrier
	buffer_gl0_inv
	s_clause 0x7
	buffer_load_dword v6, off, s[0:3], 0 offset:616
	buffer_load_dword v7, off, s[0:3], 0 offset:620
	;; [unrolled: 1-line block ×8, first 2 shown]
	v_mov_b32_e32 v1, 0
	s_mov_b32 s4, exec_lo
	ds_read_b128 v[2:5], v1 offset:1200
	s_waitcnt vmcnt(6) lgkmcnt(0)
	v_mul_f64 v[14:15], v[4:5], v[6:7]
	v_mul_f64 v[6:7], v[2:3], v[6:7]
	s_waitcnt vmcnt(4)
	v_fma_f64 v[2:3], v[2:3], v[8:9], -v[14:15]
	v_fma_f64 v[4:5], v[4:5], v[8:9], v[6:7]
	v_add_f64 v[2:3], v[2:3], 0
	v_add_f64 v[4:5], v[4:5], 0
	s_waitcnt vmcnt(2)
	v_add_f64 v[2:3], v[10:11], -v[2:3]
	s_waitcnt vmcnt(0)
	v_add_f64 v[4:5], v[12:13], -v[4:5]
	buffer_store_dword v2, off, s[0:3], 0 offset:592
	buffer_store_dword v3, off, s[0:3], 0 offset:596
	;; [unrolled: 1-line block ×4, first 2 shown]
	v_cmpx_lt_u32_e32 35, v0
	s_cbranch_execz .LBB37_171
; %bb.170:
	v_mov_b32_e32 v5, s8
	s_clause 0x3
	buffer_load_dword v2, v5, s[0:3], 0 offen
	buffer_load_dword v3, v5, s[0:3], 0 offen offset:4
	buffer_load_dword v4, v5, s[0:3], 0 offen offset:8
	buffer_load_dword v5, v5, s[0:3], 0 offen offset:12
	buffer_store_dword v1, off, s[0:3], 0 offset:576
	buffer_store_dword v1, off, s[0:3], 0 offset:580
	;; [unrolled: 1-line block ×4, first 2 shown]
	s_waitcnt vmcnt(0)
	ds_write_b128 v137, v[2:5]
.LBB37_171:
	s_or_b32 exec_lo, exec_lo, s4
	s_waitcnt lgkmcnt(0)
	s_waitcnt_vscnt null, 0x0
	s_barrier
	buffer_gl0_inv
	s_clause 0xb
	buffer_load_dword v10, off, s[0:3], 0 offset:600
	buffer_load_dword v11, off, s[0:3], 0 offset:604
	;; [unrolled: 1-line block ×12, first 2 shown]
	ds_read_b128 v[2:5], v1 offset:1184
	ds_read_b128 v[6:9], v1 offset:1200
	s_mov_b32 s4, exec_lo
	s_waitcnt vmcnt(10) lgkmcnt(1)
	v_mul_f64 v[22:23], v[4:5], v[10:11]
	v_mul_f64 v[10:11], v[2:3], v[10:11]
	s_waitcnt vmcnt(8) lgkmcnt(0)
	v_mul_f64 v[24:25], v[8:9], v[12:13]
	v_mul_f64 v[12:13], v[6:7], v[12:13]
	s_waitcnt vmcnt(6)
	v_fma_f64 v[1:2], v[2:3], v[14:15], -v[22:23]
	v_fma_f64 v[3:4], v[4:5], v[14:15], v[10:11]
	s_waitcnt vmcnt(4)
	v_fma_f64 v[5:6], v[6:7], v[16:17], -v[24:25]
	v_fma_f64 v[7:8], v[8:9], v[16:17], v[12:13]
	v_add_f64 v[1:2], v[1:2], 0
	v_add_f64 v[3:4], v[3:4], 0
	;; [unrolled: 1-line block ×4, first 2 shown]
	s_waitcnt vmcnt(2)
	v_add_f64 v[1:2], v[18:19], -v[1:2]
	s_waitcnt vmcnt(0)
	v_add_f64 v[3:4], v[20:21], -v[3:4]
	buffer_store_dword v1, off, s[0:3], 0 offset:576
	buffer_store_dword v2, off, s[0:3], 0 offset:580
	;; [unrolled: 1-line block ×4, first 2 shown]
	v_cmpx_lt_u32_e32 34, v0
	s_cbranch_execz .LBB37_173
; %bb.172:
	v_mov_b32_e32 v4, s9
	v_mov_b32_e32 v5, 0
	s_clause 0x3
	buffer_load_dword v1, v4, s[0:3], 0 offen
	buffer_load_dword v2, v4, s[0:3], 0 offen offset:4
	buffer_load_dword v3, v4, s[0:3], 0 offen offset:8
	;; [unrolled: 1-line block ×3, first 2 shown]
	buffer_store_dword v5, off, s[0:3], 0 offset:560
	buffer_store_dword v5, off, s[0:3], 0 offset:564
	buffer_store_dword v5, off, s[0:3], 0 offset:568
	buffer_store_dword v5, off, s[0:3], 0 offset:572
	s_waitcnt vmcnt(0)
	ds_write_b128 v137, v[1:4]
.LBB37_173:
	s_or_b32 exec_lo, exec_lo, s4
	s_waitcnt lgkmcnt(0)
	s_waitcnt_vscnt null, 0x0
	s_barrier
	buffer_gl0_inv
	s_clause 0xf
	buffer_load_dword v10, off, s[0:3], 0 offset:584
	buffer_load_dword v11, off, s[0:3], 0 offset:588
	;; [unrolled: 1-line block ×16, first 2 shown]
	v_mov_b32_e32 v1, 0
	ds_read_b128 v[2:5], v1 offset:1168
	ds_read_b128 v[6:9], v1 offset:1184
	s_mov_b32 s4, exec_lo
	s_waitcnt vmcnt(14) lgkmcnt(1)
	v_mul_f64 v[28:29], v[4:5], v[10:11]
	v_mul_f64 v[30:31], v[2:3], v[10:11]
	s_waitcnt vmcnt(12) lgkmcnt(0)
	v_mul_f64 v[32:33], v[8:9], v[14:15]
	ds_read_b128 v[10:13], v1 offset:1200
	v_mul_f64 v[14:15], v[6:7], v[14:15]
	s_waitcnt vmcnt(10)
	v_fma_f64 v[2:3], v[2:3], v[16:17], -v[28:29]
	v_fma_f64 v[4:5], v[4:5], v[16:17], v[30:31]
	s_waitcnt vmcnt(8) lgkmcnt(0)
	v_mul_f64 v[16:17], v[10:11], v[18:19]
	v_mul_f64 v[18:19], v[12:13], v[18:19]
	s_waitcnt vmcnt(6)
	v_fma_f64 v[6:7], v[6:7], v[20:21], -v[32:33]
	v_fma_f64 v[8:9], v[8:9], v[20:21], v[14:15]
	v_add_f64 v[2:3], v[2:3], 0
	v_add_f64 v[4:5], v[4:5], 0
	s_waitcnt vmcnt(4)
	v_fma_f64 v[10:11], v[10:11], v[22:23], -v[18:19]
	v_add_f64 v[2:3], v[2:3], v[6:7]
	v_fma_f64 v[6:7], v[12:13], v[22:23], v[16:17]
	v_add_f64 v[4:5], v[4:5], v[8:9]
	v_add_f64 v[2:3], v[2:3], v[10:11]
	;; [unrolled: 1-line block ×3, first 2 shown]
	s_waitcnt vmcnt(2)
	v_add_f64 v[2:3], v[24:25], -v[2:3]
	s_waitcnt vmcnt(0)
	v_add_f64 v[4:5], v[26:27], -v[4:5]
	buffer_store_dword v2, off, s[0:3], 0 offset:560
	buffer_store_dword v3, off, s[0:3], 0 offset:564
	buffer_store_dword v4, off, s[0:3], 0 offset:568
	buffer_store_dword v5, off, s[0:3], 0 offset:572
	v_cmpx_lt_u32_e32 33, v0
	s_cbranch_execz .LBB37_175
; %bb.174:
	v_mov_b32_e32 v5, s12
	s_clause 0x3
	buffer_load_dword v2, v5, s[0:3], 0 offen
	buffer_load_dword v3, v5, s[0:3], 0 offen offset:4
	buffer_load_dword v4, v5, s[0:3], 0 offen offset:8
	;; [unrolled: 1-line block ×3, first 2 shown]
	buffer_store_dword v1, off, s[0:3], 0 offset:544
	buffer_store_dword v1, off, s[0:3], 0 offset:548
	;; [unrolled: 1-line block ×4, first 2 shown]
	s_waitcnt vmcnt(0)
	ds_write_b128 v137, v[2:5]
.LBB37_175:
	s_or_b32 exec_lo, exec_lo, s4
	s_waitcnt lgkmcnt(0)
	s_waitcnt_vscnt null, 0x0
	s_barrier
	buffer_gl0_inv
	s_clause 0x13
	buffer_load_dword v10, off, s[0:3], 0 offset:568
	buffer_load_dword v11, off, s[0:3], 0 offset:572
	;; [unrolled: 1-line block ×20, first 2 shown]
	ds_read_b128 v[2:5], v1 offset:1152
	ds_read_b128 v[6:9], v1 offset:1168
	s_mov_b32 s4, exec_lo
	s_waitcnt vmcnt(18) lgkmcnt(1)
	v_mul_f64 v[32:33], v[4:5], v[10:11]
	v_mul_f64 v[34:35], v[2:3], v[10:11]
	s_waitcnt vmcnt(16) lgkmcnt(0)
	v_mul_f64 v[36:37], v[8:9], v[14:15]
	ds_read_b128 v[10:13], v1 offset:1184
	v_mul_f64 v[14:15], v[6:7], v[14:15]
	s_waitcnt vmcnt(14)
	v_fma_f64 v[32:33], v[2:3], v[16:17], -v[32:33]
	v_fma_f64 v[16:17], v[4:5], v[16:17], v[34:35]
	s_waitcnt vmcnt(12) lgkmcnt(0)
	v_mul_f64 v[34:35], v[10:11], v[18:19]
	v_mul_f64 v[18:19], v[12:13], v[18:19]
	s_waitcnt vmcnt(10)
	v_fma_f64 v[5:6], v[6:7], v[20:21], -v[36:37]
	ds_read_b128 v[1:4], v1 offset:1200
	v_fma_f64 v[7:8], v[8:9], v[20:21], v[14:15]
	v_add_f64 v[32:33], v[32:33], 0
	v_add_f64 v[14:15], v[16:17], 0
	s_waitcnt vmcnt(8) lgkmcnt(0)
	v_mul_f64 v[20:21], v[3:4], v[22:23]
	s_waitcnt vmcnt(6)
	v_fma_f64 v[9:10], v[10:11], v[24:25], -v[18:19]
	v_mul_f64 v[16:17], v[1:2], v[22:23]
	v_fma_f64 v[11:12], v[12:13], v[24:25], v[34:35]
	v_add_f64 v[5:6], v[32:33], v[5:6]
	v_add_f64 v[7:8], v[14:15], v[7:8]
	s_waitcnt vmcnt(4)
	v_fma_f64 v[1:2], v[1:2], v[26:27], -v[20:21]
	v_fma_f64 v[3:4], v[3:4], v[26:27], v[16:17]
	v_add_f64 v[5:6], v[5:6], v[9:10]
	v_add_f64 v[7:8], v[7:8], v[11:12]
	;; [unrolled: 1-line block ×4, first 2 shown]
	s_waitcnt vmcnt(2)
	v_add_f64 v[1:2], v[28:29], -v[1:2]
	s_waitcnt vmcnt(0)
	v_add_f64 v[3:4], v[30:31], -v[3:4]
	buffer_store_dword v1, off, s[0:3], 0 offset:544
	buffer_store_dword v2, off, s[0:3], 0 offset:548
	;; [unrolled: 1-line block ×4, first 2 shown]
	v_cmpx_lt_u32_e32 32, v0
	s_cbranch_execz .LBB37_177
; %bb.176:
	v_mov_b32_e32 v4, s13
	v_mov_b32_e32 v5, 0
	s_clause 0x3
	buffer_load_dword v1, v4, s[0:3], 0 offen
	buffer_load_dword v2, v4, s[0:3], 0 offen offset:4
	buffer_load_dword v3, v4, s[0:3], 0 offen offset:8
	;; [unrolled: 1-line block ×3, first 2 shown]
	buffer_store_dword v5, off, s[0:3], 0 offset:528
	buffer_store_dword v5, off, s[0:3], 0 offset:532
	;; [unrolled: 1-line block ×4, first 2 shown]
	s_waitcnt vmcnt(0)
	ds_write_b128 v137, v[1:4]
.LBB37_177:
	s_or_b32 exec_lo, exec_lo, s4
	s_waitcnt lgkmcnt(0)
	s_waitcnt_vscnt null, 0x0
	s_barrier
	buffer_gl0_inv
	s_clause 0x17
	buffer_load_dword v10, off, s[0:3], 0 offset:552
	buffer_load_dword v11, off, s[0:3], 0 offset:556
	;; [unrolled: 1-line block ×24, first 2 shown]
	v_mov_b32_e32 v1, 0
	ds_read_b128 v[2:5], v1 offset:1136
	ds_read_b128 v[6:9], v1 offset:1152
	s_mov_b32 s4, exec_lo
	s_waitcnt vmcnt(22) lgkmcnt(1)
	v_mul_f64 v[36:37], v[4:5], v[10:11]
	v_mul_f64 v[38:39], v[2:3], v[10:11]
	s_waitcnt vmcnt(20) lgkmcnt(0)
	v_mul_f64 v[40:41], v[8:9], v[14:15]
	ds_read_b128 v[10:13], v1 offset:1168
	v_mul_f64 v[14:15], v[6:7], v[14:15]
	s_waitcnt vmcnt(18)
	v_fma_f64 v[36:37], v[2:3], v[16:17], -v[36:37]
	v_fma_f64 v[16:17], v[4:5], v[16:17], v[38:39]
	ds_read_b128 v[2:5], v1 offset:1184
	s_waitcnt vmcnt(16) lgkmcnt(1)
	v_mul_f64 v[38:39], v[10:11], v[18:19]
	v_mul_f64 v[18:19], v[12:13], v[18:19]
	s_waitcnt vmcnt(14)
	v_fma_f64 v[40:41], v[6:7], v[20:21], -v[40:41]
	v_fma_f64 v[14:15], v[8:9], v[20:21], v[14:15]
	ds_read_b128 v[6:9], v1 offset:1200
	s_waitcnt vmcnt(10) lgkmcnt(1)
	v_mul_f64 v[20:21], v[2:3], v[22:23]
	v_add_f64 v[36:37], v[36:37], 0
	v_add_f64 v[16:17], v[16:17], 0
	v_mul_f64 v[22:23], v[4:5], v[22:23]
	s_waitcnt vmcnt(8)
	v_fma_f64 v[10:11], v[10:11], v[28:29], -v[18:19]
	v_fma_f64 v[12:13], v[12:13], v[28:29], v[38:39]
	s_waitcnt vmcnt(5)
	v_fma_f64 v[4:5], v[4:5], v[30:31], v[20:21]
	v_add_f64 v[18:19], v[36:37], v[40:41]
	v_add_f64 v[14:15], v[16:17], v[14:15]
	s_waitcnt lgkmcnt(0)
	v_mul_f64 v[16:17], v[6:7], v[24:25]
	v_mul_f64 v[24:25], v[8:9], v[24:25]
	v_fma_f64 v[2:3], v[2:3], v[30:31], -v[22:23]
	v_add_f64 v[10:11], v[18:19], v[10:11]
	v_add_f64 v[12:13], v[14:15], v[12:13]
	s_waitcnt vmcnt(4)
	v_fma_f64 v[8:9], v[8:9], v[26:27], v[16:17]
	v_fma_f64 v[6:7], v[6:7], v[26:27], -v[24:25]
	v_add_f64 v[2:3], v[10:11], v[2:3]
	v_add_f64 v[4:5], v[12:13], v[4:5]
	;; [unrolled: 1-line block ×4, first 2 shown]
	s_waitcnt vmcnt(2)
	v_add_f64 v[2:3], v[32:33], -v[2:3]
	s_waitcnt vmcnt(0)
	v_add_f64 v[4:5], v[34:35], -v[4:5]
	buffer_store_dword v3, off, s[0:3], 0 offset:532
	buffer_store_dword v2, off, s[0:3], 0 offset:528
	;; [unrolled: 1-line block ×4, first 2 shown]
	v_cmpx_lt_u32_e32 31, v0
	s_cbranch_execz .LBB37_179
; %bb.178:
	v_mov_b32_e32 v5, s14
	s_clause 0x3
	buffer_load_dword v2, v5, s[0:3], 0 offen
	buffer_load_dword v3, v5, s[0:3], 0 offen offset:4
	buffer_load_dword v4, v5, s[0:3], 0 offen offset:8
	;; [unrolled: 1-line block ×3, first 2 shown]
	buffer_store_dword v1, off, s[0:3], 0 offset:512
	buffer_store_dword v1, off, s[0:3], 0 offset:516
	buffer_store_dword v1, off, s[0:3], 0 offset:520
	buffer_store_dword v1, off, s[0:3], 0 offset:524
	s_waitcnt vmcnt(0)
	ds_write_b128 v137, v[2:5]
.LBB37_179:
	s_or_b32 exec_lo, exec_lo, s4
	s_waitcnt lgkmcnt(0)
	s_waitcnt_vscnt null, 0x0
	s_barrier
	buffer_gl0_inv
	s_clause 0x1b
	buffer_load_dword v10, off, s[0:3], 0 offset:536
	buffer_load_dword v11, off, s[0:3], 0 offset:540
	;; [unrolled: 1-line block ×28, first 2 shown]
	ds_read_b128 v[2:5], v1 offset:1120
	ds_read_b128 v[6:9], v1 offset:1136
	s_mov_b32 s4, exec_lo
	s_waitcnt vmcnt(26) lgkmcnt(1)
	v_mul_f64 v[40:41], v[4:5], v[10:11]
	v_mul_f64 v[42:43], v[2:3], v[10:11]
	s_waitcnt vmcnt(24) lgkmcnt(0)
	v_mul_f64 v[121:122], v[8:9], v[14:15]
	ds_read_b128 v[10:13], v1 offset:1152
	v_mul_f64 v[14:15], v[6:7], v[14:15]
	s_waitcnt vmcnt(22)
	v_fma_f64 v[40:41], v[2:3], v[16:17], -v[40:41]
	v_fma_f64 v[16:17], v[4:5], v[16:17], v[42:43]
	ds_read_b128 v[2:5], v1 offset:1168
	s_waitcnt vmcnt(20) lgkmcnt(1)
	v_mul_f64 v[42:43], v[10:11], v[18:19]
	v_mul_f64 v[18:19], v[12:13], v[18:19]
	s_waitcnt vmcnt(18)
	v_fma_f64 v[121:122], v[6:7], v[20:21], -v[121:122]
	v_fma_f64 v[14:15], v[8:9], v[20:21], v[14:15]
	ds_read_b128 v[6:9], v1 offset:1184
	s_waitcnt vmcnt(14) lgkmcnt(1)
	v_mul_f64 v[20:21], v[2:3], v[22:23]
	v_add_f64 v[40:41], v[40:41], 0
	v_add_f64 v[16:17], v[16:17], 0
	v_mul_f64 v[22:23], v[4:5], v[22:23]
	s_waitcnt vmcnt(12)
	v_fma_f64 v[18:19], v[10:11], v[28:29], -v[18:19]
	v_fma_f64 v[28:29], v[12:13], v[28:29], v[42:43]
	ds_read_b128 v[10:13], v1 offset:1200
	v_add_f64 v[40:41], v[40:41], v[121:122]
	v_add_f64 v[14:15], v[16:17], v[14:15]
	s_waitcnt vmcnt(11) lgkmcnt(1)
	v_mul_f64 v[16:17], v[6:7], v[24:25]
	v_mul_f64 v[24:25], v[8:9], v[24:25]
	s_waitcnt vmcnt(9)
	v_fma_f64 v[1:2], v[2:3], v[30:31], -v[22:23]
	v_fma_f64 v[3:4], v[4:5], v[30:31], v[20:21]
	s_waitcnt vmcnt(7) lgkmcnt(0)
	v_mul_f64 v[22:23], v[12:13], v[32:33]
	v_mul_f64 v[20:21], v[10:11], v[32:33]
	v_add_f64 v[18:19], v[40:41], v[18:19]
	v_add_f64 v[14:15], v[14:15], v[28:29]
	s_waitcnt vmcnt(6)
	v_fma_f64 v[5:6], v[6:7], v[26:27], -v[24:25]
	v_fma_f64 v[7:8], v[8:9], v[26:27], v[16:17]
	s_waitcnt vmcnt(4)
	v_fma_f64 v[9:10], v[10:11], v[34:35], -v[22:23]
	v_add_f64 v[1:2], v[18:19], v[1:2]
	v_add_f64 v[3:4], v[14:15], v[3:4]
	;; [unrolled: 1-line block ×3, first 2 shown]
	v_fma_f64 v[5:6], v[12:13], v[34:35], v[20:21]
	v_add_f64 v[3:4], v[3:4], v[7:8]
	v_add_f64 v[1:2], v[1:2], v[9:10]
	;; [unrolled: 1-line block ×3, first 2 shown]
	s_waitcnt vmcnt(2)
	v_add_f64 v[1:2], v[36:37], -v[1:2]
	s_waitcnt vmcnt(0)
	v_add_f64 v[3:4], v[38:39], -v[3:4]
	buffer_store_dword v2, off, s[0:3], 0 offset:516
	buffer_store_dword v1, off, s[0:3], 0 offset:512
	;; [unrolled: 1-line block ×4, first 2 shown]
	v_cmpx_lt_u32_e32 30, v0
	s_cbranch_execz .LBB37_181
; %bb.180:
	v_mov_b32_e32 v4, s15
	v_mov_b32_e32 v5, 0
	s_clause 0x3
	buffer_load_dword v1, v4, s[0:3], 0 offen
	buffer_load_dword v2, v4, s[0:3], 0 offen offset:4
	buffer_load_dword v3, v4, s[0:3], 0 offen offset:8
	;; [unrolled: 1-line block ×3, first 2 shown]
	buffer_store_dword v5, off, s[0:3], 0 offset:496
	buffer_store_dword v5, off, s[0:3], 0 offset:500
	;; [unrolled: 1-line block ×4, first 2 shown]
	s_waitcnt vmcnt(0)
	ds_write_b128 v137, v[1:4]
.LBB37_181:
	s_or_b32 exec_lo, exec_lo, s4
	s_waitcnt lgkmcnt(0)
	s_waitcnt_vscnt null, 0x0
	s_barrier
	buffer_gl0_inv
	s_clause 0x1f
	buffer_load_dword v10, off, s[0:3], 0 offset:520
	buffer_load_dword v11, off, s[0:3], 0 offset:524
	;; [unrolled: 1-line block ×32, first 2 shown]
	v_mov_b32_e32 v1, 0
	ds_read_b128 v[2:5], v1 offset:1104
	ds_read_b128 v[6:9], v1 offset:1120
	s_mov_b32 s4, exec_lo
	s_waitcnt vmcnt(30) lgkmcnt(1)
	v_mul_f64 v[121:122], v[4:5], v[10:11]
	v_mul_f64 v[123:124], v[2:3], v[10:11]
	s_waitcnt vmcnt(28) lgkmcnt(0)
	v_mul_f64 v[125:126], v[8:9], v[14:15]
	ds_read_b128 v[10:13], v1 offset:1136
	v_mul_f64 v[14:15], v[6:7], v[14:15]
	s_waitcnt vmcnt(26)
	v_fma_f64 v[121:122], v[2:3], v[16:17], -v[121:122]
	v_fma_f64 v[16:17], v[4:5], v[16:17], v[123:124]
	ds_read_b128 v[2:5], v1 offset:1152
	s_waitcnt vmcnt(24) lgkmcnt(1)
	v_mul_f64 v[123:124], v[10:11], v[18:19]
	v_mul_f64 v[18:19], v[12:13], v[18:19]
	s_waitcnt vmcnt(22)
	v_fma_f64 v[125:126], v[6:7], v[20:21], -v[125:126]
	v_fma_f64 v[14:15], v[8:9], v[20:21], v[14:15]
	ds_read_b128 v[6:9], v1 offset:1168
	s_waitcnt vmcnt(18) lgkmcnt(1)
	v_mul_f64 v[20:21], v[2:3], v[22:23]
	v_add_f64 v[121:122], v[121:122], 0
	v_add_f64 v[16:17], v[16:17], 0
	v_mul_f64 v[22:23], v[4:5], v[22:23]
	s_waitcnt vmcnt(16)
	v_fma_f64 v[18:19], v[10:11], v[28:29], -v[18:19]
	v_fma_f64 v[28:29], v[12:13], v[28:29], v[123:124]
	ds_read_b128 v[10:13], v1 offset:1184
	s_waitcnt vmcnt(13)
	v_fma_f64 v[20:21], v[4:5], v[30:31], v[20:21]
	v_add_f64 v[121:122], v[121:122], v[125:126]
	v_add_f64 v[14:15], v[16:17], v[14:15]
	s_waitcnt lgkmcnt(1)
	v_mul_f64 v[16:17], v[6:7], v[24:25]
	v_mul_f64 v[24:25], v[8:9], v[24:25]
	v_fma_f64 v[22:23], v[2:3], v[30:31], -v[22:23]
	s_waitcnt vmcnt(9) lgkmcnt(0)
	v_mul_f64 v[30:31], v[12:13], v[32:33]
	ds_read_b128 v[2:5], v1 offset:1200
	v_add_f64 v[18:19], v[121:122], v[18:19]
	v_add_f64 v[14:15], v[14:15], v[28:29]
	v_mul_f64 v[28:29], v[10:11], v[32:33]
	s_waitcnt vmcnt(8)
	v_fma_f64 v[6:7], v[6:7], v[26:27], -v[24:25]
	v_fma_f64 v[8:9], v[8:9], v[26:27], v[16:17]
	s_waitcnt vmcnt(5)
	v_fma_f64 v[10:11], v[10:11], v[38:39], -v[30:31]
	s_waitcnt lgkmcnt(0)
	v_mul_f64 v[16:17], v[2:3], v[34:35]
	v_add_f64 v[18:19], v[18:19], v[22:23]
	v_add_f64 v[14:15], v[14:15], v[20:21]
	v_mul_f64 v[20:21], v[4:5], v[34:35]
	v_fma_f64 v[12:13], v[12:13], v[38:39], v[28:29]
	s_waitcnt vmcnt(4)
	v_fma_f64 v[4:5], v[4:5], v[36:37], v[16:17]
	v_add_f64 v[6:7], v[18:19], v[6:7]
	v_add_f64 v[8:9], v[14:15], v[8:9]
	v_fma_f64 v[2:3], v[2:3], v[36:37], -v[20:21]
	v_add_f64 v[6:7], v[6:7], v[10:11]
	v_add_f64 v[8:9], v[8:9], v[12:13]
	v_add_f64 v[2:3], v[6:7], v[2:3]
	v_add_f64 v[4:5], v[8:9], v[4:5]
	s_waitcnt vmcnt(2)
	v_add_f64 v[2:3], v[40:41], -v[2:3]
	s_waitcnt vmcnt(0)
	v_add_f64 v[4:5], v[42:43], -v[4:5]
	buffer_store_dword v3, off, s[0:3], 0 offset:500
	buffer_store_dword v2, off, s[0:3], 0 offset:496
	;; [unrolled: 1-line block ×4, first 2 shown]
	v_cmpx_lt_u32_e32 29, v0
	s_cbranch_execz .LBB37_183
; %bb.182:
	v_mov_b32_e32 v5, s16
	s_clause 0x3
	buffer_load_dword v2, v5, s[0:3], 0 offen
	buffer_load_dword v3, v5, s[0:3], 0 offen offset:4
	buffer_load_dword v4, v5, s[0:3], 0 offen offset:8
	;; [unrolled: 1-line block ×3, first 2 shown]
	buffer_store_dword v1, off, s[0:3], 0 offset:480
	buffer_store_dword v1, off, s[0:3], 0 offset:484
	;; [unrolled: 1-line block ×4, first 2 shown]
	s_waitcnt vmcnt(0)
	ds_write_b128 v137, v[2:5]
.LBB37_183:
	s_or_b32 exec_lo, exec_lo, s4
	s_waitcnt lgkmcnt(0)
	s_waitcnt_vscnt null, 0x0
	s_barrier
	buffer_gl0_inv
	s_clause 0x23
	buffer_load_dword v10, off, s[0:3], 0 offset:504
	buffer_load_dword v11, off, s[0:3], 0 offset:508
	;; [unrolled: 1-line block ×36, first 2 shown]
	ds_read_b128 v[2:5], v1 offset:1088
	ds_read_b128 v[6:9], v1 offset:1104
	s_mov_b32 s4, exec_lo
	s_waitcnt vmcnt(34) lgkmcnt(1)
	v_mul_f64 v[125:126], v[4:5], v[10:11]
	v_mul_f64 v[127:128], v[2:3], v[10:11]
	s_waitcnt vmcnt(32) lgkmcnt(0)
	v_mul_f64 v[129:130], v[8:9], v[14:15]
	ds_read_b128 v[10:13], v1 offset:1120
	v_mul_f64 v[14:15], v[6:7], v[14:15]
	s_waitcnt vmcnt(30)
	v_fma_f64 v[125:126], v[2:3], v[16:17], -v[125:126]
	v_fma_f64 v[16:17], v[4:5], v[16:17], v[127:128]
	ds_read_b128 v[2:5], v1 offset:1136
	s_waitcnt vmcnt(28) lgkmcnt(1)
	v_mul_f64 v[127:128], v[10:11], v[18:19]
	v_mul_f64 v[18:19], v[12:13], v[18:19]
	s_waitcnt vmcnt(26)
	v_fma_f64 v[129:130], v[6:7], v[20:21], -v[129:130]
	v_fma_f64 v[14:15], v[8:9], v[20:21], v[14:15]
	ds_read_b128 v[6:9], v1 offset:1152
	s_waitcnt vmcnt(22) lgkmcnt(1)
	v_mul_f64 v[20:21], v[2:3], v[22:23]
	v_add_f64 v[125:126], v[125:126], 0
	v_add_f64 v[16:17], v[16:17], 0
	v_mul_f64 v[22:23], v[4:5], v[22:23]
	s_waitcnt vmcnt(20)
	v_fma_f64 v[18:19], v[10:11], v[28:29], -v[18:19]
	v_fma_f64 v[28:29], v[12:13], v[28:29], v[127:128]
	ds_read_b128 v[10:13], v1 offset:1168
	s_waitcnt vmcnt(17)
	v_fma_f64 v[20:21], v[4:5], v[30:31], v[20:21]
	v_add_f64 v[125:126], v[125:126], v[129:130]
	v_add_f64 v[14:15], v[16:17], v[14:15]
	s_waitcnt lgkmcnt(1)
	v_mul_f64 v[16:17], v[6:7], v[24:25]
	v_mul_f64 v[24:25], v[8:9], v[24:25]
	v_fma_f64 v[22:23], v[2:3], v[30:31], -v[22:23]
	s_waitcnt vmcnt(13) lgkmcnt(0)
	v_mul_f64 v[30:31], v[12:13], v[32:33]
	ds_read_b128 v[2:5], v1 offset:1184
	v_add_f64 v[18:19], v[125:126], v[18:19]
	v_add_f64 v[14:15], v[14:15], v[28:29]
	v_mul_f64 v[28:29], v[10:11], v[32:33]
	s_waitcnt vmcnt(12)
	v_fma_f64 v[24:25], v[6:7], v[26:27], -v[24:25]
	v_fma_f64 v[16:17], v[8:9], v[26:27], v[16:17]
	ds_read_b128 v[6:9], v1 offset:1200
	s_waitcnt vmcnt(9)
	v_fma_f64 v[10:11], v[10:11], v[38:39], -v[30:31]
	v_add_f64 v[18:19], v[18:19], v[22:23]
	v_add_f64 v[14:15], v[14:15], v[20:21]
	s_waitcnt lgkmcnt(1)
	v_mul_f64 v[22:23], v[4:5], v[34:35]
	v_mul_f64 v[20:21], v[2:3], v[34:35]
	v_fma_f64 v[12:13], v[12:13], v[38:39], v[28:29]
	v_add_f64 v[18:19], v[18:19], v[24:25]
	v_add_f64 v[14:15], v[14:15], v[16:17]
	s_waitcnt vmcnt(7) lgkmcnt(0)
	v_mul_f64 v[24:25], v[8:9], v[40:41]
	s_waitcnt vmcnt(6)
	v_fma_f64 v[1:2], v[2:3], v[36:37], -v[22:23]
	v_mul_f64 v[16:17], v[6:7], v[40:41]
	v_fma_f64 v[3:4], v[4:5], v[36:37], v[20:21]
	v_add_f64 v[10:11], v[18:19], v[10:11]
	v_add_f64 v[12:13], v[14:15], v[12:13]
	s_waitcnt vmcnt(4)
	v_fma_f64 v[5:6], v[6:7], v[42:43], -v[24:25]
	v_fma_f64 v[7:8], v[8:9], v[42:43], v[16:17]
	v_add_f64 v[1:2], v[10:11], v[1:2]
	v_add_f64 v[3:4], v[12:13], v[3:4]
	;; [unrolled: 1-line block ×4, first 2 shown]
	s_waitcnt vmcnt(2)
	v_add_f64 v[1:2], v[121:122], -v[1:2]
	s_waitcnt vmcnt(0)
	v_add_f64 v[3:4], v[123:124], -v[3:4]
	buffer_store_dword v2, off, s[0:3], 0 offset:484
	buffer_store_dword v1, off, s[0:3], 0 offset:480
	;; [unrolled: 1-line block ×4, first 2 shown]
	v_cmpx_lt_u32_e32 28, v0
	s_cbranch_execz .LBB37_185
; %bb.184:
	v_mov_b32_e32 v4, s17
	v_mov_b32_e32 v5, 0
	s_clause 0x3
	buffer_load_dword v1, v4, s[0:3], 0 offen
	buffer_load_dword v2, v4, s[0:3], 0 offen offset:4
	buffer_load_dword v3, v4, s[0:3], 0 offen offset:8
	;; [unrolled: 1-line block ×3, first 2 shown]
	buffer_store_dword v5, off, s[0:3], 0 offset:464
	buffer_store_dword v5, off, s[0:3], 0 offset:468
	;; [unrolled: 1-line block ×4, first 2 shown]
	s_waitcnt vmcnt(0)
	ds_write_b128 v137, v[1:4]
.LBB37_185:
	s_or_b32 exec_lo, exec_lo, s4
	s_waitcnt lgkmcnt(0)
	s_waitcnt_vscnt null, 0x0
	s_barrier
	buffer_gl0_inv
	s_clause 0x27
	buffer_load_dword v10, off, s[0:3], 0 offset:488
	buffer_load_dword v11, off, s[0:3], 0 offset:492
	buffer_load_dword v14, off, s[0:3], 0 offset:504
	buffer_load_dword v15, off, s[0:3], 0 offset:508
	buffer_load_dword v16, off, s[0:3], 0 offset:480
	buffer_load_dword v17, off, s[0:3], 0 offset:484
	buffer_load_dword v18, off, s[0:3], 0 offset:520
	buffer_load_dword v19, off, s[0:3], 0 offset:524
	buffer_load_dword v20, off, s[0:3], 0 offset:496
	buffer_load_dword v21, off, s[0:3], 0 offset:500
	buffer_load_dword v23, off, s[0:3], 0 offset:540
	buffer_load_dword v24, off, s[0:3], 0 offset:552
	buffer_load_dword v26, off, s[0:3], 0 offset:544
	buffer_load_dword v22, off, s[0:3], 0 offset:536
	buffer_load_dword v28, off, s[0:3], 0 offset:512
	buffer_load_dword v29, off, s[0:3], 0 offset:516
	buffer_load_dword v25, off, s[0:3], 0 offset:556
	buffer_load_dword v31, off, s[0:3], 0 offset:532
	buffer_load_dword v30, off, s[0:3], 0 offset:528
	buffer_load_dword v33, off, s[0:3], 0 offset:572
	buffer_load_dword v34, off, s[0:3], 0 offset:584
	buffer_load_dword v36, off, s[0:3], 0 offset:576
	buffer_load_dword v32, off, s[0:3], 0 offset:568
	buffer_load_dword v27, off, s[0:3], 0 offset:548
	buffer_load_dword v35, off, s[0:3], 0 offset:588
	buffer_load_dword v39, off, s[0:3], 0 offset:564
	buffer_load_dword v38, off, s[0:3], 0 offset:560
	buffer_load_dword v41, off, s[0:3], 0 offset:604
	buffer_load_dword v42, off, s[0:3], 0 offset:616
	buffer_load_dword v121, off, s[0:3], 0 offset:608
	buffer_load_dword v40, off, s[0:3], 0 offset:600
	buffer_load_dword v37, off, s[0:3], 0 offset:580
	buffer_load_dword v43, off, s[0:3], 0 offset:620
	buffer_load_dword v124, off, s[0:3], 0 offset:596
	buffer_load_dword v123, off, s[0:3], 0 offset:592
	buffer_load_dword v122, off, s[0:3], 0 offset:612
	buffer_load_dword v125, off, s[0:3], 0 offset:464
	buffer_load_dword v126, off, s[0:3], 0 offset:468
	buffer_load_dword v127, off, s[0:3], 0 offset:472
	buffer_load_dword v128, off, s[0:3], 0 offset:476
	v_mov_b32_e32 v1, 0
	ds_read_b128 v[2:5], v1 offset:1072
	ds_read_b128 v[6:9], v1 offset:1088
	s_mov_b32 s4, exec_lo
	s_waitcnt vmcnt(38) lgkmcnt(1)
	v_mul_f64 v[129:130], v[4:5], v[10:11]
	v_mul_f64 v[131:132], v[2:3], v[10:11]
	s_waitcnt vmcnt(36) lgkmcnt(0)
	v_mul_f64 v[133:134], v[8:9], v[14:15]
	ds_read_b128 v[10:13], v1 offset:1104
	v_mul_f64 v[14:15], v[6:7], v[14:15]
	s_waitcnt vmcnt(34)
	v_fma_f64 v[129:130], v[2:3], v[16:17], -v[129:130]
	v_fma_f64 v[16:17], v[4:5], v[16:17], v[131:132]
	ds_read_b128 v[2:5], v1 offset:1120
	s_waitcnt vmcnt(32) lgkmcnt(1)
	v_mul_f64 v[131:132], v[10:11], v[18:19]
	v_mul_f64 v[18:19], v[12:13], v[18:19]
	s_waitcnt vmcnt(30)
	v_fma_f64 v[133:134], v[6:7], v[20:21], -v[133:134]
	v_fma_f64 v[14:15], v[8:9], v[20:21], v[14:15]
	ds_read_b128 v[6:9], v1 offset:1136
	s_waitcnt vmcnt(26) lgkmcnt(1)
	v_mul_f64 v[20:21], v[2:3], v[22:23]
	v_add_f64 v[129:130], v[129:130], 0
	v_add_f64 v[16:17], v[16:17], 0
	v_mul_f64 v[22:23], v[4:5], v[22:23]
	s_waitcnt vmcnt(24)
	v_fma_f64 v[18:19], v[10:11], v[28:29], -v[18:19]
	v_fma_f64 v[28:29], v[12:13], v[28:29], v[131:132]
	ds_read_b128 v[10:13], v1 offset:1152
	s_waitcnt vmcnt(21)
	v_fma_f64 v[20:21], v[4:5], v[30:31], v[20:21]
	v_add_f64 v[129:130], v[129:130], v[133:134]
	v_add_f64 v[14:15], v[16:17], v[14:15]
	s_waitcnt lgkmcnt(1)
	v_mul_f64 v[16:17], v[6:7], v[24:25]
	v_mul_f64 v[24:25], v[8:9], v[24:25]
	v_fma_f64 v[22:23], v[2:3], v[30:31], -v[22:23]
	s_waitcnt vmcnt(17) lgkmcnt(0)
	v_mul_f64 v[30:31], v[12:13], v[32:33]
	ds_read_b128 v[2:5], v1 offset:1168
	v_add_f64 v[18:19], v[129:130], v[18:19]
	v_add_f64 v[14:15], v[14:15], v[28:29]
	v_mul_f64 v[28:29], v[10:11], v[32:33]
	s_waitcnt vmcnt(16)
	v_fma_f64 v[24:25], v[6:7], v[26:27], -v[24:25]
	v_fma_f64 v[16:17], v[8:9], v[26:27], v[16:17]
	ds_read_b128 v[6:9], v1 offset:1184
	s_waitcnt vmcnt(13)
	v_fma_f64 v[26:27], v[10:11], v[38:39], -v[30:31]
	v_add_f64 v[18:19], v[18:19], v[22:23]
	v_add_f64 v[14:15], v[14:15], v[20:21]
	s_waitcnt lgkmcnt(1)
	v_mul_f64 v[22:23], v[4:5], v[34:35]
	v_mul_f64 v[20:21], v[2:3], v[34:35]
	v_add_f64 v[18:19], v[18:19], v[24:25]
	v_fma_f64 v[24:25], v[12:13], v[38:39], v[28:29]
	v_add_f64 v[14:15], v[14:15], v[16:17]
	s_waitcnt vmcnt(9) lgkmcnt(0)
	v_mul_f64 v[28:29], v[8:9], v[40:41]
	s_waitcnt vmcnt(8)
	v_fma_f64 v[2:3], v[2:3], v[36:37], -v[22:23]
	ds_read_b128 v[10:13], v1 offset:1200
	v_mul_f64 v[16:17], v[6:7], v[40:41]
	v_fma_f64 v[4:5], v[4:5], v[36:37], v[20:21]
	v_add_f64 v[18:19], v[18:19], v[26:27]
	v_add_f64 v[14:15], v[14:15], v[24:25]
	s_waitcnt vmcnt(7) lgkmcnt(0)
	v_mul_f64 v[22:23], v[12:13], v[42:43]
	s_waitcnt vmcnt(5)
	v_fma_f64 v[6:7], v[6:7], v[123:124], -v[28:29]
	v_mul_f64 v[20:21], v[10:11], v[42:43]
	v_fma_f64 v[8:9], v[8:9], v[123:124], v[16:17]
	v_add_f64 v[2:3], v[18:19], v[2:3]
	v_add_f64 v[4:5], v[14:15], v[4:5]
	s_waitcnt vmcnt(4)
	v_fma_f64 v[10:11], v[10:11], v[121:122], -v[22:23]
	v_add_f64 v[2:3], v[2:3], v[6:7]
	v_fma_f64 v[6:7], v[12:13], v[121:122], v[20:21]
	v_add_f64 v[4:5], v[4:5], v[8:9]
	v_add_f64 v[2:3], v[2:3], v[10:11]
	;; [unrolled: 1-line block ×3, first 2 shown]
	s_waitcnt vmcnt(2)
	v_add_f64 v[2:3], v[125:126], -v[2:3]
	s_waitcnt vmcnt(0)
	v_add_f64 v[4:5], v[127:128], -v[4:5]
	buffer_store_dword v3, off, s[0:3], 0 offset:468
	buffer_store_dword v2, off, s[0:3], 0 offset:464
	;; [unrolled: 1-line block ×4, first 2 shown]
	v_cmpx_lt_u32_e32 27, v0
	s_cbranch_execz .LBB37_187
; %bb.186:
	v_mov_b32_e32 v5, s18
	s_clause 0x3
	buffer_load_dword v2, v5, s[0:3], 0 offen
	buffer_load_dword v3, v5, s[0:3], 0 offen offset:4
	buffer_load_dword v4, v5, s[0:3], 0 offen offset:8
	;; [unrolled: 1-line block ×3, first 2 shown]
	buffer_store_dword v1, off, s[0:3], 0 offset:448
	buffer_store_dword v1, off, s[0:3], 0 offset:452
	;; [unrolled: 1-line block ×4, first 2 shown]
	s_waitcnt vmcnt(0)
	ds_write_b128 v137, v[2:5]
.LBB37_187:
	s_or_b32 exec_lo, exec_lo, s4
	s_waitcnt lgkmcnt(0)
	s_waitcnt_vscnt null, 0x0
	s_barrier
	buffer_gl0_inv
	s_clause 0x2b
	buffer_load_dword v10, off, s[0:3], 0 offset:472
	buffer_load_dword v11, off, s[0:3], 0 offset:476
	;; [unrolled: 1-line block ×44, first 2 shown]
	ds_read_b128 v[2:5], v1 offset:1056
	ds_read_b128 v[6:9], v1 offset:1072
	s_mov_b32 s4, exec_lo
	s_waitcnt vmcnt(42) lgkmcnt(1)
	v_mul_f64 v[133:134], v[4:5], v[10:11]
	v_mul_f64 v[135:136], v[2:3], v[10:11]
	s_waitcnt vmcnt(40) lgkmcnt(0)
	v_mul_f64 v[138:139], v[8:9], v[14:15]
	ds_read_b128 v[10:13], v1 offset:1088
	v_mul_f64 v[14:15], v[6:7], v[14:15]
	s_waitcnt vmcnt(38)
	v_fma_f64 v[133:134], v[2:3], v[16:17], -v[133:134]
	v_fma_f64 v[16:17], v[4:5], v[16:17], v[135:136]
	ds_read_b128 v[2:5], v1 offset:1104
	s_waitcnt vmcnt(36) lgkmcnt(1)
	v_mul_f64 v[135:136], v[10:11], v[18:19]
	v_mul_f64 v[18:19], v[12:13], v[18:19]
	s_waitcnt vmcnt(34)
	v_fma_f64 v[138:139], v[6:7], v[20:21], -v[138:139]
	v_fma_f64 v[14:15], v[8:9], v[20:21], v[14:15]
	ds_read_b128 v[6:9], v1 offset:1120
	s_waitcnt vmcnt(30) lgkmcnt(1)
	v_mul_f64 v[20:21], v[2:3], v[22:23]
	v_add_f64 v[133:134], v[133:134], 0
	v_add_f64 v[16:17], v[16:17], 0
	v_mul_f64 v[22:23], v[4:5], v[22:23]
	s_waitcnt vmcnt(28)
	v_fma_f64 v[18:19], v[10:11], v[28:29], -v[18:19]
	v_fma_f64 v[28:29], v[12:13], v[28:29], v[135:136]
	ds_read_b128 v[10:13], v1 offset:1136
	s_waitcnt vmcnt(25)
	v_fma_f64 v[20:21], v[4:5], v[30:31], v[20:21]
	v_add_f64 v[133:134], v[133:134], v[138:139]
	v_add_f64 v[14:15], v[16:17], v[14:15]
	s_waitcnt lgkmcnt(1)
	v_mul_f64 v[16:17], v[6:7], v[24:25]
	v_mul_f64 v[24:25], v[8:9], v[24:25]
	v_fma_f64 v[22:23], v[2:3], v[30:31], -v[22:23]
	s_waitcnt vmcnt(21) lgkmcnt(0)
	v_mul_f64 v[30:31], v[12:13], v[32:33]
	ds_read_b128 v[2:5], v1 offset:1152
	v_add_f64 v[18:19], v[133:134], v[18:19]
	v_add_f64 v[14:15], v[14:15], v[28:29]
	v_mul_f64 v[28:29], v[10:11], v[32:33]
	s_waitcnt vmcnt(20)
	v_fma_f64 v[24:25], v[6:7], v[26:27], -v[24:25]
	v_fma_f64 v[16:17], v[8:9], v[26:27], v[16:17]
	ds_read_b128 v[6:9], v1 offset:1168
	s_waitcnt vmcnt(17)
	v_fma_f64 v[26:27], v[10:11], v[38:39], -v[30:31]
	v_add_f64 v[18:19], v[18:19], v[22:23]
	v_add_f64 v[14:15], v[14:15], v[20:21]
	s_waitcnt lgkmcnt(1)
	v_mul_f64 v[22:23], v[4:5], v[34:35]
	v_mul_f64 v[20:21], v[2:3], v[34:35]
	v_add_f64 v[18:19], v[18:19], v[24:25]
	v_fma_f64 v[24:25], v[12:13], v[38:39], v[28:29]
	v_add_f64 v[14:15], v[14:15], v[16:17]
	s_waitcnt vmcnt(13) lgkmcnt(0)
	v_mul_f64 v[28:29], v[8:9], v[40:41]
	s_waitcnt vmcnt(12)
	v_fma_f64 v[22:23], v[2:3], v[36:37], -v[22:23]
	ds_read_b128 v[10:13], v1 offset:1184
	v_mul_f64 v[16:17], v[6:7], v[40:41]
	v_fma_f64 v[20:21], v[4:5], v[36:37], v[20:21]
	ds_read_b128 v[1:4], v1 offset:1200
	v_add_f64 v[18:19], v[18:19], v[26:27]
	v_add_f64 v[14:15], v[14:15], v[24:25]
	s_waitcnt vmcnt(11) lgkmcnt(1)
	v_mul_f64 v[26:27], v[12:13], v[42:43]
	s_waitcnt vmcnt(9)
	v_fma_f64 v[5:6], v[6:7], v[123:124], -v[28:29]
	v_mul_f64 v[24:25], v[10:11], v[42:43]
	v_fma_f64 v[7:8], v[8:9], v[123:124], v[16:17]
	s_waitcnt vmcnt(7) lgkmcnt(0)
	v_mul_f64 v[16:17], v[1:2], v[125:126]
	v_add_f64 v[18:19], v[18:19], v[22:23]
	v_add_f64 v[14:15], v[14:15], v[20:21]
	v_mul_f64 v[20:21], v[3:4], v[125:126]
	s_waitcnt vmcnt(6)
	v_fma_f64 v[9:10], v[10:11], v[121:122], -v[26:27]
	v_fma_f64 v[11:12], v[12:13], v[121:122], v[24:25]
	s_waitcnt vmcnt(4)
	v_fma_f64 v[3:4], v[3:4], v[127:128], v[16:17]
	v_add_f64 v[5:6], v[18:19], v[5:6]
	v_add_f64 v[7:8], v[14:15], v[7:8]
	v_fma_f64 v[1:2], v[1:2], v[127:128], -v[20:21]
	v_add_f64 v[5:6], v[5:6], v[9:10]
	v_add_f64 v[7:8], v[7:8], v[11:12]
	;; [unrolled: 1-line block ×4, first 2 shown]
	s_waitcnt vmcnt(2)
	v_add_f64 v[1:2], v[129:130], -v[1:2]
	s_waitcnt vmcnt(0)
	v_add_f64 v[3:4], v[131:132], -v[3:4]
	buffer_store_dword v2, off, s[0:3], 0 offset:452
	buffer_store_dword v1, off, s[0:3], 0 offset:448
	;; [unrolled: 1-line block ×4, first 2 shown]
	v_cmpx_lt_u32_e32 26, v0
	s_cbranch_execz .LBB37_189
; %bb.188:
	v_mov_b32_e32 v4, s19
	v_mov_b32_e32 v5, 0
	s_clause 0x3
	buffer_load_dword v1, v4, s[0:3], 0 offen
	buffer_load_dword v2, v4, s[0:3], 0 offen offset:4
	buffer_load_dword v3, v4, s[0:3], 0 offen offset:8
	;; [unrolled: 1-line block ×3, first 2 shown]
	buffer_store_dword v5, off, s[0:3], 0 offset:432
	buffer_store_dword v5, off, s[0:3], 0 offset:436
	;; [unrolled: 1-line block ×4, first 2 shown]
	s_waitcnt vmcnt(0)
	ds_write_b128 v137, v[1:4]
.LBB37_189:
	s_or_b32 exec_lo, exec_lo, s4
	s_waitcnt lgkmcnt(0)
	s_waitcnt_vscnt null, 0x0
	s_barrier
	buffer_gl0_inv
	s_clause 0x2f
	buffer_load_dword v10, off, s[0:3], 0 offset:456
	buffer_load_dword v11, off, s[0:3], 0 offset:460
	;; [unrolled: 1-line block ×48, first 2 shown]
	v_mov_b32_e32 v1, 0
	ds_read_b128 v[2:5], v1 offset:1040
	ds_read_b128 v[6:9], v1 offset:1056
	s_mov_b32 s4, exec_lo
	s_waitcnt vmcnt(46) lgkmcnt(1)
	v_mul_f64 v[138:139], v[4:5], v[10:11]
	v_mul_f64 v[140:141], v[2:3], v[10:11]
	s_waitcnt vmcnt(44) lgkmcnt(0)
	v_mul_f64 v[142:143], v[8:9], v[14:15]
	ds_read_b128 v[10:13], v1 offset:1072
	v_mul_f64 v[14:15], v[6:7], v[14:15]
	s_waitcnt vmcnt(42)
	v_fma_f64 v[138:139], v[2:3], v[16:17], -v[138:139]
	v_fma_f64 v[16:17], v[4:5], v[16:17], v[140:141]
	ds_read_b128 v[2:5], v1 offset:1088
	s_waitcnt vmcnt(40) lgkmcnt(1)
	v_mul_f64 v[140:141], v[10:11], v[18:19]
	v_mul_f64 v[18:19], v[12:13], v[18:19]
	s_waitcnt vmcnt(38)
	v_fma_f64 v[142:143], v[6:7], v[20:21], -v[142:143]
	v_fma_f64 v[14:15], v[8:9], v[20:21], v[14:15]
	ds_read_b128 v[6:9], v1 offset:1104
	s_waitcnt vmcnt(34) lgkmcnt(1)
	v_mul_f64 v[20:21], v[2:3], v[22:23]
	v_add_f64 v[138:139], v[138:139], 0
	v_add_f64 v[16:17], v[16:17], 0
	v_mul_f64 v[22:23], v[4:5], v[22:23]
	s_waitcnt vmcnt(32)
	v_fma_f64 v[18:19], v[10:11], v[28:29], -v[18:19]
	v_fma_f64 v[28:29], v[12:13], v[28:29], v[140:141]
	ds_read_b128 v[10:13], v1 offset:1120
	s_waitcnt vmcnt(29)
	v_fma_f64 v[20:21], v[4:5], v[30:31], v[20:21]
	v_add_f64 v[138:139], v[138:139], v[142:143]
	v_add_f64 v[14:15], v[16:17], v[14:15]
	s_waitcnt lgkmcnt(1)
	v_mul_f64 v[16:17], v[6:7], v[24:25]
	v_mul_f64 v[24:25], v[8:9], v[24:25]
	v_fma_f64 v[22:23], v[2:3], v[30:31], -v[22:23]
	s_waitcnt vmcnt(25) lgkmcnt(0)
	v_mul_f64 v[30:31], v[12:13], v[32:33]
	ds_read_b128 v[2:5], v1 offset:1136
	v_add_f64 v[18:19], v[138:139], v[18:19]
	v_add_f64 v[14:15], v[14:15], v[28:29]
	v_mul_f64 v[28:29], v[10:11], v[32:33]
	s_waitcnt vmcnt(24)
	v_fma_f64 v[24:25], v[6:7], v[26:27], -v[24:25]
	v_fma_f64 v[16:17], v[8:9], v[26:27], v[16:17]
	ds_read_b128 v[6:9], v1 offset:1152
	s_waitcnt vmcnt(21)
	v_fma_f64 v[26:27], v[10:11], v[38:39], -v[30:31]
	v_add_f64 v[18:19], v[18:19], v[22:23]
	v_add_f64 v[14:15], v[14:15], v[20:21]
	s_waitcnt lgkmcnt(1)
	v_mul_f64 v[22:23], v[4:5], v[34:35]
	v_mul_f64 v[20:21], v[2:3], v[34:35]
	v_add_f64 v[18:19], v[18:19], v[24:25]
	v_fma_f64 v[24:25], v[12:13], v[38:39], v[28:29]
	v_add_f64 v[14:15], v[14:15], v[16:17]
	s_waitcnt vmcnt(17) lgkmcnt(0)
	v_mul_f64 v[28:29], v[8:9], v[40:41]
	s_waitcnt vmcnt(16)
	v_fma_f64 v[22:23], v[2:3], v[36:37], -v[22:23]
	ds_read_b128 v[10:13], v1 offset:1168
	v_mul_f64 v[16:17], v[6:7], v[40:41]
	v_fma_f64 v[20:21], v[4:5], v[36:37], v[20:21]
	ds_read_b128 v[2:5], v1 offset:1184
	v_add_f64 v[18:19], v[18:19], v[26:27]
	v_add_f64 v[14:15], v[14:15], v[24:25]
	s_waitcnt vmcnt(15) lgkmcnt(1)
	v_mul_f64 v[26:27], v[12:13], v[42:43]
	s_waitcnt vmcnt(13)
	v_fma_f64 v[28:29], v[6:7], v[123:124], -v[28:29]
	v_mul_f64 v[24:25], v[10:11], v[42:43]
	v_fma_f64 v[16:17], v[8:9], v[123:124], v[16:17]
	ds_read_b128 v[6:9], v1 offset:1200
	v_add_f64 v[18:19], v[18:19], v[22:23]
	s_waitcnt vmcnt(9) lgkmcnt(1)
	v_mul_f64 v[22:23], v[4:5], v[125:126]
	v_add_f64 v[14:15], v[14:15], v[20:21]
	s_waitcnt vmcnt(8)
	v_fma_f64 v[10:11], v[10:11], v[121:122], -v[26:27]
	v_mul_f64 v[20:21], v[2:3], v[125:126]
	v_fma_f64 v[12:13], v[12:13], v[121:122], v[24:25]
	s_waitcnt vmcnt(7) lgkmcnt(0)
	v_mul_f64 v[24:25], v[8:9], v[127:128]
	v_add_f64 v[18:19], v[18:19], v[28:29]
	s_waitcnt vmcnt(5)
	v_fma_f64 v[2:3], v[2:3], v[131:132], -v[22:23]
	v_add_f64 v[14:15], v[14:15], v[16:17]
	v_mul_f64 v[16:17], v[6:7], v[127:128]
	v_fma_f64 v[4:5], v[4:5], v[131:132], v[20:21]
	s_waitcnt vmcnt(4)
	v_fma_f64 v[6:7], v[6:7], v[129:130], -v[24:25]
	v_add_f64 v[10:11], v[18:19], v[10:11]
	v_add_f64 v[12:13], v[14:15], v[12:13]
	v_fma_f64 v[8:9], v[8:9], v[129:130], v[16:17]
	v_add_f64 v[2:3], v[10:11], v[2:3]
	v_add_f64 v[4:5], v[12:13], v[4:5]
	;; [unrolled: 1-line block ×4, first 2 shown]
	s_waitcnt vmcnt(2)
	v_add_f64 v[2:3], v[133:134], -v[2:3]
	s_waitcnt vmcnt(0)
	v_add_f64 v[4:5], v[135:136], -v[4:5]
	buffer_store_dword v3, off, s[0:3], 0 offset:436
	buffer_store_dword v2, off, s[0:3], 0 offset:432
	;; [unrolled: 1-line block ×4, first 2 shown]
	v_cmpx_lt_u32_e32 25, v0
	s_cbranch_execz .LBB37_191
; %bb.190:
	v_mov_b32_e32 v5, s23
	s_clause 0x3
	buffer_load_dword v2, v5, s[0:3], 0 offen
	buffer_load_dword v3, v5, s[0:3], 0 offen offset:4
	buffer_load_dword v4, v5, s[0:3], 0 offen offset:8
	;; [unrolled: 1-line block ×3, first 2 shown]
	buffer_store_dword v1, off, s[0:3], 0 offset:416
	buffer_store_dword v1, off, s[0:3], 0 offset:420
	;; [unrolled: 1-line block ×4, first 2 shown]
	s_waitcnt vmcnt(0)
	ds_write_b128 v137, v[2:5]
.LBB37_191:
	s_or_b32 exec_lo, exec_lo, s4
	s_waitcnt lgkmcnt(0)
	s_waitcnt_vscnt null, 0x0
	s_barrier
	buffer_gl0_inv
	s_clause 0x2f
	buffer_load_dword v10, off, s[0:3], 0 offset:440
	buffer_load_dword v11, off, s[0:3], 0 offset:444
	;; [unrolled: 1-line block ×48, first 2 shown]
	ds_read_b128 v[2:5], v1 offset:1024
	s_clause 0x3
	buffer_load_dword v138, off, s[0:3], 0 offset:416
	buffer_load_dword v139, off, s[0:3], 0 offset:420
	;; [unrolled: 1-line block ×4, first 2 shown]
	ds_read_b128 v[6:9], v1 offset:1040
	s_mov_b32 s4, exec_lo
	s_waitcnt vmcnt(50) lgkmcnt(1)
	v_mul_f64 v[142:143], v[4:5], v[10:11]
	v_mul_f64 v[144:145], v[2:3], v[10:11]
	ds_read_b128 v[10:13], v1 offset:1056
	s_waitcnt vmcnt(48) lgkmcnt(1)
	v_mul_f64 v[146:147], v[8:9], v[14:15]
	v_mul_f64 v[14:15], v[6:7], v[14:15]
	s_waitcnt vmcnt(46)
	v_fma_f64 v[142:143], v[2:3], v[16:17], -v[142:143]
	v_fma_f64 v[16:17], v[4:5], v[16:17], v[144:145]
	s_waitcnt vmcnt(44) lgkmcnt(0)
	v_mul_f64 v[144:145], v[10:11], v[18:19]
	v_mul_f64 v[18:19], v[12:13], v[18:19]
	s_waitcnt vmcnt(42)
	v_fma_f64 v[146:147], v[6:7], v[20:21], -v[146:147]
	ds_read_b128 v[2:5], v1 offset:1072
	v_fma_f64 v[14:15], v[8:9], v[20:21], v[14:15]
	ds_read_b128 v[6:9], v1 offset:1088
	v_add_f64 v[142:143], v[142:143], 0
	v_add_f64 v[16:17], v[16:17], 0
	s_waitcnt vmcnt(38) lgkmcnt(1)
	v_mul_f64 v[20:21], v[2:3], v[22:23]
	v_mul_f64 v[22:23], v[4:5], v[22:23]
	s_waitcnt vmcnt(36)
	v_fma_f64 v[18:19], v[10:11], v[28:29], -v[18:19]
	v_fma_f64 v[28:29], v[12:13], v[28:29], v[144:145]
	ds_read_b128 v[10:13], v1 offset:1104
	v_add_f64 v[142:143], v[142:143], v[146:147]
	v_add_f64 v[14:15], v[16:17], v[14:15]
	s_waitcnt vmcnt(35) lgkmcnt(1)
	v_mul_f64 v[16:17], v[6:7], v[24:25]
	v_mul_f64 v[24:25], v[8:9], v[24:25]
	s_waitcnt vmcnt(33)
	v_fma_f64 v[22:23], v[2:3], v[30:31], -v[22:23]
	v_fma_f64 v[20:21], v[4:5], v[30:31], v[20:21]
	ds_read_b128 v[2:5], v1 offset:1120
	s_waitcnt vmcnt(29) lgkmcnt(1)
	v_mul_f64 v[30:31], v[12:13], v[32:33]
	v_add_f64 v[18:19], v[142:143], v[18:19]
	v_add_f64 v[14:15], v[14:15], v[28:29]
	v_mul_f64 v[28:29], v[10:11], v[32:33]
	s_waitcnt vmcnt(28)
	v_fma_f64 v[24:25], v[6:7], v[26:27], -v[24:25]
	v_fma_f64 v[16:17], v[8:9], v[26:27], v[16:17]
	ds_read_b128 v[6:9], v1 offset:1136
	s_waitcnt vmcnt(25)
	v_fma_f64 v[26:27], v[10:11], v[38:39], -v[30:31]
	v_add_f64 v[18:19], v[18:19], v[22:23]
	v_add_f64 v[14:15], v[14:15], v[20:21]
	s_waitcnt lgkmcnt(1)
	v_mul_f64 v[22:23], v[4:5], v[34:35]
	v_mul_f64 v[20:21], v[2:3], v[34:35]
	v_add_f64 v[18:19], v[18:19], v[24:25]
	v_fma_f64 v[24:25], v[12:13], v[38:39], v[28:29]
	v_add_f64 v[14:15], v[14:15], v[16:17]
	ds_read_b128 v[10:13], v1 offset:1152
	s_waitcnt vmcnt(21) lgkmcnt(1)
	v_mul_f64 v[28:29], v[8:9], v[40:41]
	s_waitcnt vmcnt(20)
	v_fma_f64 v[22:23], v[2:3], v[36:37], -v[22:23]
	v_mul_f64 v[16:17], v[6:7], v[40:41]
	v_fma_f64 v[20:21], v[4:5], v[36:37], v[20:21]
	ds_read_b128 v[2:5], v1 offset:1168
	v_add_f64 v[18:19], v[18:19], v[26:27]
	s_waitcnt vmcnt(19) lgkmcnt(1)
	v_mul_f64 v[26:27], v[12:13], v[42:43]
	v_add_f64 v[14:15], v[14:15], v[24:25]
	v_mul_f64 v[24:25], v[10:11], v[42:43]
	s_waitcnt vmcnt(17)
	v_fma_f64 v[28:29], v[6:7], v[123:124], -v[28:29]
	v_fma_f64 v[16:17], v[8:9], v[123:124], v[16:17]
	ds_read_b128 v[6:9], v1 offset:1184
	v_add_f64 v[18:19], v[18:19], v[22:23]
	s_waitcnt vmcnt(13) lgkmcnt(1)
	v_mul_f64 v[22:23], v[4:5], v[125:126]
	v_add_f64 v[14:15], v[14:15], v[20:21]
	s_waitcnt vmcnt(12)
	v_fma_f64 v[26:27], v[10:11], v[121:122], -v[26:27]
	v_mul_f64 v[20:21], v[2:3], v[125:126]
	v_fma_f64 v[24:25], v[12:13], v[121:122], v[24:25]
	ds_read_b128 v[10:13], v1 offset:1200
	v_add_f64 v[18:19], v[18:19], v[28:29]
	s_waitcnt vmcnt(11) lgkmcnt(1)
	v_mul_f64 v[28:29], v[8:9], v[127:128]
	v_add_f64 v[14:15], v[14:15], v[16:17]
	s_waitcnt vmcnt(9)
	v_fma_f64 v[1:2], v[2:3], v[131:132], -v[22:23]
	v_mul_f64 v[16:17], v[6:7], v[127:128]
	v_fma_f64 v[3:4], v[4:5], v[131:132], v[20:21]
	s_waitcnt vmcnt(7) lgkmcnt(0)
	v_mul_f64 v[22:23], v[12:13], v[133:134]
	v_mul_f64 v[20:21], v[10:11], v[133:134]
	v_add_f64 v[18:19], v[18:19], v[26:27]
	s_waitcnt vmcnt(6)
	v_fma_f64 v[5:6], v[6:7], v[129:130], -v[28:29]
	v_add_f64 v[14:15], v[14:15], v[24:25]
	v_fma_f64 v[7:8], v[8:9], v[129:130], v[16:17]
	s_waitcnt vmcnt(4)
	v_fma_f64 v[9:10], v[10:11], v[135:136], -v[22:23]
	v_add_f64 v[1:2], v[18:19], v[1:2]
	v_add_f64 v[3:4], v[14:15], v[3:4]
	;; [unrolled: 1-line block ×3, first 2 shown]
	v_fma_f64 v[5:6], v[12:13], v[135:136], v[20:21]
	v_add_f64 v[3:4], v[3:4], v[7:8]
	v_add_f64 v[1:2], v[1:2], v[9:10]
	;; [unrolled: 1-line block ×3, first 2 shown]
	s_waitcnt vmcnt(2)
	v_add_f64 v[1:2], v[138:139], -v[1:2]
	s_waitcnt vmcnt(0)
	v_add_f64 v[3:4], v[140:141], -v[3:4]
	buffer_store_dword v2, off, s[0:3], 0 offset:420
	buffer_store_dword v1, off, s[0:3], 0 offset:416
	;; [unrolled: 1-line block ×4, first 2 shown]
	v_cmpx_lt_u32_e32 24, v0
	s_cbranch_execz .LBB37_193
; %bb.192:
	v_mov_b32_e32 v4, s25
	v_mov_b32_e32 v5, 0
	s_clause 0x3
	buffer_load_dword v1, v4, s[0:3], 0 offen
	buffer_load_dword v2, v4, s[0:3], 0 offen offset:4
	buffer_load_dword v3, v4, s[0:3], 0 offen offset:8
	;; [unrolled: 1-line block ×3, first 2 shown]
	buffer_store_dword v5, off, s[0:3], 0 offset:400
	buffer_store_dword v5, off, s[0:3], 0 offset:404
	;; [unrolled: 1-line block ×4, first 2 shown]
	s_waitcnt vmcnt(0)
	ds_write_b128 v137, v[1:4]
.LBB37_193:
	s_or_b32 exec_lo, exec_lo, s4
	s_waitcnt lgkmcnt(0)
	s_waitcnt_vscnt null, 0x0
	s_barrier
	buffer_gl0_inv
	s_clause 0x33
	buffer_load_dword v10, off, s[0:3], 0 offset:424
	buffer_load_dword v11, off, s[0:3], 0 offset:428
	;; [unrolled: 1-line block ×52, first 2 shown]
	v_mov_b32_e32 v1, 0
	ds_read_b128 v[2:5], v1 offset:1008
	ds_read_b128 v[6:9], v1 offset:1024
	s_clause 0x3
	buffer_load_dword v146, off, s[0:3], 0 offset:400
	buffer_load_dword v147, off, s[0:3], 0 offset:404
	;; [unrolled: 1-line block ×4, first 2 shown]
	s_mov_b32 s4, exec_lo
	s_waitcnt vmcnt(54) lgkmcnt(1)
	v_mul_f64 v[142:143], v[4:5], v[10:11]
	v_mul_f64 v[144:145], v[2:3], v[10:11]
	s_waitcnt vmcnt(52) lgkmcnt(0)
	v_mul_f64 v[150:151], v[8:9], v[14:15]
	ds_read_b128 v[10:13], v1 offset:1040
	v_mul_f64 v[14:15], v[6:7], v[14:15]
	s_waitcnt vmcnt(50)
	v_fma_f64 v[142:143], v[2:3], v[16:17], -v[142:143]
	v_fma_f64 v[16:17], v[4:5], v[16:17], v[144:145]
	ds_read_b128 v[2:5], v1 offset:1056
	s_waitcnt vmcnt(48) lgkmcnt(1)
	v_mul_f64 v[144:145], v[10:11], v[18:19]
	v_mul_f64 v[18:19], v[12:13], v[18:19]
	s_waitcnt vmcnt(46)
	v_fma_f64 v[150:151], v[6:7], v[20:21], -v[150:151]
	v_fma_f64 v[14:15], v[8:9], v[20:21], v[14:15]
	ds_read_b128 v[6:9], v1 offset:1072
	s_waitcnt vmcnt(42) lgkmcnt(1)
	v_mul_f64 v[20:21], v[2:3], v[22:23]
	v_add_f64 v[142:143], v[142:143], 0
	v_add_f64 v[16:17], v[16:17], 0
	v_mul_f64 v[22:23], v[4:5], v[22:23]
	s_waitcnt vmcnt(40)
	v_fma_f64 v[18:19], v[10:11], v[28:29], -v[18:19]
	v_fma_f64 v[28:29], v[12:13], v[28:29], v[144:145]
	ds_read_b128 v[10:13], v1 offset:1088
	s_waitcnt vmcnt(37)
	v_fma_f64 v[20:21], v[4:5], v[30:31], v[20:21]
	v_add_f64 v[142:143], v[142:143], v[150:151]
	v_add_f64 v[14:15], v[16:17], v[14:15]
	s_waitcnt lgkmcnt(1)
	v_mul_f64 v[16:17], v[6:7], v[24:25]
	v_mul_f64 v[24:25], v[8:9], v[24:25]
	v_fma_f64 v[22:23], v[2:3], v[30:31], -v[22:23]
	s_waitcnt vmcnt(33) lgkmcnt(0)
	v_mul_f64 v[30:31], v[12:13], v[32:33]
	ds_read_b128 v[2:5], v1 offset:1104
	v_add_f64 v[18:19], v[142:143], v[18:19]
	v_add_f64 v[14:15], v[14:15], v[28:29]
	v_mul_f64 v[28:29], v[10:11], v[32:33]
	s_waitcnt vmcnt(32)
	v_fma_f64 v[24:25], v[6:7], v[26:27], -v[24:25]
	v_fma_f64 v[16:17], v[8:9], v[26:27], v[16:17]
	ds_read_b128 v[6:9], v1 offset:1120
	s_waitcnt vmcnt(29)
	v_fma_f64 v[26:27], v[10:11], v[38:39], -v[30:31]
	v_add_f64 v[18:19], v[18:19], v[22:23]
	v_add_f64 v[14:15], v[14:15], v[20:21]
	s_waitcnt lgkmcnt(1)
	v_mul_f64 v[22:23], v[4:5], v[34:35]
	v_mul_f64 v[20:21], v[2:3], v[34:35]
	v_add_f64 v[18:19], v[18:19], v[24:25]
	v_fma_f64 v[24:25], v[12:13], v[38:39], v[28:29]
	v_add_f64 v[14:15], v[14:15], v[16:17]
	s_waitcnt vmcnt(25) lgkmcnt(0)
	v_mul_f64 v[28:29], v[8:9], v[40:41]
	s_waitcnt vmcnt(24)
	v_fma_f64 v[22:23], v[2:3], v[36:37], -v[22:23]
	ds_read_b128 v[10:13], v1 offset:1136
	v_mul_f64 v[16:17], v[6:7], v[40:41]
	v_fma_f64 v[20:21], v[4:5], v[36:37], v[20:21]
	ds_read_b128 v[2:5], v1 offset:1152
	v_add_f64 v[18:19], v[18:19], v[26:27]
	v_add_f64 v[14:15], v[14:15], v[24:25]
	s_waitcnt vmcnt(23) lgkmcnt(1)
	v_mul_f64 v[26:27], v[12:13], v[42:43]
	s_waitcnt vmcnt(21)
	v_fma_f64 v[28:29], v[6:7], v[123:124], -v[28:29]
	v_mul_f64 v[24:25], v[10:11], v[42:43]
	v_fma_f64 v[16:17], v[8:9], v[123:124], v[16:17]
	ds_read_b128 v[6:9], v1 offset:1168
	v_add_f64 v[18:19], v[18:19], v[22:23]
	s_waitcnt vmcnt(17) lgkmcnt(1)
	v_mul_f64 v[22:23], v[4:5], v[125:126]
	v_add_f64 v[14:15], v[14:15], v[20:21]
	s_waitcnt vmcnt(16)
	v_fma_f64 v[26:27], v[10:11], v[121:122], -v[26:27]
	v_mul_f64 v[20:21], v[2:3], v[125:126]
	v_fma_f64 v[24:25], v[12:13], v[121:122], v[24:25]
	ds_read_b128 v[10:13], v1 offset:1184
	v_add_f64 v[18:19], v[18:19], v[28:29]
	s_waitcnt vmcnt(15) lgkmcnt(1)
	v_mul_f64 v[28:29], v[8:9], v[127:128]
	v_add_f64 v[14:15], v[14:15], v[16:17]
	s_waitcnt vmcnt(13)
	v_fma_f64 v[22:23], v[2:3], v[131:132], -v[22:23]
	v_mul_f64 v[16:17], v[6:7], v[127:128]
	v_fma_f64 v[20:21], v[4:5], v[131:132], v[20:21]
	ds_read_b128 v[2:5], v1 offset:1200
	v_add_f64 v[18:19], v[18:19], v[26:27]
	s_waitcnt vmcnt(9) lgkmcnt(1)
	v_mul_f64 v[26:27], v[12:13], v[133:134]
	v_add_f64 v[14:15], v[14:15], v[24:25]
	s_waitcnt vmcnt(8)
	v_fma_f64 v[6:7], v[6:7], v[129:130], -v[28:29]
	v_mul_f64 v[24:25], v[10:11], v[133:134]
	v_fma_f64 v[8:9], v[8:9], v[129:130], v[16:17]
	s_waitcnt vmcnt(7) lgkmcnt(0)
	v_mul_f64 v[16:17], v[2:3], v[135:136]
	v_add_f64 v[18:19], v[18:19], v[22:23]
	s_waitcnt vmcnt(5)
	v_fma_f64 v[10:11], v[10:11], v[140:141], -v[26:27]
	v_add_f64 v[14:15], v[14:15], v[20:21]
	v_mul_f64 v[20:21], v[4:5], v[135:136]
	v_fma_f64 v[12:13], v[12:13], v[140:141], v[24:25]
	s_waitcnt vmcnt(4)
	v_fma_f64 v[4:5], v[4:5], v[138:139], v[16:17]
	v_add_f64 v[6:7], v[18:19], v[6:7]
	v_add_f64 v[8:9], v[14:15], v[8:9]
	v_fma_f64 v[2:3], v[2:3], v[138:139], -v[20:21]
	v_add_f64 v[6:7], v[6:7], v[10:11]
	v_add_f64 v[8:9], v[8:9], v[12:13]
	;; [unrolled: 1-line block ×4, first 2 shown]
	s_waitcnt vmcnt(2)
	v_add_f64 v[2:3], v[146:147], -v[2:3]
	s_waitcnt vmcnt(0)
	v_add_f64 v[4:5], v[148:149], -v[4:5]
	buffer_store_dword v3, off, s[0:3], 0 offset:404
	buffer_store_dword v2, off, s[0:3], 0 offset:400
	;; [unrolled: 1-line block ×4, first 2 shown]
	v_cmpx_lt_u32_e32 23, v0
	s_cbranch_execz .LBB37_195
; %bb.194:
	v_mov_b32_e32 v5, s26
	s_clause 0x3
	buffer_load_dword v2, v5, s[0:3], 0 offen
	buffer_load_dword v3, v5, s[0:3], 0 offen offset:4
	buffer_load_dword v4, v5, s[0:3], 0 offen offset:8
	;; [unrolled: 1-line block ×3, first 2 shown]
	buffer_store_dword v1, off, s[0:3], 0 offset:384
	buffer_store_dword v1, off, s[0:3], 0 offset:388
	;; [unrolled: 1-line block ×4, first 2 shown]
	s_waitcnt vmcnt(0)
	ds_write_b128 v137, v[2:5]
.LBB37_195:
	s_or_b32 exec_lo, exec_lo, s4
	s_waitcnt lgkmcnt(0)
	s_waitcnt_vscnt null, 0x0
	s_barrier
	buffer_gl0_inv
	s_clause 0x35
	buffer_load_dword v10, off, s[0:3], 0 offset:408
	buffer_load_dword v11, off, s[0:3], 0 offset:412
	;; [unrolled: 1-line block ×54, first 2 shown]
	ds_read_b128 v[2:5], v1 offset:992
	s_clause 0x1
	buffer_load_dword v145, off, s[0:3], 0 offset:612
	buffer_load_dword v144, off, s[0:3], 0 offset:608
	ds_read_b128 v[6:9], v1 offset:1008
	s_mov_b32 s4, exec_lo
	s_waitcnt vmcnt(54) lgkmcnt(1)
	v_mul_f64 v[146:147], v[4:5], v[10:11]
	v_mul_f64 v[148:149], v[2:3], v[10:11]
	ds_read_b128 v[10:13], v1 offset:1024
	s_waitcnt vmcnt(52) lgkmcnt(1)
	v_mul_f64 v[150:151], v[8:9], v[14:15]
	v_mul_f64 v[14:15], v[6:7], v[14:15]
	s_waitcnt vmcnt(48) lgkmcnt(0)
	v_mul_f64 v[154:155], v[10:11], v[18:19]
	v_fma_f64 v[146:147], v[2:3], v[16:17], -v[146:147]
	v_fma_f64 v[16:17], v[4:5], v[16:17], v[148:149]
	s_clause 0x3
	buffer_load_dword v148, off, s[0:3], 0 offset:384
	buffer_load_dword v149, off, s[0:3], 0 offset:388
	;; [unrolled: 1-line block ×4, first 2 shown]
	v_mul_f64 v[18:19], v[12:13], v[18:19]
	s_waitcnt vmcnt(50)
	v_fma_f64 v[150:151], v[6:7], v[20:21], -v[150:151]
	ds_read_b128 v[2:5], v1 offset:1040
	v_fma_f64 v[14:15], v[8:9], v[20:21], v[14:15]
	ds_read_b128 v[6:9], v1 offset:1056
	v_add_f64 v[146:147], v[146:147], 0
	v_add_f64 v[16:17], v[16:17], 0
	s_waitcnt vmcnt(46) lgkmcnt(1)
	v_mul_f64 v[20:21], v[2:3], v[22:23]
	v_mul_f64 v[22:23], v[4:5], v[22:23]
	s_waitcnt vmcnt(44)
	v_fma_f64 v[18:19], v[10:11], v[28:29], -v[18:19]
	v_fma_f64 v[28:29], v[12:13], v[28:29], v[154:155]
	ds_read_b128 v[10:13], v1 offset:1072
	v_add_f64 v[146:147], v[146:147], v[150:151]
	v_add_f64 v[14:15], v[16:17], v[14:15]
	s_waitcnt vmcnt(43) lgkmcnt(1)
	v_mul_f64 v[16:17], v[6:7], v[24:25]
	v_mul_f64 v[24:25], v[8:9], v[24:25]
	s_waitcnt vmcnt(41)
	v_fma_f64 v[22:23], v[2:3], v[30:31], -v[22:23]
	v_fma_f64 v[20:21], v[4:5], v[30:31], v[20:21]
	ds_read_b128 v[2:5], v1 offset:1088
	s_waitcnt vmcnt(37) lgkmcnt(1)
	v_mul_f64 v[30:31], v[12:13], v[32:33]
	v_add_f64 v[18:19], v[146:147], v[18:19]
	v_add_f64 v[14:15], v[14:15], v[28:29]
	v_mul_f64 v[28:29], v[10:11], v[32:33]
	s_waitcnt vmcnt(36)
	v_fma_f64 v[24:25], v[6:7], v[26:27], -v[24:25]
	v_fma_f64 v[16:17], v[8:9], v[26:27], v[16:17]
	ds_read_b128 v[6:9], v1 offset:1104
	s_waitcnt vmcnt(33)
	v_fma_f64 v[26:27], v[10:11], v[38:39], -v[30:31]
	v_add_f64 v[18:19], v[18:19], v[22:23]
	v_add_f64 v[14:15], v[14:15], v[20:21]
	s_waitcnt lgkmcnt(1)
	v_mul_f64 v[22:23], v[4:5], v[34:35]
	v_mul_f64 v[20:21], v[2:3], v[34:35]
	v_add_f64 v[18:19], v[18:19], v[24:25]
	v_fma_f64 v[24:25], v[12:13], v[38:39], v[28:29]
	v_add_f64 v[14:15], v[14:15], v[16:17]
	ds_read_b128 v[10:13], v1 offset:1120
	s_waitcnt vmcnt(29) lgkmcnt(1)
	v_mul_f64 v[28:29], v[8:9], v[40:41]
	s_waitcnt vmcnt(28)
	v_fma_f64 v[22:23], v[2:3], v[36:37], -v[22:23]
	v_mul_f64 v[16:17], v[6:7], v[40:41]
	v_fma_f64 v[20:21], v[4:5], v[36:37], v[20:21]
	ds_read_b128 v[2:5], v1 offset:1136
	v_add_f64 v[18:19], v[18:19], v[26:27]
	s_waitcnt vmcnt(27) lgkmcnt(1)
	v_mul_f64 v[26:27], v[12:13], v[42:43]
	v_add_f64 v[14:15], v[14:15], v[24:25]
	v_mul_f64 v[24:25], v[10:11], v[42:43]
	s_waitcnt vmcnt(25)
	v_fma_f64 v[28:29], v[6:7], v[123:124], -v[28:29]
	v_fma_f64 v[16:17], v[8:9], v[123:124], v[16:17]
	ds_read_b128 v[6:9], v1 offset:1152
	v_add_f64 v[18:19], v[18:19], v[22:23]
	s_waitcnt vmcnt(21) lgkmcnt(1)
	v_mul_f64 v[22:23], v[4:5], v[125:126]
	v_add_f64 v[14:15], v[14:15], v[20:21]
	s_waitcnt vmcnt(20)
	v_fma_f64 v[26:27], v[10:11], v[121:122], -v[26:27]
	v_mul_f64 v[20:21], v[2:3], v[125:126]
	v_fma_f64 v[24:25], v[12:13], v[121:122], v[24:25]
	ds_read_b128 v[10:13], v1 offset:1168
	v_add_f64 v[18:19], v[18:19], v[28:29]
	s_waitcnt vmcnt(19) lgkmcnt(1)
	v_mul_f64 v[28:29], v[8:9], v[127:128]
	v_add_f64 v[14:15], v[14:15], v[16:17]
	s_waitcnt vmcnt(17)
	v_fma_f64 v[22:23], v[2:3], v[131:132], -v[22:23]
	v_mul_f64 v[16:17], v[6:7], v[127:128]
	;; [unrolled: 9-line block ×4, first 2 shown]
	v_fma_f64 v[12:13], v[12:13], v[140:141], v[24:25]
	s_waitcnt vmcnt(7) lgkmcnt(0)
	v_mul_f64 v[24:25], v[8:9], v[142:143]
	v_add_f64 v[18:19], v[18:19], v[28:29]
	s_waitcnt vmcnt(6)
	v_fma_f64 v[1:2], v[2:3], v[138:139], -v[22:23]
	v_add_f64 v[14:15], v[14:15], v[16:17]
	v_mul_f64 v[16:17], v[6:7], v[142:143]
	v_fma_f64 v[3:4], v[4:5], v[138:139], v[20:21]
	s_waitcnt vmcnt(4)
	v_fma_f64 v[5:6], v[6:7], v[144:145], -v[24:25]
	v_add_f64 v[10:11], v[18:19], v[10:11]
	v_add_f64 v[12:13], v[14:15], v[12:13]
	v_fma_f64 v[7:8], v[8:9], v[144:145], v[16:17]
	v_add_f64 v[1:2], v[10:11], v[1:2]
	v_add_f64 v[3:4], v[12:13], v[3:4]
	;; [unrolled: 1-line block ×4, first 2 shown]
	s_waitcnt vmcnt(2)
	v_add_f64 v[1:2], v[148:149], -v[1:2]
	s_waitcnt vmcnt(0)
	v_add_f64 v[3:4], v[152:153], -v[3:4]
	buffer_store_dword v2, off, s[0:3], 0 offset:388
	buffer_store_dword v1, off, s[0:3], 0 offset:384
	;; [unrolled: 1-line block ×4, first 2 shown]
	v_cmpx_lt_u32_e32 22, v0
	s_cbranch_execz .LBB37_197
; %bb.196:
	v_mov_b32_e32 v4, s27
	v_mov_b32_e32 v5, 0
	s_clause 0x3
	buffer_load_dword v1, v4, s[0:3], 0 offen
	buffer_load_dword v2, v4, s[0:3], 0 offen offset:4
	buffer_load_dword v3, v4, s[0:3], 0 offen offset:8
	;; [unrolled: 1-line block ×3, first 2 shown]
	buffer_store_dword v5, off, s[0:3], 0 offset:368
	buffer_store_dword v5, off, s[0:3], 0 offset:372
	buffer_store_dword v5, off, s[0:3], 0 offset:376
	buffer_store_dword v5, off, s[0:3], 0 offset:380
	s_waitcnt vmcnt(0)
	ds_write_b128 v137, v[1:4]
.LBB37_197:
	s_or_b32 exec_lo, exec_lo, s4
	s_waitcnt lgkmcnt(0)
	s_waitcnt_vscnt null, 0x0
	s_barrier
	buffer_gl0_inv
	s_clause 0x35
	buffer_load_dword v10, off, s[0:3], 0 offset:392
	buffer_load_dword v11, off, s[0:3], 0 offset:396
	;; [unrolled: 1-line block ×54, first 2 shown]
	v_mov_b32_e32 v1, 0
	s_mov_b32 s4, exec_lo
	ds_read_b128 v[2:5], v1 offset:976
	s_clause 0x3
	buffer_load_dword v144, off, s[0:3], 0 offset:616
	buffer_load_dword v145, off, s[0:3], 0 offset:620
	;; [unrolled: 1-line block ×4, first 2 shown]
	ds_read_b128 v[6:9], v1 offset:992
	s_clause 0x1
	buffer_load_dword v152, off, s[0:3], 0 offset:608
	buffer_load_dword v153, off, s[0:3], 0 offset:612
	s_waitcnt vmcnt(58) lgkmcnt(1)
	v_mul_f64 v[148:149], v[4:5], v[10:11]
	v_mul_f64 v[150:151], v[2:3], v[10:11]
	s_waitcnt vmcnt(56) lgkmcnt(0)
	v_mul_f64 v[154:155], v[8:9], v[14:15]
	ds_read_b128 v[10:13], v1 offset:1008
	v_mul_f64 v[14:15], v[6:7], v[14:15]
	s_waitcnt vmcnt(54)
	v_fma_f64 v[148:149], v[2:3], v[16:17], -v[148:149]
	v_fma_f64 v[16:17], v[4:5], v[16:17], v[150:151]
	ds_read_b128 v[2:5], v1 offset:1024
	s_waitcnt vmcnt(52) lgkmcnt(1)
	v_mul_f64 v[150:151], v[10:11], v[18:19]
	v_mul_f64 v[18:19], v[12:13], v[18:19]
	s_waitcnt vmcnt(50)
	v_fma_f64 v[154:155], v[6:7], v[20:21], -v[154:155]
	v_fma_f64 v[14:15], v[8:9], v[20:21], v[14:15]
	s_clause 0x3
	buffer_load_dword v20, off, s[0:3], 0 offset:368
	buffer_load_dword v21, off, s[0:3], 0 offset:372
	;; [unrolled: 1-line block ×4, first 2 shown]
	ds_read_b128 v[6:9], v1 offset:1040
	s_waitcnt vmcnt(52) lgkmcnt(1)
	v_mul_f64 v[158:159], v[2:3], v[22:23]
	v_add_f64 v[148:149], v[148:149], 0
	v_add_f64 v[16:17], v[16:17], 0
	v_mul_f64 v[22:23], v[4:5], v[22:23]
	s_waitcnt vmcnt(50)
	v_fma_f64 v[18:19], v[10:11], v[24:25], -v[18:19]
	v_fma_f64 v[24:25], v[12:13], v[24:25], v[150:151]
	ds_read_b128 v[10:13], v1 offset:1056
	v_add_f64 v[148:149], v[148:149], v[154:155]
	v_add_f64 v[14:15], v[16:17], v[14:15]
	s_waitcnt vmcnt(48) lgkmcnt(1)
	v_mul_f64 v[16:17], v[6:7], v[26:27]
	v_mul_f64 v[26:27], v[8:9], v[26:27]
	s_waitcnt vmcnt(46)
	v_fma_f64 v[22:23], v[2:3], v[28:29], -v[22:23]
	v_fma_f64 v[28:29], v[4:5], v[28:29], v[158:159]
	ds_read_b128 v[2:5], v1 offset:1072
	v_add_f64 v[18:19], v[148:149], v[18:19]
	v_add_f64 v[14:15], v[14:15], v[24:25]
	s_waitcnt vmcnt(44) lgkmcnt(1)
	v_mul_f64 v[24:25], v[10:11], v[30:31]
	;; [unrolled: 9-line block ×3, first 2 shown]
	s_waitcnt vmcnt(38)
	v_fma_f64 v[30:31], v[10:11], v[36:37], -v[30:31]
	v_mul_f64 v[22:23], v[2:3], v[34:35]
	v_fma_f64 v[24:25], v[12:13], v[36:37], v[24:25]
	ds_read_b128 v[10:13], v1 offset:1104
	v_add_f64 v[18:19], v[18:19], v[26:27]
	v_add_f64 v[14:15], v[14:15], v[16:17]
	s_waitcnt vmcnt(36) lgkmcnt(1)
	v_mul_f64 v[26:27], v[8:9], v[38:39]
	s_waitcnt vmcnt(34)
	v_fma_f64 v[28:29], v[2:3], v[40:41], -v[28:29]
	v_mul_f64 v[16:17], v[6:7], v[38:39]
	v_fma_f64 v[22:23], v[4:5], v[40:41], v[22:23]
	ds_read_b128 v[2:5], v1 offset:1120
	v_add_f64 v[18:19], v[18:19], v[30:31]
	v_add_f64 v[14:15], v[14:15], v[24:25]
	s_waitcnt vmcnt(32) lgkmcnt(1)
	v_mul_f64 v[30:31], v[12:13], v[42:43]
	;; [unrolled: 9-line block ×7, first 2 shown]
	s_waitcnt vmcnt(10)
	v_fma_f64 v[2:3], v[2:3], v[142:143], -v[28:29]
	v_mul_f64 v[16:17], v[6:7], v[140:141]
	v_fma_f64 v[4:5], v[4:5], v[142:143], v[22:23]
	s_waitcnt vmcnt(8) lgkmcnt(0)
	v_mul_f64 v[22:23], v[10:11], v[144:145]
	v_add_f64 v[18:19], v[18:19], v[30:31]
	v_add_f64 v[14:15], v[14:15], v[24:25]
	v_mul_f64 v[24:25], v[12:13], v[144:145]
	s_waitcnt vmcnt(6)
	v_fma_f64 v[6:7], v[6:7], v[146:147], -v[26:27]
	v_fma_f64 v[8:9], v[8:9], v[146:147], v[16:17]
	v_add_f64 v[2:3], v[18:19], v[2:3]
	v_add_f64 v[4:5], v[14:15], v[4:5]
	s_waitcnt vmcnt(4)
	v_fma_f64 v[10:11], v[10:11], v[152:153], -v[24:25]
	v_add_f64 v[2:3], v[2:3], v[6:7]
	v_fma_f64 v[6:7], v[12:13], v[152:153], v[22:23]
	v_add_f64 v[4:5], v[4:5], v[8:9]
	v_add_f64 v[2:3], v[2:3], v[10:11]
	v_add_f64 v[4:5], v[4:5], v[6:7]
	s_waitcnt vmcnt(2)
	v_add_f64 v[2:3], v[20:21], -v[2:3]
	s_waitcnt vmcnt(0)
	v_add_f64 v[4:5], v[156:157], -v[4:5]
	buffer_store_dword v3, off, s[0:3], 0 offset:372
	buffer_store_dword v2, off, s[0:3], 0 offset:368
	;; [unrolled: 1-line block ×4, first 2 shown]
	v_cmpx_lt_u32_e32 21, v0
	s_cbranch_execz .LBB37_199
; %bb.198:
	v_mov_b32_e32 v5, s28
	s_clause 0x3
	buffer_load_dword v2, v5, s[0:3], 0 offen
	buffer_load_dword v3, v5, s[0:3], 0 offen offset:4
	buffer_load_dword v4, v5, s[0:3], 0 offen offset:8
	;; [unrolled: 1-line block ×3, first 2 shown]
	buffer_store_dword v1, off, s[0:3], 0 offset:352
	buffer_store_dword v1, off, s[0:3], 0 offset:356
	;; [unrolled: 1-line block ×4, first 2 shown]
	s_waitcnt vmcnt(0)
	ds_write_b128 v137, v[2:5]
.LBB37_199:
	s_or_b32 exec_lo, exec_lo, s4
	s_waitcnt lgkmcnt(0)
	s_waitcnt_vscnt null, 0x0
	s_barrier
	buffer_gl0_inv
	s_clause 0x37
	buffer_load_dword v10, off, s[0:3], 0 offset:376
	buffer_load_dword v11, off, s[0:3], 0 offset:380
	;; [unrolled: 1-line block ×56, first 2 shown]
	ds_read_b128 v[2:5], v1 offset:960
	s_clause 0x2
	buffer_load_dword v145, off, s[0:3], 0 offset:604
	buffer_load_dword v149, off, s[0:3], 0 offset:580
	;; [unrolled: 1-line block ×3, first 2 shown]
	ds_read_b128 v[6:9], v1 offset:976
	s_clause 0x2
	buffer_load_dword v155, off, s[0:3], 0 offset:620
	buffer_load_dword v154, off, s[0:3], 0 offset:616
	;; [unrolled: 1-line block ×3, first 2 shown]
	s_mov_b32 s4, exec_lo
	s_waitcnt vmcnt(60) lgkmcnt(1)
	v_mul_f64 v[150:151], v[4:5], v[10:11]
	v_mul_f64 v[152:153], v[2:3], v[10:11]
	s_waitcnt vmcnt(58) lgkmcnt(0)
	v_mul_f64 v[156:157], v[8:9], v[14:15]
	ds_read_b128 v[10:13], v1 offset:992
	v_mul_f64 v[14:15], v[6:7], v[14:15]
	s_waitcnt vmcnt(56)
	v_fma_f64 v[150:151], v[2:3], v[16:17], -v[150:151]
	v_fma_f64 v[16:17], v[4:5], v[16:17], v[152:153]
	s_clause 0x1
	buffer_load_dword v153, off, s[0:3], 0 offset:612
	buffer_load_dword v152, off, s[0:3], 0 offset:608
	s_waitcnt vmcnt(56) lgkmcnt(0)
	v_mul_f64 v[158:159], v[10:11], v[18:19]
	v_mul_f64 v[18:19], v[12:13], v[18:19]
	s_waitcnt vmcnt(54)
	v_fma_f64 v[156:157], v[6:7], v[20:21], -v[156:157]
	ds_read_b128 v[2:5], v1 offset:1008
	v_fma_f64 v[14:15], v[8:9], v[20:21], v[14:15]
	ds_read_b128 v[6:9], v1 offset:1024
	v_add_f64 v[150:151], v[150:151], 0
	v_add_f64 v[16:17], v[16:17], 0
	s_waitcnt vmcnt(50) lgkmcnt(1)
	v_mul_f64 v[20:21], v[2:3], v[22:23]
	v_mul_f64 v[22:23], v[4:5], v[22:23]
	s_waitcnt vmcnt(48)
	v_fma_f64 v[18:19], v[10:11], v[28:29], -v[18:19]
	v_fma_f64 v[28:29], v[12:13], v[28:29], v[158:159]
	s_waitcnt vmcnt(47) lgkmcnt(0)
	v_mul_f64 v[158:159], v[6:7], v[24:25]
	v_mul_f64 v[24:25], v[8:9], v[24:25]
	v_add_f64 v[150:151], v[150:151], v[156:157]
	v_add_f64 v[14:15], v[16:17], v[14:15]
	s_clause 0x3
	buffer_load_dword v16, off, s[0:3], 0 offset:352
	buffer_load_dword v17, off, s[0:3], 0 offset:356
	;; [unrolled: 1-line block ×4, first 2 shown]
	ds_read_b128 v[10:13], v1 offset:1040
	s_waitcnt vmcnt(49)
	v_fma_f64 v[20:21], v[4:5], v[30:31], v[20:21]
	v_fma_f64 v[22:23], v[2:3], v[30:31], -v[22:23]
	ds_read_b128 v[2:5], v1 offset:1056
	s_waitcnt vmcnt(44)
	v_fma_f64 v[24:25], v[6:7], v[26:27], -v[24:25]
	v_add_f64 v[18:19], v[150:151], v[18:19]
	v_add_f64 v[14:15], v[14:15], v[28:29]
	s_waitcnt lgkmcnt(1)
	v_mul_f64 v[30:31], v[12:13], v[32:33]
	v_mul_f64 v[28:29], v[10:11], v[32:33]
	v_add_f64 v[18:19], v[18:19], v[22:23]
	v_fma_f64 v[22:23], v[8:9], v[26:27], v[158:159]
	v_add_f64 v[14:15], v[14:15], v[20:21]
	s_waitcnt vmcnt(43) lgkmcnt(0)
	v_mul_f64 v[26:27], v[4:5], v[34:35]
	s_waitcnt vmcnt(41)
	v_fma_f64 v[30:31], v[10:11], v[38:39], -v[30:31]
	ds_read_b128 v[6:9], v1 offset:1072
	v_mul_f64 v[20:21], v[2:3], v[34:35]
	v_add_f64 v[18:19], v[18:19], v[24:25]
	v_fma_f64 v[24:25], v[12:13], v[38:39], v[28:29]
	v_add_f64 v[14:15], v[14:15], v[22:23]
	ds_read_b128 v[10:13], v1 offset:1088
	s_waitcnt vmcnt(37) lgkmcnt(1)
	v_mul_f64 v[28:29], v[8:9], v[40:41]
	s_waitcnt vmcnt(36)
	v_fma_f64 v[26:27], v[2:3], v[36:37], -v[26:27]
	v_mul_f64 v[22:23], v[6:7], v[40:41]
	v_fma_f64 v[20:21], v[4:5], v[36:37], v[20:21]
	ds_read_b128 v[2:5], v1 offset:1104
	v_add_f64 v[18:19], v[18:19], v[30:31]
	s_waitcnt vmcnt(35) lgkmcnt(1)
	v_mul_f64 v[30:31], v[12:13], v[42:43]
	v_add_f64 v[14:15], v[14:15], v[24:25]
	v_mul_f64 v[24:25], v[10:11], v[42:43]
	s_waitcnt vmcnt(33)
	v_fma_f64 v[28:29], v[6:7], v[123:124], -v[28:29]
	v_fma_f64 v[22:23], v[8:9], v[123:124], v[22:23]
	ds_read_b128 v[6:9], v1 offset:1120
	v_add_f64 v[18:19], v[18:19], v[26:27]
	s_waitcnt vmcnt(29) lgkmcnt(1)
	v_mul_f64 v[26:27], v[4:5], v[125:126]
	v_add_f64 v[14:15], v[14:15], v[20:21]
	s_waitcnt vmcnt(28)
	v_fma_f64 v[30:31], v[10:11], v[121:122], -v[30:31]
	v_mul_f64 v[20:21], v[2:3], v[125:126]
	v_fma_f64 v[24:25], v[12:13], v[121:122], v[24:25]
	ds_read_b128 v[10:13], v1 offset:1136
	v_add_f64 v[18:19], v[18:19], v[28:29]
	s_waitcnt vmcnt(27) lgkmcnt(1)
	v_mul_f64 v[28:29], v[8:9], v[127:128]
	v_add_f64 v[14:15], v[14:15], v[22:23]
	s_waitcnt vmcnt(25)
	v_fma_f64 v[26:27], v[2:3], v[131:132], -v[26:27]
	v_mul_f64 v[22:23], v[6:7], v[127:128]
	v_fma_f64 v[20:21], v[4:5], v[131:132], v[20:21]
	ds_read_b128 v[2:5], v1 offset:1152
	v_add_f64 v[18:19], v[18:19], v[30:31]
	s_waitcnt vmcnt(21) lgkmcnt(1)
	v_mul_f64 v[30:31], v[12:13], v[133:134]
	v_add_f64 v[14:15], v[14:15], v[24:25]
	s_waitcnt vmcnt(20)
	v_fma_f64 v[28:29], v[6:7], v[129:130], -v[28:29]
	v_mul_f64 v[24:25], v[10:11], v[133:134]
	v_fma_f64 v[22:23], v[8:9], v[129:130], v[22:23]
	ds_read_b128 v[6:9], v1 offset:1168
	v_add_f64 v[18:19], v[18:19], v[26:27]
	s_waitcnt vmcnt(19) lgkmcnt(1)
	v_mul_f64 v[26:27], v[4:5], v[135:136]
	v_add_f64 v[14:15], v[14:15], v[20:21]
	s_waitcnt vmcnt(17)
	v_fma_f64 v[30:31], v[10:11], v[140:141], -v[30:31]
	v_mul_f64 v[20:21], v[2:3], v[135:136]
	v_fma_f64 v[24:25], v[12:13], v[140:141], v[24:25]
	ds_read_b128 v[10:13], v1 offset:1184
	v_add_f64 v[18:19], v[18:19], v[28:29]
	s_waitcnt vmcnt(13) lgkmcnt(1)
	v_mul_f64 v[28:29], v[8:9], v[142:143]
	v_add_f64 v[14:15], v[14:15], v[22:23]
	s_waitcnt vmcnt(12)
	v_fma_f64 v[26:27], v[2:3], v[138:139], -v[26:27]
	v_mul_f64 v[22:23], v[6:7], v[142:143]
	v_fma_f64 v[20:21], v[4:5], v[138:139], v[20:21]
	ds_read_b128 v[1:4], v1 offset:1200
	v_add_f64 v[18:19], v[18:19], v[30:31]
	s_waitcnt vmcnt(11) lgkmcnt(1)
	v_mul_f64 v[30:31], v[12:13], v[144:145]
	v_add_f64 v[14:15], v[14:15], v[24:25]
	s_waitcnt vmcnt(9)
	v_fma_f64 v[5:6], v[6:7], v[148:149], -v[28:29]
	v_mul_f64 v[24:25], v[10:11], v[144:145]
	v_fma_f64 v[7:8], v[8:9], v[148:149], v[22:23]
	s_waitcnt vmcnt(7) lgkmcnt(0)
	v_mul_f64 v[22:23], v[3:4], v[154:155]
	v_add_f64 v[18:19], v[18:19], v[26:27]
	s_waitcnt vmcnt(6)
	v_fma_f64 v[9:10], v[10:11], v[146:147], -v[30:31]
	v_add_f64 v[14:15], v[14:15], v[20:21]
	v_mul_f64 v[20:21], v[1:2], v[154:155]
	v_fma_f64 v[11:12], v[12:13], v[146:147], v[24:25]
	v_add_f64 v[5:6], v[18:19], v[5:6]
	v_add_f64 v[7:8], v[14:15], v[7:8]
	s_waitcnt vmcnt(4)
	v_fma_f64 v[1:2], v[1:2], v[152:153], -v[22:23]
	v_fma_f64 v[3:4], v[3:4], v[152:153], v[20:21]
	v_add_f64 v[5:6], v[5:6], v[9:10]
	v_add_f64 v[7:8], v[7:8], v[11:12]
	;; [unrolled: 1-line block ×4, first 2 shown]
	s_waitcnt vmcnt(2)
	v_add_f64 v[1:2], v[16:17], -v[1:2]
	s_waitcnt vmcnt(0)
	v_add_f64 v[3:4], v[156:157], -v[3:4]
	buffer_store_dword v2, off, s[0:3], 0 offset:356
	buffer_store_dword v1, off, s[0:3], 0 offset:352
	;; [unrolled: 1-line block ×4, first 2 shown]
	v_cmpx_lt_u32_e32 20, v0
	s_cbranch_execz .LBB37_201
; %bb.200:
	v_mov_b32_e32 v4, s29
	v_mov_b32_e32 v5, 0
	s_clause 0x3
	buffer_load_dword v1, v4, s[0:3], 0 offen
	buffer_load_dword v2, v4, s[0:3], 0 offen offset:4
	buffer_load_dword v3, v4, s[0:3], 0 offen offset:8
	;; [unrolled: 1-line block ×3, first 2 shown]
	buffer_store_dword v5, off, s[0:3], 0 offset:336
	buffer_store_dword v5, off, s[0:3], 0 offset:340
	;; [unrolled: 1-line block ×4, first 2 shown]
	s_waitcnt vmcnt(0)
	ds_write_b128 v137, v[1:4]
.LBB37_201:
	s_or_b32 exec_lo, exec_lo, s4
	s_waitcnt lgkmcnt(0)
	s_waitcnt_vscnt null, 0x0
	s_barrier
	buffer_gl0_inv
	s_clause 0x37
	buffer_load_dword v10, off, s[0:3], 0 offset:360
	buffer_load_dword v11, off, s[0:3], 0 offset:364
	;; [unrolled: 1-line block ×56, first 2 shown]
	v_mov_b32_e32 v1, 0
	s_mov_b32 s4, exec_lo
	ds_read_b128 v[2:5], v1 offset:944
	s_clause 0x2
	buffer_load_dword v145, off, s[0:3], 0 offset:588
	buffer_load_dword v149, off, s[0:3], 0 offset:564
	;; [unrolled: 1-line block ×3, first 2 shown]
	ds_read_b128 v[6:9], v1 offset:960
	s_clause 0x4
	buffer_load_dword v155, off, s[0:3], 0 offset:604
	buffer_load_dword v156, off, s[0:3], 0 offset:616
	;; [unrolled: 1-line block ×5, first 2 shown]
	s_waitcnt vmcnt(62) lgkmcnt(1)
	v_mul_f64 v[150:151], v[4:5], v[10:11]
	v_mul_f64 v[152:153], v[2:3], v[10:11]
	s_waitcnt vmcnt(60) lgkmcnt(0)
	v_mul_f64 v[159:160], v[8:9], v[14:15]
	ds_read_b128 v[10:13], v1 offset:976
	v_mul_f64 v[14:15], v[6:7], v[14:15]
	s_waitcnt vmcnt(58)
	v_fma_f64 v[150:151], v[2:3], v[16:17], -v[150:151]
	v_fma_f64 v[16:17], v[4:5], v[16:17], v[152:153]
	s_clause 0x2
	buffer_load_dword v157, off, s[0:3], 0 offset:620
	buffer_load_dword v153, off, s[0:3], 0 offset:596
	;; [unrolled: 1-line block ×3, first 2 shown]
	s_waitcnt vmcnt(59) lgkmcnt(0)
	v_mul_f64 v[161:162], v[10:11], v[18:19]
	v_mul_f64 v[18:19], v[12:13], v[18:19]
	s_waitcnt vmcnt(57)
	v_fma_f64 v[163:164], v[6:7], v[20:21], -v[159:160]
	ds_read_b128 v[2:5], v1 offset:992
	v_fma_f64 v[14:15], v[8:9], v[20:21], v[14:15]
	buffer_load_dword v159, off, s[0:3], 0 offset:612
	ds_read_b128 v[6:9], v1 offset:1008
	v_add_f64 v[150:151], v[150:151], 0
	v_add_f64 v[16:17], v[16:17], 0
	s_waitcnt vmcnt(54) lgkmcnt(1)
	v_mul_f64 v[20:21], v[2:3], v[22:23]
	v_mul_f64 v[22:23], v[4:5], v[22:23]
	s_waitcnt vmcnt(52)
	v_fma_f64 v[18:19], v[10:11], v[28:29], -v[18:19]
	v_fma_f64 v[28:29], v[12:13], v[28:29], v[161:162]
	ds_read_b128 v[10:13], v1 offset:1024
	v_add_f64 v[150:151], v[150:151], v[163:164]
	v_add_f64 v[14:15], v[16:17], v[14:15]
	s_waitcnt vmcnt(51) lgkmcnt(1)
	v_mul_f64 v[16:17], v[6:7], v[24:25]
	v_mul_f64 v[24:25], v[8:9], v[24:25]
	s_waitcnt vmcnt(49)
	v_fma_f64 v[20:21], v[4:5], v[30:31], v[20:21]
	v_fma_f64 v[22:23], v[2:3], v[30:31], -v[22:23]
	v_add_f64 v[18:19], v[150:151], v[18:19]
	v_add_f64 v[14:15], v[14:15], v[28:29]
	s_clause 0x3
	buffer_load_dword v28, off, s[0:3], 0 offset:336
	buffer_load_dword v29, off, s[0:3], 0 offset:340
	;; [unrolled: 1-line block ×4, first 2 shown]
	s_waitcnt vmcnt(49) lgkmcnt(0)
	v_mul_f64 v[150:151], v[10:11], v[32:33]
	v_mul_f64 v[32:33], v[12:13], v[32:33]
	s_waitcnt vmcnt(48)
	v_fma_f64 v[24:25], v[6:7], v[26:27], -v[24:25]
	ds_read_b128 v[2:5], v1 offset:1040
	v_fma_f64 v[16:17], v[8:9], v[26:27], v[16:17]
	ds_read_b128 v[6:9], v1 offset:1056
	v_add_f64 v[18:19], v[18:19], v[22:23]
	v_add_f64 v[14:15], v[14:15], v[20:21]
	s_waitcnt vmcnt(47) lgkmcnt(1)
	v_mul_f64 v[22:23], v[4:5], v[34:35]
	s_waitcnt vmcnt(45)
	v_fma_f64 v[26:27], v[10:11], v[38:39], -v[32:33]
	v_mul_f64 v[20:21], v[2:3], v[34:35]
	s_waitcnt vmcnt(41) lgkmcnt(0)
	v_mul_f64 v[32:33], v[8:9], v[40:41]
	v_add_f64 v[18:19], v[18:19], v[24:25]
	v_fma_f64 v[24:25], v[12:13], v[38:39], v[150:151]
	v_add_f64 v[14:15], v[14:15], v[16:17]
	ds_read_b128 v[10:13], v1 offset:1072
	s_waitcnt vmcnt(40)
	v_fma_f64 v[22:23], v[2:3], v[36:37], -v[22:23]
	v_mul_f64 v[16:17], v[6:7], v[40:41]
	v_fma_f64 v[20:21], v[4:5], v[36:37], v[20:21]
	ds_read_b128 v[2:5], v1 offset:1088
	s_waitcnt vmcnt(37)
	v_fma_f64 v[32:33], v[6:7], v[123:124], -v[32:33]
	v_add_f64 v[18:19], v[18:19], v[26:27]
	s_waitcnt lgkmcnt(1)
	v_mul_f64 v[26:27], v[12:13], v[42:43]
	v_add_f64 v[14:15], v[14:15], v[24:25]
	v_mul_f64 v[24:25], v[10:11], v[42:43]
	v_fma_f64 v[16:17], v[8:9], v[123:124], v[16:17]
	ds_read_b128 v[6:9], v1 offset:1104
	v_add_f64 v[18:19], v[18:19], v[22:23]
	s_waitcnt vmcnt(33) lgkmcnt(1)
	v_mul_f64 v[22:23], v[4:5], v[125:126]
	v_add_f64 v[14:15], v[14:15], v[20:21]
	s_waitcnt vmcnt(32)
	v_fma_f64 v[26:27], v[10:11], v[121:122], -v[26:27]
	v_mul_f64 v[20:21], v[2:3], v[125:126]
	v_fma_f64 v[24:25], v[12:13], v[121:122], v[24:25]
	ds_read_b128 v[10:13], v1 offset:1120
	v_add_f64 v[18:19], v[18:19], v[32:33]
	s_waitcnt vmcnt(31) lgkmcnt(1)
	v_mul_f64 v[32:33], v[8:9], v[127:128]
	v_add_f64 v[14:15], v[14:15], v[16:17]
	s_waitcnt vmcnt(29)
	v_fma_f64 v[22:23], v[2:3], v[131:132], -v[22:23]
	;; [unrolled: 9-line block ×7, first 2 shown]
	v_mul_f64 v[20:21], v[2:3], v[154:155]
	v_fma_f64 v[12:13], v[12:13], v[146:147], v[24:25]
	v_add_f64 v[18:19], v[18:19], v[32:33]
	v_add_f64 v[14:15], v[14:15], v[16:17]
	s_waitcnt vmcnt(7) lgkmcnt(0)
	v_mul_f64 v[24:25], v[8:9], v[156:157]
	v_mul_f64 v[16:17], v[6:7], v[156:157]
	s_waitcnt vmcnt(5)
	v_fma_f64 v[2:3], v[2:3], v[152:153], -v[22:23]
	v_fma_f64 v[4:5], v[4:5], v[152:153], v[20:21]
	v_add_f64 v[10:11], v[18:19], v[10:11]
	v_add_f64 v[12:13], v[14:15], v[12:13]
	s_waitcnt vmcnt(4)
	v_fma_f64 v[6:7], v[6:7], v[158:159], -v[24:25]
	v_fma_f64 v[8:9], v[8:9], v[158:159], v[16:17]
	v_add_f64 v[2:3], v[10:11], v[2:3]
	v_add_f64 v[4:5], v[12:13], v[4:5]
	;; [unrolled: 1-line block ×4, first 2 shown]
	s_waitcnt vmcnt(2)
	v_add_f64 v[2:3], v[28:29], -v[2:3]
	s_waitcnt vmcnt(0)
	v_add_f64 v[4:5], v[30:31], -v[4:5]
	buffer_store_dword v3, off, s[0:3], 0 offset:340
	buffer_store_dword v2, off, s[0:3], 0 offset:336
	;; [unrolled: 1-line block ×4, first 2 shown]
	v_cmpx_lt_u32_e32 19, v0
	s_cbranch_execz .LBB37_203
; %bb.202:
	v_mov_b32_e32 v5, s30
	s_clause 0x3
	buffer_load_dword v2, v5, s[0:3], 0 offen
	buffer_load_dword v3, v5, s[0:3], 0 offen offset:4
	buffer_load_dword v4, v5, s[0:3], 0 offen offset:8
	;; [unrolled: 1-line block ×3, first 2 shown]
	buffer_store_dword v1, off, s[0:3], 0 offset:320
	buffer_store_dword v1, off, s[0:3], 0 offset:324
	;; [unrolled: 1-line block ×4, first 2 shown]
	s_waitcnt vmcnt(0)
	ds_write_b128 v137, v[2:5]
.LBB37_203:
	s_or_b32 exec_lo, exec_lo, s4
	s_waitcnt lgkmcnt(0)
	s_waitcnt_vscnt null, 0x0
	s_barrier
	buffer_gl0_inv
	s_clause 0x37
	buffer_load_dword v10, off, s[0:3], 0 offset:344
	buffer_load_dword v11, off, s[0:3], 0 offset:348
	;; [unrolled: 1-line block ×56, first 2 shown]
	ds_read_b128 v[2:5], v1 offset:928
	s_clause 0x2
	buffer_load_dword v145, off, s[0:3], 0 offset:572
	buffer_load_dword v149, off, s[0:3], 0 offset:548
	buffer_load_dword v148, off, s[0:3], 0 offset:544
	ds_read_b128 v[6:9], v1 offset:944
	s_clause 0x4
	buffer_load_dword v155, off, s[0:3], 0 offset:588
	buffer_load_dword v156, off, s[0:3], 0 offset:600
	;; [unrolled: 1-line block ×5, first 2 shown]
	s_mov_b32 s4, exec_lo
	s_waitcnt vmcnt(62) lgkmcnt(1)
	v_mul_f64 v[150:151], v[4:5], v[10:11]
	v_mul_f64 v[152:153], v[2:3], v[10:11]
	s_waitcnt vmcnt(60) lgkmcnt(0)
	v_mul_f64 v[159:160], v[8:9], v[14:15]
	ds_read_b128 v[10:13], v1 offset:960
	v_mul_f64 v[14:15], v[6:7], v[14:15]
	s_waitcnt vmcnt(58)
	v_fma_f64 v[150:151], v[2:3], v[16:17], -v[150:151]
	v_fma_f64 v[16:17], v[4:5], v[16:17], v[152:153]
	s_clause 0x2
	buffer_load_dword v157, off, s[0:3], 0 offset:604
	buffer_load_dword v153, off, s[0:3], 0 offset:580
	;; [unrolled: 1-line block ×3, first 2 shown]
	s_waitcnt vmcnt(59) lgkmcnt(0)
	v_mul_f64 v[161:162], v[10:11], v[18:19]
	v_mul_f64 v[18:19], v[12:13], v[18:19]
	s_waitcnt vmcnt(57)
	v_fma_f64 v[163:164], v[6:7], v[20:21], -v[159:160]
	ds_read_b128 v[2:5], v1 offset:976
	v_fma_f64 v[14:15], v[8:9], v[20:21], v[14:15]
	s_clause 0x2
	buffer_load_dword v21, off, s[0:3], 0 offset:620
	buffer_load_dword v20, off, s[0:3], 0 offset:616
	;; [unrolled: 1-line block ×3, first 2 shown]
	ds_read_b128 v[6:9], v1 offset:992
	v_add_f64 v[150:151], v[150:151], 0
	v_add_f64 v[16:17], v[16:17], 0
	s_waitcnt vmcnt(56) lgkmcnt(1)
	v_mul_f64 v[165:166], v[2:3], v[22:23]
	v_mul_f64 v[22:23], v[4:5], v[22:23]
	s_waitcnt vmcnt(54)
	v_fma_f64 v[18:19], v[10:11], v[28:29], -v[18:19]
	v_fma_f64 v[28:29], v[12:13], v[28:29], v[161:162]
	s_waitcnt vmcnt(53) lgkmcnt(0)
	v_mul_f64 v[160:161], v[6:7], v[24:25]
	v_mul_f64 v[24:25], v[8:9], v[24:25]
	v_add_f64 v[150:151], v[150:151], v[163:164]
	v_add_f64 v[14:15], v[16:17], v[14:15]
	s_clause 0x1
	buffer_load_dword v17, off, s[0:3], 0 offset:612
	buffer_load_dword v16, off, s[0:3], 0 offset:608
	ds_read_b128 v[10:13], v1 offset:1008
	s_waitcnt vmcnt(53)
	v_fma_f64 v[22:23], v[2:3], v[30:31], -v[22:23]
	v_fma_f64 v[30:31], v[4:5], v[30:31], v[165:166]
	ds_read_b128 v[2:5], v1 offset:1024
	s_waitcnt vmcnt(48)
	v_fma_f64 v[24:25], v[6:7], v[26:27], -v[24:25]
	v_add_f64 v[18:19], v[150:151], v[18:19]
	v_add_f64 v[14:15], v[14:15], v[28:29]
	s_waitcnt lgkmcnt(1)
	v_mul_f64 v[28:29], v[10:11], v[32:33]
	v_mul_f64 v[32:33], v[12:13], v[32:33]
	s_waitcnt vmcnt(47) lgkmcnt(0)
	v_mul_f64 v[150:151], v[2:3], v[34:35]
	v_mul_f64 v[34:35], v[4:5], v[34:35]
	v_add_f64 v[18:19], v[18:19], v[22:23]
	v_fma_f64 v[22:23], v[8:9], v[26:27], v[160:161]
	v_add_f64 v[14:15], v[14:15], v[30:31]
	s_clause 0x3
	buffer_load_dword v26, off, s[0:3], 0 offset:320
	buffer_load_dword v27, off, s[0:3], 0 offset:324
	;; [unrolled: 1-line block ×4, first 2 shown]
	s_waitcnt vmcnt(49)
	v_fma_f64 v[32:33], v[10:11], v[38:39], -v[32:33]
	ds_read_b128 v[6:9], v1 offset:1040
	s_waitcnt vmcnt(44)
	v_fma_f64 v[34:35], v[2:3], v[36:37], -v[34:35]
	v_add_f64 v[18:19], v[18:19], v[24:25]
	v_fma_f64 v[24:25], v[12:13], v[38:39], v[28:29]
	v_add_f64 v[14:15], v[14:15], v[22:23]
	ds_read_b128 v[10:13], v1 offset:1056
	s_waitcnt lgkmcnt(1)
	v_mul_f64 v[28:29], v[8:9], v[40:41]
	v_mul_f64 v[22:23], v[6:7], v[40:41]
	v_add_f64 v[18:19], v[18:19], v[32:33]
	v_fma_f64 v[32:33], v[4:5], v[36:37], v[150:151]
	v_add_f64 v[14:15], v[14:15], v[24:25]
	s_waitcnt vmcnt(43) lgkmcnt(0)
	v_mul_f64 v[36:37], v[12:13], v[42:43]
	s_waitcnt vmcnt(41)
	v_fma_f64 v[28:29], v[6:7], v[123:124], -v[28:29]
	ds_read_b128 v[2:5], v1 offset:1072
	v_mul_f64 v[24:25], v[10:11], v[42:43]
	v_fma_f64 v[22:23], v[8:9], v[123:124], v[22:23]
	ds_read_b128 v[6:9], v1 offset:1088
	v_add_f64 v[18:19], v[18:19], v[34:35]
	v_add_f64 v[14:15], v[14:15], v[32:33]
	s_waitcnt vmcnt(37) lgkmcnt(1)
	v_mul_f64 v[34:35], v[4:5], v[125:126]
	s_waitcnt vmcnt(36)
	v_fma_f64 v[36:37], v[10:11], v[121:122], -v[36:37]
	v_mul_f64 v[32:33], v[2:3], v[125:126]
	v_fma_f64 v[24:25], v[12:13], v[121:122], v[24:25]
	ds_read_b128 v[10:13], v1 offset:1104
	v_add_f64 v[18:19], v[18:19], v[28:29]
	s_waitcnt vmcnt(35) lgkmcnt(1)
	v_mul_f64 v[28:29], v[8:9], v[127:128]
	v_add_f64 v[14:15], v[14:15], v[22:23]
	s_waitcnt vmcnt(33)
	v_fma_f64 v[34:35], v[2:3], v[131:132], -v[34:35]
	v_mul_f64 v[22:23], v[6:7], v[127:128]
	v_fma_f64 v[32:33], v[4:5], v[131:132], v[32:33]
	ds_read_b128 v[2:5], v1 offset:1120
	v_add_f64 v[18:19], v[18:19], v[36:37]
	s_waitcnt vmcnt(29) lgkmcnt(1)
	v_mul_f64 v[36:37], v[12:13], v[133:134]
	v_add_f64 v[14:15], v[14:15], v[24:25]
	;; [unrolled: 9-line block ×6, first 2 shown]
	s_waitcnt vmcnt(12)
	v_fma_f64 v[36:37], v[10:11], v[146:147], -v[36:37]
	v_mul_f64 v[32:33], v[2:3], v[154:155]
	v_fma_f64 v[24:25], v[12:13], v[146:147], v[24:25]
	ds_read_b128 v[10:13], v1 offset:1200
	v_add_f64 v[18:19], v[18:19], v[28:29]
	v_add_f64 v[14:15], v[14:15], v[22:23]
	s_waitcnt vmcnt(11) lgkmcnt(1)
	v_mul_f64 v[28:29], v[8:9], v[156:157]
	v_mul_f64 v[22:23], v[6:7], v[156:157]
	s_waitcnt vmcnt(9)
	v_fma_f64 v[1:2], v[2:3], v[152:153], -v[34:35]
	v_fma_f64 v[3:4], v[4:5], v[152:153], v[32:33]
	v_add_f64 v[18:19], v[18:19], v[36:37]
	v_add_f64 v[14:15], v[14:15], v[24:25]
	s_waitcnt vmcnt(7) lgkmcnt(0)
	v_mul_f64 v[24:25], v[10:11], v[20:21]
	v_mul_f64 v[20:21], v[12:13], v[20:21]
	s_waitcnt vmcnt(6)
	v_fma_f64 v[5:6], v[6:7], v[158:159], -v[28:29]
	v_fma_f64 v[7:8], v[8:9], v[158:159], v[22:23]
	v_add_f64 v[1:2], v[18:19], v[1:2]
	v_add_f64 v[3:4], v[14:15], v[3:4]
	s_waitcnt vmcnt(4)
	v_fma_f64 v[9:10], v[10:11], v[16:17], -v[20:21]
	v_add_f64 v[1:2], v[1:2], v[5:6]
	v_fma_f64 v[5:6], v[12:13], v[16:17], v[24:25]
	v_add_f64 v[3:4], v[3:4], v[7:8]
	v_add_f64 v[1:2], v[1:2], v[9:10]
	;; [unrolled: 1-line block ×3, first 2 shown]
	s_waitcnt vmcnt(2)
	v_add_f64 v[1:2], v[26:27], -v[1:2]
	s_waitcnt vmcnt(0)
	v_add_f64 v[3:4], v[30:31], -v[3:4]
	buffer_store_dword v2, off, s[0:3], 0 offset:324
	buffer_store_dword v1, off, s[0:3], 0 offset:320
	;; [unrolled: 1-line block ×4, first 2 shown]
	v_cmpx_lt_u32_e32 18, v0
	s_cbranch_execz .LBB37_205
; %bb.204:
	v_mov_b32_e32 v4, s31
	v_mov_b32_e32 v5, 0
	s_clause 0x3
	buffer_load_dword v1, v4, s[0:3], 0 offen
	buffer_load_dword v2, v4, s[0:3], 0 offen offset:4
	buffer_load_dword v3, v4, s[0:3], 0 offen offset:8
	;; [unrolled: 1-line block ×3, first 2 shown]
	buffer_store_dword v5, off, s[0:3], 0 offset:304
	buffer_store_dword v5, off, s[0:3], 0 offset:308
	;; [unrolled: 1-line block ×4, first 2 shown]
	s_waitcnt vmcnt(0)
	ds_write_b128 v137, v[1:4]
.LBB37_205:
	s_or_b32 exec_lo, exec_lo, s4
	s_waitcnt lgkmcnt(0)
	s_waitcnt_vscnt null, 0x0
	s_barrier
	buffer_gl0_inv
	s_clause 0x37
	buffer_load_dword v10, off, s[0:3], 0 offset:328
	buffer_load_dword v11, off, s[0:3], 0 offset:332
	;; [unrolled: 1-line block ×56, first 2 shown]
	v_mov_b32_e32 v1, 0
	s_mov_b32 s4, exec_lo
	ds_read_b128 v[2:5], v1 offset:912
	s_clause 0x2
	buffer_load_dword v145, off, s[0:3], 0 offset:556
	buffer_load_dword v149, off, s[0:3], 0 offset:532
	;; [unrolled: 1-line block ×3, first 2 shown]
	ds_read_b128 v[6:9], v1 offset:928
	s_clause 0x4
	buffer_load_dword v155, off, s[0:3], 0 offset:572
	buffer_load_dword v156, off, s[0:3], 0 offset:584
	;; [unrolled: 1-line block ×5, first 2 shown]
	s_waitcnt vmcnt(62) lgkmcnt(1)
	v_mul_f64 v[150:151], v[4:5], v[10:11]
	v_mul_f64 v[152:153], v[2:3], v[10:11]
	s_waitcnt vmcnt(60) lgkmcnt(0)
	v_mul_f64 v[159:160], v[8:9], v[14:15]
	ds_read_b128 v[10:13], v1 offset:944
	v_mul_f64 v[14:15], v[6:7], v[14:15]
	s_waitcnt vmcnt(58)
	v_fma_f64 v[150:151], v[2:3], v[16:17], -v[150:151]
	v_fma_f64 v[16:17], v[4:5], v[16:17], v[152:153]
	s_clause 0x2
	buffer_load_dword v157, off, s[0:3], 0 offset:588
	buffer_load_dword v153, off, s[0:3], 0 offset:564
	buffer_load_dword v152, off, s[0:3], 0 offset:560
	s_waitcnt vmcnt(59) lgkmcnt(0)
	v_mul_f64 v[161:162], v[10:11], v[18:19]
	v_mul_f64 v[18:19], v[12:13], v[18:19]
	s_waitcnt vmcnt(57)
	v_fma_f64 v[163:164], v[6:7], v[20:21], -v[159:160]
	ds_read_b128 v[2:5], v1 offset:960
	v_fma_f64 v[14:15], v[8:9], v[20:21], v[14:15]
	s_clause 0x4
	buffer_load_dword v21, off, s[0:3], 0 offset:604
	buffer_load_dword v160, off, s[0:3], 0 offset:616
	;; [unrolled: 1-line block ×5, first 2 shown]
	ds_read_b128 v[6:9], v1 offset:976
	v_add_f64 v[150:151], v[150:151], 0
	v_add_f64 v[16:17], v[16:17], 0
	s_waitcnt vmcnt(58) lgkmcnt(1)
	v_mul_f64 v[166:167], v[2:3], v[22:23]
	v_mul_f64 v[22:23], v[4:5], v[22:23]
	s_waitcnt vmcnt(56)
	v_fma_f64 v[18:19], v[10:11], v[28:29], -v[18:19]
	v_fma_f64 v[28:29], v[12:13], v[28:29], v[161:162]
	v_add_f64 v[150:151], v[150:151], v[163:164]
	v_add_f64 v[14:15], v[16:17], v[14:15]
	s_clause 0x2
	buffer_load_dword v161, off, s[0:3], 0 offset:620
	buffer_load_dword v17, off, s[0:3], 0 offset:596
	;; [unrolled: 1-line block ×3, first 2 shown]
	s_waitcnt vmcnt(58) lgkmcnt(0)
	v_mul_f64 v[162:163], v[6:7], v[24:25]
	v_mul_f64 v[24:25], v[8:9], v[24:25]
	s_waitcnt vmcnt(56)
	v_fma_f64 v[22:23], v[2:3], v[30:31], -v[22:23]
	ds_read_b128 v[10:13], v1 offset:992
	v_fma_f64 v[30:31], v[4:5], v[30:31], v[166:167]
	buffer_load_dword v166, off, s[0:3], 0 offset:612
	ds_read_b128 v[2:5], v1 offset:1008
	v_add_f64 v[18:19], v[150:151], v[18:19]
	v_add_f64 v[14:15], v[14:15], v[28:29]
	s_waitcnt vmcnt(53) lgkmcnt(1)
	v_mul_f64 v[28:29], v[10:11], v[32:33]
	v_mul_f64 v[32:33], v[12:13], v[32:33]
	s_waitcnt vmcnt(52)
	v_fma_f64 v[24:25], v[6:7], v[26:27], -v[24:25]
	v_add_f64 v[18:19], v[18:19], v[22:23]
	v_fma_f64 v[22:23], v[8:9], v[26:27], v[162:163]
	v_add_f64 v[14:15], v[14:15], v[30:31]
	s_waitcnt vmcnt(51) lgkmcnt(0)
	v_mul_f64 v[30:31], v[4:5], v[34:35]
	ds_read_b128 v[6:9], v1 offset:1024
	s_waitcnt vmcnt(49)
	v_fma_f64 v[32:33], v[10:11], v[38:39], -v[32:33]
	v_mul_f64 v[26:27], v[2:3], v[34:35]
	v_add_f64 v[18:19], v[18:19], v[24:25]
	v_fma_f64 v[24:25], v[12:13], v[38:39], v[28:29]
	v_add_f64 v[14:15], v[14:15], v[22:23]
	s_clause 0x3
	buffer_load_dword v22, off, s[0:3], 0 offset:304
	buffer_load_dword v23, off, s[0:3], 0 offset:308
	;; [unrolled: 1-line block ×4, first 2 shown]
	s_waitcnt vmcnt(49) lgkmcnt(0)
	v_mul_f64 v[38:39], v[8:9], v[40:41]
	s_waitcnt vmcnt(48)
	v_fma_f64 v[30:31], v[2:3], v[36:37], -v[30:31]
	ds_read_b128 v[10:13], v1 offset:1040
	v_mul_f64 v[34:35], v[6:7], v[40:41]
	v_fma_f64 v[26:27], v[4:5], v[36:37], v[26:27]
	ds_read_b128 v[2:5], v1 offset:1056
	v_add_f64 v[18:19], v[18:19], v[32:33]
	v_add_f64 v[14:15], v[14:15], v[24:25]
	s_waitcnt vmcnt(47) lgkmcnt(1)
	v_mul_f64 v[32:33], v[12:13], v[42:43]
	s_waitcnt vmcnt(45)
	v_fma_f64 v[36:37], v[6:7], v[123:124], -v[38:39]
	v_mul_f64 v[24:25], v[10:11], v[42:43]
	v_add_f64 v[18:19], v[18:19], v[30:31]
	v_fma_f64 v[30:31], v[8:9], v[123:124], v[34:35]
	v_add_f64 v[14:15], v[14:15], v[26:27]
	s_waitcnt vmcnt(41) lgkmcnt(0)
	v_mul_f64 v[34:35], v[4:5], v[125:126]
	s_waitcnt vmcnt(40)
	v_fma_f64 v[32:33], v[10:11], v[121:122], -v[32:33]
	ds_read_b128 v[6:9], v1 offset:1072
	v_mul_f64 v[26:27], v[2:3], v[125:126]
	v_fma_f64 v[24:25], v[12:13], v[121:122], v[24:25]
	ds_read_b128 v[10:13], v1 offset:1088
	v_add_f64 v[18:19], v[18:19], v[36:37]
	v_add_f64 v[14:15], v[14:15], v[30:31]
	s_waitcnt vmcnt(39) lgkmcnt(1)
	v_mul_f64 v[36:37], v[8:9], v[127:128]
	s_waitcnt vmcnt(37)
	v_fma_f64 v[34:35], v[2:3], v[131:132], -v[34:35]
	v_mul_f64 v[30:31], v[6:7], v[127:128]
	v_fma_f64 v[26:27], v[4:5], v[131:132], v[26:27]
	ds_read_b128 v[2:5], v1 offset:1104
	v_add_f64 v[18:19], v[18:19], v[32:33]
	s_waitcnt vmcnt(33) lgkmcnt(1)
	v_mul_f64 v[32:33], v[12:13], v[133:134]
	v_add_f64 v[14:15], v[14:15], v[24:25]
	s_waitcnt vmcnt(32)
	v_fma_f64 v[36:37], v[6:7], v[129:130], -v[36:37]
	v_mul_f64 v[24:25], v[10:11], v[133:134]
	v_fma_f64 v[30:31], v[8:9], v[129:130], v[30:31]
	ds_read_b128 v[6:9], v1 offset:1120
	v_add_f64 v[18:19], v[18:19], v[34:35]
	s_waitcnt vmcnt(31) lgkmcnt(1)
	v_mul_f64 v[34:35], v[4:5], v[135:136]
	v_add_f64 v[14:15], v[14:15], v[26:27]
	;; [unrolled: 9-line block ×5, first 2 shown]
	s_waitcnt vmcnt(16)
	v_fma_f64 v[32:33], v[10:11], v[146:147], -v[32:33]
	v_mul_f64 v[26:27], v[2:3], v[154:155]
	v_fma_f64 v[24:25], v[12:13], v[146:147], v[24:25]
	ds_read_b128 v[10:13], v1 offset:1184
	v_add_f64 v[18:19], v[18:19], v[36:37]
	v_add_f64 v[14:15], v[14:15], v[30:31]
	s_waitcnt vmcnt(15) lgkmcnt(1)
	v_mul_f64 v[36:37], v[8:9], v[156:157]
	v_mul_f64 v[30:31], v[6:7], v[156:157]
	s_waitcnt vmcnt(13)
	v_fma_f64 v[34:35], v[2:3], v[152:153], -v[34:35]
	v_fma_f64 v[26:27], v[4:5], v[152:153], v[26:27]
	ds_read_b128 v[2:5], v1 offset:1200
	v_add_f64 v[18:19], v[18:19], v[32:33]
	v_add_f64 v[14:15], v[14:15], v[24:25]
	s_waitcnt vmcnt(9) lgkmcnt(1)
	v_mul_f64 v[24:25], v[10:11], v[20:21]
	v_mul_f64 v[20:21], v[12:13], v[20:21]
	s_waitcnt vmcnt(8)
	v_fma_f64 v[6:7], v[6:7], v[158:159], -v[36:37]
	v_fma_f64 v[8:9], v[8:9], v[158:159], v[30:31]
	v_add_f64 v[18:19], v[18:19], v[34:35]
	v_add_f64 v[14:15], v[14:15], v[26:27]
	s_waitcnt vmcnt(7) lgkmcnt(0)
	v_mul_f64 v[30:31], v[4:5], v[160:161]
	v_mul_f64 v[26:27], v[2:3], v[160:161]
	s_waitcnt vmcnt(5)
	v_fma_f64 v[10:11], v[10:11], v[16:17], -v[20:21]
	v_fma_f64 v[12:13], v[12:13], v[16:17], v[24:25]
	v_add_f64 v[6:7], v[18:19], v[6:7]
	v_add_f64 v[8:9], v[14:15], v[8:9]
	s_waitcnt vmcnt(4)
	v_fma_f64 v[2:3], v[2:3], v[165:166], -v[30:31]
	v_fma_f64 v[4:5], v[4:5], v[165:166], v[26:27]
	v_add_f64 v[6:7], v[6:7], v[10:11]
	v_add_f64 v[8:9], v[8:9], v[12:13]
	;; [unrolled: 1-line block ×4, first 2 shown]
	s_waitcnt vmcnt(2)
	v_add_f64 v[2:3], v[22:23], -v[2:3]
	s_waitcnt vmcnt(0)
	v_add_f64 v[4:5], v[28:29], -v[4:5]
	buffer_store_dword v3, off, s[0:3], 0 offset:308
	buffer_store_dword v2, off, s[0:3], 0 offset:304
	;; [unrolled: 1-line block ×4, first 2 shown]
	v_cmpx_lt_u32_e32 17, v0
	s_cbranch_execz .LBB37_207
; %bb.206:
	v_mov_b32_e32 v5, s33
	s_clause 0x3
	buffer_load_dword v2, v5, s[0:3], 0 offen
	buffer_load_dword v3, v5, s[0:3], 0 offen offset:4
	buffer_load_dword v4, v5, s[0:3], 0 offen offset:8
	;; [unrolled: 1-line block ×3, first 2 shown]
	buffer_store_dword v1, off, s[0:3], 0 offset:288
	buffer_store_dword v1, off, s[0:3], 0 offset:292
	;; [unrolled: 1-line block ×4, first 2 shown]
	s_waitcnt vmcnt(0)
	ds_write_b128 v137, v[2:5]
.LBB37_207:
	s_or_b32 exec_lo, exec_lo, s4
	s_waitcnt lgkmcnt(0)
	s_waitcnt_vscnt null, 0x0
	s_barrier
	buffer_gl0_inv
	s_clause 0x37
	buffer_load_dword v10, off, s[0:3], 0 offset:312
	buffer_load_dword v11, off, s[0:3], 0 offset:316
	;; [unrolled: 1-line block ×56, first 2 shown]
	ds_read_b128 v[2:5], v1 offset:896
	s_clause 0x2
	buffer_load_dword v145, off, s[0:3], 0 offset:540
	buffer_load_dword v149, off, s[0:3], 0 offset:516
	;; [unrolled: 1-line block ×3, first 2 shown]
	ds_read_b128 v[6:9], v1 offset:912
	s_clause 0x4
	buffer_load_dword v155, off, s[0:3], 0 offset:556
	buffer_load_dword v156, off, s[0:3], 0 offset:568
	;; [unrolled: 1-line block ×5, first 2 shown]
	s_mov_b32 s4, exec_lo
	s_waitcnt vmcnt(62) lgkmcnt(1)
	v_mul_f64 v[150:151], v[4:5], v[10:11]
	v_mul_f64 v[152:153], v[2:3], v[10:11]
	s_waitcnt vmcnt(60) lgkmcnt(0)
	v_mul_f64 v[159:160], v[8:9], v[14:15]
	ds_read_b128 v[10:13], v1 offset:928
	v_mul_f64 v[14:15], v[6:7], v[14:15]
	s_waitcnt vmcnt(58)
	v_fma_f64 v[150:151], v[2:3], v[16:17], -v[150:151]
	v_fma_f64 v[16:17], v[4:5], v[16:17], v[152:153]
	s_clause 0x2
	buffer_load_dword v157, off, s[0:3], 0 offset:572
	buffer_load_dword v153, off, s[0:3], 0 offset:548
	;; [unrolled: 1-line block ×3, first 2 shown]
	s_waitcnt vmcnt(59) lgkmcnt(0)
	v_mul_f64 v[161:162], v[10:11], v[18:19]
	v_mul_f64 v[18:19], v[12:13], v[18:19]
	s_waitcnt vmcnt(57)
	v_fma_f64 v[163:164], v[6:7], v[20:21], -v[159:160]
	ds_read_b128 v[2:5], v1 offset:944
	v_fma_f64 v[14:15], v[8:9], v[20:21], v[14:15]
	s_clause 0x4
	buffer_load_dword v21, off, s[0:3], 0 offset:588
	buffer_load_dword v160, off, s[0:3], 0 offset:600
	;; [unrolled: 1-line block ×5, first 2 shown]
	ds_read_b128 v[6:9], v1 offset:960
	v_add_f64 v[150:151], v[150:151], 0
	v_add_f64 v[16:17], v[16:17], 0
	s_waitcnt vmcnt(58) lgkmcnt(1)
	v_mul_f64 v[166:167], v[2:3], v[22:23]
	v_mul_f64 v[22:23], v[4:5], v[22:23]
	s_waitcnt vmcnt(56)
	v_fma_f64 v[18:19], v[10:11], v[28:29], -v[18:19]
	v_fma_f64 v[28:29], v[12:13], v[28:29], v[161:162]
	v_add_f64 v[150:151], v[150:151], v[163:164]
	v_add_f64 v[14:15], v[16:17], v[14:15]
	s_clause 0x2
	buffer_load_dword v161, off, s[0:3], 0 offset:604
	buffer_load_dword v17, off, s[0:3], 0 offset:580
	;; [unrolled: 1-line block ×3, first 2 shown]
	s_waitcnt vmcnt(58) lgkmcnt(0)
	v_mul_f64 v[162:163], v[6:7], v[24:25]
	v_mul_f64 v[24:25], v[8:9], v[24:25]
	s_waitcnt vmcnt(56)
	v_fma_f64 v[22:23], v[2:3], v[30:31], -v[22:23]
	ds_read_b128 v[10:13], v1 offset:976
	v_fma_f64 v[30:31], v[4:5], v[30:31], v[166:167]
	v_add_f64 v[18:19], v[150:151], v[18:19]
	v_add_f64 v[14:15], v[14:15], v[28:29]
	s_clause 0x2
	buffer_load_dword v29, off, s[0:3], 0 offset:620
	buffer_load_dword v28, off, s[0:3], 0 offset:616
	;; [unrolled: 1-line block ×3, first 2 shown]
	ds_read_b128 v[2:5], v1 offset:992
	s_waitcnt vmcnt(55) lgkmcnt(1)
	v_mul_f64 v[150:151], v[10:11], v[32:33]
	v_mul_f64 v[32:33], v[12:13], v[32:33]
	s_waitcnt vmcnt(54)
	v_fma_f64 v[24:25], v[6:7], v[26:27], -v[24:25]
	v_add_f64 v[18:19], v[18:19], v[22:23]
	v_fma_f64 v[22:23], v[8:9], v[26:27], v[162:163]
	v_add_f64 v[14:15], v[14:15], v[30:31]
	s_clause 0x1
	buffer_load_dword v27, off, s[0:3], 0 offset:612
	buffer_load_dword v26, off, s[0:3], 0 offset:608
	s_waitcnt vmcnt(55) lgkmcnt(0)
	v_mul_f64 v[30:31], v[2:3], v[34:35]
	v_mul_f64 v[34:35], v[4:5], v[34:35]
	s_waitcnt vmcnt(53)
	v_fma_f64 v[32:33], v[10:11], v[38:39], -v[32:33]
	ds_read_b128 v[6:9], v1 offset:1008
	v_add_f64 v[18:19], v[18:19], v[24:25]
	v_fma_f64 v[24:25], v[12:13], v[38:39], v[150:151]
	v_add_f64 v[14:15], v[14:15], v[22:23]
	ds_read_b128 v[10:13], v1 offset:1024
	s_waitcnt vmcnt(48)
	v_fma_f64 v[30:31], v[4:5], v[36:37], v[30:31]
	s_waitcnt lgkmcnt(1)
	v_mul_f64 v[38:39], v[8:9], v[40:41]
	v_fma_f64 v[34:35], v[2:3], v[36:37], -v[34:35]
	v_mul_f64 v[22:23], v[6:7], v[40:41]
	v_add_f64 v[18:19], v[18:19], v[32:33]
	s_waitcnt vmcnt(47) lgkmcnt(0)
	v_mul_f64 v[40:41], v[12:13], v[42:43]
	v_add_f64 v[14:15], v[14:15], v[24:25]
	s_clause 0x3
	buffer_load_dword v24, off, s[0:3], 0 offset:288
	buffer_load_dword v25, off, s[0:3], 0 offset:292
	;; [unrolled: 1-line block ×4, first 2 shown]
	ds_read_b128 v[2:5], v1 offset:1040
	s_waitcnt vmcnt(49)
	v_fma_f64 v[38:39], v[6:7], v[123:124], -v[38:39]
	v_mul_f64 v[36:37], v[10:11], v[42:43]
	v_fma_f64 v[22:23], v[8:9], v[123:124], v[22:23]
	ds_read_b128 v[6:9], v1 offset:1056
	v_add_f64 v[18:19], v[18:19], v[34:35]
	s_waitcnt vmcnt(44)
	v_fma_f64 v[40:41], v[10:11], v[121:122], -v[40:41]
	v_add_f64 v[14:15], v[14:15], v[30:31]
	s_waitcnt lgkmcnt(1)
	v_mul_f64 v[34:35], v[4:5], v[125:126]
	v_mul_f64 v[30:31], v[2:3], v[125:126]
	v_fma_f64 v[36:37], v[12:13], v[121:122], v[36:37]
	ds_read_b128 v[10:13], v1 offset:1072
	v_add_f64 v[18:19], v[18:19], v[38:39]
	s_waitcnt vmcnt(43) lgkmcnt(1)
	v_mul_f64 v[38:39], v[8:9], v[127:128]
	v_add_f64 v[14:15], v[14:15], v[22:23]
	s_waitcnt vmcnt(41)
	v_fma_f64 v[34:35], v[2:3], v[131:132], -v[34:35]
	v_mul_f64 v[22:23], v[6:7], v[127:128]
	v_fma_f64 v[30:31], v[4:5], v[131:132], v[30:31]
	ds_read_b128 v[2:5], v1 offset:1088
	v_add_f64 v[18:19], v[18:19], v[40:41]
	s_waitcnt vmcnt(37) lgkmcnt(1)
	v_mul_f64 v[40:41], v[12:13], v[133:134]
	v_add_f64 v[14:15], v[14:15], v[36:37]
	s_waitcnt vmcnt(36)
	v_fma_f64 v[38:39], v[6:7], v[129:130], -v[38:39]
	v_mul_f64 v[36:37], v[10:11], v[133:134]
	v_fma_f64 v[22:23], v[8:9], v[129:130], v[22:23]
	ds_read_b128 v[6:9], v1 offset:1104
	v_add_f64 v[18:19], v[18:19], v[34:35]
	s_waitcnt vmcnt(35) lgkmcnt(1)
	v_mul_f64 v[34:35], v[4:5], v[135:136]
	v_add_f64 v[14:15], v[14:15], v[30:31]
	s_waitcnt vmcnt(33)
	v_fma_f64 v[40:41], v[10:11], v[140:141], -v[40:41]
	v_mul_f64 v[30:31], v[2:3], v[135:136]
	v_fma_f64 v[36:37], v[12:13], v[140:141], v[36:37]
	ds_read_b128 v[10:13], v1 offset:1120
	v_add_f64 v[18:19], v[18:19], v[38:39]
	s_waitcnt vmcnt(29) lgkmcnt(1)
	v_mul_f64 v[38:39], v[8:9], v[142:143]
	v_add_f64 v[14:15], v[14:15], v[22:23]
	s_waitcnt vmcnt(28)
	v_fma_f64 v[34:35], v[2:3], v[138:139], -v[34:35]
	v_mul_f64 v[22:23], v[6:7], v[142:143]
	v_fma_f64 v[30:31], v[4:5], v[138:139], v[30:31]
	ds_read_b128 v[2:5], v1 offset:1136
	v_add_f64 v[18:19], v[18:19], v[40:41]
	s_waitcnt vmcnt(27) lgkmcnt(1)
	v_mul_f64 v[40:41], v[12:13], v[144:145]
	v_add_f64 v[14:15], v[14:15], v[36:37]
	s_waitcnt vmcnt(25)
	v_fma_f64 v[38:39], v[6:7], v[148:149], -v[38:39]
	v_mul_f64 v[36:37], v[10:11], v[144:145]
	v_fma_f64 v[22:23], v[8:9], v[148:149], v[22:23]
	ds_read_b128 v[6:9], v1 offset:1152
	v_add_f64 v[18:19], v[18:19], v[34:35]
	s_waitcnt vmcnt(21) lgkmcnt(1)
	v_mul_f64 v[34:35], v[4:5], v[154:155]
	v_add_f64 v[14:15], v[14:15], v[30:31]
	s_waitcnt vmcnt(20)
	v_fma_f64 v[40:41], v[10:11], v[146:147], -v[40:41]
	v_mul_f64 v[30:31], v[2:3], v[154:155]
	v_fma_f64 v[36:37], v[12:13], v[146:147], v[36:37]
	ds_read_b128 v[10:13], v1 offset:1168
	v_add_f64 v[18:19], v[18:19], v[38:39]
	v_add_f64 v[14:15], v[14:15], v[22:23]
	s_waitcnt vmcnt(19) lgkmcnt(1)
	v_mul_f64 v[38:39], v[8:9], v[156:157]
	v_mul_f64 v[22:23], v[6:7], v[156:157]
	s_waitcnt vmcnt(17)
	v_fma_f64 v[34:35], v[2:3], v[152:153], -v[34:35]
	v_fma_f64 v[30:31], v[4:5], v[152:153], v[30:31]
	ds_read_b128 v[2:5], v1 offset:1184
	v_add_f64 v[18:19], v[18:19], v[40:41]
	v_add_f64 v[14:15], v[14:15], v[36:37]
	s_waitcnt vmcnt(13) lgkmcnt(1)
	v_mul_f64 v[36:37], v[10:11], v[20:21]
	v_mul_f64 v[20:21], v[12:13], v[20:21]
	s_waitcnt vmcnt(12)
	v_fma_f64 v[38:39], v[6:7], v[158:159], -v[38:39]
	;; [unrolled: 9-line block ×3, first 2 shown]
	v_fma_f64 v[12:13], v[12:13], v[16:17], v[36:37]
	v_add_f64 v[18:19], v[18:19], v[38:39]
	v_add_f64 v[14:15], v[14:15], v[22:23]
	s_waitcnt vmcnt(7) lgkmcnt(0)
	v_mul_f64 v[20:21], v[8:9], v[28:29]
	s_waitcnt vmcnt(6)
	v_fma_f64 v[1:2], v[2:3], v[165:166], -v[34:35]
	v_mul_f64 v[16:17], v[6:7], v[28:29]
	v_fma_f64 v[3:4], v[4:5], v[165:166], v[30:31]
	v_add_f64 v[10:11], v[18:19], v[10:11]
	v_add_f64 v[12:13], v[14:15], v[12:13]
	s_waitcnt vmcnt(4)
	v_fma_f64 v[5:6], v[6:7], v[26:27], -v[20:21]
	v_fma_f64 v[7:8], v[8:9], v[26:27], v[16:17]
	v_add_f64 v[1:2], v[10:11], v[1:2]
	v_add_f64 v[3:4], v[12:13], v[3:4]
	;; [unrolled: 1-line block ×4, first 2 shown]
	s_waitcnt vmcnt(2)
	v_add_f64 v[1:2], v[24:25], -v[1:2]
	s_waitcnt vmcnt(0)
	v_add_f64 v[3:4], v[32:33], -v[3:4]
	buffer_store_dword v2, off, s[0:3], 0 offset:292
	buffer_store_dword v1, off, s[0:3], 0 offset:288
	;; [unrolled: 1-line block ×4, first 2 shown]
	v_cmpx_lt_u32_e32 16, v0
	s_cbranch_execz .LBB37_209
; %bb.208:
	v_mov_b32_e32 v4, s34
	v_mov_b32_e32 v5, 0
	s_clause 0x3
	buffer_load_dword v1, v4, s[0:3], 0 offen
	buffer_load_dword v2, v4, s[0:3], 0 offen offset:4
	buffer_load_dword v3, v4, s[0:3], 0 offen offset:8
	;; [unrolled: 1-line block ×3, first 2 shown]
	buffer_store_dword v5, off, s[0:3], 0 offset:272
	buffer_store_dword v5, off, s[0:3], 0 offset:276
	;; [unrolled: 1-line block ×4, first 2 shown]
	s_waitcnt vmcnt(0)
	ds_write_b128 v137, v[1:4]
.LBB37_209:
	s_or_b32 exec_lo, exec_lo, s4
	s_waitcnt lgkmcnt(0)
	s_waitcnt_vscnt null, 0x0
	s_barrier
	buffer_gl0_inv
	s_clause 0x37
	buffer_load_dword v10, off, s[0:3], 0 offset:296
	buffer_load_dword v11, off, s[0:3], 0 offset:300
	;; [unrolled: 1-line block ×56, first 2 shown]
	v_mov_b32_e32 v1, 0
	s_mov_b32 s4, exec_lo
	ds_read_b128 v[2:5], v1 offset:880
	s_clause 0x2
	buffer_load_dword v145, off, s[0:3], 0 offset:524
	buffer_load_dword v149, off, s[0:3], 0 offset:500
	;; [unrolled: 1-line block ×3, first 2 shown]
	ds_read_b128 v[6:9], v1 offset:896
	s_clause 0x4
	buffer_load_dword v155, off, s[0:3], 0 offset:540
	buffer_load_dword v156, off, s[0:3], 0 offset:552
	;; [unrolled: 1-line block ×5, first 2 shown]
	s_waitcnt vmcnt(62) lgkmcnt(1)
	v_mul_f64 v[150:151], v[4:5], v[10:11]
	v_mul_f64 v[152:153], v[2:3], v[10:11]
	s_waitcnt vmcnt(60) lgkmcnt(0)
	v_mul_f64 v[159:160], v[8:9], v[14:15]
	ds_read_b128 v[10:13], v1 offset:912
	v_mul_f64 v[14:15], v[6:7], v[14:15]
	s_waitcnt vmcnt(58)
	v_fma_f64 v[150:151], v[2:3], v[16:17], -v[150:151]
	v_fma_f64 v[16:17], v[4:5], v[16:17], v[152:153]
	s_clause 0x2
	buffer_load_dword v157, off, s[0:3], 0 offset:556
	buffer_load_dword v153, off, s[0:3], 0 offset:532
	;; [unrolled: 1-line block ×3, first 2 shown]
	s_waitcnt vmcnt(59) lgkmcnt(0)
	v_mul_f64 v[161:162], v[10:11], v[18:19]
	v_mul_f64 v[18:19], v[12:13], v[18:19]
	s_waitcnt vmcnt(57)
	v_fma_f64 v[163:164], v[6:7], v[20:21], -v[159:160]
	ds_read_b128 v[2:5], v1 offset:928
	v_fma_f64 v[14:15], v[8:9], v[20:21], v[14:15]
	s_clause 0x4
	buffer_load_dword v21, off, s[0:3], 0 offset:572
	buffer_load_dword v160, off, s[0:3], 0 offset:584
	;; [unrolled: 1-line block ×5, first 2 shown]
	ds_read_b128 v[6:9], v1 offset:944
	v_add_f64 v[150:151], v[150:151], 0
	v_add_f64 v[16:17], v[16:17], 0
	s_waitcnt vmcnt(58) lgkmcnt(1)
	v_mul_f64 v[166:167], v[2:3], v[22:23]
	v_mul_f64 v[22:23], v[4:5], v[22:23]
	s_waitcnt vmcnt(56)
	v_fma_f64 v[18:19], v[10:11], v[28:29], -v[18:19]
	v_fma_f64 v[28:29], v[12:13], v[28:29], v[161:162]
	v_add_f64 v[150:151], v[150:151], v[163:164]
	v_add_f64 v[14:15], v[16:17], v[14:15]
	s_clause 0x2
	buffer_load_dword v161, off, s[0:3], 0 offset:588
	buffer_load_dword v17, off, s[0:3], 0 offset:564
	;; [unrolled: 1-line block ×3, first 2 shown]
	s_waitcnt vmcnt(58) lgkmcnt(0)
	v_mul_f64 v[162:163], v[6:7], v[24:25]
	v_mul_f64 v[24:25], v[8:9], v[24:25]
	s_waitcnt vmcnt(56)
	v_fma_f64 v[22:23], v[2:3], v[30:31], -v[22:23]
	ds_read_b128 v[10:13], v1 offset:960
	v_fma_f64 v[30:31], v[4:5], v[30:31], v[166:167]
	v_add_f64 v[18:19], v[150:151], v[18:19]
	v_add_f64 v[14:15], v[14:15], v[28:29]
	s_clause 0x4
	buffer_load_dword v29, off, s[0:3], 0 offset:604
	buffer_load_dword v150, off, s[0:3], 0 offset:616
	;; [unrolled: 1-line block ×5, first 2 shown]
	ds_read_b128 v[2:5], v1 offset:976
	s_waitcnt vmcnt(57) lgkmcnt(1)
	v_mul_f64 v[168:169], v[10:11], v[32:33]
	v_mul_f64 v[32:33], v[12:13], v[32:33]
	s_waitcnt vmcnt(56)
	v_fma_f64 v[24:25], v[6:7], v[26:27], -v[24:25]
	v_add_f64 v[18:19], v[18:19], v[22:23]
	v_fma_f64 v[22:23], v[8:9], v[26:27], v[162:163]
	v_add_f64 v[14:15], v[14:15], v[30:31]
	s_clause 0x2
	buffer_load_dword v151, off, s[0:3], 0 offset:620
	buffer_load_dword v27, off, s[0:3], 0 offset:596
	;; [unrolled: 1-line block ×3, first 2 shown]
	s_waitcnt vmcnt(58) lgkmcnt(0)
	v_mul_f64 v[30:31], v[2:3], v[34:35]
	v_mul_f64 v[34:35], v[4:5], v[34:35]
	s_waitcnt vmcnt(56)
	v_fma_f64 v[32:33], v[10:11], v[38:39], -v[32:33]
	ds_read_b128 v[6:9], v1 offset:992
	v_add_f64 v[18:19], v[18:19], v[24:25]
	v_fma_f64 v[24:25], v[12:13], v[38:39], v[168:169]
	v_add_f64 v[14:15], v[14:15], v[22:23]
	buffer_load_dword v168, off, s[0:3], 0 offset:612
	ds_read_b128 v[10:13], v1 offset:1008
	s_waitcnt vmcnt(53) lgkmcnt(1)
	v_mul_f64 v[38:39], v[8:9], v[40:41]
	s_waitcnt vmcnt(52)
	v_fma_f64 v[34:35], v[2:3], v[36:37], -v[34:35]
	v_mul_f64 v[22:23], v[6:7], v[40:41]
	v_fma_f64 v[30:31], v[4:5], v[36:37], v[30:31]
	ds_read_b128 v[2:5], v1 offset:1024
	v_add_f64 v[18:19], v[18:19], v[32:33]
	v_add_f64 v[14:15], v[14:15], v[24:25]
	s_waitcnt vmcnt(51) lgkmcnt(1)
	v_mul_f64 v[32:33], v[12:13], v[42:43]
	v_mul_f64 v[24:25], v[10:11], v[42:43]
	s_waitcnt vmcnt(49)
	v_fma_f64 v[36:37], v[6:7], v[123:124], -v[38:39]
	v_fma_f64 v[22:23], v[8:9], v[123:124], v[22:23]
	s_waitcnt vmcnt(45) lgkmcnt(0)
	v_mul_f64 v[40:41], v[4:5], v[125:126]
	v_mul_f64 v[38:39], v[2:3], v[125:126]
	v_add_f64 v[18:19], v[18:19], v[34:35]
	v_add_f64 v[14:15], v[14:15], v[30:31]
	s_clause 0x3
	buffer_load_dword v30, off, s[0:3], 0 offset:272
	buffer_load_dword v31, off, s[0:3], 0 offset:276
	;; [unrolled: 1-line block ×4, first 2 shown]
	s_waitcnt vmcnt(48)
	v_fma_f64 v[32:33], v[10:11], v[121:122], -v[32:33]
	ds_read_b128 v[6:9], v1 offset:1040
	v_fma_f64 v[24:25], v[12:13], v[121:122], v[24:25]
	ds_read_b128 v[10:13], v1 offset:1056
	s_waitcnt vmcnt(45)
	v_fma_f64 v[40:41], v[2:3], v[131:132], -v[40:41]
	v_add_f64 v[18:19], v[18:19], v[36:37]
	v_add_f64 v[14:15], v[14:15], v[22:23]
	s_waitcnt lgkmcnt(1)
	v_mul_f64 v[36:37], v[8:9], v[127:128]
	v_mul_f64 v[22:23], v[6:7], v[127:128]
	v_add_f64 v[18:19], v[18:19], v[32:33]
	v_fma_f64 v[32:33], v[4:5], v[131:132], v[38:39]
	v_add_f64 v[14:15], v[14:15], v[24:25]
	s_waitcnt vmcnt(41) lgkmcnt(0)
	v_mul_f64 v[38:39], v[12:13], v[133:134]
	s_waitcnt vmcnt(40)
	v_fma_f64 v[36:37], v[6:7], v[129:130], -v[36:37]
	ds_read_b128 v[2:5], v1 offset:1072
	v_mul_f64 v[24:25], v[10:11], v[133:134]
	v_fma_f64 v[22:23], v[8:9], v[129:130], v[22:23]
	ds_read_b128 v[6:9], v1 offset:1088
	v_add_f64 v[18:19], v[18:19], v[40:41]
	v_add_f64 v[14:15], v[14:15], v[32:33]
	s_waitcnt vmcnt(39) lgkmcnt(1)
	v_mul_f64 v[40:41], v[4:5], v[135:136]
	s_waitcnt vmcnt(37)
	v_fma_f64 v[38:39], v[10:11], v[140:141], -v[38:39]
	v_mul_f64 v[32:33], v[2:3], v[135:136]
	v_fma_f64 v[24:25], v[12:13], v[140:141], v[24:25]
	ds_read_b128 v[10:13], v1 offset:1104
	v_add_f64 v[18:19], v[18:19], v[36:37]
	s_waitcnt vmcnt(33) lgkmcnt(1)
	v_mul_f64 v[36:37], v[8:9], v[142:143]
	v_add_f64 v[14:15], v[14:15], v[22:23]
	s_waitcnt vmcnt(32)
	v_fma_f64 v[40:41], v[2:3], v[138:139], -v[40:41]
	v_mul_f64 v[22:23], v[6:7], v[142:143]
	v_fma_f64 v[32:33], v[4:5], v[138:139], v[32:33]
	ds_read_b128 v[2:5], v1 offset:1120
	v_add_f64 v[18:19], v[18:19], v[38:39]
	s_waitcnt vmcnt(31) lgkmcnt(1)
	v_mul_f64 v[38:39], v[12:13], v[144:145]
	v_add_f64 v[14:15], v[14:15], v[24:25]
	;; [unrolled: 9-line block ×3, first 2 shown]
	s_waitcnt vmcnt(24)
	v_fma_f64 v[38:39], v[10:11], v[146:147], -v[38:39]
	v_mul_f64 v[32:33], v[2:3], v[154:155]
	v_fma_f64 v[24:25], v[12:13], v[146:147], v[24:25]
	ds_read_b128 v[10:13], v1 offset:1152
	v_add_f64 v[18:19], v[18:19], v[36:37]
	v_add_f64 v[14:15], v[14:15], v[22:23]
	s_waitcnt vmcnt(23) lgkmcnt(1)
	v_mul_f64 v[36:37], v[8:9], v[156:157]
	v_mul_f64 v[22:23], v[6:7], v[156:157]
	s_waitcnt vmcnt(21)
	v_fma_f64 v[40:41], v[2:3], v[152:153], -v[40:41]
	v_fma_f64 v[32:33], v[4:5], v[152:153], v[32:33]
	ds_read_b128 v[2:5], v1 offset:1168
	v_add_f64 v[18:19], v[18:19], v[38:39]
	v_add_f64 v[14:15], v[14:15], v[24:25]
	s_waitcnt vmcnt(17) lgkmcnt(1)
	v_mul_f64 v[24:25], v[10:11], v[20:21]
	v_mul_f64 v[20:21], v[12:13], v[20:21]
	s_waitcnt vmcnt(16)
	v_fma_f64 v[36:37], v[6:7], v[158:159], -v[36:37]
	;; [unrolled: 9-line block ×3, first 2 shown]
	v_fma_f64 v[16:17], v[12:13], v[16:17], v[24:25]
	ds_read_b128 v[10:13], v1 offset:1200
	v_add_f64 v[18:19], v[18:19], v[36:37]
	v_add_f64 v[14:15], v[14:15], v[22:23]
	s_waitcnt vmcnt(9) lgkmcnt(1)
	v_mul_f64 v[24:25], v[8:9], v[28:29]
	s_waitcnt vmcnt(8)
	v_fma_f64 v[2:3], v[2:3], v[165:166], -v[38:39]
	v_mul_f64 v[22:23], v[6:7], v[28:29]
	v_fma_f64 v[4:5], v[4:5], v[165:166], v[32:33]
	v_add_f64 v[18:19], v[18:19], v[20:21]
	v_add_f64 v[14:15], v[14:15], v[16:17]
	s_waitcnt vmcnt(7) lgkmcnt(0)
	v_mul_f64 v[20:21], v[12:13], v[150:151]
	v_mul_f64 v[16:17], v[10:11], v[150:151]
	s_waitcnt vmcnt(5)
	v_fma_f64 v[6:7], v[6:7], v[26:27], -v[24:25]
	v_fma_f64 v[8:9], v[8:9], v[26:27], v[22:23]
	v_add_f64 v[2:3], v[18:19], v[2:3]
	v_add_f64 v[4:5], v[14:15], v[4:5]
	s_waitcnt vmcnt(4)
	v_fma_f64 v[10:11], v[10:11], v[167:168], -v[20:21]
	v_add_f64 v[2:3], v[2:3], v[6:7]
	v_fma_f64 v[6:7], v[12:13], v[167:168], v[16:17]
	v_add_f64 v[4:5], v[4:5], v[8:9]
	v_add_f64 v[2:3], v[2:3], v[10:11]
	;; [unrolled: 1-line block ×3, first 2 shown]
	s_waitcnt vmcnt(2)
	v_add_f64 v[2:3], v[30:31], -v[2:3]
	s_waitcnt vmcnt(0)
	v_add_f64 v[4:5], v[34:35], -v[4:5]
	buffer_store_dword v3, off, s[0:3], 0 offset:276
	buffer_store_dword v2, off, s[0:3], 0 offset:272
	;; [unrolled: 1-line block ×4, first 2 shown]
	v_cmpx_lt_u32_e32 15, v0
	s_cbranch_execz .LBB37_211
; %bb.210:
	v_mov_b32_e32 v5, s35
	s_clause 0x3
	buffer_load_dword v2, v5, s[0:3], 0 offen
	buffer_load_dword v3, v5, s[0:3], 0 offen offset:4
	buffer_load_dword v4, v5, s[0:3], 0 offen offset:8
	;; [unrolled: 1-line block ×3, first 2 shown]
	buffer_store_dword v1, off, s[0:3], 0 offset:256
	buffer_store_dword v1, off, s[0:3], 0 offset:260
	;; [unrolled: 1-line block ×4, first 2 shown]
	s_waitcnt vmcnt(0)
	ds_write_b128 v137, v[2:5]
.LBB37_211:
	s_or_b32 exec_lo, exec_lo, s4
	s_waitcnt lgkmcnt(0)
	s_waitcnt_vscnt null, 0x0
	s_barrier
	buffer_gl0_inv
	s_clause 0x37
	buffer_load_dword v10, off, s[0:3], 0 offset:280
	buffer_load_dword v11, off, s[0:3], 0 offset:284
	;; [unrolled: 1-line block ×56, first 2 shown]
	ds_read_b128 v[2:5], v1 offset:864
	s_clause 0x2
	buffer_load_dword v145, off, s[0:3], 0 offset:508
	buffer_load_dword v149, off, s[0:3], 0 offset:484
	;; [unrolled: 1-line block ×3, first 2 shown]
	ds_read_b128 v[6:9], v1 offset:880
	s_clause 0x4
	buffer_load_dword v155, off, s[0:3], 0 offset:524
	buffer_load_dword v156, off, s[0:3], 0 offset:536
	;; [unrolled: 1-line block ×5, first 2 shown]
	s_mov_b32 s4, exec_lo
	s_waitcnt vmcnt(62) lgkmcnt(1)
	v_mul_f64 v[150:151], v[4:5], v[10:11]
	v_mul_f64 v[152:153], v[2:3], v[10:11]
	s_waitcnt vmcnt(60) lgkmcnt(0)
	v_mul_f64 v[159:160], v[8:9], v[14:15]
	ds_read_b128 v[10:13], v1 offset:896
	v_mul_f64 v[14:15], v[6:7], v[14:15]
	s_waitcnt vmcnt(58)
	v_fma_f64 v[150:151], v[2:3], v[16:17], -v[150:151]
	v_fma_f64 v[16:17], v[4:5], v[16:17], v[152:153]
	s_clause 0x2
	buffer_load_dword v157, off, s[0:3], 0 offset:540
	buffer_load_dword v153, off, s[0:3], 0 offset:516
	;; [unrolled: 1-line block ×3, first 2 shown]
	s_waitcnt vmcnt(59) lgkmcnt(0)
	v_mul_f64 v[161:162], v[10:11], v[18:19]
	v_mul_f64 v[18:19], v[12:13], v[18:19]
	s_waitcnt vmcnt(57)
	v_fma_f64 v[163:164], v[6:7], v[20:21], -v[159:160]
	ds_read_b128 v[2:5], v1 offset:912
	v_fma_f64 v[14:15], v[8:9], v[20:21], v[14:15]
	s_clause 0x4
	buffer_load_dword v21, off, s[0:3], 0 offset:556
	buffer_load_dword v160, off, s[0:3], 0 offset:568
	;; [unrolled: 1-line block ×5, first 2 shown]
	ds_read_b128 v[6:9], v1 offset:928
	v_add_f64 v[150:151], v[150:151], 0
	v_add_f64 v[16:17], v[16:17], 0
	s_waitcnt vmcnt(58) lgkmcnt(1)
	v_mul_f64 v[166:167], v[2:3], v[22:23]
	v_mul_f64 v[22:23], v[4:5], v[22:23]
	s_waitcnt vmcnt(56)
	v_fma_f64 v[18:19], v[10:11], v[28:29], -v[18:19]
	v_fma_f64 v[28:29], v[12:13], v[28:29], v[161:162]
	v_add_f64 v[150:151], v[150:151], v[163:164]
	v_add_f64 v[14:15], v[16:17], v[14:15]
	s_clause 0x2
	buffer_load_dword v161, off, s[0:3], 0 offset:572
	buffer_load_dword v17, off, s[0:3], 0 offset:548
	buffer_load_dword v16, off, s[0:3], 0 offset:544
	s_waitcnt vmcnt(58) lgkmcnt(0)
	v_mul_f64 v[162:163], v[6:7], v[24:25]
	v_mul_f64 v[24:25], v[8:9], v[24:25]
	s_waitcnt vmcnt(56)
	v_fma_f64 v[22:23], v[2:3], v[30:31], -v[22:23]
	ds_read_b128 v[10:13], v1 offset:944
	v_fma_f64 v[30:31], v[4:5], v[30:31], v[166:167]
	v_add_f64 v[18:19], v[150:151], v[18:19]
	v_add_f64 v[14:15], v[14:15], v[28:29]
	s_clause 0x4
	buffer_load_dword v29, off, s[0:3], 0 offset:588
	buffer_load_dword v150, off, s[0:3], 0 offset:600
	;; [unrolled: 1-line block ×5, first 2 shown]
	ds_read_b128 v[2:5], v1 offset:960
	s_waitcnt vmcnt(57) lgkmcnt(1)
	v_mul_f64 v[168:169], v[10:11], v[32:33]
	v_mul_f64 v[32:33], v[12:13], v[32:33]
	s_waitcnt vmcnt(56)
	v_fma_f64 v[24:25], v[6:7], v[26:27], -v[24:25]
	v_add_f64 v[18:19], v[18:19], v[22:23]
	v_fma_f64 v[22:23], v[8:9], v[26:27], v[162:163]
	v_add_f64 v[14:15], v[14:15], v[30:31]
	s_clause 0x2
	buffer_load_dword v151, off, s[0:3], 0 offset:604
	buffer_load_dword v27, off, s[0:3], 0 offset:580
	;; [unrolled: 1-line block ×3, first 2 shown]
	s_waitcnt vmcnt(58) lgkmcnt(0)
	v_mul_f64 v[30:31], v[2:3], v[34:35]
	v_mul_f64 v[34:35], v[4:5], v[34:35]
	s_waitcnt vmcnt(56)
	v_fma_f64 v[32:33], v[10:11], v[38:39], -v[32:33]
	ds_read_b128 v[6:9], v1 offset:976
	v_add_f64 v[18:19], v[18:19], v[24:25]
	v_fma_f64 v[24:25], v[12:13], v[38:39], v[168:169]
	v_add_f64 v[14:15], v[14:15], v[22:23]
	s_clause 0x2
	buffer_load_dword v23, off, s[0:3], 0 offset:620
	buffer_load_dword v22, off, s[0:3], 0 offset:616
	;; [unrolled: 1-line block ×3, first 2 shown]
	ds_read_b128 v[10:13], v1 offset:992
	s_waitcnt vmcnt(55) lgkmcnt(1)
	v_mul_f64 v[38:39], v[6:7], v[40:41]
	v_mul_f64 v[40:41], v[8:9], v[40:41]
	s_waitcnt vmcnt(54)
	v_fma_f64 v[34:35], v[2:3], v[36:37], -v[34:35]
	v_fma_f64 v[30:31], v[4:5], v[36:37], v[30:31]
	v_add_f64 v[18:19], v[18:19], v[32:33]
	v_add_f64 v[14:15], v[14:15], v[24:25]
	s_clause 0x1
	buffer_load_dword v25, off, s[0:3], 0 offset:612
	buffer_load_dword v24, off, s[0:3], 0 offset:608
	s_waitcnt vmcnt(55) lgkmcnt(0)
	v_mul_f64 v[36:37], v[12:13], v[42:43]
	ds_read_b128 v[2:5], v1 offset:1008
	s_waitcnt vmcnt(53)
	v_fma_f64 v[40:41], v[6:7], v[123:124], -v[40:41]
	v_mul_f64 v[32:33], v[10:11], v[42:43]
	v_add_f64 v[18:19], v[18:19], v[34:35]
	v_fma_f64 v[34:35], v[8:9], v[123:124], v[38:39]
	v_add_f64 v[14:15], v[14:15], v[30:31]
	ds_read_b128 v[6:9], v1 offset:1024
	s_waitcnt vmcnt(49) lgkmcnt(1)
	v_mul_f64 v[38:39], v[4:5], v[125:126]
	s_waitcnt vmcnt(48)
	v_fma_f64 v[36:37], v[10:11], v[121:122], -v[36:37]
	v_mul_f64 v[30:31], v[2:3], v[125:126]
	v_fma_f64 v[32:33], v[12:13], v[121:122], v[32:33]
	v_add_f64 v[18:19], v[18:19], v[40:41]
	s_waitcnt vmcnt(47) lgkmcnt(0)
	v_mul_f64 v[121:122], v[8:9], v[127:128]
	v_add_f64 v[14:15], v[14:15], v[34:35]
	s_clause 0x3
	buffer_load_dword v34, off, s[0:3], 0 offset:256
	buffer_load_dword v35, off, s[0:3], 0 offset:260
	;; [unrolled: 1-line block ×4, first 2 shown]
	s_waitcnt vmcnt(49)
	v_fma_f64 v[38:39], v[2:3], v[131:132], -v[38:39]
	ds_read_b128 v[10:13], v1 offset:1040
	v_mul_f64 v[42:43], v[6:7], v[127:128]
	v_fma_f64 v[30:31], v[4:5], v[131:132], v[30:31]
	ds_read_b128 v[2:5], v1 offset:1056
	v_add_f64 v[18:19], v[18:19], v[36:37]
	s_waitcnt vmcnt(44)
	v_fma_f64 v[121:122], v[6:7], v[129:130], -v[121:122]
	v_add_f64 v[14:15], v[14:15], v[32:33]
	s_waitcnt lgkmcnt(1)
	v_mul_f64 v[36:37], v[12:13], v[133:134]
	v_mul_f64 v[32:33], v[10:11], v[133:134]
	v_add_f64 v[18:19], v[18:19], v[38:39]
	v_fma_f64 v[38:39], v[8:9], v[129:130], v[42:43]
	v_add_f64 v[14:15], v[14:15], v[30:31]
	s_waitcnt vmcnt(43) lgkmcnt(0)
	v_mul_f64 v[42:43], v[4:5], v[135:136]
	s_waitcnt vmcnt(41)
	v_fma_f64 v[36:37], v[10:11], v[140:141], -v[36:37]
	ds_read_b128 v[6:9], v1 offset:1072
	v_mul_f64 v[30:31], v[2:3], v[135:136]
	v_fma_f64 v[32:33], v[12:13], v[140:141], v[32:33]
	ds_read_b128 v[10:13], v1 offset:1088
	v_add_f64 v[18:19], v[18:19], v[121:122]
	v_add_f64 v[14:15], v[14:15], v[38:39]
	s_waitcnt vmcnt(37) lgkmcnt(1)
	v_mul_f64 v[121:122], v[8:9], v[142:143]
	s_waitcnt vmcnt(36)
	v_fma_f64 v[42:43], v[2:3], v[138:139], -v[42:43]
	v_mul_f64 v[38:39], v[6:7], v[142:143]
	v_fma_f64 v[30:31], v[4:5], v[138:139], v[30:31]
	ds_read_b128 v[2:5], v1 offset:1104
	v_add_f64 v[18:19], v[18:19], v[36:37]
	s_waitcnt vmcnt(35) lgkmcnt(1)
	v_mul_f64 v[36:37], v[12:13], v[144:145]
	v_add_f64 v[14:15], v[14:15], v[32:33]
	s_waitcnt vmcnt(33)
	v_fma_f64 v[121:122], v[6:7], v[148:149], -v[121:122]
	v_mul_f64 v[32:33], v[10:11], v[144:145]
	v_fma_f64 v[38:39], v[8:9], v[148:149], v[38:39]
	ds_read_b128 v[6:9], v1 offset:1120
	v_add_f64 v[18:19], v[18:19], v[42:43]
	s_waitcnt vmcnt(29) lgkmcnt(1)
	v_mul_f64 v[42:43], v[4:5], v[154:155]
	v_add_f64 v[14:15], v[14:15], v[30:31]
	s_waitcnt vmcnt(28)
	v_fma_f64 v[36:37], v[10:11], v[146:147], -v[36:37]
	v_mul_f64 v[30:31], v[2:3], v[154:155]
	v_fma_f64 v[32:33], v[12:13], v[146:147], v[32:33]
	ds_read_b128 v[10:13], v1 offset:1136
	v_add_f64 v[18:19], v[18:19], v[121:122]
	v_add_f64 v[14:15], v[14:15], v[38:39]
	s_waitcnt vmcnt(27) lgkmcnt(1)
	v_mul_f64 v[121:122], v[8:9], v[156:157]
	v_mul_f64 v[38:39], v[6:7], v[156:157]
	s_waitcnt vmcnt(25)
	v_fma_f64 v[42:43], v[2:3], v[152:153], -v[42:43]
	v_fma_f64 v[30:31], v[4:5], v[152:153], v[30:31]
	ds_read_b128 v[2:5], v1 offset:1152
	v_add_f64 v[18:19], v[18:19], v[36:37]
	v_add_f64 v[14:15], v[14:15], v[32:33]
	s_waitcnt vmcnt(21) lgkmcnt(1)
	v_mul_f64 v[32:33], v[10:11], v[20:21]
	v_mul_f64 v[20:21], v[12:13], v[20:21]
	s_waitcnt vmcnt(20)
	v_fma_f64 v[36:37], v[6:7], v[158:159], -v[121:122]
	;; [unrolled: 9-line block ×4, first 2 shown]
	v_add_f64 v[18:19], v[18:19], v[20:21]
	v_fma_f64 v[20:21], v[4:5], v[165:166], v[30:31]
	v_add_f64 v[14:15], v[14:15], v[16:17]
	ds_read_b128 v[1:4], v1 offset:1200
	s_waitcnt vmcnt(11) lgkmcnt(1)
	v_mul_f64 v[30:31], v[12:13], v[150:151]
	v_mul_f64 v[16:17], v[10:11], v[150:151]
	s_waitcnt vmcnt(9)
	v_fma_f64 v[5:6], v[6:7], v[26:27], -v[28:29]
	v_fma_f64 v[7:8], v[8:9], v[26:27], v[32:33]
	v_add_f64 v[18:19], v[18:19], v[36:37]
	v_add_f64 v[14:15], v[14:15], v[20:21]
	s_waitcnt vmcnt(7) lgkmcnt(0)
	v_mul_f64 v[20:21], v[1:2], v[22:23]
	v_mul_f64 v[22:23], v[3:4], v[22:23]
	s_waitcnt vmcnt(6)
	v_fma_f64 v[9:10], v[10:11], v[167:168], -v[30:31]
	v_fma_f64 v[11:12], v[12:13], v[167:168], v[16:17]
	v_add_f64 v[5:6], v[18:19], v[5:6]
	v_add_f64 v[7:8], v[14:15], v[7:8]
	s_waitcnt vmcnt(4)
	v_fma_f64 v[1:2], v[1:2], v[24:25], -v[22:23]
	v_fma_f64 v[3:4], v[3:4], v[24:25], v[20:21]
	v_add_f64 v[5:6], v[5:6], v[9:10]
	v_add_f64 v[7:8], v[7:8], v[11:12]
	;; [unrolled: 1-line block ×4, first 2 shown]
	s_waitcnt vmcnt(2)
	v_add_f64 v[1:2], v[34:35], -v[1:2]
	s_waitcnt vmcnt(0)
	v_add_f64 v[3:4], v[40:41], -v[3:4]
	buffer_store_dword v2, off, s[0:3], 0 offset:260
	buffer_store_dword v1, off, s[0:3], 0 offset:256
	;; [unrolled: 1-line block ×4, first 2 shown]
	v_cmpx_lt_u32_e32 14, v0
	s_cbranch_execz .LBB37_213
; %bb.212:
	v_mov_b32_e32 v4, s36
	v_mov_b32_e32 v5, 0
	s_clause 0x3
	buffer_load_dword v1, v4, s[0:3], 0 offen
	buffer_load_dword v2, v4, s[0:3], 0 offen offset:4
	buffer_load_dword v3, v4, s[0:3], 0 offen offset:8
	;; [unrolled: 1-line block ×3, first 2 shown]
	buffer_store_dword v5, off, s[0:3], 0 offset:240
	buffer_store_dword v5, off, s[0:3], 0 offset:244
	;; [unrolled: 1-line block ×4, first 2 shown]
	s_waitcnt vmcnt(0)
	ds_write_b128 v137, v[1:4]
.LBB37_213:
	s_or_b32 exec_lo, exec_lo, s4
	s_waitcnt lgkmcnt(0)
	s_waitcnt_vscnt null, 0x0
	s_barrier
	buffer_gl0_inv
	s_clause 0x37
	buffer_load_dword v10, off, s[0:3], 0 offset:264
	buffer_load_dword v11, off, s[0:3], 0 offset:268
	;; [unrolled: 1-line block ×56, first 2 shown]
	v_mov_b32_e32 v1, 0
	s_mov_b32 s4, exec_lo
	ds_read_b128 v[2:5], v1 offset:848
	s_clause 0x2
	buffer_load_dword v145, off, s[0:3], 0 offset:492
	buffer_load_dword v149, off, s[0:3], 0 offset:468
	;; [unrolled: 1-line block ×3, first 2 shown]
	ds_read_b128 v[6:9], v1 offset:864
	s_clause 0x4
	buffer_load_dword v155, off, s[0:3], 0 offset:508
	buffer_load_dword v156, off, s[0:3], 0 offset:520
	;; [unrolled: 1-line block ×5, first 2 shown]
	s_waitcnt vmcnt(62) lgkmcnt(1)
	v_mul_f64 v[150:151], v[4:5], v[10:11]
	v_mul_f64 v[152:153], v[2:3], v[10:11]
	s_waitcnt vmcnt(60) lgkmcnt(0)
	v_mul_f64 v[159:160], v[8:9], v[14:15]
	ds_read_b128 v[10:13], v1 offset:880
	v_mul_f64 v[14:15], v[6:7], v[14:15]
	s_waitcnt vmcnt(58)
	v_fma_f64 v[150:151], v[2:3], v[16:17], -v[150:151]
	v_fma_f64 v[16:17], v[4:5], v[16:17], v[152:153]
	s_clause 0x2
	buffer_load_dword v157, off, s[0:3], 0 offset:524
	buffer_load_dword v153, off, s[0:3], 0 offset:500
	;; [unrolled: 1-line block ×3, first 2 shown]
	s_waitcnt vmcnt(59) lgkmcnt(0)
	v_mul_f64 v[161:162], v[10:11], v[18:19]
	v_mul_f64 v[18:19], v[12:13], v[18:19]
	s_waitcnt vmcnt(57)
	v_fma_f64 v[163:164], v[6:7], v[20:21], -v[159:160]
	ds_read_b128 v[2:5], v1 offset:896
	v_fma_f64 v[14:15], v[8:9], v[20:21], v[14:15]
	s_clause 0x4
	buffer_load_dword v21, off, s[0:3], 0 offset:540
	buffer_load_dword v160, off, s[0:3], 0 offset:552
	;; [unrolled: 1-line block ×5, first 2 shown]
	ds_read_b128 v[6:9], v1 offset:912
	v_add_f64 v[150:151], v[150:151], 0
	v_add_f64 v[16:17], v[16:17], 0
	s_waitcnt vmcnt(58) lgkmcnt(1)
	v_mul_f64 v[166:167], v[2:3], v[22:23]
	v_mul_f64 v[22:23], v[4:5], v[22:23]
	s_waitcnt vmcnt(56)
	v_fma_f64 v[18:19], v[10:11], v[28:29], -v[18:19]
	v_fma_f64 v[28:29], v[12:13], v[28:29], v[161:162]
	v_add_f64 v[150:151], v[150:151], v[163:164]
	v_add_f64 v[14:15], v[16:17], v[14:15]
	s_clause 0x2
	buffer_load_dword v161, off, s[0:3], 0 offset:556
	buffer_load_dword v17, off, s[0:3], 0 offset:532
	;; [unrolled: 1-line block ×3, first 2 shown]
	s_waitcnt vmcnt(58) lgkmcnt(0)
	v_mul_f64 v[162:163], v[6:7], v[24:25]
	v_mul_f64 v[24:25], v[8:9], v[24:25]
	s_waitcnt vmcnt(56)
	v_fma_f64 v[22:23], v[2:3], v[30:31], -v[22:23]
	ds_read_b128 v[10:13], v1 offset:928
	v_fma_f64 v[30:31], v[4:5], v[30:31], v[166:167]
	v_add_f64 v[18:19], v[150:151], v[18:19]
	v_add_f64 v[14:15], v[14:15], v[28:29]
	s_clause 0x4
	buffer_load_dword v29, off, s[0:3], 0 offset:572
	buffer_load_dword v150, off, s[0:3], 0 offset:584
	;; [unrolled: 1-line block ×5, first 2 shown]
	ds_read_b128 v[2:5], v1 offset:944
	s_waitcnt vmcnt(57) lgkmcnt(1)
	v_mul_f64 v[168:169], v[10:11], v[32:33]
	v_mul_f64 v[32:33], v[12:13], v[32:33]
	s_waitcnt vmcnt(56)
	v_fma_f64 v[24:25], v[6:7], v[26:27], -v[24:25]
	v_add_f64 v[18:19], v[18:19], v[22:23]
	v_fma_f64 v[22:23], v[8:9], v[26:27], v[162:163]
	v_add_f64 v[14:15], v[14:15], v[30:31]
	s_clause 0x2
	buffer_load_dword v151, off, s[0:3], 0 offset:588
	buffer_load_dword v27, off, s[0:3], 0 offset:564
	;; [unrolled: 1-line block ×3, first 2 shown]
	s_waitcnt vmcnt(58) lgkmcnt(0)
	v_mul_f64 v[30:31], v[2:3], v[34:35]
	v_mul_f64 v[34:35], v[4:5], v[34:35]
	s_waitcnt vmcnt(56)
	v_fma_f64 v[32:33], v[10:11], v[38:39], -v[32:33]
	ds_read_b128 v[6:9], v1 offset:960
	v_add_f64 v[18:19], v[18:19], v[24:25]
	v_fma_f64 v[24:25], v[12:13], v[38:39], v[168:169]
	v_add_f64 v[14:15], v[14:15], v[22:23]
	s_clause 0x4
	buffer_load_dword v23, off, s[0:3], 0 offset:604
	buffer_load_dword v38, off, s[0:3], 0 offset:616
	;; [unrolled: 1-line block ×5, first 2 shown]
	ds_read_b128 v[10:13], v1 offset:976
	s_waitcnt vmcnt(57) lgkmcnt(1)
	v_mul_f64 v[163:164], v[6:7], v[40:41]
	v_mul_f64 v[40:41], v[8:9], v[40:41]
	s_waitcnt vmcnt(56)
	v_fma_f64 v[34:35], v[2:3], v[36:37], -v[34:35]
	v_fma_f64 v[30:31], v[4:5], v[36:37], v[30:31]
	v_add_f64 v[18:19], v[18:19], v[32:33]
	v_add_f64 v[14:15], v[14:15], v[24:25]
	s_clause 0x2
	buffer_load_dword v39, off, s[0:3], 0 offset:620
	buffer_load_dword v25, off, s[0:3], 0 offset:596
	buffer_load_dword v24, off, s[0:3], 0 offset:592
	s_waitcnt vmcnt(58) lgkmcnt(0)
	v_mul_f64 v[36:37], v[12:13], v[42:43]
	ds_read_b128 v[2:5], v1 offset:992
	s_waitcnt vmcnt(56)
	v_fma_f64 v[40:41], v[6:7], v[123:124], -v[40:41]
	v_mul_f64 v[32:33], v[10:11], v[42:43]
	v_add_f64 v[18:19], v[18:19], v[34:35]
	v_fma_f64 v[34:35], v[8:9], v[123:124], v[163:164]
	v_add_f64 v[14:15], v[14:15], v[30:31]
	buffer_load_dword v163, off, s[0:3], 0 offset:612
	ds_read_b128 v[6:9], v1 offset:1008
	s_waitcnt vmcnt(53) lgkmcnt(1)
	v_mul_f64 v[42:43], v[4:5], v[125:126]
	s_waitcnt vmcnt(52)
	v_fma_f64 v[36:37], v[10:11], v[121:122], -v[36:37]
	v_mul_f64 v[30:31], v[2:3], v[125:126]
	v_fma_f64 v[32:33], v[12:13], v[121:122], v[32:33]
	ds_read_b128 v[10:13], v1 offset:1024
	v_add_f64 v[18:19], v[18:19], v[40:41]
	v_add_f64 v[14:15], v[14:15], v[34:35]
	s_waitcnt vmcnt(51) lgkmcnt(1)
	v_mul_f64 v[40:41], v[8:9], v[127:128]
	v_mul_f64 v[34:35], v[6:7], v[127:128]
	s_waitcnt vmcnt(49)
	v_fma_f64 v[42:43], v[2:3], v[131:132], -v[42:43]
	v_fma_f64 v[30:31], v[4:5], v[131:132], v[30:31]
	s_waitcnt vmcnt(45) lgkmcnt(0)
	v_mul_f64 v[123:124], v[12:13], v[133:134]
	v_mul_f64 v[121:122], v[10:11], v[133:134]
	v_add_f64 v[18:19], v[18:19], v[36:37]
	v_add_f64 v[14:15], v[14:15], v[32:33]
	s_clause 0x3
	buffer_load_dword v32, off, s[0:3], 0 offset:240
	buffer_load_dword v33, off, s[0:3], 0 offset:244
	;; [unrolled: 1-line block ×4, first 2 shown]
	s_waitcnt vmcnt(48)
	v_fma_f64 v[40:41], v[6:7], v[129:130], -v[40:41]
	ds_read_b128 v[2:5], v1 offset:1040
	v_fma_f64 v[34:35], v[8:9], v[129:130], v[34:35]
	ds_read_b128 v[6:9], v1 offset:1056
	s_waitcnt vmcnt(45)
	v_fma_f64 v[123:124], v[10:11], v[140:141], -v[123:124]
	v_add_f64 v[18:19], v[18:19], v[42:43]
	v_add_f64 v[14:15], v[14:15], v[30:31]
	s_waitcnt lgkmcnt(1)
	v_mul_f64 v[42:43], v[4:5], v[135:136]
	v_mul_f64 v[30:31], v[2:3], v[135:136]
	v_add_f64 v[18:19], v[18:19], v[40:41]
	v_fma_f64 v[40:41], v[12:13], v[140:141], v[121:122]
	v_add_f64 v[14:15], v[14:15], v[34:35]
	s_waitcnt vmcnt(41) lgkmcnt(0)
	v_mul_f64 v[121:122], v[8:9], v[142:143]
	s_waitcnt vmcnt(40)
	v_fma_f64 v[42:43], v[2:3], v[138:139], -v[42:43]
	ds_read_b128 v[10:13], v1 offset:1072
	v_mul_f64 v[34:35], v[6:7], v[142:143]
	v_fma_f64 v[30:31], v[4:5], v[138:139], v[30:31]
	ds_read_b128 v[2:5], v1 offset:1088
	v_add_f64 v[18:19], v[18:19], v[123:124]
	v_add_f64 v[14:15], v[14:15], v[40:41]
	s_waitcnt vmcnt(39) lgkmcnt(1)
	v_mul_f64 v[123:124], v[12:13], v[144:145]
	s_waitcnt vmcnt(37)
	v_fma_f64 v[121:122], v[6:7], v[148:149], -v[121:122]
	v_mul_f64 v[40:41], v[10:11], v[144:145]
	v_fma_f64 v[34:35], v[8:9], v[148:149], v[34:35]
	ds_read_b128 v[6:9], v1 offset:1104
	v_add_f64 v[18:19], v[18:19], v[42:43]
	s_waitcnt vmcnt(33) lgkmcnt(1)
	v_mul_f64 v[42:43], v[4:5], v[154:155]
	v_add_f64 v[14:15], v[14:15], v[30:31]
	s_waitcnt vmcnt(32)
	v_fma_f64 v[123:124], v[10:11], v[146:147], -v[123:124]
	v_mul_f64 v[30:31], v[2:3], v[154:155]
	v_fma_f64 v[40:41], v[12:13], v[146:147], v[40:41]
	ds_read_b128 v[10:13], v1 offset:1120
	v_add_f64 v[18:19], v[18:19], v[121:122]
	v_add_f64 v[14:15], v[14:15], v[34:35]
	s_waitcnt vmcnt(31) lgkmcnt(1)
	v_mul_f64 v[121:122], v[8:9], v[156:157]
	v_mul_f64 v[34:35], v[6:7], v[156:157]
	s_waitcnt vmcnt(29)
	v_fma_f64 v[42:43], v[2:3], v[152:153], -v[42:43]
	v_fma_f64 v[30:31], v[4:5], v[152:153], v[30:31]
	ds_read_b128 v[2:5], v1 offset:1136
	v_add_f64 v[18:19], v[18:19], v[123:124]
	v_add_f64 v[14:15], v[14:15], v[40:41]
	s_waitcnt vmcnt(25) lgkmcnt(1)
	v_mul_f64 v[40:41], v[10:11], v[20:21]
	v_mul_f64 v[20:21], v[12:13], v[20:21]
	s_waitcnt vmcnt(24)
	v_fma_f64 v[121:122], v[6:7], v[158:159], -v[121:122]
	;; [unrolled: 9-line block ×4, first 2 shown]
	v_add_f64 v[18:19], v[18:19], v[20:21]
	v_fma_f64 v[20:21], v[4:5], v[165:166], v[30:31]
	v_add_f64 v[14:15], v[14:15], v[16:17]
	ds_read_b128 v[2:5], v1 offset:1184
	s_waitcnt vmcnt(15) lgkmcnt(1)
	v_mul_f64 v[30:31], v[12:13], v[150:151]
	v_mul_f64 v[16:17], v[10:11], v[150:151]
	s_waitcnt vmcnt(13)
	v_fma_f64 v[28:29], v[6:7], v[26:27], -v[28:29]
	v_fma_f64 v[26:27], v[8:9], v[26:27], v[34:35]
	ds_read_b128 v[6:9], v1 offset:1200
	v_add_f64 v[18:19], v[18:19], v[40:41]
	v_add_f64 v[14:15], v[14:15], v[20:21]
	s_waitcnt vmcnt(9) lgkmcnt(1)
	v_mul_f64 v[20:21], v[2:3], v[22:23]
	v_mul_f64 v[22:23], v[4:5], v[22:23]
	s_waitcnt vmcnt(8)
	v_fma_f64 v[10:11], v[10:11], v[167:168], -v[30:31]
	v_fma_f64 v[12:13], v[12:13], v[167:168], v[16:17]
	v_add_f64 v[18:19], v[18:19], v[28:29]
	v_add_f64 v[14:15], v[14:15], v[26:27]
	s_waitcnt vmcnt(7) lgkmcnt(0)
	v_mul_f64 v[26:27], v[8:9], v[38:39]
	v_mul_f64 v[16:17], v[6:7], v[38:39]
	s_waitcnt vmcnt(5)
	v_fma_f64 v[2:3], v[2:3], v[24:25], -v[22:23]
	v_fma_f64 v[4:5], v[4:5], v[24:25], v[20:21]
	v_add_f64 v[10:11], v[18:19], v[10:11]
	v_add_f64 v[12:13], v[14:15], v[12:13]
	s_waitcnt vmcnt(4)
	v_fma_f64 v[6:7], v[6:7], v[162:163], -v[26:27]
	v_fma_f64 v[8:9], v[8:9], v[162:163], v[16:17]
	v_add_f64 v[2:3], v[10:11], v[2:3]
	v_add_f64 v[4:5], v[12:13], v[4:5]
	;; [unrolled: 1-line block ×4, first 2 shown]
	s_waitcnt vmcnt(2)
	v_add_f64 v[2:3], v[32:33], -v[2:3]
	s_waitcnt vmcnt(0)
	v_add_f64 v[4:5], v[36:37], -v[4:5]
	buffer_store_dword v3, off, s[0:3], 0 offset:244
	buffer_store_dword v2, off, s[0:3], 0 offset:240
	;; [unrolled: 1-line block ×4, first 2 shown]
	v_cmpx_lt_u32_e32 13, v0
	s_cbranch_execz .LBB37_215
; %bb.214:
	v_mov_b32_e32 v5, s37
	s_clause 0x3
	buffer_load_dword v2, v5, s[0:3], 0 offen
	buffer_load_dword v3, v5, s[0:3], 0 offen offset:4
	buffer_load_dword v4, v5, s[0:3], 0 offen offset:8
	;; [unrolled: 1-line block ×3, first 2 shown]
	buffer_store_dword v1, off, s[0:3], 0 offset:224
	buffer_store_dword v1, off, s[0:3], 0 offset:228
	;; [unrolled: 1-line block ×4, first 2 shown]
	s_waitcnt vmcnt(0)
	ds_write_b128 v137, v[2:5]
.LBB37_215:
	s_or_b32 exec_lo, exec_lo, s4
	s_waitcnt lgkmcnt(0)
	s_waitcnt_vscnt null, 0x0
	s_barrier
	buffer_gl0_inv
	s_clause 0x37
	buffer_load_dword v10, off, s[0:3], 0 offset:248
	buffer_load_dword v11, off, s[0:3], 0 offset:252
	;; [unrolled: 1-line block ×56, first 2 shown]
	ds_read_b128 v[2:5], v1 offset:832
	s_clause 0x2
	buffer_load_dword v145, off, s[0:3], 0 offset:476
	buffer_load_dword v149, off, s[0:3], 0 offset:452
	;; [unrolled: 1-line block ×3, first 2 shown]
	ds_read_b128 v[6:9], v1 offset:848
	s_clause 0x4
	buffer_load_dword v155, off, s[0:3], 0 offset:492
	buffer_load_dword v156, off, s[0:3], 0 offset:504
	;; [unrolled: 1-line block ×5, first 2 shown]
	s_mov_b32 s4, exec_lo
	s_waitcnt vmcnt(62) lgkmcnt(1)
	v_mul_f64 v[150:151], v[4:5], v[10:11]
	v_mul_f64 v[152:153], v[2:3], v[10:11]
	s_waitcnt vmcnt(60) lgkmcnt(0)
	v_mul_f64 v[159:160], v[8:9], v[14:15]
	ds_read_b128 v[10:13], v1 offset:864
	v_mul_f64 v[14:15], v[6:7], v[14:15]
	s_waitcnt vmcnt(58)
	v_fma_f64 v[150:151], v[2:3], v[16:17], -v[150:151]
	v_fma_f64 v[16:17], v[4:5], v[16:17], v[152:153]
	s_clause 0x2
	buffer_load_dword v157, off, s[0:3], 0 offset:508
	buffer_load_dword v153, off, s[0:3], 0 offset:484
	;; [unrolled: 1-line block ×3, first 2 shown]
	s_waitcnt vmcnt(59) lgkmcnt(0)
	v_mul_f64 v[161:162], v[10:11], v[18:19]
	v_mul_f64 v[18:19], v[12:13], v[18:19]
	s_waitcnt vmcnt(57)
	v_fma_f64 v[163:164], v[6:7], v[20:21], -v[159:160]
	ds_read_b128 v[2:5], v1 offset:880
	v_fma_f64 v[14:15], v[8:9], v[20:21], v[14:15]
	s_clause 0x4
	buffer_load_dword v21, off, s[0:3], 0 offset:524
	buffer_load_dword v160, off, s[0:3], 0 offset:536
	;; [unrolled: 1-line block ×5, first 2 shown]
	ds_read_b128 v[6:9], v1 offset:896
	v_add_f64 v[150:151], v[150:151], 0
	v_add_f64 v[16:17], v[16:17], 0
	s_waitcnt vmcnt(58) lgkmcnt(1)
	v_mul_f64 v[166:167], v[2:3], v[22:23]
	v_mul_f64 v[22:23], v[4:5], v[22:23]
	s_waitcnt vmcnt(56)
	v_fma_f64 v[18:19], v[10:11], v[28:29], -v[18:19]
	v_fma_f64 v[28:29], v[12:13], v[28:29], v[161:162]
	v_add_f64 v[150:151], v[150:151], v[163:164]
	v_add_f64 v[14:15], v[16:17], v[14:15]
	s_clause 0x2
	buffer_load_dword v161, off, s[0:3], 0 offset:540
	buffer_load_dword v17, off, s[0:3], 0 offset:516
	;; [unrolled: 1-line block ×3, first 2 shown]
	s_waitcnt vmcnt(58) lgkmcnt(0)
	v_mul_f64 v[162:163], v[6:7], v[24:25]
	v_mul_f64 v[24:25], v[8:9], v[24:25]
	s_waitcnt vmcnt(56)
	v_fma_f64 v[22:23], v[2:3], v[30:31], -v[22:23]
	ds_read_b128 v[10:13], v1 offset:912
	v_fma_f64 v[30:31], v[4:5], v[30:31], v[166:167]
	v_add_f64 v[18:19], v[150:151], v[18:19]
	v_add_f64 v[14:15], v[14:15], v[28:29]
	s_clause 0x4
	buffer_load_dword v29, off, s[0:3], 0 offset:556
	buffer_load_dword v150, off, s[0:3], 0 offset:568
	;; [unrolled: 1-line block ×5, first 2 shown]
	ds_read_b128 v[2:5], v1 offset:928
	s_waitcnt vmcnt(57) lgkmcnt(1)
	v_mul_f64 v[168:169], v[10:11], v[32:33]
	v_mul_f64 v[32:33], v[12:13], v[32:33]
	s_waitcnt vmcnt(56)
	v_fma_f64 v[24:25], v[6:7], v[26:27], -v[24:25]
	v_add_f64 v[18:19], v[18:19], v[22:23]
	v_fma_f64 v[22:23], v[8:9], v[26:27], v[162:163]
	v_add_f64 v[14:15], v[14:15], v[30:31]
	s_clause 0x2
	buffer_load_dword v151, off, s[0:3], 0 offset:572
	buffer_load_dword v27, off, s[0:3], 0 offset:548
	;; [unrolled: 1-line block ×3, first 2 shown]
	s_waitcnt vmcnt(58) lgkmcnt(0)
	v_mul_f64 v[30:31], v[2:3], v[34:35]
	v_mul_f64 v[34:35], v[4:5], v[34:35]
	s_waitcnt vmcnt(56)
	v_fma_f64 v[32:33], v[10:11], v[38:39], -v[32:33]
	ds_read_b128 v[6:9], v1 offset:944
	v_add_f64 v[18:19], v[18:19], v[24:25]
	v_fma_f64 v[24:25], v[12:13], v[38:39], v[168:169]
	v_add_f64 v[14:15], v[14:15], v[22:23]
	s_clause 0x4
	buffer_load_dword v23, off, s[0:3], 0 offset:588
	buffer_load_dword v38, off, s[0:3], 0 offset:600
	;; [unrolled: 1-line block ×5, first 2 shown]
	ds_read_b128 v[10:13], v1 offset:960
	s_waitcnt vmcnt(57) lgkmcnt(1)
	v_mul_f64 v[163:164], v[6:7], v[40:41]
	v_mul_f64 v[40:41], v[8:9], v[40:41]
	s_waitcnt vmcnt(56)
	v_fma_f64 v[34:35], v[2:3], v[36:37], -v[34:35]
	v_fma_f64 v[30:31], v[4:5], v[36:37], v[30:31]
	v_add_f64 v[18:19], v[18:19], v[32:33]
	v_add_f64 v[14:15], v[14:15], v[24:25]
	s_clause 0x2
	buffer_load_dword v39, off, s[0:3], 0 offset:604
	buffer_load_dword v25, off, s[0:3], 0 offset:580
	;; [unrolled: 1-line block ×3, first 2 shown]
	s_waitcnt vmcnt(58) lgkmcnt(0)
	v_mul_f64 v[36:37], v[12:13], v[42:43]
	ds_read_b128 v[2:5], v1 offset:976
	s_waitcnt vmcnt(56)
	v_fma_f64 v[40:41], v[6:7], v[123:124], -v[40:41]
	v_mul_f64 v[32:33], v[10:11], v[42:43]
	v_add_f64 v[18:19], v[18:19], v[34:35]
	v_fma_f64 v[34:35], v[8:9], v[123:124], v[163:164]
	v_add_f64 v[14:15], v[14:15], v[30:31]
	s_clause 0x2
	buffer_load_dword v31, off, s[0:3], 0 offset:620
	buffer_load_dword v30, off, s[0:3], 0 offset:616
	;; [unrolled: 1-line block ×3, first 2 shown]
	s_waitcnt vmcnt(55) lgkmcnt(0)
	v_mul_f64 v[123:124], v[4:5], v[125:126]
	s_waitcnt vmcnt(54)
	v_fma_f64 v[36:37], v[10:11], v[121:122], -v[36:37]
	ds_read_b128 v[6:9], v1 offset:992
	v_mul_f64 v[42:43], v[2:3], v[125:126]
	v_fma_f64 v[32:33], v[12:13], v[121:122], v[32:33]
	v_add_f64 v[18:19], v[18:19], v[40:41]
	v_add_f64 v[14:15], v[14:15], v[34:35]
	s_clause 0x1
	buffer_load_dword v35, off, s[0:3], 0 offset:612
	buffer_load_dword v34, off, s[0:3], 0 offset:608
	s_waitcnt vmcnt(55) lgkmcnt(0)
	v_mul_f64 v[121:122], v[8:9], v[127:128]
	s_waitcnt vmcnt(53)
	v_fma_f64 v[123:124], v[2:3], v[131:132], -v[123:124]
	ds_read_b128 v[10:13], v1 offset:1008
	v_mul_f64 v[40:41], v[6:7], v[127:128]
	v_add_f64 v[18:19], v[18:19], v[36:37]
	v_fma_f64 v[36:37], v[4:5], v[131:132], v[42:43]
	v_add_f64 v[14:15], v[14:15], v[32:33]
	ds_read_b128 v[2:5], v1 offset:1024
	s_waitcnt vmcnt(49) lgkmcnt(1)
	v_mul_f64 v[42:43], v[12:13], v[133:134]
	s_waitcnt vmcnt(48)
	v_fma_f64 v[121:122], v[6:7], v[129:130], -v[121:122]
	v_mul_f64 v[32:33], v[10:11], v[133:134]
	v_fma_f64 v[40:41], v[8:9], v[129:130], v[40:41]
	v_add_f64 v[18:19], v[18:19], v[123:124]
	s_waitcnt vmcnt(47) lgkmcnt(0)
	v_mul_f64 v[127:128], v[4:5], v[135:136]
	v_add_f64 v[14:15], v[14:15], v[36:37]
	s_clause 0x3
	buffer_load_dword v36, off, s[0:3], 0 offset:224
	buffer_load_dword v37, off, s[0:3], 0 offset:228
	;; [unrolled: 1-line block ×4, first 2 shown]
	s_waitcnt vmcnt(49)
	v_fma_f64 v[42:43], v[10:11], v[140:141], -v[42:43]
	ds_read_b128 v[6:9], v1 offset:1040
	v_mul_f64 v[125:126], v[2:3], v[135:136]
	v_fma_f64 v[32:33], v[12:13], v[140:141], v[32:33]
	ds_read_b128 v[10:13], v1 offset:1056
	v_add_f64 v[18:19], v[18:19], v[121:122]
	s_waitcnt vmcnt(44)
	v_fma_f64 v[127:128], v[2:3], v[138:139], -v[127:128]
	v_add_f64 v[14:15], v[14:15], v[40:41]
	s_waitcnt lgkmcnt(1)
	v_mul_f64 v[121:122], v[8:9], v[142:143]
	v_mul_f64 v[40:41], v[6:7], v[142:143]
	v_add_f64 v[18:19], v[18:19], v[42:43]
	v_fma_f64 v[42:43], v[4:5], v[138:139], v[125:126]
	v_add_f64 v[14:15], v[14:15], v[32:33]
	s_waitcnt vmcnt(43) lgkmcnt(0)
	v_mul_f64 v[125:126], v[12:13], v[144:145]
	s_waitcnt vmcnt(41)
	v_fma_f64 v[121:122], v[6:7], v[148:149], -v[121:122]
	ds_read_b128 v[2:5], v1 offset:1072
	v_mul_f64 v[32:33], v[10:11], v[144:145]
	v_fma_f64 v[40:41], v[8:9], v[148:149], v[40:41]
	ds_read_b128 v[6:9], v1 offset:1088
	v_add_f64 v[18:19], v[18:19], v[127:128]
	v_add_f64 v[14:15], v[14:15], v[42:43]
	s_waitcnt vmcnt(37) lgkmcnt(1)
	v_mul_f64 v[127:128], v[4:5], v[154:155]
	s_waitcnt vmcnt(36)
	v_fma_f64 v[125:126], v[10:11], v[146:147], -v[125:126]
	v_mul_f64 v[42:43], v[2:3], v[154:155]
	v_fma_f64 v[32:33], v[12:13], v[146:147], v[32:33]
	ds_read_b128 v[10:13], v1 offset:1104
	v_add_f64 v[18:19], v[18:19], v[121:122]
	v_add_f64 v[14:15], v[14:15], v[40:41]
	s_waitcnt vmcnt(35) lgkmcnt(1)
	v_mul_f64 v[121:122], v[8:9], v[156:157]
	v_mul_f64 v[40:41], v[6:7], v[156:157]
	s_waitcnt vmcnt(33)
	v_fma_f64 v[127:128], v[2:3], v[152:153], -v[127:128]
	v_fma_f64 v[42:43], v[4:5], v[152:153], v[42:43]
	ds_read_b128 v[2:5], v1 offset:1120
	v_add_f64 v[18:19], v[18:19], v[125:126]
	v_add_f64 v[14:15], v[14:15], v[32:33]
	s_waitcnt vmcnt(29) lgkmcnt(1)
	v_mul_f64 v[32:33], v[10:11], v[20:21]
	v_mul_f64 v[20:21], v[12:13], v[20:21]
	s_waitcnt vmcnt(28)
	v_fma_f64 v[121:122], v[6:7], v[158:159], -v[121:122]
	;; [unrolled: 9-line block ×4, first 2 shown]
	v_add_f64 v[18:19], v[18:19], v[20:21]
	v_fma_f64 v[20:21], v[4:5], v[165:166], v[42:43]
	v_add_f64 v[14:15], v[14:15], v[16:17]
	ds_read_b128 v[2:5], v1 offset:1168
	s_waitcnt vmcnt(19) lgkmcnt(1)
	v_mul_f64 v[42:43], v[12:13], v[150:151]
	v_mul_f64 v[16:17], v[10:11], v[150:151]
	s_waitcnt vmcnt(17)
	v_fma_f64 v[28:29], v[6:7], v[26:27], -v[28:29]
	v_fma_f64 v[26:27], v[8:9], v[26:27], v[32:33]
	ds_read_b128 v[6:9], v1 offset:1184
	v_add_f64 v[18:19], v[18:19], v[40:41]
	v_add_f64 v[14:15], v[14:15], v[20:21]
	s_waitcnt vmcnt(13) lgkmcnt(1)
	v_mul_f64 v[20:21], v[2:3], v[22:23]
	v_mul_f64 v[22:23], v[4:5], v[22:23]
	s_waitcnt vmcnt(12)
	v_fma_f64 v[32:33], v[10:11], v[167:168], -v[42:43]
	v_fma_f64 v[16:17], v[12:13], v[167:168], v[16:17]
	ds_read_b128 v[10:13], v1 offset:1200
	v_add_f64 v[18:19], v[18:19], v[28:29]
	v_add_f64 v[14:15], v[14:15], v[26:27]
	s_waitcnt vmcnt(11) lgkmcnt(1)
	v_mul_f64 v[28:29], v[8:9], v[38:39]
	v_mul_f64 v[26:27], v[6:7], v[38:39]
	s_waitcnt vmcnt(9)
	v_fma_f64 v[1:2], v[2:3], v[24:25], -v[22:23]
	v_fma_f64 v[3:4], v[4:5], v[24:25], v[20:21]
	v_add_f64 v[18:19], v[18:19], v[32:33]
	v_add_f64 v[14:15], v[14:15], v[16:17]
	s_waitcnt vmcnt(7) lgkmcnt(0)
	v_mul_f64 v[20:21], v[12:13], v[30:31]
	s_waitcnt vmcnt(6)
	v_fma_f64 v[5:6], v[6:7], v[162:163], -v[28:29]
	v_mul_f64 v[16:17], v[10:11], v[30:31]
	v_fma_f64 v[7:8], v[8:9], v[162:163], v[26:27]
	v_add_f64 v[1:2], v[18:19], v[1:2]
	v_add_f64 v[3:4], v[14:15], v[3:4]
	s_waitcnt vmcnt(4)
	v_fma_f64 v[9:10], v[10:11], v[34:35], -v[20:21]
	v_add_f64 v[1:2], v[1:2], v[5:6]
	v_fma_f64 v[5:6], v[12:13], v[34:35], v[16:17]
	v_add_f64 v[3:4], v[3:4], v[7:8]
	v_add_f64 v[1:2], v[1:2], v[9:10]
	;; [unrolled: 1-line block ×3, first 2 shown]
	s_waitcnt vmcnt(2)
	v_add_f64 v[1:2], v[36:37], -v[1:2]
	s_waitcnt vmcnt(0)
	v_add_f64 v[3:4], v[123:124], -v[3:4]
	buffer_store_dword v2, off, s[0:3], 0 offset:228
	buffer_store_dword v1, off, s[0:3], 0 offset:224
	;; [unrolled: 1-line block ×4, first 2 shown]
	v_cmpx_lt_u32_e32 12, v0
	s_cbranch_execz .LBB37_217
; %bb.216:
	v_mov_b32_e32 v4, s38
	v_mov_b32_e32 v5, 0
	s_clause 0x3
	buffer_load_dword v1, v4, s[0:3], 0 offen
	buffer_load_dword v2, v4, s[0:3], 0 offen offset:4
	buffer_load_dword v3, v4, s[0:3], 0 offen offset:8
	;; [unrolled: 1-line block ×3, first 2 shown]
	buffer_store_dword v5, off, s[0:3], 0 offset:208
	buffer_store_dword v5, off, s[0:3], 0 offset:212
	;; [unrolled: 1-line block ×4, first 2 shown]
	s_waitcnt vmcnt(0)
	ds_write_b128 v137, v[1:4]
.LBB37_217:
	s_or_b32 exec_lo, exec_lo, s4
	s_waitcnt lgkmcnt(0)
	s_waitcnt_vscnt null, 0x0
	s_barrier
	buffer_gl0_inv
	s_clause 0x37
	buffer_load_dword v10, off, s[0:3], 0 offset:232
	buffer_load_dword v11, off, s[0:3], 0 offset:236
	;; [unrolled: 1-line block ×56, first 2 shown]
	v_mov_b32_e32 v1, 0
	s_mov_b32 s4, exec_lo
	ds_read_b128 v[2:5], v1 offset:816
	s_clause 0x2
	buffer_load_dword v145, off, s[0:3], 0 offset:460
	buffer_load_dword v149, off, s[0:3], 0 offset:436
	;; [unrolled: 1-line block ×3, first 2 shown]
	ds_read_b128 v[6:9], v1 offset:832
	s_clause 0x4
	buffer_load_dword v155, off, s[0:3], 0 offset:476
	buffer_load_dword v156, off, s[0:3], 0 offset:488
	;; [unrolled: 1-line block ×5, first 2 shown]
	s_waitcnt vmcnt(62) lgkmcnt(1)
	v_mul_f64 v[150:151], v[4:5], v[10:11]
	v_mul_f64 v[152:153], v[2:3], v[10:11]
	s_waitcnt vmcnt(60) lgkmcnt(0)
	v_mul_f64 v[159:160], v[8:9], v[14:15]
	ds_read_b128 v[10:13], v1 offset:848
	v_mul_f64 v[14:15], v[6:7], v[14:15]
	s_waitcnt vmcnt(58)
	v_fma_f64 v[150:151], v[2:3], v[16:17], -v[150:151]
	v_fma_f64 v[16:17], v[4:5], v[16:17], v[152:153]
	s_clause 0x2
	buffer_load_dword v157, off, s[0:3], 0 offset:492
	buffer_load_dword v153, off, s[0:3], 0 offset:468
	;; [unrolled: 1-line block ×3, first 2 shown]
	s_waitcnt vmcnt(59) lgkmcnt(0)
	v_mul_f64 v[161:162], v[10:11], v[18:19]
	v_mul_f64 v[18:19], v[12:13], v[18:19]
	s_waitcnt vmcnt(57)
	v_fma_f64 v[163:164], v[6:7], v[20:21], -v[159:160]
	ds_read_b128 v[2:5], v1 offset:864
	v_fma_f64 v[14:15], v[8:9], v[20:21], v[14:15]
	s_clause 0x4
	buffer_load_dword v21, off, s[0:3], 0 offset:508
	buffer_load_dword v160, off, s[0:3], 0 offset:520
	;; [unrolled: 1-line block ×5, first 2 shown]
	ds_read_b128 v[6:9], v1 offset:880
	v_add_f64 v[150:151], v[150:151], 0
	v_add_f64 v[16:17], v[16:17], 0
	s_waitcnt vmcnt(58) lgkmcnt(1)
	v_mul_f64 v[166:167], v[2:3], v[22:23]
	v_mul_f64 v[22:23], v[4:5], v[22:23]
	s_waitcnt vmcnt(56)
	v_fma_f64 v[18:19], v[10:11], v[28:29], -v[18:19]
	v_fma_f64 v[28:29], v[12:13], v[28:29], v[161:162]
	v_add_f64 v[150:151], v[150:151], v[163:164]
	v_add_f64 v[14:15], v[16:17], v[14:15]
	s_clause 0x2
	buffer_load_dword v161, off, s[0:3], 0 offset:524
	buffer_load_dword v17, off, s[0:3], 0 offset:500
	;; [unrolled: 1-line block ×3, first 2 shown]
	s_waitcnt vmcnt(58) lgkmcnt(0)
	v_mul_f64 v[162:163], v[6:7], v[24:25]
	v_mul_f64 v[24:25], v[8:9], v[24:25]
	s_waitcnt vmcnt(56)
	v_fma_f64 v[22:23], v[2:3], v[30:31], -v[22:23]
	ds_read_b128 v[10:13], v1 offset:896
	v_fma_f64 v[30:31], v[4:5], v[30:31], v[166:167]
	v_add_f64 v[18:19], v[150:151], v[18:19]
	v_add_f64 v[14:15], v[14:15], v[28:29]
	s_clause 0x4
	buffer_load_dword v29, off, s[0:3], 0 offset:540
	buffer_load_dword v150, off, s[0:3], 0 offset:552
	;; [unrolled: 1-line block ×5, first 2 shown]
	ds_read_b128 v[2:5], v1 offset:912
	s_waitcnt vmcnt(57) lgkmcnt(1)
	v_mul_f64 v[168:169], v[10:11], v[32:33]
	v_mul_f64 v[32:33], v[12:13], v[32:33]
	s_waitcnt vmcnt(56)
	v_fma_f64 v[24:25], v[6:7], v[26:27], -v[24:25]
	v_add_f64 v[18:19], v[18:19], v[22:23]
	v_fma_f64 v[22:23], v[8:9], v[26:27], v[162:163]
	v_add_f64 v[14:15], v[14:15], v[30:31]
	s_clause 0x2
	buffer_load_dword v151, off, s[0:3], 0 offset:556
	buffer_load_dword v27, off, s[0:3], 0 offset:532
	;; [unrolled: 1-line block ×3, first 2 shown]
	s_waitcnt vmcnt(58) lgkmcnt(0)
	v_mul_f64 v[30:31], v[2:3], v[34:35]
	v_mul_f64 v[34:35], v[4:5], v[34:35]
	s_waitcnt vmcnt(56)
	v_fma_f64 v[32:33], v[10:11], v[38:39], -v[32:33]
	ds_read_b128 v[6:9], v1 offset:928
	v_add_f64 v[18:19], v[18:19], v[24:25]
	v_fma_f64 v[24:25], v[12:13], v[38:39], v[168:169]
	v_add_f64 v[14:15], v[14:15], v[22:23]
	s_clause 0x4
	buffer_load_dword v23, off, s[0:3], 0 offset:572
	buffer_load_dword v38, off, s[0:3], 0 offset:584
	;; [unrolled: 1-line block ×5, first 2 shown]
	ds_read_b128 v[10:13], v1 offset:944
	s_waitcnt vmcnt(57) lgkmcnt(1)
	v_mul_f64 v[163:164], v[6:7], v[40:41]
	v_mul_f64 v[40:41], v[8:9], v[40:41]
	s_waitcnt vmcnt(56)
	v_fma_f64 v[34:35], v[2:3], v[36:37], -v[34:35]
	v_fma_f64 v[30:31], v[4:5], v[36:37], v[30:31]
	v_add_f64 v[18:19], v[18:19], v[32:33]
	v_add_f64 v[14:15], v[14:15], v[24:25]
	s_clause 0x2
	buffer_load_dword v39, off, s[0:3], 0 offset:588
	buffer_load_dword v25, off, s[0:3], 0 offset:564
	;; [unrolled: 1-line block ×3, first 2 shown]
	s_waitcnt vmcnt(58) lgkmcnt(0)
	v_mul_f64 v[36:37], v[12:13], v[42:43]
	ds_read_b128 v[2:5], v1 offset:960
	s_waitcnt vmcnt(56)
	v_fma_f64 v[40:41], v[6:7], v[123:124], -v[40:41]
	v_mul_f64 v[32:33], v[10:11], v[42:43]
	v_add_f64 v[18:19], v[18:19], v[34:35]
	v_fma_f64 v[34:35], v[8:9], v[123:124], v[163:164]
	v_add_f64 v[14:15], v[14:15], v[30:31]
	s_clause 0x4
	buffer_load_dword v31, off, s[0:3], 0 offset:604
	buffer_load_dword v42, off, s[0:3], 0 offset:616
	;; [unrolled: 1-line block ×5, first 2 shown]
	s_waitcnt vmcnt(57) lgkmcnt(0)
	v_mul_f64 v[169:170], v[2:3], v[125:126]
	v_mul_f64 v[124:125], v[4:5], v[125:126]
	s_waitcnt vmcnt(56)
	v_fma_f64 v[36:37], v[10:11], v[121:122], -v[36:37]
	ds_read_b128 v[6:9], v1 offset:976
	v_fma_f64 v[32:33], v[12:13], v[121:122], v[32:33]
	v_add_f64 v[18:19], v[18:19], v[40:41]
	v_add_f64 v[14:15], v[14:15], v[34:35]
	s_clause 0x2
	buffer_load_dword v43, off, s[0:3], 0 offset:620
	buffer_load_dword v35, off, s[0:3], 0 offset:596
	;; [unrolled: 1-line block ×3, first 2 shown]
	ds_read_b128 v[10:13], v1 offset:992
	s_waitcnt vmcnt(58) lgkmcnt(1)
	v_mul_f64 v[121:122], v[8:9], v[127:128]
	s_waitcnt vmcnt(56)
	v_fma_f64 v[125:126], v[2:3], v[131:132], -v[124:125]
	v_mul_f64 v[40:41], v[6:7], v[127:128]
	buffer_load_dword v124, off, s[0:3], 0 offset:612
	v_add_f64 v[18:19], v[18:19], v[36:37]
	v_fma_f64 v[36:37], v[4:5], v[131:132], v[169:170]
	v_add_f64 v[14:15], v[14:15], v[32:33]
	ds_read_b128 v[2:5], v1 offset:1008
	s_waitcnt vmcnt(53) lgkmcnt(1)
	v_mul_f64 v[127:128], v[12:13], v[133:134]
	s_waitcnt vmcnt(52)
	v_fma_f64 v[121:122], v[6:7], v[129:130], -v[121:122]
	v_mul_f64 v[32:33], v[10:11], v[133:134]
	v_fma_f64 v[40:41], v[8:9], v[129:130], v[40:41]
	ds_read_b128 v[6:9], v1 offset:1024
	v_add_f64 v[18:19], v[18:19], v[125:126]
	s_waitcnt vmcnt(51) lgkmcnt(1)
	v_mul_f64 v[125:126], v[4:5], v[135:136]
	v_add_f64 v[14:15], v[14:15], v[36:37]
	v_mul_f64 v[36:37], v[2:3], v[135:136]
	s_waitcnt vmcnt(49)
	v_fma_f64 v[127:128], v[10:11], v[140:141], -v[127:128]
	v_fma_f64 v[32:33], v[12:13], v[140:141], v[32:33]
	s_waitcnt vmcnt(45) lgkmcnt(0)
	v_mul_f64 v[131:132], v[8:9], v[142:143]
	v_mul_f64 v[129:130], v[6:7], v[142:143]
	v_add_f64 v[18:19], v[18:19], v[121:122]
	s_waitcnt vmcnt(44)
	v_fma_f64 v[125:126], v[2:3], v[138:139], -v[125:126]
	v_add_f64 v[14:15], v[14:15], v[40:41]
	s_clause 0x3
	buffer_load_dword v40, off, s[0:3], 0 offset:208
	buffer_load_dword v41, off, s[0:3], 0 offset:212
	;; [unrolled: 1-line block ×4, first 2 shown]
	ds_read_b128 v[10:13], v1 offset:1040
	v_fma_f64 v[36:37], v[4:5], v[138:139], v[36:37]
	ds_read_b128 v[2:5], v1 offset:1056
	s_waitcnt vmcnt(45)
	v_fma_f64 v[131:132], v[6:7], v[148:149], -v[131:132]
	v_add_f64 v[18:19], v[18:19], v[127:128]
	v_add_f64 v[14:15], v[14:15], v[32:33]
	s_waitcnt lgkmcnt(1)
	v_mul_f64 v[127:128], v[12:13], v[144:145]
	v_mul_f64 v[32:33], v[10:11], v[144:145]
	v_add_f64 v[18:19], v[18:19], v[125:126]
	v_fma_f64 v[125:126], v[8:9], v[148:149], v[129:130]
	v_add_f64 v[14:15], v[14:15], v[36:37]
	s_waitcnt vmcnt(41) lgkmcnt(0)
	v_mul_f64 v[129:130], v[4:5], v[154:155]
	s_waitcnt vmcnt(40)
	v_fma_f64 v[127:128], v[10:11], v[146:147], -v[127:128]
	ds_read_b128 v[6:9], v1 offset:1072
	v_mul_f64 v[36:37], v[2:3], v[154:155]
	v_fma_f64 v[32:33], v[12:13], v[146:147], v[32:33]
	ds_read_b128 v[10:13], v1 offset:1088
	v_add_f64 v[18:19], v[18:19], v[131:132]
	v_add_f64 v[14:15], v[14:15], v[125:126]
	s_waitcnt vmcnt(39) lgkmcnt(1)
	v_mul_f64 v[131:132], v[8:9], v[156:157]
	v_mul_f64 v[125:126], v[6:7], v[156:157]
	s_waitcnt vmcnt(37)
	v_fma_f64 v[129:130], v[2:3], v[152:153], -v[129:130]
	v_fma_f64 v[36:37], v[4:5], v[152:153], v[36:37]
	ds_read_b128 v[2:5], v1 offset:1104
	v_add_f64 v[18:19], v[18:19], v[127:128]
	v_add_f64 v[14:15], v[14:15], v[32:33]
	s_waitcnt vmcnt(33) lgkmcnt(1)
	v_mul_f64 v[32:33], v[10:11], v[20:21]
	v_mul_f64 v[20:21], v[12:13], v[20:21]
	s_waitcnt vmcnt(32)
	v_fma_f64 v[127:128], v[6:7], v[158:159], -v[131:132]
	v_fma_f64 v[125:126], v[8:9], v[158:159], v[125:126]
	ds_read_b128 v[6:9], v1 offset:1120
	v_add_f64 v[18:19], v[18:19], v[129:130]
	v_add_f64 v[14:15], v[14:15], v[36:37]
	s_waitcnt vmcnt(31) lgkmcnt(1)
	v_mul_f64 v[129:130], v[4:5], v[160:161]
	v_mul_f64 v[36:37], v[2:3], v[160:161]
	s_waitcnt vmcnt(29)
	v_fma_f64 v[20:21], v[10:11], v[16:17], -v[20:21]
	v_fma_f64 v[16:17], v[12:13], v[16:17], v[32:33]
	ds_read_b128 v[10:13], v1 offset:1136
	v_add_f64 v[18:19], v[18:19], v[127:128]
	v_add_f64 v[14:15], v[14:15], v[125:126]
	s_waitcnt vmcnt(25) lgkmcnt(1)
	v_mul_f64 v[32:33], v[6:7], v[28:29]
	v_mul_f64 v[28:29], v[8:9], v[28:29]
	s_waitcnt vmcnt(24)
	v_fma_f64 v[125:126], v[2:3], v[165:166], -v[129:130]
	v_add_f64 v[18:19], v[18:19], v[20:21]
	v_fma_f64 v[20:21], v[4:5], v[165:166], v[36:37]
	v_add_f64 v[14:15], v[14:15], v[16:17]
	ds_read_b128 v[2:5], v1 offset:1152
	s_waitcnt vmcnt(23) lgkmcnt(1)
	v_mul_f64 v[36:37], v[12:13], v[150:151]
	v_mul_f64 v[16:17], v[10:11], v[150:151]
	s_waitcnt vmcnt(21)
	v_fma_f64 v[28:29], v[6:7], v[26:27], -v[28:29]
	v_fma_f64 v[26:27], v[8:9], v[26:27], v[32:33]
	ds_read_b128 v[6:9], v1 offset:1168
	v_add_f64 v[18:19], v[18:19], v[125:126]
	v_add_f64 v[14:15], v[14:15], v[20:21]
	s_waitcnt vmcnt(17) lgkmcnt(1)
	v_mul_f64 v[20:21], v[2:3], v[22:23]
	v_mul_f64 v[22:23], v[4:5], v[22:23]
	s_waitcnt vmcnt(16)
	v_fma_f64 v[32:33], v[10:11], v[167:168], -v[36:37]
	v_fma_f64 v[16:17], v[12:13], v[167:168], v[16:17]
	ds_read_b128 v[10:13], v1 offset:1184
	v_add_f64 v[18:19], v[18:19], v[28:29]
	v_add_f64 v[14:15], v[14:15], v[26:27]
	;; [unrolled: 9-line block ×3, first 2 shown]
	s_waitcnt vmcnt(9) lgkmcnt(1)
	v_mul_f64 v[24:25], v[12:13], v[30:31]
	s_waitcnt vmcnt(8)
	v_fma_f64 v[6:7], v[6:7], v[162:163], -v[28:29]
	v_mul_f64 v[16:17], v[10:11], v[30:31]
	v_fma_f64 v[8:9], v[8:9], v[162:163], v[26:27]
	v_add_f64 v[18:19], v[18:19], v[22:23]
	v_add_f64 v[14:15], v[14:15], v[20:21]
	s_waitcnt vmcnt(7) lgkmcnt(0)
	v_mul_f64 v[22:23], v[4:5], v[42:43]
	v_mul_f64 v[20:21], v[2:3], v[42:43]
	s_waitcnt vmcnt(5)
	v_fma_f64 v[10:11], v[10:11], v[34:35], -v[24:25]
	v_fma_f64 v[12:13], v[12:13], v[34:35], v[16:17]
	v_add_f64 v[6:7], v[18:19], v[6:7]
	v_add_f64 v[8:9], v[14:15], v[8:9]
	s_waitcnt vmcnt(4)
	v_fma_f64 v[2:3], v[2:3], v[123:124], -v[22:23]
	v_fma_f64 v[4:5], v[4:5], v[123:124], v[20:21]
	v_add_f64 v[6:7], v[6:7], v[10:11]
	v_add_f64 v[8:9], v[8:9], v[12:13]
	;; [unrolled: 1-line block ×4, first 2 shown]
	s_waitcnt vmcnt(2)
	v_add_f64 v[2:3], v[40:41], -v[2:3]
	s_waitcnt vmcnt(0)
	v_add_f64 v[4:5], v[121:122], -v[4:5]
	buffer_store_dword v3, off, s[0:3], 0 offset:212
	buffer_store_dword v2, off, s[0:3], 0 offset:208
	;; [unrolled: 1-line block ×4, first 2 shown]
	v_cmpx_lt_u32_e32 11, v0
	s_cbranch_execz .LBB37_219
; %bb.218:
	v_mov_b32_e32 v5, s39
	s_clause 0x3
	buffer_load_dword v2, v5, s[0:3], 0 offen
	buffer_load_dword v3, v5, s[0:3], 0 offen offset:4
	buffer_load_dword v4, v5, s[0:3], 0 offen offset:8
	;; [unrolled: 1-line block ×3, first 2 shown]
	buffer_store_dword v1, off, s[0:3], 0 offset:192
	buffer_store_dword v1, off, s[0:3], 0 offset:196
	;; [unrolled: 1-line block ×4, first 2 shown]
	s_waitcnt vmcnt(0)
	ds_write_b128 v137, v[2:5]
.LBB37_219:
	s_or_b32 exec_lo, exec_lo, s4
	s_waitcnt lgkmcnt(0)
	s_waitcnt_vscnt null, 0x0
	s_barrier
	buffer_gl0_inv
	s_clause 0x37
	buffer_load_dword v10, off, s[0:3], 0 offset:216
	buffer_load_dword v11, off, s[0:3], 0 offset:220
	;; [unrolled: 1-line block ×56, first 2 shown]
	ds_read_b128 v[2:5], v1 offset:800
	s_clause 0x2
	buffer_load_dword v145, off, s[0:3], 0 offset:444
	buffer_load_dword v149, off, s[0:3], 0 offset:420
	;; [unrolled: 1-line block ×3, first 2 shown]
	ds_read_b128 v[6:9], v1 offset:816
	s_clause 0x4
	buffer_load_dword v155, off, s[0:3], 0 offset:460
	buffer_load_dword v156, off, s[0:3], 0 offset:472
	;; [unrolled: 1-line block ×5, first 2 shown]
	s_mov_b32 s4, exec_lo
	s_waitcnt vmcnt(62) lgkmcnt(1)
	v_mul_f64 v[150:151], v[4:5], v[10:11]
	v_mul_f64 v[152:153], v[2:3], v[10:11]
	s_waitcnt vmcnt(60) lgkmcnt(0)
	v_mul_f64 v[159:160], v[8:9], v[14:15]
	ds_read_b128 v[10:13], v1 offset:832
	v_mul_f64 v[14:15], v[6:7], v[14:15]
	s_waitcnt vmcnt(58)
	v_fma_f64 v[150:151], v[2:3], v[16:17], -v[150:151]
	v_fma_f64 v[16:17], v[4:5], v[16:17], v[152:153]
	s_clause 0x2
	buffer_load_dword v157, off, s[0:3], 0 offset:476
	buffer_load_dword v153, off, s[0:3], 0 offset:452
	;; [unrolled: 1-line block ×3, first 2 shown]
	s_waitcnt vmcnt(59) lgkmcnt(0)
	v_mul_f64 v[161:162], v[10:11], v[18:19]
	v_mul_f64 v[18:19], v[12:13], v[18:19]
	s_waitcnt vmcnt(57)
	v_fma_f64 v[163:164], v[6:7], v[20:21], -v[159:160]
	ds_read_b128 v[2:5], v1 offset:848
	v_fma_f64 v[14:15], v[8:9], v[20:21], v[14:15]
	s_clause 0x4
	buffer_load_dword v21, off, s[0:3], 0 offset:492
	buffer_load_dword v160, off, s[0:3], 0 offset:504
	buffer_load_dword v165, off, s[0:3], 0 offset:496
	buffer_load_dword v20, off, s[0:3], 0 offset:488
	buffer_load_dword v159, off, s[0:3], 0 offset:468
	ds_read_b128 v[6:9], v1 offset:864
	v_add_f64 v[150:151], v[150:151], 0
	v_add_f64 v[16:17], v[16:17], 0
	s_waitcnt vmcnt(58) lgkmcnt(1)
	v_mul_f64 v[166:167], v[2:3], v[22:23]
	v_mul_f64 v[22:23], v[4:5], v[22:23]
	s_waitcnt vmcnt(56)
	v_fma_f64 v[18:19], v[10:11], v[28:29], -v[18:19]
	v_fma_f64 v[28:29], v[12:13], v[28:29], v[161:162]
	v_add_f64 v[150:151], v[150:151], v[163:164]
	v_add_f64 v[14:15], v[16:17], v[14:15]
	s_clause 0x2
	buffer_load_dword v161, off, s[0:3], 0 offset:508
	buffer_load_dword v17, off, s[0:3], 0 offset:484
	;; [unrolled: 1-line block ×3, first 2 shown]
	s_waitcnt vmcnt(58) lgkmcnt(0)
	v_mul_f64 v[162:163], v[6:7], v[24:25]
	v_mul_f64 v[24:25], v[8:9], v[24:25]
	s_waitcnt vmcnt(56)
	v_fma_f64 v[22:23], v[2:3], v[30:31], -v[22:23]
	ds_read_b128 v[10:13], v1 offset:880
	v_fma_f64 v[30:31], v[4:5], v[30:31], v[166:167]
	v_add_f64 v[18:19], v[150:151], v[18:19]
	v_add_f64 v[14:15], v[14:15], v[28:29]
	s_clause 0x4
	buffer_load_dword v29, off, s[0:3], 0 offset:524
	buffer_load_dword v150, off, s[0:3], 0 offset:536
	;; [unrolled: 1-line block ×5, first 2 shown]
	ds_read_b128 v[2:5], v1 offset:896
	s_waitcnt vmcnt(57) lgkmcnt(1)
	v_mul_f64 v[168:169], v[10:11], v[32:33]
	v_mul_f64 v[32:33], v[12:13], v[32:33]
	s_waitcnt vmcnt(56)
	v_fma_f64 v[24:25], v[6:7], v[26:27], -v[24:25]
	v_add_f64 v[18:19], v[18:19], v[22:23]
	v_fma_f64 v[22:23], v[8:9], v[26:27], v[162:163]
	v_add_f64 v[14:15], v[14:15], v[30:31]
	s_clause 0x2
	buffer_load_dword v151, off, s[0:3], 0 offset:540
	buffer_load_dword v27, off, s[0:3], 0 offset:516
	buffer_load_dword v26, off, s[0:3], 0 offset:512
	s_waitcnt vmcnt(58) lgkmcnt(0)
	v_mul_f64 v[30:31], v[2:3], v[34:35]
	v_mul_f64 v[34:35], v[4:5], v[34:35]
	s_waitcnt vmcnt(56)
	v_fma_f64 v[32:33], v[10:11], v[38:39], -v[32:33]
	ds_read_b128 v[6:9], v1 offset:912
	v_add_f64 v[18:19], v[18:19], v[24:25]
	v_fma_f64 v[24:25], v[12:13], v[38:39], v[168:169]
	v_add_f64 v[14:15], v[14:15], v[22:23]
	s_clause 0x4
	buffer_load_dword v23, off, s[0:3], 0 offset:556
	buffer_load_dword v38, off, s[0:3], 0 offset:568
	;; [unrolled: 1-line block ×5, first 2 shown]
	ds_read_b128 v[10:13], v1 offset:928
	s_waitcnt vmcnt(57) lgkmcnt(1)
	v_mul_f64 v[163:164], v[6:7], v[40:41]
	v_mul_f64 v[40:41], v[8:9], v[40:41]
	s_waitcnt vmcnt(56)
	v_fma_f64 v[34:35], v[2:3], v[36:37], -v[34:35]
	v_fma_f64 v[30:31], v[4:5], v[36:37], v[30:31]
	v_add_f64 v[18:19], v[18:19], v[32:33]
	v_add_f64 v[14:15], v[14:15], v[24:25]
	s_clause 0x2
	buffer_load_dword v39, off, s[0:3], 0 offset:572
	buffer_load_dword v25, off, s[0:3], 0 offset:548
	;; [unrolled: 1-line block ×3, first 2 shown]
	s_waitcnt vmcnt(58) lgkmcnt(0)
	v_mul_f64 v[36:37], v[12:13], v[42:43]
	ds_read_b128 v[2:5], v1 offset:944
	s_waitcnt vmcnt(56)
	v_fma_f64 v[40:41], v[6:7], v[123:124], -v[40:41]
	v_mul_f64 v[32:33], v[10:11], v[42:43]
	v_add_f64 v[18:19], v[18:19], v[34:35]
	v_fma_f64 v[34:35], v[8:9], v[123:124], v[163:164]
	v_add_f64 v[14:15], v[14:15], v[30:31]
	s_clause 0x4
	buffer_load_dword v31, off, s[0:3], 0 offset:588
	buffer_load_dword v42, off, s[0:3], 0 offset:600
	;; [unrolled: 1-line block ×5, first 2 shown]
	s_waitcnt vmcnt(57) lgkmcnt(0)
	v_mul_f64 v[169:170], v[2:3], v[125:126]
	v_mul_f64 v[124:125], v[4:5], v[125:126]
	s_waitcnt vmcnt(56)
	v_fma_f64 v[36:37], v[10:11], v[121:122], -v[36:37]
	ds_read_b128 v[6:9], v1 offset:960
	v_fma_f64 v[32:33], v[12:13], v[121:122], v[32:33]
	v_add_f64 v[18:19], v[18:19], v[40:41]
	v_add_f64 v[14:15], v[14:15], v[34:35]
	s_clause 0x2
	buffer_load_dword v43, off, s[0:3], 0 offset:604
	buffer_load_dword v35, off, s[0:3], 0 offset:580
	;; [unrolled: 1-line block ×3, first 2 shown]
	ds_read_b128 v[10:13], v1 offset:976
	s_waitcnt vmcnt(58) lgkmcnt(1)
	v_mul_f64 v[121:122], v[8:9], v[127:128]
	s_waitcnt vmcnt(56)
	v_fma_f64 v[125:126], v[2:3], v[131:132], -v[124:125]
	v_mul_f64 v[40:41], v[6:7], v[127:128]
	v_add_f64 v[18:19], v[18:19], v[36:37]
	v_fma_f64 v[36:37], v[4:5], v[131:132], v[169:170]
	v_add_f64 v[14:15], v[14:15], v[32:33]
	s_clause 0x2
	buffer_load_dword v33, off, s[0:3], 0 offset:620
	buffer_load_dword v32, off, s[0:3], 0 offset:616
	;; [unrolled: 1-line block ×3, first 2 shown]
	s_waitcnt vmcnt(55) lgkmcnt(0)
	v_mul_f64 v[131:132], v[12:13], v[133:134]
	s_waitcnt vmcnt(54)
	v_fma_f64 v[121:122], v[6:7], v[129:130], -v[121:122]
	ds_read_b128 v[2:5], v1 offset:992
	v_mul_f64 v[127:128], v[10:11], v[133:134]
	v_fma_f64 v[40:41], v[8:9], v[129:130], v[40:41]
	v_add_f64 v[18:19], v[18:19], v[125:126]
	v_add_f64 v[14:15], v[14:15], v[36:37]
	s_clause 0x1
	buffer_load_dword v37, off, s[0:3], 0 offset:612
	buffer_load_dword v36, off, s[0:3], 0 offset:608
	s_waitcnt vmcnt(55) lgkmcnt(0)
	v_mul_f64 v[129:130], v[4:5], v[135:136]
	s_waitcnt vmcnt(53)
	v_fma_f64 v[131:132], v[10:11], v[140:141], -v[131:132]
	ds_read_b128 v[6:9], v1 offset:1008
	v_mul_f64 v[125:126], v[2:3], v[135:136]
	v_add_f64 v[18:19], v[18:19], v[121:122]
	v_fma_f64 v[121:122], v[12:13], v[140:141], v[127:128]
	v_add_f64 v[14:15], v[14:15], v[40:41]
	ds_read_b128 v[10:13], v1 offset:1024
	s_waitcnt vmcnt(49) lgkmcnt(1)
	v_mul_f64 v[127:128], v[8:9], v[142:143]
	s_waitcnt vmcnt(48)
	v_fma_f64 v[129:130], v[2:3], v[138:139], -v[129:130]
	v_mul_f64 v[40:41], v[6:7], v[142:143]
	v_fma_f64 v[125:126], v[4:5], v[138:139], v[125:126]
	v_add_f64 v[18:19], v[18:19], v[131:132]
	s_waitcnt vmcnt(47) lgkmcnt(0)
	v_mul_f64 v[135:136], v[12:13], v[144:145]
	v_add_f64 v[14:15], v[14:15], v[121:122]
	s_clause 0x3
	buffer_load_dword v121, off, s[0:3], 0 offset:192
	buffer_load_dword v122, off, s[0:3], 0 offset:196
	;; [unrolled: 1-line block ×4, first 2 shown]
	s_waitcnt vmcnt(49)
	v_fma_f64 v[127:128], v[6:7], v[148:149], -v[127:128]
	ds_read_b128 v[2:5], v1 offset:1040
	v_mul_f64 v[133:134], v[10:11], v[144:145]
	v_fma_f64 v[40:41], v[8:9], v[148:149], v[40:41]
	ds_read_b128 v[6:9], v1 offset:1056
	v_add_f64 v[18:19], v[18:19], v[129:130]
	s_waitcnt vmcnt(44)
	v_fma_f64 v[135:136], v[10:11], v[146:147], -v[135:136]
	v_add_f64 v[14:15], v[14:15], v[125:126]
	s_waitcnt lgkmcnt(1)
	v_mul_f64 v[129:130], v[4:5], v[154:155]
	v_mul_f64 v[125:126], v[2:3], v[154:155]
	v_add_f64 v[18:19], v[18:19], v[127:128]
	v_fma_f64 v[127:128], v[12:13], v[146:147], v[133:134]
	v_add_f64 v[14:15], v[14:15], v[40:41]
	ds_read_b128 v[10:13], v1 offset:1072
	s_waitcnt vmcnt(43) lgkmcnt(1)
	v_mul_f64 v[133:134], v[8:9], v[156:157]
	v_mul_f64 v[40:41], v[6:7], v[156:157]
	s_waitcnt vmcnt(41)
	v_fma_f64 v[129:130], v[2:3], v[152:153], -v[129:130]
	v_fma_f64 v[125:126], v[4:5], v[152:153], v[125:126]
	ds_read_b128 v[2:5], v1 offset:1088
	v_add_f64 v[18:19], v[18:19], v[135:136]
	v_add_f64 v[14:15], v[14:15], v[127:128]
	s_waitcnt vmcnt(37) lgkmcnt(1)
	v_mul_f64 v[127:128], v[10:11], v[20:21]
	v_mul_f64 v[20:21], v[12:13], v[20:21]
	s_waitcnt vmcnt(36)
	v_fma_f64 v[133:134], v[6:7], v[158:159], -v[133:134]
	v_fma_f64 v[40:41], v[8:9], v[158:159], v[40:41]
	ds_read_b128 v[6:9], v1 offset:1104
	v_add_f64 v[18:19], v[18:19], v[129:130]
	v_add_f64 v[14:15], v[14:15], v[125:126]
	;; [unrolled: 9-line block ×3, first 2 shown]
	s_waitcnt vmcnt(29) lgkmcnt(1)
	v_mul_f64 v[40:41], v[6:7], v[28:29]
	v_mul_f64 v[28:29], v[8:9], v[28:29]
	s_waitcnt vmcnt(28)
	v_fma_f64 v[127:128], v[2:3], v[165:166], -v[129:130]
	v_add_f64 v[18:19], v[18:19], v[20:21]
	v_fma_f64 v[20:21], v[4:5], v[165:166], v[125:126]
	v_add_f64 v[14:15], v[14:15], v[16:17]
	ds_read_b128 v[2:5], v1 offset:1136
	s_waitcnt vmcnt(27) lgkmcnt(1)
	v_mul_f64 v[125:126], v[12:13], v[150:151]
	v_mul_f64 v[16:17], v[10:11], v[150:151]
	s_waitcnt vmcnt(25)
	v_fma_f64 v[28:29], v[6:7], v[26:27], -v[28:29]
	v_fma_f64 v[26:27], v[8:9], v[26:27], v[40:41]
	ds_read_b128 v[6:9], v1 offset:1152
	v_add_f64 v[18:19], v[18:19], v[127:128]
	v_add_f64 v[14:15], v[14:15], v[20:21]
	s_waitcnt vmcnt(21) lgkmcnt(1)
	v_mul_f64 v[20:21], v[2:3], v[22:23]
	v_mul_f64 v[22:23], v[4:5], v[22:23]
	s_waitcnt vmcnt(20)
	v_fma_f64 v[40:41], v[10:11], v[167:168], -v[125:126]
	v_fma_f64 v[16:17], v[12:13], v[167:168], v[16:17]
	ds_read_b128 v[10:13], v1 offset:1168
	v_add_f64 v[18:19], v[18:19], v[28:29]
	v_add_f64 v[14:15], v[14:15], v[26:27]
	;; [unrolled: 9-line block ×3, first 2 shown]
	s_waitcnt vmcnt(13) lgkmcnt(1)
	v_mul_f64 v[24:25], v[12:13], v[30:31]
	s_waitcnt vmcnt(12)
	v_fma_f64 v[28:29], v[6:7], v[162:163], -v[28:29]
	v_mul_f64 v[16:17], v[10:11], v[30:31]
	v_add_f64 v[18:19], v[18:19], v[22:23]
	v_fma_f64 v[22:23], v[8:9], v[162:163], v[26:27]
	v_add_f64 v[14:15], v[14:15], v[20:21]
	ds_read_b128 v[6:9], v1 offset:1200
	s_waitcnt vmcnt(11) lgkmcnt(1)
	v_mul_f64 v[26:27], v[4:5], v[42:43]
	v_mul_f64 v[20:21], v[2:3], v[42:43]
	s_waitcnt vmcnt(9)
	v_fma_f64 v[10:11], v[10:11], v[34:35], -v[24:25]
	v_fma_f64 v[12:13], v[12:13], v[34:35], v[16:17]
	v_add_f64 v[18:19], v[18:19], v[28:29]
	v_add_f64 v[14:15], v[14:15], v[22:23]
	s_waitcnt vmcnt(7) lgkmcnt(0)
	v_mul_f64 v[22:23], v[8:9], v[32:33]
	s_waitcnt vmcnt(6)
	v_fma_f64 v[1:2], v[2:3], v[123:124], -v[26:27]
	v_mul_f64 v[16:17], v[6:7], v[32:33]
	v_fma_f64 v[3:4], v[4:5], v[123:124], v[20:21]
	v_add_f64 v[10:11], v[18:19], v[10:11]
	v_add_f64 v[12:13], v[14:15], v[12:13]
	s_waitcnt vmcnt(4)
	v_fma_f64 v[5:6], v[6:7], v[36:37], -v[22:23]
	v_fma_f64 v[7:8], v[8:9], v[36:37], v[16:17]
	v_add_f64 v[1:2], v[10:11], v[1:2]
	v_add_f64 v[3:4], v[12:13], v[3:4]
	;; [unrolled: 1-line block ×4, first 2 shown]
	s_waitcnt vmcnt(2)
	v_add_f64 v[1:2], v[121:122], -v[1:2]
	s_waitcnt vmcnt(0)
	v_add_f64 v[3:4], v[131:132], -v[3:4]
	buffer_store_dword v2, off, s[0:3], 0 offset:196
	buffer_store_dword v1, off, s[0:3], 0 offset:192
	;; [unrolled: 1-line block ×4, first 2 shown]
	v_cmpx_lt_u32_e32 10, v0
	s_cbranch_execz .LBB37_221
; %bb.220:
	v_mov_b32_e32 v4, s40
	v_mov_b32_e32 v5, 0
	s_clause 0x3
	buffer_load_dword v1, v4, s[0:3], 0 offen
	buffer_load_dword v2, v4, s[0:3], 0 offen offset:4
	buffer_load_dword v3, v4, s[0:3], 0 offen offset:8
	;; [unrolled: 1-line block ×3, first 2 shown]
	buffer_store_dword v5, off, s[0:3], 0 offset:176
	buffer_store_dword v5, off, s[0:3], 0 offset:180
	;; [unrolled: 1-line block ×4, first 2 shown]
	s_waitcnt vmcnt(0)
	ds_write_b128 v137, v[1:4]
.LBB37_221:
	s_or_b32 exec_lo, exec_lo, s4
	s_waitcnt lgkmcnt(0)
	s_waitcnt_vscnt null, 0x0
	s_barrier
	buffer_gl0_inv
	s_clause 0x37
	buffer_load_dword v10, off, s[0:3], 0 offset:200
	buffer_load_dword v11, off, s[0:3], 0 offset:204
	;; [unrolled: 1-line block ×56, first 2 shown]
	v_mov_b32_e32 v1, 0
	s_mov_b32 s4, exec_lo
	ds_read_b128 v[2:5], v1 offset:784
	s_clause 0x2
	buffer_load_dword v145, off, s[0:3], 0 offset:428
	buffer_load_dword v149, off, s[0:3], 0 offset:404
	;; [unrolled: 1-line block ×3, first 2 shown]
	ds_read_b128 v[6:9], v1 offset:800
	s_clause 0x4
	buffer_load_dword v155, off, s[0:3], 0 offset:444
	buffer_load_dword v156, off, s[0:3], 0 offset:456
	;; [unrolled: 1-line block ×5, first 2 shown]
	s_waitcnt vmcnt(62) lgkmcnt(1)
	v_mul_f64 v[150:151], v[4:5], v[10:11]
	v_mul_f64 v[152:153], v[2:3], v[10:11]
	s_waitcnt vmcnt(60) lgkmcnt(0)
	v_mul_f64 v[159:160], v[8:9], v[14:15]
	ds_read_b128 v[10:13], v1 offset:816
	v_mul_f64 v[14:15], v[6:7], v[14:15]
	s_waitcnt vmcnt(58)
	v_fma_f64 v[150:151], v[2:3], v[16:17], -v[150:151]
	v_fma_f64 v[16:17], v[4:5], v[16:17], v[152:153]
	s_clause 0x2
	buffer_load_dword v157, off, s[0:3], 0 offset:460
	buffer_load_dword v153, off, s[0:3], 0 offset:436
	buffer_load_dword v152, off, s[0:3], 0 offset:432
	s_waitcnt vmcnt(59) lgkmcnt(0)
	v_mul_f64 v[161:162], v[10:11], v[18:19]
	v_mul_f64 v[18:19], v[12:13], v[18:19]
	s_waitcnt vmcnt(57)
	v_fma_f64 v[163:164], v[6:7], v[20:21], -v[159:160]
	ds_read_b128 v[2:5], v1 offset:832
	v_fma_f64 v[14:15], v[8:9], v[20:21], v[14:15]
	s_clause 0x4
	buffer_load_dword v21, off, s[0:3], 0 offset:476
	buffer_load_dword v160, off, s[0:3], 0 offset:488
	;; [unrolled: 1-line block ×5, first 2 shown]
	ds_read_b128 v[6:9], v1 offset:848
	v_add_f64 v[150:151], v[150:151], 0
	v_add_f64 v[16:17], v[16:17], 0
	s_waitcnt vmcnt(58) lgkmcnt(1)
	v_mul_f64 v[166:167], v[2:3], v[22:23]
	v_mul_f64 v[22:23], v[4:5], v[22:23]
	s_waitcnt vmcnt(56)
	v_fma_f64 v[18:19], v[10:11], v[28:29], -v[18:19]
	v_fma_f64 v[28:29], v[12:13], v[28:29], v[161:162]
	v_add_f64 v[150:151], v[150:151], v[163:164]
	v_add_f64 v[14:15], v[16:17], v[14:15]
	s_clause 0x2
	buffer_load_dword v161, off, s[0:3], 0 offset:492
	buffer_load_dword v17, off, s[0:3], 0 offset:468
	;; [unrolled: 1-line block ×3, first 2 shown]
	s_waitcnt vmcnt(58) lgkmcnt(0)
	v_mul_f64 v[162:163], v[6:7], v[24:25]
	v_mul_f64 v[24:25], v[8:9], v[24:25]
	s_waitcnt vmcnt(56)
	v_fma_f64 v[22:23], v[2:3], v[30:31], -v[22:23]
	ds_read_b128 v[10:13], v1 offset:864
	v_fma_f64 v[30:31], v[4:5], v[30:31], v[166:167]
	v_add_f64 v[18:19], v[150:151], v[18:19]
	v_add_f64 v[14:15], v[14:15], v[28:29]
	s_clause 0x4
	buffer_load_dword v29, off, s[0:3], 0 offset:508
	buffer_load_dword v150, off, s[0:3], 0 offset:520
	;; [unrolled: 1-line block ×5, first 2 shown]
	ds_read_b128 v[2:5], v1 offset:880
	s_waitcnt vmcnt(57) lgkmcnt(1)
	v_mul_f64 v[168:169], v[10:11], v[32:33]
	v_mul_f64 v[32:33], v[12:13], v[32:33]
	s_waitcnt vmcnt(56)
	v_fma_f64 v[24:25], v[6:7], v[26:27], -v[24:25]
	v_add_f64 v[18:19], v[18:19], v[22:23]
	v_fma_f64 v[22:23], v[8:9], v[26:27], v[162:163]
	v_add_f64 v[14:15], v[14:15], v[30:31]
	s_clause 0x2
	buffer_load_dword v151, off, s[0:3], 0 offset:524
	buffer_load_dword v27, off, s[0:3], 0 offset:500
	;; [unrolled: 1-line block ×3, first 2 shown]
	s_waitcnt vmcnt(58) lgkmcnt(0)
	v_mul_f64 v[30:31], v[2:3], v[34:35]
	v_mul_f64 v[34:35], v[4:5], v[34:35]
	s_waitcnt vmcnt(56)
	v_fma_f64 v[32:33], v[10:11], v[38:39], -v[32:33]
	ds_read_b128 v[6:9], v1 offset:896
	v_add_f64 v[18:19], v[18:19], v[24:25]
	v_fma_f64 v[24:25], v[12:13], v[38:39], v[168:169]
	v_add_f64 v[14:15], v[14:15], v[22:23]
	s_clause 0x4
	buffer_load_dword v23, off, s[0:3], 0 offset:540
	buffer_load_dword v38, off, s[0:3], 0 offset:552
	;; [unrolled: 1-line block ×5, first 2 shown]
	ds_read_b128 v[10:13], v1 offset:912
	s_waitcnt vmcnt(57) lgkmcnt(1)
	v_mul_f64 v[163:164], v[6:7], v[40:41]
	v_mul_f64 v[40:41], v[8:9], v[40:41]
	s_waitcnt vmcnt(56)
	v_fma_f64 v[34:35], v[2:3], v[36:37], -v[34:35]
	v_fma_f64 v[30:31], v[4:5], v[36:37], v[30:31]
	v_add_f64 v[18:19], v[18:19], v[32:33]
	v_add_f64 v[14:15], v[14:15], v[24:25]
	s_clause 0x2
	buffer_load_dword v39, off, s[0:3], 0 offset:556
	buffer_load_dword v25, off, s[0:3], 0 offset:532
	;; [unrolled: 1-line block ×3, first 2 shown]
	s_waitcnt vmcnt(58) lgkmcnt(0)
	v_mul_f64 v[36:37], v[12:13], v[42:43]
	ds_read_b128 v[2:5], v1 offset:928
	s_waitcnt vmcnt(56)
	v_fma_f64 v[40:41], v[6:7], v[123:124], -v[40:41]
	v_mul_f64 v[32:33], v[10:11], v[42:43]
	v_add_f64 v[18:19], v[18:19], v[34:35]
	v_fma_f64 v[34:35], v[8:9], v[123:124], v[163:164]
	v_add_f64 v[14:15], v[14:15], v[30:31]
	s_clause 0x4
	buffer_load_dword v31, off, s[0:3], 0 offset:572
	buffer_load_dword v42, off, s[0:3], 0 offset:584
	;; [unrolled: 1-line block ×5, first 2 shown]
	s_waitcnt vmcnt(57) lgkmcnt(0)
	v_mul_f64 v[169:170], v[2:3], v[125:126]
	v_mul_f64 v[124:125], v[4:5], v[125:126]
	s_waitcnt vmcnt(56)
	v_fma_f64 v[36:37], v[10:11], v[121:122], -v[36:37]
	ds_read_b128 v[6:9], v1 offset:944
	v_fma_f64 v[32:33], v[12:13], v[121:122], v[32:33]
	v_add_f64 v[18:19], v[18:19], v[40:41]
	v_add_f64 v[14:15], v[14:15], v[34:35]
	s_clause 0x2
	buffer_load_dword v43, off, s[0:3], 0 offset:588
	buffer_load_dword v35, off, s[0:3], 0 offset:564
	;; [unrolled: 1-line block ×3, first 2 shown]
	ds_read_b128 v[10:13], v1 offset:960
	s_waitcnt vmcnt(58) lgkmcnt(1)
	v_mul_f64 v[121:122], v[8:9], v[127:128]
	s_waitcnt vmcnt(56)
	v_fma_f64 v[125:126], v[2:3], v[131:132], -v[124:125]
	v_mul_f64 v[40:41], v[6:7], v[127:128]
	v_add_f64 v[18:19], v[18:19], v[36:37]
	v_fma_f64 v[36:37], v[4:5], v[131:132], v[169:170]
	v_add_f64 v[14:15], v[14:15], v[32:33]
	s_clause 0x4
	buffer_load_dword v33, off, s[0:3], 0 offset:604
	buffer_load_dword v127, off, s[0:3], 0 offset:616
	;; [unrolled: 1-line block ×5, first 2 shown]
	s_waitcnt vmcnt(57) lgkmcnt(0)
	v_mul_f64 v[169:170], v[10:11], v[133:134]
	v_mul_f64 v[132:133], v[12:13], v[133:134]
	s_waitcnt vmcnt(56)
	v_fma_f64 v[121:122], v[6:7], v[129:130], -v[121:122]
	ds_read_b128 v[2:5], v1 offset:976
	v_fma_f64 v[40:41], v[8:9], v[129:130], v[40:41]
	v_add_f64 v[18:19], v[18:19], v[125:126]
	v_add_f64 v[14:15], v[14:15], v[36:37]
	s_clause 0x2
	buffer_load_dword v128, off, s[0:3], 0 offset:620
	buffer_load_dword v37, off, s[0:3], 0 offset:596
	buffer_load_dword v36, off, s[0:3], 0 offset:592
	ds_read_b128 v[6:9], v1 offset:992
	s_waitcnt vmcnt(58) lgkmcnt(1)
	v_mul_f64 v[129:130], v[4:5], v[135:136]
	s_waitcnt vmcnt(56)
	v_fma_f64 v[133:134], v[10:11], v[140:141], -v[132:133]
	v_mul_f64 v[125:126], v[2:3], v[135:136]
	buffer_load_dword v132, off, s[0:3], 0 offset:612
	v_add_f64 v[18:19], v[18:19], v[121:122]
	v_fma_f64 v[121:122], v[12:13], v[140:141], v[169:170]
	v_add_f64 v[14:15], v[14:15], v[40:41]
	ds_read_b128 v[10:13], v1 offset:1008
	s_waitcnt vmcnt(53) lgkmcnt(1)
	v_mul_f64 v[135:136], v[8:9], v[142:143]
	s_waitcnt vmcnt(52)
	v_fma_f64 v[129:130], v[2:3], v[138:139], -v[129:130]
	v_mul_f64 v[40:41], v[6:7], v[142:143]
	v_fma_f64 v[125:126], v[4:5], v[138:139], v[125:126]
	ds_read_b128 v[2:5], v1 offset:1024
	v_add_f64 v[18:19], v[18:19], v[133:134]
	s_waitcnt vmcnt(51) lgkmcnt(1)
	v_mul_f64 v[133:134], v[12:13], v[144:145]
	v_add_f64 v[14:15], v[14:15], v[121:122]
	v_mul_f64 v[121:122], v[10:11], v[144:145]
	s_waitcnt vmcnt(49)
	v_fma_f64 v[135:136], v[6:7], v[148:149], -v[135:136]
	v_fma_f64 v[40:41], v[8:9], v[148:149], v[40:41]
	s_waitcnt vmcnt(45) lgkmcnt(0)
	v_mul_f64 v[140:141], v[4:5], v[154:155]
	v_mul_f64 v[138:139], v[2:3], v[154:155]
	v_add_f64 v[18:19], v[18:19], v[129:130]
	s_waitcnt vmcnt(44)
	v_fma_f64 v[133:134], v[10:11], v[146:147], -v[133:134]
	v_add_f64 v[14:15], v[14:15], v[125:126]
	s_clause 0x3
	buffer_load_dword v125, off, s[0:3], 0 offset:176
	buffer_load_dword v126, off, s[0:3], 0 offset:180
	;; [unrolled: 1-line block ×4, first 2 shown]
	ds_read_b128 v[6:9], v1 offset:1040
	v_fma_f64 v[121:122], v[12:13], v[146:147], v[121:122]
	ds_read_b128 v[10:13], v1 offset:1056
	v_add_f64 v[18:19], v[18:19], v[135:136]
	v_add_f64 v[14:15], v[14:15], v[40:41]
	s_waitcnt vmcnt(47) lgkmcnt(1)
	v_mul_f64 v[135:136], v[8:9], v[156:157]
	v_mul_f64 v[40:41], v[6:7], v[156:157]
	s_waitcnt vmcnt(45)
	v_fma_f64 v[140:141], v[2:3], v[152:153], -v[140:141]
	v_add_f64 v[18:19], v[18:19], v[133:134]
	v_fma_f64 v[133:134], v[4:5], v[152:153], v[138:139]
	v_add_f64 v[14:15], v[14:15], v[121:122]
	s_waitcnt vmcnt(41) lgkmcnt(0)
	v_mul_f64 v[121:122], v[10:11], v[20:21]
	v_mul_f64 v[20:21], v[12:13], v[20:21]
	ds_read_b128 v[2:5], v1 offset:1072
	s_waitcnt vmcnt(40)
	v_fma_f64 v[135:136], v[6:7], v[158:159], -v[135:136]
	v_fma_f64 v[40:41], v[8:9], v[158:159], v[40:41]
	ds_read_b128 v[6:9], v1 offset:1088
	v_add_f64 v[18:19], v[18:19], v[140:141]
	v_add_f64 v[14:15], v[14:15], v[133:134]
	s_waitcnt vmcnt(39) lgkmcnt(1)
	v_mul_f64 v[138:139], v[4:5], v[160:161]
	v_mul_f64 v[133:134], v[2:3], v[160:161]
	s_waitcnt vmcnt(37)
	v_fma_f64 v[20:21], v[10:11], v[16:17], -v[20:21]
	v_fma_f64 v[16:17], v[12:13], v[16:17], v[121:122]
	ds_read_b128 v[10:13], v1 offset:1104
	v_add_f64 v[18:19], v[18:19], v[135:136]
	v_add_f64 v[14:15], v[14:15], v[40:41]
	s_waitcnt vmcnt(33) lgkmcnt(1)
	v_mul_f64 v[40:41], v[6:7], v[28:29]
	v_mul_f64 v[28:29], v[8:9], v[28:29]
	s_waitcnt vmcnt(32)
	v_fma_f64 v[121:122], v[2:3], v[165:166], -v[138:139]
	v_add_f64 v[18:19], v[18:19], v[20:21]
	v_fma_f64 v[20:21], v[4:5], v[165:166], v[133:134]
	v_add_f64 v[14:15], v[14:15], v[16:17]
	ds_read_b128 v[2:5], v1 offset:1120
	s_waitcnt vmcnt(31) lgkmcnt(1)
	v_mul_f64 v[133:134], v[12:13], v[150:151]
	v_mul_f64 v[16:17], v[10:11], v[150:151]
	s_waitcnt vmcnt(29)
	v_fma_f64 v[28:29], v[6:7], v[26:27], -v[28:29]
	v_fma_f64 v[26:27], v[8:9], v[26:27], v[40:41]
	ds_read_b128 v[6:9], v1 offset:1136
	v_add_f64 v[18:19], v[18:19], v[121:122]
	v_add_f64 v[14:15], v[14:15], v[20:21]
	s_waitcnt vmcnt(25) lgkmcnt(1)
	v_mul_f64 v[20:21], v[2:3], v[22:23]
	v_mul_f64 v[22:23], v[4:5], v[22:23]
	s_waitcnt vmcnt(24)
	v_fma_f64 v[40:41], v[10:11], v[167:168], -v[133:134]
	v_fma_f64 v[16:17], v[12:13], v[167:168], v[16:17]
	ds_read_b128 v[10:13], v1 offset:1152
	v_add_f64 v[18:19], v[18:19], v[28:29]
	v_add_f64 v[14:15], v[14:15], v[26:27]
	s_waitcnt vmcnt(23) lgkmcnt(1)
	v_mul_f64 v[28:29], v[8:9], v[38:39]
	v_mul_f64 v[26:27], v[6:7], v[38:39]
	s_waitcnt vmcnt(21)
	v_fma_f64 v[22:23], v[2:3], v[24:25], -v[22:23]
	v_fma_f64 v[20:21], v[4:5], v[24:25], v[20:21]
	ds_read_b128 v[2:5], v1 offset:1168
	v_add_f64 v[18:19], v[18:19], v[40:41]
	v_add_f64 v[14:15], v[14:15], v[16:17]
	s_waitcnt vmcnt(17) lgkmcnt(1)
	v_mul_f64 v[24:25], v[12:13], v[30:31]
	s_waitcnt vmcnt(16)
	v_fma_f64 v[28:29], v[6:7], v[162:163], -v[28:29]
	v_mul_f64 v[16:17], v[10:11], v[30:31]
	v_add_f64 v[18:19], v[18:19], v[22:23]
	v_fma_f64 v[22:23], v[8:9], v[162:163], v[26:27]
	v_add_f64 v[14:15], v[14:15], v[20:21]
	ds_read_b128 v[6:9], v1 offset:1184
	s_waitcnt vmcnt(15) lgkmcnt(1)
	v_mul_f64 v[26:27], v[4:5], v[42:43]
	v_mul_f64 v[20:21], v[2:3], v[42:43]
	s_waitcnt vmcnt(13)
	v_fma_f64 v[24:25], v[10:11], v[34:35], -v[24:25]
	v_fma_f64 v[16:17], v[12:13], v[34:35], v[16:17]
	ds_read_b128 v[10:13], v1 offset:1200
	v_add_f64 v[18:19], v[18:19], v[28:29]
	v_add_f64 v[14:15], v[14:15], v[22:23]
	s_waitcnt vmcnt(9) lgkmcnt(1)
	v_mul_f64 v[28:29], v[8:9], v[32:33]
	s_waitcnt vmcnt(8)
	v_fma_f64 v[2:3], v[2:3], v[123:124], -v[26:27]
	v_mul_f64 v[22:23], v[6:7], v[32:33]
	v_fma_f64 v[4:5], v[4:5], v[123:124], v[20:21]
	v_add_f64 v[18:19], v[18:19], v[24:25]
	v_add_f64 v[14:15], v[14:15], v[16:17]
	s_waitcnt vmcnt(7) lgkmcnt(0)
	v_mul_f64 v[20:21], v[12:13], v[127:128]
	v_mul_f64 v[16:17], v[10:11], v[127:128]
	s_waitcnt vmcnt(5)
	v_fma_f64 v[6:7], v[6:7], v[36:37], -v[28:29]
	v_fma_f64 v[8:9], v[8:9], v[36:37], v[22:23]
	v_add_f64 v[2:3], v[18:19], v[2:3]
	v_add_f64 v[4:5], v[14:15], v[4:5]
	s_waitcnt vmcnt(4)
	v_fma_f64 v[10:11], v[10:11], v[131:132], -v[20:21]
	v_add_f64 v[2:3], v[2:3], v[6:7]
	v_fma_f64 v[6:7], v[12:13], v[131:132], v[16:17]
	v_add_f64 v[4:5], v[4:5], v[8:9]
	v_add_f64 v[2:3], v[2:3], v[10:11]
	;; [unrolled: 1-line block ×3, first 2 shown]
	s_waitcnt vmcnt(2)
	v_add_f64 v[2:3], v[125:126], -v[2:3]
	s_waitcnt vmcnt(0)
	v_add_f64 v[4:5], v[129:130], -v[4:5]
	buffer_store_dword v3, off, s[0:3], 0 offset:180
	buffer_store_dword v2, off, s[0:3], 0 offset:176
	;; [unrolled: 1-line block ×4, first 2 shown]
	v_cmpx_lt_u32_e32 9, v0
	s_cbranch_execz .LBB37_223
; %bb.222:
	v_mov_b32_e32 v5, s41
	s_clause 0x3
	buffer_load_dword v2, v5, s[0:3], 0 offen
	buffer_load_dword v3, v5, s[0:3], 0 offen offset:4
	buffer_load_dword v4, v5, s[0:3], 0 offen offset:8
	;; [unrolled: 1-line block ×3, first 2 shown]
	buffer_store_dword v1, off, s[0:3], 0 offset:160
	buffer_store_dword v1, off, s[0:3], 0 offset:164
	;; [unrolled: 1-line block ×4, first 2 shown]
	s_waitcnt vmcnt(0)
	ds_write_b128 v137, v[2:5]
.LBB37_223:
	s_or_b32 exec_lo, exec_lo, s4
	s_waitcnt lgkmcnt(0)
	s_waitcnt_vscnt null, 0x0
	s_barrier
	buffer_gl0_inv
	s_clause 0x37
	buffer_load_dword v10, off, s[0:3], 0 offset:184
	buffer_load_dword v11, off, s[0:3], 0 offset:188
	;; [unrolled: 1-line block ×56, first 2 shown]
	ds_read_b128 v[2:5], v1 offset:768
	s_clause 0x2
	buffer_load_dword v145, off, s[0:3], 0 offset:412
	buffer_load_dword v149, off, s[0:3], 0 offset:388
	;; [unrolled: 1-line block ×3, first 2 shown]
	ds_read_b128 v[6:9], v1 offset:784
	s_clause 0x4
	buffer_load_dword v155, off, s[0:3], 0 offset:428
	buffer_load_dword v156, off, s[0:3], 0 offset:440
	;; [unrolled: 1-line block ×5, first 2 shown]
	s_mov_b32 s4, exec_lo
	s_waitcnt vmcnt(62) lgkmcnt(1)
	v_mul_f64 v[150:151], v[4:5], v[10:11]
	v_mul_f64 v[152:153], v[2:3], v[10:11]
	s_waitcnt vmcnt(60) lgkmcnt(0)
	v_mul_f64 v[159:160], v[8:9], v[14:15]
	ds_read_b128 v[10:13], v1 offset:800
	v_mul_f64 v[14:15], v[6:7], v[14:15]
	s_waitcnt vmcnt(58)
	v_fma_f64 v[150:151], v[2:3], v[16:17], -v[150:151]
	v_fma_f64 v[16:17], v[4:5], v[16:17], v[152:153]
	s_clause 0x2
	buffer_load_dword v157, off, s[0:3], 0 offset:444
	buffer_load_dword v153, off, s[0:3], 0 offset:420
	;; [unrolled: 1-line block ×3, first 2 shown]
	s_waitcnt vmcnt(59) lgkmcnt(0)
	v_mul_f64 v[161:162], v[10:11], v[18:19]
	v_mul_f64 v[18:19], v[12:13], v[18:19]
	s_waitcnt vmcnt(57)
	v_fma_f64 v[163:164], v[6:7], v[20:21], -v[159:160]
	ds_read_b128 v[2:5], v1 offset:816
	v_fma_f64 v[14:15], v[8:9], v[20:21], v[14:15]
	s_clause 0x4
	buffer_load_dword v21, off, s[0:3], 0 offset:460
	buffer_load_dword v160, off, s[0:3], 0 offset:472
	buffer_load_dword v165, off, s[0:3], 0 offset:464
	buffer_load_dword v20, off, s[0:3], 0 offset:456
	buffer_load_dword v159, off, s[0:3], 0 offset:436
	ds_read_b128 v[6:9], v1 offset:832
	v_add_f64 v[150:151], v[150:151], 0
	v_add_f64 v[16:17], v[16:17], 0
	s_waitcnt vmcnt(58) lgkmcnt(1)
	v_mul_f64 v[166:167], v[2:3], v[22:23]
	v_mul_f64 v[22:23], v[4:5], v[22:23]
	s_waitcnt vmcnt(56)
	v_fma_f64 v[18:19], v[10:11], v[28:29], -v[18:19]
	v_fma_f64 v[28:29], v[12:13], v[28:29], v[161:162]
	v_add_f64 v[150:151], v[150:151], v[163:164]
	v_add_f64 v[14:15], v[16:17], v[14:15]
	s_clause 0x2
	buffer_load_dword v161, off, s[0:3], 0 offset:476
	buffer_load_dword v17, off, s[0:3], 0 offset:452
	;; [unrolled: 1-line block ×3, first 2 shown]
	s_waitcnt vmcnt(58) lgkmcnt(0)
	v_mul_f64 v[162:163], v[6:7], v[24:25]
	v_mul_f64 v[24:25], v[8:9], v[24:25]
	s_waitcnt vmcnt(56)
	v_fma_f64 v[22:23], v[2:3], v[30:31], -v[22:23]
	ds_read_b128 v[10:13], v1 offset:848
	v_fma_f64 v[30:31], v[4:5], v[30:31], v[166:167]
	v_add_f64 v[18:19], v[150:151], v[18:19]
	v_add_f64 v[14:15], v[14:15], v[28:29]
	s_clause 0x4
	buffer_load_dword v29, off, s[0:3], 0 offset:492
	buffer_load_dword v150, off, s[0:3], 0 offset:504
	;; [unrolled: 1-line block ×5, first 2 shown]
	ds_read_b128 v[2:5], v1 offset:864
	s_waitcnt vmcnt(57) lgkmcnt(1)
	v_mul_f64 v[168:169], v[10:11], v[32:33]
	v_mul_f64 v[32:33], v[12:13], v[32:33]
	s_waitcnt vmcnt(56)
	v_fma_f64 v[24:25], v[6:7], v[26:27], -v[24:25]
	v_add_f64 v[18:19], v[18:19], v[22:23]
	v_fma_f64 v[22:23], v[8:9], v[26:27], v[162:163]
	v_add_f64 v[14:15], v[14:15], v[30:31]
	s_clause 0x2
	buffer_load_dword v151, off, s[0:3], 0 offset:508
	buffer_load_dword v27, off, s[0:3], 0 offset:484
	;; [unrolled: 1-line block ×3, first 2 shown]
	s_waitcnt vmcnt(58) lgkmcnt(0)
	v_mul_f64 v[30:31], v[2:3], v[34:35]
	v_mul_f64 v[34:35], v[4:5], v[34:35]
	s_waitcnt vmcnt(56)
	v_fma_f64 v[32:33], v[10:11], v[38:39], -v[32:33]
	ds_read_b128 v[6:9], v1 offset:880
	v_add_f64 v[18:19], v[18:19], v[24:25]
	v_fma_f64 v[24:25], v[12:13], v[38:39], v[168:169]
	v_add_f64 v[14:15], v[14:15], v[22:23]
	s_clause 0x4
	buffer_load_dword v23, off, s[0:3], 0 offset:524
	buffer_load_dword v38, off, s[0:3], 0 offset:536
	;; [unrolled: 1-line block ×5, first 2 shown]
	ds_read_b128 v[10:13], v1 offset:896
	s_waitcnt vmcnt(57) lgkmcnt(1)
	v_mul_f64 v[163:164], v[6:7], v[40:41]
	v_mul_f64 v[40:41], v[8:9], v[40:41]
	s_waitcnt vmcnt(56)
	v_fma_f64 v[34:35], v[2:3], v[36:37], -v[34:35]
	v_fma_f64 v[30:31], v[4:5], v[36:37], v[30:31]
	v_add_f64 v[18:19], v[18:19], v[32:33]
	v_add_f64 v[14:15], v[14:15], v[24:25]
	s_clause 0x2
	buffer_load_dword v39, off, s[0:3], 0 offset:540
	buffer_load_dword v25, off, s[0:3], 0 offset:516
	;; [unrolled: 1-line block ×3, first 2 shown]
	s_waitcnt vmcnt(58) lgkmcnt(0)
	v_mul_f64 v[36:37], v[12:13], v[42:43]
	ds_read_b128 v[2:5], v1 offset:912
	s_waitcnt vmcnt(56)
	v_fma_f64 v[40:41], v[6:7], v[123:124], -v[40:41]
	v_mul_f64 v[32:33], v[10:11], v[42:43]
	v_add_f64 v[18:19], v[18:19], v[34:35]
	v_fma_f64 v[34:35], v[8:9], v[123:124], v[163:164]
	v_add_f64 v[14:15], v[14:15], v[30:31]
	s_clause 0x4
	buffer_load_dword v31, off, s[0:3], 0 offset:556
	buffer_load_dword v42, off, s[0:3], 0 offset:568
	;; [unrolled: 1-line block ×5, first 2 shown]
	s_waitcnt vmcnt(57) lgkmcnt(0)
	v_mul_f64 v[169:170], v[2:3], v[125:126]
	v_mul_f64 v[124:125], v[4:5], v[125:126]
	s_waitcnt vmcnt(56)
	v_fma_f64 v[36:37], v[10:11], v[121:122], -v[36:37]
	ds_read_b128 v[6:9], v1 offset:928
	v_fma_f64 v[32:33], v[12:13], v[121:122], v[32:33]
	v_add_f64 v[18:19], v[18:19], v[40:41]
	v_add_f64 v[14:15], v[14:15], v[34:35]
	s_clause 0x2
	buffer_load_dword v43, off, s[0:3], 0 offset:572
	buffer_load_dword v35, off, s[0:3], 0 offset:548
	;; [unrolled: 1-line block ×3, first 2 shown]
	ds_read_b128 v[10:13], v1 offset:944
	s_waitcnt vmcnt(58) lgkmcnt(1)
	v_mul_f64 v[121:122], v[8:9], v[127:128]
	s_waitcnt vmcnt(56)
	v_fma_f64 v[125:126], v[2:3], v[131:132], -v[124:125]
	v_mul_f64 v[40:41], v[6:7], v[127:128]
	v_add_f64 v[18:19], v[18:19], v[36:37]
	v_fma_f64 v[36:37], v[4:5], v[131:132], v[169:170]
	v_add_f64 v[14:15], v[14:15], v[32:33]
	s_clause 0x4
	buffer_load_dword v33, off, s[0:3], 0 offset:588
	buffer_load_dword v127, off, s[0:3], 0 offset:600
	;; [unrolled: 1-line block ×5, first 2 shown]
	s_waitcnt vmcnt(57) lgkmcnt(0)
	v_mul_f64 v[169:170], v[10:11], v[133:134]
	v_mul_f64 v[132:133], v[12:13], v[133:134]
	s_waitcnt vmcnt(56)
	v_fma_f64 v[121:122], v[6:7], v[129:130], -v[121:122]
	ds_read_b128 v[2:5], v1 offset:960
	v_fma_f64 v[40:41], v[8:9], v[129:130], v[40:41]
	v_add_f64 v[18:19], v[18:19], v[125:126]
	v_add_f64 v[14:15], v[14:15], v[36:37]
	s_clause 0x2
	buffer_load_dword v128, off, s[0:3], 0 offset:604
	buffer_load_dword v37, off, s[0:3], 0 offset:580
	;; [unrolled: 1-line block ×3, first 2 shown]
	ds_read_b128 v[6:9], v1 offset:976
	s_waitcnt vmcnt(58) lgkmcnt(1)
	v_mul_f64 v[129:130], v[4:5], v[135:136]
	s_waitcnt vmcnt(56)
	v_fma_f64 v[133:134], v[10:11], v[140:141], -v[132:133]
	v_mul_f64 v[125:126], v[2:3], v[135:136]
	v_add_f64 v[18:19], v[18:19], v[121:122]
	v_fma_f64 v[121:122], v[12:13], v[140:141], v[169:170]
	v_add_f64 v[14:15], v[14:15], v[40:41]
	s_clause 0x2
	buffer_load_dword v41, off, s[0:3], 0 offset:620
	buffer_load_dword v40, off, s[0:3], 0 offset:616
	buffer_load_dword v132, off, s[0:3], 0 offset:596
	s_waitcnt vmcnt(55) lgkmcnt(0)
	v_mul_f64 v[140:141], v[8:9], v[142:143]
	s_waitcnt vmcnt(54)
	v_fma_f64 v[129:130], v[2:3], v[138:139], -v[129:130]
	ds_read_b128 v[10:13], v1 offset:992
	v_mul_f64 v[135:136], v[6:7], v[142:143]
	v_fma_f64 v[125:126], v[4:5], v[138:139], v[125:126]
	v_add_f64 v[18:19], v[18:19], v[133:134]
	v_add_f64 v[14:15], v[14:15], v[121:122]
	s_clause 0x1
	buffer_load_dword v122, off, s[0:3], 0 offset:612
	buffer_load_dword v121, off, s[0:3], 0 offset:608
	s_waitcnt vmcnt(55) lgkmcnt(0)
	v_mul_f64 v[138:139], v[12:13], v[144:145]
	s_waitcnt vmcnt(53)
	v_fma_f64 v[140:141], v[6:7], v[148:149], -v[140:141]
	ds_read_b128 v[2:5], v1 offset:1008
	v_mul_f64 v[133:134], v[10:11], v[144:145]
	v_add_f64 v[18:19], v[18:19], v[129:130]
	v_fma_f64 v[129:130], v[8:9], v[148:149], v[135:136]
	v_add_f64 v[14:15], v[14:15], v[125:126]
	ds_read_b128 v[6:9], v1 offset:1024
	s_waitcnt vmcnt(49) lgkmcnt(1)
	v_mul_f64 v[135:136], v[4:5], v[154:155]
	s_waitcnt vmcnt(48)
	v_fma_f64 v[138:139], v[10:11], v[146:147], -v[138:139]
	v_mul_f64 v[125:126], v[2:3], v[154:155]
	v_fma_f64 v[133:134], v[12:13], v[146:147], v[133:134]
	v_add_f64 v[18:19], v[18:19], v[140:141]
	v_add_f64 v[14:15], v[14:15], v[129:130]
	s_clause 0x3
	buffer_load_dword v129, off, s[0:3], 0 offset:160
	buffer_load_dword v130, off, s[0:3], 0 offset:164
	;; [unrolled: 1-line block ×4, first 2 shown]
	ds_read_b128 v[10:13], v1 offset:1040
	s_waitcnt vmcnt(51) lgkmcnt(1)
	v_mul_f64 v[144:145], v[8:9], v[156:157]
	v_mul_f64 v[142:143], v[6:7], v[156:157]
	s_waitcnt vmcnt(49)
	v_fma_f64 v[135:136], v[2:3], v[152:153], -v[135:136]
	v_fma_f64 v[125:126], v[4:5], v[152:153], v[125:126]
	ds_read_b128 v[2:5], v1 offset:1056
	v_add_f64 v[18:19], v[18:19], v[138:139]
	v_add_f64 v[14:15], v[14:15], v[133:134]
	s_waitcnt vmcnt(45) lgkmcnt(1)
	v_mul_f64 v[133:134], v[10:11], v[20:21]
	v_mul_f64 v[20:21], v[12:13], v[20:21]
	s_waitcnt vmcnt(44)
	v_fma_f64 v[138:139], v[6:7], v[158:159], -v[144:145]
	v_add_f64 v[18:19], v[18:19], v[135:136]
	v_fma_f64 v[135:136], v[8:9], v[158:159], v[142:143]
	v_add_f64 v[14:15], v[14:15], v[125:126]
	ds_read_b128 v[6:9], v1 offset:1072
	s_waitcnt vmcnt(43) lgkmcnt(1)
	v_mul_f64 v[142:143], v[4:5], v[160:161]
	v_mul_f64 v[125:126], v[2:3], v[160:161]
	s_waitcnt vmcnt(41)
	v_fma_f64 v[20:21], v[10:11], v[16:17], -v[20:21]
	v_fma_f64 v[16:17], v[12:13], v[16:17], v[133:134]
	ds_read_b128 v[10:13], v1 offset:1088
	v_add_f64 v[18:19], v[18:19], v[138:139]
	v_add_f64 v[14:15], v[14:15], v[135:136]
	s_waitcnt vmcnt(37) lgkmcnt(1)
	v_mul_f64 v[133:134], v[6:7], v[28:29]
	v_mul_f64 v[28:29], v[8:9], v[28:29]
	s_waitcnt vmcnt(36)
	v_fma_f64 v[135:136], v[2:3], v[165:166], -v[142:143]
	v_add_f64 v[18:19], v[18:19], v[20:21]
	v_fma_f64 v[20:21], v[4:5], v[165:166], v[125:126]
	v_add_f64 v[14:15], v[14:15], v[16:17]
	ds_read_b128 v[2:5], v1 offset:1104
	s_waitcnt vmcnt(35) lgkmcnt(1)
	v_mul_f64 v[125:126], v[12:13], v[150:151]
	v_mul_f64 v[16:17], v[10:11], v[150:151]
	s_waitcnt vmcnt(33)
	v_fma_f64 v[28:29], v[6:7], v[26:27], -v[28:29]
	v_fma_f64 v[26:27], v[8:9], v[26:27], v[133:134]
	ds_read_b128 v[6:9], v1 offset:1120
	v_add_f64 v[18:19], v[18:19], v[135:136]
	v_add_f64 v[14:15], v[14:15], v[20:21]
	s_waitcnt vmcnt(29) lgkmcnt(1)
	v_mul_f64 v[20:21], v[2:3], v[22:23]
	v_mul_f64 v[22:23], v[4:5], v[22:23]
	s_waitcnt vmcnt(28)
	v_fma_f64 v[125:126], v[10:11], v[167:168], -v[125:126]
	v_fma_f64 v[16:17], v[12:13], v[167:168], v[16:17]
	ds_read_b128 v[10:13], v1 offset:1136
	v_add_f64 v[18:19], v[18:19], v[28:29]
	v_add_f64 v[14:15], v[14:15], v[26:27]
	;; [unrolled: 9-line block ×3, first 2 shown]
	s_waitcnt vmcnt(21) lgkmcnt(1)
	v_mul_f64 v[24:25], v[12:13], v[30:31]
	s_waitcnt vmcnt(20)
	v_fma_f64 v[28:29], v[6:7], v[162:163], -v[28:29]
	v_mul_f64 v[16:17], v[10:11], v[30:31]
	v_add_f64 v[18:19], v[18:19], v[22:23]
	v_fma_f64 v[22:23], v[8:9], v[162:163], v[26:27]
	v_add_f64 v[14:15], v[14:15], v[20:21]
	ds_read_b128 v[6:9], v1 offset:1168
	s_waitcnt vmcnt(19) lgkmcnt(1)
	v_mul_f64 v[26:27], v[4:5], v[42:43]
	v_mul_f64 v[20:21], v[2:3], v[42:43]
	s_waitcnt vmcnt(17)
	v_fma_f64 v[24:25], v[10:11], v[34:35], -v[24:25]
	v_fma_f64 v[16:17], v[12:13], v[34:35], v[16:17]
	ds_read_b128 v[10:13], v1 offset:1184
	v_add_f64 v[18:19], v[18:19], v[28:29]
	v_add_f64 v[14:15], v[14:15], v[22:23]
	s_waitcnt vmcnt(13) lgkmcnt(1)
	v_mul_f64 v[28:29], v[8:9], v[32:33]
	s_waitcnt vmcnt(12)
	v_fma_f64 v[26:27], v[2:3], v[123:124], -v[26:27]
	v_mul_f64 v[22:23], v[6:7], v[32:33]
	v_fma_f64 v[20:21], v[4:5], v[123:124], v[20:21]
	ds_read_b128 v[1:4], v1 offset:1200
	v_add_f64 v[18:19], v[18:19], v[24:25]
	v_add_f64 v[14:15], v[14:15], v[16:17]
	s_waitcnt vmcnt(11) lgkmcnt(1)
	v_mul_f64 v[24:25], v[12:13], v[127:128]
	v_mul_f64 v[16:17], v[10:11], v[127:128]
	s_waitcnt vmcnt(9)
	v_fma_f64 v[5:6], v[6:7], v[36:37], -v[28:29]
	v_fma_f64 v[7:8], v[8:9], v[36:37], v[22:23]
	v_add_f64 v[18:19], v[18:19], v[26:27]
	v_add_f64 v[14:15], v[14:15], v[20:21]
	s_waitcnt vmcnt(7) lgkmcnt(0)
	v_mul_f64 v[22:23], v[3:4], v[40:41]
	s_waitcnt vmcnt(6)
	v_fma_f64 v[9:10], v[10:11], v[131:132], -v[24:25]
	v_mul_f64 v[20:21], v[1:2], v[40:41]
	v_fma_f64 v[11:12], v[12:13], v[131:132], v[16:17]
	v_add_f64 v[5:6], v[18:19], v[5:6]
	v_add_f64 v[7:8], v[14:15], v[7:8]
	s_waitcnt vmcnt(4)
	v_fma_f64 v[1:2], v[1:2], v[121:122], -v[22:23]
	v_fma_f64 v[3:4], v[3:4], v[121:122], v[20:21]
	v_add_f64 v[5:6], v[5:6], v[9:10]
	v_add_f64 v[7:8], v[7:8], v[11:12]
	;; [unrolled: 1-line block ×4, first 2 shown]
	s_waitcnt vmcnt(2)
	v_add_f64 v[1:2], v[129:130], -v[1:2]
	s_waitcnt vmcnt(0)
	v_add_f64 v[3:4], v[140:141], -v[3:4]
	buffer_store_dword v2, off, s[0:3], 0 offset:164
	buffer_store_dword v1, off, s[0:3], 0 offset:160
	;; [unrolled: 1-line block ×4, first 2 shown]
	v_cmpx_lt_u32_e32 8, v0
	s_cbranch_execz .LBB37_225
; %bb.224:
	v_mov_b32_e32 v4, s42
	v_mov_b32_e32 v5, 0
	s_clause 0x3
	buffer_load_dword v1, v4, s[0:3], 0 offen
	buffer_load_dword v2, v4, s[0:3], 0 offen offset:4
	buffer_load_dword v3, v4, s[0:3], 0 offen offset:8
	buffer_load_dword v4, v4, s[0:3], 0 offen offset:12
	buffer_store_dword v5, off, s[0:3], 0 offset:144
	buffer_store_dword v5, off, s[0:3], 0 offset:148
	;; [unrolled: 1-line block ×4, first 2 shown]
	s_waitcnt vmcnt(0)
	ds_write_b128 v137, v[1:4]
.LBB37_225:
	s_or_b32 exec_lo, exec_lo, s4
	s_waitcnt lgkmcnt(0)
	s_waitcnt_vscnt null, 0x0
	s_barrier
	buffer_gl0_inv
	s_clause 0x37
	buffer_load_dword v9, off, s[0:3], 0 offset:168
	buffer_load_dword v10, off, s[0:3], 0 offset:172
	;; [unrolled: 1-line block ×56, first 2 shown]
	v_mov_b32_e32 v11, 0
	s_mov_b32 s4, exec_lo
	ds_read_b128 v[5:8], v11 offset:752
	s_clause 0x2
	buffer_load_dword v147, off, s[0:3], 0 offset:396
	buffer_load_dword v151, off, s[0:3], 0 offset:372
	;; [unrolled: 1-line block ×3, first 2 shown]
	ds_read_b128 v[12:15], v11 offset:768
	s_clause 0x4
	buffer_load_dword v155, off, s[0:3], 0 offset:412
	buffer_load_dword v156, off, s[0:3], 0 offset:424
	;; [unrolled: 1-line block ×5, first 2 shown]
	ds_read_b128 v[16:19], v11 offset:784
	s_waitcnt vmcnt(62) lgkmcnt(2)
	v_mul_f64 v[152:153], v[7:8], v[9:10]
	v_mul_f64 v[9:10], v[5:6], v[9:10]
	s_waitcnt vmcnt(60) lgkmcnt(1)
	v_mul_f64 v[159:160], v[14:15], v[20:21]
	v_mul_f64 v[20:21], v[12:13], v[20:21]
	;; [unrolled: 3-line block ×3, first 2 shown]
	v_fma_f64 v[152:153], v[5:6], v[22:23], -v[152:153]
	v_fma_f64 v[9:10], v[7:8], v[22:23], v[9:10]
	s_clause 0x2
	buffer_load_dword v157, off, s[0:3], 0 offset:428
	buffer_load_dword v23, off, s[0:3], 0 offset:404
	;; [unrolled: 1-line block ×3, first 2 shown]
	s_waitcnt vmcnt(57)
	v_fma_f64 v[12:13], v[12:13], v[1:2], -v[159:160]
	ds_read_b128 v[5:8], v11 offset:800
	v_fma_f64 v[14:15], v[14:15], v[1:2], v[20:21]
	s_clause 0x4
	buffer_load_dword v21, off, s[0:3], 0 offset:444
	buffer_load_dword v160, off, s[0:3], 0 offset:456
	;; [unrolled: 1-line block ×5, first 2 shown]
	s_waitcnt vmcnt(56)
	v_fma_f64 v[16:17], v[16:17], v[30:31], -v[163:164]
	ds_read_b128 v[1:4], v11 offset:816
	v_fma_f64 v[18:19], v[18:19], v[30:31], v[161:162]
	s_clause 0x2
	buffer_load_dword v161, off, s[0:3], 0 offset:460
	buffer_load_dword v31, off, s[0:3], 0 offset:436
	;; [unrolled: 1-line block ×3, first 2 shown]
	v_add_f64 v[152:153], v[152:153], 0
	v_add_f64 v[9:10], v[9:10], 0
	s_waitcnt lgkmcnt(1)
	v_mul_f64 v[166:167], v[5:6], v[24:25]
	v_mul_f64 v[24:25], v[7:8], v[24:25]
	s_waitcnt vmcnt(58) lgkmcnt(0)
	v_mul_f64 v[162:163], v[1:2], v[26:27]
	v_mul_f64 v[26:27], v[3:4], v[26:27]
	v_add_f64 v[152:153], v[152:153], v[12:13]
	v_add_f64 v[9:10], v[9:10], v[14:15]
	ds_read_b128 v[12:15], v11 offset:832
	s_waitcnt vmcnt(56)
	v_fma_f64 v[24:25], v[5:6], v[32:33], -v[24:25]
	v_fma_f64 v[32:33], v[7:8], v[32:33], v[166:167]
	s_waitcnt vmcnt(51)
	v_fma_f64 v[26:27], v[1:2], v[28:29], -v[26:27]
	s_waitcnt lgkmcnt(0)
	v_mul_f64 v[168:169], v[12:13], v[34:35]
	v_add_f64 v[16:17], v[152:153], v[16:17]
	v_add_f64 v[9:10], v[9:10], v[18:19]
	s_clause 0x4
	buffer_load_dword v19, off, s[0:3], 0 offset:476
	buffer_load_dword v152, off, s[0:3], 0 offset:488
	;; [unrolled: 1-line block ×5, first 2 shown]
	v_mul_f64 v[34:35], v[14:15], v[34:35]
	ds_read_b128 v[5:8], v11 offset:848
	v_add_f64 v[16:17], v[16:17], v[24:25]
	v_fma_f64 v[24:25], v[3:4], v[28:29], v[162:163]
	v_add_f64 v[9:10], v[9:10], v[32:33]
	s_clause 0x2
	buffer_load_dword v153, off, s[0:3], 0 offset:492
	buffer_load_dword v29, off, s[0:3], 0 offset:468
	;; [unrolled: 1-line block ×3, first 2 shown]
	s_waitcnt vmcnt(58) lgkmcnt(0)
	v_mul_f64 v[32:33], v[5:6], v[36:37]
	v_mul_f64 v[36:37], v[7:8], v[36:37]
	s_waitcnt vmcnt(56)
	v_fma_f64 v[34:35], v[12:13], v[40:41], -v[34:35]
	ds_read_b128 v[1:4], v11 offset:864
	v_add_f64 v[16:17], v[16:17], v[26:27]
	v_fma_f64 v[26:27], v[14:15], v[40:41], v[168:169]
	v_add_f64 v[9:10], v[9:10], v[24:25]
	s_clause 0x4
	buffer_load_dword v25, off, s[0:3], 0 offset:508
	buffer_load_dword v40, off, s[0:3], 0 offset:520
	;; [unrolled: 1-line block ×5, first 2 shown]
	ds_read_b128 v[12:15], v11 offset:880
	s_waitcnt vmcnt(57) lgkmcnt(1)
	v_mul_f64 v[163:164], v[1:2], v[42:43]
	v_mul_f64 v[42:43], v[3:4], v[42:43]
	s_waitcnt vmcnt(56)
	v_fma_f64 v[36:37], v[5:6], v[38:39], -v[36:37]
	v_fma_f64 v[32:33], v[7:8], v[38:39], v[32:33]
	v_add_f64 v[16:17], v[16:17], v[34:35]
	v_add_f64 v[9:10], v[9:10], v[26:27]
	s_clause 0x2
	buffer_load_dword v41, off, s[0:3], 0 offset:524
	buffer_load_dword v27, off, s[0:3], 0 offset:500
	buffer_load_dword v26, off, s[0:3], 0 offset:496
	s_waitcnt vmcnt(58) lgkmcnt(0)
	v_mul_f64 v[38:39], v[14:15], v[121:122]
	ds_read_b128 v[5:8], v11 offset:896
	s_waitcnt vmcnt(56)
	v_fma_f64 v[42:43], v[1:2], v[125:126], -v[42:43]
	v_mul_f64 v[34:35], v[12:13], v[121:122]
	v_add_f64 v[16:17], v[16:17], v[36:37]
	v_fma_f64 v[36:37], v[3:4], v[125:126], v[163:164]
	v_add_f64 v[9:10], v[9:10], v[32:33]
	s_clause 0x4
	buffer_load_dword v33, off, s[0:3], 0 offset:540
	buffer_load_dword v121, off, s[0:3], 0 offset:552
	buffer_load_dword v125, off, s[0:3], 0 offset:544
	buffer_load_dword v32, off, s[0:3], 0 offset:536
	buffer_load_dword v163, off, s[0:3], 0 offset:516
	s_waitcnt vmcnt(57) lgkmcnt(0)
	v_mul_f64 v[169:170], v[5:6], v[127:128]
	v_mul_f64 v[126:127], v[7:8], v[127:128]
	s_waitcnt vmcnt(56)
	v_fma_f64 v[38:39], v[12:13], v[123:124], -v[38:39]
	ds_read_b128 v[1:4], v11 offset:912
	v_fma_f64 v[34:35], v[14:15], v[123:124], v[34:35]
	v_add_f64 v[16:17], v[16:17], v[42:43]
	v_add_f64 v[9:10], v[9:10], v[36:37]
	s_clause 0x2
	buffer_load_dword v122, off, s[0:3], 0 offset:556
	buffer_load_dword v37, off, s[0:3], 0 offset:532
	buffer_load_dword v36, off, s[0:3], 0 offset:528
	ds_read_b128 v[12:15], v11 offset:928
	s_waitcnt vmcnt(58) lgkmcnt(1)
	v_mul_f64 v[123:124], v[3:4], v[129:130]
	s_waitcnt vmcnt(56)
	v_fma_f64 v[127:128], v[5:6], v[133:134], -v[126:127]
	v_mul_f64 v[42:43], v[1:2], v[129:130]
	v_add_f64 v[16:17], v[16:17], v[38:39]
	v_fma_f64 v[38:39], v[7:8], v[133:134], v[169:170]
	v_add_f64 v[9:10], v[9:10], v[34:35]
	s_clause 0x4
	buffer_load_dword v35, off, s[0:3], 0 offset:572
	buffer_load_dword v129, off, s[0:3], 0 offset:584
	buffer_load_dword v133, off, s[0:3], 0 offset:576
	buffer_load_dword v34, off, s[0:3], 0 offset:568
	buffer_load_dword v126, off, s[0:3], 0 offset:548
	s_waitcnt vmcnt(57) lgkmcnt(0)
	v_mul_f64 v[169:170], v[12:13], v[135:136]
	v_mul_f64 v[134:135], v[14:15], v[135:136]
	s_waitcnt vmcnt(56)
	v_fma_f64 v[123:124], v[1:2], v[131:132], -v[123:124]
	ds_read_b128 v[5:8], v11 offset:944
	v_fma_f64 v[42:43], v[3:4], v[131:132], v[42:43]
	v_add_f64 v[16:17], v[16:17], v[127:128]
	v_add_f64 v[9:10], v[9:10], v[38:39]
	s_clause 0x2
	buffer_load_dword v130, off, s[0:3], 0 offset:588
	buffer_load_dword v39, off, s[0:3], 0 offset:564
	buffer_load_dword v38, off, s[0:3], 0 offset:560
	ds_read_b128 v[1:4], v11 offset:960
	s_waitcnt vmcnt(58) lgkmcnt(1)
	v_mul_f64 v[131:132], v[7:8], v[138:139]
	;; [unrolled: 28-line block ×3, first 2 shown]
	s_waitcnt vmcnt(56)
	v_fma_f64 v[144:145], v[1:2], v[150:151], -v[143:144]
	v_mul_f64 v[135:136], v[12:13], v[146:147]
	buffer_load_dword v143, off, s[0:3], 0 offset:612
	v_add_f64 v[16:17], v[16:17], v[131:132]
	v_fma_f64 v[131:132], v[3:4], v[150:151], v[169:170]
	v_add_f64 v[9:10], v[9:10], v[127:128]
	ds_read_b128 v[1:4], v11 offset:1008
	s_waitcnt vmcnt(53) lgkmcnt(1)
	v_mul_f64 v[146:147], v[7:8], v[154:155]
	s_waitcnt vmcnt(52)
	v_fma_f64 v[140:141], v[12:13], v[148:149], -v[140:141]
	v_mul_f64 v[127:128], v[5:6], v[154:155]
	v_fma_f64 v[135:136], v[14:15], v[148:149], v[135:136]
	ds_read_b128 v[12:15], v11 offset:1024
	v_add_f64 v[16:17], v[16:17], v[144:145]
	v_add_f64 v[9:10], v[9:10], v[131:132]
	s_waitcnt vmcnt(51) lgkmcnt(1)
	v_mul_f64 v[144:145], v[3:4], v[156:157]
	v_mul_f64 v[131:132], v[1:2], v[156:157]
	s_waitcnt vmcnt(49)
	v_fma_f64 v[146:147], v[5:6], v[22:23], -v[146:147]
	v_fma_f64 v[22:23], v[7:8], v[22:23], v[127:128]
	v_add_f64 v[16:17], v[16:17], v[140:141]
	s_waitcnt vmcnt(45) lgkmcnt(0)
	v_mul_f64 v[140:141], v[12:13], v[20:21]
	v_add_f64 v[9:10], v[9:10], v[135:136]
	s_clause 0x3
	buffer_load_dword v127, off, s[0:3], 0 offset:144
	buffer_load_dword v128, off, s[0:3], 0 offset:148
	;; [unrolled: 1-line block ×4, first 2 shown]
	v_mul_f64 v[20:21], v[14:15], v[20:21]
	ds_read_b128 v[5:8], v11 offset:1040
	s_waitcnt vmcnt(48)
	v_fma_f64 v[144:145], v[1:2], v[158:159], -v[144:145]
	v_fma_f64 v[131:132], v[3:4], v[158:159], v[131:132]
	ds_read_b128 v[1:4], v11 offset:1056
	v_add_f64 v[16:17], v[16:17], v[146:147]
	v_add_f64 v[9:10], v[9:10], v[22:23]
	s_waitcnt vmcnt(47) lgkmcnt(1)
	v_mul_f64 v[146:147], v[7:8], v[160:161]
	s_waitcnt vmcnt(45)
	v_fma_f64 v[20:21], v[12:13], v[30:31], -v[20:21]
	v_mul_f64 v[22:23], v[5:6], v[160:161]
	v_fma_f64 v[30:31], v[14:15], v[30:31], v[140:141]
	ds_read_b128 v[12:15], v11 offset:1072
	v_add_f64 v[16:17], v[16:17], v[144:145]
	v_add_f64 v[9:10], v[9:10], v[131:132]
	s_waitcnt vmcnt(41) lgkmcnt(1)
	v_mul_f64 v[131:132], v[1:2], v[18:19]
	v_mul_f64 v[18:19], v[3:4], v[18:19]
	s_waitcnt vmcnt(40)
	v_fma_f64 v[140:141], v[5:6], v[165:166], -v[146:147]
	v_add_f64 v[16:17], v[16:17], v[20:21]
	v_fma_f64 v[20:21], v[7:8], v[165:166], v[22:23]
	v_add_f64 v[9:10], v[9:10], v[30:31]
	ds_read_b128 v[5:8], v11 offset:1088
	s_waitcnt vmcnt(39) lgkmcnt(1)
	v_mul_f64 v[30:31], v[14:15], v[152:153]
	v_mul_f64 v[22:23], v[12:13], v[152:153]
	s_waitcnt vmcnt(37)
	v_fma_f64 v[18:19], v[1:2], v[28:29], -v[18:19]
	v_fma_f64 v[28:29], v[3:4], v[28:29], v[131:132]
	ds_read_b128 v[1:4], v11 offset:1104
	v_add_f64 v[16:17], v[16:17], v[140:141]
	v_add_f64 v[9:10], v[9:10], v[20:21]
	s_waitcnt vmcnt(33) lgkmcnt(1)
	v_mul_f64 v[20:21], v[5:6], v[24:25]
	v_mul_f64 v[24:25], v[7:8], v[24:25]
	s_waitcnt vmcnt(32)
	v_fma_f64 v[30:31], v[12:13], v[167:168], -v[30:31]
	v_add_f64 v[16:17], v[16:17], v[18:19]
	v_fma_f64 v[18:19], v[14:15], v[167:168], v[22:23]
	v_add_f64 v[9:10], v[9:10], v[28:29]
	ds_read_b128 v[12:15], v11 offset:1120
	s_waitcnt vmcnt(31) lgkmcnt(1)
	v_mul_f64 v[28:29], v[3:4], v[40:41]
	v_mul_f64 v[22:23], v[1:2], v[40:41]
	s_waitcnt vmcnt(29)
	v_fma_f64 v[24:25], v[5:6], v[26:27], -v[24:25]
	v_fma_f64 v[20:21], v[7:8], v[26:27], v[20:21]
	ds_read_b128 v[5:8], v11 offset:1136
	v_add_f64 v[16:17], v[16:17], v[30:31]
	v_add_f64 v[9:10], v[9:10], v[18:19]
	s_waitcnt vmcnt(25) lgkmcnt(1)
	v_mul_f64 v[26:27], v[14:15], v[32:33]
	s_waitcnt vmcnt(24)
	v_fma_f64 v[28:29], v[1:2], v[162:163], -v[28:29]
	v_mul_f64 v[18:19], v[12:13], v[32:33]
	v_fma_f64 v[22:23], v[3:4], v[162:163], v[22:23]
	ds_read_b128 v[1:4], v11 offset:1152
	v_add_f64 v[16:17], v[16:17], v[24:25]
	v_add_f64 v[9:10], v[9:10], v[20:21]
	s_waitcnt vmcnt(23) lgkmcnt(1)
	v_mul_f64 v[24:25], v[7:8], v[121:122]
	v_mul_f64 v[20:21], v[5:6], v[121:122]
	s_waitcnt vmcnt(21)
	v_fma_f64 v[26:27], v[12:13], v[36:37], -v[26:27]
	v_fma_f64 v[18:19], v[14:15], v[36:37], v[18:19]
	ds_read_b128 v[12:15], v11 offset:1168
	v_add_f64 v[16:17], v[16:17], v[28:29]
	v_add_f64 v[9:10], v[9:10], v[22:23]
	s_waitcnt vmcnt(17) lgkmcnt(1)
	v_mul_f64 v[28:29], v[3:4], v[34:35]
	s_waitcnt vmcnt(16)
	v_fma_f64 v[24:25], v[5:6], v[125:126], -v[24:25]
	v_mul_f64 v[22:23], v[1:2], v[34:35]
	v_fma_f64 v[20:21], v[7:8], v[125:126], v[20:21]
	ds_read_b128 v[5:8], v11 offset:1184
	v_add_f64 v[16:17], v[16:17], v[26:27]
	v_add_f64 v[9:10], v[9:10], v[18:19]
	s_waitcnt vmcnt(15) lgkmcnt(1)
	v_mul_f64 v[26:27], v[14:15], v[129:130]
	v_mul_f64 v[18:19], v[12:13], v[129:130]
	s_waitcnt vmcnt(13)
	v_fma_f64 v[28:29], v[1:2], v[38:39], -v[28:29]
	v_fma_f64 v[22:23], v[3:4], v[38:39], v[22:23]
	ds_read_b128 v[1:4], v11 offset:1200
	v_add_f64 v[16:17], v[16:17], v[24:25]
	v_add_f64 v[9:10], v[9:10], v[20:21]
	s_waitcnt vmcnt(9) lgkmcnt(1)
	v_mul_f64 v[24:25], v[7:8], v[42:43]
	s_waitcnt vmcnt(8)
	v_fma_f64 v[12:13], v[12:13], v[133:134], -v[26:27]
	v_mul_f64 v[20:21], v[5:6], v[42:43]
	v_fma_f64 v[14:15], v[14:15], v[133:134], v[18:19]
	v_add_f64 v[16:17], v[16:17], v[28:29]
	v_add_f64 v[9:10], v[9:10], v[22:23]
	s_waitcnt vmcnt(7) lgkmcnt(0)
	v_mul_f64 v[22:23], v[3:4], v[138:139]
	v_mul_f64 v[18:19], v[1:2], v[138:139]
	s_waitcnt vmcnt(5)
	v_fma_f64 v[5:6], v[5:6], v[123:124], -v[24:25]
	v_fma_f64 v[7:8], v[7:8], v[123:124], v[20:21]
	v_add_f64 v[12:13], v[16:17], v[12:13]
	v_add_f64 v[9:10], v[9:10], v[14:15]
	s_waitcnt vmcnt(4)
	v_fma_f64 v[1:2], v[1:2], v[142:143], -v[22:23]
	v_fma_f64 v[3:4], v[3:4], v[142:143], v[18:19]
	v_add_f64 v[5:6], v[12:13], v[5:6]
	v_add_f64 v[7:8], v[9:10], v[7:8]
	;; [unrolled: 1-line block ×4, first 2 shown]
	s_waitcnt vmcnt(2)
	v_add_f64 v[1:2], v[127:128], -v[1:2]
	s_waitcnt vmcnt(0)
	v_add_f64 v[3:4], v[135:136], -v[3:4]
	buffer_store_dword v2, off, s[0:3], 0 offset:148
	buffer_store_dword v1, off, s[0:3], 0 offset:144
	;; [unrolled: 1-line block ×4, first 2 shown]
	v_cmpx_lt_u32_e32 7, v0
	s_cbranch_execz .LBB37_227
; %bb.226:
	v_mov_b32_e32 v4, s43
	s_clause 0x3
	buffer_load_dword v1, v4, s[0:3], 0 offen
	buffer_load_dword v2, v4, s[0:3], 0 offen offset:4
	buffer_load_dword v3, v4, s[0:3], 0 offen offset:8
	;; [unrolled: 1-line block ×3, first 2 shown]
	buffer_store_dword v11, off, s[0:3], 0 offset:128
	buffer_store_dword v11, off, s[0:3], 0 offset:132
	;; [unrolled: 1-line block ×4, first 2 shown]
	s_waitcnt vmcnt(0)
	ds_write_b128 v137, v[1:4]
.LBB37_227:
	s_or_b32 exec_lo, exec_lo, s4
	s_waitcnt lgkmcnt(0)
	s_waitcnt_vscnt null, 0x0
	s_barrier
	buffer_gl0_inv
	s_clause 0x37
	buffer_load_dword v9, off, s[0:3], 0 offset:152
	buffer_load_dword v10, off, s[0:3], 0 offset:156
	;; [unrolled: 1-line block ×56, first 2 shown]
	ds_read_b128 v[12:15], v11 offset:736
	s_clause 0x2
	buffer_load_dword v147, off, s[0:3], 0 offset:380
	buffer_load_dword v151, off, s[0:3], 0 offset:356
	;; [unrolled: 1-line block ×3, first 2 shown]
	ds_read_b128 v[16:19], v11 offset:752
	s_clause 0x4
	buffer_load_dword v155, off, s[0:3], 0 offset:396
	buffer_load_dword v156, off, s[0:3], 0 offset:408
	;; [unrolled: 1-line block ×5, first 2 shown]
	ds_read_b128 v[20:23], v11 offset:768
	s_clause 0x2
	buffer_load_dword v157, off, s[0:3], 0 offset:412
	buffer_load_dword v162, off, s[0:3], 0 offset:388
	;; [unrolled: 1-line block ×3, first 2 shown]
	s_mov_b32 s4, exec_lo
	s_waitcnt vmcnt(62) lgkmcnt(2)
	v_mul_f64 v[152:153], v[14:15], v[9:10]
	v_mul_f64 v[9:10], v[12:13], v[9:10]
	s_waitcnt lgkmcnt(1)
	v_mul_f64 v[159:160], v[18:19], v[5:6]
	s_waitcnt vmcnt(59) lgkmcnt(0)
	v_mul_f64 v[163:164], v[22:23], v[3:4]
	v_fma_f64 v[12:13], v[12:13], v[7:8], -v[152:153]
	v_mul_f64 v[152:153], v[16:17], v[5:6]
	v_fma_f64 v[9:10], v[14:15], v[7:8], v[9:10]
	s_waitcnt vmcnt(57)
	v_fma_f64 v[16:17], v[16:17], v[1:2], -v[159:160]
	ds_read_b128 v[5:8], v11 offset:784
	v_mul_f64 v[14:15], v[20:21], v[3:4]
	s_waitcnt vmcnt(51)
	v_fma_f64 v[20:21], v[20:21], v[30:31], -v[163:164]
	v_add_f64 v[12:13], v[12:13], 0
	v_fma_f64 v[18:19], v[18:19], v[1:2], v[152:153]
	v_add_f64 v[9:10], v[9:10], 0
	s_clause 0x4
	buffer_load_dword v153, off, s[0:3], 0 offset:428
	buffer_load_dword v165, off, s[0:3], 0 offset:440
	;; [unrolled: 1-line block ×5, first 2 shown]
	s_waitcnt lgkmcnt(0)
	v_mul_f64 v[168:169], v[5:6], v[24:25]
	v_mul_f64 v[24:25], v[7:8], v[24:25]
	ds_read_b128 v[1:4], v11 offset:800
	v_fma_f64 v[22:23], v[22:23], v[30:31], v[14:15]
	v_add_f64 v[16:17], v[12:13], v[16:17]
	v_add_f64 v[9:10], v[9:10], v[18:19]
	s_clause 0x2
	buffer_load_dword v166, off, s[0:3], 0 offset:444
	buffer_load_dword v19, off, s[0:3], 0 offset:420
	;; [unrolled: 1-line block ×3, first 2 shown]
	s_waitcnt vmcnt(58) lgkmcnt(0)
	v_mul_f64 v[30:31], v[1:2], v[26:27]
	v_mul_f64 v[26:27], v[3:4], v[26:27]
	s_waitcnt vmcnt(56)
	v_fma_f64 v[24:25], v[5:6], v[32:33], -v[24:25]
	ds_read_b128 v[12:15], v11 offset:816
	v_add_f64 v[16:17], v[16:17], v[20:21]
	v_fma_f64 v[20:21], v[7:8], v[32:33], v[168:169]
	v_add_f64 v[9:10], v[9:10], v[22:23]
	s_clause 0x4
	buffer_load_dword v23, off, s[0:3], 0 offset:460
	buffer_load_dword v32, off, s[0:3], 0 offset:472
	buffer_load_dword v163, off, s[0:3], 0 offset:464
	buffer_load_dword v22, off, s[0:3], 0 offset:456
	buffer_load_dword v168, off, s[0:3], 0 offset:436
	ds_read_b128 v[5:8], v11 offset:832
	s_waitcnt vmcnt(57) lgkmcnt(1)
	v_mul_f64 v[169:170], v[12:13], v[34:35]
	v_mul_f64 v[34:35], v[14:15], v[34:35]
	s_waitcnt vmcnt(56)
	v_fma_f64 v[26:27], v[1:2], v[28:29], -v[26:27]
	v_add_f64 v[16:17], v[16:17], v[24:25]
	v_fma_f64 v[24:25], v[3:4], v[28:29], v[30:31]
	v_add_f64 v[9:10], v[9:10], v[20:21]
	s_clause 0x2
	buffer_load_dword v33, off, s[0:3], 0 offset:476
	buffer_load_dword v21, off, s[0:3], 0 offset:452
	;; [unrolled: 1-line block ×3, first 2 shown]
	s_waitcnt vmcnt(58) lgkmcnt(0)
	v_mul_f64 v[30:31], v[7:8], v[36:37]
	ds_read_b128 v[1:4], v11 offset:848
	s_waitcnt vmcnt(56)
	v_fma_f64 v[34:35], v[12:13], v[40:41], -v[34:35]
	v_mul_f64 v[28:29], v[5:6], v[36:37]
	v_add_f64 v[16:17], v[16:17], v[26:27]
	v_fma_f64 v[26:27], v[14:15], v[40:41], v[169:170]
	v_add_f64 v[9:10], v[9:10], v[24:25]
	s_clause 0x4
	buffer_load_dword v25, off, s[0:3], 0 offset:492
	buffer_load_dword v36, off, s[0:3], 0 offset:504
	buffer_load_dword v40, off, s[0:3], 0 offset:496
	buffer_load_dword v24, off, s[0:3], 0 offset:488
	buffer_load_dword v164, off, s[0:3], 0 offset:468
	s_waitcnt vmcnt(57) lgkmcnt(0)
	v_mul_f64 v[169:170], v[1:2], v[42:43]
	v_mul_f64 v[41:42], v[3:4], v[42:43]
	s_waitcnt vmcnt(56)
	v_fma_f64 v[30:31], v[5:6], v[38:39], -v[30:31]
	ds_read_b128 v[12:15], v11 offset:864
	v_fma_f64 v[28:29], v[7:8], v[38:39], v[28:29]
	v_add_f64 v[16:17], v[16:17], v[34:35]
	v_add_f64 v[9:10], v[9:10], v[26:27]
	s_clause 0x2
	buffer_load_dword v37, off, s[0:3], 0 offset:508
	buffer_load_dword v27, off, s[0:3], 0 offset:484
	buffer_load_dword v26, off, s[0:3], 0 offset:480
	ds_read_b128 v[5:8], v11 offset:880
	s_waitcnt vmcnt(58) lgkmcnt(1)
	v_mul_f64 v[38:39], v[14:15], v[121:122]
	s_waitcnt vmcnt(56)
	v_fma_f64 v[42:43], v[1:2], v[125:126], -v[41:42]
	v_mul_f64 v[34:35], v[12:13], v[121:122]
	v_add_f64 v[16:17], v[16:17], v[30:31]
	v_fma_f64 v[30:31], v[3:4], v[125:126], v[169:170]
	v_add_f64 v[9:10], v[9:10], v[28:29]
	s_clause 0x4
	buffer_load_dword v29, off, s[0:3], 0 offset:524
	buffer_load_dword v121, off, s[0:3], 0 offset:536
	buffer_load_dword v125, off, s[0:3], 0 offset:528
	buffer_load_dword v28, off, s[0:3], 0 offset:520
	buffer_load_dword v41, off, s[0:3], 0 offset:500
	s_waitcnt vmcnt(57) lgkmcnt(0)
	v_mul_f64 v[169:170], v[5:6], v[127:128]
	v_mul_f64 v[126:127], v[7:8], v[127:128]
	s_waitcnt vmcnt(56)
	v_fma_f64 v[38:39], v[12:13], v[123:124], -v[38:39]
	ds_read_b128 v[1:4], v11 offset:896
	v_fma_f64 v[34:35], v[14:15], v[123:124], v[34:35]
	v_add_f64 v[16:17], v[16:17], v[42:43]
	v_add_f64 v[9:10], v[9:10], v[30:31]
	s_clause 0x2
	buffer_load_dword v122, off, s[0:3], 0 offset:540
	buffer_load_dword v31, off, s[0:3], 0 offset:516
	buffer_load_dword v30, off, s[0:3], 0 offset:512
	ds_read_b128 v[12:15], v11 offset:912
	s_waitcnt vmcnt(58) lgkmcnt(1)
	v_mul_f64 v[123:124], v[3:4], v[129:130]
	;; [unrolled: 28-line block ×4, first 2 shown]
	s_waitcnt vmcnt(56)
	v_fma_f64 v[144:145], v[1:2], v[150:151], -v[143:144]
	v_mul_f64 v[135:136], v[12:13], v[146:147]
	v_add_f64 v[16:17], v[16:17], v[131:132]
	v_fma_f64 v[131:132], v[3:4], v[150:151], v[169:170]
	v_add_f64 v[9:10], v[9:10], v[127:128]
	s_clause 0x2
	buffer_load_dword v128, off, s[0:3], 0 offset:620
	buffer_load_dword v127, off, s[0:3], 0 offset:616
	;; [unrolled: 1-line block ×3, first 2 shown]
	s_waitcnt vmcnt(55) lgkmcnt(0)
	v_mul_f64 v[150:151], v[7:8], v[154:155]
	s_waitcnt vmcnt(54)
	v_fma_f64 v[140:141], v[12:13], v[148:149], -v[140:141]
	ds_read_b128 v[1:4], v11 offset:992
	v_mul_f64 v[146:147], v[5:6], v[154:155]
	v_fma_f64 v[135:136], v[14:15], v[148:149], v[135:136]
	v_add_f64 v[16:17], v[16:17], v[144:145]
	v_add_f64 v[9:10], v[9:10], v[131:132]
	s_clause 0x1
	buffer_load_dword v132, off, s[0:3], 0 offset:612
	buffer_load_dword v131, off, s[0:3], 0 offset:608
	s_waitcnt vmcnt(55) lgkmcnt(0)
	v_mul_f64 v[148:149], v[3:4], v[156:157]
	s_waitcnt vmcnt(53)
	v_fma_f64 v[150:151], v[5:6], v[161:162], -v[150:151]
	ds_read_b128 v[12:15], v11 offset:1008
	v_mul_f64 v[144:145], v[1:2], v[156:157]
	v_add_f64 v[16:17], v[16:17], v[140:141]
	v_fma_f64 v[140:141], v[7:8], v[161:162], v[146:147]
	v_add_f64 v[9:10], v[9:10], v[135:136]
	ds_read_b128 v[5:8], v11 offset:1024
	s_waitcnt vmcnt(49) lgkmcnt(1)
	v_mul_f64 v[146:147], v[14:15], v[152:153]
	s_waitcnt vmcnt(48)
	v_fma_f64 v[148:149], v[1:2], v[158:159], -v[148:149]
	v_mul_f64 v[135:136], v[12:13], v[152:153]
	v_fma_f64 v[144:145], v[3:4], v[158:159], v[144:145]
	v_add_f64 v[16:17], v[16:17], v[150:151]
	v_add_f64 v[9:10], v[9:10], v[140:141]
	s_clause 0x3
	buffer_load_dword v140, off, s[0:3], 0 offset:128
	buffer_load_dword v141, off, s[0:3], 0 offset:132
	;; [unrolled: 1-line block ×4, first 2 shown]
	ds_read_b128 v[1:4], v11 offset:1040
	s_waitcnt vmcnt(51) lgkmcnt(1)
	v_mul_f64 v[154:155], v[7:8], v[165:166]
	v_mul_f64 v[152:153], v[5:6], v[165:166]
	s_waitcnt vmcnt(49)
	v_fma_f64 v[146:147], v[12:13], v[18:19], -v[146:147]
	v_fma_f64 v[18:19], v[14:15], v[18:19], v[135:136]
	ds_read_b128 v[12:15], v11 offset:1056
	v_add_f64 v[16:17], v[16:17], v[148:149]
	v_add_f64 v[9:10], v[9:10], v[144:145]
	s_waitcnt vmcnt(45) lgkmcnt(1)
	v_mul_f64 v[135:136], v[1:2], v[22:23]
	v_mul_f64 v[22:23], v[3:4], v[22:23]
	s_waitcnt vmcnt(44)
	v_fma_f64 v[144:145], v[5:6], v[167:168], -v[154:155]
	v_add_f64 v[16:17], v[16:17], v[146:147]
	v_fma_f64 v[146:147], v[7:8], v[167:168], v[152:153]
	v_add_f64 v[9:10], v[9:10], v[18:19]
	ds_read_b128 v[5:8], v11 offset:1072
	s_waitcnt vmcnt(43) lgkmcnt(1)
	v_mul_f64 v[18:19], v[12:13], v[32:33]
	v_mul_f64 v[32:33], v[14:15], v[32:33]
	s_waitcnt vmcnt(41)
	v_fma_f64 v[22:23], v[1:2], v[20:21], -v[22:23]
	v_fma_f64 v[20:21], v[3:4], v[20:21], v[135:136]
	ds_read_b128 v[1:4], v11 offset:1088
	v_add_f64 v[16:17], v[16:17], v[144:145]
	v_add_f64 v[9:10], v[9:10], v[146:147]
	s_waitcnt vmcnt(37) lgkmcnt(1)
	v_mul_f64 v[135:136], v[5:6], v[24:25]
	v_mul_f64 v[24:25], v[7:8], v[24:25]
	s_waitcnt vmcnt(36)
	v_fma_f64 v[32:33], v[12:13], v[163:164], -v[32:33]
	v_fma_f64 v[18:19], v[14:15], v[163:164], v[18:19]
	ds_read_b128 v[12:15], v11 offset:1104
	v_add_f64 v[16:17], v[16:17], v[22:23]
	v_add_f64 v[9:10], v[9:10], v[20:21]
	;; [unrolled: 9-line block ×5, first 2 shown]
	s_waitcnt vmcnt(21) lgkmcnt(1)
	v_mul_f64 v[22:23], v[3:4], v[34:35]
	s_waitcnt vmcnt(20)
	v_fma_f64 v[26:27], v[5:6], v[125:126], -v[26:27]
	v_mul_f64 v[20:21], v[1:2], v[34:35]
	v_fma_f64 v[24:25], v[7:8], v[125:126], v[24:25]
	ds_read_b128 v[5:8], v11 offset:1168
	v_add_f64 v[16:17], v[16:17], v[28:29]
	v_add_f64 v[9:10], v[9:10], v[18:19]
	s_waitcnt vmcnt(19) lgkmcnt(1)
	v_mul_f64 v[28:29], v[14:15], v[129:130]
	v_mul_f64 v[18:19], v[12:13], v[129:130]
	s_waitcnt vmcnt(17)
	v_fma_f64 v[22:23], v[1:2], v[38:39], -v[22:23]
	v_fma_f64 v[20:21], v[3:4], v[38:39], v[20:21]
	ds_read_b128 v[1:4], v11 offset:1184
	v_add_f64 v[16:17], v[16:17], v[26:27]
	v_add_f64 v[9:10], v[9:10], v[24:25]
	s_waitcnt vmcnt(13) lgkmcnt(1)
	v_mul_f64 v[26:27], v[7:8], v[42:43]
	s_waitcnt vmcnt(12)
	v_fma_f64 v[28:29], v[12:13], v[133:134], -v[28:29]
	v_mul_f64 v[24:25], v[5:6], v[42:43]
	v_fma_f64 v[13:14], v[14:15], v[133:134], v[18:19]
	v_add_f64 v[16:17], v[16:17], v[22:23]
	v_add_f64 v[18:19], v[9:10], v[20:21]
	ds_read_b128 v[9:12], v11 offset:1200
	s_waitcnt vmcnt(11) lgkmcnt(1)
	v_mul_f64 v[22:23], v[3:4], v[138:139]
	v_mul_f64 v[20:21], v[1:2], v[138:139]
	s_waitcnt vmcnt(9)
	v_fma_f64 v[5:6], v[5:6], v[123:124], -v[26:27]
	v_fma_f64 v[7:8], v[7:8], v[123:124], v[24:25]
	v_add_f64 v[15:16], v[16:17], v[28:29]
	v_add_f64 v[13:14], v[18:19], v[13:14]
	s_waitcnt vmcnt(7) lgkmcnt(0)
	v_mul_f64 v[24:25], v[11:12], v[127:128]
	s_waitcnt vmcnt(6)
	v_fma_f64 v[1:2], v[1:2], v[142:143], -v[22:23]
	v_mul_f64 v[17:18], v[9:10], v[127:128]
	v_fma_f64 v[3:4], v[3:4], v[142:143], v[20:21]
	v_add_f64 v[5:6], v[15:16], v[5:6]
	v_add_f64 v[7:8], v[13:14], v[7:8]
	s_waitcnt vmcnt(4)
	v_fma_f64 v[9:10], v[9:10], v[131:132], -v[24:25]
	v_add_f64 v[1:2], v[5:6], v[1:2]
	v_fma_f64 v[5:6], v[11:12], v[131:132], v[17:18]
	v_add_f64 v[3:4], v[7:8], v[3:4]
	v_add_f64 v[1:2], v[1:2], v[9:10]
	;; [unrolled: 1-line block ×3, first 2 shown]
	s_waitcnt vmcnt(2)
	v_add_f64 v[1:2], v[140:141], -v[1:2]
	s_waitcnt vmcnt(0)
	v_add_f64 v[3:4], v[150:151], -v[3:4]
	buffer_store_dword v2, off, s[0:3], 0 offset:132
	buffer_store_dword v1, off, s[0:3], 0 offset:128
	;; [unrolled: 1-line block ×4, first 2 shown]
	v_cmpx_lt_u32_e32 6, v0
	s_cbranch_execz .LBB37_229
; %bb.228:
	v_mov_b32_e32 v4, s44
	v_mov_b32_e32 v5, 0
	s_clause 0x3
	buffer_load_dword v1, v4, s[0:3], 0 offen
	buffer_load_dword v2, v4, s[0:3], 0 offen offset:4
	buffer_load_dword v3, v4, s[0:3], 0 offen offset:8
	;; [unrolled: 1-line block ×3, first 2 shown]
	buffer_store_dword v5, off, s[0:3], 0 offset:112
	buffer_store_dword v5, off, s[0:3], 0 offset:116
	;; [unrolled: 1-line block ×4, first 2 shown]
	s_waitcnt vmcnt(0)
	ds_write_b128 v137, v[1:4]
.LBB37_229:
	s_or_b32 exec_lo, exec_lo, s4
	s_waitcnt lgkmcnt(0)
	s_waitcnt_vscnt null, 0x0
	s_barrier
	buffer_gl0_inv
	s_clause 0x37
	buffer_load_dword v9, off, s[0:3], 0 offset:136
	buffer_load_dword v10, off, s[0:3], 0 offset:140
	;; [unrolled: 1-line block ×56, first 2 shown]
	v_mov_b32_e32 v29, 0
	s_mov_b32 s4, exec_lo
	ds_read_b128 v[17:20], v29 offset:720
	s_clause 0x2
	buffer_load_dword v147, off, s[0:3], 0 offset:364
	buffer_load_dword v151, off, s[0:3], 0 offset:340
	buffer_load_dword v150, off, s[0:3], 0 offset:336
	ds_read_b128 v[21:24], v29 offset:736
	s_clause 0x4
	buffer_load_dword v155, off, s[0:3], 0 offset:380
	buffer_load_dword v156, off, s[0:3], 0 offset:392
	;; [unrolled: 1-line block ×5, first 2 shown]
	ds_read_b128 v[25:28], v29 offset:752
	s_clause 0x2
	buffer_load_dword v157, off, s[0:3], 0 offset:396
	buffer_load_dword v162, off, s[0:3], 0 offset:372
	;; [unrolled: 1-line block ×3, first 2 shown]
	s_waitcnt vmcnt(62) lgkmcnt(2)
	v_mul_f64 v[152:153], v[19:20], v[9:10]
	v_mul_f64 v[9:10], v[17:18], v[9:10]
	s_waitcnt lgkmcnt(1)
	v_mul_f64 v[159:160], v[23:24], v[5:6]
	s_waitcnt vmcnt(59) lgkmcnt(0)
	v_mul_f64 v[163:164], v[27:28], v[3:4]
	v_fma_f64 v[17:18], v[17:18], v[7:8], -v[152:153]
	v_mul_f64 v[152:153], v[21:22], v[5:6]
	v_fma_f64 v[9:10], v[19:20], v[7:8], v[9:10]
	s_waitcnt vmcnt(57)
	v_fma_f64 v[21:22], v[21:22], v[1:2], -v[159:160]
	ds_read_b128 v[5:8], v29 offset:768
	v_mul_f64 v[19:20], v[25:26], v[3:4]
	s_waitcnt vmcnt(51)
	v_fma_f64 v[25:26], v[25:26], v[32:33], -v[163:164]
	v_add_f64 v[17:18], v[17:18], 0
	v_fma_f64 v[23:24], v[23:24], v[1:2], v[152:153]
	v_add_f64 v[9:10], v[9:10], 0
	s_clause 0x4
	buffer_load_dword v153, off, s[0:3], 0 offset:412
	buffer_load_dword v165, off, s[0:3], 0 offset:424
	;; [unrolled: 1-line block ×5, first 2 shown]
	s_waitcnt lgkmcnt(0)
	v_mul_f64 v[168:169], v[5:6], v[13:14]
	v_mul_f64 v[13:14], v[7:8], v[13:14]
	ds_read_b128 v[1:4], v29 offset:784
	v_fma_f64 v[27:28], v[27:28], v[32:33], v[19:20]
	v_add_f64 v[21:22], v[17:18], v[21:22]
	v_add_f64 v[9:10], v[9:10], v[23:24]
	s_clause 0x2
	buffer_load_dword v166, off, s[0:3], 0 offset:428
	buffer_load_dword v24, off, s[0:3], 0 offset:404
	;; [unrolled: 1-line block ×3, first 2 shown]
	s_waitcnt vmcnt(58) lgkmcnt(0)
	v_mul_f64 v[32:33], v[1:2], v[30:31]
	v_mul_f64 v[30:31], v[3:4], v[30:31]
	s_waitcnt vmcnt(56)
	v_fma_f64 v[13:14], v[5:6], v[34:35], -v[13:14]
	ds_read_b128 v[17:20], v29 offset:800
	v_add_f64 v[21:22], v[21:22], v[25:26]
	v_fma_f64 v[25:26], v[7:8], v[34:35], v[168:169]
	v_add_f64 v[9:10], v[9:10], v[27:28]
	s_clause 0x4
	buffer_load_dword v28, off, s[0:3], 0 offset:444
	buffer_load_dword v34, off, s[0:3], 0 offset:456
	;; [unrolled: 1-line block ×5, first 2 shown]
	ds_read_b128 v[5:8], v29 offset:816
	s_waitcnt vmcnt(57) lgkmcnt(1)
	v_mul_f64 v[169:170], v[17:18], v[36:37]
	v_mul_f64 v[36:37], v[19:20], v[36:37]
	s_waitcnt vmcnt(56)
	v_fma_f64 v[30:31], v[1:2], v[11:12], -v[30:31]
	v_fma_f64 v[11:12], v[3:4], v[11:12], v[32:33]
	v_add_f64 v[13:14], v[21:22], v[13:14]
	s_clause 0x2
	buffer_load_dword v35, off, s[0:3], 0 offset:460
	buffer_load_dword v22, off, s[0:3], 0 offset:436
	;; [unrolled: 1-line block ×3, first 2 shown]
	v_add_f64 v[9:10], v[9:10], v[25:26]
	s_waitcnt vmcnt(58) lgkmcnt(0)
	v_mul_f64 v[32:33], v[7:8], v[38:39]
	ds_read_b128 v[1:4], v29 offset:832
	v_mul_f64 v[25:26], v[5:6], v[38:39]
	s_waitcnt vmcnt(56)
	v_fma_f64 v[17:18], v[17:18], v[40:41], -v[36:37]
	v_fma_f64 v[19:20], v[19:20], v[40:41], v[169:170]
	s_clause 0x4
	buffer_load_dword v37, off, s[0:3], 0 offset:476
	buffer_load_dword v38, off, s[0:3], 0 offset:488
	;; [unrolled: 1-line block ×5, first 2 shown]
	v_add_f64 v[13:14], v[13:14], v[30:31]
	v_add_f64 v[30:31], v[9:10], v[11:12]
	s_waitcnt vmcnt(57) lgkmcnt(0)
	v_mul_f64 v[169:170], v[1:2], v[42:43]
	v_mul_f64 v[41:42], v[3:4], v[42:43]
	s_waitcnt vmcnt(56)
	v_fma_f64 v[32:33], v[5:6], v[15:16], -v[32:33]
	ds_read_b128 v[9:12], v29 offset:848
	v_fma_f64 v[15:16], v[7:8], v[15:16], v[25:26]
	v_add_f64 v[13:14], v[13:14], v[17:18]
	v_add_f64 v[17:18], v[30:31], v[19:20]
	s_clause 0x2
	buffer_load_dword v39, off, s[0:3], 0 offset:492
	buffer_load_dword v20, off, s[0:3], 0 offset:468
	;; [unrolled: 1-line block ×3, first 2 shown]
	s_waitcnt vmcnt(58) lgkmcnt(0)
	v_mul_f64 v[30:31], v[11:12], v[121:122]
	s_waitcnt vmcnt(56)
	v_fma_f64 v[42:43], v[1:2], v[125:126], -v[41:42]
	ds_read_b128 v[5:8], v29 offset:864
	v_mul_f64 v[25:26], v[9:10], v[121:122]
	v_add_f64 v[13:14], v[13:14], v[32:33]
	v_fma_f64 v[32:33], v[3:4], v[125:126], v[169:170]
	v_add_f64 v[15:16], v[17:18], v[15:16]
	s_clause 0x4
	buffer_load_dword v18, off, s[0:3], 0 offset:508
	buffer_load_dword v121, off, s[0:3], 0 offset:520
	buffer_load_dword v125, off, s[0:3], 0 offset:512
	buffer_load_dword v17, off, s[0:3], 0 offset:504
	buffer_load_dword v41, off, s[0:3], 0 offset:484
	s_waitcnt vmcnt(57) lgkmcnt(0)
	v_mul_f64 v[169:170], v[5:6], v[127:128]
	v_mul_f64 v[126:127], v[7:8], v[127:128]
	s_waitcnt vmcnt(56)
	v_fma_f64 v[30:31], v[9:10], v[123:124], -v[30:31]
	ds_read_b128 v[1:4], v29 offset:880
	v_fma_f64 v[25:26], v[11:12], v[123:124], v[25:26]
	v_add_f64 v[13:14], v[13:14], v[42:43]
	v_add_f64 v[15:16], v[15:16], v[32:33]
	s_clause 0x2
	buffer_load_dword v122, off, s[0:3], 0 offset:524
	buffer_load_dword v33, off, s[0:3], 0 offset:500
	buffer_load_dword v32, off, s[0:3], 0 offset:496
	ds_read_b128 v[9:12], v29 offset:896
	s_waitcnt vmcnt(58) lgkmcnt(1)
	v_mul_f64 v[123:124], v[3:4], v[129:130]
	s_waitcnt vmcnt(56)
	v_fma_f64 v[127:128], v[5:6], v[133:134], -v[126:127]
	v_mul_f64 v[42:43], v[1:2], v[129:130]
	v_add_f64 v[13:14], v[13:14], v[30:31]
	v_fma_f64 v[30:31], v[7:8], v[133:134], v[169:170]
	v_add_f64 v[15:16], v[15:16], v[25:26]
	s_clause 0x4
	buffer_load_dword v26, off, s[0:3], 0 offset:540
	buffer_load_dword v129, off, s[0:3], 0 offset:552
	buffer_load_dword v133, off, s[0:3], 0 offset:544
	buffer_load_dword v25, off, s[0:3], 0 offset:536
	buffer_load_dword v126, off, s[0:3], 0 offset:516
	s_waitcnt vmcnt(57) lgkmcnt(0)
	v_mul_f64 v[169:170], v[9:10], v[135:136]
	v_mul_f64 v[134:135], v[11:12], v[135:136]
	s_waitcnt vmcnt(56)
	v_fma_f64 v[123:124], v[1:2], v[131:132], -v[123:124]
	ds_read_b128 v[5:8], v29 offset:912
	v_fma_f64 v[42:43], v[3:4], v[131:132], v[42:43]
	v_add_f64 v[13:14], v[13:14], v[127:128]
	v_add_f64 v[15:16], v[15:16], v[30:31]
	s_clause 0x2
	buffer_load_dword v130, off, s[0:3], 0 offset:556
	buffer_load_dword v31, off, s[0:3], 0 offset:532
	buffer_load_dword v30, off, s[0:3], 0 offset:528
	ds_read_b128 v[1:4], v29 offset:928
	s_waitcnt vmcnt(58) lgkmcnt(1)
	v_mul_f64 v[131:132], v[7:8], v[138:139]
	s_waitcnt vmcnt(56)
	v_fma_f64 v[135:136], v[9:10], v[142:143], -v[134:135]
	;; [unrolled: 28-line block ×4, first 2 shown]
	v_mul_f64 v[144:145], v[1:2], v[156:157]
	buffer_load_dword v151, off, s[0:3], 0 offset:612
	v_add_f64 v[13:14], v[13:14], v[140:141]
	v_fma_f64 v[140:141], v[7:8], v[161:162], v[169:170]
	v_add_f64 v[15:16], v[15:16], v[135:136]
	ds_read_b128 v[5:8], v29 offset:1008
	s_waitcnt vmcnt(53) lgkmcnt(1)
	v_mul_f64 v[135:136], v[9:10], v[152:153]
	v_mul_f64 v[152:153], v[11:12], v[152:153]
	s_waitcnt vmcnt(52)
	v_fma_f64 v[148:149], v[1:2], v[158:159], -v[148:149]
	v_fma_f64 v[144:145], v[3:4], v[158:159], v[144:145]
	ds_read_b128 v[1:4], v29 offset:1024
	v_add_f64 v[13:14], v[13:14], v[154:155]
	v_add_f64 v[15:16], v[15:16], v[140:141]
	s_waitcnt vmcnt(51) lgkmcnt(1)
	v_mul_f64 v[154:155], v[7:8], v[165:166]
	v_mul_f64 v[140:141], v[5:6], v[165:166]
	s_waitcnt vmcnt(49)
	v_fma_f64 v[152:153], v[9:10], v[23:24], -v[152:153]
	v_fma_f64 v[23:24], v[11:12], v[23:24], v[135:136]
	v_add_f64 v[13:14], v[13:14], v[148:149]
	v_add_f64 v[15:16], v[15:16], v[144:145]
	s_clause 0x3
	buffer_load_dword v135, off, s[0:3], 0 offset:112
	buffer_load_dword v136, off, s[0:3], 0 offset:116
	;; [unrolled: 1-line block ×4, first 2 shown]
	ds_read_b128 v[9:12], v29 offset:1040
	s_waitcnt vmcnt(49) lgkmcnt(1)
	v_mul_f64 v[148:149], v[1:2], v[27:28]
	v_mul_f64 v[27:28], v[3:4], v[27:28]
	s_waitcnt vmcnt(48)
	v_fma_f64 v[154:155], v[5:6], v[167:168], -v[154:155]
	v_fma_f64 v[140:141], v[7:8], v[167:168], v[140:141]
	ds_read_b128 v[5:8], v29 offset:1056
	v_add_f64 v[13:14], v[13:14], v[152:153]
	v_add_f64 v[15:16], v[15:16], v[23:24]
	s_waitcnt vmcnt(47) lgkmcnt(1)
	v_mul_f64 v[23:24], v[9:10], v[34:35]
	v_mul_f64 v[34:35], v[11:12], v[34:35]
	s_waitcnt vmcnt(45)
	v_fma_f64 v[27:28], v[1:2], v[21:22], -v[27:28]
	v_fma_f64 v[21:22], v[3:4], v[21:22], v[148:149]
	ds_read_b128 v[1:4], v29 offset:1072
	v_add_f64 v[13:14], v[13:14], v[154:155]
	v_add_f64 v[15:16], v[15:16], v[140:141]
	s_waitcnt vmcnt(41) lgkmcnt(1)
	v_mul_f64 v[140:141], v[5:6], v[36:37]
	v_mul_f64 v[36:37], v[7:8], v[36:37]
	s_waitcnt vmcnt(40)
	v_fma_f64 v[23:24], v[11:12], v[163:164], v[23:24]
	v_fma_f64 v[34:35], v[9:10], v[163:164], -v[34:35]
	ds_read_b128 v[9:12], v29 offset:1088
	v_add_f64 v[13:14], v[13:14], v[27:28]
	v_add_f64 v[15:16], v[15:16], v[21:22]
	s_waitcnt vmcnt(39) lgkmcnt(1)
	v_mul_f64 v[27:28], v[3:4], v[38:39]
	v_mul_f64 v[21:22], v[1:2], v[38:39]
	s_waitcnt vmcnt(37)
	v_fma_f64 v[36:37], v[5:6], v[19:20], -v[36:37]
	v_fma_f64 v[19:20], v[7:8], v[19:20], v[140:141]
	ds_read_b128 v[5:8], v29 offset:1104
	v_add_f64 v[13:14], v[13:14], v[34:35]
	v_add_f64 v[15:16], v[15:16], v[23:24]
	s_waitcnt vmcnt(33) lgkmcnt(1)
	v_mul_f64 v[23:24], v[9:10], v[17:18]
	v_mul_f64 v[17:18], v[11:12], v[17:18]
	s_waitcnt vmcnt(32)
	v_fma_f64 v[27:28], v[1:2], v[40:41], -v[27:28]
	v_fma_f64 v[21:22], v[3:4], v[40:41], v[21:22]
	;; [unrolled: 9-line block ×3, first 2 shown]
	ds_read_b128 v[9:12], v29 offset:1136
	v_add_f64 v[13:14], v[13:14], v[27:28]
	v_add_f64 v[15:16], v[15:16], v[21:22]
	s_waitcnt vmcnt(25) lgkmcnt(1)
	v_mul_f64 v[21:22], v[1:2], v[25:26]
	v_mul_f64 v[25:26], v[3:4], v[25:26]
	s_waitcnt vmcnt(24)
	v_fma_f64 v[27:28], v[5:6], v[125:126], -v[34:35]
	v_add_f64 v[13:14], v[13:14], v[17:18]
	v_fma_f64 v[17:18], v[7:8], v[125:126], v[19:20]
	v_add_f64 v[15:16], v[15:16], v[23:24]
	ds_read_b128 v[5:8], v29 offset:1152
	s_waitcnt vmcnt(23) lgkmcnt(1)
	v_mul_f64 v[23:24], v[11:12], v[129:130]
	v_mul_f64 v[19:20], v[9:10], v[129:130]
	s_waitcnt vmcnt(21)
	v_fma_f64 v[25:26], v[1:2], v[30:31], -v[25:26]
	v_fma_f64 v[21:22], v[3:4], v[30:31], v[21:22]
	ds_read_b128 v[1:4], v29 offset:1168
	v_add_f64 v[13:14], v[13:14], v[27:28]
	v_add_f64 v[15:16], v[15:16], v[17:18]
	s_waitcnt vmcnt(17) lgkmcnt(1)
	v_mul_f64 v[27:28], v[7:8], v[42:43]
	s_waitcnt vmcnt(16)
	v_fma_f64 v[23:24], v[9:10], v[133:134], -v[23:24]
	v_mul_f64 v[17:18], v[5:6], v[42:43]
	v_fma_f64 v[19:20], v[11:12], v[133:134], v[19:20]
	ds_read_b128 v[9:12], v29 offset:1184
	v_add_f64 v[13:14], v[13:14], v[25:26]
	v_add_f64 v[15:16], v[15:16], v[21:22]
	s_waitcnt vmcnt(15) lgkmcnt(1)
	v_mul_f64 v[25:26], v[3:4], v[138:139]
	v_mul_f64 v[21:22], v[1:2], v[138:139]
	s_waitcnt vmcnt(13)
	v_fma_f64 v[27:28], v[5:6], v[123:124], -v[27:28]
	v_fma_f64 v[17:18], v[7:8], v[123:124], v[17:18]
	ds_read_b128 v[5:8], v29 offset:1200
	v_add_f64 v[13:14], v[13:14], v[23:24]
	v_add_f64 v[15:16], v[15:16], v[19:20]
	s_waitcnt vmcnt(9) lgkmcnt(1)
	v_mul_f64 v[23:24], v[11:12], v[127:128]
	s_waitcnt vmcnt(8)
	v_fma_f64 v[1:2], v[1:2], v[142:143], -v[25:26]
	v_mul_f64 v[19:20], v[9:10], v[127:128]
	v_fma_f64 v[3:4], v[3:4], v[142:143], v[21:22]
	v_add_f64 v[13:14], v[13:14], v[27:28]
	v_add_f64 v[15:16], v[15:16], v[17:18]
	s_waitcnt vmcnt(7) lgkmcnt(0)
	v_mul_f64 v[21:22], v[7:8], v[146:147]
	v_mul_f64 v[17:18], v[5:6], v[146:147]
	s_waitcnt vmcnt(5)
	v_fma_f64 v[9:10], v[9:10], v[131:132], -v[23:24]
	v_fma_f64 v[11:12], v[11:12], v[131:132], v[19:20]
	v_add_f64 v[1:2], v[13:14], v[1:2]
	v_add_f64 v[3:4], v[15:16], v[3:4]
	s_waitcnt vmcnt(4)
	v_fma_f64 v[5:6], v[5:6], v[150:151], -v[21:22]
	v_fma_f64 v[7:8], v[7:8], v[150:151], v[17:18]
	v_add_f64 v[1:2], v[1:2], v[9:10]
	v_add_f64 v[3:4], v[3:4], v[11:12]
	;; [unrolled: 1-line block ×4, first 2 shown]
	s_waitcnt vmcnt(2)
	v_add_f64 v[1:2], v[135:136], -v[1:2]
	s_waitcnt vmcnt(0)
	v_add_f64 v[3:4], v[144:145], -v[3:4]
	buffer_store_dword v2, off, s[0:3], 0 offset:116
	buffer_store_dword v1, off, s[0:3], 0 offset:112
	;; [unrolled: 1-line block ×4, first 2 shown]
	v_cmpx_lt_u32_e32 5, v0
	s_cbranch_execz .LBB37_231
; %bb.230:
	v_mov_b32_e32 v4, s45
	s_clause 0x3
	buffer_load_dword v1, v4, s[0:3], 0 offen
	buffer_load_dword v2, v4, s[0:3], 0 offen offset:4
	buffer_load_dword v3, v4, s[0:3], 0 offen offset:8
	;; [unrolled: 1-line block ×3, first 2 shown]
	buffer_store_dword v29, off, s[0:3], 0 offset:96
	buffer_store_dword v29, off, s[0:3], 0 offset:100
	;; [unrolled: 1-line block ×4, first 2 shown]
	s_waitcnt vmcnt(0)
	ds_write_b128 v137, v[1:4]
.LBB37_231:
	s_or_b32 exec_lo, exec_lo, s4
	s_waitcnt lgkmcnt(0)
	s_waitcnt_vscnt null, 0x0
	s_barrier
	buffer_gl0_inv
	s_clause 0x37
	buffer_load_dword v9, off, s[0:3], 0 offset:120
	buffer_load_dword v10, off, s[0:3], 0 offset:124
	;; [unrolled: 1-line block ×56, first 2 shown]
	ds_read_b128 v[30:33], v29 offset:704
	s_clause 0x2
	buffer_load_dword v147, off, s[0:3], 0 offset:348
	buffer_load_dword v151, off, s[0:3], 0 offset:324
	;; [unrolled: 1-line block ×3, first 2 shown]
	ds_read_b128 v[34:37], v29 offset:720
	s_clause 0x4
	buffer_load_dword v155, off, s[0:3], 0 offset:364
	buffer_load_dword v156, off, s[0:3], 0 offset:376
	;; [unrolled: 1-line block ×5, first 2 shown]
	ds_read_b128 v[38:41], v29 offset:736
	s_clause 0x2
	buffer_load_dword v157, off, s[0:3], 0 offset:380
	buffer_load_dword v162, off, s[0:3], 0 offset:356
	;; [unrolled: 1-line block ×3, first 2 shown]
	s_mov_b32 s4, exec_lo
	s_waitcnt vmcnt(62) lgkmcnt(2)
	v_mul_f64 v[152:153], v[32:33], v[9:10]
	v_mul_f64 v[9:10], v[30:31], v[9:10]
	s_waitcnt lgkmcnt(1)
	v_mul_f64 v[159:160], v[36:37], v[5:6]
	s_waitcnt vmcnt(59) lgkmcnt(0)
	v_mul_f64 v[163:164], v[40:41], v[3:4]
	v_fma_f64 v[30:31], v[30:31], v[7:8], -v[152:153]
	v_mul_f64 v[152:153], v[34:35], v[5:6]
	v_fma_f64 v[9:10], v[32:33], v[7:8], v[9:10]
	s_waitcnt vmcnt(57)
	v_fma_f64 v[34:35], v[34:35], v[1:2], -v[159:160]
	ds_read_b128 v[5:8], v29 offset:752
	v_mul_f64 v[32:33], v[38:39], v[3:4]
	s_waitcnt vmcnt(51)
	v_fma_f64 v[38:39], v[38:39], v[25:26], -v[163:164]
	v_add_f64 v[30:31], v[30:31], 0
	v_fma_f64 v[36:37], v[36:37], v[1:2], v[152:153]
	v_add_f64 v[9:10], v[9:10], 0
	s_clause 0x4
	buffer_load_dword v153, off, s[0:3], 0 offset:396
	buffer_load_dword v165, off, s[0:3], 0 offset:408
	;; [unrolled: 1-line block ×5, first 2 shown]
	s_waitcnt lgkmcnt(0)
	v_mul_f64 v[168:169], v[5:6], v[13:14]
	v_mul_f64 v[13:14], v[7:8], v[13:14]
	ds_read_b128 v[1:4], v29 offset:768
	v_fma_f64 v[25:26], v[40:41], v[25:26], v[32:33]
	v_add_f64 v[34:35], v[30:31], v[34:35]
	v_add_f64 v[9:10], v[9:10], v[36:37]
	s_clause 0x2
	buffer_load_dword v166, off, s[0:3], 0 offset:412
	buffer_load_dword v37, off, s[0:3], 0 offset:388
	buffer_load_dword v36, off, s[0:3], 0 offset:384
	s_waitcnt vmcnt(58) lgkmcnt(0)
	v_mul_f64 v[40:41], v[1:2], v[17:18]
	v_mul_f64 v[17:18], v[3:4], v[17:18]
	s_waitcnt vmcnt(56)
	v_fma_f64 v[13:14], v[5:6], v[19:20], -v[13:14]
	ds_read_b128 v[30:33], v29 offset:784
	v_fma_f64 v[19:20], v[7:8], v[19:20], v[168:169]
	v_add_f64 v[34:35], v[34:35], v[38:39]
	v_add_f64 v[9:10], v[9:10], v[25:26]
	s_clause 0x4
	buffer_load_dword v26, off, s[0:3], 0 offset:428
	buffer_load_dword v38, off, s[0:3], 0 offset:440
	;; [unrolled: 1-line block ×5, first 2 shown]
	ds_read_b128 v[5:8], v29 offset:800
	s_waitcnt vmcnt(57) lgkmcnt(1)
	v_mul_f64 v[169:170], v[30:31], v[21:22]
	v_mul_f64 v[21:22], v[32:33], v[21:22]
	s_waitcnt vmcnt(56)
	v_fma_f64 v[17:18], v[1:2], v[11:12], -v[17:18]
	v_fma_f64 v[11:12], v[3:4], v[11:12], v[40:41]
	v_add_f64 v[13:14], v[34:35], v[13:14]
	v_add_f64 v[9:10], v[9:10], v[19:20]
	s_clause 0x2
	buffer_load_dword v39, off, s[0:3], 0 offset:444
	buffer_load_dword v20, off, s[0:3], 0 offset:420
	;; [unrolled: 1-line block ×3, first 2 shown]
	s_waitcnt vmcnt(58) lgkmcnt(0)
	v_mul_f64 v[34:35], v[5:6], v[27:28]
	v_mul_f64 v[27:28], v[7:8], v[27:28]
	s_waitcnt vmcnt(56)
	v_fma_f64 v[21:22], v[30:31], v[42:43], -v[21:22]
	ds_read_b128 v[1:4], v29 offset:816
	v_add_f64 v[13:14], v[13:14], v[17:18]
	v_fma_f64 v[17:18], v[32:33], v[42:43], v[169:170]
	v_add_f64 v[30:31], v[9:10], v[11:12]
	s_clause 0x4
	buffer_load_dword v33, off, s[0:3], 0 offset:460
	buffer_load_dword v40, off, s[0:3], 0 offset:472
	;; [unrolled: 1-line block ×5, first 2 shown]
	ds_read_b128 v[9:12], v29 offset:832
	s_waitcnt vmcnt(57) lgkmcnt(1)
	v_mul_f64 v[43:44], v[1:2], v[121:122]
	v_mul_f64 v[121:122], v[3:4], v[121:122]
	s_waitcnt vmcnt(56)
	v_fma_f64 v[27:28], v[5:6], v[15:16], -v[27:28]
	v_fma_f64 v[15:16], v[7:8], v[15:16], v[34:35]
	v_add_f64 v[13:14], v[13:14], v[21:22]
	s_clause 0x2
	buffer_load_dword v41, off, s[0:3], 0 offset:476
	buffer_load_dword v22, off, s[0:3], 0 offset:452
	;; [unrolled: 1-line block ×3, first 2 shown]
	v_add_f64 v[17:18], v[30:31], v[17:18]
	s_waitcnt vmcnt(58) lgkmcnt(0)
	v_mul_f64 v[34:35], v[11:12], v[123:124]
	ds_read_b128 v[5:8], v29 offset:848
	v_mul_f64 v[30:31], v[9:10], v[123:124]
	s_waitcnt vmcnt(56)
	v_fma_f64 v[121:122], v[1:2], v[125:126], -v[121:122]
	v_add_f64 v[13:14], v[13:14], v[27:28]
	v_fma_f64 v[27:28], v[3:4], v[125:126], v[43:44]
	v_add_f64 v[15:16], v[17:18], v[15:16]
	s_clause 0x4
	buffer_load_dword v18, off, s[0:3], 0 offset:492
	buffer_load_dword v123, off, s[0:3], 0 offset:504
	buffer_load_dword v125, off, s[0:3], 0 offset:496
	buffer_load_dword v17, off, s[0:3], 0 offset:488
	buffer_load_dword v43, off, s[0:3], 0 offset:468
	s_waitcnt vmcnt(57) lgkmcnt(0)
	v_mul_f64 v[169:170], v[5:6], v[127:128]
	v_mul_f64 v[126:127], v[7:8], v[127:128]
	s_waitcnt vmcnt(56)
	v_fma_f64 v[34:35], v[9:10], v[23:24], -v[34:35]
	ds_read_b128 v[1:4], v29 offset:864
	v_fma_f64 v[23:24], v[11:12], v[23:24], v[30:31]
	v_add_f64 v[13:14], v[13:14], v[121:122]
	v_add_f64 v[15:16], v[15:16], v[27:28]
	s_clause 0x2
	buffer_load_dword v124, off, s[0:3], 0 offset:508
	buffer_load_dword v28, off, s[0:3], 0 offset:484
	buffer_load_dword v27, off, s[0:3], 0 offset:480
	ds_read_b128 v[9:12], v29 offset:880
	s_waitcnt vmcnt(58) lgkmcnt(1)
	v_mul_f64 v[121:122], v[3:4], v[129:130]
	s_waitcnt vmcnt(56)
	v_fma_f64 v[127:128], v[5:6], v[133:134], -v[126:127]
	v_mul_f64 v[30:31], v[1:2], v[129:130]
	v_add_f64 v[13:14], v[13:14], v[34:35]
	v_fma_f64 v[34:35], v[7:8], v[133:134], v[169:170]
	v_add_f64 v[15:16], v[15:16], v[23:24]
	s_clause 0x4
	buffer_load_dword v24, off, s[0:3], 0 offset:524
	buffer_load_dword v129, off, s[0:3], 0 offset:536
	buffer_load_dword v133, off, s[0:3], 0 offset:528
	buffer_load_dword v23, off, s[0:3], 0 offset:520
	buffer_load_dword v126, off, s[0:3], 0 offset:500
	s_waitcnt vmcnt(57) lgkmcnt(0)
	v_mul_f64 v[169:170], v[9:10], v[135:136]
	v_mul_f64 v[134:135], v[11:12], v[135:136]
	s_waitcnt vmcnt(56)
	v_fma_f64 v[121:122], v[1:2], v[131:132], -v[121:122]
	ds_read_b128 v[5:8], v29 offset:896
	v_fma_f64 v[30:31], v[3:4], v[131:132], v[30:31]
	v_add_f64 v[13:14], v[13:14], v[127:128]
	v_add_f64 v[15:16], v[15:16], v[34:35]
	s_clause 0x2
	buffer_load_dword v130, off, s[0:3], 0 offset:540
	buffer_load_dword v35, off, s[0:3], 0 offset:516
	buffer_load_dword v34, off, s[0:3], 0 offset:512
	ds_read_b128 v[1:4], v29 offset:912
	s_waitcnt vmcnt(58) lgkmcnt(1)
	v_mul_f64 v[131:132], v[7:8], v[138:139]
	s_waitcnt vmcnt(56)
	v_fma_f64 v[135:136], v[9:10], v[142:143], -v[134:135]
	v_mul_f64 v[127:128], v[5:6], v[138:139]
	;; [unrolled: 28-line block ×4, first 2 shown]
	v_add_f64 v[13:14], v[13:14], v[140:141]
	v_fma_f64 v[140:141], v[7:8], v[161:162], v[169:170]
	v_add_f64 v[15:16], v[15:16], v[135:136]
	s_clause 0x2
	buffer_load_dword v136, off, s[0:3], 0 offset:620
	buffer_load_dword v135, off, s[0:3], 0 offset:616
	buffer_load_dword v151, off, s[0:3], 0 offset:596
	ds_read_b128 v[5:8], v29 offset:992
	s_waitcnt vmcnt(55) lgkmcnt(1)
	v_mul_f64 v[156:157], v[9:10], v[152:153]
	v_mul_f64 v[152:153], v[11:12], v[152:153]
	s_waitcnt vmcnt(54)
	v_fma_f64 v[148:149], v[1:2], v[158:159], -v[148:149]
	v_fma_f64 v[144:145], v[3:4], v[158:159], v[144:145]
	v_add_f64 v[13:14], v[13:14], v[154:155]
	v_add_f64 v[15:16], v[15:16], v[140:141]
	s_clause 0x1
	buffer_load_dword v141, off, s[0:3], 0 offset:612
	buffer_load_dword v140, off, s[0:3], 0 offset:608
	ds_read_b128 v[1:4], v29 offset:1008
	s_waitcnt vmcnt(55) lgkmcnt(1)
	v_mul_f64 v[158:159], v[7:8], v[165:166]
	v_mul_f64 v[154:155], v[5:6], v[165:166]
	s_waitcnt vmcnt(53)
	v_fma_f64 v[152:153], v[9:10], v[36:37], -v[152:153]
	v_fma_f64 v[36:37], v[11:12], v[36:37], v[156:157]
	ds_read_b128 v[9:12], v29 offset:1024
	v_add_f64 v[13:14], v[13:14], v[148:149]
	v_add_f64 v[15:16], v[15:16], v[144:145]
	s_waitcnt vmcnt(49) lgkmcnt(1)
	v_mul_f64 v[144:145], v[1:2], v[25:26]
	v_mul_f64 v[25:26], v[3:4], v[25:26]
	s_waitcnt vmcnt(48)
	v_fma_f64 v[148:149], v[5:6], v[167:168], -v[158:159]
	v_add_f64 v[13:14], v[13:14], v[152:153]
	v_fma_f64 v[152:153], v[7:8], v[167:168], v[154:155]
	v_add_f64 v[15:16], v[15:16], v[36:37]
	s_clause 0x3
	buffer_load_dword v36, off, s[0:3], 0 offset:96
	buffer_load_dword v37, off, s[0:3], 0 offset:100
	;; [unrolled: 1-line block ×4, first 2 shown]
	ds_read_b128 v[5:8], v29 offset:1040
	s_waitcnt vmcnt(51) lgkmcnt(1)
	v_mul_f64 v[156:157], v[9:10], v[38:39]
	v_mul_f64 v[38:39], v[11:12], v[38:39]
	s_waitcnt vmcnt(49)
	v_fma_f64 v[25:26], v[1:2], v[19:20], -v[25:26]
	v_fma_f64 v[19:20], v[3:4], v[19:20], v[144:145]
	ds_read_b128 v[1:4], v29 offset:1056
	v_add_f64 v[13:14], v[13:14], v[148:149]
	v_add_f64 v[15:16], v[15:16], v[152:153]
	s_waitcnt vmcnt(45) lgkmcnt(1)
	v_mul_f64 v[144:145], v[5:6], v[32:33]
	v_mul_f64 v[32:33], v[7:8], v[32:33]
	s_waitcnt vmcnt(44)
	v_fma_f64 v[38:39], v[9:10], v[163:164], -v[38:39]
	v_add_f64 v[13:14], v[13:14], v[25:26]
	v_fma_f64 v[25:26], v[11:12], v[163:164], v[156:157]
	v_add_f64 v[15:16], v[15:16], v[19:20]
	ds_read_b128 v[9:12], v29 offset:1072
	s_waitcnt vmcnt(43) lgkmcnt(1)
	v_mul_f64 v[19:20], v[1:2], v[40:41]
	v_mul_f64 v[40:41], v[3:4], v[40:41]
	s_waitcnt vmcnt(41)
	v_fma_f64 v[32:33], v[5:6], v[21:22], -v[32:33]
	v_fma_f64 v[21:22], v[7:8], v[21:22], v[144:145]
	ds_read_b128 v[5:8], v29 offset:1088
	v_add_f64 v[13:14], v[13:14], v[38:39]
	v_add_f64 v[15:16], v[15:16], v[25:26]
	s_waitcnt vmcnt(37) lgkmcnt(1)
	v_mul_f64 v[25:26], v[9:10], v[17:18]
	v_mul_f64 v[17:18], v[11:12], v[17:18]
	s_waitcnt vmcnt(36)
	v_fma_f64 v[38:39], v[1:2], v[42:43], -v[40:41]
	v_fma_f64 v[19:20], v[3:4], v[42:43], v[19:20]
	ds_read_b128 v[1:4], v29 offset:1104
	v_add_f64 v[13:14], v[13:14], v[32:33]
	v_add_f64 v[15:16], v[15:16], v[21:22]
	;; [unrolled: 9-line block ×3, first 2 shown]
	s_waitcnt vmcnt(29) lgkmcnt(1)
	v_mul_f64 v[19:20], v[1:2], v[23:24]
	v_mul_f64 v[23:24], v[3:4], v[23:24]
	s_waitcnt vmcnt(28)
	v_fma_f64 v[27:28], v[5:6], v[125:126], -v[32:33]
	v_add_f64 v[13:14], v[13:14], v[17:18]
	v_fma_f64 v[17:18], v[7:8], v[125:126], v[21:22]
	v_add_f64 v[15:16], v[15:16], v[25:26]
	ds_read_b128 v[5:8], v29 offset:1136
	s_waitcnt vmcnt(27) lgkmcnt(1)
	v_mul_f64 v[25:26], v[11:12], v[129:130]
	v_mul_f64 v[21:22], v[9:10], v[129:130]
	s_waitcnt vmcnt(25)
	v_fma_f64 v[23:24], v[1:2], v[34:35], -v[23:24]
	v_fma_f64 v[19:20], v[3:4], v[34:35], v[19:20]
	ds_read_b128 v[1:4], v29 offset:1152
	v_add_f64 v[13:14], v[13:14], v[27:28]
	v_add_f64 v[15:16], v[15:16], v[17:18]
	s_waitcnt vmcnt(21) lgkmcnt(1)
	v_mul_f64 v[27:28], v[7:8], v[30:31]
	s_waitcnt vmcnt(20)
	v_fma_f64 v[25:26], v[9:10], v[133:134], -v[25:26]
	v_mul_f64 v[17:18], v[5:6], v[30:31]
	v_fma_f64 v[21:22], v[11:12], v[133:134], v[21:22]
	ds_read_b128 v[9:12], v29 offset:1168
	v_add_f64 v[13:14], v[13:14], v[23:24]
	v_add_f64 v[15:16], v[15:16], v[19:20]
	s_waitcnt vmcnt(19) lgkmcnt(1)
	v_mul_f64 v[23:24], v[3:4], v[138:139]
	v_mul_f64 v[19:20], v[1:2], v[138:139]
	s_waitcnt vmcnt(17)
	v_fma_f64 v[27:28], v[5:6], v[121:122], -v[27:28]
	v_fma_f64 v[17:18], v[7:8], v[121:122], v[17:18]
	ds_read_b128 v[5:8], v29 offset:1184
	v_add_f64 v[13:14], v[13:14], v[25:26]
	v_add_f64 v[15:16], v[15:16], v[21:22]
	s_waitcnt vmcnt(13) lgkmcnt(1)
	v_mul_f64 v[25:26], v[11:12], v[127:128]
	s_waitcnt vmcnt(12)
	v_fma_f64 v[23:24], v[1:2], v[142:143], -v[23:24]
	v_mul_f64 v[21:22], v[9:10], v[127:128]
	v_fma_f64 v[19:20], v[3:4], v[142:143], v[19:20]
	ds_read_b128 v[1:4], v29 offset:1200
	v_add_f64 v[13:14], v[13:14], v[27:28]
	v_add_f64 v[15:16], v[15:16], v[17:18]
	s_waitcnt vmcnt(11) lgkmcnt(1)
	v_mul_f64 v[27:28], v[7:8], v[146:147]
	v_mul_f64 v[17:18], v[5:6], v[146:147]
	s_waitcnt vmcnt(9)
	v_fma_f64 v[9:10], v[9:10], v[131:132], -v[25:26]
	v_fma_f64 v[11:12], v[11:12], v[131:132], v[21:22]
	v_add_f64 v[13:14], v[13:14], v[23:24]
	v_add_f64 v[15:16], v[15:16], v[19:20]
	s_waitcnt vmcnt(7) lgkmcnt(0)
	v_mul_f64 v[21:22], v[3:4], v[135:136]
	s_waitcnt vmcnt(6)
	v_fma_f64 v[5:6], v[5:6], v[150:151], -v[27:28]
	v_mul_f64 v[19:20], v[1:2], v[135:136]
	v_fma_f64 v[7:8], v[7:8], v[150:151], v[17:18]
	v_add_f64 v[9:10], v[13:14], v[9:10]
	v_add_f64 v[11:12], v[15:16], v[11:12]
	s_waitcnt vmcnt(4)
	v_fma_f64 v[1:2], v[1:2], v[140:141], -v[21:22]
	v_fma_f64 v[3:4], v[3:4], v[140:141], v[19:20]
	v_add_f64 v[5:6], v[9:10], v[5:6]
	v_add_f64 v[7:8], v[11:12], v[7:8]
	;; [unrolled: 1-line block ×4, first 2 shown]
	s_waitcnt vmcnt(2)
	v_add_f64 v[1:2], v[36:37], -v[1:2]
	s_waitcnt vmcnt(0)
	v_add_f64 v[3:4], v[154:155], -v[3:4]
	buffer_store_dword v2, off, s[0:3], 0 offset:100
	buffer_store_dword v1, off, s[0:3], 0 offset:96
	;; [unrolled: 1-line block ×4, first 2 shown]
	v_cmpx_lt_u32_e32 4, v0
	s_cbranch_execz .LBB37_233
; %bb.232:
	v_mov_b32_e32 v4, s46
	v_mov_b32_e32 v5, 0
	s_clause 0x3
	buffer_load_dword v1, v4, s[0:3], 0 offen
	buffer_load_dword v2, v4, s[0:3], 0 offen offset:4
	buffer_load_dword v3, v4, s[0:3], 0 offen offset:8
	;; [unrolled: 1-line block ×3, first 2 shown]
	buffer_store_dword v5, off, s[0:3], 0 offset:80
	buffer_store_dword v5, off, s[0:3], 0 offset:84
	;; [unrolled: 1-line block ×4, first 2 shown]
	s_waitcnt vmcnt(0)
	ds_write_b128 v137, v[1:4]
.LBB37_233:
	s_or_b32 exec_lo, exec_lo, s4
	s_waitcnt lgkmcnt(0)
	s_waitcnt_vscnt null, 0x0
	s_barrier
	buffer_gl0_inv
	s_clause 0x37
	buffer_load_dword v9, off, s[0:3], 0 offset:104
	buffer_load_dword v10, off, s[0:3], 0 offset:108
	;; [unrolled: 1-line block ×56, first 2 shown]
	v_mov_b32_e32 v127, 0
	s_mov_b32 s4, exec_lo
	ds_read_b128 v[39:42], v127 offset:688
	s_clause 0x2
	buffer_load_dword v147, off, s[0:3], 0 offset:332
	buffer_load_dword v151, off, s[0:3], 0 offset:308
	buffer_load_dword v150, off, s[0:3], 0 offset:304
	ds_read_b128 v[121:124], v127 offset:704
	s_clause 0x4
	buffer_load_dword v155, off, s[0:3], 0 offset:348
	buffer_load_dword v156, off, s[0:3], 0 offset:360
	;; [unrolled: 1-line block ×5, first 2 shown]
	ds_read_b128 v[128:131], v127 offset:720
	s_clause 0x2
	buffer_load_dword v157, off, s[0:3], 0 offset:364
	buffer_load_dword v162, off, s[0:3], 0 offset:340
	;; [unrolled: 1-line block ×3, first 2 shown]
	s_waitcnt vmcnt(62) lgkmcnt(2)
	v_mul_f64 v[152:153], v[41:42], v[9:10]
	v_mul_f64 v[9:10], v[39:40], v[9:10]
	s_waitcnt lgkmcnt(1)
	v_mul_f64 v[159:160], v[123:124], v[5:6]
	s_waitcnt vmcnt(59) lgkmcnt(0)
	v_mul_f64 v[163:164], v[130:131], v[3:4]
	v_fma_f64 v[39:40], v[39:40], v[7:8], -v[152:153]
	v_mul_f64 v[152:153], v[121:122], v[5:6]
	v_fma_f64 v[9:10], v[41:42], v[7:8], v[9:10]
	s_waitcnt vmcnt(57)
	v_fma_f64 v[121:122], v[121:122], v[1:2], -v[159:160]
	ds_read_b128 v[5:8], v127 offset:736
	v_mul_f64 v[41:42], v[128:129], v[3:4]
	s_waitcnt vmcnt(51)
	v_fma_f64 v[128:129], v[128:129], v[25:26], -v[163:164]
	v_add_f64 v[39:40], v[39:40], 0
	v_fma_f64 v[123:124], v[123:124], v[1:2], v[152:153]
	v_add_f64 v[9:10], v[9:10], 0
	s_clause 0x4
	buffer_load_dword v153, off, s[0:3], 0 offset:380
	buffer_load_dword v165, off, s[0:3], 0 offset:392
	buffer_load_dword v167, off, s[0:3], 0 offset:384
	buffer_load_dword v152, off, s[0:3], 0 offset:376
	buffer_load_dword v159, off, s[0:3], 0 offset:356
	s_waitcnt lgkmcnt(0)
	v_mul_f64 v[168:169], v[5:6], v[13:14]
	v_mul_f64 v[13:14], v[7:8], v[13:14]
	ds_read_b128 v[1:4], v127 offset:752
	v_fma_f64 v[25:26], v[130:131], v[25:26], v[41:42]
	v_add_f64 v[121:122], v[39:40], v[121:122]
	v_add_f64 v[9:10], v[9:10], v[123:124]
	s_clause 0x2
	buffer_load_dword v166, off, s[0:3], 0 offset:396
	buffer_load_dword v124, off, s[0:3], 0 offset:372
	;; [unrolled: 1-line block ×3, first 2 shown]
	s_waitcnt vmcnt(58) lgkmcnt(0)
	v_mul_f64 v[130:131], v[1:2], v[17:18]
	v_mul_f64 v[17:18], v[3:4], v[17:18]
	s_waitcnt vmcnt(56)
	v_fma_f64 v[13:14], v[5:6], v[19:20], -v[13:14]
	ds_read_b128 v[39:42], v127 offset:768
	v_fma_f64 v[19:20], v[7:8], v[19:20], v[168:169]
	v_add_f64 v[121:122], v[121:122], v[128:129]
	v_add_f64 v[9:10], v[9:10], v[25:26]
	s_clause 0x4
	buffer_load_dword v26, off, s[0:3], 0 offset:412
	buffer_load_dword v128, off, s[0:3], 0 offset:424
	;; [unrolled: 1-line block ×5, first 2 shown]
	ds_read_b128 v[5:8], v127 offset:784
	s_waitcnt vmcnt(57) lgkmcnt(1)
	v_mul_f64 v[169:170], v[39:40], v[21:22]
	v_mul_f64 v[21:22], v[41:42], v[21:22]
	s_waitcnt vmcnt(56)
	v_fma_f64 v[17:18], v[1:2], v[11:12], -v[17:18]
	v_fma_f64 v[11:12], v[3:4], v[11:12], v[130:131]
	v_add_f64 v[13:14], v[121:122], v[13:14]
	v_add_f64 v[9:10], v[9:10], v[19:20]
	s_clause 0x2
	buffer_load_dword v129, off, s[0:3], 0 offset:428
	buffer_load_dword v20, off, s[0:3], 0 offset:404
	;; [unrolled: 1-line block ×3, first 2 shown]
	s_waitcnt vmcnt(58) lgkmcnt(0)
	v_mul_f64 v[121:122], v[5:6], v[27:28]
	v_mul_f64 v[27:28], v[7:8], v[27:28]
	s_waitcnt vmcnt(56)
	v_fma_f64 v[21:22], v[39:40], v[29:30], -v[21:22]
	ds_read_b128 v[1:4], v127 offset:800
	v_add_f64 v[13:14], v[13:14], v[17:18]
	v_fma_f64 v[17:18], v[41:42], v[29:30], v[169:170]
	v_add_f64 v[29:30], v[9:10], v[11:12]
	s_clause 0x4
	buffer_load_dword v40, off, s[0:3], 0 offset:444
	buffer_load_dword v41, off, s[0:3], 0 offset:456
	;; [unrolled: 1-line block ×5, first 2 shown]
	ds_read_b128 v[9:12], v127 offset:816
	s_waitcnt vmcnt(57) lgkmcnt(1)
	v_mul_f64 v[169:170], v[1:2], v[31:32]
	v_mul_f64 v[31:32], v[3:4], v[31:32]
	s_waitcnt vmcnt(56)
	v_fma_f64 v[27:28], v[5:6], v[15:16], -v[27:28]
	v_fma_f64 v[15:16], v[7:8], v[15:16], v[121:122]
	v_add_f64 v[13:14], v[13:14], v[21:22]
	s_clause 0x2
	buffer_load_dword v42, off, s[0:3], 0 offset:460
	buffer_load_dword v22, off, s[0:3], 0 offset:436
	buffer_load_dword v21, off, s[0:3], 0 offset:432
	v_add_f64 v[17:18], v[29:30], v[17:18]
	s_waitcnt vmcnt(58) lgkmcnt(0)
	v_mul_f64 v[29:30], v[9:10], v[35:36]
	v_mul_f64 v[35:36], v[11:12], v[35:36]
	ds_read_b128 v[5:8], v127 offset:832
	s_waitcnt vmcnt(56)
	v_fma_f64 v[31:32], v[1:2], v[37:38], -v[31:32]
	v_add_f64 v[13:14], v[13:14], v[27:28]
	v_fma_f64 v[27:28], v[3:4], v[37:38], v[169:170]
	v_add_f64 v[15:16], v[17:18], v[15:16]
	s_clause 0x4
	buffer_load_dword v18, off, s[0:3], 0 offset:476
	buffer_load_dword v37, off, s[0:3], 0 offset:488
	;; [unrolled: 1-line block ×5, first 2 shown]
	s_waitcnt vmcnt(57) lgkmcnt(0)
	v_mul_f64 v[169:170], v[5:6], v[43:44]
	v_mul_f64 v[43:44], v[7:8], v[43:44]
	s_waitcnt vmcnt(56)
	v_fma_f64 v[35:36], v[9:10], v[23:24], -v[35:36]
	ds_read_b128 v[1:4], v127 offset:848
	v_fma_f64 v[23:24], v[11:12], v[23:24], v[29:30]
	v_add_f64 v[13:14], v[13:14], v[31:32]
	v_add_f64 v[15:16], v[15:16], v[27:28]
	s_clause 0x2
	buffer_load_dword v38, off, s[0:3], 0 offset:492
	buffer_load_dword v28, off, s[0:3], 0 offset:468
	;; [unrolled: 1-line block ×3, first 2 shown]
	ds_read_b128 v[9:12], v127 offset:864
	s_waitcnt vmcnt(58) lgkmcnt(1)
	v_mul_f64 v[31:32], v[3:4], v[125:126]
	s_waitcnt vmcnt(56)
	v_fma_f64 v[43:44], v[5:6], v[132:133], -v[43:44]
	v_mul_f64 v[29:30], v[1:2], v[125:126]
	v_add_f64 v[13:14], v[13:14], v[35:36]
	v_fma_f64 v[35:36], v[7:8], v[132:133], v[169:170]
	v_add_f64 v[15:16], v[15:16], v[23:24]
	s_clause 0x4
	buffer_load_dword v24, off, s[0:3], 0 offset:508
	buffer_load_dword v125, off, s[0:3], 0 offset:520
	;; [unrolled: 1-line block ×5, first 2 shown]
	s_waitcnt vmcnt(57) lgkmcnt(0)
	v_mul_f64 v[169:170], v[9:10], v[134:135]
	v_mul_f64 v[133:134], v[11:12], v[134:135]
	s_waitcnt vmcnt(56)
	v_fma_f64 v[31:32], v[1:2], v[33:34], -v[31:32]
	ds_read_b128 v[5:8], v127 offset:880
	v_fma_f64 v[29:30], v[3:4], v[33:34], v[29:30]
	s_clause 0x2
	buffer_load_dword v126, off, s[0:3], 0 offset:524
	buffer_load_dword v34, off, s[0:3], 0 offset:500
	;; [unrolled: 1-line block ×3, first 2 shown]
	ds_read_b128 v[1:4], v127 offset:896
	v_add_f64 v[13:14], v[13:14], v[43:44]
	v_add_f64 v[15:16], v[15:16], v[35:36]
	s_waitcnt vmcnt(58) lgkmcnt(1)
	v_mul_f64 v[43:44], v[7:8], v[138:139]
	s_waitcnt vmcnt(56)
	v_fma_f64 v[134:135], v[9:10], v[142:143], -v[133:134]
	v_mul_f64 v[35:36], v[5:6], v[138:139]
	v_add_f64 v[13:14], v[13:14], v[31:32]
	v_fma_f64 v[31:32], v[11:12], v[142:143], v[169:170]
	v_add_f64 v[15:16], v[15:16], v[29:30]
	s_clause 0x4
	buffer_load_dword v30, off, s[0:3], 0 offset:540
	buffer_load_dword v138, off, s[0:3], 0 offset:552
	;; [unrolled: 1-line block ×5, first 2 shown]
	s_waitcnt vmcnt(57) lgkmcnt(0)
	v_mul_f64 v[169:170], v[1:2], v[144:145]
	v_mul_f64 v[143:144], v[3:4], v[144:145]
	s_waitcnt vmcnt(56)
	v_fma_f64 v[43:44], v[5:6], v[140:141], -v[43:44]
	ds_read_b128 v[9:12], v127 offset:912
	v_fma_f64 v[35:36], v[7:8], v[140:141], v[35:36]
	v_add_f64 v[13:14], v[13:14], v[134:135]
	v_add_f64 v[15:16], v[15:16], v[31:32]
	s_clause 0x2
	buffer_load_dword v139, off, s[0:3], 0 offset:556
	buffer_load_dword v32, off, s[0:3], 0 offset:532
	;; [unrolled: 1-line block ×3, first 2 shown]
	ds_read_b128 v[5:8], v127 offset:928
	s_waitcnt vmcnt(58) lgkmcnt(1)
	v_mul_f64 v[140:141], v[11:12], v[146:147]
	s_waitcnt vmcnt(56)
	v_fma_f64 v[144:145], v[1:2], v[150:151], -v[143:144]
	v_mul_f64 v[134:135], v[9:10], v[146:147]
	v_add_f64 v[13:14], v[13:14], v[43:44]
	v_fma_f64 v[43:44], v[3:4], v[150:151], v[169:170]
	v_add_f64 v[15:16], v[15:16], v[35:36]
	s_clause 0x4
	buffer_load_dword v36, off, s[0:3], 0 offset:572
	buffer_load_dword v146, off, s[0:3], 0 offset:584
	;; [unrolled: 1-line block ×5, first 2 shown]
	s_waitcnt vmcnt(57) lgkmcnt(0)
	v_mul_f64 v[169:170], v[5:6], v[154:155]
	v_mul_f64 v[154:155], v[7:8], v[154:155]
	s_waitcnt vmcnt(56)
	v_fma_f64 v[140:141], v[9:10], v[148:149], -v[140:141]
	ds_read_b128 v[1:4], v127 offset:944
	v_fma_f64 v[134:135], v[11:12], v[148:149], v[134:135]
	v_add_f64 v[13:14], v[13:14], v[144:145]
	v_add_f64 v[15:16], v[15:16], v[43:44]
	s_clause 0x2
	buffer_load_dword v147, off, s[0:3], 0 offset:588
	buffer_load_dword v44, off, s[0:3], 0 offset:564
	;; [unrolled: 1-line block ×3, first 2 shown]
	ds_read_b128 v[9:12], v127 offset:960
	s_waitcnt vmcnt(58) lgkmcnt(1)
	v_mul_f64 v[148:149], v[3:4], v[156:157]
	s_waitcnt vmcnt(56)
	v_fma_f64 v[154:155], v[5:6], v[161:162], -v[154:155]
	v_mul_f64 v[144:145], v[1:2], v[156:157]
	v_add_f64 v[13:14], v[13:14], v[140:141]
	v_fma_f64 v[140:141], v[7:8], v[161:162], v[169:170]
	v_add_f64 v[15:16], v[15:16], v[134:135]
	s_clause 0x4
	buffer_load_dword v135, off, s[0:3], 0 offset:604
	buffer_load_dword v156, off, s[0:3], 0 offset:616
	;; [unrolled: 1-line block ×5, first 2 shown]
	ds_read_b128 v[5:8], v127 offset:976
	s_waitcnt vmcnt(57) lgkmcnt(1)
	v_mul_f64 v[161:162], v[9:10], v[152:153]
	v_mul_f64 v[152:153], v[11:12], v[152:153]
	s_waitcnt vmcnt(56)
	v_fma_f64 v[148:149], v[1:2], v[158:159], -v[148:149]
	v_fma_f64 v[144:145], v[3:4], v[158:159], v[144:145]
	v_add_f64 v[13:14], v[13:14], v[154:155]
	v_add_f64 v[15:16], v[15:16], v[140:141]
	s_clause 0x2
	buffer_load_dword v157, off, s[0:3], 0 offset:620
	buffer_load_dword v141, off, s[0:3], 0 offset:596
	;; [unrolled: 1-line block ×3, first 2 shown]
	ds_read_b128 v[1:4], v127 offset:992
	s_waitcnt vmcnt(58) lgkmcnt(1)
	v_mul_f64 v[158:159], v[7:8], v[165:166]
	v_mul_f64 v[154:155], v[5:6], v[165:166]
	s_waitcnt vmcnt(56)
	v_fma_f64 v[152:153], v[9:10], v[123:124], -v[152:153]
	v_fma_f64 v[123:124], v[11:12], v[123:124], v[161:162]
	buffer_load_dword v161, off, s[0:3], 0 offset:612
	ds_read_b128 v[9:12], v127 offset:1008
	v_add_f64 v[13:14], v[13:14], v[148:149]
	v_add_f64 v[15:16], v[15:16], v[144:145]
	s_waitcnt vmcnt(53) lgkmcnt(1)
	v_mul_f64 v[144:145], v[1:2], v[25:26]
	v_mul_f64 v[25:26], v[3:4], v[25:26]
	s_waitcnt vmcnt(52)
	v_fma_f64 v[148:149], v[5:6], v[167:168], -v[158:159]
	v_add_f64 v[13:14], v[13:14], v[152:153]
	v_fma_f64 v[152:153], v[7:8], v[167:168], v[154:155]
	v_add_f64 v[15:16], v[15:16], v[123:124]
	ds_read_b128 v[5:8], v127 offset:1024
	s_waitcnt vmcnt(51) lgkmcnt(1)
	v_mul_f64 v[123:124], v[9:10], v[128:129]
	v_mul_f64 v[128:129], v[11:12], v[128:129]
	s_waitcnt vmcnt(49)
	v_fma_f64 v[25:26], v[1:2], v[19:20], -v[25:26]
	v_fma_f64 v[19:20], v[3:4], v[19:20], v[144:145]
	v_add_f64 v[13:14], v[13:14], v[148:149]
	s_clause 0x3
	buffer_load_dword v144, off, s[0:3], 0 offset:80
	buffer_load_dword v145, off, s[0:3], 0 offset:84
	;; [unrolled: 1-line block ×4, first 2 shown]
	v_add_f64 v[15:16], v[15:16], v[152:153]
	ds_read_b128 v[1:4], v127 offset:1040
	s_waitcnt vmcnt(49) lgkmcnt(1)
	v_mul_f64 v[152:153], v[5:6], v[39:40]
	v_mul_f64 v[39:40], v[7:8], v[39:40]
	s_waitcnt vmcnt(48)
	v_fma_f64 v[128:129], v[9:10], v[163:164], -v[128:129]
	v_add_f64 v[13:14], v[13:14], v[25:26]
	v_fma_f64 v[25:26], v[11:12], v[163:164], v[123:124]
	v_add_f64 v[15:16], v[15:16], v[19:20]
	ds_read_b128 v[9:12], v127 offset:1056
	s_waitcnt vmcnt(47) lgkmcnt(1)
	v_mul_f64 v[19:20], v[1:2], v[41:42]
	v_mul_f64 v[41:42], v[3:4], v[41:42]
	s_waitcnt vmcnt(45)
	v_fma_f64 v[39:40], v[5:6], v[21:22], -v[39:40]
	v_fma_f64 v[21:22], v[7:8], v[21:22], v[152:153]
	ds_read_b128 v[5:8], v127 offset:1072
	v_add_f64 v[13:14], v[13:14], v[128:129]
	v_add_f64 v[15:16], v[15:16], v[25:26]
	s_waitcnt vmcnt(41) lgkmcnt(1)
	v_mul_f64 v[25:26], v[9:10], v[17:18]
	v_mul_f64 v[17:18], v[11:12], v[17:18]
	s_waitcnt vmcnt(40)
	v_fma_f64 v[41:42], v[1:2], v[130:131], -v[41:42]
	v_fma_f64 v[19:20], v[3:4], v[130:131], v[19:20]
	ds_read_b128 v[1:4], v127 offset:1088
	v_add_f64 v[13:14], v[13:14], v[39:40]
	v_add_f64 v[15:16], v[15:16], v[21:22]
	;; [unrolled: 9-line block ×3, first 2 shown]
	s_waitcnt vmcnt(33) lgkmcnt(1)
	v_mul_f64 v[19:20], v[1:2], v[23:24]
	v_mul_f64 v[23:24], v[3:4], v[23:24]
	s_waitcnt vmcnt(32)
	v_fma_f64 v[27:28], v[5:6], v[121:122], -v[37:38]
	v_add_f64 v[13:14], v[13:14], v[17:18]
	v_fma_f64 v[17:18], v[7:8], v[121:122], v[21:22]
	v_add_f64 v[15:16], v[15:16], v[25:26]
	ds_read_b128 v[5:8], v127 offset:1120
	s_waitcnt vmcnt(31) lgkmcnt(1)
	v_mul_f64 v[25:26], v[11:12], v[125:126]
	v_mul_f64 v[21:22], v[9:10], v[125:126]
	s_waitcnt vmcnt(29)
	v_fma_f64 v[19:20], v[3:4], v[33:34], v[19:20]
	v_fma_f64 v[23:24], v[1:2], v[33:34], -v[23:24]
	ds_read_b128 v[1:4], v127 offset:1136
	v_add_f64 v[13:14], v[13:14], v[27:28]
	v_add_f64 v[15:16], v[15:16], v[17:18]
	s_waitcnt vmcnt(25) lgkmcnt(1)
	v_mul_f64 v[27:28], v[7:8], v[29:30]
	s_waitcnt vmcnt(24)
	v_fma_f64 v[25:26], v[9:10], v[132:133], -v[25:26]
	v_mul_f64 v[17:18], v[5:6], v[29:30]
	v_fma_f64 v[21:22], v[11:12], v[132:133], v[21:22]
	ds_read_b128 v[9:12], v127 offset:1152
	v_add_f64 v[13:14], v[13:14], v[23:24]
	v_add_f64 v[15:16], v[15:16], v[19:20]
	s_waitcnt vmcnt(23) lgkmcnt(1)
	v_mul_f64 v[23:24], v[3:4], v[138:139]
	v_mul_f64 v[19:20], v[1:2], v[138:139]
	s_waitcnt vmcnt(21)
	v_fma_f64 v[27:28], v[5:6], v[31:32], -v[27:28]
	v_fma_f64 v[17:18], v[7:8], v[31:32], v[17:18]
	ds_read_b128 v[5:8], v127 offset:1168
	v_add_f64 v[13:14], v[13:14], v[25:26]
	v_add_f64 v[15:16], v[15:16], v[21:22]
	s_waitcnt vmcnt(17) lgkmcnt(1)
	v_mul_f64 v[25:26], v[11:12], v[35:36]
	s_waitcnt vmcnt(16)
	v_fma_f64 v[23:24], v[1:2], v[142:143], -v[23:24]
	v_mul_f64 v[21:22], v[9:10], v[35:36]
	v_fma_f64 v[19:20], v[3:4], v[142:143], v[19:20]
	ds_read_b128 v[1:4], v127 offset:1184
	v_add_f64 v[13:14], v[13:14], v[27:28]
	v_add_f64 v[15:16], v[15:16], v[17:18]
	s_waitcnt vmcnt(15) lgkmcnt(1)
	v_mul_f64 v[27:28], v[7:8], v[146:147]
	v_mul_f64 v[17:18], v[5:6], v[146:147]
	s_waitcnt vmcnt(13)
	v_fma_f64 v[25:26], v[9:10], v[43:44], -v[25:26]
	v_fma_f64 v[21:22], v[11:12], v[43:44], v[21:22]
	ds_read_b128 v[9:12], v127 offset:1200
	v_add_f64 v[13:14], v[13:14], v[23:24]
	v_add_f64 v[15:16], v[15:16], v[19:20]
	s_waitcnt vmcnt(9) lgkmcnt(1)
	v_mul_f64 v[23:24], v[3:4], v[134:135]
	s_waitcnt vmcnt(8)
	v_fma_f64 v[5:6], v[5:6], v[150:151], -v[27:28]
	v_mul_f64 v[19:20], v[1:2], v[134:135]
	v_fma_f64 v[7:8], v[7:8], v[150:151], v[17:18]
	v_add_f64 v[13:14], v[13:14], v[25:26]
	v_add_f64 v[15:16], v[15:16], v[21:22]
	s_waitcnt vmcnt(7) lgkmcnt(0)
	v_mul_f64 v[21:22], v[11:12], v[156:157]
	v_mul_f64 v[17:18], v[9:10], v[156:157]
	s_waitcnt vmcnt(5)
	v_fma_f64 v[1:2], v[1:2], v[140:141], -v[23:24]
	v_fma_f64 v[3:4], v[3:4], v[140:141], v[19:20]
	v_add_f64 v[5:6], v[13:14], v[5:6]
	v_add_f64 v[7:8], v[15:16], v[7:8]
	s_waitcnt vmcnt(4)
	v_fma_f64 v[9:10], v[9:10], v[160:161], -v[21:22]
	v_add_f64 v[1:2], v[5:6], v[1:2]
	v_fma_f64 v[5:6], v[11:12], v[160:161], v[17:18]
	v_add_f64 v[3:4], v[7:8], v[3:4]
	v_add_f64 v[1:2], v[1:2], v[9:10]
	;; [unrolled: 1-line block ×3, first 2 shown]
	s_waitcnt vmcnt(2)
	v_add_f64 v[1:2], v[144:145], -v[1:2]
	s_waitcnt vmcnt(0)
	v_add_f64 v[3:4], v[148:149], -v[3:4]
	buffer_store_dword v2, off, s[0:3], 0 offset:84
	buffer_store_dword v1, off, s[0:3], 0 offset:80
	;; [unrolled: 1-line block ×4, first 2 shown]
	v_cmpx_lt_u32_e32 3, v0
	s_cbranch_execz .LBB37_235
; %bb.234:
	v_mov_b32_e32 v4, s47
	s_clause 0x3
	buffer_load_dword v1, v4, s[0:3], 0 offen
	buffer_load_dword v2, v4, s[0:3], 0 offen offset:4
	buffer_load_dword v3, v4, s[0:3], 0 offen offset:8
	;; [unrolled: 1-line block ×3, first 2 shown]
	buffer_store_dword v127, off, s[0:3], 0 offset:64
	buffer_store_dword v127, off, s[0:3], 0 offset:68
	buffer_store_dword v127, off, s[0:3], 0 offset:72
	buffer_store_dword v127, off, s[0:3], 0 offset:76
	s_waitcnt vmcnt(0)
	ds_write_b128 v137, v[1:4]
.LBB37_235:
	s_or_b32 exec_lo, exec_lo, s4
	s_waitcnt lgkmcnt(0)
	s_waitcnt_vscnt null, 0x0
	s_barrier
	buffer_gl0_inv
	s_clause 0x37
	buffer_load_dword v9, off, s[0:3], 0 offset:88
	buffer_load_dword v10, off, s[0:3], 0 offset:92
	;; [unrolled: 1-line block ×56, first 2 shown]
	ds_read_b128 v[128:131], v127 offset:672
	s_clause 0x2
	buffer_load_dword v149, off, s[0:3], 0 offset:316
	buffer_load_dword v151, off, s[0:3], 0 offset:292
	;; [unrolled: 1-line block ×3, first 2 shown]
	ds_read_b128 v[132:135], v127 offset:688
	s_clause 0x4
	buffer_load_dword v155, off, s[0:3], 0 offset:332
	buffer_load_dword v156, off, s[0:3], 0 offset:344
	;; [unrolled: 1-line block ×5, first 2 shown]
	ds_read_b128 v[138:141], v127 offset:704
	s_clause 0x2
	buffer_load_dword v157, off, s[0:3], 0 offset:348
	buffer_load_dword v162, off, s[0:3], 0 offset:324
	;; [unrolled: 1-line block ×3, first 2 shown]
	s_mov_b32 s4, exec_lo
	s_waitcnt vmcnt(62) lgkmcnt(2)
	v_mul_f64 v[152:153], v[130:131], v[9:10]
	v_mul_f64 v[9:10], v[128:129], v[9:10]
	s_waitcnt lgkmcnt(1)
	v_mul_f64 v[159:160], v[134:135], v[5:6]
	s_waitcnt vmcnt(59) lgkmcnt(0)
	v_mul_f64 v[163:164], v[140:141], v[3:4]
	v_fma_f64 v[128:129], v[128:129], v[7:8], -v[152:153]
	v_mul_f64 v[152:153], v[132:133], v[5:6]
	v_fma_f64 v[9:10], v[130:131], v[7:8], v[9:10]
	s_waitcnt vmcnt(57)
	v_fma_f64 v[132:133], v[132:133], v[1:2], -v[159:160]
	ds_read_b128 v[5:8], v127 offset:720
	v_mul_f64 v[130:131], v[138:139], v[3:4]
	s_waitcnt vmcnt(51)
	v_fma_f64 v[138:139], v[138:139], v[25:26], -v[163:164]
	v_add_f64 v[128:129], v[128:129], 0
	v_fma_f64 v[134:135], v[134:135], v[1:2], v[152:153]
	v_add_f64 v[9:10], v[9:10], 0
	s_clause 0x4
	buffer_load_dword v153, off, s[0:3], 0 offset:364
	buffer_load_dword v165, off, s[0:3], 0 offset:376
	;; [unrolled: 1-line block ×5, first 2 shown]
	s_waitcnt lgkmcnt(0)
	v_mul_f64 v[168:169], v[5:6], v[13:14]
	v_mul_f64 v[13:14], v[7:8], v[13:14]
	ds_read_b128 v[1:4], v127 offset:736
	v_fma_f64 v[25:26], v[140:141], v[25:26], v[130:131]
	v_add_f64 v[132:133], v[128:129], v[132:133]
	v_add_f64 v[9:10], v[9:10], v[134:135]
	s_clause 0x2
	buffer_load_dword v166, off, s[0:3], 0 offset:380
	buffer_load_dword v135, off, s[0:3], 0 offset:356
	;; [unrolled: 1-line block ×3, first 2 shown]
	s_waitcnt vmcnt(58) lgkmcnt(0)
	v_mul_f64 v[140:141], v[1:2], v[17:18]
	v_mul_f64 v[17:18], v[3:4], v[17:18]
	s_waitcnt vmcnt(56)
	v_fma_f64 v[13:14], v[5:6], v[19:20], -v[13:14]
	ds_read_b128 v[128:131], v127 offset:752
	v_fma_f64 v[19:20], v[7:8], v[19:20], v[168:169]
	v_add_f64 v[132:133], v[132:133], v[138:139]
	v_add_f64 v[9:10], v[9:10], v[25:26]
	s_clause 0x4
	buffer_load_dword v26, off, s[0:3], 0 offset:396
	buffer_load_dword v138, off, s[0:3], 0 offset:408
	buffer_load_dword v163, off, s[0:3], 0 offset:400
	buffer_load_dword v25, off, s[0:3], 0 offset:392
	buffer_load_dword v168, off, s[0:3], 0 offset:372
	ds_read_b128 v[5:8], v127 offset:768
	s_waitcnt vmcnt(57) lgkmcnt(1)
	v_mul_f64 v[169:170], v[128:129], v[21:22]
	v_mul_f64 v[21:22], v[130:131], v[21:22]
	s_waitcnt vmcnt(56)
	v_fma_f64 v[17:18], v[1:2], v[11:12], -v[17:18]
	v_fma_f64 v[11:12], v[3:4], v[11:12], v[140:141]
	v_add_f64 v[13:14], v[132:133], v[13:14]
	v_add_f64 v[9:10], v[9:10], v[19:20]
	s_clause 0x2
	buffer_load_dword v139, off, s[0:3], 0 offset:412
	buffer_load_dword v20, off, s[0:3], 0 offset:388
	;; [unrolled: 1-line block ×3, first 2 shown]
	s_waitcnt vmcnt(58) lgkmcnt(0)
	v_mul_f64 v[132:133], v[5:6], v[27:28]
	v_mul_f64 v[27:28], v[7:8], v[27:28]
	s_waitcnt vmcnt(56)
	v_fma_f64 v[21:22], v[128:129], v[29:30], -v[21:22]
	ds_read_b128 v[1:4], v127 offset:784
	v_add_f64 v[13:14], v[13:14], v[17:18]
	v_fma_f64 v[17:18], v[130:131], v[29:30], v[169:170]
	v_add_f64 v[29:30], v[9:10], v[11:12]
	s_clause 0x4
	buffer_load_dword v129, off, s[0:3], 0 offset:428
	buffer_load_dword v130, off, s[0:3], 0 offset:440
	;; [unrolled: 1-line block ×5, first 2 shown]
	ds_read_b128 v[9:12], v127 offset:800
	s_waitcnt vmcnt(57) lgkmcnt(1)
	v_mul_f64 v[169:170], v[1:2], v[31:32]
	v_mul_f64 v[31:32], v[3:4], v[31:32]
	s_waitcnt vmcnt(56)
	v_fma_f64 v[27:28], v[5:6], v[15:16], -v[27:28]
	v_fma_f64 v[15:16], v[7:8], v[15:16], v[132:133]
	v_add_f64 v[13:14], v[13:14], v[21:22]
	s_clause 0x2
	buffer_load_dword v131, off, s[0:3], 0 offset:444
	buffer_load_dword v22, off, s[0:3], 0 offset:420
	;; [unrolled: 1-line block ×3, first 2 shown]
	v_add_f64 v[17:18], v[29:30], v[17:18]
	s_waitcnt vmcnt(58) lgkmcnt(0)
	v_mul_f64 v[29:30], v[9:10], v[35:36]
	v_mul_f64 v[35:36], v[11:12], v[35:36]
	ds_read_b128 v[5:8], v127 offset:816
	s_waitcnt vmcnt(56)
	v_fma_f64 v[31:32], v[1:2], v[37:38], -v[31:32]
	v_add_f64 v[13:14], v[13:14], v[27:28]
	v_fma_f64 v[27:28], v[3:4], v[37:38], v[169:170]
	v_add_f64 v[15:16], v[17:18], v[15:16]
	s_clause 0x4
	buffer_load_dword v18, off, s[0:3], 0 offset:460
	buffer_load_dword v37, off, s[0:3], 0 offset:472
	;; [unrolled: 1-line block ×5, first 2 shown]
	s_waitcnt vmcnt(57) lgkmcnt(0)
	v_mul_f64 v[169:170], v[5:6], v[39:40]
	v_mul_f64 v[39:40], v[7:8], v[39:40]
	s_waitcnt vmcnt(56)
	v_fma_f64 v[35:36], v[9:10], v[23:24], -v[35:36]
	ds_read_b128 v[1:4], v127 offset:832
	v_fma_f64 v[23:24], v[11:12], v[23:24], v[29:30]
	v_add_f64 v[13:14], v[13:14], v[31:32]
	v_add_f64 v[15:16], v[15:16], v[27:28]
	s_clause 0x2
	buffer_load_dword v38, off, s[0:3], 0 offset:476
	buffer_load_dword v28, off, s[0:3], 0 offset:452
	;; [unrolled: 1-line block ×3, first 2 shown]
	ds_read_b128 v[9:12], v127 offset:848
	s_waitcnt vmcnt(58) lgkmcnt(1)
	v_mul_f64 v[31:32], v[3:4], v[43:44]
	s_waitcnt vmcnt(56)
	v_fma_f64 v[39:40], v[5:6], v[121:122], -v[39:40]
	v_mul_f64 v[29:30], v[1:2], v[43:44]
	v_add_f64 v[13:14], v[13:14], v[35:36]
	v_fma_f64 v[35:36], v[7:8], v[121:122], v[169:170]
	v_add_f64 v[15:16], v[15:16], v[23:24]
	s_clause 0x4
	buffer_load_dword v24, off, s[0:3], 0 offset:492
	buffer_load_dword v43, off, s[0:3], 0 offset:504
	;; [unrolled: 1-line block ×5, first 2 shown]
	s_waitcnt vmcnt(57) lgkmcnt(0)
	v_mul_f64 v[169:170], v[9:10], v[123:124]
	v_mul_f64 v[122:123], v[11:12], v[123:124]
	s_waitcnt vmcnt(56)
	v_fma_f64 v[31:32], v[1:2], v[33:34], -v[31:32]
	ds_read_b128 v[5:8], v127 offset:864
	v_fma_f64 v[29:30], v[3:4], v[33:34], v[29:30]
	s_clause 0x2
	buffer_load_dword v44, off, s[0:3], 0 offset:508
	buffer_load_dword v34, off, s[0:3], 0 offset:484
	;; [unrolled: 1-line block ×3, first 2 shown]
	ds_read_b128 v[1:4], v127 offset:880
	v_add_f64 v[13:14], v[13:14], v[39:40]
	v_add_f64 v[15:16], v[15:16], v[35:36]
	s_waitcnt vmcnt(58) lgkmcnt(1)
	v_mul_f64 v[39:40], v[7:8], v[142:143]
	s_waitcnt vmcnt(56)
	v_fma_f64 v[123:124], v[9:10], v[144:145], -v[122:123]
	v_mul_f64 v[35:36], v[5:6], v[142:143]
	v_add_f64 v[13:14], v[13:14], v[31:32]
	v_fma_f64 v[31:32], v[11:12], v[144:145], v[169:170]
	v_add_f64 v[15:16], v[15:16], v[29:30]
	s_clause 0x4
	buffer_load_dword v30, off, s[0:3], 0 offset:524
	buffer_load_dword v142, off, s[0:3], 0 offset:536
	buffer_load_dword v144, off, s[0:3], 0 offset:528
	buffer_load_dword v29, off, s[0:3], 0 offset:520
	buffer_load_dword v122, off, s[0:3], 0 offset:500
	s_waitcnt vmcnt(57) lgkmcnt(0)
	v_mul_f64 v[169:170], v[1:2], v[146:147]
	v_mul_f64 v[145:146], v[3:4], v[146:147]
	s_waitcnt vmcnt(56)
	v_fma_f64 v[39:40], v[5:6], v[41:42], -v[39:40]
	ds_read_b128 v[9:12], v127 offset:896
	v_fma_f64 v[35:36], v[7:8], v[41:42], v[35:36]
	v_add_f64 v[13:14], v[13:14], v[123:124]
	v_add_f64 v[15:16], v[15:16], v[31:32]
	s_clause 0x2
	buffer_load_dword v143, off, s[0:3], 0 offset:540
	buffer_load_dword v32, off, s[0:3], 0 offset:516
	;; [unrolled: 1-line block ×3, first 2 shown]
	ds_read_b128 v[5:8], v127 offset:912
	s_waitcnt vmcnt(58) lgkmcnt(1)
	v_mul_f64 v[123:124], v[11:12], v[148:149]
	s_waitcnt vmcnt(56)
	v_fma_f64 v[146:147], v[1:2], v[150:151], -v[145:146]
	v_mul_f64 v[41:42], v[9:10], v[148:149]
	v_add_f64 v[13:14], v[13:14], v[39:40]
	v_fma_f64 v[39:40], v[3:4], v[150:151], v[169:170]
	v_add_f64 v[15:16], v[15:16], v[35:36]
	s_clause 0x4
	buffer_load_dword v36, off, s[0:3], 0 offset:556
	buffer_load_dword v148, off, s[0:3], 0 offset:568
	buffer_load_dword v150, off, s[0:3], 0 offset:560
	buffer_load_dword v35, off, s[0:3], 0 offset:552
	buffer_load_dword v145, off, s[0:3], 0 offset:532
	s_waitcnt vmcnt(57) lgkmcnt(0)
	v_mul_f64 v[169:170], v[5:6], v[154:155]
	v_mul_f64 v[154:155], v[7:8], v[154:155]
	s_waitcnt vmcnt(56)
	v_fma_f64 v[123:124], v[9:10], v[125:126], -v[123:124]
	ds_read_b128 v[1:4], v127 offset:928
	v_fma_f64 v[41:42], v[11:12], v[125:126], v[41:42]
	v_add_f64 v[13:14], v[13:14], v[146:147]
	v_add_f64 v[15:16], v[15:16], v[39:40]
	s_clause 0x2
	buffer_load_dword v149, off, s[0:3], 0 offset:572
	buffer_load_dword v40, off, s[0:3], 0 offset:548
	;; [unrolled: 1-line block ×3, first 2 shown]
	ds_read_b128 v[9:12], v127 offset:944
	s_waitcnt vmcnt(58) lgkmcnt(1)
	v_mul_f64 v[146:147], v[3:4], v[156:157]
	s_waitcnt vmcnt(56)
	v_fma_f64 v[154:155], v[5:6], v[161:162], -v[154:155]
	v_mul_f64 v[125:126], v[1:2], v[156:157]
	v_add_f64 v[13:14], v[13:14], v[123:124]
	v_fma_f64 v[123:124], v[7:8], v[161:162], v[169:170]
	v_add_f64 v[15:16], v[15:16], v[41:42]
	s_clause 0x4
	buffer_load_dword v42, off, s[0:3], 0 offset:588
	buffer_load_dword v156, off, s[0:3], 0 offset:600
	;; [unrolled: 1-line block ×5, first 2 shown]
	ds_read_b128 v[5:8], v127 offset:960
	s_waitcnt vmcnt(57) lgkmcnt(1)
	v_mul_f64 v[161:162], v[9:10], v[152:153]
	v_mul_f64 v[152:153], v[11:12], v[152:153]
	s_waitcnt vmcnt(56)
	v_fma_f64 v[146:147], v[1:2], v[158:159], -v[146:147]
	v_fma_f64 v[125:126], v[3:4], v[158:159], v[125:126]
	v_add_f64 v[13:14], v[13:14], v[154:155]
	v_add_f64 v[15:16], v[15:16], v[123:124]
	s_clause 0x2
	buffer_load_dword v157, off, s[0:3], 0 offset:604
	buffer_load_dword v124, off, s[0:3], 0 offset:580
	;; [unrolled: 1-line block ×3, first 2 shown]
	ds_read_b128 v[1:4], v127 offset:976
	s_waitcnt vmcnt(58) lgkmcnt(1)
	v_mul_f64 v[158:159], v[7:8], v[165:166]
	v_mul_f64 v[154:155], v[5:6], v[165:166]
	s_waitcnt vmcnt(56)
	v_fma_f64 v[152:153], v[9:10], v[134:135], -v[152:153]
	v_fma_f64 v[134:135], v[11:12], v[134:135], v[161:162]
	v_add_f64 v[13:14], v[13:14], v[146:147]
	v_add_f64 v[15:16], v[15:16], v[125:126]
	s_clause 0x2
	buffer_load_dword v126, off, s[0:3], 0 offset:620
	buffer_load_dword v125, off, s[0:3], 0 offset:616
	;; [unrolled: 1-line block ×3, first 2 shown]
	ds_read_b128 v[9:12], v127 offset:992
	s_waitcnt vmcnt(55) lgkmcnt(1)
	v_mul_f64 v[146:147], v[1:2], v[25:26]
	v_mul_f64 v[25:26], v[3:4], v[25:26]
	s_waitcnt vmcnt(54)
	v_fma_f64 v[158:159], v[5:6], v[167:168], -v[158:159]
	v_add_f64 v[13:14], v[13:14], v[152:153]
	v_fma_f64 v[152:153], v[7:8], v[167:168], v[154:155]
	v_add_f64 v[15:16], v[15:16], v[134:135]
	s_clause 0x1
	buffer_load_dword v135, off, s[0:3], 0 offset:612
	buffer_load_dword v134, off, s[0:3], 0 offset:608
	ds_read_b128 v[5:8], v127 offset:1008
	s_waitcnt vmcnt(55) lgkmcnt(1)
	v_mul_f64 v[154:155], v[9:10], v[138:139]
	v_mul_f64 v[138:139], v[11:12], v[138:139]
	s_waitcnt vmcnt(53)
	v_fma_f64 v[25:26], v[1:2], v[19:20], -v[25:26]
	v_fma_f64 v[19:20], v[3:4], v[19:20], v[146:147]
	ds_read_b128 v[1:4], v127 offset:1024
	v_add_f64 v[13:14], v[13:14], v[158:159]
	v_add_f64 v[15:16], v[15:16], v[152:153]
	s_waitcnt vmcnt(49) lgkmcnt(1)
	v_mul_f64 v[146:147], v[5:6], v[128:129]
	v_mul_f64 v[128:129], v[7:8], v[128:129]
	s_waitcnt vmcnt(48)
	v_fma_f64 v[138:139], v[9:10], v[163:164], -v[138:139]
	v_add_f64 v[13:14], v[13:14], v[25:26]
	v_fma_f64 v[25:26], v[11:12], v[163:164], v[154:155]
	v_add_f64 v[15:16], v[15:16], v[19:20]
	s_clause 0x3
	buffer_load_dword v19, off, s[0:3], 0 offset:64
	buffer_load_dword v20, off, s[0:3], 0 offset:68
	;; [unrolled: 1-line block ×4, first 2 shown]
	ds_read_b128 v[9:12], v127 offset:1040
	s_waitcnt vmcnt(51) lgkmcnt(1)
	v_mul_f64 v[154:155], v[1:2], v[130:131]
	v_mul_f64 v[130:131], v[3:4], v[130:131]
	s_waitcnt vmcnt(49)
	v_fma_f64 v[128:129], v[5:6], v[21:22], -v[128:129]
	v_fma_f64 v[21:22], v[7:8], v[21:22], v[146:147]
	ds_read_b128 v[5:8], v127 offset:1056
	v_add_f64 v[13:14], v[13:14], v[138:139]
	v_add_f64 v[15:16], v[15:16], v[25:26]
	s_waitcnt vmcnt(45) lgkmcnt(1)
	v_mul_f64 v[25:26], v[9:10], v[17:18]
	v_mul_f64 v[17:18], v[11:12], v[17:18]
	s_waitcnt vmcnt(44)
	v_fma_f64 v[130:131], v[1:2], v[140:141], -v[130:131]
	v_add_f64 v[13:14], v[13:14], v[128:129]
	v_fma_f64 v[128:129], v[3:4], v[140:141], v[154:155]
	v_add_f64 v[15:16], v[15:16], v[21:22]
	ds_read_b128 v[1:4], v127 offset:1072
	s_waitcnt vmcnt(43) lgkmcnt(1)
	v_mul_f64 v[21:22], v[5:6], v[37:38]
	v_mul_f64 v[37:38], v[7:8], v[37:38]
	s_waitcnt vmcnt(41)
	v_fma_f64 v[17:18], v[9:10], v[27:28], -v[17:18]
	v_fma_f64 v[25:26], v[11:12], v[27:28], v[25:26]
	ds_read_b128 v[9:12], v127 offset:1088
	v_add_f64 v[13:14], v[13:14], v[130:131]
	v_add_f64 v[15:16], v[15:16], v[128:129]
	s_waitcnt vmcnt(37) lgkmcnt(1)
	v_mul_f64 v[27:28], v[1:2], v[23:24]
	v_mul_f64 v[23:24], v[3:4], v[23:24]
	s_waitcnt vmcnt(36)
	v_fma_f64 v[37:38], v[5:6], v[132:133], -v[37:38]
	v_add_f64 v[13:14], v[13:14], v[17:18]
	v_fma_f64 v[17:18], v[7:8], v[132:133], v[21:22]
	v_add_f64 v[15:16], v[15:16], v[25:26]
	s_waitcnt vmcnt(35) lgkmcnt(0)
	v_mul_f64 v[25:26], v[11:12], v[43:44]
	ds_read_b128 v[5:8], v127 offset:1104
	v_mul_f64 v[21:22], v[9:10], v[43:44]
	s_waitcnt vmcnt(33)
	v_fma_f64 v[27:28], v[3:4], v[33:34], v[27:28]
	v_fma_f64 v[23:24], v[1:2], v[33:34], -v[23:24]
	ds_read_b128 v[1:4], v127 offset:1120
	v_add_f64 v[13:14], v[13:14], v[37:38]
	v_add_f64 v[15:16], v[15:16], v[17:18]
	s_waitcnt vmcnt(29) lgkmcnt(1)
	v_mul_f64 v[17:18], v[5:6], v[29:30]
	v_mul_f64 v[29:30], v[7:8], v[29:30]
	s_waitcnt vmcnt(28)
	v_fma_f64 v[25:26], v[9:10], v[121:122], -v[25:26]
	v_fma_f64 v[21:22], v[11:12], v[121:122], v[21:22]
	ds_read_b128 v[9:12], v127 offset:1136
	v_add_f64 v[13:14], v[13:14], v[23:24]
	v_add_f64 v[15:16], v[15:16], v[27:28]
	s_waitcnt vmcnt(27) lgkmcnt(1)
	v_mul_f64 v[27:28], v[3:4], v[142:143]
	v_mul_f64 v[23:24], v[1:2], v[142:143]
	s_waitcnt vmcnt(25)
	v_fma_f64 v[29:30], v[5:6], v[31:32], -v[29:30]
	v_fma_f64 v[17:18], v[7:8], v[31:32], v[17:18]
	ds_read_b128 v[5:8], v127 offset:1152
	v_add_f64 v[13:14], v[13:14], v[25:26]
	v_add_f64 v[15:16], v[15:16], v[21:22]
	s_waitcnt vmcnt(21) lgkmcnt(1)
	v_mul_f64 v[25:26], v[11:12], v[35:36]
	s_waitcnt vmcnt(20)
	v_fma_f64 v[27:28], v[1:2], v[144:145], -v[27:28]
	v_mul_f64 v[21:22], v[9:10], v[35:36]
	v_fma_f64 v[23:24], v[3:4], v[144:145], v[23:24]
	ds_read_b128 v[1:4], v127 offset:1168
	v_add_f64 v[13:14], v[13:14], v[29:30]
	v_add_f64 v[15:16], v[15:16], v[17:18]
	s_waitcnt vmcnt(19) lgkmcnt(1)
	v_mul_f64 v[29:30], v[7:8], v[148:149]
	v_mul_f64 v[17:18], v[5:6], v[148:149]
	s_waitcnt vmcnt(17)
	v_fma_f64 v[25:26], v[9:10], v[39:40], -v[25:26]
	v_fma_f64 v[21:22], v[11:12], v[39:40], v[21:22]
	ds_read_b128 v[9:12], v127 offset:1184
	v_add_f64 v[13:14], v[13:14], v[27:28]
	v_add_f64 v[15:16], v[15:16], v[23:24]
	s_waitcnt vmcnt(13) lgkmcnt(1)
	v_mul_f64 v[27:28], v[3:4], v[41:42]
	s_waitcnt vmcnt(12)
	v_fma_f64 v[29:30], v[5:6], v[150:151], -v[29:30]
	v_mul_f64 v[23:24], v[1:2], v[41:42]
	v_fma_f64 v[17:18], v[7:8], v[150:151], v[17:18]
	ds_read_b128 v[5:8], v127 offset:1200
	v_add_f64 v[13:14], v[13:14], v[25:26]
	v_add_f64 v[15:16], v[15:16], v[21:22]
	s_waitcnt vmcnt(11) lgkmcnt(1)
	v_mul_f64 v[25:26], v[11:12], v[156:157]
	v_mul_f64 v[21:22], v[9:10], v[156:157]
	s_waitcnt vmcnt(9)
	v_fma_f64 v[1:2], v[1:2], v[123:124], -v[27:28]
	v_fma_f64 v[3:4], v[3:4], v[123:124], v[23:24]
	v_add_f64 v[13:14], v[13:14], v[29:30]
	v_add_f64 v[15:16], v[15:16], v[17:18]
	s_waitcnt vmcnt(7) lgkmcnt(0)
	v_mul_f64 v[23:24], v[7:8], v[125:126]
	s_waitcnt vmcnt(6)
	v_fma_f64 v[9:10], v[9:10], v[160:161], -v[25:26]
	v_mul_f64 v[17:18], v[5:6], v[125:126]
	v_fma_f64 v[11:12], v[11:12], v[160:161], v[21:22]
	v_add_f64 v[1:2], v[13:14], v[1:2]
	v_add_f64 v[3:4], v[15:16], v[3:4]
	s_waitcnt vmcnt(4)
	v_fma_f64 v[5:6], v[5:6], v[134:135], -v[23:24]
	v_fma_f64 v[7:8], v[7:8], v[134:135], v[17:18]
	v_add_f64 v[1:2], v[1:2], v[9:10]
	v_add_f64 v[3:4], v[3:4], v[11:12]
	;; [unrolled: 1-line block ×4, first 2 shown]
	s_waitcnt vmcnt(2)
	v_add_f64 v[1:2], v[19:20], -v[1:2]
	s_waitcnt vmcnt(0)
	v_add_f64 v[3:4], v[152:153], -v[3:4]
	buffer_store_dword v2, off, s[0:3], 0 offset:68
	buffer_store_dword v1, off, s[0:3], 0 offset:64
	;; [unrolled: 1-line block ×4, first 2 shown]
	v_cmpx_lt_u32_e32 2, v0
	s_cbranch_execz .LBB37_237
; %bb.236:
	v_mov_b32_e32 v4, s48
	v_mov_b32_e32 v5, 0
	s_clause 0x3
	buffer_load_dword v1, v4, s[0:3], 0 offen
	buffer_load_dword v2, v4, s[0:3], 0 offen offset:4
	buffer_load_dword v3, v4, s[0:3], 0 offen offset:8
	;; [unrolled: 1-line block ×3, first 2 shown]
	buffer_store_dword v5, off, s[0:3], 0 offset:48
	buffer_store_dword v5, off, s[0:3], 0 offset:52
	;; [unrolled: 1-line block ×4, first 2 shown]
	s_waitcnt vmcnt(0)
	ds_write_b128 v137, v[1:4]
.LBB37_237:
	s_or_b32 exec_lo, exec_lo, s4
	s_waitcnt lgkmcnt(0)
	s_waitcnt_vscnt null, 0x0
	s_barrier
	buffer_gl0_inv
	s_clause 0x37
	buffer_load_dword v9, off, s[0:3], 0 offset:72
	buffer_load_dword v10, off, s[0:3], 0 offset:76
	;; [unrolled: 1-line block ×56, first 2 shown]
	v_mov_b32_e32 v138, 0
	s_mov_b32 s4, exec_lo
	ds_read_b128 v[139:142], v138 offset:656
	s_clause 0x2
	buffer_load_dword v134, off, s[0:3], 0 offset:300
	buffer_load_dword v136, off, s[0:3], 0 offset:276
	;; [unrolled: 1-line block ×3, first 2 shown]
	ds_read_b128 v[143:146], v138 offset:672
	s_clause 0x4
	buffer_load_dword v154, off, s[0:3], 0 offset:316
	buffer_load_dword v155, off, s[0:3], 0 offset:328
	;; [unrolled: 1-line block ×5, first 2 shown]
	ds_read_b128 v[147:150], v138 offset:688
	s_clause 0x2
	buffer_load_dword v156, off, s[0:3], 0 offset:332
	buffer_load_dword v161, off, s[0:3], 0 offset:308
	;; [unrolled: 1-line block ×3, first 2 shown]
	s_waitcnt vmcnt(62) lgkmcnt(2)
	v_mul_f64 v[151:152], v[141:142], v[9:10]
	v_mul_f64 v[9:10], v[139:140], v[9:10]
	s_waitcnt lgkmcnt(1)
	v_mul_f64 v[158:159], v[145:146], v[5:6]
	s_waitcnt vmcnt(59) lgkmcnt(0)
	v_mul_f64 v[162:163], v[149:150], v[3:4]
	v_fma_f64 v[139:140], v[139:140], v[7:8], -v[151:152]
	v_mul_f64 v[151:152], v[143:144], v[5:6]
	v_fma_f64 v[9:10], v[141:142], v[7:8], v[9:10]
	s_waitcnt vmcnt(57)
	v_fma_f64 v[143:144], v[143:144], v[1:2], -v[158:159]
	ds_read_b128 v[5:8], v138 offset:704
	v_mul_f64 v[141:142], v[147:148], v[3:4]
	s_waitcnt vmcnt(51)
	v_fma_f64 v[147:148], v[147:148], v[25:26], -v[162:163]
	v_add_f64 v[139:140], v[139:140], 0
	v_fma_f64 v[145:146], v[145:146], v[1:2], v[151:152]
	v_add_f64 v[9:10], v[9:10], 0
	s_clause 0x4
	buffer_load_dword v152, off, s[0:3], 0 offset:348
	buffer_load_dword v164, off, s[0:3], 0 offset:360
	;; [unrolled: 1-line block ×5, first 2 shown]
	s_waitcnt lgkmcnt(0)
	v_mul_f64 v[167:168], v[5:6], v[13:14]
	v_mul_f64 v[13:14], v[7:8], v[13:14]
	ds_read_b128 v[1:4], v138 offset:720
	v_fma_f64 v[25:26], v[149:150], v[25:26], v[141:142]
	v_add_f64 v[143:144], v[139:140], v[143:144]
	v_add_f64 v[9:10], v[9:10], v[145:146]
	s_clause 0x2
	buffer_load_dword v165, off, s[0:3], 0 offset:364
	buffer_load_dword v146, off, s[0:3], 0 offset:340
	;; [unrolled: 1-line block ×3, first 2 shown]
	s_waitcnt vmcnt(58) lgkmcnt(0)
	v_mul_f64 v[149:150], v[1:2], v[17:18]
	v_mul_f64 v[17:18], v[3:4], v[17:18]
	s_waitcnt vmcnt(56)
	v_fma_f64 v[13:14], v[5:6], v[19:20], -v[13:14]
	ds_read_b128 v[139:142], v138 offset:736
	v_fma_f64 v[19:20], v[7:8], v[19:20], v[167:168]
	v_add_f64 v[143:144], v[143:144], v[147:148]
	v_add_f64 v[9:10], v[9:10], v[25:26]
	s_clause 0x4
	buffer_load_dword v26, off, s[0:3], 0 offset:380
	buffer_load_dword v147, off, s[0:3], 0 offset:392
	;; [unrolled: 1-line block ×5, first 2 shown]
	ds_read_b128 v[5:8], v138 offset:752
	s_waitcnt vmcnt(57) lgkmcnt(1)
	v_mul_f64 v[168:169], v[139:140], v[21:22]
	v_mul_f64 v[21:22], v[141:142], v[21:22]
	s_waitcnt vmcnt(56)
	v_fma_f64 v[17:18], v[1:2], v[11:12], -v[17:18]
	v_fma_f64 v[11:12], v[3:4], v[11:12], v[149:150]
	v_add_f64 v[13:14], v[143:144], v[13:14]
	v_add_f64 v[9:10], v[9:10], v[19:20]
	s_clause 0x2
	buffer_load_dword v148, off, s[0:3], 0 offset:396
	buffer_load_dword v20, off, s[0:3], 0 offset:372
	;; [unrolled: 1-line block ×3, first 2 shown]
	s_waitcnt vmcnt(58) lgkmcnt(0)
	v_mul_f64 v[143:144], v[5:6], v[27:28]
	v_mul_f64 v[27:28], v[7:8], v[27:28]
	s_waitcnt vmcnt(56)
	v_fma_f64 v[21:22], v[139:140], v[29:30], -v[21:22]
	ds_read_b128 v[1:4], v138 offset:768
	v_add_f64 v[13:14], v[13:14], v[17:18]
	v_fma_f64 v[17:18], v[141:142], v[29:30], v[168:169]
	v_add_f64 v[29:30], v[9:10], v[11:12]
	s_clause 0x4
	buffer_load_dword v140, off, s[0:3], 0 offset:412
	buffer_load_dword v141, off, s[0:3], 0 offset:424
	;; [unrolled: 1-line block ×5, first 2 shown]
	ds_read_b128 v[9:12], v138 offset:784
	s_waitcnt vmcnt(57) lgkmcnt(1)
	v_mul_f64 v[168:169], v[1:2], v[31:32]
	v_mul_f64 v[31:32], v[3:4], v[31:32]
	s_waitcnt vmcnt(56)
	v_fma_f64 v[27:28], v[5:6], v[15:16], -v[27:28]
	v_fma_f64 v[15:16], v[7:8], v[15:16], v[143:144]
	v_add_f64 v[13:14], v[13:14], v[21:22]
	s_clause 0x2
	buffer_load_dword v142, off, s[0:3], 0 offset:428
	buffer_load_dword v22, off, s[0:3], 0 offset:404
	;; [unrolled: 1-line block ×3, first 2 shown]
	v_add_f64 v[17:18], v[29:30], v[17:18]
	s_waitcnt vmcnt(58) lgkmcnt(0)
	v_mul_f64 v[29:30], v[9:10], v[35:36]
	v_mul_f64 v[35:36], v[11:12], v[35:36]
	ds_read_b128 v[5:8], v138 offset:800
	s_waitcnt vmcnt(56)
	v_fma_f64 v[31:32], v[1:2], v[37:38], -v[31:32]
	v_add_f64 v[13:14], v[13:14], v[27:28]
	v_fma_f64 v[27:28], v[3:4], v[37:38], v[168:169]
	v_add_f64 v[15:16], v[17:18], v[15:16]
	s_clause 0x4
	buffer_load_dword v18, off, s[0:3], 0 offset:444
	buffer_load_dword v37, off, s[0:3], 0 offset:456
	;; [unrolled: 1-line block ×5, first 2 shown]
	s_waitcnt vmcnt(57) lgkmcnt(0)
	v_mul_f64 v[168:169], v[5:6], v[39:40]
	v_mul_f64 v[39:40], v[7:8], v[39:40]
	s_waitcnt vmcnt(56)
	v_fma_f64 v[35:36], v[9:10], v[23:24], -v[35:36]
	ds_read_b128 v[1:4], v138 offset:816
	v_fma_f64 v[23:24], v[11:12], v[23:24], v[29:30]
	v_add_f64 v[13:14], v[13:14], v[31:32]
	v_add_f64 v[15:16], v[15:16], v[27:28]
	s_clause 0x2
	buffer_load_dword v38, off, s[0:3], 0 offset:460
	buffer_load_dword v28, off, s[0:3], 0 offset:436
	;; [unrolled: 1-line block ×3, first 2 shown]
	ds_read_b128 v[9:12], v138 offset:832
	s_waitcnt vmcnt(58) lgkmcnt(1)
	v_mul_f64 v[31:32], v[3:4], v[43:44]
	s_waitcnt vmcnt(56)
	v_fma_f64 v[39:40], v[5:6], v[121:122], -v[39:40]
	v_mul_f64 v[29:30], v[1:2], v[43:44]
	v_add_f64 v[13:14], v[13:14], v[35:36]
	v_fma_f64 v[35:36], v[7:8], v[121:122], v[168:169]
	v_add_f64 v[15:16], v[15:16], v[23:24]
	s_clause 0x4
	buffer_load_dword v24, off, s[0:3], 0 offset:476
	buffer_load_dword v43, off, s[0:3], 0 offset:488
	;; [unrolled: 1-line block ×5, first 2 shown]
	s_waitcnt vmcnt(57) lgkmcnt(0)
	v_mul_f64 v[168:169], v[9:10], v[123:124]
	v_mul_f64 v[122:123], v[11:12], v[123:124]
	s_waitcnt vmcnt(56)
	v_fma_f64 v[31:32], v[1:2], v[33:34], -v[31:32]
	ds_read_b128 v[5:8], v138 offset:848
	v_fma_f64 v[29:30], v[3:4], v[33:34], v[29:30]
	s_clause 0x2
	buffer_load_dword v44, off, s[0:3], 0 offset:492
	buffer_load_dword v34, off, s[0:3], 0 offset:468
	;; [unrolled: 1-line block ×3, first 2 shown]
	ds_read_b128 v[1:4], v138 offset:864
	v_add_f64 v[13:14], v[13:14], v[39:40]
	v_add_f64 v[15:16], v[15:16], v[35:36]
	s_waitcnt vmcnt(58) lgkmcnt(1)
	v_mul_f64 v[39:40], v[7:8], v[127:128]
	s_waitcnt vmcnt(56)
	v_fma_f64 v[123:124], v[9:10], v[129:130], -v[122:123]
	v_mul_f64 v[35:36], v[5:6], v[127:128]
	v_add_f64 v[13:14], v[13:14], v[31:32]
	v_fma_f64 v[31:32], v[11:12], v[129:130], v[168:169]
	v_add_f64 v[15:16], v[15:16], v[29:30]
	s_clause 0x4
	buffer_load_dword v30, off, s[0:3], 0 offset:508
	buffer_load_dword v127, off, s[0:3], 0 offset:520
	;; [unrolled: 1-line block ×5, first 2 shown]
	s_waitcnt vmcnt(57) lgkmcnt(0)
	v_mul_f64 v[168:169], v[1:2], v[131:132]
	v_mul_f64 v[130:131], v[3:4], v[131:132]
	s_waitcnt vmcnt(56)
	v_fma_f64 v[39:40], v[5:6], v[41:42], -v[39:40]
	ds_read_b128 v[9:12], v138 offset:880
	v_fma_f64 v[35:36], v[7:8], v[41:42], v[35:36]
	v_add_f64 v[13:14], v[13:14], v[123:124]
	v_add_f64 v[15:16], v[15:16], v[31:32]
	s_clause 0x2
	buffer_load_dword v128, off, s[0:3], 0 offset:524
	buffer_load_dword v32, off, s[0:3], 0 offset:500
	;; [unrolled: 1-line block ×3, first 2 shown]
	ds_read_b128 v[5:8], v138 offset:896
	s_waitcnt vmcnt(58) lgkmcnt(1)
	v_mul_f64 v[123:124], v[11:12], v[133:134]
	s_waitcnt vmcnt(56)
	v_fma_f64 v[131:132], v[1:2], v[135:136], -v[130:131]
	v_mul_f64 v[41:42], v[9:10], v[133:134]
	v_add_f64 v[13:14], v[13:14], v[39:40]
	v_fma_f64 v[39:40], v[3:4], v[135:136], v[168:169]
	v_add_f64 v[15:16], v[15:16], v[35:36]
	s_clause 0x4
	buffer_load_dword v36, off, s[0:3], 0 offset:540
	buffer_load_dword v133, off, s[0:3], 0 offset:552
	;; [unrolled: 1-line block ×5, first 2 shown]
	s_waitcnt vmcnt(57) lgkmcnt(0)
	v_mul_f64 v[168:169], v[5:6], v[153:154]
	v_mul_f64 v[153:154], v[7:8], v[153:154]
	s_waitcnt vmcnt(56)
	v_fma_f64 v[123:124], v[9:10], v[125:126], -v[123:124]
	ds_read_b128 v[1:4], v138 offset:912
	v_fma_f64 v[41:42], v[11:12], v[125:126], v[41:42]
	v_add_f64 v[13:14], v[13:14], v[131:132]
	v_add_f64 v[15:16], v[15:16], v[39:40]
	s_clause 0x2
	buffer_load_dword v134, off, s[0:3], 0 offset:556
	buffer_load_dword v40, off, s[0:3], 0 offset:532
	;; [unrolled: 1-line block ×3, first 2 shown]
	ds_read_b128 v[9:12], v138 offset:928
	s_waitcnt vmcnt(58) lgkmcnt(1)
	v_mul_f64 v[131:132], v[3:4], v[155:156]
	s_waitcnt vmcnt(56)
	v_fma_f64 v[153:154], v[5:6], v[160:161], -v[153:154]
	v_mul_f64 v[125:126], v[1:2], v[155:156]
	v_add_f64 v[13:14], v[13:14], v[123:124]
	v_fma_f64 v[123:124], v[7:8], v[160:161], v[168:169]
	v_add_f64 v[15:16], v[15:16], v[41:42]
	s_clause 0x4
	buffer_load_dword v42, off, s[0:3], 0 offset:572
	buffer_load_dword v155, off, s[0:3], 0 offset:584
	;; [unrolled: 1-line block ×5, first 2 shown]
	ds_read_b128 v[5:8], v138 offset:944
	s_waitcnt vmcnt(57) lgkmcnt(1)
	v_mul_f64 v[160:161], v[9:10], v[151:152]
	v_mul_f64 v[151:152], v[11:12], v[151:152]
	s_waitcnt vmcnt(56)
	v_fma_f64 v[131:132], v[1:2], v[157:158], -v[131:132]
	v_fma_f64 v[125:126], v[3:4], v[157:158], v[125:126]
	v_add_f64 v[13:14], v[13:14], v[153:154]
	v_add_f64 v[15:16], v[15:16], v[123:124]
	s_clause 0x2
	buffer_load_dword v156, off, s[0:3], 0 offset:588
	buffer_load_dword v124, off, s[0:3], 0 offset:564
	buffer_load_dword v123, off, s[0:3], 0 offset:560
	ds_read_b128 v[1:4], v138 offset:960
	s_waitcnt vmcnt(58) lgkmcnt(1)
	v_mul_f64 v[157:158], v[7:8], v[164:165]
	v_mul_f64 v[153:154], v[5:6], v[164:165]
	s_waitcnt vmcnt(56)
	v_fma_f64 v[151:152], v[9:10], v[145:146], -v[151:152]
	v_add_f64 v[13:14], v[13:14], v[131:132]
	v_fma_f64 v[131:132], v[11:12], v[145:146], v[160:161]
	v_add_f64 v[15:16], v[15:16], v[125:126]
	s_clause 0x4
	buffer_load_dword v126, off, s[0:3], 0 offset:604
	buffer_load_dword v145, off, s[0:3], 0 offset:616
	;; [unrolled: 1-line block ×5, first 2 shown]
	ds_read_b128 v[9:12], v138 offset:976
	s_waitcnt vmcnt(57) lgkmcnt(1)
	v_mul_f64 v[168:169], v[1:2], v[25:26]
	v_mul_f64 v[25:26], v[3:4], v[25:26]
	s_waitcnt vmcnt(56)
	v_fma_f64 v[157:158], v[5:6], v[166:167], -v[157:158]
	v_add_f64 v[13:14], v[13:14], v[151:152]
	v_fma_f64 v[151:152], v[7:8], v[166:167], v[153:154]
	v_add_f64 v[15:16], v[15:16], v[131:132]
	s_clause 0x2
	buffer_load_dword v146, off, s[0:3], 0 offset:620
	buffer_load_dword v132, off, s[0:3], 0 offset:596
	;; [unrolled: 1-line block ×3, first 2 shown]
	ds_read_b128 v[5:8], v138 offset:992
	buffer_load_dword v165, off, s[0:3], 0 offset:612
	s_waitcnt vmcnt(59) lgkmcnt(1)
	v_mul_f64 v[153:154], v[9:10], v[147:148]
	v_mul_f64 v[147:148], v[11:12], v[147:148]
	s_waitcnt vmcnt(57)
	v_fma_f64 v[25:26], v[1:2], v[19:20], -v[25:26]
	v_fma_f64 v[19:20], v[3:4], v[19:20], v[168:169]
	ds_read_b128 v[1:4], v138 offset:1008
	v_add_f64 v[13:14], v[13:14], v[157:158]
	v_add_f64 v[15:16], v[15:16], v[151:152]
	s_waitcnt vmcnt(53) lgkmcnt(1)
	v_mul_f64 v[151:152], v[5:6], v[139:140]
	v_mul_f64 v[139:140], v[7:8], v[139:140]
	s_waitcnt vmcnt(52)
	v_fma_f64 v[147:148], v[9:10], v[162:163], -v[147:148]
	v_add_f64 v[13:14], v[13:14], v[25:26]
	v_fma_f64 v[25:26], v[11:12], v[162:163], v[153:154]
	v_add_f64 v[15:16], v[15:16], v[19:20]
	ds_read_b128 v[9:12], v138 offset:1024
	s_waitcnt vmcnt(51) lgkmcnt(1)
	v_mul_f64 v[19:20], v[1:2], v[141:142]
	v_mul_f64 v[141:142], v[3:4], v[141:142]
	s_waitcnt vmcnt(49)
	v_fma_f64 v[139:140], v[5:6], v[21:22], -v[139:140]
	v_fma_f64 v[21:22], v[7:8], v[21:22], v[151:152]
	v_add_f64 v[13:14], v[13:14], v[147:148]
	v_add_f64 v[15:16], v[15:16], v[25:26]
	s_clause 0x3
	buffer_load_dword v25, off, s[0:3], 0 offset:48
	buffer_load_dword v26, off, s[0:3], 0 offset:52
	;; [unrolled: 1-line block ×4, first 2 shown]
	ds_read_b128 v[5:8], v138 offset:1040
	s_waitcnt vmcnt(49) lgkmcnt(1)
	v_mul_f64 v[151:152], v[9:10], v[17:18]
	v_mul_f64 v[17:18], v[11:12], v[17:18]
	s_waitcnt vmcnt(48)
	v_fma_f64 v[141:142], v[1:2], v[149:150], -v[141:142]
	v_fma_f64 v[19:20], v[3:4], v[149:150], v[19:20]
	ds_read_b128 v[1:4], v138 offset:1056
	v_add_f64 v[13:14], v[13:14], v[139:140]
	v_add_f64 v[15:16], v[15:16], v[21:22]
	s_waitcnt vmcnt(47) lgkmcnt(1)
	v_mul_f64 v[21:22], v[5:6], v[37:38]
	v_mul_f64 v[37:38], v[7:8], v[37:38]
	s_waitcnt vmcnt(45)
	v_fma_f64 v[17:18], v[9:10], v[27:28], -v[17:18]
	v_fma_f64 v[27:28], v[11:12], v[27:28], v[151:152]
	ds_read_b128 v[9:12], v138 offset:1072
	v_add_f64 v[13:14], v[13:14], v[141:142]
	v_add_f64 v[15:16], v[15:16], v[19:20]
	s_waitcnt vmcnt(41) lgkmcnt(1)
	v_mul_f64 v[19:20], v[1:2], v[23:24]
	v_mul_f64 v[23:24], v[3:4], v[23:24]
	s_waitcnt vmcnt(40)
	v_fma_f64 v[37:38], v[5:6], v[143:144], -v[37:38]
	v_add_f64 v[13:14], v[13:14], v[17:18]
	v_fma_f64 v[17:18], v[7:8], v[143:144], v[21:22]
	v_add_f64 v[15:16], v[15:16], v[27:28]
	ds_read_b128 v[5:8], v138 offset:1088
	s_waitcnt vmcnt(39) lgkmcnt(1)
	v_mul_f64 v[27:28], v[11:12], v[43:44]
	v_mul_f64 v[21:22], v[9:10], v[43:44]
	s_waitcnt vmcnt(37)
	v_fma_f64 v[19:20], v[3:4], v[33:34], v[19:20]
	v_fma_f64 v[23:24], v[1:2], v[33:34], -v[23:24]
	ds_read_b128 v[1:4], v138 offset:1104
	v_add_f64 v[13:14], v[13:14], v[37:38]
	v_add_f64 v[15:16], v[15:16], v[17:18]
	s_waitcnt vmcnt(33) lgkmcnt(1)
	v_mul_f64 v[17:18], v[5:6], v[29:30]
	v_mul_f64 v[29:30], v[7:8], v[29:30]
	s_waitcnt vmcnt(32)
	v_fma_f64 v[27:28], v[9:10], v[121:122], -v[27:28]
	v_fma_f64 v[21:22], v[11:12], v[121:122], v[21:22]
	ds_read_b128 v[9:12], v138 offset:1120
	v_add_f64 v[13:14], v[13:14], v[23:24]
	v_add_f64 v[15:16], v[15:16], v[19:20]
	s_waitcnt vmcnt(31) lgkmcnt(1)
	v_mul_f64 v[23:24], v[3:4], v[127:128]
	v_mul_f64 v[19:20], v[1:2], v[127:128]
	s_waitcnt vmcnt(29)
	v_fma_f64 v[29:30], v[5:6], v[31:32], -v[29:30]
	v_fma_f64 v[17:18], v[7:8], v[31:32], v[17:18]
	ds_read_b128 v[5:8], v138 offset:1136
	v_add_f64 v[13:14], v[13:14], v[27:28]
	v_add_f64 v[15:16], v[15:16], v[21:22]
	s_waitcnt vmcnt(25) lgkmcnt(1)
	v_mul_f64 v[27:28], v[11:12], v[35:36]
	s_waitcnt vmcnt(24)
	v_fma_f64 v[23:24], v[1:2], v[129:130], -v[23:24]
	v_mul_f64 v[21:22], v[9:10], v[35:36]
	v_fma_f64 v[19:20], v[3:4], v[129:130], v[19:20]
	ds_read_b128 v[1:4], v138 offset:1152
	v_add_f64 v[13:14], v[13:14], v[29:30]
	v_add_f64 v[15:16], v[15:16], v[17:18]
	s_waitcnt vmcnt(23) lgkmcnt(1)
	v_mul_f64 v[29:30], v[7:8], v[133:134]
	v_mul_f64 v[17:18], v[5:6], v[133:134]
	s_waitcnt vmcnt(21)
	v_fma_f64 v[27:28], v[9:10], v[39:40], -v[27:28]
	v_fma_f64 v[21:22], v[11:12], v[39:40], v[21:22]
	ds_read_b128 v[9:12], v138 offset:1168
	v_add_f64 v[13:14], v[13:14], v[23:24]
	v_add_f64 v[15:16], v[15:16], v[19:20]
	s_waitcnt vmcnt(17) lgkmcnt(1)
	v_mul_f64 v[23:24], v[3:4], v[41:42]
	s_waitcnt vmcnt(16)
	v_fma_f64 v[29:30], v[5:6], v[135:136], -v[29:30]
	v_mul_f64 v[19:20], v[1:2], v[41:42]
	;; [unrolled: 18-line block ×3, first 2 shown]
	v_fma_f64 v[11:12], v[11:12], v[159:160], v[21:22]
	v_add_f64 v[13:14], v[13:14], v[23:24]
	v_add_f64 v[15:16], v[15:16], v[19:20]
	s_waitcnt vmcnt(7) lgkmcnt(0)
	v_mul_f64 v[21:22], v[3:4], v[145:146]
	v_mul_f64 v[19:20], v[1:2], v[145:146]
	s_waitcnt vmcnt(5)
	v_fma_f64 v[5:6], v[5:6], v[131:132], -v[29:30]
	v_fma_f64 v[7:8], v[7:8], v[131:132], v[17:18]
	v_add_f64 v[9:10], v[13:14], v[9:10]
	v_add_f64 v[11:12], v[15:16], v[11:12]
	s_waitcnt vmcnt(4)
	v_fma_f64 v[1:2], v[1:2], v[164:165], -v[21:22]
	v_fma_f64 v[3:4], v[3:4], v[164:165], v[19:20]
	v_add_f64 v[5:6], v[9:10], v[5:6]
	v_add_f64 v[7:8], v[11:12], v[7:8]
	v_add_f64 v[1:2], v[5:6], v[1:2]
	v_add_f64 v[3:4], v[7:8], v[3:4]
	s_waitcnt vmcnt(2)
	v_add_f64 v[1:2], v[25:26], -v[1:2]
	s_waitcnt vmcnt(0)
	v_add_f64 v[3:4], v[147:148], -v[3:4]
	buffer_store_dword v2, off, s[0:3], 0 offset:52
	buffer_store_dword v1, off, s[0:3], 0 offset:48
	;; [unrolled: 1-line block ×4, first 2 shown]
	v_cmpx_lt_u32_e32 1, v0
	s_cbranch_execz .LBB37_239
; %bb.238:
	v_mov_b32_e32 v4, s49
	s_clause 0x3
	buffer_load_dword v1, v4, s[0:3], 0 offen
	buffer_load_dword v2, v4, s[0:3], 0 offen offset:4
	buffer_load_dword v3, v4, s[0:3], 0 offen offset:8
	buffer_load_dword v4, v4, s[0:3], 0 offen offset:12
	buffer_store_dword v138, off, s[0:3], 0 offset:32
	buffer_store_dword v138, off, s[0:3], 0 offset:36
	;; [unrolled: 1-line block ×4, first 2 shown]
	s_waitcnt vmcnt(0)
	ds_write_b128 v137, v[1:4]
.LBB37_239:
	s_or_b32 exec_lo, exec_lo, s4
	s_waitcnt lgkmcnt(0)
	s_waitcnt_vscnt null, 0x0
	s_barrier
	buffer_gl0_inv
	s_clause 0x37
	buffer_load_dword v9, off, s[0:3], 0 offset:56
	buffer_load_dword v10, off, s[0:3], 0 offset:60
	;; [unrolled: 1-line block ×56, first 2 shown]
	ds_read_b128 v[139:142], v138 offset:640
	s_clause 0x2
	buffer_load_dword v134, off, s[0:3], 0 offset:284
	buffer_load_dword v136, off, s[0:3], 0 offset:260
	;; [unrolled: 1-line block ×3, first 2 shown]
	ds_read_b128 v[143:146], v138 offset:656
	s_clause 0x4
	buffer_load_dword v154, off, s[0:3], 0 offset:300
	buffer_load_dword v155, off, s[0:3], 0 offset:312
	buffer_load_dword v157, off, s[0:3], 0 offset:304
	buffer_load_dword v153, off, s[0:3], 0 offset:296
	buffer_load_dword v126, off, s[0:3], 0 offset:276
	ds_read_b128 v[147:150], v138 offset:672
	s_clause 0x2
	buffer_load_dword v156, off, s[0:3], 0 offset:316
	buffer_load_dword v161, off, s[0:3], 0 offset:292
	;; [unrolled: 1-line block ×3, first 2 shown]
	s_mov_b32 s4, exec_lo
	s_waitcnt vmcnt(62) lgkmcnt(2)
	v_mul_f64 v[151:152], v[141:142], v[9:10]
	v_mul_f64 v[9:10], v[139:140], v[9:10]
	s_waitcnt lgkmcnt(1)
	v_mul_f64 v[158:159], v[145:146], v[5:6]
	s_waitcnt vmcnt(59) lgkmcnt(0)
	v_mul_f64 v[162:163], v[149:150], v[3:4]
	v_fma_f64 v[139:140], v[139:140], v[7:8], -v[151:152]
	v_mul_f64 v[151:152], v[143:144], v[5:6]
	v_fma_f64 v[9:10], v[141:142], v[7:8], v[9:10]
	s_waitcnt vmcnt(57)
	v_fma_f64 v[143:144], v[143:144], v[1:2], -v[158:159]
	ds_read_b128 v[5:8], v138 offset:688
	v_mul_f64 v[141:142], v[147:148], v[3:4]
	s_waitcnt vmcnt(51)
	v_fma_f64 v[147:148], v[147:148], v[25:26], -v[162:163]
	v_add_f64 v[139:140], v[139:140], 0
	v_fma_f64 v[145:146], v[145:146], v[1:2], v[151:152]
	v_add_f64 v[9:10], v[9:10], 0
	s_clause 0x4
	buffer_load_dword v152, off, s[0:3], 0 offset:332
	buffer_load_dword v164, off, s[0:3], 0 offset:344
	;; [unrolled: 1-line block ×5, first 2 shown]
	s_waitcnt lgkmcnt(0)
	v_mul_f64 v[167:168], v[5:6], v[13:14]
	v_mul_f64 v[13:14], v[7:8], v[13:14]
	ds_read_b128 v[1:4], v138 offset:704
	v_fma_f64 v[25:26], v[149:150], v[25:26], v[141:142]
	v_add_f64 v[143:144], v[139:140], v[143:144]
	v_add_f64 v[9:10], v[9:10], v[145:146]
	s_clause 0x2
	buffer_load_dword v165, off, s[0:3], 0 offset:348
	buffer_load_dword v146, off, s[0:3], 0 offset:324
	;; [unrolled: 1-line block ×3, first 2 shown]
	s_waitcnt vmcnt(58) lgkmcnt(0)
	v_mul_f64 v[149:150], v[1:2], v[17:18]
	v_mul_f64 v[17:18], v[3:4], v[17:18]
	s_waitcnt vmcnt(56)
	v_fma_f64 v[13:14], v[5:6], v[19:20], -v[13:14]
	ds_read_b128 v[139:142], v138 offset:720
	v_fma_f64 v[19:20], v[7:8], v[19:20], v[167:168]
	v_add_f64 v[143:144], v[143:144], v[147:148]
	v_add_f64 v[9:10], v[9:10], v[25:26]
	s_clause 0x4
	buffer_load_dword v26, off, s[0:3], 0 offset:364
	buffer_load_dword v147, off, s[0:3], 0 offset:376
	;; [unrolled: 1-line block ×5, first 2 shown]
	ds_read_b128 v[5:8], v138 offset:736
	s_waitcnt vmcnt(57) lgkmcnt(1)
	v_mul_f64 v[168:169], v[139:140], v[21:22]
	v_mul_f64 v[21:22], v[141:142], v[21:22]
	s_waitcnt vmcnt(56)
	v_fma_f64 v[17:18], v[1:2], v[11:12], -v[17:18]
	v_fma_f64 v[11:12], v[3:4], v[11:12], v[149:150]
	v_add_f64 v[13:14], v[143:144], v[13:14]
	v_add_f64 v[9:10], v[9:10], v[19:20]
	s_clause 0x2
	buffer_load_dword v148, off, s[0:3], 0 offset:380
	buffer_load_dword v20, off, s[0:3], 0 offset:356
	;; [unrolled: 1-line block ×3, first 2 shown]
	s_waitcnt vmcnt(58) lgkmcnt(0)
	v_mul_f64 v[143:144], v[5:6], v[27:28]
	v_mul_f64 v[27:28], v[7:8], v[27:28]
	s_waitcnt vmcnt(56)
	v_fma_f64 v[21:22], v[139:140], v[29:30], -v[21:22]
	ds_read_b128 v[1:4], v138 offset:752
	v_add_f64 v[13:14], v[13:14], v[17:18]
	v_fma_f64 v[17:18], v[141:142], v[29:30], v[168:169]
	v_add_f64 v[29:30], v[9:10], v[11:12]
	s_clause 0x4
	buffer_load_dword v140, off, s[0:3], 0 offset:396
	buffer_load_dword v141, off, s[0:3], 0 offset:408
	;; [unrolled: 1-line block ×5, first 2 shown]
	ds_read_b128 v[9:12], v138 offset:768
	s_waitcnt vmcnt(57) lgkmcnt(1)
	v_mul_f64 v[168:169], v[1:2], v[31:32]
	v_mul_f64 v[31:32], v[3:4], v[31:32]
	s_waitcnt vmcnt(56)
	v_fma_f64 v[27:28], v[5:6], v[15:16], -v[27:28]
	v_fma_f64 v[15:16], v[7:8], v[15:16], v[143:144]
	v_add_f64 v[13:14], v[13:14], v[21:22]
	s_clause 0x2
	buffer_load_dword v142, off, s[0:3], 0 offset:412
	buffer_load_dword v22, off, s[0:3], 0 offset:388
	;; [unrolled: 1-line block ×3, first 2 shown]
	v_add_f64 v[17:18], v[29:30], v[17:18]
	s_waitcnt vmcnt(58) lgkmcnt(0)
	v_mul_f64 v[29:30], v[9:10], v[35:36]
	v_mul_f64 v[35:36], v[11:12], v[35:36]
	ds_read_b128 v[5:8], v138 offset:784
	s_waitcnt vmcnt(56)
	v_fma_f64 v[31:32], v[1:2], v[37:38], -v[31:32]
	v_add_f64 v[13:14], v[13:14], v[27:28]
	v_fma_f64 v[27:28], v[3:4], v[37:38], v[168:169]
	v_add_f64 v[15:16], v[17:18], v[15:16]
	s_clause 0x4
	buffer_load_dword v18, off, s[0:3], 0 offset:428
	buffer_load_dword v37, off, s[0:3], 0 offset:440
	;; [unrolled: 1-line block ×5, first 2 shown]
	s_waitcnt vmcnt(57) lgkmcnt(0)
	v_mul_f64 v[168:169], v[5:6], v[39:40]
	v_mul_f64 v[39:40], v[7:8], v[39:40]
	s_waitcnt vmcnt(56)
	v_fma_f64 v[35:36], v[9:10], v[23:24], -v[35:36]
	ds_read_b128 v[1:4], v138 offset:800
	v_fma_f64 v[23:24], v[11:12], v[23:24], v[29:30]
	v_add_f64 v[13:14], v[13:14], v[31:32]
	v_add_f64 v[15:16], v[15:16], v[27:28]
	s_clause 0x2
	buffer_load_dword v38, off, s[0:3], 0 offset:444
	buffer_load_dword v28, off, s[0:3], 0 offset:420
	buffer_load_dword v27, off, s[0:3], 0 offset:416
	ds_read_b128 v[9:12], v138 offset:816
	s_waitcnt vmcnt(58) lgkmcnt(1)
	v_mul_f64 v[31:32], v[3:4], v[43:44]
	s_waitcnt vmcnt(56)
	v_fma_f64 v[39:40], v[5:6], v[121:122], -v[39:40]
	v_mul_f64 v[29:30], v[1:2], v[43:44]
	v_add_f64 v[13:14], v[13:14], v[35:36]
	v_fma_f64 v[35:36], v[7:8], v[121:122], v[168:169]
	v_add_f64 v[15:16], v[15:16], v[23:24]
	s_clause 0x4
	buffer_load_dword v24, off, s[0:3], 0 offset:460
	buffer_load_dword v43, off, s[0:3], 0 offset:472
	;; [unrolled: 1-line block ×5, first 2 shown]
	s_waitcnt vmcnt(57) lgkmcnt(0)
	v_mul_f64 v[168:169], v[9:10], v[123:124]
	v_mul_f64 v[122:123], v[11:12], v[123:124]
	s_waitcnt vmcnt(56)
	v_fma_f64 v[31:32], v[1:2], v[33:34], -v[31:32]
	ds_read_b128 v[5:8], v138 offset:832
	v_fma_f64 v[29:30], v[3:4], v[33:34], v[29:30]
	s_clause 0x2
	buffer_load_dword v44, off, s[0:3], 0 offset:476
	buffer_load_dword v34, off, s[0:3], 0 offset:452
	;; [unrolled: 1-line block ×3, first 2 shown]
	ds_read_b128 v[1:4], v138 offset:848
	v_add_f64 v[13:14], v[13:14], v[39:40]
	v_add_f64 v[15:16], v[15:16], v[35:36]
	s_waitcnt vmcnt(58) lgkmcnt(1)
	v_mul_f64 v[39:40], v[7:8], v[127:128]
	s_waitcnt vmcnt(56)
	v_fma_f64 v[123:124], v[9:10], v[129:130], -v[122:123]
	v_mul_f64 v[35:36], v[5:6], v[127:128]
	v_add_f64 v[13:14], v[13:14], v[31:32]
	v_fma_f64 v[31:32], v[11:12], v[129:130], v[168:169]
	v_add_f64 v[15:16], v[15:16], v[29:30]
	s_clause 0x4
	buffer_load_dword v30, off, s[0:3], 0 offset:492
	buffer_load_dword v127, off, s[0:3], 0 offset:504
	;; [unrolled: 1-line block ×5, first 2 shown]
	s_waitcnt vmcnt(57) lgkmcnt(0)
	v_mul_f64 v[168:169], v[1:2], v[131:132]
	v_mul_f64 v[130:131], v[3:4], v[131:132]
	s_waitcnt vmcnt(56)
	v_fma_f64 v[39:40], v[5:6], v[41:42], -v[39:40]
	ds_read_b128 v[9:12], v138 offset:864
	v_fma_f64 v[35:36], v[7:8], v[41:42], v[35:36]
	v_add_f64 v[13:14], v[13:14], v[123:124]
	v_add_f64 v[15:16], v[15:16], v[31:32]
	s_clause 0x2
	buffer_load_dword v128, off, s[0:3], 0 offset:508
	buffer_load_dword v32, off, s[0:3], 0 offset:484
	;; [unrolled: 1-line block ×3, first 2 shown]
	ds_read_b128 v[5:8], v138 offset:880
	s_waitcnt vmcnt(58) lgkmcnt(1)
	v_mul_f64 v[123:124], v[11:12], v[133:134]
	s_waitcnt vmcnt(56)
	v_fma_f64 v[131:132], v[1:2], v[135:136], -v[130:131]
	v_mul_f64 v[41:42], v[9:10], v[133:134]
	v_add_f64 v[13:14], v[13:14], v[39:40]
	v_fma_f64 v[39:40], v[3:4], v[135:136], v[168:169]
	v_add_f64 v[15:16], v[15:16], v[35:36]
	s_clause 0x4
	buffer_load_dword v36, off, s[0:3], 0 offset:524
	buffer_load_dword v133, off, s[0:3], 0 offset:536
	;; [unrolled: 1-line block ×5, first 2 shown]
	s_waitcnt vmcnt(57) lgkmcnt(0)
	v_mul_f64 v[168:169], v[5:6], v[153:154]
	v_mul_f64 v[153:154], v[7:8], v[153:154]
	s_waitcnt vmcnt(56)
	v_fma_f64 v[123:124], v[9:10], v[125:126], -v[123:124]
	ds_read_b128 v[1:4], v138 offset:896
	v_fma_f64 v[41:42], v[11:12], v[125:126], v[41:42]
	v_add_f64 v[13:14], v[13:14], v[131:132]
	v_add_f64 v[15:16], v[15:16], v[39:40]
	s_clause 0x2
	buffer_load_dword v134, off, s[0:3], 0 offset:540
	buffer_load_dword v40, off, s[0:3], 0 offset:516
	;; [unrolled: 1-line block ×3, first 2 shown]
	ds_read_b128 v[9:12], v138 offset:912
	s_waitcnt vmcnt(58) lgkmcnt(1)
	v_mul_f64 v[131:132], v[3:4], v[155:156]
	s_waitcnt vmcnt(56)
	v_fma_f64 v[153:154], v[5:6], v[160:161], -v[153:154]
	v_mul_f64 v[125:126], v[1:2], v[155:156]
	v_add_f64 v[13:14], v[13:14], v[123:124]
	v_fma_f64 v[123:124], v[7:8], v[160:161], v[168:169]
	v_add_f64 v[15:16], v[15:16], v[41:42]
	s_clause 0x4
	buffer_load_dword v42, off, s[0:3], 0 offset:556
	buffer_load_dword v155, off, s[0:3], 0 offset:568
	;; [unrolled: 1-line block ×5, first 2 shown]
	ds_read_b128 v[5:8], v138 offset:928
	s_waitcnt vmcnt(57) lgkmcnt(1)
	v_mul_f64 v[160:161], v[9:10], v[151:152]
	v_mul_f64 v[151:152], v[11:12], v[151:152]
	s_waitcnt vmcnt(56)
	v_fma_f64 v[131:132], v[1:2], v[157:158], -v[131:132]
	v_fma_f64 v[125:126], v[3:4], v[157:158], v[125:126]
	v_add_f64 v[13:14], v[13:14], v[153:154]
	v_add_f64 v[15:16], v[15:16], v[123:124]
	s_clause 0x2
	buffer_load_dword v156, off, s[0:3], 0 offset:572
	buffer_load_dword v124, off, s[0:3], 0 offset:548
	;; [unrolled: 1-line block ×3, first 2 shown]
	ds_read_b128 v[1:4], v138 offset:944
	s_waitcnt vmcnt(58) lgkmcnt(1)
	v_mul_f64 v[157:158], v[7:8], v[164:165]
	v_mul_f64 v[153:154], v[5:6], v[164:165]
	s_waitcnt vmcnt(56)
	v_fma_f64 v[151:152], v[9:10], v[145:146], -v[151:152]
	v_add_f64 v[13:14], v[13:14], v[131:132]
	v_fma_f64 v[131:132], v[11:12], v[145:146], v[160:161]
	v_add_f64 v[15:16], v[15:16], v[125:126]
	s_clause 0x4
	buffer_load_dword v126, off, s[0:3], 0 offset:588
	buffer_load_dword v145, off, s[0:3], 0 offset:600
	;; [unrolled: 1-line block ×5, first 2 shown]
	ds_read_b128 v[9:12], v138 offset:960
	s_waitcnt vmcnt(57) lgkmcnt(1)
	v_mul_f64 v[168:169], v[1:2], v[25:26]
	v_mul_f64 v[25:26], v[3:4], v[25:26]
	s_waitcnt vmcnt(56)
	v_fma_f64 v[157:158], v[5:6], v[166:167], -v[157:158]
	v_add_f64 v[13:14], v[13:14], v[151:152]
	v_fma_f64 v[151:152], v[7:8], v[166:167], v[153:154]
	v_add_f64 v[15:16], v[15:16], v[131:132]
	s_clause 0x2
	buffer_load_dword v146, off, s[0:3], 0 offset:604
	buffer_load_dword v132, off, s[0:3], 0 offset:580
	buffer_load_dword v131, off, s[0:3], 0 offset:576
	ds_read_b128 v[5:8], v138 offset:976
	s_waitcnt vmcnt(58) lgkmcnt(1)
	v_mul_f64 v[153:154], v[9:10], v[147:148]
	v_mul_f64 v[147:148], v[11:12], v[147:148]
	s_waitcnt vmcnt(56)
	v_fma_f64 v[25:26], v[1:2], v[19:20], -v[25:26]
	v_fma_f64 v[19:20], v[3:4], v[19:20], v[168:169]
	v_add_f64 v[13:14], v[13:14], v[157:158]
	v_add_f64 v[15:16], v[15:16], v[151:152]
	s_clause 0x2
	buffer_load_dword v152, off, s[0:3], 0 offset:620
	buffer_load_dword v151, off, s[0:3], 0 offset:616
	;; [unrolled: 1-line block ×3, first 2 shown]
	ds_read_b128 v[1:4], v138 offset:992
	s_waitcnt vmcnt(55) lgkmcnt(1)
	v_mul_f64 v[157:158], v[5:6], v[139:140]
	v_mul_f64 v[139:140], v[7:8], v[139:140]
	s_waitcnt vmcnt(54)
	v_fma_f64 v[147:148], v[9:10], v[162:163], -v[147:148]
	v_add_f64 v[13:14], v[13:14], v[25:26]
	v_fma_f64 v[25:26], v[11:12], v[162:163], v[153:154]
	v_add_f64 v[15:16], v[15:16], v[19:20]
	s_clause 0x1
	buffer_load_dword v20, off, s[0:3], 0 offset:612
	buffer_load_dword v19, off, s[0:3], 0 offset:608
	ds_read_b128 v[9:12], v138 offset:1008
	s_waitcnt vmcnt(55) lgkmcnt(1)
	v_mul_f64 v[153:154], v[1:2], v[141:142]
	v_mul_f64 v[141:142], v[3:4], v[141:142]
	s_waitcnt vmcnt(53)
	v_fma_f64 v[139:140], v[5:6], v[21:22], -v[139:140]
	v_fma_f64 v[21:22], v[7:8], v[21:22], v[157:158]
	ds_read_b128 v[5:8], v138 offset:1024
	v_add_f64 v[13:14], v[13:14], v[147:148]
	v_add_f64 v[15:16], v[15:16], v[25:26]
	s_waitcnt vmcnt(49) lgkmcnt(1)
	v_mul_f64 v[25:26], v[9:10], v[17:18]
	v_mul_f64 v[17:18], v[11:12], v[17:18]
	s_waitcnt vmcnt(48)
	v_fma_f64 v[141:142], v[1:2], v[149:150], -v[141:142]
	v_add_f64 v[13:14], v[13:14], v[139:140]
	v_fma_f64 v[139:140], v[3:4], v[149:150], v[153:154]
	v_add_f64 v[15:16], v[15:16], v[21:22]
	s_clause 0x3
	buffer_load_dword v21, off, s[0:3], 0 offset:32
	buffer_load_dword v22, off, s[0:3], 0 offset:36
	;; [unrolled: 1-line block ×4, first 2 shown]
	ds_read_b128 v[1:4], v138 offset:1040
	s_waitcnt vmcnt(51) lgkmcnt(1)
	v_mul_f64 v[149:150], v[5:6], v[37:38]
	v_mul_f64 v[37:38], v[7:8], v[37:38]
	s_waitcnt vmcnt(49)
	v_fma_f64 v[17:18], v[9:10], v[27:28], -v[17:18]
	v_fma_f64 v[25:26], v[11:12], v[27:28], v[25:26]
	ds_read_b128 v[9:12], v138 offset:1056
	v_add_f64 v[13:14], v[13:14], v[141:142]
	v_add_f64 v[15:16], v[15:16], v[139:140]
	s_waitcnt vmcnt(45) lgkmcnt(1)
	v_mul_f64 v[27:28], v[1:2], v[23:24]
	v_mul_f64 v[23:24], v[3:4], v[23:24]
	s_waitcnt vmcnt(44)
	v_fma_f64 v[37:38], v[5:6], v[143:144], -v[37:38]
	v_add_f64 v[13:14], v[13:14], v[17:18]
	v_fma_f64 v[17:18], v[7:8], v[143:144], v[149:150]
	v_add_f64 v[15:16], v[15:16], v[25:26]
	s_waitcnt vmcnt(43) lgkmcnt(0)
	v_mul_f64 v[25:26], v[9:10], v[43:44]
	v_mul_f64 v[43:44], v[11:12], v[43:44]
	ds_read_b128 v[5:8], v138 offset:1072
	s_waitcnt vmcnt(41)
	v_fma_f64 v[27:28], v[3:4], v[33:34], v[27:28]
	v_fma_f64 v[23:24], v[1:2], v[33:34], -v[23:24]
	ds_read_b128 v[1:4], v138 offset:1088
	v_add_f64 v[13:14], v[13:14], v[37:38]
	v_add_f64 v[15:16], v[15:16], v[17:18]
	s_waitcnt vmcnt(37) lgkmcnt(1)
	v_mul_f64 v[17:18], v[5:6], v[29:30]
	v_mul_f64 v[29:30], v[7:8], v[29:30]
	s_waitcnt vmcnt(36)
	v_fma_f64 v[33:34], v[9:10], v[121:122], -v[43:44]
	v_add_f64 v[13:14], v[13:14], v[23:24]
	v_fma_f64 v[23:24], v[11:12], v[121:122], v[25:26]
	v_add_f64 v[15:16], v[15:16], v[27:28]
	ds_read_b128 v[9:12], v138 offset:1104
	s_waitcnt vmcnt(35) lgkmcnt(1)
	v_mul_f64 v[27:28], v[3:4], v[127:128]
	v_mul_f64 v[25:26], v[1:2], v[127:128]
	s_waitcnt vmcnt(33)
	v_fma_f64 v[29:30], v[5:6], v[31:32], -v[29:30]
	v_fma_f64 v[17:18], v[7:8], v[31:32], v[17:18]
	ds_read_b128 v[5:8], v138 offset:1120
	v_add_f64 v[13:14], v[13:14], v[33:34]
	v_add_f64 v[15:16], v[15:16], v[23:24]
	s_waitcnt vmcnt(29) lgkmcnt(1)
	v_mul_f64 v[31:32], v[11:12], v[35:36]
	s_waitcnt vmcnt(28)
	v_fma_f64 v[27:28], v[1:2], v[129:130], -v[27:28]
	v_mul_f64 v[23:24], v[9:10], v[35:36]
	v_fma_f64 v[25:26], v[3:4], v[129:130], v[25:26]
	ds_read_b128 v[1:4], v138 offset:1136
	v_add_f64 v[13:14], v[13:14], v[29:30]
	v_add_f64 v[15:16], v[15:16], v[17:18]
	s_waitcnt vmcnt(27) lgkmcnt(1)
	v_mul_f64 v[29:30], v[7:8], v[133:134]
	v_mul_f64 v[17:18], v[5:6], v[133:134]
	s_waitcnt vmcnt(25)
	v_fma_f64 v[31:32], v[9:10], v[39:40], -v[31:32]
	v_fma_f64 v[23:24], v[11:12], v[39:40], v[23:24]
	ds_read_b128 v[9:12], v138 offset:1152
	v_add_f64 v[13:14], v[13:14], v[27:28]
	v_add_f64 v[15:16], v[15:16], v[25:26]
	s_waitcnt vmcnt(21) lgkmcnt(1)
	v_mul_f64 v[27:28], v[3:4], v[41:42]
	s_waitcnt vmcnt(20)
	v_fma_f64 v[29:30], v[5:6], v[135:136], -v[29:30]
	v_mul_f64 v[25:26], v[1:2], v[41:42]
	v_fma_f64 v[17:18], v[7:8], v[135:136], v[17:18]
	ds_read_b128 v[5:8], v138 offset:1168
	v_add_f64 v[13:14], v[13:14], v[31:32]
	v_add_f64 v[15:16], v[15:16], v[23:24]
	;; [unrolled: 18-line block ×3, first 2 shown]
	s_waitcnt vmcnt(11) lgkmcnt(1)
	v_mul_f64 v[27:28], v[3:4], v[145:146]
	v_mul_f64 v[25:26], v[1:2], v[145:146]
	s_waitcnt vmcnt(9)
	v_fma_f64 v[5:6], v[5:6], v[131:132], -v[29:30]
	v_fma_f64 v[7:8], v[7:8], v[131:132], v[17:18]
	v_add_f64 v[13:14], v[13:14], v[31:32]
	v_add_f64 v[15:16], v[15:16], v[23:24]
	s_waitcnt vmcnt(7) lgkmcnt(0)
	v_mul_f64 v[23:24], v[11:12], v[151:152]
	s_waitcnt vmcnt(6)
	v_fma_f64 v[1:2], v[1:2], v[164:165], -v[27:28]
	v_mul_f64 v[17:18], v[9:10], v[151:152]
	v_fma_f64 v[3:4], v[3:4], v[164:165], v[25:26]
	v_add_f64 v[5:6], v[13:14], v[5:6]
	v_add_f64 v[7:8], v[15:16], v[7:8]
	s_waitcnt vmcnt(4)
	v_fma_f64 v[9:10], v[9:10], v[19:20], -v[23:24]
	v_add_f64 v[1:2], v[5:6], v[1:2]
	v_fma_f64 v[5:6], v[11:12], v[19:20], v[17:18]
	v_add_f64 v[3:4], v[7:8], v[3:4]
	v_add_f64 v[1:2], v[1:2], v[9:10]
	;; [unrolled: 1-line block ×3, first 2 shown]
	s_waitcnt vmcnt(2)
	v_add_f64 v[1:2], v[21:22], -v[1:2]
	s_waitcnt vmcnt(0)
	v_add_f64 v[3:4], v[147:148], -v[3:4]
	buffer_store_dword v2, off, s[0:3], 0 offset:36
	buffer_store_dword v1, off, s[0:3], 0 offset:32
	;; [unrolled: 1-line block ×4, first 2 shown]
	v_cmpx_ne_u32_e32 0, v0
	s_cbranch_execz .LBB37_241
; %bb.240:
	s_clause 0x3
	buffer_load_dword v0, off, s[0:3], 0 offset:16
	buffer_load_dword v1, off, s[0:3], 0 offset:20
	;; [unrolled: 1-line block ×4, first 2 shown]
	v_mov_b32_e32 v4, 0
	buffer_store_dword v4, off, s[0:3], 0 offset:16
	buffer_store_dword v4, off, s[0:3], 0 offset:20
	;; [unrolled: 1-line block ×4, first 2 shown]
	s_waitcnt vmcnt(0)
	ds_write_b128 v137, v[0:3]
.LBB37_241:
	s_or_b32 exec_lo, exec_lo, s4
	s_waitcnt lgkmcnt(0)
	s_waitcnt_vscnt null, 0x0
	s_barrier
	buffer_gl0_inv
	s_clause 0x37
	buffer_load_dword v8, off, s[0:3], 0 offset:40
	buffer_load_dword v9, off, s[0:3], 0 offset:44
	;; [unrolled: 1-line block ×56, first 2 shown]
	v_mov_b32_e32 v44, 0
	s_and_b32 vcc_lo, exec_lo, s50
	ds_read_b128 v[137:140], v44 offset:624
	s_clause 0x2
	buffer_load_dword v134, off, s[0:3], 0 offset:268
	buffer_load_dword v136, off, s[0:3], 0 offset:244
	;; [unrolled: 1-line block ×3, first 2 shown]
	ds_read_b128 v[141:144], v44 offset:640
	s_clause 0x4
	buffer_load_dword v152, off, s[0:3], 0 offset:284
	buffer_load_dword v153, off, s[0:3], 0 offset:296
	;; [unrolled: 1-line block ×5, first 2 shown]
	ds_read_b128 v[145:148], v44 offset:656
	s_clause 0x2
	buffer_load_dword v154, off, s[0:3], 0 offset:300
	buffer_load_dword v159, off, s[0:3], 0 offset:276
	;; [unrolled: 1-line block ×3, first 2 shown]
	s_waitcnt vmcnt(62) lgkmcnt(2)
	v_mul_f64 v[149:150], v[139:140], v[8:9]
	v_mul_f64 v[8:9], v[137:138], v[8:9]
	s_waitcnt lgkmcnt(1)
	v_mul_f64 v[156:157], v[143:144], v[4:5]
	s_waitcnt vmcnt(59) lgkmcnt(0)
	v_mul_f64 v[160:161], v[147:148], v[2:3]
	v_fma_f64 v[137:138], v[137:138], v[6:7], -v[149:150]
	v_mul_f64 v[149:150], v[141:142], v[4:5]
	v_fma_f64 v[8:9], v[139:140], v[6:7], v[8:9]
	s_waitcnt vmcnt(57)
	v_fma_f64 v[141:142], v[141:142], v[0:1], -v[156:157]
	ds_read_b128 v[4:7], v44 offset:672
	v_mul_f64 v[139:140], v[145:146], v[2:3]
	s_waitcnt vmcnt(51)
	v_fma_f64 v[145:146], v[145:146], v[24:25], -v[160:161]
	v_add_f64 v[137:138], v[137:138], 0
	v_fma_f64 v[143:144], v[143:144], v[0:1], v[149:150]
	v_add_f64 v[8:9], v[8:9], 0
	s_clause 0x4
	buffer_load_dword v150, off, s[0:3], 0 offset:316
	buffer_load_dword v162, off, s[0:3], 0 offset:328
	;; [unrolled: 1-line block ×5, first 2 shown]
	s_waitcnt lgkmcnt(0)
	v_mul_f64 v[165:166], v[4:5], v[12:13]
	v_mul_f64 v[12:13], v[6:7], v[12:13]
	ds_read_b128 v[0:3], v44 offset:688
	v_fma_f64 v[24:25], v[147:148], v[24:25], v[139:140]
	v_add_f64 v[141:142], v[137:138], v[141:142]
	v_add_f64 v[8:9], v[8:9], v[143:144]
	s_clause 0x2
	buffer_load_dword v163, off, s[0:3], 0 offset:332
	buffer_load_dword v144, off, s[0:3], 0 offset:308
	;; [unrolled: 1-line block ×3, first 2 shown]
	s_waitcnt vmcnt(58) lgkmcnt(0)
	v_mul_f64 v[147:148], v[0:1], v[16:17]
	v_mul_f64 v[16:17], v[2:3], v[16:17]
	s_waitcnt vmcnt(56)
	v_fma_f64 v[12:13], v[4:5], v[18:19], -v[12:13]
	ds_read_b128 v[137:140], v44 offset:704
	v_fma_f64 v[18:19], v[6:7], v[18:19], v[165:166]
	v_add_f64 v[141:142], v[141:142], v[145:146]
	v_add_f64 v[8:9], v[8:9], v[24:25]
	s_clause 0x4
	buffer_load_dword v25, off, s[0:3], 0 offset:348
	buffer_load_dword v145, off, s[0:3], 0 offset:360
	;; [unrolled: 1-line block ×5, first 2 shown]
	ds_read_b128 v[4:7], v44 offset:720
	s_waitcnt vmcnt(57) lgkmcnt(1)
	v_mul_f64 v[166:167], v[137:138], v[20:21]
	v_mul_f64 v[20:21], v[139:140], v[20:21]
	s_waitcnt vmcnt(56)
	v_fma_f64 v[16:17], v[0:1], v[10:11], -v[16:17]
	v_fma_f64 v[10:11], v[2:3], v[10:11], v[147:148]
	v_add_f64 v[12:13], v[141:142], v[12:13]
	v_add_f64 v[8:9], v[8:9], v[18:19]
	s_clause 0x2
	buffer_load_dword v146, off, s[0:3], 0 offset:364
	buffer_load_dword v19, off, s[0:3], 0 offset:340
	;; [unrolled: 1-line block ×3, first 2 shown]
	s_waitcnt vmcnt(58) lgkmcnt(0)
	v_mul_f64 v[141:142], v[4:5], v[26:27]
	v_mul_f64 v[26:27], v[6:7], v[26:27]
	s_waitcnt vmcnt(56)
	v_fma_f64 v[20:21], v[137:138], v[28:29], -v[20:21]
	ds_read_b128 v[0:3], v44 offset:736
	v_add_f64 v[12:13], v[12:13], v[16:17]
	v_fma_f64 v[16:17], v[139:140], v[28:29], v[166:167]
	v_add_f64 v[28:29], v[8:9], v[10:11]
	s_clause 0x4
	buffer_load_dword v138, off, s[0:3], 0 offset:380
	buffer_load_dword v139, off, s[0:3], 0 offset:392
	;; [unrolled: 1-line block ×5, first 2 shown]
	ds_read_b128 v[8:11], v44 offset:752
	s_waitcnt vmcnt(57) lgkmcnt(1)
	v_mul_f64 v[166:167], v[0:1], v[30:31]
	v_mul_f64 v[30:31], v[2:3], v[30:31]
	s_waitcnt vmcnt(56)
	v_fma_f64 v[26:27], v[4:5], v[14:15], -v[26:27]
	v_fma_f64 v[14:15], v[6:7], v[14:15], v[141:142]
	v_add_f64 v[12:13], v[12:13], v[20:21]
	s_clause 0x2
	buffer_load_dword v140, off, s[0:3], 0 offset:396
	buffer_load_dword v21, off, s[0:3], 0 offset:372
	;; [unrolled: 1-line block ×3, first 2 shown]
	v_add_f64 v[16:17], v[28:29], v[16:17]
	s_waitcnt vmcnt(58) lgkmcnt(0)
	v_mul_f64 v[28:29], v[8:9], v[34:35]
	v_mul_f64 v[34:35], v[10:11], v[34:35]
	ds_read_b128 v[4:7], v44 offset:768
	s_waitcnt vmcnt(56)
	v_fma_f64 v[30:31], v[0:1], v[36:37], -v[30:31]
	v_add_f64 v[12:13], v[12:13], v[26:27]
	v_fma_f64 v[26:27], v[2:3], v[36:37], v[166:167]
	v_add_f64 v[14:15], v[16:17], v[14:15]
	s_clause 0x4
	buffer_load_dword v17, off, s[0:3], 0 offset:412
	buffer_load_dword v36, off, s[0:3], 0 offset:424
	;; [unrolled: 1-line block ×5, first 2 shown]
	s_waitcnt vmcnt(57) lgkmcnt(0)
	v_mul_f64 v[166:167], v[4:5], v[38:39]
	v_mul_f64 v[38:39], v[6:7], v[38:39]
	s_waitcnt vmcnt(56)
	v_fma_f64 v[34:35], v[8:9], v[22:23], -v[34:35]
	ds_read_b128 v[0:3], v44 offset:784
	v_fma_f64 v[22:23], v[10:11], v[22:23], v[28:29]
	v_add_f64 v[12:13], v[12:13], v[30:31]
	v_add_f64 v[14:15], v[14:15], v[26:27]
	s_clause 0x2
	buffer_load_dword v37, off, s[0:3], 0 offset:428
	buffer_load_dword v27, off, s[0:3], 0 offset:404
	;; [unrolled: 1-line block ×3, first 2 shown]
	ds_read_b128 v[8:11], v44 offset:800
	s_waitcnt vmcnt(58) lgkmcnt(1)
	v_mul_f64 v[30:31], v[2:3], v[42:43]
	s_waitcnt vmcnt(56)
	v_fma_f64 v[38:39], v[4:5], v[121:122], -v[38:39]
	v_mul_f64 v[28:29], v[0:1], v[42:43]
	v_add_f64 v[12:13], v[12:13], v[34:35]
	v_fma_f64 v[34:35], v[6:7], v[121:122], v[166:167]
	v_add_f64 v[14:15], v[14:15], v[22:23]
	s_clause 0x4
	buffer_load_dword v23, off, s[0:3], 0 offset:444
	buffer_load_dword v42, off, s[0:3], 0 offset:456
	;; [unrolled: 1-line block ×5, first 2 shown]
	s_waitcnt vmcnt(57) lgkmcnt(0)
	v_mul_f64 v[166:167], v[8:9], v[123:124]
	v_mul_f64 v[122:123], v[10:11], v[123:124]
	s_waitcnt vmcnt(56)
	v_fma_f64 v[30:31], v[0:1], v[32:33], -v[30:31]
	ds_read_b128 v[4:7], v44 offset:816
	v_fma_f64 v[28:29], v[2:3], v[32:33], v[28:29]
	s_clause 0x2
	buffer_load_dword v43, off, s[0:3], 0 offset:460
	buffer_load_dword v33, off, s[0:3], 0 offset:436
	;; [unrolled: 1-line block ×3, first 2 shown]
	ds_read_b128 v[0:3], v44 offset:832
	v_add_f64 v[12:13], v[12:13], v[38:39]
	v_add_f64 v[14:15], v[14:15], v[34:35]
	s_waitcnt vmcnt(58) lgkmcnt(1)
	v_mul_f64 v[38:39], v[6:7], v[127:128]
	s_waitcnt vmcnt(56)
	v_fma_f64 v[123:124], v[8:9], v[129:130], -v[122:123]
	v_mul_f64 v[34:35], v[4:5], v[127:128]
	v_add_f64 v[12:13], v[12:13], v[30:31]
	v_fma_f64 v[30:31], v[10:11], v[129:130], v[166:167]
	v_add_f64 v[14:15], v[14:15], v[28:29]
	s_clause 0x4
	buffer_load_dword v29, off, s[0:3], 0 offset:476
	buffer_load_dword v127, off, s[0:3], 0 offset:488
	;; [unrolled: 1-line block ×5, first 2 shown]
	s_waitcnt vmcnt(57) lgkmcnt(0)
	v_mul_f64 v[166:167], v[0:1], v[131:132]
	v_mul_f64 v[130:131], v[2:3], v[131:132]
	s_waitcnt vmcnt(56)
	v_fma_f64 v[38:39], v[4:5], v[40:41], -v[38:39]
	ds_read_b128 v[8:11], v44 offset:848
	v_fma_f64 v[34:35], v[6:7], v[40:41], v[34:35]
	v_add_f64 v[12:13], v[12:13], v[123:124]
	v_add_f64 v[14:15], v[14:15], v[30:31]
	s_clause 0x2
	buffer_load_dword v128, off, s[0:3], 0 offset:492
	buffer_load_dword v31, off, s[0:3], 0 offset:468
	;; [unrolled: 1-line block ×3, first 2 shown]
	ds_read_b128 v[4:7], v44 offset:864
	s_waitcnt vmcnt(58) lgkmcnt(1)
	v_mul_f64 v[123:124], v[10:11], v[133:134]
	s_waitcnt vmcnt(56)
	v_fma_f64 v[131:132], v[0:1], v[135:136], -v[130:131]
	v_mul_f64 v[40:41], v[8:9], v[133:134]
	v_add_f64 v[12:13], v[12:13], v[38:39]
	v_fma_f64 v[38:39], v[2:3], v[135:136], v[166:167]
	v_add_f64 v[14:15], v[14:15], v[34:35]
	s_clause 0x4
	buffer_load_dword v35, off, s[0:3], 0 offset:508
	buffer_load_dword v133, off, s[0:3], 0 offset:520
	;; [unrolled: 1-line block ×5, first 2 shown]
	s_waitcnt vmcnt(57) lgkmcnt(0)
	v_mul_f64 v[166:167], v[4:5], v[151:152]
	v_mul_f64 v[151:152], v[6:7], v[151:152]
	s_waitcnt vmcnt(56)
	v_fma_f64 v[123:124], v[8:9], v[125:126], -v[123:124]
	ds_read_b128 v[0:3], v44 offset:880
	v_fma_f64 v[40:41], v[10:11], v[125:126], v[40:41]
	v_add_f64 v[12:13], v[12:13], v[131:132]
	v_add_f64 v[14:15], v[14:15], v[38:39]
	s_clause 0x2
	buffer_load_dword v134, off, s[0:3], 0 offset:524
	buffer_load_dword v39, off, s[0:3], 0 offset:500
	;; [unrolled: 1-line block ×3, first 2 shown]
	ds_read_b128 v[8:11], v44 offset:896
	s_waitcnt vmcnt(58) lgkmcnt(1)
	v_mul_f64 v[131:132], v[2:3], v[153:154]
	s_waitcnt vmcnt(56)
	v_fma_f64 v[151:152], v[4:5], v[158:159], -v[151:152]
	v_mul_f64 v[125:126], v[0:1], v[153:154]
	v_add_f64 v[12:13], v[12:13], v[123:124]
	v_fma_f64 v[123:124], v[6:7], v[158:159], v[166:167]
	v_add_f64 v[14:15], v[14:15], v[40:41]
	s_clause 0x4
	buffer_load_dword v41, off, s[0:3], 0 offset:540
	buffer_load_dword v153, off, s[0:3], 0 offset:552
	;; [unrolled: 1-line block ×5, first 2 shown]
	ds_read_b128 v[4:7], v44 offset:912
	s_waitcnt vmcnt(57) lgkmcnt(1)
	v_mul_f64 v[158:159], v[8:9], v[149:150]
	v_mul_f64 v[149:150], v[10:11], v[149:150]
	s_waitcnt vmcnt(56)
	v_fma_f64 v[131:132], v[0:1], v[155:156], -v[131:132]
	v_fma_f64 v[125:126], v[2:3], v[155:156], v[125:126]
	v_add_f64 v[12:13], v[12:13], v[151:152]
	v_add_f64 v[14:15], v[14:15], v[123:124]
	s_clause 0x2
	buffer_load_dword v154, off, s[0:3], 0 offset:556
	buffer_load_dword v124, off, s[0:3], 0 offset:532
	;; [unrolled: 1-line block ×3, first 2 shown]
	ds_read_b128 v[0:3], v44 offset:928
	s_waitcnt vmcnt(58) lgkmcnt(1)
	v_mul_f64 v[155:156], v[6:7], v[162:163]
	v_mul_f64 v[151:152], v[4:5], v[162:163]
	s_waitcnt vmcnt(56)
	v_fma_f64 v[149:150], v[8:9], v[143:144], -v[149:150]
	v_add_f64 v[12:13], v[12:13], v[131:132]
	v_fma_f64 v[131:132], v[10:11], v[143:144], v[158:159]
	v_add_f64 v[14:15], v[14:15], v[125:126]
	s_clause 0x4
	buffer_load_dword v126, off, s[0:3], 0 offset:572
	buffer_load_dword v143, off, s[0:3], 0 offset:584
	;; [unrolled: 1-line block ×5, first 2 shown]
	ds_read_b128 v[8:11], v44 offset:944
	s_waitcnt vmcnt(57) lgkmcnt(1)
	v_mul_f64 v[166:167], v[0:1], v[24:25]
	v_mul_f64 v[24:25], v[2:3], v[24:25]
	s_waitcnt vmcnt(56)
	v_fma_f64 v[155:156], v[4:5], v[164:165], -v[155:156]
	v_add_f64 v[12:13], v[12:13], v[149:150]
	v_fma_f64 v[149:150], v[6:7], v[164:165], v[151:152]
	v_add_f64 v[14:15], v[14:15], v[131:132]
	s_clause 0x2
	buffer_load_dword v144, off, s[0:3], 0 offset:588
	buffer_load_dword v132, off, s[0:3], 0 offset:564
	;; [unrolled: 1-line block ×3, first 2 shown]
	ds_read_b128 v[4:7], v44 offset:960
	s_waitcnt vmcnt(58) lgkmcnt(1)
	v_mul_f64 v[151:152], v[8:9], v[145:146]
	v_mul_f64 v[145:146], v[10:11], v[145:146]
	s_waitcnt vmcnt(56)
	v_fma_f64 v[24:25], v[0:1], v[18:19], -v[24:25]
	v_fma_f64 v[18:19], v[2:3], v[18:19], v[166:167]
	v_add_f64 v[12:13], v[12:13], v[155:156]
	v_add_f64 v[14:15], v[14:15], v[149:150]
	s_clause 0x4
	buffer_load_dword v150, off, s[0:3], 0 offset:604
	buffer_load_dword v155, off, s[0:3], 0 offset:616
	;; [unrolled: 1-line block ×5, first 2 shown]
	ds_read_b128 v[0:3], v44 offset:976
	s_waitcnt vmcnt(57) lgkmcnt(1)
	v_mul_f64 v[164:165], v[4:5], v[137:138]
	v_mul_f64 v[137:138], v[6:7], v[137:138]
	s_waitcnt vmcnt(56)
	v_fma_f64 v[145:146], v[8:9], v[160:161], -v[145:146]
	v_add_f64 v[12:13], v[12:13], v[24:25]
	v_fma_f64 v[24:25], v[10:11], v[160:161], v[151:152]
	v_add_f64 v[14:15], v[14:15], v[18:19]
	s_clause 0x2
	buffer_load_dword v156, off, s[0:3], 0 offset:620
	buffer_load_dword v19, off, s[0:3], 0 offset:596
	;; [unrolled: 1-line block ×3, first 2 shown]
	ds_read_b128 v[8:11], v44 offset:992
	buffer_load_dword v160, off, s[0:3], 0 offset:612
	s_waitcnt vmcnt(59) lgkmcnt(1)
	v_mul_f64 v[151:152], v[0:1], v[139:140]
	v_mul_f64 v[139:140], v[2:3], v[139:140]
	s_waitcnt vmcnt(57)
	v_fma_f64 v[137:138], v[4:5], v[20:21], -v[137:138]
	v_fma_f64 v[20:21], v[6:7], v[20:21], v[164:165]
	ds_read_b128 v[4:7], v44 offset:1008
	v_add_f64 v[12:13], v[12:13], v[145:146]
	v_add_f64 v[14:15], v[14:15], v[24:25]
	s_waitcnt vmcnt(53) lgkmcnt(1)
	v_mul_f64 v[24:25], v[8:9], v[16:17]
	v_mul_f64 v[16:17], v[10:11], v[16:17]
	s_waitcnt vmcnt(52)
	v_fma_f64 v[139:140], v[0:1], v[147:148], -v[139:140]
	v_add_f64 v[12:13], v[12:13], v[137:138]
	v_fma_f64 v[137:138], v[2:3], v[147:148], v[151:152]
	v_add_f64 v[14:15], v[14:15], v[20:21]
	ds_read_b128 v[0:3], v44 offset:1024
	s_waitcnt vmcnt(51) lgkmcnt(1)
	v_mul_f64 v[20:21], v[4:5], v[36:37]
	v_mul_f64 v[36:37], v[6:7], v[36:37]
	s_waitcnt vmcnt(49)
	v_fma_f64 v[16:17], v[8:9], v[26:27], -v[16:17]
	v_fma_f64 v[24:25], v[10:11], v[26:27], v[24:25]
	v_add_f64 v[12:13], v[12:13], v[139:140]
	v_add_f64 v[14:15], v[14:15], v[137:138]
	s_clause 0x3
	buffer_load_dword v26, off, s[0:3], 0 offset:16
	buffer_load_dword v27, off, s[0:3], 0 offset:20
	;; [unrolled: 1-line block ×4, first 2 shown]
	ds_read_b128 v[8:11], v44 offset:1040
	s_waitcnt vmcnt(49) lgkmcnt(1)
	v_mul_f64 v[139:140], v[0:1], v[22:23]
	v_mul_f64 v[22:23], v[2:3], v[22:23]
	s_waitcnt vmcnt(48)
	v_fma_f64 v[36:37], v[4:5], v[141:142], -v[36:37]
	v_add_f64 v[12:13], v[12:13], v[16:17]
	v_fma_f64 v[16:17], v[6:7], v[141:142], v[20:21]
	v_add_f64 v[14:15], v[14:15], v[24:25]
	ds_read_b128 v[4:7], v44 offset:1056
	s_waitcnt vmcnt(47) lgkmcnt(1)
	v_mul_f64 v[24:25], v[10:11], v[42:43]
	v_mul_f64 v[20:21], v[8:9], v[42:43]
	s_waitcnt vmcnt(45)
	v_fma_f64 v[22:23], v[0:1], v[32:33], -v[22:23]
	v_fma_f64 v[32:33], v[2:3], v[32:33], v[139:140]
	ds_read_b128 v[0:3], v44 offset:1072
	v_add_f64 v[12:13], v[12:13], v[36:37]
	v_add_f64 v[14:15], v[14:15], v[16:17]
	s_waitcnt vmcnt(41) lgkmcnt(1)
	v_mul_f64 v[16:17], v[4:5], v[28:29]
	v_mul_f64 v[28:29], v[6:7], v[28:29]
	s_waitcnt vmcnt(40)
	v_fma_f64 v[24:25], v[8:9], v[121:122], -v[24:25]
	v_fma_f64 v[20:21], v[10:11], v[121:122], v[20:21]
	ds_read_b128 v[8:11], v44 offset:1088
	v_add_f64 v[12:13], v[12:13], v[22:23]
	v_add_f64 v[14:15], v[14:15], v[32:33]
	;; [unrolled: 9-line block ×3, first 2 shown]
	s_waitcnt vmcnt(33) lgkmcnt(1)
	v_mul_f64 v[24:25], v[10:11], v[34:35]
	s_waitcnt vmcnt(32)
	v_fma_f64 v[30:31], v[0:1], v[129:130], -v[32:33]
	v_mul_f64 v[20:21], v[8:9], v[34:35]
	v_fma_f64 v[22:23], v[2:3], v[129:130], v[22:23]
	ds_read_b128 v[0:3], v44 offset:1120
	v_add_f64 v[12:13], v[12:13], v[28:29]
	v_add_f64 v[14:15], v[14:15], v[16:17]
	s_waitcnt vmcnt(31) lgkmcnt(1)
	v_mul_f64 v[28:29], v[6:7], v[133:134]
	v_mul_f64 v[16:17], v[4:5], v[133:134]
	s_waitcnt vmcnt(29)
	v_fma_f64 v[24:25], v[8:9], v[38:39], -v[24:25]
	v_fma_f64 v[20:21], v[10:11], v[38:39], v[20:21]
	ds_read_b128 v[8:11], v44 offset:1136
	v_add_f64 v[12:13], v[12:13], v[30:31]
	v_add_f64 v[14:15], v[14:15], v[22:23]
	s_waitcnt vmcnt(25) lgkmcnt(1)
	v_mul_f64 v[30:31], v[2:3], v[40:41]
	s_waitcnt vmcnt(24)
	v_fma_f64 v[28:29], v[4:5], v[135:136], -v[28:29]
	v_mul_f64 v[22:23], v[0:1], v[40:41]
	v_fma_f64 v[16:17], v[6:7], v[135:136], v[16:17]
	ds_read_b128 v[4:7], v44 offset:1152
	v_add_f64 v[12:13], v[12:13], v[24:25]
	v_add_f64 v[14:15], v[14:15], v[20:21]
	s_waitcnt vmcnt(23) lgkmcnt(1)
	v_mul_f64 v[24:25], v[10:11], v[153:154]
	v_mul_f64 v[20:21], v[8:9], v[153:154]
	s_waitcnt vmcnt(21)
	v_fma_f64 v[30:31], v[0:1], v[123:124], -v[30:31]
	v_fma_f64 v[22:23], v[2:3], v[123:124], v[22:23]
	ds_read_b128 v[0:3], v44 offset:1168
	v_add_f64 v[12:13], v[12:13], v[28:29]
	v_add_f64 v[14:15], v[14:15], v[16:17]
	;; [unrolled: 18-line block ×3, first 2 shown]
	s_waitcnt vmcnt(9) lgkmcnt(1)
	v_mul_f64 v[24:25], v[10:11], v[149:150]
	s_waitcnt vmcnt(8)
	v_fma_f64 v[0:1], v[0:1], v[162:163], -v[30:31]
	v_mul_f64 v[20:21], v[8:9], v[149:150]
	v_fma_f64 v[2:3], v[2:3], v[162:163], v[22:23]
	v_add_f64 v[12:13], v[12:13], v[28:29]
	v_add_f64 v[14:15], v[14:15], v[16:17]
	s_waitcnt vmcnt(7) lgkmcnt(0)
	v_mul_f64 v[22:23], v[6:7], v[155:156]
	v_mul_f64 v[16:17], v[4:5], v[155:156]
	s_waitcnt vmcnt(5)
	v_fma_f64 v[8:9], v[8:9], v[18:19], -v[24:25]
	v_fma_f64 v[10:11], v[10:11], v[18:19], v[20:21]
	v_add_f64 v[0:1], v[12:13], v[0:1]
	v_add_f64 v[2:3], v[14:15], v[2:3]
	s_waitcnt vmcnt(4)
	v_fma_f64 v[4:5], v[4:5], v[159:160], -v[22:23]
	v_fma_f64 v[6:7], v[6:7], v[159:160], v[16:17]
	v_add_f64 v[0:1], v[0:1], v[8:9]
	v_add_f64 v[2:3], v[2:3], v[10:11]
	;; [unrolled: 1-line block ×4, first 2 shown]
	s_waitcnt vmcnt(2)
	v_add_f64 v[0:1], v[26:27], -v[0:1]
	s_waitcnt vmcnt(0)
	v_add_f64 v[2:3], v[137:138], -v[2:3]
	buffer_store_dword v1, off, s[0:3], 0 offset:20
	buffer_store_dword v0, off, s[0:3], 0 offset:16
	;; [unrolled: 1-line block ×4, first 2 shown]
	s_cbranch_vccz .LBB37_316
; %bb.242:
	global_load_dword v0, v44, s[20:21] offset:144
	s_waitcnt vmcnt(0)
	v_add_nc_u32_e32 v0, -1, v0
	v_cmp_ne_u32_e32 vcc_lo, 36, v0
	s_cbranch_vccz .LBB37_244
; %bb.243:
	v_lshlrev_b32_e32 v0, 4, v0
	v_mov_b32_e32 v1, s24
	v_add_nc_u32_e32 v0, 16, v0
	s_clause 0x7
	buffer_load_dword v2, v0, s[0:3], 0 offen
	buffer_load_dword v3, v0, s[0:3], 0 offen offset:4
	buffer_load_dword v4, v0, s[0:3], 0 offen offset:8
	;; [unrolled: 1-line block ×6, first 2 shown]
	buffer_load_dword v9, v1, s[0:3], 0 offen
	s_waitcnt vmcnt(7)
	buffer_store_dword v2, v1, s[0:3], 0 offen
	s_waitcnt vmcnt(6)
	buffer_store_dword v3, v1, s[0:3], 0 offen offset:4
	s_waitcnt vmcnt(5)
	buffer_store_dword v4, v1, s[0:3], 0 offen offset:8
	;; [unrolled: 2-line block ×6, first 2 shown]
	s_waitcnt vmcnt(0)
	buffer_store_dword v9, v0, s[0:3], 0 offen
.LBB37_244:
	v_mov_b32_e32 v0, 0
	global_load_dword v1, v0, s[20:21] offset:140
	s_waitcnt vmcnt(0)
	v_add_nc_u32_e32 v1, -1, v1
	v_cmp_eq_u32_e32 vcc_lo, 35, v1
	s_cbranch_vccnz .LBB37_246
; %bb.245:
	v_lshlrev_b32_e32 v1, 4, v1
	v_mov_b32_e32 v2, s8
	v_add_nc_u32_e32 v1, 16, v1
	s_clause 0x7
	buffer_load_dword v3, v1, s[0:3], 0 offen
	buffer_load_dword v4, v1, s[0:3], 0 offen offset:4
	buffer_load_dword v5, v1, s[0:3], 0 offen offset:8
	;; [unrolled: 1-line block ×6, first 2 shown]
	buffer_load_dword v10, v2, s[0:3], 0 offen
	s_waitcnt vmcnt(7)
	buffer_store_dword v3, v2, s[0:3], 0 offen
	s_waitcnt vmcnt(6)
	buffer_store_dword v4, v2, s[0:3], 0 offen offset:4
	s_waitcnt vmcnt(5)
	buffer_store_dword v5, v2, s[0:3], 0 offen offset:8
	;; [unrolled: 2-line block ×6, first 2 shown]
	s_waitcnt vmcnt(0)
	buffer_store_dword v10, v1, s[0:3], 0 offen
.LBB37_246:
	global_load_dword v0, v0, s[20:21] offset:136
	s_waitcnt vmcnt(0)
	v_add_nc_u32_e32 v0, -1, v0
	v_cmp_eq_u32_e32 vcc_lo, 34, v0
	s_cbranch_vccnz .LBB37_248
; %bb.247:
	v_lshlrev_b32_e32 v0, 4, v0
	v_mov_b32_e32 v1, s9
	v_add_nc_u32_e32 v0, 16, v0
	s_clause 0x7
	buffer_load_dword v2, v0, s[0:3], 0 offen
	buffer_load_dword v3, v0, s[0:3], 0 offen offset:4
	buffer_load_dword v4, v0, s[0:3], 0 offen offset:8
	;; [unrolled: 1-line block ×6, first 2 shown]
	buffer_load_dword v9, v1, s[0:3], 0 offen
	s_waitcnt vmcnt(7)
	buffer_store_dword v2, v1, s[0:3], 0 offen
	s_waitcnt vmcnt(6)
	buffer_store_dword v3, v1, s[0:3], 0 offen offset:4
	s_waitcnt vmcnt(5)
	buffer_store_dword v4, v1, s[0:3], 0 offen offset:8
	;; [unrolled: 2-line block ×6, first 2 shown]
	s_waitcnt vmcnt(0)
	buffer_store_dword v9, v0, s[0:3], 0 offen
.LBB37_248:
	v_mov_b32_e32 v0, 0
	global_load_dword v1, v0, s[20:21] offset:132
	s_waitcnt vmcnt(0)
	v_add_nc_u32_e32 v1, -1, v1
	v_cmp_eq_u32_e32 vcc_lo, 33, v1
	s_cbranch_vccnz .LBB37_250
; %bb.249:
	v_lshlrev_b32_e32 v1, 4, v1
	v_mov_b32_e32 v2, s12
	v_add_nc_u32_e32 v1, 16, v1
	s_clause 0x7
	buffer_load_dword v3, v1, s[0:3], 0 offen
	buffer_load_dword v4, v1, s[0:3], 0 offen offset:4
	buffer_load_dword v5, v1, s[0:3], 0 offen offset:8
	;; [unrolled: 1-line block ×6, first 2 shown]
	buffer_load_dword v10, v2, s[0:3], 0 offen
	s_waitcnt vmcnt(7)
	buffer_store_dword v3, v2, s[0:3], 0 offen
	s_waitcnt vmcnt(6)
	buffer_store_dword v4, v2, s[0:3], 0 offen offset:4
	s_waitcnt vmcnt(5)
	buffer_store_dword v5, v2, s[0:3], 0 offen offset:8
	;; [unrolled: 2-line block ×6, first 2 shown]
	s_waitcnt vmcnt(0)
	buffer_store_dword v10, v1, s[0:3], 0 offen
.LBB37_250:
	global_load_dword v0, v0, s[20:21] offset:128
	s_waitcnt vmcnt(0)
	v_add_nc_u32_e32 v0, -1, v0
	v_cmp_eq_u32_e32 vcc_lo, 32, v0
	s_cbranch_vccnz .LBB37_252
; %bb.251:
	v_lshlrev_b32_e32 v0, 4, v0
	v_mov_b32_e32 v1, s13
	v_add_nc_u32_e32 v0, 16, v0
	s_clause 0x7
	buffer_load_dword v2, v0, s[0:3], 0 offen
	buffer_load_dword v3, v0, s[0:3], 0 offen offset:4
	buffer_load_dword v4, v0, s[0:3], 0 offen offset:8
	;; [unrolled: 1-line block ×6, first 2 shown]
	buffer_load_dword v9, v1, s[0:3], 0 offen
	s_waitcnt vmcnt(7)
	buffer_store_dword v2, v1, s[0:3], 0 offen
	s_waitcnt vmcnt(6)
	buffer_store_dword v3, v1, s[0:3], 0 offen offset:4
	s_waitcnt vmcnt(5)
	buffer_store_dword v4, v1, s[0:3], 0 offen offset:8
	;; [unrolled: 2-line block ×6, first 2 shown]
	s_waitcnt vmcnt(0)
	buffer_store_dword v9, v0, s[0:3], 0 offen
.LBB37_252:
	v_mov_b32_e32 v0, 0
	global_load_dword v1, v0, s[20:21] offset:124
	s_waitcnt vmcnt(0)
	v_add_nc_u32_e32 v1, -1, v1
	v_cmp_eq_u32_e32 vcc_lo, 31, v1
	s_cbranch_vccnz .LBB37_254
; %bb.253:
	v_lshlrev_b32_e32 v1, 4, v1
	v_mov_b32_e32 v2, s14
	v_add_nc_u32_e32 v1, 16, v1
	s_clause 0x7
	buffer_load_dword v3, v1, s[0:3], 0 offen
	buffer_load_dword v4, v1, s[0:3], 0 offen offset:4
	buffer_load_dword v5, v1, s[0:3], 0 offen offset:8
	;; [unrolled: 1-line block ×6, first 2 shown]
	buffer_load_dword v10, v2, s[0:3], 0 offen
	s_waitcnt vmcnt(7)
	buffer_store_dword v3, v2, s[0:3], 0 offen
	s_waitcnt vmcnt(6)
	buffer_store_dword v4, v2, s[0:3], 0 offen offset:4
	s_waitcnt vmcnt(5)
	buffer_store_dword v5, v2, s[0:3], 0 offen offset:8
	;; [unrolled: 2-line block ×6, first 2 shown]
	s_waitcnt vmcnt(0)
	buffer_store_dword v10, v1, s[0:3], 0 offen
.LBB37_254:
	global_load_dword v0, v0, s[20:21] offset:120
	s_waitcnt vmcnt(0)
	v_add_nc_u32_e32 v0, -1, v0
	v_cmp_eq_u32_e32 vcc_lo, 30, v0
	s_cbranch_vccnz .LBB37_256
; %bb.255:
	v_lshlrev_b32_e32 v0, 4, v0
	v_mov_b32_e32 v1, s15
	v_add_nc_u32_e32 v0, 16, v0
	s_clause 0x7
	buffer_load_dword v2, v0, s[0:3], 0 offen
	buffer_load_dword v3, v0, s[0:3], 0 offen offset:4
	buffer_load_dword v4, v0, s[0:3], 0 offen offset:8
	;; [unrolled: 1-line block ×6, first 2 shown]
	buffer_load_dword v9, v1, s[0:3], 0 offen
	s_waitcnt vmcnt(7)
	buffer_store_dword v2, v1, s[0:3], 0 offen
	s_waitcnt vmcnt(6)
	buffer_store_dword v3, v1, s[0:3], 0 offen offset:4
	s_waitcnt vmcnt(5)
	buffer_store_dword v4, v1, s[0:3], 0 offen offset:8
	;; [unrolled: 2-line block ×6, first 2 shown]
	s_waitcnt vmcnt(0)
	buffer_store_dword v9, v0, s[0:3], 0 offen
.LBB37_256:
	v_mov_b32_e32 v0, 0
	global_load_dword v1, v0, s[20:21] offset:116
	s_waitcnt vmcnt(0)
	v_add_nc_u32_e32 v1, -1, v1
	v_cmp_eq_u32_e32 vcc_lo, 29, v1
	s_cbranch_vccnz .LBB37_258
; %bb.257:
	v_lshlrev_b32_e32 v1, 4, v1
	v_mov_b32_e32 v2, s16
	v_add_nc_u32_e32 v1, 16, v1
	s_clause 0x7
	buffer_load_dword v3, v1, s[0:3], 0 offen
	buffer_load_dword v4, v1, s[0:3], 0 offen offset:4
	buffer_load_dword v5, v1, s[0:3], 0 offen offset:8
	;; [unrolled: 1-line block ×6, first 2 shown]
	buffer_load_dword v10, v2, s[0:3], 0 offen
	s_waitcnt vmcnt(7)
	buffer_store_dword v3, v2, s[0:3], 0 offen
	s_waitcnt vmcnt(6)
	buffer_store_dword v4, v2, s[0:3], 0 offen offset:4
	s_waitcnt vmcnt(5)
	buffer_store_dword v5, v2, s[0:3], 0 offen offset:8
	s_waitcnt vmcnt(4)
	buffer_store_dword v6, v2, s[0:3], 0 offen offset:12
	s_waitcnt vmcnt(3)
	buffer_store_dword v7, v1, s[0:3], 0 offen offset:12
	s_waitcnt vmcnt(2)
	buffer_store_dword v8, v1, s[0:3], 0 offen offset:8
	s_waitcnt vmcnt(1)
	buffer_store_dword v9, v1, s[0:3], 0 offen offset:4
	s_waitcnt vmcnt(0)
	buffer_store_dword v10, v1, s[0:3], 0 offen
.LBB37_258:
	global_load_dword v0, v0, s[20:21] offset:112
	s_waitcnt vmcnt(0)
	v_add_nc_u32_e32 v0, -1, v0
	v_cmp_eq_u32_e32 vcc_lo, 28, v0
	s_cbranch_vccnz .LBB37_260
; %bb.259:
	v_lshlrev_b32_e32 v0, 4, v0
	v_mov_b32_e32 v1, s17
	v_add_nc_u32_e32 v0, 16, v0
	s_clause 0x7
	buffer_load_dword v2, v0, s[0:3], 0 offen
	buffer_load_dword v3, v0, s[0:3], 0 offen offset:4
	buffer_load_dword v4, v0, s[0:3], 0 offen offset:8
	;; [unrolled: 1-line block ×6, first 2 shown]
	buffer_load_dword v9, v1, s[0:3], 0 offen
	s_waitcnt vmcnt(7)
	buffer_store_dword v2, v1, s[0:3], 0 offen
	s_waitcnt vmcnt(6)
	buffer_store_dword v3, v1, s[0:3], 0 offen offset:4
	s_waitcnt vmcnt(5)
	buffer_store_dword v4, v1, s[0:3], 0 offen offset:8
	;; [unrolled: 2-line block ×6, first 2 shown]
	s_waitcnt vmcnt(0)
	buffer_store_dword v9, v0, s[0:3], 0 offen
.LBB37_260:
	v_mov_b32_e32 v0, 0
	global_load_dword v1, v0, s[20:21] offset:108
	s_waitcnt vmcnt(0)
	v_add_nc_u32_e32 v1, -1, v1
	v_cmp_eq_u32_e32 vcc_lo, 27, v1
	s_cbranch_vccnz .LBB37_262
; %bb.261:
	v_lshlrev_b32_e32 v1, 4, v1
	v_mov_b32_e32 v2, s18
	v_add_nc_u32_e32 v1, 16, v1
	s_clause 0x7
	buffer_load_dword v3, v1, s[0:3], 0 offen
	buffer_load_dword v4, v1, s[0:3], 0 offen offset:4
	buffer_load_dword v5, v1, s[0:3], 0 offen offset:8
	;; [unrolled: 1-line block ×6, first 2 shown]
	buffer_load_dword v10, v2, s[0:3], 0 offen
	s_waitcnt vmcnt(7)
	buffer_store_dword v3, v2, s[0:3], 0 offen
	s_waitcnt vmcnt(6)
	buffer_store_dword v4, v2, s[0:3], 0 offen offset:4
	s_waitcnt vmcnt(5)
	buffer_store_dword v5, v2, s[0:3], 0 offen offset:8
	;; [unrolled: 2-line block ×6, first 2 shown]
	s_waitcnt vmcnt(0)
	buffer_store_dword v10, v1, s[0:3], 0 offen
.LBB37_262:
	global_load_dword v0, v0, s[20:21] offset:104
	s_waitcnt vmcnt(0)
	v_add_nc_u32_e32 v0, -1, v0
	v_cmp_eq_u32_e32 vcc_lo, 26, v0
	s_cbranch_vccnz .LBB37_264
; %bb.263:
	v_lshlrev_b32_e32 v0, 4, v0
	v_mov_b32_e32 v1, s19
	v_add_nc_u32_e32 v0, 16, v0
	s_clause 0x7
	buffer_load_dword v2, v0, s[0:3], 0 offen
	buffer_load_dword v3, v0, s[0:3], 0 offen offset:4
	buffer_load_dword v4, v0, s[0:3], 0 offen offset:8
	;; [unrolled: 1-line block ×6, first 2 shown]
	buffer_load_dword v9, v1, s[0:3], 0 offen
	s_waitcnt vmcnt(7)
	buffer_store_dword v2, v1, s[0:3], 0 offen
	s_waitcnt vmcnt(6)
	buffer_store_dword v3, v1, s[0:3], 0 offen offset:4
	s_waitcnt vmcnt(5)
	buffer_store_dword v4, v1, s[0:3], 0 offen offset:8
	s_waitcnt vmcnt(4)
	buffer_store_dword v5, v1, s[0:3], 0 offen offset:12
	s_waitcnt vmcnt(3)
	buffer_store_dword v6, v0, s[0:3], 0 offen offset:12
	s_waitcnt vmcnt(2)
	buffer_store_dword v7, v0, s[0:3], 0 offen offset:8
	s_waitcnt vmcnt(1)
	buffer_store_dword v8, v0, s[0:3], 0 offen offset:4
	s_waitcnt vmcnt(0)
	buffer_store_dword v9, v0, s[0:3], 0 offen
.LBB37_264:
	v_mov_b32_e32 v0, 0
	global_load_dword v1, v0, s[20:21] offset:100
	s_waitcnt vmcnt(0)
	v_add_nc_u32_e32 v1, -1, v1
	v_cmp_eq_u32_e32 vcc_lo, 25, v1
	s_cbranch_vccnz .LBB37_266
; %bb.265:
	v_lshlrev_b32_e32 v1, 4, v1
	v_mov_b32_e32 v2, s23
	v_add_nc_u32_e32 v1, 16, v1
	s_clause 0x7
	buffer_load_dword v3, v1, s[0:3], 0 offen
	buffer_load_dword v4, v1, s[0:3], 0 offen offset:4
	buffer_load_dword v5, v1, s[0:3], 0 offen offset:8
	;; [unrolled: 1-line block ×6, first 2 shown]
	buffer_load_dword v10, v2, s[0:3], 0 offen
	s_waitcnt vmcnt(7)
	buffer_store_dword v3, v2, s[0:3], 0 offen
	s_waitcnt vmcnt(6)
	buffer_store_dword v4, v2, s[0:3], 0 offen offset:4
	s_waitcnt vmcnt(5)
	buffer_store_dword v5, v2, s[0:3], 0 offen offset:8
	;; [unrolled: 2-line block ×6, first 2 shown]
	s_waitcnt vmcnt(0)
	buffer_store_dword v10, v1, s[0:3], 0 offen
.LBB37_266:
	global_load_dword v0, v0, s[20:21] offset:96
	s_waitcnt vmcnt(0)
	v_add_nc_u32_e32 v0, -1, v0
	v_cmp_eq_u32_e32 vcc_lo, 24, v0
	s_cbranch_vccnz .LBB37_268
; %bb.267:
	v_lshlrev_b32_e32 v0, 4, v0
	v_mov_b32_e32 v1, s25
	v_add_nc_u32_e32 v0, 16, v0
	s_clause 0x7
	buffer_load_dword v2, v0, s[0:3], 0 offen
	buffer_load_dword v3, v0, s[0:3], 0 offen offset:4
	buffer_load_dword v4, v0, s[0:3], 0 offen offset:8
	;; [unrolled: 1-line block ×6, first 2 shown]
	buffer_load_dword v9, v1, s[0:3], 0 offen
	s_waitcnt vmcnt(7)
	buffer_store_dword v2, v1, s[0:3], 0 offen
	s_waitcnt vmcnt(6)
	buffer_store_dword v3, v1, s[0:3], 0 offen offset:4
	s_waitcnt vmcnt(5)
	buffer_store_dword v4, v1, s[0:3], 0 offen offset:8
	;; [unrolled: 2-line block ×6, first 2 shown]
	s_waitcnt vmcnt(0)
	buffer_store_dword v9, v0, s[0:3], 0 offen
.LBB37_268:
	v_mov_b32_e32 v0, 0
	global_load_dword v1, v0, s[20:21] offset:92
	s_waitcnt vmcnt(0)
	v_add_nc_u32_e32 v1, -1, v1
	v_cmp_eq_u32_e32 vcc_lo, 23, v1
	s_cbranch_vccnz .LBB37_270
; %bb.269:
	v_lshlrev_b32_e32 v1, 4, v1
	v_mov_b32_e32 v2, s26
	v_add_nc_u32_e32 v1, 16, v1
	s_clause 0x7
	buffer_load_dword v3, v1, s[0:3], 0 offen
	buffer_load_dword v4, v1, s[0:3], 0 offen offset:4
	buffer_load_dword v5, v1, s[0:3], 0 offen offset:8
	;; [unrolled: 1-line block ×6, first 2 shown]
	buffer_load_dword v10, v2, s[0:3], 0 offen
	s_waitcnt vmcnt(7)
	buffer_store_dword v3, v2, s[0:3], 0 offen
	s_waitcnt vmcnt(6)
	buffer_store_dword v4, v2, s[0:3], 0 offen offset:4
	s_waitcnt vmcnt(5)
	buffer_store_dword v5, v2, s[0:3], 0 offen offset:8
	;; [unrolled: 2-line block ×6, first 2 shown]
	s_waitcnt vmcnt(0)
	buffer_store_dword v10, v1, s[0:3], 0 offen
.LBB37_270:
	global_load_dword v0, v0, s[20:21] offset:88
	s_waitcnt vmcnt(0)
	v_add_nc_u32_e32 v0, -1, v0
	v_cmp_eq_u32_e32 vcc_lo, 22, v0
	s_cbranch_vccnz .LBB37_272
; %bb.271:
	v_lshlrev_b32_e32 v0, 4, v0
	v_mov_b32_e32 v1, s27
	v_add_nc_u32_e32 v0, 16, v0
	s_clause 0x7
	buffer_load_dword v2, v0, s[0:3], 0 offen
	buffer_load_dword v3, v0, s[0:3], 0 offen offset:4
	buffer_load_dword v4, v0, s[0:3], 0 offen offset:8
	buffer_load_dword v5, v0, s[0:3], 0 offen offset:12
	buffer_load_dword v6, v1, s[0:3], 0 offen offset:12
	buffer_load_dword v7, v1, s[0:3], 0 offen offset:8
	buffer_load_dword v8, v1, s[0:3], 0 offen offset:4
	buffer_load_dword v9, v1, s[0:3], 0 offen
	s_waitcnt vmcnt(7)
	buffer_store_dword v2, v1, s[0:3], 0 offen
	s_waitcnt vmcnt(6)
	buffer_store_dword v3, v1, s[0:3], 0 offen offset:4
	s_waitcnt vmcnt(5)
	buffer_store_dword v4, v1, s[0:3], 0 offen offset:8
	;; [unrolled: 2-line block ×6, first 2 shown]
	s_waitcnt vmcnt(0)
	buffer_store_dword v9, v0, s[0:3], 0 offen
.LBB37_272:
	v_mov_b32_e32 v0, 0
	global_load_dword v1, v0, s[20:21] offset:84
	s_waitcnt vmcnt(0)
	v_add_nc_u32_e32 v1, -1, v1
	v_cmp_eq_u32_e32 vcc_lo, 21, v1
	s_cbranch_vccnz .LBB37_274
; %bb.273:
	v_lshlrev_b32_e32 v1, 4, v1
	v_mov_b32_e32 v2, s28
	v_add_nc_u32_e32 v1, 16, v1
	s_clause 0x7
	buffer_load_dword v3, v1, s[0:3], 0 offen
	buffer_load_dword v4, v1, s[0:3], 0 offen offset:4
	buffer_load_dword v5, v1, s[0:3], 0 offen offset:8
	;; [unrolled: 1-line block ×6, first 2 shown]
	buffer_load_dword v10, v2, s[0:3], 0 offen
	s_waitcnt vmcnt(7)
	buffer_store_dword v3, v2, s[0:3], 0 offen
	s_waitcnt vmcnt(6)
	buffer_store_dword v4, v2, s[0:3], 0 offen offset:4
	s_waitcnt vmcnt(5)
	buffer_store_dword v5, v2, s[0:3], 0 offen offset:8
	;; [unrolled: 2-line block ×6, first 2 shown]
	s_waitcnt vmcnt(0)
	buffer_store_dword v10, v1, s[0:3], 0 offen
.LBB37_274:
	global_load_dword v0, v0, s[20:21] offset:80
	s_waitcnt vmcnt(0)
	v_add_nc_u32_e32 v0, -1, v0
	v_cmp_eq_u32_e32 vcc_lo, 20, v0
	s_cbranch_vccnz .LBB37_276
; %bb.275:
	v_lshlrev_b32_e32 v0, 4, v0
	v_mov_b32_e32 v1, s29
	v_add_nc_u32_e32 v0, 16, v0
	s_clause 0x7
	buffer_load_dword v2, v0, s[0:3], 0 offen
	buffer_load_dword v3, v0, s[0:3], 0 offen offset:4
	buffer_load_dword v4, v0, s[0:3], 0 offen offset:8
	;; [unrolled: 1-line block ×6, first 2 shown]
	buffer_load_dword v9, v1, s[0:3], 0 offen
	s_waitcnt vmcnt(7)
	buffer_store_dword v2, v1, s[0:3], 0 offen
	s_waitcnt vmcnt(6)
	buffer_store_dword v3, v1, s[0:3], 0 offen offset:4
	s_waitcnt vmcnt(5)
	buffer_store_dword v4, v1, s[0:3], 0 offen offset:8
	;; [unrolled: 2-line block ×6, first 2 shown]
	s_waitcnt vmcnt(0)
	buffer_store_dword v9, v0, s[0:3], 0 offen
.LBB37_276:
	v_mov_b32_e32 v0, 0
	global_load_dword v1, v0, s[20:21] offset:76
	s_waitcnt vmcnt(0)
	v_add_nc_u32_e32 v1, -1, v1
	v_cmp_eq_u32_e32 vcc_lo, 19, v1
	s_cbranch_vccnz .LBB37_278
; %bb.277:
	v_lshlrev_b32_e32 v1, 4, v1
	v_mov_b32_e32 v2, s30
	v_add_nc_u32_e32 v1, 16, v1
	s_clause 0x7
	buffer_load_dword v3, v1, s[0:3], 0 offen
	buffer_load_dword v4, v1, s[0:3], 0 offen offset:4
	buffer_load_dword v5, v1, s[0:3], 0 offen offset:8
	;; [unrolled: 1-line block ×6, first 2 shown]
	buffer_load_dword v10, v2, s[0:3], 0 offen
	s_waitcnt vmcnt(7)
	buffer_store_dword v3, v2, s[0:3], 0 offen
	s_waitcnt vmcnt(6)
	buffer_store_dword v4, v2, s[0:3], 0 offen offset:4
	s_waitcnt vmcnt(5)
	buffer_store_dword v5, v2, s[0:3], 0 offen offset:8
	;; [unrolled: 2-line block ×6, first 2 shown]
	s_waitcnt vmcnt(0)
	buffer_store_dword v10, v1, s[0:3], 0 offen
.LBB37_278:
	global_load_dword v0, v0, s[20:21] offset:72
	s_waitcnt vmcnt(0)
	v_add_nc_u32_e32 v0, -1, v0
	v_cmp_eq_u32_e32 vcc_lo, 18, v0
	s_cbranch_vccnz .LBB37_280
; %bb.279:
	v_lshlrev_b32_e32 v0, 4, v0
	v_mov_b32_e32 v1, s31
	v_add_nc_u32_e32 v0, 16, v0
	s_clause 0x7
	buffer_load_dword v2, v0, s[0:3], 0 offen
	buffer_load_dword v3, v0, s[0:3], 0 offen offset:4
	buffer_load_dword v4, v0, s[0:3], 0 offen offset:8
	;; [unrolled: 1-line block ×6, first 2 shown]
	buffer_load_dword v9, v1, s[0:3], 0 offen
	s_waitcnt vmcnt(7)
	buffer_store_dword v2, v1, s[0:3], 0 offen
	s_waitcnt vmcnt(6)
	buffer_store_dword v3, v1, s[0:3], 0 offen offset:4
	s_waitcnt vmcnt(5)
	buffer_store_dword v4, v1, s[0:3], 0 offen offset:8
	;; [unrolled: 2-line block ×6, first 2 shown]
	s_waitcnt vmcnt(0)
	buffer_store_dword v9, v0, s[0:3], 0 offen
.LBB37_280:
	v_mov_b32_e32 v0, 0
	global_load_dword v1, v0, s[20:21] offset:68
	s_waitcnt vmcnt(0)
	v_add_nc_u32_e32 v1, -1, v1
	v_cmp_eq_u32_e32 vcc_lo, 17, v1
	s_cbranch_vccnz .LBB37_282
; %bb.281:
	v_lshlrev_b32_e32 v1, 4, v1
	v_mov_b32_e32 v2, s33
	v_add_nc_u32_e32 v1, 16, v1
	s_clause 0x7
	buffer_load_dword v3, v1, s[0:3], 0 offen
	buffer_load_dword v4, v1, s[0:3], 0 offen offset:4
	buffer_load_dword v5, v1, s[0:3], 0 offen offset:8
	;; [unrolled: 1-line block ×6, first 2 shown]
	buffer_load_dword v10, v2, s[0:3], 0 offen
	s_waitcnt vmcnt(7)
	buffer_store_dword v3, v2, s[0:3], 0 offen
	s_waitcnt vmcnt(6)
	buffer_store_dword v4, v2, s[0:3], 0 offen offset:4
	s_waitcnt vmcnt(5)
	buffer_store_dword v5, v2, s[0:3], 0 offen offset:8
	s_waitcnt vmcnt(4)
	buffer_store_dword v6, v2, s[0:3], 0 offen offset:12
	s_waitcnt vmcnt(3)
	buffer_store_dword v7, v1, s[0:3], 0 offen offset:12
	s_waitcnt vmcnt(2)
	buffer_store_dword v8, v1, s[0:3], 0 offen offset:8
	s_waitcnt vmcnt(1)
	buffer_store_dword v9, v1, s[0:3], 0 offen offset:4
	s_waitcnt vmcnt(0)
	buffer_store_dword v10, v1, s[0:3], 0 offen
.LBB37_282:
	global_load_dword v0, v0, s[20:21] offset:64
	s_waitcnt vmcnt(0)
	v_add_nc_u32_e32 v0, -1, v0
	v_cmp_eq_u32_e32 vcc_lo, 16, v0
	s_cbranch_vccnz .LBB37_284
; %bb.283:
	v_lshlrev_b32_e32 v0, 4, v0
	v_mov_b32_e32 v1, s34
	v_add_nc_u32_e32 v0, 16, v0
	s_clause 0x7
	buffer_load_dword v2, v0, s[0:3], 0 offen
	buffer_load_dword v3, v0, s[0:3], 0 offen offset:4
	buffer_load_dword v4, v0, s[0:3], 0 offen offset:8
	;; [unrolled: 1-line block ×6, first 2 shown]
	buffer_load_dword v9, v1, s[0:3], 0 offen
	s_waitcnt vmcnt(7)
	buffer_store_dword v2, v1, s[0:3], 0 offen
	s_waitcnt vmcnt(6)
	buffer_store_dword v3, v1, s[0:3], 0 offen offset:4
	s_waitcnt vmcnt(5)
	buffer_store_dword v4, v1, s[0:3], 0 offen offset:8
	;; [unrolled: 2-line block ×6, first 2 shown]
	s_waitcnt vmcnt(0)
	buffer_store_dword v9, v0, s[0:3], 0 offen
.LBB37_284:
	v_mov_b32_e32 v0, 0
	global_load_dword v1, v0, s[20:21] offset:60
	s_waitcnt vmcnt(0)
	v_add_nc_u32_e32 v1, -1, v1
	v_cmp_eq_u32_e32 vcc_lo, 15, v1
	s_cbranch_vccnz .LBB37_286
; %bb.285:
	v_lshlrev_b32_e32 v1, 4, v1
	v_mov_b32_e32 v2, s35
	v_add_nc_u32_e32 v1, 16, v1
	s_clause 0x7
	buffer_load_dword v3, v1, s[0:3], 0 offen
	buffer_load_dword v4, v1, s[0:3], 0 offen offset:4
	buffer_load_dword v5, v1, s[0:3], 0 offen offset:8
	;; [unrolled: 1-line block ×6, first 2 shown]
	buffer_load_dword v10, v2, s[0:3], 0 offen
	s_waitcnt vmcnt(7)
	buffer_store_dword v3, v2, s[0:3], 0 offen
	s_waitcnt vmcnt(6)
	buffer_store_dword v4, v2, s[0:3], 0 offen offset:4
	s_waitcnt vmcnt(5)
	buffer_store_dword v5, v2, s[0:3], 0 offen offset:8
	s_waitcnt vmcnt(4)
	buffer_store_dword v6, v2, s[0:3], 0 offen offset:12
	s_waitcnt vmcnt(3)
	buffer_store_dword v7, v1, s[0:3], 0 offen offset:12
	s_waitcnt vmcnt(2)
	buffer_store_dword v8, v1, s[0:3], 0 offen offset:8
	s_waitcnt vmcnt(1)
	buffer_store_dword v9, v1, s[0:3], 0 offen offset:4
	s_waitcnt vmcnt(0)
	buffer_store_dword v10, v1, s[0:3], 0 offen
.LBB37_286:
	global_load_dword v0, v0, s[20:21] offset:56
	s_waitcnt vmcnt(0)
	v_add_nc_u32_e32 v0, -1, v0
	v_cmp_eq_u32_e32 vcc_lo, 14, v0
	s_cbranch_vccnz .LBB37_288
; %bb.287:
	v_lshlrev_b32_e32 v0, 4, v0
	v_mov_b32_e32 v1, s36
	v_add_nc_u32_e32 v0, 16, v0
	s_clause 0x7
	buffer_load_dword v2, v0, s[0:3], 0 offen
	buffer_load_dword v3, v0, s[0:3], 0 offen offset:4
	buffer_load_dword v4, v0, s[0:3], 0 offen offset:8
	;; [unrolled: 1-line block ×6, first 2 shown]
	buffer_load_dword v9, v1, s[0:3], 0 offen
	s_waitcnt vmcnt(7)
	buffer_store_dword v2, v1, s[0:3], 0 offen
	s_waitcnt vmcnt(6)
	buffer_store_dword v3, v1, s[0:3], 0 offen offset:4
	s_waitcnt vmcnt(5)
	buffer_store_dword v4, v1, s[0:3], 0 offen offset:8
	s_waitcnt vmcnt(4)
	buffer_store_dword v5, v1, s[0:3], 0 offen offset:12
	s_waitcnt vmcnt(3)
	buffer_store_dword v6, v0, s[0:3], 0 offen offset:12
	s_waitcnt vmcnt(2)
	buffer_store_dword v7, v0, s[0:3], 0 offen offset:8
	s_waitcnt vmcnt(1)
	buffer_store_dword v8, v0, s[0:3], 0 offen offset:4
	s_waitcnt vmcnt(0)
	buffer_store_dword v9, v0, s[0:3], 0 offen
.LBB37_288:
	v_mov_b32_e32 v0, 0
	global_load_dword v1, v0, s[20:21] offset:52
	s_waitcnt vmcnt(0)
	v_add_nc_u32_e32 v1, -1, v1
	v_cmp_eq_u32_e32 vcc_lo, 13, v1
	s_cbranch_vccnz .LBB37_290
; %bb.289:
	v_lshlrev_b32_e32 v1, 4, v1
	v_mov_b32_e32 v2, s37
	v_add_nc_u32_e32 v1, 16, v1
	s_clause 0x7
	buffer_load_dword v3, v1, s[0:3], 0 offen
	buffer_load_dword v4, v1, s[0:3], 0 offen offset:4
	buffer_load_dword v5, v1, s[0:3], 0 offen offset:8
	;; [unrolled: 1-line block ×6, first 2 shown]
	buffer_load_dword v10, v2, s[0:3], 0 offen
	s_waitcnt vmcnt(7)
	buffer_store_dword v3, v2, s[0:3], 0 offen
	s_waitcnt vmcnt(6)
	buffer_store_dword v4, v2, s[0:3], 0 offen offset:4
	s_waitcnt vmcnt(5)
	buffer_store_dword v5, v2, s[0:3], 0 offen offset:8
	;; [unrolled: 2-line block ×6, first 2 shown]
	s_waitcnt vmcnt(0)
	buffer_store_dword v10, v1, s[0:3], 0 offen
.LBB37_290:
	global_load_dword v0, v0, s[20:21] offset:48
	s_waitcnt vmcnt(0)
	v_add_nc_u32_e32 v0, -1, v0
	v_cmp_eq_u32_e32 vcc_lo, 12, v0
	s_cbranch_vccnz .LBB37_292
; %bb.291:
	v_lshlrev_b32_e32 v0, 4, v0
	v_mov_b32_e32 v1, s38
	v_add_nc_u32_e32 v0, 16, v0
	s_clause 0x7
	buffer_load_dword v2, v0, s[0:3], 0 offen
	buffer_load_dword v3, v0, s[0:3], 0 offen offset:4
	buffer_load_dword v4, v0, s[0:3], 0 offen offset:8
	;; [unrolled: 1-line block ×6, first 2 shown]
	buffer_load_dword v9, v1, s[0:3], 0 offen
	s_waitcnt vmcnt(7)
	buffer_store_dword v2, v1, s[0:3], 0 offen
	s_waitcnt vmcnt(6)
	buffer_store_dword v3, v1, s[0:3], 0 offen offset:4
	s_waitcnt vmcnt(5)
	buffer_store_dword v4, v1, s[0:3], 0 offen offset:8
	;; [unrolled: 2-line block ×6, first 2 shown]
	s_waitcnt vmcnt(0)
	buffer_store_dword v9, v0, s[0:3], 0 offen
.LBB37_292:
	v_mov_b32_e32 v0, 0
	global_load_dword v1, v0, s[20:21] offset:44
	s_waitcnt vmcnt(0)
	v_add_nc_u32_e32 v1, -1, v1
	v_cmp_eq_u32_e32 vcc_lo, 11, v1
	s_cbranch_vccnz .LBB37_294
; %bb.293:
	v_lshlrev_b32_e32 v1, 4, v1
	v_mov_b32_e32 v2, s39
	v_add_nc_u32_e32 v1, 16, v1
	s_clause 0x7
	buffer_load_dword v3, v1, s[0:3], 0 offen
	buffer_load_dword v4, v1, s[0:3], 0 offen offset:4
	buffer_load_dword v5, v1, s[0:3], 0 offen offset:8
	;; [unrolled: 1-line block ×6, first 2 shown]
	buffer_load_dword v10, v2, s[0:3], 0 offen
	s_waitcnt vmcnt(7)
	buffer_store_dword v3, v2, s[0:3], 0 offen
	s_waitcnt vmcnt(6)
	buffer_store_dword v4, v2, s[0:3], 0 offen offset:4
	s_waitcnt vmcnt(5)
	buffer_store_dword v5, v2, s[0:3], 0 offen offset:8
	;; [unrolled: 2-line block ×6, first 2 shown]
	s_waitcnt vmcnt(0)
	buffer_store_dword v10, v1, s[0:3], 0 offen
.LBB37_294:
	global_load_dword v0, v0, s[20:21] offset:40
	s_waitcnt vmcnt(0)
	v_add_nc_u32_e32 v0, -1, v0
	v_cmp_eq_u32_e32 vcc_lo, 10, v0
	s_cbranch_vccnz .LBB37_296
; %bb.295:
	v_lshlrev_b32_e32 v0, 4, v0
	v_mov_b32_e32 v1, s40
	v_add_nc_u32_e32 v0, 16, v0
	s_clause 0x7
	buffer_load_dword v2, v0, s[0:3], 0 offen
	buffer_load_dword v3, v0, s[0:3], 0 offen offset:4
	buffer_load_dword v4, v0, s[0:3], 0 offen offset:8
	;; [unrolled: 1-line block ×6, first 2 shown]
	buffer_load_dword v9, v1, s[0:3], 0 offen
	s_waitcnt vmcnt(7)
	buffer_store_dword v2, v1, s[0:3], 0 offen
	s_waitcnt vmcnt(6)
	buffer_store_dword v3, v1, s[0:3], 0 offen offset:4
	s_waitcnt vmcnt(5)
	buffer_store_dword v4, v1, s[0:3], 0 offen offset:8
	;; [unrolled: 2-line block ×6, first 2 shown]
	s_waitcnt vmcnt(0)
	buffer_store_dword v9, v0, s[0:3], 0 offen
.LBB37_296:
	v_mov_b32_e32 v0, 0
	global_load_dword v1, v0, s[20:21] offset:36
	s_waitcnt vmcnt(0)
	v_add_nc_u32_e32 v1, -1, v1
	v_cmp_eq_u32_e32 vcc_lo, 9, v1
	s_cbranch_vccnz .LBB37_298
; %bb.297:
	v_lshlrev_b32_e32 v1, 4, v1
	v_mov_b32_e32 v2, s41
	v_add_nc_u32_e32 v1, 16, v1
	s_clause 0x7
	buffer_load_dword v3, v1, s[0:3], 0 offen
	buffer_load_dword v4, v1, s[0:3], 0 offen offset:4
	buffer_load_dword v5, v1, s[0:3], 0 offen offset:8
	;; [unrolled: 1-line block ×6, first 2 shown]
	buffer_load_dword v10, v2, s[0:3], 0 offen
	s_waitcnt vmcnt(7)
	buffer_store_dword v3, v2, s[0:3], 0 offen
	s_waitcnt vmcnt(6)
	buffer_store_dword v4, v2, s[0:3], 0 offen offset:4
	s_waitcnt vmcnt(5)
	buffer_store_dword v5, v2, s[0:3], 0 offen offset:8
	;; [unrolled: 2-line block ×6, first 2 shown]
	s_waitcnt vmcnt(0)
	buffer_store_dword v10, v1, s[0:3], 0 offen
.LBB37_298:
	global_load_dword v0, v0, s[20:21] offset:32
	s_waitcnt vmcnt(0)
	v_add_nc_u32_e32 v0, -1, v0
	v_cmp_eq_u32_e32 vcc_lo, 8, v0
	s_cbranch_vccnz .LBB37_300
; %bb.299:
	v_lshlrev_b32_e32 v0, 4, v0
	v_mov_b32_e32 v1, s42
	v_add_nc_u32_e32 v0, 16, v0
	s_clause 0x7
	buffer_load_dword v2, v0, s[0:3], 0 offen
	buffer_load_dword v3, v0, s[0:3], 0 offen offset:4
	buffer_load_dword v4, v0, s[0:3], 0 offen offset:8
	;; [unrolled: 1-line block ×6, first 2 shown]
	buffer_load_dword v9, v1, s[0:3], 0 offen
	s_waitcnt vmcnt(7)
	buffer_store_dword v2, v1, s[0:3], 0 offen
	s_waitcnt vmcnt(6)
	buffer_store_dword v3, v1, s[0:3], 0 offen offset:4
	s_waitcnt vmcnt(5)
	buffer_store_dword v4, v1, s[0:3], 0 offen offset:8
	;; [unrolled: 2-line block ×6, first 2 shown]
	s_waitcnt vmcnt(0)
	buffer_store_dword v9, v0, s[0:3], 0 offen
.LBB37_300:
	v_mov_b32_e32 v0, 0
	global_load_dword v1, v0, s[20:21] offset:28
	s_waitcnt vmcnt(0)
	v_add_nc_u32_e32 v1, -1, v1
	v_cmp_eq_u32_e32 vcc_lo, 7, v1
	s_cbranch_vccnz .LBB37_302
; %bb.301:
	v_lshlrev_b32_e32 v1, 4, v1
	v_mov_b32_e32 v2, s43
	v_add_nc_u32_e32 v1, 16, v1
	s_clause 0x7
	buffer_load_dword v3, v1, s[0:3], 0 offen
	buffer_load_dword v4, v1, s[0:3], 0 offen offset:4
	buffer_load_dword v5, v1, s[0:3], 0 offen offset:8
	;; [unrolled: 1-line block ×6, first 2 shown]
	buffer_load_dword v10, v2, s[0:3], 0 offen
	s_waitcnt vmcnt(7)
	buffer_store_dword v3, v2, s[0:3], 0 offen
	s_waitcnt vmcnt(6)
	buffer_store_dword v4, v2, s[0:3], 0 offen offset:4
	s_waitcnt vmcnt(5)
	buffer_store_dword v5, v2, s[0:3], 0 offen offset:8
	;; [unrolled: 2-line block ×6, first 2 shown]
	s_waitcnt vmcnt(0)
	buffer_store_dword v10, v1, s[0:3], 0 offen
.LBB37_302:
	global_load_dword v0, v0, s[20:21] offset:24
	s_waitcnt vmcnt(0)
	v_add_nc_u32_e32 v0, -1, v0
	v_cmp_eq_u32_e32 vcc_lo, 6, v0
	s_cbranch_vccnz .LBB37_304
; %bb.303:
	v_lshlrev_b32_e32 v0, 4, v0
	v_mov_b32_e32 v1, s44
	v_add_nc_u32_e32 v0, 16, v0
	s_clause 0x7
	buffer_load_dword v2, v0, s[0:3], 0 offen
	buffer_load_dword v3, v0, s[0:3], 0 offen offset:4
	buffer_load_dword v4, v0, s[0:3], 0 offen offset:8
	;; [unrolled: 1-line block ×6, first 2 shown]
	buffer_load_dword v9, v1, s[0:3], 0 offen
	s_waitcnt vmcnt(7)
	buffer_store_dword v2, v1, s[0:3], 0 offen
	s_waitcnt vmcnt(6)
	buffer_store_dword v3, v1, s[0:3], 0 offen offset:4
	s_waitcnt vmcnt(5)
	buffer_store_dword v4, v1, s[0:3], 0 offen offset:8
	;; [unrolled: 2-line block ×6, first 2 shown]
	s_waitcnt vmcnt(0)
	buffer_store_dword v9, v0, s[0:3], 0 offen
.LBB37_304:
	v_mov_b32_e32 v0, 0
	global_load_dword v1, v0, s[20:21] offset:20
	s_waitcnt vmcnt(0)
	v_add_nc_u32_e32 v1, -1, v1
	v_cmp_eq_u32_e32 vcc_lo, 5, v1
	s_cbranch_vccnz .LBB37_306
; %bb.305:
	v_lshlrev_b32_e32 v1, 4, v1
	v_mov_b32_e32 v2, s45
	v_add_nc_u32_e32 v1, 16, v1
	s_clause 0x7
	buffer_load_dword v3, v1, s[0:3], 0 offen
	buffer_load_dword v4, v1, s[0:3], 0 offen offset:4
	buffer_load_dword v5, v1, s[0:3], 0 offen offset:8
	;; [unrolled: 1-line block ×6, first 2 shown]
	buffer_load_dword v10, v2, s[0:3], 0 offen
	s_waitcnt vmcnt(7)
	buffer_store_dword v3, v2, s[0:3], 0 offen
	s_waitcnt vmcnt(6)
	buffer_store_dword v4, v2, s[0:3], 0 offen offset:4
	s_waitcnt vmcnt(5)
	buffer_store_dword v5, v2, s[0:3], 0 offen offset:8
	s_waitcnt vmcnt(4)
	buffer_store_dword v6, v2, s[0:3], 0 offen offset:12
	s_waitcnt vmcnt(3)
	buffer_store_dword v7, v1, s[0:3], 0 offen offset:12
	s_waitcnt vmcnt(2)
	buffer_store_dword v8, v1, s[0:3], 0 offen offset:8
	s_waitcnt vmcnt(1)
	buffer_store_dword v9, v1, s[0:3], 0 offen offset:4
	s_waitcnt vmcnt(0)
	buffer_store_dword v10, v1, s[0:3], 0 offen
.LBB37_306:
	global_load_dword v0, v0, s[20:21] offset:16
	s_waitcnt vmcnt(0)
	v_add_nc_u32_e32 v0, -1, v0
	v_cmp_eq_u32_e32 vcc_lo, 4, v0
	s_cbranch_vccnz .LBB37_308
; %bb.307:
	v_lshlrev_b32_e32 v0, 4, v0
	v_mov_b32_e32 v1, s46
	v_add_nc_u32_e32 v0, 16, v0
	s_clause 0x7
	buffer_load_dword v2, v0, s[0:3], 0 offen
	buffer_load_dword v3, v0, s[0:3], 0 offen offset:4
	buffer_load_dword v4, v0, s[0:3], 0 offen offset:8
	;; [unrolled: 1-line block ×6, first 2 shown]
	buffer_load_dword v9, v1, s[0:3], 0 offen
	s_waitcnt vmcnt(7)
	buffer_store_dword v2, v1, s[0:3], 0 offen
	s_waitcnt vmcnt(6)
	buffer_store_dword v3, v1, s[0:3], 0 offen offset:4
	s_waitcnt vmcnt(5)
	buffer_store_dword v4, v1, s[0:3], 0 offen offset:8
	;; [unrolled: 2-line block ×6, first 2 shown]
	s_waitcnt vmcnt(0)
	buffer_store_dword v9, v0, s[0:3], 0 offen
.LBB37_308:
	v_mov_b32_e32 v0, 0
	global_load_dword v1, v0, s[20:21] offset:12
	s_waitcnt vmcnt(0)
	v_add_nc_u32_e32 v1, -1, v1
	v_cmp_eq_u32_e32 vcc_lo, 3, v1
	s_cbranch_vccnz .LBB37_310
; %bb.309:
	v_lshlrev_b32_e32 v1, 4, v1
	v_mov_b32_e32 v2, s47
	v_add_nc_u32_e32 v1, 16, v1
	s_clause 0x7
	buffer_load_dword v3, v1, s[0:3], 0 offen
	buffer_load_dword v4, v1, s[0:3], 0 offen offset:4
	buffer_load_dword v5, v1, s[0:3], 0 offen offset:8
	;; [unrolled: 1-line block ×6, first 2 shown]
	buffer_load_dword v10, v2, s[0:3], 0 offen
	s_waitcnt vmcnt(7)
	buffer_store_dword v3, v2, s[0:3], 0 offen
	s_waitcnt vmcnt(6)
	buffer_store_dword v4, v2, s[0:3], 0 offen offset:4
	s_waitcnt vmcnt(5)
	buffer_store_dword v5, v2, s[0:3], 0 offen offset:8
	;; [unrolled: 2-line block ×6, first 2 shown]
	s_waitcnt vmcnt(0)
	buffer_store_dword v10, v1, s[0:3], 0 offen
.LBB37_310:
	global_load_dword v0, v0, s[20:21] offset:8
	s_waitcnt vmcnt(0)
	v_add_nc_u32_e32 v0, -1, v0
	v_cmp_eq_u32_e32 vcc_lo, 2, v0
	s_cbranch_vccnz .LBB37_312
; %bb.311:
	v_lshlrev_b32_e32 v0, 4, v0
	v_mov_b32_e32 v1, s48
	v_add_nc_u32_e32 v0, 16, v0
	s_clause 0x7
	buffer_load_dword v2, v0, s[0:3], 0 offen
	buffer_load_dword v3, v0, s[0:3], 0 offen offset:4
	buffer_load_dword v4, v0, s[0:3], 0 offen offset:8
	buffer_load_dword v5, v0, s[0:3], 0 offen offset:12
	buffer_load_dword v6, v1, s[0:3], 0 offen offset:12
	buffer_load_dword v7, v1, s[0:3], 0 offen offset:8
	buffer_load_dword v8, v1, s[0:3], 0 offen offset:4
	buffer_load_dword v9, v1, s[0:3], 0 offen
	s_waitcnt vmcnt(7)
	buffer_store_dword v2, v1, s[0:3], 0 offen
	s_waitcnt vmcnt(6)
	buffer_store_dword v3, v1, s[0:3], 0 offen offset:4
	s_waitcnt vmcnt(5)
	buffer_store_dword v4, v1, s[0:3], 0 offen offset:8
	;; [unrolled: 2-line block ×6, first 2 shown]
	s_waitcnt vmcnt(0)
	buffer_store_dword v9, v0, s[0:3], 0 offen
.LBB37_312:
	v_mov_b32_e32 v0, 0
	global_load_dword v1, v0, s[20:21] offset:4
	s_waitcnt vmcnt(0)
	v_add_nc_u32_e32 v1, -1, v1
	v_cmp_eq_u32_e32 vcc_lo, 1, v1
	s_cbranch_vccnz .LBB37_314
; %bb.313:
	v_lshlrev_b32_e32 v1, 4, v1
	v_mov_b32_e32 v2, s49
	v_add_nc_u32_e32 v1, 16, v1
	s_clause 0x7
	buffer_load_dword v3, v1, s[0:3], 0 offen
	buffer_load_dword v4, v1, s[0:3], 0 offen offset:4
	buffer_load_dword v5, v1, s[0:3], 0 offen offset:8
	;; [unrolled: 1-line block ×6, first 2 shown]
	buffer_load_dword v10, v2, s[0:3], 0 offen
	s_waitcnt vmcnt(7)
	buffer_store_dword v3, v2, s[0:3], 0 offen
	s_waitcnt vmcnt(6)
	buffer_store_dword v4, v2, s[0:3], 0 offen offset:4
	s_waitcnt vmcnt(5)
	buffer_store_dword v5, v2, s[0:3], 0 offen offset:8
	s_waitcnt vmcnt(4)
	buffer_store_dword v6, v2, s[0:3], 0 offen offset:12
	s_waitcnt vmcnt(3)
	buffer_store_dword v7, v1, s[0:3], 0 offen offset:12
	s_waitcnt vmcnt(2)
	buffer_store_dword v8, v1, s[0:3], 0 offen offset:8
	s_waitcnt vmcnt(1)
	buffer_store_dword v9, v1, s[0:3], 0 offen offset:4
	s_waitcnt vmcnt(0)
	buffer_store_dword v10, v1, s[0:3], 0 offen
.LBB37_314:
	global_load_dword v0, v0, s[20:21]
	s_waitcnt vmcnt(0)
	v_add_nc_u32_e32 v0, -1, v0
	v_cmp_eq_u32_e32 vcc_lo, 0, v0
	s_cbranch_vccnz .LBB37_316
; %bb.315:
	v_lshlrev_b32_e32 v0, 4, v0
	v_add_nc_u32_e32 v0, 16, v0
	s_clause 0x7
	buffer_load_dword v1, v0, s[0:3], 0 offen
	buffer_load_dword v2, v0, s[0:3], 0 offen offset:4
	buffer_load_dword v3, v0, s[0:3], 0 offen offset:8
	;; [unrolled: 1-line block ×3, first 2 shown]
	buffer_load_dword v5, off, s[0:3], 0 offset:28
	buffer_load_dword v6, off, s[0:3], 0 offset:24
	;; [unrolled: 1-line block ×4, first 2 shown]
	s_waitcnt vmcnt(7)
	buffer_store_dword v1, off, s[0:3], 0 offset:16
	s_waitcnt vmcnt(6)
	buffer_store_dword v2, off, s[0:3], 0 offset:20
	;; [unrolled: 2-line block ×4, first 2 shown]
	s_waitcnt vmcnt(3)
	buffer_store_dword v5, v0, s[0:3], 0 offen offset:12
	s_waitcnt vmcnt(2)
	buffer_store_dword v6, v0, s[0:3], 0 offen offset:8
	;; [unrolled: 2-line block ×3, first 2 shown]
	s_waitcnt vmcnt(0)
	buffer_store_dword v8, v0, s[0:3], 0 offen
.LBB37_316:
	v_mov_b32_e32 v7, s49
	v_mov_b32_e32 v11, s48
	;; [unrolled: 1-line block ×4, first 2 shown]
	s_clause 0x3
	buffer_load_dword v0, off, s[0:3], 0 offset:16
	buffer_load_dword v1, off, s[0:3], 0 offset:20
	;; [unrolled: 1-line block ×4, first 2 shown]
	v_mov_b32_e32 v23, s45
	s_clause 0x3
	buffer_load_dword v4, v7, s[0:3], 0 offen
	buffer_load_dword v5, v7, s[0:3], 0 offen offset:4
	buffer_load_dword v6, v7, s[0:3], 0 offen offset:8
	;; [unrolled: 1-line block ×3, first 2 shown]
	v_mov_b32_e32 v27, s44
	s_clause 0x13
	buffer_load_dword v8, v11, s[0:3], 0 offen
	buffer_load_dword v9, v11, s[0:3], 0 offen offset:4
	buffer_load_dword v10, v11, s[0:3], 0 offen offset:8
	buffer_load_dword v11, v11, s[0:3], 0 offen offset:12
	buffer_load_dword v12, v15, s[0:3], 0 offen
	buffer_load_dword v13, v15, s[0:3], 0 offen offset:4
	buffer_load_dword v14, v15, s[0:3], 0 offen offset:8
	buffer_load_dword v15, v15, s[0:3], 0 offen offset:12
	;; [unrolled: 4-line block ×5, first 2 shown]
	v_mov_b32_e32 v31, s43
	v_mov_b32_e32 v173, s25
	;; [unrolled: 1-line block ×23, first 2 shown]
	s_clause 0x3e
	buffer_load_dword v28, v31, s[0:3], 0 offen
	buffer_load_dword v29, v31, s[0:3], 0 offen offset:4
	buffer_load_dword v30, v31, s[0:3], 0 offen offset:8
	buffer_load_dword v31, v31, s[0:3], 0 offen offset:12
	buffer_load_dword v32, v35, s[0:3], 0 offen
	buffer_load_dword v33, v35, s[0:3], 0 offen offset:4
	buffer_load_dword v34, v35, s[0:3], 0 offen offset:8
	buffer_load_dword v35, v35, s[0:3], 0 offen offset:12
	;; [unrolled: 4-line block ×15, first 2 shown]
	buffer_load_dword v165, v168, s[0:3], 0 offen
	buffer_load_dword v166, v168, s[0:3], 0 offen offset:4
	buffer_load_dword v167, v168, s[0:3], 0 offen offset:8
	s_clause 0x4
	buffer_load_dword v168, v168, s[0:3], 0 offen offset:12
	buffer_load_dword v169, v172, s[0:3], 0 offen
	buffer_load_dword v170, v172, s[0:3], 0 offen offset:4
	buffer_load_dword v171, v172, s[0:3], 0 offen offset:8
	;; [unrolled: 1-line block ×3, first 2 shown]
	v_mov_b32_e32 v178, s18
	v_mov_b32_e32 v187, s9
	;; [unrolled: 1-line block ×8, first 2 shown]
	s_waitcnt vmcnt(62)
	global_store_dwordx4 v[45:46], v[0:3], off
	s_clause 0x7
	buffer_load_dword v0, v173, s[0:3], 0 offen
	buffer_load_dword v1, v173, s[0:3], 0 offen offset:4
	buffer_load_dword v2, v173, s[0:3], 0 offen offset:8
	buffer_load_dword v3, v173, s[0:3], 0 offen offset:12
	buffer_load_dword v173, v176, s[0:3], 0 offen
	buffer_load_dword v174, v176, s[0:3], 0 offen offset:4
	buffer_load_dword v175, v176, s[0:3], 0 offen offset:8
	buffer_load_dword v176, v176, s[0:3], 0 offen offset:12
	global_store_dwordx4 v[47:48], v[4:7], off
	s_clause 0x7
	buffer_load_dword v4, v177, s[0:3], 0 offen
	buffer_load_dword v5, v177, s[0:3], 0 offen offset:4
	buffer_load_dword v6, v177, s[0:3], 0 offen offset:8
	buffer_load_dword v7, v177, s[0:3], 0 offen offset:12
	buffer_load_dword v44, v178, s[0:3], 0 offen
	buffer_load_dword v45, v178, s[0:3], 0 offen offset:4
	buffer_load_dword v46, v178, s[0:3], 0 offen offset:8
	buffer_load_dword v47, v178, s[0:3], 0 offen offset:12
	;; [unrolled: 10-line block ×7, first 2 shown]
	global_store_dwordx4 v[53:54], v[28:31], off
	s_waitcnt vmcnt(62)
	global_store_dwordx4 v[61:62], v[32:35], off
	global_store_dwordx4 v[63:64], v[36:39], off
	;; [unrolled: 1-line block ×14, first 2 shown]
	s_waitcnt vmcnt(60)
	global_store_dwordx4 v[89:90], v[165:168], off
	s_waitcnt vmcnt(56)
	global_store_dwordx4 v[91:92], v[169:172], off
	;; [unrolled: 2-line block ×16, first 2 shown]
	s_endpgm
	.section	.rodata,"a",@progbits
	.p2align	6, 0x0
	.amdhsa_kernel _ZN9rocsolver6v33100L18getri_kernel_smallILi38E19rocblas_complex_numIdEPS3_EEvT1_iilPiilS6_bb
		.amdhsa_group_segment_fixed_size 1224
		.amdhsa_private_segment_fixed_size 640
		.amdhsa_kernarg_size 60
		.amdhsa_user_sgpr_count 6
		.amdhsa_user_sgpr_private_segment_buffer 1
		.amdhsa_user_sgpr_dispatch_ptr 0
		.amdhsa_user_sgpr_queue_ptr 0
		.amdhsa_user_sgpr_kernarg_segment_ptr 1
		.amdhsa_user_sgpr_dispatch_id 0
		.amdhsa_user_sgpr_flat_scratch_init 0
		.amdhsa_user_sgpr_private_segment_size 0
		.amdhsa_wavefront_size32 1
		.amdhsa_uses_dynamic_stack 0
		.amdhsa_system_sgpr_private_segment_wavefront_offset 1
		.amdhsa_system_sgpr_workgroup_id_x 1
		.amdhsa_system_sgpr_workgroup_id_y 0
		.amdhsa_system_sgpr_workgroup_id_z 0
		.amdhsa_system_sgpr_workgroup_info 0
		.amdhsa_system_vgpr_workitem_id 0
		.amdhsa_next_free_vgpr 192
		.amdhsa_next_free_sgpr 67
		.amdhsa_reserve_vcc 1
		.amdhsa_reserve_flat_scratch 0
		.amdhsa_float_round_mode_32 0
		.amdhsa_float_round_mode_16_64 0
		.amdhsa_float_denorm_mode_32 3
		.amdhsa_float_denorm_mode_16_64 3
		.amdhsa_dx10_clamp 1
		.amdhsa_ieee_mode 1
		.amdhsa_fp16_overflow 0
		.amdhsa_workgroup_processor_mode 1
		.amdhsa_memory_ordered 1
		.amdhsa_forward_progress 1
		.amdhsa_shared_vgpr_count 0
		.amdhsa_exception_fp_ieee_invalid_op 0
		.amdhsa_exception_fp_denorm_src 0
		.amdhsa_exception_fp_ieee_div_zero 0
		.amdhsa_exception_fp_ieee_overflow 0
		.amdhsa_exception_fp_ieee_underflow 0
		.amdhsa_exception_fp_ieee_inexact 0
		.amdhsa_exception_int_div_zero 0
	.end_amdhsa_kernel
	.section	.text._ZN9rocsolver6v33100L18getri_kernel_smallILi38E19rocblas_complex_numIdEPS3_EEvT1_iilPiilS6_bb,"axG",@progbits,_ZN9rocsolver6v33100L18getri_kernel_smallILi38E19rocblas_complex_numIdEPS3_EEvT1_iilPiilS6_bb,comdat
.Lfunc_end37:
	.size	_ZN9rocsolver6v33100L18getri_kernel_smallILi38E19rocblas_complex_numIdEPS3_EEvT1_iilPiilS6_bb, .Lfunc_end37-_ZN9rocsolver6v33100L18getri_kernel_smallILi38E19rocblas_complex_numIdEPS3_EEvT1_iilPiilS6_bb
                                        ; -- End function
	.set _ZN9rocsolver6v33100L18getri_kernel_smallILi38E19rocblas_complex_numIdEPS3_EEvT1_iilPiilS6_bb.num_vgpr, 192
	.set _ZN9rocsolver6v33100L18getri_kernel_smallILi38E19rocblas_complex_numIdEPS3_EEvT1_iilPiilS6_bb.num_agpr, 0
	.set _ZN9rocsolver6v33100L18getri_kernel_smallILi38E19rocblas_complex_numIdEPS3_EEvT1_iilPiilS6_bb.numbered_sgpr, 67
	.set _ZN9rocsolver6v33100L18getri_kernel_smallILi38E19rocblas_complex_numIdEPS3_EEvT1_iilPiilS6_bb.num_named_barrier, 0
	.set _ZN9rocsolver6v33100L18getri_kernel_smallILi38E19rocblas_complex_numIdEPS3_EEvT1_iilPiilS6_bb.private_seg_size, 640
	.set _ZN9rocsolver6v33100L18getri_kernel_smallILi38E19rocblas_complex_numIdEPS3_EEvT1_iilPiilS6_bb.uses_vcc, 1
	.set _ZN9rocsolver6v33100L18getri_kernel_smallILi38E19rocblas_complex_numIdEPS3_EEvT1_iilPiilS6_bb.uses_flat_scratch, 0
	.set _ZN9rocsolver6v33100L18getri_kernel_smallILi38E19rocblas_complex_numIdEPS3_EEvT1_iilPiilS6_bb.has_dyn_sized_stack, 0
	.set _ZN9rocsolver6v33100L18getri_kernel_smallILi38E19rocblas_complex_numIdEPS3_EEvT1_iilPiilS6_bb.has_recursion, 0
	.set _ZN9rocsolver6v33100L18getri_kernel_smallILi38E19rocblas_complex_numIdEPS3_EEvT1_iilPiilS6_bb.has_indirect_call, 0
	.section	.AMDGPU.csdata,"",@progbits
; Kernel info:
; codeLenInByte = 104440
; TotalNumSgprs: 69
; NumVgprs: 192
; ScratchSize: 640
; MemoryBound: 0
; FloatMode: 240
; IeeeMode: 1
; LDSByteSize: 1224 bytes/workgroup (compile time only)
; SGPRBlocks: 0
; VGPRBlocks: 23
; NumSGPRsForWavesPerEU: 69
; NumVGPRsForWavesPerEU: 192
; Occupancy: 5
; WaveLimiterHint : 1
; COMPUTE_PGM_RSRC2:SCRATCH_EN: 1
; COMPUTE_PGM_RSRC2:USER_SGPR: 6
; COMPUTE_PGM_RSRC2:TRAP_HANDLER: 0
; COMPUTE_PGM_RSRC2:TGID_X_EN: 1
; COMPUTE_PGM_RSRC2:TGID_Y_EN: 0
; COMPUTE_PGM_RSRC2:TGID_Z_EN: 0
; COMPUTE_PGM_RSRC2:TIDIG_COMP_CNT: 0
	.section	.text._ZN9rocsolver6v33100L18getri_kernel_smallILi39E19rocblas_complex_numIdEPS3_EEvT1_iilPiilS6_bb,"axG",@progbits,_ZN9rocsolver6v33100L18getri_kernel_smallILi39E19rocblas_complex_numIdEPS3_EEvT1_iilPiilS6_bb,comdat
	.globl	_ZN9rocsolver6v33100L18getri_kernel_smallILi39E19rocblas_complex_numIdEPS3_EEvT1_iilPiilS6_bb ; -- Begin function _ZN9rocsolver6v33100L18getri_kernel_smallILi39E19rocblas_complex_numIdEPS3_EEvT1_iilPiilS6_bb
	.p2align	8
	.type	_ZN9rocsolver6v33100L18getri_kernel_smallILi39E19rocblas_complex_numIdEPS3_EEvT1_iilPiilS6_bb,@function
_ZN9rocsolver6v33100L18getri_kernel_smallILi39E19rocblas_complex_numIdEPS3_EEvT1_iilPiilS6_bb: ; @_ZN9rocsolver6v33100L18getri_kernel_smallILi39E19rocblas_complex_numIdEPS3_EEvT1_iilPiilS6_bb
; %bb.0:
	s_add_u32 s0, s0, s7
	s_addc_u32 s1, s1, 0
	s_mov_b32 s7, exec_lo
	v_cmpx_gt_u32_e32 39, v0
	s_cbranch_execz .LBB38_170
; %bb.1:
	s_clause 0x2
	s_load_dword s7, s[4:5], 0x38
	s_load_dwordx4 s[16:19], s[4:5], 0x10
	s_load_dwordx4 s[8:11], s[4:5], 0x28
                                        ; implicit-def: $sgpr20_sgpr21
	s_waitcnt lgkmcnt(0)
	s_bitcmp1_b32 s7, 8
	s_cselect_b32 s51, -1, 0
	s_bfe_u32 s12, s7, 0x10008
	s_ashr_i32 s7, s6, 31
	s_cmp_eq_u32 s12, 0
	s_cbranch_scc1 .LBB38_3
; %bb.2:
	s_load_dword s12, s[4:5], 0x20
	s_mul_i32 s13, s8, s7
	s_mul_hi_u32 s14, s8, s6
	s_mul_i32 s9, s9, s6
	s_add_i32 s13, s14, s13
	s_mul_i32 s8, s8, s6
	s_add_i32 s9, s13, s9
	s_lshl_b64 s[8:9], s[8:9], 2
	s_waitcnt lgkmcnt(0)
	s_ashr_i32 s13, s12, 31
	s_add_u32 s14, s18, s8
	s_addc_u32 s15, s19, s9
	s_lshl_b64 s[8:9], s[12:13], 2
	s_add_u32 s20, s14, s8
	s_addc_u32 s21, s15, s9
.LBB38_3:
	s_clause 0x1
	s_load_dwordx4 s[12:15], s[4:5], 0x0
	s_load_dword s52, s[4:5], 0x38
	s_mul_i32 s4, s16, s7
	s_mul_hi_u32 s5, s16, s6
	s_mul_i32 s8, s17, s6
	s_add_i32 s5, s5, s4
	s_mul_i32 s4, s16, s6
	s_add_i32 s5, s5, s8
	v_lshlrev_b32_e32 v163, 4, v0
	s_lshl_b64 s[4:5], s[4:5], 4
	s_movk_i32 s26, 0x150
	s_movk_i32 s27, 0x160
	;; [unrolled: 1-line block ×10, first 2 shown]
	s_waitcnt lgkmcnt(0)
	v_add3_u32 v5, s15, s15, v0
	s_ashr_i32 s9, s14, 31
	s_mov_b32 s8, s14
	s_add_u32 s12, s12, s4
	s_addc_u32 s13, s13, s5
	v_add_nc_u32_e32 v7, s15, v5
	s_lshl_b64 s[4:5], s[8:9], 4
	v_ashrrev_i32_e32 v6, 31, v5
	s_add_u32 s4, s12, s4
	s_addc_u32 s5, s13, s5
	v_add_nc_u32_e32 v9, s15, v7
	v_add_co_u32 v85, s12, s4, v163
	s_mov_b32 s8, s15
	s_ashr_i32 s9, s15, 31
	v_lshlrev_b64 v[5:6], 4, v[5:6]
	v_ashrrev_i32_e32 v8, 31, v7
	v_add_co_ci_u32_e64 v86, null, s5, 0, s12
	s_lshl_b64 s[8:9], s[8:9], 4
	v_ashrrev_i32_e32 v10, 31, v9
	v_add_nc_u32_e32 v11, s15, v9
	v_add_co_u32 v87, vcc_lo, v85, s8
	v_lshlrev_b64 v[7:8], 4, v[7:8]
	v_add_co_ci_u32_e64 v88, null, s9, v86, vcc_lo
	v_add_co_u32 v89, vcc_lo, s4, v5
	v_add_co_ci_u32_e64 v90, null, s5, v6, vcc_lo
	v_lshlrev_b64 v[5:6], 4, v[9:10]
	v_ashrrev_i32_e32 v12, 31, v11
	v_add_nc_u32_e32 v9, s15, v11
	v_add_co_u32 v91, vcc_lo, s4, v7
	v_add_co_ci_u32_e64 v92, null, s5, v8, vcc_lo
	v_lshlrev_b64 v[7:8], 4, v[11:12]
	v_ashrrev_i32_e32 v10, 31, v9
	v_add_nc_u32_e32 v11, s15, v9
	v_add_co_u32 v93, vcc_lo, s4, v5
	v_add_co_ci_u32_e64 v94, null, s5, v6, vcc_lo
	v_lshlrev_b64 v[5:6], 4, v[9:10]
	v_ashrrev_i32_e32 v12, 31, v11
	v_add_nc_u32_e32 v9, s15, v11
	v_add_co_u32 v95, vcc_lo, s4, v7
	v_add_co_ci_u32_e64 v96, null, s5, v8, vcc_lo
	v_lshlrev_b64 v[7:8], 4, v[11:12]
	v_ashrrev_i32_e32 v10, 31, v9
	v_add_nc_u32_e32 v11, s15, v9
	v_add_co_u32 v97, vcc_lo, s4, v5
	v_add_co_ci_u32_e64 v98, null, s5, v6, vcc_lo
	v_lshlrev_b64 v[5:6], 4, v[9:10]
	v_ashrrev_i32_e32 v12, 31, v11
	v_add_nc_u32_e32 v9, s15, v11
	v_add_co_u32 v99, vcc_lo, s4, v7
	v_add_co_ci_u32_e64 v100, null, s5, v8, vcc_lo
	v_lshlrev_b64 v[7:8], 4, v[11:12]
	v_add_nc_u32_e32 v11, s15, v9
	v_ashrrev_i32_e32 v10, 31, v9
	v_add_co_u32 v101, vcc_lo, s4, v5
	v_add_co_ci_u32_e64 v102, null, s5, v6, vcc_lo
	v_ashrrev_i32_e32 v12, 31, v11
	v_lshlrev_b64 v[5:6], 4, v[9:10]
	v_add_co_u32 v103, vcc_lo, s4, v7
	v_add_co_ci_u32_e64 v104, null, s5, v8, vcc_lo
	v_lshlrev_b64 v[7:8], 4, v[11:12]
	v_add_co_u32 v105, vcc_lo, s4, v5
	s_clause 0x3
	global_load_dwordx4 v[1:4], v163, s[4:5]
	global_load_dwordx4 v[33:36], v[87:88], off
	global_load_dwordx4 v[37:40], v[89:90], off
	;; [unrolled: 1-line block ×3, first 2 shown]
	v_add_co_ci_u32_e64 v106, null, s5, v6, vcc_lo
	v_add_co_u32 v107, vcc_lo, s4, v7
	s_clause 0x3
	global_load_dwordx4 v[53:56], v[93:94], off
	global_load_dwordx4 v[57:60], v[95:96], off
	;; [unrolled: 1-line block ×4, first 2 shown]
	v_add_co_ci_u32_e64 v108, null, s5, v8, vcc_lo
	s_clause 0x3
	global_load_dwordx4 v[69:72], v[101:102], off
	global_load_dwordx4 v[73:76], v[103:104], off
	;; [unrolled: 1-line block ×4, first 2 shown]
	v_add_nc_u32_e32 v5, s15, v11
	s_add_i32 s28, s26, 16
	s_add_i32 s26, s27, 16
	s_movk_i32 s8, 0x70
	s_movk_i32 s9, 0x80
	v_add_nc_u32_e32 v7, s15, v5
	v_ashrrev_i32_e32 v6, 31, v5
	s_movk_i32 s12, 0x90
	s_movk_i32 s13, 0xa0
	;; [unrolled: 1-line block ×3, first 2 shown]
	v_add_nc_u32_e32 v9, s15, v7
	v_ashrrev_i32_e32 v8, 31, v7
	v_lshlrev_b64 v[5:6], 4, v[5:6]
	s_movk_i32 s29, 0x170
	s_movk_i32 s53, 0x180
	v_add_nc_u32_e32 v11, s15, v9
	v_ashrrev_i32_e32 v10, 31, v9
	v_lshlrev_b64 v[7:8], 4, v[7:8]
	v_add_co_u32 v109, vcc_lo, s4, v5
	v_add_nc_u32_e32 v13, s15, v11
	v_ashrrev_i32_e32 v12, 31, v11
	v_lshlrev_b64 v[9:10], 4, v[9:10]
	v_add_co_ci_u32_e64 v110, null, s5, v6, vcc_lo
	v_add_nc_u32_e32 v17, s15, v13
	v_ashrrev_i32_e32 v14, 31, v13
	v_lshlrev_b64 v[11:12], 4, v[11:12]
	v_add_co_u32 v111, vcc_lo, s4, v7
	v_add_nc_u32_e32 v21, s15, v17
	v_ashrrev_i32_e32 v18, 31, v17
	v_lshlrev_b64 v[19:20], 4, v[13:14]
	v_add_co_ci_u32_e64 v112, null, s5, v8, vcc_lo
	v_add_nc_u32_e32 v25, s15, v21
	v_ashrrev_i32_e32 v22, 31, v21
	v_add_co_u32 v113, vcc_lo, s4, v9
	v_lshlrev_b64 v[17:18], 4, v[17:18]
	v_add_nc_u32_e32 v29, s15, v25
	v_ashrrev_i32_e32 v26, 31, v25
	v_add_co_ci_u32_e64 v114, null, s5, v10, vcc_lo
	v_add_co_u32 v115, vcc_lo, s4, v11
	v_add_nc_u32_e32 v41, s15, v29
	v_ashrrev_i32_e32 v30, 31, v29
	v_lshlrev_b64 v[27:28], 4, v[21:22]
	v_add_co_ci_u32_e64 v116, null, s5, v12, vcc_lo
	v_add_nc_u32_e32 v49, s15, v41
	v_ashrrev_i32_e32 v42, 31, v41
	v_add_co_u32 v117, vcc_lo, s4, v19
	v_lshlrev_b64 v[25:26], 4, v[25:26]
	v_add_nc_u32_e32 v129, s15, v49
	v_ashrrev_i32_e32 v50, 31, v49
	v_add_co_ci_u32_e64 v118, null, s5, v20, vcc_lo
	v_add_co_u32 v119, vcc_lo, s4, v17
	v_add_nc_u32_e32 v133, s15, v129
	v_lshlrev_b64 v[43:44], 4, v[29:30]
	v_ashrrev_i32_e32 v130, 31, v129
	v_add_co_ci_u32_e64 v120, null, s5, v18, vcc_lo
	v_add_co_u32 v121, vcc_lo, s4, v27
	v_lshlrev_b64 v[41:42], 4, v[41:42]
	v_add_co_ci_u32_e64 v122, null, s5, v28, vcc_lo
	v_add_co_u32 v123, vcc_lo, s4, v25
	v_lshlrev_b64 v[131:132], 4, v[49:50]
	v_add_nc_u32_e32 v137, s15, v133
	v_add_co_ci_u32_e64 v124, null, s5, v26, vcc_lo
	v_add_co_u32 v125, vcc_lo, s4, v43
	v_lshlrev_b64 v[135:136], 4, v[129:130]
	v_add_co_ci_u32_e64 v126, null, s5, v44, vcc_lo
	v_add_co_u32 v127, vcc_lo, s4, v41
	v_ashrrev_i32_e32 v138, 31, v137
	v_add_nc_u32_e32 v139, s15, v137
	v_add_co_ci_u32_e64 v128, null, s5, v42, vcc_lo
	v_add_co_u32 v129, vcc_lo, s4, v131
	v_add_co_ci_u32_e64 v130, null, s5, v132, vcc_lo
	v_add_co_u32 v131, vcc_lo, s4, v135
	v_add_co_ci_u32_e64 v132, null, s5, v136, vcc_lo
	v_lshlrev_b64 v[135:136], 4, v[137:138]
	v_add_nc_u32_e32 v137, s15, v139
	v_ashrrev_i32_e32 v134, 31, v133
	v_ashrrev_i32_e32 v140, 31, v139
	s_clause 0x2
	global_load_dwordx4 v[5:8], v[109:110], off
	global_load_dwordx4 v[9:12], v[111:112], off
	;; [unrolled: 1-line block ×3, first 2 shown]
	v_add_nc_u32_e32 v141, s15, v137
	v_lshlrev_b64 v[133:134], 4, v[133:134]
	v_ashrrev_i32_e32 v138, 31, v137
	v_lshlrev_b64 v[139:140], 4, v[139:140]
	s_clause 0x1
	global_load_dwordx4 v[17:20], v[115:116], off
	global_load_dwordx4 v[21:24], v[117:118], off
	v_add_nc_u32_e32 v145, s15, v141
	v_ashrrev_i32_e32 v142, 31, v141
	v_add_co_u32 v133, vcc_lo, s4, v133
	v_lshlrev_b64 v[143:144], 4, v[137:138]
	v_add_co_ci_u32_e64 v134, null, s5, v134, vcc_lo
	v_add_co_u32 v135, vcc_lo, s4, v135
	v_ashrrev_i32_e32 v146, 31, v145
	v_add_nc_u32_e32 v147, s15, v145
	v_add_co_ci_u32_e64 v136, null, s5, v136, vcc_lo
	v_add_co_u32 v137, vcc_lo, s4, v139
	v_add_co_ci_u32_e64 v138, null, s5, v140, vcc_lo
	v_add_co_u32 v139, vcc_lo, s4, v143
	v_add_co_ci_u32_e64 v140, null, s5, v144, vcc_lo
	v_lshlrev_b64 v[143:144], 4, v[145:146]
	v_add_nc_u32_e32 v145, s15, v147
	v_ashrrev_i32_e32 v148, 31, v147
	v_lshlrev_b64 v[141:142], 4, v[141:142]
	s_clause 0x3
	global_load_dwordx4 v[25:28], v[119:120], off
	global_load_dwordx4 v[29:32], v[121:122], off
	;; [unrolled: 1-line block ×4, first 2 shown]
	v_add_nc_u32_e32 v149, s15, v145
	v_ashrrev_i32_e32 v146, 31, v145
	v_lshlrev_b64 v[147:148], 4, v[147:148]
	v_add_co_u32 v141, vcc_lo, s4, v141
	v_add_nc_u32_e32 v153, s15, v149
	v_lshlrev_b64 v[151:152], 4, v[145:146]
	v_add_co_ci_u32_e64 v142, null, s5, v142, vcc_lo
	v_add_co_u32 v143, vcc_lo, s4, v143
	v_ashrrev_i32_e32 v154, 31, v153
	v_add_nc_u32_e32 v155, s15, v153
	v_add_co_ci_u32_e64 v144, null, s5, v144, vcc_lo
	v_add_co_u32 v145, vcc_lo, s4, v147
	v_add_co_ci_u32_e64 v146, null, s5, v148, vcc_lo
	v_add_co_u32 v147, vcc_lo, s4, v151
	v_add_co_ci_u32_e64 v148, null, s5, v152, vcc_lo
	v_lshlrev_b64 v[151:152], 4, v[153:154]
	v_add_nc_u32_e32 v153, s15, v155
	v_ashrrev_i32_e32 v150, 31, v149
	v_ashrrev_i32_e32 v156, 31, v155
	s_clause 0x3
	global_load_dwordx4 v[164:167], v[127:128], off
	global_load_dwordx4 v[168:171], v[129:130], off
	;; [unrolled: 1-line block ×4, first 2 shown]
	v_add_nc_u32_e32 v157, s15, v153
	v_lshlrev_b64 v[149:150], 4, v[149:150]
	v_ashrrev_i32_e32 v154, 31, v153
	v_lshlrev_b64 v[155:156], 4, v[155:156]
	s_movk_i32 s54, 0x190
	v_add_nc_u32_e32 v161, s15, v157
	v_ashrrev_i32_e32 v158, 31, v157
	v_add_co_u32 v149, vcc_lo, s4, v149
	v_lshlrev_b64 v[159:160], 4, v[153:154]
	v_add_nc_u32_e32 v180, s15, v161
	v_add_co_ci_u32_e64 v150, null, s5, v150, vcc_lo
	v_add_co_u32 v151, vcc_lo, s4, v151
	v_ashrrev_i32_e32 v162, 31, v161
	v_add_co_ci_u32_e64 v152, null, s5, v152, vcc_lo
	v_add_co_u32 v153, vcc_lo, s4, v155
	v_ashrrev_i32_e32 v181, 31, v180
	v_add_co_ci_u32_e64 v154, null, s5, v156, vcc_lo
	v_lshlrev_b64 v[157:158], 4, v[157:158]
	v_add_co_u32 v155, vcc_lo, s4, v159
	v_add_co_ci_u32_e64 v156, null, s5, v160, vcc_lo
	v_lshlrev_b64 v[159:160], 4, v[161:162]
	v_lshlrev_b64 v[180:181], 4, v[180:181]
	v_add_co_u32 v157, vcc_lo, s4, v157
	v_add_co_ci_u32_e64 v158, null, s5, v158, vcc_lo
	v_add_co_u32 v161, vcc_lo, s4, v159
	v_add_co_ci_u32_e64 v162, null, s5, v160, vcc_lo
	v_add_co_u32 v159, vcc_lo, s4, v180
	v_add_co_ci_u32_e64 v160, null, s5, v181, vcc_lo
	s_clause 0x1
	global_load_dwordx4 v[180:183], v[135:136], off
	global_load_dwordx4 v[184:187], v[137:138], off
	s_movk_i32 s4, 0x50
	s_movk_i32 s5, 0x60
	s_add_i32 s46, s4, 16
	s_movk_i32 s4, 0x220
	s_add_i32 s45, s5, 16
	s_add_i32 s27, s4, 16
	s_movk_i32 s4, 0x230
	s_movk_i32 s5, 0x240
	s_movk_i32 s15, 0xc0
	s_movk_i32 s55, 0x1a0
	s_movk_i32 s56, 0x1b0
	s_movk_i32 s57, 0x1c0
	s_movk_i32 s58, 0x1d0
	s_movk_i32 s59, 0x1e0
	s_movk_i32 s60, 0x1f0
	s_movk_i32 s61, 0x200
	s_movk_i32 s62, 0x210
	s_add_i32 s33, s23, 16
	s_add_i32 s30, s25, 16
	;; [unrolled: 1-line block ×4, first 2 shown]
	s_movk_i32 s4, 0x250
	s_movk_i32 s5, 0x260
	s_add_i32 s44, s8, 16
	s_add_i32 s43, s9, 16
	;; [unrolled: 1-line block ×5, first 2 shown]
	s_waitcnt vmcnt(26)
	buffer_store_dword v4, off, s[0:3], 0 offset:28
	buffer_store_dword v3, off, s[0:3], 0 offset:24
	buffer_store_dword v2, off, s[0:3], 0 offset:20
	buffer_store_dword v1, off, s[0:3], 0 offset:16
	s_waitcnt vmcnt(25)
	buffer_store_dword v36, off, s[0:3], 0 offset:44
	buffer_store_dword v35, off, s[0:3], 0 offset:40
	buffer_store_dword v34, off, s[0:3], 0 offset:36
	buffer_store_dword v33, off, s[0:3], 0 offset:32
	s_clause 0x1
	global_load_dwordx4 v[1:4], v[139:140], off
	global_load_dwordx4 v[33:36], v[141:142], off
	s_waitcnt vmcnt(26)
	buffer_store_dword v40, off, s[0:3], 0 offset:60
	buffer_store_dword v39, off, s[0:3], 0 offset:56
	buffer_store_dword v38, off, s[0:3], 0 offset:52
	buffer_store_dword v37, off, s[0:3], 0 offset:48
	s_waitcnt vmcnt(25)
	buffer_store_dword v48, off, s[0:3], 0 offset:76
	buffer_store_dword v47, off, s[0:3], 0 offset:72
	buffer_store_dword v46, off, s[0:3], 0 offset:68
	buffer_store_dword v45, off, s[0:3], 0 offset:64
	s_clause 0x1
	global_load_dwordx4 v[37:40], v[143:144], off
	global_load_dwordx4 v[45:48], v[145:146], off
	;; [unrolled: 13-line block ×4, first 2 shown]
	s_waitcnt vmcnt(26)
	buffer_store_dword v72, off, s[0:3], 0 offset:156
	buffer_store_dword v71, off, s[0:3], 0 offset:152
	buffer_store_dword v70, off, s[0:3], 0 offset:148
	buffer_store_dword v69, off, s[0:3], 0 offset:144
	global_load_dwordx4 v[69:72], v[155:156], off
	s_waitcnt vmcnt(26)
	buffer_store_dword v73, off, s[0:3], 0 offset:160
	buffer_store_dword v74, off, s[0:3], 0 offset:164
	buffer_store_dword v75, off, s[0:3], 0 offset:168
	buffer_store_dword v76, off, s[0:3], 0 offset:172
	global_load_dwordx4 v[73:76], v[157:158], off
	;; [unrolled: 6-line block ×4, first 2 shown]
	s_add_i32 s39, s15, 16
	s_add_i32 s38, s16, 16
	;; [unrolled: 1-line block ×20, first 2 shown]
	s_mov_b32 s50, 32
	s_mov_b32 s49, 48
	;; [unrolled: 1-line block ×3, first 2 shown]
	s_movk_i32 s47, 0x50
	s_bitcmp0_b32 s52, 0
	s_mov_b32 s5, -1
	s_waitcnt vmcnt(26)
	buffer_store_dword v8, off, s[0:3], 0 offset:220
	buffer_store_dword v7, off, s[0:3], 0 offset:216
	buffer_store_dword v6, off, s[0:3], 0 offset:212
	buffer_store_dword v5, off, s[0:3], 0 offset:208
	s_waitcnt vmcnt(25)
	buffer_store_dword v12, off, s[0:3], 0 offset:236
	buffer_store_dword v11, off, s[0:3], 0 offset:232
	buffer_store_dword v10, off, s[0:3], 0 offset:228
	buffer_store_dword v9, off, s[0:3], 0 offset:224
	;; [unrolled: 5-line block ×27, first 2 shown]
	s_cbranch_scc1 .LBB38_168
; %bb.4:
	v_cmp_eq_u32_e64 s4, 0, v0
	s_and_saveexec_b32 s5, s4
; %bb.5:
	v_mov_b32_e32 v1, 0
	ds_write_b32 v1, v1 offset:1248
; %bb.6:
	s_or_b32 exec_lo, exec_lo, s5
	v_lshl_add_u32 v11, v0, 4, 16
	s_waitcnt lgkmcnt(0)
	s_waitcnt_vscnt null, 0x0
	s_barrier
	buffer_gl0_inv
	s_clause 0x3
	buffer_load_dword v1, v11, s[0:3], 0 offen
	buffer_load_dword v2, v11, s[0:3], 0 offen offset:4
	buffer_load_dword v3, v11, s[0:3], 0 offen offset:8
	;; [unrolled: 1-line block ×3, first 2 shown]
	s_waitcnt vmcnt(2)
	v_cmp_eq_f64_e32 vcc_lo, 0, v[1:2]
	s_waitcnt vmcnt(0)
	v_cmp_eq_f64_e64 s5, 0, v[3:4]
	s_and_b32 s5, vcc_lo, s5
	s_and_saveexec_b32 s52, s5
	s_cbranch_execz .LBB38_10
; %bb.7:
	v_mov_b32_e32 v1, 0
	s_mov_b32 s53, 0
	ds_read_b32 v2, v1 offset:1248
	s_waitcnt lgkmcnt(0)
	v_readfirstlane_b32 s5, v2
	v_add_nc_u32_e32 v2, 1, v0
	s_cmp_eq_u32 s5, 0
	v_cmp_gt_i32_e32 vcc_lo, s5, v2
	s_cselect_b32 s54, -1, 0
	s_or_b32 s54, s54, vcc_lo
	s_and_b32 exec_lo, exec_lo, s54
	s_cbranch_execz .LBB38_10
; %bb.8:
	v_mov_b32_e32 v3, s5
.LBB38_9:                               ; =>This Inner Loop Header: Depth=1
	ds_cmpst_rtn_b32 v3, v1, v3, v2 offset:1248
	s_waitcnt lgkmcnt(0)
	v_cmp_ne_u32_e32 vcc_lo, 0, v3
	v_cmp_le_i32_e64 s5, v3, v2
	s_and_b32 s5, vcc_lo, s5
	s_and_b32 s5, exec_lo, s5
	s_or_b32 s53, s5, s53
	s_andn2_b32 exec_lo, exec_lo, s53
	s_cbranch_execnz .LBB38_9
.LBB38_10:
	s_or_b32 exec_lo, exec_lo, s52
	v_mov_b32_e32 v1, 0
	s_barrier
	buffer_gl0_inv
	ds_read_b32 v2, v1 offset:1248
	s_and_saveexec_b32 s5, s4
	s_cbranch_execz .LBB38_12
; %bb.11:
	s_lshl_b64 s[52:53], s[6:7], 2
	s_add_u32 s52, s10, s52
	s_addc_u32 s53, s11, s53
	s_waitcnt lgkmcnt(0)
	global_store_dword v1, v2, s[52:53]
.LBB38_12:
	s_or_b32 exec_lo, exec_lo, s5
	s_waitcnt lgkmcnt(0)
	v_cmp_ne_u32_e32 vcc_lo, 0, v2
	s_mov_b32 s5, 0
	s_cbranch_vccnz .LBB38_168
; %bb.13:
	s_clause 0x3
	buffer_load_dword v7, v11, s[0:3], 0 offen
	buffer_load_dword v8, v11, s[0:3], 0 offen offset:4
	buffer_load_dword v9, v11, s[0:3], 0 offen offset:8
	;; [unrolled: 1-line block ×3, first 2 shown]
                                        ; implicit-def: $vgpr5_vgpr6
                                        ; implicit-def: $vgpr3_vgpr4
	s_waitcnt vmcnt(0)
	v_cmp_ngt_f64_e64 s5, |v[7:8]|, |v[9:10]|
	s_and_saveexec_b32 s52, s5
	s_xor_b32 s5, exec_lo, s52
	s_cbranch_execz .LBB38_15
; %bb.14:
	v_div_scale_f64 v[1:2], null, v[9:10], v[9:10], v[7:8]
	v_div_scale_f64 v[12:13], vcc_lo, v[7:8], v[9:10], v[7:8]
	v_rcp_f64_e32 v[3:4], v[1:2]
	v_fma_f64 v[5:6], -v[1:2], v[3:4], 1.0
	v_fma_f64 v[3:4], v[3:4], v[5:6], v[3:4]
	v_fma_f64 v[5:6], -v[1:2], v[3:4], 1.0
	v_fma_f64 v[3:4], v[3:4], v[5:6], v[3:4]
	v_mul_f64 v[5:6], v[12:13], v[3:4]
	v_fma_f64 v[1:2], -v[1:2], v[5:6], v[12:13]
	v_div_fmas_f64 v[1:2], v[1:2], v[3:4], v[5:6]
	v_div_fixup_f64 v[1:2], v[1:2], v[9:10], v[7:8]
	v_fma_f64 v[3:4], v[7:8], v[1:2], v[9:10]
	v_div_scale_f64 v[5:6], null, v[3:4], v[3:4], 1.0
	v_div_scale_f64 v[12:13], vcc_lo, 1.0, v[3:4], 1.0
	v_rcp_f64_e32 v[7:8], v[5:6]
	v_fma_f64 v[9:10], -v[5:6], v[7:8], 1.0
	v_fma_f64 v[7:8], v[7:8], v[9:10], v[7:8]
	v_fma_f64 v[9:10], -v[5:6], v[7:8], 1.0
	v_fma_f64 v[7:8], v[7:8], v[9:10], v[7:8]
	v_mul_f64 v[9:10], v[12:13], v[7:8]
	v_fma_f64 v[5:6], -v[5:6], v[9:10], v[12:13]
	v_div_fmas_f64 v[5:6], v[5:6], v[7:8], v[9:10]
                                        ; implicit-def: $vgpr7_vgpr8
                                        ; implicit-def: $vgpr9_vgpr10
	v_div_fixup_f64 v[3:4], v[5:6], v[3:4], 1.0
	v_mul_f64 v[5:6], v[1:2], v[3:4]
	v_xor_b32_e32 v4, 0x80000000, v4
	v_xor_b32_e32 v2, 0x80000000, v6
	v_mov_b32_e32 v1, v5
.LBB38_15:
	s_andn2_saveexec_b32 s5, s5
	s_cbranch_execz .LBB38_17
; %bb.16:
	v_div_scale_f64 v[1:2], null, v[7:8], v[7:8], v[9:10]
	v_div_scale_f64 v[12:13], vcc_lo, v[9:10], v[7:8], v[9:10]
	v_rcp_f64_e32 v[3:4], v[1:2]
	v_fma_f64 v[5:6], -v[1:2], v[3:4], 1.0
	v_fma_f64 v[3:4], v[3:4], v[5:6], v[3:4]
	v_fma_f64 v[5:6], -v[1:2], v[3:4], 1.0
	v_fma_f64 v[3:4], v[3:4], v[5:6], v[3:4]
	v_mul_f64 v[5:6], v[12:13], v[3:4]
	v_fma_f64 v[1:2], -v[1:2], v[5:6], v[12:13]
	v_div_fmas_f64 v[1:2], v[1:2], v[3:4], v[5:6]
	v_div_fixup_f64 v[1:2], v[1:2], v[7:8], v[9:10]
	v_fma_f64 v[3:4], v[9:10], v[1:2], v[7:8]
	v_div_scale_f64 v[5:6], null, v[3:4], v[3:4], 1.0
	v_rcp_f64_e32 v[7:8], v[5:6]
	v_fma_f64 v[9:10], -v[5:6], v[7:8], 1.0
	v_fma_f64 v[7:8], v[7:8], v[9:10], v[7:8]
	v_fma_f64 v[9:10], -v[5:6], v[7:8], 1.0
	v_fma_f64 v[7:8], v[7:8], v[9:10], v[7:8]
	v_div_scale_f64 v[9:10], vcc_lo, 1.0, v[3:4], 1.0
	v_mul_f64 v[12:13], v[9:10], v[7:8]
	v_fma_f64 v[5:6], -v[5:6], v[12:13], v[9:10]
	v_div_fmas_f64 v[5:6], v[5:6], v[7:8], v[12:13]
	v_div_fixup_f64 v[5:6], v[5:6], v[3:4], 1.0
	v_mul_f64 v[3:4], v[1:2], -v[5:6]
	v_xor_b32_e32 v2, 0x80000000, v6
	v_mov_b32_e32 v1, v5
.LBB38_17:
	s_or_b32 exec_lo, exec_lo, s5
	v_mov_b32_e32 v10, s50
	buffer_store_dword v6, v11, s[0:3], 0 offen offset:4
	buffer_store_dword v5, v11, s[0:3], 0 offen
	buffer_store_dword v4, v11, s[0:3], 0 offen offset:12
	buffer_store_dword v3, v11, s[0:3], 0 offen offset:8
	v_xor_b32_e32 v4, 0x80000000, v4
	v_add_nc_u32_e32 v5, 0x270, v163
	s_clause 0x3
	buffer_load_dword v9, v10, s[0:3], 0 offen offset:12
	buffer_load_dword v8, v10, s[0:3], 0 offen offset:8
	;; [unrolled: 1-line block ×3, first 2 shown]
	buffer_load_dword v6, v10, s[0:3], 0 offen
	ds_write_b128 v163, v[1:4]
	s_waitcnt vmcnt(0)
	ds_write_b128 v163, v[6:9] offset:624
	s_waitcnt lgkmcnt(0)
	s_waitcnt_vscnt null, 0x0
	s_barrier
	buffer_gl0_inv
	s_and_saveexec_b32 s5, s4
	s_cbranch_execz .LBB38_19
; %bb.18:
	s_clause 0x3
	buffer_load_dword v12, v11, s[0:3], 0 offen offset:8
	buffer_load_dword v13, v11, s[0:3], 0 offen offset:12
	buffer_load_dword v14, v11, s[0:3], 0 offen
	buffer_load_dword v15, v11, s[0:3], 0 offen offset:4
	ds_read_b128 v[1:4], v5
	v_mov_b32_e32 v6, 0
	ds_read_b128 v[6:9], v6 offset:16
	s_waitcnt vmcnt(2) lgkmcnt(1)
	v_mul_f64 v[16:17], v[1:2], v[12:13]
	v_mul_f64 v[12:13], v[3:4], v[12:13]
	s_waitcnt vmcnt(0)
	v_fma_f64 v[3:4], v[3:4], v[14:15], v[16:17]
	v_fma_f64 v[1:2], v[1:2], v[14:15], -v[12:13]
	v_add_f64 v[3:4], v[3:4], 0
	v_add_f64 v[1:2], v[1:2], 0
	s_waitcnt lgkmcnt(0)
	v_mul_f64 v[12:13], v[3:4], v[8:9]
	v_mul_f64 v[8:9], v[1:2], v[8:9]
	v_fma_f64 v[1:2], v[1:2], v[6:7], -v[12:13]
	v_fma_f64 v[3:4], v[3:4], v[6:7], v[8:9]
	buffer_store_dword v1, off, s[0:3], 0 offset:32
	buffer_store_dword v2, off, s[0:3], 0 offset:36
	;; [unrolled: 1-line block ×4, first 2 shown]
.LBB38_19:
	s_or_b32 exec_lo, exec_lo, s5
	v_mov_b32_e32 v4, s49
	s_waitcnt_vscnt null, 0x0
	s_barrier
	buffer_gl0_inv
	s_mov_b32 s5, exec_lo
	s_clause 0x3
	buffer_load_dword v1, v4, s[0:3], 0 offen
	buffer_load_dword v2, v4, s[0:3], 0 offen offset:4
	buffer_load_dword v3, v4, s[0:3], 0 offen offset:8
	;; [unrolled: 1-line block ×3, first 2 shown]
	s_waitcnt vmcnt(0)
	ds_write_b128 v5, v[1:4]
	s_waitcnt lgkmcnt(0)
	s_barrier
	buffer_gl0_inv
	v_cmpx_gt_u32_e32 2, v0
	s_cbranch_execz .LBB38_23
; %bb.20:
	s_clause 0x3
	buffer_load_dword v6, v11, s[0:3], 0 offen offset:8
	buffer_load_dword v7, v11, s[0:3], 0 offen offset:12
	buffer_load_dword v8, v11, s[0:3], 0 offen
	buffer_load_dword v9, v11, s[0:3], 0 offen offset:4
	ds_read_b128 v[1:4], v5
	s_waitcnt vmcnt(2) lgkmcnt(0)
	v_mul_f64 v[10:11], v[3:4], v[6:7]
	v_mul_f64 v[6:7], v[1:2], v[6:7]
	s_waitcnt vmcnt(0)
	v_fma_f64 v[1:2], v[1:2], v[8:9], -v[10:11]
	v_fma_f64 v[3:4], v[3:4], v[8:9], v[6:7]
	v_add_f64 v[1:2], v[1:2], 0
	v_add_f64 v[3:4], v[3:4], 0
	s_and_saveexec_b32 s52, s4
	s_cbranch_execz .LBB38_22
; %bb.21:
	s_clause 0x3
	buffer_load_dword v10, off, s[0:3], 0 offset:40
	buffer_load_dword v11, off, s[0:3], 0 offset:44
	;; [unrolled: 1-line block ×4, first 2 shown]
	v_mov_b32_e32 v6, 0
	ds_read_b128 v[6:9], v6 offset:640
	s_waitcnt vmcnt(2) lgkmcnt(0)
	v_mul_f64 v[14:15], v[6:7], v[10:11]
	v_mul_f64 v[10:11], v[8:9], v[10:11]
	s_waitcnt vmcnt(0)
	v_fma_f64 v[8:9], v[8:9], v[12:13], v[14:15]
	v_fma_f64 v[6:7], v[6:7], v[12:13], -v[10:11]
	v_add_f64 v[3:4], v[3:4], v[8:9]
	v_add_f64 v[1:2], v[1:2], v[6:7]
.LBB38_22:
	s_or_b32 exec_lo, exec_lo, s52
	v_mov_b32_e32 v6, 0
	ds_read_b128 v[6:9], v6 offset:32
	s_waitcnt lgkmcnt(0)
	v_mul_f64 v[10:11], v[3:4], v[8:9]
	v_mul_f64 v[8:9], v[1:2], v[8:9]
	v_fma_f64 v[1:2], v[1:2], v[6:7], -v[10:11]
	v_fma_f64 v[3:4], v[3:4], v[6:7], v[8:9]
	buffer_store_dword v2, off, s[0:3], 0 offset:52
	buffer_store_dword v1, off, s[0:3], 0 offset:48
	;; [unrolled: 1-line block ×4, first 2 shown]
.LBB38_23:
	s_or_b32 exec_lo, exec_lo, s5
	v_mov_b32_e32 v4, s48
	s_waitcnt_vscnt null, 0x0
	s_barrier
	buffer_gl0_inv
	v_add_nc_u32_e32 v6, -1, v0
	s_clause 0x3
	buffer_load_dword v1, v4, s[0:3], 0 offen
	buffer_load_dword v2, v4, s[0:3], 0 offen offset:4
	buffer_load_dword v3, v4, s[0:3], 0 offen offset:8
	buffer_load_dword v4, v4, s[0:3], 0 offen offset:12
	s_mov_b32 s4, exec_lo
	s_waitcnt vmcnt(0)
	ds_write_b128 v5, v[1:4]
	s_waitcnt lgkmcnt(0)
	s_barrier
	buffer_gl0_inv
	v_cmpx_gt_u32_e32 3, v0
	s_cbranch_execz .LBB38_27
; %bb.24:
	v_mov_b32_e32 v1, 0
	v_mov_b32_e32 v3, 0
	v_add_nc_u32_e32 v7, -1, v0
	v_add_nc_u32_e32 v8, 0x270, v163
	v_mov_b32_e32 v2, 0
	v_mov_b32_e32 v4, 0
	v_add_nc_u32_e32 v9, 16, v163
	s_mov_b32 s5, 0
	.p2align	6
.LBB38_25:                              ; =>This Inner Loop Header: Depth=1
	s_clause 0x3
	buffer_load_dword v14, v9, s[0:3], 0 offen offset:8
	buffer_load_dword v15, v9, s[0:3], 0 offen offset:12
	buffer_load_dword v16, v9, s[0:3], 0 offen
	buffer_load_dword v17, v9, s[0:3], 0 offen offset:4
	ds_read_b128 v[10:13], v8
	v_add_nc_u32_e32 v7, 1, v7
	v_add_nc_u32_e32 v8, 16, v8
	;; [unrolled: 1-line block ×3, first 2 shown]
	v_cmp_lt_u32_e32 vcc_lo, 1, v7
	s_or_b32 s5, vcc_lo, s5
	s_waitcnt vmcnt(2) lgkmcnt(0)
	v_mul_f64 v[18:19], v[12:13], v[14:15]
	v_mul_f64 v[14:15], v[10:11], v[14:15]
	s_waitcnt vmcnt(0)
	v_fma_f64 v[10:11], v[10:11], v[16:17], -v[18:19]
	v_fma_f64 v[12:13], v[12:13], v[16:17], v[14:15]
	v_add_f64 v[3:4], v[3:4], v[10:11]
	v_add_f64 v[1:2], v[1:2], v[12:13]
	s_andn2_b32 exec_lo, exec_lo, s5
	s_cbranch_execnz .LBB38_25
; %bb.26:
	s_or_b32 exec_lo, exec_lo, s5
	v_mov_b32_e32 v7, 0
	ds_read_b128 v[7:10], v7 offset:48
	s_waitcnt lgkmcnt(0)
	v_mul_f64 v[11:12], v[1:2], v[9:10]
	v_mul_f64 v[9:10], v[3:4], v[9:10]
	v_fma_f64 v[3:4], v[3:4], v[7:8], -v[11:12]
	v_fma_f64 v[1:2], v[1:2], v[7:8], v[9:10]
	buffer_store_dword v4, off, s[0:3], 0 offset:68
	buffer_store_dword v3, off, s[0:3], 0 offset:64
	;; [unrolled: 1-line block ×4, first 2 shown]
.LBB38_27:
	s_or_b32 exec_lo, exec_lo, s4
	v_mov_b32_e32 v4, s47
	s_waitcnt_vscnt null, 0x0
	s_barrier
	buffer_gl0_inv
	s_mov_b32 s4, exec_lo
	s_clause 0x3
	buffer_load_dword v1, v4, s[0:3], 0 offen
	buffer_load_dword v2, v4, s[0:3], 0 offen offset:4
	buffer_load_dword v3, v4, s[0:3], 0 offen offset:8
	;; [unrolled: 1-line block ×3, first 2 shown]
	s_waitcnt vmcnt(0)
	ds_write_b128 v5, v[1:4]
	s_waitcnt lgkmcnt(0)
	s_barrier
	buffer_gl0_inv
	v_cmpx_gt_u32_e32 4, v0
	s_cbranch_execz .LBB38_31
; %bb.28:
	v_mov_b32_e32 v1, 0
	v_mov_b32_e32 v3, 0
	v_add_nc_u32_e32 v7, -1, v0
	v_add_nc_u32_e32 v8, 0x270, v163
	v_mov_b32_e32 v2, 0
	v_mov_b32_e32 v4, 0
	v_add_nc_u32_e32 v9, 16, v163
	s_mov_b32 s5, 0
	.p2align	6
.LBB38_29:                              ; =>This Inner Loop Header: Depth=1
	s_clause 0x3
	buffer_load_dword v14, v9, s[0:3], 0 offen offset:8
	buffer_load_dword v15, v9, s[0:3], 0 offen offset:12
	buffer_load_dword v16, v9, s[0:3], 0 offen
	buffer_load_dword v17, v9, s[0:3], 0 offen offset:4
	ds_read_b128 v[10:13], v8
	v_add_nc_u32_e32 v7, 1, v7
	v_add_nc_u32_e32 v8, 16, v8
	;; [unrolled: 1-line block ×3, first 2 shown]
	v_cmp_lt_u32_e32 vcc_lo, 2, v7
	s_or_b32 s5, vcc_lo, s5
	s_waitcnt vmcnt(2) lgkmcnt(0)
	v_mul_f64 v[18:19], v[12:13], v[14:15]
	v_mul_f64 v[14:15], v[10:11], v[14:15]
	s_waitcnt vmcnt(0)
	v_fma_f64 v[10:11], v[10:11], v[16:17], -v[18:19]
	v_fma_f64 v[12:13], v[12:13], v[16:17], v[14:15]
	v_add_f64 v[3:4], v[3:4], v[10:11]
	v_add_f64 v[1:2], v[1:2], v[12:13]
	s_andn2_b32 exec_lo, exec_lo, s5
	s_cbranch_execnz .LBB38_29
; %bb.30:
	s_or_b32 exec_lo, exec_lo, s5
	v_mov_b32_e32 v7, 0
	ds_read_b128 v[7:10], v7 offset:64
	s_waitcnt lgkmcnt(0)
	v_mul_f64 v[11:12], v[1:2], v[9:10]
	v_mul_f64 v[9:10], v[3:4], v[9:10]
	v_fma_f64 v[3:4], v[3:4], v[7:8], -v[11:12]
	v_fma_f64 v[1:2], v[1:2], v[7:8], v[9:10]
	buffer_store_dword v4, off, s[0:3], 0 offset:84
	buffer_store_dword v3, off, s[0:3], 0 offset:80
	buffer_store_dword v2, off, s[0:3], 0 offset:92
	buffer_store_dword v1, off, s[0:3], 0 offset:88
.LBB38_31:
	s_or_b32 exec_lo, exec_lo, s4
	v_mov_b32_e32 v4, s46
	s_waitcnt_vscnt null, 0x0
	s_barrier
	buffer_gl0_inv
	s_mov_b32 s4, exec_lo
	s_clause 0x3
	buffer_load_dword v1, v4, s[0:3], 0 offen
	buffer_load_dword v2, v4, s[0:3], 0 offen offset:4
	buffer_load_dword v3, v4, s[0:3], 0 offen offset:8
	buffer_load_dword v4, v4, s[0:3], 0 offen offset:12
	s_waitcnt vmcnt(0)
	ds_write_b128 v5, v[1:4]
	s_waitcnt lgkmcnt(0)
	s_barrier
	buffer_gl0_inv
	v_cmpx_gt_u32_e32 5, v0
	s_cbranch_execz .LBB38_35
; %bb.32:
	v_mov_b32_e32 v1, 0
	v_mov_b32_e32 v3, 0
	v_add_nc_u32_e32 v7, -1, v0
	v_add_nc_u32_e32 v8, 0x270, v163
	v_mov_b32_e32 v2, 0
	v_mov_b32_e32 v4, 0
	v_add_nc_u32_e32 v9, 16, v163
	s_mov_b32 s5, 0
	.p2align	6
.LBB38_33:                              ; =>This Inner Loop Header: Depth=1
	s_clause 0x3
	buffer_load_dword v14, v9, s[0:3], 0 offen offset:8
	buffer_load_dword v15, v9, s[0:3], 0 offen offset:12
	buffer_load_dword v16, v9, s[0:3], 0 offen
	buffer_load_dword v17, v9, s[0:3], 0 offen offset:4
	ds_read_b128 v[10:13], v8
	v_add_nc_u32_e32 v7, 1, v7
	v_add_nc_u32_e32 v8, 16, v8
	;; [unrolled: 1-line block ×3, first 2 shown]
	v_cmp_lt_u32_e32 vcc_lo, 3, v7
	s_or_b32 s5, vcc_lo, s5
	s_waitcnt vmcnt(2) lgkmcnt(0)
	v_mul_f64 v[18:19], v[12:13], v[14:15]
	v_mul_f64 v[14:15], v[10:11], v[14:15]
	s_waitcnt vmcnt(0)
	v_fma_f64 v[10:11], v[10:11], v[16:17], -v[18:19]
	v_fma_f64 v[12:13], v[12:13], v[16:17], v[14:15]
	v_add_f64 v[3:4], v[3:4], v[10:11]
	v_add_f64 v[1:2], v[1:2], v[12:13]
	s_andn2_b32 exec_lo, exec_lo, s5
	s_cbranch_execnz .LBB38_33
; %bb.34:
	s_or_b32 exec_lo, exec_lo, s5
	v_mov_b32_e32 v7, 0
	ds_read_b128 v[7:10], v7 offset:80
	s_waitcnt lgkmcnt(0)
	v_mul_f64 v[11:12], v[1:2], v[9:10]
	v_mul_f64 v[9:10], v[3:4], v[9:10]
	v_fma_f64 v[3:4], v[3:4], v[7:8], -v[11:12]
	v_fma_f64 v[1:2], v[1:2], v[7:8], v[9:10]
	buffer_store_dword v4, off, s[0:3], 0 offset:100
	buffer_store_dword v3, off, s[0:3], 0 offset:96
	;; [unrolled: 1-line block ×4, first 2 shown]
.LBB38_35:
	s_or_b32 exec_lo, exec_lo, s4
	v_mov_b32_e32 v4, s45
	s_waitcnt_vscnt null, 0x0
	s_barrier
	buffer_gl0_inv
	s_mov_b32 s4, exec_lo
	s_clause 0x3
	buffer_load_dword v1, v4, s[0:3], 0 offen
	buffer_load_dword v2, v4, s[0:3], 0 offen offset:4
	buffer_load_dword v3, v4, s[0:3], 0 offen offset:8
	;; [unrolled: 1-line block ×3, first 2 shown]
	s_waitcnt vmcnt(0)
	ds_write_b128 v5, v[1:4]
	s_waitcnt lgkmcnt(0)
	s_barrier
	buffer_gl0_inv
	v_cmpx_gt_u32_e32 6, v0
	s_cbranch_execz .LBB38_39
; %bb.36:
	v_mov_b32_e32 v1, 0
	v_mov_b32_e32 v3, 0
	v_add_nc_u32_e32 v7, -1, v0
	v_add_nc_u32_e32 v8, 0x270, v163
	v_mov_b32_e32 v2, 0
	v_mov_b32_e32 v4, 0
	v_add_nc_u32_e32 v9, 16, v163
	s_mov_b32 s5, 0
	.p2align	6
.LBB38_37:                              ; =>This Inner Loop Header: Depth=1
	s_clause 0x3
	buffer_load_dword v14, v9, s[0:3], 0 offen offset:8
	buffer_load_dword v15, v9, s[0:3], 0 offen offset:12
	buffer_load_dword v16, v9, s[0:3], 0 offen
	buffer_load_dword v17, v9, s[0:3], 0 offen offset:4
	ds_read_b128 v[10:13], v8
	v_add_nc_u32_e32 v7, 1, v7
	v_add_nc_u32_e32 v8, 16, v8
	;; [unrolled: 1-line block ×3, first 2 shown]
	v_cmp_lt_u32_e32 vcc_lo, 4, v7
	s_or_b32 s5, vcc_lo, s5
	s_waitcnt vmcnt(2) lgkmcnt(0)
	v_mul_f64 v[18:19], v[12:13], v[14:15]
	v_mul_f64 v[14:15], v[10:11], v[14:15]
	s_waitcnt vmcnt(0)
	v_fma_f64 v[10:11], v[10:11], v[16:17], -v[18:19]
	v_fma_f64 v[12:13], v[12:13], v[16:17], v[14:15]
	v_add_f64 v[3:4], v[3:4], v[10:11]
	v_add_f64 v[1:2], v[1:2], v[12:13]
	s_andn2_b32 exec_lo, exec_lo, s5
	s_cbranch_execnz .LBB38_37
; %bb.38:
	s_or_b32 exec_lo, exec_lo, s5
	v_mov_b32_e32 v7, 0
	ds_read_b128 v[7:10], v7 offset:96
	s_waitcnt lgkmcnt(0)
	v_mul_f64 v[11:12], v[1:2], v[9:10]
	v_mul_f64 v[9:10], v[3:4], v[9:10]
	v_fma_f64 v[3:4], v[3:4], v[7:8], -v[11:12]
	v_fma_f64 v[1:2], v[1:2], v[7:8], v[9:10]
	buffer_store_dword v4, off, s[0:3], 0 offset:116
	buffer_store_dword v3, off, s[0:3], 0 offset:112
	;; [unrolled: 1-line block ×4, first 2 shown]
.LBB38_39:
	s_or_b32 exec_lo, exec_lo, s4
	v_mov_b32_e32 v4, s44
	s_waitcnt_vscnt null, 0x0
	s_barrier
	buffer_gl0_inv
	s_mov_b32 s4, exec_lo
	s_clause 0x3
	buffer_load_dword v1, v4, s[0:3], 0 offen
	buffer_load_dword v2, v4, s[0:3], 0 offen offset:4
	buffer_load_dword v3, v4, s[0:3], 0 offen offset:8
	;; [unrolled: 1-line block ×3, first 2 shown]
	s_waitcnt vmcnt(0)
	ds_write_b128 v5, v[1:4]
	s_waitcnt lgkmcnt(0)
	s_barrier
	buffer_gl0_inv
	v_cmpx_gt_u32_e32 7, v0
	s_cbranch_execz .LBB38_43
; %bb.40:
	v_mov_b32_e32 v1, 0
	v_mov_b32_e32 v3, 0
	v_add_nc_u32_e32 v7, -1, v0
	v_add_nc_u32_e32 v8, 0x270, v163
	v_mov_b32_e32 v2, 0
	v_mov_b32_e32 v4, 0
	v_add_nc_u32_e32 v9, 16, v163
	s_mov_b32 s5, 0
	.p2align	6
.LBB38_41:                              ; =>This Inner Loop Header: Depth=1
	s_clause 0x3
	buffer_load_dword v14, v9, s[0:3], 0 offen offset:8
	buffer_load_dword v15, v9, s[0:3], 0 offen offset:12
	buffer_load_dword v16, v9, s[0:3], 0 offen
	buffer_load_dword v17, v9, s[0:3], 0 offen offset:4
	ds_read_b128 v[10:13], v8
	v_add_nc_u32_e32 v7, 1, v7
	v_add_nc_u32_e32 v8, 16, v8
	;; [unrolled: 1-line block ×3, first 2 shown]
	v_cmp_lt_u32_e32 vcc_lo, 5, v7
	s_or_b32 s5, vcc_lo, s5
	s_waitcnt vmcnt(2) lgkmcnt(0)
	v_mul_f64 v[18:19], v[12:13], v[14:15]
	v_mul_f64 v[14:15], v[10:11], v[14:15]
	s_waitcnt vmcnt(0)
	v_fma_f64 v[10:11], v[10:11], v[16:17], -v[18:19]
	v_fma_f64 v[12:13], v[12:13], v[16:17], v[14:15]
	v_add_f64 v[3:4], v[3:4], v[10:11]
	v_add_f64 v[1:2], v[1:2], v[12:13]
	s_andn2_b32 exec_lo, exec_lo, s5
	s_cbranch_execnz .LBB38_41
; %bb.42:
	s_or_b32 exec_lo, exec_lo, s5
	v_mov_b32_e32 v7, 0
	ds_read_b128 v[7:10], v7 offset:112
	s_waitcnt lgkmcnt(0)
	v_mul_f64 v[11:12], v[1:2], v[9:10]
	v_mul_f64 v[9:10], v[3:4], v[9:10]
	v_fma_f64 v[3:4], v[3:4], v[7:8], -v[11:12]
	v_fma_f64 v[1:2], v[1:2], v[7:8], v[9:10]
	buffer_store_dword v4, off, s[0:3], 0 offset:132
	buffer_store_dword v3, off, s[0:3], 0 offset:128
	;; [unrolled: 1-line block ×4, first 2 shown]
.LBB38_43:
	s_or_b32 exec_lo, exec_lo, s4
	v_mov_b32_e32 v4, s43
	s_waitcnt_vscnt null, 0x0
	s_barrier
	buffer_gl0_inv
	s_mov_b32 s4, exec_lo
	s_clause 0x3
	buffer_load_dword v1, v4, s[0:3], 0 offen
	buffer_load_dword v2, v4, s[0:3], 0 offen offset:4
	buffer_load_dword v3, v4, s[0:3], 0 offen offset:8
	;; [unrolled: 1-line block ×3, first 2 shown]
	s_waitcnt vmcnt(0)
	ds_write_b128 v5, v[1:4]
	s_waitcnt lgkmcnt(0)
	s_barrier
	buffer_gl0_inv
	v_cmpx_gt_u32_e32 8, v0
	s_cbranch_execz .LBB38_47
; %bb.44:
	v_mov_b32_e32 v1, 0
	v_mov_b32_e32 v3, 0
	v_add_nc_u32_e32 v7, -1, v0
	v_add_nc_u32_e32 v8, 0x270, v163
	v_mov_b32_e32 v2, 0
	v_mov_b32_e32 v4, 0
	v_add_nc_u32_e32 v9, 16, v163
	s_mov_b32 s5, 0
	.p2align	6
.LBB38_45:                              ; =>This Inner Loop Header: Depth=1
	s_clause 0x3
	buffer_load_dword v14, v9, s[0:3], 0 offen offset:8
	buffer_load_dword v15, v9, s[0:3], 0 offen offset:12
	buffer_load_dword v16, v9, s[0:3], 0 offen
	buffer_load_dword v17, v9, s[0:3], 0 offen offset:4
	ds_read_b128 v[10:13], v8
	v_add_nc_u32_e32 v7, 1, v7
	v_add_nc_u32_e32 v8, 16, v8
	;; [unrolled: 1-line block ×3, first 2 shown]
	v_cmp_lt_u32_e32 vcc_lo, 6, v7
	s_or_b32 s5, vcc_lo, s5
	s_waitcnt vmcnt(2) lgkmcnt(0)
	v_mul_f64 v[18:19], v[12:13], v[14:15]
	v_mul_f64 v[14:15], v[10:11], v[14:15]
	s_waitcnt vmcnt(0)
	v_fma_f64 v[10:11], v[10:11], v[16:17], -v[18:19]
	v_fma_f64 v[12:13], v[12:13], v[16:17], v[14:15]
	v_add_f64 v[3:4], v[3:4], v[10:11]
	v_add_f64 v[1:2], v[1:2], v[12:13]
	s_andn2_b32 exec_lo, exec_lo, s5
	s_cbranch_execnz .LBB38_45
; %bb.46:
	s_or_b32 exec_lo, exec_lo, s5
	v_mov_b32_e32 v7, 0
	ds_read_b128 v[7:10], v7 offset:128
	s_waitcnt lgkmcnt(0)
	v_mul_f64 v[11:12], v[1:2], v[9:10]
	v_mul_f64 v[9:10], v[3:4], v[9:10]
	v_fma_f64 v[3:4], v[3:4], v[7:8], -v[11:12]
	v_fma_f64 v[1:2], v[1:2], v[7:8], v[9:10]
	buffer_store_dword v4, off, s[0:3], 0 offset:148
	buffer_store_dword v3, off, s[0:3], 0 offset:144
	;; [unrolled: 1-line block ×4, first 2 shown]
.LBB38_47:
	s_or_b32 exec_lo, exec_lo, s4
	v_mov_b32_e32 v4, s42
	s_waitcnt_vscnt null, 0x0
	s_barrier
	buffer_gl0_inv
	s_mov_b32 s4, exec_lo
	s_clause 0x3
	buffer_load_dword v1, v4, s[0:3], 0 offen
	buffer_load_dword v2, v4, s[0:3], 0 offen offset:4
	buffer_load_dword v3, v4, s[0:3], 0 offen offset:8
	;; [unrolled: 1-line block ×3, first 2 shown]
	s_waitcnt vmcnt(0)
	ds_write_b128 v5, v[1:4]
	s_waitcnt lgkmcnt(0)
	s_barrier
	buffer_gl0_inv
	v_cmpx_gt_u32_e32 9, v0
	s_cbranch_execz .LBB38_51
; %bb.48:
	v_mov_b32_e32 v1, 0
	v_mov_b32_e32 v3, 0
	v_add_nc_u32_e32 v7, -1, v0
	v_add_nc_u32_e32 v8, 0x270, v163
	v_mov_b32_e32 v2, 0
	v_mov_b32_e32 v4, 0
	v_add_nc_u32_e32 v9, 16, v163
	s_mov_b32 s5, 0
	.p2align	6
.LBB38_49:                              ; =>This Inner Loop Header: Depth=1
	s_clause 0x3
	buffer_load_dword v14, v9, s[0:3], 0 offen offset:8
	buffer_load_dword v15, v9, s[0:3], 0 offen offset:12
	buffer_load_dword v16, v9, s[0:3], 0 offen
	buffer_load_dword v17, v9, s[0:3], 0 offen offset:4
	ds_read_b128 v[10:13], v8
	v_add_nc_u32_e32 v7, 1, v7
	v_add_nc_u32_e32 v8, 16, v8
	v_add_nc_u32_e32 v9, 16, v9
	v_cmp_lt_u32_e32 vcc_lo, 7, v7
	s_or_b32 s5, vcc_lo, s5
	s_waitcnt vmcnt(2) lgkmcnt(0)
	v_mul_f64 v[18:19], v[12:13], v[14:15]
	v_mul_f64 v[14:15], v[10:11], v[14:15]
	s_waitcnt vmcnt(0)
	v_fma_f64 v[10:11], v[10:11], v[16:17], -v[18:19]
	v_fma_f64 v[12:13], v[12:13], v[16:17], v[14:15]
	v_add_f64 v[3:4], v[3:4], v[10:11]
	v_add_f64 v[1:2], v[1:2], v[12:13]
	s_andn2_b32 exec_lo, exec_lo, s5
	s_cbranch_execnz .LBB38_49
; %bb.50:
	s_or_b32 exec_lo, exec_lo, s5
	v_mov_b32_e32 v7, 0
	ds_read_b128 v[7:10], v7 offset:144
	s_waitcnt lgkmcnt(0)
	v_mul_f64 v[11:12], v[1:2], v[9:10]
	v_mul_f64 v[9:10], v[3:4], v[9:10]
	v_fma_f64 v[3:4], v[3:4], v[7:8], -v[11:12]
	v_fma_f64 v[1:2], v[1:2], v[7:8], v[9:10]
	buffer_store_dword v4, off, s[0:3], 0 offset:164
	buffer_store_dword v3, off, s[0:3], 0 offset:160
	;; [unrolled: 1-line block ×4, first 2 shown]
.LBB38_51:
	s_or_b32 exec_lo, exec_lo, s4
	v_mov_b32_e32 v4, s41
	s_waitcnt_vscnt null, 0x0
	s_barrier
	buffer_gl0_inv
	s_mov_b32 s4, exec_lo
	s_clause 0x3
	buffer_load_dword v1, v4, s[0:3], 0 offen
	buffer_load_dword v2, v4, s[0:3], 0 offen offset:4
	buffer_load_dword v3, v4, s[0:3], 0 offen offset:8
	buffer_load_dword v4, v4, s[0:3], 0 offen offset:12
	s_waitcnt vmcnt(0)
	ds_write_b128 v5, v[1:4]
	s_waitcnt lgkmcnt(0)
	s_barrier
	buffer_gl0_inv
	v_cmpx_gt_u32_e32 10, v0
	s_cbranch_execz .LBB38_55
; %bb.52:
	v_mov_b32_e32 v1, 0
	v_mov_b32_e32 v3, 0
	v_add_nc_u32_e32 v7, -1, v0
	v_add_nc_u32_e32 v8, 0x270, v163
	v_mov_b32_e32 v2, 0
	v_mov_b32_e32 v4, 0
	v_add_nc_u32_e32 v9, 16, v163
	s_mov_b32 s5, 0
	.p2align	6
.LBB38_53:                              ; =>This Inner Loop Header: Depth=1
	s_clause 0x3
	buffer_load_dword v14, v9, s[0:3], 0 offen offset:8
	buffer_load_dword v15, v9, s[0:3], 0 offen offset:12
	buffer_load_dword v16, v9, s[0:3], 0 offen
	buffer_load_dword v17, v9, s[0:3], 0 offen offset:4
	ds_read_b128 v[10:13], v8
	v_add_nc_u32_e32 v7, 1, v7
	v_add_nc_u32_e32 v8, 16, v8
	;; [unrolled: 1-line block ×3, first 2 shown]
	v_cmp_lt_u32_e32 vcc_lo, 8, v7
	s_or_b32 s5, vcc_lo, s5
	s_waitcnt vmcnt(2) lgkmcnt(0)
	v_mul_f64 v[18:19], v[12:13], v[14:15]
	v_mul_f64 v[14:15], v[10:11], v[14:15]
	s_waitcnt vmcnt(0)
	v_fma_f64 v[10:11], v[10:11], v[16:17], -v[18:19]
	v_fma_f64 v[12:13], v[12:13], v[16:17], v[14:15]
	v_add_f64 v[3:4], v[3:4], v[10:11]
	v_add_f64 v[1:2], v[1:2], v[12:13]
	s_andn2_b32 exec_lo, exec_lo, s5
	s_cbranch_execnz .LBB38_53
; %bb.54:
	s_or_b32 exec_lo, exec_lo, s5
	v_mov_b32_e32 v7, 0
	ds_read_b128 v[7:10], v7 offset:160
	s_waitcnt lgkmcnt(0)
	v_mul_f64 v[11:12], v[1:2], v[9:10]
	v_mul_f64 v[9:10], v[3:4], v[9:10]
	v_fma_f64 v[3:4], v[3:4], v[7:8], -v[11:12]
	v_fma_f64 v[1:2], v[1:2], v[7:8], v[9:10]
	buffer_store_dword v4, off, s[0:3], 0 offset:180
	buffer_store_dword v3, off, s[0:3], 0 offset:176
	buffer_store_dword v2, off, s[0:3], 0 offset:188
	buffer_store_dword v1, off, s[0:3], 0 offset:184
.LBB38_55:
	s_or_b32 exec_lo, exec_lo, s4
	v_mov_b32_e32 v4, s40
	s_waitcnt_vscnt null, 0x0
	s_barrier
	buffer_gl0_inv
	s_mov_b32 s4, exec_lo
	s_clause 0x3
	buffer_load_dword v1, v4, s[0:3], 0 offen
	buffer_load_dword v2, v4, s[0:3], 0 offen offset:4
	buffer_load_dword v3, v4, s[0:3], 0 offen offset:8
	buffer_load_dword v4, v4, s[0:3], 0 offen offset:12
	s_waitcnt vmcnt(0)
	ds_write_b128 v5, v[1:4]
	s_waitcnt lgkmcnt(0)
	s_barrier
	buffer_gl0_inv
	v_cmpx_gt_u32_e32 11, v0
	s_cbranch_execz .LBB38_59
; %bb.56:
	v_mov_b32_e32 v1, 0
	v_mov_b32_e32 v3, 0
	v_add_nc_u32_e32 v7, -1, v0
	v_add_nc_u32_e32 v8, 0x270, v163
	v_mov_b32_e32 v2, 0
	v_mov_b32_e32 v4, 0
	v_add_nc_u32_e32 v9, 16, v163
	s_mov_b32 s5, 0
	.p2align	6
.LBB38_57:                              ; =>This Inner Loop Header: Depth=1
	s_clause 0x3
	buffer_load_dword v14, v9, s[0:3], 0 offen offset:8
	buffer_load_dword v15, v9, s[0:3], 0 offen offset:12
	buffer_load_dword v16, v9, s[0:3], 0 offen
	buffer_load_dword v17, v9, s[0:3], 0 offen offset:4
	ds_read_b128 v[10:13], v8
	v_add_nc_u32_e32 v7, 1, v7
	v_add_nc_u32_e32 v8, 16, v8
	;; [unrolled: 1-line block ×3, first 2 shown]
	v_cmp_lt_u32_e32 vcc_lo, 9, v7
	s_or_b32 s5, vcc_lo, s5
	s_waitcnt vmcnt(2) lgkmcnt(0)
	v_mul_f64 v[18:19], v[12:13], v[14:15]
	v_mul_f64 v[14:15], v[10:11], v[14:15]
	s_waitcnt vmcnt(0)
	v_fma_f64 v[10:11], v[10:11], v[16:17], -v[18:19]
	v_fma_f64 v[12:13], v[12:13], v[16:17], v[14:15]
	v_add_f64 v[3:4], v[3:4], v[10:11]
	v_add_f64 v[1:2], v[1:2], v[12:13]
	s_andn2_b32 exec_lo, exec_lo, s5
	s_cbranch_execnz .LBB38_57
; %bb.58:
	s_or_b32 exec_lo, exec_lo, s5
	v_mov_b32_e32 v7, 0
	ds_read_b128 v[7:10], v7 offset:176
	s_waitcnt lgkmcnt(0)
	v_mul_f64 v[11:12], v[1:2], v[9:10]
	v_mul_f64 v[9:10], v[3:4], v[9:10]
	v_fma_f64 v[3:4], v[3:4], v[7:8], -v[11:12]
	v_fma_f64 v[1:2], v[1:2], v[7:8], v[9:10]
	buffer_store_dword v4, off, s[0:3], 0 offset:196
	buffer_store_dword v3, off, s[0:3], 0 offset:192
	;; [unrolled: 1-line block ×4, first 2 shown]
.LBB38_59:
	s_or_b32 exec_lo, exec_lo, s4
	v_mov_b32_e32 v4, s39
	s_waitcnt_vscnt null, 0x0
	s_barrier
	buffer_gl0_inv
	s_mov_b32 s4, exec_lo
	s_clause 0x3
	buffer_load_dword v1, v4, s[0:3], 0 offen
	buffer_load_dword v2, v4, s[0:3], 0 offen offset:4
	buffer_load_dword v3, v4, s[0:3], 0 offen offset:8
	;; [unrolled: 1-line block ×3, first 2 shown]
	s_waitcnt vmcnt(0)
	ds_write_b128 v5, v[1:4]
	s_waitcnt lgkmcnt(0)
	s_barrier
	buffer_gl0_inv
	v_cmpx_gt_u32_e32 12, v0
	s_cbranch_execz .LBB38_63
; %bb.60:
	v_mov_b32_e32 v1, 0
	v_mov_b32_e32 v3, 0
	v_add_nc_u32_e32 v7, -1, v0
	v_add_nc_u32_e32 v8, 0x270, v163
	v_mov_b32_e32 v2, 0
	v_mov_b32_e32 v4, 0
	v_add_nc_u32_e32 v9, 16, v163
	s_mov_b32 s5, 0
	.p2align	6
.LBB38_61:                              ; =>This Inner Loop Header: Depth=1
	s_clause 0x3
	buffer_load_dword v14, v9, s[0:3], 0 offen offset:8
	buffer_load_dword v15, v9, s[0:3], 0 offen offset:12
	buffer_load_dword v16, v9, s[0:3], 0 offen
	buffer_load_dword v17, v9, s[0:3], 0 offen offset:4
	ds_read_b128 v[10:13], v8
	v_add_nc_u32_e32 v7, 1, v7
	v_add_nc_u32_e32 v8, 16, v8
	;; [unrolled: 1-line block ×3, first 2 shown]
	v_cmp_lt_u32_e32 vcc_lo, 10, v7
	s_or_b32 s5, vcc_lo, s5
	s_waitcnt vmcnt(2) lgkmcnt(0)
	v_mul_f64 v[18:19], v[12:13], v[14:15]
	v_mul_f64 v[14:15], v[10:11], v[14:15]
	s_waitcnt vmcnt(0)
	v_fma_f64 v[10:11], v[10:11], v[16:17], -v[18:19]
	v_fma_f64 v[12:13], v[12:13], v[16:17], v[14:15]
	v_add_f64 v[3:4], v[3:4], v[10:11]
	v_add_f64 v[1:2], v[1:2], v[12:13]
	s_andn2_b32 exec_lo, exec_lo, s5
	s_cbranch_execnz .LBB38_61
; %bb.62:
	s_or_b32 exec_lo, exec_lo, s5
	v_mov_b32_e32 v7, 0
	ds_read_b128 v[7:10], v7 offset:192
	s_waitcnt lgkmcnt(0)
	v_mul_f64 v[11:12], v[1:2], v[9:10]
	v_mul_f64 v[9:10], v[3:4], v[9:10]
	v_fma_f64 v[3:4], v[3:4], v[7:8], -v[11:12]
	v_fma_f64 v[1:2], v[1:2], v[7:8], v[9:10]
	buffer_store_dword v4, off, s[0:3], 0 offset:212
	buffer_store_dword v3, off, s[0:3], 0 offset:208
	;; [unrolled: 1-line block ×4, first 2 shown]
.LBB38_63:
	s_or_b32 exec_lo, exec_lo, s4
	v_mov_b32_e32 v4, s38
	s_waitcnt_vscnt null, 0x0
	s_barrier
	buffer_gl0_inv
	s_mov_b32 s4, exec_lo
	s_clause 0x3
	buffer_load_dword v1, v4, s[0:3], 0 offen
	buffer_load_dword v2, v4, s[0:3], 0 offen offset:4
	buffer_load_dword v3, v4, s[0:3], 0 offen offset:8
	;; [unrolled: 1-line block ×3, first 2 shown]
	s_waitcnt vmcnt(0)
	ds_write_b128 v5, v[1:4]
	s_waitcnt lgkmcnt(0)
	s_barrier
	buffer_gl0_inv
	v_cmpx_gt_u32_e32 13, v0
	s_cbranch_execz .LBB38_67
; %bb.64:
	v_mov_b32_e32 v1, 0
	v_mov_b32_e32 v3, 0
	v_add_nc_u32_e32 v7, -1, v0
	v_add_nc_u32_e32 v8, 0x270, v163
	v_mov_b32_e32 v2, 0
	v_mov_b32_e32 v4, 0
	v_add_nc_u32_e32 v9, 16, v163
	s_mov_b32 s5, 0
	.p2align	6
.LBB38_65:                              ; =>This Inner Loop Header: Depth=1
	s_clause 0x3
	buffer_load_dword v14, v9, s[0:3], 0 offen offset:8
	buffer_load_dword v15, v9, s[0:3], 0 offen offset:12
	buffer_load_dword v16, v9, s[0:3], 0 offen
	buffer_load_dword v17, v9, s[0:3], 0 offen offset:4
	ds_read_b128 v[10:13], v8
	v_add_nc_u32_e32 v7, 1, v7
	v_add_nc_u32_e32 v8, 16, v8
	;; [unrolled: 1-line block ×3, first 2 shown]
	v_cmp_lt_u32_e32 vcc_lo, 11, v7
	s_or_b32 s5, vcc_lo, s5
	s_waitcnt vmcnt(2) lgkmcnt(0)
	v_mul_f64 v[18:19], v[12:13], v[14:15]
	v_mul_f64 v[14:15], v[10:11], v[14:15]
	s_waitcnt vmcnt(0)
	v_fma_f64 v[10:11], v[10:11], v[16:17], -v[18:19]
	v_fma_f64 v[12:13], v[12:13], v[16:17], v[14:15]
	v_add_f64 v[3:4], v[3:4], v[10:11]
	v_add_f64 v[1:2], v[1:2], v[12:13]
	s_andn2_b32 exec_lo, exec_lo, s5
	s_cbranch_execnz .LBB38_65
; %bb.66:
	s_or_b32 exec_lo, exec_lo, s5
	v_mov_b32_e32 v7, 0
	ds_read_b128 v[7:10], v7 offset:208
	s_waitcnt lgkmcnt(0)
	v_mul_f64 v[11:12], v[1:2], v[9:10]
	v_mul_f64 v[9:10], v[3:4], v[9:10]
	v_fma_f64 v[3:4], v[3:4], v[7:8], -v[11:12]
	v_fma_f64 v[1:2], v[1:2], v[7:8], v[9:10]
	buffer_store_dword v4, off, s[0:3], 0 offset:228
	buffer_store_dword v3, off, s[0:3], 0 offset:224
	;; [unrolled: 1-line block ×4, first 2 shown]
.LBB38_67:
	s_or_b32 exec_lo, exec_lo, s4
	v_mov_b32_e32 v4, s37
	s_waitcnt_vscnt null, 0x0
	s_barrier
	buffer_gl0_inv
	s_mov_b32 s4, exec_lo
	s_clause 0x3
	buffer_load_dword v1, v4, s[0:3], 0 offen
	buffer_load_dword v2, v4, s[0:3], 0 offen offset:4
	buffer_load_dword v3, v4, s[0:3], 0 offen offset:8
	;; [unrolled: 1-line block ×3, first 2 shown]
	s_waitcnt vmcnt(0)
	ds_write_b128 v5, v[1:4]
	s_waitcnt lgkmcnt(0)
	s_barrier
	buffer_gl0_inv
	v_cmpx_gt_u32_e32 14, v0
	s_cbranch_execz .LBB38_71
; %bb.68:
	v_mov_b32_e32 v1, 0
	v_mov_b32_e32 v3, 0
	v_add_nc_u32_e32 v7, -1, v0
	v_add_nc_u32_e32 v8, 0x270, v163
	v_mov_b32_e32 v2, 0
	v_mov_b32_e32 v4, 0
	v_add_nc_u32_e32 v9, 16, v163
	s_mov_b32 s5, 0
	.p2align	6
.LBB38_69:                              ; =>This Inner Loop Header: Depth=1
	s_clause 0x3
	buffer_load_dword v14, v9, s[0:3], 0 offen offset:8
	buffer_load_dword v15, v9, s[0:3], 0 offen offset:12
	buffer_load_dword v16, v9, s[0:3], 0 offen
	buffer_load_dword v17, v9, s[0:3], 0 offen offset:4
	ds_read_b128 v[10:13], v8
	v_add_nc_u32_e32 v7, 1, v7
	v_add_nc_u32_e32 v8, 16, v8
	;; [unrolled: 1-line block ×3, first 2 shown]
	v_cmp_lt_u32_e32 vcc_lo, 12, v7
	s_or_b32 s5, vcc_lo, s5
	s_waitcnt vmcnt(2) lgkmcnt(0)
	v_mul_f64 v[18:19], v[12:13], v[14:15]
	v_mul_f64 v[14:15], v[10:11], v[14:15]
	s_waitcnt vmcnt(0)
	v_fma_f64 v[10:11], v[10:11], v[16:17], -v[18:19]
	v_fma_f64 v[12:13], v[12:13], v[16:17], v[14:15]
	v_add_f64 v[3:4], v[3:4], v[10:11]
	v_add_f64 v[1:2], v[1:2], v[12:13]
	s_andn2_b32 exec_lo, exec_lo, s5
	s_cbranch_execnz .LBB38_69
; %bb.70:
	s_or_b32 exec_lo, exec_lo, s5
	v_mov_b32_e32 v7, 0
	ds_read_b128 v[7:10], v7 offset:224
	s_waitcnt lgkmcnt(0)
	v_mul_f64 v[11:12], v[1:2], v[9:10]
	v_mul_f64 v[9:10], v[3:4], v[9:10]
	v_fma_f64 v[3:4], v[3:4], v[7:8], -v[11:12]
	v_fma_f64 v[1:2], v[1:2], v[7:8], v[9:10]
	buffer_store_dword v4, off, s[0:3], 0 offset:244
	buffer_store_dword v3, off, s[0:3], 0 offset:240
	;; [unrolled: 1-line block ×4, first 2 shown]
.LBB38_71:
	s_or_b32 exec_lo, exec_lo, s4
	v_mov_b32_e32 v4, s36
	s_waitcnt_vscnt null, 0x0
	s_barrier
	buffer_gl0_inv
	s_mov_b32 s4, exec_lo
	s_clause 0x3
	buffer_load_dword v1, v4, s[0:3], 0 offen
	buffer_load_dword v2, v4, s[0:3], 0 offen offset:4
	buffer_load_dword v3, v4, s[0:3], 0 offen offset:8
	;; [unrolled: 1-line block ×3, first 2 shown]
	s_waitcnt vmcnt(0)
	ds_write_b128 v5, v[1:4]
	s_waitcnt lgkmcnt(0)
	s_barrier
	buffer_gl0_inv
	v_cmpx_gt_u32_e32 15, v0
	s_cbranch_execz .LBB38_75
; %bb.72:
	v_mov_b32_e32 v1, 0
	v_mov_b32_e32 v3, 0
	v_add_nc_u32_e32 v7, -1, v0
	v_add_nc_u32_e32 v8, 0x270, v163
	v_mov_b32_e32 v2, 0
	v_mov_b32_e32 v4, 0
	v_add_nc_u32_e32 v9, 16, v163
	s_mov_b32 s5, 0
	.p2align	6
.LBB38_73:                              ; =>This Inner Loop Header: Depth=1
	s_clause 0x3
	buffer_load_dword v14, v9, s[0:3], 0 offen offset:8
	buffer_load_dword v15, v9, s[0:3], 0 offen offset:12
	buffer_load_dword v16, v9, s[0:3], 0 offen
	buffer_load_dword v17, v9, s[0:3], 0 offen offset:4
	ds_read_b128 v[10:13], v8
	v_add_nc_u32_e32 v7, 1, v7
	v_add_nc_u32_e32 v8, 16, v8
	;; [unrolled: 1-line block ×3, first 2 shown]
	v_cmp_lt_u32_e32 vcc_lo, 13, v7
	s_or_b32 s5, vcc_lo, s5
	s_waitcnt vmcnt(2) lgkmcnt(0)
	v_mul_f64 v[18:19], v[12:13], v[14:15]
	v_mul_f64 v[14:15], v[10:11], v[14:15]
	s_waitcnt vmcnt(0)
	v_fma_f64 v[10:11], v[10:11], v[16:17], -v[18:19]
	v_fma_f64 v[12:13], v[12:13], v[16:17], v[14:15]
	v_add_f64 v[3:4], v[3:4], v[10:11]
	v_add_f64 v[1:2], v[1:2], v[12:13]
	s_andn2_b32 exec_lo, exec_lo, s5
	s_cbranch_execnz .LBB38_73
; %bb.74:
	s_or_b32 exec_lo, exec_lo, s5
	v_mov_b32_e32 v7, 0
	ds_read_b128 v[7:10], v7 offset:240
	s_waitcnt lgkmcnt(0)
	v_mul_f64 v[11:12], v[1:2], v[9:10]
	v_mul_f64 v[9:10], v[3:4], v[9:10]
	v_fma_f64 v[3:4], v[3:4], v[7:8], -v[11:12]
	v_fma_f64 v[1:2], v[1:2], v[7:8], v[9:10]
	buffer_store_dword v4, off, s[0:3], 0 offset:260
	buffer_store_dword v3, off, s[0:3], 0 offset:256
	;; [unrolled: 1-line block ×4, first 2 shown]
.LBB38_75:
	s_or_b32 exec_lo, exec_lo, s4
	v_mov_b32_e32 v4, s35
	s_waitcnt_vscnt null, 0x0
	s_barrier
	buffer_gl0_inv
	s_mov_b32 s4, exec_lo
	s_clause 0x3
	buffer_load_dword v1, v4, s[0:3], 0 offen
	buffer_load_dword v2, v4, s[0:3], 0 offen offset:4
	buffer_load_dword v3, v4, s[0:3], 0 offen offset:8
	;; [unrolled: 1-line block ×3, first 2 shown]
	s_waitcnt vmcnt(0)
	ds_write_b128 v5, v[1:4]
	s_waitcnt lgkmcnt(0)
	s_barrier
	buffer_gl0_inv
	v_cmpx_gt_u32_e32 16, v0
	s_cbranch_execz .LBB38_79
; %bb.76:
	v_mov_b32_e32 v1, 0
	v_mov_b32_e32 v3, 0
	v_add_nc_u32_e32 v7, -1, v0
	v_add_nc_u32_e32 v8, 0x270, v163
	v_mov_b32_e32 v2, 0
	v_mov_b32_e32 v4, 0
	v_add_nc_u32_e32 v9, 16, v163
	s_mov_b32 s5, 0
	.p2align	6
.LBB38_77:                              ; =>This Inner Loop Header: Depth=1
	s_clause 0x3
	buffer_load_dword v14, v9, s[0:3], 0 offen offset:8
	buffer_load_dword v15, v9, s[0:3], 0 offen offset:12
	buffer_load_dword v16, v9, s[0:3], 0 offen
	buffer_load_dword v17, v9, s[0:3], 0 offen offset:4
	ds_read_b128 v[10:13], v8
	v_add_nc_u32_e32 v7, 1, v7
	v_add_nc_u32_e32 v8, 16, v8
	;; [unrolled: 1-line block ×3, first 2 shown]
	v_cmp_lt_u32_e32 vcc_lo, 14, v7
	s_or_b32 s5, vcc_lo, s5
	s_waitcnt vmcnt(2) lgkmcnt(0)
	v_mul_f64 v[18:19], v[12:13], v[14:15]
	v_mul_f64 v[14:15], v[10:11], v[14:15]
	s_waitcnt vmcnt(0)
	v_fma_f64 v[10:11], v[10:11], v[16:17], -v[18:19]
	v_fma_f64 v[12:13], v[12:13], v[16:17], v[14:15]
	v_add_f64 v[3:4], v[3:4], v[10:11]
	v_add_f64 v[1:2], v[1:2], v[12:13]
	s_andn2_b32 exec_lo, exec_lo, s5
	s_cbranch_execnz .LBB38_77
; %bb.78:
	s_or_b32 exec_lo, exec_lo, s5
	v_mov_b32_e32 v7, 0
	ds_read_b128 v[7:10], v7 offset:256
	s_waitcnt lgkmcnt(0)
	v_mul_f64 v[11:12], v[1:2], v[9:10]
	v_mul_f64 v[9:10], v[3:4], v[9:10]
	v_fma_f64 v[3:4], v[3:4], v[7:8], -v[11:12]
	v_fma_f64 v[1:2], v[1:2], v[7:8], v[9:10]
	buffer_store_dword v4, off, s[0:3], 0 offset:276
	buffer_store_dword v3, off, s[0:3], 0 offset:272
	;; [unrolled: 1-line block ×4, first 2 shown]
.LBB38_79:
	s_or_b32 exec_lo, exec_lo, s4
	v_mov_b32_e32 v4, s34
	s_waitcnt_vscnt null, 0x0
	s_barrier
	buffer_gl0_inv
	s_mov_b32 s4, exec_lo
	s_clause 0x3
	buffer_load_dword v1, v4, s[0:3], 0 offen
	buffer_load_dword v2, v4, s[0:3], 0 offen offset:4
	buffer_load_dword v3, v4, s[0:3], 0 offen offset:8
	;; [unrolled: 1-line block ×3, first 2 shown]
	s_waitcnt vmcnt(0)
	ds_write_b128 v5, v[1:4]
	s_waitcnt lgkmcnt(0)
	s_barrier
	buffer_gl0_inv
	v_cmpx_gt_u32_e32 17, v0
	s_cbranch_execz .LBB38_83
; %bb.80:
	v_mov_b32_e32 v1, 0
	v_mov_b32_e32 v3, 0
	v_add_nc_u32_e32 v7, -1, v0
	v_add_nc_u32_e32 v8, 0x270, v163
	v_mov_b32_e32 v2, 0
	v_mov_b32_e32 v4, 0
	v_add_nc_u32_e32 v9, 16, v163
	s_mov_b32 s5, 0
	.p2align	6
.LBB38_81:                              ; =>This Inner Loop Header: Depth=1
	s_clause 0x3
	buffer_load_dword v14, v9, s[0:3], 0 offen offset:8
	buffer_load_dword v15, v9, s[0:3], 0 offen offset:12
	buffer_load_dword v16, v9, s[0:3], 0 offen
	buffer_load_dword v17, v9, s[0:3], 0 offen offset:4
	ds_read_b128 v[10:13], v8
	v_add_nc_u32_e32 v7, 1, v7
	v_add_nc_u32_e32 v8, 16, v8
	;; [unrolled: 1-line block ×3, first 2 shown]
	v_cmp_lt_u32_e32 vcc_lo, 15, v7
	s_or_b32 s5, vcc_lo, s5
	s_waitcnt vmcnt(2) lgkmcnt(0)
	v_mul_f64 v[18:19], v[12:13], v[14:15]
	v_mul_f64 v[14:15], v[10:11], v[14:15]
	s_waitcnt vmcnt(0)
	v_fma_f64 v[10:11], v[10:11], v[16:17], -v[18:19]
	v_fma_f64 v[12:13], v[12:13], v[16:17], v[14:15]
	v_add_f64 v[3:4], v[3:4], v[10:11]
	v_add_f64 v[1:2], v[1:2], v[12:13]
	s_andn2_b32 exec_lo, exec_lo, s5
	s_cbranch_execnz .LBB38_81
; %bb.82:
	s_or_b32 exec_lo, exec_lo, s5
	v_mov_b32_e32 v7, 0
	ds_read_b128 v[7:10], v7 offset:272
	s_waitcnt lgkmcnt(0)
	v_mul_f64 v[11:12], v[1:2], v[9:10]
	v_mul_f64 v[9:10], v[3:4], v[9:10]
	v_fma_f64 v[3:4], v[3:4], v[7:8], -v[11:12]
	v_fma_f64 v[1:2], v[1:2], v[7:8], v[9:10]
	buffer_store_dword v4, off, s[0:3], 0 offset:292
	buffer_store_dword v3, off, s[0:3], 0 offset:288
	;; [unrolled: 1-line block ×4, first 2 shown]
.LBB38_83:
	s_or_b32 exec_lo, exec_lo, s4
	v_mov_b32_e32 v4, s33
	s_waitcnt_vscnt null, 0x0
	s_barrier
	buffer_gl0_inv
	s_mov_b32 s4, exec_lo
	s_clause 0x3
	buffer_load_dword v1, v4, s[0:3], 0 offen
	buffer_load_dword v2, v4, s[0:3], 0 offen offset:4
	buffer_load_dword v3, v4, s[0:3], 0 offen offset:8
	;; [unrolled: 1-line block ×3, first 2 shown]
	s_waitcnt vmcnt(0)
	ds_write_b128 v5, v[1:4]
	s_waitcnt lgkmcnt(0)
	s_barrier
	buffer_gl0_inv
	v_cmpx_gt_u32_e32 18, v0
	s_cbranch_execz .LBB38_87
; %bb.84:
	v_mov_b32_e32 v1, 0
	v_mov_b32_e32 v3, 0
	v_add_nc_u32_e32 v7, -1, v0
	v_add_nc_u32_e32 v8, 0x270, v163
	v_mov_b32_e32 v2, 0
	v_mov_b32_e32 v4, 0
	v_add_nc_u32_e32 v9, 16, v163
	s_mov_b32 s5, 0
	.p2align	6
.LBB38_85:                              ; =>This Inner Loop Header: Depth=1
	s_clause 0x3
	buffer_load_dword v14, v9, s[0:3], 0 offen offset:8
	buffer_load_dword v15, v9, s[0:3], 0 offen offset:12
	buffer_load_dword v16, v9, s[0:3], 0 offen
	buffer_load_dword v17, v9, s[0:3], 0 offen offset:4
	ds_read_b128 v[10:13], v8
	v_add_nc_u32_e32 v7, 1, v7
	v_add_nc_u32_e32 v8, 16, v8
	;; [unrolled: 1-line block ×3, first 2 shown]
	v_cmp_lt_u32_e32 vcc_lo, 16, v7
	s_or_b32 s5, vcc_lo, s5
	s_waitcnt vmcnt(2) lgkmcnt(0)
	v_mul_f64 v[18:19], v[12:13], v[14:15]
	v_mul_f64 v[14:15], v[10:11], v[14:15]
	s_waitcnt vmcnt(0)
	v_fma_f64 v[10:11], v[10:11], v[16:17], -v[18:19]
	v_fma_f64 v[12:13], v[12:13], v[16:17], v[14:15]
	v_add_f64 v[3:4], v[3:4], v[10:11]
	v_add_f64 v[1:2], v[1:2], v[12:13]
	s_andn2_b32 exec_lo, exec_lo, s5
	s_cbranch_execnz .LBB38_85
; %bb.86:
	s_or_b32 exec_lo, exec_lo, s5
	v_mov_b32_e32 v7, 0
	ds_read_b128 v[7:10], v7 offset:288
	s_waitcnt lgkmcnt(0)
	v_mul_f64 v[11:12], v[1:2], v[9:10]
	v_mul_f64 v[9:10], v[3:4], v[9:10]
	v_fma_f64 v[3:4], v[3:4], v[7:8], -v[11:12]
	v_fma_f64 v[1:2], v[1:2], v[7:8], v[9:10]
	buffer_store_dword v4, off, s[0:3], 0 offset:308
	buffer_store_dword v3, off, s[0:3], 0 offset:304
	;; [unrolled: 1-line block ×4, first 2 shown]
.LBB38_87:
	s_or_b32 exec_lo, exec_lo, s4
	v_mov_b32_e32 v4, s31
	s_waitcnt_vscnt null, 0x0
	s_barrier
	buffer_gl0_inv
	s_mov_b32 s4, exec_lo
	s_clause 0x3
	buffer_load_dword v1, v4, s[0:3], 0 offen
	buffer_load_dword v2, v4, s[0:3], 0 offen offset:4
	buffer_load_dword v3, v4, s[0:3], 0 offen offset:8
	;; [unrolled: 1-line block ×3, first 2 shown]
	s_waitcnt vmcnt(0)
	ds_write_b128 v5, v[1:4]
	s_waitcnt lgkmcnt(0)
	s_barrier
	buffer_gl0_inv
	v_cmpx_gt_u32_e32 19, v0
	s_cbranch_execz .LBB38_91
; %bb.88:
	v_mov_b32_e32 v1, 0
	v_mov_b32_e32 v3, 0
	v_add_nc_u32_e32 v7, -1, v0
	v_add_nc_u32_e32 v8, 0x270, v163
	v_mov_b32_e32 v2, 0
	v_mov_b32_e32 v4, 0
	v_add_nc_u32_e32 v9, 16, v163
	s_mov_b32 s5, 0
	.p2align	6
.LBB38_89:                              ; =>This Inner Loop Header: Depth=1
	s_clause 0x3
	buffer_load_dword v14, v9, s[0:3], 0 offen offset:8
	buffer_load_dword v15, v9, s[0:3], 0 offen offset:12
	buffer_load_dword v16, v9, s[0:3], 0 offen
	buffer_load_dword v17, v9, s[0:3], 0 offen offset:4
	ds_read_b128 v[10:13], v8
	v_add_nc_u32_e32 v7, 1, v7
	v_add_nc_u32_e32 v8, 16, v8
	;; [unrolled: 1-line block ×3, first 2 shown]
	v_cmp_lt_u32_e32 vcc_lo, 17, v7
	s_or_b32 s5, vcc_lo, s5
	s_waitcnt vmcnt(2) lgkmcnt(0)
	v_mul_f64 v[18:19], v[12:13], v[14:15]
	v_mul_f64 v[14:15], v[10:11], v[14:15]
	s_waitcnt vmcnt(0)
	v_fma_f64 v[10:11], v[10:11], v[16:17], -v[18:19]
	v_fma_f64 v[12:13], v[12:13], v[16:17], v[14:15]
	v_add_f64 v[3:4], v[3:4], v[10:11]
	v_add_f64 v[1:2], v[1:2], v[12:13]
	s_andn2_b32 exec_lo, exec_lo, s5
	s_cbranch_execnz .LBB38_89
; %bb.90:
	s_or_b32 exec_lo, exec_lo, s5
	v_mov_b32_e32 v7, 0
	ds_read_b128 v[7:10], v7 offset:304
	s_waitcnt lgkmcnt(0)
	v_mul_f64 v[11:12], v[1:2], v[9:10]
	v_mul_f64 v[9:10], v[3:4], v[9:10]
	v_fma_f64 v[3:4], v[3:4], v[7:8], -v[11:12]
	v_fma_f64 v[1:2], v[1:2], v[7:8], v[9:10]
	buffer_store_dword v4, off, s[0:3], 0 offset:324
	buffer_store_dword v3, off, s[0:3], 0 offset:320
	;; [unrolled: 1-line block ×4, first 2 shown]
.LBB38_91:
	s_or_b32 exec_lo, exec_lo, s4
	v_mov_b32_e32 v4, s30
	s_waitcnt_vscnt null, 0x0
	s_barrier
	buffer_gl0_inv
	s_mov_b32 s4, exec_lo
	s_clause 0x3
	buffer_load_dword v1, v4, s[0:3], 0 offen
	buffer_load_dword v2, v4, s[0:3], 0 offen offset:4
	buffer_load_dword v3, v4, s[0:3], 0 offen offset:8
	;; [unrolled: 1-line block ×3, first 2 shown]
	s_waitcnt vmcnt(0)
	ds_write_b128 v5, v[1:4]
	s_waitcnt lgkmcnt(0)
	s_barrier
	buffer_gl0_inv
	v_cmpx_gt_u32_e32 20, v0
	s_cbranch_execz .LBB38_95
; %bb.92:
	v_mov_b32_e32 v1, 0
	v_mov_b32_e32 v3, 0
	v_add_nc_u32_e32 v7, -1, v0
	v_add_nc_u32_e32 v8, 0x270, v163
	v_mov_b32_e32 v2, 0
	v_mov_b32_e32 v4, 0
	v_add_nc_u32_e32 v9, 16, v163
	s_mov_b32 s5, 0
	.p2align	6
.LBB38_93:                              ; =>This Inner Loop Header: Depth=1
	s_clause 0x3
	buffer_load_dword v14, v9, s[0:3], 0 offen offset:8
	buffer_load_dword v15, v9, s[0:3], 0 offen offset:12
	buffer_load_dword v16, v9, s[0:3], 0 offen
	buffer_load_dword v17, v9, s[0:3], 0 offen offset:4
	ds_read_b128 v[10:13], v8
	v_add_nc_u32_e32 v7, 1, v7
	v_add_nc_u32_e32 v8, 16, v8
	;; [unrolled: 1-line block ×3, first 2 shown]
	v_cmp_lt_u32_e32 vcc_lo, 18, v7
	s_or_b32 s5, vcc_lo, s5
	s_waitcnt vmcnt(2) lgkmcnt(0)
	v_mul_f64 v[18:19], v[12:13], v[14:15]
	v_mul_f64 v[14:15], v[10:11], v[14:15]
	s_waitcnt vmcnt(0)
	v_fma_f64 v[10:11], v[10:11], v[16:17], -v[18:19]
	v_fma_f64 v[12:13], v[12:13], v[16:17], v[14:15]
	v_add_f64 v[3:4], v[3:4], v[10:11]
	v_add_f64 v[1:2], v[1:2], v[12:13]
	s_andn2_b32 exec_lo, exec_lo, s5
	s_cbranch_execnz .LBB38_93
; %bb.94:
	s_or_b32 exec_lo, exec_lo, s5
	v_mov_b32_e32 v7, 0
	ds_read_b128 v[7:10], v7 offset:320
	s_waitcnt lgkmcnt(0)
	v_mul_f64 v[11:12], v[1:2], v[9:10]
	v_mul_f64 v[9:10], v[3:4], v[9:10]
	v_fma_f64 v[3:4], v[3:4], v[7:8], -v[11:12]
	v_fma_f64 v[1:2], v[1:2], v[7:8], v[9:10]
	buffer_store_dword v4, off, s[0:3], 0 offset:340
	buffer_store_dword v3, off, s[0:3], 0 offset:336
	;; [unrolled: 1-line block ×4, first 2 shown]
.LBB38_95:
	s_or_b32 exec_lo, exec_lo, s4
	v_mov_b32_e32 v4, s28
	s_waitcnt_vscnt null, 0x0
	s_barrier
	buffer_gl0_inv
	s_mov_b32 s4, exec_lo
	s_clause 0x3
	buffer_load_dword v1, v4, s[0:3], 0 offen
	buffer_load_dword v2, v4, s[0:3], 0 offen offset:4
	buffer_load_dword v3, v4, s[0:3], 0 offen offset:8
	;; [unrolled: 1-line block ×3, first 2 shown]
	s_waitcnt vmcnt(0)
	ds_write_b128 v5, v[1:4]
	s_waitcnt lgkmcnt(0)
	s_barrier
	buffer_gl0_inv
	v_cmpx_gt_u32_e32 21, v0
	s_cbranch_execz .LBB38_99
; %bb.96:
	v_mov_b32_e32 v1, 0
	v_mov_b32_e32 v3, 0
	v_add_nc_u32_e32 v7, -1, v0
	v_add_nc_u32_e32 v8, 0x270, v163
	v_mov_b32_e32 v2, 0
	v_mov_b32_e32 v4, 0
	v_add_nc_u32_e32 v9, 16, v163
	s_mov_b32 s5, 0
	.p2align	6
.LBB38_97:                              ; =>This Inner Loop Header: Depth=1
	s_clause 0x3
	buffer_load_dword v14, v9, s[0:3], 0 offen offset:8
	buffer_load_dword v15, v9, s[0:3], 0 offen offset:12
	buffer_load_dword v16, v9, s[0:3], 0 offen
	buffer_load_dword v17, v9, s[0:3], 0 offen offset:4
	ds_read_b128 v[10:13], v8
	v_add_nc_u32_e32 v7, 1, v7
	v_add_nc_u32_e32 v8, 16, v8
	;; [unrolled: 1-line block ×3, first 2 shown]
	v_cmp_lt_u32_e32 vcc_lo, 19, v7
	s_or_b32 s5, vcc_lo, s5
	s_waitcnt vmcnt(2) lgkmcnt(0)
	v_mul_f64 v[18:19], v[12:13], v[14:15]
	v_mul_f64 v[14:15], v[10:11], v[14:15]
	s_waitcnt vmcnt(0)
	v_fma_f64 v[10:11], v[10:11], v[16:17], -v[18:19]
	v_fma_f64 v[12:13], v[12:13], v[16:17], v[14:15]
	v_add_f64 v[3:4], v[3:4], v[10:11]
	v_add_f64 v[1:2], v[1:2], v[12:13]
	s_andn2_b32 exec_lo, exec_lo, s5
	s_cbranch_execnz .LBB38_97
; %bb.98:
	s_or_b32 exec_lo, exec_lo, s5
	v_mov_b32_e32 v7, 0
	ds_read_b128 v[7:10], v7 offset:336
	s_waitcnt lgkmcnt(0)
	v_mul_f64 v[11:12], v[1:2], v[9:10]
	v_mul_f64 v[9:10], v[3:4], v[9:10]
	v_fma_f64 v[3:4], v[3:4], v[7:8], -v[11:12]
	v_fma_f64 v[1:2], v[1:2], v[7:8], v[9:10]
	buffer_store_dword v4, off, s[0:3], 0 offset:356
	buffer_store_dword v3, off, s[0:3], 0 offset:352
	;; [unrolled: 1-line block ×4, first 2 shown]
.LBB38_99:
	s_or_b32 exec_lo, exec_lo, s4
	v_mov_b32_e32 v4, s26
	s_waitcnt_vscnt null, 0x0
	s_barrier
	buffer_gl0_inv
	s_mov_b32 s4, exec_lo
	s_clause 0x3
	buffer_load_dword v1, v4, s[0:3], 0 offen
	buffer_load_dword v2, v4, s[0:3], 0 offen offset:4
	buffer_load_dword v3, v4, s[0:3], 0 offen offset:8
	;; [unrolled: 1-line block ×3, first 2 shown]
	s_waitcnt vmcnt(0)
	ds_write_b128 v5, v[1:4]
	s_waitcnt lgkmcnt(0)
	s_barrier
	buffer_gl0_inv
	v_cmpx_gt_u32_e32 22, v0
	s_cbranch_execz .LBB38_103
; %bb.100:
	v_mov_b32_e32 v1, 0
	v_mov_b32_e32 v3, 0
	v_add_nc_u32_e32 v7, -1, v0
	v_add_nc_u32_e32 v8, 0x270, v163
	v_mov_b32_e32 v2, 0
	v_mov_b32_e32 v4, 0
	v_add_nc_u32_e32 v9, 16, v163
	s_mov_b32 s5, 0
	.p2align	6
.LBB38_101:                             ; =>This Inner Loop Header: Depth=1
	s_clause 0x3
	buffer_load_dword v14, v9, s[0:3], 0 offen offset:8
	buffer_load_dword v15, v9, s[0:3], 0 offen offset:12
	buffer_load_dword v16, v9, s[0:3], 0 offen
	buffer_load_dword v17, v9, s[0:3], 0 offen offset:4
	ds_read_b128 v[10:13], v8
	v_add_nc_u32_e32 v7, 1, v7
	v_add_nc_u32_e32 v8, 16, v8
	v_add_nc_u32_e32 v9, 16, v9
	v_cmp_lt_u32_e32 vcc_lo, 20, v7
	s_or_b32 s5, vcc_lo, s5
	s_waitcnt vmcnt(2) lgkmcnt(0)
	v_mul_f64 v[18:19], v[12:13], v[14:15]
	v_mul_f64 v[14:15], v[10:11], v[14:15]
	s_waitcnt vmcnt(0)
	v_fma_f64 v[10:11], v[10:11], v[16:17], -v[18:19]
	v_fma_f64 v[12:13], v[12:13], v[16:17], v[14:15]
	v_add_f64 v[3:4], v[3:4], v[10:11]
	v_add_f64 v[1:2], v[1:2], v[12:13]
	s_andn2_b32 exec_lo, exec_lo, s5
	s_cbranch_execnz .LBB38_101
; %bb.102:
	s_or_b32 exec_lo, exec_lo, s5
	v_mov_b32_e32 v7, 0
	ds_read_b128 v[7:10], v7 offset:352
	s_waitcnt lgkmcnt(0)
	v_mul_f64 v[11:12], v[1:2], v[9:10]
	v_mul_f64 v[9:10], v[3:4], v[9:10]
	v_fma_f64 v[3:4], v[3:4], v[7:8], -v[11:12]
	v_fma_f64 v[1:2], v[1:2], v[7:8], v[9:10]
	buffer_store_dword v4, off, s[0:3], 0 offset:372
	buffer_store_dword v3, off, s[0:3], 0 offset:368
	;; [unrolled: 1-line block ×4, first 2 shown]
.LBB38_103:
	s_or_b32 exec_lo, exec_lo, s4
	v_mov_b32_e32 v4, s24
	s_waitcnt_vscnt null, 0x0
	s_barrier
	buffer_gl0_inv
	s_mov_b32 s4, exec_lo
	s_clause 0x3
	buffer_load_dword v1, v4, s[0:3], 0 offen
	buffer_load_dword v2, v4, s[0:3], 0 offen offset:4
	buffer_load_dword v3, v4, s[0:3], 0 offen offset:8
	;; [unrolled: 1-line block ×3, first 2 shown]
	s_waitcnt vmcnt(0)
	ds_write_b128 v5, v[1:4]
	s_waitcnt lgkmcnt(0)
	s_barrier
	buffer_gl0_inv
	v_cmpx_gt_u32_e32 23, v0
	s_cbranch_execz .LBB38_107
; %bb.104:
	v_mov_b32_e32 v1, 0
	v_mov_b32_e32 v3, 0
	v_add_nc_u32_e32 v7, -1, v0
	v_add_nc_u32_e32 v8, 0x270, v163
	v_mov_b32_e32 v2, 0
	v_mov_b32_e32 v4, 0
	v_add_nc_u32_e32 v9, 16, v163
	s_mov_b32 s5, 0
	.p2align	6
.LBB38_105:                             ; =>This Inner Loop Header: Depth=1
	s_clause 0x3
	buffer_load_dword v14, v9, s[0:3], 0 offen offset:8
	buffer_load_dword v15, v9, s[0:3], 0 offen offset:12
	buffer_load_dword v16, v9, s[0:3], 0 offen
	buffer_load_dword v17, v9, s[0:3], 0 offen offset:4
	ds_read_b128 v[10:13], v8
	v_add_nc_u32_e32 v7, 1, v7
	v_add_nc_u32_e32 v8, 16, v8
	;; [unrolled: 1-line block ×3, first 2 shown]
	v_cmp_lt_u32_e32 vcc_lo, 21, v7
	s_or_b32 s5, vcc_lo, s5
	s_waitcnt vmcnt(2) lgkmcnt(0)
	v_mul_f64 v[18:19], v[12:13], v[14:15]
	v_mul_f64 v[14:15], v[10:11], v[14:15]
	s_waitcnt vmcnt(0)
	v_fma_f64 v[10:11], v[10:11], v[16:17], -v[18:19]
	v_fma_f64 v[12:13], v[12:13], v[16:17], v[14:15]
	v_add_f64 v[3:4], v[3:4], v[10:11]
	v_add_f64 v[1:2], v[1:2], v[12:13]
	s_andn2_b32 exec_lo, exec_lo, s5
	s_cbranch_execnz .LBB38_105
; %bb.106:
	s_or_b32 exec_lo, exec_lo, s5
	v_mov_b32_e32 v7, 0
	ds_read_b128 v[7:10], v7 offset:368
	s_waitcnt lgkmcnt(0)
	v_mul_f64 v[11:12], v[1:2], v[9:10]
	v_mul_f64 v[9:10], v[3:4], v[9:10]
	v_fma_f64 v[3:4], v[3:4], v[7:8], -v[11:12]
	v_fma_f64 v[1:2], v[1:2], v[7:8], v[9:10]
	buffer_store_dword v4, off, s[0:3], 0 offset:388
	buffer_store_dword v3, off, s[0:3], 0 offset:384
	;; [unrolled: 1-line block ×4, first 2 shown]
.LBB38_107:
	s_or_b32 exec_lo, exec_lo, s4
	v_mov_b32_e32 v4, s22
	s_waitcnt_vscnt null, 0x0
	s_barrier
	buffer_gl0_inv
	s_mov_b32 s4, exec_lo
	s_clause 0x3
	buffer_load_dword v1, v4, s[0:3], 0 offen
	buffer_load_dword v2, v4, s[0:3], 0 offen offset:4
	buffer_load_dword v3, v4, s[0:3], 0 offen offset:8
	;; [unrolled: 1-line block ×3, first 2 shown]
	s_waitcnt vmcnt(0)
	ds_write_b128 v5, v[1:4]
	s_waitcnt lgkmcnt(0)
	s_barrier
	buffer_gl0_inv
	v_cmpx_gt_u32_e32 24, v0
	s_cbranch_execz .LBB38_111
; %bb.108:
	v_mov_b32_e32 v1, 0
	v_mov_b32_e32 v3, 0
	v_add_nc_u32_e32 v7, -1, v0
	v_add_nc_u32_e32 v8, 0x270, v163
	v_mov_b32_e32 v2, 0
	v_mov_b32_e32 v4, 0
	v_add_nc_u32_e32 v9, 16, v163
	s_mov_b32 s5, 0
	.p2align	6
.LBB38_109:                             ; =>This Inner Loop Header: Depth=1
	s_clause 0x3
	buffer_load_dword v14, v9, s[0:3], 0 offen offset:8
	buffer_load_dword v15, v9, s[0:3], 0 offen offset:12
	buffer_load_dword v16, v9, s[0:3], 0 offen
	buffer_load_dword v17, v9, s[0:3], 0 offen offset:4
	ds_read_b128 v[10:13], v8
	v_add_nc_u32_e32 v7, 1, v7
	v_add_nc_u32_e32 v8, 16, v8
	;; [unrolled: 1-line block ×3, first 2 shown]
	v_cmp_lt_u32_e32 vcc_lo, 22, v7
	s_or_b32 s5, vcc_lo, s5
	s_waitcnt vmcnt(2) lgkmcnt(0)
	v_mul_f64 v[18:19], v[12:13], v[14:15]
	v_mul_f64 v[14:15], v[10:11], v[14:15]
	s_waitcnt vmcnt(0)
	v_fma_f64 v[10:11], v[10:11], v[16:17], -v[18:19]
	v_fma_f64 v[12:13], v[12:13], v[16:17], v[14:15]
	v_add_f64 v[3:4], v[3:4], v[10:11]
	v_add_f64 v[1:2], v[1:2], v[12:13]
	s_andn2_b32 exec_lo, exec_lo, s5
	s_cbranch_execnz .LBB38_109
; %bb.110:
	s_or_b32 exec_lo, exec_lo, s5
	v_mov_b32_e32 v7, 0
	ds_read_b128 v[7:10], v7 offset:384
	s_waitcnt lgkmcnt(0)
	v_mul_f64 v[11:12], v[1:2], v[9:10]
	v_mul_f64 v[9:10], v[3:4], v[9:10]
	v_fma_f64 v[3:4], v[3:4], v[7:8], -v[11:12]
	v_fma_f64 v[1:2], v[1:2], v[7:8], v[9:10]
	buffer_store_dword v4, off, s[0:3], 0 offset:404
	buffer_store_dword v3, off, s[0:3], 0 offset:400
	buffer_store_dword v2, off, s[0:3], 0 offset:412
	buffer_store_dword v1, off, s[0:3], 0 offset:408
.LBB38_111:
	s_or_b32 exec_lo, exec_lo, s4
	v_mov_b32_e32 v4, s18
	s_waitcnt_vscnt null, 0x0
	s_barrier
	buffer_gl0_inv
	s_mov_b32 s4, exec_lo
	s_clause 0x3
	buffer_load_dword v1, v4, s[0:3], 0 offen
	buffer_load_dword v2, v4, s[0:3], 0 offen offset:4
	buffer_load_dword v3, v4, s[0:3], 0 offen offset:8
	;; [unrolled: 1-line block ×3, first 2 shown]
	s_waitcnt vmcnt(0)
	ds_write_b128 v5, v[1:4]
	s_waitcnt lgkmcnt(0)
	s_barrier
	buffer_gl0_inv
	v_cmpx_gt_u32_e32 25, v0
	s_cbranch_execz .LBB38_115
; %bb.112:
	v_mov_b32_e32 v1, 0
	v_mov_b32_e32 v3, 0
	v_add_nc_u32_e32 v7, -1, v0
	v_add_nc_u32_e32 v8, 0x270, v163
	v_mov_b32_e32 v2, 0
	v_mov_b32_e32 v4, 0
	v_add_nc_u32_e32 v9, 16, v163
	s_mov_b32 s5, 0
	.p2align	6
.LBB38_113:                             ; =>This Inner Loop Header: Depth=1
	s_clause 0x3
	buffer_load_dword v14, v9, s[0:3], 0 offen offset:8
	buffer_load_dword v15, v9, s[0:3], 0 offen offset:12
	buffer_load_dword v16, v9, s[0:3], 0 offen
	buffer_load_dword v17, v9, s[0:3], 0 offen offset:4
	ds_read_b128 v[10:13], v8
	v_add_nc_u32_e32 v7, 1, v7
	v_add_nc_u32_e32 v8, 16, v8
	;; [unrolled: 1-line block ×3, first 2 shown]
	v_cmp_lt_u32_e32 vcc_lo, 23, v7
	s_or_b32 s5, vcc_lo, s5
	s_waitcnt vmcnt(2) lgkmcnt(0)
	v_mul_f64 v[18:19], v[12:13], v[14:15]
	v_mul_f64 v[14:15], v[10:11], v[14:15]
	s_waitcnt vmcnt(0)
	v_fma_f64 v[10:11], v[10:11], v[16:17], -v[18:19]
	v_fma_f64 v[12:13], v[12:13], v[16:17], v[14:15]
	v_add_f64 v[3:4], v[3:4], v[10:11]
	v_add_f64 v[1:2], v[1:2], v[12:13]
	s_andn2_b32 exec_lo, exec_lo, s5
	s_cbranch_execnz .LBB38_113
; %bb.114:
	s_or_b32 exec_lo, exec_lo, s5
	v_mov_b32_e32 v7, 0
	ds_read_b128 v[7:10], v7 offset:400
	s_waitcnt lgkmcnt(0)
	v_mul_f64 v[11:12], v[1:2], v[9:10]
	v_mul_f64 v[9:10], v[3:4], v[9:10]
	v_fma_f64 v[3:4], v[3:4], v[7:8], -v[11:12]
	v_fma_f64 v[1:2], v[1:2], v[7:8], v[9:10]
	buffer_store_dword v4, off, s[0:3], 0 offset:420
	buffer_store_dword v3, off, s[0:3], 0 offset:416
	;; [unrolled: 1-line block ×4, first 2 shown]
.LBB38_115:
	s_or_b32 exec_lo, exec_lo, s4
	v_mov_b32_e32 v4, s16
	s_waitcnt_vscnt null, 0x0
	s_barrier
	buffer_gl0_inv
	s_mov_b32 s4, exec_lo
	s_clause 0x3
	buffer_load_dword v1, v4, s[0:3], 0 offen
	buffer_load_dword v2, v4, s[0:3], 0 offen offset:4
	buffer_load_dword v3, v4, s[0:3], 0 offen offset:8
	;; [unrolled: 1-line block ×3, first 2 shown]
	s_waitcnt vmcnt(0)
	ds_write_b128 v5, v[1:4]
	s_waitcnt lgkmcnt(0)
	s_barrier
	buffer_gl0_inv
	v_cmpx_gt_u32_e32 26, v0
	s_cbranch_execz .LBB38_119
; %bb.116:
	v_mov_b32_e32 v1, 0
	v_mov_b32_e32 v3, 0
	v_add_nc_u32_e32 v7, -1, v0
	v_add_nc_u32_e32 v8, 0x270, v163
	v_mov_b32_e32 v2, 0
	v_mov_b32_e32 v4, 0
	v_add_nc_u32_e32 v9, 16, v163
	s_mov_b32 s5, 0
	.p2align	6
.LBB38_117:                             ; =>This Inner Loop Header: Depth=1
	s_clause 0x3
	buffer_load_dword v14, v9, s[0:3], 0 offen offset:8
	buffer_load_dword v15, v9, s[0:3], 0 offen offset:12
	buffer_load_dword v16, v9, s[0:3], 0 offen
	buffer_load_dword v17, v9, s[0:3], 0 offen offset:4
	ds_read_b128 v[10:13], v8
	v_add_nc_u32_e32 v7, 1, v7
	v_add_nc_u32_e32 v8, 16, v8
	;; [unrolled: 1-line block ×3, first 2 shown]
	v_cmp_lt_u32_e32 vcc_lo, 24, v7
	s_or_b32 s5, vcc_lo, s5
	s_waitcnt vmcnt(2) lgkmcnt(0)
	v_mul_f64 v[18:19], v[12:13], v[14:15]
	v_mul_f64 v[14:15], v[10:11], v[14:15]
	s_waitcnt vmcnt(0)
	v_fma_f64 v[10:11], v[10:11], v[16:17], -v[18:19]
	v_fma_f64 v[12:13], v[12:13], v[16:17], v[14:15]
	v_add_f64 v[3:4], v[3:4], v[10:11]
	v_add_f64 v[1:2], v[1:2], v[12:13]
	s_andn2_b32 exec_lo, exec_lo, s5
	s_cbranch_execnz .LBB38_117
; %bb.118:
	s_or_b32 exec_lo, exec_lo, s5
	v_mov_b32_e32 v7, 0
	ds_read_b128 v[7:10], v7 offset:416
	s_waitcnt lgkmcnt(0)
	v_mul_f64 v[11:12], v[1:2], v[9:10]
	v_mul_f64 v[9:10], v[3:4], v[9:10]
	v_fma_f64 v[3:4], v[3:4], v[7:8], -v[11:12]
	v_fma_f64 v[1:2], v[1:2], v[7:8], v[9:10]
	buffer_store_dword v4, off, s[0:3], 0 offset:436
	buffer_store_dword v3, off, s[0:3], 0 offset:432
	;; [unrolled: 1-line block ×4, first 2 shown]
.LBB38_119:
	s_or_b32 exec_lo, exec_lo, s4
	v_mov_b32_e32 v4, s15
	s_waitcnt_vscnt null, 0x0
	s_barrier
	buffer_gl0_inv
	s_mov_b32 s4, exec_lo
	s_clause 0x3
	buffer_load_dword v1, v4, s[0:3], 0 offen
	buffer_load_dword v2, v4, s[0:3], 0 offen offset:4
	buffer_load_dword v3, v4, s[0:3], 0 offen offset:8
	;; [unrolled: 1-line block ×3, first 2 shown]
	s_waitcnt vmcnt(0)
	ds_write_b128 v5, v[1:4]
	s_waitcnt lgkmcnt(0)
	s_barrier
	buffer_gl0_inv
	v_cmpx_gt_u32_e32 27, v0
	s_cbranch_execz .LBB38_123
; %bb.120:
	v_mov_b32_e32 v1, 0
	v_mov_b32_e32 v3, 0
	v_add_nc_u32_e32 v7, -1, v0
	v_add_nc_u32_e32 v8, 0x270, v163
	v_mov_b32_e32 v2, 0
	v_mov_b32_e32 v4, 0
	v_add_nc_u32_e32 v9, 16, v163
	s_mov_b32 s5, 0
	.p2align	6
.LBB38_121:                             ; =>This Inner Loop Header: Depth=1
	s_clause 0x3
	buffer_load_dword v14, v9, s[0:3], 0 offen offset:8
	buffer_load_dword v15, v9, s[0:3], 0 offen offset:12
	buffer_load_dword v16, v9, s[0:3], 0 offen
	buffer_load_dword v17, v9, s[0:3], 0 offen offset:4
	ds_read_b128 v[10:13], v8
	v_add_nc_u32_e32 v7, 1, v7
	v_add_nc_u32_e32 v8, 16, v8
	;; [unrolled: 1-line block ×3, first 2 shown]
	v_cmp_lt_u32_e32 vcc_lo, 25, v7
	s_or_b32 s5, vcc_lo, s5
	s_waitcnt vmcnt(2) lgkmcnt(0)
	v_mul_f64 v[18:19], v[12:13], v[14:15]
	v_mul_f64 v[14:15], v[10:11], v[14:15]
	s_waitcnt vmcnt(0)
	v_fma_f64 v[10:11], v[10:11], v[16:17], -v[18:19]
	v_fma_f64 v[12:13], v[12:13], v[16:17], v[14:15]
	v_add_f64 v[3:4], v[3:4], v[10:11]
	v_add_f64 v[1:2], v[1:2], v[12:13]
	s_andn2_b32 exec_lo, exec_lo, s5
	s_cbranch_execnz .LBB38_121
; %bb.122:
	s_or_b32 exec_lo, exec_lo, s5
	v_mov_b32_e32 v7, 0
	ds_read_b128 v[7:10], v7 offset:432
	s_waitcnt lgkmcnt(0)
	v_mul_f64 v[11:12], v[1:2], v[9:10]
	v_mul_f64 v[9:10], v[3:4], v[9:10]
	v_fma_f64 v[3:4], v[3:4], v[7:8], -v[11:12]
	v_fma_f64 v[1:2], v[1:2], v[7:8], v[9:10]
	buffer_store_dword v4, off, s[0:3], 0 offset:452
	buffer_store_dword v3, off, s[0:3], 0 offset:448
	;; [unrolled: 1-line block ×4, first 2 shown]
.LBB38_123:
	s_or_b32 exec_lo, exec_lo, s4
	v_mov_b32_e32 v4, s14
	s_waitcnt_vscnt null, 0x0
	s_barrier
	buffer_gl0_inv
	s_mov_b32 s4, exec_lo
	s_clause 0x3
	buffer_load_dword v1, v4, s[0:3], 0 offen
	buffer_load_dword v2, v4, s[0:3], 0 offen offset:4
	buffer_load_dword v3, v4, s[0:3], 0 offen offset:8
	;; [unrolled: 1-line block ×3, first 2 shown]
	s_waitcnt vmcnt(0)
	ds_write_b128 v5, v[1:4]
	s_waitcnt lgkmcnt(0)
	s_barrier
	buffer_gl0_inv
	v_cmpx_gt_u32_e32 28, v0
	s_cbranch_execz .LBB38_127
; %bb.124:
	v_mov_b32_e32 v1, 0
	v_mov_b32_e32 v3, 0
	v_add_nc_u32_e32 v7, -1, v0
	v_add_nc_u32_e32 v8, 0x270, v163
	v_mov_b32_e32 v2, 0
	v_mov_b32_e32 v4, 0
	v_add_nc_u32_e32 v9, 16, v163
	s_mov_b32 s5, 0
	.p2align	6
.LBB38_125:                             ; =>This Inner Loop Header: Depth=1
	s_clause 0x3
	buffer_load_dword v14, v9, s[0:3], 0 offen offset:8
	buffer_load_dword v15, v9, s[0:3], 0 offen offset:12
	buffer_load_dword v16, v9, s[0:3], 0 offen
	buffer_load_dword v17, v9, s[0:3], 0 offen offset:4
	ds_read_b128 v[10:13], v8
	v_add_nc_u32_e32 v7, 1, v7
	v_add_nc_u32_e32 v8, 16, v8
	;; [unrolled: 1-line block ×3, first 2 shown]
	v_cmp_lt_u32_e32 vcc_lo, 26, v7
	s_or_b32 s5, vcc_lo, s5
	s_waitcnt vmcnt(2) lgkmcnt(0)
	v_mul_f64 v[18:19], v[12:13], v[14:15]
	v_mul_f64 v[14:15], v[10:11], v[14:15]
	s_waitcnt vmcnt(0)
	v_fma_f64 v[10:11], v[10:11], v[16:17], -v[18:19]
	v_fma_f64 v[12:13], v[12:13], v[16:17], v[14:15]
	v_add_f64 v[3:4], v[3:4], v[10:11]
	v_add_f64 v[1:2], v[1:2], v[12:13]
	s_andn2_b32 exec_lo, exec_lo, s5
	s_cbranch_execnz .LBB38_125
; %bb.126:
	s_or_b32 exec_lo, exec_lo, s5
	v_mov_b32_e32 v7, 0
	ds_read_b128 v[7:10], v7 offset:448
	s_waitcnt lgkmcnt(0)
	v_mul_f64 v[11:12], v[1:2], v[9:10]
	v_mul_f64 v[9:10], v[3:4], v[9:10]
	v_fma_f64 v[3:4], v[3:4], v[7:8], -v[11:12]
	v_fma_f64 v[1:2], v[1:2], v[7:8], v[9:10]
	buffer_store_dword v4, off, s[0:3], 0 offset:468
	buffer_store_dword v3, off, s[0:3], 0 offset:464
	buffer_store_dword v2, off, s[0:3], 0 offset:476
	buffer_store_dword v1, off, s[0:3], 0 offset:472
.LBB38_127:
	s_or_b32 exec_lo, exec_lo, s4
	v_mov_b32_e32 v4, s13
	s_waitcnt_vscnt null, 0x0
	s_barrier
	buffer_gl0_inv
	s_mov_b32 s4, exec_lo
	s_clause 0x3
	buffer_load_dword v1, v4, s[0:3], 0 offen
	buffer_load_dword v2, v4, s[0:3], 0 offen offset:4
	buffer_load_dword v3, v4, s[0:3], 0 offen offset:8
	;; [unrolled: 1-line block ×3, first 2 shown]
	s_waitcnt vmcnt(0)
	ds_write_b128 v5, v[1:4]
	s_waitcnt lgkmcnt(0)
	s_barrier
	buffer_gl0_inv
	v_cmpx_gt_u32_e32 29, v0
	s_cbranch_execz .LBB38_131
; %bb.128:
	v_mov_b32_e32 v1, 0
	v_mov_b32_e32 v3, 0
	v_add_nc_u32_e32 v7, -1, v0
	v_add_nc_u32_e32 v8, 0x270, v163
	v_mov_b32_e32 v2, 0
	v_mov_b32_e32 v4, 0
	v_add_nc_u32_e32 v9, 16, v163
	s_mov_b32 s5, 0
	.p2align	6
.LBB38_129:                             ; =>This Inner Loop Header: Depth=1
	s_clause 0x3
	buffer_load_dword v14, v9, s[0:3], 0 offen offset:8
	buffer_load_dword v15, v9, s[0:3], 0 offen offset:12
	buffer_load_dword v16, v9, s[0:3], 0 offen
	buffer_load_dword v17, v9, s[0:3], 0 offen offset:4
	ds_read_b128 v[10:13], v8
	v_add_nc_u32_e32 v7, 1, v7
	v_add_nc_u32_e32 v8, 16, v8
	;; [unrolled: 1-line block ×3, first 2 shown]
	v_cmp_lt_u32_e32 vcc_lo, 27, v7
	s_or_b32 s5, vcc_lo, s5
	s_waitcnt vmcnt(2) lgkmcnt(0)
	v_mul_f64 v[18:19], v[12:13], v[14:15]
	v_mul_f64 v[14:15], v[10:11], v[14:15]
	s_waitcnt vmcnt(0)
	v_fma_f64 v[10:11], v[10:11], v[16:17], -v[18:19]
	v_fma_f64 v[12:13], v[12:13], v[16:17], v[14:15]
	v_add_f64 v[3:4], v[3:4], v[10:11]
	v_add_f64 v[1:2], v[1:2], v[12:13]
	s_andn2_b32 exec_lo, exec_lo, s5
	s_cbranch_execnz .LBB38_129
; %bb.130:
	s_or_b32 exec_lo, exec_lo, s5
	v_mov_b32_e32 v7, 0
	ds_read_b128 v[7:10], v7 offset:464
	s_waitcnt lgkmcnt(0)
	v_mul_f64 v[11:12], v[1:2], v[9:10]
	v_mul_f64 v[9:10], v[3:4], v[9:10]
	v_fma_f64 v[3:4], v[3:4], v[7:8], -v[11:12]
	v_fma_f64 v[1:2], v[1:2], v[7:8], v[9:10]
	buffer_store_dword v4, off, s[0:3], 0 offset:484
	buffer_store_dword v3, off, s[0:3], 0 offset:480
	;; [unrolled: 1-line block ×4, first 2 shown]
.LBB38_131:
	s_or_b32 exec_lo, exec_lo, s4
	v_mov_b32_e32 v4, s12
	s_waitcnt_vscnt null, 0x0
	s_barrier
	buffer_gl0_inv
	s_mov_b32 s4, exec_lo
	s_clause 0x3
	buffer_load_dword v1, v4, s[0:3], 0 offen
	buffer_load_dword v2, v4, s[0:3], 0 offen offset:4
	buffer_load_dword v3, v4, s[0:3], 0 offen offset:8
	buffer_load_dword v4, v4, s[0:3], 0 offen offset:12
	s_waitcnt vmcnt(0)
	ds_write_b128 v5, v[1:4]
	s_waitcnt lgkmcnt(0)
	s_barrier
	buffer_gl0_inv
	v_cmpx_gt_u32_e32 30, v0
	s_cbranch_execz .LBB38_135
; %bb.132:
	v_mov_b32_e32 v1, 0
	v_mov_b32_e32 v3, 0
	v_add_nc_u32_e32 v7, -1, v0
	v_add_nc_u32_e32 v8, 0x270, v163
	v_mov_b32_e32 v2, 0
	v_mov_b32_e32 v4, 0
	v_add_nc_u32_e32 v9, 16, v163
	s_mov_b32 s5, 0
	.p2align	6
.LBB38_133:                             ; =>This Inner Loop Header: Depth=1
	s_clause 0x3
	buffer_load_dword v14, v9, s[0:3], 0 offen offset:8
	buffer_load_dword v15, v9, s[0:3], 0 offen offset:12
	buffer_load_dword v16, v9, s[0:3], 0 offen
	buffer_load_dword v17, v9, s[0:3], 0 offen offset:4
	ds_read_b128 v[10:13], v8
	v_add_nc_u32_e32 v7, 1, v7
	v_add_nc_u32_e32 v8, 16, v8
	;; [unrolled: 1-line block ×3, first 2 shown]
	v_cmp_lt_u32_e32 vcc_lo, 28, v7
	s_or_b32 s5, vcc_lo, s5
	s_waitcnt vmcnt(2) lgkmcnt(0)
	v_mul_f64 v[18:19], v[12:13], v[14:15]
	v_mul_f64 v[14:15], v[10:11], v[14:15]
	s_waitcnt vmcnt(0)
	v_fma_f64 v[10:11], v[10:11], v[16:17], -v[18:19]
	v_fma_f64 v[12:13], v[12:13], v[16:17], v[14:15]
	v_add_f64 v[3:4], v[3:4], v[10:11]
	v_add_f64 v[1:2], v[1:2], v[12:13]
	s_andn2_b32 exec_lo, exec_lo, s5
	s_cbranch_execnz .LBB38_133
; %bb.134:
	s_or_b32 exec_lo, exec_lo, s5
	v_mov_b32_e32 v7, 0
	ds_read_b128 v[7:10], v7 offset:480
	s_waitcnt lgkmcnt(0)
	v_mul_f64 v[11:12], v[1:2], v[9:10]
	v_mul_f64 v[9:10], v[3:4], v[9:10]
	v_fma_f64 v[3:4], v[3:4], v[7:8], -v[11:12]
	v_fma_f64 v[1:2], v[1:2], v[7:8], v[9:10]
	buffer_store_dword v4, off, s[0:3], 0 offset:500
	buffer_store_dword v3, off, s[0:3], 0 offset:496
	;; [unrolled: 1-line block ×4, first 2 shown]
.LBB38_135:
	s_or_b32 exec_lo, exec_lo, s4
	v_mov_b32_e32 v4, s9
	s_waitcnt_vscnt null, 0x0
	s_barrier
	buffer_gl0_inv
	s_mov_b32 s4, exec_lo
	s_clause 0x3
	buffer_load_dword v1, v4, s[0:3], 0 offen
	buffer_load_dword v2, v4, s[0:3], 0 offen offset:4
	buffer_load_dword v3, v4, s[0:3], 0 offen offset:8
	;; [unrolled: 1-line block ×3, first 2 shown]
	s_waitcnt vmcnt(0)
	ds_write_b128 v5, v[1:4]
	s_waitcnt lgkmcnt(0)
	s_barrier
	buffer_gl0_inv
	v_cmpx_gt_u32_e32 31, v0
	s_cbranch_execz .LBB38_139
; %bb.136:
	v_mov_b32_e32 v1, 0
	v_mov_b32_e32 v3, 0
	v_add_nc_u32_e32 v7, -1, v0
	v_add_nc_u32_e32 v8, 0x270, v163
	v_mov_b32_e32 v2, 0
	v_mov_b32_e32 v4, 0
	v_add_nc_u32_e32 v9, 16, v163
	s_mov_b32 s5, 0
	.p2align	6
.LBB38_137:                             ; =>This Inner Loop Header: Depth=1
	s_clause 0x3
	buffer_load_dword v14, v9, s[0:3], 0 offen offset:8
	buffer_load_dword v15, v9, s[0:3], 0 offen offset:12
	buffer_load_dword v16, v9, s[0:3], 0 offen
	buffer_load_dword v17, v9, s[0:3], 0 offen offset:4
	ds_read_b128 v[10:13], v8
	v_add_nc_u32_e32 v7, 1, v7
	v_add_nc_u32_e32 v8, 16, v8
	;; [unrolled: 1-line block ×3, first 2 shown]
	v_cmp_lt_u32_e32 vcc_lo, 29, v7
	s_or_b32 s5, vcc_lo, s5
	s_waitcnt vmcnt(2) lgkmcnt(0)
	v_mul_f64 v[18:19], v[12:13], v[14:15]
	v_mul_f64 v[14:15], v[10:11], v[14:15]
	s_waitcnt vmcnt(0)
	v_fma_f64 v[10:11], v[10:11], v[16:17], -v[18:19]
	v_fma_f64 v[12:13], v[12:13], v[16:17], v[14:15]
	v_add_f64 v[3:4], v[3:4], v[10:11]
	v_add_f64 v[1:2], v[1:2], v[12:13]
	s_andn2_b32 exec_lo, exec_lo, s5
	s_cbranch_execnz .LBB38_137
; %bb.138:
	s_or_b32 exec_lo, exec_lo, s5
	v_mov_b32_e32 v7, 0
	ds_read_b128 v[7:10], v7 offset:496
	s_waitcnt lgkmcnt(0)
	v_mul_f64 v[11:12], v[1:2], v[9:10]
	v_mul_f64 v[9:10], v[3:4], v[9:10]
	v_fma_f64 v[3:4], v[3:4], v[7:8], -v[11:12]
	v_fma_f64 v[1:2], v[1:2], v[7:8], v[9:10]
	buffer_store_dword v4, off, s[0:3], 0 offset:516
	buffer_store_dword v3, off, s[0:3], 0 offset:512
	;; [unrolled: 1-line block ×4, first 2 shown]
.LBB38_139:
	s_or_b32 exec_lo, exec_lo, s4
	v_mov_b32_e32 v4, s8
	s_waitcnt_vscnt null, 0x0
	s_barrier
	buffer_gl0_inv
	s_mov_b32 s4, exec_lo
	s_clause 0x3
	buffer_load_dword v1, v4, s[0:3], 0 offen
	buffer_load_dword v2, v4, s[0:3], 0 offen offset:4
	buffer_load_dword v3, v4, s[0:3], 0 offen offset:8
	;; [unrolled: 1-line block ×3, first 2 shown]
	s_waitcnt vmcnt(0)
	ds_write_b128 v5, v[1:4]
	s_waitcnt lgkmcnt(0)
	s_barrier
	buffer_gl0_inv
	v_cmpx_gt_u32_e32 32, v0
	s_cbranch_execz .LBB38_143
; %bb.140:
	v_mov_b32_e32 v1, 0
	v_mov_b32_e32 v3, 0
	v_add_nc_u32_e32 v7, -1, v0
	v_add_nc_u32_e32 v8, 0x270, v163
	v_mov_b32_e32 v2, 0
	v_mov_b32_e32 v4, 0
	v_add_nc_u32_e32 v9, 16, v163
	s_mov_b32 s5, 0
	.p2align	6
.LBB38_141:                             ; =>This Inner Loop Header: Depth=1
	s_clause 0x3
	buffer_load_dword v14, v9, s[0:3], 0 offen offset:8
	buffer_load_dword v15, v9, s[0:3], 0 offen offset:12
	buffer_load_dword v16, v9, s[0:3], 0 offen
	buffer_load_dword v17, v9, s[0:3], 0 offen offset:4
	ds_read_b128 v[10:13], v8
	v_add_nc_u32_e32 v7, 1, v7
	v_add_nc_u32_e32 v8, 16, v8
	v_add_nc_u32_e32 v9, 16, v9
	v_cmp_lt_u32_e32 vcc_lo, 30, v7
	s_or_b32 s5, vcc_lo, s5
	s_waitcnt vmcnt(2) lgkmcnt(0)
	v_mul_f64 v[18:19], v[12:13], v[14:15]
	v_mul_f64 v[14:15], v[10:11], v[14:15]
	s_waitcnt vmcnt(0)
	v_fma_f64 v[10:11], v[10:11], v[16:17], -v[18:19]
	v_fma_f64 v[12:13], v[12:13], v[16:17], v[14:15]
	v_add_f64 v[3:4], v[3:4], v[10:11]
	v_add_f64 v[1:2], v[1:2], v[12:13]
	s_andn2_b32 exec_lo, exec_lo, s5
	s_cbranch_execnz .LBB38_141
; %bb.142:
	s_or_b32 exec_lo, exec_lo, s5
	v_mov_b32_e32 v7, 0
	ds_read_b128 v[7:10], v7 offset:512
	s_waitcnt lgkmcnt(0)
	v_mul_f64 v[11:12], v[1:2], v[9:10]
	v_mul_f64 v[9:10], v[3:4], v[9:10]
	v_fma_f64 v[3:4], v[3:4], v[7:8], -v[11:12]
	v_fma_f64 v[1:2], v[1:2], v[7:8], v[9:10]
	buffer_store_dword v4, off, s[0:3], 0 offset:532
	buffer_store_dword v3, off, s[0:3], 0 offset:528
	;; [unrolled: 1-line block ×4, first 2 shown]
.LBB38_143:
	s_or_b32 exec_lo, exec_lo, s4
	v_mov_b32_e32 v4, s29
	s_waitcnt_vscnt null, 0x0
	s_barrier
	buffer_gl0_inv
	s_mov_b32 s4, exec_lo
	s_clause 0x3
	buffer_load_dword v1, v4, s[0:3], 0 offen
	buffer_load_dword v2, v4, s[0:3], 0 offen offset:4
	buffer_load_dword v3, v4, s[0:3], 0 offen offset:8
	;; [unrolled: 1-line block ×3, first 2 shown]
	s_waitcnt vmcnt(0)
	ds_write_b128 v5, v[1:4]
	s_waitcnt lgkmcnt(0)
	s_barrier
	buffer_gl0_inv
	v_cmpx_gt_u32_e32 33, v0
	s_cbranch_execz .LBB38_147
; %bb.144:
	v_mov_b32_e32 v1, 0
	v_mov_b32_e32 v3, 0
	v_add_nc_u32_e32 v7, -1, v0
	v_add_nc_u32_e32 v8, 0x270, v163
	v_mov_b32_e32 v2, 0
	v_mov_b32_e32 v4, 0
	v_add_nc_u32_e32 v9, 16, v163
	s_mov_b32 s5, 0
	.p2align	6
.LBB38_145:                             ; =>This Inner Loop Header: Depth=1
	s_clause 0x3
	buffer_load_dword v14, v9, s[0:3], 0 offen offset:8
	buffer_load_dword v15, v9, s[0:3], 0 offen offset:12
	buffer_load_dword v16, v9, s[0:3], 0 offen
	buffer_load_dword v17, v9, s[0:3], 0 offen offset:4
	ds_read_b128 v[10:13], v8
	v_add_nc_u32_e32 v7, 1, v7
	v_add_nc_u32_e32 v8, 16, v8
	;; [unrolled: 1-line block ×3, first 2 shown]
	v_cmp_lt_u32_e32 vcc_lo, 31, v7
	s_or_b32 s5, vcc_lo, s5
	s_waitcnt vmcnt(2) lgkmcnt(0)
	v_mul_f64 v[18:19], v[12:13], v[14:15]
	v_mul_f64 v[14:15], v[10:11], v[14:15]
	s_waitcnt vmcnt(0)
	v_fma_f64 v[10:11], v[10:11], v[16:17], -v[18:19]
	v_fma_f64 v[12:13], v[12:13], v[16:17], v[14:15]
	v_add_f64 v[3:4], v[3:4], v[10:11]
	v_add_f64 v[1:2], v[1:2], v[12:13]
	s_andn2_b32 exec_lo, exec_lo, s5
	s_cbranch_execnz .LBB38_145
; %bb.146:
	s_or_b32 exec_lo, exec_lo, s5
	v_mov_b32_e32 v7, 0
	ds_read_b128 v[7:10], v7 offset:528
	s_waitcnt lgkmcnt(0)
	v_mul_f64 v[11:12], v[1:2], v[9:10]
	v_mul_f64 v[9:10], v[3:4], v[9:10]
	v_fma_f64 v[3:4], v[3:4], v[7:8], -v[11:12]
	v_fma_f64 v[1:2], v[1:2], v[7:8], v[9:10]
	buffer_store_dword v4, off, s[0:3], 0 offset:548
	buffer_store_dword v3, off, s[0:3], 0 offset:544
	;; [unrolled: 1-line block ×4, first 2 shown]
.LBB38_147:
	s_or_b32 exec_lo, exec_lo, s4
	v_mov_b32_e32 v4, s27
	s_waitcnt_vscnt null, 0x0
	s_barrier
	buffer_gl0_inv
	s_mov_b32 s4, exec_lo
	s_clause 0x3
	buffer_load_dword v1, v4, s[0:3], 0 offen
	buffer_load_dword v2, v4, s[0:3], 0 offen offset:4
	buffer_load_dword v3, v4, s[0:3], 0 offen offset:8
	;; [unrolled: 1-line block ×3, first 2 shown]
	s_waitcnt vmcnt(0)
	ds_write_b128 v5, v[1:4]
	s_waitcnt lgkmcnt(0)
	s_barrier
	buffer_gl0_inv
	v_cmpx_gt_u32_e32 34, v0
	s_cbranch_execz .LBB38_151
; %bb.148:
	v_mov_b32_e32 v1, 0
	v_mov_b32_e32 v3, 0
	v_add_nc_u32_e32 v7, -1, v0
	v_add_nc_u32_e32 v8, 0x270, v163
	v_mov_b32_e32 v2, 0
	v_mov_b32_e32 v4, 0
	v_add_nc_u32_e32 v9, 16, v163
	s_mov_b32 s5, 0
	.p2align	6
.LBB38_149:                             ; =>This Inner Loop Header: Depth=1
	s_clause 0x3
	buffer_load_dword v14, v9, s[0:3], 0 offen offset:8
	buffer_load_dword v15, v9, s[0:3], 0 offen offset:12
	buffer_load_dword v16, v9, s[0:3], 0 offen
	buffer_load_dword v17, v9, s[0:3], 0 offen offset:4
	ds_read_b128 v[10:13], v8
	v_add_nc_u32_e32 v7, 1, v7
	v_add_nc_u32_e32 v8, 16, v8
	;; [unrolled: 1-line block ×3, first 2 shown]
	v_cmp_lt_u32_e32 vcc_lo, 32, v7
	s_or_b32 s5, vcc_lo, s5
	s_waitcnt vmcnt(2) lgkmcnt(0)
	v_mul_f64 v[18:19], v[12:13], v[14:15]
	v_mul_f64 v[14:15], v[10:11], v[14:15]
	s_waitcnt vmcnt(0)
	v_fma_f64 v[10:11], v[10:11], v[16:17], -v[18:19]
	v_fma_f64 v[12:13], v[12:13], v[16:17], v[14:15]
	v_add_f64 v[3:4], v[3:4], v[10:11]
	v_add_f64 v[1:2], v[1:2], v[12:13]
	s_andn2_b32 exec_lo, exec_lo, s5
	s_cbranch_execnz .LBB38_149
; %bb.150:
	s_or_b32 exec_lo, exec_lo, s5
	v_mov_b32_e32 v7, 0
	ds_read_b128 v[7:10], v7 offset:544
	s_waitcnt lgkmcnt(0)
	v_mul_f64 v[11:12], v[1:2], v[9:10]
	v_mul_f64 v[9:10], v[3:4], v[9:10]
	v_fma_f64 v[3:4], v[3:4], v[7:8], -v[11:12]
	v_fma_f64 v[1:2], v[1:2], v[7:8], v[9:10]
	buffer_store_dword v4, off, s[0:3], 0 offset:564
	buffer_store_dword v3, off, s[0:3], 0 offset:560
	;; [unrolled: 1-line block ×4, first 2 shown]
.LBB38_151:
	s_or_b32 exec_lo, exec_lo, s4
	v_mov_b32_e32 v4, s25
	s_waitcnt_vscnt null, 0x0
	s_barrier
	buffer_gl0_inv
	s_mov_b32 s4, exec_lo
	s_clause 0x3
	buffer_load_dword v1, v4, s[0:3], 0 offen
	buffer_load_dword v2, v4, s[0:3], 0 offen offset:4
	buffer_load_dword v3, v4, s[0:3], 0 offen offset:8
	;; [unrolled: 1-line block ×3, first 2 shown]
	s_waitcnt vmcnt(0)
	ds_write_b128 v5, v[1:4]
	s_waitcnt lgkmcnt(0)
	s_barrier
	buffer_gl0_inv
	v_cmpx_gt_u32_e32 35, v0
	s_cbranch_execz .LBB38_155
; %bb.152:
	v_mov_b32_e32 v1, 0
	v_mov_b32_e32 v3, 0
	v_add_nc_u32_e32 v7, -1, v0
	v_add_nc_u32_e32 v8, 0x270, v163
	v_mov_b32_e32 v2, 0
	v_mov_b32_e32 v4, 0
	v_add_nc_u32_e32 v9, 16, v163
	s_mov_b32 s5, 0
	.p2align	6
.LBB38_153:                             ; =>This Inner Loop Header: Depth=1
	s_clause 0x3
	buffer_load_dword v14, v9, s[0:3], 0 offen offset:8
	buffer_load_dword v15, v9, s[0:3], 0 offen offset:12
	buffer_load_dword v16, v9, s[0:3], 0 offen
	buffer_load_dword v17, v9, s[0:3], 0 offen offset:4
	ds_read_b128 v[10:13], v8
	v_add_nc_u32_e32 v7, 1, v7
	v_add_nc_u32_e32 v8, 16, v8
	;; [unrolled: 1-line block ×3, first 2 shown]
	v_cmp_lt_u32_e32 vcc_lo, 33, v7
	s_or_b32 s5, vcc_lo, s5
	s_waitcnt vmcnt(2) lgkmcnt(0)
	v_mul_f64 v[18:19], v[12:13], v[14:15]
	v_mul_f64 v[14:15], v[10:11], v[14:15]
	s_waitcnt vmcnt(0)
	v_fma_f64 v[10:11], v[10:11], v[16:17], -v[18:19]
	v_fma_f64 v[12:13], v[12:13], v[16:17], v[14:15]
	v_add_f64 v[3:4], v[3:4], v[10:11]
	v_add_f64 v[1:2], v[1:2], v[12:13]
	s_andn2_b32 exec_lo, exec_lo, s5
	s_cbranch_execnz .LBB38_153
; %bb.154:
	s_or_b32 exec_lo, exec_lo, s5
	v_mov_b32_e32 v7, 0
	ds_read_b128 v[7:10], v7 offset:560
	s_waitcnt lgkmcnt(0)
	v_mul_f64 v[11:12], v[1:2], v[9:10]
	v_mul_f64 v[9:10], v[3:4], v[9:10]
	v_fma_f64 v[3:4], v[3:4], v[7:8], -v[11:12]
	v_fma_f64 v[1:2], v[1:2], v[7:8], v[9:10]
	buffer_store_dword v4, off, s[0:3], 0 offset:580
	buffer_store_dword v3, off, s[0:3], 0 offset:576
	;; [unrolled: 1-line block ×4, first 2 shown]
.LBB38_155:
	s_or_b32 exec_lo, exec_lo, s4
	v_mov_b32_e32 v4, s23
	s_waitcnt_vscnt null, 0x0
	s_barrier
	buffer_gl0_inv
	s_mov_b32 s4, exec_lo
	s_clause 0x3
	buffer_load_dword v1, v4, s[0:3], 0 offen
	buffer_load_dword v2, v4, s[0:3], 0 offen offset:4
	buffer_load_dword v3, v4, s[0:3], 0 offen offset:8
	;; [unrolled: 1-line block ×3, first 2 shown]
	s_waitcnt vmcnt(0)
	ds_write_b128 v5, v[1:4]
	s_waitcnt lgkmcnt(0)
	s_barrier
	buffer_gl0_inv
	v_cmpx_gt_u32_e32 36, v0
	s_cbranch_execz .LBB38_159
; %bb.156:
	v_mov_b32_e32 v1, 0
	v_mov_b32_e32 v3, 0
	v_add_nc_u32_e32 v7, -1, v0
	v_add_nc_u32_e32 v8, 0x270, v163
	v_mov_b32_e32 v2, 0
	v_mov_b32_e32 v4, 0
	v_add_nc_u32_e32 v9, 16, v163
	s_mov_b32 s5, 0
	.p2align	6
.LBB38_157:                             ; =>This Inner Loop Header: Depth=1
	s_clause 0x3
	buffer_load_dword v14, v9, s[0:3], 0 offen offset:8
	buffer_load_dword v15, v9, s[0:3], 0 offen offset:12
	buffer_load_dword v16, v9, s[0:3], 0 offen
	buffer_load_dword v17, v9, s[0:3], 0 offen offset:4
	ds_read_b128 v[10:13], v8
	v_add_nc_u32_e32 v7, 1, v7
	v_add_nc_u32_e32 v8, 16, v8
	;; [unrolled: 1-line block ×3, first 2 shown]
	v_cmp_lt_u32_e32 vcc_lo, 34, v7
	s_or_b32 s5, vcc_lo, s5
	s_waitcnt vmcnt(2) lgkmcnt(0)
	v_mul_f64 v[18:19], v[12:13], v[14:15]
	v_mul_f64 v[14:15], v[10:11], v[14:15]
	s_waitcnt vmcnt(0)
	v_fma_f64 v[10:11], v[10:11], v[16:17], -v[18:19]
	v_fma_f64 v[12:13], v[12:13], v[16:17], v[14:15]
	v_add_f64 v[3:4], v[3:4], v[10:11]
	v_add_f64 v[1:2], v[1:2], v[12:13]
	s_andn2_b32 exec_lo, exec_lo, s5
	s_cbranch_execnz .LBB38_157
; %bb.158:
	s_or_b32 exec_lo, exec_lo, s5
	v_mov_b32_e32 v7, 0
	ds_read_b128 v[7:10], v7 offset:576
	s_waitcnt lgkmcnt(0)
	v_mul_f64 v[11:12], v[1:2], v[9:10]
	v_mul_f64 v[9:10], v[3:4], v[9:10]
	v_fma_f64 v[3:4], v[3:4], v[7:8], -v[11:12]
	v_fma_f64 v[1:2], v[1:2], v[7:8], v[9:10]
	buffer_store_dword v4, off, s[0:3], 0 offset:596
	buffer_store_dword v3, off, s[0:3], 0 offset:592
	;; [unrolled: 1-line block ×4, first 2 shown]
.LBB38_159:
	s_or_b32 exec_lo, exec_lo, s4
	v_mov_b32_e32 v4, s19
	s_waitcnt_vscnt null, 0x0
	s_barrier
	buffer_gl0_inv
	s_mov_b32 s4, exec_lo
	s_clause 0x3
	buffer_load_dword v1, v4, s[0:3], 0 offen
	buffer_load_dword v2, v4, s[0:3], 0 offen offset:4
	buffer_load_dword v3, v4, s[0:3], 0 offen offset:8
	;; [unrolled: 1-line block ×3, first 2 shown]
	s_waitcnt vmcnt(0)
	ds_write_b128 v5, v[1:4]
	s_waitcnt lgkmcnt(0)
	s_barrier
	buffer_gl0_inv
	v_cmpx_gt_u32_e32 37, v0
	s_cbranch_execz .LBB38_163
; %bb.160:
	v_mov_b32_e32 v1, 0
	v_mov_b32_e32 v3, 0
	v_add_nc_u32_e32 v7, -1, v0
	v_add_nc_u32_e32 v8, 0x270, v163
	v_mov_b32_e32 v2, 0
	v_mov_b32_e32 v4, 0
	v_add_nc_u32_e32 v9, 16, v163
	s_mov_b32 s5, 0
	.p2align	6
.LBB38_161:                             ; =>This Inner Loop Header: Depth=1
	s_clause 0x3
	buffer_load_dword v14, v9, s[0:3], 0 offen offset:8
	buffer_load_dword v15, v9, s[0:3], 0 offen offset:12
	buffer_load_dword v16, v9, s[0:3], 0 offen
	buffer_load_dword v17, v9, s[0:3], 0 offen offset:4
	ds_read_b128 v[10:13], v8
	v_add_nc_u32_e32 v7, 1, v7
	v_add_nc_u32_e32 v8, 16, v8
	;; [unrolled: 1-line block ×3, first 2 shown]
	v_cmp_lt_u32_e32 vcc_lo, 35, v7
	s_or_b32 s5, vcc_lo, s5
	s_waitcnt vmcnt(2) lgkmcnt(0)
	v_mul_f64 v[18:19], v[12:13], v[14:15]
	v_mul_f64 v[14:15], v[10:11], v[14:15]
	s_waitcnt vmcnt(0)
	v_fma_f64 v[10:11], v[10:11], v[16:17], -v[18:19]
	v_fma_f64 v[12:13], v[12:13], v[16:17], v[14:15]
	v_add_f64 v[3:4], v[3:4], v[10:11]
	v_add_f64 v[1:2], v[1:2], v[12:13]
	s_andn2_b32 exec_lo, exec_lo, s5
	s_cbranch_execnz .LBB38_161
; %bb.162:
	s_or_b32 exec_lo, exec_lo, s5
	v_mov_b32_e32 v7, 0
	ds_read_b128 v[7:10], v7 offset:592
	s_waitcnt lgkmcnt(0)
	v_mul_f64 v[11:12], v[1:2], v[9:10]
	v_mul_f64 v[9:10], v[3:4], v[9:10]
	v_fma_f64 v[3:4], v[3:4], v[7:8], -v[11:12]
	v_fma_f64 v[1:2], v[1:2], v[7:8], v[9:10]
	buffer_store_dword v4, off, s[0:3], 0 offset:612
	buffer_store_dword v3, off, s[0:3], 0 offset:608
	buffer_store_dword v2, off, s[0:3], 0 offset:620
	buffer_store_dword v1, off, s[0:3], 0 offset:616
.LBB38_163:
	s_or_b32 exec_lo, exec_lo, s4
	v_mov_b32_e32 v4, s17
	s_waitcnt_vscnt null, 0x0
	s_barrier
	buffer_gl0_inv
	s_mov_b32 s4, exec_lo
	s_clause 0x3
	buffer_load_dword v1, v4, s[0:3], 0 offen
	buffer_load_dword v2, v4, s[0:3], 0 offen offset:4
	buffer_load_dword v3, v4, s[0:3], 0 offen offset:8
	;; [unrolled: 1-line block ×3, first 2 shown]
	s_waitcnt vmcnt(0)
	ds_write_b128 v5, v[1:4]
	s_waitcnt lgkmcnt(0)
	s_barrier
	buffer_gl0_inv
	v_cmpx_ne_u32_e32 38, v0
	s_cbranch_execz .LBB38_167
; %bb.164:
	v_mov_b32_e32 v1, 0
	v_mov_b32_e32 v3, 0
	;; [unrolled: 1-line block ×4, first 2 shown]
	v_add_nc_u32_e32 v7, 16, v163
	s_mov_b32 s5, 0
	.p2align	6
.LBB38_165:                             ; =>This Inner Loop Header: Depth=1
	s_clause 0x3
	buffer_load_dword v12, v7, s[0:3], 0 offen offset:8
	buffer_load_dword v13, v7, s[0:3], 0 offen offset:12
	buffer_load_dword v14, v7, s[0:3], 0 offen
	buffer_load_dword v15, v7, s[0:3], 0 offen offset:4
	ds_read_b128 v[8:11], v5
	v_add_nc_u32_e32 v6, 1, v6
	v_add_nc_u32_e32 v5, 16, v5
	;; [unrolled: 1-line block ×3, first 2 shown]
	v_cmp_lt_u32_e32 vcc_lo, 36, v6
	s_or_b32 s5, vcc_lo, s5
	s_waitcnt vmcnt(2) lgkmcnt(0)
	v_mul_f64 v[16:17], v[10:11], v[12:13]
	v_mul_f64 v[12:13], v[8:9], v[12:13]
	s_waitcnt vmcnt(0)
	v_fma_f64 v[8:9], v[8:9], v[14:15], -v[16:17]
	v_fma_f64 v[10:11], v[10:11], v[14:15], v[12:13]
	v_add_f64 v[3:4], v[3:4], v[8:9]
	v_add_f64 v[1:2], v[1:2], v[10:11]
	s_andn2_b32 exec_lo, exec_lo, s5
	s_cbranch_execnz .LBB38_165
; %bb.166:
	s_or_b32 exec_lo, exec_lo, s5
	v_mov_b32_e32 v5, 0
	ds_read_b128 v[5:8], v5 offset:608
	s_waitcnt lgkmcnt(0)
	v_mul_f64 v[9:10], v[1:2], v[7:8]
	v_mul_f64 v[7:8], v[3:4], v[7:8]
	v_fma_f64 v[3:4], v[3:4], v[5:6], -v[9:10]
	v_fma_f64 v[1:2], v[1:2], v[5:6], v[7:8]
	buffer_store_dword v4, off, s[0:3], 0 offset:628
	buffer_store_dword v3, off, s[0:3], 0 offset:624
	;; [unrolled: 1-line block ×4, first 2 shown]
.LBB38_167:
	s_or_b32 exec_lo, exec_lo, s4
	s_mov_b32 s5, -1
	s_waitcnt_vscnt null, 0x0
	s_barrier
	buffer_gl0_inv
.LBB38_168:
	s_and_b32 vcc_lo, exec_lo, s5
	s_cbranch_vccz .LBB38_170
; %bb.169:
	s_lshl_b64 s[4:5], s[6:7], 2
	v_mov_b32_e32 v1, 0
	s_add_u32 s4, s10, s4
	s_addc_u32 s5, s11, s5
	global_load_dword v1, v1, s[4:5]
	s_waitcnt vmcnt(0)
	v_cmp_ne_u32_e32 vcc_lo, 0, v1
	s_cbranch_vccz .LBB38_171
.LBB38_170:
	s_endpgm
.LBB38_171:
	v_lshl_add_u32 v61, v0, 4, 0x270
	s_mov_b32 s4, exec_lo
	v_cmpx_eq_u32_e32 38, v0
	s_cbranch_execz .LBB38_173
; %bb.172:
	v_mov_b32_e32 v4, s19
	v_mov_b32_e32 v5, 0
	s_clause 0x3
	buffer_load_dword v1, v4, s[0:3], 0 offen
	buffer_load_dword v2, v4, s[0:3], 0 offen offset:4
	buffer_load_dword v3, v4, s[0:3], 0 offen offset:8
	;; [unrolled: 1-line block ×3, first 2 shown]
	buffer_store_dword v5, off, s[0:3], 0 offset:608
	buffer_store_dword v5, off, s[0:3], 0 offset:612
	;; [unrolled: 1-line block ×4, first 2 shown]
	s_waitcnt vmcnt(0)
	ds_write_b128 v61, v[1:4]
.LBB38_173:
	s_or_b32 exec_lo, exec_lo, s4
	s_waitcnt lgkmcnt(0)
	s_waitcnt_vscnt null, 0x0
	s_barrier
	buffer_gl0_inv
	s_clause 0x7
	buffer_load_dword v6, off, s[0:3], 0 offset:632
	buffer_load_dword v7, off, s[0:3], 0 offset:636
	;; [unrolled: 1-line block ×8, first 2 shown]
	v_mov_b32_e32 v1, 0
	s_mov_b32 s4, exec_lo
	ds_read_b128 v[2:5], v1 offset:1232
	s_waitcnt vmcnt(6) lgkmcnt(0)
	v_mul_f64 v[14:15], v[4:5], v[6:7]
	v_mul_f64 v[6:7], v[2:3], v[6:7]
	s_waitcnt vmcnt(4)
	v_fma_f64 v[2:3], v[2:3], v[8:9], -v[14:15]
	v_fma_f64 v[4:5], v[4:5], v[8:9], v[6:7]
	v_add_f64 v[2:3], v[2:3], 0
	v_add_f64 v[4:5], v[4:5], 0
	s_waitcnt vmcnt(2)
	v_add_f64 v[2:3], v[10:11], -v[2:3]
	s_waitcnt vmcnt(0)
	v_add_f64 v[4:5], v[12:13], -v[4:5]
	buffer_store_dword v2, off, s[0:3], 0 offset:608
	buffer_store_dword v3, off, s[0:3], 0 offset:612
	;; [unrolled: 1-line block ×4, first 2 shown]
	v_cmpx_lt_u32_e32 36, v0
	s_cbranch_execz .LBB38_175
; %bb.174:
	v_mov_b32_e32 v5, s23
	s_clause 0x3
	buffer_load_dword v2, v5, s[0:3], 0 offen
	buffer_load_dword v3, v5, s[0:3], 0 offen offset:4
	buffer_load_dword v4, v5, s[0:3], 0 offen offset:8
	;; [unrolled: 1-line block ×3, first 2 shown]
	buffer_store_dword v1, off, s[0:3], 0 offset:592
	buffer_store_dword v1, off, s[0:3], 0 offset:596
	;; [unrolled: 1-line block ×4, first 2 shown]
	s_waitcnt vmcnt(0)
	ds_write_b128 v61, v[2:5]
.LBB38_175:
	s_or_b32 exec_lo, exec_lo, s4
	s_waitcnt lgkmcnt(0)
	s_waitcnt_vscnt null, 0x0
	s_barrier
	buffer_gl0_inv
	s_clause 0xb
	buffer_load_dword v10, off, s[0:3], 0 offset:616
	buffer_load_dword v11, off, s[0:3], 0 offset:620
	;; [unrolled: 1-line block ×12, first 2 shown]
	ds_read_b128 v[2:5], v1 offset:1216
	ds_read_b128 v[6:9], v1 offset:1232
	s_mov_b32 s4, exec_lo
	s_waitcnt vmcnt(10) lgkmcnt(1)
	v_mul_f64 v[22:23], v[4:5], v[10:11]
	v_mul_f64 v[10:11], v[2:3], v[10:11]
	s_waitcnt vmcnt(8) lgkmcnt(0)
	v_mul_f64 v[24:25], v[8:9], v[12:13]
	v_mul_f64 v[12:13], v[6:7], v[12:13]
	s_waitcnt vmcnt(6)
	v_fma_f64 v[1:2], v[2:3], v[14:15], -v[22:23]
	v_fma_f64 v[3:4], v[4:5], v[14:15], v[10:11]
	s_waitcnt vmcnt(4)
	v_fma_f64 v[5:6], v[6:7], v[16:17], -v[24:25]
	v_fma_f64 v[7:8], v[8:9], v[16:17], v[12:13]
	v_add_f64 v[1:2], v[1:2], 0
	v_add_f64 v[3:4], v[3:4], 0
	;; [unrolled: 1-line block ×4, first 2 shown]
	s_waitcnt vmcnt(2)
	v_add_f64 v[1:2], v[18:19], -v[1:2]
	s_waitcnt vmcnt(0)
	v_add_f64 v[3:4], v[20:21], -v[3:4]
	buffer_store_dword v1, off, s[0:3], 0 offset:592
	buffer_store_dword v2, off, s[0:3], 0 offset:596
	buffer_store_dword v3, off, s[0:3], 0 offset:600
	buffer_store_dword v4, off, s[0:3], 0 offset:604
	v_cmpx_lt_u32_e32 35, v0
	s_cbranch_execz .LBB38_177
; %bb.176:
	v_mov_b32_e32 v4, s25
	v_mov_b32_e32 v5, 0
	s_clause 0x3
	buffer_load_dword v1, v4, s[0:3], 0 offen
	buffer_load_dword v2, v4, s[0:3], 0 offen offset:4
	buffer_load_dword v3, v4, s[0:3], 0 offen offset:8
	;; [unrolled: 1-line block ×3, first 2 shown]
	buffer_store_dword v5, off, s[0:3], 0 offset:576
	buffer_store_dword v5, off, s[0:3], 0 offset:580
	;; [unrolled: 1-line block ×4, first 2 shown]
	s_waitcnt vmcnt(0)
	ds_write_b128 v61, v[1:4]
.LBB38_177:
	s_or_b32 exec_lo, exec_lo, s4
	s_waitcnt lgkmcnt(0)
	s_waitcnt_vscnt null, 0x0
	s_barrier
	buffer_gl0_inv
	s_clause 0xf
	buffer_load_dword v10, off, s[0:3], 0 offset:600
	buffer_load_dword v11, off, s[0:3], 0 offset:604
	;; [unrolled: 1-line block ×16, first 2 shown]
	v_mov_b32_e32 v1, 0
	ds_read_b128 v[2:5], v1 offset:1200
	ds_read_b128 v[6:9], v1 offset:1216
	s_mov_b32 s4, exec_lo
	s_waitcnt vmcnt(14) lgkmcnt(1)
	v_mul_f64 v[28:29], v[4:5], v[10:11]
	v_mul_f64 v[30:31], v[2:3], v[10:11]
	s_waitcnt vmcnt(12) lgkmcnt(0)
	v_mul_f64 v[32:33], v[8:9], v[14:15]
	ds_read_b128 v[10:13], v1 offset:1232
	v_mul_f64 v[14:15], v[6:7], v[14:15]
	s_waitcnt vmcnt(10)
	v_fma_f64 v[2:3], v[2:3], v[16:17], -v[28:29]
	v_fma_f64 v[4:5], v[4:5], v[16:17], v[30:31]
	s_waitcnt vmcnt(8) lgkmcnt(0)
	v_mul_f64 v[16:17], v[10:11], v[18:19]
	v_mul_f64 v[18:19], v[12:13], v[18:19]
	s_waitcnt vmcnt(6)
	v_fma_f64 v[6:7], v[6:7], v[20:21], -v[32:33]
	v_fma_f64 v[8:9], v[8:9], v[20:21], v[14:15]
	v_add_f64 v[2:3], v[2:3], 0
	v_add_f64 v[4:5], v[4:5], 0
	s_waitcnt vmcnt(4)
	v_fma_f64 v[10:11], v[10:11], v[22:23], -v[18:19]
	v_add_f64 v[2:3], v[2:3], v[6:7]
	v_fma_f64 v[6:7], v[12:13], v[22:23], v[16:17]
	v_add_f64 v[4:5], v[4:5], v[8:9]
	v_add_f64 v[2:3], v[2:3], v[10:11]
	;; [unrolled: 1-line block ×3, first 2 shown]
	s_waitcnt vmcnt(2)
	v_add_f64 v[2:3], v[24:25], -v[2:3]
	s_waitcnt vmcnt(0)
	v_add_f64 v[4:5], v[26:27], -v[4:5]
	buffer_store_dword v2, off, s[0:3], 0 offset:576
	buffer_store_dword v3, off, s[0:3], 0 offset:580
	;; [unrolled: 1-line block ×4, first 2 shown]
	v_cmpx_lt_u32_e32 34, v0
	s_cbranch_execz .LBB38_179
; %bb.178:
	v_mov_b32_e32 v5, s27
	s_clause 0x3
	buffer_load_dword v2, v5, s[0:3], 0 offen
	buffer_load_dword v3, v5, s[0:3], 0 offen offset:4
	buffer_load_dword v4, v5, s[0:3], 0 offen offset:8
	;; [unrolled: 1-line block ×3, first 2 shown]
	buffer_store_dword v1, off, s[0:3], 0 offset:560
	buffer_store_dword v1, off, s[0:3], 0 offset:564
	;; [unrolled: 1-line block ×4, first 2 shown]
	s_waitcnt vmcnt(0)
	ds_write_b128 v61, v[2:5]
.LBB38_179:
	s_or_b32 exec_lo, exec_lo, s4
	s_waitcnt lgkmcnt(0)
	s_waitcnt_vscnt null, 0x0
	s_barrier
	buffer_gl0_inv
	s_clause 0x13
	buffer_load_dword v10, off, s[0:3], 0 offset:584
	buffer_load_dword v11, off, s[0:3], 0 offset:588
	;; [unrolled: 1-line block ×20, first 2 shown]
	ds_read_b128 v[2:5], v1 offset:1184
	ds_read_b128 v[6:9], v1 offset:1200
	s_mov_b32 s4, exec_lo
	s_waitcnt vmcnt(18) lgkmcnt(1)
	v_mul_f64 v[32:33], v[4:5], v[10:11]
	v_mul_f64 v[34:35], v[2:3], v[10:11]
	s_waitcnt vmcnt(16) lgkmcnt(0)
	v_mul_f64 v[36:37], v[8:9], v[14:15]
	ds_read_b128 v[10:13], v1 offset:1216
	v_mul_f64 v[14:15], v[6:7], v[14:15]
	s_waitcnt vmcnt(14)
	v_fma_f64 v[32:33], v[2:3], v[16:17], -v[32:33]
	v_fma_f64 v[16:17], v[4:5], v[16:17], v[34:35]
	s_waitcnt vmcnt(12) lgkmcnt(0)
	v_mul_f64 v[34:35], v[10:11], v[18:19]
	v_mul_f64 v[18:19], v[12:13], v[18:19]
	s_waitcnt vmcnt(10)
	v_fma_f64 v[5:6], v[6:7], v[20:21], -v[36:37]
	ds_read_b128 v[1:4], v1 offset:1232
	v_fma_f64 v[7:8], v[8:9], v[20:21], v[14:15]
	v_add_f64 v[32:33], v[32:33], 0
	v_add_f64 v[14:15], v[16:17], 0
	s_waitcnt vmcnt(8) lgkmcnt(0)
	v_mul_f64 v[20:21], v[3:4], v[22:23]
	s_waitcnt vmcnt(6)
	v_fma_f64 v[9:10], v[10:11], v[24:25], -v[18:19]
	v_mul_f64 v[16:17], v[1:2], v[22:23]
	v_fma_f64 v[11:12], v[12:13], v[24:25], v[34:35]
	v_add_f64 v[5:6], v[32:33], v[5:6]
	v_add_f64 v[7:8], v[14:15], v[7:8]
	s_waitcnt vmcnt(4)
	v_fma_f64 v[1:2], v[1:2], v[26:27], -v[20:21]
	v_fma_f64 v[3:4], v[3:4], v[26:27], v[16:17]
	v_add_f64 v[5:6], v[5:6], v[9:10]
	v_add_f64 v[7:8], v[7:8], v[11:12]
	;; [unrolled: 1-line block ×4, first 2 shown]
	s_waitcnt vmcnt(2)
	v_add_f64 v[1:2], v[28:29], -v[1:2]
	s_waitcnt vmcnt(0)
	v_add_f64 v[3:4], v[30:31], -v[3:4]
	buffer_store_dword v1, off, s[0:3], 0 offset:560
	buffer_store_dword v2, off, s[0:3], 0 offset:564
	;; [unrolled: 1-line block ×4, first 2 shown]
	v_cmpx_lt_u32_e32 33, v0
	s_cbranch_execz .LBB38_181
; %bb.180:
	v_mov_b32_e32 v4, s29
	v_mov_b32_e32 v5, 0
	s_clause 0x3
	buffer_load_dword v1, v4, s[0:3], 0 offen
	buffer_load_dword v2, v4, s[0:3], 0 offen offset:4
	buffer_load_dword v3, v4, s[0:3], 0 offen offset:8
	;; [unrolled: 1-line block ×3, first 2 shown]
	buffer_store_dword v5, off, s[0:3], 0 offset:544
	buffer_store_dword v5, off, s[0:3], 0 offset:548
	;; [unrolled: 1-line block ×4, first 2 shown]
	s_waitcnt vmcnt(0)
	ds_write_b128 v61, v[1:4]
.LBB38_181:
	s_or_b32 exec_lo, exec_lo, s4
	s_waitcnt lgkmcnt(0)
	s_waitcnt_vscnt null, 0x0
	s_barrier
	buffer_gl0_inv
	s_clause 0x17
	buffer_load_dword v10, off, s[0:3], 0 offset:568
	buffer_load_dword v11, off, s[0:3], 0 offset:572
	;; [unrolled: 1-line block ×24, first 2 shown]
	v_mov_b32_e32 v1, 0
	ds_read_b128 v[2:5], v1 offset:1168
	ds_read_b128 v[6:9], v1 offset:1184
	s_mov_b32 s4, exec_lo
	s_waitcnt vmcnt(22) lgkmcnt(1)
	v_mul_f64 v[36:37], v[4:5], v[10:11]
	v_mul_f64 v[38:39], v[2:3], v[10:11]
	s_waitcnt vmcnt(20) lgkmcnt(0)
	v_mul_f64 v[40:41], v[8:9], v[14:15]
	ds_read_b128 v[10:13], v1 offset:1200
	v_mul_f64 v[14:15], v[6:7], v[14:15]
	s_waitcnt vmcnt(18)
	v_fma_f64 v[36:37], v[2:3], v[16:17], -v[36:37]
	v_fma_f64 v[16:17], v[4:5], v[16:17], v[38:39]
	ds_read_b128 v[2:5], v1 offset:1216
	s_waitcnt vmcnt(16) lgkmcnt(1)
	v_mul_f64 v[38:39], v[10:11], v[18:19]
	v_mul_f64 v[18:19], v[12:13], v[18:19]
	s_waitcnt vmcnt(14)
	v_fma_f64 v[40:41], v[6:7], v[20:21], -v[40:41]
	v_fma_f64 v[14:15], v[8:9], v[20:21], v[14:15]
	ds_read_b128 v[6:9], v1 offset:1232
	s_waitcnt vmcnt(10) lgkmcnt(1)
	v_mul_f64 v[20:21], v[2:3], v[22:23]
	v_add_f64 v[36:37], v[36:37], 0
	v_add_f64 v[16:17], v[16:17], 0
	v_mul_f64 v[22:23], v[4:5], v[22:23]
	s_waitcnt vmcnt(8)
	v_fma_f64 v[10:11], v[10:11], v[28:29], -v[18:19]
	v_fma_f64 v[12:13], v[12:13], v[28:29], v[38:39]
	s_waitcnt vmcnt(5)
	v_fma_f64 v[4:5], v[4:5], v[30:31], v[20:21]
	v_add_f64 v[18:19], v[36:37], v[40:41]
	v_add_f64 v[14:15], v[16:17], v[14:15]
	s_waitcnt lgkmcnt(0)
	v_mul_f64 v[16:17], v[6:7], v[24:25]
	v_mul_f64 v[24:25], v[8:9], v[24:25]
	v_fma_f64 v[2:3], v[2:3], v[30:31], -v[22:23]
	v_add_f64 v[10:11], v[18:19], v[10:11]
	v_add_f64 v[12:13], v[14:15], v[12:13]
	s_waitcnt vmcnt(4)
	v_fma_f64 v[8:9], v[8:9], v[26:27], v[16:17]
	v_fma_f64 v[6:7], v[6:7], v[26:27], -v[24:25]
	v_add_f64 v[2:3], v[10:11], v[2:3]
	v_add_f64 v[4:5], v[12:13], v[4:5]
	;; [unrolled: 1-line block ×4, first 2 shown]
	s_waitcnt vmcnt(2)
	v_add_f64 v[2:3], v[32:33], -v[2:3]
	s_waitcnt vmcnt(0)
	v_add_f64 v[4:5], v[34:35], -v[4:5]
	buffer_store_dword v3, off, s[0:3], 0 offset:548
	buffer_store_dword v2, off, s[0:3], 0 offset:544
	;; [unrolled: 1-line block ×4, first 2 shown]
	v_cmpx_lt_u32_e32 32, v0
	s_cbranch_execz .LBB38_183
; %bb.182:
	v_mov_b32_e32 v5, s8
	s_clause 0x3
	buffer_load_dword v2, v5, s[0:3], 0 offen
	buffer_load_dword v3, v5, s[0:3], 0 offen offset:4
	buffer_load_dword v4, v5, s[0:3], 0 offen offset:8
	;; [unrolled: 1-line block ×3, first 2 shown]
	buffer_store_dword v1, off, s[0:3], 0 offset:528
	buffer_store_dword v1, off, s[0:3], 0 offset:532
	;; [unrolled: 1-line block ×4, first 2 shown]
	s_waitcnt vmcnt(0)
	ds_write_b128 v61, v[2:5]
.LBB38_183:
	s_or_b32 exec_lo, exec_lo, s4
	s_waitcnt lgkmcnt(0)
	s_waitcnt_vscnt null, 0x0
	s_barrier
	buffer_gl0_inv
	s_clause 0x1b
	buffer_load_dword v10, off, s[0:3], 0 offset:552
	buffer_load_dword v11, off, s[0:3], 0 offset:556
	;; [unrolled: 1-line block ×28, first 2 shown]
	ds_read_b128 v[2:5], v1 offset:1152
	ds_read_b128 v[6:9], v1 offset:1168
	s_mov_b32 s4, exec_lo
	s_waitcnt vmcnt(26) lgkmcnt(1)
	v_mul_f64 v[40:41], v[4:5], v[10:11]
	v_mul_f64 v[42:43], v[2:3], v[10:11]
	s_waitcnt vmcnt(24) lgkmcnt(0)
	v_mul_f64 v[44:45], v[8:9], v[14:15]
	ds_read_b128 v[10:13], v1 offset:1184
	v_mul_f64 v[14:15], v[6:7], v[14:15]
	s_waitcnt vmcnt(22)
	v_fma_f64 v[40:41], v[2:3], v[16:17], -v[40:41]
	v_fma_f64 v[16:17], v[4:5], v[16:17], v[42:43]
	ds_read_b128 v[2:5], v1 offset:1200
	s_waitcnt vmcnt(20) lgkmcnt(1)
	v_mul_f64 v[42:43], v[10:11], v[18:19]
	v_mul_f64 v[18:19], v[12:13], v[18:19]
	s_waitcnt vmcnt(18)
	v_fma_f64 v[44:45], v[6:7], v[20:21], -v[44:45]
	v_fma_f64 v[14:15], v[8:9], v[20:21], v[14:15]
	ds_read_b128 v[6:9], v1 offset:1216
	s_waitcnt vmcnt(14) lgkmcnt(1)
	v_mul_f64 v[20:21], v[2:3], v[22:23]
	v_add_f64 v[40:41], v[40:41], 0
	v_add_f64 v[16:17], v[16:17], 0
	v_mul_f64 v[22:23], v[4:5], v[22:23]
	s_waitcnt vmcnt(12)
	v_fma_f64 v[18:19], v[10:11], v[28:29], -v[18:19]
	v_fma_f64 v[28:29], v[12:13], v[28:29], v[42:43]
	ds_read_b128 v[10:13], v1 offset:1232
	v_add_f64 v[40:41], v[40:41], v[44:45]
	v_add_f64 v[14:15], v[16:17], v[14:15]
	s_waitcnt vmcnt(11) lgkmcnt(1)
	v_mul_f64 v[16:17], v[6:7], v[24:25]
	v_mul_f64 v[24:25], v[8:9], v[24:25]
	s_waitcnt vmcnt(9)
	v_fma_f64 v[1:2], v[2:3], v[30:31], -v[22:23]
	v_fma_f64 v[3:4], v[4:5], v[30:31], v[20:21]
	s_waitcnt vmcnt(7) lgkmcnt(0)
	v_mul_f64 v[22:23], v[12:13], v[32:33]
	v_mul_f64 v[20:21], v[10:11], v[32:33]
	v_add_f64 v[18:19], v[40:41], v[18:19]
	v_add_f64 v[14:15], v[14:15], v[28:29]
	s_waitcnt vmcnt(6)
	v_fma_f64 v[5:6], v[6:7], v[26:27], -v[24:25]
	v_fma_f64 v[7:8], v[8:9], v[26:27], v[16:17]
	s_waitcnt vmcnt(4)
	v_fma_f64 v[9:10], v[10:11], v[34:35], -v[22:23]
	v_add_f64 v[1:2], v[18:19], v[1:2]
	v_add_f64 v[3:4], v[14:15], v[3:4]
	;; [unrolled: 1-line block ×3, first 2 shown]
	v_fma_f64 v[5:6], v[12:13], v[34:35], v[20:21]
	v_add_f64 v[3:4], v[3:4], v[7:8]
	v_add_f64 v[1:2], v[1:2], v[9:10]
	;; [unrolled: 1-line block ×3, first 2 shown]
	s_waitcnt vmcnt(2)
	v_add_f64 v[1:2], v[36:37], -v[1:2]
	s_waitcnt vmcnt(0)
	v_add_f64 v[3:4], v[38:39], -v[3:4]
	buffer_store_dword v2, off, s[0:3], 0 offset:532
	buffer_store_dword v1, off, s[0:3], 0 offset:528
	;; [unrolled: 1-line block ×4, first 2 shown]
	v_cmpx_lt_u32_e32 31, v0
	s_cbranch_execz .LBB38_185
; %bb.184:
	v_mov_b32_e32 v4, s9
	v_mov_b32_e32 v5, 0
	s_clause 0x3
	buffer_load_dword v1, v4, s[0:3], 0 offen
	buffer_load_dword v2, v4, s[0:3], 0 offen offset:4
	buffer_load_dword v3, v4, s[0:3], 0 offen offset:8
	;; [unrolled: 1-line block ×3, first 2 shown]
	buffer_store_dword v5, off, s[0:3], 0 offset:512
	buffer_store_dword v5, off, s[0:3], 0 offset:516
	;; [unrolled: 1-line block ×4, first 2 shown]
	s_waitcnt vmcnt(0)
	ds_write_b128 v61, v[1:4]
.LBB38_185:
	s_or_b32 exec_lo, exec_lo, s4
	s_waitcnt lgkmcnt(0)
	s_waitcnt_vscnt null, 0x0
	s_barrier
	buffer_gl0_inv
	s_clause 0x1f
	buffer_load_dword v10, off, s[0:3], 0 offset:536
	buffer_load_dword v11, off, s[0:3], 0 offset:540
	;; [unrolled: 1-line block ×32, first 2 shown]
	v_mov_b32_e32 v1, 0
	ds_read_b128 v[2:5], v1 offset:1136
	ds_read_b128 v[6:9], v1 offset:1152
	s_mov_b32 s4, exec_lo
	s_waitcnt vmcnt(30) lgkmcnt(1)
	v_mul_f64 v[44:45], v[4:5], v[10:11]
	v_mul_f64 v[46:47], v[2:3], v[10:11]
	s_waitcnt vmcnt(28) lgkmcnt(0)
	v_mul_f64 v[48:49], v[8:9], v[14:15]
	ds_read_b128 v[10:13], v1 offset:1168
	v_mul_f64 v[14:15], v[6:7], v[14:15]
	s_waitcnt vmcnt(26)
	v_fma_f64 v[44:45], v[2:3], v[16:17], -v[44:45]
	v_fma_f64 v[16:17], v[4:5], v[16:17], v[46:47]
	ds_read_b128 v[2:5], v1 offset:1184
	s_waitcnt vmcnt(24) lgkmcnt(1)
	v_mul_f64 v[46:47], v[10:11], v[18:19]
	v_mul_f64 v[18:19], v[12:13], v[18:19]
	s_waitcnt vmcnt(22)
	v_fma_f64 v[48:49], v[6:7], v[20:21], -v[48:49]
	v_fma_f64 v[14:15], v[8:9], v[20:21], v[14:15]
	ds_read_b128 v[6:9], v1 offset:1200
	s_waitcnt vmcnt(18) lgkmcnt(1)
	v_mul_f64 v[20:21], v[2:3], v[22:23]
	v_add_f64 v[44:45], v[44:45], 0
	v_add_f64 v[16:17], v[16:17], 0
	v_mul_f64 v[22:23], v[4:5], v[22:23]
	s_waitcnt vmcnt(16)
	v_fma_f64 v[18:19], v[10:11], v[28:29], -v[18:19]
	v_fma_f64 v[28:29], v[12:13], v[28:29], v[46:47]
	ds_read_b128 v[10:13], v1 offset:1216
	s_waitcnt vmcnt(13)
	v_fma_f64 v[20:21], v[4:5], v[30:31], v[20:21]
	v_add_f64 v[44:45], v[44:45], v[48:49]
	v_add_f64 v[14:15], v[16:17], v[14:15]
	s_waitcnt lgkmcnt(1)
	v_mul_f64 v[16:17], v[6:7], v[24:25]
	v_mul_f64 v[24:25], v[8:9], v[24:25]
	v_fma_f64 v[22:23], v[2:3], v[30:31], -v[22:23]
	s_waitcnt vmcnt(9) lgkmcnt(0)
	v_mul_f64 v[30:31], v[12:13], v[32:33]
	ds_read_b128 v[2:5], v1 offset:1232
	v_add_f64 v[18:19], v[44:45], v[18:19]
	v_add_f64 v[14:15], v[14:15], v[28:29]
	v_mul_f64 v[28:29], v[10:11], v[32:33]
	s_waitcnt vmcnt(8)
	v_fma_f64 v[6:7], v[6:7], v[26:27], -v[24:25]
	v_fma_f64 v[8:9], v[8:9], v[26:27], v[16:17]
	s_waitcnt vmcnt(5)
	v_fma_f64 v[10:11], v[10:11], v[38:39], -v[30:31]
	s_waitcnt lgkmcnt(0)
	v_mul_f64 v[16:17], v[2:3], v[34:35]
	v_add_f64 v[18:19], v[18:19], v[22:23]
	v_add_f64 v[14:15], v[14:15], v[20:21]
	v_mul_f64 v[20:21], v[4:5], v[34:35]
	v_fma_f64 v[12:13], v[12:13], v[38:39], v[28:29]
	s_waitcnt vmcnt(4)
	v_fma_f64 v[4:5], v[4:5], v[36:37], v[16:17]
	v_add_f64 v[6:7], v[18:19], v[6:7]
	v_add_f64 v[8:9], v[14:15], v[8:9]
	v_fma_f64 v[2:3], v[2:3], v[36:37], -v[20:21]
	v_add_f64 v[6:7], v[6:7], v[10:11]
	v_add_f64 v[8:9], v[8:9], v[12:13]
	;; [unrolled: 1-line block ×4, first 2 shown]
	s_waitcnt vmcnt(2)
	v_add_f64 v[2:3], v[40:41], -v[2:3]
	s_waitcnt vmcnt(0)
	v_add_f64 v[4:5], v[42:43], -v[4:5]
	buffer_store_dword v3, off, s[0:3], 0 offset:516
	buffer_store_dword v2, off, s[0:3], 0 offset:512
	buffer_store_dword v5, off, s[0:3], 0 offset:524
	buffer_store_dword v4, off, s[0:3], 0 offset:520
	v_cmpx_lt_u32_e32 30, v0
	s_cbranch_execz .LBB38_187
; %bb.186:
	v_mov_b32_e32 v5, s12
	s_clause 0x3
	buffer_load_dword v2, v5, s[0:3], 0 offen
	buffer_load_dword v3, v5, s[0:3], 0 offen offset:4
	buffer_load_dword v4, v5, s[0:3], 0 offen offset:8
	;; [unrolled: 1-line block ×3, first 2 shown]
	buffer_store_dword v1, off, s[0:3], 0 offset:496
	buffer_store_dword v1, off, s[0:3], 0 offset:500
	;; [unrolled: 1-line block ×4, first 2 shown]
	s_waitcnt vmcnt(0)
	ds_write_b128 v61, v[2:5]
.LBB38_187:
	s_or_b32 exec_lo, exec_lo, s4
	s_waitcnt lgkmcnt(0)
	s_waitcnt_vscnt null, 0x0
	s_barrier
	buffer_gl0_inv
	s_clause 0x23
	buffer_load_dword v10, off, s[0:3], 0 offset:520
	buffer_load_dword v11, off, s[0:3], 0 offset:524
	;; [unrolled: 1-line block ×36, first 2 shown]
	ds_read_b128 v[2:5], v1 offset:1120
	ds_read_b128 v[6:9], v1 offset:1136
	s_mov_b32 s4, exec_lo
	s_waitcnt vmcnt(34) lgkmcnt(1)
	v_mul_f64 v[48:49], v[4:5], v[10:11]
	v_mul_f64 v[50:51], v[2:3], v[10:11]
	s_waitcnt vmcnt(32) lgkmcnt(0)
	v_mul_f64 v[52:53], v[8:9], v[14:15]
	ds_read_b128 v[10:13], v1 offset:1152
	v_mul_f64 v[14:15], v[6:7], v[14:15]
	s_waitcnt vmcnt(30)
	v_fma_f64 v[48:49], v[2:3], v[16:17], -v[48:49]
	v_fma_f64 v[16:17], v[4:5], v[16:17], v[50:51]
	ds_read_b128 v[2:5], v1 offset:1168
	s_waitcnt vmcnt(28) lgkmcnt(1)
	v_mul_f64 v[50:51], v[10:11], v[18:19]
	v_mul_f64 v[18:19], v[12:13], v[18:19]
	s_waitcnt vmcnt(26)
	v_fma_f64 v[52:53], v[6:7], v[20:21], -v[52:53]
	v_fma_f64 v[14:15], v[8:9], v[20:21], v[14:15]
	ds_read_b128 v[6:9], v1 offset:1184
	s_waitcnt vmcnt(22) lgkmcnt(1)
	v_mul_f64 v[20:21], v[2:3], v[22:23]
	v_add_f64 v[48:49], v[48:49], 0
	v_add_f64 v[16:17], v[16:17], 0
	v_mul_f64 v[22:23], v[4:5], v[22:23]
	s_waitcnt vmcnt(20)
	v_fma_f64 v[18:19], v[10:11], v[28:29], -v[18:19]
	v_fma_f64 v[28:29], v[12:13], v[28:29], v[50:51]
	ds_read_b128 v[10:13], v1 offset:1200
	s_waitcnt vmcnt(17)
	v_fma_f64 v[20:21], v[4:5], v[30:31], v[20:21]
	v_add_f64 v[48:49], v[48:49], v[52:53]
	v_add_f64 v[14:15], v[16:17], v[14:15]
	s_waitcnt lgkmcnt(1)
	v_mul_f64 v[16:17], v[6:7], v[24:25]
	v_mul_f64 v[24:25], v[8:9], v[24:25]
	v_fma_f64 v[22:23], v[2:3], v[30:31], -v[22:23]
	s_waitcnt vmcnt(13) lgkmcnt(0)
	v_mul_f64 v[30:31], v[12:13], v[32:33]
	ds_read_b128 v[2:5], v1 offset:1216
	v_add_f64 v[18:19], v[48:49], v[18:19]
	v_add_f64 v[14:15], v[14:15], v[28:29]
	v_mul_f64 v[28:29], v[10:11], v[32:33]
	s_waitcnt vmcnt(12)
	v_fma_f64 v[24:25], v[6:7], v[26:27], -v[24:25]
	v_fma_f64 v[16:17], v[8:9], v[26:27], v[16:17]
	ds_read_b128 v[6:9], v1 offset:1232
	s_waitcnt vmcnt(9)
	v_fma_f64 v[10:11], v[10:11], v[38:39], -v[30:31]
	v_add_f64 v[18:19], v[18:19], v[22:23]
	v_add_f64 v[14:15], v[14:15], v[20:21]
	s_waitcnt lgkmcnt(1)
	v_mul_f64 v[22:23], v[4:5], v[34:35]
	v_mul_f64 v[20:21], v[2:3], v[34:35]
	v_fma_f64 v[12:13], v[12:13], v[38:39], v[28:29]
	v_add_f64 v[18:19], v[18:19], v[24:25]
	v_add_f64 v[14:15], v[14:15], v[16:17]
	s_waitcnt vmcnt(7) lgkmcnt(0)
	v_mul_f64 v[24:25], v[8:9], v[40:41]
	s_waitcnt vmcnt(6)
	v_fma_f64 v[1:2], v[2:3], v[36:37], -v[22:23]
	v_mul_f64 v[16:17], v[6:7], v[40:41]
	v_fma_f64 v[3:4], v[4:5], v[36:37], v[20:21]
	v_add_f64 v[10:11], v[18:19], v[10:11]
	v_add_f64 v[12:13], v[14:15], v[12:13]
	s_waitcnt vmcnt(4)
	v_fma_f64 v[5:6], v[6:7], v[42:43], -v[24:25]
	v_fma_f64 v[7:8], v[8:9], v[42:43], v[16:17]
	v_add_f64 v[1:2], v[10:11], v[1:2]
	v_add_f64 v[3:4], v[12:13], v[3:4]
	v_add_f64 v[1:2], v[1:2], v[5:6]
	v_add_f64 v[3:4], v[3:4], v[7:8]
	s_waitcnt vmcnt(2)
	v_add_f64 v[1:2], v[44:45], -v[1:2]
	s_waitcnt vmcnt(0)
	v_add_f64 v[3:4], v[46:47], -v[3:4]
	buffer_store_dword v2, off, s[0:3], 0 offset:500
	buffer_store_dword v1, off, s[0:3], 0 offset:496
	;; [unrolled: 1-line block ×4, first 2 shown]
	v_cmpx_lt_u32_e32 29, v0
	s_cbranch_execz .LBB38_189
; %bb.188:
	v_mov_b32_e32 v4, s13
	v_mov_b32_e32 v5, 0
	s_clause 0x3
	buffer_load_dword v1, v4, s[0:3], 0 offen
	buffer_load_dword v2, v4, s[0:3], 0 offen offset:4
	buffer_load_dword v3, v4, s[0:3], 0 offen offset:8
	;; [unrolled: 1-line block ×3, first 2 shown]
	buffer_store_dword v5, off, s[0:3], 0 offset:480
	buffer_store_dword v5, off, s[0:3], 0 offset:484
	;; [unrolled: 1-line block ×4, first 2 shown]
	s_waitcnt vmcnt(0)
	ds_write_b128 v61, v[1:4]
.LBB38_189:
	s_or_b32 exec_lo, exec_lo, s4
	s_waitcnt lgkmcnt(0)
	s_waitcnt_vscnt null, 0x0
	s_barrier
	buffer_gl0_inv
	s_clause 0x27
	buffer_load_dword v10, off, s[0:3], 0 offset:504
	buffer_load_dword v11, off, s[0:3], 0 offset:508
	;; [unrolled: 1-line block ×40, first 2 shown]
	v_mov_b32_e32 v1, 0
	ds_read_b128 v[2:5], v1 offset:1104
	ds_read_b128 v[6:9], v1 offset:1120
	s_mov_b32 s4, exec_lo
	s_waitcnt vmcnt(38) lgkmcnt(1)
	v_mul_f64 v[52:53], v[4:5], v[10:11]
	v_mul_f64 v[54:55], v[2:3], v[10:11]
	s_waitcnt vmcnt(36) lgkmcnt(0)
	v_mul_f64 v[56:57], v[8:9], v[14:15]
	ds_read_b128 v[10:13], v1 offset:1136
	v_mul_f64 v[14:15], v[6:7], v[14:15]
	s_waitcnt vmcnt(34)
	v_fma_f64 v[52:53], v[2:3], v[16:17], -v[52:53]
	v_fma_f64 v[16:17], v[4:5], v[16:17], v[54:55]
	ds_read_b128 v[2:5], v1 offset:1152
	s_waitcnt vmcnt(32) lgkmcnt(1)
	v_mul_f64 v[54:55], v[10:11], v[18:19]
	v_mul_f64 v[18:19], v[12:13], v[18:19]
	s_waitcnt vmcnt(30)
	v_fma_f64 v[56:57], v[6:7], v[20:21], -v[56:57]
	v_fma_f64 v[14:15], v[8:9], v[20:21], v[14:15]
	ds_read_b128 v[6:9], v1 offset:1168
	s_waitcnt vmcnt(26) lgkmcnt(1)
	v_mul_f64 v[20:21], v[2:3], v[22:23]
	v_add_f64 v[52:53], v[52:53], 0
	v_add_f64 v[16:17], v[16:17], 0
	v_mul_f64 v[22:23], v[4:5], v[22:23]
	s_waitcnt vmcnt(24)
	v_fma_f64 v[18:19], v[10:11], v[28:29], -v[18:19]
	v_fma_f64 v[28:29], v[12:13], v[28:29], v[54:55]
	ds_read_b128 v[10:13], v1 offset:1184
	s_waitcnt vmcnt(21)
	v_fma_f64 v[20:21], v[4:5], v[30:31], v[20:21]
	v_add_f64 v[52:53], v[52:53], v[56:57]
	v_add_f64 v[14:15], v[16:17], v[14:15]
	s_waitcnt lgkmcnt(1)
	v_mul_f64 v[16:17], v[6:7], v[24:25]
	v_mul_f64 v[24:25], v[8:9], v[24:25]
	v_fma_f64 v[22:23], v[2:3], v[30:31], -v[22:23]
	s_waitcnt vmcnt(17) lgkmcnt(0)
	v_mul_f64 v[30:31], v[12:13], v[32:33]
	ds_read_b128 v[2:5], v1 offset:1200
	v_add_f64 v[18:19], v[52:53], v[18:19]
	v_add_f64 v[14:15], v[14:15], v[28:29]
	v_mul_f64 v[28:29], v[10:11], v[32:33]
	s_waitcnt vmcnt(16)
	v_fma_f64 v[24:25], v[6:7], v[26:27], -v[24:25]
	v_fma_f64 v[16:17], v[8:9], v[26:27], v[16:17]
	ds_read_b128 v[6:9], v1 offset:1216
	s_waitcnt vmcnt(13)
	v_fma_f64 v[26:27], v[10:11], v[38:39], -v[30:31]
	v_add_f64 v[18:19], v[18:19], v[22:23]
	v_add_f64 v[14:15], v[14:15], v[20:21]
	s_waitcnt lgkmcnt(1)
	v_mul_f64 v[22:23], v[4:5], v[34:35]
	v_mul_f64 v[20:21], v[2:3], v[34:35]
	v_add_f64 v[18:19], v[18:19], v[24:25]
	v_fma_f64 v[24:25], v[12:13], v[38:39], v[28:29]
	v_add_f64 v[14:15], v[14:15], v[16:17]
	s_waitcnt vmcnt(9) lgkmcnt(0)
	v_mul_f64 v[28:29], v[8:9], v[40:41]
	s_waitcnt vmcnt(8)
	v_fma_f64 v[2:3], v[2:3], v[36:37], -v[22:23]
	ds_read_b128 v[10:13], v1 offset:1232
	v_mul_f64 v[16:17], v[6:7], v[40:41]
	v_fma_f64 v[4:5], v[4:5], v[36:37], v[20:21]
	v_add_f64 v[18:19], v[18:19], v[26:27]
	v_add_f64 v[14:15], v[14:15], v[24:25]
	s_waitcnt vmcnt(7) lgkmcnt(0)
	v_mul_f64 v[22:23], v[12:13], v[42:43]
	s_waitcnt vmcnt(5)
	v_fma_f64 v[6:7], v[6:7], v[46:47], -v[28:29]
	v_mul_f64 v[20:21], v[10:11], v[42:43]
	v_fma_f64 v[8:9], v[8:9], v[46:47], v[16:17]
	v_add_f64 v[2:3], v[18:19], v[2:3]
	v_add_f64 v[4:5], v[14:15], v[4:5]
	s_waitcnt vmcnt(4)
	v_fma_f64 v[10:11], v[10:11], v[44:45], -v[22:23]
	v_add_f64 v[2:3], v[2:3], v[6:7]
	v_fma_f64 v[6:7], v[12:13], v[44:45], v[20:21]
	v_add_f64 v[4:5], v[4:5], v[8:9]
	v_add_f64 v[2:3], v[2:3], v[10:11]
	;; [unrolled: 1-line block ×3, first 2 shown]
	s_waitcnt vmcnt(2)
	v_add_f64 v[2:3], v[48:49], -v[2:3]
	s_waitcnt vmcnt(0)
	v_add_f64 v[4:5], v[50:51], -v[4:5]
	buffer_store_dword v3, off, s[0:3], 0 offset:484
	buffer_store_dword v2, off, s[0:3], 0 offset:480
	;; [unrolled: 1-line block ×4, first 2 shown]
	v_cmpx_lt_u32_e32 28, v0
	s_cbranch_execz .LBB38_191
; %bb.190:
	v_mov_b32_e32 v5, s14
	s_clause 0x3
	buffer_load_dword v2, v5, s[0:3], 0 offen
	buffer_load_dword v3, v5, s[0:3], 0 offen offset:4
	buffer_load_dword v4, v5, s[0:3], 0 offen offset:8
	;; [unrolled: 1-line block ×3, first 2 shown]
	buffer_store_dword v1, off, s[0:3], 0 offset:464
	buffer_store_dword v1, off, s[0:3], 0 offset:468
	;; [unrolled: 1-line block ×4, first 2 shown]
	s_waitcnt vmcnt(0)
	ds_write_b128 v61, v[2:5]
.LBB38_191:
	s_or_b32 exec_lo, exec_lo, s4
	s_waitcnt lgkmcnt(0)
	s_waitcnt_vscnt null, 0x0
	s_barrier
	buffer_gl0_inv
	s_clause 0x2b
	buffer_load_dword v10, off, s[0:3], 0 offset:488
	buffer_load_dword v11, off, s[0:3], 0 offset:492
	buffer_load_dword v14, off, s[0:3], 0 offset:504
	buffer_load_dword v15, off, s[0:3], 0 offset:508
	buffer_load_dword v16, off, s[0:3], 0 offset:480
	buffer_load_dword v17, off, s[0:3], 0 offset:484
	buffer_load_dword v18, off, s[0:3], 0 offset:520
	buffer_load_dword v19, off, s[0:3], 0 offset:524
	buffer_load_dword v20, off, s[0:3], 0 offset:496
	buffer_load_dword v21, off, s[0:3], 0 offset:500
	buffer_load_dword v23, off, s[0:3], 0 offset:540
	buffer_load_dword v24, off, s[0:3], 0 offset:552
	buffer_load_dword v26, off, s[0:3], 0 offset:544
	buffer_load_dword v22, off, s[0:3], 0 offset:536
	buffer_load_dword v28, off, s[0:3], 0 offset:512
	buffer_load_dword v29, off, s[0:3], 0 offset:516
	buffer_load_dword v25, off, s[0:3], 0 offset:556
	buffer_load_dword v31, off, s[0:3], 0 offset:532
	buffer_load_dword v30, off, s[0:3], 0 offset:528
	buffer_load_dword v33, off, s[0:3], 0 offset:572
	buffer_load_dword v34, off, s[0:3], 0 offset:584
	buffer_load_dword v36, off, s[0:3], 0 offset:576
	buffer_load_dword v32, off, s[0:3], 0 offset:568
	buffer_load_dword v27, off, s[0:3], 0 offset:548
	buffer_load_dword v35, off, s[0:3], 0 offset:588
	buffer_load_dword v39, off, s[0:3], 0 offset:564
	buffer_load_dword v38, off, s[0:3], 0 offset:560
	buffer_load_dword v41, off, s[0:3], 0 offset:604
	buffer_load_dword v42, off, s[0:3], 0 offset:616
	buffer_load_dword v44, off, s[0:3], 0 offset:608
	buffer_load_dword v40, off, s[0:3], 0 offset:600
	buffer_load_dword v37, off, s[0:3], 0 offset:580
	buffer_load_dword v43, off, s[0:3], 0 offset:620
	buffer_load_dword v47, off, s[0:3], 0 offset:596
	buffer_load_dword v46, off, s[0:3], 0 offset:592
	buffer_load_dword v49, off, s[0:3], 0 offset:636
	buffer_load_dword v48, off, s[0:3], 0 offset:632
	buffer_load_dword v45, off, s[0:3], 0 offset:612
	buffer_load_dword v51, off, s[0:3], 0 offset:628
	buffer_load_dword v50, off, s[0:3], 0 offset:624
	buffer_load_dword v52, off, s[0:3], 0 offset:464
	buffer_load_dword v53, off, s[0:3], 0 offset:468
	buffer_load_dword v54, off, s[0:3], 0 offset:472
	buffer_load_dword v55, off, s[0:3], 0 offset:476
	ds_read_b128 v[2:5], v1 offset:1088
	ds_read_b128 v[6:9], v1 offset:1104
	s_mov_b32 s4, exec_lo
	s_waitcnt vmcnt(42) lgkmcnt(1)
	v_mul_f64 v[56:57], v[4:5], v[10:11]
	v_mul_f64 v[58:59], v[2:3], v[10:11]
	s_waitcnt vmcnt(40) lgkmcnt(0)
	v_mul_f64 v[62:63], v[8:9], v[14:15]
	ds_read_b128 v[10:13], v1 offset:1120
	v_mul_f64 v[14:15], v[6:7], v[14:15]
	s_waitcnt vmcnt(38)
	v_fma_f64 v[56:57], v[2:3], v[16:17], -v[56:57]
	v_fma_f64 v[16:17], v[4:5], v[16:17], v[58:59]
	ds_read_b128 v[2:5], v1 offset:1136
	s_waitcnt vmcnt(36) lgkmcnt(1)
	v_mul_f64 v[58:59], v[10:11], v[18:19]
	v_mul_f64 v[18:19], v[12:13], v[18:19]
	s_waitcnt vmcnt(34)
	v_fma_f64 v[62:63], v[6:7], v[20:21], -v[62:63]
	v_fma_f64 v[14:15], v[8:9], v[20:21], v[14:15]
	ds_read_b128 v[6:9], v1 offset:1152
	s_waitcnt vmcnt(30) lgkmcnt(1)
	v_mul_f64 v[20:21], v[2:3], v[22:23]
	v_add_f64 v[56:57], v[56:57], 0
	v_add_f64 v[16:17], v[16:17], 0
	v_mul_f64 v[22:23], v[4:5], v[22:23]
	s_waitcnt vmcnt(28)
	v_fma_f64 v[18:19], v[10:11], v[28:29], -v[18:19]
	v_fma_f64 v[28:29], v[12:13], v[28:29], v[58:59]
	ds_read_b128 v[10:13], v1 offset:1168
	s_waitcnt vmcnt(25)
	v_fma_f64 v[20:21], v[4:5], v[30:31], v[20:21]
	v_add_f64 v[56:57], v[56:57], v[62:63]
	v_add_f64 v[14:15], v[16:17], v[14:15]
	s_waitcnt lgkmcnt(1)
	v_mul_f64 v[16:17], v[6:7], v[24:25]
	v_mul_f64 v[24:25], v[8:9], v[24:25]
	v_fma_f64 v[22:23], v[2:3], v[30:31], -v[22:23]
	s_waitcnt vmcnt(21) lgkmcnt(0)
	v_mul_f64 v[30:31], v[12:13], v[32:33]
	ds_read_b128 v[2:5], v1 offset:1184
	v_add_f64 v[18:19], v[56:57], v[18:19]
	v_add_f64 v[14:15], v[14:15], v[28:29]
	v_mul_f64 v[28:29], v[10:11], v[32:33]
	s_waitcnt vmcnt(20)
	v_fma_f64 v[24:25], v[6:7], v[26:27], -v[24:25]
	v_fma_f64 v[16:17], v[8:9], v[26:27], v[16:17]
	ds_read_b128 v[6:9], v1 offset:1200
	s_waitcnt vmcnt(17)
	v_fma_f64 v[26:27], v[10:11], v[38:39], -v[30:31]
	v_add_f64 v[18:19], v[18:19], v[22:23]
	v_add_f64 v[14:15], v[14:15], v[20:21]
	s_waitcnt lgkmcnt(1)
	v_mul_f64 v[22:23], v[4:5], v[34:35]
	v_mul_f64 v[20:21], v[2:3], v[34:35]
	v_add_f64 v[18:19], v[18:19], v[24:25]
	v_fma_f64 v[24:25], v[12:13], v[38:39], v[28:29]
	v_add_f64 v[14:15], v[14:15], v[16:17]
	s_waitcnt vmcnt(13) lgkmcnt(0)
	v_mul_f64 v[28:29], v[8:9], v[40:41]
	s_waitcnt vmcnt(12)
	v_fma_f64 v[22:23], v[2:3], v[36:37], -v[22:23]
	ds_read_b128 v[10:13], v1 offset:1216
	v_mul_f64 v[16:17], v[6:7], v[40:41]
	v_fma_f64 v[20:21], v[4:5], v[36:37], v[20:21]
	ds_read_b128 v[1:4], v1 offset:1232
	v_add_f64 v[18:19], v[18:19], v[26:27]
	v_add_f64 v[14:15], v[14:15], v[24:25]
	s_waitcnt vmcnt(11) lgkmcnt(1)
	v_mul_f64 v[26:27], v[12:13], v[42:43]
	s_waitcnt vmcnt(9)
	v_fma_f64 v[5:6], v[6:7], v[46:47], -v[28:29]
	v_mul_f64 v[24:25], v[10:11], v[42:43]
	v_fma_f64 v[7:8], v[8:9], v[46:47], v[16:17]
	s_waitcnt vmcnt(7) lgkmcnt(0)
	v_mul_f64 v[16:17], v[1:2], v[48:49]
	v_add_f64 v[18:19], v[18:19], v[22:23]
	v_add_f64 v[14:15], v[14:15], v[20:21]
	v_mul_f64 v[20:21], v[3:4], v[48:49]
	s_waitcnt vmcnt(6)
	v_fma_f64 v[9:10], v[10:11], v[44:45], -v[26:27]
	v_fma_f64 v[11:12], v[12:13], v[44:45], v[24:25]
	s_waitcnt vmcnt(4)
	v_fma_f64 v[3:4], v[3:4], v[50:51], v[16:17]
	v_add_f64 v[5:6], v[18:19], v[5:6]
	v_add_f64 v[7:8], v[14:15], v[7:8]
	v_fma_f64 v[1:2], v[1:2], v[50:51], -v[20:21]
	v_add_f64 v[5:6], v[5:6], v[9:10]
	v_add_f64 v[7:8], v[7:8], v[11:12]
	;; [unrolled: 1-line block ×4, first 2 shown]
	s_waitcnt vmcnt(2)
	v_add_f64 v[1:2], v[52:53], -v[1:2]
	s_waitcnt vmcnt(0)
	v_add_f64 v[3:4], v[54:55], -v[3:4]
	buffer_store_dword v2, off, s[0:3], 0 offset:468
	buffer_store_dword v1, off, s[0:3], 0 offset:464
	;; [unrolled: 1-line block ×4, first 2 shown]
	v_cmpx_lt_u32_e32 27, v0
	s_cbranch_execz .LBB38_193
; %bb.192:
	v_mov_b32_e32 v4, s15
	v_mov_b32_e32 v5, 0
	s_clause 0x3
	buffer_load_dword v1, v4, s[0:3], 0 offen
	buffer_load_dword v2, v4, s[0:3], 0 offen offset:4
	buffer_load_dword v3, v4, s[0:3], 0 offen offset:8
	;; [unrolled: 1-line block ×3, first 2 shown]
	buffer_store_dword v5, off, s[0:3], 0 offset:448
	buffer_store_dword v5, off, s[0:3], 0 offset:452
	;; [unrolled: 1-line block ×4, first 2 shown]
	s_waitcnt vmcnt(0)
	ds_write_b128 v61, v[1:4]
.LBB38_193:
	s_or_b32 exec_lo, exec_lo, s4
	s_waitcnt lgkmcnt(0)
	s_waitcnt_vscnt null, 0x0
	s_barrier
	buffer_gl0_inv
	s_clause 0x2f
	buffer_load_dword v10, off, s[0:3], 0 offset:472
	buffer_load_dword v11, off, s[0:3], 0 offset:476
	buffer_load_dword v14, off, s[0:3], 0 offset:488
	buffer_load_dword v15, off, s[0:3], 0 offset:492
	buffer_load_dword v16, off, s[0:3], 0 offset:464
	buffer_load_dword v17, off, s[0:3], 0 offset:468
	buffer_load_dword v18, off, s[0:3], 0 offset:504
	buffer_load_dword v19, off, s[0:3], 0 offset:508
	buffer_load_dword v20, off, s[0:3], 0 offset:480
	buffer_load_dword v21, off, s[0:3], 0 offset:484
	buffer_load_dword v23, off, s[0:3], 0 offset:524
	buffer_load_dword v24, off, s[0:3], 0 offset:536
	buffer_load_dword v26, off, s[0:3], 0 offset:528
	buffer_load_dword v22, off, s[0:3], 0 offset:520
	buffer_load_dword v28, off, s[0:3], 0 offset:496
	buffer_load_dword v29, off, s[0:3], 0 offset:500
	buffer_load_dword v25, off, s[0:3], 0 offset:540
	buffer_load_dword v31, off, s[0:3], 0 offset:516
	buffer_load_dword v30, off, s[0:3], 0 offset:512
	buffer_load_dword v33, off, s[0:3], 0 offset:556
	buffer_load_dword v34, off, s[0:3], 0 offset:568
	buffer_load_dword v36, off, s[0:3], 0 offset:560
	buffer_load_dword v32, off, s[0:3], 0 offset:552
	buffer_load_dword v27, off, s[0:3], 0 offset:532
	buffer_load_dword v35, off, s[0:3], 0 offset:572
	buffer_load_dword v39, off, s[0:3], 0 offset:548
	buffer_load_dword v38, off, s[0:3], 0 offset:544
	buffer_load_dword v41, off, s[0:3], 0 offset:588
	buffer_load_dword v42, off, s[0:3], 0 offset:600
	buffer_load_dword v44, off, s[0:3], 0 offset:592
	buffer_load_dword v40, off, s[0:3], 0 offset:584
	buffer_load_dword v37, off, s[0:3], 0 offset:564
	buffer_load_dword v43, off, s[0:3], 0 offset:604
	buffer_load_dword v47, off, s[0:3], 0 offset:580
	buffer_load_dword v46, off, s[0:3], 0 offset:576
	buffer_load_dword v49, off, s[0:3], 0 offset:620
	buffer_load_dword v50, off, s[0:3], 0 offset:632
	buffer_load_dword v52, off, s[0:3], 0 offset:624
	buffer_load_dword v48, off, s[0:3], 0 offset:616
	buffer_load_dword v45, off, s[0:3], 0 offset:596
	buffer_load_dword v51, off, s[0:3], 0 offset:636
	buffer_load_dword v55, off, s[0:3], 0 offset:612
	buffer_load_dword v54, off, s[0:3], 0 offset:608
	buffer_load_dword v53, off, s[0:3], 0 offset:628
	buffer_load_dword v56, off, s[0:3], 0 offset:448
	buffer_load_dword v57, off, s[0:3], 0 offset:452
	buffer_load_dword v58, off, s[0:3], 0 offset:456
	buffer_load_dword v59, off, s[0:3], 0 offset:460
	v_mov_b32_e32 v1, 0
	ds_read_b128 v[2:5], v1 offset:1072
	ds_read_b128 v[6:9], v1 offset:1088
	s_mov_b32 s4, exec_lo
	s_waitcnt vmcnt(46) lgkmcnt(1)
	v_mul_f64 v[62:63], v[4:5], v[10:11]
	v_mul_f64 v[64:65], v[2:3], v[10:11]
	s_waitcnt vmcnt(44) lgkmcnt(0)
	v_mul_f64 v[66:67], v[8:9], v[14:15]
	ds_read_b128 v[10:13], v1 offset:1104
	v_mul_f64 v[14:15], v[6:7], v[14:15]
	s_waitcnt vmcnt(42)
	v_fma_f64 v[62:63], v[2:3], v[16:17], -v[62:63]
	v_fma_f64 v[16:17], v[4:5], v[16:17], v[64:65]
	ds_read_b128 v[2:5], v1 offset:1120
	s_waitcnt vmcnt(40) lgkmcnt(1)
	v_mul_f64 v[64:65], v[10:11], v[18:19]
	v_mul_f64 v[18:19], v[12:13], v[18:19]
	s_waitcnt vmcnt(38)
	v_fma_f64 v[66:67], v[6:7], v[20:21], -v[66:67]
	v_fma_f64 v[14:15], v[8:9], v[20:21], v[14:15]
	ds_read_b128 v[6:9], v1 offset:1136
	s_waitcnt vmcnt(34) lgkmcnt(1)
	v_mul_f64 v[20:21], v[2:3], v[22:23]
	v_add_f64 v[62:63], v[62:63], 0
	v_add_f64 v[16:17], v[16:17], 0
	v_mul_f64 v[22:23], v[4:5], v[22:23]
	s_waitcnt vmcnt(32)
	v_fma_f64 v[18:19], v[10:11], v[28:29], -v[18:19]
	v_fma_f64 v[28:29], v[12:13], v[28:29], v[64:65]
	ds_read_b128 v[10:13], v1 offset:1152
	s_waitcnt vmcnt(29)
	v_fma_f64 v[20:21], v[4:5], v[30:31], v[20:21]
	v_add_f64 v[62:63], v[62:63], v[66:67]
	v_add_f64 v[14:15], v[16:17], v[14:15]
	s_waitcnt lgkmcnt(1)
	v_mul_f64 v[16:17], v[6:7], v[24:25]
	v_mul_f64 v[24:25], v[8:9], v[24:25]
	v_fma_f64 v[22:23], v[2:3], v[30:31], -v[22:23]
	s_waitcnt vmcnt(25) lgkmcnt(0)
	v_mul_f64 v[30:31], v[12:13], v[32:33]
	ds_read_b128 v[2:5], v1 offset:1168
	v_add_f64 v[18:19], v[62:63], v[18:19]
	v_add_f64 v[14:15], v[14:15], v[28:29]
	v_mul_f64 v[28:29], v[10:11], v[32:33]
	s_waitcnt vmcnt(24)
	v_fma_f64 v[24:25], v[6:7], v[26:27], -v[24:25]
	v_fma_f64 v[16:17], v[8:9], v[26:27], v[16:17]
	ds_read_b128 v[6:9], v1 offset:1184
	s_waitcnt vmcnt(21)
	v_fma_f64 v[26:27], v[10:11], v[38:39], -v[30:31]
	v_add_f64 v[18:19], v[18:19], v[22:23]
	v_add_f64 v[14:15], v[14:15], v[20:21]
	s_waitcnt lgkmcnt(1)
	v_mul_f64 v[22:23], v[4:5], v[34:35]
	v_mul_f64 v[20:21], v[2:3], v[34:35]
	v_add_f64 v[18:19], v[18:19], v[24:25]
	v_fma_f64 v[24:25], v[12:13], v[38:39], v[28:29]
	v_add_f64 v[14:15], v[14:15], v[16:17]
	s_waitcnt vmcnt(17) lgkmcnt(0)
	v_mul_f64 v[28:29], v[8:9], v[40:41]
	s_waitcnt vmcnt(16)
	v_fma_f64 v[22:23], v[2:3], v[36:37], -v[22:23]
	ds_read_b128 v[10:13], v1 offset:1200
	v_mul_f64 v[16:17], v[6:7], v[40:41]
	v_fma_f64 v[20:21], v[4:5], v[36:37], v[20:21]
	ds_read_b128 v[2:5], v1 offset:1216
	v_add_f64 v[18:19], v[18:19], v[26:27]
	v_add_f64 v[14:15], v[14:15], v[24:25]
	s_waitcnt vmcnt(15) lgkmcnt(1)
	v_mul_f64 v[26:27], v[12:13], v[42:43]
	s_waitcnt vmcnt(13)
	v_fma_f64 v[28:29], v[6:7], v[46:47], -v[28:29]
	v_mul_f64 v[24:25], v[10:11], v[42:43]
	v_fma_f64 v[16:17], v[8:9], v[46:47], v[16:17]
	ds_read_b128 v[6:9], v1 offset:1232
	v_add_f64 v[18:19], v[18:19], v[22:23]
	s_waitcnt vmcnt(9) lgkmcnt(1)
	v_mul_f64 v[22:23], v[4:5], v[48:49]
	v_add_f64 v[14:15], v[14:15], v[20:21]
	s_waitcnt vmcnt(8)
	v_fma_f64 v[10:11], v[10:11], v[44:45], -v[26:27]
	v_mul_f64 v[20:21], v[2:3], v[48:49]
	v_fma_f64 v[12:13], v[12:13], v[44:45], v[24:25]
	s_waitcnt vmcnt(7) lgkmcnt(0)
	v_mul_f64 v[24:25], v[8:9], v[50:51]
	v_add_f64 v[18:19], v[18:19], v[28:29]
	s_waitcnt vmcnt(5)
	v_fma_f64 v[2:3], v[2:3], v[54:55], -v[22:23]
	v_add_f64 v[14:15], v[14:15], v[16:17]
	v_mul_f64 v[16:17], v[6:7], v[50:51]
	v_fma_f64 v[4:5], v[4:5], v[54:55], v[20:21]
	s_waitcnt vmcnt(4)
	v_fma_f64 v[6:7], v[6:7], v[52:53], -v[24:25]
	v_add_f64 v[10:11], v[18:19], v[10:11]
	v_add_f64 v[12:13], v[14:15], v[12:13]
	v_fma_f64 v[8:9], v[8:9], v[52:53], v[16:17]
	v_add_f64 v[2:3], v[10:11], v[2:3]
	v_add_f64 v[4:5], v[12:13], v[4:5]
	v_add_f64 v[2:3], v[2:3], v[6:7]
	v_add_f64 v[4:5], v[4:5], v[8:9]
	s_waitcnt vmcnt(2)
	v_add_f64 v[2:3], v[56:57], -v[2:3]
	s_waitcnt vmcnt(0)
	v_add_f64 v[4:5], v[58:59], -v[4:5]
	buffer_store_dword v3, off, s[0:3], 0 offset:452
	buffer_store_dword v2, off, s[0:3], 0 offset:448
	;; [unrolled: 1-line block ×4, first 2 shown]
	v_cmpx_lt_u32_e32 26, v0
	s_cbranch_execz .LBB38_195
; %bb.194:
	v_mov_b32_e32 v5, s16
	s_clause 0x3
	buffer_load_dword v2, v5, s[0:3], 0 offen
	buffer_load_dword v3, v5, s[0:3], 0 offen offset:4
	buffer_load_dword v4, v5, s[0:3], 0 offen offset:8
	buffer_load_dword v5, v5, s[0:3], 0 offen offset:12
	buffer_store_dword v1, off, s[0:3], 0 offset:432
	buffer_store_dword v1, off, s[0:3], 0 offset:436
	;; [unrolled: 1-line block ×4, first 2 shown]
	s_waitcnt vmcnt(0)
	ds_write_b128 v61, v[2:5]
.LBB38_195:
	s_or_b32 exec_lo, exec_lo, s4
	s_waitcnt lgkmcnt(0)
	s_waitcnt_vscnt null, 0x0
	s_barrier
	buffer_gl0_inv
	s_clause 0x2f
	buffer_load_dword v10, off, s[0:3], 0 offset:456
	buffer_load_dword v11, off, s[0:3], 0 offset:460
	buffer_load_dword v14, off, s[0:3], 0 offset:472
	buffer_load_dword v15, off, s[0:3], 0 offset:476
	buffer_load_dword v16, off, s[0:3], 0 offset:448
	buffer_load_dword v17, off, s[0:3], 0 offset:452
	buffer_load_dword v18, off, s[0:3], 0 offset:488
	buffer_load_dword v19, off, s[0:3], 0 offset:492
	buffer_load_dword v20, off, s[0:3], 0 offset:464
	buffer_load_dword v21, off, s[0:3], 0 offset:468
	buffer_load_dword v23, off, s[0:3], 0 offset:508
	buffer_load_dword v24, off, s[0:3], 0 offset:520
	buffer_load_dword v26, off, s[0:3], 0 offset:512
	buffer_load_dword v22, off, s[0:3], 0 offset:504
	buffer_load_dword v28, off, s[0:3], 0 offset:480
	buffer_load_dword v29, off, s[0:3], 0 offset:484
	buffer_load_dword v25, off, s[0:3], 0 offset:524
	buffer_load_dword v31, off, s[0:3], 0 offset:500
	buffer_load_dword v30, off, s[0:3], 0 offset:496
	buffer_load_dword v33, off, s[0:3], 0 offset:540
	buffer_load_dword v34, off, s[0:3], 0 offset:552
	buffer_load_dword v36, off, s[0:3], 0 offset:544
	buffer_load_dword v32, off, s[0:3], 0 offset:536
	buffer_load_dword v27, off, s[0:3], 0 offset:516
	buffer_load_dword v35, off, s[0:3], 0 offset:556
	buffer_load_dword v39, off, s[0:3], 0 offset:532
	buffer_load_dword v38, off, s[0:3], 0 offset:528
	buffer_load_dword v41, off, s[0:3], 0 offset:572
	buffer_load_dword v42, off, s[0:3], 0 offset:584
	buffer_load_dword v44, off, s[0:3], 0 offset:576
	buffer_load_dword v40, off, s[0:3], 0 offset:568
	buffer_load_dword v37, off, s[0:3], 0 offset:548
	buffer_load_dword v43, off, s[0:3], 0 offset:588
	buffer_load_dword v47, off, s[0:3], 0 offset:564
	buffer_load_dword v46, off, s[0:3], 0 offset:560
	buffer_load_dword v49, off, s[0:3], 0 offset:604
	buffer_load_dword v50, off, s[0:3], 0 offset:616
	buffer_load_dword v52, off, s[0:3], 0 offset:608
	buffer_load_dword v48, off, s[0:3], 0 offset:600
	buffer_load_dword v45, off, s[0:3], 0 offset:580
	buffer_load_dword v51, off, s[0:3], 0 offset:620
	buffer_load_dword v55, off, s[0:3], 0 offset:596
	buffer_load_dword v54, off, s[0:3], 0 offset:592
	buffer_load_dword v57, off, s[0:3], 0 offset:636
	buffer_load_dword v56, off, s[0:3], 0 offset:632
	buffer_load_dword v53, off, s[0:3], 0 offset:612
	buffer_load_dword v59, off, s[0:3], 0 offset:628
	buffer_load_dword v58, off, s[0:3], 0 offset:624
	ds_read_b128 v[2:5], v1 offset:1056
	s_clause 0x3
	buffer_load_dword v62, off, s[0:3], 0 offset:432
	buffer_load_dword v63, off, s[0:3], 0 offset:436
	;; [unrolled: 1-line block ×4, first 2 shown]
	ds_read_b128 v[6:9], v1 offset:1072
	s_mov_b32 s4, exec_lo
	s_waitcnt vmcnt(50) lgkmcnt(1)
	v_mul_f64 v[66:67], v[4:5], v[10:11]
	v_mul_f64 v[68:69], v[2:3], v[10:11]
	ds_read_b128 v[10:13], v1 offset:1088
	s_waitcnt vmcnt(48) lgkmcnt(1)
	v_mul_f64 v[70:71], v[8:9], v[14:15]
	v_mul_f64 v[14:15], v[6:7], v[14:15]
	s_waitcnt vmcnt(46)
	v_fma_f64 v[66:67], v[2:3], v[16:17], -v[66:67]
	v_fma_f64 v[16:17], v[4:5], v[16:17], v[68:69]
	s_waitcnt vmcnt(44) lgkmcnt(0)
	v_mul_f64 v[68:69], v[10:11], v[18:19]
	v_mul_f64 v[18:19], v[12:13], v[18:19]
	s_waitcnt vmcnt(42)
	v_fma_f64 v[70:71], v[6:7], v[20:21], -v[70:71]
	ds_read_b128 v[2:5], v1 offset:1104
	v_fma_f64 v[14:15], v[8:9], v[20:21], v[14:15]
	ds_read_b128 v[6:9], v1 offset:1120
	v_add_f64 v[66:67], v[66:67], 0
	v_add_f64 v[16:17], v[16:17], 0
	s_waitcnt vmcnt(38) lgkmcnt(1)
	v_mul_f64 v[20:21], v[2:3], v[22:23]
	v_mul_f64 v[22:23], v[4:5], v[22:23]
	s_waitcnt vmcnt(36)
	v_fma_f64 v[18:19], v[10:11], v[28:29], -v[18:19]
	v_fma_f64 v[28:29], v[12:13], v[28:29], v[68:69]
	ds_read_b128 v[10:13], v1 offset:1136
	v_add_f64 v[66:67], v[66:67], v[70:71]
	v_add_f64 v[14:15], v[16:17], v[14:15]
	s_waitcnt vmcnt(35) lgkmcnt(1)
	v_mul_f64 v[16:17], v[6:7], v[24:25]
	v_mul_f64 v[24:25], v[8:9], v[24:25]
	s_waitcnt vmcnt(33)
	v_fma_f64 v[22:23], v[2:3], v[30:31], -v[22:23]
	v_fma_f64 v[20:21], v[4:5], v[30:31], v[20:21]
	ds_read_b128 v[2:5], v1 offset:1152
	s_waitcnt vmcnt(29) lgkmcnt(1)
	v_mul_f64 v[30:31], v[12:13], v[32:33]
	v_add_f64 v[18:19], v[66:67], v[18:19]
	v_add_f64 v[14:15], v[14:15], v[28:29]
	v_mul_f64 v[28:29], v[10:11], v[32:33]
	s_waitcnt vmcnt(28)
	v_fma_f64 v[24:25], v[6:7], v[26:27], -v[24:25]
	v_fma_f64 v[16:17], v[8:9], v[26:27], v[16:17]
	ds_read_b128 v[6:9], v1 offset:1168
	s_waitcnt vmcnt(25)
	v_fma_f64 v[26:27], v[10:11], v[38:39], -v[30:31]
	v_add_f64 v[18:19], v[18:19], v[22:23]
	v_add_f64 v[14:15], v[14:15], v[20:21]
	s_waitcnt lgkmcnt(1)
	v_mul_f64 v[22:23], v[4:5], v[34:35]
	v_mul_f64 v[20:21], v[2:3], v[34:35]
	v_add_f64 v[18:19], v[18:19], v[24:25]
	v_fma_f64 v[24:25], v[12:13], v[38:39], v[28:29]
	v_add_f64 v[14:15], v[14:15], v[16:17]
	ds_read_b128 v[10:13], v1 offset:1184
	s_waitcnt vmcnt(21) lgkmcnt(1)
	v_mul_f64 v[28:29], v[8:9], v[40:41]
	s_waitcnt vmcnt(20)
	v_fma_f64 v[22:23], v[2:3], v[36:37], -v[22:23]
	v_mul_f64 v[16:17], v[6:7], v[40:41]
	v_fma_f64 v[20:21], v[4:5], v[36:37], v[20:21]
	ds_read_b128 v[2:5], v1 offset:1200
	v_add_f64 v[18:19], v[18:19], v[26:27]
	s_waitcnt vmcnt(19) lgkmcnt(1)
	v_mul_f64 v[26:27], v[12:13], v[42:43]
	v_add_f64 v[14:15], v[14:15], v[24:25]
	v_mul_f64 v[24:25], v[10:11], v[42:43]
	s_waitcnt vmcnt(17)
	v_fma_f64 v[28:29], v[6:7], v[46:47], -v[28:29]
	v_fma_f64 v[16:17], v[8:9], v[46:47], v[16:17]
	ds_read_b128 v[6:9], v1 offset:1216
	v_add_f64 v[18:19], v[18:19], v[22:23]
	s_waitcnt vmcnt(13) lgkmcnt(1)
	v_mul_f64 v[22:23], v[4:5], v[48:49]
	v_add_f64 v[14:15], v[14:15], v[20:21]
	s_waitcnt vmcnt(12)
	v_fma_f64 v[26:27], v[10:11], v[44:45], -v[26:27]
	v_mul_f64 v[20:21], v[2:3], v[48:49]
	v_fma_f64 v[24:25], v[12:13], v[44:45], v[24:25]
	ds_read_b128 v[10:13], v1 offset:1232
	v_add_f64 v[18:19], v[18:19], v[28:29]
	s_waitcnt vmcnt(11) lgkmcnt(1)
	v_mul_f64 v[28:29], v[8:9], v[50:51]
	v_add_f64 v[14:15], v[14:15], v[16:17]
	s_waitcnt vmcnt(9)
	v_fma_f64 v[1:2], v[2:3], v[54:55], -v[22:23]
	v_mul_f64 v[16:17], v[6:7], v[50:51]
	v_fma_f64 v[3:4], v[4:5], v[54:55], v[20:21]
	s_waitcnt vmcnt(7) lgkmcnt(0)
	v_mul_f64 v[22:23], v[12:13], v[56:57]
	v_mul_f64 v[20:21], v[10:11], v[56:57]
	v_add_f64 v[18:19], v[18:19], v[26:27]
	s_waitcnt vmcnt(6)
	v_fma_f64 v[5:6], v[6:7], v[52:53], -v[28:29]
	v_add_f64 v[14:15], v[14:15], v[24:25]
	v_fma_f64 v[7:8], v[8:9], v[52:53], v[16:17]
	s_waitcnt vmcnt(4)
	v_fma_f64 v[9:10], v[10:11], v[58:59], -v[22:23]
	v_add_f64 v[1:2], v[18:19], v[1:2]
	v_add_f64 v[3:4], v[14:15], v[3:4]
	;; [unrolled: 1-line block ×3, first 2 shown]
	v_fma_f64 v[5:6], v[12:13], v[58:59], v[20:21]
	v_add_f64 v[3:4], v[3:4], v[7:8]
	v_add_f64 v[1:2], v[1:2], v[9:10]
	;; [unrolled: 1-line block ×3, first 2 shown]
	s_waitcnt vmcnt(2)
	v_add_f64 v[1:2], v[62:63], -v[1:2]
	s_waitcnt vmcnt(0)
	v_add_f64 v[3:4], v[64:65], -v[3:4]
	buffer_store_dword v2, off, s[0:3], 0 offset:436
	buffer_store_dword v1, off, s[0:3], 0 offset:432
	;; [unrolled: 1-line block ×4, first 2 shown]
	v_cmpx_lt_u32_e32 25, v0
	s_cbranch_execz .LBB38_197
; %bb.196:
	v_mov_b32_e32 v4, s18
	v_mov_b32_e32 v5, 0
	s_clause 0x3
	buffer_load_dword v1, v4, s[0:3], 0 offen
	buffer_load_dword v2, v4, s[0:3], 0 offen offset:4
	buffer_load_dword v3, v4, s[0:3], 0 offen offset:8
	;; [unrolled: 1-line block ×3, first 2 shown]
	buffer_store_dword v5, off, s[0:3], 0 offset:416
	buffer_store_dword v5, off, s[0:3], 0 offset:420
	;; [unrolled: 1-line block ×4, first 2 shown]
	s_waitcnt vmcnt(0)
	ds_write_b128 v61, v[1:4]
.LBB38_197:
	s_or_b32 exec_lo, exec_lo, s4
	s_waitcnt lgkmcnt(0)
	s_waitcnt_vscnt null, 0x0
	s_barrier
	buffer_gl0_inv
	s_clause 0x33
	buffer_load_dword v10, off, s[0:3], 0 offset:440
	buffer_load_dword v11, off, s[0:3], 0 offset:444
	;; [unrolled: 1-line block ×52, first 2 shown]
	v_mov_b32_e32 v1, 0
	ds_read_b128 v[2:5], v1 offset:1040
	ds_read_b128 v[6:9], v1 offset:1056
	s_clause 0x3
	buffer_load_dword v70, off, s[0:3], 0 offset:416
	buffer_load_dword v71, off, s[0:3], 0 offset:420
	;; [unrolled: 1-line block ×4, first 2 shown]
	s_mov_b32 s4, exec_lo
	s_waitcnt vmcnt(54) lgkmcnt(1)
	v_mul_f64 v[66:67], v[4:5], v[10:11]
	v_mul_f64 v[68:69], v[2:3], v[10:11]
	s_waitcnt vmcnt(52) lgkmcnt(0)
	v_mul_f64 v[74:75], v[8:9], v[14:15]
	ds_read_b128 v[10:13], v1 offset:1072
	v_mul_f64 v[14:15], v[6:7], v[14:15]
	s_waitcnt vmcnt(50)
	v_fma_f64 v[66:67], v[2:3], v[16:17], -v[66:67]
	v_fma_f64 v[16:17], v[4:5], v[16:17], v[68:69]
	ds_read_b128 v[2:5], v1 offset:1088
	s_waitcnt vmcnt(48) lgkmcnt(1)
	v_mul_f64 v[68:69], v[10:11], v[18:19]
	v_mul_f64 v[18:19], v[12:13], v[18:19]
	s_waitcnt vmcnt(46)
	v_fma_f64 v[74:75], v[6:7], v[20:21], -v[74:75]
	v_fma_f64 v[14:15], v[8:9], v[20:21], v[14:15]
	ds_read_b128 v[6:9], v1 offset:1104
	s_waitcnt vmcnt(42) lgkmcnt(1)
	v_mul_f64 v[20:21], v[2:3], v[22:23]
	v_add_f64 v[66:67], v[66:67], 0
	v_add_f64 v[16:17], v[16:17], 0
	v_mul_f64 v[22:23], v[4:5], v[22:23]
	s_waitcnt vmcnt(40)
	v_fma_f64 v[18:19], v[10:11], v[28:29], -v[18:19]
	v_fma_f64 v[28:29], v[12:13], v[28:29], v[68:69]
	ds_read_b128 v[10:13], v1 offset:1120
	s_waitcnt vmcnt(37)
	v_fma_f64 v[20:21], v[4:5], v[30:31], v[20:21]
	v_add_f64 v[66:67], v[66:67], v[74:75]
	v_add_f64 v[14:15], v[16:17], v[14:15]
	s_waitcnt lgkmcnt(1)
	v_mul_f64 v[16:17], v[6:7], v[24:25]
	v_mul_f64 v[24:25], v[8:9], v[24:25]
	v_fma_f64 v[22:23], v[2:3], v[30:31], -v[22:23]
	s_waitcnt vmcnt(33) lgkmcnt(0)
	v_mul_f64 v[30:31], v[12:13], v[32:33]
	ds_read_b128 v[2:5], v1 offset:1136
	v_add_f64 v[18:19], v[66:67], v[18:19]
	v_add_f64 v[14:15], v[14:15], v[28:29]
	v_mul_f64 v[28:29], v[10:11], v[32:33]
	s_waitcnt vmcnt(32)
	v_fma_f64 v[24:25], v[6:7], v[26:27], -v[24:25]
	v_fma_f64 v[16:17], v[8:9], v[26:27], v[16:17]
	ds_read_b128 v[6:9], v1 offset:1152
	s_waitcnt vmcnt(29)
	v_fma_f64 v[26:27], v[10:11], v[38:39], -v[30:31]
	v_add_f64 v[18:19], v[18:19], v[22:23]
	v_add_f64 v[14:15], v[14:15], v[20:21]
	s_waitcnt lgkmcnt(1)
	v_mul_f64 v[22:23], v[4:5], v[34:35]
	v_mul_f64 v[20:21], v[2:3], v[34:35]
	v_add_f64 v[18:19], v[18:19], v[24:25]
	v_fma_f64 v[24:25], v[12:13], v[38:39], v[28:29]
	v_add_f64 v[14:15], v[14:15], v[16:17]
	s_waitcnt vmcnt(25) lgkmcnt(0)
	v_mul_f64 v[28:29], v[8:9], v[40:41]
	s_waitcnt vmcnt(24)
	v_fma_f64 v[22:23], v[2:3], v[36:37], -v[22:23]
	ds_read_b128 v[10:13], v1 offset:1168
	v_mul_f64 v[16:17], v[6:7], v[40:41]
	v_fma_f64 v[20:21], v[4:5], v[36:37], v[20:21]
	ds_read_b128 v[2:5], v1 offset:1184
	v_add_f64 v[18:19], v[18:19], v[26:27]
	v_add_f64 v[14:15], v[14:15], v[24:25]
	s_waitcnt vmcnt(23) lgkmcnt(1)
	v_mul_f64 v[26:27], v[12:13], v[42:43]
	s_waitcnt vmcnt(21)
	v_fma_f64 v[28:29], v[6:7], v[46:47], -v[28:29]
	v_mul_f64 v[24:25], v[10:11], v[42:43]
	v_fma_f64 v[16:17], v[8:9], v[46:47], v[16:17]
	ds_read_b128 v[6:9], v1 offset:1200
	v_add_f64 v[18:19], v[18:19], v[22:23]
	s_waitcnt vmcnt(17) lgkmcnt(1)
	v_mul_f64 v[22:23], v[4:5], v[48:49]
	v_add_f64 v[14:15], v[14:15], v[20:21]
	s_waitcnt vmcnt(16)
	v_fma_f64 v[26:27], v[10:11], v[44:45], -v[26:27]
	v_mul_f64 v[20:21], v[2:3], v[48:49]
	v_fma_f64 v[24:25], v[12:13], v[44:45], v[24:25]
	ds_read_b128 v[10:13], v1 offset:1216
	v_add_f64 v[18:19], v[18:19], v[28:29]
	s_waitcnt vmcnt(15) lgkmcnt(1)
	v_mul_f64 v[28:29], v[8:9], v[50:51]
	v_add_f64 v[14:15], v[14:15], v[16:17]
	;; [unrolled: 9-line block ×3, first 2 shown]
	s_waitcnt vmcnt(8)
	v_fma_f64 v[6:7], v[6:7], v[52:53], -v[28:29]
	v_mul_f64 v[24:25], v[10:11], v[56:57]
	v_fma_f64 v[8:9], v[8:9], v[52:53], v[16:17]
	s_waitcnt vmcnt(7) lgkmcnt(0)
	v_mul_f64 v[16:17], v[2:3], v[58:59]
	v_add_f64 v[18:19], v[18:19], v[22:23]
	s_waitcnt vmcnt(5)
	v_fma_f64 v[10:11], v[10:11], v[64:65], -v[26:27]
	v_add_f64 v[14:15], v[14:15], v[20:21]
	v_mul_f64 v[20:21], v[4:5], v[58:59]
	v_fma_f64 v[12:13], v[12:13], v[64:65], v[24:25]
	s_waitcnt vmcnt(4)
	v_fma_f64 v[4:5], v[4:5], v[62:63], v[16:17]
	v_add_f64 v[6:7], v[18:19], v[6:7]
	v_add_f64 v[8:9], v[14:15], v[8:9]
	v_fma_f64 v[2:3], v[2:3], v[62:63], -v[20:21]
	v_add_f64 v[6:7], v[6:7], v[10:11]
	v_add_f64 v[8:9], v[8:9], v[12:13]
	;; [unrolled: 1-line block ×4, first 2 shown]
	s_waitcnt vmcnt(2)
	v_add_f64 v[2:3], v[70:71], -v[2:3]
	s_waitcnt vmcnt(0)
	v_add_f64 v[4:5], v[72:73], -v[4:5]
	buffer_store_dword v3, off, s[0:3], 0 offset:420
	buffer_store_dword v2, off, s[0:3], 0 offset:416
	;; [unrolled: 1-line block ×4, first 2 shown]
	v_cmpx_lt_u32_e32 24, v0
	s_cbranch_execz .LBB38_199
; %bb.198:
	v_mov_b32_e32 v5, s22
	s_clause 0x3
	buffer_load_dword v2, v5, s[0:3], 0 offen
	buffer_load_dword v3, v5, s[0:3], 0 offen offset:4
	buffer_load_dword v4, v5, s[0:3], 0 offen offset:8
	buffer_load_dword v5, v5, s[0:3], 0 offen offset:12
	buffer_store_dword v1, off, s[0:3], 0 offset:400
	buffer_store_dword v1, off, s[0:3], 0 offset:404
	;; [unrolled: 1-line block ×4, first 2 shown]
	s_waitcnt vmcnt(0)
	ds_write_b128 v61, v[2:5]
.LBB38_199:
	s_or_b32 exec_lo, exec_lo, s4
	s_waitcnt lgkmcnt(0)
	s_waitcnt_vscnt null, 0x0
	s_barrier
	buffer_gl0_inv
	s_clause 0x35
	buffer_load_dword v10, off, s[0:3], 0 offset:424
	buffer_load_dword v11, off, s[0:3], 0 offset:428
	;; [unrolled: 1-line block ×54, first 2 shown]
	ds_read_b128 v[2:5], v1 offset:1024
	s_clause 0x1
	buffer_load_dword v69, off, s[0:3], 0 offset:628
	buffer_load_dword v68, off, s[0:3], 0 offset:624
	ds_read_b128 v[6:9], v1 offset:1040
	s_mov_b32 s4, exec_lo
	s_waitcnt vmcnt(54) lgkmcnt(1)
	v_mul_f64 v[70:71], v[4:5], v[10:11]
	v_mul_f64 v[72:73], v[2:3], v[10:11]
	ds_read_b128 v[10:13], v1 offset:1056
	s_waitcnt vmcnt(52) lgkmcnt(1)
	v_mul_f64 v[74:75], v[8:9], v[14:15]
	v_mul_f64 v[14:15], v[6:7], v[14:15]
	s_waitcnt vmcnt(48) lgkmcnt(0)
	v_mul_f64 v[78:79], v[10:11], v[18:19]
	v_fma_f64 v[70:71], v[2:3], v[16:17], -v[70:71]
	v_fma_f64 v[16:17], v[4:5], v[16:17], v[72:73]
	s_clause 0x3
	buffer_load_dword v72, off, s[0:3], 0 offset:400
	buffer_load_dword v73, off, s[0:3], 0 offset:404
	;; [unrolled: 1-line block ×4, first 2 shown]
	v_mul_f64 v[18:19], v[12:13], v[18:19]
	s_waitcnt vmcnt(50)
	v_fma_f64 v[74:75], v[6:7], v[20:21], -v[74:75]
	ds_read_b128 v[2:5], v1 offset:1072
	v_fma_f64 v[14:15], v[8:9], v[20:21], v[14:15]
	ds_read_b128 v[6:9], v1 offset:1088
	v_add_f64 v[70:71], v[70:71], 0
	v_add_f64 v[16:17], v[16:17], 0
	s_waitcnt vmcnt(46) lgkmcnt(1)
	v_mul_f64 v[20:21], v[2:3], v[22:23]
	v_mul_f64 v[22:23], v[4:5], v[22:23]
	s_waitcnt vmcnt(44)
	v_fma_f64 v[18:19], v[10:11], v[28:29], -v[18:19]
	v_fma_f64 v[28:29], v[12:13], v[28:29], v[78:79]
	ds_read_b128 v[10:13], v1 offset:1104
	v_add_f64 v[70:71], v[70:71], v[74:75]
	v_add_f64 v[14:15], v[16:17], v[14:15]
	s_waitcnt vmcnt(43) lgkmcnt(1)
	v_mul_f64 v[16:17], v[6:7], v[24:25]
	v_mul_f64 v[24:25], v[8:9], v[24:25]
	s_waitcnt vmcnt(41)
	v_fma_f64 v[22:23], v[2:3], v[30:31], -v[22:23]
	v_fma_f64 v[20:21], v[4:5], v[30:31], v[20:21]
	ds_read_b128 v[2:5], v1 offset:1120
	s_waitcnt vmcnt(37) lgkmcnt(1)
	v_mul_f64 v[30:31], v[12:13], v[32:33]
	v_add_f64 v[18:19], v[70:71], v[18:19]
	v_add_f64 v[14:15], v[14:15], v[28:29]
	v_mul_f64 v[28:29], v[10:11], v[32:33]
	s_waitcnt vmcnt(36)
	v_fma_f64 v[24:25], v[6:7], v[26:27], -v[24:25]
	v_fma_f64 v[16:17], v[8:9], v[26:27], v[16:17]
	ds_read_b128 v[6:9], v1 offset:1136
	s_waitcnt vmcnt(33)
	v_fma_f64 v[26:27], v[10:11], v[38:39], -v[30:31]
	v_add_f64 v[18:19], v[18:19], v[22:23]
	v_add_f64 v[14:15], v[14:15], v[20:21]
	s_waitcnt lgkmcnt(1)
	v_mul_f64 v[22:23], v[4:5], v[34:35]
	v_mul_f64 v[20:21], v[2:3], v[34:35]
	v_add_f64 v[18:19], v[18:19], v[24:25]
	v_fma_f64 v[24:25], v[12:13], v[38:39], v[28:29]
	v_add_f64 v[14:15], v[14:15], v[16:17]
	ds_read_b128 v[10:13], v1 offset:1152
	s_waitcnt vmcnt(29) lgkmcnt(1)
	v_mul_f64 v[28:29], v[8:9], v[40:41]
	s_waitcnt vmcnt(28)
	v_fma_f64 v[22:23], v[2:3], v[36:37], -v[22:23]
	v_mul_f64 v[16:17], v[6:7], v[40:41]
	v_fma_f64 v[20:21], v[4:5], v[36:37], v[20:21]
	ds_read_b128 v[2:5], v1 offset:1168
	v_add_f64 v[18:19], v[18:19], v[26:27]
	s_waitcnt vmcnt(27) lgkmcnt(1)
	v_mul_f64 v[26:27], v[12:13], v[42:43]
	v_add_f64 v[14:15], v[14:15], v[24:25]
	v_mul_f64 v[24:25], v[10:11], v[42:43]
	s_waitcnt vmcnt(25)
	v_fma_f64 v[28:29], v[6:7], v[46:47], -v[28:29]
	v_fma_f64 v[16:17], v[8:9], v[46:47], v[16:17]
	ds_read_b128 v[6:9], v1 offset:1184
	v_add_f64 v[18:19], v[18:19], v[22:23]
	s_waitcnt vmcnt(21) lgkmcnt(1)
	v_mul_f64 v[22:23], v[4:5], v[48:49]
	v_add_f64 v[14:15], v[14:15], v[20:21]
	s_waitcnt vmcnt(20)
	v_fma_f64 v[26:27], v[10:11], v[44:45], -v[26:27]
	v_mul_f64 v[20:21], v[2:3], v[48:49]
	v_fma_f64 v[24:25], v[12:13], v[44:45], v[24:25]
	ds_read_b128 v[10:13], v1 offset:1200
	v_add_f64 v[18:19], v[18:19], v[28:29]
	s_waitcnt vmcnt(19) lgkmcnt(1)
	v_mul_f64 v[28:29], v[8:9], v[50:51]
	v_add_f64 v[14:15], v[14:15], v[16:17]
	s_waitcnt vmcnt(17)
	v_fma_f64 v[22:23], v[2:3], v[54:55], -v[22:23]
	v_mul_f64 v[16:17], v[6:7], v[50:51]
	;; [unrolled: 9-line block ×4, first 2 shown]
	v_fma_f64 v[12:13], v[12:13], v[64:65], v[24:25]
	s_waitcnt vmcnt(7) lgkmcnt(0)
	v_mul_f64 v[24:25], v[8:9], v[66:67]
	v_add_f64 v[18:19], v[18:19], v[28:29]
	s_waitcnt vmcnt(6)
	v_fma_f64 v[1:2], v[2:3], v[62:63], -v[22:23]
	v_add_f64 v[14:15], v[14:15], v[16:17]
	v_mul_f64 v[16:17], v[6:7], v[66:67]
	v_fma_f64 v[3:4], v[4:5], v[62:63], v[20:21]
	s_waitcnt vmcnt(4)
	v_fma_f64 v[5:6], v[6:7], v[68:69], -v[24:25]
	v_add_f64 v[10:11], v[18:19], v[10:11]
	v_add_f64 v[12:13], v[14:15], v[12:13]
	v_fma_f64 v[7:8], v[8:9], v[68:69], v[16:17]
	v_add_f64 v[1:2], v[10:11], v[1:2]
	v_add_f64 v[3:4], v[12:13], v[3:4]
	;; [unrolled: 1-line block ×4, first 2 shown]
	s_waitcnt vmcnt(2)
	v_add_f64 v[1:2], v[72:73], -v[1:2]
	s_waitcnt vmcnt(0)
	v_add_f64 v[3:4], v[76:77], -v[3:4]
	buffer_store_dword v2, off, s[0:3], 0 offset:404
	buffer_store_dword v1, off, s[0:3], 0 offset:400
	;; [unrolled: 1-line block ×4, first 2 shown]
	v_cmpx_lt_u32_e32 23, v0
	s_cbranch_execz .LBB38_201
; %bb.200:
	v_mov_b32_e32 v4, s24
	v_mov_b32_e32 v5, 0
	s_clause 0x3
	buffer_load_dword v1, v4, s[0:3], 0 offen
	buffer_load_dword v2, v4, s[0:3], 0 offen offset:4
	buffer_load_dword v3, v4, s[0:3], 0 offen offset:8
	;; [unrolled: 1-line block ×3, first 2 shown]
	buffer_store_dword v5, off, s[0:3], 0 offset:384
	buffer_store_dword v5, off, s[0:3], 0 offset:388
	;; [unrolled: 1-line block ×4, first 2 shown]
	s_waitcnt vmcnt(0)
	ds_write_b128 v61, v[1:4]
.LBB38_201:
	s_or_b32 exec_lo, exec_lo, s4
	s_waitcnt lgkmcnt(0)
	s_waitcnt_vscnt null, 0x0
	s_barrier
	buffer_gl0_inv
	s_clause 0x35
	buffer_load_dword v10, off, s[0:3], 0 offset:408
	buffer_load_dword v11, off, s[0:3], 0 offset:412
	;; [unrolled: 1-line block ×54, first 2 shown]
	v_mov_b32_e32 v1, 0
	s_mov_b32 s4, exec_lo
	ds_read_b128 v[2:5], v1 offset:1008
	s_clause 0x3
	buffer_load_dword v68, off, s[0:3], 0 offset:632
	buffer_load_dword v69, off, s[0:3], 0 offset:636
	buffer_load_dword v71, off, s[0:3], 0 offset:612
	buffer_load_dword v70, off, s[0:3], 0 offset:608
	ds_read_b128 v[6:9], v1 offset:1024
	s_clause 0x1
	buffer_load_dword v76, off, s[0:3], 0 offset:624
	buffer_load_dword v77, off, s[0:3], 0 offset:628
	s_waitcnt vmcnt(58) lgkmcnt(1)
	v_mul_f64 v[72:73], v[4:5], v[10:11]
	v_mul_f64 v[74:75], v[2:3], v[10:11]
	s_waitcnt vmcnt(56) lgkmcnt(0)
	v_mul_f64 v[78:79], v[8:9], v[14:15]
	ds_read_b128 v[10:13], v1 offset:1040
	v_mul_f64 v[14:15], v[6:7], v[14:15]
	s_waitcnt vmcnt(54)
	v_fma_f64 v[72:73], v[2:3], v[16:17], -v[72:73]
	v_fma_f64 v[16:17], v[4:5], v[16:17], v[74:75]
	ds_read_b128 v[2:5], v1 offset:1056
	s_waitcnt vmcnt(52) lgkmcnt(1)
	v_mul_f64 v[74:75], v[10:11], v[18:19]
	v_mul_f64 v[18:19], v[12:13], v[18:19]
	s_waitcnt vmcnt(50)
	v_fma_f64 v[78:79], v[6:7], v[20:21], -v[78:79]
	v_fma_f64 v[14:15], v[8:9], v[20:21], v[14:15]
	s_clause 0x3
	buffer_load_dword v20, off, s[0:3], 0 offset:384
	buffer_load_dword v21, off, s[0:3], 0 offset:388
	;; [unrolled: 1-line block ×4, first 2 shown]
	ds_read_b128 v[6:9], v1 offset:1072
	s_waitcnt vmcnt(52) lgkmcnt(1)
	v_mul_f64 v[82:83], v[2:3], v[22:23]
	v_add_f64 v[72:73], v[72:73], 0
	v_add_f64 v[16:17], v[16:17], 0
	v_mul_f64 v[22:23], v[4:5], v[22:23]
	s_waitcnt vmcnt(50)
	v_fma_f64 v[18:19], v[10:11], v[24:25], -v[18:19]
	v_fma_f64 v[24:25], v[12:13], v[24:25], v[74:75]
	ds_read_b128 v[10:13], v1 offset:1088
	v_add_f64 v[72:73], v[72:73], v[78:79]
	v_add_f64 v[14:15], v[16:17], v[14:15]
	s_waitcnt vmcnt(48) lgkmcnt(1)
	v_mul_f64 v[16:17], v[6:7], v[26:27]
	v_mul_f64 v[26:27], v[8:9], v[26:27]
	s_waitcnt vmcnt(46)
	v_fma_f64 v[22:23], v[2:3], v[28:29], -v[22:23]
	v_fma_f64 v[28:29], v[4:5], v[28:29], v[82:83]
	ds_read_b128 v[2:5], v1 offset:1104
	v_add_f64 v[18:19], v[72:73], v[18:19]
	v_add_f64 v[14:15], v[14:15], v[24:25]
	s_waitcnt vmcnt(44) lgkmcnt(1)
	v_mul_f64 v[24:25], v[10:11], v[30:31]
	;; [unrolled: 9-line block ×3, first 2 shown]
	s_waitcnt vmcnt(38)
	v_fma_f64 v[30:31], v[10:11], v[36:37], -v[30:31]
	v_mul_f64 v[22:23], v[2:3], v[34:35]
	v_fma_f64 v[24:25], v[12:13], v[36:37], v[24:25]
	ds_read_b128 v[10:13], v1 offset:1136
	v_add_f64 v[18:19], v[18:19], v[26:27]
	v_add_f64 v[14:15], v[14:15], v[16:17]
	s_waitcnt vmcnt(36) lgkmcnt(1)
	v_mul_f64 v[26:27], v[8:9], v[38:39]
	s_waitcnt vmcnt(34)
	v_fma_f64 v[28:29], v[2:3], v[40:41], -v[28:29]
	v_mul_f64 v[16:17], v[6:7], v[38:39]
	v_fma_f64 v[22:23], v[4:5], v[40:41], v[22:23]
	ds_read_b128 v[2:5], v1 offset:1152
	v_add_f64 v[18:19], v[18:19], v[30:31]
	v_add_f64 v[14:15], v[14:15], v[24:25]
	s_waitcnt vmcnt(32) lgkmcnt(1)
	v_mul_f64 v[30:31], v[12:13], v[42:43]
	;; [unrolled: 9-line block ×7, first 2 shown]
	s_waitcnt vmcnt(10)
	v_fma_f64 v[2:3], v[2:3], v[66:67], -v[28:29]
	v_mul_f64 v[16:17], v[6:7], v[64:65]
	v_fma_f64 v[4:5], v[4:5], v[66:67], v[22:23]
	s_waitcnt vmcnt(8) lgkmcnt(0)
	v_mul_f64 v[22:23], v[10:11], v[68:69]
	v_add_f64 v[18:19], v[18:19], v[30:31]
	v_add_f64 v[14:15], v[14:15], v[24:25]
	v_mul_f64 v[24:25], v[12:13], v[68:69]
	s_waitcnt vmcnt(6)
	v_fma_f64 v[6:7], v[6:7], v[70:71], -v[26:27]
	v_fma_f64 v[8:9], v[8:9], v[70:71], v[16:17]
	v_add_f64 v[2:3], v[18:19], v[2:3]
	v_add_f64 v[4:5], v[14:15], v[4:5]
	s_waitcnt vmcnt(4)
	v_fma_f64 v[10:11], v[10:11], v[76:77], -v[24:25]
	v_add_f64 v[2:3], v[2:3], v[6:7]
	v_fma_f64 v[6:7], v[12:13], v[76:77], v[22:23]
	v_add_f64 v[4:5], v[4:5], v[8:9]
	v_add_f64 v[2:3], v[2:3], v[10:11]
	v_add_f64 v[4:5], v[4:5], v[6:7]
	s_waitcnt vmcnt(2)
	v_add_f64 v[2:3], v[20:21], -v[2:3]
	s_waitcnt vmcnt(0)
	v_add_f64 v[4:5], v[80:81], -v[4:5]
	buffer_store_dword v3, off, s[0:3], 0 offset:388
	buffer_store_dword v2, off, s[0:3], 0 offset:384
	;; [unrolled: 1-line block ×4, first 2 shown]
	v_cmpx_lt_u32_e32 22, v0
	s_cbranch_execz .LBB38_203
; %bb.202:
	v_mov_b32_e32 v5, s26
	s_clause 0x3
	buffer_load_dword v2, v5, s[0:3], 0 offen
	buffer_load_dword v3, v5, s[0:3], 0 offen offset:4
	buffer_load_dword v4, v5, s[0:3], 0 offen offset:8
	;; [unrolled: 1-line block ×3, first 2 shown]
	buffer_store_dword v1, off, s[0:3], 0 offset:368
	buffer_store_dword v1, off, s[0:3], 0 offset:372
	;; [unrolled: 1-line block ×4, first 2 shown]
	s_waitcnt vmcnt(0)
	ds_write_b128 v61, v[2:5]
.LBB38_203:
	s_or_b32 exec_lo, exec_lo, s4
	s_waitcnt lgkmcnt(0)
	s_waitcnt_vscnt null, 0x0
	s_barrier
	buffer_gl0_inv
	s_clause 0x37
	buffer_load_dword v10, off, s[0:3], 0 offset:392
	buffer_load_dword v11, off, s[0:3], 0 offset:396
	;; [unrolled: 1-line block ×56, first 2 shown]
	ds_read_b128 v[2:5], v1 offset:992
	s_clause 0x2
	buffer_load_dword v69, off, s[0:3], 0 offset:620
	buffer_load_dword v73, off, s[0:3], 0 offset:596
	;; [unrolled: 1-line block ×3, first 2 shown]
	ds_read_b128 v[6:9], v1 offset:1008
	s_clause 0x2
	buffer_load_dword v79, off, s[0:3], 0 offset:636
	buffer_load_dword v78, off, s[0:3], 0 offset:632
	;; [unrolled: 1-line block ×3, first 2 shown]
	s_mov_b32 s4, exec_lo
	s_waitcnt vmcnt(60) lgkmcnt(1)
	v_mul_f64 v[74:75], v[4:5], v[10:11]
	v_mul_f64 v[76:77], v[2:3], v[10:11]
	s_waitcnt vmcnt(58) lgkmcnt(0)
	v_mul_f64 v[80:81], v[8:9], v[14:15]
	ds_read_b128 v[10:13], v1 offset:1024
	v_mul_f64 v[14:15], v[6:7], v[14:15]
	s_waitcnt vmcnt(56)
	v_fma_f64 v[74:75], v[2:3], v[16:17], -v[74:75]
	v_fma_f64 v[16:17], v[4:5], v[16:17], v[76:77]
	s_clause 0x1
	buffer_load_dword v77, off, s[0:3], 0 offset:628
	buffer_load_dword v76, off, s[0:3], 0 offset:624
	s_waitcnt vmcnt(56) lgkmcnt(0)
	v_mul_f64 v[82:83], v[10:11], v[18:19]
	v_mul_f64 v[18:19], v[12:13], v[18:19]
	s_waitcnt vmcnt(54)
	v_fma_f64 v[80:81], v[6:7], v[20:21], -v[80:81]
	ds_read_b128 v[2:5], v1 offset:1040
	v_fma_f64 v[14:15], v[8:9], v[20:21], v[14:15]
	ds_read_b128 v[6:9], v1 offset:1056
	v_add_f64 v[74:75], v[74:75], 0
	v_add_f64 v[16:17], v[16:17], 0
	s_waitcnt vmcnt(50) lgkmcnt(1)
	v_mul_f64 v[20:21], v[2:3], v[22:23]
	v_mul_f64 v[22:23], v[4:5], v[22:23]
	s_waitcnt vmcnt(48)
	v_fma_f64 v[18:19], v[10:11], v[28:29], -v[18:19]
	v_fma_f64 v[28:29], v[12:13], v[28:29], v[82:83]
	s_waitcnt vmcnt(47) lgkmcnt(0)
	v_mul_f64 v[82:83], v[6:7], v[24:25]
	v_mul_f64 v[24:25], v[8:9], v[24:25]
	v_add_f64 v[74:75], v[74:75], v[80:81]
	v_add_f64 v[14:15], v[16:17], v[14:15]
	s_clause 0x3
	buffer_load_dword v16, off, s[0:3], 0 offset:368
	buffer_load_dword v17, off, s[0:3], 0 offset:372
	;; [unrolled: 1-line block ×4, first 2 shown]
	ds_read_b128 v[10:13], v1 offset:1072
	s_waitcnt vmcnt(49)
	v_fma_f64 v[20:21], v[4:5], v[30:31], v[20:21]
	v_fma_f64 v[22:23], v[2:3], v[30:31], -v[22:23]
	ds_read_b128 v[2:5], v1 offset:1088
	s_waitcnt vmcnt(44)
	v_fma_f64 v[24:25], v[6:7], v[26:27], -v[24:25]
	v_add_f64 v[18:19], v[74:75], v[18:19]
	v_add_f64 v[14:15], v[14:15], v[28:29]
	s_waitcnt lgkmcnt(1)
	v_mul_f64 v[30:31], v[12:13], v[32:33]
	v_mul_f64 v[28:29], v[10:11], v[32:33]
	v_add_f64 v[18:19], v[18:19], v[22:23]
	v_fma_f64 v[22:23], v[8:9], v[26:27], v[82:83]
	v_add_f64 v[14:15], v[14:15], v[20:21]
	s_waitcnt vmcnt(43) lgkmcnt(0)
	v_mul_f64 v[26:27], v[4:5], v[34:35]
	s_waitcnt vmcnt(41)
	v_fma_f64 v[30:31], v[10:11], v[38:39], -v[30:31]
	ds_read_b128 v[6:9], v1 offset:1104
	v_mul_f64 v[20:21], v[2:3], v[34:35]
	v_add_f64 v[18:19], v[18:19], v[24:25]
	v_fma_f64 v[24:25], v[12:13], v[38:39], v[28:29]
	v_add_f64 v[14:15], v[14:15], v[22:23]
	ds_read_b128 v[10:13], v1 offset:1120
	s_waitcnt vmcnt(37) lgkmcnt(1)
	v_mul_f64 v[28:29], v[8:9], v[40:41]
	s_waitcnt vmcnt(36)
	v_fma_f64 v[26:27], v[2:3], v[36:37], -v[26:27]
	v_mul_f64 v[22:23], v[6:7], v[40:41]
	v_fma_f64 v[20:21], v[4:5], v[36:37], v[20:21]
	ds_read_b128 v[2:5], v1 offset:1136
	v_add_f64 v[18:19], v[18:19], v[30:31]
	s_waitcnt vmcnt(35) lgkmcnt(1)
	v_mul_f64 v[30:31], v[12:13], v[42:43]
	v_add_f64 v[14:15], v[14:15], v[24:25]
	v_mul_f64 v[24:25], v[10:11], v[42:43]
	s_waitcnt vmcnt(33)
	v_fma_f64 v[28:29], v[6:7], v[46:47], -v[28:29]
	v_fma_f64 v[22:23], v[8:9], v[46:47], v[22:23]
	ds_read_b128 v[6:9], v1 offset:1152
	v_add_f64 v[18:19], v[18:19], v[26:27]
	s_waitcnt vmcnt(29) lgkmcnt(1)
	v_mul_f64 v[26:27], v[4:5], v[48:49]
	v_add_f64 v[14:15], v[14:15], v[20:21]
	s_waitcnt vmcnt(28)
	v_fma_f64 v[30:31], v[10:11], v[44:45], -v[30:31]
	v_mul_f64 v[20:21], v[2:3], v[48:49]
	v_fma_f64 v[24:25], v[12:13], v[44:45], v[24:25]
	ds_read_b128 v[10:13], v1 offset:1168
	v_add_f64 v[18:19], v[18:19], v[28:29]
	s_waitcnt vmcnt(27) lgkmcnt(1)
	v_mul_f64 v[28:29], v[8:9], v[50:51]
	v_add_f64 v[14:15], v[14:15], v[22:23]
	s_waitcnt vmcnt(25)
	v_fma_f64 v[26:27], v[2:3], v[54:55], -v[26:27]
	v_mul_f64 v[22:23], v[6:7], v[50:51]
	;; [unrolled: 9-line block ×6, first 2 shown]
	v_fma_f64 v[7:8], v[8:9], v[72:73], v[22:23]
	s_waitcnt vmcnt(7) lgkmcnt(0)
	v_mul_f64 v[22:23], v[3:4], v[78:79]
	v_add_f64 v[18:19], v[18:19], v[26:27]
	s_waitcnt vmcnt(6)
	v_fma_f64 v[9:10], v[10:11], v[70:71], -v[30:31]
	v_add_f64 v[14:15], v[14:15], v[20:21]
	v_mul_f64 v[20:21], v[1:2], v[78:79]
	v_fma_f64 v[11:12], v[12:13], v[70:71], v[24:25]
	v_add_f64 v[5:6], v[18:19], v[5:6]
	v_add_f64 v[7:8], v[14:15], v[7:8]
	s_waitcnt vmcnt(4)
	v_fma_f64 v[1:2], v[1:2], v[76:77], -v[22:23]
	v_fma_f64 v[3:4], v[3:4], v[76:77], v[20:21]
	v_add_f64 v[5:6], v[5:6], v[9:10]
	v_add_f64 v[7:8], v[7:8], v[11:12]
	;; [unrolled: 1-line block ×4, first 2 shown]
	s_waitcnt vmcnt(2)
	v_add_f64 v[1:2], v[16:17], -v[1:2]
	s_waitcnt vmcnt(0)
	v_add_f64 v[3:4], v[80:81], -v[3:4]
	buffer_store_dword v2, off, s[0:3], 0 offset:372
	buffer_store_dword v1, off, s[0:3], 0 offset:368
	;; [unrolled: 1-line block ×4, first 2 shown]
	v_cmpx_lt_u32_e32 21, v0
	s_cbranch_execz .LBB38_205
; %bb.204:
	v_mov_b32_e32 v4, s28
	v_mov_b32_e32 v5, 0
	s_clause 0x3
	buffer_load_dword v1, v4, s[0:3], 0 offen
	buffer_load_dword v2, v4, s[0:3], 0 offen offset:4
	buffer_load_dword v3, v4, s[0:3], 0 offen offset:8
	;; [unrolled: 1-line block ×3, first 2 shown]
	buffer_store_dword v5, off, s[0:3], 0 offset:352
	buffer_store_dword v5, off, s[0:3], 0 offset:356
	;; [unrolled: 1-line block ×4, first 2 shown]
	s_waitcnt vmcnt(0)
	ds_write_b128 v61, v[1:4]
.LBB38_205:
	s_or_b32 exec_lo, exec_lo, s4
	s_waitcnt lgkmcnt(0)
	s_waitcnt_vscnt null, 0x0
	s_barrier
	buffer_gl0_inv
	s_clause 0x37
	buffer_load_dword v10, off, s[0:3], 0 offset:376
	buffer_load_dword v11, off, s[0:3], 0 offset:380
	;; [unrolled: 1-line block ×56, first 2 shown]
	v_mov_b32_e32 v1, 0
	s_mov_b32 s4, exec_lo
	ds_read_b128 v[2:5], v1 offset:976
	s_clause 0x2
	buffer_load_dword v69, off, s[0:3], 0 offset:604
	buffer_load_dword v73, off, s[0:3], 0 offset:580
	;; [unrolled: 1-line block ×3, first 2 shown]
	ds_read_b128 v[6:9], v1 offset:992
	s_clause 0x4
	buffer_load_dword v79, off, s[0:3], 0 offset:620
	buffer_load_dword v80, off, s[0:3], 0 offset:632
	buffer_load_dword v82, off, s[0:3], 0 offset:624
	buffer_load_dword v78, off, s[0:3], 0 offset:616
	buffer_load_dword v71, off, s[0:3], 0 offset:596
	s_waitcnt vmcnt(62) lgkmcnt(1)
	v_mul_f64 v[74:75], v[4:5], v[10:11]
	v_mul_f64 v[76:77], v[2:3], v[10:11]
	s_waitcnt vmcnt(60) lgkmcnt(0)
	v_mul_f64 v[83:84], v[8:9], v[14:15]
	ds_read_b128 v[10:13], v1 offset:1008
	v_mul_f64 v[14:15], v[6:7], v[14:15]
	s_waitcnt vmcnt(58)
	v_fma_f64 v[74:75], v[2:3], v[16:17], -v[74:75]
	v_fma_f64 v[16:17], v[4:5], v[16:17], v[76:77]
	s_clause 0x2
	buffer_load_dword v81, off, s[0:3], 0 offset:636
	buffer_load_dword v77, off, s[0:3], 0 offset:612
	;; [unrolled: 1-line block ×3, first 2 shown]
	s_waitcnt vmcnt(59) lgkmcnt(0)
	v_mul_f64 v[163:164], v[10:11], v[18:19]
	v_mul_f64 v[18:19], v[12:13], v[18:19]
	s_waitcnt vmcnt(57)
	v_fma_f64 v[165:166], v[6:7], v[20:21], -v[83:84]
	ds_read_b128 v[2:5], v1 offset:1024
	v_fma_f64 v[14:15], v[8:9], v[20:21], v[14:15]
	buffer_load_dword v83, off, s[0:3], 0 offset:628
	ds_read_b128 v[6:9], v1 offset:1040
	v_add_f64 v[74:75], v[74:75], 0
	v_add_f64 v[16:17], v[16:17], 0
	s_waitcnt vmcnt(54) lgkmcnt(1)
	v_mul_f64 v[20:21], v[2:3], v[22:23]
	v_mul_f64 v[22:23], v[4:5], v[22:23]
	s_waitcnt vmcnt(52)
	v_fma_f64 v[18:19], v[10:11], v[28:29], -v[18:19]
	v_fma_f64 v[28:29], v[12:13], v[28:29], v[163:164]
	ds_read_b128 v[10:13], v1 offset:1056
	v_add_f64 v[74:75], v[74:75], v[165:166]
	v_add_f64 v[14:15], v[16:17], v[14:15]
	s_waitcnt vmcnt(51) lgkmcnt(1)
	v_mul_f64 v[16:17], v[6:7], v[24:25]
	v_mul_f64 v[24:25], v[8:9], v[24:25]
	s_waitcnt vmcnt(49)
	v_fma_f64 v[20:21], v[4:5], v[30:31], v[20:21]
	v_fma_f64 v[22:23], v[2:3], v[30:31], -v[22:23]
	v_add_f64 v[18:19], v[74:75], v[18:19]
	v_add_f64 v[14:15], v[14:15], v[28:29]
	s_clause 0x3
	buffer_load_dword v28, off, s[0:3], 0 offset:352
	buffer_load_dword v29, off, s[0:3], 0 offset:356
	;; [unrolled: 1-line block ×4, first 2 shown]
	s_waitcnt vmcnt(49) lgkmcnt(0)
	v_mul_f64 v[74:75], v[10:11], v[32:33]
	v_mul_f64 v[32:33], v[12:13], v[32:33]
	s_waitcnt vmcnt(48)
	v_fma_f64 v[24:25], v[6:7], v[26:27], -v[24:25]
	ds_read_b128 v[2:5], v1 offset:1072
	v_fma_f64 v[16:17], v[8:9], v[26:27], v[16:17]
	ds_read_b128 v[6:9], v1 offset:1088
	v_add_f64 v[18:19], v[18:19], v[22:23]
	v_add_f64 v[14:15], v[14:15], v[20:21]
	s_waitcnt vmcnt(47) lgkmcnt(1)
	v_mul_f64 v[22:23], v[4:5], v[34:35]
	s_waitcnt vmcnt(45)
	v_fma_f64 v[26:27], v[10:11], v[38:39], -v[32:33]
	v_mul_f64 v[20:21], v[2:3], v[34:35]
	s_waitcnt vmcnt(41) lgkmcnt(0)
	v_mul_f64 v[32:33], v[8:9], v[40:41]
	v_add_f64 v[18:19], v[18:19], v[24:25]
	v_fma_f64 v[24:25], v[12:13], v[38:39], v[74:75]
	v_add_f64 v[14:15], v[14:15], v[16:17]
	ds_read_b128 v[10:13], v1 offset:1104
	s_waitcnt vmcnt(40)
	v_fma_f64 v[22:23], v[2:3], v[36:37], -v[22:23]
	v_mul_f64 v[16:17], v[6:7], v[40:41]
	v_fma_f64 v[20:21], v[4:5], v[36:37], v[20:21]
	ds_read_b128 v[2:5], v1 offset:1120
	s_waitcnt vmcnt(37)
	v_fma_f64 v[32:33], v[6:7], v[46:47], -v[32:33]
	v_add_f64 v[18:19], v[18:19], v[26:27]
	s_waitcnt lgkmcnt(1)
	v_mul_f64 v[26:27], v[12:13], v[42:43]
	v_add_f64 v[14:15], v[14:15], v[24:25]
	v_mul_f64 v[24:25], v[10:11], v[42:43]
	v_fma_f64 v[16:17], v[8:9], v[46:47], v[16:17]
	ds_read_b128 v[6:9], v1 offset:1136
	v_add_f64 v[18:19], v[18:19], v[22:23]
	s_waitcnt vmcnt(33) lgkmcnt(1)
	v_mul_f64 v[22:23], v[4:5], v[48:49]
	v_add_f64 v[14:15], v[14:15], v[20:21]
	s_waitcnt vmcnt(32)
	v_fma_f64 v[26:27], v[10:11], v[44:45], -v[26:27]
	v_mul_f64 v[20:21], v[2:3], v[48:49]
	v_fma_f64 v[24:25], v[12:13], v[44:45], v[24:25]
	ds_read_b128 v[10:13], v1 offset:1152
	v_add_f64 v[18:19], v[18:19], v[32:33]
	s_waitcnt vmcnt(31) lgkmcnt(1)
	v_mul_f64 v[32:33], v[8:9], v[50:51]
	v_add_f64 v[14:15], v[14:15], v[16:17]
	s_waitcnt vmcnt(29)
	v_fma_f64 v[22:23], v[2:3], v[54:55], -v[22:23]
	;; [unrolled: 9-line block ×7, first 2 shown]
	v_mul_f64 v[20:21], v[2:3], v[78:79]
	v_fma_f64 v[12:13], v[12:13], v[70:71], v[24:25]
	v_add_f64 v[18:19], v[18:19], v[32:33]
	v_add_f64 v[14:15], v[14:15], v[16:17]
	s_waitcnt vmcnt(7) lgkmcnt(0)
	v_mul_f64 v[24:25], v[8:9], v[80:81]
	v_mul_f64 v[16:17], v[6:7], v[80:81]
	s_waitcnt vmcnt(5)
	v_fma_f64 v[2:3], v[2:3], v[76:77], -v[22:23]
	v_fma_f64 v[4:5], v[4:5], v[76:77], v[20:21]
	v_add_f64 v[10:11], v[18:19], v[10:11]
	v_add_f64 v[12:13], v[14:15], v[12:13]
	s_waitcnt vmcnt(4)
	v_fma_f64 v[6:7], v[6:7], v[82:83], -v[24:25]
	v_fma_f64 v[8:9], v[8:9], v[82:83], v[16:17]
	v_add_f64 v[2:3], v[10:11], v[2:3]
	v_add_f64 v[4:5], v[12:13], v[4:5]
	;; [unrolled: 1-line block ×4, first 2 shown]
	s_waitcnt vmcnt(2)
	v_add_f64 v[2:3], v[28:29], -v[2:3]
	s_waitcnt vmcnt(0)
	v_add_f64 v[4:5], v[30:31], -v[4:5]
	buffer_store_dword v3, off, s[0:3], 0 offset:356
	buffer_store_dword v2, off, s[0:3], 0 offset:352
	;; [unrolled: 1-line block ×4, first 2 shown]
	v_cmpx_lt_u32_e32 20, v0
	s_cbranch_execz .LBB38_207
; %bb.206:
	v_mov_b32_e32 v5, s30
	s_clause 0x3
	buffer_load_dword v2, v5, s[0:3], 0 offen
	buffer_load_dword v3, v5, s[0:3], 0 offen offset:4
	buffer_load_dword v4, v5, s[0:3], 0 offen offset:8
	;; [unrolled: 1-line block ×3, first 2 shown]
	buffer_store_dword v1, off, s[0:3], 0 offset:336
	buffer_store_dword v1, off, s[0:3], 0 offset:340
	;; [unrolled: 1-line block ×4, first 2 shown]
	s_waitcnt vmcnt(0)
	ds_write_b128 v61, v[2:5]
.LBB38_207:
	s_or_b32 exec_lo, exec_lo, s4
	s_waitcnt lgkmcnt(0)
	s_waitcnt_vscnt null, 0x0
	s_barrier
	buffer_gl0_inv
	s_clause 0x37
	buffer_load_dword v10, off, s[0:3], 0 offset:360
	buffer_load_dword v11, off, s[0:3], 0 offset:364
	;; [unrolled: 1-line block ×56, first 2 shown]
	ds_read_b128 v[2:5], v1 offset:960
	s_clause 0x2
	buffer_load_dword v69, off, s[0:3], 0 offset:588
	buffer_load_dword v73, off, s[0:3], 0 offset:564
	;; [unrolled: 1-line block ×3, first 2 shown]
	ds_read_b128 v[6:9], v1 offset:976
	s_clause 0x4
	buffer_load_dword v79, off, s[0:3], 0 offset:604
	buffer_load_dword v80, off, s[0:3], 0 offset:616
	;; [unrolled: 1-line block ×5, first 2 shown]
	s_mov_b32 s4, exec_lo
	s_waitcnt vmcnt(62) lgkmcnt(1)
	v_mul_f64 v[74:75], v[4:5], v[10:11]
	v_mul_f64 v[76:77], v[2:3], v[10:11]
	s_waitcnt vmcnt(60) lgkmcnt(0)
	v_mul_f64 v[83:84], v[8:9], v[14:15]
	ds_read_b128 v[10:13], v1 offset:992
	v_mul_f64 v[14:15], v[6:7], v[14:15]
	s_waitcnt vmcnt(58)
	v_fma_f64 v[74:75], v[2:3], v[16:17], -v[74:75]
	v_fma_f64 v[16:17], v[4:5], v[16:17], v[76:77]
	s_clause 0x2
	buffer_load_dword v81, off, s[0:3], 0 offset:620
	buffer_load_dword v77, off, s[0:3], 0 offset:596
	;; [unrolled: 1-line block ×3, first 2 shown]
	s_waitcnt vmcnt(59) lgkmcnt(0)
	v_mul_f64 v[163:164], v[10:11], v[18:19]
	v_mul_f64 v[18:19], v[12:13], v[18:19]
	s_waitcnt vmcnt(57)
	v_fma_f64 v[165:166], v[6:7], v[20:21], -v[83:84]
	ds_read_b128 v[2:5], v1 offset:1008
	v_fma_f64 v[14:15], v[8:9], v[20:21], v[14:15]
	s_clause 0x2
	buffer_load_dword v21, off, s[0:3], 0 offset:636
	buffer_load_dword v20, off, s[0:3], 0 offset:632
	;; [unrolled: 1-line block ×3, first 2 shown]
	ds_read_b128 v[6:9], v1 offset:1024
	v_add_f64 v[74:75], v[74:75], 0
	v_add_f64 v[16:17], v[16:17], 0
	s_waitcnt vmcnt(56) lgkmcnt(1)
	v_mul_f64 v[167:168], v[2:3], v[22:23]
	v_mul_f64 v[22:23], v[4:5], v[22:23]
	s_waitcnt vmcnt(54)
	v_fma_f64 v[18:19], v[10:11], v[28:29], -v[18:19]
	v_fma_f64 v[28:29], v[12:13], v[28:29], v[163:164]
	s_waitcnt vmcnt(53) lgkmcnt(0)
	v_mul_f64 v[163:164], v[6:7], v[24:25]
	v_mul_f64 v[24:25], v[8:9], v[24:25]
	v_add_f64 v[74:75], v[74:75], v[165:166]
	v_add_f64 v[14:15], v[16:17], v[14:15]
	s_clause 0x1
	buffer_load_dword v17, off, s[0:3], 0 offset:628
	buffer_load_dword v16, off, s[0:3], 0 offset:624
	ds_read_b128 v[10:13], v1 offset:1040
	s_waitcnt vmcnt(53)
	v_fma_f64 v[22:23], v[2:3], v[30:31], -v[22:23]
	v_fma_f64 v[30:31], v[4:5], v[30:31], v[167:168]
	ds_read_b128 v[2:5], v1 offset:1056
	s_waitcnt vmcnt(48)
	v_fma_f64 v[24:25], v[6:7], v[26:27], -v[24:25]
	v_add_f64 v[18:19], v[74:75], v[18:19]
	v_add_f64 v[14:15], v[14:15], v[28:29]
	s_waitcnt lgkmcnt(1)
	v_mul_f64 v[28:29], v[10:11], v[32:33]
	v_mul_f64 v[32:33], v[12:13], v[32:33]
	s_waitcnt vmcnt(47) lgkmcnt(0)
	v_mul_f64 v[74:75], v[2:3], v[34:35]
	v_mul_f64 v[34:35], v[4:5], v[34:35]
	v_add_f64 v[18:19], v[18:19], v[22:23]
	v_fma_f64 v[22:23], v[8:9], v[26:27], v[163:164]
	v_add_f64 v[14:15], v[14:15], v[30:31]
	s_clause 0x3
	buffer_load_dword v26, off, s[0:3], 0 offset:336
	buffer_load_dword v27, off, s[0:3], 0 offset:340
	;; [unrolled: 1-line block ×4, first 2 shown]
	s_waitcnt vmcnt(49)
	v_fma_f64 v[32:33], v[10:11], v[38:39], -v[32:33]
	ds_read_b128 v[6:9], v1 offset:1072
	s_waitcnt vmcnt(44)
	v_fma_f64 v[34:35], v[2:3], v[36:37], -v[34:35]
	v_add_f64 v[18:19], v[18:19], v[24:25]
	v_fma_f64 v[24:25], v[12:13], v[38:39], v[28:29]
	v_add_f64 v[14:15], v[14:15], v[22:23]
	ds_read_b128 v[10:13], v1 offset:1088
	s_waitcnt lgkmcnt(1)
	v_mul_f64 v[28:29], v[8:9], v[40:41]
	v_mul_f64 v[22:23], v[6:7], v[40:41]
	v_add_f64 v[18:19], v[18:19], v[32:33]
	v_fma_f64 v[32:33], v[4:5], v[36:37], v[74:75]
	v_add_f64 v[14:15], v[14:15], v[24:25]
	s_waitcnt vmcnt(43) lgkmcnt(0)
	v_mul_f64 v[36:37], v[12:13], v[42:43]
	s_waitcnt vmcnt(41)
	v_fma_f64 v[28:29], v[6:7], v[46:47], -v[28:29]
	ds_read_b128 v[2:5], v1 offset:1104
	v_mul_f64 v[24:25], v[10:11], v[42:43]
	v_fma_f64 v[22:23], v[8:9], v[46:47], v[22:23]
	ds_read_b128 v[6:9], v1 offset:1120
	v_add_f64 v[18:19], v[18:19], v[34:35]
	v_add_f64 v[14:15], v[14:15], v[32:33]
	s_waitcnt vmcnt(37) lgkmcnt(1)
	v_mul_f64 v[34:35], v[4:5], v[48:49]
	s_waitcnt vmcnt(36)
	v_fma_f64 v[36:37], v[10:11], v[44:45], -v[36:37]
	v_mul_f64 v[32:33], v[2:3], v[48:49]
	v_fma_f64 v[24:25], v[12:13], v[44:45], v[24:25]
	ds_read_b128 v[10:13], v1 offset:1136
	v_add_f64 v[18:19], v[18:19], v[28:29]
	s_waitcnt vmcnt(35) lgkmcnt(1)
	v_mul_f64 v[28:29], v[8:9], v[50:51]
	v_add_f64 v[14:15], v[14:15], v[22:23]
	s_waitcnt vmcnt(33)
	v_fma_f64 v[34:35], v[2:3], v[54:55], -v[34:35]
	v_mul_f64 v[22:23], v[6:7], v[50:51]
	v_fma_f64 v[32:33], v[4:5], v[54:55], v[32:33]
	ds_read_b128 v[2:5], v1 offset:1152
	v_add_f64 v[18:19], v[18:19], v[36:37]
	s_waitcnt vmcnt(29) lgkmcnt(1)
	v_mul_f64 v[36:37], v[12:13], v[56:57]
	v_add_f64 v[14:15], v[14:15], v[24:25]
	;; [unrolled: 9-line block ×6, first 2 shown]
	s_waitcnt vmcnt(12)
	v_fma_f64 v[36:37], v[10:11], v[70:71], -v[36:37]
	v_mul_f64 v[32:33], v[2:3], v[78:79]
	v_fma_f64 v[24:25], v[12:13], v[70:71], v[24:25]
	ds_read_b128 v[10:13], v1 offset:1232
	v_add_f64 v[18:19], v[18:19], v[28:29]
	v_add_f64 v[14:15], v[14:15], v[22:23]
	s_waitcnt vmcnt(11) lgkmcnt(1)
	v_mul_f64 v[28:29], v[8:9], v[80:81]
	v_mul_f64 v[22:23], v[6:7], v[80:81]
	s_waitcnt vmcnt(9)
	v_fma_f64 v[1:2], v[2:3], v[76:77], -v[34:35]
	v_fma_f64 v[3:4], v[4:5], v[76:77], v[32:33]
	v_add_f64 v[18:19], v[18:19], v[36:37]
	v_add_f64 v[14:15], v[14:15], v[24:25]
	s_waitcnt vmcnt(7) lgkmcnt(0)
	v_mul_f64 v[24:25], v[10:11], v[20:21]
	v_mul_f64 v[20:21], v[12:13], v[20:21]
	s_waitcnt vmcnt(6)
	v_fma_f64 v[5:6], v[6:7], v[82:83], -v[28:29]
	v_fma_f64 v[7:8], v[8:9], v[82:83], v[22:23]
	v_add_f64 v[1:2], v[18:19], v[1:2]
	v_add_f64 v[3:4], v[14:15], v[3:4]
	s_waitcnt vmcnt(4)
	v_fma_f64 v[9:10], v[10:11], v[16:17], -v[20:21]
	v_add_f64 v[1:2], v[1:2], v[5:6]
	v_fma_f64 v[5:6], v[12:13], v[16:17], v[24:25]
	v_add_f64 v[3:4], v[3:4], v[7:8]
	v_add_f64 v[1:2], v[1:2], v[9:10]
	;; [unrolled: 1-line block ×3, first 2 shown]
	s_waitcnt vmcnt(2)
	v_add_f64 v[1:2], v[26:27], -v[1:2]
	s_waitcnt vmcnt(0)
	v_add_f64 v[3:4], v[30:31], -v[3:4]
	buffer_store_dword v2, off, s[0:3], 0 offset:340
	buffer_store_dword v1, off, s[0:3], 0 offset:336
	;; [unrolled: 1-line block ×4, first 2 shown]
	v_cmpx_lt_u32_e32 19, v0
	s_cbranch_execz .LBB38_209
; %bb.208:
	v_mov_b32_e32 v4, s31
	v_mov_b32_e32 v5, 0
	s_clause 0x3
	buffer_load_dword v1, v4, s[0:3], 0 offen
	buffer_load_dword v2, v4, s[0:3], 0 offen offset:4
	buffer_load_dword v3, v4, s[0:3], 0 offen offset:8
	;; [unrolled: 1-line block ×3, first 2 shown]
	buffer_store_dword v5, off, s[0:3], 0 offset:320
	buffer_store_dword v5, off, s[0:3], 0 offset:324
	;; [unrolled: 1-line block ×4, first 2 shown]
	s_waitcnt vmcnt(0)
	ds_write_b128 v61, v[1:4]
.LBB38_209:
	s_or_b32 exec_lo, exec_lo, s4
	s_waitcnt lgkmcnt(0)
	s_waitcnt_vscnt null, 0x0
	s_barrier
	buffer_gl0_inv
	s_clause 0x37
	buffer_load_dword v10, off, s[0:3], 0 offset:344
	buffer_load_dword v11, off, s[0:3], 0 offset:348
	;; [unrolled: 1-line block ×56, first 2 shown]
	v_mov_b32_e32 v1, 0
	s_mov_b32 s4, exec_lo
	ds_read_b128 v[2:5], v1 offset:944
	s_clause 0x2
	buffer_load_dword v69, off, s[0:3], 0 offset:572
	buffer_load_dword v73, off, s[0:3], 0 offset:548
	;; [unrolled: 1-line block ×3, first 2 shown]
	ds_read_b128 v[6:9], v1 offset:960
	s_clause 0x4
	buffer_load_dword v79, off, s[0:3], 0 offset:588
	buffer_load_dword v80, off, s[0:3], 0 offset:600
	;; [unrolled: 1-line block ×5, first 2 shown]
	s_waitcnt vmcnt(62) lgkmcnt(1)
	v_mul_f64 v[74:75], v[4:5], v[10:11]
	v_mul_f64 v[76:77], v[2:3], v[10:11]
	s_waitcnt vmcnt(60) lgkmcnt(0)
	v_mul_f64 v[83:84], v[8:9], v[14:15]
	ds_read_b128 v[10:13], v1 offset:976
	v_mul_f64 v[14:15], v[6:7], v[14:15]
	s_waitcnt vmcnt(58)
	v_fma_f64 v[74:75], v[2:3], v[16:17], -v[74:75]
	v_fma_f64 v[16:17], v[4:5], v[16:17], v[76:77]
	s_clause 0x2
	buffer_load_dword v81, off, s[0:3], 0 offset:604
	buffer_load_dword v77, off, s[0:3], 0 offset:580
	;; [unrolled: 1-line block ×3, first 2 shown]
	s_waitcnt vmcnt(59) lgkmcnt(0)
	v_mul_f64 v[163:164], v[10:11], v[18:19]
	v_mul_f64 v[18:19], v[12:13], v[18:19]
	s_waitcnt vmcnt(57)
	v_fma_f64 v[165:166], v[6:7], v[20:21], -v[83:84]
	ds_read_b128 v[2:5], v1 offset:992
	v_fma_f64 v[14:15], v[8:9], v[20:21], v[14:15]
	s_clause 0x4
	buffer_load_dword v21, off, s[0:3], 0 offset:620
	buffer_load_dword v167, off, s[0:3], 0 offset:632
	buffer_load_dword v169, off, s[0:3], 0 offset:624
	buffer_load_dword v20, off, s[0:3], 0 offset:616
	buffer_load_dword v83, off, s[0:3], 0 offset:596
	ds_read_b128 v[6:9], v1 offset:1008
	v_add_f64 v[74:75], v[74:75], 0
	v_add_f64 v[16:17], v[16:17], 0
	s_waitcnt vmcnt(58) lgkmcnt(1)
	v_mul_f64 v[170:171], v[2:3], v[22:23]
	v_mul_f64 v[22:23], v[4:5], v[22:23]
	s_waitcnt vmcnt(56)
	v_fma_f64 v[18:19], v[10:11], v[28:29], -v[18:19]
	v_fma_f64 v[28:29], v[12:13], v[28:29], v[163:164]
	s_waitcnt vmcnt(55) lgkmcnt(0)
	v_mul_f64 v[163:164], v[6:7], v[24:25]
	v_mul_f64 v[24:25], v[8:9], v[24:25]
	v_add_f64 v[74:75], v[74:75], v[165:166]
	v_add_f64 v[14:15], v[16:17], v[14:15]
	s_clause 0x2
	buffer_load_dword v168, off, s[0:3], 0 offset:636
	buffer_load_dword v17, off, s[0:3], 0 offset:612
	;; [unrolled: 1-line block ×3, first 2 shown]
	ds_read_b128 v[10:13], v1 offset:1024
	s_waitcnt vmcnt(56)
	v_fma_f64 v[22:23], v[2:3], v[30:31], -v[22:23]
	v_fma_f64 v[30:31], v[4:5], v[30:31], v[170:171]
	buffer_load_dword v170, off, s[0:3], 0 offset:628
	ds_read_b128 v[2:5], v1 offset:1040
	s_waitcnt vmcnt(52)
	v_fma_f64 v[24:25], v[6:7], v[26:27], -v[24:25]
	v_add_f64 v[18:19], v[74:75], v[18:19]
	v_add_f64 v[14:15], v[14:15], v[28:29]
	s_waitcnt lgkmcnt(1)
	v_mul_f64 v[28:29], v[10:11], v[32:33]
	v_mul_f64 v[32:33], v[12:13], v[32:33]
	v_add_f64 v[18:19], v[18:19], v[22:23]
	v_fma_f64 v[22:23], v[8:9], v[26:27], v[163:164]
	v_add_f64 v[14:15], v[14:15], v[30:31]
	s_waitcnt vmcnt(51) lgkmcnt(0)
	v_mul_f64 v[30:31], v[4:5], v[34:35]
	s_waitcnt vmcnt(49)
	v_fma_f64 v[32:33], v[10:11], v[38:39], -v[32:33]
	ds_read_b128 v[6:9], v1 offset:1056
	v_mul_f64 v[26:27], v[2:3], v[34:35]
	v_add_f64 v[18:19], v[18:19], v[24:25]
	v_fma_f64 v[24:25], v[12:13], v[38:39], v[28:29]
	v_add_f64 v[14:15], v[14:15], v[22:23]
	s_clause 0x3
	buffer_load_dword v22, off, s[0:3], 0 offset:320
	buffer_load_dword v23, off, s[0:3], 0 offset:324
	;; [unrolled: 1-line block ×4, first 2 shown]
	s_waitcnt vmcnt(49) lgkmcnt(0)
	v_mul_f64 v[38:39], v[8:9], v[40:41]
	s_waitcnt vmcnt(48)
	v_fma_f64 v[30:31], v[2:3], v[36:37], -v[30:31]
	ds_read_b128 v[10:13], v1 offset:1072
	v_mul_f64 v[34:35], v[6:7], v[40:41]
	v_fma_f64 v[26:27], v[4:5], v[36:37], v[26:27]
	ds_read_b128 v[2:5], v1 offset:1088
	v_add_f64 v[18:19], v[18:19], v[32:33]
	v_add_f64 v[14:15], v[14:15], v[24:25]
	s_waitcnt vmcnt(47) lgkmcnt(1)
	v_mul_f64 v[32:33], v[12:13], v[42:43]
	s_waitcnt vmcnt(45)
	v_fma_f64 v[36:37], v[6:7], v[46:47], -v[38:39]
	v_mul_f64 v[24:25], v[10:11], v[42:43]
	v_add_f64 v[18:19], v[18:19], v[30:31]
	v_fma_f64 v[30:31], v[8:9], v[46:47], v[34:35]
	v_add_f64 v[14:15], v[14:15], v[26:27]
	s_waitcnt vmcnt(41) lgkmcnt(0)
	v_mul_f64 v[34:35], v[4:5], v[48:49]
	s_waitcnt vmcnt(40)
	v_fma_f64 v[32:33], v[10:11], v[44:45], -v[32:33]
	ds_read_b128 v[6:9], v1 offset:1104
	v_mul_f64 v[26:27], v[2:3], v[48:49]
	v_fma_f64 v[24:25], v[12:13], v[44:45], v[24:25]
	ds_read_b128 v[10:13], v1 offset:1120
	v_add_f64 v[18:19], v[18:19], v[36:37]
	v_add_f64 v[14:15], v[14:15], v[30:31]
	s_waitcnt vmcnt(39) lgkmcnt(1)
	v_mul_f64 v[36:37], v[8:9], v[50:51]
	s_waitcnt vmcnt(37)
	v_fma_f64 v[34:35], v[2:3], v[54:55], -v[34:35]
	v_mul_f64 v[30:31], v[6:7], v[50:51]
	v_fma_f64 v[26:27], v[4:5], v[54:55], v[26:27]
	ds_read_b128 v[2:5], v1 offset:1136
	v_add_f64 v[18:19], v[18:19], v[32:33]
	s_waitcnt vmcnt(33) lgkmcnt(1)
	v_mul_f64 v[32:33], v[12:13], v[56:57]
	v_add_f64 v[14:15], v[14:15], v[24:25]
	s_waitcnt vmcnt(32)
	v_fma_f64 v[36:37], v[6:7], v[52:53], -v[36:37]
	v_mul_f64 v[24:25], v[10:11], v[56:57]
	v_fma_f64 v[30:31], v[8:9], v[52:53], v[30:31]
	ds_read_b128 v[6:9], v1 offset:1152
	v_add_f64 v[18:19], v[18:19], v[34:35]
	s_waitcnt vmcnt(31) lgkmcnt(1)
	v_mul_f64 v[34:35], v[4:5], v[58:59]
	v_add_f64 v[14:15], v[14:15], v[26:27]
	;; [unrolled: 9-line block ×5, first 2 shown]
	s_waitcnt vmcnt(16)
	v_fma_f64 v[32:33], v[10:11], v[70:71], -v[32:33]
	v_mul_f64 v[26:27], v[2:3], v[78:79]
	v_fma_f64 v[24:25], v[12:13], v[70:71], v[24:25]
	ds_read_b128 v[10:13], v1 offset:1216
	v_add_f64 v[18:19], v[18:19], v[36:37]
	v_add_f64 v[14:15], v[14:15], v[30:31]
	s_waitcnt vmcnt(15) lgkmcnt(1)
	v_mul_f64 v[36:37], v[8:9], v[80:81]
	v_mul_f64 v[30:31], v[6:7], v[80:81]
	s_waitcnt vmcnt(13)
	v_fma_f64 v[34:35], v[2:3], v[76:77], -v[34:35]
	v_fma_f64 v[26:27], v[4:5], v[76:77], v[26:27]
	ds_read_b128 v[2:5], v1 offset:1232
	v_add_f64 v[18:19], v[18:19], v[32:33]
	v_add_f64 v[14:15], v[14:15], v[24:25]
	s_waitcnt vmcnt(9) lgkmcnt(1)
	v_mul_f64 v[24:25], v[10:11], v[20:21]
	v_mul_f64 v[20:21], v[12:13], v[20:21]
	s_waitcnt vmcnt(8)
	v_fma_f64 v[6:7], v[6:7], v[82:83], -v[36:37]
	v_fma_f64 v[8:9], v[8:9], v[82:83], v[30:31]
	v_add_f64 v[18:19], v[18:19], v[34:35]
	v_add_f64 v[14:15], v[14:15], v[26:27]
	s_waitcnt vmcnt(7) lgkmcnt(0)
	v_mul_f64 v[30:31], v[4:5], v[167:168]
	v_mul_f64 v[26:27], v[2:3], v[167:168]
	s_waitcnt vmcnt(5)
	v_fma_f64 v[10:11], v[10:11], v[16:17], -v[20:21]
	v_fma_f64 v[12:13], v[12:13], v[16:17], v[24:25]
	v_add_f64 v[6:7], v[18:19], v[6:7]
	v_add_f64 v[8:9], v[14:15], v[8:9]
	s_waitcnt vmcnt(4)
	v_fma_f64 v[2:3], v[2:3], v[169:170], -v[30:31]
	v_fma_f64 v[4:5], v[4:5], v[169:170], v[26:27]
	v_add_f64 v[6:7], v[6:7], v[10:11]
	v_add_f64 v[8:9], v[8:9], v[12:13]
	;; [unrolled: 1-line block ×4, first 2 shown]
	s_waitcnt vmcnt(2)
	v_add_f64 v[2:3], v[22:23], -v[2:3]
	s_waitcnt vmcnt(0)
	v_add_f64 v[4:5], v[28:29], -v[4:5]
	buffer_store_dword v3, off, s[0:3], 0 offset:324
	buffer_store_dword v2, off, s[0:3], 0 offset:320
	;; [unrolled: 1-line block ×4, first 2 shown]
	v_cmpx_lt_u32_e32 18, v0
	s_cbranch_execz .LBB38_211
; %bb.210:
	v_mov_b32_e32 v5, s33
	s_clause 0x3
	buffer_load_dword v2, v5, s[0:3], 0 offen
	buffer_load_dword v3, v5, s[0:3], 0 offen offset:4
	buffer_load_dword v4, v5, s[0:3], 0 offen offset:8
	;; [unrolled: 1-line block ×3, first 2 shown]
	buffer_store_dword v1, off, s[0:3], 0 offset:304
	buffer_store_dword v1, off, s[0:3], 0 offset:308
	;; [unrolled: 1-line block ×4, first 2 shown]
	s_waitcnt vmcnt(0)
	ds_write_b128 v61, v[2:5]
.LBB38_211:
	s_or_b32 exec_lo, exec_lo, s4
	s_waitcnt lgkmcnt(0)
	s_waitcnt_vscnt null, 0x0
	s_barrier
	buffer_gl0_inv
	s_clause 0x37
	buffer_load_dword v10, off, s[0:3], 0 offset:328
	buffer_load_dword v11, off, s[0:3], 0 offset:332
	;; [unrolled: 1-line block ×56, first 2 shown]
	ds_read_b128 v[2:5], v1 offset:928
	s_clause 0x2
	buffer_load_dword v69, off, s[0:3], 0 offset:556
	buffer_load_dword v73, off, s[0:3], 0 offset:532
	;; [unrolled: 1-line block ×3, first 2 shown]
	ds_read_b128 v[6:9], v1 offset:944
	s_clause 0x4
	buffer_load_dword v79, off, s[0:3], 0 offset:572
	buffer_load_dword v80, off, s[0:3], 0 offset:584
	;; [unrolled: 1-line block ×5, first 2 shown]
	s_mov_b32 s4, exec_lo
	s_waitcnt vmcnt(62) lgkmcnt(1)
	v_mul_f64 v[74:75], v[4:5], v[10:11]
	v_mul_f64 v[76:77], v[2:3], v[10:11]
	s_waitcnt vmcnt(60) lgkmcnt(0)
	v_mul_f64 v[83:84], v[8:9], v[14:15]
	ds_read_b128 v[10:13], v1 offset:960
	v_mul_f64 v[14:15], v[6:7], v[14:15]
	s_waitcnt vmcnt(58)
	v_fma_f64 v[74:75], v[2:3], v[16:17], -v[74:75]
	v_fma_f64 v[16:17], v[4:5], v[16:17], v[76:77]
	s_clause 0x2
	buffer_load_dword v81, off, s[0:3], 0 offset:588
	buffer_load_dword v77, off, s[0:3], 0 offset:564
	;; [unrolled: 1-line block ×3, first 2 shown]
	s_waitcnt vmcnt(59) lgkmcnt(0)
	v_mul_f64 v[163:164], v[10:11], v[18:19]
	v_mul_f64 v[18:19], v[12:13], v[18:19]
	s_waitcnt vmcnt(57)
	v_fma_f64 v[165:166], v[6:7], v[20:21], -v[83:84]
	ds_read_b128 v[2:5], v1 offset:976
	v_fma_f64 v[14:15], v[8:9], v[20:21], v[14:15]
	s_clause 0x4
	buffer_load_dword v21, off, s[0:3], 0 offset:604
	buffer_load_dword v167, off, s[0:3], 0 offset:616
	;; [unrolled: 1-line block ×5, first 2 shown]
	ds_read_b128 v[6:9], v1 offset:992
	v_add_f64 v[74:75], v[74:75], 0
	v_add_f64 v[16:17], v[16:17], 0
	s_waitcnt vmcnt(58) lgkmcnt(1)
	v_mul_f64 v[170:171], v[2:3], v[22:23]
	v_mul_f64 v[22:23], v[4:5], v[22:23]
	s_waitcnt vmcnt(56)
	v_fma_f64 v[18:19], v[10:11], v[28:29], -v[18:19]
	v_fma_f64 v[28:29], v[12:13], v[28:29], v[163:164]
	s_waitcnt vmcnt(55) lgkmcnt(0)
	v_mul_f64 v[163:164], v[6:7], v[24:25]
	v_mul_f64 v[24:25], v[8:9], v[24:25]
	v_add_f64 v[74:75], v[74:75], v[165:166]
	v_add_f64 v[14:15], v[16:17], v[14:15]
	s_clause 0x2
	buffer_load_dword v168, off, s[0:3], 0 offset:620
	buffer_load_dword v17, off, s[0:3], 0 offset:596
	buffer_load_dword v16, off, s[0:3], 0 offset:592
	ds_read_b128 v[10:13], v1 offset:1008
	s_waitcnt vmcnt(56)
	v_fma_f64 v[22:23], v[2:3], v[30:31], -v[22:23]
	v_fma_f64 v[30:31], v[4:5], v[30:31], v[170:171]
	s_waitcnt vmcnt(51)
	v_fma_f64 v[24:25], v[6:7], v[26:27], -v[24:25]
	v_add_f64 v[18:19], v[74:75], v[18:19]
	v_add_f64 v[14:15], v[14:15], v[28:29]
	s_clause 0x2
	buffer_load_dword v29, off, s[0:3], 0 offset:636
	buffer_load_dword v28, off, s[0:3], 0 offset:632
	;; [unrolled: 1-line block ×3, first 2 shown]
	s_waitcnt lgkmcnt(0)
	v_mul_f64 v[74:75], v[10:11], v[32:33]
	v_mul_f64 v[32:33], v[12:13], v[32:33]
	ds_read_b128 v[2:5], v1 offset:1024
	v_add_f64 v[18:19], v[18:19], v[22:23]
	v_fma_f64 v[22:23], v[8:9], v[26:27], v[163:164]
	v_add_f64 v[14:15], v[14:15], v[30:31]
	s_clause 0x1
	buffer_load_dword v27, off, s[0:3], 0 offset:628
	buffer_load_dword v26, off, s[0:3], 0 offset:624
	s_waitcnt vmcnt(55) lgkmcnt(0)
	v_mul_f64 v[30:31], v[2:3], v[34:35]
	v_mul_f64 v[34:35], v[4:5], v[34:35]
	s_waitcnt vmcnt(53)
	v_fma_f64 v[32:33], v[10:11], v[38:39], -v[32:33]
	ds_read_b128 v[6:9], v1 offset:1040
	v_add_f64 v[18:19], v[18:19], v[24:25]
	v_fma_f64 v[24:25], v[12:13], v[38:39], v[74:75]
	v_add_f64 v[14:15], v[14:15], v[22:23]
	ds_read_b128 v[10:13], v1 offset:1056
	s_waitcnt vmcnt(48)
	v_fma_f64 v[30:31], v[4:5], v[36:37], v[30:31]
	s_waitcnt lgkmcnt(1)
	v_mul_f64 v[38:39], v[8:9], v[40:41]
	v_fma_f64 v[34:35], v[2:3], v[36:37], -v[34:35]
	v_mul_f64 v[22:23], v[6:7], v[40:41]
	v_add_f64 v[18:19], v[18:19], v[32:33]
	s_waitcnt vmcnt(47) lgkmcnt(0)
	v_mul_f64 v[40:41], v[12:13], v[42:43]
	v_add_f64 v[14:15], v[14:15], v[24:25]
	s_clause 0x3
	buffer_load_dword v24, off, s[0:3], 0 offset:304
	buffer_load_dword v25, off, s[0:3], 0 offset:308
	buffer_load_dword v32, off, s[0:3], 0 offset:312
	buffer_load_dword v33, off, s[0:3], 0 offset:316
	ds_read_b128 v[2:5], v1 offset:1072
	s_waitcnt vmcnt(49)
	v_fma_f64 v[38:39], v[6:7], v[46:47], -v[38:39]
	v_mul_f64 v[36:37], v[10:11], v[42:43]
	v_fma_f64 v[22:23], v[8:9], v[46:47], v[22:23]
	ds_read_b128 v[6:9], v1 offset:1088
	v_add_f64 v[18:19], v[18:19], v[34:35]
	s_waitcnt vmcnt(44)
	v_fma_f64 v[40:41], v[10:11], v[44:45], -v[40:41]
	v_add_f64 v[14:15], v[14:15], v[30:31]
	s_waitcnt lgkmcnt(1)
	v_mul_f64 v[34:35], v[4:5], v[48:49]
	v_mul_f64 v[30:31], v[2:3], v[48:49]
	v_fma_f64 v[36:37], v[12:13], v[44:45], v[36:37]
	ds_read_b128 v[10:13], v1 offset:1104
	v_add_f64 v[18:19], v[18:19], v[38:39]
	s_waitcnt vmcnt(43) lgkmcnt(1)
	v_mul_f64 v[38:39], v[8:9], v[50:51]
	v_add_f64 v[14:15], v[14:15], v[22:23]
	s_waitcnt vmcnt(41)
	v_fma_f64 v[34:35], v[2:3], v[54:55], -v[34:35]
	v_mul_f64 v[22:23], v[6:7], v[50:51]
	v_fma_f64 v[30:31], v[4:5], v[54:55], v[30:31]
	ds_read_b128 v[2:5], v1 offset:1120
	v_add_f64 v[18:19], v[18:19], v[40:41]
	s_waitcnt vmcnt(37) lgkmcnt(1)
	v_mul_f64 v[40:41], v[12:13], v[56:57]
	v_add_f64 v[14:15], v[14:15], v[36:37]
	s_waitcnt vmcnt(36)
	v_fma_f64 v[38:39], v[6:7], v[52:53], -v[38:39]
	;; [unrolled: 9-line block ×6, first 2 shown]
	v_mul_f64 v[30:31], v[2:3], v[78:79]
	v_fma_f64 v[36:37], v[12:13], v[70:71], v[36:37]
	ds_read_b128 v[10:13], v1 offset:1200
	v_add_f64 v[18:19], v[18:19], v[38:39]
	v_add_f64 v[14:15], v[14:15], v[22:23]
	s_waitcnt vmcnt(19) lgkmcnt(1)
	v_mul_f64 v[38:39], v[8:9], v[80:81]
	v_mul_f64 v[22:23], v[6:7], v[80:81]
	s_waitcnt vmcnt(17)
	v_fma_f64 v[34:35], v[2:3], v[76:77], -v[34:35]
	v_fma_f64 v[30:31], v[4:5], v[76:77], v[30:31]
	ds_read_b128 v[2:5], v1 offset:1216
	v_add_f64 v[18:19], v[18:19], v[40:41]
	v_add_f64 v[14:15], v[14:15], v[36:37]
	s_waitcnt vmcnt(13) lgkmcnt(1)
	v_mul_f64 v[36:37], v[10:11], v[20:21]
	v_mul_f64 v[20:21], v[12:13], v[20:21]
	s_waitcnt vmcnt(12)
	v_fma_f64 v[38:39], v[6:7], v[82:83], -v[38:39]
	;; [unrolled: 9-line block ×3, first 2 shown]
	v_fma_f64 v[12:13], v[12:13], v[16:17], v[36:37]
	v_add_f64 v[18:19], v[18:19], v[38:39]
	v_add_f64 v[14:15], v[14:15], v[22:23]
	s_waitcnt vmcnt(7) lgkmcnt(0)
	v_mul_f64 v[20:21], v[8:9], v[28:29]
	s_waitcnt vmcnt(6)
	v_fma_f64 v[1:2], v[2:3], v[169:170], -v[34:35]
	v_mul_f64 v[16:17], v[6:7], v[28:29]
	v_fma_f64 v[3:4], v[4:5], v[169:170], v[30:31]
	v_add_f64 v[10:11], v[18:19], v[10:11]
	v_add_f64 v[12:13], v[14:15], v[12:13]
	s_waitcnt vmcnt(4)
	v_fma_f64 v[5:6], v[6:7], v[26:27], -v[20:21]
	v_fma_f64 v[7:8], v[8:9], v[26:27], v[16:17]
	v_add_f64 v[1:2], v[10:11], v[1:2]
	v_add_f64 v[3:4], v[12:13], v[3:4]
	;; [unrolled: 1-line block ×4, first 2 shown]
	s_waitcnt vmcnt(2)
	v_add_f64 v[1:2], v[24:25], -v[1:2]
	s_waitcnt vmcnt(0)
	v_add_f64 v[3:4], v[32:33], -v[3:4]
	buffer_store_dword v2, off, s[0:3], 0 offset:308
	buffer_store_dword v1, off, s[0:3], 0 offset:304
	;; [unrolled: 1-line block ×4, first 2 shown]
	v_cmpx_lt_u32_e32 17, v0
	s_cbranch_execz .LBB38_213
; %bb.212:
	v_mov_b32_e32 v4, s34
	v_mov_b32_e32 v5, 0
	s_clause 0x3
	buffer_load_dword v1, v4, s[0:3], 0 offen
	buffer_load_dword v2, v4, s[0:3], 0 offen offset:4
	buffer_load_dword v3, v4, s[0:3], 0 offen offset:8
	;; [unrolled: 1-line block ×3, first 2 shown]
	buffer_store_dword v5, off, s[0:3], 0 offset:288
	buffer_store_dword v5, off, s[0:3], 0 offset:292
	;; [unrolled: 1-line block ×4, first 2 shown]
	s_waitcnt vmcnt(0)
	ds_write_b128 v61, v[1:4]
.LBB38_213:
	s_or_b32 exec_lo, exec_lo, s4
	s_waitcnt lgkmcnt(0)
	s_waitcnt_vscnt null, 0x0
	s_barrier
	buffer_gl0_inv
	s_clause 0x37
	buffer_load_dword v10, off, s[0:3], 0 offset:312
	buffer_load_dword v11, off, s[0:3], 0 offset:316
	;; [unrolled: 1-line block ×56, first 2 shown]
	v_mov_b32_e32 v1, 0
	s_mov_b32 s4, exec_lo
	ds_read_b128 v[2:5], v1 offset:912
	s_clause 0x2
	buffer_load_dword v69, off, s[0:3], 0 offset:540
	buffer_load_dword v73, off, s[0:3], 0 offset:516
	;; [unrolled: 1-line block ×3, first 2 shown]
	ds_read_b128 v[6:9], v1 offset:928
	s_clause 0x4
	buffer_load_dword v79, off, s[0:3], 0 offset:556
	buffer_load_dword v80, off, s[0:3], 0 offset:568
	;; [unrolled: 1-line block ×5, first 2 shown]
	s_waitcnt vmcnt(62) lgkmcnt(1)
	v_mul_f64 v[74:75], v[4:5], v[10:11]
	v_mul_f64 v[76:77], v[2:3], v[10:11]
	s_waitcnt vmcnt(60) lgkmcnt(0)
	v_mul_f64 v[83:84], v[8:9], v[14:15]
	ds_read_b128 v[10:13], v1 offset:944
	v_mul_f64 v[14:15], v[6:7], v[14:15]
	s_waitcnt vmcnt(58)
	v_fma_f64 v[74:75], v[2:3], v[16:17], -v[74:75]
	v_fma_f64 v[16:17], v[4:5], v[16:17], v[76:77]
	s_clause 0x2
	buffer_load_dword v81, off, s[0:3], 0 offset:572
	buffer_load_dword v77, off, s[0:3], 0 offset:548
	;; [unrolled: 1-line block ×3, first 2 shown]
	s_waitcnt vmcnt(59) lgkmcnt(0)
	v_mul_f64 v[163:164], v[10:11], v[18:19]
	v_mul_f64 v[18:19], v[12:13], v[18:19]
	s_waitcnt vmcnt(57)
	v_fma_f64 v[165:166], v[6:7], v[20:21], -v[83:84]
	ds_read_b128 v[2:5], v1 offset:960
	v_fma_f64 v[14:15], v[8:9], v[20:21], v[14:15]
	s_clause 0x4
	buffer_load_dword v21, off, s[0:3], 0 offset:588
	buffer_load_dword v167, off, s[0:3], 0 offset:600
	;; [unrolled: 1-line block ×5, first 2 shown]
	ds_read_b128 v[6:9], v1 offset:976
	v_add_f64 v[74:75], v[74:75], 0
	v_add_f64 v[16:17], v[16:17], 0
	s_waitcnt vmcnt(58) lgkmcnt(1)
	v_mul_f64 v[170:171], v[2:3], v[22:23]
	v_mul_f64 v[22:23], v[4:5], v[22:23]
	s_waitcnt vmcnt(56)
	v_fma_f64 v[18:19], v[10:11], v[28:29], -v[18:19]
	v_fma_f64 v[28:29], v[12:13], v[28:29], v[163:164]
	s_waitcnt vmcnt(55) lgkmcnt(0)
	v_mul_f64 v[163:164], v[6:7], v[24:25]
	v_mul_f64 v[24:25], v[8:9], v[24:25]
	v_add_f64 v[74:75], v[74:75], v[165:166]
	v_add_f64 v[14:15], v[16:17], v[14:15]
	s_clause 0x2
	buffer_load_dword v168, off, s[0:3], 0 offset:604
	buffer_load_dword v17, off, s[0:3], 0 offset:580
	;; [unrolled: 1-line block ×3, first 2 shown]
	ds_read_b128 v[10:13], v1 offset:992
	s_waitcnt vmcnt(56)
	v_fma_f64 v[22:23], v[2:3], v[30:31], -v[22:23]
	v_fma_f64 v[30:31], v[4:5], v[30:31], v[170:171]
	s_waitcnt vmcnt(51)
	v_fma_f64 v[24:25], v[6:7], v[26:27], -v[24:25]
	v_add_f64 v[18:19], v[74:75], v[18:19]
	v_add_f64 v[14:15], v[14:15], v[28:29]
	s_clause 0x4
	buffer_load_dword v29, off, s[0:3], 0 offset:620
	buffer_load_dword v74, off, s[0:3], 0 offset:632
	;; [unrolled: 1-line block ×5, first 2 shown]
	s_waitcnt lgkmcnt(0)
	v_mul_f64 v[171:172], v[10:11], v[32:33]
	v_mul_f64 v[32:33], v[12:13], v[32:33]
	ds_read_b128 v[2:5], v1 offset:1008
	v_add_f64 v[18:19], v[18:19], v[22:23]
	v_fma_f64 v[22:23], v[8:9], v[26:27], v[163:164]
	v_add_f64 v[14:15], v[14:15], v[30:31]
	s_clause 0x2
	buffer_load_dword v75, off, s[0:3], 0 offset:636
	buffer_load_dword v27, off, s[0:3], 0 offset:612
	buffer_load_dword v26, off, s[0:3], 0 offset:608
	s_waitcnt vmcnt(58) lgkmcnt(0)
	v_mul_f64 v[30:31], v[2:3], v[34:35]
	v_mul_f64 v[34:35], v[4:5], v[34:35]
	s_waitcnt vmcnt(56)
	v_fma_f64 v[32:33], v[10:11], v[38:39], -v[32:33]
	ds_read_b128 v[6:9], v1 offset:1024
	buffer_load_dword v166, off, s[0:3], 0 offset:628
	v_add_f64 v[18:19], v[18:19], v[24:25]
	v_fma_f64 v[24:25], v[12:13], v[38:39], v[171:172]
	v_add_f64 v[14:15], v[14:15], v[22:23]
	ds_read_b128 v[10:13], v1 offset:1040
	s_waitcnt vmcnt(52)
	v_fma_f64 v[30:31], v[4:5], v[36:37], v[30:31]
	s_waitcnt lgkmcnt(1)
	v_mul_f64 v[38:39], v[8:9], v[40:41]
	v_fma_f64 v[34:35], v[2:3], v[36:37], -v[34:35]
	v_mul_f64 v[22:23], v[6:7], v[40:41]
	ds_read_b128 v[2:5], v1 offset:1056
	v_add_f64 v[18:19], v[18:19], v[32:33]
	s_waitcnt vmcnt(51) lgkmcnt(1)
	v_mul_f64 v[32:33], v[12:13], v[42:43]
	v_add_f64 v[14:15], v[14:15], v[24:25]
	v_mul_f64 v[24:25], v[10:11], v[42:43]
	s_waitcnt vmcnt(49)
	v_fma_f64 v[36:37], v[6:7], v[46:47], -v[38:39]
	s_waitcnt vmcnt(45) lgkmcnt(0)
	v_mul_f64 v[40:41], v[4:5], v[48:49]
	v_fma_f64 v[22:23], v[8:9], v[46:47], v[22:23]
	v_mul_f64 v[38:39], v[2:3], v[48:49]
	v_add_f64 v[18:19], v[18:19], v[34:35]
	s_waitcnt vmcnt(44)
	v_fma_f64 v[32:33], v[10:11], v[44:45], -v[32:33]
	v_add_f64 v[14:15], v[14:15], v[30:31]
	s_clause 0x3
	buffer_load_dword v30, off, s[0:3], 0 offset:288
	buffer_load_dword v31, off, s[0:3], 0 offset:292
	buffer_load_dword v34, off, s[0:3], 0 offset:296
	buffer_load_dword v35, off, s[0:3], 0 offset:300
	ds_read_b128 v[6:9], v1 offset:1072
	v_fma_f64 v[24:25], v[12:13], v[44:45], v[24:25]
	ds_read_b128 v[10:13], v1 offset:1088
	s_waitcnt vmcnt(45)
	v_fma_f64 v[40:41], v[2:3], v[54:55], -v[40:41]
	v_add_f64 v[18:19], v[18:19], v[36:37]
	v_add_f64 v[14:15], v[14:15], v[22:23]
	s_waitcnt lgkmcnt(1)
	v_mul_f64 v[36:37], v[8:9], v[50:51]
	v_mul_f64 v[22:23], v[6:7], v[50:51]
	v_add_f64 v[18:19], v[18:19], v[32:33]
	v_fma_f64 v[32:33], v[4:5], v[54:55], v[38:39]
	v_add_f64 v[14:15], v[14:15], v[24:25]
	s_waitcnt vmcnt(41) lgkmcnt(0)
	v_mul_f64 v[38:39], v[12:13], v[56:57]
	s_waitcnt vmcnt(40)
	v_fma_f64 v[36:37], v[6:7], v[52:53], -v[36:37]
	ds_read_b128 v[2:5], v1 offset:1104
	v_mul_f64 v[24:25], v[10:11], v[56:57]
	v_fma_f64 v[22:23], v[8:9], v[52:53], v[22:23]
	ds_read_b128 v[6:9], v1 offset:1120
	v_add_f64 v[18:19], v[18:19], v[40:41]
	v_add_f64 v[14:15], v[14:15], v[32:33]
	s_waitcnt vmcnt(39) lgkmcnt(1)
	v_mul_f64 v[40:41], v[4:5], v[58:59]
	s_waitcnt vmcnt(37)
	v_fma_f64 v[38:39], v[10:11], v[64:65], -v[38:39]
	v_mul_f64 v[32:33], v[2:3], v[58:59]
	v_fma_f64 v[24:25], v[12:13], v[64:65], v[24:25]
	ds_read_b128 v[10:13], v1 offset:1136
	v_add_f64 v[18:19], v[18:19], v[36:37]
	s_waitcnt vmcnt(33) lgkmcnt(1)
	v_mul_f64 v[36:37], v[8:9], v[66:67]
	v_add_f64 v[14:15], v[14:15], v[22:23]
	s_waitcnt vmcnt(32)
	v_fma_f64 v[40:41], v[2:3], v[62:63], -v[40:41]
	v_mul_f64 v[22:23], v[6:7], v[66:67]
	v_fma_f64 v[32:33], v[4:5], v[62:63], v[32:33]
	ds_read_b128 v[2:5], v1 offset:1152
	v_add_f64 v[18:19], v[18:19], v[38:39]
	s_waitcnt vmcnt(31) lgkmcnt(1)
	v_mul_f64 v[38:39], v[12:13], v[68:69]
	v_add_f64 v[14:15], v[14:15], v[24:25]
	;; [unrolled: 9-line block ×3, first 2 shown]
	s_waitcnt vmcnt(24)
	v_fma_f64 v[38:39], v[10:11], v[70:71], -v[38:39]
	v_mul_f64 v[32:33], v[2:3], v[78:79]
	v_fma_f64 v[24:25], v[12:13], v[70:71], v[24:25]
	ds_read_b128 v[10:13], v1 offset:1184
	v_add_f64 v[18:19], v[18:19], v[36:37]
	v_add_f64 v[14:15], v[14:15], v[22:23]
	s_waitcnt vmcnt(23) lgkmcnt(1)
	v_mul_f64 v[36:37], v[8:9], v[80:81]
	v_mul_f64 v[22:23], v[6:7], v[80:81]
	s_waitcnt vmcnt(21)
	v_fma_f64 v[40:41], v[2:3], v[76:77], -v[40:41]
	v_fma_f64 v[32:33], v[4:5], v[76:77], v[32:33]
	ds_read_b128 v[2:5], v1 offset:1200
	v_add_f64 v[18:19], v[18:19], v[38:39]
	v_add_f64 v[14:15], v[14:15], v[24:25]
	s_waitcnt vmcnt(17) lgkmcnt(1)
	v_mul_f64 v[24:25], v[10:11], v[20:21]
	v_mul_f64 v[20:21], v[12:13], v[20:21]
	s_waitcnt vmcnt(16)
	v_fma_f64 v[36:37], v[6:7], v[82:83], -v[36:37]
	v_fma_f64 v[22:23], v[8:9], v[82:83], v[22:23]
	ds_read_b128 v[6:9], v1 offset:1216
	v_add_f64 v[18:19], v[18:19], v[40:41]
	v_add_f64 v[14:15], v[14:15], v[32:33]
	s_waitcnt vmcnt(15) lgkmcnt(1)
	v_mul_f64 v[38:39], v[4:5], v[167:168]
	v_mul_f64 v[32:33], v[2:3], v[167:168]
	s_waitcnt vmcnt(13)
	v_fma_f64 v[20:21], v[10:11], v[16:17], -v[20:21]
	v_fma_f64 v[16:17], v[12:13], v[16:17], v[24:25]
	ds_read_b128 v[10:13], v1 offset:1232
	v_add_f64 v[18:19], v[18:19], v[36:37]
	v_add_f64 v[14:15], v[14:15], v[22:23]
	s_waitcnt vmcnt(9) lgkmcnt(1)
	v_mul_f64 v[24:25], v[8:9], v[28:29]
	s_waitcnt vmcnt(8)
	v_fma_f64 v[2:3], v[2:3], v[169:170], -v[38:39]
	v_mul_f64 v[22:23], v[6:7], v[28:29]
	v_fma_f64 v[4:5], v[4:5], v[169:170], v[32:33]
	v_add_f64 v[18:19], v[18:19], v[20:21]
	v_add_f64 v[14:15], v[14:15], v[16:17]
	s_waitcnt vmcnt(7) lgkmcnt(0)
	v_mul_f64 v[20:21], v[12:13], v[74:75]
	v_mul_f64 v[16:17], v[10:11], v[74:75]
	s_waitcnt vmcnt(5)
	v_fma_f64 v[6:7], v[6:7], v[26:27], -v[24:25]
	v_fma_f64 v[8:9], v[8:9], v[26:27], v[22:23]
	v_add_f64 v[2:3], v[18:19], v[2:3]
	v_add_f64 v[4:5], v[14:15], v[4:5]
	s_waitcnt vmcnt(4)
	v_fma_f64 v[10:11], v[10:11], v[165:166], -v[20:21]
	v_add_f64 v[2:3], v[2:3], v[6:7]
	v_fma_f64 v[6:7], v[12:13], v[165:166], v[16:17]
	v_add_f64 v[4:5], v[4:5], v[8:9]
	v_add_f64 v[2:3], v[2:3], v[10:11]
	v_add_f64 v[4:5], v[4:5], v[6:7]
	s_waitcnt vmcnt(2)
	v_add_f64 v[2:3], v[30:31], -v[2:3]
	s_waitcnt vmcnt(0)
	v_add_f64 v[4:5], v[34:35], -v[4:5]
	buffer_store_dword v3, off, s[0:3], 0 offset:292
	buffer_store_dword v2, off, s[0:3], 0 offset:288
	;; [unrolled: 1-line block ×4, first 2 shown]
	v_cmpx_lt_u32_e32 16, v0
	s_cbranch_execz .LBB38_215
; %bb.214:
	v_mov_b32_e32 v5, s35
	s_clause 0x3
	buffer_load_dword v2, v5, s[0:3], 0 offen
	buffer_load_dword v3, v5, s[0:3], 0 offen offset:4
	buffer_load_dword v4, v5, s[0:3], 0 offen offset:8
	;; [unrolled: 1-line block ×3, first 2 shown]
	buffer_store_dword v1, off, s[0:3], 0 offset:272
	buffer_store_dword v1, off, s[0:3], 0 offset:276
	;; [unrolled: 1-line block ×4, first 2 shown]
	s_waitcnt vmcnt(0)
	ds_write_b128 v61, v[2:5]
.LBB38_215:
	s_or_b32 exec_lo, exec_lo, s4
	s_waitcnt lgkmcnt(0)
	s_waitcnt_vscnt null, 0x0
	s_barrier
	buffer_gl0_inv
	s_clause 0x37
	buffer_load_dword v10, off, s[0:3], 0 offset:296
	buffer_load_dword v11, off, s[0:3], 0 offset:300
	;; [unrolled: 1-line block ×56, first 2 shown]
	ds_read_b128 v[2:5], v1 offset:896
	s_clause 0x2
	buffer_load_dword v69, off, s[0:3], 0 offset:524
	buffer_load_dword v73, off, s[0:3], 0 offset:500
	;; [unrolled: 1-line block ×3, first 2 shown]
	ds_read_b128 v[6:9], v1 offset:912
	s_clause 0x4
	buffer_load_dword v79, off, s[0:3], 0 offset:540
	buffer_load_dword v80, off, s[0:3], 0 offset:552
	;; [unrolled: 1-line block ×5, first 2 shown]
	s_mov_b32 s4, exec_lo
	s_waitcnt vmcnt(62) lgkmcnt(1)
	v_mul_f64 v[74:75], v[4:5], v[10:11]
	v_mul_f64 v[76:77], v[2:3], v[10:11]
	s_waitcnt vmcnt(60) lgkmcnt(0)
	v_mul_f64 v[83:84], v[8:9], v[14:15]
	ds_read_b128 v[10:13], v1 offset:928
	v_mul_f64 v[14:15], v[6:7], v[14:15]
	s_waitcnt vmcnt(58)
	v_fma_f64 v[74:75], v[2:3], v[16:17], -v[74:75]
	v_fma_f64 v[16:17], v[4:5], v[16:17], v[76:77]
	s_clause 0x2
	buffer_load_dword v81, off, s[0:3], 0 offset:556
	buffer_load_dword v77, off, s[0:3], 0 offset:532
	;; [unrolled: 1-line block ×3, first 2 shown]
	s_waitcnt vmcnt(59) lgkmcnt(0)
	v_mul_f64 v[163:164], v[10:11], v[18:19]
	v_mul_f64 v[18:19], v[12:13], v[18:19]
	s_waitcnt vmcnt(57)
	v_fma_f64 v[165:166], v[6:7], v[20:21], -v[83:84]
	ds_read_b128 v[2:5], v1 offset:944
	v_fma_f64 v[14:15], v[8:9], v[20:21], v[14:15]
	s_clause 0x4
	buffer_load_dword v21, off, s[0:3], 0 offset:572
	buffer_load_dword v167, off, s[0:3], 0 offset:584
	;; [unrolled: 1-line block ×5, first 2 shown]
	ds_read_b128 v[6:9], v1 offset:960
	v_add_f64 v[74:75], v[74:75], 0
	v_add_f64 v[16:17], v[16:17], 0
	s_waitcnt vmcnt(58) lgkmcnt(1)
	v_mul_f64 v[170:171], v[2:3], v[22:23]
	v_mul_f64 v[22:23], v[4:5], v[22:23]
	s_waitcnt vmcnt(56)
	v_fma_f64 v[18:19], v[10:11], v[28:29], -v[18:19]
	v_fma_f64 v[28:29], v[12:13], v[28:29], v[163:164]
	s_waitcnt vmcnt(55) lgkmcnt(0)
	v_mul_f64 v[163:164], v[6:7], v[24:25]
	v_mul_f64 v[24:25], v[8:9], v[24:25]
	v_add_f64 v[74:75], v[74:75], v[165:166]
	v_add_f64 v[14:15], v[16:17], v[14:15]
	s_clause 0x2
	buffer_load_dword v168, off, s[0:3], 0 offset:588
	buffer_load_dword v17, off, s[0:3], 0 offset:564
	;; [unrolled: 1-line block ×3, first 2 shown]
	ds_read_b128 v[10:13], v1 offset:976
	s_waitcnt vmcnt(56)
	v_fma_f64 v[22:23], v[2:3], v[30:31], -v[22:23]
	v_fma_f64 v[30:31], v[4:5], v[30:31], v[170:171]
	s_waitcnt vmcnt(51)
	v_fma_f64 v[24:25], v[6:7], v[26:27], -v[24:25]
	v_add_f64 v[18:19], v[74:75], v[18:19]
	v_add_f64 v[14:15], v[14:15], v[28:29]
	s_clause 0x4
	buffer_load_dword v29, off, s[0:3], 0 offset:604
	buffer_load_dword v74, off, s[0:3], 0 offset:616
	;; [unrolled: 1-line block ×5, first 2 shown]
	s_waitcnt lgkmcnt(0)
	v_mul_f64 v[171:172], v[10:11], v[32:33]
	v_mul_f64 v[32:33], v[12:13], v[32:33]
	ds_read_b128 v[2:5], v1 offset:992
	v_add_f64 v[18:19], v[18:19], v[22:23]
	v_fma_f64 v[22:23], v[8:9], v[26:27], v[163:164]
	v_add_f64 v[14:15], v[14:15], v[30:31]
	s_clause 0x2
	buffer_load_dword v75, off, s[0:3], 0 offset:620
	buffer_load_dword v27, off, s[0:3], 0 offset:596
	;; [unrolled: 1-line block ×3, first 2 shown]
	s_waitcnt vmcnt(58) lgkmcnt(0)
	v_mul_f64 v[30:31], v[2:3], v[34:35]
	v_mul_f64 v[34:35], v[4:5], v[34:35]
	s_waitcnt vmcnt(56)
	v_fma_f64 v[32:33], v[10:11], v[38:39], -v[32:33]
	ds_read_b128 v[6:9], v1 offset:1008
	v_add_f64 v[18:19], v[18:19], v[24:25]
	v_fma_f64 v[24:25], v[12:13], v[38:39], v[171:172]
	v_add_f64 v[14:15], v[14:15], v[22:23]
	s_clause 0x2
	buffer_load_dword v23, off, s[0:3], 0 offset:636
	buffer_load_dword v22, off, s[0:3], 0 offset:632
	;; [unrolled: 1-line block ×3, first 2 shown]
	ds_read_b128 v[10:13], v1 offset:1024
	s_waitcnt vmcnt(55) lgkmcnt(1)
	v_mul_f64 v[38:39], v[6:7], v[40:41]
	v_mul_f64 v[40:41], v[8:9], v[40:41]
	s_waitcnt vmcnt(54)
	v_fma_f64 v[34:35], v[2:3], v[36:37], -v[34:35]
	v_fma_f64 v[30:31], v[4:5], v[36:37], v[30:31]
	v_add_f64 v[18:19], v[18:19], v[32:33]
	v_add_f64 v[14:15], v[14:15], v[24:25]
	s_clause 0x1
	buffer_load_dword v25, off, s[0:3], 0 offset:628
	buffer_load_dword v24, off, s[0:3], 0 offset:624
	s_waitcnt vmcnt(55) lgkmcnt(0)
	v_mul_f64 v[36:37], v[12:13], v[42:43]
	ds_read_b128 v[2:5], v1 offset:1040
	s_waitcnt vmcnt(53)
	v_fma_f64 v[40:41], v[6:7], v[46:47], -v[40:41]
	v_mul_f64 v[32:33], v[10:11], v[42:43]
	v_add_f64 v[18:19], v[18:19], v[34:35]
	v_fma_f64 v[34:35], v[8:9], v[46:47], v[38:39]
	v_add_f64 v[14:15], v[14:15], v[30:31]
	ds_read_b128 v[6:9], v1 offset:1056
	s_waitcnt vmcnt(49) lgkmcnt(1)
	v_mul_f64 v[38:39], v[4:5], v[48:49]
	s_waitcnt vmcnt(48)
	v_fma_f64 v[36:37], v[10:11], v[44:45], -v[36:37]
	v_mul_f64 v[30:31], v[2:3], v[48:49]
	v_fma_f64 v[32:33], v[12:13], v[44:45], v[32:33]
	v_add_f64 v[18:19], v[18:19], v[40:41]
	s_waitcnt vmcnt(47) lgkmcnt(0)
	v_mul_f64 v[44:45], v[8:9], v[50:51]
	v_add_f64 v[14:15], v[14:15], v[34:35]
	s_clause 0x3
	buffer_load_dword v34, off, s[0:3], 0 offset:272
	buffer_load_dword v35, off, s[0:3], 0 offset:276
	;; [unrolled: 1-line block ×4, first 2 shown]
	s_waitcnt vmcnt(49)
	v_fma_f64 v[38:39], v[2:3], v[54:55], -v[38:39]
	ds_read_b128 v[10:13], v1 offset:1072
	v_mul_f64 v[42:43], v[6:7], v[50:51]
	v_fma_f64 v[30:31], v[4:5], v[54:55], v[30:31]
	ds_read_b128 v[2:5], v1 offset:1088
	v_add_f64 v[18:19], v[18:19], v[36:37]
	s_waitcnt vmcnt(44)
	v_fma_f64 v[44:45], v[6:7], v[52:53], -v[44:45]
	v_add_f64 v[14:15], v[14:15], v[32:33]
	s_waitcnt lgkmcnt(1)
	v_mul_f64 v[36:37], v[12:13], v[56:57]
	v_mul_f64 v[32:33], v[10:11], v[56:57]
	v_add_f64 v[18:19], v[18:19], v[38:39]
	v_fma_f64 v[38:39], v[8:9], v[52:53], v[42:43]
	v_add_f64 v[14:15], v[14:15], v[30:31]
	s_waitcnt vmcnt(43) lgkmcnt(0)
	v_mul_f64 v[42:43], v[4:5], v[58:59]
	s_waitcnt vmcnt(41)
	v_fma_f64 v[36:37], v[10:11], v[64:65], -v[36:37]
	ds_read_b128 v[6:9], v1 offset:1104
	v_mul_f64 v[30:31], v[2:3], v[58:59]
	v_fma_f64 v[32:33], v[12:13], v[64:65], v[32:33]
	ds_read_b128 v[10:13], v1 offset:1120
	v_add_f64 v[18:19], v[18:19], v[44:45]
	v_add_f64 v[14:15], v[14:15], v[38:39]
	s_waitcnt vmcnt(37) lgkmcnt(1)
	v_mul_f64 v[44:45], v[8:9], v[66:67]
	s_waitcnt vmcnt(36)
	v_fma_f64 v[42:43], v[2:3], v[62:63], -v[42:43]
	v_mul_f64 v[38:39], v[6:7], v[66:67]
	v_fma_f64 v[30:31], v[4:5], v[62:63], v[30:31]
	ds_read_b128 v[2:5], v1 offset:1136
	v_add_f64 v[18:19], v[18:19], v[36:37]
	s_waitcnt vmcnt(35) lgkmcnt(1)
	v_mul_f64 v[36:37], v[12:13], v[68:69]
	v_add_f64 v[14:15], v[14:15], v[32:33]
	s_waitcnt vmcnt(33)
	v_fma_f64 v[44:45], v[6:7], v[72:73], -v[44:45]
	v_mul_f64 v[32:33], v[10:11], v[68:69]
	v_fma_f64 v[38:39], v[8:9], v[72:73], v[38:39]
	ds_read_b128 v[6:9], v1 offset:1152
	v_add_f64 v[18:19], v[18:19], v[42:43]
	s_waitcnt vmcnt(29) lgkmcnt(1)
	v_mul_f64 v[42:43], v[4:5], v[78:79]
	v_add_f64 v[14:15], v[14:15], v[30:31]
	s_waitcnt vmcnt(28)
	v_fma_f64 v[36:37], v[10:11], v[70:71], -v[36:37]
	v_mul_f64 v[30:31], v[2:3], v[78:79]
	v_fma_f64 v[32:33], v[12:13], v[70:71], v[32:33]
	ds_read_b128 v[10:13], v1 offset:1168
	v_add_f64 v[18:19], v[18:19], v[44:45]
	v_add_f64 v[14:15], v[14:15], v[38:39]
	s_waitcnt vmcnt(27) lgkmcnt(1)
	v_mul_f64 v[44:45], v[8:9], v[80:81]
	v_mul_f64 v[38:39], v[6:7], v[80:81]
	s_waitcnt vmcnt(25)
	v_fma_f64 v[42:43], v[2:3], v[76:77], -v[42:43]
	v_fma_f64 v[30:31], v[4:5], v[76:77], v[30:31]
	ds_read_b128 v[2:5], v1 offset:1184
	v_add_f64 v[18:19], v[18:19], v[36:37]
	v_add_f64 v[14:15], v[14:15], v[32:33]
	s_waitcnt vmcnt(21) lgkmcnt(1)
	v_mul_f64 v[32:33], v[10:11], v[20:21]
	v_mul_f64 v[20:21], v[12:13], v[20:21]
	s_waitcnt vmcnt(20)
	v_fma_f64 v[36:37], v[6:7], v[82:83], -v[44:45]
	;; [unrolled: 9-line block ×4, first 2 shown]
	v_add_f64 v[18:19], v[18:19], v[20:21]
	v_fma_f64 v[20:21], v[4:5], v[169:170], v[30:31]
	v_add_f64 v[14:15], v[14:15], v[16:17]
	ds_read_b128 v[1:4], v1 offset:1232
	s_waitcnt vmcnt(11) lgkmcnt(1)
	v_mul_f64 v[30:31], v[12:13], v[74:75]
	v_mul_f64 v[16:17], v[10:11], v[74:75]
	s_waitcnt vmcnt(9)
	v_fma_f64 v[5:6], v[6:7], v[26:27], -v[28:29]
	v_fma_f64 v[7:8], v[8:9], v[26:27], v[32:33]
	v_add_f64 v[18:19], v[18:19], v[36:37]
	v_add_f64 v[14:15], v[14:15], v[20:21]
	s_waitcnt vmcnt(7) lgkmcnt(0)
	v_mul_f64 v[20:21], v[1:2], v[22:23]
	v_mul_f64 v[22:23], v[3:4], v[22:23]
	s_waitcnt vmcnt(6)
	v_fma_f64 v[9:10], v[10:11], v[165:166], -v[30:31]
	v_fma_f64 v[11:12], v[12:13], v[165:166], v[16:17]
	v_add_f64 v[5:6], v[18:19], v[5:6]
	v_add_f64 v[7:8], v[14:15], v[7:8]
	s_waitcnt vmcnt(4)
	v_fma_f64 v[1:2], v[1:2], v[24:25], -v[22:23]
	v_fma_f64 v[3:4], v[3:4], v[24:25], v[20:21]
	v_add_f64 v[5:6], v[5:6], v[9:10]
	v_add_f64 v[7:8], v[7:8], v[11:12]
	;; [unrolled: 1-line block ×4, first 2 shown]
	s_waitcnt vmcnt(2)
	v_add_f64 v[1:2], v[34:35], -v[1:2]
	s_waitcnt vmcnt(0)
	v_add_f64 v[3:4], v[40:41], -v[3:4]
	buffer_store_dword v2, off, s[0:3], 0 offset:276
	buffer_store_dword v1, off, s[0:3], 0 offset:272
	;; [unrolled: 1-line block ×4, first 2 shown]
	v_cmpx_lt_u32_e32 15, v0
	s_cbranch_execz .LBB38_217
; %bb.216:
	v_mov_b32_e32 v4, s36
	v_mov_b32_e32 v5, 0
	s_clause 0x3
	buffer_load_dword v1, v4, s[0:3], 0 offen
	buffer_load_dword v2, v4, s[0:3], 0 offen offset:4
	buffer_load_dword v3, v4, s[0:3], 0 offen offset:8
	;; [unrolled: 1-line block ×3, first 2 shown]
	buffer_store_dword v5, off, s[0:3], 0 offset:256
	buffer_store_dword v5, off, s[0:3], 0 offset:260
	;; [unrolled: 1-line block ×4, first 2 shown]
	s_waitcnt vmcnt(0)
	ds_write_b128 v61, v[1:4]
.LBB38_217:
	s_or_b32 exec_lo, exec_lo, s4
	s_waitcnt lgkmcnt(0)
	s_waitcnt_vscnt null, 0x0
	s_barrier
	buffer_gl0_inv
	s_clause 0x37
	buffer_load_dword v10, off, s[0:3], 0 offset:280
	buffer_load_dword v11, off, s[0:3], 0 offset:284
	;; [unrolled: 1-line block ×56, first 2 shown]
	v_mov_b32_e32 v1, 0
	s_mov_b32 s4, exec_lo
	ds_read_b128 v[2:5], v1 offset:880
	s_clause 0x2
	buffer_load_dword v69, off, s[0:3], 0 offset:508
	buffer_load_dword v73, off, s[0:3], 0 offset:484
	;; [unrolled: 1-line block ×3, first 2 shown]
	ds_read_b128 v[6:9], v1 offset:896
	s_clause 0x4
	buffer_load_dword v79, off, s[0:3], 0 offset:524
	buffer_load_dword v80, off, s[0:3], 0 offset:536
	;; [unrolled: 1-line block ×5, first 2 shown]
	s_waitcnt vmcnt(62) lgkmcnt(1)
	v_mul_f64 v[74:75], v[4:5], v[10:11]
	v_mul_f64 v[76:77], v[2:3], v[10:11]
	s_waitcnt vmcnt(60) lgkmcnt(0)
	v_mul_f64 v[83:84], v[8:9], v[14:15]
	ds_read_b128 v[10:13], v1 offset:912
	v_mul_f64 v[14:15], v[6:7], v[14:15]
	s_waitcnt vmcnt(58)
	v_fma_f64 v[74:75], v[2:3], v[16:17], -v[74:75]
	v_fma_f64 v[16:17], v[4:5], v[16:17], v[76:77]
	s_clause 0x2
	buffer_load_dword v81, off, s[0:3], 0 offset:540
	buffer_load_dword v77, off, s[0:3], 0 offset:516
	;; [unrolled: 1-line block ×3, first 2 shown]
	s_waitcnt vmcnt(59) lgkmcnt(0)
	v_mul_f64 v[163:164], v[10:11], v[18:19]
	v_mul_f64 v[18:19], v[12:13], v[18:19]
	s_waitcnt vmcnt(57)
	v_fma_f64 v[165:166], v[6:7], v[20:21], -v[83:84]
	ds_read_b128 v[2:5], v1 offset:928
	v_fma_f64 v[14:15], v[8:9], v[20:21], v[14:15]
	s_clause 0x4
	buffer_load_dword v21, off, s[0:3], 0 offset:556
	buffer_load_dword v167, off, s[0:3], 0 offset:568
	;; [unrolled: 1-line block ×5, first 2 shown]
	ds_read_b128 v[6:9], v1 offset:944
	v_add_f64 v[74:75], v[74:75], 0
	v_add_f64 v[16:17], v[16:17], 0
	s_waitcnt vmcnt(58) lgkmcnt(1)
	v_mul_f64 v[170:171], v[2:3], v[22:23]
	v_mul_f64 v[22:23], v[4:5], v[22:23]
	s_waitcnt vmcnt(56)
	v_fma_f64 v[18:19], v[10:11], v[28:29], -v[18:19]
	v_fma_f64 v[28:29], v[12:13], v[28:29], v[163:164]
	s_waitcnt vmcnt(55) lgkmcnt(0)
	v_mul_f64 v[163:164], v[6:7], v[24:25]
	v_mul_f64 v[24:25], v[8:9], v[24:25]
	v_add_f64 v[74:75], v[74:75], v[165:166]
	v_add_f64 v[14:15], v[16:17], v[14:15]
	s_clause 0x2
	buffer_load_dword v168, off, s[0:3], 0 offset:572
	buffer_load_dword v17, off, s[0:3], 0 offset:548
	;; [unrolled: 1-line block ×3, first 2 shown]
	ds_read_b128 v[10:13], v1 offset:960
	s_waitcnt vmcnt(56)
	v_fma_f64 v[22:23], v[2:3], v[30:31], -v[22:23]
	v_fma_f64 v[30:31], v[4:5], v[30:31], v[170:171]
	s_waitcnt vmcnt(51)
	v_fma_f64 v[24:25], v[6:7], v[26:27], -v[24:25]
	v_add_f64 v[18:19], v[74:75], v[18:19]
	v_add_f64 v[14:15], v[14:15], v[28:29]
	s_clause 0x4
	buffer_load_dword v29, off, s[0:3], 0 offset:588
	buffer_load_dword v74, off, s[0:3], 0 offset:600
	;; [unrolled: 1-line block ×5, first 2 shown]
	s_waitcnt lgkmcnt(0)
	v_mul_f64 v[171:172], v[10:11], v[32:33]
	v_mul_f64 v[32:33], v[12:13], v[32:33]
	ds_read_b128 v[2:5], v1 offset:976
	v_add_f64 v[18:19], v[18:19], v[22:23]
	v_fma_f64 v[22:23], v[8:9], v[26:27], v[163:164]
	v_add_f64 v[14:15], v[14:15], v[30:31]
	s_clause 0x2
	buffer_load_dword v75, off, s[0:3], 0 offset:604
	buffer_load_dword v27, off, s[0:3], 0 offset:580
	;; [unrolled: 1-line block ×3, first 2 shown]
	s_waitcnt vmcnt(58) lgkmcnt(0)
	v_mul_f64 v[30:31], v[2:3], v[34:35]
	v_mul_f64 v[34:35], v[4:5], v[34:35]
	s_waitcnt vmcnt(56)
	v_fma_f64 v[32:33], v[10:11], v[38:39], -v[32:33]
	ds_read_b128 v[6:9], v1 offset:992
	v_add_f64 v[18:19], v[18:19], v[24:25]
	v_fma_f64 v[24:25], v[12:13], v[38:39], v[171:172]
	v_add_f64 v[14:15], v[14:15], v[22:23]
	s_clause 0x4
	buffer_load_dword v23, off, s[0:3], 0 offset:620
	buffer_load_dword v38, off, s[0:3], 0 offset:632
	;; [unrolled: 1-line block ×5, first 2 shown]
	ds_read_b128 v[10:13], v1 offset:1008
	s_waitcnt vmcnt(57) lgkmcnt(1)
	v_mul_f64 v[171:172], v[6:7], v[40:41]
	v_mul_f64 v[40:41], v[8:9], v[40:41]
	s_waitcnt vmcnt(56)
	v_fma_f64 v[34:35], v[2:3], v[36:37], -v[34:35]
	v_fma_f64 v[30:31], v[4:5], v[36:37], v[30:31]
	v_add_f64 v[18:19], v[18:19], v[32:33]
	v_add_f64 v[14:15], v[14:15], v[24:25]
	s_clause 0x2
	buffer_load_dword v39, off, s[0:3], 0 offset:636
	buffer_load_dword v25, off, s[0:3], 0 offset:612
	;; [unrolled: 1-line block ×3, first 2 shown]
	s_waitcnt vmcnt(58) lgkmcnt(0)
	v_mul_f64 v[36:37], v[12:13], v[42:43]
	ds_read_b128 v[2:5], v1 offset:1024
	s_waitcnt vmcnt(56)
	v_fma_f64 v[40:41], v[6:7], v[46:47], -v[40:41]
	v_mul_f64 v[32:33], v[10:11], v[42:43]
	buffer_load_dword v164, off, s[0:3], 0 offset:628
	v_add_f64 v[18:19], v[18:19], v[34:35]
	v_fma_f64 v[34:35], v[8:9], v[46:47], v[171:172]
	v_add_f64 v[14:15], v[14:15], v[30:31]
	ds_read_b128 v[6:9], v1 offset:1040
	s_waitcnt vmcnt(53) lgkmcnt(1)
	v_mul_f64 v[42:43], v[4:5], v[48:49]
	s_waitcnt vmcnt(52)
	v_fma_f64 v[36:37], v[10:11], v[44:45], -v[36:37]
	v_mul_f64 v[30:31], v[2:3], v[48:49]
	v_fma_f64 v[32:33], v[12:13], v[44:45], v[32:33]
	ds_read_b128 v[10:13], v1 offset:1056
	v_add_f64 v[18:19], v[18:19], v[40:41]
	s_waitcnt vmcnt(51) lgkmcnt(1)
	v_mul_f64 v[40:41], v[8:9], v[50:51]
	v_add_f64 v[14:15], v[14:15], v[34:35]
	v_mul_f64 v[34:35], v[6:7], v[50:51]
	s_waitcnt vmcnt(49)
	v_fma_f64 v[42:43], v[2:3], v[54:55], -v[42:43]
	v_fma_f64 v[30:31], v[4:5], v[54:55], v[30:31]
	s_waitcnt vmcnt(45) lgkmcnt(0)
	v_mul_f64 v[46:47], v[12:13], v[56:57]
	v_mul_f64 v[44:45], v[10:11], v[56:57]
	v_add_f64 v[18:19], v[18:19], v[36:37]
	s_waitcnt vmcnt(44)
	v_fma_f64 v[40:41], v[6:7], v[52:53], -v[40:41]
	v_add_f64 v[14:15], v[14:15], v[32:33]
	s_clause 0x3
	buffer_load_dword v32, off, s[0:3], 0 offset:256
	buffer_load_dword v33, off, s[0:3], 0 offset:260
	;; [unrolled: 1-line block ×4, first 2 shown]
	ds_read_b128 v[2:5], v1 offset:1072
	v_fma_f64 v[34:35], v[8:9], v[52:53], v[34:35]
	ds_read_b128 v[6:9], v1 offset:1088
	s_waitcnt vmcnt(45)
	v_fma_f64 v[46:47], v[10:11], v[64:65], -v[46:47]
	v_add_f64 v[18:19], v[18:19], v[42:43]
	v_add_f64 v[14:15], v[14:15], v[30:31]
	s_waitcnt lgkmcnt(1)
	v_mul_f64 v[42:43], v[4:5], v[58:59]
	v_mul_f64 v[30:31], v[2:3], v[58:59]
	v_add_f64 v[18:19], v[18:19], v[40:41]
	v_fma_f64 v[40:41], v[12:13], v[64:65], v[44:45]
	v_add_f64 v[14:15], v[14:15], v[34:35]
	s_waitcnt vmcnt(41) lgkmcnt(0)
	v_mul_f64 v[44:45], v[8:9], v[66:67]
	s_waitcnt vmcnt(40)
	v_fma_f64 v[42:43], v[2:3], v[62:63], -v[42:43]
	ds_read_b128 v[10:13], v1 offset:1104
	v_mul_f64 v[34:35], v[6:7], v[66:67]
	v_fma_f64 v[30:31], v[4:5], v[62:63], v[30:31]
	ds_read_b128 v[2:5], v1 offset:1120
	v_add_f64 v[18:19], v[18:19], v[46:47]
	v_add_f64 v[14:15], v[14:15], v[40:41]
	s_waitcnt vmcnt(39) lgkmcnt(1)
	v_mul_f64 v[46:47], v[12:13], v[68:69]
	s_waitcnt vmcnt(37)
	v_fma_f64 v[44:45], v[6:7], v[72:73], -v[44:45]
	v_mul_f64 v[40:41], v[10:11], v[68:69]
	v_fma_f64 v[34:35], v[8:9], v[72:73], v[34:35]
	ds_read_b128 v[6:9], v1 offset:1136
	v_add_f64 v[18:19], v[18:19], v[42:43]
	s_waitcnt vmcnt(33) lgkmcnt(1)
	v_mul_f64 v[42:43], v[4:5], v[78:79]
	v_add_f64 v[14:15], v[14:15], v[30:31]
	s_waitcnt vmcnt(32)
	v_fma_f64 v[46:47], v[10:11], v[70:71], -v[46:47]
	v_mul_f64 v[30:31], v[2:3], v[78:79]
	v_fma_f64 v[40:41], v[12:13], v[70:71], v[40:41]
	ds_read_b128 v[10:13], v1 offset:1152
	v_add_f64 v[18:19], v[18:19], v[44:45]
	v_add_f64 v[14:15], v[14:15], v[34:35]
	s_waitcnt vmcnt(31) lgkmcnt(1)
	v_mul_f64 v[44:45], v[8:9], v[80:81]
	v_mul_f64 v[34:35], v[6:7], v[80:81]
	s_waitcnt vmcnt(29)
	v_fma_f64 v[42:43], v[2:3], v[76:77], -v[42:43]
	v_fma_f64 v[30:31], v[4:5], v[76:77], v[30:31]
	ds_read_b128 v[2:5], v1 offset:1168
	v_add_f64 v[18:19], v[18:19], v[46:47]
	v_add_f64 v[14:15], v[14:15], v[40:41]
	s_waitcnt vmcnt(25) lgkmcnt(1)
	v_mul_f64 v[40:41], v[10:11], v[20:21]
	v_mul_f64 v[20:21], v[12:13], v[20:21]
	s_waitcnt vmcnt(24)
	v_fma_f64 v[44:45], v[6:7], v[82:83], -v[44:45]
	;; [unrolled: 9-line block ×4, first 2 shown]
	v_add_f64 v[18:19], v[18:19], v[20:21]
	v_fma_f64 v[20:21], v[4:5], v[169:170], v[30:31]
	v_add_f64 v[14:15], v[14:15], v[16:17]
	ds_read_b128 v[2:5], v1 offset:1216
	s_waitcnt vmcnt(15) lgkmcnt(1)
	v_mul_f64 v[30:31], v[12:13], v[74:75]
	v_mul_f64 v[16:17], v[10:11], v[74:75]
	s_waitcnt vmcnt(13)
	v_fma_f64 v[28:29], v[6:7], v[26:27], -v[28:29]
	v_fma_f64 v[26:27], v[8:9], v[26:27], v[34:35]
	ds_read_b128 v[6:9], v1 offset:1232
	v_add_f64 v[18:19], v[18:19], v[40:41]
	v_add_f64 v[14:15], v[14:15], v[20:21]
	s_waitcnt vmcnt(9) lgkmcnt(1)
	v_mul_f64 v[20:21], v[2:3], v[22:23]
	v_mul_f64 v[22:23], v[4:5], v[22:23]
	s_waitcnt vmcnt(8)
	v_fma_f64 v[10:11], v[10:11], v[165:166], -v[30:31]
	v_fma_f64 v[12:13], v[12:13], v[165:166], v[16:17]
	v_add_f64 v[18:19], v[18:19], v[28:29]
	v_add_f64 v[14:15], v[14:15], v[26:27]
	s_waitcnt vmcnt(7) lgkmcnt(0)
	v_mul_f64 v[26:27], v[8:9], v[38:39]
	v_mul_f64 v[16:17], v[6:7], v[38:39]
	s_waitcnt vmcnt(5)
	v_fma_f64 v[2:3], v[2:3], v[24:25], -v[22:23]
	v_fma_f64 v[4:5], v[4:5], v[24:25], v[20:21]
	v_add_f64 v[10:11], v[18:19], v[10:11]
	v_add_f64 v[12:13], v[14:15], v[12:13]
	s_waitcnt vmcnt(4)
	v_fma_f64 v[6:7], v[6:7], v[163:164], -v[26:27]
	v_fma_f64 v[8:9], v[8:9], v[163:164], v[16:17]
	v_add_f64 v[2:3], v[10:11], v[2:3]
	v_add_f64 v[4:5], v[12:13], v[4:5]
	;; [unrolled: 1-line block ×4, first 2 shown]
	s_waitcnt vmcnt(2)
	v_add_f64 v[2:3], v[32:33], -v[2:3]
	s_waitcnt vmcnt(0)
	v_add_f64 v[4:5], v[36:37], -v[4:5]
	buffer_store_dword v3, off, s[0:3], 0 offset:260
	buffer_store_dword v2, off, s[0:3], 0 offset:256
	;; [unrolled: 1-line block ×4, first 2 shown]
	v_cmpx_lt_u32_e32 14, v0
	s_cbranch_execz .LBB38_219
; %bb.218:
	v_mov_b32_e32 v5, s37
	s_clause 0x3
	buffer_load_dword v2, v5, s[0:3], 0 offen
	buffer_load_dword v3, v5, s[0:3], 0 offen offset:4
	buffer_load_dword v4, v5, s[0:3], 0 offen offset:8
	;; [unrolled: 1-line block ×3, first 2 shown]
	buffer_store_dword v1, off, s[0:3], 0 offset:240
	buffer_store_dword v1, off, s[0:3], 0 offset:244
	;; [unrolled: 1-line block ×4, first 2 shown]
	s_waitcnt vmcnt(0)
	ds_write_b128 v61, v[2:5]
.LBB38_219:
	s_or_b32 exec_lo, exec_lo, s4
	s_waitcnt lgkmcnt(0)
	s_waitcnt_vscnt null, 0x0
	s_barrier
	buffer_gl0_inv
	s_clause 0x37
	buffer_load_dword v10, off, s[0:3], 0 offset:264
	buffer_load_dword v11, off, s[0:3], 0 offset:268
	;; [unrolled: 1-line block ×56, first 2 shown]
	ds_read_b128 v[2:5], v1 offset:864
	s_clause 0x2
	buffer_load_dword v69, off, s[0:3], 0 offset:492
	buffer_load_dword v73, off, s[0:3], 0 offset:468
	;; [unrolled: 1-line block ×3, first 2 shown]
	ds_read_b128 v[6:9], v1 offset:880
	s_clause 0x4
	buffer_load_dword v79, off, s[0:3], 0 offset:508
	buffer_load_dword v80, off, s[0:3], 0 offset:520
	;; [unrolled: 1-line block ×5, first 2 shown]
	s_mov_b32 s4, exec_lo
	s_waitcnt vmcnt(62) lgkmcnt(1)
	v_mul_f64 v[74:75], v[4:5], v[10:11]
	v_mul_f64 v[76:77], v[2:3], v[10:11]
	s_waitcnt vmcnt(60) lgkmcnt(0)
	v_mul_f64 v[83:84], v[8:9], v[14:15]
	ds_read_b128 v[10:13], v1 offset:896
	v_mul_f64 v[14:15], v[6:7], v[14:15]
	s_waitcnt vmcnt(58)
	v_fma_f64 v[74:75], v[2:3], v[16:17], -v[74:75]
	v_fma_f64 v[16:17], v[4:5], v[16:17], v[76:77]
	s_clause 0x2
	buffer_load_dword v81, off, s[0:3], 0 offset:524
	buffer_load_dword v77, off, s[0:3], 0 offset:500
	;; [unrolled: 1-line block ×3, first 2 shown]
	s_waitcnt vmcnt(59) lgkmcnt(0)
	v_mul_f64 v[163:164], v[10:11], v[18:19]
	v_mul_f64 v[18:19], v[12:13], v[18:19]
	s_waitcnt vmcnt(57)
	v_fma_f64 v[165:166], v[6:7], v[20:21], -v[83:84]
	ds_read_b128 v[2:5], v1 offset:912
	v_fma_f64 v[14:15], v[8:9], v[20:21], v[14:15]
	s_clause 0x4
	buffer_load_dword v21, off, s[0:3], 0 offset:540
	buffer_load_dword v167, off, s[0:3], 0 offset:552
	buffer_load_dword v169, off, s[0:3], 0 offset:544
	buffer_load_dword v20, off, s[0:3], 0 offset:536
	buffer_load_dword v83, off, s[0:3], 0 offset:516
	ds_read_b128 v[6:9], v1 offset:928
	v_add_f64 v[74:75], v[74:75], 0
	v_add_f64 v[16:17], v[16:17], 0
	s_waitcnt vmcnt(58) lgkmcnt(1)
	v_mul_f64 v[170:171], v[2:3], v[22:23]
	v_mul_f64 v[22:23], v[4:5], v[22:23]
	s_waitcnt vmcnt(56)
	v_fma_f64 v[18:19], v[10:11], v[28:29], -v[18:19]
	v_fma_f64 v[28:29], v[12:13], v[28:29], v[163:164]
	s_waitcnt vmcnt(55) lgkmcnt(0)
	v_mul_f64 v[163:164], v[6:7], v[24:25]
	v_mul_f64 v[24:25], v[8:9], v[24:25]
	v_add_f64 v[74:75], v[74:75], v[165:166]
	v_add_f64 v[14:15], v[16:17], v[14:15]
	s_clause 0x2
	buffer_load_dword v168, off, s[0:3], 0 offset:556
	buffer_load_dword v17, off, s[0:3], 0 offset:532
	buffer_load_dword v16, off, s[0:3], 0 offset:528
	ds_read_b128 v[10:13], v1 offset:944
	s_waitcnt vmcnt(56)
	v_fma_f64 v[22:23], v[2:3], v[30:31], -v[22:23]
	v_fma_f64 v[30:31], v[4:5], v[30:31], v[170:171]
	s_waitcnt vmcnt(51)
	v_fma_f64 v[24:25], v[6:7], v[26:27], -v[24:25]
	v_add_f64 v[18:19], v[74:75], v[18:19]
	v_add_f64 v[14:15], v[14:15], v[28:29]
	s_clause 0x4
	buffer_load_dword v29, off, s[0:3], 0 offset:572
	buffer_load_dword v74, off, s[0:3], 0 offset:584
	;; [unrolled: 1-line block ×5, first 2 shown]
	s_waitcnt lgkmcnt(0)
	v_mul_f64 v[171:172], v[10:11], v[32:33]
	v_mul_f64 v[32:33], v[12:13], v[32:33]
	ds_read_b128 v[2:5], v1 offset:960
	v_add_f64 v[18:19], v[18:19], v[22:23]
	v_fma_f64 v[22:23], v[8:9], v[26:27], v[163:164]
	v_add_f64 v[14:15], v[14:15], v[30:31]
	s_clause 0x2
	buffer_load_dword v75, off, s[0:3], 0 offset:588
	buffer_load_dword v27, off, s[0:3], 0 offset:564
	;; [unrolled: 1-line block ×3, first 2 shown]
	s_waitcnt vmcnt(58) lgkmcnt(0)
	v_mul_f64 v[30:31], v[2:3], v[34:35]
	v_mul_f64 v[34:35], v[4:5], v[34:35]
	s_waitcnt vmcnt(56)
	v_fma_f64 v[32:33], v[10:11], v[38:39], -v[32:33]
	ds_read_b128 v[6:9], v1 offset:976
	v_add_f64 v[18:19], v[18:19], v[24:25]
	v_fma_f64 v[24:25], v[12:13], v[38:39], v[171:172]
	v_add_f64 v[14:15], v[14:15], v[22:23]
	s_clause 0x4
	buffer_load_dword v23, off, s[0:3], 0 offset:604
	buffer_load_dword v38, off, s[0:3], 0 offset:616
	;; [unrolled: 1-line block ×5, first 2 shown]
	ds_read_b128 v[10:13], v1 offset:992
	s_waitcnt vmcnt(57) lgkmcnt(1)
	v_mul_f64 v[171:172], v[6:7], v[40:41]
	v_mul_f64 v[40:41], v[8:9], v[40:41]
	s_waitcnt vmcnt(56)
	v_fma_f64 v[34:35], v[2:3], v[36:37], -v[34:35]
	v_fma_f64 v[30:31], v[4:5], v[36:37], v[30:31]
	v_add_f64 v[18:19], v[18:19], v[32:33]
	v_add_f64 v[14:15], v[14:15], v[24:25]
	s_clause 0x2
	buffer_load_dword v39, off, s[0:3], 0 offset:620
	buffer_load_dword v25, off, s[0:3], 0 offset:596
	;; [unrolled: 1-line block ×3, first 2 shown]
	s_waitcnt vmcnt(58) lgkmcnt(0)
	v_mul_f64 v[36:37], v[12:13], v[42:43]
	ds_read_b128 v[2:5], v1 offset:1008
	s_waitcnt vmcnt(56)
	v_fma_f64 v[40:41], v[6:7], v[46:47], -v[40:41]
	v_mul_f64 v[32:33], v[10:11], v[42:43]
	v_add_f64 v[18:19], v[18:19], v[34:35]
	v_fma_f64 v[34:35], v[8:9], v[46:47], v[171:172]
	v_add_f64 v[14:15], v[14:15], v[30:31]
	s_clause 0x2
	buffer_load_dword v31, off, s[0:3], 0 offset:636
	buffer_load_dword v30, off, s[0:3], 0 offset:632
	;; [unrolled: 1-line block ×3, first 2 shown]
	s_waitcnt vmcnt(55) lgkmcnt(0)
	v_mul_f64 v[46:47], v[4:5], v[48:49]
	s_waitcnt vmcnt(54)
	v_fma_f64 v[36:37], v[10:11], v[44:45], -v[36:37]
	ds_read_b128 v[6:9], v1 offset:1024
	v_mul_f64 v[42:43], v[2:3], v[48:49]
	v_fma_f64 v[32:33], v[12:13], v[44:45], v[32:33]
	v_add_f64 v[18:19], v[18:19], v[40:41]
	v_add_f64 v[14:15], v[14:15], v[34:35]
	s_clause 0x1
	buffer_load_dword v35, off, s[0:3], 0 offset:628
	buffer_load_dword v34, off, s[0:3], 0 offset:624
	s_waitcnt vmcnt(55) lgkmcnt(0)
	v_mul_f64 v[44:45], v[8:9], v[50:51]
	s_waitcnt vmcnt(53)
	v_fma_f64 v[46:47], v[2:3], v[54:55], -v[46:47]
	ds_read_b128 v[10:13], v1 offset:1040
	v_mul_f64 v[40:41], v[6:7], v[50:51]
	v_add_f64 v[18:19], v[18:19], v[36:37]
	v_fma_f64 v[36:37], v[4:5], v[54:55], v[42:43]
	v_add_f64 v[14:15], v[14:15], v[32:33]
	ds_read_b128 v[2:5], v1 offset:1056
	s_waitcnt vmcnt(49) lgkmcnt(1)
	v_mul_f64 v[42:43], v[12:13], v[56:57]
	s_waitcnt vmcnt(48)
	v_fma_f64 v[44:45], v[6:7], v[52:53], -v[44:45]
	v_mul_f64 v[32:33], v[10:11], v[56:57]
	v_fma_f64 v[40:41], v[8:9], v[52:53], v[40:41]
	v_add_f64 v[18:19], v[18:19], v[46:47]
	s_waitcnt vmcnt(47) lgkmcnt(0)
	v_mul_f64 v[50:51], v[4:5], v[58:59]
	v_add_f64 v[14:15], v[14:15], v[36:37]
	s_clause 0x3
	buffer_load_dword v36, off, s[0:3], 0 offset:240
	buffer_load_dword v37, off, s[0:3], 0 offset:244
	buffer_load_dword v46, off, s[0:3], 0 offset:248
	buffer_load_dword v47, off, s[0:3], 0 offset:252
	s_waitcnt vmcnt(49)
	v_fma_f64 v[42:43], v[10:11], v[64:65], -v[42:43]
	ds_read_b128 v[6:9], v1 offset:1072
	v_mul_f64 v[48:49], v[2:3], v[58:59]
	v_fma_f64 v[32:33], v[12:13], v[64:65], v[32:33]
	ds_read_b128 v[10:13], v1 offset:1088
	v_add_f64 v[18:19], v[18:19], v[44:45]
	s_waitcnt vmcnt(44)
	v_fma_f64 v[50:51], v[2:3], v[62:63], -v[50:51]
	v_add_f64 v[14:15], v[14:15], v[40:41]
	s_waitcnt lgkmcnt(1)
	v_mul_f64 v[44:45], v[8:9], v[66:67]
	v_mul_f64 v[40:41], v[6:7], v[66:67]
	v_add_f64 v[18:19], v[18:19], v[42:43]
	v_fma_f64 v[42:43], v[4:5], v[62:63], v[48:49]
	v_add_f64 v[14:15], v[14:15], v[32:33]
	s_waitcnt vmcnt(43) lgkmcnt(0)
	v_mul_f64 v[48:49], v[12:13], v[68:69]
	s_waitcnt vmcnt(41)
	v_fma_f64 v[44:45], v[6:7], v[72:73], -v[44:45]
	ds_read_b128 v[2:5], v1 offset:1104
	v_mul_f64 v[32:33], v[10:11], v[68:69]
	v_fma_f64 v[40:41], v[8:9], v[72:73], v[40:41]
	ds_read_b128 v[6:9], v1 offset:1120
	v_add_f64 v[18:19], v[18:19], v[50:51]
	v_add_f64 v[14:15], v[14:15], v[42:43]
	s_waitcnt vmcnt(37) lgkmcnt(1)
	v_mul_f64 v[50:51], v[4:5], v[78:79]
	s_waitcnt vmcnt(36)
	v_fma_f64 v[48:49], v[10:11], v[70:71], -v[48:49]
	v_mul_f64 v[42:43], v[2:3], v[78:79]
	v_fma_f64 v[32:33], v[12:13], v[70:71], v[32:33]
	ds_read_b128 v[10:13], v1 offset:1136
	v_add_f64 v[18:19], v[18:19], v[44:45]
	v_add_f64 v[14:15], v[14:15], v[40:41]
	s_waitcnt vmcnt(35) lgkmcnt(1)
	v_mul_f64 v[44:45], v[8:9], v[80:81]
	v_mul_f64 v[40:41], v[6:7], v[80:81]
	s_waitcnt vmcnt(33)
	v_fma_f64 v[50:51], v[2:3], v[76:77], -v[50:51]
	v_fma_f64 v[42:43], v[4:5], v[76:77], v[42:43]
	ds_read_b128 v[2:5], v1 offset:1152
	v_add_f64 v[18:19], v[18:19], v[48:49]
	v_add_f64 v[14:15], v[14:15], v[32:33]
	s_waitcnt vmcnt(29) lgkmcnt(1)
	v_mul_f64 v[32:33], v[10:11], v[20:21]
	v_mul_f64 v[20:21], v[12:13], v[20:21]
	s_waitcnt vmcnt(28)
	v_fma_f64 v[44:45], v[6:7], v[82:83], -v[44:45]
	;; [unrolled: 9-line block ×4, first 2 shown]
	v_add_f64 v[18:19], v[18:19], v[20:21]
	v_fma_f64 v[20:21], v[4:5], v[169:170], v[42:43]
	v_add_f64 v[14:15], v[14:15], v[16:17]
	ds_read_b128 v[2:5], v1 offset:1200
	s_waitcnt vmcnt(19) lgkmcnt(1)
	v_mul_f64 v[42:43], v[12:13], v[74:75]
	v_mul_f64 v[16:17], v[10:11], v[74:75]
	s_waitcnt vmcnt(17)
	v_fma_f64 v[28:29], v[6:7], v[26:27], -v[28:29]
	v_fma_f64 v[26:27], v[8:9], v[26:27], v[32:33]
	ds_read_b128 v[6:9], v1 offset:1216
	v_add_f64 v[18:19], v[18:19], v[40:41]
	v_add_f64 v[14:15], v[14:15], v[20:21]
	s_waitcnt vmcnt(13) lgkmcnt(1)
	v_mul_f64 v[20:21], v[2:3], v[22:23]
	v_mul_f64 v[22:23], v[4:5], v[22:23]
	s_waitcnt vmcnt(12)
	v_fma_f64 v[32:33], v[10:11], v[165:166], -v[42:43]
	v_fma_f64 v[16:17], v[12:13], v[165:166], v[16:17]
	ds_read_b128 v[10:13], v1 offset:1232
	v_add_f64 v[18:19], v[18:19], v[28:29]
	v_add_f64 v[14:15], v[14:15], v[26:27]
	s_waitcnt vmcnt(11) lgkmcnt(1)
	v_mul_f64 v[28:29], v[8:9], v[38:39]
	v_mul_f64 v[26:27], v[6:7], v[38:39]
	s_waitcnt vmcnt(9)
	v_fma_f64 v[1:2], v[2:3], v[24:25], -v[22:23]
	v_fma_f64 v[3:4], v[4:5], v[24:25], v[20:21]
	v_add_f64 v[18:19], v[18:19], v[32:33]
	v_add_f64 v[14:15], v[14:15], v[16:17]
	s_waitcnt vmcnt(7) lgkmcnt(0)
	v_mul_f64 v[20:21], v[12:13], v[30:31]
	s_waitcnt vmcnt(6)
	v_fma_f64 v[5:6], v[6:7], v[163:164], -v[28:29]
	v_mul_f64 v[16:17], v[10:11], v[30:31]
	v_fma_f64 v[7:8], v[8:9], v[163:164], v[26:27]
	v_add_f64 v[1:2], v[18:19], v[1:2]
	v_add_f64 v[3:4], v[14:15], v[3:4]
	s_waitcnt vmcnt(4)
	v_fma_f64 v[9:10], v[10:11], v[34:35], -v[20:21]
	v_add_f64 v[1:2], v[1:2], v[5:6]
	v_fma_f64 v[5:6], v[12:13], v[34:35], v[16:17]
	v_add_f64 v[3:4], v[3:4], v[7:8]
	v_add_f64 v[1:2], v[1:2], v[9:10]
	;; [unrolled: 1-line block ×3, first 2 shown]
	s_waitcnt vmcnt(2)
	v_add_f64 v[1:2], v[36:37], -v[1:2]
	s_waitcnt vmcnt(0)
	v_add_f64 v[3:4], v[46:47], -v[3:4]
	buffer_store_dword v2, off, s[0:3], 0 offset:244
	buffer_store_dword v1, off, s[0:3], 0 offset:240
	;; [unrolled: 1-line block ×4, first 2 shown]
	v_cmpx_lt_u32_e32 13, v0
	s_cbranch_execz .LBB38_221
; %bb.220:
	v_mov_b32_e32 v4, s38
	v_mov_b32_e32 v5, 0
	s_clause 0x3
	buffer_load_dword v1, v4, s[0:3], 0 offen
	buffer_load_dword v2, v4, s[0:3], 0 offen offset:4
	buffer_load_dword v3, v4, s[0:3], 0 offen offset:8
	;; [unrolled: 1-line block ×3, first 2 shown]
	buffer_store_dword v5, off, s[0:3], 0 offset:224
	buffer_store_dword v5, off, s[0:3], 0 offset:228
	;; [unrolled: 1-line block ×4, first 2 shown]
	s_waitcnt vmcnt(0)
	ds_write_b128 v61, v[1:4]
.LBB38_221:
	s_or_b32 exec_lo, exec_lo, s4
	s_waitcnt lgkmcnt(0)
	s_waitcnt_vscnt null, 0x0
	s_barrier
	buffer_gl0_inv
	s_clause 0x37
	buffer_load_dword v10, off, s[0:3], 0 offset:248
	buffer_load_dword v11, off, s[0:3], 0 offset:252
	;; [unrolled: 1-line block ×56, first 2 shown]
	v_mov_b32_e32 v1, 0
	s_mov_b32 s4, exec_lo
	ds_read_b128 v[2:5], v1 offset:848
	s_clause 0x2
	buffer_load_dword v69, off, s[0:3], 0 offset:476
	buffer_load_dword v73, off, s[0:3], 0 offset:452
	;; [unrolled: 1-line block ×3, first 2 shown]
	ds_read_b128 v[6:9], v1 offset:864
	s_clause 0x4
	buffer_load_dword v79, off, s[0:3], 0 offset:492
	buffer_load_dword v80, off, s[0:3], 0 offset:504
	;; [unrolled: 1-line block ×5, first 2 shown]
	s_waitcnt vmcnt(62) lgkmcnt(1)
	v_mul_f64 v[74:75], v[4:5], v[10:11]
	v_mul_f64 v[76:77], v[2:3], v[10:11]
	s_waitcnt vmcnt(60) lgkmcnt(0)
	v_mul_f64 v[83:84], v[8:9], v[14:15]
	ds_read_b128 v[10:13], v1 offset:880
	v_mul_f64 v[14:15], v[6:7], v[14:15]
	s_waitcnt vmcnt(58)
	v_fma_f64 v[74:75], v[2:3], v[16:17], -v[74:75]
	v_fma_f64 v[16:17], v[4:5], v[16:17], v[76:77]
	s_clause 0x2
	buffer_load_dword v81, off, s[0:3], 0 offset:508
	buffer_load_dword v77, off, s[0:3], 0 offset:484
	;; [unrolled: 1-line block ×3, first 2 shown]
	s_waitcnt vmcnt(59) lgkmcnt(0)
	v_mul_f64 v[163:164], v[10:11], v[18:19]
	v_mul_f64 v[18:19], v[12:13], v[18:19]
	s_waitcnt vmcnt(57)
	v_fma_f64 v[165:166], v[6:7], v[20:21], -v[83:84]
	ds_read_b128 v[2:5], v1 offset:896
	v_fma_f64 v[14:15], v[8:9], v[20:21], v[14:15]
	s_clause 0x4
	buffer_load_dword v21, off, s[0:3], 0 offset:524
	buffer_load_dword v167, off, s[0:3], 0 offset:536
	;; [unrolled: 1-line block ×5, first 2 shown]
	ds_read_b128 v[6:9], v1 offset:912
	v_add_f64 v[74:75], v[74:75], 0
	v_add_f64 v[16:17], v[16:17], 0
	s_waitcnt vmcnt(58) lgkmcnt(1)
	v_mul_f64 v[170:171], v[2:3], v[22:23]
	v_mul_f64 v[22:23], v[4:5], v[22:23]
	s_waitcnt vmcnt(56)
	v_fma_f64 v[18:19], v[10:11], v[28:29], -v[18:19]
	v_fma_f64 v[28:29], v[12:13], v[28:29], v[163:164]
	s_waitcnt vmcnt(55) lgkmcnt(0)
	v_mul_f64 v[163:164], v[6:7], v[24:25]
	v_mul_f64 v[24:25], v[8:9], v[24:25]
	v_add_f64 v[74:75], v[74:75], v[165:166]
	v_add_f64 v[14:15], v[16:17], v[14:15]
	s_clause 0x2
	buffer_load_dword v168, off, s[0:3], 0 offset:540
	buffer_load_dword v17, off, s[0:3], 0 offset:516
	;; [unrolled: 1-line block ×3, first 2 shown]
	ds_read_b128 v[10:13], v1 offset:928
	s_waitcnt vmcnt(56)
	v_fma_f64 v[22:23], v[2:3], v[30:31], -v[22:23]
	v_fma_f64 v[30:31], v[4:5], v[30:31], v[170:171]
	s_waitcnt vmcnt(51)
	v_fma_f64 v[24:25], v[6:7], v[26:27], -v[24:25]
	v_add_f64 v[18:19], v[74:75], v[18:19]
	v_add_f64 v[14:15], v[14:15], v[28:29]
	s_clause 0x4
	buffer_load_dword v29, off, s[0:3], 0 offset:556
	buffer_load_dword v74, off, s[0:3], 0 offset:568
	buffer_load_dword v165, off, s[0:3], 0 offset:560
	buffer_load_dword v28, off, s[0:3], 0 offset:552
	buffer_load_dword v170, off, s[0:3], 0 offset:532
	s_waitcnt lgkmcnt(0)
	v_mul_f64 v[171:172], v[10:11], v[32:33]
	v_mul_f64 v[32:33], v[12:13], v[32:33]
	ds_read_b128 v[2:5], v1 offset:944
	v_add_f64 v[18:19], v[18:19], v[22:23]
	v_fma_f64 v[22:23], v[8:9], v[26:27], v[163:164]
	v_add_f64 v[14:15], v[14:15], v[30:31]
	s_clause 0x2
	buffer_load_dword v75, off, s[0:3], 0 offset:572
	buffer_load_dword v27, off, s[0:3], 0 offset:548
	;; [unrolled: 1-line block ×3, first 2 shown]
	s_waitcnt vmcnt(58) lgkmcnt(0)
	v_mul_f64 v[30:31], v[2:3], v[34:35]
	v_mul_f64 v[34:35], v[4:5], v[34:35]
	s_waitcnt vmcnt(56)
	v_fma_f64 v[32:33], v[10:11], v[38:39], -v[32:33]
	ds_read_b128 v[6:9], v1 offset:960
	v_add_f64 v[18:19], v[18:19], v[24:25]
	v_fma_f64 v[24:25], v[12:13], v[38:39], v[171:172]
	v_add_f64 v[14:15], v[14:15], v[22:23]
	s_clause 0x4
	buffer_load_dword v23, off, s[0:3], 0 offset:588
	buffer_load_dword v38, off, s[0:3], 0 offset:600
	buffer_load_dword v163, off, s[0:3], 0 offset:592
	buffer_load_dword v22, off, s[0:3], 0 offset:584
	buffer_load_dword v166, off, s[0:3], 0 offset:564
	ds_read_b128 v[10:13], v1 offset:976
	s_waitcnt vmcnt(57) lgkmcnt(1)
	v_mul_f64 v[171:172], v[6:7], v[40:41]
	v_mul_f64 v[40:41], v[8:9], v[40:41]
	s_waitcnt vmcnt(56)
	v_fma_f64 v[34:35], v[2:3], v[36:37], -v[34:35]
	v_fma_f64 v[30:31], v[4:5], v[36:37], v[30:31]
	v_add_f64 v[18:19], v[18:19], v[32:33]
	v_add_f64 v[14:15], v[14:15], v[24:25]
	s_clause 0x2
	buffer_load_dword v39, off, s[0:3], 0 offset:604
	buffer_load_dword v25, off, s[0:3], 0 offset:580
	;; [unrolled: 1-line block ×3, first 2 shown]
	s_waitcnt vmcnt(58) lgkmcnt(0)
	v_mul_f64 v[36:37], v[12:13], v[42:43]
	ds_read_b128 v[2:5], v1 offset:992
	s_waitcnt vmcnt(56)
	v_fma_f64 v[40:41], v[6:7], v[46:47], -v[40:41]
	v_mul_f64 v[32:33], v[10:11], v[42:43]
	v_add_f64 v[18:19], v[18:19], v[34:35]
	v_fma_f64 v[34:35], v[8:9], v[46:47], v[171:172]
	v_add_f64 v[14:15], v[14:15], v[30:31]
	s_clause 0x4
	buffer_load_dword v31, off, s[0:3], 0 offset:620
	buffer_load_dword v42, off, s[0:3], 0 offset:632
	;; [unrolled: 1-line block ×5, first 2 shown]
	s_waitcnt vmcnt(57) lgkmcnt(0)
	v_mul_f64 v[171:172], v[2:3], v[48:49]
	v_mul_f64 v[47:48], v[4:5], v[48:49]
	s_waitcnt vmcnt(56)
	v_fma_f64 v[36:37], v[10:11], v[44:45], -v[36:37]
	ds_read_b128 v[6:9], v1 offset:1008
	v_fma_f64 v[32:33], v[12:13], v[44:45], v[32:33]
	v_add_f64 v[18:19], v[18:19], v[40:41]
	v_add_f64 v[14:15], v[14:15], v[34:35]
	s_clause 0x2
	buffer_load_dword v43, off, s[0:3], 0 offset:636
	buffer_load_dword v35, off, s[0:3], 0 offset:612
	;; [unrolled: 1-line block ×3, first 2 shown]
	ds_read_b128 v[10:13], v1 offset:1024
	s_waitcnt vmcnt(58) lgkmcnt(1)
	v_mul_f64 v[44:45], v[8:9], v[50:51]
	s_waitcnt vmcnt(56)
	v_fma_f64 v[48:49], v[2:3], v[54:55], -v[47:48]
	v_mul_f64 v[40:41], v[6:7], v[50:51]
	buffer_load_dword v47, off, s[0:3], 0 offset:628
	v_add_f64 v[18:19], v[18:19], v[36:37]
	v_fma_f64 v[36:37], v[4:5], v[54:55], v[171:172]
	v_add_f64 v[14:15], v[14:15], v[32:33]
	ds_read_b128 v[2:5], v1 offset:1040
	s_waitcnt vmcnt(53) lgkmcnt(1)
	v_mul_f64 v[50:51], v[12:13], v[56:57]
	s_waitcnt vmcnt(52)
	v_fma_f64 v[44:45], v[6:7], v[52:53], -v[44:45]
	v_mul_f64 v[32:33], v[10:11], v[56:57]
	v_fma_f64 v[40:41], v[8:9], v[52:53], v[40:41]
	ds_read_b128 v[6:9], v1 offset:1056
	v_add_f64 v[18:19], v[18:19], v[48:49]
	s_waitcnt vmcnt(51) lgkmcnt(1)
	v_mul_f64 v[48:49], v[4:5], v[58:59]
	v_add_f64 v[14:15], v[14:15], v[36:37]
	v_mul_f64 v[36:37], v[2:3], v[58:59]
	s_waitcnt vmcnt(49)
	v_fma_f64 v[50:51], v[10:11], v[64:65], -v[50:51]
	v_fma_f64 v[32:33], v[12:13], v[64:65], v[32:33]
	s_waitcnt vmcnt(45) lgkmcnt(0)
	v_mul_f64 v[54:55], v[8:9], v[66:67]
	v_mul_f64 v[52:53], v[6:7], v[66:67]
	v_add_f64 v[18:19], v[18:19], v[44:45]
	s_waitcnt vmcnt(44)
	v_fma_f64 v[48:49], v[2:3], v[62:63], -v[48:49]
	v_add_f64 v[14:15], v[14:15], v[40:41]
	s_clause 0x3
	buffer_load_dword v40, off, s[0:3], 0 offset:224
	buffer_load_dword v41, off, s[0:3], 0 offset:228
	buffer_load_dword v44, off, s[0:3], 0 offset:232
	buffer_load_dword v45, off, s[0:3], 0 offset:236
	ds_read_b128 v[10:13], v1 offset:1072
	v_fma_f64 v[36:37], v[4:5], v[62:63], v[36:37]
	ds_read_b128 v[2:5], v1 offset:1088
	s_waitcnt vmcnt(45)
	v_fma_f64 v[54:55], v[6:7], v[72:73], -v[54:55]
	v_add_f64 v[18:19], v[18:19], v[50:51]
	v_add_f64 v[14:15], v[14:15], v[32:33]
	s_waitcnt lgkmcnt(1)
	v_mul_f64 v[50:51], v[12:13], v[68:69]
	v_mul_f64 v[32:33], v[10:11], v[68:69]
	v_add_f64 v[18:19], v[18:19], v[48:49]
	v_fma_f64 v[48:49], v[8:9], v[72:73], v[52:53]
	v_add_f64 v[14:15], v[14:15], v[36:37]
	s_waitcnt vmcnt(41) lgkmcnt(0)
	v_mul_f64 v[52:53], v[4:5], v[78:79]
	s_waitcnt vmcnt(40)
	v_fma_f64 v[50:51], v[10:11], v[70:71], -v[50:51]
	ds_read_b128 v[6:9], v1 offset:1104
	v_mul_f64 v[36:37], v[2:3], v[78:79]
	v_fma_f64 v[32:33], v[12:13], v[70:71], v[32:33]
	ds_read_b128 v[10:13], v1 offset:1120
	v_add_f64 v[18:19], v[18:19], v[54:55]
	v_add_f64 v[14:15], v[14:15], v[48:49]
	s_waitcnt vmcnt(39) lgkmcnt(1)
	v_mul_f64 v[54:55], v[8:9], v[80:81]
	v_mul_f64 v[48:49], v[6:7], v[80:81]
	s_waitcnt vmcnt(37)
	v_fma_f64 v[52:53], v[2:3], v[76:77], -v[52:53]
	v_fma_f64 v[36:37], v[4:5], v[76:77], v[36:37]
	ds_read_b128 v[2:5], v1 offset:1136
	v_add_f64 v[18:19], v[18:19], v[50:51]
	v_add_f64 v[14:15], v[14:15], v[32:33]
	s_waitcnt vmcnt(33) lgkmcnt(1)
	v_mul_f64 v[32:33], v[10:11], v[20:21]
	v_mul_f64 v[20:21], v[12:13], v[20:21]
	s_waitcnt vmcnt(32)
	v_fma_f64 v[50:51], v[6:7], v[82:83], -v[54:55]
	;; [unrolled: 9-line block ×4, first 2 shown]
	v_add_f64 v[18:19], v[18:19], v[20:21]
	v_fma_f64 v[20:21], v[4:5], v[169:170], v[36:37]
	v_add_f64 v[14:15], v[14:15], v[16:17]
	ds_read_b128 v[2:5], v1 offset:1184
	s_waitcnt vmcnt(23) lgkmcnt(1)
	v_mul_f64 v[36:37], v[12:13], v[74:75]
	v_mul_f64 v[16:17], v[10:11], v[74:75]
	s_waitcnt vmcnt(21)
	v_fma_f64 v[28:29], v[6:7], v[26:27], -v[28:29]
	v_fma_f64 v[26:27], v[8:9], v[26:27], v[32:33]
	ds_read_b128 v[6:9], v1 offset:1200
	v_add_f64 v[18:19], v[18:19], v[48:49]
	v_add_f64 v[14:15], v[14:15], v[20:21]
	s_waitcnt vmcnt(17) lgkmcnt(1)
	v_mul_f64 v[20:21], v[2:3], v[22:23]
	v_mul_f64 v[22:23], v[4:5], v[22:23]
	s_waitcnt vmcnt(16)
	v_fma_f64 v[32:33], v[10:11], v[165:166], -v[36:37]
	v_fma_f64 v[16:17], v[12:13], v[165:166], v[16:17]
	ds_read_b128 v[10:13], v1 offset:1216
	v_add_f64 v[18:19], v[18:19], v[28:29]
	v_add_f64 v[14:15], v[14:15], v[26:27]
	;; [unrolled: 9-line block ×3, first 2 shown]
	s_waitcnt vmcnt(9) lgkmcnt(1)
	v_mul_f64 v[24:25], v[12:13], v[30:31]
	s_waitcnt vmcnt(8)
	v_fma_f64 v[6:7], v[6:7], v[163:164], -v[28:29]
	v_mul_f64 v[16:17], v[10:11], v[30:31]
	v_fma_f64 v[8:9], v[8:9], v[163:164], v[26:27]
	v_add_f64 v[18:19], v[18:19], v[22:23]
	v_add_f64 v[14:15], v[14:15], v[20:21]
	s_waitcnt vmcnt(7) lgkmcnt(0)
	v_mul_f64 v[22:23], v[4:5], v[42:43]
	v_mul_f64 v[20:21], v[2:3], v[42:43]
	s_waitcnt vmcnt(5)
	v_fma_f64 v[10:11], v[10:11], v[34:35], -v[24:25]
	v_fma_f64 v[12:13], v[12:13], v[34:35], v[16:17]
	v_add_f64 v[6:7], v[18:19], v[6:7]
	v_add_f64 v[8:9], v[14:15], v[8:9]
	s_waitcnt vmcnt(4)
	v_fma_f64 v[2:3], v[2:3], v[46:47], -v[22:23]
	v_fma_f64 v[4:5], v[4:5], v[46:47], v[20:21]
	v_add_f64 v[6:7], v[6:7], v[10:11]
	v_add_f64 v[8:9], v[8:9], v[12:13]
	;; [unrolled: 1-line block ×4, first 2 shown]
	s_waitcnt vmcnt(2)
	v_add_f64 v[2:3], v[40:41], -v[2:3]
	s_waitcnt vmcnt(0)
	v_add_f64 v[4:5], v[44:45], -v[4:5]
	buffer_store_dword v3, off, s[0:3], 0 offset:228
	buffer_store_dword v2, off, s[0:3], 0 offset:224
	;; [unrolled: 1-line block ×4, first 2 shown]
	v_cmpx_lt_u32_e32 12, v0
	s_cbranch_execz .LBB38_223
; %bb.222:
	v_mov_b32_e32 v5, s39
	s_clause 0x3
	buffer_load_dword v2, v5, s[0:3], 0 offen
	buffer_load_dword v3, v5, s[0:3], 0 offen offset:4
	buffer_load_dword v4, v5, s[0:3], 0 offen offset:8
	;; [unrolled: 1-line block ×3, first 2 shown]
	buffer_store_dword v1, off, s[0:3], 0 offset:208
	buffer_store_dword v1, off, s[0:3], 0 offset:212
	;; [unrolled: 1-line block ×4, first 2 shown]
	s_waitcnt vmcnt(0)
	ds_write_b128 v61, v[2:5]
.LBB38_223:
	s_or_b32 exec_lo, exec_lo, s4
	s_waitcnt lgkmcnt(0)
	s_waitcnt_vscnt null, 0x0
	s_barrier
	buffer_gl0_inv
	s_clause 0x37
	buffer_load_dword v10, off, s[0:3], 0 offset:232
	buffer_load_dword v11, off, s[0:3], 0 offset:236
	;; [unrolled: 1-line block ×56, first 2 shown]
	ds_read_b128 v[2:5], v1 offset:832
	s_clause 0x2
	buffer_load_dword v69, off, s[0:3], 0 offset:460
	buffer_load_dword v73, off, s[0:3], 0 offset:436
	;; [unrolled: 1-line block ×3, first 2 shown]
	ds_read_b128 v[6:9], v1 offset:848
	s_clause 0x4
	buffer_load_dword v79, off, s[0:3], 0 offset:476
	buffer_load_dword v80, off, s[0:3], 0 offset:488
	;; [unrolled: 1-line block ×5, first 2 shown]
	s_mov_b32 s4, exec_lo
	s_waitcnt vmcnt(62) lgkmcnt(1)
	v_mul_f64 v[74:75], v[4:5], v[10:11]
	v_mul_f64 v[76:77], v[2:3], v[10:11]
	s_waitcnt vmcnt(60) lgkmcnt(0)
	v_mul_f64 v[83:84], v[8:9], v[14:15]
	ds_read_b128 v[10:13], v1 offset:864
	v_mul_f64 v[14:15], v[6:7], v[14:15]
	s_waitcnt vmcnt(58)
	v_fma_f64 v[74:75], v[2:3], v[16:17], -v[74:75]
	v_fma_f64 v[16:17], v[4:5], v[16:17], v[76:77]
	s_clause 0x2
	buffer_load_dword v81, off, s[0:3], 0 offset:492
	buffer_load_dword v77, off, s[0:3], 0 offset:468
	;; [unrolled: 1-line block ×3, first 2 shown]
	s_waitcnt vmcnt(59) lgkmcnt(0)
	v_mul_f64 v[163:164], v[10:11], v[18:19]
	v_mul_f64 v[18:19], v[12:13], v[18:19]
	s_waitcnt vmcnt(57)
	v_fma_f64 v[165:166], v[6:7], v[20:21], -v[83:84]
	ds_read_b128 v[2:5], v1 offset:880
	v_fma_f64 v[14:15], v[8:9], v[20:21], v[14:15]
	s_clause 0x4
	buffer_load_dword v21, off, s[0:3], 0 offset:508
	buffer_load_dword v167, off, s[0:3], 0 offset:520
	;; [unrolled: 1-line block ×5, first 2 shown]
	ds_read_b128 v[6:9], v1 offset:896
	v_add_f64 v[74:75], v[74:75], 0
	v_add_f64 v[16:17], v[16:17], 0
	s_waitcnt vmcnt(58) lgkmcnt(1)
	v_mul_f64 v[170:171], v[2:3], v[22:23]
	v_mul_f64 v[22:23], v[4:5], v[22:23]
	s_waitcnt vmcnt(56)
	v_fma_f64 v[18:19], v[10:11], v[28:29], -v[18:19]
	v_fma_f64 v[28:29], v[12:13], v[28:29], v[163:164]
	s_waitcnt vmcnt(55) lgkmcnt(0)
	v_mul_f64 v[163:164], v[6:7], v[24:25]
	v_mul_f64 v[24:25], v[8:9], v[24:25]
	v_add_f64 v[74:75], v[74:75], v[165:166]
	v_add_f64 v[14:15], v[16:17], v[14:15]
	s_clause 0x2
	buffer_load_dword v168, off, s[0:3], 0 offset:524
	buffer_load_dword v17, off, s[0:3], 0 offset:500
	;; [unrolled: 1-line block ×3, first 2 shown]
	ds_read_b128 v[10:13], v1 offset:912
	s_waitcnt vmcnt(56)
	v_fma_f64 v[22:23], v[2:3], v[30:31], -v[22:23]
	v_fma_f64 v[30:31], v[4:5], v[30:31], v[170:171]
	s_waitcnt vmcnt(51)
	v_fma_f64 v[24:25], v[6:7], v[26:27], -v[24:25]
	v_add_f64 v[18:19], v[74:75], v[18:19]
	v_add_f64 v[14:15], v[14:15], v[28:29]
	s_clause 0x4
	buffer_load_dword v29, off, s[0:3], 0 offset:540
	buffer_load_dword v74, off, s[0:3], 0 offset:552
	;; [unrolled: 1-line block ×5, first 2 shown]
	s_waitcnt lgkmcnt(0)
	v_mul_f64 v[171:172], v[10:11], v[32:33]
	v_mul_f64 v[32:33], v[12:13], v[32:33]
	ds_read_b128 v[2:5], v1 offset:928
	v_add_f64 v[18:19], v[18:19], v[22:23]
	v_fma_f64 v[22:23], v[8:9], v[26:27], v[163:164]
	v_add_f64 v[14:15], v[14:15], v[30:31]
	s_clause 0x2
	buffer_load_dword v75, off, s[0:3], 0 offset:556
	buffer_load_dword v27, off, s[0:3], 0 offset:532
	;; [unrolled: 1-line block ×3, first 2 shown]
	s_waitcnt vmcnt(58) lgkmcnt(0)
	v_mul_f64 v[30:31], v[2:3], v[34:35]
	v_mul_f64 v[34:35], v[4:5], v[34:35]
	s_waitcnt vmcnt(56)
	v_fma_f64 v[32:33], v[10:11], v[38:39], -v[32:33]
	ds_read_b128 v[6:9], v1 offset:944
	v_add_f64 v[18:19], v[18:19], v[24:25]
	v_fma_f64 v[24:25], v[12:13], v[38:39], v[171:172]
	v_add_f64 v[14:15], v[14:15], v[22:23]
	s_clause 0x4
	buffer_load_dword v23, off, s[0:3], 0 offset:572
	buffer_load_dword v38, off, s[0:3], 0 offset:584
	;; [unrolled: 1-line block ×5, first 2 shown]
	ds_read_b128 v[10:13], v1 offset:960
	s_waitcnt vmcnt(57) lgkmcnt(1)
	v_mul_f64 v[171:172], v[6:7], v[40:41]
	v_mul_f64 v[40:41], v[8:9], v[40:41]
	s_waitcnt vmcnt(56)
	v_fma_f64 v[34:35], v[2:3], v[36:37], -v[34:35]
	v_fma_f64 v[30:31], v[4:5], v[36:37], v[30:31]
	v_add_f64 v[18:19], v[18:19], v[32:33]
	v_add_f64 v[14:15], v[14:15], v[24:25]
	s_clause 0x2
	buffer_load_dword v39, off, s[0:3], 0 offset:588
	buffer_load_dword v25, off, s[0:3], 0 offset:564
	;; [unrolled: 1-line block ×3, first 2 shown]
	s_waitcnt vmcnt(58) lgkmcnt(0)
	v_mul_f64 v[36:37], v[12:13], v[42:43]
	ds_read_b128 v[2:5], v1 offset:976
	s_waitcnt vmcnt(56)
	v_fma_f64 v[40:41], v[6:7], v[46:47], -v[40:41]
	v_mul_f64 v[32:33], v[10:11], v[42:43]
	v_add_f64 v[18:19], v[18:19], v[34:35]
	v_fma_f64 v[34:35], v[8:9], v[46:47], v[171:172]
	v_add_f64 v[14:15], v[14:15], v[30:31]
	s_clause 0x4
	buffer_load_dword v31, off, s[0:3], 0 offset:604
	buffer_load_dword v42, off, s[0:3], 0 offset:616
	;; [unrolled: 1-line block ×5, first 2 shown]
	s_waitcnt vmcnt(57) lgkmcnt(0)
	v_mul_f64 v[171:172], v[2:3], v[48:49]
	v_mul_f64 v[47:48], v[4:5], v[48:49]
	s_waitcnt vmcnt(56)
	v_fma_f64 v[36:37], v[10:11], v[44:45], -v[36:37]
	ds_read_b128 v[6:9], v1 offset:992
	v_fma_f64 v[32:33], v[12:13], v[44:45], v[32:33]
	v_add_f64 v[18:19], v[18:19], v[40:41]
	v_add_f64 v[14:15], v[14:15], v[34:35]
	s_clause 0x2
	buffer_load_dword v43, off, s[0:3], 0 offset:620
	buffer_load_dword v35, off, s[0:3], 0 offset:596
	;; [unrolled: 1-line block ×3, first 2 shown]
	ds_read_b128 v[10:13], v1 offset:1008
	s_waitcnt vmcnt(58) lgkmcnt(1)
	v_mul_f64 v[44:45], v[8:9], v[50:51]
	s_waitcnt vmcnt(56)
	v_fma_f64 v[48:49], v[2:3], v[54:55], -v[47:48]
	v_mul_f64 v[40:41], v[6:7], v[50:51]
	v_add_f64 v[18:19], v[18:19], v[36:37]
	v_fma_f64 v[36:37], v[4:5], v[54:55], v[171:172]
	v_add_f64 v[14:15], v[14:15], v[32:33]
	s_clause 0x2
	buffer_load_dword v33, off, s[0:3], 0 offset:636
	buffer_load_dword v32, off, s[0:3], 0 offset:632
	;; [unrolled: 1-line block ×3, first 2 shown]
	s_waitcnt vmcnt(55) lgkmcnt(0)
	v_mul_f64 v[54:55], v[12:13], v[56:57]
	s_waitcnt vmcnt(54)
	v_fma_f64 v[44:45], v[6:7], v[52:53], -v[44:45]
	ds_read_b128 v[2:5], v1 offset:1024
	v_mul_f64 v[50:51], v[10:11], v[56:57]
	v_fma_f64 v[40:41], v[8:9], v[52:53], v[40:41]
	v_add_f64 v[18:19], v[18:19], v[48:49]
	v_add_f64 v[14:15], v[14:15], v[36:37]
	s_clause 0x1
	buffer_load_dword v37, off, s[0:3], 0 offset:628
	buffer_load_dword v36, off, s[0:3], 0 offset:624
	s_waitcnt vmcnt(55) lgkmcnt(0)
	v_mul_f64 v[52:53], v[4:5], v[58:59]
	s_waitcnt vmcnt(53)
	v_fma_f64 v[54:55], v[10:11], v[64:65], -v[54:55]
	ds_read_b128 v[6:9], v1 offset:1040
	v_mul_f64 v[48:49], v[2:3], v[58:59]
	v_add_f64 v[18:19], v[18:19], v[44:45]
	v_fma_f64 v[44:45], v[12:13], v[64:65], v[50:51]
	v_add_f64 v[14:15], v[14:15], v[40:41]
	ds_read_b128 v[10:13], v1 offset:1056
	s_waitcnt vmcnt(49) lgkmcnt(1)
	v_mul_f64 v[50:51], v[8:9], v[66:67]
	s_waitcnt vmcnt(48)
	v_fma_f64 v[52:53], v[2:3], v[62:63], -v[52:53]
	v_mul_f64 v[40:41], v[6:7], v[66:67]
	v_fma_f64 v[48:49], v[4:5], v[62:63], v[48:49]
	v_add_f64 v[18:19], v[18:19], v[54:55]
	s_waitcnt vmcnt(47) lgkmcnt(0)
	v_mul_f64 v[58:59], v[12:13], v[68:69]
	v_add_f64 v[14:15], v[14:15], v[44:45]
	s_clause 0x3
	buffer_load_dword v44, off, s[0:3], 0 offset:208
	buffer_load_dword v45, off, s[0:3], 0 offset:212
	;; [unrolled: 1-line block ×4, first 2 shown]
	s_waitcnt vmcnt(49)
	v_fma_f64 v[50:51], v[6:7], v[72:73], -v[50:51]
	ds_read_b128 v[2:5], v1 offset:1072
	v_mul_f64 v[56:57], v[10:11], v[68:69]
	v_fma_f64 v[40:41], v[8:9], v[72:73], v[40:41]
	ds_read_b128 v[6:9], v1 offset:1088
	v_add_f64 v[18:19], v[18:19], v[52:53]
	s_waitcnt vmcnt(44)
	v_fma_f64 v[58:59], v[10:11], v[70:71], -v[58:59]
	v_add_f64 v[14:15], v[14:15], v[48:49]
	s_waitcnt lgkmcnt(1)
	v_mul_f64 v[52:53], v[4:5], v[78:79]
	v_mul_f64 v[48:49], v[2:3], v[78:79]
	v_add_f64 v[18:19], v[18:19], v[50:51]
	v_fma_f64 v[50:51], v[12:13], v[70:71], v[56:57]
	v_add_f64 v[14:15], v[14:15], v[40:41]
	ds_read_b128 v[10:13], v1 offset:1104
	s_waitcnt vmcnt(43) lgkmcnt(1)
	v_mul_f64 v[56:57], v[8:9], v[80:81]
	v_mul_f64 v[40:41], v[6:7], v[80:81]
	s_waitcnt vmcnt(41)
	v_fma_f64 v[52:53], v[2:3], v[76:77], -v[52:53]
	v_fma_f64 v[48:49], v[4:5], v[76:77], v[48:49]
	ds_read_b128 v[2:5], v1 offset:1120
	v_add_f64 v[18:19], v[18:19], v[58:59]
	v_add_f64 v[14:15], v[14:15], v[50:51]
	s_waitcnt vmcnt(37) lgkmcnt(1)
	v_mul_f64 v[50:51], v[10:11], v[20:21]
	v_mul_f64 v[20:21], v[12:13], v[20:21]
	s_waitcnt vmcnt(36)
	v_fma_f64 v[56:57], v[6:7], v[82:83], -v[56:57]
	v_fma_f64 v[40:41], v[8:9], v[82:83], v[40:41]
	ds_read_b128 v[6:9], v1 offset:1136
	v_add_f64 v[18:19], v[18:19], v[52:53]
	v_add_f64 v[14:15], v[14:15], v[48:49]
	s_waitcnt vmcnt(35) lgkmcnt(1)
	v_mul_f64 v[52:53], v[4:5], v[167:168]
	v_mul_f64 v[48:49], v[2:3], v[167:168]
	s_waitcnt vmcnt(33)
	v_fma_f64 v[20:21], v[10:11], v[16:17], -v[20:21]
	v_fma_f64 v[16:17], v[12:13], v[16:17], v[50:51]
	ds_read_b128 v[10:13], v1 offset:1152
	v_add_f64 v[18:19], v[18:19], v[56:57]
	v_add_f64 v[14:15], v[14:15], v[40:41]
	s_waitcnt vmcnt(29) lgkmcnt(1)
	v_mul_f64 v[40:41], v[6:7], v[28:29]
	v_mul_f64 v[28:29], v[8:9], v[28:29]
	s_waitcnt vmcnt(28)
	v_fma_f64 v[50:51], v[2:3], v[169:170], -v[52:53]
	v_add_f64 v[18:19], v[18:19], v[20:21]
	v_fma_f64 v[20:21], v[4:5], v[169:170], v[48:49]
	v_add_f64 v[14:15], v[14:15], v[16:17]
	ds_read_b128 v[2:5], v1 offset:1168
	s_waitcnt vmcnt(27) lgkmcnt(1)
	v_mul_f64 v[48:49], v[12:13], v[74:75]
	v_mul_f64 v[16:17], v[10:11], v[74:75]
	s_waitcnt vmcnt(25)
	v_fma_f64 v[28:29], v[6:7], v[26:27], -v[28:29]
	v_fma_f64 v[26:27], v[8:9], v[26:27], v[40:41]
	ds_read_b128 v[6:9], v1 offset:1184
	v_add_f64 v[18:19], v[18:19], v[50:51]
	v_add_f64 v[14:15], v[14:15], v[20:21]
	s_waitcnt vmcnt(21) lgkmcnt(1)
	v_mul_f64 v[20:21], v[2:3], v[22:23]
	v_mul_f64 v[22:23], v[4:5], v[22:23]
	s_waitcnt vmcnt(20)
	v_fma_f64 v[40:41], v[10:11], v[165:166], -v[48:49]
	v_fma_f64 v[16:17], v[12:13], v[165:166], v[16:17]
	ds_read_b128 v[10:13], v1 offset:1200
	v_add_f64 v[18:19], v[18:19], v[28:29]
	v_add_f64 v[14:15], v[14:15], v[26:27]
	;; [unrolled: 9-line block ×3, first 2 shown]
	s_waitcnt vmcnt(13) lgkmcnt(1)
	v_mul_f64 v[24:25], v[12:13], v[30:31]
	s_waitcnt vmcnt(12)
	v_fma_f64 v[28:29], v[6:7], v[163:164], -v[28:29]
	v_mul_f64 v[16:17], v[10:11], v[30:31]
	v_add_f64 v[18:19], v[18:19], v[22:23]
	v_fma_f64 v[22:23], v[8:9], v[163:164], v[26:27]
	v_add_f64 v[14:15], v[14:15], v[20:21]
	ds_read_b128 v[6:9], v1 offset:1232
	s_waitcnt vmcnt(11) lgkmcnt(1)
	v_mul_f64 v[26:27], v[4:5], v[42:43]
	v_mul_f64 v[20:21], v[2:3], v[42:43]
	s_waitcnt vmcnt(9)
	v_fma_f64 v[10:11], v[10:11], v[34:35], -v[24:25]
	v_fma_f64 v[12:13], v[12:13], v[34:35], v[16:17]
	v_add_f64 v[18:19], v[18:19], v[28:29]
	v_add_f64 v[14:15], v[14:15], v[22:23]
	s_waitcnt vmcnt(7) lgkmcnt(0)
	v_mul_f64 v[22:23], v[8:9], v[32:33]
	s_waitcnt vmcnt(6)
	v_fma_f64 v[1:2], v[2:3], v[46:47], -v[26:27]
	v_mul_f64 v[16:17], v[6:7], v[32:33]
	v_fma_f64 v[3:4], v[4:5], v[46:47], v[20:21]
	v_add_f64 v[10:11], v[18:19], v[10:11]
	v_add_f64 v[12:13], v[14:15], v[12:13]
	s_waitcnt vmcnt(4)
	v_fma_f64 v[5:6], v[6:7], v[36:37], -v[22:23]
	v_fma_f64 v[7:8], v[8:9], v[36:37], v[16:17]
	v_add_f64 v[1:2], v[10:11], v[1:2]
	v_add_f64 v[3:4], v[12:13], v[3:4]
	;; [unrolled: 1-line block ×4, first 2 shown]
	s_waitcnt vmcnt(2)
	v_add_f64 v[1:2], v[44:45], -v[1:2]
	s_waitcnt vmcnt(0)
	v_add_f64 v[3:4], v[54:55], -v[3:4]
	buffer_store_dword v2, off, s[0:3], 0 offset:212
	buffer_store_dword v1, off, s[0:3], 0 offset:208
	;; [unrolled: 1-line block ×4, first 2 shown]
	v_cmpx_lt_u32_e32 11, v0
	s_cbranch_execz .LBB38_225
; %bb.224:
	v_mov_b32_e32 v4, s40
	v_mov_b32_e32 v5, 0
	s_clause 0x3
	buffer_load_dword v1, v4, s[0:3], 0 offen
	buffer_load_dword v2, v4, s[0:3], 0 offen offset:4
	buffer_load_dword v3, v4, s[0:3], 0 offen offset:8
	;; [unrolled: 1-line block ×3, first 2 shown]
	buffer_store_dword v5, off, s[0:3], 0 offset:192
	buffer_store_dword v5, off, s[0:3], 0 offset:196
	buffer_store_dword v5, off, s[0:3], 0 offset:200
	buffer_store_dword v5, off, s[0:3], 0 offset:204
	s_waitcnt vmcnt(0)
	ds_write_b128 v61, v[1:4]
.LBB38_225:
	s_or_b32 exec_lo, exec_lo, s4
	s_waitcnt lgkmcnt(0)
	s_waitcnt_vscnt null, 0x0
	s_barrier
	buffer_gl0_inv
	s_clause 0x37
	buffer_load_dword v10, off, s[0:3], 0 offset:216
	buffer_load_dword v11, off, s[0:3], 0 offset:220
	buffer_load_dword v14, off, s[0:3], 0 offset:232
	buffer_load_dword v15, off, s[0:3], 0 offset:236
	buffer_load_dword v16, off, s[0:3], 0 offset:208
	buffer_load_dword v17, off, s[0:3], 0 offset:212
	buffer_load_dword v18, off, s[0:3], 0 offset:248
	buffer_load_dword v19, off, s[0:3], 0 offset:252
	buffer_load_dword v20, off, s[0:3], 0 offset:224
	buffer_load_dword v21, off, s[0:3], 0 offset:228
	buffer_load_dword v23, off, s[0:3], 0 offset:268
	buffer_load_dword v24, off, s[0:3], 0 offset:280
	buffer_load_dword v26, off, s[0:3], 0 offset:272
	buffer_load_dword v22, off, s[0:3], 0 offset:264
	buffer_load_dword v28, off, s[0:3], 0 offset:240
	buffer_load_dword v29, off, s[0:3], 0 offset:244
	buffer_load_dword v25, off, s[0:3], 0 offset:284
	buffer_load_dword v31, off, s[0:3], 0 offset:260
	buffer_load_dword v30, off, s[0:3], 0 offset:256
	buffer_load_dword v33, off, s[0:3], 0 offset:300
	buffer_load_dword v34, off, s[0:3], 0 offset:312
	buffer_load_dword v36, off, s[0:3], 0 offset:304
	buffer_load_dword v32, off, s[0:3], 0 offset:296
	buffer_load_dword v27, off, s[0:3], 0 offset:276
	buffer_load_dword v35, off, s[0:3], 0 offset:316
	buffer_load_dword v39, off, s[0:3], 0 offset:292
	buffer_load_dword v38, off, s[0:3], 0 offset:288
	buffer_load_dword v41, off, s[0:3], 0 offset:332
	buffer_load_dword v42, off, s[0:3], 0 offset:344
	buffer_load_dword v44, off, s[0:3], 0 offset:336
	buffer_load_dword v40, off, s[0:3], 0 offset:328
	buffer_load_dword v37, off, s[0:3], 0 offset:308
	buffer_load_dword v43, off, s[0:3], 0 offset:348
	buffer_load_dword v47, off, s[0:3], 0 offset:324
	buffer_load_dword v46, off, s[0:3], 0 offset:320
	buffer_load_dword v49, off, s[0:3], 0 offset:364
	buffer_load_dword v50, off, s[0:3], 0 offset:376
	buffer_load_dword v52, off, s[0:3], 0 offset:368
	buffer_load_dword v48, off, s[0:3], 0 offset:360
	buffer_load_dword v45, off, s[0:3], 0 offset:340
	buffer_load_dword v51, off, s[0:3], 0 offset:380
	buffer_load_dword v55, off, s[0:3], 0 offset:356
	buffer_load_dword v54, off, s[0:3], 0 offset:352
	buffer_load_dword v57, off, s[0:3], 0 offset:396
	buffer_load_dword v58, off, s[0:3], 0 offset:408
	buffer_load_dword v62, off, s[0:3], 0 offset:400
	buffer_load_dword v56, off, s[0:3], 0 offset:392
	buffer_load_dword v53, off, s[0:3], 0 offset:372
	buffer_load_dword v59, off, s[0:3], 0 offset:412
	buffer_load_dword v65, off, s[0:3], 0 offset:388
	buffer_load_dword v64, off, s[0:3], 0 offset:384
	buffer_load_dword v67, off, s[0:3], 0 offset:428
	buffer_load_dword v68, off, s[0:3], 0 offset:440
	buffer_load_dword v70, off, s[0:3], 0 offset:432
	buffer_load_dword v66, off, s[0:3], 0 offset:424
	buffer_load_dword v63, off, s[0:3], 0 offset:404
	v_mov_b32_e32 v1, 0
	s_mov_b32 s4, exec_lo
	ds_read_b128 v[2:5], v1 offset:816
	s_clause 0x2
	buffer_load_dword v69, off, s[0:3], 0 offset:444
	buffer_load_dword v73, off, s[0:3], 0 offset:420
	;; [unrolled: 1-line block ×3, first 2 shown]
	ds_read_b128 v[6:9], v1 offset:832
	s_clause 0x4
	buffer_load_dword v79, off, s[0:3], 0 offset:460
	buffer_load_dword v80, off, s[0:3], 0 offset:472
	;; [unrolled: 1-line block ×5, first 2 shown]
	s_waitcnt vmcnt(62) lgkmcnt(1)
	v_mul_f64 v[74:75], v[4:5], v[10:11]
	v_mul_f64 v[76:77], v[2:3], v[10:11]
	s_waitcnt vmcnt(60) lgkmcnt(0)
	v_mul_f64 v[83:84], v[8:9], v[14:15]
	ds_read_b128 v[10:13], v1 offset:848
	v_mul_f64 v[14:15], v[6:7], v[14:15]
	s_waitcnt vmcnt(58)
	v_fma_f64 v[74:75], v[2:3], v[16:17], -v[74:75]
	v_fma_f64 v[16:17], v[4:5], v[16:17], v[76:77]
	s_clause 0x2
	buffer_load_dword v81, off, s[0:3], 0 offset:476
	buffer_load_dword v77, off, s[0:3], 0 offset:452
	buffer_load_dword v76, off, s[0:3], 0 offset:448
	s_waitcnt vmcnt(59) lgkmcnt(0)
	v_mul_f64 v[163:164], v[10:11], v[18:19]
	v_mul_f64 v[18:19], v[12:13], v[18:19]
	s_waitcnt vmcnt(57)
	v_fma_f64 v[165:166], v[6:7], v[20:21], -v[83:84]
	ds_read_b128 v[2:5], v1 offset:864
	v_fma_f64 v[14:15], v[8:9], v[20:21], v[14:15]
	s_clause 0x4
	buffer_load_dword v21, off, s[0:3], 0 offset:492
	buffer_load_dword v167, off, s[0:3], 0 offset:504
	;; [unrolled: 1-line block ×5, first 2 shown]
	ds_read_b128 v[6:9], v1 offset:880
	v_add_f64 v[74:75], v[74:75], 0
	v_add_f64 v[16:17], v[16:17], 0
	s_waitcnt vmcnt(58) lgkmcnt(1)
	v_mul_f64 v[170:171], v[2:3], v[22:23]
	v_mul_f64 v[22:23], v[4:5], v[22:23]
	s_waitcnt vmcnt(56)
	v_fma_f64 v[18:19], v[10:11], v[28:29], -v[18:19]
	v_fma_f64 v[28:29], v[12:13], v[28:29], v[163:164]
	s_waitcnt vmcnt(55) lgkmcnt(0)
	v_mul_f64 v[163:164], v[6:7], v[24:25]
	v_mul_f64 v[24:25], v[8:9], v[24:25]
	v_add_f64 v[74:75], v[74:75], v[165:166]
	v_add_f64 v[14:15], v[16:17], v[14:15]
	s_clause 0x2
	buffer_load_dword v168, off, s[0:3], 0 offset:508
	buffer_load_dword v17, off, s[0:3], 0 offset:484
	;; [unrolled: 1-line block ×3, first 2 shown]
	ds_read_b128 v[10:13], v1 offset:896
	s_waitcnt vmcnt(56)
	v_fma_f64 v[22:23], v[2:3], v[30:31], -v[22:23]
	v_fma_f64 v[30:31], v[4:5], v[30:31], v[170:171]
	s_waitcnt vmcnt(51)
	v_fma_f64 v[24:25], v[6:7], v[26:27], -v[24:25]
	v_add_f64 v[18:19], v[74:75], v[18:19]
	v_add_f64 v[14:15], v[14:15], v[28:29]
	s_clause 0x4
	buffer_load_dword v29, off, s[0:3], 0 offset:524
	buffer_load_dword v74, off, s[0:3], 0 offset:536
	;; [unrolled: 1-line block ×5, first 2 shown]
	s_waitcnt lgkmcnt(0)
	v_mul_f64 v[171:172], v[10:11], v[32:33]
	v_mul_f64 v[32:33], v[12:13], v[32:33]
	ds_read_b128 v[2:5], v1 offset:912
	v_add_f64 v[18:19], v[18:19], v[22:23]
	v_fma_f64 v[22:23], v[8:9], v[26:27], v[163:164]
	v_add_f64 v[14:15], v[14:15], v[30:31]
	s_clause 0x2
	buffer_load_dword v75, off, s[0:3], 0 offset:540
	buffer_load_dword v27, off, s[0:3], 0 offset:516
	;; [unrolled: 1-line block ×3, first 2 shown]
	s_waitcnt vmcnt(58) lgkmcnt(0)
	v_mul_f64 v[30:31], v[2:3], v[34:35]
	v_mul_f64 v[34:35], v[4:5], v[34:35]
	s_waitcnt vmcnt(56)
	v_fma_f64 v[32:33], v[10:11], v[38:39], -v[32:33]
	ds_read_b128 v[6:9], v1 offset:928
	v_add_f64 v[18:19], v[18:19], v[24:25]
	v_fma_f64 v[24:25], v[12:13], v[38:39], v[171:172]
	v_add_f64 v[14:15], v[14:15], v[22:23]
	s_clause 0x4
	buffer_load_dword v23, off, s[0:3], 0 offset:556
	buffer_load_dword v38, off, s[0:3], 0 offset:568
	;; [unrolled: 1-line block ×5, first 2 shown]
	ds_read_b128 v[10:13], v1 offset:944
	s_waitcnt vmcnt(57) lgkmcnt(1)
	v_mul_f64 v[171:172], v[6:7], v[40:41]
	v_mul_f64 v[40:41], v[8:9], v[40:41]
	s_waitcnt vmcnt(56)
	v_fma_f64 v[34:35], v[2:3], v[36:37], -v[34:35]
	v_fma_f64 v[30:31], v[4:5], v[36:37], v[30:31]
	v_add_f64 v[18:19], v[18:19], v[32:33]
	v_add_f64 v[14:15], v[14:15], v[24:25]
	s_clause 0x2
	buffer_load_dword v39, off, s[0:3], 0 offset:572
	buffer_load_dword v25, off, s[0:3], 0 offset:548
	;; [unrolled: 1-line block ×3, first 2 shown]
	s_waitcnt vmcnt(58) lgkmcnt(0)
	v_mul_f64 v[36:37], v[12:13], v[42:43]
	ds_read_b128 v[2:5], v1 offset:960
	s_waitcnt vmcnt(56)
	v_fma_f64 v[40:41], v[6:7], v[46:47], -v[40:41]
	v_mul_f64 v[32:33], v[10:11], v[42:43]
	v_add_f64 v[18:19], v[18:19], v[34:35]
	v_fma_f64 v[34:35], v[8:9], v[46:47], v[171:172]
	v_add_f64 v[14:15], v[14:15], v[30:31]
	s_clause 0x4
	buffer_load_dword v31, off, s[0:3], 0 offset:588
	buffer_load_dword v42, off, s[0:3], 0 offset:600
	;; [unrolled: 1-line block ×5, first 2 shown]
	s_waitcnt vmcnt(57) lgkmcnt(0)
	v_mul_f64 v[171:172], v[2:3], v[48:49]
	v_mul_f64 v[47:48], v[4:5], v[48:49]
	s_waitcnt vmcnt(56)
	v_fma_f64 v[36:37], v[10:11], v[44:45], -v[36:37]
	ds_read_b128 v[6:9], v1 offset:976
	v_fma_f64 v[32:33], v[12:13], v[44:45], v[32:33]
	v_add_f64 v[18:19], v[18:19], v[40:41]
	v_add_f64 v[14:15], v[14:15], v[34:35]
	s_clause 0x2
	buffer_load_dword v43, off, s[0:3], 0 offset:604
	buffer_load_dword v35, off, s[0:3], 0 offset:580
	;; [unrolled: 1-line block ×3, first 2 shown]
	ds_read_b128 v[10:13], v1 offset:992
	s_waitcnt vmcnt(58) lgkmcnt(1)
	v_mul_f64 v[44:45], v[8:9], v[50:51]
	s_waitcnt vmcnt(56)
	v_fma_f64 v[48:49], v[2:3], v[54:55], -v[47:48]
	v_mul_f64 v[40:41], v[6:7], v[50:51]
	v_add_f64 v[18:19], v[18:19], v[36:37]
	v_fma_f64 v[36:37], v[4:5], v[54:55], v[171:172]
	v_add_f64 v[14:15], v[14:15], v[32:33]
	s_clause 0x4
	buffer_load_dword v33, off, s[0:3], 0 offset:620
	buffer_load_dword v50, off, s[0:3], 0 offset:632
	;; [unrolled: 1-line block ×5, first 2 shown]
	s_waitcnt vmcnt(57) lgkmcnt(0)
	v_mul_f64 v[171:172], v[10:11], v[56:57]
	v_mul_f64 v[55:56], v[12:13], v[56:57]
	s_waitcnt vmcnt(56)
	v_fma_f64 v[44:45], v[6:7], v[52:53], -v[44:45]
	ds_read_b128 v[2:5], v1 offset:1008
	v_fma_f64 v[40:41], v[8:9], v[52:53], v[40:41]
	v_add_f64 v[18:19], v[18:19], v[48:49]
	v_add_f64 v[14:15], v[14:15], v[36:37]
	s_clause 0x2
	buffer_load_dword v51, off, s[0:3], 0 offset:636
	buffer_load_dword v37, off, s[0:3], 0 offset:612
	;; [unrolled: 1-line block ×3, first 2 shown]
	ds_read_b128 v[6:9], v1 offset:1024
	s_waitcnt vmcnt(58) lgkmcnt(1)
	v_mul_f64 v[52:53], v[4:5], v[58:59]
	s_waitcnt vmcnt(56)
	v_fma_f64 v[56:57], v[10:11], v[64:65], -v[55:56]
	v_mul_f64 v[48:49], v[2:3], v[58:59]
	buffer_load_dword v55, off, s[0:3], 0 offset:628
	v_add_f64 v[18:19], v[18:19], v[44:45]
	v_fma_f64 v[44:45], v[12:13], v[64:65], v[171:172]
	v_add_f64 v[14:15], v[14:15], v[40:41]
	ds_read_b128 v[10:13], v1 offset:1040
	s_waitcnt vmcnt(53) lgkmcnt(1)
	v_mul_f64 v[58:59], v[8:9], v[66:67]
	s_waitcnt vmcnt(52)
	v_fma_f64 v[52:53], v[2:3], v[62:63], -v[52:53]
	v_mul_f64 v[40:41], v[6:7], v[66:67]
	v_fma_f64 v[48:49], v[4:5], v[62:63], v[48:49]
	ds_read_b128 v[2:5], v1 offset:1056
	v_add_f64 v[18:19], v[18:19], v[56:57]
	s_waitcnt vmcnt(51) lgkmcnt(1)
	v_mul_f64 v[56:57], v[12:13], v[68:69]
	v_add_f64 v[14:15], v[14:15], v[44:45]
	v_mul_f64 v[44:45], v[10:11], v[68:69]
	s_waitcnt vmcnt(49)
	v_fma_f64 v[58:59], v[6:7], v[72:73], -v[58:59]
	v_fma_f64 v[40:41], v[8:9], v[72:73], v[40:41]
	s_waitcnt vmcnt(45) lgkmcnt(0)
	v_mul_f64 v[64:65], v[4:5], v[78:79]
	v_mul_f64 v[62:63], v[2:3], v[78:79]
	v_add_f64 v[18:19], v[18:19], v[52:53]
	s_waitcnt vmcnt(44)
	v_fma_f64 v[56:57], v[10:11], v[70:71], -v[56:57]
	v_add_f64 v[14:15], v[14:15], v[48:49]
	s_clause 0x3
	buffer_load_dword v48, off, s[0:3], 0 offset:192
	buffer_load_dword v49, off, s[0:3], 0 offset:196
	;; [unrolled: 1-line block ×4, first 2 shown]
	ds_read_b128 v[6:9], v1 offset:1072
	v_fma_f64 v[44:45], v[12:13], v[70:71], v[44:45]
	ds_read_b128 v[10:13], v1 offset:1088
	v_add_f64 v[18:19], v[18:19], v[58:59]
	v_add_f64 v[14:15], v[14:15], v[40:41]
	s_waitcnt vmcnt(47) lgkmcnt(1)
	v_mul_f64 v[58:59], v[8:9], v[80:81]
	v_mul_f64 v[40:41], v[6:7], v[80:81]
	s_waitcnt vmcnt(45)
	v_fma_f64 v[64:65], v[2:3], v[76:77], -v[64:65]
	v_add_f64 v[18:19], v[18:19], v[56:57]
	v_fma_f64 v[56:57], v[4:5], v[76:77], v[62:63]
	v_add_f64 v[14:15], v[14:15], v[44:45]
	s_waitcnt vmcnt(41) lgkmcnt(0)
	v_mul_f64 v[44:45], v[10:11], v[20:21]
	v_mul_f64 v[20:21], v[12:13], v[20:21]
	ds_read_b128 v[2:5], v1 offset:1104
	s_waitcnt vmcnt(40)
	v_fma_f64 v[58:59], v[6:7], v[82:83], -v[58:59]
	v_fma_f64 v[40:41], v[8:9], v[82:83], v[40:41]
	ds_read_b128 v[6:9], v1 offset:1120
	v_add_f64 v[18:19], v[18:19], v[64:65]
	v_add_f64 v[14:15], v[14:15], v[56:57]
	s_waitcnt vmcnt(39) lgkmcnt(1)
	v_mul_f64 v[62:63], v[4:5], v[167:168]
	v_mul_f64 v[56:57], v[2:3], v[167:168]
	s_waitcnt vmcnt(37)
	v_fma_f64 v[20:21], v[10:11], v[16:17], -v[20:21]
	v_fma_f64 v[16:17], v[12:13], v[16:17], v[44:45]
	ds_read_b128 v[10:13], v1 offset:1136
	v_add_f64 v[18:19], v[18:19], v[58:59]
	v_add_f64 v[14:15], v[14:15], v[40:41]
	s_waitcnt vmcnt(33) lgkmcnt(1)
	v_mul_f64 v[40:41], v[6:7], v[28:29]
	v_mul_f64 v[28:29], v[8:9], v[28:29]
	s_waitcnt vmcnt(32)
	v_fma_f64 v[44:45], v[2:3], v[169:170], -v[62:63]
	v_add_f64 v[18:19], v[18:19], v[20:21]
	v_fma_f64 v[20:21], v[4:5], v[169:170], v[56:57]
	v_add_f64 v[14:15], v[14:15], v[16:17]
	ds_read_b128 v[2:5], v1 offset:1152
	s_waitcnt vmcnt(31) lgkmcnt(1)
	v_mul_f64 v[56:57], v[12:13], v[74:75]
	v_mul_f64 v[16:17], v[10:11], v[74:75]
	s_waitcnt vmcnt(29)
	v_fma_f64 v[28:29], v[6:7], v[26:27], -v[28:29]
	v_fma_f64 v[26:27], v[8:9], v[26:27], v[40:41]
	ds_read_b128 v[6:9], v1 offset:1168
	v_add_f64 v[18:19], v[18:19], v[44:45]
	v_add_f64 v[14:15], v[14:15], v[20:21]
	s_waitcnt vmcnt(25) lgkmcnt(1)
	v_mul_f64 v[20:21], v[2:3], v[22:23]
	v_mul_f64 v[22:23], v[4:5], v[22:23]
	s_waitcnt vmcnt(24)
	v_fma_f64 v[40:41], v[10:11], v[165:166], -v[56:57]
	v_fma_f64 v[16:17], v[12:13], v[165:166], v[16:17]
	ds_read_b128 v[10:13], v1 offset:1184
	v_add_f64 v[18:19], v[18:19], v[28:29]
	v_add_f64 v[14:15], v[14:15], v[26:27]
	;; [unrolled: 9-line block ×3, first 2 shown]
	s_waitcnt vmcnt(17) lgkmcnt(1)
	v_mul_f64 v[24:25], v[12:13], v[30:31]
	s_waitcnt vmcnt(16)
	v_fma_f64 v[28:29], v[6:7], v[163:164], -v[28:29]
	v_mul_f64 v[16:17], v[10:11], v[30:31]
	v_add_f64 v[18:19], v[18:19], v[22:23]
	v_fma_f64 v[22:23], v[8:9], v[163:164], v[26:27]
	v_add_f64 v[14:15], v[14:15], v[20:21]
	ds_read_b128 v[6:9], v1 offset:1216
	s_waitcnt vmcnt(15) lgkmcnt(1)
	v_mul_f64 v[26:27], v[4:5], v[42:43]
	v_mul_f64 v[20:21], v[2:3], v[42:43]
	s_waitcnt vmcnt(13)
	v_fma_f64 v[24:25], v[10:11], v[34:35], -v[24:25]
	v_fma_f64 v[16:17], v[12:13], v[34:35], v[16:17]
	ds_read_b128 v[10:13], v1 offset:1232
	v_add_f64 v[18:19], v[18:19], v[28:29]
	v_add_f64 v[14:15], v[14:15], v[22:23]
	s_waitcnt vmcnt(9) lgkmcnt(1)
	v_mul_f64 v[28:29], v[8:9], v[32:33]
	s_waitcnt vmcnt(8)
	v_fma_f64 v[2:3], v[2:3], v[46:47], -v[26:27]
	v_mul_f64 v[22:23], v[6:7], v[32:33]
	v_fma_f64 v[4:5], v[4:5], v[46:47], v[20:21]
	v_add_f64 v[18:19], v[18:19], v[24:25]
	v_add_f64 v[14:15], v[14:15], v[16:17]
	s_waitcnt vmcnt(7) lgkmcnt(0)
	v_mul_f64 v[20:21], v[12:13], v[50:51]
	v_mul_f64 v[16:17], v[10:11], v[50:51]
	s_waitcnt vmcnt(5)
	v_fma_f64 v[6:7], v[6:7], v[36:37], -v[28:29]
	v_fma_f64 v[8:9], v[8:9], v[36:37], v[22:23]
	v_add_f64 v[2:3], v[18:19], v[2:3]
	v_add_f64 v[4:5], v[14:15], v[4:5]
	s_waitcnt vmcnt(4)
	v_fma_f64 v[10:11], v[10:11], v[54:55], -v[20:21]
	v_add_f64 v[2:3], v[2:3], v[6:7]
	v_fma_f64 v[6:7], v[12:13], v[54:55], v[16:17]
	v_add_f64 v[4:5], v[4:5], v[8:9]
	v_add_f64 v[2:3], v[2:3], v[10:11]
	;; [unrolled: 1-line block ×3, first 2 shown]
	s_waitcnt vmcnt(2)
	v_add_f64 v[2:3], v[48:49], -v[2:3]
	s_waitcnt vmcnt(0)
	v_add_f64 v[4:5], v[52:53], -v[4:5]
	buffer_store_dword v3, off, s[0:3], 0 offset:196
	buffer_store_dword v2, off, s[0:3], 0 offset:192
	;; [unrolled: 1-line block ×4, first 2 shown]
	v_cmpx_lt_u32_e32 10, v0
	s_cbranch_execz .LBB38_227
; %bb.226:
	v_mov_b32_e32 v5, s41
	s_clause 0x3
	buffer_load_dword v2, v5, s[0:3], 0 offen
	buffer_load_dword v3, v5, s[0:3], 0 offen offset:4
	buffer_load_dword v4, v5, s[0:3], 0 offen offset:8
	;; [unrolled: 1-line block ×3, first 2 shown]
	buffer_store_dword v1, off, s[0:3], 0 offset:176
	buffer_store_dword v1, off, s[0:3], 0 offset:180
	;; [unrolled: 1-line block ×4, first 2 shown]
	s_waitcnt vmcnt(0)
	ds_write_b128 v61, v[2:5]
.LBB38_227:
	s_or_b32 exec_lo, exec_lo, s4
	s_waitcnt lgkmcnt(0)
	s_waitcnt_vscnt null, 0x0
	s_barrier
	buffer_gl0_inv
	s_clause 0x37
	buffer_load_dword v10, off, s[0:3], 0 offset:200
	buffer_load_dword v11, off, s[0:3], 0 offset:204
	;; [unrolled: 1-line block ×56, first 2 shown]
	ds_read_b128 v[2:5], v1 offset:800
	s_clause 0x2
	buffer_load_dword v69, off, s[0:3], 0 offset:428
	buffer_load_dword v73, off, s[0:3], 0 offset:404
	;; [unrolled: 1-line block ×3, first 2 shown]
	ds_read_b128 v[6:9], v1 offset:816
	s_clause 0x4
	buffer_load_dword v79, off, s[0:3], 0 offset:444
	buffer_load_dword v80, off, s[0:3], 0 offset:456
	;; [unrolled: 1-line block ×5, first 2 shown]
	s_mov_b32 s4, exec_lo
	s_waitcnt vmcnt(62) lgkmcnt(1)
	v_mul_f64 v[74:75], v[4:5], v[10:11]
	v_mul_f64 v[76:77], v[2:3], v[10:11]
	s_waitcnt vmcnt(60) lgkmcnt(0)
	v_mul_f64 v[83:84], v[8:9], v[14:15]
	ds_read_b128 v[10:13], v1 offset:832
	v_mul_f64 v[14:15], v[6:7], v[14:15]
	s_waitcnt vmcnt(58)
	v_fma_f64 v[74:75], v[2:3], v[16:17], -v[74:75]
	v_fma_f64 v[16:17], v[4:5], v[16:17], v[76:77]
	s_clause 0x2
	buffer_load_dword v81, off, s[0:3], 0 offset:460
	buffer_load_dword v77, off, s[0:3], 0 offset:436
	;; [unrolled: 1-line block ×3, first 2 shown]
	s_waitcnt vmcnt(59) lgkmcnt(0)
	v_mul_f64 v[163:164], v[10:11], v[18:19]
	v_mul_f64 v[18:19], v[12:13], v[18:19]
	s_waitcnt vmcnt(57)
	v_fma_f64 v[165:166], v[6:7], v[20:21], -v[83:84]
	ds_read_b128 v[2:5], v1 offset:848
	v_fma_f64 v[14:15], v[8:9], v[20:21], v[14:15]
	s_clause 0x4
	buffer_load_dword v21, off, s[0:3], 0 offset:476
	buffer_load_dword v167, off, s[0:3], 0 offset:488
	;; [unrolled: 1-line block ×5, first 2 shown]
	ds_read_b128 v[6:9], v1 offset:864
	v_add_f64 v[74:75], v[74:75], 0
	v_add_f64 v[16:17], v[16:17], 0
	s_waitcnt vmcnt(58) lgkmcnt(1)
	v_mul_f64 v[170:171], v[2:3], v[22:23]
	v_mul_f64 v[22:23], v[4:5], v[22:23]
	s_waitcnt vmcnt(56)
	v_fma_f64 v[18:19], v[10:11], v[28:29], -v[18:19]
	v_fma_f64 v[28:29], v[12:13], v[28:29], v[163:164]
	s_waitcnt vmcnt(55) lgkmcnt(0)
	v_mul_f64 v[163:164], v[6:7], v[24:25]
	v_mul_f64 v[24:25], v[8:9], v[24:25]
	v_add_f64 v[74:75], v[74:75], v[165:166]
	v_add_f64 v[14:15], v[16:17], v[14:15]
	s_clause 0x2
	buffer_load_dword v168, off, s[0:3], 0 offset:492
	buffer_load_dword v17, off, s[0:3], 0 offset:468
	buffer_load_dword v16, off, s[0:3], 0 offset:464
	ds_read_b128 v[10:13], v1 offset:880
	s_waitcnt vmcnt(56)
	v_fma_f64 v[22:23], v[2:3], v[30:31], -v[22:23]
	v_fma_f64 v[30:31], v[4:5], v[30:31], v[170:171]
	s_waitcnt vmcnt(51)
	v_fma_f64 v[24:25], v[6:7], v[26:27], -v[24:25]
	v_add_f64 v[18:19], v[74:75], v[18:19]
	v_add_f64 v[14:15], v[14:15], v[28:29]
	s_clause 0x4
	buffer_load_dword v29, off, s[0:3], 0 offset:508
	buffer_load_dword v74, off, s[0:3], 0 offset:520
	;; [unrolled: 1-line block ×5, first 2 shown]
	s_waitcnt lgkmcnt(0)
	v_mul_f64 v[171:172], v[10:11], v[32:33]
	v_mul_f64 v[32:33], v[12:13], v[32:33]
	ds_read_b128 v[2:5], v1 offset:896
	v_add_f64 v[18:19], v[18:19], v[22:23]
	v_fma_f64 v[22:23], v[8:9], v[26:27], v[163:164]
	v_add_f64 v[14:15], v[14:15], v[30:31]
	s_clause 0x2
	buffer_load_dword v75, off, s[0:3], 0 offset:524
	buffer_load_dword v27, off, s[0:3], 0 offset:500
	;; [unrolled: 1-line block ×3, first 2 shown]
	s_waitcnt vmcnt(58) lgkmcnt(0)
	v_mul_f64 v[30:31], v[2:3], v[34:35]
	v_mul_f64 v[34:35], v[4:5], v[34:35]
	s_waitcnt vmcnt(56)
	v_fma_f64 v[32:33], v[10:11], v[38:39], -v[32:33]
	ds_read_b128 v[6:9], v1 offset:912
	v_add_f64 v[18:19], v[18:19], v[24:25]
	v_fma_f64 v[24:25], v[12:13], v[38:39], v[171:172]
	v_add_f64 v[14:15], v[14:15], v[22:23]
	s_clause 0x4
	buffer_load_dword v23, off, s[0:3], 0 offset:540
	buffer_load_dword v38, off, s[0:3], 0 offset:552
	;; [unrolled: 1-line block ×5, first 2 shown]
	ds_read_b128 v[10:13], v1 offset:928
	s_waitcnt vmcnt(57) lgkmcnt(1)
	v_mul_f64 v[171:172], v[6:7], v[40:41]
	v_mul_f64 v[40:41], v[8:9], v[40:41]
	s_waitcnt vmcnt(56)
	v_fma_f64 v[34:35], v[2:3], v[36:37], -v[34:35]
	v_fma_f64 v[30:31], v[4:5], v[36:37], v[30:31]
	v_add_f64 v[18:19], v[18:19], v[32:33]
	v_add_f64 v[14:15], v[14:15], v[24:25]
	s_clause 0x2
	buffer_load_dword v39, off, s[0:3], 0 offset:556
	buffer_load_dword v25, off, s[0:3], 0 offset:532
	;; [unrolled: 1-line block ×3, first 2 shown]
	s_waitcnt vmcnt(58) lgkmcnt(0)
	v_mul_f64 v[36:37], v[12:13], v[42:43]
	ds_read_b128 v[2:5], v1 offset:944
	s_waitcnt vmcnt(56)
	v_fma_f64 v[40:41], v[6:7], v[46:47], -v[40:41]
	v_mul_f64 v[32:33], v[10:11], v[42:43]
	v_add_f64 v[18:19], v[18:19], v[34:35]
	v_fma_f64 v[34:35], v[8:9], v[46:47], v[171:172]
	v_add_f64 v[14:15], v[14:15], v[30:31]
	s_clause 0x4
	buffer_load_dword v31, off, s[0:3], 0 offset:572
	buffer_load_dword v42, off, s[0:3], 0 offset:584
	;; [unrolled: 1-line block ×5, first 2 shown]
	s_waitcnt vmcnt(57) lgkmcnt(0)
	v_mul_f64 v[171:172], v[2:3], v[48:49]
	v_mul_f64 v[47:48], v[4:5], v[48:49]
	s_waitcnt vmcnt(56)
	v_fma_f64 v[36:37], v[10:11], v[44:45], -v[36:37]
	ds_read_b128 v[6:9], v1 offset:960
	v_fma_f64 v[32:33], v[12:13], v[44:45], v[32:33]
	v_add_f64 v[18:19], v[18:19], v[40:41]
	v_add_f64 v[14:15], v[14:15], v[34:35]
	s_clause 0x2
	buffer_load_dword v43, off, s[0:3], 0 offset:588
	buffer_load_dword v35, off, s[0:3], 0 offset:564
	;; [unrolled: 1-line block ×3, first 2 shown]
	ds_read_b128 v[10:13], v1 offset:976
	s_waitcnt vmcnt(58) lgkmcnt(1)
	v_mul_f64 v[44:45], v[8:9], v[50:51]
	s_waitcnt vmcnt(56)
	v_fma_f64 v[48:49], v[2:3], v[54:55], -v[47:48]
	v_mul_f64 v[40:41], v[6:7], v[50:51]
	v_add_f64 v[18:19], v[18:19], v[36:37]
	v_fma_f64 v[36:37], v[4:5], v[54:55], v[171:172]
	v_add_f64 v[14:15], v[14:15], v[32:33]
	s_clause 0x4
	buffer_load_dword v33, off, s[0:3], 0 offset:604
	buffer_load_dword v50, off, s[0:3], 0 offset:616
	buffer_load_dword v54, off, s[0:3], 0 offset:608
	buffer_load_dword v32, off, s[0:3], 0 offset:600
	buffer_load_dword v47, off, s[0:3], 0 offset:580
	s_waitcnt vmcnt(57) lgkmcnt(0)
	v_mul_f64 v[171:172], v[10:11], v[56:57]
	v_mul_f64 v[55:56], v[12:13], v[56:57]
	s_waitcnt vmcnt(56)
	v_fma_f64 v[44:45], v[6:7], v[52:53], -v[44:45]
	ds_read_b128 v[2:5], v1 offset:992
	v_fma_f64 v[40:41], v[8:9], v[52:53], v[40:41]
	v_add_f64 v[18:19], v[18:19], v[48:49]
	v_add_f64 v[14:15], v[14:15], v[36:37]
	s_clause 0x2
	buffer_load_dword v51, off, s[0:3], 0 offset:620
	buffer_load_dword v37, off, s[0:3], 0 offset:596
	;; [unrolled: 1-line block ×3, first 2 shown]
	ds_read_b128 v[6:9], v1 offset:1008
	s_waitcnt vmcnt(58) lgkmcnt(1)
	v_mul_f64 v[52:53], v[4:5], v[58:59]
	s_waitcnt vmcnt(56)
	v_fma_f64 v[56:57], v[10:11], v[64:65], -v[55:56]
	v_mul_f64 v[48:49], v[2:3], v[58:59]
	v_add_f64 v[18:19], v[18:19], v[44:45]
	v_fma_f64 v[44:45], v[12:13], v[64:65], v[171:172]
	v_add_f64 v[14:15], v[14:15], v[40:41]
	s_clause 0x2
	buffer_load_dword v41, off, s[0:3], 0 offset:636
	buffer_load_dword v40, off, s[0:3], 0 offset:632
	;; [unrolled: 1-line block ×3, first 2 shown]
	s_waitcnt vmcnt(55) lgkmcnt(0)
	v_mul_f64 v[64:65], v[8:9], v[66:67]
	s_waitcnt vmcnt(54)
	v_fma_f64 v[52:53], v[2:3], v[62:63], -v[52:53]
	ds_read_b128 v[10:13], v1 offset:1024
	v_mul_f64 v[58:59], v[6:7], v[66:67]
	v_fma_f64 v[48:49], v[4:5], v[62:63], v[48:49]
	v_add_f64 v[18:19], v[18:19], v[56:57]
	v_add_f64 v[14:15], v[14:15], v[44:45]
	s_clause 0x1
	buffer_load_dword v45, off, s[0:3], 0 offset:628
	buffer_load_dword v44, off, s[0:3], 0 offset:624
	s_waitcnt vmcnt(55) lgkmcnt(0)
	v_mul_f64 v[62:63], v[12:13], v[68:69]
	s_waitcnt vmcnt(53)
	v_fma_f64 v[64:65], v[6:7], v[72:73], -v[64:65]
	ds_read_b128 v[2:5], v1 offset:1040
	v_mul_f64 v[56:57], v[10:11], v[68:69]
	v_add_f64 v[18:19], v[18:19], v[52:53]
	v_fma_f64 v[52:53], v[8:9], v[72:73], v[58:59]
	v_add_f64 v[14:15], v[14:15], v[48:49]
	ds_read_b128 v[6:9], v1 offset:1056
	s_waitcnt vmcnt(49) lgkmcnt(1)
	v_mul_f64 v[58:59], v[4:5], v[78:79]
	s_waitcnt vmcnt(48)
	v_fma_f64 v[62:63], v[10:11], v[70:71], -v[62:63]
	v_mul_f64 v[48:49], v[2:3], v[78:79]
	v_fma_f64 v[56:57], v[12:13], v[70:71], v[56:57]
	v_add_f64 v[18:19], v[18:19], v[64:65]
	v_add_f64 v[14:15], v[14:15], v[52:53]
	s_clause 0x3
	buffer_load_dword v52, off, s[0:3], 0 offset:176
	buffer_load_dword v53, off, s[0:3], 0 offset:180
	;; [unrolled: 1-line block ×4, first 2 shown]
	ds_read_b128 v[10:13], v1 offset:1072
	s_waitcnt vmcnt(51) lgkmcnt(1)
	v_mul_f64 v[68:69], v[8:9], v[80:81]
	v_mul_f64 v[66:67], v[6:7], v[80:81]
	s_waitcnt vmcnt(49)
	v_fma_f64 v[58:59], v[2:3], v[76:77], -v[58:59]
	v_fma_f64 v[48:49], v[4:5], v[76:77], v[48:49]
	ds_read_b128 v[2:5], v1 offset:1088
	v_add_f64 v[18:19], v[18:19], v[62:63]
	v_add_f64 v[14:15], v[14:15], v[56:57]
	s_waitcnt vmcnt(45) lgkmcnt(1)
	v_mul_f64 v[56:57], v[10:11], v[20:21]
	v_mul_f64 v[20:21], v[12:13], v[20:21]
	s_waitcnt vmcnt(44)
	v_fma_f64 v[62:63], v[6:7], v[82:83], -v[68:69]
	v_add_f64 v[18:19], v[18:19], v[58:59]
	v_fma_f64 v[58:59], v[8:9], v[82:83], v[66:67]
	v_add_f64 v[14:15], v[14:15], v[48:49]
	ds_read_b128 v[6:9], v1 offset:1104
	s_waitcnt vmcnt(43) lgkmcnt(1)
	v_mul_f64 v[66:67], v[4:5], v[167:168]
	v_mul_f64 v[48:49], v[2:3], v[167:168]
	s_waitcnt vmcnt(41)
	v_fma_f64 v[20:21], v[10:11], v[16:17], -v[20:21]
	v_fma_f64 v[16:17], v[12:13], v[16:17], v[56:57]
	ds_read_b128 v[10:13], v1 offset:1120
	v_add_f64 v[18:19], v[18:19], v[62:63]
	v_add_f64 v[14:15], v[14:15], v[58:59]
	s_waitcnt vmcnt(37) lgkmcnt(1)
	v_mul_f64 v[56:57], v[6:7], v[28:29]
	v_mul_f64 v[28:29], v[8:9], v[28:29]
	s_waitcnt vmcnt(36)
	v_fma_f64 v[58:59], v[2:3], v[169:170], -v[66:67]
	v_add_f64 v[18:19], v[18:19], v[20:21]
	v_fma_f64 v[20:21], v[4:5], v[169:170], v[48:49]
	v_add_f64 v[14:15], v[14:15], v[16:17]
	ds_read_b128 v[2:5], v1 offset:1136
	s_waitcnt vmcnt(35) lgkmcnt(1)
	v_mul_f64 v[48:49], v[12:13], v[74:75]
	v_mul_f64 v[16:17], v[10:11], v[74:75]
	s_waitcnt vmcnt(33)
	v_fma_f64 v[28:29], v[6:7], v[26:27], -v[28:29]
	v_fma_f64 v[26:27], v[8:9], v[26:27], v[56:57]
	ds_read_b128 v[6:9], v1 offset:1152
	v_add_f64 v[18:19], v[18:19], v[58:59]
	v_add_f64 v[14:15], v[14:15], v[20:21]
	s_waitcnt vmcnt(29) lgkmcnt(1)
	v_mul_f64 v[20:21], v[2:3], v[22:23]
	v_mul_f64 v[22:23], v[4:5], v[22:23]
	s_waitcnt vmcnt(28)
	v_fma_f64 v[48:49], v[10:11], v[165:166], -v[48:49]
	v_fma_f64 v[16:17], v[12:13], v[165:166], v[16:17]
	ds_read_b128 v[10:13], v1 offset:1168
	v_add_f64 v[18:19], v[18:19], v[28:29]
	v_add_f64 v[14:15], v[14:15], v[26:27]
	;; [unrolled: 9-line block ×3, first 2 shown]
	s_waitcnt vmcnt(21) lgkmcnt(1)
	v_mul_f64 v[24:25], v[12:13], v[30:31]
	s_waitcnt vmcnt(20)
	v_fma_f64 v[28:29], v[6:7], v[163:164], -v[28:29]
	v_mul_f64 v[16:17], v[10:11], v[30:31]
	v_add_f64 v[18:19], v[18:19], v[22:23]
	v_fma_f64 v[22:23], v[8:9], v[163:164], v[26:27]
	v_add_f64 v[14:15], v[14:15], v[20:21]
	ds_read_b128 v[6:9], v1 offset:1200
	s_waitcnt vmcnt(19) lgkmcnt(1)
	v_mul_f64 v[26:27], v[4:5], v[42:43]
	v_mul_f64 v[20:21], v[2:3], v[42:43]
	s_waitcnt vmcnt(17)
	v_fma_f64 v[24:25], v[10:11], v[34:35], -v[24:25]
	v_fma_f64 v[16:17], v[12:13], v[34:35], v[16:17]
	ds_read_b128 v[10:13], v1 offset:1216
	v_add_f64 v[18:19], v[18:19], v[28:29]
	v_add_f64 v[14:15], v[14:15], v[22:23]
	s_waitcnt vmcnt(13) lgkmcnt(1)
	v_mul_f64 v[28:29], v[8:9], v[32:33]
	s_waitcnt vmcnt(12)
	v_fma_f64 v[26:27], v[2:3], v[46:47], -v[26:27]
	v_mul_f64 v[22:23], v[6:7], v[32:33]
	v_fma_f64 v[20:21], v[4:5], v[46:47], v[20:21]
	ds_read_b128 v[1:4], v1 offset:1232
	v_add_f64 v[18:19], v[18:19], v[24:25]
	v_add_f64 v[14:15], v[14:15], v[16:17]
	s_waitcnt vmcnt(11) lgkmcnt(1)
	v_mul_f64 v[24:25], v[12:13], v[50:51]
	v_mul_f64 v[16:17], v[10:11], v[50:51]
	s_waitcnt vmcnt(9)
	v_fma_f64 v[5:6], v[6:7], v[36:37], -v[28:29]
	v_fma_f64 v[7:8], v[8:9], v[36:37], v[22:23]
	v_add_f64 v[18:19], v[18:19], v[26:27]
	v_add_f64 v[14:15], v[14:15], v[20:21]
	s_waitcnt vmcnt(7) lgkmcnt(0)
	v_mul_f64 v[22:23], v[3:4], v[40:41]
	s_waitcnt vmcnt(6)
	v_fma_f64 v[9:10], v[10:11], v[54:55], -v[24:25]
	v_mul_f64 v[20:21], v[1:2], v[40:41]
	v_fma_f64 v[11:12], v[12:13], v[54:55], v[16:17]
	v_add_f64 v[5:6], v[18:19], v[5:6]
	v_add_f64 v[7:8], v[14:15], v[7:8]
	s_waitcnt vmcnt(4)
	v_fma_f64 v[1:2], v[1:2], v[44:45], -v[22:23]
	v_fma_f64 v[3:4], v[3:4], v[44:45], v[20:21]
	v_add_f64 v[5:6], v[5:6], v[9:10]
	v_add_f64 v[7:8], v[7:8], v[11:12]
	;; [unrolled: 1-line block ×4, first 2 shown]
	s_waitcnt vmcnt(2)
	v_add_f64 v[1:2], v[52:53], -v[1:2]
	s_waitcnt vmcnt(0)
	v_add_f64 v[3:4], v[64:65], -v[3:4]
	buffer_store_dword v2, off, s[0:3], 0 offset:180
	buffer_store_dword v1, off, s[0:3], 0 offset:176
	;; [unrolled: 1-line block ×4, first 2 shown]
	v_cmpx_lt_u32_e32 9, v0
	s_cbranch_execz .LBB38_229
; %bb.228:
	v_mov_b32_e32 v4, s42
	v_mov_b32_e32 v5, 0
	s_clause 0x3
	buffer_load_dword v1, v4, s[0:3], 0 offen
	buffer_load_dword v2, v4, s[0:3], 0 offen offset:4
	buffer_load_dword v3, v4, s[0:3], 0 offen offset:8
	buffer_load_dword v4, v4, s[0:3], 0 offen offset:12
	buffer_store_dword v5, off, s[0:3], 0 offset:160
	buffer_store_dword v5, off, s[0:3], 0 offset:164
	;; [unrolled: 1-line block ×4, first 2 shown]
	s_waitcnt vmcnt(0)
	ds_write_b128 v61, v[1:4]
.LBB38_229:
	s_or_b32 exec_lo, exec_lo, s4
	s_waitcnt lgkmcnt(0)
	s_waitcnt_vscnt null, 0x0
	s_barrier
	buffer_gl0_inv
	s_clause 0x37
	buffer_load_dword v9, off, s[0:3], 0 offset:184
	buffer_load_dword v10, off, s[0:3], 0 offset:188
	;; [unrolled: 1-line block ×56, first 2 shown]
	v_mov_b32_e32 v11, 0
	s_mov_b32 s4, exec_lo
	ds_read_b128 v[5:8], v11 offset:784
	s_clause 0x2
	buffer_load_dword v71, off, s[0:3], 0 offset:412
	buffer_load_dword v75, off, s[0:3], 0 offset:388
	;; [unrolled: 1-line block ×3, first 2 shown]
	ds_read_b128 v[12:15], v11 offset:800
	s_clause 0x4
	buffer_load_dword v79, off, s[0:3], 0 offset:428
	buffer_load_dword v80, off, s[0:3], 0 offset:440
	;; [unrolled: 1-line block ×5, first 2 shown]
	ds_read_b128 v[16:19], v11 offset:816
	s_waitcnt vmcnt(62) lgkmcnt(2)
	v_mul_f64 v[76:77], v[7:8], v[9:10]
	v_mul_f64 v[9:10], v[5:6], v[9:10]
	s_waitcnt vmcnt(60) lgkmcnt(1)
	v_mul_f64 v[83:84], v[14:15], v[20:21]
	v_mul_f64 v[20:21], v[12:13], v[20:21]
	s_waitcnt vmcnt(56) lgkmcnt(0)
	v_mul_f64 v[165:166], v[18:19], v[3:4]
	v_mul_f64 v[163:164], v[16:17], v[3:4]
	v_fma_f64 v[76:77], v[5:6], v[22:23], -v[76:77]
	v_fma_f64 v[9:10], v[7:8], v[22:23], v[9:10]
	s_clause 0x2
	buffer_load_dword v81, off, s[0:3], 0 offset:444
	buffer_load_dword v23, off, s[0:3], 0 offset:420
	;; [unrolled: 1-line block ×3, first 2 shown]
	s_waitcnt vmcnt(57)
	v_fma_f64 v[12:13], v[12:13], v[1:2], -v[83:84]
	ds_read_b128 v[5:8], v11 offset:832
	v_fma_f64 v[14:15], v[14:15], v[1:2], v[20:21]
	s_clause 0x4
	buffer_load_dword v21, off, s[0:3], 0 offset:460
	buffer_load_dword v167, off, s[0:3], 0 offset:472
	buffer_load_dword v169, off, s[0:3], 0 offset:464
	buffer_load_dword v20, off, s[0:3], 0 offset:456
	buffer_load_dword v83, off, s[0:3], 0 offset:436
	s_waitcnt vmcnt(56)
	v_fma_f64 v[16:17], v[16:17], v[30:31], -v[165:166]
	ds_read_b128 v[1:4], v11 offset:848
	v_fma_f64 v[18:19], v[18:19], v[30:31], v[163:164]
	s_clause 0x2
	buffer_load_dword v168, off, s[0:3], 0 offset:476
	buffer_load_dword v31, off, s[0:3], 0 offset:452
	;; [unrolled: 1-line block ×3, first 2 shown]
	v_add_f64 v[76:77], v[76:77], 0
	v_add_f64 v[9:10], v[9:10], 0
	s_waitcnt lgkmcnt(1)
	v_mul_f64 v[170:171], v[5:6], v[24:25]
	v_mul_f64 v[24:25], v[7:8], v[24:25]
	s_waitcnt vmcnt(58) lgkmcnt(0)
	v_mul_f64 v[163:164], v[1:2], v[26:27]
	v_mul_f64 v[26:27], v[3:4], v[26:27]
	v_add_f64 v[76:77], v[76:77], v[12:13]
	v_add_f64 v[9:10], v[9:10], v[14:15]
	ds_read_b128 v[12:15], v11 offset:864
	s_waitcnt vmcnt(56)
	v_fma_f64 v[24:25], v[5:6], v[32:33], -v[24:25]
	v_fma_f64 v[32:33], v[7:8], v[32:33], v[170:171]
	s_waitcnt vmcnt(51)
	v_fma_f64 v[26:27], v[1:2], v[28:29], -v[26:27]
	s_waitcnt lgkmcnt(0)
	v_mul_f64 v[171:172], v[12:13], v[34:35]
	v_add_f64 v[16:17], v[76:77], v[16:17]
	v_add_f64 v[9:10], v[9:10], v[18:19]
	s_clause 0x4
	buffer_load_dword v19, off, s[0:3], 0 offset:492
	buffer_load_dword v76, off, s[0:3], 0 offset:504
	;; [unrolled: 1-line block ×5, first 2 shown]
	v_mul_f64 v[34:35], v[14:15], v[34:35]
	ds_read_b128 v[5:8], v11 offset:880
	v_add_f64 v[16:17], v[16:17], v[24:25]
	v_fma_f64 v[24:25], v[3:4], v[28:29], v[163:164]
	v_add_f64 v[9:10], v[9:10], v[32:33]
	s_clause 0x2
	buffer_load_dword v77, off, s[0:3], 0 offset:508
	buffer_load_dword v29, off, s[0:3], 0 offset:484
	buffer_load_dword v28, off, s[0:3], 0 offset:480
	s_waitcnt vmcnt(58) lgkmcnt(0)
	v_mul_f64 v[32:33], v[5:6], v[36:37]
	v_mul_f64 v[36:37], v[7:8], v[36:37]
	s_waitcnt vmcnt(56)
	v_fma_f64 v[34:35], v[12:13], v[40:41], -v[34:35]
	ds_read_b128 v[1:4], v11 offset:896
	v_add_f64 v[16:17], v[16:17], v[26:27]
	v_fma_f64 v[26:27], v[14:15], v[40:41], v[171:172]
	v_add_f64 v[9:10], v[9:10], v[24:25]
	s_clause 0x4
	buffer_load_dword v25, off, s[0:3], 0 offset:524
	buffer_load_dword v40, off, s[0:3], 0 offset:536
	buffer_load_dword v163, off, s[0:3], 0 offset:528
	buffer_load_dword v24, off, s[0:3], 0 offset:520
	buffer_load_dword v166, off, s[0:3], 0 offset:500
	ds_read_b128 v[12:15], v11 offset:912
	s_waitcnt vmcnt(57) lgkmcnt(1)
	v_mul_f64 v[171:172], v[1:2], v[42:43]
	v_mul_f64 v[42:43], v[3:4], v[42:43]
	s_waitcnt vmcnt(56)
	v_fma_f64 v[36:37], v[5:6], v[38:39], -v[36:37]
	v_fma_f64 v[32:33], v[7:8], v[38:39], v[32:33]
	v_add_f64 v[16:17], v[16:17], v[34:35]
	v_add_f64 v[9:10], v[9:10], v[26:27]
	s_clause 0x2
	buffer_load_dword v41, off, s[0:3], 0 offset:540
	buffer_load_dword v27, off, s[0:3], 0 offset:516
	;; [unrolled: 1-line block ×3, first 2 shown]
	s_waitcnt vmcnt(58) lgkmcnt(0)
	v_mul_f64 v[38:39], v[14:15], v[44:45]
	ds_read_b128 v[5:8], v11 offset:928
	s_waitcnt vmcnt(56)
	v_fma_f64 v[42:43], v[1:2], v[48:49], -v[42:43]
	v_mul_f64 v[34:35], v[12:13], v[44:45]
	v_add_f64 v[16:17], v[16:17], v[36:37]
	v_fma_f64 v[36:37], v[3:4], v[48:49], v[171:172]
	v_add_f64 v[9:10], v[9:10], v[32:33]
	s_clause 0x4
	buffer_load_dword v33, off, s[0:3], 0 offset:556
	buffer_load_dword v44, off, s[0:3], 0 offset:568
	buffer_load_dword v48, off, s[0:3], 0 offset:560
	buffer_load_dword v32, off, s[0:3], 0 offset:552
	buffer_load_dword v164, off, s[0:3], 0 offset:532
	s_waitcnt vmcnt(57) lgkmcnt(0)
	v_mul_f64 v[171:172], v[5:6], v[50:51]
	v_mul_f64 v[49:50], v[7:8], v[50:51]
	s_waitcnt vmcnt(56)
	v_fma_f64 v[38:39], v[12:13], v[46:47], -v[38:39]
	ds_read_b128 v[1:4], v11 offset:944
	v_fma_f64 v[34:35], v[14:15], v[46:47], v[34:35]
	v_add_f64 v[16:17], v[16:17], v[42:43]
	v_add_f64 v[9:10], v[9:10], v[36:37]
	s_clause 0x2
	buffer_load_dword v45, off, s[0:3], 0 offset:572
	buffer_load_dword v37, off, s[0:3], 0 offset:548
	buffer_load_dword v36, off, s[0:3], 0 offset:544
	ds_read_b128 v[12:15], v11 offset:960
	s_waitcnt vmcnt(58) lgkmcnt(1)
	v_mul_f64 v[46:47], v[3:4], v[52:53]
	s_waitcnt vmcnt(56)
	v_fma_f64 v[50:51], v[5:6], v[56:57], -v[49:50]
	v_mul_f64 v[42:43], v[1:2], v[52:53]
	v_add_f64 v[16:17], v[16:17], v[38:39]
	v_fma_f64 v[38:39], v[7:8], v[56:57], v[171:172]
	v_add_f64 v[9:10], v[9:10], v[34:35]
	s_clause 0x4
	buffer_load_dword v35, off, s[0:3], 0 offset:588
	buffer_load_dword v52, off, s[0:3], 0 offset:600
	buffer_load_dword v56, off, s[0:3], 0 offset:592
	buffer_load_dword v34, off, s[0:3], 0 offset:584
	buffer_load_dword v49, off, s[0:3], 0 offset:564
	s_waitcnt vmcnt(57) lgkmcnt(0)
	v_mul_f64 v[171:172], v[12:13], v[58:59]
	v_mul_f64 v[57:58], v[14:15], v[58:59]
	s_waitcnt vmcnt(56)
	v_fma_f64 v[46:47], v[1:2], v[54:55], -v[46:47]
	ds_read_b128 v[5:8], v11 offset:976
	v_fma_f64 v[42:43], v[3:4], v[54:55], v[42:43]
	v_add_f64 v[16:17], v[16:17], v[50:51]
	v_add_f64 v[9:10], v[9:10], v[38:39]
	s_clause 0x2
	buffer_load_dword v53, off, s[0:3], 0 offset:604
	buffer_load_dword v39, off, s[0:3], 0 offset:580
	buffer_load_dword v38, off, s[0:3], 0 offset:576
	ds_read_b128 v[1:4], v11 offset:992
	s_waitcnt vmcnt(58) lgkmcnt(1)
	v_mul_f64 v[54:55], v[7:8], v[62:63]
	;; [unrolled: 28-line block ×3, first 2 shown]
	s_waitcnt vmcnt(56)
	v_fma_f64 v[68:69], v[1:2], v[74:75], -v[67:68]
	v_mul_f64 v[58:59], v[12:13], v[70:71]
	buffer_load_dword v67, off, s[0:3], 0 offset:628
	v_add_f64 v[16:17], v[16:17], v[54:55]
	v_fma_f64 v[54:55], v[3:4], v[74:75], v[171:172]
	v_add_f64 v[9:10], v[9:10], v[50:51]
	ds_read_b128 v[1:4], v11 offset:1040
	s_waitcnt vmcnt(53) lgkmcnt(1)
	v_mul_f64 v[70:71], v[7:8], v[78:79]
	s_waitcnt vmcnt(52)
	v_fma_f64 v[64:65], v[12:13], v[72:73], -v[64:65]
	v_mul_f64 v[50:51], v[5:6], v[78:79]
	v_fma_f64 v[58:59], v[14:15], v[72:73], v[58:59]
	ds_read_b128 v[12:15], v11 offset:1056
	v_add_f64 v[16:17], v[16:17], v[68:69]
	v_add_f64 v[9:10], v[9:10], v[54:55]
	s_waitcnt vmcnt(51) lgkmcnt(1)
	v_mul_f64 v[68:69], v[3:4], v[80:81]
	v_mul_f64 v[54:55], v[1:2], v[80:81]
	s_waitcnt vmcnt(49)
	v_fma_f64 v[70:71], v[5:6], v[22:23], -v[70:71]
	v_fma_f64 v[22:23], v[7:8], v[22:23], v[50:51]
	v_add_f64 v[16:17], v[16:17], v[64:65]
	s_waitcnt vmcnt(45) lgkmcnt(0)
	v_mul_f64 v[64:65], v[12:13], v[20:21]
	v_add_f64 v[9:10], v[9:10], v[58:59]
	s_clause 0x3
	buffer_load_dword v50, off, s[0:3], 0 offset:160
	buffer_load_dword v51, off, s[0:3], 0 offset:164
	;; [unrolled: 1-line block ×4, first 2 shown]
	v_mul_f64 v[20:21], v[14:15], v[20:21]
	ds_read_b128 v[5:8], v11 offset:1072
	s_waitcnt vmcnt(48)
	v_fma_f64 v[68:69], v[1:2], v[82:83], -v[68:69]
	v_fma_f64 v[54:55], v[3:4], v[82:83], v[54:55]
	ds_read_b128 v[1:4], v11 offset:1088
	v_add_f64 v[16:17], v[16:17], v[70:71]
	v_add_f64 v[9:10], v[9:10], v[22:23]
	s_waitcnt vmcnt(47) lgkmcnt(1)
	v_mul_f64 v[70:71], v[7:8], v[167:168]
	s_waitcnt vmcnt(45)
	v_fma_f64 v[20:21], v[12:13], v[30:31], -v[20:21]
	v_mul_f64 v[22:23], v[5:6], v[167:168]
	v_fma_f64 v[30:31], v[14:15], v[30:31], v[64:65]
	ds_read_b128 v[12:15], v11 offset:1104
	v_add_f64 v[16:17], v[16:17], v[68:69]
	v_add_f64 v[9:10], v[9:10], v[54:55]
	s_waitcnt vmcnt(41) lgkmcnt(1)
	v_mul_f64 v[54:55], v[1:2], v[18:19]
	v_mul_f64 v[18:19], v[3:4], v[18:19]
	s_waitcnt vmcnt(40)
	v_fma_f64 v[64:65], v[5:6], v[169:170], -v[70:71]
	v_add_f64 v[16:17], v[16:17], v[20:21]
	v_fma_f64 v[20:21], v[7:8], v[169:170], v[22:23]
	v_add_f64 v[9:10], v[9:10], v[30:31]
	ds_read_b128 v[5:8], v11 offset:1120
	s_waitcnt vmcnt(39) lgkmcnt(1)
	v_mul_f64 v[30:31], v[14:15], v[76:77]
	v_mul_f64 v[22:23], v[12:13], v[76:77]
	s_waitcnt vmcnt(37)
	v_fma_f64 v[18:19], v[1:2], v[28:29], -v[18:19]
	v_fma_f64 v[28:29], v[3:4], v[28:29], v[54:55]
	ds_read_b128 v[1:4], v11 offset:1136
	v_add_f64 v[16:17], v[16:17], v[64:65]
	v_add_f64 v[9:10], v[9:10], v[20:21]
	s_waitcnt vmcnt(33) lgkmcnt(1)
	v_mul_f64 v[20:21], v[5:6], v[24:25]
	v_mul_f64 v[24:25], v[7:8], v[24:25]
	s_waitcnt vmcnt(32)
	v_fma_f64 v[30:31], v[12:13], v[165:166], -v[30:31]
	v_add_f64 v[16:17], v[16:17], v[18:19]
	v_fma_f64 v[18:19], v[14:15], v[165:166], v[22:23]
	v_add_f64 v[9:10], v[9:10], v[28:29]
	ds_read_b128 v[12:15], v11 offset:1152
	s_waitcnt vmcnt(31) lgkmcnt(1)
	v_mul_f64 v[28:29], v[3:4], v[40:41]
	v_mul_f64 v[22:23], v[1:2], v[40:41]
	s_waitcnt vmcnt(29)
	v_fma_f64 v[24:25], v[5:6], v[26:27], -v[24:25]
	v_fma_f64 v[20:21], v[7:8], v[26:27], v[20:21]
	ds_read_b128 v[5:8], v11 offset:1168
	v_add_f64 v[16:17], v[16:17], v[30:31]
	v_add_f64 v[9:10], v[9:10], v[18:19]
	s_waitcnt vmcnt(25) lgkmcnt(1)
	v_mul_f64 v[26:27], v[14:15], v[32:33]
	s_waitcnt vmcnt(24)
	v_fma_f64 v[28:29], v[1:2], v[163:164], -v[28:29]
	v_mul_f64 v[18:19], v[12:13], v[32:33]
	v_fma_f64 v[22:23], v[3:4], v[163:164], v[22:23]
	ds_read_b128 v[1:4], v11 offset:1184
	v_add_f64 v[16:17], v[16:17], v[24:25]
	v_add_f64 v[9:10], v[9:10], v[20:21]
	s_waitcnt vmcnt(23) lgkmcnt(1)
	v_mul_f64 v[24:25], v[7:8], v[44:45]
	v_mul_f64 v[20:21], v[5:6], v[44:45]
	s_waitcnt vmcnt(21)
	v_fma_f64 v[26:27], v[12:13], v[36:37], -v[26:27]
	v_fma_f64 v[18:19], v[14:15], v[36:37], v[18:19]
	ds_read_b128 v[12:15], v11 offset:1200
	v_add_f64 v[16:17], v[16:17], v[28:29]
	v_add_f64 v[9:10], v[9:10], v[22:23]
	s_waitcnt vmcnt(17) lgkmcnt(1)
	v_mul_f64 v[28:29], v[3:4], v[34:35]
	s_waitcnt vmcnt(16)
	v_fma_f64 v[24:25], v[5:6], v[48:49], -v[24:25]
	v_mul_f64 v[22:23], v[1:2], v[34:35]
	v_fma_f64 v[20:21], v[7:8], v[48:49], v[20:21]
	ds_read_b128 v[5:8], v11 offset:1216
	v_add_f64 v[16:17], v[16:17], v[26:27]
	v_add_f64 v[9:10], v[9:10], v[18:19]
	s_waitcnt vmcnt(15) lgkmcnt(1)
	v_mul_f64 v[26:27], v[14:15], v[52:53]
	v_mul_f64 v[18:19], v[12:13], v[52:53]
	s_waitcnt vmcnt(13)
	v_fma_f64 v[28:29], v[1:2], v[38:39], -v[28:29]
	v_fma_f64 v[22:23], v[3:4], v[38:39], v[22:23]
	ds_read_b128 v[1:4], v11 offset:1232
	v_add_f64 v[16:17], v[16:17], v[24:25]
	v_add_f64 v[9:10], v[9:10], v[20:21]
	s_waitcnt vmcnt(9) lgkmcnt(1)
	v_mul_f64 v[24:25], v[7:8], v[42:43]
	s_waitcnt vmcnt(8)
	v_fma_f64 v[12:13], v[12:13], v[56:57], -v[26:27]
	v_mul_f64 v[20:21], v[5:6], v[42:43]
	v_fma_f64 v[14:15], v[14:15], v[56:57], v[18:19]
	v_add_f64 v[16:17], v[16:17], v[28:29]
	v_add_f64 v[9:10], v[9:10], v[22:23]
	s_waitcnt vmcnt(7) lgkmcnt(0)
	v_mul_f64 v[22:23], v[3:4], v[62:63]
	v_mul_f64 v[18:19], v[1:2], v[62:63]
	s_waitcnt vmcnt(5)
	v_fma_f64 v[5:6], v[5:6], v[46:47], -v[24:25]
	v_fma_f64 v[7:8], v[7:8], v[46:47], v[20:21]
	v_add_f64 v[12:13], v[16:17], v[12:13]
	v_add_f64 v[9:10], v[9:10], v[14:15]
	s_waitcnt vmcnt(4)
	v_fma_f64 v[1:2], v[1:2], v[66:67], -v[22:23]
	v_fma_f64 v[3:4], v[3:4], v[66:67], v[18:19]
	v_add_f64 v[5:6], v[12:13], v[5:6]
	v_add_f64 v[7:8], v[9:10], v[7:8]
	;; [unrolled: 1-line block ×4, first 2 shown]
	s_waitcnt vmcnt(2)
	v_add_f64 v[1:2], v[50:51], -v[1:2]
	s_waitcnt vmcnt(0)
	v_add_f64 v[3:4], v[58:59], -v[3:4]
	buffer_store_dword v2, off, s[0:3], 0 offset:164
	buffer_store_dword v1, off, s[0:3], 0 offset:160
	;; [unrolled: 1-line block ×4, first 2 shown]
	v_cmpx_lt_u32_e32 8, v0
	s_cbranch_execz .LBB38_231
; %bb.230:
	v_mov_b32_e32 v4, s43
	s_clause 0x3
	buffer_load_dword v1, v4, s[0:3], 0 offen
	buffer_load_dword v2, v4, s[0:3], 0 offen offset:4
	buffer_load_dword v3, v4, s[0:3], 0 offen offset:8
	;; [unrolled: 1-line block ×3, first 2 shown]
	buffer_store_dword v11, off, s[0:3], 0 offset:144
	buffer_store_dword v11, off, s[0:3], 0 offset:148
	;; [unrolled: 1-line block ×4, first 2 shown]
	s_waitcnt vmcnt(0)
	ds_write_b128 v61, v[1:4]
.LBB38_231:
	s_or_b32 exec_lo, exec_lo, s4
	s_waitcnt lgkmcnt(0)
	s_waitcnt_vscnt null, 0x0
	s_barrier
	buffer_gl0_inv
	s_clause 0x37
	buffer_load_dword v9, off, s[0:3], 0 offset:168
	buffer_load_dword v10, off, s[0:3], 0 offset:172
	;; [unrolled: 1-line block ×56, first 2 shown]
	ds_read_b128 v[12:15], v11 offset:768
	s_clause 0x2
	buffer_load_dword v71, off, s[0:3], 0 offset:396
	buffer_load_dword v75, off, s[0:3], 0 offset:372
	;; [unrolled: 1-line block ×3, first 2 shown]
	ds_read_b128 v[16:19], v11 offset:784
	s_clause 0x4
	buffer_load_dword v79, off, s[0:3], 0 offset:412
	buffer_load_dword v80, off, s[0:3], 0 offset:424
	;; [unrolled: 1-line block ×5, first 2 shown]
	ds_read_b128 v[20:23], v11 offset:800
	s_clause 0x2
	buffer_load_dword v81, off, s[0:3], 0 offset:428
	buffer_load_dword v164, off, s[0:3], 0 offset:404
	;; [unrolled: 1-line block ×3, first 2 shown]
	s_mov_b32 s4, exec_lo
	s_waitcnt vmcnt(62) lgkmcnt(2)
	v_mul_f64 v[76:77], v[14:15], v[9:10]
	v_mul_f64 v[9:10], v[12:13], v[9:10]
	s_waitcnt lgkmcnt(1)
	v_mul_f64 v[83:84], v[18:19], v[5:6]
	s_waitcnt vmcnt(59) lgkmcnt(0)
	v_mul_f64 v[165:166], v[22:23], v[3:4]
	v_fma_f64 v[12:13], v[12:13], v[7:8], -v[76:77]
	v_mul_f64 v[76:77], v[16:17], v[5:6]
	v_fma_f64 v[9:10], v[14:15], v[7:8], v[9:10]
	s_waitcnt vmcnt(57)
	v_fma_f64 v[16:17], v[16:17], v[1:2], -v[83:84]
	ds_read_b128 v[5:8], v11 offset:816
	v_mul_f64 v[14:15], v[20:21], v[3:4]
	s_waitcnt vmcnt(51)
	v_fma_f64 v[20:21], v[20:21], v[30:31], -v[165:166]
	v_add_f64 v[12:13], v[12:13], 0
	v_fma_f64 v[18:19], v[18:19], v[1:2], v[76:77]
	v_add_f64 v[9:10], v[9:10], 0
	s_clause 0x4
	buffer_load_dword v77, off, s[0:3], 0 offset:444
	buffer_load_dword v167, off, s[0:3], 0 offset:456
	;; [unrolled: 1-line block ×5, first 2 shown]
	s_waitcnt lgkmcnt(0)
	v_mul_f64 v[170:171], v[5:6], v[24:25]
	v_mul_f64 v[24:25], v[7:8], v[24:25]
	ds_read_b128 v[1:4], v11 offset:832
	v_fma_f64 v[22:23], v[22:23], v[30:31], v[14:15]
	v_add_f64 v[16:17], v[12:13], v[16:17]
	v_add_f64 v[9:10], v[9:10], v[18:19]
	s_clause 0x2
	buffer_load_dword v168, off, s[0:3], 0 offset:460
	buffer_load_dword v19, off, s[0:3], 0 offset:436
	;; [unrolled: 1-line block ×3, first 2 shown]
	s_waitcnt vmcnt(58) lgkmcnt(0)
	v_mul_f64 v[30:31], v[1:2], v[26:27]
	v_mul_f64 v[26:27], v[3:4], v[26:27]
	s_waitcnt vmcnt(56)
	v_fma_f64 v[24:25], v[5:6], v[32:33], -v[24:25]
	ds_read_b128 v[12:15], v11 offset:848
	v_add_f64 v[16:17], v[16:17], v[20:21]
	v_fma_f64 v[20:21], v[7:8], v[32:33], v[170:171]
	v_add_f64 v[9:10], v[9:10], v[22:23]
	s_clause 0x4
	buffer_load_dword v23, off, s[0:3], 0 offset:476
	buffer_load_dword v32, off, s[0:3], 0 offset:488
	;; [unrolled: 1-line block ×5, first 2 shown]
	ds_read_b128 v[5:8], v11 offset:864
	s_waitcnt vmcnt(57) lgkmcnt(1)
	v_mul_f64 v[171:172], v[12:13], v[34:35]
	v_mul_f64 v[34:35], v[14:15], v[34:35]
	s_waitcnt vmcnt(56)
	v_fma_f64 v[26:27], v[1:2], v[28:29], -v[26:27]
	v_add_f64 v[16:17], v[16:17], v[24:25]
	v_fma_f64 v[24:25], v[3:4], v[28:29], v[30:31]
	v_add_f64 v[9:10], v[9:10], v[20:21]
	s_clause 0x2
	buffer_load_dword v33, off, s[0:3], 0 offset:492
	buffer_load_dword v21, off, s[0:3], 0 offset:468
	buffer_load_dword v20, off, s[0:3], 0 offset:464
	s_waitcnt vmcnt(58) lgkmcnt(0)
	v_mul_f64 v[30:31], v[7:8], v[36:37]
	ds_read_b128 v[1:4], v11 offset:880
	s_waitcnt vmcnt(56)
	v_fma_f64 v[34:35], v[12:13], v[40:41], -v[34:35]
	v_mul_f64 v[28:29], v[5:6], v[36:37]
	v_add_f64 v[16:17], v[16:17], v[26:27]
	v_fma_f64 v[26:27], v[14:15], v[40:41], v[171:172]
	v_add_f64 v[9:10], v[9:10], v[24:25]
	s_clause 0x4
	buffer_load_dword v25, off, s[0:3], 0 offset:508
	buffer_load_dword v36, off, s[0:3], 0 offset:520
	buffer_load_dword v40, off, s[0:3], 0 offset:512
	buffer_load_dword v24, off, s[0:3], 0 offset:504
	buffer_load_dword v166, off, s[0:3], 0 offset:484
	s_waitcnt vmcnt(57) lgkmcnt(0)
	v_mul_f64 v[171:172], v[1:2], v[42:43]
	v_mul_f64 v[41:42], v[3:4], v[42:43]
	s_waitcnt vmcnt(56)
	v_fma_f64 v[30:31], v[5:6], v[38:39], -v[30:31]
	ds_read_b128 v[12:15], v11 offset:896
	v_fma_f64 v[28:29], v[7:8], v[38:39], v[28:29]
	v_add_f64 v[16:17], v[16:17], v[34:35]
	v_add_f64 v[9:10], v[9:10], v[26:27]
	s_clause 0x2
	buffer_load_dword v37, off, s[0:3], 0 offset:524
	buffer_load_dword v27, off, s[0:3], 0 offset:500
	buffer_load_dword v26, off, s[0:3], 0 offset:496
	ds_read_b128 v[5:8], v11 offset:912
	s_waitcnt vmcnt(58) lgkmcnt(1)
	v_mul_f64 v[38:39], v[14:15], v[44:45]
	s_waitcnt vmcnt(56)
	v_fma_f64 v[42:43], v[1:2], v[48:49], -v[41:42]
	v_mul_f64 v[34:35], v[12:13], v[44:45]
	v_add_f64 v[16:17], v[16:17], v[30:31]
	v_fma_f64 v[30:31], v[3:4], v[48:49], v[171:172]
	v_add_f64 v[9:10], v[9:10], v[28:29]
	s_clause 0x4
	buffer_load_dword v29, off, s[0:3], 0 offset:540
	buffer_load_dword v44, off, s[0:3], 0 offset:552
	buffer_load_dword v48, off, s[0:3], 0 offset:544
	buffer_load_dword v28, off, s[0:3], 0 offset:536
	buffer_load_dword v41, off, s[0:3], 0 offset:516
	s_waitcnt vmcnt(57) lgkmcnt(0)
	v_mul_f64 v[171:172], v[5:6], v[50:51]
	v_mul_f64 v[49:50], v[7:8], v[50:51]
	s_waitcnt vmcnt(56)
	v_fma_f64 v[38:39], v[12:13], v[46:47], -v[38:39]
	ds_read_b128 v[1:4], v11 offset:928
	v_fma_f64 v[34:35], v[14:15], v[46:47], v[34:35]
	v_add_f64 v[16:17], v[16:17], v[42:43]
	v_add_f64 v[9:10], v[9:10], v[30:31]
	s_clause 0x2
	buffer_load_dword v45, off, s[0:3], 0 offset:556
	buffer_load_dword v31, off, s[0:3], 0 offset:532
	buffer_load_dword v30, off, s[0:3], 0 offset:528
	ds_read_b128 v[12:15], v11 offset:944
	s_waitcnt vmcnt(58) lgkmcnt(1)
	v_mul_f64 v[46:47], v[3:4], v[52:53]
	;; [unrolled: 28-line block ×4, first 2 shown]
	s_waitcnt vmcnt(56)
	v_fma_f64 v[68:69], v[1:2], v[74:75], -v[67:68]
	v_mul_f64 v[58:59], v[12:13], v[70:71]
	v_add_f64 v[16:17], v[16:17], v[54:55]
	v_fma_f64 v[54:55], v[3:4], v[74:75], v[171:172]
	v_add_f64 v[9:10], v[9:10], v[50:51]
	s_clause 0x2
	buffer_load_dword v51, off, s[0:3], 0 offset:636
	buffer_load_dword v50, off, s[0:3], 0 offset:632
	buffer_load_dword v67, off, s[0:3], 0 offset:612
	s_waitcnt vmcnt(55) lgkmcnt(0)
	v_mul_f64 v[74:75], v[7:8], v[78:79]
	s_waitcnt vmcnt(54)
	v_fma_f64 v[64:65], v[12:13], v[72:73], -v[64:65]
	ds_read_b128 v[1:4], v11 offset:1024
	v_mul_f64 v[70:71], v[5:6], v[78:79]
	v_fma_f64 v[58:59], v[14:15], v[72:73], v[58:59]
	v_add_f64 v[16:17], v[16:17], v[68:69]
	v_add_f64 v[9:10], v[9:10], v[54:55]
	s_clause 0x1
	buffer_load_dword v55, off, s[0:3], 0 offset:628
	buffer_load_dword v54, off, s[0:3], 0 offset:624
	s_waitcnt vmcnt(55) lgkmcnt(0)
	v_mul_f64 v[72:73], v[3:4], v[80:81]
	s_waitcnt vmcnt(53)
	v_fma_f64 v[74:75], v[5:6], v[163:164], -v[74:75]
	ds_read_b128 v[12:15], v11 offset:1040
	v_mul_f64 v[68:69], v[1:2], v[80:81]
	v_add_f64 v[16:17], v[16:17], v[64:65]
	v_fma_f64 v[64:65], v[7:8], v[163:164], v[70:71]
	v_add_f64 v[9:10], v[9:10], v[58:59]
	ds_read_b128 v[5:8], v11 offset:1056
	s_waitcnt vmcnt(49) lgkmcnt(1)
	v_mul_f64 v[70:71], v[14:15], v[76:77]
	s_waitcnt vmcnt(48)
	v_fma_f64 v[72:73], v[1:2], v[82:83], -v[72:73]
	v_mul_f64 v[58:59], v[12:13], v[76:77]
	v_fma_f64 v[68:69], v[3:4], v[82:83], v[68:69]
	v_add_f64 v[16:17], v[16:17], v[74:75]
	v_add_f64 v[9:10], v[9:10], v[64:65]
	s_clause 0x3
	buffer_load_dword v64, off, s[0:3], 0 offset:144
	buffer_load_dword v65, off, s[0:3], 0 offset:148
	;; [unrolled: 1-line block ×4, first 2 shown]
	ds_read_b128 v[1:4], v11 offset:1072
	s_waitcnt vmcnt(51) lgkmcnt(1)
	v_mul_f64 v[78:79], v[7:8], v[167:168]
	v_mul_f64 v[76:77], v[5:6], v[167:168]
	s_waitcnt vmcnt(49)
	v_fma_f64 v[70:71], v[12:13], v[18:19], -v[70:71]
	v_fma_f64 v[18:19], v[14:15], v[18:19], v[58:59]
	ds_read_b128 v[12:15], v11 offset:1088
	v_add_f64 v[16:17], v[16:17], v[72:73]
	v_add_f64 v[9:10], v[9:10], v[68:69]
	s_waitcnt vmcnt(45) lgkmcnt(1)
	v_mul_f64 v[58:59], v[1:2], v[22:23]
	v_mul_f64 v[22:23], v[3:4], v[22:23]
	s_waitcnt vmcnt(44)
	v_fma_f64 v[68:69], v[5:6], v[169:170], -v[78:79]
	v_add_f64 v[16:17], v[16:17], v[70:71]
	v_fma_f64 v[70:71], v[7:8], v[169:170], v[76:77]
	v_add_f64 v[9:10], v[9:10], v[18:19]
	ds_read_b128 v[5:8], v11 offset:1104
	s_waitcnt vmcnt(43) lgkmcnt(1)
	v_mul_f64 v[18:19], v[12:13], v[32:33]
	v_mul_f64 v[32:33], v[14:15], v[32:33]
	s_waitcnt vmcnt(41)
	v_fma_f64 v[22:23], v[1:2], v[20:21], -v[22:23]
	v_fma_f64 v[20:21], v[3:4], v[20:21], v[58:59]
	ds_read_b128 v[1:4], v11 offset:1120
	v_add_f64 v[16:17], v[16:17], v[68:69]
	v_add_f64 v[9:10], v[9:10], v[70:71]
	s_waitcnt vmcnt(37) lgkmcnt(1)
	v_mul_f64 v[58:59], v[5:6], v[24:25]
	v_mul_f64 v[24:25], v[7:8], v[24:25]
	s_waitcnt vmcnt(36)
	v_fma_f64 v[32:33], v[12:13], v[165:166], -v[32:33]
	v_fma_f64 v[18:19], v[14:15], v[165:166], v[18:19]
	ds_read_b128 v[12:15], v11 offset:1136
	v_add_f64 v[16:17], v[16:17], v[22:23]
	v_add_f64 v[9:10], v[9:10], v[20:21]
	;; [unrolled: 9-line block ×5, first 2 shown]
	s_waitcnt vmcnt(21) lgkmcnt(1)
	v_mul_f64 v[22:23], v[3:4], v[34:35]
	s_waitcnt vmcnt(20)
	v_fma_f64 v[26:27], v[5:6], v[48:49], -v[26:27]
	v_mul_f64 v[20:21], v[1:2], v[34:35]
	v_fma_f64 v[24:25], v[7:8], v[48:49], v[24:25]
	ds_read_b128 v[5:8], v11 offset:1200
	v_add_f64 v[16:17], v[16:17], v[28:29]
	v_add_f64 v[9:10], v[9:10], v[18:19]
	s_waitcnt vmcnt(19) lgkmcnt(1)
	v_mul_f64 v[28:29], v[14:15], v[52:53]
	v_mul_f64 v[18:19], v[12:13], v[52:53]
	s_waitcnt vmcnt(17)
	v_fma_f64 v[22:23], v[1:2], v[38:39], -v[22:23]
	v_fma_f64 v[20:21], v[3:4], v[38:39], v[20:21]
	ds_read_b128 v[1:4], v11 offset:1216
	v_add_f64 v[16:17], v[16:17], v[26:27]
	v_add_f64 v[9:10], v[9:10], v[24:25]
	s_waitcnt vmcnt(13) lgkmcnt(1)
	v_mul_f64 v[26:27], v[7:8], v[42:43]
	s_waitcnt vmcnt(12)
	v_fma_f64 v[28:29], v[12:13], v[56:57], -v[28:29]
	v_mul_f64 v[24:25], v[5:6], v[42:43]
	v_fma_f64 v[13:14], v[14:15], v[56:57], v[18:19]
	v_add_f64 v[16:17], v[16:17], v[22:23]
	v_add_f64 v[18:19], v[9:10], v[20:21]
	ds_read_b128 v[9:12], v11 offset:1232
	s_waitcnt vmcnt(11) lgkmcnt(1)
	v_mul_f64 v[22:23], v[3:4], v[62:63]
	v_mul_f64 v[20:21], v[1:2], v[62:63]
	s_waitcnt vmcnt(9)
	v_fma_f64 v[5:6], v[5:6], v[46:47], -v[26:27]
	v_fma_f64 v[7:8], v[7:8], v[46:47], v[24:25]
	v_add_f64 v[15:16], v[16:17], v[28:29]
	v_add_f64 v[13:14], v[18:19], v[13:14]
	s_waitcnt vmcnt(7) lgkmcnt(0)
	v_mul_f64 v[24:25], v[11:12], v[50:51]
	s_waitcnt vmcnt(6)
	v_fma_f64 v[1:2], v[1:2], v[66:67], -v[22:23]
	v_mul_f64 v[17:18], v[9:10], v[50:51]
	v_fma_f64 v[3:4], v[3:4], v[66:67], v[20:21]
	v_add_f64 v[5:6], v[15:16], v[5:6]
	v_add_f64 v[7:8], v[13:14], v[7:8]
	s_waitcnt vmcnt(4)
	v_fma_f64 v[9:10], v[9:10], v[54:55], -v[24:25]
	v_add_f64 v[1:2], v[5:6], v[1:2]
	v_fma_f64 v[5:6], v[11:12], v[54:55], v[17:18]
	v_add_f64 v[3:4], v[7:8], v[3:4]
	v_add_f64 v[1:2], v[1:2], v[9:10]
	;; [unrolled: 1-line block ×3, first 2 shown]
	s_waitcnt vmcnt(2)
	v_add_f64 v[1:2], v[64:65], -v[1:2]
	s_waitcnt vmcnt(0)
	v_add_f64 v[3:4], v[74:75], -v[3:4]
	buffer_store_dword v2, off, s[0:3], 0 offset:148
	buffer_store_dword v1, off, s[0:3], 0 offset:144
	;; [unrolled: 1-line block ×4, first 2 shown]
	v_cmpx_lt_u32_e32 7, v0
	s_cbranch_execz .LBB38_233
; %bb.232:
	v_mov_b32_e32 v4, s44
	v_mov_b32_e32 v5, 0
	s_clause 0x3
	buffer_load_dword v1, v4, s[0:3], 0 offen
	buffer_load_dword v2, v4, s[0:3], 0 offen offset:4
	buffer_load_dword v3, v4, s[0:3], 0 offen offset:8
	;; [unrolled: 1-line block ×3, first 2 shown]
	buffer_store_dword v5, off, s[0:3], 0 offset:128
	buffer_store_dword v5, off, s[0:3], 0 offset:132
	;; [unrolled: 1-line block ×4, first 2 shown]
	s_waitcnt vmcnt(0)
	ds_write_b128 v61, v[1:4]
.LBB38_233:
	s_or_b32 exec_lo, exec_lo, s4
	s_waitcnt lgkmcnt(0)
	s_waitcnt_vscnt null, 0x0
	s_barrier
	buffer_gl0_inv
	s_clause 0x37
	buffer_load_dword v9, off, s[0:3], 0 offset:152
	buffer_load_dword v10, off, s[0:3], 0 offset:156
	;; [unrolled: 1-line block ×56, first 2 shown]
	v_mov_b32_e32 v29, 0
	s_mov_b32 s4, exec_lo
	ds_read_b128 v[17:20], v29 offset:752
	s_clause 0x2
	buffer_load_dword v71, off, s[0:3], 0 offset:380
	buffer_load_dword v75, off, s[0:3], 0 offset:356
	buffer_load_dword v74, off, s[0:3], 0 offset:352
	ds_read_b128 v[21:24], v29 offset:768
	s_clause 0x4
	buffer_load_dword v79, off, s[0:3], 0 offset:396
	buffer_load_dword v80, off, s[0:3], 0 offset:408
	;; [unrolled: 1-line block ×5, first 2 shown]
	ds_read_b128 v[25:28], v29 offset:784
	s_clause 0x2
	buffer_load_dword v81, off, s[0:3], 0 offset:412
	buffer_load_dword v164, off, s[0:3], 0 offset:388
	;; [unrolled: 1-line block ×3, first 2 shown]
	s_waitcnt vmcnt(62) lgkmcnt(2)
	v_mul_f64 v[76:77], v[19:20], v[9:10]
	v_mul_f64 v[9:10], v[17:18], v[9:10]
	s_waitcnt lgkmcnt(1)
	v_mul_f64 v[83:84], v[23:24], v[5:6]
	s_waitcnt vmcnt(59) lgkmcnt(0)
	v_mul_f64 v[165:166], v[27:28], v[3:4]
	v_fma_f64 v[17:18], v[17:18], v[7:8], -v[76:77]
	v_mul_f64 v[76:77], v[21:22], v[5:6]
	v_fma_f64 v[9:10], v[19:20], v[7:8], v[9:10]
	s_waitcnt vmcnt(57)
	v_fma_f64 v[21:22], v[21:22], v[1:2], -v[83:84]
	ds_read_b128 v[5:8], v29 offset:800
	v_mul_f64 v[19:20], v[25:26], v[3:4]
	s_waitcnt vmcnt(51)
	v_fma_f64 v[25:26], v[25:26], v[32:33], -v[165:166]
	v_add_f64 v[17:18], v[17:18], 0
	v_fma_f64 v[23:24], v[23:24], v[1:2], v[76:77]
	v_add_f64 v[9:10], v[9:10], 0
	s_clause 0x4
	buffer_load_dword v77, off, s[0:3], 0 offset:428
	buffer_load_dword v167, off, s[0:3], 0 offset:440
	;; [unrolled: 1-line block ×5, first 2 shown]
	s_waitcnt lgkmcnt(0)
	v_mul_f64 v[170:171], v[5:6], v[13:14]
	v_mul_f64 v[13:14], v[7:8], v[13:14]
	ds_read_b128 v[1:4], v29 offset:816
	v_fma_f64 v[27:28], v[27:28], v[32:33], v[19:20]
	v_add_f64 v[21:22], v[17:18], v[21:22]
	v_add_f64 v[9:10], v[9:10], v[23:24]
	s_clause 0x2
	buffer_load_dword v168, off, s[0:3], 0 offset:444
	buffer_load_dword v24, off, s[0:3], 0 offset:420
	;; [unrolled: 1-line block ×3, first 2 shown]
	s_waitcnt vmcnt(58) lgkmcnt(0)
	v_mul_f64 v[32:33], v[1:2], v[30:31]
	v_mul_f64 v[30:31], v[3:4], v[30:31]
	s_waitcnt vmcnt(56)
	v_fma_f64 v[13:14], v[5:6], v[34:35], -v[13:14]
	ds_read_b128 v[17:20], v29 offset:832
	v_add_f64 v[21:22], v[21:22], v[25:26]
	v_fma_f64 v[25:26], v[7:8], v[34:35], v[170:171]
	v_add_f64 v[9:10], v[9:10], v[27:28]
	s_clause 0x4
	buffer_load_dword v28, off, s[0:3], 0 offset:460
	buffer_load_dword v34, off, s[0:3], 0 offset:472
	buffer_load_dword v165, off, s[0:3], 0 offset:464
	buffer_load_dword v27, off, s[0:3], 0 offset:456
	buffer_load_dword v170, off, s[0:3], 0 offset:436
	ds_read_b128 v[5:8], v29 offset:848
	s_waitcnt vmcnt(57) lgkmcnt(1)
	v_mul_f64 v[171:172], v[17:18], v[36:37]
	v_mul_f64 v[36:37], v[19:20], v[36:37]
	s_waitcnt vmcnt(56)
	v_fma_f64 v[30:31], v[1:2], v[11:12], -v[30:31]
	v_fma_f64 v[11:12], v[3:4], v[11:12], v[32:33]
	v_add_f64 v[13:14], v[21:22], v[13:14]
	s_clause 0x2
	buffer_load_dword v35, off, s[0:3], 0 offset:476
	buffer_load_dword v22, off, s[0:3], 0 offset:452
	;; [unrolled: 1-line block ×3, first 2 shown]
	v_add_f64 v[9:10], v[9:10], v[25:26]
	s_waitcnt vmcnt(58) lgkmcnt(0)
	v_mul_f64 v[32:33], v[7:8], v[38:39]
	ds_read_b128 v[1:4], v29 offset:864
	v_mul_f64 v[25:26], v[5:6], v[38:39]
	s_waitcnt vmcnt(56)
	v_fma_f64 v[17:18], v[17:18], v[40:41], -v[36:37]
	v_fma_f64 v[19:20], v[19:20], v[40:41], v[171:172]
	s_clause 0x4
	buffer_load_dword v37, off, s[0:3], 0 offset:492
	buffer_load_dword v38, off, s[0:3], 0 offset:504
	;; [unrolled: 1-line block ×5, first 2 shown]
	v_add_f64 v[13:14], v[13:14], v[30:31]
	v_add_f64 v[30:31], v[9:10], v[11:12]
	s_waitcnt vmcnt(57) lgkmcnt(0)
	v_mul_f64 v[171:172], v[1:2], v[42:43]
	v_mul_f64 v[41:42], v[3:4], v[42:43]
	s_waitcnt vmcnt(56)
	v_fma_f64 v[32:33], v[5:6], v[15:16], -v[32:33]
	ds_read_b128 v[9:12], v29 offset:880
	v_fma_f64 v[15:16], v[7:8], v[15:16], v[25:26]
	v_add_f64 v[13:14], v[13:14], v[17:18]
	v_add_f64 v[17:18], v[30:31], v[19:20]
	s_clause 0x2
	buffer_load_dword v39, off, s[0:3], 0 offset:508
	buffer_load_dword v20, off, s[0:3], 0 offset:484
	;; [unrolled: 1-line block ×3, first 2 shown]
	s_waitcnt vmcnt(58) lgkmcnt(0)
	v_mul_f64 v[30:31], v[11:12], v[44:45]
	s_waitcnt vmcnt(56)
	v_fma_f64 v[42:43], v[1:2], v[48:49], -v[41:42]
	ds_read_b128 v[5:8], v29 offset:896
	v_mul_f64 v[25:26], v[9:10], v[44:45]
	v_add_f64 v[13:14], v[13:14], v[32:33]
	v_fma_f64 v[32:33], v[3:4], v[48:49], v[171:172]
	v_add_f64 v[15:16], v[17:18], v[15:16]
	s_clause 0x4
	buffer_load_dword v18, off, s[0:3], 0 offset:524
	buffer_load_dword v44, off, s[0:3], 0 offset:536
	buffer_load_dword v48, off, s[0:3], 0 offset:528
	buffer_load_dword v17, off, s[0:3], 0 offset:520
	buffer_load_dword v41, off, s[0:3], 0 offset:500
	s_waitcnt vmcnt(57) lgkmcnt(0)
	v_mul_f64 v[171:172], v[5:6], v[50:51]
	v_mul_f64 v[49:50], v[7:8], v[50:51]
	s_waitcnt vmcnt(56)
	v_fma_f64 v[30:31], v[9:10], v[46:47], -v[30:31]
	ds_read_b128 v[1:4], v29 offset:912
	v_fma_f64 v[25:26], v[11:12], v[46:47], v[25:26]
	v_add_f64 v[13:14], v[13:14], v[42:43]
	v_add_f64 v[15:16], v[15:16], v[32:33]
	s_clause 0x2
	buffer_load_dword v45, off, s[0:3], 0 offset:540
	buffer_load_dword v33, off, s[0:3], 0 offset:516
	buffer_load_dword v32, off, s[0:3], 0 offset:512
	ds_read_b128 v[9:12], v29 offset:928
	s_waitcnt vmcnt(58) lgkmcnt(1)
	v_mul_f64 v[46:47], v[3:4], v[52:53]
	s_waitcnt vmcnt(56)
	v_fma_f64 v[50:51], v[5:6], v[56:57], -v[49:50]
	v_mul_f64 v[42:43], v[1:2], v[52:53]
	v_add_f64 v[13:14], v[13:14], v[30:31]
	v_fma_f64 v[30:31], v[7:8], v[56:57], v[171:172]
	v_add_f64 v[15:16], v[15:16], v[25:26]
	s_clause 0x4
	buffer_load_dword v26, off, s[0:3], 0 offset:556
	buffer_load_dword v52, off, s[0:3], 0 offset:568
	buffer_load_dword v56, off, s[0:3], 0 offset:560
	buffer_load_dword v25, off, s[0:3], 0 offset:552
	buffer_load_dword v49, off, s[0:3], 0 offset:532
	s_waitcnt vmcnt(57) lgkmcnt(0)
	v_mul_f64 v[171:172], v[9:10], v[58:59]
	v_mul_f64 v[57:58], v[11:12], v[58:59]
	s_waitcnt vmcnt(56)
	v_fma_f64 v[46:47], v[1:2], v[54:55], -v[46:47]
	ds_read_b128 v[5:8], v29 offset:944
	v_fma_f64 v[42:43], v[3:4], v[54:55], v[42:43]
	v_add_f64 v[13:14], v[13:14], v[50:51]
	v_add_f64 v[15:16], v[15:16], v[30:31]
	s_clause 0x2
	buffer_load_dword v53, off, s[0:3], 0 offset:572
	buffer_load_dword v31, off, s[0:3], 0 offset:548
	buffer_load_dword v30, off, s[0:3], 0 offset:544
	ds_read_b128 v[1:4], v29 offset:960
	s_waitcnt vmcnt(58) lgkmcnt(1)
	v_mul_f64 v[54:55], v[7:8], v[62:63]
	s_waitcnt vmcnt(56)
	v_fma_f64 v[58:59], v[9:10], v[66:67], -v[57:58]
	v_mul_f64 v[50:51], v[5:6], v[62:63]
	v_add_f64 v[13:14], v[13:14], v[46:47]
	v_fma_f64 v[46:47], v[11:12], v[66:67], v[171:172]
	v_add_f64 v[15:16], v[15:16], v[42:43]
	s_clause 0x4
	buffer_load_dword v43, off, s[0:3], 0 offset:588
	buffer_load_dword v62, off, s[0:3], 0 offset:600
	buffer_load_dword v66, off, s[0:3], 0 offset:592
	buffer_load_dword v42, off, s[0:3], 0 offset:584
	buffer_load_dword v57, off, s[0:3], 0 offset:564
	s_waitcnt vmcnt(57) lgkmcnt(0)
	v_mul_f64 v[171:172], v[1:2], v[68:69]
	v_mul_f64 v[67:68], v[3:4], v[68:69]
	s_waitcnt vmcnt(56)
	v_fma_f64 v[54:55], v[5:6], v[64:65], -v[54:55]
	ds_read_b128 v[9:12], v29 offset:976
	v_fma_f64 v[50:51], v[7:8], v[64:65], v[50:51]
	v_add_f64 v[13:14], v[13:14], v[58:59]
	v_add_f64 v[15:16], v[15:16], v[46:47]
	s_clause 0x2
	buffer_load_dword v63, off, s[0:3], 0 offset:604
	buffer_load_dword v47, off, s[0:3], 0 offset:580
	buffer_load_dword v46, off, s[0:3], 0 offset:576
	ds_read_b128 v[5:8], v29 offset:992
	s_waitcnt vmcnt(58) lgkmcnt(1)
	v_mul_f64 v[64:65], v[11:12], v[70:71]
	s_waitcnt vmcnt(56)
	v_fma_f64 v[68:69], v[1:2], v[74:75], -v[67:68]
	v_mul_f64 v[58:59], v[9:10], v[70:71]
	v_add_f64 v[13:14], v[13:14], v[54:55]
	v_fma_f64 v[54:55], v[3:4], v[74:75], v[171:172]
	v_add_f64 v[15:16], v[15:16], v[50:51]
	s_clause 0x4
	buffer_load_dword v51, off, s[0:3], 0 offset:620
	buffer_load_dword v70, off, s[0:3], 0 offset:632
	buffer_load_dword v74, off, s[0:3], 0 offset:624
	buffer_load_dword v50, off, s[0:3], 0 offset:616
	buffer_load_dword v67, off, s[0:3], 0 offset:596
	s_waitcnt vmcnt(57) lgkmcnt(0)
	v_mul_f64 v[171:172], v[5:6], v[78:79]
	v_mul_f64 v[78:79], v[7:8], v[78:79]
	s_waitcnt vmcnt(56)
	v_fma_f64 v[64:65], v[9:10], v[72:73], -v[64:65]
	ds_read_b128 v[1:4], v29 offset:1008
	v_fma_f64 v[58:59], v[11:12], v[72:73], v[58:59]
	v_add_f64 v[13:14], v[13:14], v[68:69]
	v_add_f64 v[15:16], v[15:16], v[54:55]
	s_clause 0x2
	buffer_load_dword v71, off, s[0:3], 0 offset:636
	buffer_load_dword v55, off, s[0:3], 0 offset:612
	buffer_load_dword v54, off, s[0:3], 0 offset:608
	ds_read_b128 v[9:12], v29 offset:1024
	s_waitcnt vmcnt(58) lgkmcnt(1)
	v_mul_f64 v[72:73], v[3:4], v[80:81]
	s_waitcnt vmcnt(56)
	v_fma_f64 v[78:79], v[5:6], v[163:164], -v[78:79]
	v_mul_f64 v[68:69], v[1:2], v[80:81]
	buffer_load_dword v75, off, s[0:3], 0 offset:628
	v_add_f64 v[13:14], v[13:14], v[64:65]
	v_fma_f64 v[64:65], v[7:8], v[163:164], v[171:172]
	v_add_f64 v[15:16], v[15:16], v[58:59]
	ds_read_b128 v[5:8], v29 offset:1040
	s_waitcnt vmcnt(53) lgkmcnt(1)
	v_mul_f64 v[58:59], v[9:10], v[76:77]
	v_mul_f64 v[76:77], v[11:12], v[76:77]
	s_waitcnt vmcnt(52)
	v_fma_f64 v[72:73], v[1:2], v[82:83], -v[72:73]
	v_fma_f64 v[68:69], v[3:4], v[82:83], v[68:69]
	ds_read_b128 v[1:4], v29 offset:1056
	v_add_f64 v[13:14], v[13:14], v[78:79]
	v_add_f64 v[15:16], v[15:16], v[64:65]
	s_waitcnt vmcnt(51) lgkmcnt(1)
	v_mul_f64 v[78:79], v[7:8], v[167:168]
	v_mul_f64 v[64:65], v[5:6], v[167:168]
	s_waitcnt vmcnt(49)
	v_fma_f64 v[76:77], v[9:10], v[23:24], -v[76:77]
	v_fma_f64 v[23:24], v[11:12], v[23:24], v[58:59]
	v_add_f64 v[13:14], v[13:14], v[72:73]
	v_add_f64 v[15:16], v[15:16], v[68:69]
	s_clause 0x3
	buffer_load_dword v58, off, s[0:3], 0 offset:128
	buffer_load_dword v59, off, s[0:3], 0 offset:132
	;; [unrolled: 1-line block ×4, first 2 shown]
	ds_read_b128 v[9:12], v29 offset:1072
	s_waitcnt vmcnt(49) lgkmcnt(1)
	v_mul_f64 v[72:73], v[1:2], v[27:28]
	v_mul_f64 v[27:28], v[3:4], v[27:28]
	s_waitcnt vmcnt(48)
	v_fma_f64 v[78:79], v[5:6], v[169:170], -v[78:79]
	v_fma_f64 v[64:65], v[7:8], v[169:170], v[64:65]
	ds_read_b128 v[5:8], v29 offset:1088
	v_add_f64 v[13:14], v[13:14], v[76:77]
	v_add_f64 v[15:16], v[15:16], v[23:24]
	s_waitcnt vmcnt(47) lgkmcnt(1)
	v_mul_f64 v[23:24], v[9:10], v[34:35]
	v_mul_f64 v[34:35], v[11:12], v[34:35]
	s_waitcnt vmcnt(45)
	v_fma_f64 v[27:28], v[1:2], v[21:22], -v[27:28]
	v_fma_f64 v[21:22], v[3:4], v[21:22], v[72:73]
	ds_read_b128 v[1:4], v29 offset:1104
	v_add_f64 v[13:14], v[13:14], v[78:79]
	v_add_f64 v[15:16], v[15:16], v[64:65]
	s_waitcnt vmcnt(41) lgkmcnt(1)
	v_mul_f64 v[64:65], v[5:6], v[36:37]
	v_mul_f64 v[36:37], v[7:8], v[36:37]
	s_waitcnt vmcnt(40)
	v_fma_f64 v[23:24], v[11:12], v[165:166], v[23:24]
	v_fma_f64 v[34:35], v[9:10], v[165:166], -v[34:35]
	ds_read_b128 v[9:12], v29 offset:1120
	v_add_f64 v[13:14], v[13:14], v[27:28]
	v_add_f64 v[15:16], v[15:16], v[21:22]
	s_waitcnt vmcnt(39) lgkmcnt(1)
	v_mul_f64 v[27:28], v[3:4], v[38:39]
	v_mul_f64 v[21:22], v[1:2], v[38:39]
	s_waitcnt vmcnt(37)
	v_fma_f64 v[36:37], v[5:6], v[19:20], -v[36:37]
	v_fma_f64 v[19:20], v[7:8], v[19:20], v[64:65]
	ds_read_b128 v[5:8], v29 offset:1136
	v_add_f64 v[13:14], v[13:14], v[34:35]
	v_add_f64 v[15:16], v[15:16], v[23:24]
	s_waitcnt vmcnt(33) lgkmcnt(1)
	v_mul_f64 v[23:24], v[9:10], v[17:18]
	v_mul_f64 v[17:18], v[11:12], v[17:18]
	s_waitcnt vmcnt(32)
	v_fma_f64 v[27:28], v[1:2], v[40:41], -v[27:28]
	v_fma_f64 v[21:22], v[3:4], v[40:41], v[21:22]
	;; [unrolled: 9-line block ×3, first 2 shown]
	ds_read_b128 v[9:12], v29 offset:1168
	v_add_f64 v[13:14], v[13:14], v[27:28]
	v_add_f64 v[15:16], v[15:16], v[21:22]
	s_waitcnt vmcnt(25) lgkmcnt(1)
	v_mul_f64 v[21:22], v[1:2], v[25:26]
	v_mul_f64 v[25:26], v[3:4], v[25:26]
	s_waitcnt vmcnt(24)
	v_fma_f64 v[27:28], v[5:6], v[48:49], -v[34:35]
	v_add_f64 v[13:14], v[13:14], v[17:18]
	v_fma_f64 v[17:18], v[7:8], v[48:49], v[19:20]
	v_add_f64 v[15:16], v[15:16], v[23:24]
	ds_read_b128 v[5:8], v29 offset:1184
	s_waitcnt vmcnt(23) lgkmcnt(1)
	v_mul_f64 v[23:24], v[11:12], v[52:53]
	v_mul_f64 v[19:20], v[9:10], v[52:53]
	s_waitcnt vmcnt(21)
	v_fma_f64 v[25:26], v[1:2], v[30:31], -v[25:26]
	v_fma_f64 v[21:22], v[3:4], v[30:31], v[21:22]
	ds_read_b128 v[1:4], v29 offset:1200
	v_add_f64 v[13:14], v[13:14], v[27:28]
	v_add_f64 v[15:16], v[15:16], v[17:18]
	s_waitcnt vmcnt(17) lgkmcnt(1)
	v_mul_f64 v[27:28], v[7:8], v[42:43]
	s_waitcnt vmcnt(16)
	v_fma_f64 v[23:24], v[9:10], v[56:57], -v[23:24]
	v_mul_f64 v[17:18], v[5:6], v[42:43]
	v_fma_f64 v[19:20], v[11:12], v[56:57], v[19:20]
	ds_read_b128 v[9:12], v29 offset:1216
	v_add_f64 v[13:14], v[13:14], v[25:26]
	v_add_f64 v[15:16], v[15:16], v[21:22]
	s_waitcnt vmcnt(15) lgkmcnt(1)
	v_mul_f64 v[25:26], v[3:4], v[62:63]
	v_mul_f64 v[21:22], v[1:2], v[62:63]
	s_waitcnt vmcnt(13)
	v_fma_f64 v[27:28], v[5:6], v[46:47], -v[27:28]
	v_fma_f64 v[17:18], v[7:8], v[46:47], v[17:18]
	ds_read_b128 v[5:8], v29 offset:1232
	v_add_f64 v[13:14], v[13:14], v[23:24]
	v_add_f64 v[15:16], v[15:16], v[19:20]
	s_waitcnt vmcnt(9) lgkmcnt(1)
	v_mul_f64 v[23:24], v[11:12], v[50:51]
	s_waitcnt vmcnt(8)
	v_fma_f64 v[1:2], v[1:2], v[66:67], -v[25:26]
	v_mul_f64 v[19:20], v[9:10], v[50:51]
	v_fma_f64 v[3:4], v[3:4], v[66:67], v[21:22]
	v_add_f64 v[13:14], v[13:14], v[27:28]
	v_add_f64 v[15:16], v[15:16], v[17:18]
	s_waitcnt vmcnt(7) lgkmcnt(0)
	v_mul_f64 v[21:22], v[7:8], v[70:71]
	v_mul_f64 v[17:18], v[5:6], v[70:71]
	s_waitcnt vmcnt(5)
	v_fma_f64 v[9:10], v[9:10], v[54:55], -v[23:24]
	v_fma_f64 v[11:12], v[11:12], v[54:55], v[19:20]
	v_add_f64 v[1:2], v[13:14], v[1:2]
	v_add_f64 v[3:4], v[15:16], v[3:4]
	s_waitcnt vmcnt(4)
	v_fma_f64 v[5:6], v[5:6], v[74:75], -v[21:22]
	v_fma_f64 v[7:8], v[7:8], v[74:75], v[17:18]
	v_add_f64 v[1:2], v[1:2], v[9:10]
	v_add_f64 v[3:4], v[3:4], v[11:12]
	;; [unrolled: 1-line block ×4, first 2 shown]
	s_waitcnt vmcnt(2)
	v_add_f64 v[1:2], v[58:59], -v[1:2]
	s_waitcnt vmcnt(0)
	v_add_f64 v[3:4], v[68:69], -v[3:4]
	buffer_store_dword v2, off, s[0:3], 0 offset:132
	buffer_store_dword v1, off, s[0:3], 0 offset:128
	;; [unrolled: 1-line block ×4, first 2 shown]
	v_cmpx_lt_u32_e32 6, v0
	s_cbranch_execz .LBB38_235
; %bb.234:
	v_mov_b32_e32 v4, s45
	s_clause 0x3
	buffer_load_dword v1, v4, s[0:3], 0 offen
	buffer_load_dword v2, v4, s[0:3], 0 offen offset:4
	buffer_load_dword v3, v4, s[0:3], 0 offen offset:8
	;; [unrolled: 1-line block ×3, first 2 shown]
	buffer_store_dword v29, off, s[0:3], 0 offset:112
	buffer_store_dword v29, off, s[0:3], 0 offset:116
	;; [unrolled: 1-line block ×4, first 2 shown]
	s_waitcnt vmcnt(0)
	ds_write_b128 v61, v[1:4]
.LBB38_235:
	s_or_b32 exec_lo, exec_lo, s4
	s_waitcnt lgkmcnt(0)
	s_waitcnt_vscnt null, 0x0
	s_barrier
	buffer_gl0_inv
	s_clause 0x37
	buffer_load_dword v9, off, s[0:3], 0 offset:136
	buffer_load_dword v10, off, s[0:3], 0 offset:140
	buffer_load_dword v5, off, s[0:3], 0 offset:152
	buffer_load_dword v6, off, s[0:3], 0 offset:156
	buffer_load_dword v7, off, s[0:3], 0 offset:128
	buffer_load_dword v8, off, s[0:3], 0 offset:132
	buffer_load_dword v3, off, s[0:3], 0 offset:168
	buffer_load_dword v4, off, s[0:3], 0 offset:172
	buffer_load_dword v1, off, s[0:3], 0 offset:144
	buffer_load_dword v2, off, s[0:3], 0 offset:148
	buffer_load_dword v14, off, s[0:3], 0 offset:188
	buffer_load_dword v17, off, s[0:3], 0 offset:200
	buffer_load_dword v11, off, s[0:3], 0 offset:192
	buffer_load_dword v13, off, s[0:3], 0 offset:184
	buffer_load_dword v25, off, s[0:3], 0 offset:160
	buffer_load_dword v26, off, s[0:3], 0 offset:164
	buffer_load_dword v18, off, s[0:3], 0 offset:204
	buffer_load_dword v20, off, s[0:3], 0 offset:180
	buffer_load_dword v19, off, s[0:3], 0 offset:176
	buffer_load_dword v22, off, s[0:3], 0 offset:220
	buffer_load_dword v27, off, s[0:3], 0 offset:232
	buffer_load_dword v15, off, s[0:3], 0 offset:224
	buffer_load_dword v21, off, s[0:3], 0 offset:216
	buffer_load_dword v12, off, s[0:3], 0 offset:196
	buffer_load_dword v28, off, s[0:3], 0 offset:236
	buffer_load_dword v43, off, s[0:3], 0 offset:212
	buffer_load_dword v42, off, s[0:3], 0 offset:208
	buffer_load_dword v45, off, s[0:3], 0 offset:252
	buffer_load_dword v46, off, s[0:3], 0 offset:264
	buffer_load_dword v23, off, s[0:3], 0 offset:256
	buffer_load_dword v44, off, s[0:3], 0 offset:248
	buffer_load_dword v16, off, s[0:3], 0 offset:228
	buffer_load_dword v47, off, s[0:3], 0 offset:268
	buffer_load_dword v49, off, s[0:3], 0 offset:244
	buffer_load_dword v48, off, s[0:3], 0 offset:240
	buffer_load_dword v51, off, s[0:3], 0 offset:284
	buffer_load_dword v52, off, s[0:3], 0 offset:296
	buffer_load_dword v54, off, s[0:3], 0 offset:288
	buffer_load_dword v50, off, s[0:3], 0 offset:280
	buffer_load_dword v24, off, s[0:3], 0 offset:260
	buffer_load_dword v53, off, s[0:3], 0 offset:300
	buffer_load_dword v57, off, s[0:3], 0 offset:276
	buffer_load_dword v56, off, s[0:3], 0 offset:272
	buffer_load_dword v59, off, s[0:3], 0 offset:316
	buffer_load_dword v62, off, s[0:3], 0 offset:328
	buffer_load_dword v64, off, s[0:3], 0 offset:320
	buffer_load_dword v58, off, s[0:3], 0 offset:312
	buffer_load_dword v55, off, s[0:3], 0 offset:292
	buffer_load_dword v63, off, s[0:3], 0 offset:332
	buffer_load_dword v67, off, s[0:3], 0 offset:308
	buffer_load_dword v66, off, s[0:3], 0 offset:304
	buffer_load_dword v69, off, s[0:3], 0 offset:348
	buffer_load_dword v70, off, s[0:3], 0 offset:360
	buffer_load_dword v72, off, s[0:3], 0 offset:352
	buffer_load_dword v68, off, s[0:3], 0 offset:344
	buffer_load_dword v65, off, s[0:3], 0 offset:324
	ds_read_b128 v[30:33], v29 offset:736
	s_clause 0x2
	buffer_load_dword v71, off, s[0:3], 0 offset:364
	buffer_load_dword v75, off, s[0:3], 0 offset:340
	;; [unrolled: 1-line block ×3, first 2 shown]
	ds_read_b128 v[34:37], v29 offset:752
	s_clause 0x4
	buffer_load_dword v79, off, s[0:3], 0 offset:380
	buffer_load_dword v80, off, s[0:3], 0 offset:392
	;; [unrolled: 1-line block ×5, first 2 shown]
	ds_read_b128 v[38:41], v29 offset:768
	s_clause 0x2
	buffer_load_dword v81, off, s[0:3], 0 offset:396
	buffer_load_dword v164, off, s[0:3], 0 offset:372
	;; [unrolled: 1-line block ×3, first 2 shown]
	s_mov_b32 s4, exec_lo
	s_waitcnt vmcnt(62) lgkmcnt(2)
	v_mul_f64 v[76:77], v[32:33], v[9:10]
	v_mul_f64 v[9:10], v[30:31], v[9:10]
	s_waitcnt lgkmcnt(1)
	v_mul_f64 v[83:84], v[36:37], v[5:6]
	s_waitcnt vmcnt(59) lgkmcnt(0)
	v_mul_f64 v[165:166], v[40:41], v[3:4]
	v_fma_f64 v[30:31], v[30:31], v[7:8], -v[76:77]
	v_mul_f64 v[76:77], v[34:35], v[5:6]
	v_fma_f64 v[9:10], v[32:33], v[7:8], v[9:10]
	s_waitcnt vmcnt(57)
	v_fma_f64 v[34:35], v[34:35], v[1:2], -v[83:84]
	ds_read_b128 v[5:8], v29 offset:784
	v_mul_f64 v[32:33], v[38:39], v[3:4]
	s_waitcnt vmcnt(51)
	v_fma_f64 v[38:39], v[38:39], v[25:26], -v[165:166]
	v_add_f64 v[30:31], v[30:31], 0
	v_fma_f64 v[36:37], v[36:37], v[1:2], v[76:77]
	v_add_f64 v[9:10], v[9:10], 0
	s_clause 0x4
	buffer_load_dword v77, off, s[0:3], 0 offset:412
	buffer_load_dword v167, off, s[0:3], 0 offset:424
	;; [unrolled: 1-line block ×5, first 2 shown]
	s_waitcnt lgkmcnt(0)
	v_mul_f64 v[170:171], v[5:6], v[13:14]
	v_mul_f64 v[13:14], v[7:8], v[13:14]
	ds_read_b128 v[1:4], v29 offset:800
	v_fma_f64 v[25:26], v[40:41], v[25:26], v[32:33]
	v_add_f64 v[34:35], v[30:31], v[34:35]
	v_add_f64 v[9:10], v[9:10], v[36:37]
	s_clause 0x2
	buffer_load_dword v168, off, s[0:3], 0 offset:428
	buffer_load_dword v37, off, s[0:3], 0 offset:404
	;; [unrolled: 1-line block ×3, first 2 shown]
	s_waitcnt vmcnt(58) lgkmcnt(0)
	v_mul_f64 v[40:41], v[1:2], v[17:18]
	v_mul_f64 v[17:18], v[3:4], v[17:18]
	s_waitcnt vmcnt(56)
	v_fma_f64 v[13:14], v[5:6], v[19:20], -v[13:14]
	ds_read_b128 v[30:33], v29 offset:816
	v_fma_f64 v[19:20], v[7:8], v[19:20], v[170:171]
	v_add_f64 v[34:35], v[34:35], v[38:39]
	v_add_f64 v[9:10], v[9:10], v[25:26]
	s_clause 0x4
	buffer_load_dword v26, off, s[0:3], 0 offset:444
	buffer_load_dword v38, off, s[0:3], 0 offset:456
	;; [unrolled: 1-line block ×5, first 2 shown]
	ds_read_b128 v[5:8], v29 offset:832
	s_waitcnt vmcnt(57) lgkmcnt(1)
	v_mul_f64 v[171:172], v[30:31], v[21:22]
	v_mul_f64 v[21:22], v[32:33], v[21:22]
	s_waitcnt vmcnt(56)
	v_fma_f64 v[17:18], v[1:2], v[11:12], -v[17:18]
	v_fma_f64 v[11:12], v[3:4], v[11:12], v[40:41]
	v_add_f64 v[13:14], v[34:35], v[13:14]
	v_add_f64 v[9:10], v[9:10], v[19:20]
	s_clause 0x2
	buffer_load_dword v39, off, s[0:3], 0 offset:460
	buffer_load_dword v20, off, s[0:3], 0 offset:436
	;; [unrolled: 1-line block ×3, first 2 shown]
	s_waitcnt vmcnt(58) lgkmcnt(0)
	v_mul_f64 v[34:35], v[5:6], v[27:28]
	v_mul_f64 v[27:28], v[7:8], v[27:28]
	s_waitcnt vmcnt(56)
	v_fma_f64 v[21:22], v[30:31], v[42:43], -v[21:22]
	ds_read_b128 v[1:4], v29 offset:848
	v_add_f64 v[13:14], v[13:14], v[17:18]
	v_fma_f64 v[17:18], v[32:33], v[42:43], v[171:172]
	v_add_f64 v[30:31], v[9:10], v[11:12]
	s_clause 0x4
	buffer_load_dword v33, off, s[0:3], 0 offset:476
	buffer_load_dword v40, off, s[0:3], 0 offset:488
	;; [unrolled: 1-line block ×5, first 2 shown]
	ds_read_b128 v[9:12], v29 offset:864
	s_waitcnt vmcnt(57) lgkmcnt(1)
	v_mul_f64 v[171:172], v[1:2], v[44:45]
	v_mul_f64 v[43:44], v[3:4], v[44:45]
	s_waitcnt vmcnt(56)
	v_fma_f64 v[27:28], v[5:6], v[15:16], -v[27:28]
	v_fma_f64 v[15:16], v[7:8], v[15:16], v[34:35]
	v_add_f64 v[13:14], v[13:14], v[21:22]
	s_clause 0x2
	buffer_load_dword v41, off, s[0:3], 0 offset:492
	buffer_load_dword v22, off, s[0:3], 0 offset:468
	;; [unrolled: 1-line block ×3, first 2 shown]
	v_add_f64 v[17:18], v[30:31], v[17:18]
	s_waitcnt vmcnt(58) lgkmcnt(0)
	v_mul_f64 v[34:35], v[11:12], v[46:47]
	ds_read_b128 v[5:8], v29 offset:880
	v_mul_f64 v[30:31], v[9:10], v[46:47]
	s_waitcnt vmcnt(56)
	v_fma_f64 v[44:45], v[1:2], v[48:49], -v[43:44]
	v_add_f64 v[13:14], v[13:14], v[27:28]
	v_fma_f64 v[27:28], v[3:4], v[48:49], v[171:172]
	v_add_f64 v[15:16], v[17:18], v[15:16]
	s_clause 0x4
	buffer_load_dword v18, off, s[0:3], 0 offset:508
	buffer_load_dword v46, off, s[0:3], 0 offset:520
	buffer_load_dword v48, off, s[0:3], 0 offset:512
	buffer_load_dword v17, off, s[0:3], 0 offset:504
	buffer_load_dword v43, off, s[0:3], 0 offset:484
	s_waitcnt vmcnt(57) lgkmcnt(0)
	v_mul_f64 v[171:172], v[5:6], v[50:51]
	v_mul_f64 v[49:50], v[7:8], v[50:51]
	s_waitcnt vmcnt(56)
	v_fma_f64 v[34:35], v[9:10], v[23:24], -v[34:35]
	ds_read_b128 v[1:4], v29 offset:896
	v_fma_f64 v[23:24], v[11:12], v[23:24], v[30:31]
	v_add_f64 v[13:14], v[13:14], v[44:45]
	v_add_f64 v[15:16], v[15:16], v[27:28]
	s_clause 0x2
	buffer_load_dword v47, off, s[0:3], 0 offset:524
	buffer_load_dword v28, off, s[0:3], 0 offset:500
	buffer_load_dword v27, off, s[0:3], 0 offset:496
	ds_read_b128 v[9:12], v29 offset:912
	s_waitcnt vmcnt(58) lgkmcnt(1)
	v_mul_f64 v[44:45], v[3:4], v[52:53]
	s_waitcnt vmcnt(56)
	v_fma_f64 v[50:51], v[5:6], v[56:57], -v[49:50]
	v_mul_f64 v[30:31], v[1:2], v[52:53]
	v_add_f64 v[13:14], v[13:14], v[34:35]
	v_fma_f64 v[34:35], v[7:8], v[56:57], v[171:172]
	v_add_f64 v[15:16], v[15:16], v[23:24]
	s_clause 0x4
	buffer_load_dword v24, off, s[0:3], 0 offset:540
	buffer_load_dword v52, off, s[0:3], 0 offset:552
	buffer_load_dword v56, off, s[0:3], 0 offset:544
	buffer_load_dword v23, off, s[0:3], 0 offset:536
	buffer_load_dword v49, off, s[0:3], 0 offset:516
	s_waitcnt vmcnt(57) lgkmcnt(0)
	v_mul_f64 v[171:172], v[9:10], v[58:59]
	v_mul_f64 v[57:58], v[11:12], v[58:59]
	s_waitcnt vmcnt(56)
	v_fma_f64 v[44:45], v[1:2], v[54:55], -v[44:45]
	ds_read_b128 v[5:8], v29 offset:928
	v_fma_f64 v[30:31], v[3:4], v[54:55], v[30:31]
	v_add_f64 v[13:14], v[13:14], v[50:51]
	v_add_f64 v[15:16], v[15:16], v[34:35]
	s_clause 0x2
	buffer_load_dword v53, off, s[0:3], 0 offset:556
	buffer_load_dword v35, off, s[0:3], 0 offset:532
	buffer_load_dword v34, off, s[0:3], 0 offset:528
	ds_read_b128 v[1:4], v29 offset:944
	s_waitcnt vmcnt(58) lgkmcnt(1)
	v_mul_f64 v[54:55], v[7:8], v[62:63]
	s_waitcnt vmcnt(56)
	v_fma_f64 v[58:59], v[9:10], v[66:67], -v[57:58]
	v_mul_f64 v[50:51], v[5:6], v[62:63]
	;; [unrolled: 28-line block ×4, first 2 shown]
	v_add_f64 v[13:14], v[13:14], v[64:65]
	v_fma_f64 v[64:65], v[7:8], v[163:164], v[171:172]
	v_add_f64 v[15:16], v[15:16], v[58:59]
	s_clause 0x2
	buffer_load_dword v59, off, s[0:3], 0 offset:636
	buffer_load_dword v58, off, s[0:3], 0 offset:632
	;; [unrolled: 1-line block ×3, first 2 shown]
	ds_read_b128 v[5:8], v29 offset:1024
	s_waitcnt vmcnt(55) lgkmcnt(1)
	v_mul_f64 v[80:81], v[9:10], v[76:77]
	v_mul_f64 v[76:77], v[11:12], v[76:77]
	s_waitcnt vmcnt(54)
	v_fma_f64 v[72:73], v[1:2], v[82:83], -v[72:73]
	v_fma_f64 v[68:69], v[3:4], v[82:83], v[68:69]
	v_add_f64 v[13:14], v[13:14], v[78:79]
	v_add_f64 v[15:16], v[15:16], v[64:65]
	s_clause 0x1
	buffer_load_dword v65, off, s[0:3], 0 offset:628
	buffer_load_dword v64, off, s[0:3], 0 offset:624
	ds_read_b128 v[1:4], v29 offset:1040
	s_waitcnt vmcnt(55) lgkmcnt(1)
	v_mul_f64 v[82:83], v[7:8], v[167:168]
	v_mul_f64 v[78:79], v[5:6], v[167:168]
	s_waitcnt vmcnt(53)
	v_fma_f64 v[76:77], v[9:10], v[36:37], -v[76:77]
	v_fma_f64 v[36:37], v[11:12], v[36:37], v[80:81]
	ds_read_b128 v[9:12], v29 offset:1056
	v_add_f64 v[13:14], v[13:14], v[72:73]
	v_add_f64 v[15:16], v[15:16], v[68:69]
	s_waitcnt vmcnt(49) lgkmcnt(1)
	v_mul_f64 v[68:69], v[1:2], v[25:26]
	v_mul_f64 v[25:26], v[3:4], v[25:26]
	s_waitcnt vmcnt(48)
	v_fma_f64 v[72:73], v[5:6], v[169:170], -v[82:83]
	v_add_f64 v[13:14], v[13:14], v[76:77]
	v_fma_f64 v[76:77], v[7:8], v[169:170], v[78:79]
	v_add_f64 v[15:16], v[15:16], v[36:37]
	s_clause 0x3
	buffer_load_dword v36, off, s[0:3], 0 offset:112
	buffer_load_dword v37, off, s[0:3], 0 offset:116
	;; [unrolled: 1-line block ×4, first 2 shown]
	ds_read_b128 v[5:8], v29 offset:1072
	s_waitcnt vmcnt(51) lgkmcnt(1)
	v_mul_f64 v[80:81], v[9:10], v[38:39]
	v_mul_f64 v[38:39], v[11:12], v[38:39]
	s_waitcnt vmcnt(49)
	v_fma_f64 v[25:26], v[1:2], v[19:20], -v[25:26]
	v_fma_f64 v[19:20], v[3:4], v[19:20], v[68:69]
	ds_read_b128 v[1:4], v29 offset:1088
	v_add_f64 v[13:14], v[13:14], v[72:73]
	v_add_f64 v[15:16], v[15:16], v[76:77]
	s_waitcnt vmcnt(45) lgkmcnt(1)
	v_mul_f64 v[68:69], v[5:6], v[32:33]
	v_mul_f64 v[32:33], v[7:8], v[32:33]
	s_waitcnt vmcnt(44)
	v_fma_f64 v[38:39], v[9:10], v[165:166], -v[38:39]
	v_add_f64 v[13:14], v[13:14], v[25:26]
	v_fma_f64 v[25:26], v[11:12], v[165:166], v[80:81]
	v_add_f64 v[15:16], v[15:16], v[19:20]
	ds_read_b128 v[9:12], v29 offset:1104
	s_waitcnt vmcnt(43) lgkmcnt(1)
	v_mul_f64 v[19:20], v[1:2], v[40:41]
	v_mul_f64 v[40:41], v[3:4], v[40:41]
	s_waitcnt vmcnt(41)
	v_fma_f64 v[32:33], v[5:6], v[21:22], -v[32:33]
	v_fma_f64 v[21:22], v[7:8], v[21:22], v[68:69]
	ds_read_b128 v[5:8], v29 offset:1120
	v_add_f64 v[13:14], v[13:14], v[38:39]
	v_add_f64 v[15:16], v[15:16], v[25:26]
	s_waitcnt vmcnt(37) lgkmcnt(1)
	v_mul_f64 v[25:26], v[9:10], v[17:18]
	v_mul_f64 v[17:18], v[11:12], v[17:18]
	s_waitcnt vmcnt(36)
	v_fma_f64 v[38:39], v[1:2], v[42:43], -v[40:41]
	v_fma_f64 v[19:20], v[3:4], v[42:43], v[19:20]
	ds_read_b128 v[1:4], v29 offset:1136
	v_add_f64 v[13:14], v[13:14], v[32:33]
	v_add_f64 v[15:16], v[15:16], v[21:22]
	;; [unrolled: 9-line block ×3, first 2 shown]
	s_waitcnt vmcnt(29) lgkmcnt(1)
	v_mul_f64 v[19:20], v[1:2], v[23:24]
	v_mul_f64 v[23:24], v[3:4], v[23:24]
	s_waitcnt vmcnt(28)
	v_fma_f64 v[27:28], v[5:6], v[48:49], -v[32:33]
	v_add_f64 v[13:14], v[13:14], v[17:18]
	v_fma_f64 v[17:18], v[7:8], v[48:49], v[21:22]
	v_add_f64 v[15:16], v[15:16], v[25:26]
	ds_read_b128 v[5:8], v29 offset:1168
	s_waitcnt vmcnt(27) lgkmcnt(1)
	v_mul_f64 v[25:26], v[11:12], v[52:53]
	v_mul_f64 v[21:22], v[9:10], v[52:53]
	s_waitcnt vmcnt(25)
	v_fma_f64 v[23:24], v[1:2], v[34:35], -v[23:24]
	v_fma_f64 v[19:20], v[3:4], v[34:35], v[19:20]
	ds_read_b128 v[1:4], v29 offset:1184
	v_add_f64 v[13:14], v[13:14], v[27:28]
	v_add_f64 v[15:16], v[15:16], v[17:18]
	s_waitcnt vmcnt(21) lgkmcnt(1)
	v_mul_f64 v[27:28], v[7:8], v[30:31]
	s_waitcnt vmcnt(20)
	v_fma_f64 v[25:26], v[9:10], v[56:57], -v[25:26]
	v_mul_f64 v[17:18], v[5:6], v[30:31]
	v_fma_f64 v[21:22], v[11:12], v[56:57], v[21:22]
	ds_read_b128 v[9:12], v29 offset:1200
	v_add_f64 v[13:14], v[13:14], v[23:24]
	v_add_f64 v[15:16], v[15:16], v[19:20]
	s_waitcnt vmcnt(19) lgkmcnt(1)
	v_mul_f64 v[23:24], v[3:4], v[62:63]
	v_mul_f64 v[19:20], v[1:2], v[62:63]
	s_waitcnt vmcnt(17)
	v_fma_f64 v[27:28], v[5:6], v[44:45], -v[27:28]
	v_fma_f64 v[17:18], v[7:8], v[44:45], v[17:18]
	ds_read_b128 v[5:8], v29 offset:1216
	v_add_f64 v[13:14], v[13:14], v[25:26]
	v_add_f64 v[15:16], v[15:16], v[21:22]
	s_waitcnt vmcnt(13) lgkmcnt(1)
	v_mul_f64 v[25:26], v[11:12], v[50:51]
	s_waitcnt vmcnt(12)
	v_fma_f64 v[23:24], v[1:2], v[66:67], -v[23:24]
	v_mul_f64 v[21:22], v[9:10], v[50:51]
	v_fma_f64 v[19:20], v[3:4], v[66:67], v[19:20]
	ds_read_b128 v[1:4], v29 offset:1232
	v_add_f64 v[13:14], v[13:14], v[27:28]
	v_add_f64 v[15:16], v[15:16], v[17:18]
	s_waitcnt vmcnt(11) lgkmcnt(1)
	v_mul_f64 v[27:28], v[7:8], v[70:71]
	v_mul_f64 v[17:18], v[5:6], v[70:71]
	s_waitcnt vmcnt(9)
	v_fma_f64 v[9:10], v[9:10], v[54:55], -v[25:26]
	v_fma_f64 v[11:12], v[11:12], v[54:55], v[21:22]
	v_add_f64 v[13:14], v[13:14], v[23:24]
	v_add_f64 v[15:16], v[15:16], v[19:20]
	s_waitcnt vmcnt(7) lgkmcnt(0)
	v_mul_f64 v[21:22], v[3:4], v[58:59]
	s_waitcnt vmcnt(6)
	v_fma_f64 v[5:6], v[5:6], v[74:75], -v[27:28]
	v_mul_f64 v[19:20], v[1:2], v[58:59]
	v_fma_f64 v[7:8], v[7:8], v[74:75], v[17:18]
	v_add_f64 v[9:10], v[13:14], v[9:10]
	v_add_f64 v[11:12], v[15:16], v[11:12]
	s_waitcnt vmcnt(4)
	v_fma_f64 v[1:2], v[1:2], v[64:65], -v[21:22]
	v_fma_f64 v[3:4], v[3:4], v[64:65], v[19:20]
	v_add_f64 v[5:6], v[9:10], v[5:6]
	v_add_f64 v[7:8], v[11:12], v[7:8]
	;; [unrolled: 1-line block ×4, first 2 shown]
	s_waitcnt vmcnt(2)
	v_add_f64 v[1:2], v[36:37], -v[1:2]
	s_waitcnt vmcnt(0)
	v_add_f64 v[3:4], v[78:79], -v[3:4]
	buffer_store_dword v2, off, s[0:3], 0 offset:116
	buffer_store_dword v1, off, s[0:3], 0 offset:112
	;; [unrolled: 1-line block ×4, first 2 shown]
	v_cmpx_lt_u32_e32 5, v0
	s_cbranch_execz .LBB38_237
; %bb.236:
	v_mov_b32_e32 v4, s46
	v_mov_b32_e32 v5, 0
	s_clause 0x3
	buffer_load_dword v1, v4, s[0:3], 0 offen
	buffer_load_dword v2, v4, s[0:3], 0 offen offset:4
	buffer_load_dword v3, v4, s[0:3], 0 offen offset:8
	;; [unrolled: 1-line block ×3, first 2 shown]
	buffer_store_dword v5, off, s[0:3], 0 offset:96
	buffer_store_dword v5, off, s[0:3], 0 offset:100
	buffer_store_dword v5, off, s[0:3], 0 offset:104
	buffer_store_dword v5, off, s[0:3], 0 offset:108
	s_waitcnt vmcnt(0)
	ds_write_b128 v61, v[1:4]
.LBB38_237:
	s_or_b32 exec_lo, exec_lo, s4
	s_waitcnt lgkmcnt(0)
	s_waitcnt_vscnt null, 0x0
	s_barrier
	buffer_gl0_inv
	s_clause 0x37
	buffer_load_dword v9, off, s[0:3], 0 offset:120
	buffer_load_dword v10, off, s[0:3], 0 offset:124
	;; [unrolled: 1-line block ×56, first 2 shown]
	v_mov_b32_e32 v51, 0
	s_mov_b32 s4, exec_lo
	ds_read_b128 v[39:42], v51 offset:720
	s_clause 0x2
	buffer_load_dword v71, off, s[0:3], 0 offset:348
	buffer_load_dword v75, off, s[0:3], 0 offset:324
	;; [unrolled: 1-line block ×3, first 2 shown]
	ds_read_b128 v[43:46], v51 offset:736
	s_clause 0x4
	buffer_load_dword v79, off, s[0:3], 0 offset:364
	buffer_load_dword v80, off, s[0:3], 0 offset:376
	;; [unrolled: 1-line block ×5, first 2 shown]
	ds_read_b128 v[47:50], v51 offset:752
	s_clause 0x2
	buffer_load_dword v81, off, s[0:3], 0 offset:380
	buffer_load_dword v164, off, s[0:3], 0 offset:356
	;; [unrolled: 1-line block ×3, first 2 shown]
	s_waitcnt vmcnt(62) lgkmcnt(2)
	v_mul_f64 v[76:77], v[41:42], v[9:10]
	v_mul_f64 v[9:10], v[39:40], v[9:10]
	s_waitcnt lgkmcnt(1)
	v_mul_f64 v[83:84], v[45:46], v[5:6]
	s_waitcnt vmcnt(59) lgkmcnt(0)
	v_mul_f64 v[165:166], v[49:50], v[3:4]
	v_fma_f64 v[39:40], v[39:40], v[7:8], -v[76:77]
	v_mul_f64 v[76:77], v[43:44], v[5:6]
	v_fma_f64 v[9:10], v[41:42], v[7:8], v[9:10]
	s_waitcnt vmcnt(57)
	v_fma_f64 v[43:44], v[43:44], v[1:2], -v[83:84]
	ds_read_b128 v[5:8], v51 offset:768
	v_mul_f64 v[41:42], v[47:48], v[3:4]
	s_waitcnt vmcnt(51)
	v_fma_f64 v[47:48], v[47:48], v[25:26], -v[165:166]
	v_add_f64 v[39:40], v[39:40], 0
	v_fma_f64 v[45:46], v[45:46], v[1:2], v[76:77]
	v_add_f64 v[9:10], v[9:10], 0
	s_clause 0x4
	buffer_load_dword v77, off, s[0:3], 0 offset:396
	buffer_load_dword v167, off, s[0:3], 0 offset:408
	;; [unrolled: 1-line block ×5, first 2 shown]
	s_waitcnt lgkmcnt(0)
	v_mul_f64 v[170:171], v[5:6], v[13:14]
	v_mul_f64 v[13:14], v[7:8], v[13:14]
	ds_read_b128 v[1:4], v51 offset:784
	v_fma_f64 v[25:26], v[49:50], v[25:26], v[41:42]
	v_add_f64 v[43:44], v[39:40], v[43:44]
	v_add_f64 v[9:10], v[9:10], v[45:46]
	s_clause 0x2
	buffer_load_dword v168, off, s[0:3], 0 offset:412
	buffer_load_dword v46, off, s[0:3], 0 offset:388
	;; [unrolled: 1-line block ×3, first 2 shown]
	s_waitcnt vmcnt(58) lgkmcnt(0)
	v_mul_f64 v[49:50], v[1:2], v[17:18]
	v_mul_f64 v[17:18], v[3:4], v[17:18]
	s_waitcnt vmcnt(56)
	v_fma_f64 v[13:14], v[5:6], v[19:20], -v[13:14]
	ds_read_b128 v[39:42], v51 offset:800
	v_fma_f64 v[19:20], v[7:8], v[19:20], v[170:171]
	v_add_f64 v[43:44], v[43:44], v[47:48]
	v_add_f64 v[9:10], v[9:10], v[25:26]
	s_clause 0x4
	buffer_load_dword v26, off, s[0:3], 0 offset:428
	buffer_load_dword v47, off, s[0:3], 0 offset:440
	;; [unrolled: 1-line block ×5, first 2 shown]
	ds_read_b128 v[5:8], v51 offset:816
	s_waitcnt vmcnt(57) lgkmcnt(1)
	v_mul_f64 v[171:172], v[39:40], v[21:22]
	v_mul_f64 v[21:22], v[41:42], v[21:22]
	s_waitcnt vmcnt(56)
	v_fma_f64 v[17:18], v[1:2], v[11:12], -v[17:18]
	v_fma_f64 v[11:12], v[3:4], v[11:12], v[49:50]
	v_add_f64 v[13:14], v[43:44], v[13:14]
	v_add_f64 v[9:10], v[9:10], v[19:20]
	s_clause 0x2
	buffer_load_dword v48, off, s[0:3], 0 offset:444
	buffer_load_dword v20, off, s[0:3], 0 offset:420
	;; [unrolled: 1-line block ×3, first 2 shown]
	s_waitcnt vmcnt(58) lgkmcnt(0)
	v_mul_f64 v[43:44], v[5:6], v[27:28]
	v_mul_f64 v[27:28], v[7:8], v[27:28]
	s_waitcnt vmcnt(56)
	v_fma_f64 v[21:22], v[39:40], v[29:30], -v[21:22]
	ds_read_b128 v[1:4], v51 offset:832
	v_add_f64 v[13:14], v[13:14], v[17:18]
	v_fma_f64 v[17:18], v[41:42], v[29:30], v[171:172]
	v_add_f64 v[29:30], v[9:10], v[11:12]
	s_clause 0x4
	buffer_load_dword v40, off, s[0:3], 0 offset:460
	buffer_load_dword v41, off, s[0:3], 0 offset:472
	;; [unrolled: 1-line block ×5, first 2 shown]
	ds_read_b128 v[9:12], v51 offset:848
	s_waitcnt vmcnt(57) lgkmcnt(1)
	v_mul_f64 v[171:172], v[1:2], v[31:32]
	v_mul_f64 v[31:32], v[3:4], v[31:32]
	s_waitcnt vmcnt(56)
	v_fma_f64 v[27:28], v[5:6], v[15:16], -v[27:28]
	v_fma_f64 v[15:16], v[7:8], v[15:16], v[43:44]
	v_add_f64 v[13:14], v[13:14], v[21:22]
	s_clause 0x2
	buffer_load_dword v42, off, s[0:3], 0 offset:476
	buffer_load_dword v22, off, s[0:3], 0 offset:452
	;; [unrolled: 1-line block ×3, first 2 shown]
	v_add_f64 v[17:18], v[29:30], v[17:18]
	s_waitcnt vmcnt(58) lgkmcnt(0)
	v_mul_f64 v[29:30], v[9:10], v[35:36]
	v_mul_f64 v[35:36], v[11:12], v[35:36]
	ds_read_b128 v[5:8], v51 offset:864
	s_waitcnt vmcnt(56)
	v_fma_f64 v[31:32], v[1:2], v[37:38], -v[31:32]
	v_add_f64 v[13:14], v[13:14], v[27:28]
	v_fma_f64 v[27:28], v[3:4], v[37:38], v[171:172]
	v_add_f64 v[15:16], v[17:18], v[15:16]
	s_clause 0x4
	buffer_load_dword v18, off, s[0:3], 0 offset:492
	buffer_load_dword v37, off, s[0:3], 0 offset:504
	;; [unrolled: 1-line block ×5, first 2 shown]
	s_waitcnt vmcnt(57) lgkmcnt(0)
	v_mul_f64 v[171:172], v[5:6], v[52:53]
	v_mul_f64 v[52:53], v[7:8], v[52:53]
	s_waitcnt vmcnt(56)
	v_fma_f64 v[35:36], v[9:10], v[23:24], -v[35:36]
	ds_read_b128 v[1:4], v51 offset:880
	v_fma_f64 v[23:24], v[11:12], v[23:24], v[29:30]
	v_add_f64 v[13:14], v[13:14], v[31:32]
	v_add_f64 v[15:16], v[15:16], v[27:28]
	s_clause 0x2
	buffer_load_dword v38, off, s[0:3], 0 offset:508
	buffer_load_dword v28, off, s[0:3], 0 offset:484
	;; [unrolled: 1-line block ×3, first 2 shown]
	ds_read_b128 v[9:12], v51 offset:896
	s_waitcnt vmcnt(58) lgkmcnt(1)
	v_mul_f64 v[31:32], v[3:4], v[54:55]
	s_waitcnt vmcnt(56)
	v_fma_f64 v[52:53], v[5:6], v[56:57], -v[52:53]
	v_mul_f64 v[29:30], v[1:2], v[54:55]
	v_add_f64 v[13:14], v[13:14], v[35:36]
	v_fma_f64 v[35:36], v[7:8], v[56:57], v[171:172]
	v_add_f64 v[15:16], v[15:16], v[23:24]
	s_clause 0x4
	buffer_load_dword v24, off, s[0:3], 0 offset:524
	buffer_load_dword v54, off, s[0:3], 0 offset:536
	;; [unrolled: 1-line block ×5, first 2 shown]
	s_waitcnt vmcnt(57) lgkmcnt(0)
	v_mul_f64 v[171:172], v[9:10], v[58:59]
	v_mul_f64 v[57:58], v[11:12], v[58:59]
	s_waitcnt vmcnt(56)
	v_fma_f64 v[31:32], v[1:2], v[33:34], -v[31:32]
	ds_read_b128 v[5:8], v51 offset:912
	v_fma_f64 v[29:30], v[3:4], v[33:34], v[29:30]
	s_clause 0x2
	buffer_load_dword v55, off, s[0:3], 0 offset:540
	buffer_load_dword v34, off, s[0:3], 0 offset:516
	;; [unrolled: 1-line block ×3, first 2 shown]
	ds_read_b128 v[1:4], v51 offset:928
	v_add_f64 v[13:14], v[13:14], v[52:53]
	v_add_f64 v[15:16], v[15:16], v[35:36]
	s_waitcnt vmcnt(58) lgkmcnt(1)
	v_mul_f64 v[52:53], v[7:8], v[62:63]
	s_waitcnt vmcnt(56)
	v_fma_f64 v[58:59], v[9:10], v[66:67], -v[57:58]
	v_mul_f64 v[35:36], v[5:6], v[62:63]
	v_add_f64 v[13:14], v[13:14], v[31:32]
	v_fma_f64 v[31:32], v[11:12], v[66:67], v[171:172]
	v_add_f64 v[15:16], v[15:16], v[29:30]
	s_clause 0x4
	buffer_load_dword v30, off, s[0:3], 0 offset:556
	buffer_load_dword v62, off, s[0:3], 0 offset:568
	;; [unrolled: 1-line block ×5, first 2 shown]
	s_waitcnt vmcnt(57) lgkmcnt(0)
	v_mul_f64 v[171:172], v[1:2], v[68:69]
	v_mul_f64 v[67:68], v[3:4], v[68:69]
	s_waitcnt vmcnt(56)
	v_fma_f64 v[52:53], v[5:6], v[64:65], -v[52:53]
	ds_read_b128 v[9:12], v51 offset:944
	v_fma_f64 v[35:36], v[7:8], v[64:65], v[35:36]
	v_add_f64 v[13:14], v[13:14], v[58:59]
	v_add_f64 v[15:16], v[15:16], v[31:32]
	s_clause 0x2
	buffer_load_dword v63, off, s[0:3], 0 offset:572
	buffer_load_dword v32, off, s[0:3], 0 offset:548
	;; [unrolled: 1-line block ×3, first 2 shown]
	ds_read_b128 v[5:8], v51 offset:960
	s_waitcnt vmcnt(58) lgkmcnt(1)
	v_mul_f64 v[64:65], v[11:12], v[70:71]
	s_waitcnt vmcnt(56)
	v_fma_f64 v[68:69], v[1:2], v[74:75], -v[67:68]
	v_mul_f64 v[58:59], v[9:10], v[70:71]
	v_add_f64 v[13:14], v[13:14], v[52:53]
	v_fma_f64 v[52:53], v[3:4], v[74:75], v[171:172]
	v_add_f64 v[15:16], v[15:16], v[35:36]
	s_clause 0x4
	buffer_load_dword v36, off, s[0:3], 0 offset:588
	buffer_load_dword v70, off, s[0:3], 0 offset:600
	;; [unrolled: 1-line block ×5, first 2 shown]
	s_waitcnt vmcnt(57) lgkmcnt(0)
	v_mul_f64 v[171:172], v[5:6], v[78:79]
	v_mul_f64 v[78:79], v[7:8], v[78:79]
	s_waitcnt vmcnt(56)
	v_fma_f64 v[64:65], v[9:10], v[72:73], -v[64:65]
	ds_read_b128 v[1:4], v51 offset:976
	v_fma_f64 v[58:59], v[11:12], v[72:73], v[58:59]
	v_add_f64 v[13:14], v[13:14], v[68:69]
	v_add_f64 v[15:16], v[15:16], v[52:53]
	s_clause 0x2
	buffer_load_dword v71, off, s[0:3], 0 offset:604
	buffer_load_dword v53, off, s[0:3], 0 offset:580
	;; [unrolled: 1-line block ×3, first 2 shown]
	ds_read_b128 v[9:12], v51 offset:992
	s_waitcnt vmcnt(58) lgkmcnt(1)
	v_mul_f64 v[72:73], v[3:4], v[80:81]
	s_waitcnt vmcnt(56)
	v_fma_f64 v[78:79], v[5:6], v[163:164], -v[78:79]
	v_mul_f64 v[68:69], v[1:2], v[80:81]
	v_add_f64 v[13:14], v[13:14], v[64:65]
	v_fma_f64 v[64:65], v[7:8], v[163:164], v[171:172]
	v_add_f64 v[15:16], v[15:16], v[58:59]
	s_clause 0x4
	buffer_load_dword v59, off, s[0:3], 0 offset:620
	buffer_load_dword v80, off, s[0:3], 0 offset:632
	;; [unrolled: 1-line block ×5, first 2 shown]
	ds_read_b128 v[5:8], v51 offset:1008
	s_waitcnt vmcnt(57) lgkmcnt(1)
	v_mul_f64 v[171:172], v[9:10], v[76:77]
	v_mul_f64 v[76:77], v[11:12], v[76:77]
	s_waitcnt vmcnt(56)
	v_fma_f64 v[72:73], v[1:2], v[82:83], -v[72:73]
	v_fma_f64 v[68:69], v[3:4], v[82:83], v[68:69]
	v_add_f64 v[13:14], v[13:14], v[78:79]
	v_add_f64 v[15:16], v[15:16], v[64:65]
	s_clause 0x2
	buffer_load_dword v81, off, s[0:3], 0 offset:636
	buffer_load_dword v65, off, s[0:3], 0 offset:612
	;; [unrolled: 1-line block ×3, first 2 shown]
	ds_read_b128 v[1:4], v51 offset:1024
	buffer_load_dword v164, off, s[0:3], 0 offset:628
	s_waitcnt vmcnt(59) lgkmcnt(1)
	v_mul_f64 v[82:83], v[7:8], v[167:168]
	v_mul_f64 v[78:79], v[5:6], v[167:168]
	s_waitcnt vmcnt(57)
	v_fma_f64 v[76:77], v[9:10], v[45:46], -v[76:77]
	v_fma_f64 v[45:46], v[11:12], v[45:46], v[171:172]
	ds_read_b128 v[9:12], v51 offset:1040
	v_add_f64 v[13:14], v[13:14], v[72:73]
	v_add_f64 v[15:16], v[15:16], v[68:69]
	s_waitcnt vmcnt(53) lgkmcnt(1)
	v_mul_f64 v[68:69], v[1:2], v[25:26]
	v_mul_f64 v[25:26], v[3:4], v[25:26]
	s_waitcnt vmcnt(52)
	v_fma_f64 v[72:73], v[5:6], v[169:170], -v[82:83]
	v_add_f64 v[13:14], v[13:14], v[76:77]
	v_fma_f64 v[76:77], v[7:8], v[169:170], v[78:79]
	v_add_f64 v[15:16], v[15:16], v[45:46]
	ds_read_b128 v[5:8], v51 offset:1056
	s_waitcnt vmcnt(51) lgkmcnt(1)
	v_mul_f64 v[45:46], v[9:10], v[47:48]
	v_mul_f64 v[47:48], v[11:12], v[47:48]
	s_waitcnt vmcnt(49)
	v_fma_f64 v[25:26], v[1:2], v[19:20], -v[25:26]
	v_fma_f64 v[19:20], v[3:4], v[19:20], v[68:69]
	v_add_f64 v[13:14], v[13:14], v[72:73]
	s_clause 0x3
	buffer_load_dword v68, off, s[0:3], 0 offset:96
	buffer_load_dword v69, off, s[0:3], 0 offset:100
	;; [unrolled: 1-line block ×4, first 2 shown]
	v_add_f64 v[15:16], v[15:16], v[76:77]
	ds_read_b128 v[1:4], v51 offset:1072
	s_waitcnt vmcnt(49) lgkmcnt(1)
	v_mul_f64 v[76:77], v[5:6], v[39:40]
	v_mul_f64 v[39:40], v[7:8], v[39:40]
	s_waitcnt vmcnt(48)
	v_fma_f64 v[47:48], v[9:10], v[165:166], -v[47:48]
	v_add_f64 v[13:14], v[13:14], v[25:26]
	v_fma_f64 v[25:26], v[11:12], v[165:166], v[45:46]
	v_add_f64 v[15:16], v[15:16], v[19:20]
	ds_read_b128 v[9:12], v51 offset:1088
	s_waitcnt vmcnt(47) lgkmcnt(1)
	v_mul_f64 v[19:20], v[1:2], v[41:42]
	v_mul_f64 v[41:42], v[3:4], v[41:42]
	s_waitcnt vmcnt(45)
	v_fma_f64 v[39:40], v[5:6], v[21:22], -v[39:40]
	v_fma_f64 v[21:22], v[7:8], v[21:22], v[76:77]
	ds_read_b128 v[5:8], v51 offset:1104
	v_add_f64 v[13:14], v[13:14], v[47:48]
	v_add_f64 v[15:16], v[15:16], v[25:26]
	s_waitcnt vmcnt(41) lgkmcnt(1)
	v_mul_f64 v[25:26], v[9:10], v[17:18]
	v_mul_f64 v[17:18], v[11:12], v[17:18]
	s_waitcnt vmcnt(40)
	v_fma_f64 v[41:42], v[1:2], v[49:50], -v[41:42]
	v_fma_f64 v[19:20], v[3:4], v[49:50], v[19:20]
	ds_read_b128 v[1:4], v51 offset:1120
	v_add_f64 v[13:14], v[13:14], v[39:40]
	v_add_f64 v[15:16], v[15:16], v[21:22]
	;; [unrolled: 9-line block ×3, first 2 shown]
	s_waitcnt vmcnt(33) lgkmcnt(1)
	v_mul_f64 v[19:20], v[1:2], v[23:24]
	v_mul_f64 v[23:24], v[3:4], v[23:24]
	s_waitcnt vmcnt(32)
	v_fma_f64 v[27:28], v[5:6], v[43:44], -v[37:38]
	v_add_f64 v[13:14], v[13:14], v[17:18]
	v_fma_f64 v[17:18], v[7:8], v[43:44], v[21:22]
	v_add_f64 v[15:16], v[15:16], v[25:26]
	ds_read_b128 v[5:8], v51 offset:1152
	s_waitcnt vmcnt(31) lgkmcnt(1)
	v_mul_f64 v[25:26], v[11:12], v[54:55]
	v_mul_f64 v[21:22], v[9:10], v[54:55]
	s_waitcnt vmcnt(29)
	v_fma_f64 v[19:20], v[3:4], v[33:34], v[19:20]
	v_fma_f64 v[23:24], v[1:2], v[33:34], -v[23:24]
	ds_read_b128 v[1:4], v51 offset:1168
	v_add_f64 v[13:14], v[13:14], v[27:28]
	v_add_f64 v[15:16], v[15:16], v[17:18]
	s_waitcnt vmcnt(25) lgkmcnt(1)
	v_mul_f64 v[27:28], v[7:8], v[29:30]
	s_waitcnt vmcnt(24)
	v_fma_f64 v[25:26], v[9:10], v[56:57], -v[25:26]
	v_mul_f64 v[17:18], v[5:6], v[29:30]
	v_fma_f64 v[21:22], v[11:12], v[56:57], v[21:22]
	ds_read_b128 v[9:12], v51 offset:1184
	v_add_f64 v[13:14], v[13:14], v[23:24]
	v_add_f64 v[15:16], v[15:16], v[19:20]
	s_waitcnt vmcnt(23) lgkmcnt(1)
	v_mul_f64 v[23:24], v[3:4], v[62:63]
	v_mul_f64 v[19:20], v[1:2], v[62:63]
	s_waitcnt vmcnt(21)
	v_fma_f64 v[27:28], v[5:6], v[31:32], -v[27:28]
	v_fma_f64 v[17:18], v[7:8], v[31:32], v[17:18]
	ds_read_b128 v[5:8], v51 offset:1200
	v_add_f64 v[13:14], v[13:14], v[25:26]
	v_add_f64 v[15:16], v[15:16], v[21:22]
	s_waitcnt vmcnt(17) lgkmcnt(1)
	v_mul_f64 v[25:26], v[11:12], v[35:36]
	s_waitcnt vmcnt(16)
	v_fma_f64 v[23:24], v[1:2], v[66:67], -v[23:24]
	v_mul_f64 v[21:22], v[9:10], v[35:36]
	v_fma_f64 v[19:20], v[3:4], v[66:67], v[19:20]
	ds_read_b128 v[1:4], v51 offset:1216
	v_add_f64 v[13:14], v[13:14], v[27:28]
	v_add_f64 v[15:16], v[15:16], v[17:18]
	s_waitcnt vmcnt(15) lgkmcnt(1)
	v_mul_f64 v[27:28], v[7:8], v[70:71]
	v_mul_f64 v[17:18], v[5:6], v[70:71]
	s_waitcnt vmcnt(13)
	v_fma_f64 v[25:26], v[9:10], v[52:53], -v[25:26]
	v_fma_f64 v[21:22], v[11:12], v[52:53], v[21:22]
	ds_read_b128 v[9:12], v51 offset:1232
	v_add_f64 v[13:14], v[13:14], v[23:24]
	v_add_f64 v[15:16], v[15:16], v[19:20]
	s_waitcnt vmcnt(9) lgkmcnt(1)
	v_mul_f64 v[23:24], v[3:4], v[58:59]
	s_waitcnt vmcnt(8)
	v_fma_f64 v[5:6], v[5:6], v[74:75], -v[27:28]
	v_mul_f64 v[19:20], v[1:2], v[58:59]
	v_fma_f64 v[7:8], v[7:8], v[74:75], v[17:18]
	v_add_f64 v[13:14], v[13:14], v[25:26]
	v_add_f64 v[15:16], v[15:16], v[21:22]
	s_waitcnt vmcnt(7) lgkmcnt(0)
	v_mul_f64 v[21:22], v[11:12], v[80:81]
	v_mul_f64 v[17:18], v[9:10], v[80:81]
	s_waitcnt vmcnt(5)
	v_fma_f64 v[1:2], v[1:2], v[64:65], -v[23:24]
	v_fma_f64 v[3:4], v[3:4], v[64:65], v[19:20]
	v_add_f64 v[5:6], v[13:14], v[5:6]
	v_add_f64 v[7:8], v[15:16], v[7:8]
	s_waitcnt vmcnt(4)
	v_fma_f64 v[9:10], v[9:10], v[163:164], -v[21:22]
	v_add_f64 v[1:2], v[5:6], v[1:2]
	v_fma_f64 v[5:6], v[11:12], v[163:164], v[17:18]
	v_add_f64 v[3:4], v[7:8], v[3:4]
	v_add_f64 v[1:2], v[1:2], v[9:10]
	;; [unrolled: 1-line block ×3, first 2 shown]
	s_waitcnt vmcnt(2)
	v_add_f64 v[1:2], v[68:69], -v[1:2]
	s_waitcnt vmcnt(0)
	v_add_f64 v[3:4], v[72:73], -v[3:4]
	buffer_store_dword v2, off, s[0:3], 0 offset:100
	buffer_store_dword v1, off, s[0:3], 0 offset:96
	;; [unrolled: 1-line block ×4, first 2 shown]
	v_cmpx_lt_u32_e32 4, v0
	s_cbranch_execz .LBB38_239
; %bb.238:
	v_mov_b32_e32 v4, s47
	s_clause 0x3
	buffer_load_dword v1, v4, s[0:3], 0 offen
	buffer_load_dword v2, v4, s[0:3], 0 offen offset:4
	buffer_load_dword v3, v4, s[0:3], 0 offen offset:8
	;; [unrolled: 1-line block ×3, first 2 shown]
	buffer_store_dword v51, off, s[0:3], 0 offset:80
	buffer_store_dword v51, off, s[0:3], 0 offset:84
	;; [unrolled: 1-line block ×4, first 2 shown]
	s_waitcnt vmcnt(0)
	ds_write_b128 v61, v[1:4]
.LBB38_239:
	s_or_b32 exec_lo, exec_lo, s4
	s_waitcnt lgkmcnt(0)
	s_waitcnt_vscnt null, 0x0
	s_barrier
	buffer_gl0_inv
	s_clause 0x37
	buffer_load_dword v9, off, s[0:3], 0 offset:104
	buffer_load_dword v10, off, s[0:3], 0 offset:108
	;; [unrolled: 1-line block ×56, first 2 shown]
	ds_read_b128 v[52:55], v51 offset:704
	s_clause 0x2
	buffer_load_dword v73, off, s[0:3], 0 offset:332
	buffer_load_dword v75, off, s[0:3], 0 offset:308
	;; [unrolled: 1-line block ×3, first 2 shown]
	ds_read_b128 v[56:59], v51 offset:720
	s_clause 0x4
	buffer_load_dword v79, off, s[0:3], 0 offset:348
	buffer_load_dword v80, off, s[0:3], 0 offset:360
	;; [unrolled: 1-line block ×5, first 2 shown]
	ds_read_b128 v[62:65], v51 offset:736
	s_clause 0x2
	buffer_load_dword v81, off, s[0:3], 0 offset:364
	buffer_load_dword v164, off, s[0:3], 0 offset:340
	;; [unrolled: 1-line block ×3, first 2 shown]
	s_mov_b32 s4, exec_lo
	s_waitcnt vmcnt(62) lgkmcnt(2)
	v_mul_f64 v[76:77], v[54:55], v[9:10]
	v_mul_f64 v[9:10], v[52:53], v[9:10]
	s_waitcnt lgkmcnt(1)
	v_mul_f64 v[83:84], v[58:59], v[5:6]
	s_waitcnt vmcnt(59) lgkmcnt(0)
	v_mul_f64 v[165:166], v[64:65], v[3:4]
	v_fma_f64 v[52:53], v[52:53], v[7:8], -v[76:77]
	v_mul_f64 v[76:77], v[56:57], v[5:6]
	v_fma_f64 v[9:10], v[54:55], v[7:8], v[9:10]
	s_waitcnt vmcnt(57)
	v_fma_f64 v[56:57], v[56:57], v[1:2], -v[83:84]
	ds_read_b128 v[5:8], v51 offset:752
	v_mul_f64 v[54:55], v[62:63], v[3:4]
	s_waitcnt vmcnt(51)
	v_fma_f64 v[62:63], v[62:63], v[25:26], -v[165:166]
	v_add_f64 v[52:53], v[52:53], 0
	v_fma_f64 v[58:59], v[58:59], v[1:2], v[76:77]
	v_add_f64 v[9:10], v[9:10], 0
	s_clause 0x4
	buffer_load_dword v77, off, s[0:3], 0 offset:380
	buffer_load_dword v167, off, s[0:3], 0 offset:392
	buffer_load_dword v169, off, s[0:3], 0 offset:384
	buffer_load_dword v76, off, s[0:3], 0 offset:376
	buffer_load_dword v83, off, s[0:3], 0 offset:356
	s_waitcnt lgkmcnt(0)
	v_mul_f64 v[170:171], v[5:6], v[13:14]
	v_mul_f64 v[13:14], v[7:8], v[13:14]
	ds_read_b128 v[1:4], v51 offset:768
	v_fma_f64 v[25:26], v[64:65], v[25:26], v[54:55]
	v_add_f64 v[56:57], v[52:53], v[56:57]
	v_add_f64 v[9:10], v[9:10], v[58:59]
	s_clause 0x2
	buffer_load_dword v168, off, s[0:3], 0 offset:396
	buffer_load_dword v59, off, s[0:3], 0 offset:372
	;; [unrolled: 1-line block ×3, first 2 shown]
	s_waitcnt vmcnt(58) lgkmcnt(0)
	v_mul_f64 v[64:65], v[1:2], v[17:18]
	v_mul_f64 v[17:18], v[3:4], v[17:18]
	s_waitcnt vmcnt(56)
	v_fma_f64 v[13:14], v[5:6], v[19:20], -v[13:14]
	ds_read_b128 v[52:55], v51 offset:784
	v_fma_f64 v[19:20], v[7:8], v[19:20], v[170:171]
	v_add_f64 v[56:57], v[56:57], v[62:63]
	v_add_f64 v[9:10], v[9:10], v[25:26]
	s_clause 0x4
	buffer_load_dword v26, off, s[0:3], 0 offset:412
	buffer_load_dword v62, off, s[0:3], 0 offset:424
	;; [unrolled: 1-line block ×5, first 2 shown]
	ds_read_b128 v[5:8], v51 offset:800
	s_waitcnt vmcnt(57) lgkmcnt(1)
	v_mul_f64 v[171:172], v[52:53], v[21:22]
	v_mul_f64 v[21:22], v[54:55], v[21:22]
	s_waitcnt vmcnt(56)
	v_fma_f64 v[17:18], v[1:2], v[11:12], -v[17:18]
	v_fma_f64 v[11:12], v[3:4], v[11:12], v[64:65]
	v_add_f64 v[13:14], v[56:57], v[13:14]
	v_add_f64 v[9:10], v[9:10], v[19:20]
	s_clause 0x2
	buffer_load_dword v63, off, s[0:3], 0 offset:428
	buffer_load_dword v20, off, s[0:3], 0 offset:404
	;; [unrolled: 1-line block ×3, first 2 shown]
	s_waitcnt vmcnt(58) lgkmcnt(0)
	v_mul_f64 v[56:57], v[5:6], v[27:28]
	v_mul_f64 v[27:28], v[7:8], v[27:28]
	s_waitcnt vmcnt(56)
	v_fma_f64 v[21:22], v[52:53], v[29:30], -v[21:22]
	ds_read_b128 v[1:4], v51 offset:816
	v_add_f64 v[13:14], v[13:14], v[17:18]
	v_fma_f64 v[17:18], v[54:55], v[29:30], v[171:172]
	v_add_f64 v[29:30], v[9:10], v[11:12]
	s_clause 0x4
	buffer_load_dword v53, off, s[0:3], 0 offset:444
	buffer_load_dword v54, off, s[0:3], 0 offset:456
	;; [unrolled: 1-line block ×5, first 2 shown]
	ds_read_b128 v[9:12], v51 offset:832
	s_waitcnt vmcnt(57) lgkmcnt(1)
	v_mul_f64 v[171:172], v[1:2], v[31:32]
	v_mul_f64 v[31:32], v[3:4], v[31:32]
	s_waitcnt vmcnt(56)
	v_fma_f64 v[27:28], v[5:6], v[15:16], -v[27:28]
	v_fma_f64 v[15:16], v[7:8], v[15:16], v[56:57]
	v_add_f64 v[13:14], v[13:14], v[21:22]
	s_clause 0x2
	buffer_load_dword v55, off, s[0:3], 0 offset:460
	buffer_load_dword v22, off, s[0:3], 0 offset:436
	;; [unrolled: 1-line block ×3, first 2 shown]
	v_add_f64 v[17:18], v[29:30], v[17:18]
	s_waitcnt vmcnt(58) lgkmcnt(0)
	v_mul_f64 v[29:30], v[9:10], v[35:36]
	v_mul_f64 v[35:36], v[11:12], v[35:36]
	ds_read_b128 v[5:8], v51 offset:848
	s_waitcnt vmcnt(56)
	v_fma_f64 v[31:32], v[1:2], v[37:38], -v[31:32]
	v_add_f64 v[13:14], v[13:14], v[27:28]
	v_fma_f64 v[27:28], v[3:4], v[37:38], v[171:172]
	v_add_f64 v[15:16], v[17:18], v[15:16]
	s_clause 0x4
	buffer_load_dword v18, off, s[0:3], 0 offset:476
	buffer_load_dword v37, off, s[0:3], 0 offset:488
	;; [unrolled: 1-line block ×5, first 2 shown]
	s_waitcnt vmcnt(57) lgkmcnt(0)
	v_mul_f64 v[171:172], v[5:6], v[39:40]
	v_mul_f64 v[39:40], v[7:8], v[39:40]
	s_waitcnt vmcnt(56)
	v_fma_f64 v[35:36], v[9:10], v[23:24], -v[35:36]
	ds_read_b128 v[1:4], v51 offset:864
	v_fma_f64 v[23:24], v[11:12], v[23:24], v[29:30]
	v_add_f64 v[13:14], v[13:14], v[31:32]
	v_add_f64 v[15:16], v[15:16], v[27:28]
	s_clause 0x2
	buffer_load_dword v38, off, s[0:3], 0 offset:492
	buffer_load_dword v28, off, s[0:3], 0 offset:468
	;; [unrolled: 1-line block ×3, first 2 shown]
	ds_read_b128 v[9:12], v51 offset:880
	s_waitcnt vmcnt(58) lgkmcnt(1)
	v_mul_f64 v[31:32], v[3:4], v[43:44]
	s_waitcnt vmcnt(56)
	v_fma_f64 v[39:40], v[5:6], v[45:46], -v[39:40]
	v_mul_f64 v[29:30], v[1:2], v[43:44]
	v_add_f64 v[13:14], v[13:14], v[35:36]
	v_fma_f64 v[35:36], v[7:8], v[45:46], v[171:172]
	v_add_f64 v[15:16], v[15:16], v[23:24]
	s_clause 0x4
	buffer_load_dword v24, off, s[0:3], 0 offset:508
	buffer_load_dword v43, off, s[0:3], 0 offset:520
	;; [unrolled: 1-line block ×5, first 2 shown]
	s_waitcnt vmcnt(57) lgkmcnt(0)
	v_mul_f64 v[171:172], v[9:10], v[47:48]
	v_mul_f64 v[46:47], v[11:12], v[47:48]
	s_waitcnt vmcnt(56)
	v_fma_f64 v[31:32], v[1:2], v[33:34], -v[31:32]
	ds_read_b128 v[5:8], v51 offset:896
	v_fma_f64 v[29:30], v[3:4], v[33:34], v[29:30]
	s_clause 0x2
	buffer_load_dword v44, off, s[0:3], 0 offset:524
	buffer_load_dword v34, off, s[0:3], 0 offset:500
	;; [unrolled: 1-line block ×3, first 2 shown]
	ds_read_b128 v[1:4], v51 offset:912
	v_add_f64 v[13:14], v[13:14], v[39:40]
	v_add_f64 v[15:16], v[15:16], v[35:36]
	s_waitcnt vmcnt(58) lgkmcnt(1)
	v_mul_f64 v[39:40], v[7:8], v[66:67]
	s_waitcnt vmcnt(56)
	v_fma_f64 v[47:48], v[9:10], v[68:69], -v[46:47]
	v_mul_f64 v[35:36], v[5:6], v[66:67]
	v_add_f64 v[13:14], v[13:14], v[31:32]
	v_fma_f64 v[31:32], v[11:12], v[68:69], v[171:172]
	v_add_f64 v[15:16], v[15:16], v[29:30]
	s_clause 0x4
	buffer_load_dword v30, off, s[0:3], 0 offset:540
	buffer_load_dword v66, off, s[0:3], 0 offset:552
	;; [unrolled: 1-line block ×5, first 2 shown]
	s_waitcnt vmcnt(57) lgkmcnt(0)
	v_mul_f64 v[171:172], v[1:2], v[70:71]
	v_mul_f64 v[69:70], v[3:4], v[70:71]
	s_waitcnt vmcnt(56)
	v_fma_f64 v[39:40], v[5:6], v[41:42], -v[39:40]
	ds_read_b128 v[9:12], v51 offset:928
	v_fma_f64 v[35:36], v[7:8], v[41:42], v[35:36]
	v_add_f64 v[13:14], v[13:14], v[47:48]
	v_add_f64 v[15:16], v[15:16], v[31:32]
	s_clause 0x2
	buffer_load_dword v67, off, s[0:3], 0 offset:556
	buffer_load_dword v32, off, s[0:3], 0 offset:532
	;; [unrolled: 1-line block ×3, first 2 shown]
	ds_read_b128 v[5:8], v51 offset:944
	s_waitcnt vmcnt(58) lgkmcnt(1)
	v_mul_f64 v[47:48], v[11:12], v[72:73]
	s_waitcnt vmcnt(56)
	v_fma_f64 v[70:71], v[1:2], v[74:75], -v[69:70]
	v_mul_f64 v[41:42], v[9:10], v[72:73]
	v_add_f64 v[13:14], v[13:14], v[39:40]
	v_fma_f64 v[39:40], v[3:4], v[74:75], v[171:172]
	v_add_f64 v[15:16], v[15:16], v[35:36]
	s_clause 0x4
	buffer_load_dword v36, off, s[0:3], 0 offset:572
	buffer_load_dword v72, off, s[0:3], 0 offset:584
	;; [unrolled: 1-line block ×5, first 2 shown]
	s_waitcnt vmcnt(57) lgkmcnt(0)
	v_mul_f64 v[171:172], v[5:6], v[78:79]
	v_mul_f64 v[78:79], v[7:8], v[78:79]
	s_waitcnt vmcnt(56)
	v_fma_f64 v[47:48], v[9:10], v[49:50], -v[47:48]
	ds_read_b128 v[1:4], v51 offset:960
	v_fma_f64 v[41:42], v[11:12], v[49:50], v[41:42]
	v_add_f64 v[13:14], v[13:14], v[70:71]
	v_add_f64 v[15:16], v[15:16], v[39:40]
	s_clause 0x2
	buffer_load_dword v73, off, s[0:3], 0 offset:588
	buffer_load_dword v40, off, s[0:3], 0 offset:564
	;; [unrolled: 1-line block ×3, first 2 shown]
	ds_read_b128 v[9:12], v51 offset:976
	s_waitcnt vmcnt(58) lgkmcnt(1)
	v_mul_f64 v[70:71], v[3:4], v[80:81]
	s_waitcnt vmcnt(56)
	v_fma_f64 v[78:79], v[5:6], v[163:164], -v[78:79]
	v_mul_f64 v[49:50], v[1:2], v[80:81]
	v_add_f64 v[13:14], v[13:14], v[47:48]
	v_fma_f64 v[47:48], v[7:8], v[163:164], v[171:172]
	v_add_f64 v[15:16], v[15:16], v[41:42]
	s_clause 0x4
	buffer_load_dword v42, off, s[0:3], 0 offset:604
	buffer_load_dword v80, off, s[0:3], 0 offset:616
	;; [unrolled: 1-line block ×5, first 2 shown]
	ds_read_b128 v[5:8], v51 offset:992
	s_waitcnt vmcnt(57) lgkmcnt(1)
	v_mul_f64 v[171:172], v[9:10], v[76:77]
	v_mul_f64 v[76:77], v[11:12], v[76:77]
	s_waitcnt vmcnt(56)
	v_fma_f64 v[70:71], v[1:2], v[82:83], -v[70:71]
	v_fma_f64 v[49:50], v[3:4], v[82:83], v[49:50]
	v_add_f64 v[13:14], v[13:14], v[78:79]
	v_add_f64 v[15:16], v[15:16], v[47:48]
	s_clause 0x2
	buffer_load_dword v81, off, s[0:3], 0 offset:620
	buffer_load_dword v48, off, s[0:3], 0 offset:596
	;; [unrolled: 1-line block ×3, first 2 shown]
	ds_read_b128 v[1:4], v51 offset:1008
	s_waitcnt vmcnt(58) lgkmcnt(1)
	v_mul_f64 v[82:83], v[7:8], v[167:168]
	v_mul_f64 v[78:79], v[5:6], v[167:168]
	s_waitcnt vmcnt(56)
	v_fma_f64 v[76:77], v[9:10], v[58:59], -v[76:77]
	v_fma_f64 v[58:59], v[11:12], v[58:59], v[171:172]
	v_add_f64 v[13:14], v[13:14], v[70:71]
	v_add_f64 v[15:16], v[15:16], v[49:50]
	s_clause 0x2
	buffer_load_dword v50, off, s[0:3], 0 offset:636
	buffer_load_dword v49, off, s[0:3], 0 offset:632
	;; [unrolled: 1-line block ×3, first 2 shown]
	ds_read_b128 v[9:12], v51 offset:1024
	s_waitcnt vmcnt(55) lgkmcnt(1)
	v_mul_f64 v[70:71], v[1:2], v[25:26]
	v_mul_f64 v[25:26], v[3:4], v[25:26]
	s_waitcnt vmcnt(54)
	v_fma_f64 v[82:83], v[5:6], v[169:170], -v[82:83]
	v_add_f64 v[13:14], v[13:14], v[76:77]
	v_fma_f64 v[76:77], v[7:8], v[169:170], v[78:79]
	v_add_f64 v[15:16], v[15:16], v[58:59]
	s_clause 0x1
	buffer_load_dword v59, off, s[0:3], 0 offset:628
	buffer_load_dword v58, off, s[0:3], 0 offset:624
	ds_read_b128 v[5:8], v51 offset:1040
	s_waitcnt vmcnt(55) lgkmcnt(1)
	v_mul_f64 v[78:79], v[9:10], v[62:63]
	v_mul_f64 v[62:63], v[11:12], v[62:63]
	s_waitcnt vmcnt(53)
	v_fma_f64 v[25:26], v[1:2], v[19:20], -v[25:26]
	v_fma_f64 v[19:20], v[3:4], v[19:20], v[70:71]
	ds_read_b128 v[1:4], v51 offset:1056
	v_add_f64 v[13:14], v[13:14], v[82:83]
	v_add_f64 v[15:16], v[15:16], v[76:77]
	s_waitcnt vmcnt(49) lgkmcnt(1)
	v_mul_f64 v[70:71], v[5:6], v[52:53]
	v_mul_f64 v[52:53], v[7:8], v[52:53]
	s_waitcnt vmcnt(48)
	v_fma_f64 v[62:63], v[9:10], v[165:166], -v[62:63]
	v_add_f64 v[13:14], v[13:14], v[25:26]
	v_fma_f64 v[25:26], v[11:12], v[165:166], v[78:79]
	v_add_f64 v[15:16], v[15:16], v[19:20]
	s_clause 0x3
	buffer_load_dword v19, off, s[0:3], 0 offset:80
	buffer_load_dword v20, off, s[0:3], 0 offset:84
	;; [unrolled: 1-line block ×4, first 2 shown]
	ds_read_b128 v[9:12], v51 offset:1072
	s_waitcnt vmcnt(51) lgkmcnt(1)
	v_mul_f64 v[78:79], v[1:2], v[54:55]
	v_mul_f64 v[54:55], v[3:4], v[54:55]
	s_waitcnt vmcnt(49)
	v_fma_f64 v[52:53], v[5:6], v[21:22], -v[52:53]
	v_fma_f64 v[21:22], v[7:8], v[21:22], v[70:71]
	ds_read_b128 v[5:8], v51 offset:1088
	v_add_f64 v[13:14], v[13:14], v[62:63]
	v_add_f64 v[15:16], v[15:16], v[25:26]
	s_waitcnt vmcnt(45) lgkmcnt(1)
	v_mul_f64 v[25:26], v[9:10], v[17:18]
	v_mul_f64 v[17:18], v[11:12], v[17:18]
	s_waitcnt vmcnt(44)
	v_fma_f64 v[54:55], v[1:2], v[64:65], -v[54:55]
	v_add_f64 v[13:14], v[13:14], v[52:53]
	v_fma_f64 v[52:53], v[3:4], v[64:65], v[78:79]
	v_add_f64 v[15:16], v[15:16], v[21:22]
	ds_read_b128 v[1:4], v51 offset:1104
	s_waitcnt vmcnt(43) lgkmcnt(1)
	v_mul_f64 v[21:22], v[5:6], v[37:38]
	v_mul_f64 v[37:38], v[7:8], v[37:38]
	s_waitcnt vmcnt(41)
	v_fma_f64 v[17:18], v[9:10], v[27:28], -v[17:18]
	v_fma_f64 v[25:26], v[11:12], v[27:28], v[25:26]
	ds_read_b128 v[9:12], v51 offset:1120
	v_add_f64 v[13:14], v[13:14], v[54:55]
	v_add_f64 v[15:16], v[15:16], v[52:53]
	s_waitcnt vmcnt(37) lgkmcnt(1)
	v_mul_f64 v[27:28], v[1:2], v[23:24]
	v_mul_f64 v[23:24], v[3:4], v[23:24]
	s_waitcnt vmcnt(36)
	v_fma_f64 v[37:38], v[5:6], v[56:57], -v[37:38]
	v_add_f64 v[13:14], v[13:14], v[17:18]
	v_fma_f64 v[17:18], v[7:8], v[56:57], v[21:22]
	v_add_f64 v[15:16], v[15:16], v[25:26]
	s_waitcnt vmcnt(35) lgkmcnt(0)
	v_mul_f64 v[25:26], v[11:12], v[43:44]
	ds_read_b128 v[5:8], v51 offset:1136
	v_mul_f64 v[21:22], v[9:10], v[43:44]
	s_waitcnt vmcnt(33)
	v_fma_f64 v[27:28], v[3:4], v[33:34], v[27:28]
	v_fma_f64 v[23:24], v[1:2], v[33:34], -v[23:24]
	ds_read_b128 v[1:4], v51 offset:1152
	v_add_f64 v[13:14], v[13:14], v[37:38]
	v_add_f64 v[15:16], v[15:16], v[17:18]
	s_waitcnt vmcnt(29) lgkmcnt(1)
	v_mul_f64 v[17:18], v[5:6], v[29:30]
	v_mul_f64 v[29:30], v[7:8], v[29:30]
	s_waitcnt vmcnt(28)
	v_fma_f64 v[25:26], v[9:10], v[45:46], -v[25:26]
	v_fma_f64 v[21:22], v[11:12], v[45:46], v[21:22]
	ds_read_b128 v[9:12], v51 offset:1168
	v_add_f64 v[13:14], v[13:14], v[23:24]
	v_add_f64 v[15:16], v[15:16], v[27:28]
	s_waitcnt vmcnt(27) lgkmcnt(1)
	v_mul_f64 v[27:28], v[3:4], v[66:67]
	v_mul_f64 v[23:24], v[1:2], v[66:67]
	s_waitcnt vmcnt(25)
	v_fma_f64 v[29:30], v[5:6], v[31:32], -v[29:30]
	v_fma_f64 v[17:18], v[7:8], v[31:32], v[17:18]
	ds_read_b128 v[5:8], v51 offset:1184
	v_add_f64 v[13:14], v[13:14], v[25:26]
	v_add_f64 v[15:16], v[15:16], v[21:22]
	s_waitcnt vmcnt(21) lgkmcnt(1)
	v_mul_f64 v[25:26], v[11:12], v[35:36]
	s_waitcnt vmcnt(20)
	v_fma_f64 v[27:28], v[1:2], v[68:69], -v[27:28]
	v_mul_f64 v[21:22], v[9:10], v[35:36]
	v_fma_f64 v[23:24], v[3:4], v[68:69], v[23:24]
	ds_read_b128 v[1:4], v51 offset:1200
	v_add_f64 v[13:14], v[13:14], v[29:30]
	v_add_f64 v[15:16], v[15:16], v[17:18]
	s_waitcnt vmcnt(19) lgkmcnt(1)
	v_mul_f64 v[29:30], v[7:8], v[72:73]
	v_mul_f64 v[17:18], v[5:6], v[72:73]
	s_waitcnt vmcnt(17)
	v_fma_f64 v[25:26], v[9:10], v[39:40], -v[25:26]
	v_fma_f64 v[21:22], v[11:12], v[39:40], v[21:22]
	ds_read_b128 v[9:12], v51 offset:1216
	v_add_f64 v[13:14], v[13:14], v[27:28]
	v_add_f64 v[15:16], v[15:16], v[23:24]
	s_waitcnt vmcnt(13) lgkmcnt(1)
	v_mul_f64 v[27:28], v[3:4], v[41:42]
	s_waitcnt vmcnt(12)
	v_fma_f64 v[29:30], v[5:6], v[74:75], -v[29:30]
	v_mul_f64 v[23:24], v[1:2], v[41:42]
	v_fma_f64 v[17:18], v[7:8], v[74:75], v[17:18]
	ds_read_b128 v[5:8], v51 offset:1232
	v_add_f64 v[13:14], v[13:14], v[25:26]
	v_add_f64 v[15:16], v[15:16], v[21:22]
	s_waitcnt vmcnt(11) lgkmcnt(1)
	v_mul_f64 v[25:26], v[11:12], v[80:81]
	v_mul_f64 v[21:22], v[9:10], v[80:81]
	s_waitcnt vmcnt(9)
	v_fma_f64 v[1:2], v[1:2], v[47:48], -v[27:28]
	v_fma_f64 v[3:4], v[3:4], v[47:48], v[23:24]
	v_add_f64 v[13:14], v[13:14], v[29:30]
	v_add_f64 v[15:16], v[15:16], v[17:18]
	s_waitcnt vmcnt(7) lgkmcnt(0)
	v_mul_f64 v[23:24], v[7:8], v[49:50]
	s_waitcnt vmcnt(6)
	v_fma_f64 v[9:10], v[9:10], v[163:164], -v[25:26]
	v_mul_f64 v[17:18], v[5:6], v[49:50]
	v_fma_f64 v[11:12], v[11:12], v[163:164], v[21:22]
	v_add_f64 v[1:2], v[13:14], v[1:2]
	v_add_f64 v[3:4], v[15:16], v[3:4]
	s_waitcnt vmcnt(4)
	v_fma_f64 v[5:6], v[5:6], v[58:59], -v[23:24]
	v_fma_f64 v[7:8], v[7:8], v[58:59], v[17:18]
	v_add_f64 v[1:2], v[1:2], v[9:10]
	v_add_f64 v[3:4], v[3:4], v[11:12]
	;; [unrolled: 1-line block ×4, first 2 shown]
	s_waitcnt vmcnt(2)
	v_add_f64 v[1:2], v[19:20], -v[1:2]
	s_waitcnt vmcnt(0)
	v_add_f64 v[3:4], v[76:77], -v[3:4]
	buffer_store_dword v2, off, s[0:3], 0 offset:84
	buffer_store_dword v1, off, s[0:3], 0 offset:80
	;; [unrolled: 1-line block ×4, first 2 shown]
	v_cmpx_lt_u32_e32 3, v0
	s_cbranch_execz .LBB38_241
; %bb.240:
	v_mov_b32_e32 v4, s48
	v_mov_b32_e32 v5, 0
	s_clause 0x3
	buffer_load_dword v1, v4, s[0:3], 0 offen
	buffer_load_dword v2, v4, s[0:3], 0 offen offset:4
	buffer_load_dword v3, v4, s[0:3], 0 offen offset:8
	;; [unrolled: 1-line block ×3, first 2 shown]
	buffer_store_dword v5, off, s[0:3], 0 offset:64
	buffer_store_dword v5, off, s[0:3], 0 offset:68
	;; [unrolled: 1-line block ×4, first 2 shown]
	s_waitcnt vmcnt(0)
	ds_write_b128 v61, v[1:4]
.LBB38_241:
	s_or_b32 exec_lo, exec_lo, s4
	s_waitcnt lgkmcnt(0)
	s_waitcnt_vscnt null, 0x0
	s_barrier
	buffer_gl0_inv
	s_clause 0x37
	buffer_load_dword v9, off, s[0:3], 0 offset:88
	buffer_load_dword v10, off, s[0:3], 0 offset:92
	;; [unrolled: 1-line block ×56, first 2 shown]
	v_mov_b32_e32 v62, 0
	s_mov_b32 s4, exec_lo
	ds_read_b128 v[63:66], v62 offset:688
	s_clause 0x2
	buffer_load_dword v58, off, s[0:3], 0 offset:316
	buffer_load_dword v60, off, s[0:3], 0 offset:292
	;; [unrolled: 1-line block ×3, first 2 shown]
	ds_read_b128 v[67:70], v62 offset:704
	s_clause 0x4
	buffer_load_dword v78, off, s[0:3], 0 offset:332
	buffer_load_dword v79, off, s[0:3], 0 offset:344
	;; [unrolled: 1-line block ×5, first 2 shown]
	ds_read_b128 v[71:74], v62 offset:720
	s_clause 0x2
	buffer_load_dword v80, off, s[0:3], 0 offset:348
	buffer_load_dword v164, off, s[0:3], 0 offset:324
	;; [unrolled: 1-line block ×3, first 2 shown]
	s_waitcnt vmcnt(62) lgkmcnt(2)
	v_mul_f64 v[75:76], v[65:66], v[9:10]
	v_mul_f64 v[9:10], v[63:64], v[9:10]
	s_waitcnt lgkmcnt(1)
	v_mul_f64 v[82:83], v[69:70], v[5:6]
	s_waitcnt vmcnt(59) lgkmcnt(0)
	v_mul_f64 v[165:166], v[73:74], v[3:4]
	v_fma_f64 v[63:64], v[63:64], v[7:8], -v[75:76]
	v_mul_f64 v[75:76], v[67:68], v[5:6]
	v_fma_f64 v[9:10], v[65:66], v[7:8], v[9:10]
	s_waitcnt vmcnt(57)
	v_fma_f64 v[67:68], v[67:68], v[1:2], -v[82:83]
	ds_read_b128 v[5:8], v62 offset:736
	v_mul_f64 v[65:66], v[71:72], v[3:4]
	s_waitcnt vmcnt(51)
	v_fma_f64 v[71:72], v[71:72], v[25:26], -v[165:166]
	v_add_f64 v[63:64], v[63:64], 0
	v_fma_f64 v[69:70], v[69:70], v[1:2], v[75:76]
	v_add_f64 v[9:10], v[9:10], 0
	s_clause 0x4
	buffer_load_dword v76, off, s[0:3], 0 offset:364
	buffer_load_dword v83, off, s[0:3], 0 offset:376
	;; [unrolled: 1-line block ×5, first 2 shown]
	s_waitcnt lgkmcnt(0)
	v_mul_f64 v[168:169], v[5:6], v[13:14]
	v_mul_f64 v[13:14], v[7:8], v[13:14]
	ds_read_b128 v[1:4], v62 offset:752
	v_fma_f64 v[25:26], v[73:74], v[25:26], v[65:66]
	v_add_f64 v[67:68], v[63:64], v[67:68]
	v_add_f64 v[9:10], v[9:10], v[69:70]
	s_clause 0x2
	buffer_load_dword v84, off, s[0:3], 0 offset:380
	buffer_load_dword v70, off, s[0:3], 0 offset:356
	;; [unrolled: 1-line block ×3, first 2 shown]
	s_waitcnt vmcnt(58) lgkmcnt(0)
	v_mul_f64 v[73:74], v[1:2], v[17:18]
	v_mul_f64 v[17:18], v[3:4], v[17:18]
	s_waitcnt vmcnt(56)
	v_fma_f64 v[13:14], v[5:6], v[19:20], -v[13:14]
	ds_read_b128 v[63:66], v62 offset:768
	v_fma_f64 v[19:20], v[7:8], v[19:20], v[168:169]
	v_add_f64 v[67:68], v[67:68], v[71:72]
	v_add_f64 v[9:10], v[9:10], v[25:26]
	s_clause 0x4
	buffer_load_dword v26, off, s[0:3], 0 offset:396
	buffer_load_dword v71, off, s[0:3], 0 offset:408
	;; [unrolled: 1-line block ×5, first 2 shown]
	ds_read_b128 v[5:8], v62 offset:784
	s_waitcnt vmcnt(57) lgkmcnt(1)
	v_mul_f64 v[169:170], v[63:64], v[21:22]
	v_mul_f64 v[21:22], v[65:66], v[21:22]
	s_waitcnt vmcnt(56)
	v_fma_f64 v[17:18], v[1:2], v[11:12], -v[17:18]
	v_fma_f64 v[11:12], v[3:4], v[11:12], v[73:74]
	v_add_f64 v[13:14], v[67:68], v[13:14]
	v_add_f64 v[9:10], v[9:10], v[19:20]
	s_clause 0x2
	buffer_load_dword v72, off, s[0:3], 0 offset:412
	buffer_load_dword v20, off, s[0:3], 0 offset:388
	;; [unrolled: 1-line block ×3, first 2 shown]
	s_waitcnt vmcnt(58) lgkmcnt(0)
	v_mul_f64 v[67:68], v[5:6], v[27:28]
	v_mul_f64 v[27:28], v[7:8], v[27:28]
	s_waitcnt vmcnt(56)
	v_fma_f64 v[21:22], v[63:64], v[29:30], -v[21:22]
	ds_read_b128 v[1:4], v62 offset:800
	v_add_f64 v[13:14], v[13:14], v[17:18]
	v_fma_f64 v[17:18], v[65:66], v[29:30], v[169:170]
	v_add_f64 v[29:30], v[9:10], v[11:12]
	s_clause 0x4
	buffer_load_dword v64, off, s[0:3], 0 offset:428
	buffer_load_dword v65, off, s[0:3], 0 offset:440
	;; [unrolled: 1-line block ×5, first 2 shown]
	ds_read_b128 v[9:12], v62 offset:816
	s_waitcnt vmcnt(57) lgkmcnt(1)
	v_mul_f64 v[169:170], v[1:2], v[31:32]
	v_mul_f64 v[31:32], v[3:4], v[31:32]
	s_waitcnt vmcnt(56)
	v_fma_f64 v[27:28], v[5:6], v[15:16], -v[27:28]
	v_fma_f64 v[15:16], v[7:8], v[15:16], v[67:68]
	v_add_f64 v[13:14], v[13:14], v[21:22]
	s_clause 0x2
	buffer_load_dword v66, off, s[0:3], 0 offset:444
	buffer_load_dword v22, off, s[0:3], 0 offset:420
	;; [unrolled: 1-line block ×3, first 2 shown]
	v_add_f64 v[17:18], v[29:30], v[17:18]
	s_waitcnt vmcnt(58) lgkmcnt(0)
	v_mul_f64 v[29:30], v[9:10], v[35:36]
	v_mul_f64 v[35:36], v[11:12], v[35:36]
	ds_read_b128 v[5:8], v62 offset:832
	s_waitcnt vmcnt(56)
	v_fma_f64 v[31:32], v[1:2], v[37:38], -v[31:32]
	v_add_f64 v[13:14], v[13:14], v[27:28]
	v_fma_f64 v[27:28], v[3:4], v[37:38], v[169:170]
	v_add_f64 v[15:16], v[17:18], v[15:16]
	s_clause 0x4
	buffer_load_dword v18, off, s[0:3], 0 offset:460
	buffer_load_dword v37, off, s[0:3], 0 offset:472
	;; [unrolled: 1-line block ×5, first 2 shown]
	s_waitcnt vmcnt(57) lgkmcnt(0)
	v_mul_f64 v[169:170], v[5:6], v[39:40]
	v_mul_f64 v[39:40], v[7:8], v[39:40]
	s_waitcnt vmcnt(56)
	v_fma_f64 v[35:36], v[9:10], v[23:24], -v[35:36]
	ds_read_b128 v[1:4], v62 offset:848
	v_fma_f64 v[23:24], v[11:12], v[23:24], v[29:30]
	v_add_f64 v[13:14], v[13:14], v[31:32]
	v_add_f64 v[15:16], v[15:16], v[27:28]
	s_clause 0x2
	buffer_load_dword v38, off, s[0:3], 0 offset:476
	buffer_load_dword v28, off, s[0:3], 0 offset:452
	;; [unrolled: 1-line block ×3, first 2 shown]
	ds_read_b128 v[9:12], v62 offset:864
	s_waitcnt vmcnt(58) lgkmcnt(1)
	v_mul_f64 v[31:32], v[3:4], v[43:44]
	s_waitcnt vmcnt(56)
	v_fma_f64 v[39:40], v[5:6], v[45:46], -v[39:40]
	v_mul_f64 v[29:30], v[1:2], v[43:44]
	v_add_f64 v[13:14], v[13:14], v[35:36]
	v_fma_f64 v[35:36], v[7:8], v[45:46], v[169:170]
	v_add_f64 v[15:16], v[15:16], v[23:24]
	s_clause 0x4
	buffer_load_dword v24, off, s[0:3], 0 offset:492
	buffer_load_dword v43, off, s[0:3], 0 offset:504
	;; [unrolled: 1-line block ×5, first 2 shown]
	s_waitcnt vmcnt(57) lgkmcnt(0)
	v_mul_f64 v[169:170], v[9:10], v[47:48]
	v_mul_f64 v[46:47], v[11:12], v[47:48]
	s_waitcnt vmcnt(56)
	v_fma_f64 v[31:32], v[1:2], v[33:34], -v[31:32]
	ds_read_b128 v[5:8], v62 offset:880
	v_fma_f64 v[29:30], v[3:4], v[33:34], v[29:30]
	s_clause 0x2
	buffer_load_dword v44, off, s[0:3], 0 offset:508
	buffer_load_dword v34, off, s[0:3], 0 offset:484
	buffer_load_dword v33, off, s[0:3], 0 offset:480
	ds_read_b128 v[1:4], v62 offset:896
	v_add_f64 v[13:14], v[13:14], v[39:40]
	v_add_f64 v[15:16], v[15:16], v[35:36]
	s_waitcnt vmcnt(58) lgkmcnt(1)
	v_mul_f64 v[39:40], v[7:8], v[51:52]
	s_waitcnt vmcnt(56)
	v_fma_f64 v[47:48], v[9:10], v[53:54], -v[46:47]
	v_mul_f64 v[35:36], v[5:6], v[51:52]
	v_add_f64 v[13:14], v[13:14], v[31:32]
	v_fma_f64 v[31:32], v[11:12], v[53:54], v[169:170]
	v_add_f64 v[15:16], v[15:16], v[29:30]
	s_clause 0x4
	buffer_load_dword v30, off, s[0:3], 0 offset:524
	buffer_load_dword v51, off, s[0:3], 0 offset:536
	;; [unrolled: 1-line block ×5, first 2 shown]
	s_waitcnt vmcnt(57) lgkmcnt(0)
	v_mul_f64 v[169:170], v[1:2], v[55:56]
	v_mul_f64 v[54:55], v[3:4], v[55:56]
	s_waitcnt vmcnt(56)
	v_fma_f64 v[39:40], v[5:6], v[41:42], -v[39:40]
	ds_read_b128 v[9:12], v62 offset:912
	v_fma_f64 v[35:36], v[7:8], v[41:42], v[35:36]
	v_add_f64 v[13:14], v[13:14], v[47:48]
	v_add_f64 v[15:16], v[15:16], v[31:32]
	s_clause 0x2
	buffer_load_dword v52, off, s[0:3], 0 offset:540
	buffer_load_dword v32, off, s[0:3], 0 offset:516
	;; [unrolled: 1-line block ×3, first 2 shown]
	ds_read_b128 v[5:8], v62 offset:928
	s_waitcnt vmcnt(58) lgkmcnt(1)
	v_mul_f64 v[47:48], v[11:12], v[57:58]
	s_waitcnt vmcnt(56)
	v_fma_f64 v[55:56], v[1:2], v[59:60], -v[54:55]
	v_mul_f64 v[41:42], v[9:10], v[57:58]
	v_add_f64 v[13:14], v[13:14], v[39:40]
	v_fma_f64 v[39:40], v[3:4], v[59:60], v[169:170]
	v_add_f64 v[15:16], v[15:16], v[35:36]
	s_clause 0x4
	buffer_load_dword v36, off, s[0:3], 0 offset:556
	buffer_load_dword v57, off, s[0:3], 0 offset:568
	;; [unrolled: 1-line block ×5, first 2 shown]
	s_waitcnt vmcnt(57) lgkmcnt(0)
	v_mul_f64 v[169:170], v[5:6], v[77:78]
	v_mul_f64 v[77:78], v[7:8], v[77:78]
	s_waitcnt vmcnt(56)
	v_fma_f64 v[47:48], v[9:10], v[49:50], -v[47:48]
	ds_read_b128 v[1:4], v62 offset:944
	v_fma_f64 v[41:42], v[11:12], v[49:50], v[41:42]
	v_add_f64 v[13:14], v[13:14], v[55:56]
	v_add_f64 v[15:16], v[15:16], v[39:40]
	s_clause 0x2
	buffer_load_dword v58, off, s[0:3], 0 offset:572
	buffer_load_dword v40, off, s[0:3], 0 offset:548
	;; [unrolled: 1-line block ×3, first 2 shown]
	ds_read_b128 v[9:12], v62 offset:960
	s_waitcnt vmcnt(58) lgkmcnt(1)
	v_mul_f64 v[55:56], v[3:4], v[79:80]
	s_waitcnt vmcnt(56)
	v_fma_f64 v[77:78], v[5:6], v[163:164], -v[77:78]
	v_mul_f64 v[49:50], v[1:2], v[79:80]
	v_add_f64 v[13:14], v[13:14], v[47:48]
	v_fma_f64 v[47:48], v[7:8], v[163:164], v[169:170]
	v_add_f64 v[15:16], v[15:16], v[41:42]
	s_clause 0x4
	buffer_load_dword v42, off, s[0:3], 0 offset:588
	buffer_load_dword v79, off, s[0:3], 0 offset:600
	;; [unrolled: 1-line block ×5, first 2 shown]
	ds_read_b128 v[5:8], v62 offset:976
	s_waitcnt vmcnt(57) lgkmcnt(1)
	v_mul_f64 v[169:170], v[9:10], v[75:76]
	v_mul_f64 v[75:76], v[11:12], v[75:76]
	s_waitcnt vmcnt(56)
	v_fma_f64 v[55:56], v[1:2], v[81:82], -v[55:56]
	v_fma_f64 v[49:50], v[3:4], v[81:82], v[49:50]
	v_add_f64 v[13:14], v[13:14], v[77:78]
	v_add_f64 v[15:16], v[15:16], v[47:48]
	s_clause 0x2
	buffer_load_dword v80, off, s[0:3], 0 offset:604
	buffer_load_dword v48, off, s[0:3], 0 offset:580
	;; [unrolled: 1-line block ×3, first 2 shown]
	ds_read_b128 v[1:4], v62 offset:992
	s_waitcnt vmcnt(58) lgkmcnt(1)
	v_mul_f64 v[81:82], v[7:8], v[83:84]
	v_mul_f64 v[77:78], v[5:6], v[83:84]
	s_waitcnt vmcnt(56)
	v_fma_f64 v[75:76], v[9:10], v[69:70], -v[75:76]
	v_add_f64 v[13:14], v[13:14], v[55:56]
	v_fma_f64 v[55:56], v[11:12], v[69:70], v[169:170]
	v_add_f64 v[15:16], v[15:16], v[49:50]
	s_clause 0x4
	buffer_load_dword v50, off, s[0:3], 0 offset:620
	buffer_load_dword v69, off, s[0:3], 0 offset:632
	;; [unrolled: 1-line block ×5, first 2 shown]
	ds_read_b128 v[9:12], v62 offset:1008
	s_waitcnt vmcnt(57) lgkmcnt(1)
	v_mul_f64 v[169:170], v[1:2], v[25:26]
	v_mul_f64 v[25:26], v[3:4], v[25:26]
	s_waitcnt vmcnt(56)
	v_fma_f64 v[81:82], v[5:6], v[167:168], -v[81:82]
	v_add_f64 v[13:14], v[13:14], v[75:76]
	v_fma_f64 v[75:76], v[7:8], v[167:168], v[77:78]
	v_add_f64 v[15:16], v[15:16], v[55:56]
	s_clause 0x2
	buffer_load_dword v70, off, s[0:3], 0 offset:636
	buffer_load_dword v56, off, s[0:3], 0 offset:612
	;; [unrolled: 1-line block ×3, first 2 shown]
	ds_read_b128 v[5:8], v62 offset:1024
	buffer_load_dword v84, off, s[0:3], 0 offset:628
	s_waitcnt vmcnt(59) lgkmcnt(1)
	v_mul_f64 v[77:78], v[9:10], v[71:72]
	v_mul_f64 v[71:72], v[11:12], v[71:72]
	s_waitcnt vmcnt(57)
	v_fma_f64 v[25:26], v[1:2], v[19:20], -v[25:26]
	v_fma_f64 v[19:20], v[3:4], v[19:20], v[169:170]
	ds_read_b128 v[1:4], v62 offset:1040
	v_add_f64 v[13:14], v[13:14], v[81:82]
	v_add_f64 v[15:16], v[15:16], v[75:76]
	s_waitcnt vmcnt(53) lgkmcnt(1)
	v_mul_f64 v[75:76], v[5:6], v[63:64]
	v_mul_f64 v[63:64], v[7:8], v[63:64]
	s_waitcnt vmcnt(52)
	v_fma_f64 v[71:72], v[9:10], v[165:166], -v[71:72]
	v_add_f64 v[13:14], v[13:14], v[25:26]
	v_fma_f64 v[25:26], v[11:12], v[165:166], v[77:78]
	v_add_f64 v[15:16], v[15:16], v[19:20]
	ds_read_b128 v[9:12], v62 offset:1056
	s_waitcnt vmcnt(51) lgkmcnt(1)
	v_mul_f64 v[19:20], v[1:2], v[65:66]
	v_mul_f64 v[65:66], v[3:4], v[65:66]
	s_waitcnt vmcnt(49)
	v_fma_f64 v[63:64], v[5:6], v[21:22], -v[63:64]
	v_fma_f64 v[21:22], v[7:8], v[21:22], v[75:76]
	v_add_f64 v[13:14], v[13:14], v[71:72]
	v_add_f64 v[15:16], v[15:16], v[25:26]
	s_clause 0x3
	buffer_load_dword v25, off, s[0:3], 0 offset:64
	buffer_load_dword v26, off, s[0:3], 0 offset:68
	;; [unrolled: 1-line block ×4, first 2 shown]
	ds_read_b128 v[5:8], v62 offset:1072
	s_waitcnt vmcnt(49) lgkmcnt(1)
	v_mul_f64 v[75:76], v[9:10], v[17:18]
	v_mul_f64 v[17:18], v[11:12], v[17:18]
	s_waitcnt vmcnt(48)
	v_fma_f64 v[65:66], v[1:2], v[73:74], -v[65:66]
	v_fma_f64 v[19:20], v[3:4], v[73:74], v[19:20]
	ds_read_b128 v[1:4], v62 offset:1088
	v_add_f64 v[13:14], v[13:14], v[63:64]
	v_add_f64 v[15:16], v[15:16], v[21:22]
	s_waitcnt vmcnt(47) lgkmcnt(1)
	v_mul_f64 v[21:22], v[5:6], v[37:38]
	v_mul_f64 v[37:38], v[7:8], v[37:38]
	s_waitcnt vmcnt(45)
	v_fma_f64 v[17:18], v[9:10], v[27:28], -v[17:18]
	v_fma_f64 v[27:28], v[11:12], v[27:28], v[75:76]
	ds_read_b128 v[9:12], v62 offset:1104
	v_add_f64 v[13:14], v[13:14], v[65:66]
	v_add_f64 v[15:16], v[15:16], v[19:20]
	s_waitcnt vmcnt(41) lgkmcnt(1)
	v_mul_f64 v[19:20], v[1:2], v[23:24]
	v_mul_f64 v[23:24], v[3:4], v[23:24]
	s_waitcnt vmcnt(40)
	v_fma_f64 v[37:38], v[5:6], v[67:68], -v[37:38]
	v_add_f64 v[13:14], v[13:14], v[17:18]
	v_fma_f64 v[17:18], v[7:8], v[67:68], v[21:22]
	v_add_f64 v[15:16], v[15:16], v[27:28]
	ds_read_b128 v[5:8], v62 offset:1120
	s_waitcnt vmcnt(39) lgkmcnt(1)
	v_mul_f64 v[27:28], v[11:12], v[43:44]
	v_mul_f64 v[21:22], v[9:10], v[43:44]
	s_waitcnt vmcnt(37)
	v_fma_f64 v[19:20], v[3:4], v[33:34], v[19:20]
	v_fma_f64 v[23:24], v[1:2], v[33:34], -v[23:24]
	ds_read_b128 v[1:4], v62 offset:1136
	v_add_f64 v[13:14], v[13:14], v[37:38]
	v_add_f64 v[15:16], v[15:16], v[17:18]
	s_waitcnt vmcnt(33) lgkmcnt(1)
	v_mul_f64 v[17:18], v[5:6], v[29:30]
	v_mul_f64 v[29:30], v[7:8], v[29:30]
	s_waitcnt vmcnt(32)
	v_fma_f64 v[27:28], v[9:10], v[45:46], -v[27:28]
	v_fma_f64 v[21:22], v[11:12], v[45:46], v[21:22]
	ds_read_b128 v[9:12], v62 offset:1152
	v_add_f64 v[13:14], v[13:14], v[23:24]
	v_add_f64 v[15:16], v[15:16], v[19:20]
	s_waitcnt vmcnt(31) lgkmcnt(1)
	v_mul_f64 v[23:24], v[3:4], v[51:52]
	v_mul_f64 v[19:20], v[1:2], v[51:52]
	s_waitcnt vmcnt(29)
	v_fma_f64 v[29:30], v[5:6], v[31:32], -v[29:30]
	v_fma_f64 v[17:18], v[7:8], v[31:32], v[17:18]
	ds_read_b128 v[5:8], v62 offset:1168
	v_add_f64 v[13:14], v[13:14], v[27:28]
	v_add_f64 v[15:16], v[15:16], v[21:22]
	s_waitcnt vmcnt(25) lgkmcnt(1)
	v_mul_f64 v[27:28], v[11:12], v[35:36]
	s_waitcnt vmcnt(24)
	v_fma_f64 v[23:24], v[1:2], v[53:54], -v[23:24]
	v_mul_f64 v[21:22], v[9:10], v[35:36]
	v_fma_f64 v[19:20], v[3:4], v[53:54], v[19:20]
	ds_read_b128 v[1:4], v62 offset:1184
	v_add_f64 v[13:14], v[13:14], v[29:30]
	v_add_f64 v[15:16], v[15:16], v[17:18]
	s_waitcnt vmcnt(23) lgkmcnt(1)
	v_mul_f64 v[29:30], v[7:8], v[57:58]
	v_mul_f64 v[17:18], v[5:6], v[57:58]
	s_waitcnt vmcnt(21)
	v_fma_f64 v[27:28], v[9:10], v[39:40], -v[27:28]
	v_fma_f64 v[21:22], v[11:12], v[39:40], v[21:22]
	ds_read_b128 v[9:12], v62 offset:1200
	v_add_f64 v[13:14], v[13:14], v[23:24]
	v_add_f64 v[15:16], v[15:16], v[19:20]
	s_waitcnt vmcnt(17) lgkmcnt(1)
	v_mul_f64 v[23:24], v[3:4], v[41:42]
	s_waitcnt vmcnt(16)
	v_fma_f64 v[29:30], v[5:6], v[59:60], -v[29:30]
	v_mul_f64 v[19:20], v[1:2], v[41:42]
	v_fma_f64 v[17:18], v[7:8], v[59:60], v[17:18]
	ds_read_b128 v[5:8], v62 offset:1216
	v_add_f64 v[13:14], v[13:14], v[27:28]
	v_add_f64 v[15:16], v[15:16], v[21:22]
	s_waitcnt vmcnt(15) lgkmcnt(1)
	v_mul_f64 v[27:28], v[11:12], v[79:80]
	v_mul_f64 v[21:22], v[9:10], v[79:80]
	s_waitcnt vmcnt(13)
	v_fma_f64 v[23:24], v[1:2], v[47:48], -v[23:24]
	v_fma_f64 v[19:20], v[3:4], v[47:48], v[19:20]
	ds_read_b128 v[1:4], v62 offset:1232
	v_add_f64 v[13:14], v[13:14], v[29:30]
	v_add_f64 v[15:16], v[15:16], v[17:18]
	s_waitcnt vmcnt(9) lgkmcnt(1)
	v_mul_f64 v[29:30], v[7:8], v[49:50]
	s_waitcnt vmcnt(8)
	v_fma_f64 v[9:10], v[9:10], v[163:164], -v[27:28]
	v_mul_f64 v[17:18], v[5:6], v[49:50]
	v_fma_f64 v[11:12], v[11:12], v[163:164], v[21:22]
	v_add_f64 v[13:14], v[13:14], v[23:24]
	v_add_f64 v[15:16], v[15:16], v[19:20]
	s_waitcnt vmcnt(7) lgkmcnt(0)
	v_mul_f64 v[21:22], v[3:4], v[69:70]
	v_mul_f64 v[19:20], v[1:2], v[69:70]
	s_waitcnt vmcnt(5)
	v_fma_f64 v[5:6], v[5:6], v[55:56], -v[29:30]
	v_fma_f64 v[7:8], v[7:8], v[55:56], v[17:18]
	v_add_f64 v[9:10], v[13:14], v[9:10]
	v_add_f64 v[11:12], v[15:16], v[11:12]
	s_waitcnt vmcnt(4)
	v_fma_f64 v[1:2], v[1:2], v[83:84], -v[21:22]
	v_fma_f64 v[3:4], v[3:4], v[83:84], v[19:20]
	v_add_f64 v[5:6], v[9:10], v[5:6]
	v_add_f64 v[7:8], v[11:12], v[7:8]
	;; [unrolled: 1-line block ×4, first 2 shown]
	s_waitcnt vmcnt(2)
	v_add_f64 v[1:2], v[25:26], -v[1:2]
	s_waitcnt vmcnt(0)
	v_add_f64 v[3:4], v[71:72], -v[3:4]
	buffer_store_dword v2, off, s[0:3], 0 offset:68
	buffer_store_dword v1, off, s[0:3], 0 offset:64
	;; [unrolled: 1-line block ×4, first 2 shown]
	v_cmpx_lt_u32_e32 2, v0
	s_cbranch_execz .LBB38_243
; %bb.242:
	v_mov_b32_e32 v4, s49
	s_clause 0x3
	buffer_load_dword v1, v4, s[0:3], 0 offen
	buffer_load_dword v2, v4, s[0:3], 0 offen offset:4
	buffer_load_dword v3, v4, s[0:3], 0 offen offset:8
	;; [unrolled: 1-line block ×3, first 2 shown]
	buffer_store_dword v62, off, s[0:3], 0 offset:48
	buffer_store_dword v62, off, s[0:3], 0 offset:52
	;; [unrolled: 1-line block ×4, first 2 shown]
	s_waitcnt vmcnt(0)
	ds_write_b128 v61, v[1:4]
.LBB38_243:
	s_or_b32 exec_lo, exec_lo, s4
	s_waitcnt lgkmcnt(0)
	s_waitcnt_vscnt null, 0x0
	s_barrier
	buffer_gl0_inv
	s_clause 0x37
	buffer_load_dword v9, off, s[0:3], 0 offset:72
	buffer_load_dword v10, off, s[0:3], 0 offset:76
	;; [unrolled: 1-line block ×56, first 2 shown]
	ds_read_b128 v[63:66], v62 offset:672
	s_clause 0x2
	buffer_load_dword v58, off, s[0:3], 0 offset:300
	buffer_load_dword v60, off, s[0:3], 0 offset:276
	buffer_load_dword v59, off, s[0:3], 0 offset:272
	ds_read_b128 v[67:70], v62 offset:688
	s_clause 0x4
	buffer_load_dword v78, off, s[0:3], 0 offset:316
	buffer_load_dword v79, off, s[0:3], 0 offset:328
	;; [unrolled: 1-line block ×5, first 2 shown]
	ds_read_b128 v[71:74], v62 offset:704
	s_clause 0x2
	buffer_load_dword v80, off, s[0:3], 0 offset:332
	buffer_load_dword v164, off, s[0:3], 0 offset:308
	buffer_load_dword v163, off, s[0:3], 0 offset:304
	s_mov_b32 s4, exec_lo
	s_waitcnt vmcnt(62) lgkmcnt(2)
	v_mul_f64 v[75:76], v[65:66], v[9:10]
	v_mul_f64 v[9:10], v[63:64], v[9:10]
	s_waitcnt lgkmcnt(1)
	v_mul_f64 v[82:83], v[69:70], v[5:6]
	s_waitcnt vmcnt(59) lgkmcnt(0)
	v_mul_f64 v[165:166], v[73:74], v[3:4]
	v_fma_f64 v[63:64], v[63:64], v[7:8], -v[75:76]
	v_mul_f64 v[75:76], v[67:68], v[5:6]
	v_fma_f64 v[9:10], v[65:66], v[7:8], v[9:10]
	s_waitcnt vmcnt(57)
	v_fma_f64 v[67:68], v[67:68], v[1:2], -v[82:83]
	ds_read_b128 v[5:8], v62 offset:720
	v_mul_f64 v[65:66], v[71:72], v[3:4]
	s_waitcnt vmcnt(51)
	v_fma_f64 v[71:72], v[71:72], v[25:26], -v[165:166]
	v_add_f64 v[63:64], v[63:64], 0
	v_fma_f64 v[69:70], v[69:70], v[1:2], v[75:76]
	v_add_f64 v[9:10], v[9:10], 0
	s_clause 0x4
	buffer_load_dword v76, off, s[0:3], 0 offset:348
	buffer_load_dword v83, off, s[0:3], 0 offset:360
	;; [unrolled: 1-line block ×5, first 2 shown]
	s_waitcnt lgkmcnt(0)
	v_mul_f64 v[168:169], v[5:6], v[13:14]
	v_mul_f64 v[13:14], v[7:8], v[13:14]
	ds_read_b128 v[1:4], v62 offset:736
	v_fma_f64 v[25:26], v[73:74], v[25:26], v[65:66]
	v_add_f64 v[67:68], v[63:64], v[67:68]
	v_add_f64 v[9:10], v[9:10], v[69:70]
	s_clause 0x2
	buffer_load_dword v84, off, s[0:3], 0 offset:364
	buffer_load_dword v70, off, s[0:3], 0 offset:340
	buffer_load_dword v69, off, s[0:3], 0 offset:336
	s_waitcnt vmcnt(58) lgkmcnt(0)
	v_mul_f64 v[73:74], v[1:2], v[17:18]
	v_mul_f64 v[17:18], v[3:4], v[17:18]
	s_waitcnt vmcnt(56)
	v_fma_f64 v[13:14], v[5:6], v[19:20], -v[13:14]
	ds_read_b128 v[63:66], v62 offset:752
	v_fma_f64 v[19:20], v[7:8], v[19:20], v[168:169]
	v_add_f64 v[67:68], v[67:68], v[71:72]
	v_add_f64 v[9:10], v[9:10], v[25:26]
	s_clause 0x4
	buffer_load_dword v26, off, s[0:3], 0 offset:380
	buffer_load_dword v71, off, s[0:3], 0 offset:392
	;; [unrolled: 1-line block ×5, first 2 shown]
	ds_read_b128 v[5:8], v62 offset:768
	s_waitcnt vmcnt(57) lgkmcnt(1)
	v_mul_f64 v[169:170], v[63:64], v[21:22]
	v_mul_f64 v[21:22], v[65:66], v[21:22]
	s_waitcnt vmcnt(56)
	v_fma_f64 v[17:18], v[1:2], v[11:12], -v[17:18]
	v_fma_f64 v[11:12], v[3:4], v[11:12], v[73:74]
	v_add_f64 v[13:14], v[67:68], v[13:14]
	v_add_f64 v[9:10], v[9:10], v[19:20]
	s_clause 0x2
	buffer_load_dword v72, off, s[0:3], 0 offset:396
	buffer_load_dword v20, off, s[0:3], 0 offset:372
	;; [unrolled: 1-line block ×3, first 2 shown]
	s_waitcnt vmcnt(58) lgkmcnt(0)
	v_mul_f64 v[67:68], v[5:6], v[27:28]
	v_mul_f64 v[27:28], v[7:8], v[27:28]
	s_waitcnt vmcnt(56)
	v_fma_f64 v[21:22], v[63:64], v[29:30], -v[21:22]
	ds_read_b128 v[1:4], v62 offset:784
	v_add_f64 v[13:14], v[13:14], v[17:18]
	v_fma_f64 v[17:18], v[65:66], v[29:30], v[169:170]
	v_add_f64 v[29:30], v[9:10], v[11:12]
	s_clause 0x4
	buffer_load_dword v64, off, s[0:3], 0 offset:412
	buffer_load_dword v65, off, s[0:3], 0 offset:424
	;; [unrolled: 1-line block ×5, first 2 shown]
	ds_read_b128 v[9:12], v62 offset:800
	s_waitcnt vmcnt(57) lgkmcnt(1)
	v_mul_f64 v[169:170], v[1:2], v[31:32]
	v_mul_f64 v[31:32], v[3:4], v[31:32]
	s_waitcnt vmcnt(56)
	v_fma_f64 v[27:28], v[5:6], v[15:16], -v[27:28]
	v_fma_f64 v[15:16], v[7:8], v[15:16], v[67:68]
	v_add_f64 v[13:14], v[13:14], v[21:22]
	s_clause 0x2
	buffer_load_dword v66, off, s[0:3], 0 offset:428
	buffer_load_dword v22, off, s[0:3], 0 offset:404
	;; [unrolled: 1-line block ×3, first 2 shown]
	v_add_f64 v[17:18], v[29:30], v[17:18]
	s_waitcnt vmcnt(58) lgkmcnt(0)
	v_mul_f64 v[29:30], v[9:10], v[35:36]
	v_mul_f64 v[35:36], v[11:12], v[35:36]
	ds_read_b128 v[5:8], v62 offset:816
	s_waitcnt vmcnt(56)
	v_fma_f64 v[31:32], v[1:2], v[37:38], -v[31:32]
	v_add_f64 v[13:14], v[13:14], v[27:28]
	v_fma_f64 v[27:28], v[3:4], v[37:38], v[169:170]
	v_add_f64 v[15:16], v[17:18], v[15:16]
	s_clause 0x4
	buffer_load_dword v18, off, s[0:3], 0 offset:444
	buffer_load_dword v37, off, s[0:3], 0 offset:456
	buffer_load_dword v67, off, s[0:3], 0 offset:448
	buffer_load_dword v17, off, s[0:3], 0 offset:440
	buffer_load_dword v74, off, s[0:3], 0 offset:420
	s_waitcnt vmcnt(57) lgkmcnt(0)
	v_mul_f64 v[169:170], v[5:6], v[39:40]
	v_mul_f64 v[39:40], v[7:8], v[39:40]
	s_waitcnt vmcnt(56)
	v_fma_f64 v[35:36], v[9:10], v[23:24], -v[35:36]
	ds_read_b128 v[1:4], v62 offset:832
	v_fma_f64 v[23:24], v[11:12], v[23:24], v[29:30]
	v_add_f64 v[13:14], v[13:14], v[31:32]
	v_add_f64 v[15:16], v[15:16], v[27:28]
	s_clause 0x2
	buffer_load_dword v38, off, s[0:3], 0 offset:460
	buffer_load_dword v28, off, s[0:3], 0 offset:436
	;; [unrolled: 1-line block ×3, first 2 shown]
	ds_read_b128 v[9:12], v62 offset:848
	s_waitcnt vmcnt(58) lgkmcnt(1)
	v_mul_f64 v[31:32], v[3:4], v[43:44]
	s_waitcnt vmcnt(56)
	v_fma_f64 v[39:40], v[5:6], v[45:46], -v[39:40]
	v_mul_f64 v[29:30], v[1:2], v[43:44]
	v_add_f64 v[13:14], v[13:14], v[35:36]
	v_fma_f64 v[35:36], v[7:8], v[45:46], v[169:170]
	v_add_f64 v[15:16], v[15:16], v[23:24]
	s_clause 0x4
	buffer_load_dword v24, off, s[0:3], 0 offset:476
	buffer_load_dword v43, off, s[0:3], 0 offset:488
	;; [unrolled: 1-line block ×5, first 2 shown]
	s_waitcnt vmcnt(57) lgkmcnt(0)
	v_mul_f64 v[169:170], v[9:10], v[47:48]
	v_mul_f64 v[46:47], v[11:12], v[47:48]
	s_waitcnt vmcnt(56)
	v_fma_f64 v[31:32], v[1:2], v[33:34], -v[31:32]
	ds_read_b128 v[5:8], v62 offset:864
	v_fma_f64 v[29:30], v[3:4], v[33:34], v[29:30]
	s_clause 0x2
	buffer_load_dword v44, off, s[0:3], 0 offset:492
	buffer_load_dword v34, off, s[0:3], 0 offset:468
	;; [unrolled: 1-line block ×3, first 2 shown]
	ds_read_b128 v[1:4], v62 offset:880
	v_add_f64 v[13:14], v[13:14], v[39:40]
	v_add_f64 v[15:16], v[15:16], v[35:36]
	s_waitcnt vmcnt(58) lgkmcnt(1)
	v_mul_f64 v[39:40], v[7:8], v[51:52]
	s_waitcnt vmcnt(56)
	v_fma_f64 v[47:48], v[9:10], v[53:54], -v[46:47]
	v_mul_f64 v[35:36], v[5:6], v[51:52]
	v_add_f64 v[13:14], v[13:14], v[31:32]
	v_fma_f64 v[31:32], v[11:12], v[53:54], v[169:170]
	v_add_f64 v[15:16], v[15:16], v[29:30]
	s_clause 0x4
	buffer_load_dword v30, off, s[0:3], 0 offset:508
	buffer_load_dword v51, off, s[0:3], 0 offset:520
	;; [unrolled: 1-line block ×5, first 2 shown]
	s_waitcnt vmcnt(57) lgkmcnt(0)
	v_mul_f64 v[169:170], v[1:2], v[55:56]
	v_mul_f64 v[54:55], v[3:4], v[55:56]
	s_waitcnt vmcnt(56)
	v_fma_f64 v[39:40], v[5:6], v[41:42], -v[39:40]
	ds_read_b128 v[9:12], v62 offset:896
	v_fma_f64 v[35:36], v[7:8], v[41:42], v[35:36]
	v_add_f64 v[13:14], v[13:14], v[47:48]
	v_add_f64 v[15:16], v[15:16], v[31:32]
	s_clause 0x2
	buffer_load_dword v52, off, s[0:3], 0 offset:524
	buffer_load_dword v32, off, s[0:3], 0 offset:500
	;; [unrolled: 1-line block ×3, first 2 shown]
	ds_read_b128 v[5:8], v62 offset:912
	s_waitcnt vmcnt(58) lgkmcnt(1)
	v_mul_f64 v[47:48], v[11:12], v[57:58]
	s_waitcnt vmcnt(56)
	v_fma_f64 v[55:56], v[1:2], v[59:60], -v[54:55]
	v_mul_f64 v[41:42], v[9:10], v[57:58]
	v_add_f64 v[13:14], v[13:14], v[39:40]
	v_fma_f64 v[39:40], v[3:4], v[59:60], v[169:170]
	v_add_f64 v[15:16], v[15:16], v[35:36]
	s_clause 0x4
	buffer_load_dword v36, off, s[0:3], 0 offset:540
	buffer_load_dword v57, off, s[0:3], 0 offset:552
	;; [unrolled: 1-line block ×5, first 2 shown]
	s_waitcnt vmcnt(57) lgkmcnt(0)
	v_mul_f64 v[169:170], v[5:6], v[77:78]
	v_mul_f64 v[77:78], v[7:8], v[77:78]
	s_waitcnt vmcnt(56)
	v_fma_f64 v[47:48], v[9:10], v[49:50], -v[47:48]
	ds_read_b128 v[1:4], v62 offset:928
	v_fma_f64 v[41:42], v[11:12], v[49:50], v[41:42]
	v_add_f64 v[13:14], v[13:14], v[55:56]
	v_add_f64 v[15:16], v[15:16], v[39:40]
	s_clause 0x2
	buffer_load_dword v58, off, s[0:3], 0 offset:556
	buffer_load_dword v40, off, s[0:3], 0 offset:532
	;; [unrolled: 1-line block ×3, first 2 shown]
	ds_read_b128 v[9:12], v62 offset:944
	s_waitcnt vmcnt(58) lgkmcnt(1)
	v_mul_f64 v[55:56], v[3:4], v[79:80]
	s_waitcnt vmcnt(56)
	v_fma_f64 v[77:78], v[5:6], v[163:164], -v[77:78]
	v_mul_f64 v[49:50], v[1:2], v[79:80]
	v_add_f64 v[13:14], v[13:14], v[47:48]
	v_fma_f64 v[47:48], v[7:8], v[163:164], v[169:170]
	v_add_f64 v[15:16], v[15:16], v[41:42]
	s_clause 0x4
	buffer_load_dword v42, off, s[0:3], 0 offset:572
	buffer_load_dword v79, off, s[0:3], 0 offset:584
	;; [unrolled: 1-line block ×5, first 2 shown]
	ds_read_b128 v[5:8], v62 offset:960
	s_waitcnt vmcnt(57) lgkmcnt(1)
	v_mul_f64 v[169:170], v[9:10], v[75:76]
	v_mul_f64 v[75:76], v[11:12], v[75:76]
	s_waitcnt vmcnt(56)
	v_fma_f64 v[55:56], v[1:2], v[81:82], -v[55:56]
	v_fma_f64 v[49:50], v[3:4], v[81:82], v[49:50]
	v_add_f64 v[13:14], v[13:14], v[77:78]
	v_add_f64 v[15:16], v[15:16], v[47:48]
	s_clause 0x2
	buffer_load_dword v80, off, s[0:3], 0 offset:588
	buffer_load_dword v48, off, s[0:3], 0 offset:564
	;; [unrolled: 1-line block ×3, first 2 shown]
	ds_read_b128 v[1:4], v62 offset:976
	s_waitcnt vmcnt(58) lgkmcnt(1)
	v_mul_f64 v[81:82], v[7:8], v[83:84]
	v_mul_f64 v[77:78], v[5:6], v[83:84]
	s_waitcnt vmcnt(56)
	v_fma_f64 v[75:76], v[9:10], v[69:70], -v[75:76]
	v_add_f64 v[13:14], v[13:14], v[55:56]
	v_fma_f64 v[55:56], v[11:12], v[69:70], v[169:170]
	v_add_f64 v[15:16], v[15:16], v[49:50]
	s_clause 0x4
	buffer_load_dword v50, off, s[0:3], 0 offset:604
	buffer_load_dword v69, off, s[0:3], 0 offset:616
	;; [unrolled: 1-line block ×5, first 2 shown]
	ds_read_b128 v[9:12], v62 offset:992
	s_waitcnt vmcnt(57) lgkmcnt(1)
	v_mul_f64 v[169:170], v[1:2], v[25:26]
	v_mul_f64 v[25:26], v[3:4], v[25:26]
	s_waitcnt vmcnt(56)
	v_fma_f64 v[81:82], v[5:6], v[167:168], -v[81:82]
	v_add_f64 v[13:14], v[13:14], v[75:76]
	v_fma_f64 v[75:76], v[7:8], v[167:168], v[77:78]
	v_add_f64 v[15:16], v[15:16], v[55:56]
	s_clause 0x2
	buffer_load_dword v70, off, s[0:3], 0 offset:620
	buffer_load_dword v56, off, s[0:3], 0 offset:596
	;; [unrolled: 1-line block ×3, first 2 shown]
	ds_read_b128 v[5:8], v62 offset:1008
	s_waitcnt vmcnt(58) lgkmcnt(1)
	v_mul_f64 v[77:78], v[9:10], v[71:72]
	v_mul_f64 v[71:72], v[11:12], v[71:72]
	s_waitcnt vmcnt(56)
	v_fma_f64 v[25:26], v[1:2], v[19:20], -v[25:26]
	v_fma_f64 v[19:20], v[3:4], v[19:20], v[169:170]
	v_add_f64 v[13:14], v[13:14], v[81:82]
	v_add_f64 v[15:16], v[15:16], v[75:76]
	s_clause 0x2
	buffer_load_dword v76, off, s[0:3], 0 offset:636
	buffer_load_dword v75, off, s[0:3], 0 offset:632
	;; [unrolled: 1-line block ×3, first 2 shown]
	ds_read_b128 v[1:4], v62 offset:1024
	s_waitcnt vmcnt(55) lgkmcnt(1)
	v_mul_f64 v[81:82], v[5:6], v[63:64]
	v_mul_f64 v[63:64], v[7:8], v[63:64]
	s_waitcnt vmcnt(54)
	v_fma_f64 v[71:72], v[9:10], v[165:166], -v[71:72]
	v_add_f64 v[13:14], v[13:14], v[25:26]
	v_fma_f64 v[25:26], v[11:12], v[165:166], v[77:78]
	v_add_f64 v[15:16], v[15:16], v[19:20]
	s_clause 0x1
	buffer_load_dword v20, off, s[0:3], 0 offset:628
	buffer_load_dword v19, off, s[0:3], 0 offset:624
	ds_read_b128 v[9:12], v62 offset:1040
	s_waitcnt vmcnt(55) lgkmcnt(1)
	v_mul_f64 v[77:78], v[1:2], v[65:66]
	v_mul_f64 v[65:66], v[3:4], v[65:66]
	s_waitcnt vmcnt(53)
	v_fma_f64 v[63:64], v[5:6], v[21:22], -v[63:64]
	v_fma_f64 v[21:22], v[7:8], v[21:22], v[81:82]
	ds_read_b128 v[5:8], v62 offset:1056
	v_add_f64 v[13:14], v[13:14], v[71:72]
	v_add_f64 v[15:16], v[15:16], v[25:26]
	s_waitcnt vmcnt(49) lgkmcnt(1)
	v_mul_f64 v[25:26], v[9:10], v[17:18]
	v_mul_f64 v[17:18], v[11:12], v[17:18]
	s_waitcnt vmcnt(48)
	v_fma_f64 v[65:66], v[1:2], v[73:74], -v[65:66]
	v_add_f64 v[13:14], v[13:14], v[63:64]
	v_fma_f64 v[63:64], v[3:4], v[73:74], v[77:78]
	v_add_f64 v[15:16], v[15:16], v[21:22]
	s_clause 0x3
	buffer_load_dword v21, off, s[0:3], 0 offset:48
	buffer_load_dword v22, off, s[0:3], 0 offset:52
	;; [unrolled: 1-line block ×4, first 2 shown]
	ds_read_b128 v[1:4], v62 offset:1072
	s_waitcnt vmcnt(51) lgkmcnt(1)
	v_mul_f64 v[73:74], v[5:6], v[37:38]
	v_mul_f64 v[37:38], v[7:8], v[37:38]
	s_waitcnt vmcnt(49)
	v_fma_f64 v[17:18], v[9:10], v[27:28], -v[17:18]
	v_fma_f64 v[25:26], v[11:12], v[27:28], v[25:26]
	ds_read_b128 v[9:12], v62 offset:1088
	v_add_f64 v[13:14], v[13:14], v[65:66]
	v_add_f64 v[15:16], v[15:16], v[63:64]
	s_waitcnt vmcnt(45) lgkmcnt(1)
	v_mul_f64 v[27:28], v[1:2], v[23:24]
	v_mul_f64 v[23:24], v[3:4], v[23:24]
	s_waitcnt vmcnt(44)
	v_fma_f64 v[37:38], v[5:6], v[67:68], -v[37:38]
	v_add_f64 v[13:14], v[13:14], v[17:18]
	v_fma_f64 v[17:18], v[7:8], v[67:68], v[73:74]
	v_add_f64 v[15:16], v[15:16], v[25:26]
	s_waitcnt vmcnt(43) lgkmcnt(0)
	v_mul_f64 v[25:26], v[9:10], v[43:44]
	v_mul_f64 v[43:44], v[11:12], v[43:44]
	ds_read_b128 v[5:8], v62 offset:1104
	s_waitcnt vmcnt(41)
	v_fma_f64 v[27:28], v[3:4], v[33:34], v[27:28]
	v_fma_f64 v[23:24], v[1:2], v[33:34], -v[23:24]
	ds_read_b128 v[1:4], v62 offset:1120
	v_add_f64 v[13:14], v[13:14], v[37:38]
	v_add_f64 v[15:16], v[15:16], v[17:18]
	s_waitcnt vmcnt(37) lgkmcnt(1)
	v_mul_f64 v[17:18], v[5:6], v[29:30]
	v_mul_f64 v[29:30], v[7:8], v[29:30]
	s_waitcnt vmcnt(36)
	v_fma_f64 v[33:34], v[9:10], v[45:46], -v[43:44]
	v_add_f64 v[13:14], v[13:14], v[23:24]
	v_fma_f64 v[23:24], v[11:12], v[45:46], v[25:26]
	v_add_f64 v[15:16], v[15:16], v[27:28]
	ds_read_b128 v[9:12], v62 offset:1136
	s_waitcnt vmcnt(35) lgkmcnt(1)
	v_mul_f64 v[27:28], v[3:4], v[51:52]
	v_mul_f64 v[25:26], v[1:2], v[51:52]
	s_waitcnt vmcnt(33)
	v_fma_f64 v[29:30], v[5:6], v[31:32], -v[29:30]
	v_fma_f64 v[17:18], v[7:8], v[31:32], v[17:18]
	ds_read_b128 v[5:8], v62 offset:1152
	v_add_f64 v[13:14], v[13:14], v[33:34]
	v_add_f64 v[15:16], v[15:16], v[23:24]
	s_waitcnt vmcnt(29) lgkmcnt(1)
	v_mul_f64 v[31:32], v[11:12], v[35:36]
	s_waitcnt vmcnt(28)
	v_fma_f64 v[27:28], v[1:2], v[53:54], -v[27:28]
	v_mul_f64 v[23:24], v[9:10], v[35:36]
	v_fma_f64 v[25:26], v[3:4], v[53:54], v[25:26]
	ds_read_b128 v[1:4], v62 offset:1168
	v_add_f64 v[13:14], v[13:14], v[29:30]
	v_add_f64 v[15:16], v[15:16], v[17:18]
	s_waitcnt vmcnt(27) lgkmcnt(1)
	v_mul_f64 v[29:30], v[7:8], v[57:58]
	v_mul_f64 v[17:18], v[5:6], v[57:58]
	s_waitcnt vmcnt(25)
	v_fma_f64 v[31:32], v[9:10], v[39:40], -v[31:32]
	v_fma_f64 v[23:24], v[11:12], v[39:40], v[23:24]
	ds_read_b128 v[9:12], v62 offset:1184
	v_add_f64 v[13:14], v[13:14], v[27:28]
	v_add_f64 v[15:16], v[15:16], v[25:26]
	s_waitcnt vmcnt(21) lgkmcnt(1)
	v_mul_f64 v[27:28], v[3:4], v[41:42]
	s_waitcnt vmcnt(20)
	v_fma_f64 v[29:30], v[5:6], v[59:60], -v[29:30]
	v_mul_f64 v[25:26], v[1:2], v[41:42]
	v_fma_f64 v[17:18], v[7:8], v[59:60], v[17:18]
	ds_read_b128 v[5:8], v62 offset:1200
	v_add_f64 v[13:14], v[13:14], v[31:32]
	v_add_f64 v[15:16], v[15:16], v[23:24]
	s_waitcnt vmcnt(19) lgkmcnt(1)
	v_mul_f64 v[31:32], v[11:12], v[79:80]
	v_mul_f64 v[23:24], v[9:10], v[79:80]
	s_waitcnt vmcnt(17)
	v_fma_f64 v[27:28], v[1:2], v[47:48], -v[27:28]
	v_fma_f64 v[25:26], v[3:4], v[47:48], v[25:26]
	ds_read_b128 v[1:4], v62 offset:1216
	v_add_f64 v[13:14], v[13:14], v[29:30]
	v_add_f64 v[15:16], v[15:16], v[17:18]
	s_waitcnt vmcnt(13) lgkmcnt(1)
	v_mul_f64 v[29:30], v[7:8], v[49:50]
	s_waitcnt vmcnt(12)
	v_fma_f64 v[31:32], v[9:10], v[163:164], -v[31:32]
	v_mul_f64 v[17:18], v[5:6], v[49:50]
	v_fma_f64 v[23:24], v[11:12], v[163:164], v[23:24]
	ds_read_b128 v[9:12], v62 offset:1232
	v_add_f64 v[13:14], v[13:14], v[27:28]
	v_add_f64 v[15:16], v[15:16], v[25:26]
	s_waitcnt vmcnt(11) lgkmcnt(1)
	v_mul_f64 v[27:28], v[3:4], v[69:70]
	v_mul_f64 v[25:26], v[1:2], v[69:70]
	s_waitcnt vmcnt(9)
	v_fma_f64 v[5:6], v[5:6], v[55:56], -v[29:30]
	v_fma_f64 v[7:8], v[7:8], v[55:56], v[17:18]
	v_add_f64 v[13:14], v[13:14], v[31:32]
	v_add_f64 v[15:16], v[15:16], v[23:24]
	s_waitcnt vmcnt(7) lgkmcnt(0)
	v_mul_f64 v[23:24], v[11:12], v[75:76]
	s_waitcnt vmcnt(6)
	v_fma_f64 v[1:2], v[1:2], v[83:84], -v[27:28]
	v_mul_f64 v[17:18], v[9:10], v[75:76]
	v_fma_f64 v[3:4], v[3:4], v[83:84], v[25:26]
	v_add_f64 v[5:6], v[13:14], v[5:6]
	v_add_f64 v[7:8], v[15:16], v[7:8]
	s_waitcnt vmcnt(4)
	v_fma_f64 v[9:10], v[9:10], v[19:20], -v[23:24]
	v_add_f64 v[1:2], v[5:6], v[1:2]
	v_fma_f64 v[5:6], v[11:12], v[19:20], v[17:18]
	v_add_f64 v[3:4], v[7:8], v[3:4]
	v_add_f64 v[1:2], v[1:2], v[9:10]
	;; [unrolled: 1-line block ×3, first 2 shown]
	s_waitcnt vmcnt(2)
	v_add_f64 v[1:2], v[21:22], -v[1:2]
	s_waitcnt vmcnt(0)
	v_add_f64 v[3:4], v[71:72], -v[3:4]
	buffer_store_dword v2, off, s[0:3], 0 offset:52
	buffer_store_dword v1, off, s[0:3], 0 offset:48
	;; [unrolled: 1-line block ×4, first 2 shown]
	v_cmpx_lt_u32_e32 1, v0
	s_cbranch_execz .LBB38_245
; %bb.244:
	v_mov_b32_e32 v4, s50
	v_mov_b32_e32 v5, 0
	s_clause 0x3
	buffer_load_dword v1, v4, s[0:3], 0 offen
	buffer_load_dword v2, v4, s[0:3], 0 offen offset:4
	buffer_load_dword v3, v4, s[0:3], 0 offen offset:8
	;; [unrolled: 1-line block ×3, first 2 shown]
	buffer_store_dword v5, off, s[0:3], 0 offset:32
	buffer_store_dword v5, off, s[0:3], 0 offset:36
	;; [unrolled: 1-line block ×4, first 2 shown]
	s_waitcnt vmcnt(0)
	ds_write_b128 v61, v[1:4]
.LBB38_245:
	s_or_b32 exec_lo, exec_lo, s4
	s_waitcnt lgkmcnt(0)
	s_waitcnt_vscnt null, 0x0
	s_barrier
	buffer_gl0_inv
	s_clause 0x37
	buffer_load_dword v9, off, s[0:3], 0 offset:56
	buffer_load_dword v10, off, s[0:3], 0 offset:60
	;; [unrolled: 1-line block ×56, first 2 shown]
	v_mov_b32_e32 v62, 0
	s_mov_b32 s4, exec_lo
	ds_read_b128 v[63:66], v62 offset:656
	s_clause 0x2
	buffer_load_dword v58, off, s[0:3], 0 offset:284
	buffer_load_dword v60, off, s[0:3], 0 offset:260
	;; [unrolled: 1-line block ×3, first 2 shown]
	ds_read_b128 v[67:70], v62 offset:672
	s_clause 0x4
	buffer_load_dword v78, off, s[0:3], 0 offset:300
	buffer_load_dword v79, off, s[0:3], 0 offset:312
	;; [unrolled: 1-line block ×5, first 2 shown]
	ds_read_b128 v[71:74], v62 offset:688
	s_clause 0x2
	buffer_load_dword v80, off, s[0:3], 0 offset:316
	buffer_load_dword v164, off, s[0:3], 0 offset:292
	;; [unrolled: 1-line block ×3, first 2 shown]
	s_waitcnt vmcnt(62) lgkmcnt(2)
	v_mul_f64 v[75:76], v[65:66], v[9:10]
	v_mul_f64 v[9:10], v[63:64], v[9:10]
	s_waitcnt lgkmcnt(1)
	v_mul_f64 v[82:83], v[69:70], v[5:6]
	s_waitcnt vmcnt(59) lgkmcnt(0)
	v_mul_f64 v[165:166], v[73:74], v[3:4]
	v_fma_f64 v[63:64], v[63:64], v[7:8], -v[75:76]
	v_mul_f64 v[75:76], v[67:68], v[5:6]
	v_fma_f64 v[9:10], v[65:66], v[7:8], v[9:10]
	s_waitcnt vmcnt(57)
	v_fma_f64 v[67:68], v[67:68], v[1:2], -v[82:83]
	ds_read_b128 v[5:8], v62 offset:704
	v_mul_f64 v[65:66], v[71:72], v[3:4]
	s_waitcnt vmcnt(51)
	v_fma_f64 v[71:72], v[71:72], v[25:26], -v[165:166]
	v_add_f64 v[63:64], v[63:64], 0
	v_fma_f64 v[69:70], v[69:70], v[1:2], v[75:76]
	v_add_f64 v[9:10], v[9:10], 0
	s_clause 0x4
	buffer_load_dword v76, off, s[0:3], 0 offset:332
	buffer_load_dword v83, off, s[0:3], 0 offset:344
	;; [unrolled: 1-line block ×5, first 2 shown]
	s_waitcnt lgkmcnt(0)
	v_mul_f64 v[168:169], v[5:6], v[13:14]
	v_mul_f64 v[13:14], v[7:8], v[13:14]
	ds_read_b128 v[1:4], v62 offset:720
	v_fma_f64 v[25:26], v[73:74], v[25:26], v[65:66]
	v_add_f64 v[67:68], v[63:64], v[67:68]
	v_add_f64 v[9:10], v[9:10], v[69:70]
	s_clause 0x2
	buffer_load_dword v84, off, s[0:3], 0 offset:348
	buffer_load_dword v70, off, s[0:3], 0 offset:324
	;; [unrolled: 1-line block ×3, first 2 shown]
	s_waitcnt vmcnt(58) lgkmcnt(0)
	v_mul_f64 v[73:74], v[1:2], v[17:18]
	v_mul_f64 v[17:18], v[3:4], v[17:18]
	s_waitcnt vmcnt(56)
	v_fma_f64 v[13:14], v[5:6], v[19:20], -v[13:14]
	ds_read_b128 v[63:66], v62 offset:736
	v_fma_f64 v[19:20], v[7:8], v[19:20], v[168:169]
	v_add_f64 v[67:68], v[67:68], v[71:72]
	v_add_f64 v[9:10], v[9:10], v[25:26]
	s_clause 0x4
	buffer_load_dword v26, off, s[0:3], 0 offset:364
	buffer_load_dword v71, off, s[0:3], 0 offset:376
	;; [unrolled: 1-line block ×5, first 2 shown]
	ds_read_b128 v[5:8], v62 offset:752
	s_waitcnt vmcnt(57) lgkmcnt(1)
	v_mul_f64 v[169:170], v[63:64], v[21:22]
	v_mul_f64 v[21:22], v[65:66], v[21:22]
	s_waitcnt vmcnt(56)
	v_fma_f64 v[17:18], v[1:2], v[11:12], -v[17:18]
	v_fma_f64 v[11:12], v[3:4], v[11:12], v[73:74]
	v_add_f64 v[13:14], v[67:68], v[13:14]
	v_add_f64 v[9:10], v[9:10], v[19:20]
	s_clause 0x2
	buffer_load_dword v72, off, s[0:3], 0 offset:380
	buffer_load_dword v20, off, s[0:3], 0 offset:356
	;; [unrolled: 1-line block ×3, first 2 shown]
	s_waitcnt vmcnt(58) lgkmcnt(0)
	v_mul_f64 v[67:68], v[5:6], v[27:28]
	v_mul_f64 v[27:28], v[7:8], v[27:28]
	s_waitcnt vmcnt(56)
	v_fma_f64 v[21:22], v[63:64], v[29:30], -v[21:22]
	ds_read_b128 v[1:4], v62 offset:768
	v_add_f64 v[13:14], v[13:14], v[17:18]
	v_fma_f64 v[17:18], v[65:66], v[29:30], v[169:170]
	v_add_f64 v[29:30], v[9:10], v[11:12]
	s_clause 0x4
	buffer_load_dword v64, off, s[0:3], 0 offset:396
	buffer_load_dword v65, off, s[0:3], 0 offset:408
	buffer_load_dword v73, off, s[0:3], 0 offset:400
	buffer_load_dword v63, off, s[0:3], 0 offset:392
	buffer_load_dword v166, off, s[0:3], 0 offset:372
	ds_read_b128 v[9:12], v62 offset:784
	s_waitcnt vmcnt(57) lgkmcnt(1)
	v_mul_f64 v[169:170], v[1:2], v[31:32]
	v_mul_f64 v[31:32], v[3:4], v[31:32]
	s_waitcnt vmcnt(56)
	v_fma_f64 v[27:28], v[5:6], v[15:16], -v[27:28]
	v_fma_f64 v[15:16], v[7:8], v[15:16], v[67:68]
	v_add_f64 v[13:14], v[13:14], v[21:22]
	s_clause 0x2
	buffer_load_dword v66, off, s[0:3], 0 offset:412
	buffer_load_dword v22, off, s[0:3], 0 offset:388
	;; [unrolled: 1-line block ×3, first 2 shown]
	v_add_f64 v[17:18], v[29:30], v[17:18]
	s_waitcnt vmcnt(58) lgkmcnt(0)
	v_mul_f64 v[29:30], v[9:10], v[35:36]
	v_mul_f64 v[35:36], v[11:12], v[35:36]
	ds_read_b128 v[5:8], v62 offset:800
	s_waitcnt vmcnt(56)
	v_fma_f64 v[31:32], v[1:2], v[37:38], -v[31:32]
	v_add_f64 v[13:14], v[13:14], v[27:28]
	v_fma_f64 v[27:28], v[3:4], v[37:38], v[169:170]
	v_add_f64 v[15:16], v[17:18], v[15:16]
	s_clause 0x4
	buffer_load_dword v18, off, s[0:3], 0 offset:428
	buffer_load_dword v37, off, s[0:3], 0 offset:440
	;; [unrolled: 1-line block ×5, first 2 shown]
	s_waitcnt vmcnt(57) lgkmcnt(0)
	v_mul_f64 v[169:170], v[5:6], v[39:40]
	v_mul_f64 v[39:40], v[7:8], v[39:40]
	s_waitcnt vmcnt(56)
	v_fma_f64 v[35:36], v[9:10], v[23:24], -v[35:36]
	ds_read_b128 v[1:4], v62 offset:816
	v_fma_f64 v[23:24], v[11:12], v[23:24], v[29:30]
	v_add_f64 v[13:14], v[13:14], v[31:32]
	v_add_f64 v[15:16], v[15:16], v[27:28]
	s_clause 0x2
	buffer_load_dword v38, off, s[0:3], 0 offset:444
	buffer_load_dword v28, off, s[0:3], 0 offset:420
	;; [unrolled: 1-line block ×3, first 2 shown]
	ds_read_b128 v[9:12], v62 offset:832
	s_waitcnt vmcnt(58) lgkmcnt(1)
	v_mul_f64 v[31:32], v[3:4], v[43:44]
	s_waitcnt vmcnt(56)
	v_fma_f64 v[39:40], v[5:6], v[45:46], -v[39:40]
	v_mul_f64 v[29:30], v[1:2], v[43:44]
	v_add_f64 v[13:14], v[13:14], v[35:36]
	v_fma_f64 v[35:36], v[7:8], v[45:46], v[169:170]
	v_add_f64 v[15:16], v[15:16], v[23:24]
	s_clause 0x4
	buffer_load_dword v24, off, s[0:3], 0 offset:460
	buffer_load_dword v43, off, s[0:3], 0 offset:472
	buffer_load_dword v45, off, s[0:3], 0 offset:464
	buffer_load_dword v23, off, s[0:3], 0 offset:456
	buffer_load_dword v68, off, s[0:3], 0 offset:436
	s_waitcnt vmcnt(57) lgkmcnt(0)
	v_mul_f64 v[169:170], v[9:10], v[47:48]
	v_mul_f64 v[46:47], v[11:12], v[47:48]
	s_waitcnt vmcnt(56)
	v_fma_f64 v[31:32], v[1:2], v[33:34], -v[31:32]
	ds_read_b128 v[5:8], v62 offset:848
	v_fma_f64 v[29:30], v[3:4], v[33:34], v[29:30]
	s_clause 0x2
	buffer_load_dword v44, off, s[0:3], 0 offset:476
	buffer_load_dword v34, off, s[0:3], 0 offset:452
	;; [unrolled: 1-line block ×3, first 2 shown]
	ds_read_b128 v[1:4], v62 offset:864
	v_add_f64 v[13:14], v[13:14], v[39:40]
	v_add_f64 v[15:16], v[15:16], v[35:36]
	s_waitcnt vmcnt(58) lgkmcnt(1)
	v_mul_f64 v[39:40], v[7:8], v[51:52]
	s_waitcnt vmcnt(56)
	v_fma_f64 v[47:48], v[9:10], v[53:54], -v[46:47]
	v_mul_f64 v[35:36], v[5:6], v[51:52]
	v_add_f64 v[13:14], v[13:14], v[31:32]
	v_fma_f64 v[31:32], v[11:12], v[53:54], v[169:170]
	v_add_f64 v[15:16], v[15:16], v[29:30]
	s_clause 0x4
	buffer_load_dword v30, off, s[0:3], 0 offset:492
	buffer_load_dword v51, off, s[0:3], 0 offset:504
	;; [unrolled: 1-line block ×5, first 2 shown]
	s_waitcnt vmcnt(57) lgkmcnt(0)
	v_mul_f64 v[169:170], v[1:2], v[55:56]
	v_mul_f64 v[54:55], v[3:4], v[55:56]
	s_waitcnt vmcnt(56)
	v_fma_f64 v[39:40], v[5:6], v[41:42], -v[39:40]
	ds_read_b128 v[9:12], v62 offset:880
	v_fma_f64 v[35:36], v[7:8], v[41:42], v[35:36]
	v_add_f64 v[13:14], v[13:14], v[47:48]
	v_add_f64 v[15:16], v[15:16], v[31:32]
	s_clause 0x2
	buffer_load_dword v52, off, s[0:3], 0 offset:508
	buffer_load_dword v32, off, s[0:3], 0 offset:484
	;; [unrolled: 1-line block ×3, first 2 shown]
	ds_read_b128 v[5:8], v62 offset:896
	s_waitcnt vmcnt(58) lgkmcnt(1)
	v_mul_f64 v[47:48], v[11:12], v[57:58]
	s_waitcnt vmcnt(56)
	v_fma_f64 v[55:56], v[1:2], v[59:60], -v[54:55]
	v_mul_f64 v[41:42], v[9:10], v[57:58]
	v_add_f64 v[13:14], v[13:14], v[39:40]
	v_fma_f64 v[39:40], v[3:4], v[59:60], v[169:170]
	v_add_f64 v[15:16], v[15:16], v[35:36]
	s_clause 0x4
	buffer_load_dword v36, off, s[0:3], 0 offset:524
	buffer_load_dword v57, off, s[0:3], 0 offset:536
	;; [unrolled: 1-line block ×5, first 2 shown]
	s_waitcnt vmcnt(57) lgkmcnt(0)
	v_mul_f64 v[169:170], v[5:6], v[77:78]
	v_mul_f64 v[77:78], v[7:8], v[77:78]
	s_waitcnt vmcnt(56)
	v_fma_f64 v[47:48], v[9:10], v[49:50], -v[47:48]
	ds_read_b128 v[1:4], v62 offset:912
	v_fma_f64 v[41:42], v[11:12], v[49:50], v[41:42]
	v_add_f64 v[13:14], v[13:14], v[55:56]
	v_add_f64 v[15:16], v[15:16], v[39:40]
	s_clause 0x2
	buffer_load_dword v58, off, s[0:3], 0 offset:540
	buffer_load_dword v40, off, s[0:3], 0 offset:516
	;; [unrolled: 1-line block ×3, first 2 shown]
	ds_read_b128 v[9:12], v62 offset:928
	s_waitcnt vmcnt(58) lgkmcnt(1)
	v_mul_f64 v[55:56], v[3:4], v[79:80]
	s_waitcnt vmcnt(56)
	v_fma_f64 v[77:78], v[5:6], v[163:164], -v[77:78]
	v_mul_f64 v[49:50], v[1:2], v[79:80]
	v_add_f64 v[13:14], v[13:14], v[47:48]
	v_fma_f64 v[47:48], v[7:8], v[163:164], v[169:170]
	v_add_f64 v[15:16], v[15:16], v[41:42]
	s_clause 0x4
	buffer_load_dword v42, off, s[0:3], 0 offset:556
	buffer_load_dword v79, off, s[0:3], 0 offset:568
	buffer_load_dword v163, off, s[0:3], 0 offset:560
	buffer_load_dword v41, off, s[0:3], 0 offset:552
	buffer_load_dword v60, off, s[0:3], 0 offset:532
	ds_read_b128 v[5:8], v62 offset:944
	s_waitcnt vmcnt(57) lgkmcnt(1)
	v_mul_f64 v[169:170], v[9:10], v[75:76]
	v_mul_f64 v[75:76], v[11:12], v[75:76]
	s_waitcnt vmcnt(56)
	v_fma_f64 v[55:56], v[1:2], v[81:82], -v[55:56]
	v_fma_f64 v[49:50], v[3:4], v[81:82], v[49:50]
	v_add_f64 v[13:14], v[13:14], v[77:78]
	v_add_f64 v[15:16], v[15:16], v[47:48]
	s_clause 0x2
	buffer_load_dword v80, off, s[0:3], 0 offset:572
	buffer_load_dword v48, off, s[0:3], 0 offset:548
	;; [unrolled: 1-line block ×3, first 2 shown]
	ds_read_b128 v[1:4], v62 offset:960
	s_waitcnt vmcnt(58) lgkmcnt(1)
	v_mul_f64 v[81:82], v[7:8], v[83:84]
	v_mul_f64 v[77:78], v[5:6], v[83:84]
	s_waitcnt vmcnt(56)
	v_fma_f64 v[75:76], v[9:10], v[69:70], -v[75:76]
	v_add_f64 v[13:14], v[13:14], v[55:56]
	v_fma_f64 v[55:56], v[11:12], v[69:70], v[169:170]
	v_add_f64 v[15:16], v[15:16], v[49:50]
	s_clause 0x4
	buffer_load_dword v50, off, s[0:3], 0 offset:588
	buffer_load_dword v69, off, s[0:3], 0 offset:600
	;; [unrolled: 1-line block ×5, first 2 shown]
	ds_read_b128 v[9:12], v62 offset:976
	s_waitcnt vmcnt(57) lgkmcnt(1)
	v_mul_f64 v[169:170], v[1:2], v[25:26]
	v_mul_f64 v[25:26], v[3:4], v[25:26]
	s_waitcnt vmcnt(56)
	v_fma_f64 v[81:82], v[5:6], v[167:168], -v[81:82]
	v_add_f64 v[13:14], v[13:14], v[75:76]
	v_fma_f64 v[75:76], v[7:8], v[167:168], v[77:78]
	v_add_f64 v[15:16], v[15:16], v[55:56]
	s_clause 0x2
	buffer_load_dword v70, off, s[0:3], 0 offset:604
	buffer_load_dword v56, off, s[0:3], 0 offset:580
	;; [unrolled: 1-line block ×3, first 2 shown]
	ds_read_b128 v[5:8], v62 offset:992
	s_waitcnt vmcnt(58) lgkmcnt(1)
	v_mul_f64 v[77:78], v[9:10], v[71:72]
	v_mul_f64 v[71:72], v[11:12], v[71:72]
	s_waitcnt vmcnt(56)
	v_fma_f64 v[25:26], v[1:2], v[19:20], -v[25:26]
	v_fma_f64 v[19:20], v[3:4], v[19:20], v[169:170]
	v_add_f64 v[13:14], v[13:14], v[81:82]
	v_add_f64 v[15:16], v[15:16], v[75:76]
	s_clause 0x4
	buffer_load_dword v76, off, s[0:3], 0 offset:620
	buffer_load_dword v81, off, s[0:3], 0 offset:632
	;; [unrolled: 1-line block ×5, first 2 shown]
	ds_read_b128 v[1:4], v62 offset:1008
	s_waitcnt vmcnt(57) lgkmcnt(1)
	v_mul_f64 v[168:169], v[5:6], v[63:64]
	v_mul_f64 v[63:64], v[7:8], v[63:64]
	s_waitcnt vmcnt(56)
	v_fma_f64 v[71:72], v[9:10], v[165:166], -v[71:72]
	v_add_f64 v[13:14], v[13:14], v[25:26]
	v_fma_f64 v[25:26], v[11:12], v[165:166], v[77:78]
	v_add_f64 v[15:16], v[15:16], v[19:20]
	s_clause 0x2
	buffer_load_dword v82, off, s[0:3], 0 offset:636
	buffer_load_dword v20, off, s[0:3], 0 offset:612
	;; [unrolled: 1-line block ×3, first 2 shown]
	ds_read_b128 v[9:12], v62 offset:1024
	s_waitcnt vmcnt(58) lgkmcnt(1)
	v_mul_f64 v[77:78], v[1:2], v[65:66]
	v_mul_f64 v[65:66], v[3:4], v[65:66]
	s_waitcnt vmcnt(56)
	v_fma_f64 v[63:64], v[5:6], v[21:22], -v[63:64]
	v_fma_f64 v[21:22], v[7:8], v[21:22], v[168:169]
	buffer_load_dword v168, off, s[0:3], 0 offset:628
	ds_read_b128 v[5:8], v62 offset:1040
	v_add_f64 v[13:14], v[13:14], v[71:72]
	v_add_f64 v[15:16], v[15:16], v[25:26]
	s_waitcnt vmcnt(53) lgkmcnt(1)
	v_mul_f64 v[25:26], v[9:10], v[17:18]
	v_mul_f64 v[17:18], v[11:12], v[17:18]
	s_waitcnt vmcnt(52)
	v_fma_f64 v[65:66], v[1:2], v[73:74], -v[65:66]
	v_add_f64 v[13:14], v[13:14], v[63:64]
	v_fma_f64 v[63:64], v[3:4], v[73:74], v[77:78]
	v_add_f64 v[15:16], v[15:16], v[21:22]
	ds_read_b128 v[1:4], v62 offset:1056
	s_waitcnt vmcnt(51) lgkmcnt(1)
	v_mul_f64 v[21:22], v[5:6], v[37:38]
	v_mul_f64 v[37:38], v[7:8], v[37:38]
	s_waitcnt vmcnt(49)
	v_fma_f64 v[17:18], v[9:10], v[27:28], -v[17:18]
	v_fma_f64 v[25:26], v[11:12], v[27:28], v[25:26]
	v_add_f64 v[13:14], v[13:14], v[65:66]
	v_add_f64 v[15:16], v[15:16], v[63:64]
	s_clause 0x3
	buffer_load_dword v27, off, s[0:3], 0 offset:32
	buffer_load_dword v28, off, s[0:3], 0 offset:36
	;; [unrolled: 1-line block ×4, first 2 shown]
	ds_read_b128 v[9:12], v62 offset:1072
	s_waitcnt vmcnt(49) lgkmcnt(1)
	v_mul_f64 v[65:66], v[1:2], v[23:24]
	v_mul_f64 v[23:24], v[3:4], v[23:24]
	s_waitcnt vmcnt(48)
	v_fma_f64 v[37:38], v[5:6], v[67:68], -v[37:38]
	v_add_f64 v[13:14], v[13:14], v[17:18]
	v_fma_f64 v[17:18], v[7:8], v[67:68], v[21:22]
	v_add_f64 v[15:16], v[15:16], v[25:26]
	ds_read_b128 v[5:8], v62 offset:1088
	s_waitcnt vmcnt(47) lgkmcnt(1)
	v_mul_f64 v[25:26], v[11:12], v[43:44]
	v_mul_f64 v[21:22], v[9:10], v[43:44]
	s_waitcnt vmcnt(45)
	v_fma_f64 v[23:24], v[1:2], v[33:34], -v[23:24]
	v_fma_f64 v[33:34], v[3:4], v[33:34], v[65:66]
	ds_read_b128 v[1:4], v62 offset:1104
	v_add_f64 v[13:14], v[13:14], v[37:38]
	v_add_f64 v[15:16], v[15:16], v[17:18]
	s_waitcnt vmcnt(41) lgkmcnt(1)
	v_mul_f64 v[17:18], v[5:6], v[29:30]
	v_mul_f64 v[29:30], v[7:8], v[29:30]
	s_waitcnt vmcnt(40)
	v_fma_f64 v[25:26], v[9:10], v[45:46], -v[25:26]
	v_fma_f64 v[21:22], v[11:12], v[45:46], v[21:22]
	ds_read_b128 v[9:12], v62 offset:1120
	v_add_f64 v[13:14], v[13:14], v[23:24]
	v_add_f64 v[15:16], v[15:16], v[33:34]
	;; [unrolled: 9-line block ×3, first 2 shown]
	s_waitcnt vmcnt(33) lgkmcnt(1)
	v_mul_f64 v[25:26], v[11:12], v[35:36]
	s_waitcnt vmcnt(32)
	v_fma_f64 v[31:32], v[1:2], v[53:54], -v[33:34]
	v_mul_f64 v[21:22], v[9:10], v[35:36]
	v_fma_f64 v[23:24], v[3:4], v[53:54], v[23:24]
	ds_read_b128 v[1:4], v62 offset:1152
	v_add_f64 v[13:14], v[13:14], v[29:30]
	v_add_f64 v[15:16], v[15:16], v[17:18]
	s_waitcnt vmcnt(31) lgkmcnt(1)
	v_mul_f64 v[29:30], v[7:8], v[57:58]
	v_mul_f64 v[17:18], v[5:6], v[57:58]
	s_waitcnt vmcnt(29)
	v_fma_f64 v[25:26], v[9:10], v[39:40], -v[25:26]
	v_fma_f64 v[21:22], v[11:12], v[39:40], v[21:22]
	ds_read_b128 v[9:12], v62 offset:1168
	v_add_f64 v[13:14], v[13:14], v[31:32]
	v_add_f64 v[15:16], v[15:16], v[23:24]
	s_waitcnt vmcnt(25) lgkmcnt(1)
	v_mul_f64 v[31:32], v[3:4], v[41:42]
	s_waitcnt vmcnt(24)
	v_fma_f64 v[29:30], v[5:6], v[59:60], -v[29:30]
	v_mul_f64 v[23:24], v[1:2], v[41:42]
	v_fma_f64 v[17:18], v[7:8], v[59:60], v[17:18]
	ds_read_b128 v[5:8], v62 offset:1184
	v_add_f64 v[13:14], v[13:14], v[25:26]
	v_add_f64 v[15:16], v[15:16], v[21:22]
	s_waitcnt vmcnt(23) lgkmcnt(1)
	v_mul_f64 v[25:26], v[11:12], v[79:80]
	v_mul_f64 v[21:22], v[9:10], v[79:80]
	s_waitcnt vmcnt(21)
	v_fma_f64 v[31:32], v[1:2], v[47:48], -v[31:32]
	v_fma_f64 v[23:24], v[3:4], v[47:48], v[23:24]
	ds_read_b128 v[1:4], v62 offset:1200
	v_add_f64 v[13:14], v[13:14], v[29:30]
	v_add_f64 v[15:16], v[15:16], v[17:18]
	;; [unrolled: 18-line block ×3, first 2 shown]
	s_waitcnt vmcnt(9) lgkmcnt(1)
	v_mul_f64 v[25:26], v[11:12], v[75:76]
	s_waitcnt vmcnt(8)
	v_fma_f64 v[1:2], v[1:2], v[83:84], -v[31:32]
	v_mul_f64 v[21:22], v[9:10], v[75:76]
	v_fma_f64 v[3:4], v[3:4], v[83:84], v[23:24]
	v_add_f64 v[13:14], v[13:14], v[29:30]
	v_add_f64 v[15:16], v[15:16], v[17:18]
	s_waitcnt vmcnt(7) lgkmcnt(0)
	v_mul_f64 v[23:24], v[7:8], v[81:82]
	v_mul_f64 v[17:18], v[5:6], v[81:82]
	s_waitcnt vmcnt(5)
	v_fma_f64 v[9:10], v[9:10], v[19:20], -v[25:26]
	v_fma_f64 v[11:12], v[11:12], v[19:20], v[21:22]
	v_add_f64 v[1:2], v[13:14], v[1:2]
	v_add_f64 v[3:4], v[15:16], v[3:4]
	s_waitcnt vmcnt(4)
	v_fma_f64 v[5:6], v[5:6], v[167:168], -v[23:24]
	v_fma_f64 v[7:8], v[7:8], v[167:168], v[17:18]
	v_add_f64 v[1:2], v[1:2], v[9:10]
	v_add_f64 v[3:4], v[3:4], v[11:12]
	;; [unrolled: 1-line block ×4, first 2 shown]
	s_waitcnt vmcnt(2)
	v_add_f64 v[1:2], v[27:28], -v[1:2]
	s_waitcnt vmcnt(0)
	v_add_f64 v[3:4], v[63:64], -v[3:4]
	buffer_store_dword v2, off, s[0:3], 0 offset:36
	buffer_store_dword v1, off, s[0:3], 0 offset:32
	;; [unrolled: 1-line block ×4, first 2 shown]
	v_cmpx_ne_u32_e32 0, v0
	s_cbranch_execz .LBB38_247
; %bb.246:
	s_clause 0x3
	buffer_load_dword v0, off, s[0:3], 0 offset:16
	buffer_load_dword v1, off, s[0:3], 0 offset:20
	;; [unrolled: 1-line block ×4, first 2 shown]
	buffer_store_dword v62, off, s[0:3], 0 offset:16
	buffer_store_dword v62, off, s[0:3], 0 offset:20
	buffer_store_dword v62, off, s[0:3], 0 offset:24
	buffer_store_dword v62, off, s[0:3], 0 offset:28
	s_waitcnt vmcnt(0)
	ds_write_b128 v61, v[0:3]
.LBB38_247:
	s_or_b32 exec_lo, exec_lo, s4
	s_waitcnt lgkmcnt(0)
	s_waitcnt_vscnt null, 0x0
	s_barrier
	buffer_gl0_inv
	s_clause 0x37
	buffer_load_dword v8, off, s[0:3], 0 offset:40
	buffer_load_dword v9, off, s[0:3], 0 offset:44
	;; [unrolled: 1-line block ×56, first 2 shown]
	ds_read_b128 v[63:66], v62 offset:640
	s_clause 0x2
	buffer_load_dword v57, off, s[0:3], 0 offset:268
	buffer_load_dword v59, off, s[0:3], 0 offset:244
	buffer_load_dword v58, off, s[0:3], 0 offset:240
	ds_read_b128 v[67:70], v62 offset:656
	s_clause 0x4
	buffer_load_dword v76, off, s[0:3], 0 offset:284
	buffer_load_dword v77, off, s[0:3], 0 offset:296
	;; [unrolled: 1-line block ×5, first 2 shown]
	ds_read_b128 v[71:74], v62 offset:672
	s_clause 0x2
	buffer_load_dword v78, off, s[0:3], 0 offset:300
	buffer_load_dword v83, off, s[0:3], 0 offset:276
	;; [unrolled: 1-line block ×3, first 2 shown]
	s_and_b32 vcc_lo, exec_lo, s51
	s_waitcnt vmcnt(62) lgkmcnt(2)
	v_mul_f64 v[60:61], v[65:66], v[8:9]
	v_mul_f64 v[8:9], v[63:64], v[8:9]
	s_waitcnt lgkmcnt(1)
	v_mul_f64 v[80:81], v[69:70], v[4:5]
	s_waitcnt vmcnt(59) lgkmcnt(0)
	v_mul_f64 v[163:164], v[73:74], v[2:3]
	v_fma_f64 v[60:61], v[63:64], v[6:7], -v[60:61]
	v_mul_f64 v[63:64], v[67:68], v[4:5]
	v_fma_f64 v[8:9], v[65:66], v[6:7], v[8:9]
	s_waitcnt vmcnt(57)
	v_fma_f64 v[67:68], v[67:68], v[0:1], -v[80:81]
	ds_read_b128 v[4:7], v62 offset:688
	v_mul_f64 v[65:66], v[71:72], v[2:3]
	s_waitcnt vmcnt(51)
	v_fma_f64 v[71:72], v[71:72], v[24:25], -v[163:164]
	v_add_f64 v[60:61], v[60:61], 0
	v_fma_f64 v[63:64], v[69:70], v[0:1], v[63:64]
	v_add_f64 v[8:9], v[8:9], 0
	s_clause 0x4
	buffer_load_dword v70, off, s[0:3], 0 offset:316
	buffer_load_dword v165, off, s[0:3], 0 offset:328
	;; [unrolled: 1-line block ×5, first 2 shown]
	s_waitcnt lgkmcnt(0)
	v_mul_f64 v[168:169], v[4:5], v[12:13]
	v_mul_f64 v[12:13], v[6:7], v[12:13]
	ds_read_b128 v[0:3], v62 offset:704
	v_fma_f64 v[24:25], v[73:74], v[24:25], v[65:66]
	v_add_f64 v[60:61], v[60:61], v[67:68]
	s_clause 0x2
	buffer_load_dword v166, off, s[0:3], 0 offset:332
	buffer_load_dword v68, off, s[0:3], 0 offset:308
	;; [unrolled: 1-line block ×3, first 2 shown]
	v_add_f64 v[8:9], v[8:9], v[63:64]
	ds_read_b128 v[63:66], v62 offset:720
	s_waitcnt vmcnt(58) lgkmcnt(1)
	v_mul_f64 v[73:74], v[0:1], v[16:17]
	v_mul_f64 v[16:17], v[2:3], v[16:17]
	s_waitcnt vmcnt(56)
	v_fma_f64 v[12:13], v[4:5], v[18:19], -v[12:13]
	v_fma_f64 v[18:19], v[6:7], v[18:19], v[168:169]
	v_add_f64 v[60:61], v[60:61], v[71:72]
	s_waitcnt vmcnt(52) lgkmcnt(0)
	v_mul_f64 v[169:170], v[63:64], v[20:21]
	v_add_f64 v[8:9], v[8:9], v[24:25]
	s_clause 0x4
	buffer_load_dword v25, off, s[0:3], 0 offset:348
	buffer_load_dword v71, off, s[0:3], 0 offset:360
	;; [unrolled: 1-line block ×5, first 2 shown]
	v_mul_f64 v[20:21], v[65:66], v[20:21]
	s_waitcnt vmcnt(56)
	v_fma_f64 v[16:17], v[0:1], v[10:11], -v[16:17]
	ds_read_b128 v[4:7], v62 offset:736
	v_fma_f64 v[10:11], v[2:3], v[10:11], v[73:74]
	v_add_f64 v[12:13], v[60:61], v[12:13]
	v_add_f64 v[8:9], v[8:9], v[18:19]
	s_clause 0x2
	buffer_load_dword v72, off, s[0:3], 0 offset:364
	buffer_load_dword v19, off, s[0:3], 0 offset:340
	;; [unrolled: 1-line block ×3, first 2 shown]
	s_waitcnt vmcnt(58) lgkmcnt(0)
	v_mul_f64 v[60:61], v[4:5], v[26:27]
	v_mul_f64 v[26:27], v[6:7], v[26:27]
	s_waitcnt vmcnt(56)
	v_fma_f64 v[20:21], v[63:64], v[28:29], -v[20:21]
	ds_read_b128 v[0:3], v62 offset:752
	v_add_f64 v[12:13], v[12:13], v[16:17]
	v_fma_f64 v[16:17], v[65:66], v[28:29], v[169:170]
	v_add_f64 v[28:29], v[8:9], v[10:11]
	s_clause 0x4
	buffer_load_dword v64, off, s[0:3], 0 offset:380
	buffer_load_dword v65, off, s[0:3], 0 offset:392
	;; [unrolled: 1-line block ×5, first 2 shown]
	ds_read_b128 v[8:11], v62 offset:768
	s_waitcnt vmcnt(57) lgkmcnt(1)
	v_mul_f64 v[169:170], v[0:1], v[30:31]
	v_mul_f64 v[30:31], v[2:3], v[30:31]
	s_waitcnt vmcnt(56)
	v_fma_f64 v[26:27], v[4:5], v[14:15], -v[26:27]
	v_fma_f64 v[14:15], v[6:7], v[14:15], v[60:61]
	v_add_f64 v[12:13], v[12:13], v[20:21]
	s_clause 0x2
	buffer_load_dword v66, off, s[0:3], 0 offset:396
	buffer_load_dword v21, off, s[0:3], 0 offset:372
	buffer_load_dword v20, off, s[0:3], 0 offset:368
	v_add_f64 v[16:17], v[28:29], v[16:17]
	s_waitcnt vmcnt(58) lgkmcnt(0)
	v_mul_f64 v[28:29], v[8:9], v[34:35]
	v_mul_f64 v[34:35], v[10:11], v[34:35]
	ds_read_b128 v[4:7], v62 offset:784
	s_waitcnt vmcnt(56)
	v_fma_f64 v[30:31], v[0:1], v[36:37], -v[30:31]
	v_add_f64 v[12:13], v[12:13], v[26:27]
	v_fma_f64 v[26:27], v[2:3], v[36:37], v[169:170]
	v_add_f64 v[14:15], v[16:17], v[14:15]
	s_clause 0x4
	buffer_load_dword v17, off, s[0:3], 0 offset:412
	buffer_load_dword v36, off, s[0:3], 0 offset:424
	;; [unrolled: 1-line block ×5, first 2 shown]
	s_waitcnt vmcnt(57) lgkmcnt(0)
	v_mul_f64 v[169:170], v[4:5], v[38:39]
	v_mul_f64 v[38:39], v[6:7], v[38:39]
	s_waitcnt vmcnt(56)
	v_fma_f64 v[34:35], v[8:9], v[22:23], -v[34:35]
	ds_read_b128 v[0:3], v62 offset:800
	v_fma_f64 v[22:23], v[10:11], v[22:23], v[28:29]
	v_add_f64 v[12:13], v[12:13], v[30:31]
	v_add_f64 v[14:15], v[14:15], v[26:27]
	s_clause 0x2
	buffer_load_dword v37, off, s[0:3], 0 offset:428
	buffer_load_dword v27, off, s[0:3], 0 offset:404
	;; [unrolled: 1-line block ×3, first 2 shown]
	ds_read_b128 v[8:11], v62 offset:816
	s_waitcnt vmcnt(58) lgkmcnt(1)
	v_mul_f64 v[30:31], v[2:3], v[42:43]
	s_waitcnt vmcnt(56)
	v_fma_f64 v[38:39], v[4:5], v[44:45], -v[38:39]
	v_mul_f64 v[28:29], v[0:1], v[42:43]
	v_add_f64 v[12:13], v[12:13], v[34:35]
	v_fma_f64 v[34:35], v[6:7], v[44:45], v[169:170]
	v_add_f64 v[14:15], v[14:15], v[22:23]
	s_clause 0x4
	buffer_load_dword v23, off, s[0:3], 0 offset:444
	buffer_load_dword v42, off, s[0:3], 0 offset:456
	;; [unrolled: 1-line block ×5, first 2 shown]
	s_waitcnt vmcnt(57) lgkmcnt(0)
	v_mul_f64 v[169:170], v[8:9], v[46:47]
	v_mul_f64 v[45:46], v[10:11], v[46:47]
	s_waitcnt vmcnt(56)
	v_fma_f64 v[30:31], v[0:1], v[32:33], -v[30:31]
	ds_read_b128 v[4:7], v62 offset:832
	v_fma_f64 v[28:29], v[2:3], v[32:33], v[28:29]
	s_clause 0x2
	buffer_load_dword v43, off, s[0:3], 0 offset:460
	buffer_load_dword v33, off, s[0:3], 0 offset:436
	;; [unrolled: 1-line block ×3, first 2 shown]
	ds_read_b128 v[0:3], v62 offset:848
	v_add_f64 v[12:13], v[12:13], v[38:39]
	v_add_f64 v[14:15], v[14:15], v[34:35]
	s_waitcnt vmcnt(58) lgkmcnt(1)
	v_mul_f64 v[38:39], v[6:7], v[50:51]
	s_waitcnt vmcnt(56)
	v_fma_f64 v[46:47], v[8:9], v[52:53], -v[45:46]
	v_mul_f64 v[34:35], v[4:5], v[50:51]
	v_add_f64 v[12:13], v[12:13], v[30:31]
	v_fma_f64 v[30:31], v[10:11], v[52:53], v[169:170]
	v_add_f64 v[14:15], v[14:15], v[28:29]
	s_clause 0x4
	buffer_load_dword v29, off, s[0:3], 0 offset:476
	buffer_load_dword v50, off, s[0:3], 0 offset:488
	;; [unrolled: 1-line block ×5, first 2 shown]
	s_waitcnt vmcnt(57) lgkmcnt(0)
	v_mul_f64 v[169:170], v[0:1], v[54:55]
	v_mul_f64 v[53:54], v[2:3], v[54:55]
	s_waitcnt vmcnt(56)
	v_fma_f64 v[38:39], v[4:5], v[40:41], -v[38:39]
	ds_read_b128 v[8:11], v62 offset:864
	v_fma_f64 v[34:35], v[6:7], v[40:41], v[34:35]
	v_add_f64 v[12:13], v[12:13], v[46:47]
	v_add_f64 v[14:15], v[14:15], v[30:31]
	s_clause 0x2
	buffer_load_dword v51, off, s[0:3], 0 offset:492
	buffer_load_dword v31, off, s[0:3], 0 offset:468
	;; [unrolled: 1-line block ×3, first 2 shown]
	ds_read_b128 v[4:7], v62 offset:880
	s_waitcnt vmcnt(58) lgkmcnt(1)
	v_mul_f64 v[46:47], v[10:11], v[56:57]
	s_waitcnt vmcnt(56)
	v_fma_f64 v[54:55], v[0:1], v[58:59], -v[53:54]
	v_mul_f64 v[40:41], v[8:9], v[56:57]
	v_add_f64 v[12:13], v[12:13], v[38:39]
	v_fma_f64 v[38:39], v[2:3], v[58:59], v[169:170]
	v_add_f64 v[14:15], v[14:15], v[34:35]
	s_clause 0x4
	buffer_load_dword v35, off, s[0:3], 0 offset:508
	buffer_load_dword v56, off, s[0:3], 0 offset:520
	;; [unrolled: 1-line block ×5, first 2 shown]
	s_waitcnt vmcnt(57) lgkmcnt(0)
	v_mul_f64 v[169:170], v[4:5], v[75:76]
	v_mul_f64 v[75:76], v[6:7], v[75:76]
	s_waitcnt vmcnt(56)
	v_fma_f64 v[46:47], v[8:9], v[48:49], -v[46:47]
	ds_read_b128 v[0:3], v62 offset:896
	v_fma_f64 v[40:41], v[10:11], v[48:49], v[40:41]
	v_add_f64 v[12:13], v[12:13], v[54:55]
	v_add_f64 v[14:15], v[14:15], v[38:39]
	s_clause 0x2
	buffer_load_dword v57, off, s[0:3], 0 offset:524
	buffer_load_dword v39, off, s[0:3], 0 offset:500
	;; [unrolled: 1-line block ×3, first 2 shown]
	ds_read_b128 v[8:11], v62 offset:912
	s_waitcnt vmcnt(58) lgkmcnt(1)
	v_mul_f64 v[54:55], v[2:3], v[77:78]
	s_waitcnt vmcnt(56)
	v_fma_f64 v[75:76], v[4:5], v[82:83], -v[75:76]
	v_mul_f64 v[48:49], v[0:1], v[77:78]
	v_add_f64 v[12:13], v[12:13], v[46:47]
	v_fma_f64 v[46:47], v[6:7], v[82:83], v[169:170]
	v_add_f64 v[14:15], v[14:15], v[40:41]
	s_clause 0x4
	buffer_load_dword v41, off, s[0:3], 0 offset:540
	buffer_load_dword v77, off, s[0:3], 0 offset:552
	;; [unrolled: 1-line block ×5, first 2 shown]
	ds_read_b128 v[4:7], v62 offset:928
	s_waitcnt vmcnt(57) lgkmcnt(1)
	v_mul_f64 v[82:83], v[8:9], v[69:70]
	v_mul_f64 v[69:70], v[10:11], v[69:70]
	s_waitcnt vmcnt(56)
	v_fma_f64 v[54:55], v[0:1], v[79:80], -v[54:55]
	v_fma_f64 v[48:49], v[2:3], v[79:80], v[48:49]
	v_add_f64 v[12:13], v[12:13], v[75:76]
	v_add_f64 v[14:15], v[14:15], v[46:47]
	s_clause 0x2
	buffer_load_dword v78, off, s[0:3], 0 offset:556
	buffer_load_dword v47, off, s[0:3], 0 offset:532
	;; [unrolled: 1-line block ×3, first 2 shown]
	ds_read_b128 v[0:3], v62 offset:944
	s_waitcnt vmcnt(58) lgkmcnt(1)
	v_mul_f64 v[79:80], v[6:7], v[165:166]
	v_mul_f64 v[75:76], v[4:5], v[165:166]
	s_waitcnt vmcnt(56)
	v_fma_f64 v[69:70], v[8:9], v[67:68], -v[69:70]
	v_add_f64 v[12:13], v[12:13], v[54:55]
	v_fma_f64 v[54:55], v[10:11], v[67:68], v[82:83]
	v_add_f64 v[14:15], v[14:15], v[48:49]
	s_clause 0x4
	buffer_load_dword v49, off, s[0:3], 0 offset:572
	buffer_load_dword v67, off, s[0:3], 0 offset:584
	;; [unrolled: 1-line block ×5, first 2 shown]
	ds_read_b128 v[8:11], v62 offset:960
	s_waitcnt vmcnt(57) lgkmcnt(1)
	v_mul_f64 v[165:166], v[0:1], v[24:25]
	v_mul_f64 v[24:25], v[2:3], v[24:25]
	s_waitcnt vmcnt(56)
	v_fma_f64 v[79:80], v[4:5], v[167:168], -v[79:80]
	v_add_f64 v[12:13], v[12:13], v[69:70]
	v_fma_f64 v[69:70], v[6:7], v[167:168], v[75:76]
	v_add_f64 v[14:15], v[14:15], v[54:55]
	s_clause 0x2
	buffer_load_dword v68, off, s[0:3], 0 offset:588
	buffer_load_dword v55, off, s[0:3], 0 offset:564
	;; [unrolled: 1-line block ×3, first 2 shown]
	ds_read_b128 v[4:7], v62 offset:976
	s_waitcnt vmcnt(58) lgkmcnt(1)
	v_mul_f64 v[75:76], v[8:9], v[71:72]
	v_mul_f64 v[71:72], v[10:11], v[71:72]
	s_waitcnt vmcnt(56)
	v_fma_f64 v[24:25], v[0:1], v[18:19], -v[24:25]
	v_fma_f64 v[18:19], v[2:3], v[18:19], v[165:166]
	v_add_f64 v[12:13], v[12:13], v[79:80]
	v_add_f64 v[14:15], v[14:15], v[69:70]
	s_clause 0x4
	buffer_load_dword v70, off, s[0:3], 0 offset:604
	buffer_load_dword v79, off, s[0:3], 0 offset:616
	buffer_load_dword v165, off, s[0:3], 0 offset:608
	buffer_load_dword v69, off, s[0:3], 0 offset:600
	buffer_load_dword v84, off, s[0:3], 0 offset:580
	ds_read_b128 v[0:3], v62 offset:992
	s_waitcnt vmcnt(57) lgkmcnt(1)
	v_mul_f64 v[166:167], v[4:5], v[63:64]
	v_mul_f64 v[63:64], v[6:7], v[63:64]
	s_waitcnt vmcnt(56)
	v_fma_f64 v[71:72], v[8:9], v[163:164], -v[71:72]
	v_add_f64 v[12:13], v[12:13], v[24:25]
	v_fma_f64 v[24:25], v[10:11], v[163:164], v[75:76]
	v_add_f64 v[14:15], v[14:15], v[18:19]
	s_clause 0x2
	buffer_load_dword v80, off, s[0:3], 0 offset:620
	buffer_load_dword v19, off, s[0:3], 0 offset:596
	buffer_load_dword v18, off, s[0:3], 0 offset:592
	ds_read_b128 v[8:11], v62 offset:1008
	s_waitcnt vmcnt(58) lgkmcnt(1)
	v_mul_f64 v[75:76], v[0:1], v[65:66]
	v_mul_f64 v[65:66], v[2:3], v[65:66]
	s_waitcnt vmcnt(56)
	v_fma_f64 v[63:64], v[4:5], v[20:21], -v[63:64]
	v_fma_f64 v[20:21], v[6:7], v[20:21], v[166:167]
	v_add_f64 v[12:13], v[12:13], v[71:72]
	v_add_f64 v[14:15], v[14:15], v[24:25]
	s_clause 0x2
	buffer_load_dword v25, off, s[0:3], 0 offset:636
	buffer_load_dword v24, off, s[0:3], 0 offset:632
	;; [unrolled: 1-line block ×3, first 2 shown]
	ds_read_b128 v[4:7], v62 offset:1024
	s_waitcnt vmcnt(55) lgkmcnt(1)
	v_mul_f64 v[71:72], v[8:9], v[16:17]
	v_mul_f64 v[16:17], v[10:11], v[16:17]
	s_waitcnt vmcnt(54)
	v_fma_f64 v[65:66], v[0:1], v[73:74], -v[65:66]
	v_add_f64 v[12:13], v[12:13], v[63:64]
	v_fma_f64 v[63:64], v[2:3], v[73:74], v[75:76]
	v_add_f64 v[14:15], v[14:15], v[20:21]
	s_clause 0x1
	buffer_load_dword v21, off, s[0:3], 0 offset:628
	buffer_load_dword v20, off, s[0:3], 0 offset:624
	ds_read_b128 v[0:3], v62 offset:1040
	s_waitcnt vmcnt(55) lgkmcnt(1)
	v_mul_f64 v[73:74], v[4:5], v[36:37]
	v_mul_f64 v[36:37], v[6:7], v[36:37]
	s_waitcnt vmcnt(53)
	v_fma_f64 v[16:17], v[8:9], v[26:27], -v[16:17]
	v_fma_f64 v[26:27], v[10:11], v[26:27], v[71:72]
	ds_read_b128 v[8:11], v62 offset:1056
	v_add_f64 v[12:13], v[12:13], v[65:66]
	v_add_f64 v[14:15], v[14:15], v[63:64]
	s_waitcnt vmcnt(49) lgkmcnt(1)
	v_mul_f64 v[63:64], v[0:1], v[22:23]
	v_mul_f64 v[22:23], v[2:3], v[22:23]
	s_waitcnt vmcnt(48)
	v_fma_f64 v[36:37], v[4:5], v[60:61], -v[36:37]
	s_waitcnt vmcnt(47) lgkmcnt(0)
	v_mul_f64 v[65:66], v[8:9], v[42:43]
	v_mul_f64 v[42:43], v[10:11], v[42:43]
	v_add_f64 v[12:13], v[12:13], v[16:17]
	v_fma_f64 v[16:17], v[6:7], v[60:61], v[73:74]
	v_add_f64 v[14:15], v[14:15], v[26:27]
	s_clause 0x3
	buffer_load_dword v26, off, s[0:3], 0 offset:16
	buffer_load_dword v27, off, s[0:3], 0 offset:20
	;; [unrolled: 1-line block ×4, first 2 shown]
	ds_read_b128 v[4:7], v62 offset:1072
	s_waitcnt vmcnt(49)
	v_fma_f64 v[22:23], v[0:1], v[32:33], -v[22:23]
	v_fma_f64 v[32:33], v[2:3], v[32:33], v[63:64]
	ds_read_b128 v[0:3], v62 offset:1088
	v_add_f64 v[12:13], v[12:13], v[36:37]
	v_add_f64 v[14:15], v[14:15], v[16:17]
	s_waitcnt vmcnt(45) lgkmcnt(1)
	v_mul_f64 v[16:17], v[4:5], v[28:29]
	v_mul_f64 v[28:29], v[6:7], v[28:29]
	s_waitcnt vmcnt(44)
	v_fma_f64 v[36:37], v[8:9], v[44:45], -v[42:43]
	v_add_f64 v[12:13], v[12:13], v[22:23]
	v_fma_f64 v[22:23], v[10:11], v[44:45], v[65:66]
	v_add_f64 v[14:15], v[14:15], v[32:33]
	ds_read_b128 v[8:11], v62 offset:1104
	s_waitcnt vmcnt(43) lgkmcnt(1)
	v_mul_f64 v[42:43], v[2:3], v[50:51]
	v_mul_f64 v[32:33], v[0:1], v[50:51]
	s_waitcnt vmcnt(41)
	v_fma_f64 v[28:29], v[4:5], v[30:31], -v[28:29]
	v_fma_f64 v[16:17], v[6:7], v[30:31], v[16:17]
	ds_read_b128 v[4:7], v62 offset:1120
	v_add_f64 v[12:13], v[12:13], v[36:37]
	v_add_f64 v[14:15], v[14:15], v[22:23]
	s_waitcnt vmcnt(37) lgkmcnt(1)
	v_mul_f64 v[22:23], v[8:9], v[34:35]
	v_mul_f64 v[30:31], v[10:11], v[34:35]
	s_waitcnt vmcnt(36)
	v_fma_f64 v[34:35], v[0:1], v[52:53], -v[42:43]
	v_add_f64 v[12:13], v[12:13], v[28:29]
	v_fma_f64 v[28:29], v[2:3], v[52:53], v[32:33]
	v_add_f64 v[14:15], v[14:15], v[16:17]
	ds_read_b128 v[0:3], v62 offset:1136
	s_waitcnt vmcnt(35) lgkmcnt(1)
	v_mul_f64 v[32:33], v[6:7], v[56:57]
	v_mul_f64 v[16:17], v[4:5], v[56:57]
	s_waitcnt vmcnt(33)
	v_fma_f64 v[30:31], v[8:9], v[38:39], -v[30:31]
	v_fma_f64 v[22:23], v[10:11], v[38:39], v[22:23]
	ds_read_b128 v[8:11], v62 offset:1152
	v_add_f64 v[12:13], v[12:13], v[34:35]
	v_add_f64 v[14:15], v[14:15], v[28:29]
	s_waitcnt vmcnt(29) lgkmcnt(1)
	v_mul_f64 v[34:35], v[2:3], v[40:41]
	s_waitcnt vmcnt(28)
	v_fma_f64 v[32:33], v[4:5], v[58:59], -v[32:33]
	v_mul_f64 v[28:29], v[0:1], v[40:41]
	v_fma_f64 v[16:17], v[6:7], v[58:59], v[16:17]
	ds_read_b128 v[4:7], v62 offset:1168
	v_add_f64 v[12:13], v[12:13], v[30:31]
	v_add_f64 v[14:15], v[14:15], v[22:23]
	s_waitcnt vmcnt(27) lgkmcnt(1)
	v_mul_f64 v[30:31], v[10:11], v[77:78]
	v_mul_f64 v[22:23], v[8:9], v[77:78]
	s_waitcnt vmcnt(25)
	v_fma_f64 v[34:35], v[0:1], v[46:47], -v[34:35]
	v_fma_f64 v[28:29], v[2:3], v[46:47], v[28:29]
	ds_read_b128 v[0:3], v62 offset:1184
	v_add_f64 v[12:13], v[12:13], v[32:33]
	v_add_f64 v[14:15], v[14:15], v[16:17]
	s_waitcnt vmcnt(21) lgkmcnt(1)
	v_mul_f64 v[32:33], v[6:7], v[48:49]
	s_waitcnt vmcnt(20)
	v_fma_f64 v[30:31], v[8:9], v[81:82], -v[30:31]
	v_mul_f64 v[16:17], v[4:5], v[48:49]
	v_fma_f64 v[22:23], v[10:11], v[81:82], v[22:23]
	ds_read_b128 v[8:11], v62 offset:1200
	v_add_f64 v[12:13], v[12:13], v[34:35]
	v_add_f64 v[14:15], v[14:15], v[28:29]
	;; [unrolled: 18-line block ×3, first 2 shown]
	s_waitcnt vmcnt(11) lgkmcnt(1)
	v_mul_f64 v[32:33], v[6:7], v[79:80]
	v_mul_f64 v[16:17], v[4:5], v[79:80]
	s_waitcnt vmcnt(9)
	v_fma_f64 v[8:9], v[8:9], v[18:19], -v[30:31]
	v_fma_f64 v[10:11], v[10:11], v[18:19], v[22:23]
	v_add_f64 v[12:13], v[12:13], v[34:35]
	v_add_f64 v[14:15], v[14:15], v[28:29]
	s_waitcnt vmcnt(7) lgkmcnt(0)
	v_mul_f64 v[22:23], v[2:3], v[24:25]
	s_waitcnt vmcnt(6)
	v_fma_f64 v[4:5], v[4:5], v[165:166], -v[32:33]
	v_mul_f64 v[18:19], v[0:1], v[24:25]
	v_fma_f64 v[6:7], v[6:7], v[165:166], v[16:17]
	v_add_f64 v[8:9], v[12:13], v[8:9]
	v_add_f64 v[10:11], v[14:15], v[10:11]
	s_waitcnt vmcnt(4)
	v_fma_f64 v[0:1], v[0:1], v[20:21], -v[22:23]
	v_fma_f64 v[2:3], v[2:3], v[20:21], v[18:19]
	v_add_f64 v[4:5], v[8:9], v[4:5]
	v_add_f64 v[6:7], v[10:11], v[6:7]
	;; [unrolled: 1-line block ×4, first 2 shown]
	s_waitcnt vmcnt(2)
	v_add_f64 v[0:1], v[26:27], -v[0:1]
	s_waitcnt vmcnt(0)
	v_add_f64 v[2:3], v[60:61], -v[2:3]
	buffer_store_dword v1, off, s[0:3], 0 offset:20
	buffer_store_dword v0, off, s[0:3], 0 offset:16
	;; [unrolled: 1-line block ×4, first 2 shown]
	s_cbranch_vccz .LBB38_324
; %bb.248:
	v_mov_b32_e32 v0, 0
	global_load_dword v1, v0, s[20:21] offset:148
	s_waitcnt vmcnt(0)
	v_add_nc_u32_e32 v1, -1, v1
	v_cmp_ne_u32_e32 vcc_lo, 37, v1
	s_cbranch_vccz .LBB38_250
; %bb.249:
	v_lshlrev_b32_e32 v1, 4, v1
	v_mov_b32_e32 v2, s19
	v_add_nc_u32_e32 v1, 16, v1
	s_clause 0x7
	buffer_load_dword v3, v1, s[0:3], 0 offen
	buffer_load_dword v4, v1, s[0:3], 0 offen offset:4
	buffer_load_dword v5, v1, s[0:3], 0 offen offset:8
	;; [unrolled: 1-line block ×6, first 2 shown]
	buffer_load_dword v10, v2, s[0:3], 0 offen
	s_waitcnt vmcnt(7)
	buffer_store_dword v3, v2, s[0:3], 0 offen
	s_waitcnt vmcnt(6)
	buffer_store_dword v4, v2, s[0:3], 0 offen offset:4
	s_waitcnt vmcnt(5)
	buffer_store_dword v5, v2, s[0:3], 0 offen offset:8
	;; [unrolled: 2-line block ×6, first 2 shown]
	s_waitcnt vmcnt(0)
	buffer_store_dword v10, v1, s[0:3], 0 offen
.LBB38_250:
	global_load_dword v0, v0, s[20:21] offset:144
	s_waitcnt vmcnt(0)
	v_add_nc_u32_e32 v0, -1, v0
	v_cmp_eq_u32_e32 vcc_lo, 36, v0
	s_cbranch_vccnz .LBB38_252
; %bb.251:
	v_lshlrev_b32_e32 v0, 4, v0
	v_mov_b32_e32 v1, s23
	v_add_nc_u32_e32 v0, 16, v0
	s_clause 0x7
	buffer_load_dword v2, v0, s[0:3], 0 offen
	buffer_load_dword v3, v0, s[0:3], 0 offen offset:4
	buffer_load_dword v4, v0, s[0:3], 0 offen offset:8
	;; [unrolled: 1-line block ×6, first 2 shown]
	buffer_load_dword v9, v1, s[0:3], 0 offen
	s_waitcnt vmcnt(7)
	buffer_store_dword v2, v1, s[0:3], 0 offen
	s_waitcnt vmcnt(6)
	buffer_store_dword v3, v1, s[0:3], 0 offen offset:4
	s_waitcnt vmcnt(5)
	buffer_store_dword v4, v1, s[0:3], 0 offen offset:8
	;; [unrolled: 2-line block ×6, first 2 shown]
	s_waitcnt vmcnt(0)
	buffer_store_dword v9, v0, s[0:3], 0 offen
.LBB38_252:
	v_mov_b32_e32 v0, 0
	global_load_dword v1, v0, s[20:21] offset:140
	s_waitcnt vmcnt(0)
	v_add_nc_u32_e32 v1, -1, v1
	v_cmp_eq_u32_e32 vcc_lo, 35, v1
	s_cbranch_vccnz .LBB38_254
; %bb.253:
	v_lshlrev_b32_e32 v1, 4, v1
	v_mov_b32_e32 v2, s25
	v_add_nc_u32_e32 v1, 16, v1
	s_clause 0x7
	buffer_load_dword v3, v1, s[0:3], 0 offen
	buffer_load_dword v4, v1, s[0:3], 0 offen offset:4
	buffer_load_dword v5, v1, s[0:3], 0 offen offset:8
	;; [unrolled: 1-line block ×6, first 2 shown]
	buffer_load_dword v10, v2, s[0:3], 0 offen
	s_waitcnt vmcnt(7)
	buffer_store_dword v3, v2, s[0:3], 0 offen
	s_waitcnt vmcnt(6)
	buffer_store_dword v4, v2, s[0:3], 0 offen offset:4
	s_waitcnt vmcnt(5)
	buffer_store_dword v5, v2, s[0:3], 0 offen offset:8
	;; [unrolled: 2-line block ×6, first 2 shown]
	s_waitcnt vmcnt(0)
	buffer_store_dword v10, v1, s[0:3], 0 offen
.LBB38_254:
	global_load_dword v0, v0, s[20:21] offset:136
	s_waitcnt vmcnt(0)
	v_add_nc_u32_e32 v0, -1, v0
	v_cmp_eq_u32_e32 vcc_lo, 34, v0
	s_cbranch_vccnz .LBB38_256
; %bb.255:
	v_lshlrev_b32_e32 v0, 4, v0
	v_mov_b32_e32 v1, s27
	v_add_nc_u32_e32 v0, 16, v0
	s_clause 0x7
	buffer_load_dword v2, v0, s[0:3], 0 offen
	buffer_load_dword v3, v0, s[0:3], 0 offen offset:4
	buffer_load_dword v4, v0, s[0:3], 0 offen offset:8
	;; [unrolled: 1-line block ×6, first 2 shown]
	buffer_load_dword v9, v1, s[0:3], 0 offen
	s_waitcnt vmcnt(7)
	buffer_store_dword v2, v1, s[0:3], 0 offen
	s_waitcnt vmcnt(6)
	buffer_store_dword v3, v1, s[0:3], 0 offen offset:4
	s_waitcnt vmcnt(5)
	buffer_store_dword v4, v1, s[0:3], 0 offen offset:8
	;; [unrolled: 2-line block ×6, first 2 shown]
	s_waitcnt vmcnt(0)
	buffer_store_dword v9, v0, s[0:3], 0 offen
.LBB38_256:
	v_mov_b32_e32 v0, 0
	global_load_dword v1, v0, s[20:21] offset:132
	s_waitcnt vmcnt(0)
	v_add_nc_u32_e32 v1, -1, v1
	v_cmp_eq_u32_e32 vcc_lo, 33, v1
	s_cbranch_vccnz .LBB38_258
; %bb.257:
	v_lshlrev_b32_e32 v1, 4, v1
	v_mov_b32_e32 v2, s29
	v_add_nc_u32_e32 v1, 16, v1
	s_clause 0x7
	buffer_load_dword v3, v1, s[0:3], 0 offen
	buffer_load_dword v4, v1, s[0:3], 0 offen offset:4
	buffer_load_dword v5, v1, s[0:3], 0 offen offset:8
	;; [unrolled: 1-line block ×6, first 2 shown]
	buffer_load_dword v10, v2, s[0:3], 0 offen
	s_waitcnt vmcnt(7)
	buffer_store_dword v3, v2, s[0:3], 0 offen
	s_waitcnt vmcnt(6)
	buffer_store_dword v4, v2, s[0:3], 0 offen offset:4
	s_waitcnt vmcnt(5)
	buffer_store_dword v5, v2, s[0:3], 0 offen offset:8
	;; [unrolled: 2-line block ×6, first 2 shown]
	s_waitcnt vmcnt(0)
	buffer_store_dword v10, v1, s[0:3], 0 offen
.LBB38_258:
	global_load_dword v0, v0, s[20:21] offset:128
	s_waitcnt vmcnt(0)
	v_add_nc_u32_e32 v0, -1, v0
	v_cmp_eq_u32_e32 vcc_lo, 32, v0
	s_cbranch_vccnz .LBB38_260
; %bb.259:
	v_lshlrev_b32_e32 v0, 4, v0
	v_mov_b32_e32 v1, s8
	v_add_nc_u32_e32 v0, 16, v0
	s_clause 0x7
	buffer_load_dword v2, v0, s[0:3], 0 offen
	buffer_load_dword v3, v0, s[0:3], 0 offen offset:4
	buffer_load_dword v4, v0, s[0:3], 0 offen offset:8
	;; [unrolled: 1-line block ×6, first 2 shown]
	buffer_load_dword v9, v1, s[0:3], 0 offen
	s_waitcnt vmcnt(7)
	buffer_store_dword v2, v1, s[0:3], 0 offen
	s_waitcnt vmcnt(6)
	buffer_store_dword v3, v1, s[0:3], 0 offen offset:4
	s_waitcnt vmcnt(5)
	buffer_store_dword v4, v1, s[0:3], 0 offen offset:8
	;; [unrolled: 2-line block ×6, first 2 shown]
	s_waitcnt vmcnt(0)
	buffer_store_dword v9, v0, s[0:3], 0 offen
.LBB38_260:
	v_mov_b32_e32 v0, 0
	global_load_dword v1, v0, s[20:21] offset:124
	s_waitcnt vmcnt(0)
	v_add_nc_u32_e32 v1, -1, v1
	v_cmp_eq_u32_e32 vcc_lo, 31, v1
	s_cbranch_vccnz .LBB38_262
; %bb.261:
	v_lshlrev_b32_e32 v1, 4, v1
	v_mov_b32_e32 v2, s9
	v_add_nc_u32_e32 v1, 16, v1
	s_clause 0x7
	buffer_load_dword v3, v1, s[0:3], 0 offen
	buffer_load_dword v4, v1, s[0:3], 0 offen offset:4
	buffer_load_dword v5, v1, s[0:3], 0 offen offset:8
	;; [unrolled: 1-line block ×6, first 2 shown]
	buffer_load_dword v10, v2, s[0:3], 0 offen
	s_waitcnt vmcnt(7)
	buffer_store_dword v3, v2, s[0:3], 0 offen
	s_waitcnt vmcnt(6)
	buffer_store_dword v4, v2, s[0:3], 0 offen offset:4
	s_waitcnt vmcnt(5)
	buffer_store_dword v5, v2, s[0:3], 0 offen offset:8
	;; [unrolled: 2-line block ×6, first 2 shown]
	s_waitcnt vmcnt(0)
	buffer_store_dword v10, v1, s[0:3], 0 offen
.LBB38_262:
	global_load_dword v0, v0, s[20:21] offset:120
	s_waitcnt vmcnt(0)
	v_add_nc_u32_e32 v0, -1, v0
	v_cmp_eq_u32_e32 vcc_lo, 30, v0
	s_cbranch_vccnz .LBB38_264
; %bb.263:
	v_lshlrev_b32_e32 v0, 4, v0
	v_mov_b32_e32 v1, s12
	v_add_nc_u32_e32 v0, 16, v0
	s_clause 0x7
	buffer_load_dword v2, v0, s[0:3], 0 offen
	buffer_load_dword v3, v0, s[0:3], 0 offen offset:4
	buffer_load_dword v4, v0, s[0:3], 0 offen offset:8
	;; [unrolled: 1-line block ×6, first 2 shown]
	buffer_load_dword v9, v1, s[0:3], 0 offen
	s_waitcnt vmcnt(7)
	buffer_store_dword v2, v1, s[0:3], 0 offen
	s_waitcnt vmcnt(6)
	buffer_store_dword v3, v1, s[0:3], 0 offen offset:4
	s_waitcnt vmcnt(5)
	buffer_store_dword v4, v1, s[0:3], 0 offen offset:8
	;; [unrolled: 2-line block ×6, first 2 shown]
	s_waitcnt vmcnt(0)
	buffer_store_dword v9, v0, s[0:3], 0 offen
.LBB38_264:
	v_mov_b32_e32 v0, 0
	global_load_dword v1, v0, s[20:21] offset:116
	s_waitcnt vmcnt(0)
	v_add_nc_u32_e32 v1, -1, v1
	v_cmp_eq_u32_e32 vcc_lo, 29, v1
	s_cbranch_vccnz .LBB38_266
; %bb.265:
	v_lshlrev_b32_e32 v1, 4, v1
	v_mov_b32_e32 v2, s13
	v_add_nc_u32_e32 v1, 16, v1
	s_clause 0x7
	buffer_load_dword v3, v1, s[0:3], 0 offen
	buffer_load_dword v4, v1, s[0:3], 0 offen offset:4
	buffer_load_dword v5, v1, s[0:3], 0 offen offset:8
	;; [unrolled: 1-line block ×6, first 2 shown]
	buffer_load_dword v10, v2, s[0:3], 0 offen
	s_waitcnt vmcnt(7)
	buffer_store_dword v3, v2, s[0:3], 0 offen
	s_waitcnt vmcnt(6)
	buffer_store_dword v4, v2, s[0:3], 0 offen offset:4
	s_waitcnt vmcnt(5)
	buffer_store_dword v5, v2, s[0:3], 0 offen offset:8
	;; [unrolled: 2-line block ×6, first 2 shown]
	s_waitcnt vmcnt(0)
	buffer_store_dword v10, v1, s[0:3], 0 offen
.LBB38_266:
	global_load_dword v0, v0, s[20:21] offset:112
	s_waitcnt vmcnt(0)
	v_add_nc_u32_e32 v0, -1, v0
	v_cmp_eq_u32_e32 vcc_lo, 28, v0
	s_cbranch_vccnz .LBB38_268
; %bb.267:
	v_lshlrev_b32_e32 v0, 4, v0
	v_mov_b32_e32 v1, s14
	v_add_nc_u32_e32 v0, 16, v0
	s_clause 0x7
	buffer_load_dword v2, v0, s[0:3], 0 offen
	buffer_load_dword v3, v0, s[0:3], 0 offen offset:4
	buffer_load_dword v4, v0, s[0:3], 0 offen offset:8
	;; [unrolled: 1-line block ×6, first 2 shown]
	buffer_load_dword v9, v1, s[0:3], 0 offen
	s_waitcnt vmcnt(7)
	buffer_store_dword v2, v1, s[0:3], 0 offen
	s_waitcnt vmcnt(6)
	buffer_store_dword v3, v1, s[0:3], 0 offen offset:4
	s_waitcnt vmcnt(5)
	buffer_store_dword v4, v1, s[0:3], 0 offen offset:8
	;; [unrolled: 2-line block ×6, first 2 shown]
	s_waitcnt vmcnt(0)
	buffer_store_dword v9, v0, s[0:3], 0 offen
.LBB38_268:
	v_mov_b32_e32 v0, 0
	global_load_dword v1, v0, s[20:21] offset:108
	s_waitcnt vmcnt(0)
	v_add_nc_u32_e32 v1, -1, v1
	v_cmp_eq_u32_e32 vcc_lo, 27, v1
	s_cbranch_vccnz .LBB38_270
; %bb.269:
	v_lshlrev_b32_e32 v1, 4, v1
	v_mov_b32_e32 v2, s15
	v_add_nc_u32_e32 v1, 16, v1
	s_clause 0x7
	buffer_load_dword v3, v1, s[0:3], 0 offen
	buffer_load_dword v4, v1, s[0:3], 0 offen offset:4
	buffer_load_dword v5, v1, s[0:3], 0 offen offset:8
	;; [unrolled: 1-line block ×6, first 2 shown]
	buffer_load_dword v10, v2, s[0:3], 0 offen
	s_waitcnt vmcnt(7)
	buffer_store_dword v3, v2, s[0:3], 0 offen
	s_waitcnt vmcnt(6)
	buffer_store_dword v4, v2, s[0:3], 0 offen offset:4
	s_waitcnt vmcnt(5)
	buffer_store_dword v5, v2, s[0:3], 0 offen offset:8
	;; [unrolled: 2-line block ×6, first 2 shown]
	s_waitcnt vmcnt(0)
	buffer_store_dword v10, v1, s[0:3], 0 offen
.LBB38_270:
	global_load_dword v0, v0, s[20:21] offset:104
	s_waitcnt vmcnt(0)
	v_add_nc_u32_e32 v0, -1, v0
	v_cmp_eq_u32_e32 vcc_lo, 26, v0
	s_cbranch_vccnz .LBB38_272
; %bb.271:
	v_lshlrev_b32_e32 v0, 4, v0
	v_mov_b32_e32 v1, s16
	v_add_nc_u32_e32 v0, 16, v0
	s_clause 0x7
	buffer_load_dword v2, v0, s[0:3], 0 offen
	buffer_load_dword v3, v0, s[0:3], 0 offen offset:4
	buffer_load_dword v4, v0, s[0:3], 0 offen offset:8
	;; [unrolled: 1-line block ×6, first 2 shown]
	buffer_load_dword v9, v1, s[0:3], 0 offen
	s_waitcnt vmcnt(7)
	buffer_store_dword v2, v1, s[0:3], 0 offen
	s_waitcnt vmcnt(6)
	buffer_store_dword v3, v1, s[0:3], 0 offen offset:4
	s_waitcnt vmcnt(5)
	buffer_store_dword v4, v1, s[0:3], 0 offen offset:8
	;; [unrolled: 2-line block ×6, first 2 shown]
	s_waitcnt vmcnt(0)
	buffer_store_dword v9, v0, s[0:3], 0 offen
.LBB38_272:
	v_mov_b32_e32 v0, 0
	global_load_dword v1, v0, s[20:21] offset:100
	s_waitcnt vmcnt(0)
	v_add_nc_u32_e32 v1, -1, v1
	v_cmp_eq_u32_e32 vcc_lo, 25, v1
	s_cbranch_vccnz .LBB38_274
; %bb.273:
	v_lshlrev_b32_e32 v1, 4, v1
	v_mov_b32_e32 v2, s18
	v_add_nc_u32_e32 v1, 16, v1
	s_clause 0x7
	buffer_load_dword v3, v1, s[0:3], 0 offen
	buffer_load_dword v4, v1, s[0:3], 0 offen offset:4
	buffer_load_dword v5, v1, s[0:3], 0 offen offset:8
	;; [unrolled: 1-line block ×6, first 2 shown]
	buffer_load_dword v10, v2, s[0:3], 0 offen
	s_waitcnt vmcnt(7)
	buffer_store_dword v3, v2, s[0:3], 0 offen
	s_waitcnt vmcnt(6)
	buffer_store_dword v4, v2, s[0:3], 0 offen offset:4
	s_waitcnt vmcnt(5)
	buffer_store_dword v5, v2, s[0:3], 0 offen offset:8
	;; [unrolled: 2-line block ×6, first 2 shown]
	s_waitcnt vmcnt(0)
	buffer_store_dword v10, v1, s[0:3], 0 offen
.LBB38_274:
	global_load_dword v0, v0, s[20:21] offset:96
	s_waitcnt vmcnt(0)
	v_add_nc_u32_e32 v0, -1, v0
	v_cmp_eq_u32_e32 vcc_lo, 24, v0
	s_cbranch_vccnz .LBB38_276
; %bb.275:
	v_lshlrev_b32_e32 v0, 4, v0
	v_mov_b32_e32 v1, s22
	v_add_nc_u32_e32 v0, 16, v0
	s_clause 0x7
	buffer_load_dword v2, v0, s[0:3], 0 offen
	buffer_load_dword v3, v0, s[0:3], 0 offen offset:4
	buffer_load_dword v4, v0, s[0:3], 0 offen offset:8
	;; [unrolled: 1-line block ×6, first 2 shown]
	buffer_load_dword v9, v1, s[0:3], 0 offen
	s_waitcnt vmcnt(7)
	buffer_store_dword v2, v1, s[0:3], 0 offen
	s_waitcnt vmcnt(6)
	buffer_store_dword v3, v1, s[0:3], 0 offen offset:4
	s_waitcnt vmcnt(5)
	buffer_store_dword v4, v1, s[0:3], 0 offen offset:8
	s_waitcnt vmcnt(4)
	buffer_store_dword v5, v1, s[0:3], 0 offen offset:12
	s_waitcnt vmcnt(3)
	buffer_store_dword v6, v0, s[0:3], 0 offen offset:12
	s_waitcnt vmcnt(2)
	buffer_store_dword v7, v0, s[0:3], 0 offen offset:8
	s_waitcnt vmcnt(1)
	buffer_store_dword v8, v0, s[0:3], 0 offen offset:4
	s_waitcnt vmcnt(0)
	buffer_store_dword v9, v0, s[0:3], 0 offen
.LBB38_276:
	v_mov_b32_e32 v0, 0
	global_load_dword v1, v0, s[20:21] offset:92
	s_waitcnt vmcnt(0)
	v_add_nc_u32_e32 v1, -1, v1
	v_cmp_eq_u32_e32 vcc_lo, 23, v1
	s_cbranch_vccnz .LBB38_278
; %bb.277:
	v_lshlrev_b32_e32 v1, 4, v1
	v_mov_b32_e32 v2, s24
	v_add_nc_u32_e32 v1, 16, v1
	s_clause 0x7
	buffer_load_dword v3, v1, s[0:3], 0 offen
	buffer_load_dword v4, v1, s[0:3], 0 offen offset:4
	buffer_load_dword v5, v1, s[0:3], 0 offen offset:8
	;; [unrolled: 1-line block ×6, first 2 shown]
	buffer_load_dword v10, v2, s[0:3], 0 offen
	s_waitcnt vmcnt(7)
	buffer_store_dword v3, v2, s[0:3], 0 offen
	s_waitcnt vmcnt(6)
	buffer_store_dword v4, v2, s[0:3], 0 offen offset:4
	s_waitcnt vmcnt(5)
	buffer_store_dword v5, v2, s[0:3], 0 offen offset:8
	;; [unrolled: 2-line block ×6, first 2 shown]
	s_waitcnt vmcnt(0)
	buffer_store_dword v10, v1, s[0:3], 0 offen
.LBB38_278:
	global_load_dword v0, v0, s[20:21] offset:88
	s_waitcnt vmcnt(0)
	v_add_nc_u32_e32 v0, -1, v0
	v_cmp_eq_u32_e32 vcc_lo, 22, v0
	s_cbranch_vccnz .LBB38_280
; %bb.279:
	v_lshlrev_b32_e32 v0, 4, v0
	v_mov_b32_e32 v1, s26
	v_add_nc_u32_e32 v0, 16, v0
	s_clause 0x7
	buffer_load_dword v2, v0, s[0:3], 0 offen
	buffer_load_dword v3, v0, s[0:3], 0 offen offset:4
	buffer_load_dword v4, v0, s[0:3], 0 offen offset:8
	;; [unrolled: 1-line block ×6, first 2 shown]
	buffer_load_dword v9, v1, s[0:3], 0 offen
	s_waitcnt vmcnt(7)
	buffer_store_dword v2, v1, s[0:3], 0 offen
	s_waitcnt vmcnt(6)
	buffer_store_dword v3, v1, s[0:3], 0 offen offset:4
	s_waitcnt vmcnt(5)
	buffer_store_dword v4, v1, s[0:3], 0 offen offset:8
	;; [unrolled: 2-line block ×6, first 2 shown]
	s_waitcnt vmcnt(0)
	buffer_store_dword v9, v0, s[0:3], 0 offen
.LBB38_280:
	v_mov_b32_e32 v0, 0
	global_load_dword v1, v0, s[20:21] offset:84
	s_waitcnt vmcnt(0)
	v_add_nc_u32_e32 v1, -1, v1
	v_cmp_eq_u32_e32 vcc_lo, 21, v1
	s_cbranch_vccnz .LBB38_282
; %bb.281:
	v_lshlrev_b32_e32 v1, 4, v1
	v_mov_b32_e32 v2, s28
	v_add_nc_u32_e32 v1, 16, v1
	s_clause 0x7
	buffer_load_dword v3, v1, s[0:3], 0 offen
	buffer_load_dword v4, v1, s[0:3], 0 offen offset:4
	buffer_load_dword v5, v1, s[0:3], 0 offen offset:8
	;; [unrolled: 1-line block ×6, first 2 shown]
	buffer_load_dword v10, v2, s[0:3], 0 offen
	s_waitcnt vmcnt(7)
	buffer_store_dword v3, v2, s[0:3], 0 offen
	s_waitcnt vmcnt(6)
	buffer_store_dword v4, v2, s[0:3], 0 offen offset:4
	s_waitcnt vmcnt(5)
	buffer_store_dword v5, v2, s[0:3], 0 offen offset:8
	;; [unrolled: 2-line block ×6, first 2 shown]
	s_waitcnt vmcnt(0)
	buffer_store_dword v10, v1, s[0:3], 0 offen
.LBB38_282:
	global_load_dword v0, v0, s[20:21] offset:80
	s_waitcnt vmcnt(0)
	v_add_nc_u32_e32 v0, -1, v0
	v_cmp_eq_u32_e32 vcc_lo, 20, v0
	s_cbranch_vccnz .LBB38_284
; %bb.283:
	v_lshlrev_b32_e32 v0, 4, v0
	v_mov_b32_e32 v1, s30
	v_add_nc_u32_e32 v0, 16, v0
	s_clause 0x7
	buffer_load_dword v2, v0, s[0:3], 0 offen
	buffer_load_dword v3, v0, s[0:3], 0 offen offset:4
	buffer_load_dword v4, v0, s[0:3], 0 offen offset:8
	;; [unrolled: 1-line block ×6, first 2 shown]
	buffer_load_dword v9, v1, s[0:3], 0 offen
	s_waitcnt vmcnt(7)
	buffer_store_dword v2, v1, s[0:3], 0 offen
	s_waitcnt vmcnt(6)
	buffer_store_dword v3, v1, s[0:3], 0 offen offset:4
	s_waitcnt vmcnt(5)
	buffer_store_dword v4, v1, s[0:3], 0 offen offset:8
	;; [unrolled: 2-line block ×6, first 2 shown]
	s_waitcnt vmcnt(0)
	buffer_store_dword v9, v0, s[0:3], 0 offen
.LBB38_284:
	v_mov_b32_e32 v0, 0
	global_load_dword v1, v0, s[20:21] offset:76
	s_waitcnt vmcnt(0)
	v_add_nc_u32_e32 v1, -1, v1
	v_cmp_eq_u32_e32 vcc_lo, 19, v1
	s_cbranch_vccnz .LBB38_286
; %bb.285:
	v_lshlrev_b32_e32 v1, 4, v1
	v_mov_b32_e32 v2, s31
	v_add_nc_u32_e32 v1, 16, v1
	s_clause 0x7
	buffer_load_dword v3, v1, s[0:3], 0 offen
	buffer_load_dword v4, v1, s[0:3], 0 offen offset:4
	buffer_load_dword v5, v1, s[0:3], 0 offen offset:8
	;; [unrolled: 1-line block ×6, first 2 shown]
	buffer_load_dword v10, v2, s[0:3], 0 offen
	s_waitcnt vmcnt(7)
	buffer_store_dword v3, v2, s[0:3], 0 offen
	s_waitcnt vmcnt(6)
	buffer_store_dword v4, v2, s[0:3], 0 offen offset:4
	s_waitcnt vmcnt(5)
	buffer_store_dword v5, v2, s[0:3], 0 offen offset:8
	;; [unrolled: 2-line block ×6, first 2 shown]
	s_waitcnt vmcnt(0)
	buffer_store_dword v10, v1, s[0:3], 0 offen
.LBB38_286:
	global_load_dword v0, v0, s[20:21] offset:72
	s_waitcnt vmcnt(0)
	v_add_nc_u32_e32 v0, -1, v0
	v_cmp_eq_u32_e32 vcc_lo, 18, v0
	s_cbranch_vccnz .LBB38_288
; %bb.287:
	v_lshlrev_b32_e32 v0, 4, v0
	v_mov_b32_e32 v1, s33
	v_add_nc_u32_e32 v0, 16, v0
	s_clause 0x7
	buffer_load_dword v2, v0, s[0:3], 0 offen
	buffer_load_dword v3, v0, s[0:3], 0 offen offset:4
	buffer_load_dword v4, v0, s[0:3], 0 offen offset:8
	;; [unrolled: 1-line block ×6, first 2 shown]
	buffer_load_dword v9, v1, s[0:3], 0 offen
	s_waitcnt vmcnt(7)
	buffer_store_dword v2, v1, s[0:3], 0 offen
	s_waitcnt vmcnt(6)
	buffer_store_dword v3, v1, s[0:3], 0 offen offset:4
	s_waitcnt vmcnt(5)
	buffer_store_dword v4, v1, s[0:3], 0 offen offset:8
	;; [unrolled: 2-line block ×6, first 2 shown]
	s_waitcnt vmcnt(0)
	buffer_store_dword v9, v0, s[0:3], 0 offen
.LBB38_288:
	v_mov_b32_e32 v0, 0
	global_load_dword v1, v0, s[20:21] offset:68
	s_waitcnt vmcnt(0)
	v_add_nc_u32_e32 v1, -1, v1
	v_cmp_eq_u32_e32 vcc_lo, 17, v1
	s_cbranch_vccnz .LBB38_290
; %bb.289:
	v_lshlrev_b32_e32 v1, 4, v1
	v_mov_b32_e32 v2, s34
	v_add_nc_u32_e32 v1, 16, v1
	s_clause 0x7
	buffer_load_dword v3, v1, s[0:3], 0 offen
	buffer_load_dword v4, v1, s[0:3], 0 offen offset:4
	buffer_load_dword v5, v1, s[0:3], 0 offen offset:8
	;; [unrolled: 1-line block ×6, first 2 shown]
	buffer_load_dword v10, v2, s[0:3], 0 offen
	s_waitcnt vmcnt(7)
	buffer_store_dword v3, v2, s[0:3], 0 offen
	s_waitcnt vmcnt(6)
	buffer_store_dword v4, v2, s[0:3], 0 offen offset:4
	s_waitcnt vmcnt(5)
	buffer_store_dword v5, v2, s[0:3], 0 offen offset:8
	;; [unrolled: 2-line block ×6, first 2 shown]
	s_waitcnt vmcnt(0)
	buffer_store_dword v10, v1, s[0:3], 0 offen
.LBB38_290:
	global_load_dword v0, v0, s[20:21] offset:64
	s_waitcnt vmcnt(0)
	v_add_nc_u32_e32 v0, -1, v0
	v_cmp_eq_u32_e32 vcc_lo, 16, v0
	s_cbranch_vccnz .LBB38_292
; %bb.291:
	v_lshlrev_b32_e32 v0, 4, v0
	v_mov_b32_e32 v1, s35
	v_add_nc_u32_e32 v0, 16, v0
	s_clause 0x7
	buffer_load_dword v2, v0, s[0:3], 0 offen
	buffer_load_dword v3, v0, s[0:3], 0 offen offset:4
	buffer_load_dword v4, v0, s[0:3], 0 offen offset:8
	;; [unrolled: 1-line block ×6, first 2 shown]
	buffer_load_dword v9, v1, s[0:3], 0 offen
	s_waitcnt vmcnt(7)
	buffer_store_dword v2, v1, s[0:3], 0 offen
	s_waitcnt vmcnt(6)
	buffer_store_dword v3, v1, s[0:3], 0 offen offset:4
	s_waitcnt vmcnt(5)
	buffer_store_dword v4, v1, s[0:3], 0 offen offset:8
	;; [unrolled: 2-line block ×6, first 2 shown]
	s_waitcnt vmcnt(0)
	buffer_store_dword v9, v0, s[0:3], 0 offen
.LBB38_292:
	v_mov_b32_e32 v0, 0
	global_load_dword v1, v0, s[20:21] offset:60
	s_waitcnt vmcnt(0)
	v_add_nc_u32_e32 v1, -1, v1
	v_cmp_eq_u32_e32 vcc_lo, 15, v1
	s_cbranch_vccnz .LBB38_294
; %bb.293:
	v_lshlrev_b32_e32 v1, 4, v1
	v_mov_b32_e32 v2, s36
	v_add_nc_u32_e32 v1, 16, v1
	s_clause 0x7
	buffer_load_dword v3, v1, s[0:3], 0 offen
	buffer_load_dword v4, v1, s[0:3], 0 offen offset:4
	buffer_load_dword v5, v1, s[0:3], 0 offen offset:8
	;; [unrolled: 1-line block ×6, first 2 shown]
	buffer_load_dword v10, v2, s[0:3], 0 offen
	s_waitcnt vmcnt(7)
	buffer_store_dword v3, v2, s[0:3], 0 offen
	s_waitcnt vmcnt(6)
	buffer_store_dword v4, v2, s[0:3], 0 offen offset:4
	s_waitcnt vmcnt(5)
	buffer_store_dword v5, v2, s[0:3], 0 offen offset:8
	;; [unrolled: 2-line block ×6, first 2 shown]
	s_waitcnt vmcnt(0)
	buffer_store_dword v10, v1, s[0:3], 0 offen
.LBB38_294:
	global_load_dword v0, v0, s[20:21] offset:56
	s_waitcnt vmcnt(0)
	v_add_nc_u32_e32 v0, -1, v0
	v_cmp_eq_u32_e32 vcc_lo, 14, v0
	s_cbranch_vccnz .LBB38_296
; %bb.295:
	v_lshlrev_b32_e32 v0, 4, v0
	v_mov_b32_e32 v1, s37
	v_add_nc_u32_e32 v0, 16, v0
	s_clause 0x7
	buffer_load_dword v2, v0, s[0:3], 0 offen
	buffer_load_dword v3, v0, s[0:3], 0 offen offset:4
	buffer_load_dword v4, v0, s[0:3], 0 offen offset:8
	;; [unrolled: 1-line block ×6, first 2 shown]
	buffer_load_dword v9, v1, s[0:3], 0 offen
	s_waitcnt vmcnt(7)
	buffer_store_dword v2, v1, s[0:3], 0 offen
	s_waitcnt vmcnt(6)
	buffer_store_dword v3, v1, s[0:3], 0 offen offset:4
	s_waitcnt vmcnt(5)
	buffer_store_dword v4, v1, s[0:3], 0 offen offset:8
	;; [unrolled: 2-line block ×6, first 2 shown]
	s_waitcnt vmcnt(0)
	buffer_store_dword v9, v0, s[0:3], 0 offen
.LBB38_296:
	v_mov_b32_e32 v0, 0
	global_load_dword v1, v0, s[20:21] offset:52
	s_waitcnt vmcnt(0)
	v_add_nc_u32_e32 v1, -1, v1
	v_cmp_eq_u32_e32 vcc_lo, 13, v1
	s_cbranch_vccnz .LBB38_298
; %bb.297:
	v_lshlrev_b32_e32 v1, 4, v1
	v_mov_b32_e32 v2, s38
	v_add_nc_u32_e32 v1, 16, v1
	s_clause 0x7
	buffer_load_dword v3, v1, s[0:3], 0 offen
	buffer_load_dword v4, v1, s[0:3], 0 offen offset:4
	buffer_load_dword v5, v1, s[0:3], 0 offen offset:8
	;; [unrolled: 1-line block ×6, first 2 shown]
	buffer_load_dword v10, v2, s[0:3], 0 offen
	s_waitcnt vmcnt(7)
	buffer_store_dword v3, v2, s[0:3], 0 offen
	s_waitcnt vmcnt(6)
	buffer_store_dword v4, v2, s[0:3], 0 offen offset:4
	s_waitcnt vmcnt(5)
	buffer_store_dword v5, v2, s[0:3], 0 offen offset:8
	;; [unrolled: 2-line block ×6, first 2 shown]
	s_waitcnt vmcnt(0)
	buffer_store_dword v10, v1, s[0:3], 0 offen
.LBB38_298:
	global_load_dword v0, v0, s[20:21] offset:48
	s_waitcnt vmcnt(0)
	v_add_nc_u32_e32 v0, -1, v0
	v_cmp_eq_u32_e32 vcc_lo, 12, v0
	s_cbranch_vccnz .LBB38_300
; %bb.299:
	v_lshlrev_b32_e32 v0, 4, v0
	v_mov_b32_e32 v1, s39
	v_add_nc_u32_e32 v0, 16, v0
	s_clause 0x7
	buffer_load_dword v2, v0, s[0:3], 0 offen
	buffer_load_dword v3, v0, s[0:3], 0 offen offset:4
	buffer_load_dword v4, v0, s[0:3], 0 offen offset:8
	;; [unrolled: 1-line block ×6, first 2 shown]
	buffer_load_dword v9, v1, s[0:3], 0 offen
	s_waitcnt vmcnt(7)
	buffer_store_dword v2, v1, s[0:3], 0 offen
	s_waitcnt vmcnt(6)
	buffer_store_dword v3, v1, s[0:3], 0 offen offset:4
	s_waitcnt vmcnt(5)
	buffer_store_dword v4, v1, s[0:3], 0 offen offset:8
	;; [unrolled: 2-line block ×6, first 2 shown]
	s_waitcnt vmcnt(0)
	buffer_store_dword v9, v0, s[0:3], 0 offen
.LBB38_300:
	v_mov_b32_e32 v0, 0
	global_load_dword v1, v0, s[20:21] offset:44
	s_waitcnt vmcnt(0)
	v_add_nc_u32_e32 v1, -1, v1
	v_cmp_eq_u32_e32 vcc_lo, 11, v1
	s_cbranch_vccnz .LBB38_302
; %bb.301:
	v_lshlrev_b32_e32 v1, 4, v1
	v_mov_b32_e32 v2, s40
	v_add_nc_u32_e32 v1, 16, v1
	s_clause 0x7
	buffer_load_dword v3, v1, s[0:3], 0 offen
	buffer_load_dword v4, v1, s[0:3], 0 offen offset:4
	buffer_load_dword v5, v1, s[0:3], 0 offen offset:8
	;; [unrolled: 1-line block ×6, first 2 shown]
	buffer_load_dword v10, v2, s[0:3], 0 offen
	s_waitcnt vmcnt(7)
	buffer_store_dword v3, v2, s[0:3], 0 offen
	s_waitcnt vmcnt(6)
	buffer_store_dword v4, v2, s[0:3], 0 offen offset:4
	s_waitcnt vmcnt(5)
	buffer_store_dword v5, v2, s[0:3], 0 offen offset:8
	;; [unrolled: 2-line block ×6, first 2 shown]
	s_waitcnt vmcnt(0)
	buffer_store_dword v10, v1, s[0:3], 0 offen
.LBB38_302:
	global_load_dword v0, v0, s[20:21] offset:40
	s_waitcnt vmcnt(0)
	v_add_nc_u32_e32 v0, -1, v0
	v_cmp_eq_u32_e32 vcc_lo, 10, v0
	s_cbranch_vccnz .LBB38_304
; %bb.303:
	v_lshlrev_b32_e32 v0, 4, v0
	v_mov_b32_e32 v1, s41
	v_add_nc_u32_e32 v0, 16, v0
	s_clause 0x7
	buffer_load_dword v2, v0, s[0:3], 0 offen
	buffer_load_dword v3, v0, s[0:3], 0 offen offset:4
	buffer_load_dword v4, v0, s[0:3], 0 offen offset:8
	;; [unrolled: 1-line block ×6, first 2 shown]
	buffer_load_dword v9, v1, s[0:3], 0 offen
	s_waitcnt vmcnt(7)
	buffer_store_dword v2, v1, s[0:3], 0 offen
	s_waitcnt vmcnt(6)
	buffer_store_dword v3, v1, s[0:3], 0 offen offset:4
	s_waitcnt vmcnt(5)
	buffer_store_dword v4, v1, s[0:3], 0 offen offset:8
	;; [unrolled: 2-line block ×6, first 2 shown]
	s_waitcnt vmcnt(0)
	buffer_store_dword v9, v0, s[0:3], 0 offen
.LBB38_304:
	v_mov_b32_e32 v0, 0
	global_load_dword v1, v0, s[20:21] offset:36
	s_waitcnt vmcnt(0)
	v_add_nc_u32_e32 v1, -1, v1
	v_cmp_eq_u32_e32 vcc_lo, 9, v1
	s_cbranch_vccnz .LBB38_306
; %bb.305:
	v_lshlrev_b32_e32 v1, 4, v1
	v_mov_b32_e32 v2, s42
	v_add_nc_u32_e32 v1, 16, v1
	s_clause 0x7
	buffer_load_dword v3, v1, s[0:3], 0 offen
	buffer_load_dword v4, v1, s[0:3], 0 offen offset:4
	buffer_load_dword v5, v1, s[0:3], 0 offen offset:8
	;; [unrolled: 1-line block ×6, first 2 shown]
	buffer_load_dword v10, v2, s[0:3], 0 offen
	s_waitcnt vmcnt(7)
	buffer_store_dword v3, v2, s[0:3], 0 offen
	s_waitcnt vmcnt(6)
	buffer_store_dword v4, v2, s[0:3], 0 offen offset:4
	s_waitcnt vmcnt(5)
	buffer_store_dword v5, v2, s[0:3], 0 offen offset:8
	;; [unrolled: 2-line block ×6, first 2 shown]
	s_waitcnt vmcnt(0)
	buffer_store_dword v10, v1, s[0:3], 0 offen
.LBB38_306:
	global_load_dword v0, v0, s[20:21] offset:32
	s_waitcnt vmcnt(0)
	v_add_nc_u32_e32 v0, -1, v0
	v_cmp_eq_u32_e32 vcc_lo, 8, v0
	s_cbranch_vccnz .LBB38_308
; %bb.307:
	v_lshlrev_b32_e32 v0, 4, v0
	v_mov_b32_e32 v1, s43
	v_add_nc_u32_e32 v0, 16, v0
	s_clause 0x7
	buffer_load_dword v2, v0, s[0:3], 0 offen
	buffer_load_dword v3, v0, s[0:3], 0 offen offset:4
	buffer_load_dword v4, v0, s[0:3], 0 offen offset:8
	;; [unrolled: 1-line block ×6, first 2 shown]
	buffer_load_dword v9, v1, s[0:3], 0 offen
	s_waitcnt vmcnt(7)
	buffer_store_dword v2, v1, s[0:3], 0 offen
	s_waitcnt vmcnt(6)
	buffer_store_dword v3, v1, s[0:3], 0 offen offset:4
	s_waitcnt vmcnt(5)
	buffer_store_dword v4, v1, s[0:3], 0 offen offset:8
	;; [unrolled: 2-line block ×6, first 2 shown]
	s_waitcnt vmcnt(0)
	buffer_store_dword v9, v0, s[0:3], 0 offen
.LBB38_308:
	v_mov_b32_e32 v0, 0
	global_load_dword v1, v0, s[20:21] offset:28
	s_waitcnt vmcnt(0)
	v_add_nc_u32_e32 v1, -1, v1
	v_cmp_eq_u32_e32 vcc_lo, 7, v1
	s_cbranch_vccnz .LBB38_310
; %bb.309:
	v_lshlrev_b32_e32 v1, 4, v1
	v_mov_b32_e32 v2, s44
	v_add_nc_u32_e32 v1, 16, v1
	s_clause 0x7
	buffer_load_dword v3, v1, s[0:3], 0 offen
	buffer_load_dword v4, v1, s[0:3], 0 offen offset:4
	buffer_load_dword v5, v1, s[0:3], 0 offen offset:8
	;; [unrolled: 1-line block ×6, first 2 shown]
	buffer_load_dword v10, v2, s[0:3], 0 offen
	s_waitcnt vmcnt(7)
	buffer_store_dword v3, v2, s[0:3], 0 offen
	s_waitcnt vmcnt(6)
	buffer_store_dword v4, v2, s[0:3], 0 offen offset:4
	s_waitcnt vmcnt(5)
	buffer_store_dword v5, v2, s[0:3], 0 offen offset:8
	;; [unrolled: 2-line block ×6, first 2 shown]
	s_waitcnt vmcnt(0)
	buffer_store_dword v10, v1, s[0:3], 0 offen
.LBB38_310:
	global_load_dword v0, v0, s[20:21] offset:24
	s_waitcnt vmcnt(0)
	v_add_nc_u32_e32 v0, -1, v0
	v_cmp_eq_u32_e32 vcc_lo, 6, v0
	s_cbranch_vccnz .LBB38_312
; %bb.311:
	v_lshlrev_b32_e32 v0, 4, v0
	v_mov_b32_e32 v1, s45
	v_add_nc_u32_e32 v0, 16, v0
	s_clause 0x7
	buffer_load_dword v2, v0, s[0:3], 0 offen
	buffer_load_dword v3, v0, s[0:3], 0 offen offset:4
	buffer_load_dword v4, v0, s[0:3], 0 offen offset:8
	;; [unrolled: 1-line block ×6, first 2 shown]
	buffer_load_dword v9, v1, s[0:3], 0 offen
	s_waitcnt vmcnt(7)
	buffer_store_dword v2, v1, s[0:3], 0 offen
	s_waitcnt vmcnt(6)
	buffer_store_dword v3, v1, s[0:3], 0 offen offset:4
	s_waitcnt vmcnt(5)
	buffer_store_dword v4, v1, s[0:3], 0 offen offset:8
	;; [unrolled: 2-line block ×6, first 2 shown]
	s_waitcnt vmcnt(0)
	buffer_store_dword v9, v0, s[0:3], 0 offen
.LBB38_312:
	v_mov_b32_e32 v0, 0
	global_load_dword v1, v0, s[20:21] offset:20
	s_waitcnt vmcnt(0)
	v_add_nc_u32_e32 v1, -1, v1
	v_cmp_eq_u32_e32 vcc_lo, 5, v1
	s_cbranch_vccnz .LBB38_314
; %bb.313:
	v_lshlrev_b32_e32 v1, 4, v1
	v_mov_b32_e32 v2, s46
	v_add_nc_u32_e32 v1, 16, v1
	s_clause 0x7
	buffer_load_dword v3, v1, s[0:3], 0 offen
	buffer_load_dword v4, v1, s[0:3], 0 offen offset:4
	buffer_load_dword v5, v1, s[0:3], 0 offen offset:8
	;; [unrolled: 1-line block ×6, first 2 shown]
	buffer_load_dword v10, v2, s[0:3], 0 offen
	s_waitcnt vmcnt(7)
	buffer_store_dword v3, v2, s[0:3], 0 offen
	s_waitcnt vmcnt(6)
	buffer_store_dword v4, v2, s[0:3], 0 offen offset:4
	s_waitcnt vmcnt(5)
	buffer_store_dword v5, v2, s[0:3], 0 offen offset:8
	;; [unrolled: 2-line block ×6, first 2 shown]
	s_waitcnt vmcnt(0)
	buffer_store_dword v10, v1, s[0:3], 0 offen
.LBB38_314:
	global_load_dword v0, v0, s[20:21] offset:16
	s_waitcnt vmcnt(0)
	v_add_nc_u32_e32 v0, -1, v0
	v_cmp_eq_u32_e32 vcc_lo, 4, v0
	s_cbranch_vccnz .LBB38_316
; %bb.315:
	v_lshlrev_b32_e32 v0, 4, v0
	v_mov_b32_e32 v1, s47
	v_add_nc_u32_e32 v0, 16, v0
	s_clause 0x7
	buffer_load_dword v2, v0, s[0:3], 0 offen
	buffer_load_dword v3, v0, s[0:3], 0 offen offset:4
	buffer_load_dword v4, v0, s[0:3], 0 offen offset:8
	;; [unrolled: 1-line block ×6, first 2 shown]
	buffer_load_dword v9, v1, s[0:3], 0 offen
	s_waitcnt vmcnt(7)
	buffer_store_dword v2, v1, s[0:3], 0 offen
	s_waitcnt vmcnt(6)
	buffer_store_dword v3, v1, s[0:3], 0 offen offset:4
	s_waitcnt vmcnt(5)
	buffer_store_dword v4, v1, s[0:3], 0 offen offset:8
	;; [unrolled: 2-line block ×6, first 2 shown]
	s_waitcnt vmcnt(0)
	buffer_store_dword v9, v0, s[0:3], 0 offen
.LBB38_316:
	v_mov_b32_e32 v0, 0
	global_load_dword v1, v0, s[20:21] offset:12
	s_waitcnt vmcnt(0)
	v_add_nc_u32_e32 v1, -1, v1
	v_cmp_eq_u32_e32 vcc_lo, 3, v1
	s_cbranch_vccnz .LBB38_318
; %bb.317:
	v_lshlrev_b32_e32 v1, 4, v1
	v_mov_b32_e32 v2, s48
	v_add_nc_u32_e32 v1, 16, v1
	s_clause 0x7
	buffer_load_dword v3, v1, s[0:3], 0 offen
	buffer_load_dword v4, v1, s[0:3], 0 offen offset:4
	buffer_load_dword v5, v1, s[0:3], 0 offen offset:8
	;; [unrolled: 1-line block ×6, first 2 shown]
	buffer_load_dword v10, v2, s[0:3], 0 offen
	s_waitcnt vmcnt(7)
	buffer_store_dword v3, v2, s[0:3], 0 offen
	s_waitcnt vmcnt(6)
	buffer_store_dword v4, v2, s[0:3], 0 offen offset:4
	s_waitcnt vmcnt(5)
	buffer_store_dword v5, v2, s[0:3], 0 offen offset:8
	;; [unrolled: 2-line block ×6, first 2 shown]
	s_waitcnt vmcnt(0)
	buffer_store_dword v10, v1, s[0:3], 0 offen
.LBB38_318:
	global_load_dword v0, v0, s[20:21] offset:8
	s_waitcnt vmcnt(0)
	v_add_nc_u32_e32 v0, -1, v0
	v_cmp_eq_u32_e32 vcc_lo, 2, v0
	s_cbranch_vccnz .LBB38_320
; %bb.319:
	v_lshlrev_b32_e32 v0, 4, v0
	v_mov_b32_e32 v1, s49
	v_add_nc_u32_e32 v0, 16, v0
	s_clause 0x7
	buffer_load_dword v2, v0, s[0:3], 0 offen
	buffer_load_dword v3, v0, s[0:3], 0 offen offset:4
	buffer_load_dword v4, v0, s[0:3], 0 offen offset:8
	buffer_load_dword v5, v0, s[0:3], 0 offen offset:12
	buffer_load_dword v6, v1, s[0:3], 0 offen offset:12
	buffer_load_dword v7, v1, s[0:3], 0 offen offset:8
	buffer_load_dword v8, v1, s[0:3], 0 offen offset:4
	buffer_load_dword v9, v1, s[0:3], 0 offen
	s_waitcnt vmcnt(7)
	buffer_store_dword v2, v1, s[0:3], 0 offen
	s_waitcnt vmcnt(6)
	buffer_store_dword v3, v1, s[0:3], 0 offen offset:4
	s_waitcnt vmcnt(5)
	buffer_store_dword v4, v1, s[0:3], 0 offen offset:8
	;; [unrolled: 2-line block ×6, first 2 shown]
	s_waitcnt vmcnt(0)
	buffer_store_dword v9, v0, s[0:3], 0 offen
.LBB38_320:
	v_mov_b32_e32 v0, 0
	global_load_dword v1, v0, s[20:21] offset:4
	s_waitcnt vmcnt(0)
	v_add_nc_u32_e32 v1, -1, v1
	v_cmp_eq_u32_e32 vcc_lo, 1, v1
	s_cbranch_vccnz .LBB38_322
; %bb.321:
	v_lshlrev_b32_e32 v1, 4, v1
	v_mov_b32_e32 v2, s50
	v_add_nc_u32_e32 v1, 16, v1
	s_clause 0x7
	buffer_load_dword v3, v1, s[0:3], 0 offen
	buffer_load_dword v4, v1, s[0:3], 0 offen offset:4
	buffer_load_dword v5, v1, s[0:3], 0 offen offset:8
	;; [unrolled: 1-line block ×6, first 2 shown]
	buffer_load_dword v10, v2, s[0:3], 0 offen
	s_waitcnt vmcnt(7)
	buffer_store_dword v3, v2, s[0:3], 0 offen
	s_waitcnt vmcnt(6)
	buffer_store_dword v4, v2, s[0:3], 0 offen offset:4
	s_waitcnt vmcnt(5)
	buffer_store_dword v5, v2, s[0:3], 0 offen offset:8
	s_waitcnt vmcnt(4)
	buffer_store_dword v6, v2, s[0:3], 0 offen offset:12
	s_waitcnt vmcnt(3)
	buffer_store_dword v7, v1, s[0:3], 0 offen offset:12
	s_waitcnt vmcnt(2)
	buffer_store_dword v8, v1, s[0:3], 0 offen offset:8
	s_waitcnt vmcnt(1)
	buffer_store_dword v9, v1, s[0:3], 0 offen offset:4
	s_waitcnt vmcnt(0)
	buffer_store_dword v10, v1, s[0:3], 0 offen
.LBB38_322:
	global_load_dword v0, v0, s[20:21]
	s_waitcnt vmcnt(0)
	v_add_nc_u32_e32 v0, -1, v0
	v_cmp_eq_u32_e32 vcc_lo, 0, v0
	s_cbranch_vccnz .LBB38_324
; %bb.323:
	v_lshlrev_b32_e32 v0, 4, v0
	v_add_nc_u32_e32 v0, 16, v0
	s_clause 0x7
	buffer_load_dword v1, v0, s[0:3], 0 offen
	buffer_load_dword v2, v0, s[0:3], 0 offen offset:4
	buffer_load_dword v3, v0, s[0:3], 0 offen offset:8
	;; [unrolled: 1-line block ×3, first 2 shown]
	buffer_load_dword v5, off, s[0:3], 0 offset:28
	buffer_load_dword v6, off, s[0:3], 0 offset:24
	;; [unrolled: 1-line block ×4, first 2 shown]
	s_waitcnt vmcnt(7)
	buffer_store_dword v1, off, s[0:3], 0 offset:16
	s_waitcnt vmcnt(6)
	buffer_store_dword v2, off, s[0:3], 0 offset:20
	;; [unrolled: 2-line block ×4, first 2 shown]
	s_waitcnt vmcnt(3)
	buffer_store_dword v5, v0, s[0:3], 0 offen offset:12
	s_waitcnt vmcnt(2)
	buffer_store_dword v6, v0, s[0:3], 0 offen offset:8
	s_waitcnt vmcnt(1)
	buffer_store_dword v7, v0, s[0:3], 0 offen offset:4
	s_waitcnt vmcnt(0)
	buffer_store_dword v8, v0, s[0:3], 0 offen
.LBB38_324:
	v_mov_b32_e32 v7, s50
	v_mov_b32_e32 v11, s49
	;; [unrolled: 1-line block ×4, first 2 shown]
	s_clause 0x3
	buffer_load_dword v0, off, s[0:3], 0 offset:16
	buffer_load_dword v1, off, s[0:3], 0 offset:20
	;; [unrolled: 1-line block ×4, first 2 shown]
	v_mov_b32_e32 v23, s46
	s_clause 0x3
	buffer_load_dword v4, v7, s[0:3], 0 offen
	buffer_load_dword v5, v7, s[0:3], 0 offen offset:4
	buffer_load_dword v6, v7, s[0:3], 0 offen offset:8
	buffer_load_dword v7, v7, s[0:3], 0 offen offset:12
	v_mov_b32_e32 v27, s45
	s_clause 0x3
	buffer_load_dword v8, v11, s[0:3], 0 offen
	buffer_load_dword v9, v11, s[0:3], 0 offen offset:4
	buffer_load_dword v10, v11, s[0:3], 0 offen offset:8
	buffer_load_dword v11, v11, s[0:3], 0 offen offset:12
	;; [unrolled: 6-line block ×3, first 2 shown]
	buffer_load_dword v16, v19, s[0:3], 0 offen
	buffer_load_dword v17, v19, s[0:3], 0 offen offset:4
	buffer_load_dword v18, v19, s[0:3], 0 offen offset:8
	buffer_load_dword v19, v19, s[0:3], 0 offen offset:12
	buffer_load_dword v20, v23, s[0:3], 0 offen
	buffer_load_dword v21, v23, s[0:3], 0 offen offset:4
	buffer_load_dword v22, v23, s[0:3], 0 offen offset:8
	buffer_load_dword v23, v23, s[0:3], 0 offen offset:12
	;; [unrolled: 4-line block ×4, first 2 shown]
	v_mov_b32_e32 v35, s43
	v_mov_b32_e32 v167, s26
	;; [unrolled: 1-line block ×20, first 2 shown]
	s_clause 0x37
	buffer_load_dword v32, v35, s[0:3], 0 offen
	buffer_load_dword v33, v35, s[0:3], 0 offen offset:4
	buffer_load_dword v34, v35, s[0:3], 0 offen offset:8
	buffer_load_dword v35, v35, s[0:3], 0 offen offset:12
	buffer_load_dword v36, v39, s[0:3], 0 offen
	buffer_load_dword v37, v39, s[0:3], 0 offen offset:4
	buffer_load_dword v38, v39, s[0:3], 0 offen offset:8
	buffer_load_dword v39, v39, s[0:3], 0 offen offset:12
	;; [unrolled: 4-line block ×14, first 2 shown]
	v_mov_b32_e32 v172, s18
	v_mov_b32_e32 v179, s8
	;; [unrolled: 1-line block ×11, first 2 shown]
	s_waitcnt vmcnt(62)
	global_store_dwordx4 v[85:86], v[0:3], off
	s_clause 0x7
	buffer_load_dword v0, v167, s[0:3], 0 offen
	buffer_load_dword v1, v167, s[0:3], 0 offen offset:4
	buffer_load_dword v2, v167, s[0:3], 0 offen offset:8
	buffer_load_dword v3, v167, s[0:3], 0 offen offset:12
	buffer_load_dword v167, v170, s[0:3], 0 offen
	buffer_load_dword v168, v170, s[0:3], 0 offen offset:4
	buffer_load_dword v169, v170, s[0:3], 0 offen offset:8
	buffer_load_dword v170, v170, s[0:3], 0 offen offset:12
	global_store_dwordx4 v[87:88], v[4:7], off
	s_clause 0x7
	buffer_load_dword v4, v171, s[0:3], 0 offen
	buffer_load_dword v5, v171, s[0:3], 0 offen offset:4
	buffer_load_dword v6, v171, s[0:3], 0 offen offset:8
	buffer_load_dword v7, v171, s[0:3], 0 offen offset:12
	buffer_load_dword v84, v172, s[0:3], 0 offen
	buffer_load_dword v85, v172, s[0:3], 0 offen offset:4
	buffer_load_dword v86, v172, s[0:3], 0 offen offset:8
	buffer_load_dword v87, v172, s[0:3], 0 offen offset:12
	;; [unrolled: 10-line block ×6, first 2 shown]
	s_waitcnt vmcnt(62)
	global_store_dwordx4 v[97:98], v[24:27], off
	s_clause 0x7
	buffer_load_dword v24, v181, s[0:3], 0 offen
	buffer_load_dword v25, v181, s[0:3], 0 offen offset:4
	buffer_load_dword v26, v181, s[0:3], 0 offen offset:8
	;; [unrolled: 1-line block ×3, first 2 shown]
	buffer_load_dword v179, v182, s[0:3], 0 offen
	buffer_load_dword v180, v182, s[0:3], 0 offen offset:4
	buffer_load_dword v181, v182, s[0:3], 0 offen offset:8
	;; [unrolled: 1-line block ×3, first 2 shown]
	global_store_dwordx4 v[99:100], v[28:31], off
	s_clause 0xb
	buffer_load_dword v28, v183, s[0:3], 0 offen
	buffer_load_dword v29, v183, s[0:3], 0 offen offset:4
	buffer_load_dword v30, v183, s[0:3], 0 offen offset:8
	buffer_load_dword v31, v183, s[0:3], 0 offen offset:12
	buffer_load_dword v96, v184, s[0:3], 0 offen
	buffer_load_dword v97, v184, s[0:3], 0 offen offset:4
	buffer_load_dword v98, v184, s[0:3], 0 offen offset:8
	buffer_load_dword v99, v184, s[0:3], 0 offen offset:12
	;; [unrolled: 4-line block ×3, first 2 shown]
	global_store_dwordx4 v[101:102], v[32:35], off
	global_store_dwordx4 v[103:104], v[36:39], off
	;; [unrolled: 1-line block ×10, first 2 shown]
	s_waitcnt vmcnt(62)
	global_store_dwordx4 v[121:122], v[72:75], off
	global_store_dwordx4 v[123:124], v[76:79], off
	;; [unrolled: 1-line block ×5, first 2 shown]
	s_waitcnt vmcnt(60)
	global_store_dwordx4 v[131:132], v[167:170], off
	s_waitcnt vmcnt(56)
	global_store_dwordx4 v[133:134], v[4:7], off
	;; [unrolled: 2-line block ×16, first 2 shown]
	s_endpgm
	.section	.rodata,"a",@progbits
	.p2align	6, 0x0
	.amdhsa_kernel _ZN9rocsolver6v33100L18getri_kernel_smallILi39E19rocblas_complex_numIdEPS3_EEvT1_iilPiilS6_bb
		.amdhsa_group_segment_fixed_size 1256
		.amdhsa_private_segment_fixed_size 656
		.amdhsa_kernarg_size 60
		.amdhsa_user_sgpr_count 6
		.amdhsa_user_sgpr_private_segment_buffer 1
		.amdhsa_user_sgpr_dispatch_ptr 0
		.amdhsa_user_sgpr_queue_ptr 0
		.amdhsa_user_sgpr_kernarg_segment_ptr 1
		.amdhsa_user_sgpr_dispatch_id 0
		.amdhsa_user_sgpr_flat_scratch_init 0
		.amdhsa_user_sgpr_private_segment_size 0
		.amdhsa_wavefront_size32 1
		.amdhsa_uses_dynamic_stack 0
		.amdhsa_system_sgpr_private_segment_wavefront_offset 1
		.amdhsa_system_sgpr_workgroup_id_x 1
		.amdhsa_system_sgpr_workgroup_id_y 0
		.amdhsa_system_sgpr_workgroup_id_z 0
		.amdhsa_system_sgpr_workgroup_info 0
		.amdhsa_system_vgpr_workitem_id 0
		.amdhsa_next_free_vgpr 188
		.amdhsa_next_free_sgpr 63
		.amdhsa_reserve_vcc 1
		.amdhsa_reserve_flat_scratch 0
		.amdhsa_float_round_mode_32 0
		.amdhsa_float_round_mode_16_64 0
		.amdhsa_float_denorm_mode_32 3
		.amdhsa_float_denorm_mode_16_64 3
		.amdhsa_dx10_clamp 1
		.amdhsa_ieee_mode 1
		.amdhsa_fp16_overflow 0
		.amdhsa_workgroup_processor_mode 1
		.amdhsa_memory_ordered 1
		.amdhsa_forward_progress 1
		.amdhsa_shared_vgpr_count 0
		.amdhsa_exception_fp_ieee_invalid_op 0
		.amdhsa_exception_fp_denorm_src 0
		.amdhsa_exception_fp_ieee_div_zero 0
		.amdhsa_exception_fp_ieee_overflow 0
		.amdhsa_exception_fp_ieee_underflow 0
		.amdhsa_exception_fp_ieee_inexact 0
		.amdhsa_exception_int_div_zero 0
	.end_amdhsa_kernel
	.section	.text._ZN9rocsolver6v33100L18getri_kernel_smallILi39E19rocblas_complex_numIdEPS3_EEvT1_iilPiilS6_bb,"axG",@progbits,_ZN9rocsolver6v33100L18getri_kernel_smallILi39E19rocblas_complex_numIdEPS3_EEvT1_iilPiilS6_bb,comdat
.Lfunc_end38:
	.size	_ZN9rocsolver6v33100L18getri_kernel_smallILi39E19rocblas_complex_numIdEPS3_EEvT1_iilPiilS6_bb, .Lfunc_end38-_ZN9rocsolver6v33100L18getri_kernel_smallILi39E19rocblas_complex_numIdEPS3_EEvT1_iilPiilS6_bb
                                        ; -- End function
	.set _ZN9rocsolver6v33100L18getri_kernel_smallILi39E19rocblas_complex_numIdEPS3_EEvT1_iilPiilS6_bb.num_vgpr, 188
	.set _ZN9rocsolver6v33100L18getri_kernel_smallILi39E19rocblas_complex_numIdEPS3_EEvT1_iilPiilS6_bb.num_agpr, 0
	.set _ZN9rocsolver6v33100L18getri_kernel_smallILi39E19rocblas_complex_numIdEPS3_EEvT1_iilPiilS6_bb.numbered_sgpr, 63
	.set _ZN9rocsolver6v33100L18getri_kernel_smallILi39E19rocblas_complex_numIdEPS3_EEvT1_iilPiilS6_bb.num_named_barrier, 0
	.set _ZN9rocsolver6v33100L18getri_kernel_smallILi39E19rocblas_complex_numIdEPS3_EEvT1_iilPiilS6_bb.private_seg_size, 656
	.set _ZN9rocsolver6v33100L18getri_kernel_smallILi39E19rocblas_complex_numIdEPS3_EEvT1_iilPiilS6_bb.uses_vcc, 1
	.set _ZN9rocsolver6v33100L18getri_kernel_smallILi39E19rocblas_complex_numIdEPS3_EEvT1_iilPiilS6_bb.uses_flat_scratch, 0
	.set _ZN9rocsolver6v33100L18getri_kernel_smallILi39E19rocblas_complex_numIdEPS3_EEvT1_iilPiilS6_bb.has_dyn_sized_stack, 0
	.set _ZN9rocsolver6v33100L18getri_kernel_smallILi39E19rocblas_complex_numIdEPS3_EEvT1_iilPiilS6_bb.has_recursion, 0
	.set _ZN9rocsolver6v33100L18getri_kernel_smallILi39E19rocblas_complex_numIdEPS3_EEvT1_iilPiilS6_bb.has_indirect_call, 0
	.section	.AMDGPU.csdata,"",@progbits
; Kernel info:
; codeLenInByte = 109104
; TotalNumSgprs: 65
; NumVgprs: 188
; ScratchSize: 656
; MemoryBound: 0
; FloatMode: 240
; IeeeMode: 1
; LDSByteSize: 1256 bytes/workgroup (compile time only)
; SGPRBlocks: 0
; VGPRBlocks: 23
; NumSGPRsForWavesPerEU: 65
; NumVGPRsForWavesPerEU: 188
; Occupancy: 5
; WaveLimiterHint : 1
; COMPUTE_PGM_RSRC2:SCRATCH_EN: 1
; COMPUTE_PGM_RSRC2:USER_SGPR: 6
; COMPUTE_PGM_RSRC2:TRAP_HANDLER: 0
; COMPUTE_PGM_RSRC2:TGID_X_EN: 1
; COMPUTE_PGM_RSRC2:TGID_Y_EN: 0
; COMPUTE_PGM_RSRC2:TGID_Z_EN: 0
; COMPUTE_PGM_RSRC2:TIDIG_COMP_CNT: 0
	.section	.text._ZN9rocsolver6v33100L18getri_kernel_smallILi40E19rocblas_complex_numIdEPS3_EEvT1_iilPiilS6_bb,"axG",@progbits,_ZN9rocsolver6v33100L18getri_kernel_smallILi40E19rocblas_complex_numIdEPS3_EEvT1_iilPiilS6_bb,comdat
	.globl	_ZN9rocsolver6v33100L18getri_kernel_smallILi40E19rocblas_complex_numIdEPS3_EEvT1_iilPiilS6_bb ; -- Begin function _ZN9rocsolver6v33100L18getri_kernel_smallILi40E19rocblas_complex_numIdEPS3_EEvT1_iilPiilS6_bb
	.p2align	8
	.type	_ZN9rocsolver6v33100L18getri_kernel_smallILi40E19rocblas_complex_numIdEPS3_EEvT1_iilPiilS6_bb,@function
_ZN9rocsolver6v33100L18getri_kernel_smallILi40E19rocblas_complex_numIdEPS3_EEvT1_iilPiilS6_bb: ; @_ZN9rocsolver6v33100L18getri_kernel_smallILi40E19rocblas_complex_numIdEPS3_EEvT1_iilPiilS6_bb
; %bb.0:
	s_add_u32 s0, s0, s7
	s_addc_u32 s1, s1, 0
	s_mov_b32 s7, exec_lo
	v_cmpx_gt_u32_e32 40, v0
	s_cbranch_execz .LBB39_174
; %bb.1:
	s_clause 0x2
	s_load_dword s7, s[4:5], 0x38
	s_load_dwordx4 s[16:19], s[4:5], 0x10
	s_load_dwordx4 s[8:11], s[4:5], 0x28
                                        ; implicit-def: $sgpr20_sgpr21
	s_waitcnt lgkmcnt(0)
	s_bitcmp1_b32 s7, 8
	s_cselect_b32 s52, -1, 0
	s_bfe_u32 s12, s7, 0x10008
	s_ashr_i32 s7, s6, 31
	s_cmp_eq_u32 s12, 0
	s_cbranch_scc1 .LBB39_3
; %bb.2:
	s_load_dword s12, s[4:5], 0x20
	s_mul_i32 s13, s8, s7
	s_mul_hi_u32 s14, s8, s6
	s_mul_i32 s9, s9, s6
	s_add_i32 s13, s14, s13
	s_mul_i32 s8, s8, s6
	s_add_i32 s9, s13, s9
	s_lshl_b64 s[8:9], s[8:9], 2
	s_waitcnt lgkmcnt(0)
	s_ashr_i32 s13, s12, 31
	s_add_u32 s14, s18, s8
	s_addc_u32 s15, s19, s9
	s_lshl_b64 s[8:9], s[12:13], 2
	s_add_u32 s20, s14, s8
	s_addc_u32 s21, s15, s9
.LBB39_3:
	s_clause 0x1
	s_load_dwordx4 s[12:15], s[4:5], 0x0
	s_load_dword s53, s[4:5], 0x38
	s_mul_i32 s4, s16, s7
	s_mul_hi_u32 s5, s16, s6
	s_mul_i32 s8, s17, s6
	s_add_i32 s5, s5, s4
	s_mul_i32 s4, s16, s6
	s_add_i32 s5, s5, s8
	v_lshlrev_b32_e32 v137, 4, v0
	s_lshl_b64 s[4:5], s[4:5], 4
	s_movk_i32 s18, 0xf0
	s_movk_i32 s22, 0x110
	;; [unrolled: 1-line block ×10, first 2 shown]
	s_waitcnt lgkmcnt(0)
	v_add3_u32 v1, s15, s15, v0
	s_ashr_i32 s9, s14, 31
	s_mov_b32 s8, s14
	s_add_u32 s12, s12, s4
	s_addc_u32 s13, s13, s5
	s_lshl_b64 s[4:5], s[8:9], 4
	v_ashrrev_i32_e32 v2, 31, v1
	s_add_u32 s4, s12, s4
	s_addc_u32 s5, s13, s5
	v_add_nc_u32_e32 v5, s15, v1
	v_add_co_u32 v65, s12, s4, v137
	s_mov_b32 s8, s15
	s_ashr_i32 s9, s15, 31
	v_lshlrev_b64 v[6:7], 4, v[1:2]
	v_add_co_ci_u32_e64 v66, null, s5, 0, s12
	s_lshl_b64 s[8:9], s[8:9], 4
	v_add_nc_u32_e32 v8, s15, v5
	v_add_co_u32 v67, vcc_lo, v65, s8
	v_add_co_ci_u32_e64 v68, null, s9, v66, vcc_lo
	v_add_co_u32 v71, vcc_lo, s4, v6
	v_ashrrev_i32_e32 v6, 31, v5
	v_add_co_ci_u32_e64 v72, null, s5, v7, vcc_lo
	v_ashrrev_i32_e32 v9, 31, v8
	v_add_nc_u32_e32 v7, s15, v8
	v_lshlrev_b64 v[5:6], 4, v[5:6]
	s_clause 0x1
	global_load_dwordx4 v[1:4], v137, s[4:5]
	global_load_dwordx4 v[129:132], v[67:68], off
	v_lshlrev_b64 v[9:10], 4, v[8:9]
	v_ashrrev_i32_e32 v8, 31, v7
	v_add_nc_u32_e32 v11, s15, v7
	v_add_co_u32 v77, vcc_lo, s4, v5
	v_add_co_ci_u32_e64 v78, null, s5, v6, vcc_lo
	v_lshlrev_b64 v[5:6], 4, v[7:8]
	v_add_nc_u32_e32 v7, s15, v11
	v_ashrrev_i32_e32 v12, 31, v11
	v_add_co_u32 v69, vcc_lo, s4, v9
	v_add_co_ci_u32_e64 v70, null, s5, v10, vcc_lo
	v_ashrrev_i32_e32 v8, 31, v7
	v_add_co_u32 v75, vcc_lo, s4, v5
	v_add_nc_u32_e32 v5, s15, v7
	v_lshlrev_b64 v[9:10], 4, v[11:12]
	v_lshlrev_b64 v[7:8], 4, v[7:8]
	v_add_co_ci_u32_e64 v76, null, s5, v6, vcc_lo
	v_add_nc_u32_e32 v11, s15, v5
	v_ashrrev_i32_e32 v6, 31, v5
	v_add_co_u32 v81, vcc_lo, s4, v9
	s_clause 0x1
	global_load_dwordx4 v[133:136], v[71:72], off
	global_load_dwordx4 v[142:145], v[69:70], off
	v_add_co_ci_u32_e64 v82, null, s5, v10, vcc_lo
	v_add_co_u32 v73, vcc_lo, s4, v7
	v_add_nc_u32_e32 v7, s15, v11
	v_lshlrev_b64 v[5:6], 4, v[5:6]
	v_ashrrev_i32_e32 v12, 31, v11
	v_add_co_ci_u32_e64 v74, null, s5, v8, vcc_lo
	v_ashrrev_i32_e32 v8, 31, v7
	global_load_dwordx4 v[138:141], v[77:78], off
	v_add_co_u32 v79, vcc_lo, s4, v5
	v_lshlrev_b64 v[9:10], 4, v[11:12]
	v_add_nc_u32_e32 v5, s15, v7
	v_add_co_ci_u32_e64 v80, null, s5, v6, vcc_lo
	v_lshlrev_b64 v[6:7], 4, v[7:8]
	s_clause 0x1
	global_load_dwordx4 v[146:149], v[75:76], off
	global_load_dwordx4 v[49:52], v[73:74], off
	v_add_nc_u32_e32 v8, s15, v5
	v_add_co_u32 v83, vcc_lo, s4, v9
	v_add_co_ci_u32_e64 v84, null, s5, v10, vcc_lo
	v_add_co_u32 v85, vcc_lo, s4, v6
	v_ashrrev_i32_e32 v6, 31, v5
	v_add_co_ci_u32_e64 v86, null, s5, v7, vcc_lo
	v_ashrrev_i32_e32 v9, 31, v8
	v_add_nc_u32_e32 v7, s15, v8
	s_clause 0x1
	global_load_dwordx4 v[45:48], v[81:82], off
	global_load_dwordx4 v[25:28], v[83:84], off
	v_lshlrev_b64 v[5:6], 4, v[5:6]
	v_lshlrev_b64 v[9:10], 4, v[8:9]
	v_ashrrev_i32_e32 v8, 31, v7
	s_clause 0x1
	global_load_dwordx4 v[57:60], v[79:80], off
	global_load_dwordx4 v[29:32], v[85:86], off
	s_add_i32 s37, s18, 16
	v_add_co_u32 v87, vcc_lo, s4, v5
	v_add_co_ci_u32_e64 v88, null, s5, v6, vcc_lo
	v_lshlrev_b64 v[5:6], 4, v[7:8]
	v_add_co_u32 v89, vcc_lo, s4, v9
	v_add_co_ci_u32_e64 v90, null, s5, v10, vcc_lo
	global_load_dwordx4 v[33:36], v[87:88], off
	v_add_co_u32 v91, vcc_lo, s4, v5
	v_add_co_ci_u32_e64 v92, null, s5, v6, vcc_lo
	global_load_dwordx4 v[41:44], v[89:90], off
	v_add_nc_u32_e32 v5, s15, v7
	s_add_i32 s35, s22, 16
	global_load_dwordx4 v[37:40], v[91:92], off
	s_add_i32 s22, s30, 16
	s_add_i32 s18, s33, 16
	v_add_nc_u32_e32 v7, s15, v5
	v_ashrrev_i32_e32 v6, 31, v5
	s_add_i32 s31, s24, 16
	s_add_i32 s27, s26, 16
	s_add_i32 s24, s28, 16
	v_add_nc_u32_e32 v9, s15, v7
	v_ashrrev_i32_e32 v8, 31, v7
	v_lshlrev_b64 v[5:6], 4, v[5:6]
	s_movk_i32 s19, 0x100
	s_add_i32 s34, s23, 16
	v_add_nc_u32_e32 v11, s15, v9
	v_ashrrev_i32_e32 v10, 31, v9
	v_lshlrev_b64 v[7:8], 4, v[7:8]
	v_add_co_u32 v93, vcc_lo, s4, v5
	v_add_nc_u32_e32 v13, s15, v11
	v_ashrrev_i32_e32 v12, 31, v11
	v_lshlrev_b64 v[9:10], 4, v[9:10]
	v_add_co_ci_u32_e64 v94, null, s5, v6, vcc_lo
	v_add_nc_u32_e32 v17, s15, v13
	v_ashrrev_i32_e32 v14, 31, v13
	v_lshlrev_b64 v[11:12], 4, v[11:12]
	v_add_co_u32 v95, vcc_lo, s4, v7
	v_add_nc_u32_e32 v21, s15, v17
	v_ashrrev_i32_e32 v18, 31, v17
	v_lshlrev_b64 v[19:20], 4, v[13:14]
	v_add_co_ci_u32_e64 v96, null, s5, v8, vcc_lo
	v_add_nc_u32_e32 v53, s15, v21
	v_ashrrev_i32_e32 v22, 31, v21
	v_add_co_u32 v97, vcc_lo, s4, v9
	v_lshlrev_b64 v[17:18], 4, v[17:18]
	v_add_nc_u32_e32 v61, s15, v53
	v_ashrrev_i32_e32 v54, 31, v53
	v_add_co_ci_u32_e64 v98, null, s5, v10, vcc_lo
	v_add_co_u32 v99, vcc_lo, s4, v11
	v_add_nc_u32_e32 v109, s15, v61
	v_ashrrev_i32_e32 v62, 31, v61
	v_lshlrev_b64 v[55:56], 4, v[21:22]
	v_add_co_ci_u32_e64 v100, null, s5, v12, vcc_lo
	v_add_nc_u32_e32 v113, s15, v109
	v_ashrrev_i32_e32 v110, 31, v109
	v_add_co_u32 v101, vcc_lo, s4, v19
	v_lshlrev_b64 v[53:54], 4, v[53:54]
	v_add_co_ci_u32_e64 v102, null, s5, v20, vcc_lo
	v_add_co_u32 v103, vcc_lo, s4, v17
	v_lshlrev_b64 v[111:112], 4, v[61:62]
	v_add_nc_u32_e32 v117, s15, v113
	v_add_co_ci_u32_e64 v104, null, s5, v18, vcc_lo
	v_add_co_u32 v105, vcc_lo, s4, v55
	v_lshlrev_b64 v[115:116], 4, v[109:110]
	v_add_co_ci_u32_e64 v106, null, s5, v56, vcc_lo
	v_add_co_u32 v107, vcc_lo, s4, v53
	v_ashrrev_i32_e32 v118, 31, v117
	v_add_nc_u32_e32 v119, s15, v117
	v_add_co_ci_u32_e64 v108, null, s5, v54, vcc_lo
	v_add_co_u32 v109, vcc_lo, s4, v111
	v_add_co_ci_u32_e64 v110, null, s5, v112, vcc_lo
	v_add_co_u32 v111, vcc_lo, s4, v115
	v_add_co_ci_u32_e64 v112, null, s5, v116, vcc_lo
	v_lshlrev_b64 v[115:116], 4, v[117:118]
	v_add_nc_u32_e32 v117, s15, v119
	v_ashrrev_i32_e32 v114, 31, v113
	v_ashrrev_i32_e32 v120, 31, v119
	s_clause 0x2
	global_load_dwordx4 v[5:8], v[93:94], off
	global_load_dwordx4 v[9:12], v[95:96], off
	;; [unrolled: 1-line block ×3, first 2 shown]
	v_add_nc_u32_e32 v121, s15, v117
	v_lshlrev_b64 v[113:114], 4, v[113:114]
	v_ashrrev_i32_e32 v118, 31, v117
	v_lshlrev_b64 v[119:120], 4, v[119:120]
	s_clause 0x1
	global_load_dwordx4 v[17:20], v[99:100], off
	global_load_dwordx4 v[21:24], v[101:102], off
	v_add_nc_u32_e32 v125, s15, v121
	v_ashrrev_i32_e32 v122, 31, v121
	v_add_co_u32 v113, vcc_lo, s4, v113
	v_lshlrev_b64 v[123:124], 4, v[117:118]
	v_add_co_ci_u32_e64 v114, null, s5, v114, vcc_lo
	v_add_co_u32 v115, vcc_lo, s4, v115
	v_ashrrev_i32_e32 v126, 31, v125
	v_add_nc_u32_e32 v127, s15, v125
	v_add_co_ci_u32_e64 v116, null, s5, v116, vcc_lo
	v_add_co_u32 v117, vcc_lo, s4, v119
	v_add_co_ci_u32_e64 v118, null, s5, v120, vcc_lo
	v_add_co_u32 v119, vcc_lo, s4, v123
	v_add_co_ci_u32_e64 v120, null, s5, v124, vcc_lo
	v_lshlrev_b64 v[123:124], 4, v[125:126]
	v_add_nc_u32_e32 v125, s15, v127
	v_ashrrev_i32_e32 v128, 31, v127
	v_lshlrev_b64 v[121:122], 4, v[121:122]
	s_clause 0x3
	global_load_dwordx4 v[61:64], v[103:104], off
	global_load_dwordx4 v[53:56], v[105:106], off
	;; [unrolled: 1-line block ×4, first 2 shown]
	v_add_nc_u32_e32 v182, s15, v125
	v_ashrrev_i32_e32 v126, 31, v125
	v_lshlrev_b64 v[127:128], 4, v[127:128]
	v_add_co_u32 v121, vcc_lo, s4, v121
	v_add_nc_u32_e32 v186, s15, v182
	v_add_co_ci_u32_e64 v122, null, s5, v122, vcc_lo
	v_add_co_u32 v123, vcc_lo, s4, v123
	v_lshlrev_b64 v[184:185], 4, v[125:126]
	v_add_co_ci_u32_e64 v124, null, s5, v124, vcc_lo
	v_add_co_u32 v125, vcc_lo, s4, v127
	v_ashrrev_i32_e32 v183, 31, v182
	v_add_nc_u32_e32 v190, s15, v186
	v_add_co_ci_u32_e64 v126, null, s5, v128, vcc_lo
	v_add_co_u32 v127, vcc_lo, s4, v184
	s_clause 0x5
	global_load_dwordx4 v[158:161], v[111:112], off
	global_load_dwordx4 v[162:165], v[113:114], off
	;; [unrolled: 1-line block ×6, first 2 shown]
	v_lshlrev_b64 v[188:189], 4, v[182:183]
	v_add_co_ci_u32_e64 v128, null, s5, v185, vcc_lo
	v_ashrrev_i32_e32 v187, 31, v186
	v_ashrrev_i32_e32 v191, 31, v190
	s_add_i32 s29, s25, 16
	s_movk_i32 s8, 0x70
	s_movk_i32 s9, 0x80
	s_movk_i32 s12, 0x90
	s_movk_i32 s13, 0xa0
	s_movk_i32 s14, 0xb0
	s_movk_i32 s16, 0xd0
	s_movk_i32 s54, 0x190
	s_movk_i32 s55, 0x1a0
	s_movk_i32 s56, 0x1b0
	s_movk_i32 s57, 0x1c0
	s_movk_i32 s58, 0x1d0
	s_add_i32 s38, s17, 16
	s_add_i32 s36, s19, 16
	;; [unrolled: 1-line block ×13, first 2 shown]
	s_mov_b32 s51, 32
	s_mov_b32 s50, 48
	;; [unrolled: 1-line block ×3, first 2 shown]
	s_movk_i32 s48, 0x50
	s_waitcnt vmcnt(28)
	buffer_store_dword v4, off, s[0:3], 0 offset:28
	buffer_store_dword v3, off, s[0:3], 0 offset:24
	;; [unrolled: 1-line block ×4, first 2 shown]
	s_waitcnt vmcnt(27)
	buffer_store_dword v132, off, s[0:3], 0 offset:44
	buffer_store_dword v131, off, s[0:3], 0 offset:40
	;; [unrolled: 1-line block ×4, first 2 shown]
	s_clause 0x1
	global_load_dwordx4 v[1:4], v[123:124], off
	global_load_dwordx4 v[182:185], v[125:126], off
	s_waitcnt vmcnt(28)
	buffer_store_dword v136, off, s[0:3], 0 offset:60
	buffer_store_dword v135, off, s[0:3], 0 offset:56
	;; [unrolled: 1-line block ×4, first 2 shown]
	v_add_nc_u32_e32 v133, s15, v190
	v_lshlrev_b64 v[131:132], 4, v[186:187]
	v_add_co_u32 v129, vcc_lo, s4, v188
	v_lshlrev_b64 v[135:136], 4, v[190:191]
	v_ashrrev_i32_e32 v134, 31, v133
	v_add_nc_u32_e32 v186, s15, v133
	v_add_co_ci_u32_e64 v130, null, s5, v189, vcc_lo
	v_add_co_u32 v131, vcc_lo, s4, v131
	v_lshlrev_b64 v[188:189], 4, v[133:134]
	v_add_nc_u32_e32 v190, s15, v186
	v_add_co_ci_u32_e64 v132, null, s5, v132, vcc_lo
	v_add_co_u32 v133, vcc_lo, s4, v135
	v_add_co_ci_u32_e64 v134, null, s5, v136, vcc_lo
	v_ashrrev_i32_e32 v191, 31, v190
	v_add_co_u32 v135, vcc_lo, s4, v188
	v_add_nc_u32_e32 v188, s15, v190
	s_waitcnt vmcnt(26)
	buffer_store_dword v141, off, s[0:3], 0 offset:76
	buffer_store_dword v140, off, s[0:3], 0 offset:72
	;; [unrolled: 1-line block ×8, first 2 shown]
	v_ashrrev_i32_e32 v187, 31, v186
	s_clause 0x1
	global_load_dwordx4 v[138:141], v[127:128], off
	global_load_dwordx4 v[142:145], v[129:130], off
	s_waitcnt vmcnt(27)
	buffer_store_dword v149, off, s[0:3], 0 offset:108
	buffer_store_dword v148, off, s[0:3], 0 offset:104
	;; [unrolled: 1-line block ×4, first 2 shown]
	s_waitcnt vmcnt(25)
	buffer_store_dword v48, off, s[0:3], 0 offset:124
	buffer_store_dword v47, off, s[0:3], 0 offset:120
	;; [unrolled: 1-line block ×8, first 2 shown]
	v_lshlrev_b64 v[51:52], 4, v[190:191]
	v_add_nc_u32_e32 v190, s15, v188
	v_add_co_ci_u32_e64 v136, null, s5, v189, vcc_lo
	v_ashrrev_i32_e32 v189, 31, v188
	v_lshlrev_b64 v[186:187], 4, v[186:187]
	v_ashrrev_i32_e32 v191, 31, v190
	s_clause 0x1
	global_load_dwordx4 v[47:50], v[131:132], off
	global_load_dwordx4 v[146:149], v[133:134], off
	s_waitcnt vmcnt(25)
	buffer_store_dword v60, off, s[0:3], 0 offset:156
	buffer_store_dword v59, off, s[0:3], 0 offset:152
	;; [unrolled: 1-line block ×4, first 2 shown]
	v_lshlrev_b64 v[192:193], 4, v[188:189]
	buffer_store_dword v25, off, s[0:3], 0 offset:160
	buffer_store_dword v26, off, s[0:3], 0 offset:164
	;; [unrolled: 1-line block ×4, first 2 shown]
	s_waitcnt vmcnt(24)
	buffer_store_dword v29, off, s[0:3], 0 offset:176
	buffer_store_dword v30, off, s[0:3], 0 offset:180
	;; [unrolled: 1-line block ×4, first 2 shown]
	v_add_co_u32 v45, vcc_lo, s4, v186
	v_lshlrev_b64 v[29:30], 4, v[190:191]
	v_add_co_ci_u32_e64 v46, null, s5, v187, vcc_lo
	v_add_co_u32 v25, vcc_lo, s4, v51
	v_add_co_ci_u32_e64 v26, null, s5, v52, vcc_lo
	v_add_co_u32 v27, vcc_lo, s4, v192
	;; [unrolled: 2-line block ×3, first 2 shown]
	v_add_co_ci_u32_e64 v30, null, s5, v30, vcc_lo
	s_clause 0x1
	global_load_dwordx4 v[57:60], v[135:136], off
	global_load_dwordx4 v[186:189], v[45:46], off
	s_waitcnt vmcnt(25)
	buffer_store_dword v33, off, s[0:3], 0 offset:192
	buffer_store_dword v34, off, s[0:3], 0 offset:196
	;; [unrolled: 1-line block ×4, first 2 shown]
	s_waitcnt vmcnt(24)
	buffer_store_dword v44, off, s[0:3], 0 offset:220
	buffer_store_dword v43, off, s[0:3], 0 offset:216
	;; [unrolled: 1-line block ×4, first 2 shown]
	s_clause 0x1
	global_load_dwordx4 v[31:34], v[25:26], off
	global_load_dwordx4 v[41:44], v[27:28], off
	s_waitcnt vmcnt(25)
	buffer_store_dword v40, off, s[0:3], 0 offset:236
	buffer_store_dword v39, off, s[0:3], 0 offset:232
	;; [unrolled: 1-line block ×4, first 2 shown]
	global_load_dwordx4 v[35:38], v[29:30], off
	s_movk_i32 s4, 0x50
	s_movk_i32 s5, 0x60
	s_add_i32 s47, s4, 16
	s_add_i32 s46, s5, 16
	s_movk_i32 s4, 0x1e0
	s_movk_i32 s5, 0x1f0
	s_add_i32 s33, s4, 16
	s_add_i32 s30, s5, 16
	;; [unrolled: 4-line block ×4, first 2 shown]
	s_movk_i32 s4, 0x240
	s_movk_i32 s5, 0x250
	;; [unrolled: 1-line block ×3, first 2 shown]
	s_add_i32 s19, s4, 16
	s_add_i32 s17, s5, 16
	s_movk_i32 s4, 0x260
	s_movk_i32 s5, 0x270
	s_add_i32 s40, s15, 16
	s_add_i32 s15, s4, 16
	;; [unrolled: 1-line block ×3, first 2 shown]
	s_bitcmp0_b32 s53, 0
	s_mov_b32 s5, -1
	s_waitcnt vmcnt(25)
	buffer_store_dword v8, off, s[0:3], 0 offset:252
	buffer_store_dword v7, off, s[0:3], 0 offset:248
	buffer_store_dword v6, off, s[0:3], 0 offset:244
	buffer_store_dword v5, off, s[0:3], 0 offset:240
	s_waitcnt vmcnt(24)
	buffer_store_dword v12, off, s[0:3], 0 offset:268
	buffer_store_dword v11, off, s[0:3], 0 offset:264
	buffer_store_dword v10, off, s[0:3], 0 offset:260
	buffer_store_dword v9, off, s[0:3], 0 offset:256
	;; [unrolled: 5-line block ×26, first 2 shown]
	s_cbranch_scc1 .LBB39_172
; %bb.4:
	v_cmp_eq_u32_e64 s4, 0, v0
	s_and_saveexec_b32 s5, s4
; %bb.5:
	v_mov_b32_e32 v1, 0
	ds_write_b32 v1, v1 offset:1280
; %bb.6:
	s_or_b32 exec_lo, exec_lo, s5
	v_lshl_add_u32 v11, v0, 4, 16
	s_waitcnt lgkmcnt(0)
	s_waitcnt_vscnt null, 0x0
	s_barrier
	buffer_gl0_inv
	s_clause 0x3
	buffer_load_dword v1, v11, s[0:3], 0 offen
	buffer_load_dword v2, v11, s[0:3], 0 offen offset:4
	buffer_load_dword v3, v11, s[0:3], 0 offen offset:8
	;; [unrolled: 1-line block ×3, first 2 shown]
	s_waitcnt vmcnt(2)
	v_cmp_eq_f64_e32 vcc_lo, 0, v[1:2]
	s_waitcnt vmcnt(0)
	v_cmp_eq_f64_e64 s5, 0, v[3:4]
	s_and_b32 s5, vcc_lo, s5
	s_and_saveexec_b32 s53, s5
	s_cbranch_execz .LBB39_10
; %bb.7:
	v_mov_b32_e32 v1, 0
	s_mov_b32 s54, 0
	ds_read_b32 v2, v1 offset:1280
	s_waitcnt lgkmcnt(0)
	v_readfirstlane_b32 s5, v2
	v_add_nc_u32_e32 v2, 1, v0
	s_cmp_eq_u32 s5, 0
	v_cmp_gt_i32_e32 vcc_lo, s5, v2
	s_cselect_b32 s55, -1, 0
	s_or_b32 s55, s55, vcc_lo
	s_and_b32 exec_lo, exec_lo, s55
	s_cbranch_execz .LBB39_10
; %bb.8:
	v_mov_b32_e32 v3, s5
.LBB39_9:                               ; =>This Inner Loop Header: Depth=1
	ds_cmpst_rtn_b32 v3, v1, v3, v2 offset:1280
	s_waitcnt lgkmcnt(0)
	v_cmp_ne_u32_e32 vcc_lo, 0, v3
	v_cmp_le_i32_e64 s5, v3, v2
	s_and_b32 s5, vcc_lo, s5
	s_and_b32 s5, exec_lo, s5
	s_or_b32 s54, s5, s54
	s_andn2_b32 exec_lo, exec_lo, s54
	s_cbranch_execnz .LBB39_9
.LBB39_10:
	s_or_b32 exec_lo, exec_lo, s53
	v_mov_b32_e32 v1, 0
	s_barrier
	buffer_gl0_inv
	ds_read_b32 v2, v1 offset:1280
	s_and_saveexec_b32 s5, s4
	s_cbranch_execz .LBB39_12
; %bb.11:
	s_lshl_b64 s[54:55], s[6:7], 2
	s_add_u32 s54, s10, s54
	s_addc_u32 s55, s11, s55
	s_waitcnt lgkmcnt(0)
	global_store_dword v1, v2, s[54:55]
.LBB39_12:
	s_or_b32 exec_lo, exec_lo, s5
	s_waitcnt lgkmcnt(0)
	v_cmp_ne_u32_e32 vcc_lo, 0, v2
	s_mov_b32 s5, 0
	s_cbranch_vccnz .LBB39_172
; %bb.13:
	s_clause 0x3
	buffer_load_dword v7, v11, s[0:3], 0 offen
	buffer_load_dword v8, v11, s[0:3], 0 offen offset:4
	buffer_load_dword v9, v11, s[0:3], 0 offen offset:8
	;; [unrolled: 1-line block ×3, first 2 shown]
                                        ; implicit-def: $vgpr5_vgpr6
                                        ; implicit-def: $vgpr3_vgpr4
	s_waitcnt vmcnt(0)
	v_cmp_ngt_f64_e64 s5, |v[7:8]|, |v[9:10]|
	s_and_saveexec_b32 s53, s5
	s_xor_b32 s5, exec_lo, s53
	s_cbranch_execz .LBB39_15
; %bb.14:
	v_div_scale_f64 v[1:2], null, v[9:10], v[9:10], v[7:8]
	v_div_scale_f64 v[12:13], vcc_lo, v[7:8], v[9:10], v[7:8]
	v_rcp_f64_e32 v[3:4], v[1:2]
	v_fma_f64 v[5:6], -v[1:2], v[3:4], 1.0
	v_fma_f64 v[3:4], v[3:4], v[5:6], v[3:4]
	v_fma_f64 v[5:6], -v[1:2], v[3:4], 1.0
	v_fma_f64 v[3:4], v[3:4], v[5:6], v[3:4]
	v_mul_f64 v[5:6], v[12:13], v[3:4]
	v_fma_f64 v[1:2], -v[1:2], v[5:6], v[12:13]
	v_div_fmas_f64 v[1:2], v[1:2], v[3:4], v[5:6]
	v_div_fixup_f64 v[1:2], v[1:2], v[9:10], v[7:8]
	v_fma_f64 v[3:4], v[7:8], v[1:2], v[9:10]
	v_div_scale_f64 v[5:6], null, v[3:4], v[3:4], 1.0
	v_div_scale_f64 v[12:13], vcc_lo, 1.0, v[3:4], 1.0
	v_rcp_f64_e32 v[7:8], v[5:6]
	v_fma_f64 v[9:10], -v[5:6], v[7:8], 1.0
	v_fma_f64 v[7:8], v[7:8], v[9:10], v[7:8]
	v_fma_f64 v[9:10], -v[5:6], v[7:8], 1.0
	v_fma_f64 v[7:8], v[7:8], v[9:10], v[7:8]
	v_mul_f64 v[9:10], v[12:13], v[7:8]
	v_fma_f64 v[5:6], -v[5:6], v[9:10], v[12:13]
	v_div_fmas_f64 v[5:6], v[5:6], v[7:8], v[9:10]
                                        ; implicit-def: $vgpr7_vgpr8
                                        ; implicit-def: $vgpr9_vgpr10
	v_div_fixup_f64 v[3:4], v[5:6], v[3:4], 1.0
	v_mul_f64 v[5:6], v[1:2], v[3:4]
	v_xor_b32_e32 v4, 0x80000000, v4
	v_xor_b32_e32 v2, 0x80000000, v6
	v_mov_b32_e32 v1, v5
.LBB39_15:
	s_andn2_saveexec_b32 s5, s5
	s_cbranch_execz .LBB39_17
; %bb.16:
	v_div_scale_f64 v[1:2], null, v[7:8], v[7:8], v[9:10]
	v_div_scale_f64 v[12:13], vcc_lo, v[9:10], v[7:8], v[9:10]
	v_rcp_f64_e32 v[3:4], v[1:2]
	v_fma_f64 v[5:6], -v[1:2], v[3:4], 1.0
	v_fma_f64 v[3:4], v[3:4], v[5:6], v[3:4]
	v_fma_f64 v[5:6], -v[1:2], v[3:4], 1.0
	v_fma_f64 v[3:4], v[3:4], v[5:6], v[3:4]
	v_mul_f64 v[5:6], v[12:13], v[3:4]
	v_fma_f64 v[1:2], -v[1:2], v[5:6], v[12:13]
	v_div_fmas_f64 v[1:2], v[1:2], v[3:4], v[5:6]
	v_div_fixup_f64 v[1:2], v[1:2], v[7:8], v[9:10]
	v_fma_f64 v[3:4], v[9:10], v[1:2], v[7:8]
	v_div_scale_f64 v[5:6], null, v[3:4], v[3:4], 1.0
	v_rcp_f64_e32 v[7:8], v[5:6]
	v_fma_f64 v[9:10], -v[5:6], v[7:8], 1.0
	v_fma_f64 v[7:8], v[7:8], v[9:10], v[7:8]
	v_fma_f64 v[9:10], -v[5:6], v[7:8], 1.0
	v_fma_f64 v[7:8], v[7:8], v[9:10], v[7:8]
	v_div_scale_f64 v[9:10], vcc_lo, 1.0, v[3:4], 1.0
	v_mul_f64 v[12:13], v[9:10], v[7:8]
	v_fma_f64 v[5:6], -v[5:6], v[12:13], v[9:10]
	v_div_fmas_f64 v[5:6], v[5:6], v[7:8], v[12:13]
	v_div_fixup_f64 v[5:6], v[5:6], v[3:4], 1.0
	v_mul_f64 v[3:4], v[1:2], -v[5:6]
	v_xor_b32_e32 v2, 0x80000000, v6
	v_mov_b32_e32 v1, v5
.LBB39_17:
	s_or_b32 exec_lo, exec_lo, s5
	v_mov_b32_e32 v10, s51
	buffer_store_dword v6, v11, s[0:3], 0 offen offset:4
	buffer_store_dword v5, v11, s[0:3], 0 offen
	buffer_store_dword v4, v11, s[0:3], 0 offen offset:12
	buffer_store_dword v3, v11, s[0:3], 0 offen offset:8
	v_xor_b32_e32 v4, 0x80000000, v4
	v_add_nc_u32_e32 v5, 0x280, v137
	s_clause 0x3
	buffer_load_dword v9, v10, s[0:3], 0 offen offset:12
	buffer_load_dword v8, v10, s[0:3], 0 offen offset:8
	;; [unrolled: 1-line block ×3, first 2 shown]
	buffer_load_dword v6, v10, s[0:3], 0 offen
	ds_write_b128 v137, v[1:4]
	s_waitcnt vmcnt(0)
	ds_write_b128 v137, v[6:9] offset:640
	s_waitcnt lgkmcnt(0)
	s_waitcnt_vscnt null, 0x0
	s_barrier
	buffer_gl0_inv
	s_and_saveexec_b32 s5, s4
	s_cbranch_execz .LBB39_19
; %bb.18:
	s_clause 0x3
	buffer_load_dword v12, v11, s[0:3], 0 offen offset:8
	buffer_load_dword v13, v11, s[0:3], 0 offen offset:12
	buffer_load_dword v14, v11, s[0:3], 0 offen
	buffer_load_dword v15, v11, s[0:3], 0 offen offset:4
	ds_read_b128 v[1:4], v5
	v_mov_b32_e32 v6, 0
	ds_read_b128 v[6:9], v6 offset:16
	s_waitcnt vmcnt(2) lgkmcnt(1)
	v_mul_f64 v[16:17], v[1:2], v[12:13]
	v_mul_f64 v[12:13], v[3:4], v[12:13]
	s_waitcnt vmcnt(0)
	v_fma_f64 v[3:4], v[3:4], v[14:15], v[16:17]
	v_fma_f64 v[1:2], v[1:2], v[14:15], -v[12:13]
	v_add_f64 v[3:4], v[3:4], 0
	v_add_f64 v[1:2], v[1:2], 0
	s_waitcnt lgkmcnt(0)
	v_mul_f64 v[12:13], v[3:4], v[8:9]
	v_mul_f64 v[8:9], v[1:2], v[8:9]
	v_fma_f64 v[1:2], v[1:2], v[6:7], -v[12:13]
	v_fma_f64 v[3:4], v[3:4], v[6:7], v[8:9]
	buffer_store_dword v1, off, s[0:3], 0 offset:32
	buffer_store_dword v2, off, s[0:3], 0 offset:36
	;; [unrolled: 1-line block ×4, first 2 shown]
.LBB39_19:
	s_or_b32 exec_lo, exec_lo, s5
	v_mov_b32_e32 v4, s50
	s_waitcnt_vscnt null, 0x0
	s_barrier
	buffer_gl0_inv
	s_mov_b32 s5, exec_lo
	s_clause 0x3
	buffer_load_dword v1, v4, s[0:3], 0 offen
	buffer_load_dword v2, v4, s[0:3], 0 offen offset:4
	buffer_load_dword v3, v4, s[0:3], 0 offen offset:8
	;; [unrolled: 1-line block ×3, first 2 shown]
	s_waitcnt vmcnt(0)
	ds_write_b128 v5, v[1:4]
	s_waitcnt lgkmcnt(0)
	s_barrier
	buffer_gl0_inv
	v_cmpx_gt_u32_e32 2, v0
	s_cbranch_execz .LBB39_23
; %bb.20:
	s_clause 0x3
	buffer_load_dword v6, v11, s[0:3], 0 offen offset:8
	buffer_load_dword v7, v11, s[0:3], 0 offen offset:12
	buffer_load_dword v8, v11, s[0:3], 0 offen
	buffer_load_dword v9, v11, s[0:3], 0 offen offset:4
	ds_read_b128 v[1:4], v5
	s_waitcnt vmcnt(2) lgkmcnt(0)
	v_mul_f64 v[10:11], v[3:4], v[6:7]
	v_mul_f64 v[6:7], v[1:2], v[6:7]
	s_waitcnt vmcnt(0)
	v_fma_f64 v[1:2], v[1:2], v[8:9], -v[10:11]
	v_fma_f64 v[3:4], v[3:4], v[8:9], v[6:7]
	v_add_f64 v[1:2], v[1:2], 0
	v_add_f64 v[3:4], v[3:4], 0
	s_and_saveexec_b32 s53, s4
	s_cbranch_execz .LBB39_22
; %bb.21:
	s_clause 0x3
	buffer_load_dword v10, off, s[0:3], 0 offset:40
	buffer_load_dword v11, off, s[0:3], 0 offset:44
	;; [unrolled: 1-line block ×4, first 2 shown]
	v_mov_b32_e32 v6, 0
	ds_read_b128 v[6:9], v6 offset:656
	s_waitcnt vmcnt(2) lgkmcnt(0)
	v_mul_f64 v[14:15], v[6:7], v[10:11]
	v_mul_f64 v[10:11], v[8:9], v[10:11]
	s_waitcnt vmcnt(0)
	v_fma_f64 v[8:9], v[8:9], v[12:13], v[14:15]
	v_fma_f64 v[6:7], v[6:7], v[12:13], -v[10:11]
	v_add_f64 v[3:4], v[3:4], v[8:9]
	v_add_f64 v[1:2], v[1:2], v[6:7]
.LBB39_22:
	s_or_b32 exec_lo, exec_lo, s53
	v_mov_b32_e32 v6, 0
	ds_read_b128 v[6:9], v6 offset:32
	s_waitcnt lgkmcnt(0)
	v_mul_f64 v[10:11], v[3:4], v[8:9]
	v_mul_f64 v[8:9], v[1:2], v[8:9]
	v_fma_f64 v[1:2], v[1:2], v[6:7], -v[10:11]
	v_fma_f64 v[3:4], v[3:4], v[6:7], v[8:9]
	buffer_store_dword v2, off, s[0:3], 0 offset:52
	buffer_store_dword v1, off, s[0:3], 0 offset:48
	;; [unrolled: 1-line block ×4, first 2 shown]
.LBB39_23:
	s_or_b32 exec_lo, exec_lo, s5
	v_mov_b32_e32 v4, s49
	s_waitcnt_vscnt null, 0x0
	s_barrier
	buffer_gl0_inv
	v_add_nc_u32_e32 v6, -1, v0
	s_clause 0x3
	buffer_load_dword v1, v4, s[0:3], 0 offen
	buffer_load_dword v2, v4, s[0:3], 0 offen offset:4
	buffer_load_dword v3, v4, s[0:3], 0 offen offset:8
	;; [unrolled: 1-line block ×3, first 2 shown]
	s_mov_b32 s4, exec_lo
	s_waitcnt vmcnt(0)
	ds_write_b128 v5, v[1:4]
	s_waitcnt lgkmcnt(0)
	s_barrier
	buffer_gl0_inv
	v_cmpx_gt_u32_e32 3, v0
	s_cbranch_execz .LBB39_27
; %bb.24:
	v_mov_b32_e32 v1, 0
	v_mov_b32_e32 v3, 0
	v_add_nc_u32_e32 v7, -1, v0
	v_add_nc_u32_e32 v8, 0x280, v137
	v_mov_b32_e32 v2, 0
	v_mov_b32_e32 v4, 0
	v_add_nc_u32_e32 v9, 16, v137
	s_mov_b32 s5, 0
	.p2align	6
.LBB39_25:                              ; =>This Inner Loop Header: Depth=1
	s_clause 0x3
	buffer_load_dword v14, v9, s[0:3], 0 offen offset:8
	buffer_load_dword v15, v9, s[0:3], 0 offen offset:12
	buffer_load_dword v16, v9, s[0:3], 0 offen
	buffer_load_dword v17, v9, s[0:3], 0 offen offset:4
	ds_read_b128 v[10:13], v8
	v_add_nc_u32_e32 v7, 1, v7
	v_add_nc_u32_e32 v8, 16, v8
	v_add_nc_u32_e32 v9, 16, v9
	v_cmp_lt_u32_e32 vcc_lo, 1, v7
	s_or_b32 s5, vcc_lo, s5
	s_waitcnt vmcnt(2) lgkmcnt(0)
	v_mul_f64 v[18:19], v[12:13], v[14:15]
	v_mul_f64 v[14:15], v[10:11], v[14:15]
	s_waitcnt vmcnt(0)
	v_fma_f64 v[10:11], v[10:11], v[16:17], -v[18:19]
	v_fma_f64 v[12:13], v[12:13], v[16:17], v[14:15]
	v_add_f64 v[3:4], v[3:4], v[10:11]
	v_add_f64 v[1:2], v[1:2], v[12:13]
	s_andn2_b32 exec_lo, exec_lo, s5
	s_cbranch_execnz .LBB39_25
; %bb.26:
	s_or_b32 exec_lo, exec_lo, s5
	v_mov_b32_e32 v7, 0
	ds_read_b128 v[7:10], v7 offset:48
	s_waitcnt lgkmcnt(0)
	v_mul_f64 v[11:12], v[1:2], v[9:10]
	v_mul_f64 v[9:10], v[3:4], v[9:10]
	v_fma_f64 v[3:4], v[3:4], v[7:8], -v[11:12]
	v_fma_f64 v[1:2], v[1:2], v[7:8], v[9:10]
	buffer_store_dword v4, off, s[0:3], 0 offset:68
	buffer_store_dword v3, off, s[0:3], 0 offset:64
	;; [unrolled: 1-line block ×4, first 2 shown]
.LBB39_27:
	s_or_b32 exec_lo, exec_lo, s4
	v_mov_b32_e32 v4, s48
	s_waitcnt_vscnt null, 0x0
	s_barrier
	buffer_gl0_inv
	s_mov_b32 s4, exec_lo
	s_clause 0x3
	buffer_load_dword v1, v4, s[0:3], 0 offen
	buffer_load_dword v2, v4, s[0:3], 0 offen offset:4
	buffer_load_dword v3, v4, s[0:3], 0 offen offset:8
	;; [unrolled: 1-line block ×3, first 2 shown]
	s_waitcnt vmcnt(0)
	ds_write_b128 v5, v[1:4]
	s_waitcnt lgkmcnt(0)
	s_barrier
	buffer_gl0_inv
	v_cmpx_gt_u32_e32 4, v0
	s_cbranch_execz .LBB39_31
; %bb.28:
	v_mov_b32_e32 v1, 0
	v_mov_b32_e32 v3, 0
	v_add_nc_u32_e32 v7, -1, v0
	v_add_nc_u32_e32 v8, 0x280, v137
	v_mov_b32_e32 v2, 0
	v_mov_b32_e32 v4, 0
	v_add_nc_u32_e32 v9, 16, v137
	s_mov_b32 s5, 0
	.p2align	6
.LBB39_29:                              ; =>This Inner Loop Header: Depth=1
	s_clause 0x3
	buffer_load_dword v14, v9, s[0:3], 0 offen offset:8
	buffer_load_dword v15, v9, s[0:3], 0 offen offset:12
	buffer_load_dword v16, v9, s[0:3], 0 offen
	buffer_load_dword v17, v9, s[0:3], 0 offen offset:4
	ds_read_b128 v[10:13], v8
	v_add_nc_u32_e32 v7, 1, v7
	v_add_nc_u32_e32 v8, 16, v8
	;; [unrolled: 1-line block ×3, first 2 shown]
	v_cmp_lt_u32_e32 vcc_lo, 2, v7
	s_or_b32 s5, vcc_lo, s5
	s_waitcnt vmcnt(2) lgkmcnt(0)
	v_mul_f64 v[18:19], v[12:13], v[14:15]
	v_mul_f64 v[14:15], v[10:11], v[14:15]
	s_waitcnt vmcnt(0)
	v_fma_f64 v[10:11], v[10:11], v[16:17], -v[18:19]
	v_fma_f64 v[12:13], v[12:13], v[16:17], v[14:15]
	v_add_f64 v[3:4], v[3:4], v[10:11]
	v_add_f64 v[1:2], v[1:2], v[12:13]
	s_andn2_b32 exec_lo, exec_lo, s5
	s_cbranch_execnz .LBB39_29
; %bb.30:
	s_or_b32 exec_lo, exec_lo, s5
	v_mov_b32_e32 v7, 0
	ds_read_b128 v[7:10], v7 offset:64
	s_waitcnt lgkmcnt(0)
	v_mul_f64 v[11:12], v[1:2], v[9:10]
	v_mul_f64 v[9:10], v[3:4], v[9:10]
	v_fma_f64 v[3:4], v[3:4], v[7:8], -v[11:12]
	v_fma_f64 v[1:2], v[1:2], v[7:8], v[9:10]
	buffer_store_dword v4, off, s[0:3], 0 offset:84
	buffer_store_dword v3, off, s[0:3], 0 offset:80
	buffer_store_dword v2, off, s[0:3], 0 offset:92
	buffer_store_dword v1, off, s[0:3], 0 offset:88
.LBB39_31:
	s_or_b32 exec_lo, exec_lo, s4
	v_mov_b32_e32 v4, s47
	s_waitcnt_vscnt null, 0x0
	s_barrier
	buffer_gl0_inv
	s_mov_b32 s4, exec_lo
	s_clause 0x3
	buffer_load_dword v1, v4, s[0:3], 0 offen
	buffer_load_dword v2, v4, s[0:3], 0 offen offset:4
	buffer_load_dword v3, v4, s[0:3], 0 offen offset:8
	;; [unrolled: 1-line block ×3, first 2 shown]
	s_waitcnt vmcnt(0)
	ds_write_b128 v5, v[1:4]
	s_waitcnt lgkmcnt(0)
	s_barrier
	buffer_gl0_inv
	v_cmpx_gt_u32_e32 5, v0
	s_cbranch_execz .LBB39_35
; %bb.32:
	v_mov_b32_e32 v1, 0
	v_mov_b32_e32 v3, 0
	v_add_nc_u32_e32 v7, -1, v0
	v_add_nc_u32_e32 v8, 0x280, v137
	v_mov_b32_e32 v2, 0
	v_mov_b32_e32 v4, 0
	v_add_nc_u32_e32 v9, 16, v137
	s_mov_b32 s5, 0
	.p2align	6
.LBB39_33:                              ; =>This Inner Loop Header: Depth=1
	s_clause 0x3
	buffer_load_dword v14, v9, s[0:3], 0 offen offset:8
	buffer_load_dword v15, v9, s[0:3], 0 offen offset:12
	buffer_load_dword v16, v9, s[0:3], 0 offen
	buffer_load_dword v17, v9, s[0:3], 0 offen offset:4
	ds_read_b128 v[10:13], v8
	v_add_nc_u32_e32 v7, 1, v7
	v_add_nc_u32_e32 v8, 16, v8
	v_add_nc_u32_e32 v9, 16, v9
	v_cmp_lt_u32_e32 vcc_lo, 3, v7
	s_or_b32 s5, vcc_lo, s5
	s_waitcnt vmcnt(2) lgkmcnt(0)
	v_mul_f64 v[18:19], v[12:13], v[14:15]
	v_mul_f64 v[14:15], v[10:11], v[14:15]
	s_waitcnt vmcnt(0)
	v_fma_f64 v[10:11], v[10:11], v[16:17], -v[18:19]
	v_fma_f64 v[12:13], v[12:13], v[16:17], v[14:15]
	v_add_f64 v[3:4], v[3:4], v[10:11]
	v_add_f64 v[1:2], v[1:2], v[12:13]
	s_andn2_b32 exec_lo, exec_lo, s5
	s_cbranch_execnz .LBB39_33
; %bb.34:
	s_or_b32 exec_lo, exec_lo, s5
	v_mov_b32_e32 v7, 0
	ds_read_b128 v[7:10], v7 offset:80
	s_waitcnt lgkmcnt(0)
	v_mul_f64 v[11:12], v[1:2], v[9:10]
	v_mul_f64 v[9:10], v[3:4], v[9:10]
	v_fma_f64 v[3:4], v[3:4], v[7:8], -v[11:12]
	v_fma_f64 v[1:2], v[1:2], v[7:8], v[9:10]
	buffer_store_dword v4, off, s[0:3], 0 offset:100
	buffer_store_dword v3, off, s[0:3], 0 offset:96
	;; [unrolled: 1-line block ×4, first 2 shown]
.LBB39_35:
	s_or_b32 exec_lo, exec_lo, s4
	v_mov_b32_e32 v4, s46
	s_waitcnt_vscnt null, 0x0
	s_barrier
	buffer_gl0_inv
	s_mov_b32 s4, exec_lo
	s_clause 0x3
	buffer_load_dword v1, v4, s[0:3], 0 offen
	buffer_load_dword v2, v4, s[0:3], 0 offen offset:4
	buffer_load_dword v3, v4, s[0:3], 0 offen offset:8
	;; [unrolled: 1-line block ×3, first 2 shown]
	s_waitcnt vmcnt(0)
	ds_write_b128 v5, v[1:4]
	s_waitcnt lgkmcnt(0)
	s_barrier
	buffer_gl0_inv
	v_cmpx_gt_u32_e32 6, v0
	s_cbranch_execz .LBB39_39
; %bb.36:
	v_mov_b32_e32 v1, 0
	v_mov_b32_e32 v3, 0
	v_add_nc_u32_e32 v7, -1, v0
	v_add_nc_u32_e32 v8, 0x280, v137
	v_mov_b32_e32 v2, 0
	v_mov_b32_e32 v4, 0
	v_add_nc_u32_e32 v9, 16, v137
	s_mov_b32 s5, 0
	.p2align	6
.LBB39_37:                              ; =>This Inner Loop Header: Depth=1
	s_clause 0x3
	buffer_load_dword v14, v9, s[0:3], 0 offen offset:8
	buffer_load_dword v15, v9, s[0:3], 0 offen offset:12
	buffer_load_dword v16, v9, s[0:3], 0 offen
	buffer_load_dword v17, v9, s[0:3], 0 offen offset:4
	ds_read_b128 v[10:13], v8
	v_add_nc_u32_e32 v7, 1, v7
	v_add_nc_u32_e32 v8, 16, v8
	;; [unrolled: 1-line block ×3, first 2 shown]
	v_cmp_lt_u32_e32 vcc_lo, 4, v7
	s_or_b32 s5, vcc_lo, s5
	s_waitcnt vmcnt(2) lgkmcnt(0)
	v_mul_f64 v[18:19], v[12:13], v[14:15]
	v_mul_f64 v[14:15], v[10:11], v[14:15]
	s_waitcnt vmcnt(0)
	v_fma_f64 v[10:11], v[10:11], v[16:17], -v[18:19]
	v_fma_f64 v[12:13], v[12:13], v[16:17], v[14:15]
	v_add_f64 v[3:4], v[3:4], v[10:11]
	v_add_f64 v[1:2], v[1:2], v[12:13]
	s_andn2_b32 exec_lo, exec_lo, s5
	s_cbranch_execnz .LBB39_37
; %bb.38:
	s_or_b32 exec_lo, exec_lo, s5
	v_mov_b32_e32 v7, 0
	ds_read_b128 v[7:10], v7 offset:96
	s_waitcnt lgkmcnt(0)
	v_mul_f64 v[11:12], v[1:2], v[9:10]
	v_mul_f64 v[9:10], v[3:4], v[9:10]
	v_fma_f64 v[3:4], v[3:4], v[7:8], -v[11:12]
	v_fma_f64 v[1:2], v[1:2], v[7:8], v[9:10]
	buffer_store_dword v4, off, s[0:3], 0 offset:116
	buffer_store_dword v3, off, s[0:3], 0 offset:112
	;; [unrolled: 1-line block ×4, first 2 shown]
.LBB39_39:
	s_or_b32 exec_lo, exec_lo, s4
	v_mov_b32_e32 v4, s45
	s_waitcnt_vscnt null, 0x0
	s_barrier
	buffer_gl0_inv
	s_mov_b32 s4, exec_lo
	s_clause 0x3
	buffer_load_dword v1, v4, s[0:3], 0 offen
	buffer_load_dword v2, v4, s[0:3], 0 offen offset:4
	buffer_load_dword v3, v4, s[0:3], 0 offen offset:8
	;; [unrolled: 1-line block ×3, first 2 shown]
	s_waitcnt vmcnt(0)
	ds_write_b128 v5, v[1:4]
	s_waitcnt lgkmcnt(0)
	s_barrier
	buffer_gl0_inv
	v_cmpx_gt_u32_e32 7, v0
	s_cbranch_execz .LBB39_43
; %bb.40:
	v_mov_b32_e32 v1, 0
	v_mov_b32_e32 v3, 0
	v_add_nc_u32_e32 v7, -1, v0
	v_add_nc_u32_e32 v8, 0x280, v137
	v_mov_b32_e32 v2, 0
	v_mov_b32_e32 v4, 0
	v_add_nc_u32_e32 v9, 16, v137
	s_mov_b32 s5, 0
	.p2align	6
.LBB39_41:                              ; =>This Inner Loop Header: Depth=1
	s_clause 0x3
	buffer_load_dword v14, v9, s[0:3], 0 offen offset:8
	buffer_load_dword v15, v9, s[0:3], 0 offen offset:12
	buffer_load_dword v16, v9, s[0:3], 0 offen
	buffer_load_dword v17, v9, s[0:3], 0 offen offset:4
	ds_read_b128 v[10:13], v8
	v_add_nc_u32_e32 v7, 1, v7
	v_add_nc_u32_e32 v8, 16, v8
	;; [unrolled: 1-line block ×3, first 2 shown]
	v_cmp_lt_u32_e32 vcc_lo, 5, v7
	s_or_b32 s5, vcc_lo, s5
	s_waitcnt vmcnt(2) lgkmcnt(0)
	v_mul_f64 v[18:19], v[12:13], v[14:15]
	v_mul_f64 v[14:15], v[10:11], v[14:15]
	s_waitcnt vmcnt(0)
	v_fma_f64 v[10:11], v[10:11], v[16:17], -v[18:19]
	v_fma_f64 v[12:13], v[12:13], v[16:17], v[14:15]
	v_add_f64 v[3:4], v[3:4], v[10:11]
	v_add_f64 v[1:2], v[1:2], v[12:13]
	s_andn2_b32 exec_lo, exec_lo, s5
	s_cbranch_execnz .LBB39_41
; %bb.42:
	s_or_b32 exec_lo, exec_lo, s5
	v_mov_b32_e32 v7, 0
	ds_read_b128 v[7:10], v7 offset:112
	s_waitcnt lgkmcnt(0)
	v_mul_f64 v[11:12], v[1:2], v[9:10]
	v_mul_f64 v[9:10], v[3:4], v[9:10]
	v_fma_f64 v[3:4], v[3:4], v[7:8], -v[11:12]
	v_fma_f64 v[1:2], v[1:2], v[7:8], v[9:10]
	buffer_store_dword v4, off, s[0:3], 0 offset:132
	buffer_store_dword v3, off, s[0:3], 0 offset:128
	;; [unrolled: 1-line block ×4, first 2 shown]
.LBB39_43:
	s_or_b32 exec_lo, exec_lo, s4
	v_mov_b32_e32 v4, s44
	s_waitcnt_vscnt null, 0x0
	s_barrier
	buffer_gl0_inv
	s_mov_b32 s4, exec_lo
	s_clause 0x3
	buffer_load_dword v1, v4, s[0:3], 0 offen
	buffer_load_dword v2, v4, s[0:3], 0 offen offset:4
	buffer_load_dword v3, v4, s[0:3], 0 offen offset:8
	buffer_load_dword v4, v4, s[0:3], 0 offen offset:12
	s_waitcnt vmcnt(0)
	ds_write_b128 v5, v[1:4]
	s_waitcnt lgkmcnt(0)
	s_barrier
	buffer_gl0_inv
	v_cmpx_gt_u32_e32 8, v0
	s_cbranch_execz .LBB39_47
; %bb.44:
	v_mov_b32_e32 v1, 0
	v_mov_b32_e32 v3, 0
	v_add_nc_u32_e32 v7, -1, v0
	v_add_nc_u32_e32 v8, 0x280, v137
	v_mov_b32_e32 v2, 0
	v_mov_b32_e32 v4, 0
	v_add_nc_u32_e32 v9, 16, v137
	s_mov_b32 s5, 0
	.p2align	6
.LBB39_45:                              ; =>This Inner Loop Header: Depth=1
	s_clause 0x3
	buffer_load_dword v14, v9, s[0:3], 0 offen offset:8
	buffer_load_dword v15, v9, s[0:3], 0 offen offset:12
	buffer_load_dword v16, v9, s[0:3], 0 offen
	buffer_load_dword v17, v9, s[0:3], 0 offen offset:4
	ds_read_b128 v[10:13], v8
	v_add_nc_u32_e32 v7, 1, v7
	v_add_nc_u32_e32 v8, 16, v8
	;; [unrolled: 1-line block ×3, first 2 shown]
	v_cmp_lt_u32_e32 vcc_lo, 6, v7
	s_or_b32 s5, vcc_lo, s5
	s_waitcnt vmcnt(2) lgkmcnt(0)
	v_mul_f64 v[18:19], v[12:13], v[14:15]
	v_mul_f64 v[14:15], v[10:11], v[14:15]
	s_waitcnt vmcnt(0)
	v_fma_f64 v[10:11], v[10:11], v[16:17], -v[18:19]
	v_fma_f64 v[12:13], v[12:13], v[16:17], v[14:15]
	v_add_f64 v[3:4], v[3:4], v[10:11]
	v_add_f64 v[1:2], v[1:2], v[12:13]
	s_andn2_b32 exec_lo, exec_lo, s5
	s_cbranch_execnz .LBB39_45
; %bb.46:
	s_or_b32 exec_lo, exec_lo, s5
	v_mov_b32_e32 v7, 0
	ds_read_b128 v[7:10], v7 offset:128
	s_waitcnt lgkmcnt(0)
	v_mul_f64 v[11:12], v[1:2], v[9:10]
	v_mul_f64 v[9:10], v[3:4], v[9:10]
	v_fma_f64 v[3:4], v[3:4], v[7:8], -v[11:12]
	v_fma_f64 v[1:2], v[1:2], v[7:8], v[9:10]
	buffer_store_dword v4, off, s[0:3], 0 offset:148
	buffer_store_dword v3, off, s[0:3], 0 offset:144
	;; [unrolled: 1-line block ×4, first 2 shown]
.LBB39_47:
	s_or_b32 exec_lo, exec_lo, s4
	v_mov_b32_e32 v4, s43
	s_waitcnt_vscnt null, 0x0
	s_barrier
	buffer_gl0_inv
	s_mov_b32 s4, exec_lo
	s_clause 0x3
	buffer_load_dword v1, v4, s[0:3], 0 offen
	buffer_load_dword v2, v4, s[0:3], 0 offen offset:4
	buffer_load_dword v3, v4, s[0:3], 0 offen offset:8
	buffer_load_dword v4, v4, s[0:3], 0 offen offset:12
	s_waitcnt vmcnt(0)
	ds_write_b128 v5, v[1:4]
	s_waitcnt lgkmcnt(0)
	s_barrier
	buffer_gl0_inv
	v_cmpx_gt_u32_e32 9, v0
	s_cbranch_execz .LBB39_51
; %bb.48:
	v_mov_b32_e32 v1, 0
	v_mov_b32_e32 v3, 0
	v_add_nc_u32_e32 v7, -1, v0
	v_add_nc_u32_e32 v8, 0x280, v137
	v_mov_b32_e32 v2, 0
	v_mov_b32_e32 v4, 0
	v_add_nc_u32_e32 v9, 16, v137
	s_mov_b32 s5, 0
	.p2align	6
.LBB39_49:                              ; =>This Inner Loop Header: Depth=1
	s_clause 0x3
	buffer_load_dword v14, v9, s[0:3], 0 offen offset:8
	buffer_load_dword v15, v9, s[0:3], 0 offen offset:12
	buffer_load_dword v16, v9, s[0:3], 0 offen
	buffer_load_dword v17, v9, s[0:3], 0 offen offset:4
	ds_read_b128 v[10:13], v8
	v_add_nc_u32_e32 v7, 1, v7
	v_add_nc_u32_e32 v8, 16, v8
	;; [unrolled: 1-line block ×3, first 2 shown]
	v_cmp_lt_u32_e32 vcc_lo, 7, v7
	s_or_b32 s5, vcc_lo, s5
	s_waitcnt vmcnt(2) lgkmcnt(0)
	v_mul_f64 v[18:19], v[12:13], v[14:15]
	v_mul_f64 v[14:15], v[10:11], v[14:15]
	s_waitcnt vmcnt(0)
	v_fma_f64 v[10:11], v[10:11], v[16:17], -v[18:19]
	v_fma_f64 v[12:13], v[12:13], v[16:17], v[14:15]
	v_add_f64 v[3:4], v[3:4], v[10:11]
	v_add_f64 v[1:2], v[1:2], v[12:13]
	s_andn2_b32 exec_lo, exec_lo, s5
	s_cbranch_execnz .LBB39_49
; %bb.50:
	s_or_b32 exec_lo, exec_lo, s5
	v_mov_b32_e32 v7, 0
	ds_read_b128 v[7:10], v7 offset:144
	s_waitcnt lgkmcnt(0)
	v_mul_f64 v[11:12], v[1:2], v[9:10]
	v_mul_f64 v[9:10], v[3:4], v[9:10]
	v_fma_f64 v[3:4], v[3:4], v[7:8], -v[11:12]
	v_fma_f64 v[1:2], v[1:2], v[7:8], v[9:10]
	buffer_store_dword v4, off, s[0:3], 0 offset:164
	buffer_store_dword v3, off, s[0:3], 0 offset:160
	;; [unrolled: 1-line block ×4, first 2 shown]
.LBB39_51:
	s_or_b32 exec_lo, exec_lo, s4
	v_mov_b32_e32 v4, s42
	s_waitcnt_vscnt null, 0x0
	s_barrier
	buffer_gl0_inv
	s_mov_b32 s4, exec_lo
	s_clause 0x3
	buffer_load_dword v1, v4, s[0:3], 0 offen
	buffer_load_dword v2, v4, s[0:3], 0 offen offset:4
	buffer_load_dword v3, v4, s[0:3], 0 offen offset:8
	;; [unrolled: 1-line block ×3, first 2 shown]
	s_waitcnt vmcnt(0)
	ds_write_b128 v5, v[1:4]
	s_waitcnt lgkmcnt(0)
	s_barrier
	buffer_gl0_inv
	v_cmpx_gt_u32_e32 10, v0
	s_cbranch_execz .LBB39_55
; %bb.52:
	v_mov_b32_e32 v1, 0
	v_mov_b32_e32 v3, 0
	v_add_nc_u32_e32 v7, -1, v0
	v_add_nc_u32_e32 v8, 0x280, v137
	v_mov_b32_e32 v2, 0
	v_mov_b32_e32 v4, 0
	v_add_nc_u32_e32 v9, 16, v137
	s_mov_b32 s5, 0
	.p2align	6
.LBB39_53:                              ; =>This Inner Loop Header: Depth=1
	s_clause 0x3
	buffer_load_dword v14, v9, s[0:3], 0 offen offset:8
	buffer_load_dword v15, v9, s[0:3], 0 offen offset:12
	buffer_load_dword v16, v9, s[0:3], 0 offen
	buffer_load_dword v17, v9, s[0:3], 0 offen offset:4
	ds_read_b128 v[10:13], v8
	v_add_nc_u32_e32 v7, 1, v7
	v_add_nc_u32_e32 v8, 16, v8
	;; [unrolled: 1-line block ×3, first 2 shown]
	v_cmp_lt_u32_e32 vcc_lo, 8, v7
	s_or_b32 s5, vcc_lo, s5
	s_waitcnt vmcnt(2) lgkmcnt(0)
	v_mul_f64 v[18:19], v[12:13], v[14:15]
	v_mul_f64 v[14:15], v[10:11], v[14:15]
	s_waitcnt vmcnt(0)
	v_fma_f64 v[10:11], v[10:11], v[16:17], -v[18:19]
	v_fma_f64 v[12:13], v[12:13], v[16:17], v[14:15]
	v_add_f64 v[3:4], v[3:4], v[10:11]
	v_add_f64 v[1:2], v[1:2], v[12:13]
	s_andn2_b32 exec_lo, exec_lo, s5
	s_cbranch_execnz .LBB39_53
; %bb.54:
	s_or_b32 exec_lo, exec_lo, s5
	v_mov_b32_e32 v7, 0
	ds_read_b128 v[7:10], v7 offset:160
	s_waitcnt lgkmcnt(0)
	v_mul_f64 v[11:12], v[1:2], v[9:10]
	v_mul_f64 v[9:10], v[3:4], v[9:10]
	v_fma_f64 v[3:4], v[3:4], v[7:8], -v[11:12]
	v_fma_f64 v[1:2], v[1:2], v[7:8], v[9:10]
	buffer_store_dword v4, off, s[0:3], 0 offset:180
	buffer_store_dword v3, off, s[0:3], 0 offset:176
	;; [unrolled: 1-line block ×4, first 2 shown]
.LBB39_55:
	s_or_b32 exec_lo, exec_lo, s4
	v_mov_b32_e32 v4, s41
	s_waitcnt_vscnt null, 0x0
	s_barrier
	buffer_gl0_inv
	s_mov_b32 s4, exec_lo
	s_clause 0x3
	buffer_load_dword v1, v4, s[0:3], 0 offen
	buffer_load_dword v2, v4, s[0:3], 0 offen offset:4
	buffer_load_dword v3, v4, s[0:3], 0 offen offset:8
	;; [unrolled: 1-line block ×3, first 2 shown]
	s_waitcnt vmcnt(0)
	ds_write_b128 v5, v[1:4]
	s_waitcnt lgkmcnt(0)
	s_barrier
	buffer_gl0_inv
	v_cmpx_gt_u32_e32 11, v0
	s_cbranch_execz .LBB39_59
; %bb.56:
	v_mov_b32_e32 v1, 0
	v_mov_b32_e32 v3, 0
	v_add_nc_u32_e32 v7, -1, v0
	v_add_nc_u32_e32 v8, 0x280, v137
	v_mov_b32_e32 v2, 0
	v_mov_b32_e32 v4, 0
	v_add_nc_u32_e32 v9, 16, v137
	s_mov_b32 s5, 0
	.p2align	6
.LBB39_57:                              ; =>This Inner Loop Header: Depth=1
	s_clause 0x3
	buffer_load_dword v14, v9, s[0:3], 0 offen offset:8
	buffer_load_dword v15, v9, s[0:3], 0 offen offset:12
	buffer_load_dword v16, v9, s[0:3], 0 offen
	buffer_load_dword v17, v9, s[0:3], 0 offen offset:4
	ds_read_b128 v[10:13], v8
	v_add_nc_u32_e32 v7, 1, v7
	v_add_nc_u32_e32 v8, 16, v8
	;; [unrolled: 1-line block ×3, first 2 shown]
	v_cmp_lt_u32_e32 vcc_lo, 9, v7
	s_or_b32 s5, vcc_lo, s5
	s_waitcnt vmcnt(2) lgkmcnt(0)
	v_mul_f64 v[18:19], v[12:13], v[14:15]
	v_mul_f64 v[14:15], v[10:11], v[14:15]
	s_waitcnt vmcnt(0)
	v_fma_f64 v[10:11], v[10:11], v[16:17], -v[18:19]
	v_fma_f64 v[12:13], v[12:13], v[16:17], v[14:15]
	v_add_f64 v[3:4], v[3:4], v[10:11]
	v_add_f64 v[1:2], v[1:2], v[12:13]
	s_andn2_b32 exec_lo, exec_lo, s5
	s_cbranch_execnz .LBB39_57
; %bb.58:
	s_or_b32 exec_lo, exec_lo, s5
	v_mov_b32_e32 v7, 0
	ds_read_b128 v[7:10], v7 offset:176
	s_waitcnt lgkmcnt(0)
	v_mul_f64 v[11:12], v[1:2], v[9:10]
	v_mul_f64 v[9:10], v[3:4], v[9:10]
	v_fma_f64 v[3:4], v[3:4], v[7:8], -v[11:12]
	v_fma_f64 v[1:2], v[1:2], v[7:8], v[9:10]
	buffer_store_dword v4, off, s[0:3], 0 offset:196
	buffer_store_dword v3, off, s[0:3], 0 offset:192
	;; [unrolled: 1-line block ×4, first 2 shown]
.LBB39_59:
	s_or_b32 exec_lo, exec_lo, s4
	v_mov_b32_e32 v4, s40
	s_waitcnt_vscnt null, 0x0
	s_barrier
	buffer_gl0_inv
	s_mov_b32 s4, exec_lo
	s_clause 0x3
	buffer_load_dword v1, v4, s[0:3], 0 offen
	buffer_load_dword v2, v4, s[0:3], 0 offen offset:4
	buffer_load_dword v3, v4, s[0:3], 0 offen offset:8
	;; [unrolled: 1-line block ×3, first 2 shown]
	s_waitcnt vmcnt(0)
	ds_write_b128 v5, v[1:4]
	s_waitcnt lgkmcnt(0)
	s_barrier
	buffer_gl0_inv
	v_cmpx_gt_u32_e32 12, v0
	s_cbranch_execz .LBB39_63
; %bb.60:
	v_mov_b32_e32 v1, 0
	v_mov_b32_e32 v3, 0
	v_add_nc_u32_e32 v7, -1, v0
	v_add_nc_u32_e32 v8, 0x280, v137
	v_mov_b32_e32 v2, 0
	v_mov_b32_e32 v4, 0
	v_add_nc_u32_e32 v9, 16, v137
	s_mov_b32 s5, 0
	.p2align	6
.LBB39_61:                              ; =>This Inner Loop Header: Depth=1
	s_clause 0x3
	buffer_load_dword v14, v9, s[0:3], 0 offen offset:8
	buffer_load_dword v15, v9, s[0:3], 0 offen offset:12
	buffer_load_dword v16, v9, s[0:3], 0 offen
	buffer_load_dword v17, v9, s[0:3], 0 offen offset:4
	ds_read_b128 v[10:13], v8
	v_add_nc_u32_e32 v7, 1, v7
	v_add_nc_u32_e32 v8, 16, v8
	;; [unrolled: 1-line block ×3, first 2 shown]
	v_cmp_lt_u32_e32 vcc_lo, 10, v7
	s_or_b32 s5, vcc_lo, s5
	s_waitcnt vmcnt(2) lgkmcnt(0)
	v_mul_f64 v[18:19], v[12:13], v[14:15]
	v_mul_f64 v[14:15], v[10:11], v[14:15]
	s_waitcnt vmcnt(0)
	v_fma_f64 v[10:11], v[10:11], v[16:17], -v[18:19]
	v_fma_f64 v[12:13], v[12:13], v[16:17], v[14:15]
	v_add_f64 v[3:4], v[3:4], v[10:11]
	v_add_f64 v[1:2], v[1:2], v[12:13]
	s_andn2_b32 exec_lo, exec_lo, s5
	s_cbranch_execnz .LBB39_61
; %bb.62:
	s_or_b32 exec_lo, exec_lo, s5
	v_mov_b32_e32 v7, 0
	ds_read_b128 v[7:10], v7 offset:192
	s_waitcnt lgkmcnt(0)
	v_mul_f64 v[11:12], v[1:2], v[9:10]
	v_mul_f64 v[9:10], v[3:4], v[9:10]
	v_fma_f64 v[3:4], v[3:4], v[7:8], -v[11:12]
	v_fma_f64 v[1:2], v[1:2], v[7:8], v[9:10]
	buffer_store_dword v4, off, s[0:3], 0 offset:212
	buffer_store_dword v3, off, s[0:3], 0 offset:208
	;; [unrolled: 1-line block ×4, first 2 shown]
.LBB39_63:
	s_or_b32 exec_lo, exec_lo, s4
	v_mov_b32_e32 v4, s39
	s_waitcnt_vscnt null, 0x0
	s_barrier
	buffer_gl0_inv
	s_mov_b32 s4, exec_lo
	s_clause 0x3
	buffer_load_dword v1, v4, s[0:3], 0 offen
	buffer_load_dword v2, v4, s[0:3], 0 offen offset:4
	buffer_load_dword v3, v4, s[0:3], 0 offen offset:8
	;; [unrolled: 1-line block ×3, first 2 shown]
	s_waitcnt vmcnt(0)
	ds_write_b128 v5, v[1:4]
	s_waitcnt lgkmcnt(0)
	s_barrier
	buffer_gl0_inv
	v_cmpx_gt_u32_e32 13, v0
	s_cbranch_execz .LBB39_67
; %bb.64:
	v_mov_b32_e32 v1, 0
	v_mov_b32_e32 v3, 0
	v_add_nc_u32_e32 v7, -1, v0
	v_add_nc_u32_e32 v8, 0x280, v137
	v_mov_b32_e32 v2, 0
	v_mov_b32_e32 v4, 0
	v_add_nc_u32_e32 v9, 16, v137
	s_mov_b32 s5, 0
	.p2align	6
.LBB39_65:                              ; =>This Inner Loop Header: Depth=1
	s_clause 0x3
	buffer_load_dword v14, v9, s[0:3], 0 offen offset:8
	buffer_load_dword v15, v9, s[0:3], 0 offen offset:12
	buffer_load_dword v16, v9, s[0:3], 0 offen
	buffer_load_dword v17, v9, s[0:3], 0 offen offset:4
	ds_read_b128 v[10:13], v8
	v_add_nc_u32_e32 v7, 1, v7
	v_add_nc_u32_e32 v8, 16, v8
	;; [unrolled: 1-line block ×3, first 2 shown]
	v_cmp_lt_u32_e32 vcc_lo, 11, v7
	s_or_b32 s5, vcc_lo, s5
	s_waitcnt vmcnt(2) lgkmcnt(0)
	v_mul_f64 v[18:19], v[12:13], v[14:15]
	v_mul_f64 v[14:15], v[10:11], v[14:15]
	s_waitcnt vmcnt(0)
	v_fma_f64 v[10:11], v[10:11], v[16:17], -v[18:19]
	v_fma_f64 v[12:13], v[12:13], v[16:17], v[14:15]
	v_add_f64 v[3:4], v[3:4], v[10:11]
	v_add_f64 v[1:2], v[1:2], v[12:13]
	s_andn2_b32 exec_lo, exec_lo, s5
	s_cbranch_execnz .LBB39_65
; %bb.66:
	s_or_b32 exec_lo, exec_lo, s5
	v_mov_b32_e32 v7, 0
	ds_read_b128 v[7:10], v7 offset:208
	s_waitcnt lgkmcnt(0)
	v_mul_f64 v[11:12], v[1:2], v[9:10]
	v_mul_f64 v[9:10], v[3:4], v[9:10]
	v_fma_f64 v[3:4], v[3:4], v[7:8], -v[11:12]
	v_fma_f64 v[1:2], v[1:2], v[7:8], v[9:10]
	buffer_store_dword v4, off, s[0:3], 0 offset:228
	buffer_store_dword v3, off, s[0:3], 0 offset:224
	;; [unrolled: 1-line block ×4, first 2 shown]
.LBB39_67:
	s_or_b32 exec_lo, exec_lo, s4
	v_mov_b32_e32 v4, s38
	s_waitcnt_vscnt null, 0x0
	s_barrier
	buffer_gl0_inv
	s_mov_b32 s4, exec_lo
	s_clause 0x3
	buffer_load_dword v1, v4, s[0:3], 0 offen
	buffer_load_dword v2, v4, s[0:3], 0 offen offset:4
	buffer_load_dword v3, v4, s[0:3], 0 offen offset:8
	;; [unrolled: 1-line block ×3, first 2 shown]
	s_waitcnt vmcnt(0)
	ds_write_b128 v5, v[1:4]
	s_waitcnt lgkmcnt(0)
	s_barrier
	buffer_gl0_inv
	v_cmpx_gt_u32_e32 14, v0
	s_cbranch_execz .LBB39_71
; %bb.68:
	v_mov_b32_e32 v1, 0
	v_mov_b32_e32 v3, 0
	v_add_nc_u32_e32 v7, -1, v0
	v_add_nc_u32_e32 v8, 0x280, v137
	v_mov_b32_e32 v2, 0
	v_mov_b32_e32 v4, 0
	v_add_nc_u32_e32 v9, 16, v137
	s_mov_b32 s5, 0
	.p2align	6
.LBB39_69:                              ; =>This Inner Loop Header: Depth=1
	s_clause 0x3
	buffer_load_dword v14, v9, s[0:3], 0 offen offset:8
	buffer_load_dword v15, v9, s[0:3], 0 offen offset:12
	buffer_load_dword v16, v9, s[0:3], 0 offen
	buffer_load_dword v17, v9, s[0:3], 0 offen offset:4
	ds_read_b128 v[10:13], v8
	v_add_nc_u32_e32 v7, 1, v7
	v_add_nc_u32_e32 v8, 16, v8
	;; [unrolled: 1-line block ×3, first 2 shown]
	v_cmp_lt_u32_e32 vcc_lo, 12, v7
	s_or_b32 s5, vcc_lo, s5
	s_waitcnt vmcnt(2) lgkmcnt(0)
	v_mul_f64 v[18:19], v[12:13], v[14:15]
	v_mul_f64 v[14:15], v[10:11], v[14:15]
	s_waitcnt vmcnt(0)
	v_fma_f64 v[10:11], v[10:11], v[16:17], -v[18:19]
	v_fma_f64 v[12:13], v[12:13], v[16:17], v[14:15]
	v_add_f64 v[3:4], v[3:4], v[10:11]
	v_add_f64 v[1:2], v[1:2], v[12:13]
	s_andn2_b32 exec_lo, exec_lo, s5
	s_cbranch_execnz .LBB39_69
; %bb.70:
	s_or_b32 exec_lo, exec_lo, s5
	v_mov_b32_e32 v7, 0
	ds_read_b128 v[7:10], v7 offset:224
	s_waitcnt lgkmcnt(0)
	v_mul_f64 v[11:12], v[1:2], v[9:10]
	v_mul_f64 v[9:10], v[3:4], v[9:10]
	v_fma_f64 v[3:4], v[3:4], v[7:8], -v[11:12]
	v_fma_f64 v[1:2], v[1:2], v[7:8], v[9:10]
	buffer_store_dword v4, off, s[0:3], 0 offset:244
	buffer_store_dword v3, off, s[0:3], 0 offset:240
	;; [unrolled: 1-line block ×4, first 2 shown]
.LBB39_71:
	s_or_b32 exec_lo, exec_lo, s4
	v_mov_b32_e32 v4, s37
	s_waitcnt_vscnt null, 0x0
	s_barrier
	buffer_gl0_inv
	s_mov_b32 s4, exec_lo
	s_clause 0x3
	buffer_load_dword v1, v4, s[0:3], 0 offen
	buffer_load_dword v2, v4, s[0:3], 0 offen offset:4
	buffer_load_dword v3, v4, s[0:3], 0 offen offset:8
	buffer_load_dword v4, v4, s[0:3], 0 offen offset:12
	s_waitcnt vmcnt(0)
	ds_write_b128 v5, v[1:4]
	s_waitcnt lgkmcnt(0)
	s_barrier
	buffer_gl0_inv
	v_cmpx_gt_u32_e32 15, v0
	s_cbranch_execz .LBB39_75
; %bb.72:
	v_mov_b32_e32 v1, 0
	v_mov_b32_e32 v3, 0
	v_add_nc_u32_e32 v7, -1, v0
	v_add_nc_u32_e32 v8, 0x280, v137
	v_mov_b32_e32 v2, 0
	v_mov_b32_e32 v4, 0
	v_add_nc_u32_e32 v9, 16, v137
	s_mov_b32 s5, 0
	.p2align	6
.LBB39_73:                              ; =>This Inner Loop Header: Depth=1
	s_clause 0x3
	buffer_load_dword v14, v9, s[0:3], 0 offen offset:8
	buffer_load_dword v15, v9, s[0:3], 0 offen offset:12
	buffer_load_dword v16, v9, s[0:3], 0 offen
	buffer_load_dword v17, v9, s[0:3], 0 offen offset:4
	ds_read_b128 v[10:13], v8
	v_add_nc_u32_e32 v7, 1, v7
	v_add_nc_u32_e32 v8, 16, v8
	;; [unrolled: 1-line block ×3, first 2 shown]
	v_cmp_lt_u32_e32 vcc_lo, 13, v7
	s_or_b32 s5, vcc_lo, s5
	s_waitcnt vmcnt(2) lgkmcnt(0)
	v_mul_f64 v[18:19], v[12:13], v[14:15]
	v_mul_f64 v[14:15], v[10:11], v[14:15]
	s_waitcnt vmcnt(0)
	v_fma_f64 v[10:11], v[10:11], v[16:17], -v[18:19]
	v_fma_f64 v[12:13], v[12:13], v[16:17], v[14:15]
	v_add_f64 v[3:4], v[3:4], v[10:11]
	v_add_f64 v[1:2], v[1:2], v[12:13]
	s_andn2_b32 exec_lo, exec_lo, s5
	s_cbranch_execnz .LBB39_73
; %bb.74:
	s_or_b32 exec_lo, exec_lo, s5
	v_mov_b32_e32 v7, 0
	ds_read_b128 v[7:10], v7 offset:240
	s_waitcnt lgkmcnt(0)
	v_mul_f64 v[11:12], v[1:2], v[9:10]
	v_mul_f64 v[9:10], v[3:4], v[9:10]
	v_fma_f64 v[3:4], v[3:4], v[7:8], -v[11:12]
	v_fma_f64 v[1:2], v[1:2], v[7:8], v[9:10]
	buffer_store_dword v4, off, s[0:3], 0 offset:260
	buffer_store_dword v3, off, s[0:3], 0 offset:256
	;; [unrolled: 1-line block ×4, first 2 shown]
.LBB39_75:
	s_or_b32 exec_lo, exec_lo, s4
	v_mov_b32_e32 v4, s36
	s_waitcnt_vscnt null, 0x0
	s_barrier
	buffer_gl0_inv
	s_mov_b32 s4, exec_lo
	s_clause 0x3
	buffer_load_dword v1, v4, s[0:3], 0 offen
	buffer_load_dword v2, v4, s[0:3], 0 offen offset:4
	buffer_load_dword v3, v4, s[0:3], 0 offen offset:8
	;; [unrolled: 1-line block ×3, first 2 shown]
	s_waitcnt vmcnt(0)
	ds_write_b128 v5, v[1:4]
	s_waitcnt lgkmcnt(0)
	s_barrier
	buffer_gl0_inv
	v_cmpx_gt_u32_e32 16, v0
	s_cbranch_execz .LBB39_79
; %bb.76:
	v_mov_b32_e32 v1, 0
	v_mov_b32_e32 v3, 0
	v_add_nc_u32_e32 v7, -1, v0
	v_add_nc_u32_e32 v8, 0x280, v137
	v_mov_b32_e32 v2, 0
	v_mov_b32_e32 v4, 0
	v_add_nc_u32_e32 v9, 16, v137
	s_mov_b32 s5, 0
	.p2align	6
.LBB39_77:                              ; =>This Inner Loop Header: Depth=1
	s_clause 0x3
	buffer_load_dword v14, v9, s[0:3], 0 offen offset:8
	buffer_load_dword v15, v9, s[0:3], 0 offen offset:12
	buffer_load_dword v16, v9, s[0:3], 0 offen
	buffer_load_dword v17, v9, s[0:3], 0 offen offset:4
	ds_read_b128 v[10:13], v8
	v_add_nc_u32_e32 v7, 1, v7
	v_add_nc_u32_e32 v8, 16, v8
	;; [unrolled: 1-line block ×3, first 2 shown]
	v_cmp_lt_u32_e32 vcc_lo, 14, v7
	s_or_b32 s5, vcc_lo, s5
	s_waitcnt vmcnt(2) lgkmcnt(0)
	v_mul_f64 v[18:19], v[12:13], v[14:15]
	v_mul_f64 v[14:15], v[10:11], v[14:15]
	s_waitcnt vmcnt(0)
	v_fma_f64 v[10:11], v[10:11], v[16:17], -v[18:19]
	v_fma_f64 v[12:13], v[12:13], v[16:17], v[14:15]
	v_add_f64 v[3:4], v[3:4], v[10:11]
	v_add_f64 v[1:2], v[1:2], v[12:13]
	s_andn2_b32 exec_lo, exec_lo, s5
	s_cbranch_execnz .LBB39_77
; %bb.78:
	s_or_b32 exec_lo, exec_lo, s5
	v_mov_b32_e32 v7, 0
	ds_read_b128 v[7:10], v7 offset:256
	s_waitcnt lgkmcnt(0)
	v_mul_f64 v[11:12], v[1:2], v[9:10]
	v_mul_f64 v[9:10], v[3:4], v[9:10]
	v_fma_f64 v[3:4], v[3:4], v[7:8], -v[11:12]
	v_fma_f64 v[1:2], v[1:2], v[7:8], v[9:10]
	buffer_store_dword v4, off, s[0:3], 0 offset:276
	buffer_store_dword v3, off, s[0:3], 0 offset:272
	;; [unrolled: 1-line block ×4, first 2 shown]
.LBB39_79:
	s_or_b32 exec_lo, exec_lo, s4
	v_mov_b32_e32 v4, s35
	s_waitcnt_vscnt null, 0x0
	s_barrier
	buffer_gl0_inv
	s_mov_b32 s4, exec_lo
	s_clause 0x3
	buffer_load_dword v1, v4, s[0:3], 0 offen
	buffer_load_dword v2, v4, s[0:3], 0 offen offset:4
	buffer_load_dword v3, v4, s[0:3], 0 offen offset:8
	;; [unrolled: 1-line block ×3, first 2 shown]
	s_waitcnt vmcnt(0)
	ds_write_b128 v5, v[1:4]
	s_waitcnt lgkmcnt(0)
	s_barrier
	buffer_gl0_inv
	v_cmpx_gt_u32_e32 17, v0
	s_cbranch_execz .LBB39_83
; %bb.80:
	v_mov_b32_e32 v1, 0
	v_mov_b32_e32 v3, 0
	v_add_nc_u32_e32 v7, -1, v0
	v_add_nc_u32_e32 v8, 0x280, v137
	v_mov_b32_e32 v2, 0
	v_mov_b32_e32 v4, 0
	v_add_nc_u32_e32 v9, 16, v137
	s_mov_b32 s5, 0
	.p2align	6
.LBB39_81:                              ; =>This Inner Loop Header: Depth=1
	s_clause 0x3
	buffer_load_dword v14, v9, s[0:3], 0 offen offset:8
	buffer_load_dword v15, v9, s[0:3], 0 offen offset:12
	buffer_load_dword v16, v9, s[0:3], 0 offen
	buffer_load_dword v17, v9, s[0:3], 0 offen offset:4
	ds_read_b128 v[10:13], v8
	v_add_nc_u32_e32 v7, 1, v7
	v_add_nc_u32_e32 v8, 16, v8
	;; [unrolled: 1-line block ×3, first 2 shown]
	v_cmp_lt_u32_e32 vcc_lo, 15, v7
	s_or_b32 s5, vcc_lo, s5
	s_waitcnt vmcnt(2) lgkmcnt(0)
	v_mul_f64 v[18:19], v[12:13], v[14:15]
	v_mul_f64 v[14:15], v[10:11], v[14:15]
	s_waitcnt vmcnt(0)
	v_fma_f64 v[10:11], v[10:11], v[16:17], -v[18:19]
	v_fma_f64 v[12:13], v[12:13], v[16:17], v[14:15]
	v_add_f64 v[3:4], v[3:4], v[10:11]
	v_add_f64 v[1:2], v[1:2], v[12:13]
	s_andn2_b32 exec_lo, exec_lo, s5
	s_cbranch_execnz .LBB39_81
; %bb.82:
	s_or_b32 exec_lo, exec_lo, s5
	v_mov_b32_e32 v7, 0
	ds_read_b128 v[7:10], v7 offset:272
	s_waitcnt lgkmcnt(0)
	v_mul_f64 v[11:12], v[1:2], v[9:10]
	v_mul_f64 v[9:10], v[3:4], v[9:10]
	v_fma_f64 v[3:4], v[3:4], v[7:8], -v[11:12]
	v_fma_f64 v[1:2], v[1:2], v[7:8], v[9:10]
	buffer_store_dword v4, off, s[0:3], 0 offset:292
	buffer_store_dword v3, off, s[0:3], 0 offset:288
	;; [unrolled: 1-line block ×4, first 2 shown]
.LBB39_83:
	s_or_b32 exec_lo, exec_lo, s4
	v_mov_b32_e32 v4, s34
	s_waitcnt_vscnt null, 0x0
	s_barrier
	buffer_gl0_inv
	s_mov_b32 s4, exec_lo
	s_clause 0x3
	buffer_load_dword v1, v4, s[0:3], 0 offen
	buffer_load_dword v2, v4, s[0:3], 0 offen offset:4
	buffer_load_dword v3, v4, s[0:3], 0 offen offset:8
	;; [unrolled: 1-line block ×3, first 2 shown]
	s_waitcnt vmcnt(0)
	ds_write_b128 v5, v[1:4]
	s_waitcnt lgkmcnt(0)
	s_barrier
	buffer_gl0_inv
	v_cmpx_gt_u32_e32 18, v0
	s_cbranch_execz .LBB39_87
; %bb.84:
	v_mov_b32_e32 v1, 0
	v_mov_b32_e32 v3, 0
	v_add_nc_u32_e32 v7, -1, v0
	v_add_nc_u32_e32 v8, 0x280, v137
	v_mov_b32_e32 v2, 0
	v_mov_b32_e32 v4, 0
	v_add_nc_u32_e32 v9, 16, v137
	s_mov_b32 s5, 0
	.p2align	6
.LBB39_85:                              ; =>This Inner Loop Header: Depth=1
	s_clause 0x3
	buffer_load_dword v14, v9, s[0:3], 0 offen offset:8
	buffer_load_dword v15, v9, s[0:3], 0 offen offset:12
	buffer_load_dword v16, v9, s[0:3], 0 offen
	buffer_load_dword v17, v9, s[0:3], 0 offen offset:4
	ds_read_b128 v[10:13], v8
	v_add_nc_u32_e32 v7, 1, v7
	v_add_nc_u32_e32 v8, 16, v8
	;; [unrolled: 1-line block ×3, first 2 shown]
	v_cmp_lt_u32_e32 vcc_lo, 16, v7
	s_or_b32 s5, vcc_lo, s5
	s_waitcnt vmcnt(2) lgkmcnt(0)
	v_mul_f64 v[18:19], v[12:13], v[14:15]
	v_mul_f64 v[14:15], v[10:11], v[14:15]
	s_waitcnt vmcnt(0)
	v_fma_f64 v[10:11], v[10:11], v[16:17], -v[18:19]
	v_fma_f64 v[12:13], v[12:13], v[16:17], v[14:15]
	v_add_f64 v[3:4], v[3:4], v[10:11]
	v_add_f64 v[1:2], v[1:2], v[12:13]
	s_andn2_b32 exec_lo, exec_lo, s5
	s_cbranch_execnz .LBB39_85
; %bb.86:
	s_or_b32 exec_lo, exec_lo, s5
	v_mov_b32_e32 v7, 0
	ds_read_b128 v[7:10], v7 offset:288
	s_waitcnt lgkmcnt(0)
	v_mul_f64 v[11:12], v[1:2], v[9:10]
	v_mul_f64 v[9:10], v[3:4], v[9:10]
	v_fma_f64 v[3:4], v[3:4], v[7:8], -v[11:12]
	v_fma_f64 v[1:2], v[1:2], v[7:8], v[9:10]
	buffer_store_dword v4, off, s[0:3], 0 offset:308
	buffer_store_dword v3, off, s[0:3], 0 offset:304
	;; [unrolled: 1-line block ×4, first 2 shown]
.LBB39_87:
	s_or_b32 exec_lo, exec_lo, s4
	v_mov_b32_e32 v4, s31
	s_waitcnt_vscnt null, 0x0
	s_barrier
	buffer_gl0_inv
	s_mov_b32 s4, exec_lo
	s_clause 0x3
	buffer_load_dword v1, v4, s[0:3], 0 offen
	buffer_load_dword v2, v4, s[0:3], 0 offen offset:4
	buffer_load_dword v3, v4, s[0:3], 0 offen offset:8
	;; [unrolled: 1-line block ×3, first 2 shown]
	s_waitcnt vmcnt(0)
	ds_write_b128 v5, v[1:4]
	s_waitcnt lgkmcnt(0)
	s_barrier
	buffer_gl0_inv
	v_cmpx_gt_u32_e32 19, v0
	s_cbranch_execz .LBB39_91
; %bb.88:
	v_mov_b32_e32 v1, 0
	v_mov_b32_e32 v3, 0
	v_add_nc_u32_e32 v7, -1, v0
	v_add_nc_u32_e32 v8, 0x280, v137
	v_mov_b32_e32 v2, 0
	v_mov_b32_e32 v4, 0
	v_add_nc_u32_e32 v9, 16, v137
	s_mov_b32 s5, 0
	.p2align	6
.LBB39_89:                              ; =>This Inner Loop Header: Depth=1
	s_clause 0x3
	buffer_load_dword v14, v9, s[0:3], 0 offen offset:8
	buffer_load_dword v15, v9, s[0:3], 0 offen offset:12
	buffer_load_dword v16, v9, s[0:3], 0 offen
	buffer_load_dword v17, v9, s[0:3], 0 offen offset:4
	ds_read_b128 v[10:13], v8
	v_add_nc_u32_e32 v7, 1, v7
	v_add_nc_u32_e32 v8, 16, v8
	;; [unrolled: 1-line block ×3, first 2 shown]
	v_cmp_lt_u32_e32 vcc_lo, 17, v7
	s_or_b32 s5, vcc_lo, s5
	s_waitcnt vmcnt(2) lgkmcnt(0)
	v_mul_f64 v[18:19], v[12:13], v[14:15]
	v_mul_f64 v[14:15], v[10:11], v[14:15]
	s_waitcnt vmcnt(0)
	v_fma_f64 v[10:11], v[10:11], v[16:17], -v[18:19]
	v_fma_f64 v[12:13], v[12:13], v[16:17], v[14:15]
	v_add_f64 v[3:4], v[3:4], v[10:11]
	v_add_f64 v[1:2], v[1:2], v[12:13]
	s_andn2_b32 exec_lo, exec_lo, s5
	s_cbranch_execnz .LBB39_89
; %bb.90:
	s_or_b32 exec_lo, exec_lo, s5
	v_mov_b32_e32 v7, 0
	ds_read_b128 v[7:10], v7 offset:304
	s_waitcnt lgkmcnt(0)
	v_mul_f64 v[11:12], v[1:2], v[9:10]
	v_mul_f64 v[9:10], v[3:4], v[9:10]
	v_fma_f64 v[3:4], v[3:4], v[7:8], -v[11:12]
	v_fma_f64 v[1:2], v[1:2], v[7:8], v[9:10]
	buffer_store_dword v4, off, s[0:3], 0 offset:324
	buffer_store_dword v3, off, s[0:3], 0 offset:320
	;; [unrolled: 1-line block ×4, first 2 shown]
.LBB39_91:
	s_or_b32 exec_lo, exec_lo, s4
	v_mov_b32_e32 v4, s29
	s_waitcnt_vscnt null, 0x0
	s_barrier
	buffer_gl0_inv
	s_mov_b32 s4, exec_lo
	s_clause 0x3
	buffer_load_dword v1, v4, s[0:3], 0 offen
	buffer_load_dword v2, v4, s[0:3], 0 offen offset:4
	buffer_load_dword v3, v4, s[0:3], 0 offen offset:8
	;; [unrolled: 1-line block ×3, first 2 shown]
	s_waitcnt vmcnt(0)
	ds_write_b128 v5, v[1:4]
	s_waitcnt lgkmcnt(0)
	s_barrier
	buffer_gl0_inv
	v_cmpx_gt_u32_e32 20, v0
	s_cbranch_execz .LBB39_95
; %bb.92:
	v_mov_b32_e32 v1, 0
	v_mov_b32_e32 v3, 0
	v_add_nc_u32_e32 v7, -1, v0
	v_add_nc_u32_e32 v8, 0x280, v137
	v_mov_b32_e32 v2, 0
	v_mov_b32_e32 v4, 0
	v_add_nc_u32_e32 v9, 16, v137
	s_mov_b32 s5, 0
	.p2align	6
.LBB39_93:                              ; =>This Inner Loop Header: Depth=1
	s_clause 0x3
	buffer_load_dword v14, v9, s[0:3], 0 offen offset:8
	buffer_load_dword v15, v9, s[0:3], 0 offen offset:12
	buffer_load_dword v16, v9, s[0:3], 0 offen
	buffer_load_dword v17, v9, s[0:3], 0 offen offset:4
	ds_read_b128 v[10:13], v8
	v_add_nc_u32_e32 v7, 1, v7
	v_add_nc_u32_e32 v8, 16, v8
	;; [unrolled: 1-line block ×3, first 2 shown]
	v_cmp_lt_u32_e32 vcc_lo, 18, v7
	s_or_b32 s5, vcc_lo, s5
	s_waitcnt vmcnt(2) lgkmcnt(0)
	v_mul_f64 v[18:19], v[12:13], v[14:15]
	v_mul_f64 v[14:15], v[10:11], v[14:15]
	s_waitcnt vmcnt(0)
	v_fma_f64 v[10:11], v[10:11], v[16:17], -v[18:19]
	v_fma_f64 v[12:13], v[12:13], v[16:17], v[14:15]
	v_add_f64 v[3:4], v[3:4], v[10:11]
	v_add_f64 v[1:2], v[1:2], v[12:13]
	s_andn2_b32 exec_lo, exec_lo, s5
	s_cbranch_execnz .LBB39_93
; %bb.94:
	s_or_b32 exec_lo, exec_lo, s5
	v_mov_b32_e32 v7, 0
	ds_read_b128 v[7:10], v7 offset:320
	s_waitcnt lgkmcnt(0)
	v_mul_f64 v[11:12], v[1:2], v[9:10]
	v_mul_f64 v[9:10], v[3:4], v[9:10]
	v_fma_f64 v[3:4], v[3:4], v[7:8], -v[11:12]
	v_fma_f64 v[1:2], v[1:2], v[7:8], v[9:10]
	buffer_store_dword v4, off, s[0:3], 0 offset:340
	buffer_store_dword v3, off, s[0:3], 0 offset:336
	;; [unrolled: 1-line block ×4, first 2 shown]
.LBB39_95:
	s_or_b32 exec_lo, exec_lo, s4
	v_mov_b32_e32 v4, s27
	s_waitcnt_vscnt null, 0x0
	s_barrier
	buffer_gl0_inv
	s_mov_b32 s4, exec_lo
	s_clause 0x3
	buffer_load_dword v1, v4, s[0:3], 0 offen
	buffer_load_dword v2, v4, s[0:3], 0 offen offset:4
	buffer_load_dword v3, v4, s[0:3], 0 offen offset:8
	;; [unrolled: 1-line block ×3, first 2 shown]
	s_waitcnt vmcnt(0)
	ds_write_b128 v5, v[1:4]
	s_waitcnt lgkmcnt(0)
	s_barrier
	buffer_gl0_inv
	v_cmpx_gt_u32_e32 21, v0
	s_cbranch_execz .LBB39_99
; %bb.96:
	v_mov_b32_e32 v1, 0
	v_mov_b32_e32 v3, 0
	v_add_nc_u32_e32 v7, -1, v0
	v_add_nc_u32_e32 v8, 0x280, v137
	v_mov_b32_e32 v2, 0
	v_mov_b32_e32 v4, 0
	v_add_nc_u32_e32 v9, 16, v137
	s_mov_b32 s5, 0
	.p2align	6
.LBB39_97:                              ; =>This Inner Loop Header: Depth=1
	s_clause 0x3
	buffer_load_dword v14, v9, s[0:3], 0 offen offset:8
	buffer_load_dword v15, v9, s[0:3], 0 offen offset:12
	buffer_load_dword v16, v9, s[0:3], 0 offen
	buffer_load_dword v17, v9, s[0:3], 0 offen offset:4
	ds_read_b128 v[10:13], v8
	v_add_nc_u32_e32 v7, 1, v7
	v_add_nc_u32_e32 v8, 16, v8
	;; [unrolled: 1-line block ×3, first 2 shown]
	v_cmp_lt_u32_e32 vcc_lo, 19, v7
	s_or_b32 s5, vcc_lo, s5
	s_waitcnt vmcnt(2) lgkmcnt(0)
	v_mul_f64 v[18:19], v[12:13], v[14:15]
	v_mul_f64 v[14:15], v[10:11], v[14:15]
	s_waitcnt vmcnt(0)
	v_fma_f64 v[10:11], v[10:11], v[16:17], -v[18:19]
	v_fma_f64 v[12:13], v[12:13], v[16:17], v[14:15]
	v_add_f64 v[3:4], v[3:4], v[10:11]
	v_add_f64 v[1:2], v[1:2], v[12:13]
	s_andn2_b32 exec_lo, exec_lo, s5
	s_cbranch_execnz .LBB39_97
; %bb.98:
	s_or_b32 exec_lo, exec_lo, s5
	v_mov_b32_e32 v7, 0
	ds_read_b128 v[7:10], v7 offset:336
	s_waitcnt lgkmcnt(0)
	v_mul_f64 v[11:12], v[1:2], v[9:10]
	v_mul_f64 v[9:10], v[3:4], v[9:10]
	v_fma_f64 v[3:4], v[3:4], v[7:8], -v[11:12]
	v_fma_f64 v[1:2], v[1:2], v[7:8], v[9:10]
	buffer_store_dword v4, off, s[0:3], 0 offset:356
	buffer_store_dword v3, off, s[0:3], 0 offset:352
	;; [unrolled: 1-line block ×4, first 2 shown]
.LBB39_99:
	s_or_b32 exec_lo, exec_lo, s4
	v_mov_b32_e32 v4, s24
	s_waitcnt_vscnt null, 0x0
	s_barrier
	buffer_gl0_inv
	s_mov_b32 s4, exec_lo
	s_clause 0x3
	buffer_load_dword v1, v4, s[0:3], 0 offen
	buffer_load_dword v2, v4, s[0:3], 0 offen offset:4
	buffer_load_dword v3, v4, s[0:3], 0 offen offset:8
	;; [unrolled: 1-line block ×3, first 2 shown]
	s_waitcnt vmcnt(0)
	ds_write_b128 v5, v[1:4]
	s_waitcnt lgkmcnt(0)
	s_barrier
	buffer_gl0_inv
	v_cmpx_gt_u32_e32 22, v0
	s_cbranch_execz .LBB39_103
; %bb.100:
	v_mov_b32_e32 v1, 0
	v_mov_b32_e32 v3, 0
	v_add_nc_u32_e32 v7, -1, v0
	v_add_nc_u32_e32 v8, 0x280, v137
	v_mov_b32_e32 v2, 0
	v_mov_b32_e32 v4, 0
	v_add_nc_u32_e32 v9, 16, v137
	s_mov_b32 s5, 0
	.p2align	6
.LBB39_101:                             ; =>This Inner Loop Header: Depth=1
	s_clause 0x3
	buffer_load_dword v14, v9, s[0:3], 0 offen offset:8
	buffer_load_dword v15, v9, s[0:3], 0 offen offset:12
	buffer_load_dword v16, v9, s[0:3], 0 offen
	buffer_load_dword v17, v9, s[0:3], 0 offen offset:4
	ds_read_b128 v[10:13], v8
	v_add_nc_u32_e32 v7, 1, v7
	v_add_nc_u32_e32 v8, 16, v8
	;; [unrolled: 1-line block ×3, first 2 shown]
	v_cmp_lt_u32_e32 vcc_lo, 20, v7
	s_or_b32 s5, vcc_lo, s5
	s_waitcnt vmcnt(2) lgkmcnt(0)
	v_mul_f64 v[18:19], v[12:13], v[14:15]
	v_mul_f64 v[14:15], v[10:11], v[14:15]
	s_waitcnt vmcnt(0)
	v_fma_f64 v[10:11], v[10:11], v[16:17], -v[18:19]
	v_fma_f64 v[12:13], v[12:13], v[16:17], v[14:15]
	v_add_f64 v[3:4], v[3:4], v[10:11]
	v_add_f64 v[1:2], v[1:2], v[12:13]
	s_andn2_b32 exec_lo, exec_lo, s5
	s_cbranch_execnz .LBB39_101
; %bb.102:
	s_or_b32 exec_lo, exec_lo, s5
	v_mov_b32_e32 v7, 0
	ds_read_b128 v[7:10], v7 offset:352
	s_waitcnt lgkmcnt(0)
	v_mul_f64 v[11:12], v[1:2], v[9:10]
	v_mul_f64 v[9:10], v[3:4], v[9:10]
	v_fma_f64 v[3:4], v[3:4], v[7:8], -v[11:12]
	v_fma_f64 v[1:2], v[1:2], v[7:8], v[9:10]
	buffer_store_dword v4, off, s[0:3], 0 offset:372
	buffer_store_dword v3, off, s[0:3], 0 offset:368
	;; [unrolled: 1-line block ×4, first 2 shown]
.LBB39_103:
	s_or_b32 exec_lo, exec_lo, s4
	v_mov_b32_e32 v4, s22
	s_waitcnt_vscnt null, 0x0
	s_barrier
	buffer_gl0_inv
	s_mov_b32 s4, exec_lo
	s_clause 0x3
	buffer_load_dword v1, v4, s[0:3], 0 offen
	buffer_load_dword v2, v4, s[0:3], 0 offen offset:4
	buffer_load_dword v3, v4, s[0:3], 0 offen offset:8
	;; [unrolled: 1-line block ×3, first 2 shown]
	s_waitcnt vmcnt(0)
	ds_write_b128 v5, v[1:4]
	s_waitcnt lgkmcnt(0)
	s_barrier
	buffer_gl0_inv
	v_cmpx_gt_u32_e32 23, v0
	s_cbranch_execz .LBB39_107
; %bb.104:
	v_mov_b32_e32 v1, 0
	v_mov_b32_e32 v3, 0
	v_add_nc_u32_e32 v7, -1, v0
	v_add_nc_u32_e32 v8, 0x280, v137
	v_mov_b32_e32 v2, 0
	v_mov_b32_e32 v4, 0
	v_add_nc_u32_e32 v9, 16, v137
	s_mov_b32 s5, 0
	.p2align	6
.LBB39_105:                             ; =>This Inner Loop Header: Depth=1
	s_clause 0x3
	buffer_load_dword v14, v9, s[0:3], 0 offen offset:8
	buffer_load_dword v15, v9, s[0:3], 0 offen offset:12
	buffer_load_dword v16, v9, s[0:3], 0 offen
	buffer_load_dword v17, v9, s[0:3], 0 offen offset:4
	ds_read_b128 v[10:13], v8
	v_add_nc_u32_e32 v7, 1, v7
	v_add_nc_u32_e32 v8, 16, v8
	;; [unrolled: 1-line block ×3, first 2 shown]
	v_cmp_lt_u32_e32 vcc_lo, 21, v7
	s_or_b32 s5, vcc_lo, s5
	s_waitcnt vmcnt(2) lgkmcnt(0)
	v_mul_f64 v[18:19], v[12:13], v[14:15]
	v_mul_f64 v[14:15], v[10:11], v[14:15]
	s_waitcnt vmcnt(0)
	v_fma_f64 v[10:11], v[10:11], v[16:17], -v[18:19]
	v_fma_f64 v[12:13], v[12:13], v[16:17], v[14:15]
	v_add_f64 v[3:4], v[3:4], v[10:11]
	v_add_f64 v[1:2], v[1:2], v[12:13]
	s_andn2_b32 exec_lo, exec_lo, s5
	s_cbranch_execnz .LBB39_105
; %bb.106:
	s_or_b32 exec_lo, exec_lo, s5
	v_mov_b32_e32 v7, 0
	ds_read_b128 v[7:10], v7 offset:368
	s_waitcnt lgkmcnt(0)
	v_mul_f64 v[11:12], v[1:2], v[9:10]
	v_mul_f64 v[9:10], v[3:4], v[9:10]
	v_fma_f64 v[3:4], v[3:4], v[7:8], -v[11:12]
	v_fma_f64 v[1:2], v[1:2], v[7:8], v[9:10]
	buffer_store_dword v4, off, s[0:3], 0 offset:388
	buffer_store_dword v3, off, s[0:3], 0 offset:384
	;; [unrolled: 1-line block ×4, first 2 shown]
.LBB39_107:
	s_or_b32 exec_lo, exec_lo, s4
	v_mov_b32_e32 v4, s18
	s_waitcnt_vscnt null, 0x0
	s_barrier
	buffer_gl0_inv
	s_mov_b32 s4, exec_lo
	s_clause 0x3
	buffer_load_dword v1, v4, s[0:3], 0 offen
	buffer_load_dword v2, v4, s[0:3], 0 offen offset:4
	buffer_load_dword v3, v4, s[0:3], 0 offen offset:8
	buffer_load_dword v4, v4, s[0:3], 0 offen offset:12
	s_waitcnt vmcnt(0)
	ds_write_b128 v5, v[1:4]
	s_waitcnt lgkmcnt(0)
	s_barrier
	buffer_gl0_inv
	v_cmpx_gt_u32_e32 24, v0
	s_cbranch_execz .LBB39_111
; %bb.108:
	v_mov_b32_e32 v1, 0
	v_mov_b32_e32 v3, 0
	v_add_nc_u32_e32 v7, -1, v0
	v_add_nc_u32_e32 v8, 0x280, v137
	v_mov_b32_e32 v2, 0
	v_mov_b32_e32 v4, 0
	v_add_nc_u32_e32 v9, 16, v137
	s_mov_b32 s5, 0
	.p2align	6
.LBB39_109:                             ; =>This Inner Loop Header: Depth=1
	s_clause 0x3
	buffer_load_dword v14, v9, s[0:3], 0 offen offset:8
	buffer_load_dword v15, v9, s[0:3], 0 offen offset:12
	buffer_load_dword v16, v9, s[0:3], 0 offen
	buffer_load_dword v17, v9, s[0:3], 0 offen offset:4
	ds_read_b128 v[10:13], v8
	v_add_nc_u32_e32 v7, 1, v7
	v_add_nc_u32_e32 v8, 16, v8
	;; [unrolled: 1-line block ×3, first 2 shown]
	v_cmp_lt_u32_e32 vcc_lo, 22, v7
	s_or_b32 s5, vcc_lo, s5
	s_waitcnt vmcnt(2) lgkmcnt(0)
	v_mul_f64 v[18:19], v[12:13], v[14:15]
	v_mul_f64 v[14:15], v[10:11], v[14:15]
	s_waitcnt vmcnt(0)
	v_fma_f64 v[10:11], v[10:11], v[16:17], -v[18:19]
	v_fma_f64 v[12:13], v[12:13], v[16:17], v[14:15]
	v_add_f64 v[3:4], v[3:4], v[10:11]
	v_add_f64 v[1:2], v[1:2], v[12:13]
	s_andn2_b32 exec_lo, exec_lo, s5
	s_cbranch_execnz .LBB39_109
; %bb.110:
	s_or_b32 exec_lo, exec_lo, s5
	v_mov_b32_e32 v7, 0
	ds_read_b128 v[7:10], v7 offset:384
	s_waitcnt lgkmcnt(0)
	v_mul_f64 v[11:12], v[1:2], v[9:10]
	v_mul_f64 v[9:10], v[3:4], v[9:10]
	v_fma_f64 v[3:4], v[3:4], v[7:8], -v[11:12]
	v_fma_f64 v[1:2], v[1:2], v[7:8], v[9:10]
	buffer_store_dword v4, off, s[0:3], 0 offset:404
	buffer_store_dword v3, off, s[0:3], 0 offset:400
	;; [unrolled: 1-line block ×4, first 2 shown]
.LBB39_111:
	s_or_b32 exec_lo, exec_lo, s4
	v_mov_b32_e32 v4, s16
	s_waitcnt_vscnt null, 0x0
	s_barrier
	buffer_gl0_inv
	s_mov_b32 s4, exec_lo
	s_clause 0x3
	buffer_load_dword v1, v4, s[0:3], 0 offen
	buffer_load_dword v2, v4, s[0:3], 0 offen offset:4
	buffer_load_dword v3, v4, s[0:3], 0 offen offset:8
	;; [unrolled: 1-line block ×3, first 2 shown]
	s_waitcnt vmcnt(0)
	ds_write_b128 v5, v[1:4]
	s_waitcnt lgkmcnt(0)
	s_barrier
	buffer_gl0_inv
	v_cmpx_gt_u32_e32 25, v0
	s_cbranch_execz .LBB39_115
; %bb.112:
	v_mov_b32_e32 v1, 0
	v_mov_b32_e32 v3, 0
	v_add_nc_u32_e32 v7, -1, v0
	v_add_nc_u32_e32 v8, 0x280, v137
	v_mov_b32_e32 v2, 0
	v_mov_b32_e32 v4, 0
	v_add_nc_u32_e32 v9, 16, v137
	s_mov_b32 s5, 0
	.p2align	6
.LBB39_113:                             ; =>This Inner Loop Header: Depth=1
	s_clause 0x3
	buffer_load_dword v14, v9, s[0:3], 0 offen offset:8
	buffer_load_dword v15, v9, s[0:3], 0 offen offset:12
	buffer_load_dword v16, v9, s[0:3], 0 offen
	buffer_load_dword v17, v9, s[0:3], 0 offen offset:4
	ds_read_b128 v[10:13], v8
	v_add_nc_u32_e32 v7, 1, v7
	v_add_nc_u32_e32 v8, 16, v8
	;; [unrolled: 1-line block ×3, first 2 shown]
	v_cmp_lt_u32_e32 vcc_lo, 23, v7
	s_or_b32 s5, vcc_lo, s5
	s_waitcnt vmcnt(2) lgkmcnt(0)
	v_mul_f64 v[18:19], v[12:13], v[14:15]
	v_mul_f64 v[14:15], v[10:11], v[14:15]
	s_waitcnt vmcnt(0)
	v_fma_f64 v[10:11], v[10:11], v[16:17], -v[18:19]
	v_fma_f64 v[12:13], v[12:13], v[16:17], v[14:15]
	v_add_f64 v[3:4], v[3:4], v[10:11]
	v_add_f64 v[1:2], v[1:2], v[12:13]
	s_andn2_b32 exec_lo, exec_lo, s5
	s_cbranch_execnz .LBB39_113
; %bb.114:
	s_or_b32 exec_lo, exec_lo, s5
	v_mov_b32_e32 v7, 0
	ds_read_b128 v[7:10], v7 offset:400
	s_waitcnt lgkmcnt(0)
	v_mul_f64 v[11:12], v[1:2], v[9:10]
	v_mul_f64 v[9:10], v[3:4], v[9:10]
	v_fma_f64 v[3:4], v[3:4], v[7:8], -v[11:12]
	v_fma_f64 v[1:2], v[1:2], v[7:8], v[9:10]
	buffer_store_dword v4, off, s[0:3], 0 offset:420
	buffer_store_dword v3, off, s[0:3], 0 offset:416
	;; [unrolled: 1-line block ×4, first 2 shown]
.LBB39_115:
	s_or_b32 exec_lo, exec_lo, s4
	v_mov_b32_e32 v4, s14
	s_waitcnt_vscnt null, 0x0
	s_barrier
	buffer_gl0_inv
	s_mov_b32 s4, exec_lo
	s_clause 0x3
	buffer_load_dword v1, v4, s[0:3], 0 offen
	buffer_load_dword v2, v4, s[0:3], 0 offen offset:4
	buffer_load_dword v3, v4, s[0:3], 0 offen offset:8
	;; [unrolled: 1-line block ×3, first 2 shown]
	s_waitcnt vmcnt(0)
	ds_write_b128 v5, v[1:4]
	s_waitcnt lgkmcnt(0)
	s_barrier
	buffer_gl0_inv
	v_cmpx_gt_u32_e32 26, v0
	s_cbranch_execz .LBB39_119
; %bb.116:
	v_mov_b32_e32 v1, 0
	v_mov_b32_e32 v3, 0
	v_add_nc_u32_e32 v7, -1, v0
	v_add_nc_u32_e32 v8, 0x280, v137
	v_mov_b32_e32 v2, 0
	v_mov_b32_e32 v4, 0
	v_add_nc_u32_e32 v9, 16, v137
	s_mov_b32 s5, 0
	.p2align	6
.LBB39_117:                             ; =>This Inner Loop Header: Depth=1
	s_clause 0x3
	buffer_load_dword v14, v9, s[0:3], 0 offen offset:8
	buffer_load_dword v15, v9, s[0:3], 0 offen offset:12
	buffer_load_dword v16, v9, s[0:3], 0 offen
	buffer_load_dword v17, v9, s[0:3], 0 offen offset:4
	ds_read_b128 v[10:13], v8
	v_add_nc_u32_e32 v7, 1, v7
	v_add_nc_u32_e32 v8, 16, v8
	;; [unrolled: 1-line block ×3, first 2 shown]
	v_cmp_lt_u32_e32 vcc_lo, 24, v7
	s_or_b32 s5, vcc_lo, s5
	s_waitcnt vmcnt(2) lgkmcnt(0)
	v_mul_f64 v[18:19], v[12:13], v[14:15]
	v_mul_f64 v[14:15], v[10:11], v[14:15]
	s_waitcnt vmcnt(0)
	v_fma_f64 v[10:11], v[10:11], v[16:17], -v[18:19]
	v_fma_f64 v[12:13], v[12:13], v[16:17], v[14:15]
	v_add_f64 v[3:4], v[3:4], v[10:11]
	v_add_f64 v[1:2], v[1:2], v[12:13]
	s_andn2_b32 exec_lo, exec_lo, s5
	s_cbranch_execnz .LBB39_117
; %bb.118:
	s_or_b32 exec_lo, exec_lo, s5
	v_mov_b32_e32 v7, 0
	ds_read_b128 v[7:10], v7 offset:416
	s_waitcnt lgkmcnt(0)
	v_mul_f64 v[11:12], v[1:2], v[9:10]
	v_mul_f64 v[9:10], v[3:4], v[9:10]
	v_fma_f64 v[3:4], v[3:4], v[7:8], -v[11:12]
	v_fma_f64 v[1:2], v[1:2], v[7:8], v[9:10]
	buffer_store_dword v4, off, s[0:3], 0 offset:436
	buffer_store_dword v3, off, s[0:3], 0 offset:432
	;; [unrolled: 1-line block ×4, first 2 shown]
.LBB39_119:
	s_or_b32 exec_lo, exec_lo, s4
	v_mov_b32_e32 v4, s12
	s_waitcnt_vscnt null, 0x0
	s_barrier
	buffer_gl0_inv
	s_mov_b32 s4, exec_lo
	s_clause 0x3
	buffer_load_dword v1, v4, s[0:3], 0 offen
	buffer_load_dword v2, v4, s[0:3], 0 offen offset:4
	buffer_load_dword v3, v4, s[0:3], 0 offen offset:8
	;; [unrolled: 1-line block ×3, first 2 shown]
	s_waitcnt vmcnt(0)
	ds_write_b128 v5, v[1:4]
	s_waitcnt lgkmcnt(0)
	s_barrier
	buffer_gl0_inv
	v_cmpx_gt_u32_e32 27, v0
	s_cbranch_execz .LBB39_123
; %bb.120:
	v_mov_b32_e32 v1, 0
	v_mov_b32_e32 v3, 0
	v_add_nc_u32_e32 v7, -1, v0
	v_add_nc_u32_e32 v8, 0x280, v137
	v_mov_b32_e32 v2, 0
	v_mov_b32_e32 v4, 0
	v_add_nc_u32_e32 v9, 16, v137
	s_mov_b32 s5, 0
	.p2align	6
.LBB39_121:                             ; =>This Inner Loop Header: Depth=1
	s_clause 0x3
	buffer_load_dword v14, v9, s[0:3], 0 offen offset:8
	buffer_load_dword v15, v9, s[0:3], 0 offen offset:12
	buffer_load_dword v16, v9, s[0:3], 0 offen
	buffer_load_dword v17, v9, s[0:3], 0 offen offset:4
	ds_read_b128 v[10:13], v8
	v_add_nc_u32_e32 v7, 1, v7
	v_add_nc_u32_e32 v8, 16, v8
	;; [unrolled: 1-line block ×3, first 2 shown]
	v_cmp_lt_u32_e32 vcc_lo, 25, v7
	s_or_b32 s5, vcc_lo, s5
	s_waitcnt vmcnt(2) lgkmcnt(0)
	v_mul_f64 v[18:19], v[12:13], v[14:15]
	v_mul_f64 v[14:15], v[10:11], v[14:15]
	s_waitcnt vmcnt(0)
	v_fma_f64 v[10:11], v[10:11], v[16:17], -v[18:19]
	v_fma_f64 v[12:13], v[12:13], v[16:17], v[14:15]
	v_add_f64 v[3:4], v[3:4], v[10:11]
	v_add_f64 v[1:2], v[1:2], v[12:13]
	s_andn2_b32 exec_lo, exec_lo, s5
	s_cbranch_execnz .LBB39_121
; %bb.122:
	s_or_b32 exec_lo, exec_lo, s5
	v_mov_b32_e32 v7, 0
	ds_read_b128 v[7:10], v7 offset:432
	s_waitcnt lgkmcnt(0)
	v_mul_f64 v[11:12], v[1:2], v[9:10]
	v_mul_f64 v[9:10], v[3:4], v[9:10]
	v_fma_f64 v[3:4], v[3:4], v[7:8], -v[11:12]
	v_fma_f64 v[1:2], v[1:2], v[7:8], v[9:10]
	buffer_store_dword v4, off, s[0:3], 0 offset:452
	buffer_store_dword v3, off, s[0:3], 0 offset:448
	;; [unrolled: 1-line block ×4, first 2 shown]
.LBB39_123:
	s_or_b32 exec_lo, exec_lo, s4
	v_mov_b32_e32 v4, s9
	s_waitcnt_vscnt null, 0x0
	s_barrier
	buffer_gl0_inv
	s_mov_b32 s4, exec_lo
	s_clause 0x3
	buffer_load_dword v1, v4, s[0:3], 0 offen
	buffer_load_dword v2, v4, s[0:3], 0 offen offset:4
	buffer_load_dword v3, v4, s[0:3], 0 offen offset:8
	;; [unrolled: 1-line block ×3, first 2 shown]
	s_waitcnt vmcnt(0)
	ds_write_b128 v5, v[1:4]
	s_waitcnt lgkmcnt(0)
	s_barrier
	buffer_gl0_inv
	v_cmpx_gt_u32_e32 28, v0
	s_cbranch_execz .LBB39_127
; %bb.124:
	v_mov_b32_e32 v1, 0
	v_mov_b32_e32 v3, 0
	v_add_nc_u32_e32 v7, -1, v0
	v_add_nc_u32_e32 v8, 0x280, v137
	v_mov_b32_e32 v2, 0
	v_mov_b32_e32 v4, 0
	v_add_nc_u32_e32 v9, 16, v137
	s_mov_b32 s5, 0
	.p2align	6
.LBB39_125:                             ; =>This Inner Loop Header: Depth=1
	s_clause 0x3
	buffer_load_dword v14, v9, s[0:3], 0 offen offset:8
	buffer_load_dword v15, v9, s[0:3], 0 offen offset:12
	buffer_load_dword v16, v9, s[0:3], 0 offen
	buffer_load_dword v17, v9, s[0:3], 0 offen offset:4
	ds_read_b128 v[10:13], v8
	v_add_nc_u32_e32 v7, 1, v7
	v_add_nc_u32_e32 v8, 16, v8
	;; [unrolled: 1-line block ×3, first 2 shown]
	v_cmp_lt_u32_e32 vcc_lo, 26, v7
	s_or_b32 s5, vcc_lo, s5
	s_waitcnt vmcnt(2) lgkmcnt(0)
	v_mul_f64 v[18:19], v[12:13], v[14:15]
	v_mul_f64 v[14:15], v[10:11], v[14:15]
	s_waitcnt vmcnt(0)
	v_fma_f64 v[10:11], v[10:11], v[16:17], -v[18:19]
	v_fma_f64 v[12:13], v[12:13], v[16:17], v[14:15]
	v_add_f64 v[3:4], v[3:4], v[10:11]
	v_add_f64 v[1:2], v[1:2], v[12:13]
	s_andn2_b32 exec_lo, exec_lo, s5
	s_cbranch_execnz .LBB39_125
; %bb.126:
	s_or_b32 exec_lo, exec_lo, s5
	v_mov_b32_e32 v7, 0
	ds_read_b128 v[7:10], v7 offset:448
	s_waitcnt lgkmcnt(0)
	v_mul_f64 v[11:12], v[1:2], v[9:10]
	v_mul_f64 v[9:10], v[3:4], v[9:10]
	v_fma_f64 v[3:4], v[3:4], v[7:8], -v[11:12]
	v_fma_f64 v[1:2], v[1:2], v[7:8], v[9:10]
	buffer_store_dword v4, off, s[0:3], 0 offset:468
	buffer_store_dword v3, off, s[0:3], 0 offset:464
	;; [unrolled: 1-line block ×4, first 2 shown]
.LBB39_127:
	s_or_b32 exec_lo, exec_lo, s4
	v_mov_b32_e32 v4, s8
	s_waitcnt_vscnt null, 0x0
	s_barrier
	buffer_gl0_inv
	s_mov_b32 s4, exec_lo
	s_clause 0x3
	buffer_load_dword v1, v4, s[0:3], 0 offen
	buffer_load_dword v2, v4, s[0:3], 0 offen offset:4
	buffer_load_dword v3, v4, s[0:3], 0 offen offset:8
	;; [unrolled: 1-line block ×3, first 2 shown]
	s_waitcnt vmcnt(0)
	ds_write_b128 v5, v[1:4]
	s_waitcnt lgkmcnt(0)
	s_barrier
	buffer_gl0_inv
	v_cmpx_gt_u32_e32 29, v0
	s_cbranch_execz .LBB39_131
; %bb.128:
	v_mov_b32_e32 v1, 0
	v_mov_b32_e32 v3, 0
	v_add_nc_u32_e32 v7, -1, v0
	v_add_nc_u32_e32 v8, 0x280, v137
	v_mov_b32_e32 v2, 0
	v_mov_b32_e32 v4, 0
	v_add_nc_u32_e32 v9, 16, v137
	s_mov_b32 s5, 0
	.p2align	6
.LBB39_129:                             ; =>This Inner Loop Header: Depth=1
	s_clause 0x3
	buffer_load_dword v14, v9, s[0:3], 0 offen offset:8
	buffer_load_dword v15, v9, s[0:3], 0 offen offset:12
	buffer_load_dword v16, v9, s[0:3], 0 offen
	buffer_load_dword v17, v9, s[0:3], 0 offen offset:4
	ds_read_b128 v[10:13], v8
	v_add_nc_u32_e32 v7, 1, v7
	v_add_nc_u32_e32 v8, 16, v8
	;; [unrolled: 1-line block ×3, first 2 shown]
	v_cmp_lt_u32_e32 vcc_lo, 27, v7
	s_or_b32 s5, vcc_lo, s5
	s_waitcnt vmcnt(2) lgkmcnt(0)
	v_mul_f64 v[18:19], v[12:13], v[14:15]
	v_mul_f64 v[14:15], v[10:11], v[14:15]
	s_waitcnt vmcnt(0)
	v_fma_f64 v[10:11], v[10:11], v[16:17], -v[18:19]
	v_fma_f64 v[12:13], v[12:13], v[16:17], v[14:15]
	v_add_f64 v[3:4], v[3:4], v[10:11]
	v_add_f64 v[1:2], v[1:2], v[12:13]
	s_andn2_b32 exec_lo, exec_lo, s5
	s_cbranch_execnz .LBB39_129
; %bb.130:
	s_or_b32 exec_lo, exec_lo, s5
	v_mov_b32_e32 v7, 0
	ds_read_b128 v[7:10], v7 offset:464
	s_waitcnt lgkmcnt(0)
	v_mul_f64 v[11:12], v[1:2], v[9:10]
	v_mul_f64 v[9:10], v[3:4], v[9:10]
	v_fma_f64 v[3:4], v[3:4], v[7:8], -v[11:12]
	v_fma_f64 v[1:2], v[1:2], v[7:8], v[9:10]
	buffer_store_dword v4, off, s[0:3], 0 offset:484
	buffer_store_dword v3, off, s[0:3], 0 offset:480
	;; [unrolled: 1-line block ×4, first 2 shown]
.LBB39_131:
	s_or_b32 exec_lo, exec_lo, s4
	v_mov_b32_e32 v4, s33
	s_waitcnt_vscnt null, 0x0
	s_barrier
	buffer_gl0_inv
	s_mov_b32 s4, exec_lo
	s_clause 0x3
	buffer_load_dword v1, v4, s[0:3], 0 offen
	buffer_load_dword v2, v4, s[0:3], 0 offen offset:4
	buffer_load_dword v3, v4, s[0:3], 0 offen offset:8
	;; [unrolled: 1-line block ×3, first 2 shown]
	s_waitcnt vmcnt(0)
	ds_write_b128 v5, v[1:4]
	s_waitcnt lgkmcnt(0)
	s_barrier
	buffer_gl0_inv
	v_cmpx_gt_u32_e32 30, v0
	s_cbranch_execz .LBB39_135
; %bb.132:
	v_mov_b32_e32 v1, 0
	v_mov_b32_e32 v3, 0
	v_add_nc_u32_e32 v7, -1, v0
	v_add_nc_u32_e32 v8, 0x280, v137
	v_mov_b32_e32 v2, 0
	v_mov_b32_e32 v4, 0
	v_add_nc_u32_e32 v9, 16, v137
	s_mov_b32 s5, 0
	.p2align	6
.LBB39_133:                             ; =>This Inner Loop Header: Depth=1
	s_clause 0x3
	buffer_load_dword v14, v9, s[0:3], 0 offen offset:8
	buffer_load_dword v15, v9, s[0:3], 0 offen offset:12
	buffer_load_dword v16, v9, s[0:3], 0 offen
	buffer_load_dword v17, v9, s[0:3], 0 offen offset:4
	ds_read_b128 v[10:13], v8
	v_add_nc_u32_e32 v7, 1, v7
	v_add_nc_u32_e32 v8, 16, v8
	;; [unrolled: 1-line block ×3, first 2 shown]
	v_cmp_lt_u32_e32 vcc_lo, 28, v7
	s_or_b32 s5, vcc_lo, s5
	s_waitcnt vmcnt(2) lgkmcnt(0)
	v_mul_f64 v[18:19], v[12:13], v[14:15]
	v_mul_f64 v[14:15], v[10:11], v[14:15]
	s_waitcnt vmcnt(0)
	v_fma_f64 v[10:11], v[10:11], v[16:17], -v[18:19]
	v_fma_f64 v[12:13], v[12:13], v[16:17], v[14:15]
	v_add_f64 v[3:4], v[3:4], v[10:11]
	v_add_f64 v[1:2], v[1:2], v[12:13]
	s_andn2_b32 exec_lo, exec_lo, s5
	s_cbranch_execnz .LBB39_133
; %bb.134:
	s_or_b32 exec_lo, exec_lo, s5
	v_mov_b32_e32 v7, 0
	ds_read_b128 v[7:10], v7 offset:480
	s_waitcnt lgkmcnt(0)
	v_mul_f64 v[11:12], v[1:2], v[9:10]
	v_mul_f64 v[9:10], v[3:4], v[9:10]
	v_fma_f64 v[3:4], v[3:4], v[7:8], -v[11:12]
	v_fma_f64 v[1:2], v[1:2], v[7:8], v[9:10]
	buffer_store_dword v4, off, s[0:3], 0 offset:500
	buffer_store_dword v3, off, s[0:3], 0 offset:496
	;; [unrolled: 1-line block ×4, first 2 shown]
.LBB39_135:
	s_or_b32 exec_lo, exec_lo, s4
	v_mov_b32_e32 v4, s30
	s_waitcnt_vscnt null, 0x0
	s_barrier
	buffer_gl0_inv
	s_mov_b32 s4, exec_lo
	s_clause 0x3
	buffer_load_dword v1, v4, s[0:3], 0 offen
	buffer_load_dword v2, v4, s[0:3], 0 offen offset:4
	buffer_load_dword v3, v4, s[0:3], 0 offen offset:8
	;; [unrolled: 1-line block ×3, first 2 shown]
	s_waitcnt vmcnt(0)
	ds_write_b128 v5, v[1:4]
	s_waitcnt lgkmcnt(0)
	s_barrier
	buffer_gl0_inv
	v_cmpx_gt_u32_e32 31, v0
	s_cbranch_execz .LBB39_139
; %bb.136:
	v_mov_b32_e32 v1, 0
	v_mov_b32_e32 v3, 0
	v_add_nc_u32_e32 v7, -1, v0
	v_add_nc_u32_e32 v8, 0x280, v137
	v_mov_b32_e32 v2, 0
	v_mov_b32_e32 v4, 0
	v_add_nc_u32_e32 v9, 16, v137
	s_mov_b32 s5, 0
	.p2align	6
.LBB39_137:                             ; =>This Inner Loop Header: Depth=1
	s_clause 0x3
	buffer_load_dword v14, v9, s[0:3], 0 offen offset:8
	buffer_load_dword v15, v9, s[0:3], 0 offen offset:12
	buffer_load_dword v16, v9, s[0:3], 0 offen
	buffer_load_dword v17, v9, s[0:3], 0 offen offset:4
	ds_read_b128 v[10:13], v8
	v_add_nc_u32_e32 v7, 1, v7
	v_add_nc_u32_e32 v8, 16, v8
	v_add_nc_u32_e32 v9, 16, v9
	v_cmp_lt_u32_e32 vcc_lo, 29, v7
	s_or_b32 s5, vcc_lo, s5
	s_waitcnt vmcnt(2) lgkmcnt(0)
	v_mul_f64 v[18:19], v[12:13], v[14:15]
	v_mul_f64 v[14:15], v[10:11], v[14:15]
	s_waitcnt vmcnt(0)
	v_fma_f64 v[10:11], v[10:11], v[16:17], -v[18:19]
	v_fma_f64 v[12:13], v[12:13], v[16:17], v[14:15]
	v_add_f64 v[3:4], v[3:4], v[10:11]
	v_add_f64 v[1:2], v[1:2], v[12:13]
	s_andn2_b32 exec_lo, exec_lo, s5
	s_cbranch_execnz .LBB39_137
; %bb.138:
	s_or_b32 exec_lo, exec_lo, s5
	v_mov_b32_e32 v7, 0
	ds_read_b128 v[7:10], v7 offset:496
	s_waitcnt lgkmcnt(0)
	v_mul_f64 v[11:12], v[1:2], v[9:10]
	v_mul_f64 v[9:10], v[3:4], v[9:10]
	v_fma_f64 v[3:4], v[3:4], v[7:8], -v[11:12]
	v_fma_f64 v[1:2], v[1:2], v[7:8], v[9:10]
	buffer_store_dword v4, off, s[0:3], 0 offset:516
	buffer_store_dword v3, off, s[0:3], 0 offset:512
	;; [unrolled: 1-line block ×4, first 2 shown]
.LBB39_139:
	s_or_b32 exec_lo, exec_lo, s4
	v_mov_b32_e32 v4, s28
	s_waitcnt_vscnt null, 0x0
	s_barrier
	buffer_gl0_inv
	s_mov_b32 s4, exec_lo
	s_clause 0x3
	buffer_load_dword v1, v4, s[0:3], 0 offen
	buffer_load_dword v2, v4, s[0:3], 0 offen offset:4
	buffer_load_dword v3, v4, s[0:3], 0 offen offset:8
	;; [unrolled: 1-line block ×3, first 2 shown]
	s_waitcnt vmcnt(0)
	ds_write_b128 v5, v[1:4]
	s_waitcnt lgkmcnt(0)
	s_barrier
	buffer_gl0_inv
	v_cmpx_gt_u32_e32 32, v0
	s_cbranch_execz .LBB39_143
; %bb.140:
	v_mov_b32_e32 v1, 0
	v_mov_b32_e32 v3, 0
	v_add_nc_u32_e32 v7, -1, v0
	v_add_nc_u32_e32 v8, 0x280, v137
	v_mov_b32_e32 v2, 0
	v_mov_b32_e32 v4, 0
	v_add_nc_u32_e32 v9, 16, v137
	s_mov_b32 s5, 0
	.p2align	6
.LBB39_141:                             ; =>This Inner Loop Header: Depth=1
	s_clause 0x3
	buffer_load_dword v14, v9, s[0:3], 0 offen offset:8
	buffer_load_dword v15, v9, s[0:3], 0 offen offset:12
	buffer_load_dword v16, v9, s[0:3], 0 offen
	buffer_load_dword v17, v9, s[0:3], 0 offen offset:4
	ds_read_b128 v[10:13], v8
	v_add_nc_u32_e32 v7, 1, v7
	v_add_nc_u32_e32 v8, 16, v8
	;; [unrolled: 1-line block ×3, first 2 shown]
	v_cmp_lt_u32_e32 vcc_lo, 30, v7
	s_or_b32 s5, vcc_lo, s5
	s_waitcnt vmcnt(2) lgkmcnt(0)
	v_mul_f64 v[18:19], v[12:13], v[14:15]
	v_mul_f64 v[14:15], v[10:11], v[14:15]
	s_waitcnt vmcnt(0)
	v_fma_f64 v[10:11], v[10:11], v[16:17], -v[18:19]
	v_fma_f64 v[12:13], v[12:13], v[16:17], v[14:15]
	v_add_f64 v[3:4], v[3:4], v[10:11]
	v_add_f64 v[1:2], v[1:2], v[12:13]
	s_andn2_b32 exec_lo, exec_lo, s5
	s_cbranch_execnz .LBB39_141
; %bb.142:
	s_or_b32 exec_lo, exec_lo, s5
	v_mov_b32_e32 v7, 0
	ds_read_b128 v[7:10], v7 offset:512
	s_waitcnt lgkmcnt(0)
	v_mul_f64 v[11:12], v[1:2], v[9:10]
	v_mul_f64 v[9:10], v[3:4], v[9:10]
	v_fma_f64 v[3:4], v[3:4], v[7:8], -v[11:12]
	v_fma_f64 v[1:2], v[1:2], v[7:8], v[9:10]
	buffer_store_dword v4, off, s[0:3], 0 offset:532
	buffer_store_dword v3, off, s[0:3], 0 offset:528
	;; [unrolled: 1-line block ×4, first 2 shown]
.LBB39_143:
	s_or_b32 exec_lo, exec_lo, s4
	v_mov_b32_e32 v4, s26
	s_waitcnt_vscnt null, 0x0
	s_barrier
	buffer_gl0_inv
	s_mov_b32 s4, exec_lo
	s_clause 0x3
	buffer_load_dword v1, v4, s[0:3], 0 offen
	buffer_load_dword v2, v4, s[0:3], 0 offen offset:4
	buffer_load_dword v3, v4, s[0:3], 0 offen offset:8
	;; [unrolled: 1-line block ×3, first 2 shown]
	s_waitcnt vmcnt(0)
	ds_write_b128 v5, v[1:4]
	s_waitcnt lgkmcnt(0)
	s_barrier
	buffer_gl0_inv
	v_cmpx_gt_u32_e32 33, v0
	s_cbranch_execz .LBB39_147
; %bb.144:
	v_mov_b32_e32 v1, 0
	v_mov_b32_e32 v3, 0
	v_add_nc_u32_e32 v7, -1, v0
	v_add_nc_u32_e32 v8, 0x280, v137
	v_mov_b32_e32 v2, 0
	v_mov_b32_e32 v4, 0
	v_add_nc_u32_e32 v9, 16, v137
	s_mov_b32 s5, 0
	.p2align	6
.LBB39_145:                             ; =>This Inner Loop Header: Depth=1
	s_clause 0x3
	buffer_load_dword v14, v9, s[0:3], 0 offen offset:8
	buffer_load_dword v15, v9, s[0:3], 0 offen offset:12
	buffer_load_dword v16, v9, s[0:3], 0 offen
	buffer_load_dword v17, v9, s[0:3], 0 offen offset:4
	ds_read_b128 v[10:13], v8
	v_add_nc_u32_e32 v7, 1, v7
	v_add_nc_u32_e32 v8, 16, v8
	;; [unrolled: 1-line block ×3, first 2 shown]
	v_cmp_lt_u32_e32 vcc_lo, 31, v7
	s_or_b32 s5, vcc_lo, s5
	s_waitcnt vmcnt(2) lgkmcnt(0)
	v_mul_f64 v[18:19], v[12:13], v[14:15]
	v_mul_f64 v[14:15], v[10:11], v[14:15]
	s_waitcnt vmcnt(0)
	v_fma_f64 v[10:11], v[10:11], v[16:17], -v[18:19]
	v_fma_f64 v[12:13], v[12:13], v[16:17], v[14:15]
	v_add_f64 v[3:4], v[3:4], v[10:11]
	v_add_f64 v[1:2], v[1:2], v[12:13]
	s_andn2_b32 exec_lo, exec_lo, s5
	s_cbranch_execnz .LBB39_145
; %bb.146:
	s_or_b32 exec_lo, exec_lo, s5
	v_mov_b32_e32 v7, 0
	ds_read_b128 v[7:10], v7 offset:528
	s_waitcnt lgkmcnt(0)
	v_mul_f64 v[11:12], v[1:2], v[9:10]
	v_mul_f64 v[9:10], v[3:4], v[9:10]
	v_fma_f64 v[3:4], v[3:4], v[7:8], -v[11:12]
	v_fma_f64 v[1:2], v[1:2], v[7:8], v[9:10]
	buffer_store_dword v4, off, s[0:3], 0 offset:548
	buffer_store_dword v3, off, s[0:3], 0 offset:544
	;; [unrolled: 1-line block ×4, first 2 shown]
.LBB39_147:
	s_or_b32 exec_lo, exec_lo, s4
	v_mov_b32_e32 v4, s25
	s_waitcnt_vscnt null, 0x0
	s_barrier
	buffer_gl0_inv
	s_mov_b32 s4, exec_lo
	s_clause 0x3
	buffer_load_dword v1, v4, s[0:3], 0 offen
	buffer_load_dword v2, v4, s[0:3], 0 offen offset:4
	buffer_load_dword v3, v4, s[0:3], 0 offen offset:8
	;; [unrolled: 1-line block ×3, first 2 shown]
	s_waitcnt vmcnt(0)
	ds_write_b128 v5, v[1:4]
	s_waitcnt lgkmcnt(0)
	s_barrier
	buffer_gl0_inv
	v_cmpx_gt_u32_e32 34, v0
	s_cbranch_execz .LBB39_151
; %bb.148:
	v_mov_b32_e32 v1, 0
	v_mov_b32_e32 v3, 0
	v_add_nc_u32_e32 v7, -1, v0
	v_add_nc_u32_e32 v8, 0x280, v137
	v_mov_b32_e32 v2, 0
	v_mov_b32_e32 v4, 0
	v_add_nc_u32_e32 v9, 16, v137
	s_mov_b32 s5, 0
	.p2align	6
.LBB39_149:                             ; =>This Inner Loop Header: Depth=1
	s_clause 0x3
	buffer_load_dword v14, v9, s[0:3], 0 offen offset:8
	buffer_load_dword v15, v9, s[0:3], 0 offen offset:12
	buffer_load_dword v16, v9, s[0:3], 0 offen
	buffer_load_dword v17, v9, s[0:3], 0 offen offset:4
	ds_read_b128 v[10:13], v8
	v_add_nc_u32_e32 v7, 1, v7
	v_add_nc_u32_e32 v8, 16, v8
	v_add_nc_u32_e32 v9, 16, v9
	v_cmp_lt_u32_e32 vcc_lo, 32, v7
	s_or_b32 s5, vcc_lo, s5
	s_waitcnt vmcnt(2) lgkmcnt(0)
	v_mul_f64 v[18:19], v[12:13], v[14:15]
	v_mul_f64 v[14:15], v[10:11], v[14:15]
	s_waitcnt vmcnt(0)
	v_fma_f64 v[10:11], v[10:11], v[16:17], -v[18:19]
	v_fma_f64 v[12:13], v[12:13], v[16:17], v[14:15]
	v_add_f64 v[3:4], v[3:4], v[10:11]
	v_add_f64 v[1:2], v[1:2], v[12:13]
	s_andn2_b32 exec_lo, exec_lo, s5
	s_cbranch_execnz .LBB39_149
; %bb.150:
	s_or_b32 exec_lo, exec_lo, s5
	v_mov_b32_e32 v7, 0
	ds_read_b128 v[7:10], v7 offset:544
	s_waitcnt lgkmcnt(0)
	v_mul_f64 v[11:12], v[1:2], v[9:10]
	v_mul_f64 v[9:10], v[3:4], v[9:10]
	v_fma_f64 v[3:4], v[3:4], v[7:8], -v[11:12]
	v_fma_f64 v[1:2], v[1:2], v[7:8], v[9:10]
	buffer_store_dword v4, off, s[0:3], 0 offset:564
	buffer_store_dword v3, off, s[0:3], 0 offset:560
	;; [unrolled: 1-line block ×4, first 2 shown]
.LBB39_151:
	s_or_b32 exec_lo, exec_lo, s4
	v_mov_b32_e32 v4, s23
	s_waitcnt_vscnt null, 0x0
	s_barrier
	buffer_gl0_inv
	s_mov_b32 s4, exec_lo
	s_clause 0x3
	buffer_load_dword v1, v4, s[0:3], 0 offen
	buffer_load_dword v2, v4, s[0:3], 0 offen offset:4
	buffer_load_dword v3, v4, s[0:3], 0 offen offset:8
	;; [unrolled: 1-line block ×3, first 2 shown]
	s_waitcnt vmcnt(0)
	ds_write_b128 v5, v[1:4]
	s_waitcnt lgkmcnt(0)
	s_barrier
	buffer_gl0_inv
	v_cmpx_gt_u32_e32 35, v0
	s_cbranch_execz .LBB39_155
; %bb.152:
	v_mov_b32_e32 v1, 0
	v_mov_b32_e32 v3, 0
	v_add_nc_u32_e32 v7, -1, v0
	v_add_nc_u32_e32 v8, 0x280, v137
	v_mov_b32_e32 v2, 0
	v_mov_b32_e32 v4, 0
	v_add_nc_u32_e32 v9, 16, v137
	s_mov_b32 s5, 0
	.p2align	6
.LBB39_153:                             ; =>This Inner Loop Header: Depth=1
	s_clause 0x3
	buffer_load_dword v14, v9, s[0:3], 0 offen offset:8
	buffer_load_dword v15, v9, s[0:3], 0 offen offset:12
	buffer_load_dword v16, v9, s[0:3], 0 offen
	buffer_load_dword v17, v9, s[0:3], 0 offen offset:4
	ds_read_b128 v[10:13], v8
	v_add_nc_u32_e32 v7, 1, v7
	v_add_nc_u32_e32 v8, 16, v8
	v_add_nc_u32_e32 v9, 16, v9
	v_cmp_lt_u32_e32 vcc_lo, 33, v7
	s_or_b32 s5, vcc_lo, s5
	s_waitcnt vmcnt(2) lgkmcnt(0)
	v_mul_f64 v[18:19], v[12:13], v[14:15]
	v_mul_f64 v[14:15], v[10:11], v[14:15]
	s_waitcnt vmcnt(0)
	v_fma_f64 v[10:11], v[10:11], v[16:17], -v[18:19]
	v_fma_f64 v[12:13], v[12:13], v[16:17], v[14:15]
	v_add_f64 v[3:4], v[3:4], v[10:11]
	v_add_f64 v[1:2], v[1:2], v[12:13]
	s_andn2_b32 exec_lo, exec_lo, s5
	s_cbranch_execnz .LBB39_153
; %bb.154:
	s_or_b32 exec_lo, exec_lo, s5
	v_mov_b32_e32 v7, 0
	ds_read_b128 v[7:10], v7 offset:560
	s_waitcnt lgkmcnt(0)
	v_mul_f64 v[11:12], v[1:2], v[9:10]
	v_mul_f64 v[9:10], v[3:4], v[9:10]
	v_fma_f64 v[3:4], v[3:4], v[7:8], -v[11:12]
	v_fma_f64 v[1:2], v[1:2], v[7:8], v[9:10]
	buffer_store_dword v4, off, s[0:3], 0 offset:580
	buffer_store_dword v3, off, s[0:3], 0 offset:576
	;; [unrolled: 1-line block ×4, first 2 shown]
.LBB39_155:
	s_or_b32 exec_lo, exec_lo, s4
	v_mov_b32_e32 v4, s19
	s_waitcnt_vscnt null, 0x0
	s_barrier
	buffer_gl0_inv
	s_mov_b32 s4, exec_lo
	s_clause 0x3
	buffer_load_dword v1, v4, s[0:3], 0 offen
	buffer_load_dword v2, v4, s[0:3], 0 offen offset:4
	buffer_load_dword v3, v4, s[0:3], 0 offen offset:8
	;; [unrolled: 1-line block ×3, first 2 shown]
	s_waitcnt vmcnt(0)
	ds_write_b128 v5, v[1:4]
	s_waitcnt lgkmcnt(0)
	s_barrier
	buffer_gl0_inv
	v_cmpx_gt_u32_e32 36, v0
	s_cbranch_execz .LBB39_159
; %bb.156:
	v_mov_b32_e32 v1, 0
	v_mov_b32_e32 v3, 0
	v_add_nc_u32_e32 v7, -1, v0
	v_add_nc_u32_e32 v8, 0x280, v137
	v_mov_b32_e32 v2, 0
	v_mov_b32_e32 v4, 0
	v_add_nc_u32_e32 v9, 16, v137
	s_mov_b32 s5, 0
	.p2align	6
.LBB39_157:                             ; =>This Inner Loop Header: Depth=1
	s_clause 0x3
	buffer_load_dword v14, v9, s[0:3], 0 offen offset:8
	buffer_load_dword v15, v9, s[0:3], 0 offen offset:12
	buffer_load_dword v16, v9, s[0:3], 0 offen
	buffer_load_dword v17, v9, s[0:3], 0 offen offset:4
	ds_read_b128 v[10:13], v8
	v_add_nc_u32_e32 v7, 1, v7
	v_add_nc_u32_e32 v8, 16, v8
	;; [unrolled: 1-line block ×3, first 2 shown]
	v_cmp_lt_u32_e32 vcc_lo, 34, v7
	s_or_b32 s5, vcc_lo, s5
	s_waitcnt vmcnt(2) lgkmcnt(0)
	v_mul_f64 v[18:19], v[12:13], v[14:15]
	v_mul_f64 v[14:15], v[10:11], v[14:15]
	s_waitcnt vmcnt(0)
	v_fma_f64 v[10:11], v[10:11], v[16:17], -v[18:19]
	v_fma_f64 v[12:13], v[12:13], v[16:17], v[14:15]
	v_add_f64 v[3:4], v[3:4], v[10:11]
	v_add_f64 v[1:2], v[1:2], v[12:13]
	s_andn2_b32 exec_lo, exec_lo, s5
	s_cbranch_execnz .LBB39_157
; %bb.158:
	s_or_b32 exec_lo, exec_lo, s5
	v_mov_b32_e32 v7, 0
	ds_read_b128 v[7:10], v7 offset:576
	s_waitcnt lgkmcnt(0)
	v_mul_f64 v[11:12], v[1:2], v[9:10]
	v_mul_f64 v[9:10], v[3:4], v[9:10]
	v_fma_f64 v[3:4], v[3:4], v[7:8], -v[11:12]
	v_fma_f64 v[1:2], v[1:2], v[7:8], v[9:10]
	buffer_store_dword v4, off, s[0:3], 0 offset:596
	buffer_store_dword v3, off, s[0:3], 0 offset:592
	;; [unrolled: 1-line block ×4, first 2 shown]
.LBB39_159:
	s_or_b32 exec_lo, exec_lo, s4
	v_mov_b32_e32 v4, s17
	s_waitcnt_vscnt null, 0x0
	s_barrier
	buffer_gl0_inv
	s_mov_b32 s4, exec_lo
	s_clause 0x3
	buffer_load_dword v1, v4, s[0:3], 0 offen
	buffer_load_dword v2, v4, s[0:3], 0 offen offset:4
	buffer_load_dword v3, v4, s[0:3], 0 offen offset:8
	;; [unrolled: 1-line block ×3, first 2 shown]
	s_waitcnt vmcnt(0)
	ds_write_b128 v5, v[1:4]
	s_waitcnt lgkmcnt(0)
	s_barrier
	buffer_gl0_inv
	v_cmpx_gt_u32_e32 37, v0
	s_cbranch_execz .LBB39_163
; %bb.160:
	v_mov_b32_e32 v1, 0
	v_mov_b32_e32 v3, 0
	v_add_nc_u32_e32 v7, -1, v0
	v_add_nc_u32_e32 v8, 0x280, v137
	v_mov_b32_e32 v2, 0
	v_mov_b32_e32 v4, 0
	v_add_nc_u32_e32 v9, 16, v137
	s_mov_b32 s5, 0
	.p2align	6
.LBB39_161:                             ; =>This Inner Loop Header: Depth=1
	s_clause 0x3
	buffer_load_dword v14, v9, s[0:3], 0 offen offset:8
	buffer_load_dword v15, v9, s[0:3], 0 offen offset:12
	buffer_load_dword v16, v9, s[0:3], 0 offen
	buffer_load_dword v17, v9, s[0:3], 0 offen offset:4
	ds_read_b128 v[10:13], v8
	v_add_nc_u32_e32 v7, 1, v7
	v_add_nc_u32_e32 v8, 16, v8
	;; [unrolled: 1-line block ×3, first 2 shown]
	v_cmp_lt_u32_e32 vcc_lo, 35, v7
	s_or_b32 s5, vcc_lo, s5
	s_waitcnt vmcnt(2) lgkmcnt(0)
	v_mul_f64 v[18:19], v[12:13], v[14:15]
	v_mul_f64 v[14:15], v[10:11], v[14:15]
	s_waitcnt vmcnt(0)
	v_fma_f64 v[10:11], v[10:11], v[16:17], -v[18:19]
	v_fma_f64 v[12:13], v[12:13], v[16:17], v[14:15]
	v_add_f64 v[3:4], v[3:4], v[10:11]
	v_add_f64 v[1:2], v[1:2], v[12:13]
	s_andn2_b32 exec_lo, exec_lo, s5
	s_cbranch_execnz .LBB39_161
; %bb.162:
	s_or_b32 exec_lo, exec_lo, s5
	v_mov_b32_e32 v7, 0
	ds_read_b128 v[7:10], v7 offset:592
	s_waitcnt lgkmcnt(0)
	v_mul_f64 v[11:12], v[1:2], v[9:10]
	v_mul_f64 v[9:10], v[3:4], v[9:10]
	v_fma_f64 v[3:4], v[3:4], v[7:8], -v[11:12]
	v_fma_f64 v[1:2], v[1:2], v[7:8], v[9:10]
	buffer_store_dword v4, off, s[0:3], 0 offset:612
	buffer_store_dword v3, off, s[0:3], 0 offset:608
	buffer_store_dword v2, off, s[0:3], 0 offset:620
	buffer_store_dword v1, off, s[0:3], 0 offset:616
.LBB39_163:
	s_or_b32 exec_lo, exec_lo, s4
	v_mov_b32_e32 v4, s15
	s_waitcnt_vscnt null, 0x0
	s_barrier
	buffer_gl0_inv
	s_mov_b32 s4, exec_lo
	s_clause 0x3
	buffer_load_dword v1, v4, s[0:3], 0 offen
	buffer_load_dword v2, v4, s[0:3], 0 offen offset:4
	buffer_load_dword v3, v4, s[0:3], 0 offen offset:8
	;; [unrolled: 1-line block ×3, first 2 shown]
	s_waitcnt vmcnt(0)
	ds_write_b128 v5, v[1:4]
	s_waitcnt lgkmcnt(0)
	s_barrier
	buffer_gl0_inv
	v_cmpx_gt_u32_e32 38, v0
	s_cbranch_execz .LBB39_167
; %bb.164:
	v_mov_b32_e32 v1, 0
	v_mov_b32_e32 v3, 0
	v_add_nc_u32_e32 v7, -1, v0
	v_add_nc_u32_e32 v8, 0x280, v137
	v_mov_b32_e32 v2, 0
	v_mov_b32_e32 v4, 0
	v_add_nc_u32_e32 v9, 16, v137
	s_mov_b32 s5, 0
	.p2align	6
.LBB39_165:                             ; =>This Inner Loop Header: Depth=1
	s_clause 0x3
	buffer_load_dword v14, v9, s[0:3], 0 offen offset:8
	buffer_load_dword v15, v9, s[0:3], 0 offen offset:12
	buffer_load_dword v16, v9, s[0:3], 0 offen
	buffer_load_dword v17, v9, s[0:3], 0 offen offset:4
	ds_read_b128 v[10:13], v8
	v_add_nc_u32_e32 v7, 1, v7
	v_add_nc_u32_e32 v8, 16, v8
	;; [unrolled: 1-line block ×3, first 2 shown]
	v_cmp_lt_u32_e32 vcc_lo, 36, v7
	s_or_b32 s5, vcc_lo, s5
	s_waitcnt vmcnt(2) lgkmcnt(0)
	v_mul_f64 v[18:19], v[12:13], v[14:15]
	v_mul_f64 v[14:15], v[10:11], v[14:15]
	s_waitcnt vmcnt(0)
	v_fma_f64 v[10:11], v[10:11], v[16:17], -v[18:19]
	v_fma_f64 v[12:13], v[12:13], v[16:17], v[14:15]
	v_add_f64 v[3:4], v[3:4], v[10:11]
	v_add_f64 v[1:2], v[1:2], v[12:13]
	s_andn2_b32 exec_lo, exec_lo, s5
	s_cbranch_execnz .LBB39_165
; %bb.166:
	s_or_b32 exec_lo, exec_lo, s5
	v_mov_b32_e32 v7, 0
	ds_read_b128 v[7:10], v7 offset:608
	s_waitcnt lgkmcnt(0)
	v_mul_f64 v[11:12], v[1:2], v[9:10]
	v_mul_f64 v[9:10], v[3:4], v[9:10]
	v_fma_f64 v[3:4], v[3:4], v[7:8], -v[11:12]
	v_fma_f64 v[1:2], v[1:2], v[7:8], v[9:10]
	buffer_store_dword v4, off, s[0:3], 0 offset:628
	buffer_store_dword v3, off, s[0:3], 0 offset:624
	;; [unrolled: 1-line block ×4, first 2 shown]
.LBB39_167:
	s_or_b32 exec_lo, exec_lo, s4
	v_mov_b32_e32 v4, s13
	s_waitcnt_vscnt null, 0x0
	s_barrier
	buffer_gl0_inv
	s_mov_b32 s4, exec_lo
	s_clause 0x3
	buffer_load_dword v1, v4, s[0:3], 0 offen
	buffer_load_dword v2, v4, s[0:3], 0 offen offset:4
	buffer_load_dword v3, v4, s[0:3], 0 offen offset:8
	;; [unrolled: 1-line block ×3, first 2 shown]
	s_waitcnt vmcnt(0)
	ds_write_b128 v5, v[1:4]
	s_waitcnt lgkmcnt(0)
	s_barrier
	buffer_gl0_inv
	v_cmpx_ne_u32_e32 39, v0
	s_cbranch_execz .LBB39_171
; %bb.168:
	v_mov_b32_e32 v1, 0
	v_mov_b32_e32 v3, 0
	;; [unrolled: 1-line block ×4, first 2 shown]
	v_add_nc_u32_e32 v7, 16, v137
	s_mov_b32 s5, 0
	.p2align	6
.LBB39_169:                             ; =>This Inner Loop Header: Depth=1
	s_clause 0x3
	buffer_load_dword v12, v7, s[0:3], 0 offen offset:8
	buffer_load_dword v13, v7, s[0:3], 0 offen offset:12
	buffer_load_dword v14, v7, s[0:3], 0 offen
	buffer_load_dword v15, v7, s[0:3], 0 offen offset:4
	ds_read_b128 v[8:11], v5
	v_add_nc_u32_e32 v6, 1, v6
	v_add_nc_u32_e32 v5, 16, v5
	;; [unrolled: 1-line block ×3, first 2 shown]
	v_cmp_lt_u32_e32 vcc_lo, 37, v6
	s_or_b32 s5, vcc_lo, s5
	s_waitcnt vmcnt(2) lgkmcnt(0)
	v_mul_f64 v[16:17], v[10:11], v[12:13]
	v_mul_f64 v[12:13], v[8:9], v[12:13]
	s_waitcnt vmcnt(0)
	v_fma_f64 v[8:9], v[8:9], v[14:15], -v[16:17]
	v_fma_f64 v[10:11], v[10:11], v[14:15], v[12:13]
	v_add_f64 v[3:4], v[3:4], v[8:9]
	v_add_f64 v[1:2], v[1:2], v[10:11]
	s_andn2_b32 exec_lo, exec_lo, s5
	s_cbranch_execnz .LBB39_169
; %bb.170:
	s_or_b32 exec_lo, exec_lo, s5
	v_mov_b32_e32 v5, 0
	ds_read_b128 v[5:8], v5 offset:624
	s_waitcnt lgkmcnt(0)
	v_mul_f64 v[9:10], v[1:2], v[7:8]
	v_mul_f64 v[7:8], v[3:4], v[7:8]
	v_fma_f64 v[3:4], v[3:4], v[5:6], -v[9:10]
	v_fma_f64 v[1:2], v[1:2], v[5:6], v[7:8]
	buffer_store_dword v4, off, s[0:3], 0 offset:644
	buffer_store_dword v3, off, s[0:3], 0 offset:640
	;; [unrolled: 1-line block ×4, first 2 shown]
.LBB39_171:
	s_or_b32 exec_lo, exec_lo, s4
	s_mov_b32 s5, -1
	s_waitcnt_vscnt null, 0x0
	s_barrier
	buffer_gl0_inv
.LBB39_172:
	s_and_b32 vcc_lo, exec_lo, s5
	s_cbranch_vccz .LBB39_174
; %bb.173:
	s_lshl_b64 s[4:5], s[6:7], 2
	v_mov_b32_e32 v1, 0
	s_add_u32 s4, s10, s4
	s_addc_u32 s5, s11, s5
	global_load_dword v1, v1, s[4:5]
	s_waitcnt vmcnt(0)
	v_cmp_ne_u32_e32 vcc_lo, 0, v1
	s_cbranch_vccz .LBB39_175
.LBB39_174:
	s_endpgm
.LBB39_175:
	v_lshl_add_u32 v141, v0, 4, 0x280
	s_mov_b32 s4, exec_lo
	v_cmpx_eq_u32_e32 39, v0
	s_cbranch_execz .LBB39_177
; %bb.176:
	v_mov_b32_e32 v4, s15
	v_mov_b32_e32 v5, 0
	s_clause 0x3
	buffer_load_dword v1, v4, s[0:3], 0 offen
	buffer_load_dword v2, v4, s[0:3], 0 offen offset:4
	buffer_load_dword v3, v4, s[0:3], 0 offen offset:8
	;; [unrolled: 1-line block ×3, first 2 shown]
	buffer_store_dword v5, off, s[0:3], 0 offset:624
	buffer_store_dword v5, off, s[0:3], 0 offset:628
	;; [unrolled: 1-line block ×4, first 2 shown]
	s_waitcnt vmcnt(0)
	ds_write_b128 v141, v[1:4]
.LBB39_177:
	s_or_b32 exec_lo, exec_lo, s4
	s_waitcnt lgkmcnt(0)
	s_waitcnt_vscnt null, 0x0
	s_barrier
	buffer_gl0_inv
	s_clause 0x7
	buffer_load_dword v6, off, s[0:3], 0 offset:648
	buffer_load_dword v7, off, s[0:3], 0 offset:652
	;; [unrolled: 1-line block ×8, first 2 shown]
	v_mov_b32_e32 v1, 0
	s_mov_b32 s4, exec_lo
	ds_read_b128 v[2:5], v1 offset:1264
	s_waitcnt vmcnt(6) lgkmcnt(0)
	v_mul_f64 v[14:15], v[4:5], v[6:7]
	v_mul_f64 v[6:7], v[2:3], v[6:7]
	s_waitcnt vmcnt(4)
	v_fma_f64 v[2:3], v[2:3], v[8:9], -v[14:15]
	v_fma_f64 v[4:5], v[4:5], v[8:9], v[6:7]
	v_add_f64 v[2:3], v[2:3], 0
	v_add_f64 v[4:5], v[4:5], 0
	s_waitcnt vmcnt(2)
	v_add_f64 v[2:3], v[10:11], -v[2:3]
	s_waitcnt vmcnt(0)
	v_add_f64 v[4:5], v[12:13], -v[4:5]
	buffer_store_dword v2, off, s[0:3], 0 offset:624
	buffer_store_dword v3, off, s[0:3], 0 offset:628
	;; [unrolled: 1-line block ×4, first 2 shown]
	v_cmpx_lt_u32_e32 37, v0
	s_cbranch_execz .LBB39_179
; %bb.178:
	v_mov_b32_e32 v5, s17
	s_clause 0x3
	buffer_load_dword v2, v5, s[0:3], 0 offen
	buffer_load_dword v3, v5, s[0:3], 0 offen offset:4
	buffer_load_dword v4, v5, s[0:3], 0 offen offset:8
	;; [unrolled: 1-line block ×3, first 2 shown]
	buffer_store_dword v1, off, s[0:3], 0 offset:608
	buffer_store_dword v1, off, s[0:3], 0 offset:612
	;; [unrolled: 1-line block ×4, first 2 shown]
	s_waitcnt vmcnt(0)
	ds_write_b128 v141, v[2:5]
.LBB39_179:
	s_or_b32 exec_lo, exec_lo, s4
	s_waitcnt lgkmcnt(0)
	s_waitcnt_vscnt null, 0x0
	s_barrier
	buffer_gl0_inv
	s_clause 0xb
	buffer_load_dword v10, off, s[0:3], 0 offset:632
	buffer_load_dword v11, off, s[0:3], 0 offset:636
	;; [unrolled: 1-line block ×12, first 2 shown]
	ds_read_b128 v[2:5], v1 offset:1248
	ds_read_b128 v[6:9], v1 offset:1264
	s_mov_b32 s4, exec_lo
	s_waitcnt vmcnt(10) lgkmcnt(1)
	v_mul_f64 v[22:23], v[4:5], v[10:11]
	v_mul_f64 v[10:11], v[2:3], v[10:11]
	s_waitcnt vmcnt(8) lgkmcnt(0)
	v_mul_f64 v[31:32], v[8:9], v[12:13]
	v_mul_f64 v[12:13], v[6:7], v[12:13]
	s_waitcnt vmcnt(6)
	v_fma_f64 v[1:2], v[2:3], v[14:15], -v[22:23]
	v_fma_f64 v[3:4], v[4:5], v[14:15], v[10:11]
	s_waitcnt vmcnt(4)
	v_fma_f64 v[5:6], v[6:7], v[16:17], -v[31:32]
	v_fma_f64 v[7:8], v[8:9], v[16:17], v[12:13]
	v_add_f64 v[1:2], v[1:2], 0
	v_add_f64 v[3:4], v[3:4], 0
	;; [unrolled: 1-line block ×4, first 2 shown]
	s_waitcnt vmcnt(2)
	v_add_f64 v[1:2], v[18:19], -v[1:2]
	s_waitcnt vmcnt(0)
	v_add_f64 v[3:4], v[20:21], -v[3:4]
	buffer_store_dword v1, off, s[0:3], 0 offset:608
	buffer_store_dword v2, off, s[0:3], 0 offset:612
	;; [unrolled: 1-line block ×4, first 2 shown]
	v_cmpx_lt_u32_e32 36, v0
	s_cbranch_execz .LBB39_181
; %bb.180:
	v_mov_b32_e32 v4, s19
	v_mov_b32_e32 v5, 0
	s_clause 0x3
	buffer_load_dword v1, v4, s[0:3], 0 offen
	buffer_load_dword v2, v4, s[0:3], 0 offen offset:4
	buffer_load_dword v3, v4, s[0:3], 0 offen offset:8
	;; [unrolled: 1-line block ×3, first 2 shown]
	buffer_store_dword v5, off, s[0:3], 0 offset:592
	buffer_store_dword v5, off, s[0:3], 0 offset:596
	;; [unrolled: 1-line block ×4, first 2 shown]
	s_waitcnt vmcnt(0)
	ds_write_b128 v141, v[1:4]
.LBB39_181:
	s_or_b32 exec_lo, exec_lo, s4
	s_waitcnt lgkmcnt(0)
	s_waitcnt_vscnt null, 0x0
	s_barrier
	buffer_gl0_inv
	s_clause 0xf
	buffer_load_dword v10, off, s[0:3], 0 offset:616
	buffer_load_dword v11, off, s[0:3], 0 offset:620
	;; [unrolled: 1-line block ×16, first 2 shown]
	v_mov_b32_e32 v1, 0
	ds_read_b128 v[2:5], v1 offset:1232
	ds_read_b128 v[6:9], v1 offset:1248
	s_mov_b32 s4, exec_lo
	s_waitcnt vmcnt(14) lgkmcnt(1)
	v_mul_f64 v[35:36], v[4:5], v[10:11]
	v_mul_f64 v[37:38], v[2:3], v[10:11]
	s_waitcnt vmcnt(12) lgkmcnt(0)
	v_mul_f64 v[39:40], v[8:9], v[14:15]
	ds_read_b128 v[10:13], v1 offset:1264
	v_mul_f64 v[14:15], v[6:7], v[14:15]
	s_waitcnt vmcnt(10)
	v_fma_f64 v[2:3], v[2:3], v[16:17], -v[35:36]
	v_fma_f64 v[4:5], v[4:5], v[16:17], v[37:38]
	s_waitcnt vmcnt(8) lgkmcnt(0)
	v_mul_f64 v[16:17], v[10:11], v[18:19]
	v_mul_f64 v[18:19], v[12:13], v[18:19]
	s_waitcnt vmcnt(6)
	v_fma_f64 v[6:7], v[6:7], v[20:21], -v[39:40]
	v_fma_f64 v[8:9], v[8:9], v[20:21], v[14:15]
	v_add_f64 v[2:3], v[2:3], 0
	v_add_f64 v[4:5], v[4:5], 0
	s_waitcnt vmcnt(4)
	v_fma_f64 v[10:11], v[10:11], v[22:23], -v[18:19]
	v_add_f64 v[2:3], v[2:3], v[6:7]
	v_fma_f64 v[6:7], v[12:13], v[22:23], v[16:17]
	v_add_f64 v[4:5], v[4:5], v[8:9]
	v_add_f64 v[2:3], v[2:3], v[10:11]
	;; [unrolled: 1-line block ×3, first 2 shown]
	s_waitcnt vmcnt(2)
	v_add_f64 v[2:3], v[31:32], -v[2:3]
	s_waitcnt vmcnt(0)
	v_add_f64 v[4:5], v[33:34], -v[4:5]
	buffer_store_dword v2, off, s[0:3], 0 offset:592
	buffer_store_dword v3, off, s[0:3], 0 offset:596
	;; [unrolled: 1-line block ×4, first 2 shown]
	v_cmpx_lt_u32_e32 35, v0
	s_cbranch_execz .LBB39_183
; %bb.182:
	v_mov_b32_e32 v5, s23
	s_clause 0x3
	buffer_load_dword v2, v5, s[0:3], 0 offen
	buffer_load_dword v3, v5, s[0:3], 0 offen offset:4
	buffer_load_dword v4, v5, s[0:3], 0 offen offset:8
	;; [unrolled: 1-line block ×3, first 2 shown]
	buffer_store_dword v1, off, s[0:3], 0 offset:576
	buffer_store_dword v1, off, s[0:3], 0 offset:580
	;; [unrolled: 1-line block ×4, first 2 shown]
	s_waitcnt vmcnt(0)
	ds_write_b128 v141, v[2:5]
.LBB39_183:
	s_or_b32 exec_lo, exec_lo, s4
	s_waitcnt lgkmcnt(0)
	s_waitcnt_vscnt null, 0x0
	s_barrier
	buffer_gl0_inv
	s_clause 0x13
	buffer_load_dword v10, off, s[0:3], 0 offset:600
	buffer_load_dword v11, off, s[0:3], 0 offset:604
	buffer_load_dword v14, off, s[0:3], 0 offset:616
	buffer_load_dword v15, off, s[0:3], 0 offset:620
	buffer_load_dword v16, off, s[0:3], 0 offset:592
	buffer_load_dword v17, off, s[0:3], 0 offset:596
	buffer_load_dword v18, off, s[0:3], 0 offset:632
	buffer_load_dword v19, off, s[0:3], 0 offset:636
	buffer_load_dword v20, off, s[0:3], 0 offset:608
	buffer_load_dword v21, off, s[0:3], 0 offset:612
	buffer_load_dword v23, off, s[0:3], 0 offset:652
	buffer_load_dword v22, off, s[0:3], 0 offset:648
	buffer_load_dword v31, off, s[0:3], 0 offset:624
	buffer_load_dword v32, off, s[0:3], 0 offset:628
	buffer_load_dword v34, off, s[0:3], 0 offset:644
	buffer_load_dword v33, off, s[0:3], 0 offset:640
	buffer_load_dword v35, off, s[0:3], 0 offset:576
	buffer_load_dword v36, off, s[0:3], 0 offset:580
	buffer_load_dword v37, off, s[0:3], 0 offset:584
	buffer_load_dword v38, off, s[0:3], 0 offset:588
	ds_read_b128 v[2:5], v1 offset:1216
	ds_read_b128 v[6:9], v1 offset:1232
	s_mov_b32 s4, exec_lo
	s_waitcnt vmcnt(18) lgkmcnt(1)
	v_mul_f64 v[39:40], v[4:5], v[10:11]
	v_mul_f64 v[41:42], v[2:3], v[10:11]
	s_waitcnt vmcnt(16) lgkmcnt(0)
	v_mul_f64 v[43:44], v[8:9], v[14:15]
	ds_read_b128 v[10:13], v1 offset:1248
	v_mul_f64 v[14:15], v[6:7], v[14:15]
	s_waitcnt vmcnt(14)
	v_fma_f64 v[39:40], v[2:3], v[16:17], -v[39:40]
	v_fma_f64 v[16:17], v[4:5], v[16:17], v[41:42]
	s_waitcnt vmcnt(12) lgkmcnt(0)
	v_mul_f64 v[41:42], v[10:11], v[18:19]
	v_mul_f64 v[18:19], v[12:13], v[18:19]
	s_waitcnt vmcnt(10)
	v_fma_f64 v[5:6], v[6:7], v[20:21], -v[43:44]
	ds_read_b128 v[1:4], v1 offset:1264
	v_fma_f64 v[7:8], v[8:9], v[20:21], v[14:15]
	v_add_f64 v[39:40], v[39:40], 0
	v_add_f64 v[14:15], v[16:17], 0
	s_waitcnt vmcnt(8) lgkmcnt(0)
	v_mul_f64 v[20:21], v[3:4], v[22:23]
	s_waitcnt vmcnt(6)
	v_fma_f64 v[9:10], v[10:11], v[31:32], -v[18:19]
	v_mul_f64 v[16:17], v[1:2], v[22:23]
	v_fma_f64 v[11:12], v[12:13], v[31:32], v[41:42]
	v_add_f64 v[5:6], v[39:40], v[5:6]
	v_add_f64 v[7:8], v[14:15], v[7:8]
	s_waitcnt vmcnt(4)
	v_fma_f64 v[1:2], v[1:2], v[33:34], -v[20:21]
	v_fma_f64 v[3:4], v[3:4], v[33:34], v[16:17]
	v_add_f64 v[5:6], v[5:6], v[9:10]
	v_add_f64 v[7:8], v[7:8], v[11:12]
	;; [unrolled: 1-line block ×4, first 2 shown]
	s_waitcnt vmcnt(2)
	v_add_f64 v[1:2], v[35:36], -v[1:2]
	s_waitcnt vmcnt(0)
	v_add_f64 v[3:4], v[37:38], -v[3:4]
	buffer_store_dword v1, off, s[0:3], 0 offset:576
	buffer_store_dword v2, off, s[0:3], 0 offset:580
	;; [unrolled: 1-line block ×4, first 2 shown]
	v_cmpx_lt_u32_e32 34, v0
	s_cbranch_execz .LBB39_185
; %bb.184:
	v_mov_b32_e32 v4, s25
	v_mov_b32_e32 v5, 0
	s_clause 0x3
	buffer_load_dword v1, v4, s[0:3], 0 offen
	buffer_load_dword v2, v4, s[0:3], 0 offen offset:4
	buffer_load_dword v3, v4, s[0:3], 0 offen offset:8
	;; [unrolled: 1-line block ×3, first 2 shown]
	buffer_store_dword v5, off, s[0:3], 0 offset:560
	buffer_store_dword v5, off, s[0:3], 0 offset:564
	buffer_store_dword v5, off, s[0:3], 0 offset:568
	buffer_store_dword v5, off, s[0:3], 0 offset:572
	s_waitcnt vmcnt(0)
	ds_write_b128 v141, v[1:4]
.LBB39_185:
	s_or_b32 exec_lo, exec_lo, s4
	s_waitcnt lgkmcnt(0)
	s_waitcnt_vscnt null, 0x0
	s_barrier
	buffer_gl0_inv
	s_clause 0x17
	buffer_load_dword v10, off, s[0:3], 0 offset:584
	buffer_load_dword v11, off, s[0:3], 0 offset:588
	;; [unrolled: 1-line block ×24, first 2 shown]
	v_mov_b32_e32 v1, 0
	ds_read_b128 v[2:5], v1 offset:1200
	ds_read_b128 v[6:9], v1 offset:1216
	s_mov_b32 s4, exec_lo
	s_waitcnt vmcnt(22) lgkmcnt(1)
	v_mul_f64 v[43:44], v[4:5], v[10:11]
	v_mul_f64 v[47:48], v[2:3], v[10:11]
	s_waitcnt vmcnt(20) lgkmcnt(0)
	v_mul_f64 v[49:50], v[8:9], v[14:15]
	ds_read_b128 v[10:13], v1 offset:1232
	v_mul_f64 v[14:15], v[6:7], v[14:15]
	s_waitcnt vmcnt(18)
	v_fma_f64 v[43:44], v[2:3], v[16:17], -v[43:44]
	v_fma_f64 v[16:17], v[4:5], v[16:17], v[47:48]
	ds_read_b128 v[2:5], v1 offset:1248
	s_waitcnt vmcnt(16) lgkmcnt(1)
	v_mul_f64 v[47:48], v[10:11], v[18:19]
	v_mul_f64 v[18:19], v[12:13], v[18:19]
	s_waitcnt vmcnt(14)
	v_fma_f64 v[49:50], v[6:7], v[20:21], -v[49:50]
	v_fma_f64 v[14:15], v[8:9], v[20:21], v[14:15]
	ds_read_b128 v[6:9], v1 offset:1264
	s_waitcnt vmcnt(10) lgkmcnt(1)
	v_mul_f64 v[20:21], v[2:3], v[22:23]
	v_add_f64 v[43:44], v[43:44], 0
	v_add_f64 v[16:17], v[16:17], 0
	v_mul_f64 v[22:23], v[4:5], v[22:23]
	s_waitcnt vmcnt(8)
	v_fma_f64 v[10:11], v[10:11], v[35:36], -v[18:19]
	v_fma_f64 v[12:13], v[12:13], v[35:36], v[47:48]
	s_waitcnt vmcnt(5)
	v_fma_f64 v[4:5], v[4:5], v[37:38], v[20:21]
	v_add_f64 v[18:19], v[43:44], v[49:50]
	v_add_f64 v[14:15], v[16:17], v[14:15]
	s_waitcnt lgkmcnt(0)
	v_mul_f64 v[16:17], v[6:7], v[31:32]
	v_mul_f64 v[31:32], v[8:9], v[31:32]
	v_fma_f64 v[2:3], v[2:3], v[37:38], -v[22:23]
	v_add_f64 v[10:11], v[18:19], v[10:11]
	v_add_f64 v[12:13], v[14:15], v[12:13]
	s_waitcnt vmcnt(4)
	v_fma_f64 v[8:9], v[8:9], v[33:34], v[16:17]
	v_fma_f64 v[6:7], v[6:7], v[33:34], -v[31:32]
	v_add_f64 v[2:3], v[10:11], v[2:3]
	v_add_f64 v[4:5], v[12:13], v[4:5]
	;; [unrolled: 1-line block ×4, first 2 shown]
	s_waitcnt vmcnt(2)
	v_add_f64 v[2:3], v[39:40], -v[2:3]
	s_waitcnt vmcnt(0)
	v_add_f64 v[4:5], v[41:42], -v[4:5]
	buffer_store_dword v3, off, s[0:3], 0 offset:564
	buffer_store_dword v2, off, s[0:3], 0 offset:560
	;; [unrolled: 1-line block ×4, first 2 shown]
	v_cmpx_lt_u32_e32 33, v0
	s_cbranch_execz .LBB39_187
; %bb.186:
	v_mov_b32_e32 v5, s26
	s_clause 0x3
	buffer_load_dword v2, v5, s[0:3], 0 offen
	buffer_load_dword v3, v5, s[0:3], 0 offen offset:4
	buffer_load_dword v4, v5, s[0:3], 0 offen offset:8
	;; [unrolled: 1-line block ×3, first 2 shown]
	buffer_store_dword v1, off, s[0:3], 0 offset:544
	buffer_store_dword v1, off, s[0:3], 0 offset:548
	;; [unrolled: 1-line block ×4, first 2 shown]
	s_waitcnt vmcnt(0)
	ds_write_b128 v141, v[2:5]
.LBB39_187:
	s_or_b32 exec_lo, exec_lo, s4
	s_waitcnt lgkmcnt(0)
	s_waitcnt_vscnt null, 0x0
	s_barrier
	buffer_gl0_inv
	s_clause 0x1b
	buffer_load_dword v10, off, s[0:3], 0 offset:568
	buffer_load_dword v11, off, s[0:3], 0 offset:572
	buffer_load_dword v14, off, s[0:3], 0 offset:584
	buffer_load_dword v15, off, s[0:3], 0 offset:588
	buffer_load_dword v16, off, s[0:3], 0 offset:560
	buffer_load_dword v17, off, s[0:3], 0 offset:564
	buffer_load_dword v18, off, s[0:3], 0 offset:600
	buffer_load_dword v19, off, s[0:3], 0 offset:604
	buffer_load_dword v20, off, s[0:3], 0 offset:576
	buffer_load_dword v21, off, s[0:3], 0 offset:580
	buffer_load_dword v23, off, s[0:3], 0 offset:620
	buffer_load_dword v31, off, s[0:3], 0 offset:632
	buffer_load_dword v33, off, s[0:3], 0 offset:624
	buffer_load_dword v22, off, s[0:3], 0 offset:616
	buffer_load_dword v35, off, s[0:3], 0 offset:592
	buffer_load_dword v36, off, s[0:3], 0 offset:596
	buffer_load_dword v32, off, s[0:3], 0 offset:636
	buffer_load_dword v38, off, s[0:3], 0 offset:612
	buffer_load_dword v37, off, s[0:3], 0 offset:608
	buffer_load_dword v40, off, s[0:3], 0 offset:652
	buffer_load_dword v39, off, s[0:3], 0 offset:648
	buffer_load_dword v34, off, s[0:3], 0 offset:628
	buffer_load_dword v42, off, s[0:3], 0 offset:644
	buffer_load_dword v41, off, s[0:3], 0 offset:640
	buffer_load_dword v43, off, s[0:3], 0 offset:544
	buffer_load_dword v44, off, s[0:3], 0 offset:548
	buffer_load_dword v47, off, s[0:3], 0 offset:552
	buffer_load_dword v48, off, s[0:3], 0 offset:556
	ds_read_b128 v[2:5], v1 offset:1184
	ds_read_b128 v[6:9], v1 offset:1200
	s_mov_b32 s4, exec_lo
	s_waitcnt vmcnt(26) lgkmcnt(1)
	v_mul_f64 v[49:50], v[4:5], v[10:11]
	v_mul_f64 v[51:52], v[2:3], v[10:11]
	s_waitcnt vmcnt(24) lgkmcnt(0)
	v_mul_f64 v[53:54], v[8:9], v[14:15]
	ds_read_b128 v[10:13], v1 offset:1216
	v_mul_f64 v[14:15], v[6:7], v[14:15]
	s_waitcnt vmcnt(22)
	v_fma_f64 v[49:50], v[2:3], v[16:17], -v[49:50]
	v_fma_f64 v[16:17], v[4:5], v[16:17], v[51:52]
	ds_read_b128 v[2:5], v1 offset:1232
	s_waitcnt vmcnt(20) lgkmcnt(1)
	v_mul_f64 v[51:52], v[10:11], v[18:19]
	v_mul_f64 v[18:19], v[12:13], v[18:19]
	s_waitcnt vmcnt(18)
	v_fma_f64 v[53:54], v[6:7], v[20:21], -v[53:54]
	v_fma_f64 v[14:15], v[8:9], v[20:21], v[14:15]
	ds_read_b128 v[6:9], v1 offset:1248
	s_waitcnt vmcnt(14) lgkmcnt(1)
	v_mul_f64 v[20:21], v[2:3], v[22:23]
	v_add_f64 v[49:50], v[49:50], 0
	v_add_f64 v[16:17], v[16:17], 0
	v_mul_f64 v[22:23], v[4:5], v[22:23]
	s_waitcnt vmcnt(12)
	v_fma_f64 v[18:19], v[10:11], v[35:36], -v[18:19]
	v_fma_f64 v[35:36], v[12:13], v[35:36], v[51:52]
	ds_read_b128 v[10:13], v1 offset:1264
	v_add_f64 v[49:50], v[49:50], v[53:54]
	v_add_f64 v[14:15], v[16:17], v[14:15]
	s_waitcnt vmcnt(11) lgkmcnt(1)
	v_mul_f64 v[16:17], v[6:7], v[31:32]
	v_mul_f64 v[31:32], v[8:9], v[31:32]
	s_waitcnt vmcnt(9)
	v_fma_f64 v[1:2], v[2:3], v[37:38], -v[22:23]
	v_fma_f64 v[3:4], v[4:5], v[37:38], v[20:21]
	s_waitcnt vmcnt(7) lgkmcnt(0)
	v_mul_f64 v[22:23], v[12:13], v[39:40]
	v_mul_f64 v[20:21], v[10:11], v[39:40]
	v_add_f64 v[18:19], v[49:50], v[18:19]
	v_add_f64 v[14:15], v[14:15], v[35:36]
	s_waitcnt vmcnt(6)
	v_fma_f64 v[5:6], v[6:7], v[33:34], -v[31:32]
	v_fma_f64 v[7:8], v[8:9], v[33:34], v[16:17]
	s_waitcnt vmcnt(4)
	v_fma_f64 v[9:10], v[10:11], v[41:42], -v[22:23]
	v_add_f64 v[1:2], v[18:19], v[1:2]
	v_add_f64 v[3:4], v[14:15], v[3:4]
	;; [unrolled: 1-line block ×3, first 2 shown]
	v_fma_f64 v[5:6], v[12:13], v[41:42], v[20:21]
	v_add_f64 v[3:4], v[3:4], v[7:8]
	v_add_f64 v[1:2], v[1:2], v[9:10]
	;; [unrolled: 1-line block ×3, first 2 shown]
	s_waitcnt vmcnt(2)
	v_add_f64 v[1:2], v[43:44], -v[1:2]
	s_waitcnt vmcnt(0)
	v_add_f64 v[3:4], v[47:48], -v[3:4]
	buffer_store_dword v2, off, s[0:3], 0 offset:548
	buffer_store_dword v1, off, s[0:3], 0 offset:544
	;; [unrolled: 1-line block ×4, first 2 shown]
	v_cmpx_lt_u32_e32 32, v0
	s_cbranch_execz .LBB39_189
; %bb.188:
	v_mov_b32_e32 v4, s28
	v_mov_b32_e32 v5, 0
	s_clause 0x3
	buffer_load_dword v1, v4, s[0:3], 0 offen
	buffer_load_dword v2, v4, s[0:3], 0 offen offset:4
	buffer_load_dword v3, v4, s[0:3], 0 offen offset:8
	;; [unrolled: 1-line block ×3, first 2 shown]
	buffer_store_dword v5, off, s[0:3], 0 offset:528
	buffer_store_dword v5, off, s[0:3], 0 offset:532
	;; [unrolled: 1-line block ×4, first 2 shown]
	s_waitcnt vmcnt(0)
	ds_write_b128 v141, v[1:4]
.LBB39_189:
	s_or_b32 exec_lo, exec_lo, s4
	s_waitcnt lgkmcnt(0)
	s_waitcnt_vscnt null, 0x0
	s_barrier
	buffer_gl0_inv
	s_clause 0x1f
	buffer_load_dword v10, off, s[0:3], 0 offset:552
	buffer_load_dword v11, off, s[0:3], 0 offset:556
	buffer_load_dword v14, off, s[0:3], 0 offset:568
	buffer_load_dword v15, off, s[0:3], 0 offset:572
	buffer_load_dword v16, off, s[0:3], 0 offset:544
	buffer_load_dword v17, off, s[0:3], 0 offset:548
	buffer_load_dword v18, off, s[0:3], 0 offset:584
	buffer_load_dword v19, off, s[0:3], 0 offset:588
	buffer_load_dword v20, off, s[0:3], 0 offset:560
	buffer_load_dword v21, off, s[0:3], 0 offset:564
	buffer_load_dword v23, off, s[0:3], 0 offset:604
	buffer_load_dword v31, off, s[0:3], 0 offset:616
	buffer_load_dword v33, off, s[0:3], 0 offset:608
	buffer_load_dword v22, off, s[0:3], 0 offset:600
	buffer_load_dword v35, off, s[0:3], 0 offset:576
	buffer_load_dword v36, off, s[0:3], 0 offset:580
	buffer_load_dword v32, off, s[0:3], 0 offset:620
	buffer_load_dword v38, off, s[0:3], 0 offset:596
	buffer_load_dword v37, off, s[0:3], 0 offset:592
	buffer_load_dword v40, off, s[0:3], 0 offset:636
	buffer_load_dword v41, off, s[0:3], 0 offset:648
	buffer_load_dword v43, off, s[0:3], 0 offset:640
	buffer_load_dword v39, off, s[0:3], 0 offset:632
	buffer_load_dword v34, off, s[0:3], 0 offset:612
	buffer_load_dword v42, off, s[0:3], 0 offset:652
	buffer_load_dword v48, off, s[0:3], 0 offset:628
	buffer_load_dword v47, off, s[0:3], 0 offset:624
	buffer_load_dword v44, off, s[0:3], 0 offset:644
	buffer_load_dword v49, off, s[0:3], 0 offset:528
	buffer_load_dword v50, off, s[0:3], 0 offset:532
	buffer_load_dword v51, off, s[0:3], 0 offset:536
	buffer_load_dword v52, off, s[0:3], 0 offset:540
	v_mov_b32_e32 v1, 0
	ds_read_b128 v[2:5], v1 offset:1168
	ds_read_b128 v[6:9], v1 offset:1184
	s_mov_b32 s4, exec_lo
	s_waitcnt vmcnt(30) lgkmcnt(1)
	v_mul_f64 v[53:54], v[4:5], v[10:11]
	v_mul_f64 v[55:56], v[2:3], v[10:11]
	s_waitcnt vmcnt(28) lgkmcnt(0)
	v_mul_f64 v[57:58], v[8:9], v[14:15]
	ds_read_b128 v[10:13], v1 offset:1200
	v_mul_f64 v[14:15], v[6:7], v[14:15]
	s_waitcnt vmcnt(26)
	v_fma_f64 v[53:54], v[2:3], v[16:17], -v[53:54]
	v_fma_f64 v[16:17], v[4:5], v[16:17], v[55:56]
	ds_read_b128 v[2:5], v1 offset:1216
	s_waitcnt vmcnt(24) lgkmcnt(1)
	v_mul_f64 v[55:56], v[10:11], v[18:19]
	v_mul_f64 v[18:19], v[12:13], v[18:19]
	s_waitcnt vmcnt(22)
	v_fma_f64 v[57:58], v[6:7], v[20:21], -v[57:58]
	v_fma_f64 v[14:15], v[8:9], v[20:21], v[14:15]
	ds_read_b128 v[6:9], v1 offset:1232
	s_waitcnt vmcnt(18) lgkmcnt(1)
	v_mul_f64 v[20:21], v[2:3], v[22:23]
	v_add_f64 v[53:54], v[53:54], 0
	v_add_f64 v[16:17], v[16:17], 0
	v_mul_f64 v[22:23], v[4:5], v[22:23]
	s_waitcnt vmcnt(16)
	v_fma_f64 v[18:19], v[10:11], v[35:36], -v[18:19]
	v_fma_f64 v[35:36], v[12:13], v[35:36], v[55:56]
	ds_read_b128 v[10:13], v1 offset:1248
	s_waitcnt vmcnt(13)
	v_fma_f64 v[20:21], v[4:5], v[37:38], v[20:21]
	v_add_f64 v[53:54], v[53:54], v[57:58]
	v_add_f64 v[14:15], v[16:17], v[14:15]
	s_waitcnt lgkmcnt(1)
	v_mul_f64 v[16:17], v[6:7], v[31:32]
	v_mul_f64 v[31:32], v[8:9], v[31:32]
	v_fma_f64 v[22:23], v[2:3], v[37:38], -v[22:23]
	s_waitcnt vmcnt(9) lgkmcnt(0)
	v_mul_f64 v[37:38], v[12:13], v[39:40]
	ds_read_b128 v[2:5], v1 offset:1264
	v_add_f64 v[18:19], v[53:54], v[18:19]
	v_add_f64 v[14:15], v[14:15], v[35:36]
	v_mul_f64 v[35:36], v[10:11], v[39:40]
	s_waitcnt vmcnt(8)
	v_fma_f64 v[6:7], v[6:7], v[33:34], -v[31:32]
	v_fma_f64 v[8:9], v[8:9], v[33:34], v[16:17]
	s_waitcnt vmcnt(5)
	v_fma_f64 v[10:11], v[10:11], v[47:48], -v[37:38]
	s_waitcnt lgkmcnt(0)
	v_mul_f64 v[16:17], v[2:3], v[41:42]
	v_add_f64 v[18:19], v[18:19], v[22:23]
	v_add_f64 v[14:15], v[14:15], v[20:21]
	v_mul_f64 v[20:21], v[4:5], v[41:42]
	v_fma_f64 v[12:13], v[12:13], v[47:48], v[35:36]
	s_waitcnt vmcnt(4)
	v_fma_f64 v[4:5], v[4:5], v[43:44], v[16:17]
	v_add_f64 v[6:7], v[18:19], v[6:7]
	v_add_f64 v[8:9], v[14:15], v[8:9]
	v_fma_f64 v[2:3], v[2:3], v[43:44], -v[20:21]
	v_add_f64 v[6:7], v[6:7], v[10:11]
	v_add_f64 v[8:9], v[8:9], v[12:13]
	;; [unrolled: 1-line block ×4, first 2 shown]
	s_waitcnt vmcnt(2)
	v_add_f64 v[2:3], v[49:50], -v[2:3]
	s_waitcnt vmcnt(0)
	v_add_f64 v[4:5], v[51:52], -v[4:5]
	buffer_store_dword v3, off, s[0:3], 0 offset:532
	buffer_store_dword v2, off, s[0:3], 0 offset:528
	;; [unrolled: 1-line block ×4, first 2 shown]
	v_cmpx_lt_u32_e32 31, v0
	s_cbranch_execz .LBB39_191
; %bb.190:
	v_mov_b32_e32 v5, s30
	s_clause 0x3
	buffer_load_dword v2, v5, s[0:3], 0 offen
	buffer_load_dword v3, v5, s[0:3], 0 offen offset:4
	buffer_load_dword v4, v5, s[0:3], 0 offen offset:8
	;; [unrolled: 1-line block ×3, first 2 shown]
	buffer_store_dword v1, off, s[0:3], 0 offset:512
	buffer_store_dword v1, off, s[0:3], 0 offset:516
	;; [unrolled: 1-line block ×4, first 2 shown]
	s_waitcnt vmcnt(0)
	ds_write_b128 v141, v[2:5]
.LBB39_191:
	s_or_b32 exec_lo, exec_lo, s4
	s_waitcnt lgkmcnt(0)
	s_waitcnt_vscnt null, 0x0
	s_barrier
	buffer_gl0_inv
	s_clause 0x23
	buffer_load_dword v10, off, s[0:3], 0 offset:536
	buffer_load_dword v11, off, s[0:3], 0 offset:540
	;; [unrolled: 1-line block ×36, first 2 shown]
	ds_read_b128 v[2:5], v1 offset:1152
	ds_read_b128 v[6:9], v1 offset:1168
	s_mov_b32 s4, exec_lo
	s_waitcnt vmcnt(34) lgkmcnt(1)
	v_mul_f64 v[57:58], v[4:5], v[10:11]
	v_mul_f64 v[59:60], v[2:3], v[10:11]
	s_waitcnt vmcnt(32) lgkmcnt(0)
	v_mul_f64 v[61:62], v[8:9], v[14:15]
	ds_read_b128 v[10:13], v1 offset:1184
	v_mul_f64 v[14:15], v[6:7], v[14:15]
	s_waitcnt vmcnt(30)
	v_fma_f64 v[57:58], v[2:3], v[16:17], -v[57:58]
	v_fma_f64 v[16:17], v[4:5], v[16:17], v[59:60]
	ds_read_b128 v[2:5], v1 offset:1200
	s_waitcnt vmcnt(28) lgkmcnt(1)
	v_mul_f64 v[59:60], v[10:11], v[18:19]
	v_mul_f64 v[18:19], v[12:13], v[18:19]
	s_waitcnt vmcnt(26)
	v_fma_f64 v[61:62], v[6:7], v[20:21], -v[61:62]
	v_fma_f64 v[14:15], v[8:9], v[20:21], v[14:15]
	ds_read_b128 v[6:9], v1 offset:1216
	s_waitcnt vmcnt(22) lgkmcnt(1)
	v_mul_f64 v[20:21], v[2:3], v[22:23]
	v_add_f64 v[57:58], v[57:58], 0
	v_add_f64 v[16:17], v[16:17], 0
	v_mul_f64 v[22:23], v[4:5], v[22:23]
	s_waitcnt vmcnt(20)
	v_fma_f64 v[18:19], v[10:11], v[35:36], -v[18:19]
	v_fma_f64 v[35:36], v[12:13], v[35:36], v[59:60]
	ds_read_b128 v[10:13], v1 offset:1232
	s_waitcnt vmcnt(17)
	v_fma_f64 v[20:21], v[4:5], v[37:38], v[20:21]
	v_add_f64 v[57:58], v[57:58], v[61:62]
	v_add_f64 v[14:15], v[16:17], v[14:15]
	s_waitcnt lgkmcnt(1)
	v_mul_f64 v[16:17], v[6:7], v[31:32]
	v_mul_f64 v[31:32], v[8:9], v[31:32]
	v_fma_f64 v[22:23], v[2:3], v[37:38], -v[22:23]
	s_waitcnt vmcnt(13) lgkmcnt(0)
	v_mul_f64 v[37:38], v[12:13], v[39:40]
	ds_read_b128 v[2:5], v1 offset:1248
	v_add_f64 v[18:19], v[57:58], v[18:19]
	v_add_f64 v[14:15], v[14:15], v[35:36]
	v_mul_f64 v[35:36], v[10:11], v[39:40]
	s_waitcnt vmcnt(12)
	v_fma_f64 v[31:32], v[6:7], v[33:34], -v[31:32]
	v_fma_f64 v[16:17], v[8:9], v[33:34], v[16:17]
	ds_read_b128 v[6:9], v1 offset:1264
	s_waitcnt vmcnt(9)
	v_fma_f64 v[10:11], v[10:11], v[47:48], -v[37:38]
	v_add_f64 v[18:19], v[18:19], v[22:23]
	v_add_f64 v[14:15], v[14:15], v[20:21]
	s_waitcnt lgkmcnt(1)
	v_mul_f64 v[22:23], v[4:5], v[41:42]
	v_mul_f64 v[20:21], v[2:3], v[41:42]
	v_fma_f64 v[12:13], v[12:13], v[47:48], v[35:36]
	v_add_f64 v[18:19], v[18:19], v[31:32]
	v_add_f64 v[14:15], v[14:15], v[16:17]
	s_waitcnt vmcnt(7) lgkmcnt(0)
	v_mul_f64 v[31:32], v[8:9], v[49:50]
	s_waitcnt vmcnt(6)
	v_fma_f64 v[1:2], v[2:3], v[43:44], -v[22:23]
	v_mul_f64 v[16:17], v[6:7], v[49:50]
	v_fma_f64 v[3:4], v[4:5], v[43:44], v[20:21]
	v_add_f64 v[10:11], v[18:19], v[10:11]
	v_add_f64 v[12:13], v[14:15], v[12:13]
	s_waitcnt vmcnt(4)
	v_fma_f64 v[5:6], v[6:7], v[51:52], -v[31:32]
	v_fma_f64 v[7:8], v[8:9], v[51:52], v[16:17]
	v_add_f64 v[1:2], v[10:11], v[1:2]
	v_add_f64 v[3:4], v[12:13], v[3:4]
	;; [unrolled: 1-line block ×4, first 2 shown]
	s_waitcnt vmcnt(2)
	v_add_f64 v[1:2], v[53:54], -v[1:2]
	s_waitcnt vmcnt(0)
	v_add_f64 v[3:4], v[55:56], -v[3:4]
	buffer_store_dword v2, off, s[0:3], 0 offset:516
	buffer_store_dword v1, off, s[0:3], 0 offset:512
	;; [unrolled: 1-line block ×4, first 2 shown]
	v_cmpx_lt_u32_e32 30, v0
	s_cbranch_execz .LBB39_193
; %bb.192:
	v_mov_b32_e32 v4, s33
	v_mov_b32_e32 v5, 0
	s_clause 0x3
	buffer_load_dword v1, v4, s[0:3], 0 offen
	buffer_load_dword v2, v4, s[0:3], 0 offen offset:4
	buffer_load_dword v3, v4, s[0:3], 0 offen offset:8
	;; [unrolled: 1-line block ×3, first 2 shown]
	buffer_store_dword v5, off, s[0:3], 0 offset:496
	buffer_store_dword v5, off, s[0:3], 0 offset:500
	;; [unrolled: 1-line block ×4, first 2 shown]
	s_waitcnt vmcnt(0)
	ds_write_b128 v141, v[1:4]
.LBB39_193:
	s_or_b32 exec_lo, exec_lo, s4
	s_waitcnt lgkmcnt(0)
	s_waitcnt_vscnt null, 0x0
	s_barrier
	buffer_gl0_inv
	s_clause 0x27
	buffer_load_dword v10, off, s[0:3], 0 offset:520
	buffer_load_dword v11, off, s[0:3], 0 offset:524
	;; [unrolled: 1-line block ×40, first 2 shown]
	v_mov_b32_e32 v1, 0
	ds_read_b128 v[2:5], v1 offset:1136
	ds_read_b128 v[6:9], v1 offset:1152
	s_mov_b32 s4, exec_lo
	s_waitcnt vmcnt(38) lgkmcnt(1)
	v_mul_f64 v[61:62], v[4:5], v[10:11]
	v_mul_f64 v[63:64], v[2:3], v[10:11]
	s_waitcnt vmcnt(36) lgkmcnt(0)
	v_mul_f64 v[137:138], v[8:9], v[14:15]
	ds_read_b128 v[10:13], v1 offset:1168
	v_mul_f64 v[14:15], v[6:7], v[14:15]
	s_waitcnt vmcnt(34)
	v_fma_f64 v[61:62], v[2:3], v[16:17], -v[61:62]
	v_fma_f64 v[16:17], v[4:5], v[16:17], v[63:64]
	ds_read_b128 v[2:5], v1 offset:1184
	s_waitcnt vmcnt(32) lgkmcnt(1)
	v_mul_f64 v[63:64], v[10:11], v[18:19]
	v_mul_f64 v[18:19], v[12:13], v[18:19]
	s_waitcnt vmcnt(30)
	v_fma_f64 v[137:138], v[6:7], v[20:21], -v[137:138]
	v_fma_f64 v[14:15], v[8:9], v[20:21], v[14:15]
	ds_read_b128 v[6:9], v1 offset:1200
	s_waitcnt vmcnt(26) lgkmcnt(1)
	v_mul_f64 v[20:21], v[2:3], v[22:23]
	v_add_f64 v[61:62], v[61:62], 0
	v_add_f64 v[16:17], v[16:17], 0
	v_mul_f64 v[22:23], v[4:5], v[22:23]
	s_waitcnt vmcnt(24)
	v_fma_f64 v[18:19], v[10:11], v[35:36], -v[18:19]
	v_fma_f64 v[35:36], v[12:13], v[35:36], v[63:64]
	ds_read_b128 v[10:13], v1 offset:1216
	s_waitcnt vmcnt(21)
	v_fma_f64 v[20:21], v[4:5], v[37:38], v[20:21]
	v_add_f64 v[61:62], v[61:62], v[137:138]
	v_add_f64 v[14:15], v[16:17], v[14:15]
	s_waitcnt lgkmcnt(1)
	v_mul_f64 v[16:17], v[6:7], v[31:32]
	v_mul_f64 v[31:32], v[8:9], v[31:32]
	v_fma_f64 v[22:23], v[2:3], v[37:38], -v[22:23]
	s_waitcnt vmcnt(17) lgkmcnt(0)
	v_mul_f64 v[37:38], v[12:13], v[39:40]
	ds_read_b128 v[2:5], v1 offset:1232
	v_add_f64 v[18:19], v[61:62], v[18:19]
	v_add_f64 v[14:15], v[14:15], v[35:36]
	v_mul_f64 v[35:36], v[10:11], v[39:40]
	s_waitcnt vmcnt(16)
	v_fma_f64 v[31:32], v[6:7], v[33:34], -v[31:32]
	v_fma_f64 v[16:17], v[8:9], v[33:34], v[16:17]
	ds_read_b128 v[6:9], v1 offset:1248
	s_waitcnt vmcnt(13)
	v_fma_f64 v[33:34], v[10:11], v[47:48], -v[37:38]
	v_add_f64 v[18:19], v[18:19], v[22:23]
	v_add_f64 v[14:15], v[14:15], v[20:21]
	s_waitcnt lgkmcnt(1)
	v_mul_f64 v[22:23], v[4:5], v[41:42]
	v_mul_f64 v[20:21], v[2:3], v[41:42]
	v_add_f64 v[18:19], v[18:19], v[31:32]
	v_fma_f64 v[31:32], v[12:13], v[47:48], v[35:36]
	v_add_f64 v[14:15], v[14:15], v[16:17]
	s_waitcnt vmcnt(9) lgkmcnt(0)
	v_mul_f64 v[35:36], v[8:9], v[49:50]
	s_waitcnt vmcnt(8)
	v_fma_f64 v[2:3], v[2:3], v[43:44], -v[22:23]
	ds_read_b128 v[10:13], v1 offset:1264
	v_mul_f64 v[16:17], v[6:7], v[49:50]
	v_fma_f64 v[4:5], v[4:5], v[43:44], v[20:21]
	v_add_f64 v[18:19], v[18:19], v[33:34]
	v_add_f64 v[14:15], v[14:15], v[31:32]
	s_waitcnt vmcnt(7) lgkmcnt(0)
	v_mul_f64 v[22:23], v[12:13], v[51:52]
	s_waitcnt vmcnt(5)
	v_fma_f64 v[6:7], v[6:7], v[55:56], -v[35:36]
	v_mul_f64 v[20:21], v[10:11], v[51:52]
	v_fma_f64 v[8:9], v[8:9], v[55:56], v[16:17]
	v_add_f64 v[2:3], v[18:19], v[2:3]
	v_add_f64 v[4:5], v[14:15], v[4:5]
	s_waitcnt vmcnt(4)
	v_fma_f64 v[10:11], v[10:11], v[53:54], -v[22:23]
	v_add_f64 v[2:3], v[2:3], v[6:7]
	v_fma_f64 v[6:7], v[12:13], v[53:54], v[20:21]
	v_add_f64 v[4:5], v[4:5], v[8:9]
	v_add_f64 v[2:3], v[2:3], v[10:11]
	;; [unrolled: 1-line block ×3, first 2 shown]
	s_waitcnt vmcnt(2)
	v_add_f64 v[2:3], v[57:58], -v[2:3]
	s_waitcnt vmcnt(0)
	v_add_f64 v[4:5], v[59:60], -v[4:5]
	buffer_store_dword v3, off, s[0:3], 0 offset:500
	buffer_store_dword v2, off, s[0:3], 0 offset:496
	;; [unrolled: 1-line block ×4, first 2 shown]
	v_cmpx_lt_u32_e32 29, v0
	s_cbranch_execz .LBB39_195
; %bb.194:
	v_mov_b32_e32 v5, s8
	s_clause 0x3
	buffer_load_dword v2, v5, s[0:3], 0 offen
	buffer_load_dword v3, v5, s[0:3], 0 offen offset:4
	buffer_load_dword v4, v5, s[0:3], 0 offen offset:8
	;; [unrolled: 1-line block ×3, first 2 shown]
	buffer_store_dword v1, off, s[0:3], 0 offset:480
	buffer_store_dword v1, off, s[0:3], 0 offset:484
	;; [unrolled: 1-line block ×4, first 2 shown]
	s_waitcnt vmcnt(0)
	ds_write_b128 v141, v[2:5]
.LBB39_195:
	s_or_b32 exec_lo, exec_lo, s4
	s_waitcnt lgkmcnt(0)
	s_waitcnt_vscnt null, 0x0
	s_barrier
	buffer_gl0_inv
	s_clause 0x2b
	buffer_load_dword v10, off, s[0:3], 0 offset:504
	buffer_load_dword v11, off, s[0:3], 0 offset:508
	buffer_load_dword v14, off, s[0:3], 0 offset:520
	buffer_load_dword v15, off, s[0:3], 0 offset:524
	buffer_load_dword v16, off, s[0:3], 0 offset:496
	buffer_load_dword v17, off, s[0:3], 0 offset:500
	buffer_load_dword v18, off, s[0:3], 0 offset:536
	buffer_load_dword v19, off, s[0:3], 0 offset:540
	buffer_load_dword v20, off, s[0:3], 0 offset:512
	buffer_load_dword v21, off, s[0:3], 0 offset:516
	buffer_load_dword v23, off, s[0:3], 0 offset:556
	buffer_load_dword v31, off, s[0:3], 0 offset:568
	buffer_load_dword v33, off, s[0:3], 0 offset:560
	buffer_load_dword v22, off, s[0:3], 0 offset:552
	buffer_load_dword v35, off, s[0:3], 0 offset:528
	buffer_load_dword v36, off, s[0:3], 0 offset:532
	buffer_load_dword v32, off, s[0:3], 0 offset:572
	buffer_load_dword v38, off, s[0:3], 0 offset:548
	buffer_load_dword v37, off, s[0:3], 0 offset:544
	buffer_load_dword v40, off, s[0:3], 0 offset:588
	buffer_load_dword v41, off, s[0:3], 0 offset:600
	buffer_load_dword v43, off, s[0:3], 0 offset:592
	buffer_load_dword v39, off, s[0:3], 0 offset:584
	buffer_load_dword v34, off, s[0:3], 0 offset:564
	buffer_load_dword v42, off, s[0:3], 0 offset:604
	buffer_load_dword v48, off, s[0:3], 0 offset:580
	buffer_load_dword v47, off, s[0:3], 0 offset:576
	buffer_load_dword v50, off, s[0:3], 0 offset:620
	buffer_load_dword v51, off, s[0:3], 0 offset:632
	buffer_load_dword v53, off, s[0:3], 0 offset:624
	buffer_load_dword v49, off, s[0:3], 0 offset:616
	buffer_load_dword v44, off, s[0:3], 0 offset:596
	buffer_load_dword v52, off, s[0:3], 0 offset:636
	buffer_load_dword v56, off, s[0:3], 0 offset:612
	buffer_load_dword v55, off, s[0:3], 0 offset:608
	buffer_load_dword v58, off, s[0:3], 0 offset:652
	buffer_load_dword v57, off, s[0:3], 0 offset:648
	buffer_load_dword v54, off, s[0:3], 0 offset:628
	buffer_load_dword v60, off, s[0:3], 0 offset:644
	buffer_load_dword v59, off, s[0:3], 0 offset:640
	buffer_load_dword v61, off, s[0:3], 0 offset:480
	buffer_load_dword v62, off, s[0:3], 0 offset:484
	buffer_load_dword v63, off, s[0:3], 0 offset:488
	buffer_load_dword v64, off, s[0:3], 0 offset:492
	ds_read_b128 v[2:5], v1 offset:1120
	ds_read_b128 v[6:9], v1 offset:1136
	s_mov_b32 s4, exec_lo
	s_waitcnt vmcnt(42) lgkmcnt(1)
	v_mul_f64 v[137:138], v[4:5], v[10:11]
	v_mul_f64 v[139:140], v[2:3], v[10:11]
	s_waitcnt vmcnt(40) lgkmcnt(0)
	v_mul_f64 v[142:143], v[8:9], v[14:15]
	ds_read_b128 v[10:13], v1 offset:1152
	v_mul_f64 v[14:15], v[6:7], v[14:15]
	s_waitcnt vmcnt(38)
	v_fma_f64 v[137:138], v[2:3], v[16:17], -v[137:138]
	v_fma_f64 v[16:17], v[4:5], v[16:17], v[139:140]
	ds_read_b128 v[2:5], v1 offset:1168
	s_waitcnt vmcnt(36) lgkmcnt(1)
	v_mul_f64 v[139:140], v[10:11], v[18:19]
	v_mul_f64 v[18:19], v[12:13], v[18:19]
	s_waitcnt vmcnt(34)
	v_fma_f64 v[142:143], v[6:7], v[20:21], -v[142:143]
	v_fma_f64 v[14:15], v[8:9], v[20:21], v[14:15]
	ds_read_b128 v[6:9], v1 offset:1184
	s_waitcnt vmcnt(30) lgkmcnt(1)
	v_mul_f64 v[20:21], v[2:3], v[22:23]
	v_add_f64 v[137:138], v[137:138], 0
	v_add_f64 v[16:17], v[16:17], 0
	v_mul_f64 v[22:23], v[4:5], v[22:23]
	s_waitcnt vmcnt(28)
	v_fma_f64 v[18:19], v[10:11], v[35:36], -v[18:19]
	v_fma_f64 v[35:36], v[12:13], v[35:36], v[139:140]
	ds_read_b128 v[10:13], v1 offset:1200
	s_waitcnt vmcnt(25)
	v_fma_f64 v[20:21], v[4:5], v[37:38], v[20:21]
	v_add_f64 v[137:138], v[137:138], v[142:143]
	v_add_f64 v[14:15], v[16:17], v[14:15]
	s_waitcnt lgkmcnt(1)
	v_mul_f64 v[16:17], v[6:7], v[31:32]
	v_mul_f64 v[31:32], v[8:9], v[31:32]
	v_fma_f64 v[22:23], v[2:3], v[37:38], -v[22:23]
	s_waitcnt vmcnt(21) lgkmcnt(0)
	v_mul_f64 v[37:38], v[12:13], v[39:40]
	ds_read_b128 v[2:5], v1 offset:1216
	v_add_f64 v[18:19], v[137:138], v[18:19]
	v_add_f64 v[14:15], v[14:15], v[35:36]
	v_mul_f64 v[35:36], v[10:11], v[39:40]
	s_waitcnt vmcnt(20)
	v_fma_f64 v[31:32], v[6:7], v[33:34], -v[31:32]
	v_fma_f64 v[16:17], v[8:9], v[33:34], v[16:17]
	ds_read_b128 v[6:9], v1 offset:1232
	s_waitcnt vmcnt(17)
	v_fma_f64 v[33:34], v[10:11], v[47:48], -v[37:38]
	v_add_f64 v[18:19], v[18:19], v[22:23]
	v_add_f64 v[14:15], v[14:15], v[20:21]
	s_waitcnt lgkmcnt(1)
	v_mul_f64 v[22:23], v[4:5], v[41:42]
	v_mul_f64 v[20:21], v[2:3], v[41:42]
	v_add_f64 v[18:19], v[18:19], v[31:32]
	v_fma_f64 v[31:32], v[12:13], v[47:48], v[35:36]
	v_add_f64 v[14:15], v[14:15], v[16:17]
	s_waitcnt vmcnt(13) lgkmcnt(0)
	v_mul_f64 v[35:36], v[8:9], v[49:50]
	s_waitcnt vmcnt(12)
	v_fma_f64 v[22:23], v[2:3], v[43:44], -v[22:23]
	ds_read_b128 v[10:13], v1 offset:1248
	v_mul_f64 v[16:17], v[6:7], v[49:50]
	v_fma_f64 v[20:21], v[4:5], v[43:44], v[20:21]
	ds_read_b128 v[1:4], v1 offset:1264
	v_add_f64 v[18:19], v[18:19], v[33:34]
	v_add_f64 v[14:15], v[14:15], v[31:32]
	s_waitcnt vmcnt(11) lgkmcnt(1)
	v_mul_f64 v[33:34], v[12:13], v[51:52]
	s_waitcnt vmcnt(9)
	v_fma_f64 v[5:6], v[6:7], v[55:56], -v[35:36]
	v_mul_f64 v[31:32], v[10:11], v[51:52]
	v_fma_f64 v[7:8], v[8:9], v[55:56], v[16:17]
	s_waitcnt vmcnt(7) lgkmcnt(0)
	v_mul_f64 v[16:17], v[1:2], v[57:58]
	v_add_f64 v[18:19], v[18:19], v[22:23]
	v_add_f64 v[14:15], v[14:15], v[20:21]
	v_mul_f64 v[20:21], v[3:4], v[57:58]
	s_waitcnt vmcnt(6)
	v_fma_f64 v[9:10], v[10:11], v[53:54], -v[33:34]
	v_fma_f64 v[11:12], v[12:13], v[53:54], v[31:32]
	s_waitcnt vmcnt(4)
	v_fma_f64 v[3:4], v[3:4], v[59:60], v[16:17]
	v_add_f64 v[5:6], v[18:19], v[5:6]
	v_add_f64 v[7:8], v[14:15], v[7:8]
	v_fma_f64 v[1:2], v[1:2], v[59:60], -v[20:21]
	v_add_f64 v[5:6], v[5:6], v[9:10]
	v_add_f64 v[7:8], v[7:8], v[11:12]
	v_add_f64 v[1:2], v[5:6], v[1:2]
	v_add_f64 v[3:4], v[7:8], v[3:4]
	s_waitcnt vmcnt(2)
	v_add_f64 v[1:2], v[61:62], -v[1:2]
	s_waitcnt vmcnt(0)
	v_add_f64 v[3:4], v[63:64], -v[3:4]
	buffer_store_dword v2, off, s[0:3], 0 offset:484
	buffer_store_dword v1, off, s[0:3], 0 offset:480
	;; [unrolled: 1-line block ×4, first 2 shown]
	v_cmpx_lt_u32_e32 28, v0
	s_cbranch_execz .LBB39_197
; %bb.196:
	v_mov_b32_e32 v4, s9
	v_mov_b32_e32 v5, 0
	s_clause 0x3
	buffer_load_dword v1, v4, s[0:3], 0 offen
	buffer_load_dword v2, v4, s[0:3], 0 offen offset:4
	buffer_load_dword v3, v4, s[0:3], 0 offen offset:8
	;; [unrolled: 1-line block ×3, first 2 shown]
	buffer_store_dword v5, off, s[0:3], 0 offset:464
	buffer_store_dword v5, off, s[0:3], 0 offset:468
	;; [unrolled: 1-line block ×4, first 2 shown]
	s_waitcnt vmcnt(0)
	ds_write_b128 v141, v[1:4]
.LBB39_197:
	s_or_b32 exec_lo, exec_lo, s4
	s_waitcnt lgkmcnt(0)
	s_waitcnt_vscnt null, 0x0
	s_barrier
	buffer_gl0_inv
	s_clause 0x2f
	buffer_load_dword v10, off, s[0:3], 0 offset:488
	buffer_load_dword v11, off, s[0:3], 0 offset:492
	;; [unrolled: 1-line block ×48, first 2 shown]
	v_mov_b32_e32 v1, 0
	ds_read_b128 v[2:5], v1 offset:1104
	ds_read_b128 v[6:9], v1 offset:1120
	s_mov_b32 s4, exec_lo
	s_waitcnt vmcnt(46) lgkmcnt(1)
	v_mul_f64 v[142:143], v[4:5], v[10:11]
	v_mul_f64 v[144:145], v[2:3], v[10:11]
	s_waitcnt vmcnt(44) lgkmcnt(0)
	v_mul_f64 v[146:147], v[8:9], v[14:15]
	ds_read_b128 v[10:13], v1 offset:1136
	v_mul_f64 v[14:15], v[6:7], v[14:15]
	s_waitcnt vmcnt(42)
	v_fma_f64 v[142:143], v[2:3], v[16:17], -v[142:143]
	v_fma_f64 v[16:17], v[4:5], v[16:17], v[144:145]
	ds_read_b128 v[2:5], v1 offset:1152
	s_waitcnt vmcnt(40) lgkmcnt(1)
	v_mul_f64 v[144:145], v[10:11], v[18:19]
	v_mul_f64 v[18:19], v[12:13], v[18:19]
	s_waitcnt vmcnt(38)
	v_fma_f64 v[146:147], v[6:7], v[20:21], -v[146:147]
	v_fma_f64 v[14:15], v[8:9], v[20:21], v[14:15]
	ds_read_b128 v[6:9], v1 offset:1168
	s_waitcnt vmcnt(34) lgkmcnt(1)
	v_mul_f64 v[20:21], v[2:3], v[22:23]
	v_add_f64 v[142:143], v[142:143], 0
	v_add_f64 v[16:17], v[16:17], 0
	v_mul_f64 v[22:23], v[4:5], v[22:23]
	s_waitcnt vmcnt(32)
	v_fma_f64 v[18:19], v[10:11], v[35:36], -v[18:19]
	v_fma_f64 v[35:36], v[12:13], v[35:36], v[144:145]
	ds_read_b128 v[10:13], v1 offset:1184
	s_waitcnt vmcnt(29)
	v_fma_f64 v[20:21], v[4:5], v[37:38], v[20:21]
	v_add_f64 v[142:143], v[142:143], v[146:147]
	v_add_f64 v[14:15], v[16:17], v[14:15]
	s_waitcnt lgkmcnt(1)
	v_mul_f64 v[16:17], v[6:7], v[31:32]
	v_mul_f64 v[31:32], v[8:9], v[31:32]
	v_fma_f64 v[22:23], v[2:3], v[37:38], -v[22:23]
	s_waitcnt vmcnt(25) lgkmcnt(0)
	v_mul_f64 v[37:38], v[12:13], v[39:40]
	ds_read_b128 v[2:5], v1 offset:1200
	v_add_f64 v[18:19], v[142:143], v[18:19]
	v_add_f64 v[14:15], v[14:15], v[35:36]
	v_mul_f64 v[35:36], v[10:11], v[39:40]
	s_waitcnt vmcnt(24)
	v_fma_f64 v[31:32], v[6:7], v[33:34], -v[31:32]
	v_fma_f64 v[16:17], v[8:9], v[33:34], v[16:17]
	ds_read_b128 v[6:9], v1 offset:1216
	s_waitcnt vmcnt(21)
	v_fma_f64 v[33:34], v[10:11], v[47:48], -v[37:38]
	v_add_f64 v[18:19], v[18:19], v[22:23]
	v_add_f64 v[14:15], v[14:15], v[20:21]
	s_waitcnt lgkmcnt(1)
	v_mul_f64 v[22:23], v[4:5], v[41:42]
	v_mul_f64 v[20:21], v[2:3], v[41:42]
	v_add_f64 v[18:19], v[18:19], v[31:32]
	v_fma_f64 v[31:32], v[12:13], v[47:48], v[35:36]
	v_add_f64 v[14:15], v[14:15], v[16:17]
	s_waitcnt vmcnt(17) lgkmcnt(0)
	v_mul_f64 v[35:36], v[8:9], v[49:50]
	s_waitcnt vmcnt(16)
	v_fma_f64 v[22:23], v[2:3], v[43:44], -v[22:23]
	ds_read_b128 v[10:13], v1 offset:1232
	v_mul_f64 v[16:17], v[6:7], v[49:50]
	v_fma_f64 v[20:21], v[4:5], v[43:44], v[20:21]
	ds_read_b128 v[2:5], v1 offset:1248
	v_add_f64 v[18:19], v[18:19], v[33:34]
	v_add_f64 v[14:15], v[14:15], v[31:32]
	s_waitcnt vmcnt(15) lgkmcnt(1)
	v_mul_f64 v[33:34], v[12:13], v[51:52]
	s_waitcnt vmcnt(13)
	v_fma_f64 v[35:36], v[6:7], v[55:56], -v[35:36]
	v_mul_f64 v[31:32], v[10:11], v[51:52]
	v_fma_f64 v[16:17], v[8:9], v[55:56], v[16:17]
	ds_read_b128 v[6:9], v1 offset:1264
	v_add_f64 v[18:19], v[18:19], v[22:23]
	s_waitcnt vmcnt(9) lgkmcnt(1)
	v_mul_f64 v[22:23], v[4:5], v[57:58]
	v_add_f64 v[14:15], v[14:15], v[20:21]
	s_waitcnt vmcnt(8)
	v_fma_f64 v[10:11], v[10:11], v[53:54], -v[33:34]
	v_mul_f64 v[20:21], v[2:3], v[57:58]
	v_fma_f64 v[12:13], v[12:13], v[53:54], v[31:32]
	s_waitcnt vmcnt(7) lgkmcnt(0)
	v_mul_f64 v[31:32], v[8:9], v[59:60]
	v_add_f64 v[18:19], v[18:19], v[35:36]
	s_waitcnt vmcnt(5)
	v_fma_f64 v[2:3], v[2:3], v[63:64], -v[22:23]
	v_add_f64 v[14:15], v[14:15], v[16:17]
	v_mul_f64 v[16:17], v[6:7], v[59:60]
	v_fma_f64 v[4:5], v[4:5], v[63:64], v[20:21]
	s_waitcnt vmcnt(4)
	v_fma_f64 v[6:7], v[6:7], v[61:62], -v[31:32]
	v_add_f64 v[10:11], v[18:19], v[10:11]
	v_add_f64 v[12:13], v[14:15], v[12:13]
	v_fma_f64 v[8:9], v[8:9], v[61:62], v[16:17]
	v_add_f64 v[2:3], v[10:11], v[2:3]
	v_add_f64 v[4:5], v[12:13], v[4:5]
	;; [unrolled: 1-line block ×4, first 2 shown]
	s_waitcnt vmcnt(2)
	v_add_f64 v[2:3], v[137:138], -v[2:3]
	s_waitcnt vmcnt(0)
	v_add_f64 v[4:5], v[139:140], -v[4:5]
	buffer_store_dword v3, off, s[0:3], 0 offset:468
	buffer_store_dword v2, off, s[0:3], 0 offset:464
	;; [unrolled: 1-line block ×4, first 2 shown]
	v_cmpx_lt_u32_e32 27, v0
	s_cbranch_execz .LBB39_199
; %bb.198:
	v_mov_b32_e32 v5, s12
	s_clause 0x3
	buffer_load_dword v2, v5, s[0:3], 0 offen
	buffer_load_dword v3, v5, s[0:3], 0 offen offset:4
	buffer_load_dword v4, v5, s[0:3], 0 offen offset:8
	buffer_load_dword v5, v5, s[0:3], 0 offen offset:12
	buffer_store_dword v1, off, s[0:3], 0 offset:448
	buffer_store_dword v1, off, s[0:3], 0 offset:452
	;; [unrolled: 1-line block ×4, first 2 shown]
	s_waitcnt vmcnt(0)
	ds_write_b128 v141, v[2:5]
.LBB39_199:
	s_or_b32 exec_lo, exec_lo, s4
	s_waitcnt lgkmcnt(0)
	s_waitcnt_vscnt null, 0x0
	s_barrier
	buffer_gl0_inv
	s_clause 0x2f
	buffer_load_dword v10, off, s[0:3], 0 offset:472
	buffer_load_dword v11, off, s[0:3], 0 offset:476
	;; [unrolled: 1-line block ×48, first 2 shown]
	ds_read_b128 v[2:5], v1 offset:1088
	s_clause 0x3
	buffer_load_dword v142, off, s[0:3], 0 offset:448
	buffer_load_dword v143, off, s[0:3], 0 offset:452
	buffer_load_dword v144, off, s[0:3], 0 offset:456
	buffer_load_dword v145, off, s[0:3], 0 offset:460
	ds_read_b128 v[6:9], v1 offset:1104
	s_mov_b32 s4, exec_lo
	s_waitcnt vmcnt(50) lgkmcnt(1)
	v_mul_f64 v[146:147], v[4:5], v[10:11]
	v_mul_f64 v[148:149], v[2:3], v[10:11]
	ds_read_b128 v[10:13], v1 offset:1120
	s_waitcnt vmcnt(48) lgkmcnt(1)
	v_mul_f64 v[150:151], v[8:9], v[14:15]
	v_mul_f64 v[14:15], v[6:7], v[14:15]
	s_waitcnt vmcnt(46)
	v_fma_f64 v[146:147], v[2:3], v[16:17], -v[146:147]
	v_fma_f64 v[16:17], v[4:5], v[16:17], v[148:149]
	s_waitcnt vmcnt(44) lgkmcnt(0)
	v_mul_f64 v[148:149], v[10:11], v[18:19]
	v_mul_f64 v[18:19], v[12:13], v[18:19]
	s_waitcnt vmcnt(42)
	v_fma_f64 v[150:151], v[6:7], v[20:21], -v[150:151]
	ds_read_b128 v[2:5], v1 offset:1136
	v_fma_f64 v[14:15], v[8:9], v[20:21], v[14:15]
	ds_read_b128 v[6:9], v1 offset:1152
	v_add_f64 v[146:147], v[146:147], 0
	v_add_f64 v[16:17], v[16:17], 0
	s_waitcnt vmcnt(38) lgkmcnt(1)
	v_mul_f64 v[20:21], v[2:3], v[22:23]
	v_mul_f64 v[22:23], v[4:5], v[22:23]
	s_waitcnt vmcnt(36)
	v_fma_f64 v[18:19], v[10:11], v[35:36], -v[18:19]
	v_fma_f64 v[35:36], v[12:13], v[35:36], v[148:149]
	ds_read_b128 v[10:13], v1 offset:1168
	v_add_f64 v[146:147], v[146:147], v[150:151]
	v_add_f64 v[14:15], v[16:17], v[14:15]
	s_waitcnt vmcnt(35) lgkmcnt(1)
	v_mul_f64 v[16:17], v[6:7], v[31:32]
	v_mul_f64 v[31:32], v[8:9], v[31:32]
	s_waitcnt vmcnt(33)
	v_fma_f64 v[22:23], v[2:3], v[37:38], -v[22:23]
	v_fma_f64 v[20:21], v[4:5], v[37:38], v[20:21]
	ds_read_b128 v[2:5], v1 offset:1184
	s_waitcnt vmcnt(29) lgkmcnt(1)
	v_mul_f64 v[37:38], v[12:13], v[39:40]
	v_add_f64 v[18:19], v[146:147], v[18:19]
	v_add_f64 v[14:15], v[14:15], v[35:36]
	v_mul_f64 v[35:36], v[10:11], v[39:40]
	s_waitcnt vmcnt(28)
	v_fma_f64 v[31:32], v[6:7], v[33:34], -v[31:32]
	v_fma_f64 v[16:17], v[8:9], v[33:34], v[16:17]
	ds_read_b128 v[6:9], v1 offset:1200
	s_waitcnt vmcnt(25)
	v_fma_f64 v[33:34], v[10:11], v[47:48], -v[37:38]
	v_add_f64 v[18:19], v[18:19], v[22:23]
	v_add_f64 v[14:15], v[14:15], v[20:21]
	s_waitcnt lgkmcnt(1)
	v_mul_f64 v[22:23], v[4:5], v[41:42]
	v_mul_f64 v[20:21], v[2:3], v[41:42]
	v_add_f64 v[18:19], v[18:19], v[31:32]
	v_fma_f64 v[31:32], v[12:13], v[47:48], v[35:36]
	v_add_f64 v[14:15], v[14:15], v[16:17]
	ds_read_b128 v[10:13], v1 offset:1216
	s_waitcnt vmcnt(21) lgkmcnt(1)
	v_mul_f64 v[35:36], v[8:9], v[49:50]
	s_waitcnt vmcnt(20)
	v_fma_f64 v[22:23], v[2:3], v[43:44], -v[22:23]
	v_mul_f64 v[16:17], v[6:7], v[49:50]
	v_fma_f64 v[20:21], v[4:5], v[43:44], v[20:21]
	ds_read_b128 v[2:5], v1 offset:1232
	v_add_f64 v[18:19], v[18:19], v[33:34]
	s_waitcnt vmcnt(19) lgkmcnt(1)
	v_mul_f64 v[33:34], v[12:13], v[51:52]
	v_add_f64 v[14:15], v[14:15], v[31:32]
	v_mul_f64 v[31:32], v[10:11], v[51:52]
	s_waitcnt vmcnt(17)
	v_fma_f64 v[35:36], v[6:7], v[55:56], -v[35:36]
	v_fma_f64 v[16:17], v[8:9], v[55:56], v[16:17]
	ds_read_b128 v[6:9], v1 offset:1248
	v_add_f64 v[18:19], v[18:19], v[22:23]
	s_waitcnt vmcnt(13) lgkmcnt(1)
	v_mul_f64 v[22:23], v[4:5], v[57:58]
	v_add_f64 v[14:15], v[14:15], v[20:21]
	s_waitcnt vmcnt(12)
	v_fma_f64 v[33:34], v[10:11], v[53:54], -v[33:34]
	v_mul_f64 v[20:21], v[2:3], v[57:58]
	v_fma_f64 v[31:32], v[12:13], v[53:54], v[31:32]
	ds_read_b128 v[10:13], v1 offset:1264
	v_add_f64 v[18:19], v[18:19], v[35:36]
	s_waitcnt vmcnt(11) lgkmcnt(1)
	v_mul_f64 v[35:36], v[8:9], v[59:60]
	v_add_f64 v[14:15], v[14:15], v[16:17]
	s_waitcnt vmcnt(9)
	v_fma_f64 v[1:2], v[2:3], v[63:64], -v[22:23]
	v_mul_f64 v[16:17], v[6:7], v[59:60]
	v_fma_f64 v[3:4], v[4:5], v[63:64], v[20:21]
	s_waitcnt vmcnt(7) lgkmcnt(0)
	v_mul_f64 v[22:23], v[12:13], v[137:138]
	v_mul_f64 v[20:21], v[10:11], v[137:138]
	v_add_f64 v[18:19], v[18:19], v[33:34]
	s_waitcnt vmcnt(6)
	v_fma_f64 v[5:6], v[6:7], v[61:62], -v[35:36]
	v_add_f64 v[14:15], v[14:15], v[31:32]
	v_fma_f64 v[7:8], v[8:9], v[61:62], v[16:17]
	s_waitcnt vmcnt(4)
	v_fma_f64 v[9:10], v[10:11], v[139:140], -v[22:23]
	v_add_f64 v[1:2], v[18:19], v[1:2]
	v_add_f64 v[3:4], v[14:15], v[3:4]
	;; [unrolled: 1-line block ×3, first 2 shown]
	v_fma_f64 v[5:6], v[12:13], v[139:140], v[20:21]
	v_add_f64 v[3:4], v[3:4], v[7:8]
	v_add_f64 v[1:2], v[1:2], v[9:10]
	;; [unrolled: 1-line block ×3, first 2 shown]
	s_waitcnt vmcnt(2)
	v_add_f64 v[1:2], v[142:143], -v[1:2]
	s_waitcnt vmcnt(0)
	v_add_f64 v[3:4], v[144:145], -v[3:4]
	buffer_store_dword v2, off, s[0:3], 0 offset:452
	buffer_store_dword v1, off, s[0:3], 0 offset:448
	;; [unrolled: 1-line block ×4, first 2 shown]
	v_cmpx_lt_u32_e32 26, v0
	s_cbranch_execz .LBB39_201
; %bb.200:
	v_mov_b32_e32 v4, s14
	v_mov_b32_e32 v5, 0
	s_clause 0x3
	buffer_load_dword v1, v4, s[0:3], 0 offen
	buffer_load_dword v2, v4, s[0:3], 0 offen offset:4
	buffer_load_dword v3, v4, s[0:3], 0 offen offset:8
	;; [unrolled: 1-line block ×3, first 2 shown]
	buffer_store_dword v5, off, s[0:3], 0 offset:432
	buffer_store_dword v5, off, s[0:3], 0 offset:436
	;; [unrolled: 1-line block ×4, first 2 shown]
	s_waitcnt vmcnt(0)
	ds_write_b128 v141, v[1:4]
.LBB39_201:
	s_or_b32 exec_lo, exec_lo, s4
	s_waitcnt lgkmcnt(0)
	s_waitcnt_vscnt null, 0x0
	s_barrier
	buffer_gl0_inv
	s_clause 0x33
	buffer_load_dword v10, off, s[0:3], 0 offset:456
	buffer_load_dword v11, off, s[0:3], 0 offset:460
	;; [unrolled: 1-line block ×52, first 2 shown]
	v_mov_b32_e32 v1, 0
	ds_read_b128 v[2:5], v1 offset:1072
	ds_read_b128 v[6:9], v1 offset:1088
	s_clause 0x3
	buffer_load_dword v150, off, s[0:3], 0 offset:432
	buffer_load_dword v151, off, s[0:3], 0 offset:436
	;; [unrolled: 1-line block ×4, first 2 shown]
	s_mov_b32 s4, exec_lo
	s_waitcnt vmcnt(54) lgkmcnt(1)
	v_mul_f64 v[146:147], v[4:5], v[10:11]
	v_mul_f64 v[148:149], v[2:3], v[10:11]
	s_waitcnt vmcnt(52) lgkmcnt(0)
	v_mul_f64 v[154:155], v[8:9], v[14:15]
	ds_read_b128 v[10:13], v1 offset:1104
	v_mul_f64 v[14:15], v[6:7], v[14:15]
	s_waitcnt vmcnt(50)
	v_fma_f64 v[146:147], v[2:3], v[16:17], -v[146:147]
	v_fma_f64 v[16:17], v[4:5], v[16:17], v[148:149]
	ds_read_b128 v[2:5], v1 offset:1120
	s_waitcnt vmcnt(48) lgkmcnt(1)
	v_mul_f64 v[148:149], v[10:11], v[18:19]
	v_mul_f64 v[18:19], v[12:13], v[18:19]
	s_waitcnt vmcnt(46)
	v_fma_f64 v[154:155], v[6:7], v[20:21], -v[154:155]
	v_fma_f64 v[14:15], v[8:9], v[20:21], v[14:15]
	ds_read_b128 v[6:9], v1 offset:1136
	s_waitcnt vmcnt(42) lgkmcnt(1)
	v_mul_f64 v[20:21], v[2:3], v[22:23]
	v_add_f64 v[146:147], v[146:147], 0
	v_add_f64 v[16:17], v[16:17], 0
	v_mul_f64 v[22:23], v[4:5], v[22:23]
	s_waitcnt vmcnt(40)
	v_fma_f64 v[18:19], v[10:11], v[35:36], -v[18:19]
	v_fma_f64 v[35:36], v[12:13], v[35:36], v[148:149]
	ds_read_b128 v[10:13], v1 offset:1152
	s_waitcnt vmcnt(37)
	v_fma_f64 v[20:21], v[4:5], v[37:38], v[20:21]
	v_add_f64 v[146:147], v[146:147], v[154:155]
	v_add_f64 v[14:15], v[16:17], v[14:15]
	s_waitcnt lgkmcnt(1)
	v_mul_f64 v[16:17], v[6:7], v[31:32]
	v_mul_f64 v[31:32], v[8:9], v[31:32]
	v_fma_f64 v[22:23], v[2:3], v[37:38], -v[22:23]
	s_waitcnt vmcnt(33) lgkmcnt(0)
	v_mul_f64 v[37:38], v[12:13], v[39:40]
	ds_read_b128 v[2:5], v1 offset:1168
	v_add_f64 v[18:19], v[146:147], v[18:19]
	v_add_f64 v[14:15], v[14:15], v[35:36]
	v_mul_f64 v[35:36], v[10:11], v[39:40]
	s_waitcnt vmcnt(32)
	v_fma_f64 v[31:32], v[6:7], v[33:34], -v[31:32]
	v_fma_f64 v[16:17], v[8:9], v[33:34], v[16:17]
	ds_read_b128 v[6:9], v1 offset:1184
	s_waitcnt vmcnt(29)
	v_fma_f64 v[33:34], v[10:11], v[47:48], -v[37:38]
	v_add_f64 v[18:19], v[18:19], v[22:23]
	v_add_f64 v[14:15], v[14:15], v[20:21]
	s_waitcnt lgkmcnt(1)
	v_mul_f64 v[22:23], v[4:5], v[41:42]
	v_mul_f64 v[20:21], v[2:3], v[41:42]
	v_add_f64 v[18:19], v[18:19], v[31:32]
	v_fma_f64 v[31:32], v[12:13], v[47:48], v[35:36]
	v_add_f64 v[14:15], v[14:15], v[16:17]
	s_waitcnt vmcnt(25) lgkmcnt(0)
	v_mul_f64 v[35:36], v[8:9], v[49:50]
	s_waitcnt vmcnt(24)
	v_fma_f64 v[22:23], v[2:3], v[43:44], -v[22:23]
	ds_read_b128 v[10:13], v1 offset:1200
	v_mul_f64 v[16:17], v[6:7], v[49:50]
	v_fma_f64 v[20:21], v[4:5], v[43:44], v[20:21]
	ds_read_b128 v[2:5], v1 offset:1216
	v_add_f64 v[18:19], v[18:19], v[33:34]
	v_add_f64 v[14:15], v[14:15], v[31:32]
	s_waitcnt vmcnt(23) lgkmcnt(1)
	v_mul_f64 v[33:34], v[12:13], v[51:52]
	s_waitcnt vmcnt(21)
	v_fma_f64 v[35:36], v[6:7], v[55:56], -v[35:36]
	v_mul_f64 v[31:32], v[10:11], v[51:52]
	v_fma_f64 v[16:17], v[8:9], v[55:56], v[16:17]
	ds_read_b128 v[6:9], v1 offset:1232
	v_add_f64 v[18:19], v[18:19], v[22:23]
	s_waitcnt vmcnt(17) lgkmcnt(1)
	v_mul_f64 v[22:23], v[4:5], v[57:58]
	v_add_f64 v[14:15], v[14:15], v[20:21]
	s_waitcnt vmcnt(16)
	v_fma_f64 v[33:34], v[10:11], v[53:54], -v[33:34]
	v_mul_f64 v[20:21], v[2:3], v[57:58]
	v_fma_f64 v[31:32], v[12:13], v[53:54], v[31:32]
	ds_read_b128 v[10:13], v1 offset:1248
	v_add_f64 v[18:19], v[18:19], v[35:36]
	s_waitcnt vmcnt(15) lgkmcnt(1)
	v_mul_f64 v[35:36], v[8:9], v[59:60]
	v_add_f64 v[14:15], v[14:15], v[16:17]
	s_waitcnt vmcnt(13)
	v_fma_f64 v[22:23], v[2:3], v[63:64], -v[22:23]
	v_mul_f64 v[16:17], v[6:7], v[59:60]
	v_fma_f64 v[20:21], v[4:5], v[63:64], v[20:21]
	ds_read_b128 v[2:5], v1 offset:1264
	v_add_f64 v[18:19], v[18:19], v[33:34]
	s_waitcnt vmcnt(9) lgkmcnt(1)
	v_mul_f64 v[33:34], v[12:13], v[137:138]
	v_add_f64 v[14:15], v[14:15], v[31:32]
	s_waitcnt vmcnt(8)
	v_fma_f64 v[6:7], v[6:7], v[61:62], -v[35:36]
	v_mul_f64 v[31:32], v[10:11], v[137:138]
	v_fma_f64 v[8:9], v[8:9], v[61:62], v[16:17]
	s_waitcnt vmcnt(7) lgkmcnt(0)
	v_mul_f64 v[16:17], v[2:3], v[139:140]
	v_add_f64 v[18:19], v[18:19], v[22:23]
	s_waitcnt vmcnt(5)
	v_fma_f64 v[10:11], v[10:11], v[144:145], -v[33:34]
	v_add_f64 v[14:15], v[14:15], v[20:21]
	v_mul_f64 v[20:21], v[4:5], v[139:140]
	v_fma_f64 v[12:13], v[12:13], v[144:145], v[31:32]
	s_waitcnt vmcnt(4)
	v_fma_f64 v[4:5], v[4:5], v[142:143], v[16:17]
	v_add_f64 v[6:7], v[18:19], v[6:7]
	v_add_f64 v[8:9], v[14:15], v[8:9]
	v_fma_f64 v[2:3], v[2:3], v[142:143], -v[20:21]
	v_add_f64 v[6:7], v[6:7], v[10:11]
	v_add_f64 v[8:9], v[8:9], v[12:13]
	;; [unrolled: 1-line block ×4, first 2 shown]
	s_waitcnt vmcnt(2)
	v_add_f64 v[2:3], v[150:151], -v[2:3]
	s_waitcnt vmcnt(0)
	v_add_f64 v[4:5], v[152:153], -v[4:5]
	buffer_store_dword v3, off, s[0:3], 0 offset:436
	buffer_store_dword v2, off, s[0:3], 0 offset:432
	;; [unrolled: 1-line block ×4, first 2 shown]
	v_cmpx_lt_u32_e32 25, v0
	s_cbranch_execz .LBB39_203
; %bb.202:
	v_mov_b32_e32 v5, s16
	s_clause 0x3
	buffer_load_dword v2, v5, s[0:3], 0 offen
	buffer_load_dword v3, v5, s[0:3], 0 offen offset:4
	buffer_load_dword v4, v5, s[0:3], 0 offen offset:8
	;; [unrolled: 1-line block ×3, first 2 shown]
	buffer_store_dword v1, off, s[0:3], 0 offset:416
	buffer_store_dword v1, off, s[0:3], 0 offset:420
	;; [unrolled: 1-line block ×4, first 2 shown]
	s_waitcnt vmcnt(0)
	ds_write_b128 v141, v[2:5]
.LBB39_203:
	s_or_b32 exec_lo, exec_lo, s4
	s_waitcnt lgkmcnt(0)
	s_waitcnt_vscnt null, 0x0
	s_barrier
	buffer_gl0_inv
	s_clause 0x35
	buffer_load_dword v10, off, s[0:3], 0 offset:440
	buffer_load_dword v11, off, s[0:3], 0 offset:444
	;; [unrolled: 1-line block ×54, first 2 shown]
	ds_read_b128 v[2:5], v1 offset:1056
	s_clause 0x1
	buffer_load_dword v149, off, s[0:3], 0 offset:644
	buffer_load_dword v148, off, s[0:3], 0 offset:640
	ds_read_b128 v[6:9], v1 offset:1072
	s_mov_b32 s4, exec_lo
	s_waitcnt vmcnt(54) lgkmcnt(1)
	v_mul_f64 v[150:151], v[4:5], v[10:11]
	v_mul_f64 v[152:153], v[2:3], v[10:11]
	ds_read_b128 v[10:13], v1 offset:1088
	s_waitcnt vmcnt(52) lgkmcnt(1)
	v_mul_f64 v[154:155], v[8:9], v[14:15]
	v_mul_f64 v[14:15], v[6:7], v[14:15]
	s_waitcnt vmcnt(48) lgkmcnt(0)
	v_mul_f64 v[158:159], v[10:11], v[18:19]
	v_fma_f64 v[150:151], v[2:3], v[16:17], -v[150:151]
	v_fma_f64 v[16:17], v[4:5], v[16:17], v[152:153]
	s_clause 0x3
	buffer_load_dword v152, off, s[0:3], 0 offset:416
	buffer_load_dword v153, off, s[0:3], 0 offset:420
	;; [unrolled: 1-line block ×4, first 2 shown]
	v_mul_f64 v[18:19], v[12:13], v[18:19]
	s_waitcnt vmcnt(50)
	v_fma_f64 v[154:155], v[6:7], v[20:21], -v[154:155]
	ds_read_b128 v[2:5], v1 offset:1104
	v_fma_f64 v[14:15], v[8:9], v[20:21], v[14:15]
	ds_read_b128 v[6:9], v1 offset:1120
	v_add_f64 v[150:151], v[150:151], 0
	v_add_f64 v[16:17], v[16:17], 0
	s_waitcnt vmcnt(48) lgkmcnt(1)
	v_mul_f64 v[20:21], v[2:3], v[22:23]
	v_mul_f64 v[22:23], v[4:5], v[22:23]
	s_waitcnt vmcnt(46)
	v_fma_f64 v[18:19], v[10:11], v[31:32], -v[18:19]
	v_fma_f64 v[31:32], v[12:13], v[31:32], v[158:159]
	ds_read_b128 v[10:13], v1 offset:1136
	v_add_f64 v[150:151], v[150:151], v[154:155]
	v_add_f64 v[14:15], v[16:17], v[14:15]
	s_waitcnt vmcnt(44) lgkmcnt(1)
	v_mul_f64 v[16:17], v[6:7], v[33:34]
	v_mul_f64 v[33:34], v[8:9], v[33:34]
	s_waitcnt vmcnt(42)
	v_fma_f64 v[22:23], v[2:3], v[35:36], -v[22:23]
	v_fma_f64 v[20:21], v[4:5], v[35:36], v[20:21]
	ds_read_b128 v[2:5], v1 offset:1152
	s_waitcnt vmcnt(40) lgkmcnt(1)
	v_mul_f64 v[35:36], v[12:13], v[37:38]
	v_add_f64 v[18:19], v[150:151], v[18:19]
	v_add_f64 v[14:15], v[14:15], v[31:32]
	v_mul_f64 v[31:32], v[10:11], v[37:38]
	s_waitcnt vmcnt(38)
	v_fma_f64 v[33:34], v[6:7], v[39:40], -v[33:34]
	v_fma_f64 v[16:17], v[8:9], v[39:40], v[16:17]
	ds_read_b128 v[6:9], v1 offset:1168
	s_waitcnt vmcnt(34)
	v_fma_f64 v[35:36], v[10:11], v[43:44], -v[35:36]
	v_add_f64 v[18:19], v[18:19], v[22:23]
	v_add_f64 v[14:15], v[14:15], v[20:21]
	s_waitcnt lgkmcnt(1)
	v_mul_f64 v[22:23], v[4:5], v[41:42]
	v_mul_f64 v[20:21], v[2:3], v[41:42]
	v_fma_f64 v[31:32], v[12:13], v[43:44], v[31:32]
	ds_read_b128 v[10:13], v1 offset:1184
	v_add_f64 v[18:19], v[18:19], v[33:34]
	v_add_f64 v[14:15], v[14:15], v[16:17]
	s_waitcnt vmcnt(32) lgkmcnt(1)
	v_mul_f64 v[33:34], v[8:9], v[47:48]
	s_waitcnt vmcnt(30)
	v_fma_f64 v[22:23], v[2:3], v[49:50], -v[22:23]
	v_mul_f64 v[16:17], v[6:7], v[47:48]
	v_fma_f64 v[20:21], v[4:5], v[49:50], v[20:21]
	ds_read_b128 v[2:5], v1 offset:1200
	v_add_f64 v[18:19], v[18:19], v[35:36]
	v_add_f64 v[14:15], v[14:15], v[31:32]
	s_waitcnt vmcnt(28) lgkmcnt(1)
	v_mul_f64 v[35:36], v[12:13], v[51:52]
	s_waitcnt vmcnt(26)
	v_fma_f64 v[33:34], v[6:7], v[53:54], -v[33:34]
	;; [unrolled: 9-line block ×6, first 2 shown]
	v_mul_f64 v[20:21], v[2:3], v[139:140]
	v_fma_f64 v[12:13], v[12:13], v[142:143], v[31:32]
	s_waitcnt vmcnt(8) lgkmcnt(0)
	v_mul_f64 v[31:32], v[8:9], v[144:145]
	v_add_f64 v[18:19], v[18:19], v[33:34]
	v_add_f64 v[14:15], v[14:15], v[16:17]
	s_waitcnt vmcnt(6)
	v_fma_f64 v[1:2], v[2:3], v[146:147], -v[22:23]
	v_mul_f64 v[16:17], v[6:7], v[144:145]
	v_fma_f64 v[3:4], v[4:5], v[146:147], v[20:21]
	s_waitcnt vmcnt(4)
	v_fma_f64 v[5:6], v[6:7], v[148:149], -v[31:32]
	v_add_f64 v[10:11], v[18:19], v[10:11]
	v_add_f64 v[12:13], v[14:15], v[12:13]
	v_fma_f64 v[7:8], v[8:9], v[148:149], v[16:17]
	v_add_f64 v[1:2], v[10:11], v[1:2]
	v_add_f64 v[3:4], v[12:13], v[3:4]
	;; [unrolled: 1-line block ×4, first 2 shown]
	s_waitcnt vmcnt(2)
	v_add_f64 v[1:2], v[152:153], -v[1:2]
	s_waitcnt vmcnt(0)
	v_add_f64 v[3:4], v[156:157], -v[3:4]
	buffer_store_dword v2, off, s[0:3], 0 offset:420
	buffer_store_dword v1, off, s[0:3], 0 offset:416
	;; [unrolled: 1-line block ×4, first 2 shown]
	v_cmpx_lt_u32_e32 24, v0
	s_cbranch_execz .LBB39_205
; %bb.204:
	v_mov_b32_e32 v4, s18
	v_mov_b32_e32 v5, 0
	s_clause 0x3
	buffer_load_dword v1, v4, s[0:3], 0 offen
	buffer_load_dword v2, v4, s[0:3], 0 offen offset:4
	buffer_load_dword v3, v4, s[0:3], 0 offen offset:8
	;; [unrolled: 1-line block ×3, first 2 shown]
	buffer_store_dword v5, off, s[0:3], 0 offset:400
	buffer_store_dword v5, off, s[0:3], 0 offset:404
	;; [unrolled: 1-line block ×4, first 2 shown]
	s_waitcnt vmcnt(0)
	ds_write_b128 v141, v[1:4]
.LBB39_205:
	s_or_b32 exec_lo, exec_lo, s4
	s_waitcnt lgkmcnt(0)
	s_waitcnt_vscnt null, 0x0
	s_barrier
	buffer_gl0_inv
	s_clause 0x37
	buffer_load_dword v10, off, s[0:3], 0 offset:424
	buffer_load_dword v11, off, s[0:3], 0 offset:428
	;; [unrolled: 1-line block ×56, first 2 shown]
	v_mov_b32_e32 v1, 0
	s_mov_b32 s4, exec_lo
	ds_read_b128 v[2:5], v1 offset:1040
	s_clause 0x2
	buffer_load_dword v149, off, s[0:3], 0 offset:652
	buffer_load_dword v153, off, s[0:3], 0 offset:628
	;; [unrolled: 1-line block ×3, first 2 shown]
	ds_read_b128 v[6:9], v1 offset:1056
	buffer_load_dword v151, off, s[0:3], 0 offset:644
	s_waitcnt vmcnt(58) lgkmcnt(1)
	v_mul_f64 v[154:155], v[4:5], v[10:11]
	v_mul_f64 v[156:157], v[2:3], v[10:11]
	ds_read_b128 v[10:13], v1 offset:1072
	s_waitcnt vmcnt(56) lgkmcnt(1)
	v_mul_f64 v[158:159], v[8:9], v[14:15]
	v_mul_f64 v[14:15], v[6:7], v[14:15]
	s_waitcnt vmcnt(54)
	v_fma_f64 v[154:155], v[2:3], v[16:17], -v[154:155]
	v_fma_f64 v[16:17], v[4:5], v[16:17], v[156:157]
	s_waitcnt vmcnt(52) lgkmcnt(0)
	v_mul_f64 v[156:157], v[10:11], v[18:19]
	v_mul_f64 v[18:19], v[12:13], v[18:19]
	s_waitcnt vmcnt(50)
	v_fma_f64 v[158:159], v[6:7], v[20:21], -v[158:159]
	ds_read_b128 v[2:5], v1 offset:1088
	v_fma_f64 v[14:15], v[8:9], v[20:21], v[14:15]
	s_clause 0x3
	buffer_load_dword v20, off, s[0:3], 0 offset:400
	buffer_load_dword v21, off, s[0:3], 0 offset:404
	;; [unrolled: 1-line block ×4, first 2 shown]
	ds_read_b128 v[6:9], v1 offset:1104
	v_add_f64 v[154:155], v[154:155], 0
	v_add_f64 v[16:17], v[16:17], 0
	s_waitcnt vmcnt(50) lgkmcnt(1)
	v_mul_f64 v[162:163], v[2:3], v[22:23]
	v_mul_f64 v[22:23], v[4:5], v[22:23]
	s_waitcnt vmcnt(48)
	v_fma_f64 v[18:19], v[10:11], v[35:36], -v[18:19]
	v_fma_f64 v[35:36], v[12:13], v[35:36], v[156:157]
	ds_read_b128 v[10:13], v1 offset:1120
	v_add_f64 v[154:155], v[154:155], v[158:159]
	v_add_f64 v[14:15], v[16:17], v[14:15]
	s_waitcnt vmcnt(47) lgkmcnt(1)
	v_mul_f64 v[16:17], v[6:7], v[31:32]
	v_mul_f64 v[31:32], v[8:9], v[31:32]
	s_waitcnt vmcnt(45)
	v_fma_f64 v[22:23], v[2:3], v[37:38], -v[22:23]
	v_fma_f64 v[37:38], v[4:5], v[37:38], v[162:163]
	;; [unrolled: 9-line block ×3, first 2 shown]
	ds_read_b128 v[6:9], v1 offset:1152
	s_waitcnt vmcnt(39) lgkmcnt(1)
	v_mul_f64 v[33:34], v[4:5], v[41:42]
	v_add_f64 v[18:19], v[18:19], v[22:23]
	v_add_f64 v[14:15], v[14:15], v[37:38]
	v_mul_f64 v[22:23], v[2:3], v[41:42]
	s_waitcnt vmcnt(37)
	v_fma_f64 v[37:38], v[10:11], v[47:48], -v[39:40]
	s_waitcnt vmcnt(32)
	v_fma_f64 v[33:34], v[2:3], v[43:44], -v[33:34]
	v_add_f64 v[18:19], v[18:19], v[31:32]
	v_fma_f64 v[31:32], v[12:13], v[47:48], v[35:36]
	v_add_f64 v[14:15], v[14:15], v[16:17]
	s_waitcnt lgkmcnt(0)
	v_mul_f64 v[35:36], v[8:9], v[49:50]
	ds_read_b128 v[10:13], v1 offset:1168
	v_mul_f64 v[16:17], v[6:7], v[49:50]
	v_fma_f64 v[22:23], v[4:5], v[43:44], v[22:23]
	ds_read_b128 v[2:5], v1 offset:1184
	v_add_f64 v[18:19], v[18:19], v[37:38]
	v_add_f64 v[14:15], v[14:15], v[31:32]
	s_waitcnt vmcnt(31) lgkmcnt(1)
	v_mul_f64 v[37:38], v[12:13], v[51:52]
	s_waitcnt vmcnt(29)
	v_fma_f64 v[35:36], v[6:7], v[55:56], -v[35:36]
	v_mul_f64 v[31:32], v[10:11], v[51:52]
	v_fma_f64 v[16:17], v[8:9], v[55:56], v[16:17]
	ds_read_b128 v[6:9], v1 offset:1200
	v_add_f64 v[18:19], v[18:19], v[33:34]
	s_waitcnt vmcnt(25) lgkmcnt(1)
	v_mul_f64 v[33:34], v[4:5], v[57:58]
	v_add_f64 v[14:15], v[14:15], v[22:23]
	s_waitcnt vmcnt(24)
	v_fma_f64 v[37:38], v[10:11], v[53:54], -v[37:38]
	v_mul_f64 v[22:23], v[2:3], v[57:58]
	v_fma_f64 v[31:32], v[12:13], v[53:54], v[31:32]
	ds_read_b128 v[10:13], v1 offset:1216
	v_add_f64 v[18:19], v[18:19], v[35:36]
	s_waitcnt vmcnt(23) lgkmcnt(1)
	v_mul_f64 v[35:36], v[8:9], v[59:60]
	v_add_f64 v[14:15], v[14:15], v[16:17]
	;; [unrolled: 9-line block ×5, first 2 shown]
	s_waitcnt vmcnt(8)
	v_fma_f64 v[2:3], v[2:3], v[142:143], -v[33:34]
	v_mul_f64 v[16:17], v[6:7], v[146:147]
	v_fma_f64 v[4:5], v[4:5], v[142:143], v[22:23]
	s_waitcnt vmcnt(7) lgkmcnt(0)
	v_mul_f64 v[22:23], v[10:11], v[148:149]
	v_add_f64 v[18:19], v[18:19], v[37:38]
	s_waitcnt vmcnt(5)
	v_fma_f64 v[6:7], v[6:7], v[152:153], -v[35:36]
	v_add_f64 v[14:15], v[14:15], v[31:32]
	v_mul_f64 v[31:32], v[12:13], v[148:149]
	v_fma_f64 v[8:9], v[8:9], v[152:153], v[16:17]
	v_add_f64 v[2:3], v[18:19], v[2:3]
	v_add_f64 v[4:5], v[14:15], v[4:5]
	s_waitcnt vmcnt(4)
	v_fma_f64 v[10:11], v[10:11], v[150:151], -v[31:32]
	v_add_f64 v[2:3], v[2:3], v[6:7]
	v_fma_f64 v[6:7], v[12:13], v[150:151], v[22:23]
	v_add_f64 v[4:5], v[4:5], v[8:9]
	v_add_f64 v[2:3], v[2:3], v[10:11]
	;; [unrolled: 1-line block ×3, first 2 shown]
	s_waitcnt vmcnt(2)
	v_add_f64 v[2:3], v[20:21], -v[2:3]
	s_waitcnt vmcnt(0)
	v_add_f64 v[4:5], v[160:161], -v[4:5]
	buffer_store_dword v3, off, s[0:3], 0 offset:404
	buffer_store_dword v2, off, s[0:3], 0 offset:400
	;; [unrolled: 1-line block ×4, first 2 shown]
	v_cmpx_lt_u32_e32 23, v0
	s_cbranch_execz .LBB39_207
; %bb.206:
	v_mov_b32_e32 v5, s22
	s_clause 0x3
	buffer_load_dword v2, v5, s[0:3], 0 offen
	buffer_load_dword v3, v5, s[0:3], 0 offen offset:4
	buffer_load_dword v4, v5, s[0:3], 0 offen offset:8
	;; [unrolled: 1-line block ×3, first 2 shown]
	buffer_store_dword v1, off, s[0:3], 0 offset:384
	buffer_store_dword v1, off, s[0:3], 0 offset:388
	;; [unrolled: 1-line block ×4, first 2 shown]
	s_waitcnt vmcnt(0)
	ds_write_b128 v141, v[2:5]
.LBB39_207:
	s_or_b32 exec_lo, exec_lo, s4
	s_waitcnt lgkmcnt(0)
	s_waitcnt_vscnt null, 0x0
	s_barrier
	buffer_gl0_inv
	s_clause 0x37
	buffer_load_dword v10, off, s[0:3], 0 offset:408
	buffer_load_dword v11, off, s[0:3], 0 offset:412
	;; [unrolled: 1-line block ×56, first 2 shown]
	ds_read_b128 v[2:5], v1 offset:1024
	s_clause 0x2
	buffer_load_dword v149, off, s[0:3], 0 offset:636
	buffer_load_dword v153, off, s[0:3], 0 offset:612
	buffer_load_dword v152, off, s[0:3], 0 offset:608
	ds_read_b128 v[6:9], v1 offset:1040
	s_clause 0x2
	buffer_load_dword v159, off, s[0:3], 0 offset:652
	buffer_load_dword v158, off, s[0:3], 0 offset:648
	;; [unrolled: 1-line block ×3, first 2 shown]
	s_mov_b32 s4, exec_lo
	s_waitcnt vmcnt(60) lgkmcnt(1)
	v_mul_f64 v[154:155], v[4:5], v[10:11]
	v_mul_f64 v[156:157], v[2:3], v[10:11]
	s_waitcnt vmcnt(58) lgkmcnt(0)
	v_mul_f64 v[160:161], v[8:9], v[14:15]
	ds_read_b128 v[10:13], v1 offset:1056
	v_mul_f64 v[14:15], v[6:7], v[14:15]
	s_waitcnt vmcnt(56)
	v_fma_f64 v[154:155], v[2:3], v[16:17], -v[154:155]
	v_fma_f64 v[16:17], v[4:5], v[16:17], v[156:157]
	s_clause 0x1
	buffer_load_dword v157, off, s[0:3], 0 offset:644
	buffer_load_dword v156, off, s[0:3], 0 offset:640
	s_waitcnt vmcnt(56) lgkmcnt(0)
	v_mul_f64 v[162:163], v[10:11], v[18:19]
	v_mul_f64 v[18:19], v[12:13], v[18:19]
	s_waitcnt vmcnt(54)
	v_fma_f64 v[160:161], v[6:7], v[20:21], -v[160:161]
	ds_read_b128 v[2:5], v1 offset:1072
	v_fma_f64 v[14:15], v[8:9], v[20:21], v[14:15]
	ds_read_b128 v[6:9], v1 offset:1088
	v_add_f64 v[154:155], v[154:155], 0
	v_add_f64 v[16:17], v[16:17], 0
	s_waitcnt vmcnt(50) lgkmcnt(1)
	v_mul_f64 v[20:21], v[2:3], v[22:23]
	v_mul_f64 v[22:23], v[4:5], v[22:23]
	s_waitcnt vmcnt(48)
	v_fma_f64 v[18:19], v[10:11], v[35:36], -v[18:19]
	v_fma_f64 v[35:36], v[12:13], v[35:36], v[162:163]
	s_waitcnt vmcnt(47) lgkmcnt(0)
	v_mul_f64 v[162:163], v[6:7], v[31:32]
	v_mul_f64 v[31:32], v[8:9], v[31:32]
	v_add_f64 v[154:155], v[154:155], v[160:161]
	v_add_f64 v[14:15], v[16:17], v[14:15]
	s_clause 0x3
	buffer_load_dword v16, off, s[0:3], 0 offset:384
	buffer_load_dword v17, off, s[0:3], 0 offset:388
	;; [unrolled: 1-line block ×4, first 2 shown]
	ds_read_b128 v[10:13], v1 offset:1104
	s_waitcnt vmcnt(49)
	v_fma_f64 v[20:21], v[4:5], v[37:38], v[20:21]
	v_fma_f64 v[22:23], v[2:3], v[37:38], -v[22:23]
	ds_read_b128 v[2:5], v1 offset:1120
	s_waitcnt vmcnt(44)
	v_fma_f64 v[31:32], v[6:7], v[33:34], -v[31:32]
	v_add_f64 v[18:19], v[154:155], v[18:19]
	v_add_f64 v[14:15], v[14:15], v[35:36]
	s_waitcnt lgkmcnt(1)
	v_mul_f64 v[37:38], v[12:13], v[39:40]
	v_mul_f64 v[35:36], v[10:11], v[39:40]
	v_add_f64 v[18:19], v[18:19], v[22:23]
	v_fma_f64 v[22:23], v[8:9], v[33:34], v[162:163]
	v_add_f64 v[14:15], v[14:15], v[20:21]
	s_waitcnt vmcnt(43) lgkmcnt(0)
	v_mul_f64 v[33:34], v[4:5], v[41:42]
	s_waitcnt vmcnt(41)
	v_fma_f64 v[37:38], v[10:11], v[47:48], -v[37:38]
	ds_read_b128 v[6:9], v1 offset:1136
	v_mul_f64 v[20:21], v[2:3], v[41:42]
	v_add_f64 v[18:19], v[18:19], v[31:32]
	v_fma_f64 v[31:32], v[12:13], v[47:48], v[35:36]
	v_add_f64 v[14:15], v[14:15], v[22:23]
	ds_read_b128 v[10:13], v1 offset:1152
	s_waitcnt vmcnt(37) lgkmcnt(1)
	v_mul_f64 v[35:36], v[8:9], v[49:50]
	s_waitcnt vmcnt(36)
	v_fma_f64 v[33:34], v[2:3], v[43:44], -v[33:34]
	v_mul_f64 v[22:23], v[6:7], v[49:50]
	v_fma_f64 v[20:21], v[4:5], v[43:44], v[20:21]
	ds_read_b128 v[2:5], v1 offset:1168
	v_add_f64 v[18:19], v[18:19], v[37:38]
	s_waitcnt vmcnt(35) lgkmcnt(1)
	v_mul_f64 v[37:38], v[12:13], v[51:52]
	v_add_f64 v[14:15], v[14:15], v[31:32]
	v_mul_f64 v[31:32], v[10:11], v[51:52]
	s_waitcnt vmcnt(33)
	v_fma_f64 v[35:36], v[6:7], v[55:56], -v[35:36]
	v_fma_f64 v[22:23], v[8:9], v[55:56], v[22:23]
	ds_read_b128 v[6:9], v1 offset:1184
	v_add_f64 v[18:19], v[18:19], v[33:34]
	s_waitcnt vmcnt(29) lgkmcnt(1)
	v_mul_f64 v[33:34], v[4:5], v[57:58]
	v_add_f64 v[14:15], v[14:15], v[20:21]
	s_waitcnt vmcnt(28)
	v_fma_f64 v[37:38], v[10:11], v[53:54], -v[37:38]
	v_mul_f64 v[20:21], v[2:3], v[57:58]
	v_fma_f64 v[31:32], v[12:13], v[53:54], v[31:32]
	ds_read_b128 v[10:13], v1 offset:1200
	v_add_f64 v[18:19], v[18:19], v[35:36]
	s_waitcnt vmcnt(27) lgkmcnt(1)
	v_mul_f64 v[35:36], v[8:9], v[59:60]
	v_add_f64 v[14:15], v[14:15], v[22:23]
	s_waitcnt vmcnt(25)
	v_fma_f64 v[33:34], v[2:3], v[63:64], -v[33:34]
	v_mul_f64 v[22:23], v[6:7], v[59:60]
	;; [unrolled: 9-line block ×6, first 2 shown]
	v_fma_f64 v[7:8], v[8:9], v[152:153], v[22:23]
	s_waitcnt vmcnt(7) lgkmcnt(0)
	v_mul_f64 v[22:23], v[3:4], v[158:159]
	v_add_f64 v[18:19], v[18:19], v[33:34]
	s_waitcnt vmcnt(6)
	v_fma_f64 v[9:10], v[10:11], v[150:151], -v[37:38]
	v_add_f64 v[14:15], v[14:15], v[20:21]
	v_mul_f64 v[20:21], v[1:2], v[158:159]
	v_fma_f64 v[11:12], v[12:13], v[150:151], v[31:32]
	v_add_f64 v[5:6], v[18:19], v[5:6]
	v_add_f64 v[7:8], v[14:15], v[7:8]
	s_waitcnt vmcnt(4)
	v_fma_f64 v[1:2], v[1:2], v[156:157], -v[22:23]
	v_fma_f64 v[3:4], v[3:4], v[156:157], v[20:21]
	v_add_f64 v[5:6], v[5:6], v[9:10]
	v_add_f64 v[7:8], v[7:8], v[11:12]
	;; [unrolled: 1-line block ×4, first 2 shown]
	s_waitcnt vmcnt(2)
	v_add_f64 v[1:2], v[16:17], -v[1:2]
	s_waitcnt vmcnt(0)
	v_add_f64 v[3:4], v[160:161], -v[3:4]
	buffer_store_dword v2, off, s[0:3], 0 offset:388
	buffer_store_dword v1, off, s[0:3], 0 offset:384
	;; [unrolled: 1-line block ×4, first 2 shown]
	v_cmpx_lt_u32_e32 22, v0
	s_cbranch_execz .LBB39_209
; %bb.208:
	v_mov_b32_e32 v4, s24
	v_mov_b32_e32 v5, 0
	s_clause 0x3
	buffer_load_dword v1, v4, s[0:3], 0 offen
	buffer_load_dword v2, v4, s[0:3], 0 offen offset:4
	buffer_load_dword v3, v4, s[0:3], 0 offen offset:8
	buffer_load_dword v4, v4, s[0:3], 0 offen offset:12
	buffer_store_dword v5, off, s[0:3], 0 offset:368
	buffer_store_dword v5, off, s[0:3], 0 offset:372
	;; [unrolled: 1-line block ×4, first 2 shown]
	s_waitcnt vmcnt(0)
	ds_write_b128 v141, v[1:4]
.LBB39_209:
	s_or_b32 exec_lo, exec_lo, s4
	s_waitcnt lgkmcnt(0)
	s_waitcnt_vscnt null, 0x0
	s_barrier
	buffer_gl0_inv
	s_clause 0x37
	buffer_load_dword v10, off, s[0:3], 0 offset:392
	buffer_load_dword v11, off, s[0:3], 0 offset:396
	;; [unrolled: 1-line block ×56, first 2 shown]
	v_mov_b32_e32 v1, 0
	s_mov_b32 s4, exec_lo
	ds_read_b128 v[2:5], v1 offset:1008
	s_clause 0x2
	buffer_load_dword v149, off, s[0:3], 0 offset:620
	buffer_load_dword v153, off, s[0:3], 0 offset:596
	;; [unrolled: 1-line block ×3, first 2 shown]
	ds_read_b128 v[6:9], v1 offset:1024
	s_clause 0x4
	buffer_load_dword v159, off, s[0:3], 0 offset:636
	buffer_load_dword v160, off, s[0:3], 0 offset:648
	;; [unrolled: 1-line block ×5, first 2 shown]
	s_waitcnt vmcnt(62) lgkmcnt(1)
	v_mul_f64 v[154:155], v[4:5], v[10:11]
	v_mul_f64 v[156:157], v[2:3], v[10:11]
	s_waitcnt vmcnt(60) lgkmcnt(0)
	v_mul_f64 v[163:164], v[8:9], v[14:15]
	ds_read_b128 v[10:13], v1 offset:1040
	v_mul_f64 v[14:15], v[6:7], v[14:15]
	s_waitcnt vmcnt(58)
	v_fma_f64 v[154:155], v[2:3], v[16:17], -v[154:155]
	v_fma_f64 v[16:17], v[4:5], v[16:17], v[156:157]
	s_clause 0x2
	buffer_load_dword v161, off, s[0:3], 0 offset:652
	buffer_load_dword v157, off, s[0:3], 0 offset:628
	;; [unrolled: 1-line block ×3, first 2 shown]
	s_waitcnt vmcnt(59) lgkmcnt(0)
	v_mul_f64 v[165:166], v[10:11], v[18:19]
	v_mul_f64 v[18:19], v[12:13], v[18:19]
	s_waitcnt vmcnt(57)
	v_fma_f64 v[167:168], v[6:7], v[20:21], -v[163:164]
	ds_read_b128 v[2:5], v1 offset:1056
	v_fma_f64 v[14:15], v[8:9], v[20:21], v[14:15]
	buffer_load_dword v163, off, s[0:3], 0 offset:644
	ds_read_b128 v[6:9], v1 offset:1072
	v_add_f64 v[154:155], v[154:155], 0
	v_add_f64 v[16:17], v[16:17], 0
	s_waitcnt vmcnt(54) lgkmcnt(1)
	v_mul_f64 v[20:21], v[2:3], v[22:23]
	v_mul_f64 v[22:23], v[4:5], v[22:23]
	s_waitcnt vmcnt(52)
	v_fma_f64 v[18:19], v[10:11], v[35:36], -v[18:19]
	v_fma_f64 v[35:36], v[12:13], v[35:36], v[165:166]
	ds_read_b128 v[10:13], v1 offset:1088
	v_add_f64 v[154:155], v[154:155], v[167:168]
	v_add_f64 v[14:15], v[16:17], v[14:15]
	s_waitcnt vmcnt(51) lgkmcnt(1)
	v_mul_f64 v[16:17], v[6:7], v[31:32]
	v_mul_f64 v[31:32], v[8:9], v[31:32]
	s_waitcnt vmcnt(49)
	v_fma_f64 v[20:21], v[4:5], v[37:38], v[20:21]
	v_fma_f64 v[22:23], v[2:3], v[37:38], -v[22:23]
	v_add_f64 v[18:19], v[154:155], v[18:19]
	v_add_f64 v[14:15], v[14:15], v[35:36]
	s_clause 0x3
	buffer_load_dword v35, off, s[0:3], 0 offset:368
	buffer_load_dword v36, off, s[0:3], 0 offset:372
	;; [unrolled: 1-line block ×4, first 2 shown]
	s_waitcnt vmcnt(49) lgkmcnt(0)
	v_mul_f64 v[154:155], v[10:11], v[39:40]
	v_mul_f64 v[39:40], v[12:13], v[39:40]
	s_waitcnt vmcnt(48)
	v_fma_f64 v[31:32], v[6:7], v[33:34], -v[31:32]
	ds_read_b128 v[2:5], v1 offset:1104
	v_fma_f64 v[16:17], v[8:9], v[33:34], v[16:17]
	ds_read_b128 v[6:9], v1 offset:1120
	v_add_f64 v[18:19], v[18:19], v[22:23]
	v_add_f64 v[14:15], v[14:15], v[20:21]
	s_waitcnt vmcnt(47) lgkmcnt(1)
	v_mul_f64 v[22:23], v[4:5], v[41:42]
	s_waitcnt vmcnt(45)
	v_fma_f64 v[33:34], v[10:11], v[47:48], -v[39:40]
	v_mul_f64 v[20:21], v[2:3], v[41:42]
	s_waitcnt vmcnt(41) lgkmcnt(0)
	v_mul_f64 v[39:40], v[8:9], v[49:50]
	v_add_f64 v[18:19], v[18:19], v[31:32]
	v_fma_f64 v[31:32], v[12:13], v[47:48], v[154:155]
	v_add_f64 v[14:15], v[14:15], v[16:17]
	ds_read_b128 v[10:13], v1 offset:1136
	s_waitcnt vmcnt(40)
	v_fma_f64 v[22:23], v[2:3], v[43:44], -v[22:23]
	v_mul_f64 v[16:17], v[6:7], v[49:50]
	v_fma_f64 v[20:21], v[4:5], v[43:44], v[20:21]
	ds_read_b128 v[2:5], v1 offset:1152
	s_waitcnt vmcnt(37)
	v_fma_f64 v[39:40], v[6:7], v[55:56], -v[39:40]
	v_add_f64 v[18:19], v[18:19], v[33:34]
	s_waitcnt lgkmcnt(1)
	v_mul_f64 v[33:34], v[12:13], v[51:52]
	v_add_f64 v[14:15], v[14:15], v[31:32]
	v_mul_f64 v[31:32], v[10:11], v[51:52]
	v_fma_f64 v[16:17], v[8:9], v[55:56], v[16:17]
	ds_read_b128 v[6:9], v1 offset:1168
	v_add_f64 v[18:19], v[18:19], v[22:23]
	s_waitcnt vmcnt(33) lgkmcnt(1)
	v_mul_f64 v[22:23], v[4:5], v[57:58]
	v_add_f64 v[14:15], v[14:15], v[20:21]
	s_waitcnt vmcnt(32)
	v_fma_f64 v[33:34], v[10:11], v[53:54], -v[33:34]
	v_mul_f64 v[20:21], v[2:3], v[57:58]
	v_fma_f64 v[31:32], v[12:13], v[53:54], v[31:32]
	ds_read_b128 v[10:13], v1 offset:1184
	v_add_f64 v[18:19], v[18:19], v[39:40]
	s_waitcnt vmcnt(31) lgkmcnt(1)
	v_mul_f64 v[39:40], v[8:9], v[59:60]
	v_add_f64 v[14:15], v[14:15], v[16:17]
	s_waitcnt vmcnt(29)
	v_fma_f64 v[22:23], v[2:3], v[63:64], -v[22:23]
	v_mul_f64 v[16:17], v[6:7], v[59:60]
	v_fma_f64 v[20:21], v[4:5], v[63:64], v[20:21]
	ds_read_b128 v[2:5], v1 offset:1200
	v_add_f64 v[18:19], v[18:19], v[33:34]
	s_waitcnt vmcnt(25) lgkmcnt(1)
	v_mul_f64 v[33:34], v[12:13], v[137:138]
	v_add_f64 v[14:15], v[14:15], v[31:32]
	s_waitcnt vmcnt(24)
	v_fma_f64 v[39:40], v[6:7], v[61:62], -v[39:40]
	v_mul_f64 v[31:32], v[10:11], v[137:138]
	v_fma_f64 v[16:17], v[8:9], v[61:62], v[16:17]
	ds_read_b128 v[6:9], v1 offset:1216
	v_add_f64 v[18:19], v[18:19], v[22:23]
	s_waitcnt vmcnt(23) lgkmcnt(1)
	v_mul_f64 v[22:23], v[4:5], v[139:140]
	v_add_f64 v[14:15], v[14:15], v[20:21]
	s_waitcnt vmcnt(21)
	v_fma_f64 v[33:34], v[10:11], v[144:145], -v[33:34]
	v_mul_f64 v[20:21], v[2:3], v[139:140]
	v_fma_f64 v[31:32], v[12:13], v[144:145], v[31:32]
	ds_read_b128 v[10:13], v1 offset:1232
	v_add_f64 v[18:19], v[18:19], v[39:40]
	s_waitcnt vmcnt(17) lgkmcnt(1)
	v_mul_f64 v[39:40], v[8:9], v[146:147]
	v_add_f64 v[14:15], v[14:15], v[16:17]
	s_waitcnt vmcnt(16)
	v_fma_f64 v[22:23], v[2:3], v[142:143], -v[22:23]
	v_mul_f64 v[16:17], v[6:7], v[146:147]
	v_fma_f64 v[20:21], v[4:5], v[142:143], v[20:21]
	ds_read_b128 v[2:5], v1 offset:1248
	v_add_f64 v[18:19], v[18:19], v[33:34]
	s_waitcnt vmcnt(15) lgkmcnt(1)
	v_mul_f64 v[33:34], v[12:13], v[148:149]
	v_add_f64 v[14:15], v[14:15], v[31:32]
	s_waitcnt vmcnt(13)
	v_fma_f64 v[39:40], v[6:7], v[152:153], -v[39:40]
	v_mul_f64 v[31:32], v[10:11], v[148:149]
	v_fma_f64 v[16:17], v[8:9], v[152:153], v[16:17]
	ds_read_b128 v[6:9], v1 offset:1264
	v_add_f64 v[18:19], v[18:19], v[22:23]
	s_waitcnt vmcnt(9) lgkmcnt(1)
	v_mul_f64 v[22:23], v[4:5], v[158:159]
	v_add_f64 v[14:15], v[14:15], v[20:21]
	s_waitcnt vmcnt(8)
	v_fma_f64 v[10:11], v[10:11], v[150:151], -v[33:34]
	v_mul_f64 v[20:21], v[2:3], v[158:159]
	v_fma_f64 v[12:13], v[12:13], v[150:151], v[31:32]
	v_add_f64 v[18:19], v[18:19], v[39:40]
	v_add_f64 v[14:15], v[14:15], v[16:17]
	s_waitcnt vmcnt(7) lgkmcnt(0)
	v_mul_f64 v[31:32], v[8:9], v[160:161]
	v_mul_f64 v[16:17], v[6:7], v[160:161]
	s_waitcnt vmcnt(5)
	v_fma_f64 v[2:3], v[2:3], v[156:157], -v[22:23]
	v_fma_f64 v[4:5], v[4:5], v[156:157], v[20:21]
	v_add_f64 v[10:11], v[18:19], v[10:11]
	v_add_f64 v[12:13], v[14:15], v[12:13]
	s_waitcnt vmcnt(4)
	v_fma_f64 v[6:7], v[6:7], v[162:163], -v[31:32]
	v_fma_f64 v[8:9], v[8:9], v[162:163], v[16:17]
	v_add_f64 v[2:3], v[10:11], v[2:3]
	v_add_f64 v[4:5], v[12:13], v[4:5]
	;; [unrolled: 1-line block ×4, first 2 shown]
	s_waitcnt vmcnt(2)
	v_add_f64 v[2:3], v[35:36], -v[2:3]
	s_waitcnt vmcnt(0)
	v_add_f64 v[4:5], v[37:38], -v[4:5]
	buffer_store_dword v3, off, s[0:3], 0 offset:372
	buffer_store_dword v2, off, s[0:3], 0 offset:368
	;; [unrolled: 1-line block ×4, first 2 shown]
	v_cmpx_lt_u32_e32 21, v0
	s_cbranch_execz .LBB39_211
; %bb.210:
	v_mov_b32_e32 v5, s27
	s_clause 0x3
	buffer_load_dword v2, v5, s[0:3], 0 offen
	buffer_load_dword v3, v5, s[0:3], 0 offen offset:4
	buffer_load_dword v4, v5, s[0:3], 0 offen offset:8
	;; [unrolled: 1-line block ×3, first 2 shown]
	buffer_store_dword v1, off, s[0:3], 0 offset:352
	buffer_store_dword v1, off, s[0:3], 0 offset:356
	;; [unrolled: 1-line block ×4, first 2 shown]
	s_waitcnt vmcnt(0)
	ds_write_b128 v141, v[2:5]
.LBB39_211:
	s_or_b32 exec_lo, exec_lo, s4
	s_waitcnt lgkmcnt(0)
	s_waitcnt_vscnt null, 0x0
	s_barrier
	buffer_gl0_inv
	s_clause 0x37
	buffer_load_dword v10, off, s[0:3], 0 offset:376
	buffer_load_dword v11, off, s[0:3], 0 offset:380
	;; [unrolled: 1-line block ×56, first 2 shown]
	ds_read_b128 v[2:5], v1 offset:992
	s_clause 0x2
	buffer_load_dword v149, off, s[0:3], 0 offset:604
	buffer_load_dword v153, off, s[0:3], 0 offset:580
	;; [unrolled: 1-line block ×3, first 2 shown]
	ds_read_b128 v[6:9], v1 offset:1008
	s_clause 0x4
	buffer_load_dword v159, off, s[0:3], 0 offset:620
	buffer_load_dword v160, off, s[0:3], 0 offset:632
	;; [unrolled: 1-line block ×5, first 2 shown]
	s_mov_b32 s4, exec_lo
	s_waitcnt vmcnt(62) lgkmcnt(1)
	v_mul_f64 v[154:155], v[4:5], v[10:11]
	v_mul_f64 v[156:157], v[2:3], v[10:11]
	s_waitcnt vmcnt(60) lgkmcnt(0)
	v_mul_f64 v[163:164], v[8:9], v[14:15]
	ds_read_b128 v[10:13], v1 offset:1024
	v_mul_f64 v[14:15], v[6:7], v[14:15]
	s_waitcnt vmcnt(58)
	v_fma_f64 v[154:155], v[2:3], v[16:17], -v[154:155]
	v_fma_f64 v[16:17], v[4:5], v[16:17], v[156:157]
	s_clause 0x2
	buffer_load_dword v161, off, s[0:3], 0 offset:636
	buffer_load_dword v157, off, s[0:3], 0 offset:612
	;; [unrolled: 1-line block ×3, first 2 shown]
	s_waitcnt vmcnt(59) lgkmcnt(0)
	v_mul_f64 v[165:166], v[10:11], v[18:19]
	v_mul_f64 v[18:19], v[12:13], v[18:19]
	s_waitcnt vmcnt(57)
	v_fma_f64 v[167:168], v[6:7], v[20:21], -v[163:164]
	ds_read_b128 v[2:5], v1 offset:1040
	v_fma_f64 v[14:15], v[8:9], v[20:21], v[14:15]
	s_clause 0x2
	buffer_load_dword v21, off, s[0:3], 0 offset:652
	buffer_load_dword v20, off, s[0:3], 0 offset:648
	;; [unrolled: 1-line block ×3, first 2 shown]
	ds_read_b128 v[6:9], v1 offset:1056
	v_add_f64 v[154:155], v[154:155], 0
	v_add_f64 v[16:17], v[16:17], 0
	s_waitcnt vmcnt(56) lgkmcnt(1)
	v_mul_f64 v[169:170], v[2:3], v[22:23]
	v_mul_f64 v[22:23], v[4:5], v[22:23]
	s_waitcnt vmcnt(54)
	v_fma_f64 v[18:19], v[10:11], v[35:36], -v[18:19]
	v_fma_f64 v[35:36], v[12:13], v[35:36], v[165:166]
	s_waitcnt vmcnt(53) lgkmcnt(0)
	v_mul_f64 v[164:165], v[6:7], v[31:32]
	v_mul_f64 v[31:32], v[8:9], v[31:32]
	v_add_f64 v[154:155], v[154:155], v[167:168]
	v_add_f64 v[14:15], v[16:17], v[14:15]
	s_clause 0x1
	buffer_load_dword v17, off, s[0:3], 0 offset:644
	buffer_load_dword v16, off, s[0:3], 0 offset:640
	ds_read_b128 v[10:13], v1 offset:1072
	s_waitcnt vmcnt(53)
	v_fma_f64 v[22:23], v[2:3], v[37:38], -v[22:23]
	v_fma_f64 v[37:38], v[4:5], v[37:38], v[169:170]
	ds_read_b128 v[2:5], v1 offset:1088
	s_waitcnt vmcnt(48)
	v_fma_f64 v[31:32], v[6:7], v[33:34], -v[31:32]
	v_add_f64 v[18:19], v[154:155], v[18:19]
	v_add_f64 v[14:15], v[14:15], v[35:36]
	s_waitcnt lgkmcnt(1)
	v_mul_f64 v[35:36], v[10:11], v[39:40]
	v_mul_f64 v[39:40], v[12:13], v[39:40]
	s_waitcnt vmcnt(47) lgkmcnt(0)
	v_mul_f64 v[154:155], v[2:3], v[41:42]
	v_mul_f64 v[41:42], v[4:5], v[41:42]
	v_add_f64 v[18:19], v[18:19], v[22:23]
	v_fma_f64 v[22:23], v[8:9], v[33:34], v[164:165]
	v_add_f64 v[14:15], v[14:15], v[37:38]
	s_clause 0x3
	buffer_load_dword v33, off, s[0:3], 0 offset:352
	buffer_load_dword v34, off, s[0:3], 0 offset:356
	;; [unrolled: 1-line block ×4, first 2 shown]
	s_waitcnt vmcnt(49)
	v_fma_f64 v[39:40], v[10:11], v[47:48], -v[39:40]
	ds_read_b128 v[6:9], v1 offset:1104
	s_waitcnt vmcnt(44)
	v_fma_f64 v[41:42], v[2:3], v[43:44], -v[41:42]
	v_add_f64 v[18:19], v[18:19], v[31:32]
	v_fma_f64 v[31:32], v[12:13], v[47:48], v[35:36]
	v_add_f64 v[14:15], v[14:15], v[22:23]
	ds_read_b128 v[10:13], v1 offset:1120
	s_waitcnt lgkmcnt(1)
	v_mul_f64 v[35:36], v[8:9], v[49:50]
	v_mul_f64 v[22:23], v[6:7], v[49:50]
	v_add_f64 v[18:19], v[18:19], v[39:40]
	v_fma_f64 v[39:40], v[4:5], v[43:44], v[154:155]
	v_add_f64 v[14:15], v[14:15], v[31:32]
	s_waitcnt vmcnt(43) lgkmcnt(0)
	v_mul_f64 v[43:44], v[12:13], v[51:52]
	s_waitcnt vmcnt(41)
	v_fma_f64 v[35:36], v[6:7], v[55:56], -v[35:36]
	ds_read_b128 v[2:5], v1 offset:1136
	v_mul_f64 v[31:32], v[10:11], v[51:52]
	v_fma_f64 v[22:23], v[8:9], v[55:56], v[22:23]
	ds_read_b128 v[6:9], v1 offset:1152
	v_add_f64 v[18:19], v[18:19], v[41:42]
	v_add_f64 v[14:15], v[14:15], v[39:40]
	s_waitcnt vmcnt(37) lgkmcnt(1)
	v_mul_f64 v[41:42], v[4:5], v[57:58]
	s_waitcnt vmcnt(36)
	v_fma_f64 v[43:44], v[10:11], v[53:54], -v[43:44]
	v_mul_f64 v[39:40], v[2:3], v[57:58]
	v_fma_f64 v[31:32], v[12:13], v[53:54], v[31:32]
	ds_read_b128 v[10:13], v1 offset:1168
	v_add_f64 v[18:19], v[18:19], v[35:36]
	s_waitcnt vmcnt(35) lgkmcnt(1)
	v_mul_f64 v[35:36], v[8:9], v[59:60]
	v_add_f64 v[14:15], v[14:15], v[22:23]
	s_waitcnt vmcnt(33)
	v_fma_f64 v[41:42], v[2:3], v[63:64], -v[41:42]
	v_mul_f64 v[22:23], v[6:7], v[59:60]
	v_fma_f64 v[39:40], v[4:5], v[63:64], v[39:40]
	ds_read_b128 v[2:5], v1 offset:1184
	v_add_f64 v[18:19], v[18:19], v[43:44]
	s_waitcnt vmcnt(29) lgkmcnt(1)
	v_mul_f64 v[43:44], v[12:13], v[137:138]
	v_add_f64 v[14:15], v[14:15], v[31:32]
	;; [unrolled: 9-line block ×6, first 2 shown]
	s_waitcnt vmcnt(12)
	v_fma_f64 v[43:44], v[10:11], v[150:151], -v[43:44]
	v_mul_f64 v[39:40], v[2:3], v[158:159]
	v_fma_f64 v[31:32], v[12:13], v[150:151], v[31:32]
	ds_read_b128 v[10:13], v1 offset:1264
	v_add_f64 v[18:19], v[18:19], v[35:36]
	v_add_f64 v[14:15], v[14:15], v[22:23]
	s_waitcnt vmcnt(11) lgkmcnt(1)
	v_mul_f64 v[35:36], v[8:9], v[160:161]
	v_mul_f64 v[22:23], v[6:7], v[160:161]
	s_waitcnt vmcnt(9)
	v_fma_f64 v[1:2], v[2:3], v[156:157], -v[41:42]
	v_fma_f64 v[3:4], v[4:5], v[156:157], v[39:40]
	v_add_f64 v[18:19], v[18:19], v[43:44]
	v_add_f64 v[14:15], v[14:15], v[31:32]
	s_waitcnt vmcnt(7) lgkmcnt(0)
	v_mul_f64 v[31:32], v[10:11], v[20:21]
	v_mul_f64 v[20:21], v[12:13], v[20:21]
	s_waitcnt vmcnt(6)
	v_fma_f64 v[5:6], v[6:7], v[162:163], -v[35:36]
	v_fma_f64 v[7:8], v[8:9], v[162:163], v[22:23]
	v_add_f64 v[1:2], v[18:19], v[1:2]
	v_add_f64 v[3:4], v[14:15], v[3:4]
	s_waitcnt vmcnt(4)
	v_fma_f64 v[9:10], v[10:11], v[16:17], -v[20:21]
	v_add_f64 v[1:2], v[1:2], v[5:6]
	v_fma_f64 v[5:6], v[12:13], v[16:17], v[31:32]
	v_add_f64 v[3:4], v[3:4], v[7:8]
	v_add_f64 v[1:2], v[1:2], v[9:10]
	v_add_f64 v[3:4], v[3:4], v[5:6]
	s_waitcnt vmcnt(2)
	v_add_f64 v[1:2], v[33:34], -v[1:2]
	s_waitcnt vmcnt(0)
	v_add_f64 v[3:4], v[37:38], -v[3:4]
	buffer_store_dword v2, off, s[0:3], 0 offset:356
	buffer_store_dword v1, off, s[0:3], 0 offset:352
	;; [unrolled: 1-line block ×4, first 2 shown]
	v_cmpx_lt_u32_e32 20, v0
	s_cbranch_execz .LBB39_213
; %bb.212:
	v_mov_b32_e32 v4, s29
	v_mov_b32_e32 v5, 0
	s_clause 0x3
	buffer_load_dword v1, v4, s[0:3], 0 offen
	buffer_load_dword v2, v4, s[0:3], 0 offen offset:4
	buffer_load_dword v3, v4, s[0:3], 0 offen offset:8
	;; [unrolled: 1-line block ×3, first 2 shown]
	buffer_store_dword v5, off, s[0:3], 0 offset:336
	buffer_store_dword v5, off, s[0:3], 0 offset:340
	;; [unrolled: 1-line block ×4, first 2 shown]
	s_waitcnt vmcnt(0)
	ds_write_b128 v141, v[1:4]
.LBB39_213:
	s_or_b32 exec_lo, exec_lo, s4
	s_waitcnt lgkmcnt(0)
	s_waitcnt_vscnt null, 0x0
	s_barrier
	buffer_gl0_inv
	s_clause 0x37
	buffer_load_dword v10, off, s[0:3], 0 offset:360
	buffer_load_dword v11, off, s[0:3], 0 offset:364
	;; [unrolled: 1-line block ×56, first 2 shown]
	v_mov_b32_e32 v1, 0
	s_mov_b32 s4, exec_lo
	ds_read_b128 v[2:5], v1 offset:976
	s_clause 0x2
	buffer_load_dword v149, off, s[0:3], 0 offset:588
	buffer_load_dword v153, off, s[0:3], 0 offset:564
	;; [unrolled: 1-line block ×3, first 2 shown]
	ds_read_b128 v[6:9], v1 offset:992
	s_clause 0x4
	buffer_load_dword v159, off, s[0:3], 0 offset:604
	buffer_load_dword v160, off, s[0:3], 0 offset:616
	;; [unrolled: 1-line block ×5, first 2 shown]
	s_waitcnt vmcnt(62) lgkmcnt(1)
	v_mul_f64 v[154:155], v[4:5], v[10:11]
	v_mul_f64 v[156:157], v[2:3], v[10:11]
	s_waitcnt vmcnt(60) lgkmcnt(0)
	v_mul_f64 v[163:164], v[8:9], v[14:15]
	ds_read_b128 v[10:13], v1 offset:1008
	v_mul_f64 v[14:15], v[6:7], v[14:15]
	s_waitcnt vmcnt(58)
	v_fma_f64 v[154:155], v[2:3], v[16:17], -v[154:155]
	v_fma_f64 v[16:17], v[4:5], v[16:17], v[156:157]
	s_clause 0x2
	buffer_load_dword v161, off, s[0:3], 0 offset:620
	buffer_load_dword v157, off, s[0:3], 0 offset:596
	;; [unrolled: 1-line block ×3, first 2 shown]
	s_waitcnt vmcnt(59) lgkmcnt(0)
	v_mul_f64 v[165:166], v[10:11], v[18:19]
	v_mul_f64 v[18:19], v[12:13], v[18:19]
	s_waitcnt vmcnt(57)
	v_fma_f64 v[167:168], v[6:7], v[20:21], -v[163:164]
	ds_read_b128 v[2:5], v1 offset:1024
	v_fma_f64 v[14:15], v[8:9], v[20:21], v[14:15]
	s_clause 0x4
	buffer_load_dword v21, off, s[0:3], 0 offset:636
	buffer_load_dword v164, off, s[0:3], 0 offset:648
	;; [unrolled: 1-line block ×5, first 2 shown]
	ds_read_b128 v[6:9], v1 offset:1040
	v_add_f64 v[154:155], v[154:155], 0
	v_add_f64 v[16:17], v[16:17], 0
	s_waitcnt vmcnt(58) lgkmcnt(1)
	v_mul_f64 v[170:171], v[2:3], v[22:23]
	v_mul_f64 v[22:23], v[4:5], v[22:23]
	s_waitcnt vmcnt(56)
	v_fma_f64 v[18:19], v[10:11], v[35:36], -v[18:19]
	v_fma_f64 v[35:36], v[12:13], v[35:36], v[165:166]
	v_add_f64 v[154:155], v[154:155], v[167:168]
	v_add_f64 v[14:15], v[16:17], v[14:15]
	s_clause 0x2
	buffer_load_dword v165, off, s[0:3], 0 offset:652
	buffer_load_dword v17, off, s[0:3], 0 offset:628
	;; [unrolled: 1-line block ×3, first 2 shown]
	s_waitcnt vmcnt(58) lgkmcnt(0)
	v_mul_f64 v[166:167], v[6:7], v[31:32]
	v_mul_f64 v[31:32], v[8:9], v[31:32]
	s_waitcnt vmcnt(56)
	v_fma_f64 v[22:23], v[2:3], v[37:38], -v[22:23]
	ds_read_b128 v[10:13], v1 offset:1056
	v_fma_f64 v[37:38], v[4:5], v[37:38], v[170:171]
	buffer_load_dword v170, off, s[0:3], 0 offset:644
	ds_read_b128 v[2:5], v1 offset:1072
	v_add_f64 v[18:19], v[154:155], v[18:19]
	v_add_f64 v[14:15], v[14:15], v[35:36]
	s_waitcnt vmcnt(53) lgkmcnt(1)
	v_mul_f64 v[35:36], v[10:11], v[39:40]
	v_mul_f64 v[39:40], v[12:13], v[39:40]
	s_waitcnt vmcnt(52)
	v_fma_f64 v[31:32], v[6:7], v[33:34], -v[31:32]
	v_add_f64 v[18:19], v[18:19], v[22:23]
	v_fma_f64 v[22:23], v[8:9], v[33:34], v[166:167]
	v_add_f64 v[14:15], v[14:15], v[37:38]
	s_waitcnt vmcnt(51) lgkmcnt(0)
	v_mul_f64 v[37:38], v[4:5], v[41:42]
	ds_read_b128 v[6:9], v1 offset:1088
	s_waitcnt vmcnt(49)
	v_fma_f64 v[39:40], v[10:11], v[47:48], -v[39:40]
	v_mul_f64 v[33:34], v[2:3], v[41:42]
	v_add_f64 v[18:19], v[18:19], v[31:32]
	v_fma_f64 v[31:32], v[12:13], v[47:48], v[35:36]
	v_add_f64 v[14:15], v[14:15], v[22:23]
	s_clause 0x3
	buffer_load_dword v22, off, s[0:3], 0 offset:336
	buffer_load_dword v23, off, s[0:3], 0 offset:340
	;; [unrolled: 1-line block ×4, first 2 shown]
	s_waitcnt vmcnt(49) lgkmcnt(0)
	v_mul_f64 v[47:48], v[8:9], v[49:50]
	s_waitcnt vmcnt(48)
	v_fma_f64 v[37:38], v[2:3], v[43:44], -v[37:38]
	ds_read_b128 v[10:13], v1 offset:1104
	v_mul_f64 v[41:42], v[6:7], v[49:50]
	v_fma_f64 v[33:34], v[4:5], v[43:44], v[33:34]
	ds_read_b128 v[2:5], v1 offset:1120
	v_add_f64 v[18:19], v[18:19], v[39:40]
	v_add_f64 v[14:15], v[14:15], v[31:32]
	s_waitcnt vmcnt(47) lgkmcnt(1)
	v_mul_f64 v[39:40], v[12:13], v[51:52]
	s_waitcnt vmcnt(45)
	v_fma_f64 v[43:44], v[6:7], v[55:56], -v[47:48]
	v_mul_f64 v[31:32], v[10:11], v[51:52]
	v_add_f64 v[18:19], v[18:19], v[37:38]
	v_fma_f64 v[37:38], v[8:9], v[55:56], v[41:42]
	v_add_f64 v[14:15], v[14:15], v[33:34]
	s_waitcnt vmcnt(41) lgkmcnt(0)
	v_mul_f64 v[41:42], v[4:5], v[57:58]
	s_waitcnt vmcnt(40)
	v_fma_f64 v[39:40], v[10:11], v[53:54], -v[39:40]
	ds_read_b128 v[6:9], v1 offset:1136
	v_mul_f64 v[33:34], v[2:3], v[57:58]
	v_fma_f64 v[31:32], v[12:13], v[53:54], v[31:32]
	ds_read_b128 v[10:13], v1 offset:1152
	v_add_f64 v[18:19], v[18:19], v[43:44]
	v_add_f64 v[14:15], v[14:15], v[37:38]
	s_waitcnt vmcnt(39) lgkmcnt(1)
	v_mul_f64 v[43:44], v[8:9], v[59:60]
	s_waitcnt vmcnt(37)
	v_fma_f64 v[41:42], v[2:3], v[63:64], -v[41:42]
	v_mul_f64 v[37:38], v[6:7], v[59:60]
	v_fma_f64 v[33:34], v[4:5], v[63:64], v[33:34]
	ds_read_b128 v[2:5], v1 offset:1168
	v_add_f64 v[18:19], v[18:19], v[39:40]
	s_waitcnt vmcnt(33) lgkmcnt(1)
	v_mul_f64 v[39:40], v[12:13], v[137:138]
	v_add_f64 v[14:15], v[14:15], v[31:32]
	s_waitcnt vmcnt(32)
	v_fma_f64 v[43:44], v[6:7], v[61:62], -v[43:44]
	v_mul_f64 v[31:32], v[10:11], v[137:138]
	v_fma_f64 v[37:38], v[8:9], v[61:62], v[37:38]
	ds_read_b128 v[6:9], v1 offset:1184
	v_add_f64 v[18:19], v[18:19], v[41:42]
	s_waitcnt vmcnt(31) lgkmcnt(1)
	v_mul_f64 v[41:42], v[4:5], v[139:140]
	v_add_f64 v[14:15], v[14:15], v[33:34]
	;; [unrolled: 9-line block ×5, first 2 shown]
	s_waitcnt vmcnt(16)
	v_fma_f64 v[39:40], v[10:11], v[150:151], -v[39:40]
	v_mul_f64 v[33:34], v[2:3], v[158:159]
	v_fma_f64 v[31:32], v[12:13], v[150:151], v[31:32]
	ds_read_b128 v[10:13], v1 offset:1248
	v_add_f64 v[18:19], v[18:19], v[43:44]
	v_add_f64 v[14:15], v[14:15], v[37:38]
	s_waitcnt vmcnt(15) lgkmcnt(1)
	v_mul_f64 v[43:44], v[8:9], v[160:161]
	v_mul_f64 v[37:38], v[6:7], v[160:161]
	s_waitcnt vmcnt(13)
	v_fma_f64 v[41:42], v[2:3], v[156:157], -v[41:42]
	v_fma_f64 v[33:34], v[4:5], v[156:157], v[33:34]
	ds_read_b128 v[2:5], v1 offset:1264
	v_add_f64 v[18:19], v[18:19], v[39:40]
	v_add_f64 v[14:15], v[14:15], v[31:32]
	s_waitcnt vmcnt(9) lgkmcnt(1)
	v_mul_f64 v[31:32], v[10:11], v[20:21]
	v_mul_f64 v[20:21], v[12:13], v[20:21]
	s_waitcnt vmcnt(8)
	v_fma_f64 v[6:7], v[6:7], v[162:163], -v[43:44]
	v_fma_f64 v[8:9], v[8:9], v[162:163], v[37:38]
	v_add_f64 v[18:19], v[18:19], v[41:42]
	v_add_f64 v[14:15], v[14:15], v[33:34]
	s_waitcnt vmcnt(7) lgkmcnt(0)
	v_mul_f64 v[37:38], v[4:5], v[164:165]
	v_mul_f64 v[33:34], v[2:3], v[164:165]
	s_waitcnt vmcnt(5)
	v_fma_f64 v[10:11], v[10:11], v[16:17], -v[20:21]
	v_fma_f64 v[12:13], v[12:13], v[16:17], v[31:32]
	v_add_f64 v[6:7], v[18:19], v[6:7]
	v_add_f64 v[8:9], v[14:15], v[8:9]
	s_waitcnt vmcnt(4)
	v_fma_f64 v[2:3], v[2:3], v[169:170], -v[37:38]
	v_fma_f64 v[4:5], v[4:5], v[169:170], v[33:34]
	v_add_f64 v[6:7], v[6:7], v[10:11]
	v_add_f64 v[8:9], v[8:9], v[12:13]
	;; [unrolled: 1-line block ×4, first 2 shown]
	s_waitcnt vmcnt(2)
	v_add_f64 v[2:3], v[22:23], -v[2:3]
	s_waitcnt vmcnt(0)
	v_add_f64 v[4:5], v[35:36], -v[4:5]
	buffer_store_dword v3, off, s[0:3], 0 offset:340
	buffer_store_dword v2, off, s[0:3], 0 offset:336
	buffer_store_dword v5, off, s[0:3], 0 offset:348
	buffer_store_dword v4, off, s[0:3], 0 offset:344
	v_cmpx_lt_u32_e32 19, v0
	s_cbranch_execz .LBB39_215
; %bb.214:
	v_mov_b32_e32 v5, s31
	s_clause 0x3
	buffer_load_dword v2, v5, s[0:3], 0 offen
	buffer_load_dword v3, v5, s[0:3], 0 offen offset:4
	buffer_load_dword v4, v5, s[0:3], 0 offen offset:8
	;; [unrolled: 1-line block ×3, first 2 shown]
	buffer_store_dword v1, off, s[0:3], 0 offset:320
	buffer_store_dword v1, off, s[0:3], 0 offset:324
	;; [unrolled: 1-line block ×4, first 2 shown]
	s_waitcnt vmcnt(0)
	ds_write_b128 v141, v[2:5]
.LBB39_215:
	s_or_b32 exec_lo, exec_lo, s4
	s_waitcnt lgkmcnt(0)
	s_waitcnt_vscnt null, 0x0
	s_barrier
	buffer_gl0_inv
	s_clause 0x37
	buffer_load_dword v10, off, s[0:3], 0 offset:344
	buffer_load_dword v11, off, s[0:3], 0 offset:348
	buffer_load_dword v14, off, s[0:3], 0 offset:360
	buffer_load_dword v15, off, s[0:3], 0 offset:364
	buffer_load_dword v16, off, s[0:3], 0 offset:336
	buffer_load_dword v17, off, s[0:3], 0 offset:340
	buffer_load_dword v18, off, s[0:3], 0 offset:376
	buffer_load_dword v19, off, s[0:3], 0 offset:380
	buffer_load_dword v20, off, s[0:3], 0 offset:352
	buffer_load_dword v21, off, s[0:3], 0 offset:356
	buffer_load_dword v23, off, s[0:3], 0 offset:396
	buffer_load_dword v31, off, s[0:3], 0 offset:408
	buffer_load_dword v33, off, s[0:3], 0 offset:400
	buffer_load_dword v22, off, s[0:3], 0 offset:392
	buffer_load_dword v35, off, s[0:3], 0 offset:368
	buffer_load_dword v36, off, s[0:3], 0 offset:372
	buffer_load_dword v32, off, s[0:3], 0 offset:412
	buffer_load_dword v38, off, s[0:3], 0 offset:388
	buffer_load_dword v37, off, s[0:3], 0 offset:384
	buffer_load_dword v40, off, s[0:3], 0 offset:428
	buffer_load_dword v41, off, s[0:3], 0 offset:440
	buffer_load_dword v43, off, s[0:3], 0 offset:432
	buffer_load_dword v39, off, s[0:3], 0 offset:424
	buffer_load_dword v34, off, s[0:3], 0 offset:404
	buffer_load_dword v42, off, s[0:3], 0 offset:444
	buffer_load_dword v48, off, s[0:3], 0 offset:420
	buffer_load_dword v47, off, s[0:3], 0 offset:416
	buffer_load_dword v50, off, s[0:3], 0 offset:460
	buffer_load_dword v51, off, s[0:3], 0 offset:472
	buffer_load_dword v53, off, s[0:3], 0 offset:464
	buffer_load_dword v49, off, s[0:3], 0 offset:456
	buffer_load_dword v44, off, s[0:3], 0 offset:436
	buffer_load_dword v52, off, s[0:3], 0 offset:476
	buffer_load_dword v56, off, s[0:3], 0 offset:452
	buffer_load_dword v55, off, s[0:3], 0 offset:448
	buffer_load_dword v58, off, s[0:3], 0 offset:492
	buffer_load_dword v59, off, s[0:3], 0 offset:504
	buffer_load_dword v61, off, s[0:3], 0 offset:496
	buffer_load_dword v57, off, s[0:3], 0 offset:488
	buffer_load_dword v54, off, s[0:3], 0 offset:468
	buffer_load_dword v60, off, s[0:3], 0 offset:508
	buffer_load_dword v64, off, s[0:3], 0 offset:484
	buffer_load_dword v63, off, s[0:3], 0 offset:480
	buffer_load_dword v138, off, s[0:3], 0 offset:524
	buffer_load_dword v139, off, s[0:3], 0 offset:536
	buffer_load_dword v142, off, s[0:3], 0 offset:528
	buffer_load_dword v137, off, s[0:3], 0 offset:520
	buffer_load_dword v62, off, s[0:3], 0 offset:500
	buffer_load_dword v140, off, s[0:3], 0 offset:540
	buffer_load_dword v145, off, s[0:3], 0 offset:516
	buffer_load_dword v144, off, s[0:3], 0 offset:512
	buffer_load_dword v147, off, s[0:3], 0 offset:556
	buffer_load_dword v148, off, s[0:3], 0 offset:568
	buffer_load_dword v150, off, s[0:3], 0 offset:560
	buffer_load_dword v146, off, s[0:3], 0 offset:552
	buffer_load_dword v143, off, s[0:3], 0 offset:532
	ds_read_b128 v[2:5], v1 offset:960
	s_clause 0x2
	buffer_load_dword v149, off, s[0:3], 0 offset:572
	buffer_load_dword v153, off, s[0:3], 0 offset:548
	;; [unrolled: 1-line block ×3, first 2 shown]
	ds_read_b128 v[6:9], v1 offset:976
	s_clause 0x4
	buffer_load_dword v159, off, s[0:3], 0 offset:588
	buffer_load_dword v160, off, s[0:3], 0 offset:600
	;; [unrolled: 1-line block ×5, first 2 shown]
	s_mov_b32 s4, exec_lo
	s_waitcnt vmcnt(62) lgkmcnt(1)
	v_mul_f64 v[154:155], v[4:5], v[10:11]
	v_mul_f64 v[156:157], v[2:3], v[10:11]
	s_waitcnt vmcnt(60) lgkmcnt(0)
	v_mul_f64 v[163:164], v[8:9], v[14:15]
	ds_read_b128 v[10:13], v1 offset:992
	v_mul_f64 v[14:15], v[6:7], v[14:15]
	s_waitcnt vmcnt(58)
	v_fma_f64 v[154:155], v[2:3], v[16:17], -v[154:155]
	v_fma_f64 v[16:17], v[4:5], v[16:17], v[156:157]
	s_clause 0x2
	buffer_load_dword v161, off, s[0:3], 0 offset:604
	buffer_load_dword v157, off, s[0:3], 0 offset:580
	;; [unrolled: 1-line block ×3, first 2 shown]
	s_waitcnt vmcnt(59) lgkmcnt(0)
	v_mul_f64 v[165:166], v[10:11], v[18:19]
	v_mul_f64 v[18:19], v[12:13], v[18:19]
	s_waitcnt vmcnt(57)
	v_fma_f64 v[167:168], v[6:7], v[20:21], -v[163:164]
	ds_read_b128 v[2:5], v1 offset:1008
	v_fma_f64 v[14:15], v[8:9], v[20:21], v[14:15]
	s_clause 0x4
	buffer_load_dword v21, off, s[0:3], 0 offset:620
	buffer_load_dword v164, off, s[0:3], 0 offset:632
	;; [unrolled: 1-line block ×5, first 2 shown]
	ds_read_b128 v[6:9], v1 offset:1024
	v_add_f64 v[154:155], v[154:155], 0
	v_add_f64 v[16:17], v[16:17], 0
	s_waitcnt vmcnt(58) lgkmcnt(1)
	v_mul_f64 v[170:171], v[2:3], v[22:23]
	v_mul_f64 v[22:23], v[4:5], v[22:23]
	s_waitcnt vmcnt(56)
	v_fma_f64 v[18:19], v[10:11], v[35:36], -v[18:19]
	v_fma_f64 v[35:36], v[12:13], v[35:36], v[165:166]
	v_add_f64 v[154:155], v[154:155], v[167:168]
	v_add_f64 v[14:15], v[16:17], v[14:15]
	s_clause 0x2
	buffer_load_dword v165, off, s[0:3], 0 offset:636
	buffer_load_dword v17, off, s[0:3], 0 offset:612
	;; [unrolled: 1-line block ×3, first 2 shown]
	s_waitcnt vmcnt(58) lgkmcnt(0)
	v_mul_f64 v[166:167], v[6:7], v[31:32]
	v_mul_f64 v[31:32], v[8:9], v[31:32]
	s_waitcnt vmcnt(56)
	v_fma_f64 v[22:23], v[2:3], v[37:38], -v[22:23]
	ds_read_b128 v[10:13], v1 offset:1040
	v_fma_f64 v[37:38], v[4:5], v[37:38], v[170:171]
	v_add_f64 v[18:19], v[154:155], v[18:19]
	v_add_f64 v[14:15], v[14:15], v[35:36]
	s_clause 0x2
	buffer_load_dword v36, off, s[0:3], 0 offset:652
	buffer_load_dword v35, off, s[0:3], 0 offset:648
	;; [unrolled: 1-line block ×3, first 2 shown]
	ds_read_b128 v[2:5], v1 offset:1056
	s_waitcnt vmcnt(55) lgkmcnt(1)
	v_mul_f64 v[154:155], v[10:11], v[39:40]
	v_mul_f64 v[39:40], v[12:13], v[39:40]
	s_waitcnt vmcnt(54)
	v_fma_f64 v[31:32], v[6:7], v[33:34], -v[31:32]
	v_add_f64 v[18:19], v[18:19], v[22:23]
	v_fma_f64 v[22:23], v[8:9], v[33:34], v[166:167]
	v_add_f64 v[14:15], v[14:15], v[37:38]
	s_clause 0x1
	buffer_load_dword v34, off, s[0:3], 0 offset:644
	buffer_load_dword v33, off, s[0:3], 0 offset:640
	s_waitcnt vmcnt(55) lgkmcnt(0)
	v_mul_f64 v[37:38], v[2:3], v[41:42]
	v_mul_f64 v[41:42], v[4:5], v[41:42]
	s_waitcnt vmcnt(53)
	v_fma_f64 v[39:40], v[10:11], v[47:48], -v[39:40]
	ds_read_b128 v[6:9], v1 offset:1072
	v_add_f64 v[18:19], v[18:19], v[31:32]
	v_fma_f64 v[31:32], v[12:13], v[47:48], v[154:155]
	v_add_f64 v[14:15], v[14:15], v[22:23]
	ds_read_b128 v[10:13], v1 offset:1088
	s_waitcnt vmcnt(48)
	v_fma_f64 v[37:38], v[4:5], v[43:44], v[37:38]
	s_waitcnt lgkmcnt(1)
	v_mul_f64 v[47:48], v[8:9], v[49:50]
	v_fma_f64 v[41:42], v[2:3], v[43:44], -v[41:42]
	v_mul_f64 v[22:23], v[6:7], v[49:50]
	v_add_f64 v[18:19], v[18:19], v[39:40]
	s_waitcnt vmcnt(47) lgkmcnt(0)
	v_mul_f64 v[49:50], v[12:13], v[51:52]
	v_add_f64 v[14:15], v[14:15], v[31:32]
	s_clause 0x3
	buffer_load_dword v31, off, s[0:3], 0 offset:320
	buffer_load_dword v32, off, s[0:3], 0 offset:324
	;; [unrolled: 1-line block ×4, first 2 shown]
	ds_read_b128 v[2:5], v1 offset:1104
	s_waitcnt vmcnt(49)
	v_fma_f64 v[47:48], v[6:7], v[55:56], -v[47:48]
	v_mul_f64 v[43:44], v[10:11], v[51:52]
	v_fma_f64 v[22:23], v[8:9], v[55:56], v[22:23]
	ds_read_b128 v[6:9], v1 offset:1120
	v_add_f64 v[18:19], v[18:19], v[41:42]
	s_waitcnt vmcnt(44)
	v_fma_f64 v[49:50], v[10:11], v[53:54], -v[49:50]
	v_add_f64 v[14:15], v[14:15], v[37:38]
	s_waitcnt lgkmcnt(1)
	v_mul_f64 v[41:42], v[4:5], v[57:58]
	v_mul_f64 v[37:38], v[2:3], v[57:58]
	v_fma_f64 v[43:44], v[12:13], v[53:54], v[43:44]
	ds_read_b128 v[10:13], v1 offset:1136
	v_add_f64 v[18:19], v[18:19], v[47:48]
	s_waitcnt vmcnt(43) lgkmcnt(1)
	v_mul_f64 v[47:48], v[8:9], v[59:60]
	v_add_f64 v[14:15], v[14:15], v[22:23]
	s_waitcnt vmcnt(41)
	v_fma_f64 v[41:42], v[2:3], v[63:64], -v[41:42]
	v_mul_f64 v[22:23], v[6:7], v[59:60]
	v_fma_f64 v[37:38], v[4:5], v[63:64], v[37:38]
	ds_read_b128 v[2:5], v1 offset:1152
	v_add_f64 v[18:19], v[18:19], v[49:50]
	s_waitcnt vmcnt(37) lgkmcnt(1)
	v_mul_f64 v[49:50], v[12:13], v[137:138]
	v_add_f64 v[14:15], v[14:15], v[43:44]
	s_waitcnt vmcnt(36)
	v_fma_f64 v[47:48], v[6:7], v[61:62], -v[47:48]
	;; [unrolled: 9-line block ×6, first 2 shown]
	v_mul_f64 v[37:38], v[2:3], v[158:159]
	v_fma_f64 v[43:44], v[12:13], v[150:151], v[43:44]
	ds_read_b128 v[10:13], v1 offset:1232
	v_add_f64 v[18:19], v[18:19], v[47:48]
	v_add_f64 v[14:15], v[14:15], v[22:23]
	s_waitcnt vmcnt(19) lgkmcnt(1)
	v_mul_f64 v[47:48], v[8:9], v[160:161]
	v_mul_f64 v[22:23], v[6:7], v[160:161]
	s_waitcnt vmcnt(17)
	v_fma_f64 v[41:42], v[2:3], v[156:157], -v[41:42]
	v_fma_f64 v[37:38], v[4:5], v[156:157], v[37:38]
	ds_read_b128 v[2:5], v1 offset:1248
	v_add_f64 v[18:19], v[18:19], v[49:50]
	v_add_f64 v[14:15], v[14:15], v[43:44]
	s_waitcnt vmcnt(13) lgkmcnt(1)
	v_mul_f64 v[43:44], v[10:11], v[20:21]
	v_mul_f64 v[20:21], v[12:13], v[20:21]
	s_waitcnt vmcnt(12)
	v_fma_f64 v[47:48], v[6:7], v[162:163], -v[47:48]
	;; [unrolled: 9-line block ×3, first 2 shown]
	v_fma_f64 v[12:13], v[12:13], v[16:17], v[43:44]
	v_add_f64 v[18:19], v[18:19], v[47:48]
	v_add_f64 v[14:15], v[14:15], v[22:23]
	s_waitcnt vmcnt(7) lgkmcnt(0)
	v_mul_f64 v[20:21], v[8:9], v[35:36]
	s_waitcnt vmcnt(6)
	v_fma_f64 v[1:2], v[2:3], v[169:170], -v[41:42]
	v_mul_f64 v[16:17], v[6:7], v[35:36]
	v_fma_f64 v[3:4], v[4:5], v[169:170], v[37:38]
	v_add_f64 v[10:11], v[18:19], v[10:11]
	v_add_f64 v[12:13], v[14:15], v[12:13]
	s_waitcnt vmcnt(4)
	v_fma_f64 v[5:6], v[6:7], v[33:34], -v[20:21]
	v_fma_f64 v[7:8], v[8:9], v[33:34], v[16:17]
	v_add_f64 v[1:2], v[10:11], v[1:2]
	v_add_f64 v[3:4], v[12:13], v[3:4]
	;; [unrolled: 1-line block ×4, first 2 shown]
	s_waitcnt vmcnt(2)
	v_add_f64 v[1:2], v[31:32], -v[1:2]
	s_waitcnt vmcnt(0)
	v_add_f64 v[3:4], v[39:40], -v[3:4]
	buffer_store_dword v2, off, s[0:3], 0 offset:324
	buffer_store_dword v1, off, s[0:3], 0 offset:320
	;; [unrolled: 1-line block ×4, first 2 shown]
	v_cmpx_lt_u32_e32 18, v0
	s_cbranch_execz .LBB39_217
; %bb.216:
	v_mov_b32_e32 v4, s34
	v_mov_b32_e32 v5, 0
	s_clause 0x3
	buffer_load_dword v1, v4, s[0:3], 0 offen
	buffer_load_dword v2, v4, s[0:3], 0 offen offset:4
	buffer_load_dword v3, v4, s[0:3], 0 offen offset:8
	;; [unrolled: 1-line block ×3, first 2 shown]
	buffer_store_dword v5, off, s[0:3], 0 offset:304
	buffer_store_dword v5, off, s[0:3], 0 offset:308
	;; [unrolled: 1-line block ×4, first 2 shown]
	s_waitcnt vmcnt(0)
	ds_write_b128 v141, v[1:4]
.LBB39_217:
	s_or_b32 exec_lo, exec_lo, s4
	s_waitcnt lgkmcnt(0)
	s_waitcnt_vscnt null, 0x0
	s_barrier
	buffer_gl0_inv
	s_clause 0x37
	buffer_load_dword v10, off, s[0:3], 0 offset:328
	buffer_load_dword v11, off, s[0:3], 0 offset:332
	;; [unrolled: 1-line block ×56, first 2 shown]
	v_mov_b32_e32 v1, 0
	s_mov_b32 s4, exec_lo
	ds_read_b128 v[2:5], v1 offset:944
	s_clause 0x2
	buffer_load_dword v149, off, s[0:3], 0 offset:556
	buffer_load_dword v153, off, s[0:3], 0 offset:532
	;; [unrolled: 1-line block ×3, first 2 shown]
	ds_read_b128 v[6:9], v1 offset:960
	s_clause 0x4
	buffer_load_dword v159, off, s[0:3], 0 offset:572
	buffer_load_dword v160, off, s[0:3], 0 offset:584
	;; [unrolled: 1-line block ×5, first 2 shown]
	s_waitcnt vmcnt(62) lgkmcnt(1)
	v_mul_f64 v[154:155], v[4:5], v[10:11]
	v_mul_f64 v[156:157], v[2:3], v[10:11]
	s_waitcnt vmcnt(60) lgkmcnt(0)
	v_mul_f64 v[163:164], v[8:9], v[14:15]
	ds_read_b128 v[10:13], v1 offset:976
	v_mul_f64 v[14:15], v[6:7], v[14:15]
	s_waitcnt vmcnt(58)
	v_fma_f64 v[154:155], v[2:3], v[16:17], -v[154:155]
	v_fma_f64 v[16:17], v[4:5], v[16:17], v[156:157]
	s_clause 0x2
	buffer_load_dword v161, off, s[0:3], 0 offset:588
	buffer_load_dword v157, off, s[0:3], 0 offset:564
	;; [unrolled: 1-line block ×3, first 2 shown]
	s_waitcnt vmcnt(59) lgkmcnt(0)
	v_mul_f64 v[165:166], v[10:11], v[18:19]
	v_mul_f64 v[18:19], v[12:13], v[18:19]
	s_waitcnt vmcnt(57)
	v_fma_f64 v[167:168], v[6:7], v[20:21], -v[163:164]
	ds_read_b128 v[2:5], v1 offset:992
	v_fma_f64 v[14:15], v[8:9], v[20:21], v[14:15]
	s_clause 0x4
	buffer_load_dword v21, off, s[0:3], 0 offset:604
	buffer_load_dword v164, off, s[0:3], 0 offset:616
	;; [unrolled: 1-line block ×5, first 2 shown]
	ds_read_b128 v[6:9], v1 offset:1008
	v_add_f64 v[154:155], v[154:155], 0
	v_add_f64 v[16:17], v[16:17], 0
	s_waitcnt vmcnt(58) lgkmcnt(1)
	v_mul_f64 v[170:171], v[2:3], v[22:23]
	v_mul_f64 v[22:23], v[4:5], v[22:23]
	s_waitcnt vmcnt(56)
	v_fma_f64 v[18:19], v[10:11], v[35:36], -v[18:19]
	v_fma_f64 v[35:36], v[12:13], v[35:36], v[165:166]
	v_add_f64 v[154:155], v[154:155], v[167:168]
	v_add_f64 v[14:15], v[16:17], v[14:15]
	s_clause 0x2
	buffer_load_dword v165, off, s[0:3], 0 offset:620
	buffer_load_dword v17, off, s[0:3], 0 offset:596
	;; [unrolled: 1-line block ×3, first 2 shown]
	s_waitcnt vmcnt(58) lgkmcnt(0)
	v_mul_f64 v[166:167], v[6:7], v[31:32]
	v_mul_f64 v[31:32], v[8:9], v[31:32]
	s_waitcnt vmcnt(56)
	v_fma_f64 v[22:23], v[2:3], v[37:38], -v[22:23]
	ds_read_b128 v[10:13], v1 offset:1024
	v_fma_f64 v[37:38], v[4:5], v[37:38], v[170:171]
	v_add_f64 v[18:19], v[154:155], v[18:19]
	v_add_f64 v[14:15], v[14:15], v[35:36]
	s_clause 0x4
	buffer_load_dword v36, off, s[0:3], 0 offset:636
	buffer_load_dword v154, off, s[0:3], 0 offset:648
	;; [unrolled: 1-line block ×5, first 2 shown]
	ds_read_b128 v[2:5], v1 offset:1040
	s_waitcnt vmcnt(57) lgkmcnt(1)
	v_mul_f64 v[172:173], v[10:11], v[39:40]
	v_mul_f64 v[39:40], v[12:13], v[39:40]
	s_waitcnt vmcnt(56)
	v_fma_f64 v[31:32], v[6:7], v[33:34], -v[31:32]
	v_add_f64 v[18:19], v[18:19], v[22:23]
	v_fma_f64 v[22:23], v[8:9], v[33:34], v[166:167]
	v_add_f64 v[14:15], v[14:15], v[37:38]
	s_clause 0x2
	buffer_load_dword v155, off, s[0:3], 0 offset:652
	buffer_load_dword v34, off, s[0:3], 0 offset:628
	;; [unrolled: 1-line block ×3, first 2 shown]
	s_waitcnt vmcnt(58) lgkmcnt(0)
	v_mul_f64 v[37:38], v[2:3], v[41:42]
	v_mul_f64 v[41:42], v[4:5], v[41:42]
	s_waitcnt vmcnt(56)
	v_fma_f64 v[39:40], v[10:11], v[47:48], -v[39:40]
	ds_read_b128 v[6:9], v1 offset:1056
	v_add_f64 v[18:19], v[18:19], v[31:32]
	v_fma_f64 v[31:32], v[12:13], v[47:48], v[172:173]
	v_add_f64 v[14:15], v[14:15], v[22:23]
	buffer_load_dword v172, off, s[0:3], 0 offset:644
	ds_read_b128 v[10:13], v1 offset:1072
	s_waitcnt vmcnt(53) lgkmcnt(1)
	v_mul_f64 v[47:48], v[8:9], v[49:50]
	s_waitcnt vmcnt(52)
	v_fma_f64 v[41:42], v[2:3], v[43:44], -v[41:42]
	v_mul_f64 v[22:23], v[6:7], v[49:50]
	v_fma_f64 v[37:38], v[4:5], v[43:44], v[37:38]
	ds_read_b128 v[2:5], v1 offset:1088
	v_add_f64 v[18:19], v[18:19], v[39:40]
	v_add_f64 v[14:15], v[14:15], v[31:32]
	s_waitcnt vmcnt(51) lgkmcnt(1)
	v_mul_f64 v[39:40], v[12:13], v[51:52]
	v_mul_f64 v[31:32], v[10:11], v[51:52]
	s_waitcnt vmcnt(49)
	v_fma_f64 v[43:44], v[6:7], v[55:56], -v[47:48]
	v_fma_f64 v[22:23], v[8:9], v[55:56], v[22:23]
	s_waitcnt vmcnt(45) lgkmcnt(0)
	v_mul_f64 v[49:50], v[4:5], v[57:58]
	v_mul_f64 v[47:48], v[2:3], v[57:58]
	v_add_f64 v[18:19], v[18:19], v[41:42]
	v_add_f64 v[14:15], v[14:15], v[37:38]
	s_clause 0x3
	buffer_load_dword v37, off, s[0:3], 0 offset:304
	buffer_load_dword v38, off, s[0:3], 0 offset:308
	buffer_load_dword v41, off, s[0:3], 0 offset:312
	buffer_load_dword v42, off, s[0:3], 0 offset:316
	s_waitcnt vmcnt(48)
	v_fma_f64 v[39:40], v[10:11], v[53:54], -v[39:40]
	ds_read_b128 v[6:9], v1 offset:1104
	v_fma_f64 v[31:32], v[12:13], v[53:54], v[31:32]
	ds_read_b128 v[10:13], v1 offset:1120
	s_waitcnt vmcnt(45)
	v_fma_f64 v[49:50], v[2:3], v[63:64], -v[49:50]
	v_add_f64 v[18:19], v[18:19], v[43:44]
	v_add_f64 v[14:15], v[14:15], v[22:23]
	s_waitcnt lgkmcnt(1)
	v_mul_f64 v[43:44], v[8:9], v[59:60]
	v_mul_f64 v[22:23], v[6:7], v[59:60]
	v_add_f64 v[18:19], v[18:19], v[39:40]
	v_fma_f64 v[39:40], v[4:5], v[63:64], v[47:48]
	v_add_f64 v[14:15], v[14:15], v[31:32]
	s_waitcnt vmcnt(41) lgkmcnt(0)
	v_mul_f64 v[47:48], v[12:13], v[137:138]
	s_waitcnt vmcnt(40)
	v_fma_f64 v[43:44], v[6:7], v[61:62], -v[43:44]
	ds_read_b128 v[2:5], v1 offset:1136
	v_mul_f64 v[31:32], v[10:11], v[137:138]
	v_fma_f64 v[22:23], v[8:9], v[61:62], v[22:23]
	ds_read_b128 v[6:9], v1 offset:1152
	v_add_f64 v[18:19], v[18:19], v[49:50]
	v_add_f64 v[14:15], v[14:15], v[39:40]
	s_waitcnt vmcnt(39) lgkmcnt(1)
	v_mul_f64 v[49:50], v[4:5], v[139:140]
	s_waitcnt vmcnt(37)
	v_fma_f64 v[47:48], v[10:11], v[144:145], -v[47:48]
	v_mul_f64 v[39:40], v[2:3], v[139:140]
	v_fma_f64 v[31:32], v[12:13], v[144:145], v[31:32]
	ds_read_b128 v[10:13], v1 offset:1168
	v_add_f64 v[18:19], v[18:19], v[43:44]
	s_waitcnt vmcnt(33) lgkmcnt(1)
	v_mul_f64 v[43:44], v[8:9], v[146:147]
	v_add_f64 v[14:15], v[14:15], v[22:23]
	s_waitcnt vmcnt(32)
	v_fma_f64 v[49:50], v[2:3], v[142:143], -v[49:50]
	v_mul_f64 v[22:23], v[6:7], v[146:147]
	v_fma_f64 v[39:40], v[4:5], v[142:143], v[39:40]
	ds_read_b128 v[2:5], v1 offset:1184
	v_add_f64 v[18:19], v[18:19], v[47:48]
	s_waitcnt vmcnt(31) lgkmcnt(1)
	v_mul_f64 v[47:48], v[12:13], v[148:149]
	v_add_f64 v[14:15], v[14:15], v[31:32]
	;; [unrolled: 9-line block ×3, first 2 shown]
	s_waitcnt vmcnt(24)
	v_fma_f64 v[47:48], v[10:11], v[150:151], -v[47:48]
	v_mul_f64 v[39:40], v[2:3], v[158:159]
	v_fma_f64 v[31:32], v[12:13], v[150:151], v[31:32]
	ds_read_b128 v[10:13], v1 offset:1216
	v_add_f64 v[18:19], v[18:19], v[43:44]
	v_add_f64 v[14:15], v[14:15], v[22:23]
	s_waitcnt vmcnt(23) lgkmcnt(1)
	v_mul_f64 v[43:44], v[8:9], v[160:161]
	v_mul_f64 v[22:23], v[6:7], v[160:161]
	s_waitcnt vmcnt(21)
	v_fma_f64 v[49:50], v[2:3], v[156:157], -v[49:50]
	v_fma_f64 v[39:40], v[4:5], v[156:157], v[39:40]
	ds_read_b128 v[2:5], v1 offset:1232
	v_add_f64 v[18:19], v[18:19], v[47:48]
	v_add_f64 v[14:15], v[14:15], v[31:32]
	s_waitcnt vmcnt(17) lgkmcnt(1)
	v_mul_f64 v[31:32], v[10:11], v[20:21]
	v_mul_f64 v[20:21], v[12:13], v[20:21]
	s_waitcnt vmcnt(16)
	v_fma_f64 v[43:44], v[6:7], v[162:163], -v[43:44]
	v_fma_f64 v[22:23], v[8:9], v[162:163], v[22:23]
	ds_read_b128 v[6:9], v1 offset:1248
	v_add_f64 v[18:19], v[18:19], v[49:50]
	v_add_f64 v[14:15], v[14:15], v[39:40]
	s_waitcnt vmcnt(15) lgkmcnt(1)
	v_mul_f64 v[47:48], v[4:5], v[164:165]
	v_mul_f64 v[39:40], v[2:3], v[164:165]
	s_waitcnt vmcnt(13)
	v_fma_f64 v[20:21], v[10:11], v[16:17], -v[20:21]
	v_fma_f64 v[16:17], v[12:13], v[16:17], v[31:32]
	ds_read_b128 v[10:13], v1 offset:1264
	v_add_f64 v[18:19], v[18:19], v[43:44]
	v_add_f64 v[14:15], v[14:15], v[22:23]
	s_waitcnt vmcnt(9) lgkmcnt(1)
	v_mul_f64 v[31:32], v[8:9], v[35:36]
	s_waitcnt vmcnt(8)
	v_fma_f64 v[2:3], v[2:3], v[169:170], -v[47:48]
	v_mul_f64 v[22:23], v[6:7], v[35:36]
	v_fma_f64 v[4:5], v[4:5], v[169:170], v[39:40]
	v_add_f64 v[18:19], v[18:19], v[20:21]
	v_add_f64 v[14:15], v[14:15], v[16:17]
	s_waitcnt vmcnt(7) lgkmcnt(0)
	v_mul_f64 v[20:21], v[12:13], v[154:155]
	v_mul_f64 v[16:17], v[10:11], v[154:155]
	s_waitcnt vmcnt(5)
	v_fma_f64 v[6:7], v[6:7], v[33:34], -v[31:32]
	v_fma_f64 v[8:9], v[8:9], v[33:34], v[22:23]
	v_add_f64 v[2:3], v[18:19], v[2:3]
	v_add_f64 v[4:5], v[14:15], v[4:5]
	s_waitcnt vmcnt(4)
	v_fma_f64 v[10:11], v[10:11], v[171:172], -v[20:21]
	v_add_f64 v[2:3], v[2:3], v[6:7]
	v_fma_f64 v[6:7], v[12:13], v[171:172], v[16:17]
	v_add_f64 v[4:5], v[4:5], v[8:9]
	v_add_f64 v[2:3], v[2:3], v[10:11]
	;; [unrolled: 1-line block ×3, first 2 shown]
	s_waitcnt vmcnt(2)
	v_add_f64 v[2:3], v[37:38], -v[2:3]
	s_waitcnt vmcnt(0)
	v_add_f64 v[4:5], v[41:42], -v[4:5]
	buffer_store_dword v3, off, s[0:3], 0 offset:308
	buffer_store_dword v2, off, s[0:3], 0 offset:304
	;; [unrolled: 1-line block ×4, first 2 shown]
	v_cmpx_lt_u32_e32 17, v0
	s_cbranch_execz .LBB39_219
; %bb.218:
	v_mov_b32_e32 v5, s35
	s_clause 0x3
	buffer_load_dword v2, v5, s[0:3], 0 offen
	buffer_load_dword v3, v5, s[0:3], 0 offen offset:4
	buffer_load_dword v4, v5, s[0:3], 0 offen offset:8
	;; [unrolled: 1-line block ×3, first 2 shown]
	buffer_store_dword v1, off, s[0:3], 0 offset:288
	buffer_store_dword v1, off, s[0:3], 0 offset:292
	buffer_store_dword v1, off, s[0:3], 0 offset:296
	buffer_store_dword v1, off, s[0:3], 0 offset:300
	s_waitcnt vmcnt(0)
	ds_write_b128 v141, v[2:5]
.LBB39_219:
	s_or_b32 exec_lo, exec_lo, s4
	s_waitcnt lgkmcnt(0)
	s_waitcnt_vscnt null, 0x0
	s_barrier
	buffer_gl0_inv
	s_clause 0x37
	buffer_load_dword v10, off, s[0:3], 0 offset:312
	buffer_load_dword v11, off, s[0:3], 0 offset:316
	;; [unrolled: 1-line block ×56, first 2 shown]
	ds_read_b128 v[2:5], v1 offset:928
	s_clause 0x2
	buffer_load_dword v149, off, s[0:3], 0 offset:540
	buffer_load_dword v153, off, s[0:3], 0 offset:516
	buffer_load_dword v152, off, s[0:3], 0 offset:512
	ds_read_b128 v[6:9], v1 offset:944
	s_clause 0x4
	buffer_load_dword v159, off, s[0:3], 0 offset:556
	buffer_load_dword v160, off, s[0:3], 0 offset:568
	;; [unrolled: 1-line block ×5, first 2 shown]
	s_mov_b32 s4, exec_lo
	s_waitcnt vmcnt(62) lgkmcnt(1)
	v_mul_f64 v[154:155], v[4:5], v[10:11]
	v_mul_f64 v[156:157], v[2:3], v[10:11]
	s_waitcnt vmcnt(60) lgkmcnt(0)
	v_mul_f64 v[163:164], v[8:9], v[14:15]
	ds_read_b128 v[10:13], v1 offset:960
	v_mul_f64 v[14:15], v[6:7], v[14:15]
	s_waitcnt vmcnt(58)
	v_fma_f64 v[154:155], v[2:3], v[16:17], -v[154:155]
	v_fma_f64 v[16:17], v[4:5], v[16:17], v[156:157]
	s_clause 0x2
	buffer_load_dword v161, off, s[0:3], 0 offset:572
	buffer_load_dword v157, off, s[0:3], 0 offset:548
	;; [unrolled: 1-line block ×3, first 2 shown]
	s_waitcnt vmcnt(59) lgkmcnt(0)
	v_mul_f64 v[165:166], v[10:11], v[18:19]
	v_mul_f64 v[18:19], v[12:13], v[18:19]
	s_waitcnt vmcnt(57)
	v_fma_f64 v[167:168], v[6:7], v[20:21], -v[163:164]
	ds_read_b128 v[2:5], v1 offset:976
	v_fma_f64 v[14:15], v[8:9], v[20:21], v[14:15]
	s_clause 0x4
	buffer_load_dword v21, off, s[0:3], 0 offset:588
	buffer_load_dword v164, off, s[0:3], 0 offset:600
	;; [unrolled: 1-line block ×5, first 2 shown]
	ds_read_b128 v[6:9], v1 offset:992
	v_add_f64 v[154:155], v[154:155], 0
	v_add_f64 v[16:17], v[16:17], 0
	s_waitcnt vmcnt(58) lgkmcnt(1)
	v_mul_f64 v[170:171], v[2:3], v[22:23]
	v_mul_f64 v[22:23], v[4:5], v[22:23]
	s_waitcnt vmcnt(56)
	v_fma_f64 v[18:19], v[10:11], v[35:36], -v[18:19]
	v_fma_f64 v[35:36], v[12:13], v[35:36], v[165:166]
	v_add_f64 v[154:155], v[154:155], v[167:168]
	v_add_f64 v[14:15], v[16:17], v[14:15]
	s_clause 0x2
	buffer_load_dword v165, off, s[0:3], 0 offset:604
	buffer_load_dword v17, off, s[0:3], 0 offset:580
	;; [unrolled: 1-line block ×3, first 2 shown]
	s_waitcnt vmcnt(58) lgkmcnt(0)
	v_mul_f64 v[166:167], v[6:7], v[31:32]
	v_mul_f64 v[31:32], v[8:9], v[31:32]
	s_waitcnt vmcnt(56)
	v_fma_f64 v[22:23], v[2:3], v[37:38], -v[22:23]
	ds_read_b128 v[10:13], v1 offset:1008
	v_fma_f64 v[37:38], v[4:5], v[37:38], v[170:171]
	v_add_f64 v[18:19], v[154:155], v[18:19]
	v_add_f64 v[14:15], v[14:15], v[35:36]
	s_clause 0x4
	buffer_load_dword v36, off, s[0:3], 0 offset:620
	buffer_load_dword v154, off, s[0:3], 0 offset:632
	;; [unrolled: 1-line block ×5, first 2 shown]
	ds_read_b128 v[2:5], v1 offset:1024
	s_waitcnt vmcnt(57) lgkmcnt(1)
	v_mul_f64 v[172:173], v[10:11], v[39:40]
	v_mul_f64 v[39:40], v[12:13], v[39:40]
	s_waitcnt vmcnt(56)
	v_fma_f64 v[31:32], v[6:7], v[33:34], -v[31:32]
	v_add_f64 v[18:19], v[18:19], v[22:23]
	v_fma_f64 v[22:23], v[8:9], v[33:34], v[166:167]
	v_add_f64 v[14:15], v[14:15], v[37:38]
	s_clause 0x2
	buffer_load_dword v155, off, s[0:3], 0 offset:636
	buffer_load_dword v34, off, s[0:3], 0 offset:612
	;; [unrolled: 1-line block ×3, first 2 shown]
	s_waitcnt vmcnt(58) lgkmcnt(0)
	v_mul_f64 v[37:38], v[2:3], v[41:42]
	v_mul_f64 v[41:42], v[4:5], v[41:42]
	s_waitcnt vmcnt(56)
	v_fma_f64 v[39:40], v[10:11], v[47:48], -v[39:40]
	ds_read_b128 v[6:9], v1 offset:1040
	v_add_f64 v[18:19], v[18:19], v[31:32]
	v_fma_f64 v[31:32], v[12:13], v[47:48], v[172:173]
	v_add_f64 v[14:15], v[14:15], v[22:23]
	s_clause 0x2
	buffer_load_dword v23, off, s[0:3], 0 offset:652
	buffer_load_dword v22, off, s[0:3], 0 offset:648
	;; [unrolled: 1-line block ×3, first 2 shown]
	ds_read_b128 v[10:13], v1 offset:1056
	s_waitcnt vmcnt(55) lgkmcnt(1)
	v_mul_f64 v[47:48], v[6:7], v[49:50]
	v_mul_f64 v[49:50], v[8:9], v[49:50]
	s_waitcnt vmcnt(54)
	v_fma_f64 v[41:42], v[2:3], v[43:44], -v[41:42]
	v_fma_f64 v[37:38], v[4:5], v[43:44], v[37:38]
	v_add_f64 v[18:19], v[18:19], v[39:40]
	v_add_f64 v[14:15], v[14:15], v[31:32]
	s_clause 0x1
	buffer_load_dword v32, off, s[0:3], 0 offset:644
	buffer_load_dword v31, off, s[0:3], 0 offset:640
	s_waitcnt vmcnt(55) lgkmcnt(0)
	v_mul_f64 v[43:44], v[12:13], v[51:52]
	ds_read_b128 v[2:5], v1 offset:1072
	s_waitcnt vmcnt(53)
	v_fma_f64 v[49:50], v[6:7], v[55:56], -v[49:50]
	v_mul_f64 v[39:40], v[10:11], v[51:52]
	v_add_f64 v[18:19], v[18:19], v[41:42]
	v_fma_f64 v[41:42], v[8:9], v[55:56], v[47:48]
	v_add_f64 v[14:15], v[14:15], v[37:38]
	ds_read_b128 v[6:9], v1 offset:1088
	s_waitcnt vmcnt(49) lgkmcnt(1)
	v_mul_f64 v[47:48], v[4:5], v[57:58]
	s_waitcnt vmcnt(48)
	v_fma_f64 v[43:44], v[10:11], v[53:54], -v[43:44]
	v_mul_f64 v[37:38], v[2:3], v[57:58]
	v_fma_f64 v[39:40], v[12:13], v[53:54], v[39:40]
	v_add_f64 v[18:19], v[18:19], v[49:50]
	s_waitcnt vmcnt(47) lgkmcnt(0)
	v_mul_f64 v[53:54], v[8:9], v[59:60]
	v_add_f64 v[14:15], v[14:15], v[41:42]
	s_clause 0x3
	buffer_load_dword v41, off, s[0:3], 0 offset:288
	buffer_load_dword v42, off, s[0:3], 0 offset:292
	;; [unrolled: 1-line block ×4, first 2 shown]
	s_waitcnt vmcnt(49)
	v_fma_f64 v[47:48], v[2:3], v[63:64], -v[47:48]
	ds_read_b128 v[10:13], v1 offset:1104
	v_mul_f64 v[51:52], v[6:7], v[59:60]
	v_fma_f64 v[37:38], v[4:5], v[63:64], v[37:38]
	ds_read_b128 v[2:5], v1 offset:1120
	v_add_f64 v[18:19], v[18:19], v[43:44]
	s_waitcnt vmcnt(44)
	v_fma_f64 v[53:54], v[6:7], v[61:62], -v[53:54]
	v_add_f64 v[14:15], v[14:15], v[39:40]
	s_waitcnt lgkmcnt(1)
	v_mul_f64 v[43:44], v[12:13], v[137:138]
	v_mul_f64 v[39:40], v[10:11], v[137:138]
	v_add_f64 v[18:19], v[18:19], v[47:48]
	v_fma_f64 v[47:48], v[8:9], v[61:62], v[51:52]
	v_add_f64 v[14:15], v[14:15], v[37:38]
	s_waitcnt vmcnt(43) lgkmcnt(0)
	v_mul_f64 v[51:52], v[4:5], v[139:140]
	s_waitcnt vmcnt(41)
	v_fma_f64 v[43:44], v[10:11], v[144:145], -v[43:44]
	ds_read_b128 v[6:9], v1 offset:1136
	v_mul_f64 v[37:38], v[2:3], v[139:140]
	v_fma_f64 v[39:40], v[12:13], v[144:145], v[39:40]
	ds_read_b128 v[10:13], v1 offset:1152
	v_add_f64 v[18:19], v[18:19], v[53:54]
	v_add_f64 v[14:15], v[14:15], v[47:48]
	s_waitcnt vmcnt(37) lgkmcnt(1)
	v_mul_f64 v[53:54], v[8:9], v[146:147]
	s_waitcnt vmcnt(36)
	v_fma_f64 v[51:52], v[2:3], v[142:143], -v[51:52]
	v_mul_f64 v[47:48], v[6:7], v[146:147]
	v_fma_f64 v[37:38], v[4:5], v[142:143], v[37:38]
	ds_read_b128 v[2:5], v1 offset:1168
	v_add_f64 v[18:19], v[18:19], v[43:44]
	s_waitcnt vmcnt(35) lgkmcnt(1)
	v_mul_f64 v[43:44], v[12:13], v[148:149]
	v_add_f64 v[14:15], v[14:15], v[39:40]
	s_waitcnt vmcnt(33)
	v_fma_f64 v[53:54], v[6:7], v[152:153], -v[53:54]
	v_mul_f64 v[39:40], v[10:11], v[148:149]
	v_fma_f64 v[47:48], v[8:9], v[152:153], v[47:48]
	ds_read_b128 v[6:9], v1 offset:1184
	v_add_f64 v[18:19], v[18:19], v[51:52]
	s_waitcnt vmcnt(29) lgkmcnt(1)
	v_mul_f64 v[51:52], v[4:5], v[158:159]
	v_add_f64 v[14:15], v[14:15], v[37:38]
	s_waitcnt vmcnt(28)
	v_fma_f64 v[43:44], v[10:11], v[150:151], -v[43:44]
	v_mul_f64 v[37:38], v[2:3], v[158:159]
	v_fma_f64 v[39:40], v[12:13], v[150:151], v[39:40]
	ds_read_b128 v[10:13], v1 offset:1200
	v_add_f64 v[18:19], v[18:19], v[53:54]
	v_add_f64 v[14:15], v[14:15], v[47:48]
	s_waitcnt vmcnt(27) lgkmcnt(1)
	v_mul_f64 v[53:54], v[8:9], v[160:161]
	v_mul_f64 v[47:48], v[6:7], v[160:161]
	s_waitcnt vmcnt(25)
	v_fma_f64 v[51:52], v[2:3], v[156:157], -v[51:52]
	v_fma_f64 v[37:38], v[4:5], v[156:157], v[37:38]
	ds_read_b128 v[2:5], v1 offset:1216
	v_add_f64 v[18:19], v[18:19], v[43:44]
	v_add_f64 v[14:15], v[14:15], v[39:40]
	s_waitcnt vmcnt(21) lgkmcnt(1)
	v_mul_f64 v[39:40], v[10:11], v[20:21]
	v_mul_f64 v[20:21], v[12:13], v[20:21]
	s_waitcnt vmcnt(20)
	v_fma_f64 v[43:44], v[6:7], v[162:163], -v[53:54]
	;; [unrolled: 9-line block ×4, first 2 shown]
	v_add_f64 v[18:19], v[18:19], v[20:21]
	v_fma_f64 v[20:21], v[4:5], v[169:170], v[37:38]
	v_add_f64 v[14:15], v[14:15], v[16:17]
	ds_read_b128 v[1:4], v1 offset:1264
	s_waitcnt vmcnt(11) lgkmcnt(1)
	v_mul_f64 v[37:38], v[12:13], v[154:155]
	v_mul_f64 v[16:17], v[10:11], v[154:155]
	s_waitcnt vmcnt(9)
	v_fma_f64 v[5:6], v[6:7], v[33:34], -v[35:36]
	v_fma_f64 v[7:8], v[8:9], v[33:34], v[39:40]
	v_add_f64 v[18:19], v[18:19], v[43:44]
	v_add_f64 v[14:15], v[14:15], v[20:21]
	s_waitcnt vmcnt(7) lgkmcnt(0)
	v_mul_f64 v[20:21], v[1:2], v[22:23]
	v_mul_f64 v[22:23], v[3:4], v[22:23]
	s_waitcnt vmcnt(6)
	v_fma_f64 v[9:10], v[10:11], v[171:172], -v[37:38]
	v_fma_f64 v[11:12], v[12:13], v[171:172], v[16:17]
	v_add_f64 v[5:6], v[18:19], v[5:6]
	v_add_f64 v[7:8], v[14:15], v[7:8]
	s_waitcnt vmcnt(4)
	v_fma_f64 v[1:2], v[1:2], v[31:32], -v[22:23]
	v_fma_f64 v[3:4], v[3:4], v[31:32], v[20:21]
	v_add_f64 v[5:6], v[5:6], v[9:10]
	v_add_f64 v[7:8], v[7:8], v[11:12]
	;; [unrolled: 1-line block ×4, first 2 shown]
	s_waitcnt vmcnt(2)
	v_add_f64 v[1:2], v[41:42], -v[1:2]
	s_waitcnt vmcnt(0)
	v_add_f64 v[3:4], v[49:50], -v[3:4]
	buffer_store_dword v2, off, s[0:3], 0 offset:292
	buffer_store_dword v1, off, s[0:3], 0 offset:288
	;; [unrolled: 1-line block ×4, first 2 shown]
	v_cmpx_lt_u32_e32 16, v0
	s_cbranch_execz .LBB39_221
; %bb.220:
	v_mov_b32_e32 v4, s36
	v_mov_b32_e32 v5, 0
	s_clause 0x3
	buffer_load_dword v1, v4, s[0:3], 0 offen
	buffer_load_dword v2, v4, s[0:3], 0 offen offset:4
	buffer_load_dword v3, v4, s[0:3], 0 offen offset:8
	;; [unrolled: 1-line block ×3, first 2 shown]
	buffer_store_dword v5, off, s[0:3], 0 offset:272
	buffer_store_dword v5, off, s[0:3], 0 offset:276
	;; [unrolled: 1-line block ×4, first 2 shown]
	s_waitcnt vmcnt(0)
	ds_write_b128 v141, v[1:4]
.LBB39_221:
	s_or_b32 exec_lo, exec_lo, s4
	s_waitcnt lgkmcnt(0)
	s_waitcnt_vscnt null, 0x0
	s_barrier
	buffer_gl0_inv
	s_clause 0x37
	buffer_load_dword v10, off, s[0:3], 0 offset:296
	buffer_load_dword v11, off, s[0:3], 0 offset:300
	buffer_load_dword v14, off, s[0:3], 0 offset:312
	buffer_load_dword v15, off, s[0:3], 0 offset:316
	buffer_load_dword v16, off, s[0:3], 0 offset:288
	buffer_load_dword v17, off, s[0:3], 0 offset:292
	buffer_load_dword v18, off, s[0:3], 0 offset:328
	buffer_load_dword v19, off, s[0:3], 0 offset:332
	buffer_load_dword v20, off, s[0:3], 0 offset:304
	buffer_load_dword v21, off, s[0:3], 0 offset:308
	buffer_load_dword v23, off, s[0:3], 0 offset:348
	buffer_load_dword v31, off, s[0:3], 0 offset:360
	buffer_load_dword v33, off, s[0:3], 0 offset:352
	buffer_load_dword v22, off, s[0:3], 0 offset:344
	buffer_load_dword v35, off, s[0:3], 0 offset:320
	buffer_load_dword v36, off, s[0:3], 0 offset:324
	buffer_load_dword v32, off, s[0:3], 0 offset:364
	buffer_load_dword v38, off, s[0:3], 0 offset:340
	buffer_load_dword v37, off, s[0:3], 0 offset:336
	buffer_load_dword v40, off, s[0:3], 0 offset:380
	buffer_load_dword v41, off, s[0:3], 0 offset:392
	buffer_load_dword v43, off, s[0:3], 0 offset:384
	buffer_load_dword v39, off, s[0:3], 0 offset:376
	buffer_load_dword v34, off, s[0:3], 0 offset:356
	buffer_load_dword v42, off, s[0:3], 0 offset:396
	buffer_load_dword v48, off, s[0:3], 0 offset:372
	buffer_load_dword v47, off, s[0:3], 0 offset:368
	buffer_load_dword v50, off, s[0:3], 0 offset:412
	buffer_load_dword v51, off, s[0:3], 0 offset:424
	buffer_load_dword v53, off, s[0:3], 0 offset:416
	buffer_load_dword v49, off, s[0:3], 0 offset:408
	buffer_load_dword v44, off, s[0:3], 0 offset:388
	buffer_load_dword v52, off, s[0:3], 0 offset:428
	buffer_load_dword v56, off, s[0:3], 0 offset:404
	buffer_load_dword v55, off, s[0:3], 0 offset:400
	buffer_load_dword v58, off, s[0:3], 0 offset:444
	buffer_load_dword v59, off, s[0:3], 0 offset:456
	buffer_load_dword v61, off, s[0:3], 0 offset:448
	buffer_load_dword v57, off, s[0:3], 0 offset:440
	buffer_load_dword v54, off, s[0:3], 0 offset:420
	buffer_load_dword v60, off, s[0:3], 0 offset:460
	buffer_load_dword v64, off, s[0:3], 0 offset:436
	buffer_load_dword v63, off, s[0:3], 0 offset:432
	buffer_load_dword v138, off, s[0:3], 0 offset:476
	buffer_load_dword v139, off, s[0:3], 0 offset:488
	buffer_load_dword v142, off, s[0:3], 0 offset:480
	buffer_load_dword v137, off, s[0:3], 0 offset:472
	buffer_load_dword v62, off, s[0:3], 0 offset:452
	buffer_load_dword v140, off, s[0:3], 0 offset:492
	buffer_load_dword v145, off, s[0:3], 0 offset:468
	buffer_load_dword v144, off, s[0:3], 0 offset:464
	buffer_load_dword v147, off, s[0:3], 0 offset:508
	buffer_load_dword v148, off, s[0:3], 0 offset:520
	buffer_load_dword v150, off, s[0:3], 0 offset:512
	buffer_load_dword v146, off, s[0:3], 0 offset:504
	buffer_load_dword v143, off, s[0:3], 0 offset:484
	v_mov_b32_e32 v1, 0
	s_mov_b32 s4, exec_lo
	ds_read_b128 v[2:5], v1 offset:912
	s_clause 0x2
	buffer_load_dword v149, off, s[0:3], 0 offset:524
	buffer_load_dword v153, off, s[0:3], 0 offset:500
	;; [unrolled: 1-line block ×3, first 2 shown]
	ds_read_b128 v[6:9], v1 offset:928
	s_clause 0x4
	buffer_load_dword v159, off, s[0:3], 0 offset:540
	buffer_load_dword v160, off, s[0:3], 0 offset:552
	;; [unrolled: 1-line block ×5, first 2 shown]
	s_waitcnt vmcnt(62) lgkmcnt(1)
	v_mul_f64 v[154:155], v[4:5], v[10:11]
	v_mul_f64 v[156:157], v[2:3], v[10:11]
	s_waitcnt vmcnt(60) lgkmcnt(0)
	v_mul_f64 v[163:164], v[8:9], v[14:15]
	ds_read_b128 v[10:13], v1 offset:944
	v_mul_f64 v[14:15], v[6:7], v[14:15]
	s_waitcnt vmcnt(58)
	v_fma_f64 v[154:155], v[2:3], v[16:17], -v[154:155]
	v_fma_f64 v[16:17], v[4:5], v[16:17], v[156:157]
	s_clause 0x2
	buffer_load_dword v161, off, s[0:3], 0 offset:556
	buffer_load_dword v157, off, s[0:3], 0 offset:532
	;; [unrolled: 1-line block ×3, first 2 shown]
	s_waitcnt vmcnt(59) lgkmcnt(0)
	v_mul_f64 v[165:166], v[10:11], v[18:19]
	v_mul_f64 v[18:19], v[12:13], v[18:19]
	s_waitcnt vmcnt(57)
	v_fma_f64 v[167:168], v[6:7], v[20:21], -v[163:164]
	ds_read_b128 v[2:5], v1 offset:960
	v_fma_f64 v[14:15], v[8:9], v[20:21], v[14:15]
	s_clause 0x4
	buffer_load_dword v21, off, s[0:3], 0 offset:572
	buffer_load_dword v164, off, s[0:3], 0 offset:584
	;; [unrolled: 1-line block ×5, first 2 shown]
	ds_read_b128 v[6:9], v1 offset:976
	v_add_f64 v[154:155], v[154:155], 0
	v_add_f64 v[16:17], v[16:17], 0
	s_waitcnt vmcnt(58) lgkmcnt(1)
	v_mul_f64 v[170:171], v[2:3], v[22:23]
	v_mul_f64 v[22:23], v[4:5], v[22:23]
	s_waitcnt vmcnt(56)
	v_fma_f64 v[18:19], v[10:11], v[35:36], -v[18:19]
	v_fma_f64 v[35:36], v[12:13], v[35:36], v[165:166]
	v_add_f64 v[154:155], v[154:155], v[167:168]
	v_add_f64 v[14:15], v[16:17], v[14:15]
	s_clause 0x2
	buffer_load_dword v165, off, s[0:3], 0 offset:588
	buffer_load_dword v17, off, s[0:3], 0 offset:564
	;; [unrolled: 1-line block ×3, first 2 shown]
	s_waitcnt vmcnt(58) lgkmcnt(0)
	v_mul_f64 v[166:167], v[6:7], v[31:32]
	v_mul_f64 v[31:32], v[8:9], v[31:32]
	s_waitcnt vmcnt(56)
	v_fma_f64 v[22:23], v[2:3], v[37:38], -v[22:23]
	ds_read_b128 v[10:13], v1 offset:992
	v_fma_f64 v[37:38], v[4:5], v[37:38], v[170:171]
	v_add_f64 v[18:19], v[154:155], v[18:19]
	v_add_f64 v[14:15], v[14:15], v[35:36]
	s_clause 0x4
	buffer_load_dword v36, off, s[0:3], 0 offset:604
	buffer_load_dword v154, off, s[0:3], 0 offset:616
	;; [unrolled: 1-line block ×5, first 2 shown]
	ds_read_b128 v[2:5], v1 offset:1008
	s_waitcnt vmcnt(57) lgkmcnt(1)
	v_mul_f64 v[172:173], v[10:11], v[39:40]
	v_mul_f64 v[39:40], v[12:13], v[39:40]
	s_waitcnt vmcnt(56)
	v_fma_f64 v[31:32], v[6:7], v[33:34], -v[31:32]
	v_add_f64 v[18:19], v[18:19], v[22:23]
	v_fma_f64 v[22:23], v[8:9], v[33:34], v[166:167]
	v_add_f64 v[14:15], v[14:15], v[37:38]
	s_clause 0x2
	buffer_load_dword v155, off, s[0:3], 0 offset:620
	buffer_load_dword v34, off, s[0:3], 0 offset:596
	;; [unrolled: 1-line block ×3, first 2 shown]
	s_waitcnt vmcnt(58) lgkmcnt(0)
	v_mul_f64 v[37:38], v[2:3], v[41:42]
	v_mul_f64 v[41:42], v[4:5], v[41:42]
	s_waitcnt vmcnt(56)
	v_fma_f64 v[39:40], v[10:11], v[47:48], -v[39:40]
	ds_read_b128 v[6:9], v1 offset:1024
	v_add_f64 v[18:19], v[18:19], v[31:32]
	v_fma_f64 v[31:32], v[12:13], v[47:48], v[172:173]
	v_add_f64 v[14:15], v[14:15], v[22:23]
	s_clause 0x4
	buffer_load_dword v23, off, s[0:3], 0 offset:636
	buffer_load_dword v47, off, s[0:3], 0 offset:648
	;; [unrolled: 1-line block ×5, first 2 shown]
	ds_read_b128 v[10:13], v1 offset:1040
	s_waitcnt vmcnt(57) lgkmcnt(1)
	v_mul_f64 v[167:168], v[6:7], v[49:50]
	v_mul_f64 v[49:50], v[8:9], v[49:50]
	s_waitcnt vmcnt(56)
	v_fma_f64 v[41:42], v[2:3], v[43:44], -v[41:42]
	v_fma_f64 v[37:38], v[4:5], v[43:44], v[37:38]
	v_add_f64 v[18:19], v[18:19], v[39:40]
	v_add_f64 v[14:15], v[14:15], v[31:32]
	s_clause 0x2
	buffer_load_dword v48, off, s[0:3], 0 offset:652
	buffer_load_dword v32, off, s[0:3], 0 offset:628
	;; [unrolled: 1-line block ×3, first 2 shown]
	s_waitcnt vmcnt(58) lgkmcnt(0)
	v_mul_f64 v[43:44], v[12:13], v[51:52]
	ds_read_b128 v[2:5], v1 offset:1056
	s_waitcnt vmcnt(56)
	v_fma_f64 v[49:50], v[6:7], v[55:56], -v[49:50]
	v_mul_f64 v[39:40], v[10:11], v[51:52]
	v_add_f64 v[18:19], v[18:19], v[41:42]
	v_fma_f64 v[41:42], v[8:9], v[55:56], v[167:168]
	v_add_f64 v[14:15], v[14:15], v[37:38]
	buffer_load_dword v167, off, s[0:3], 0 offset:644
	ds_read_b128 v[6:9], v1 offset:1072
	s_waitcnt vmcnt(53) lgkmcnt(1)
	v_mul_f64 v[51:52], v[4:5], v[57:58]
	s_waitcnt vmcnt(52)
	v_fma_f64 v[43:44], v[10:11], v[53:54], -v[43:44]
	v_mul_f64 v[37:38], v[2:3], v[57:58]
	v_fma_f64 v[39:40], v[12:13], v[53:54], v[39:40]
	ds_read_b128 v[10:13], v1 offset:1088
	v_add_f64 v[18:19], v[18:19], v[49:50]
	v_add_f64 v[14:15], v[14:15], v[41:42]
	s_waitcnt vmcnt(51) lgkmcnt(1)
	v_mul_f64 v[49:50], v[8:9], v[59:60]
	v_mul_f64 v[41:42], v[6:7], v[59:60]
	s_waitcnt vmcnt(49)
	v_fma_f64 v[51:52], v[2:3], v[63:64], -v[51:52]
	v_fma_f64 v[37:38], v[4:5], v[63:64], v[37:38]
	s_waitcnt vmcnt(45) lgkmcnt(0)
	v_mul_f64 v[55:56], v[12:13], v[137:138]
	v_mul_f64 v[53:54], v[10:11], v[137:138]
	v_add_f64 v[18:19], v[18:19], v[43:44]
	v_add_f64 v[14:15], v[14:15], v[39:40]
	s_clause 0x3
	buffer_load_dword v39, off, s[0:3], 0 offset:272
	buffer_load_dword v40, off, s[0:3], 0 offset:276
	;; [unrolled: 1-line block ×4, first 2 shown]
	s_waitcnt vmcnt(48)
	v_fma_f64 v[49:50], v[6:7], v[61:62], -v[49:50]
	ds_read_b128 v[2:5], v1 offset:1104
	v_fma_f64 v[41:42], v[8:9], v[61:62], v[41:42]
	ds_read_b128 v[6:9], v1 offset:1120
	s_waitcnt vmcnt(45)
	v_fma_f64 v[55:56], v[10:11], v[144:145], -v[55:56]
	v_add_f64 v[18:19], v[18:19], v[51:52]
	v_add_f64 v[14:15], v[14:15], v[37:38]
	s_waitcnt lgkmcnt(1)
	v_mul_f64 v[51:52], v[4:5], v[139:140]
	v_mul_f64 v[37:38], v[2:3], v[139:140]
	v_add_f64 v[18:19], v[18:19], v[49:50]
	v_fma_f64 v[49:50], v[12:13], v[144:145], v[53:54]
	v_add_f64 v[14:15], v[14:15], v[41:42]
	s_waitcnt vmcnt(41) lgkmcnt(0)
	v_mul_f64 v[53:54], v[8:9], v[146:147]
	s_waitcnt vmcnt(40)
	v_fma_f64 v[51:52], v[2:3], v[142:143], -v[51:52]
	ds_read_b128 v[10:13], v1 offset:1136
	v_mul_f64 v[41:42], v[6:7], v[146:147]
	v_fma_f64 v[37:38], v[4:5], v[142:143], v[37:38]
	ds_read_b128 v[2:5], v1 offset:1152
	v_add_f64 v[18:19], v[18:19], v[55:56]
	v_add_f64 v[14:15], v[14:15], v[49:50]
	s_waitcnt vmcnt(39) lgkmcnt(1)
	v_mul_f64 v[55:56], v[12:13], v[148:149]
	s_waitcnt vmcnt(37)
	v_fma_f64 v[53:54], v[6:7], v[152:153], -v[53:54]
	v_mul_f64 v[49:50], v[10:11], v[148:149]
	v_fma_f64 v[41:42], v[8:9], v[152:153], v[41:42]
	ds_read_b128 v[6:9], v1 offset:1168
	v_add_f64 v[18:19], v[18:19], v[51:52]
	s_waitcnt vmcnt(33) lgkmcnt(1)
	v_mul_f64 v[51:52], v[4:5], v[158:159]
	v_add_f64 v[14:15], v[14:15], v[37:38]
	s_waitcnt vmcnt(32)
	v_fma_f64 v[55:56], v[10:11], v[150:151], -v[55:56]
	v_mul_f64 v[37:38], v[2:3], v[158:159]
	v_fma_f64 v[49:50], v[12:13], v[150:151], v[49:50]
	ds_read_b128 v[10:13], v1 offset:1184
	v_add_f64 v[18:19], v[18:19], v[53:54]
	v_add_f64 v[14:15], v[14:15], v[41:42]
	s_waitcnt vmcnt(31) lgkmcnt(1)
	v_mul_f64 v[53:54], v[8:9], v[160:161]
	v_mul_f64 v[41:42], v[6:7], v[160:161]
	s_waitcnt vmcnt(29)
	v_fma_f64 v[51:52], v[2:3], v[156:157], -v[51:52]
	v_fma_f64 v[37:38], v[4:5], v[156:157], v[37:38]
	ds_read_b128 v[2:5], v1 offset:1200
	v_add_f64 v[18:19], v[18:19], v[55:56]
	v_add_f64 v[14:15], v[14:15], v[49:50]
	s_waitcnt vmcnt(25) lgkmcnt(1)
	v_mul_f64 v[49:50], v[10:11], v[20:21]
	v_mul_f64 v[20:21], v[12:13], v[20:21]
	s_waitcnt vmcnt(24)
	v_fma_f64 v[53:54], v[6:7], v[162:163], -v[53:54]
	;; [unrolled: 9-line block ×4, first 2 shown]
	v_add_f64 v[18:19], v[18:19], v[20:21]
	v_fma_f64 v[20:21], v[4:5], v[169:170], v[37:38]
	v_add_f64 v[14:15], v[14:15], v[16:17]
	ds_read_b128 v[2:5], v1 offset:1248
	s_waitcnt vmcnt(15) lgkmcnt(1)
	v_mul_f64 v[37:38], v[12:13], v[154:155]
	v_mul_f64 v[16:17], v[10:11], v[154:155]
	s_waitcnt vmcnt(13)
	v_fma_f64 v[35:36], v[6:7], v[33:34], -v[35:36]
	v_fma_f64 v[33:34], v[8:9], v[33:34], v[41:42]
	ds_read_b128 v[6:9], v1 offset:1264
	v_add_f64 v[18:19], v[18:19], v[49:50]
	v_add_f64 v[14:15], v[14:15], v[20:21]
	s_waitcnt vmcnt(9) lgkmcnt(1)
	v_mul_f64 v[20:21], v[2:3], v[22:23]
	v_mul_f64 v[22:23], v[4:5], v[22:23]
	s_waitcnt vmcnt(8)
	v_fma_f64 v[10:11], v[10:11], v[171:172], -v[37:38]
	v_fma_f64 v[12:13], v[12:13], v[171:172], v[16:17]
	v_add_f64 v[18:19], v[18:19], v[35:36]
	v_add_f64 v[14:15], v[14:15], v[33:34]
	s_waitcnt vmcnt(7) lgkmcnt(0)
	v_mul_f64 v[33:34], v[8:9], v[47:48]
	v_mul_f64 v[16:17], v[6:7], v[47:48]
	s_waitcnt vmcnt(5)
	v_fma_f64 v[2:3], v[2:3], v[31:32], -v[22:23]
	v_fma_f64 v[4:5], v[4:5], v[31:32], v[20:21]
	v_add_f64 v[10:11], v[18:19], v[10:11]
	v_add_f64 v[12:13], v[14:15], v[12:13]
	s_waitcnt vmcnt(4)
	v_fma_f64 v[6:7], v[6:7], v[166:167], -v[33:34]
	v_fma_f64 v[8:9], v[8:9], v[166:167], v[16:17]
	v_add_f64 v[2:3], v[10:11], v[2:3]
	v_add_f64 v[4:5], v[12:13], v[4:5]
	;; [unrolled: 1-line block ×4, first 2 shown]
	s_waitcnt vmcnt(2)
	v_add_f64 v[2:3], v[39:40], -v[2:3]
	s_waitcnt vmcnt(0)
	v_add_f64 v[4:5], v[43:44], -v[4:5]
	buffer_store_dword v3, off, s[0:3], 0 offset:276
	buffer_store_dword v2, off, s[0:3], 0 offset:272
	buffer_store_dword v5, off, s[0:3], 0 offset:284
	buffer_store_dword v4, off, s[0:3], 0 offset:280
	v_cmpx_lt_u32_e32 15, v0
	s_cbranch_execz .LBB39_223
; %bb.222:
	v_mov_b32_e32 v5, s37
	s_clause 0x3
	buffer_load_dword v2, v5, s[0:3], 0 offen
	buffer_load_dword v3, v5, s[0:3], 0 offen offset:4
	buffer_load_dword v4, v5, s[0:3], 0 offen offset:8
	;; [unrolled: 1-line block ×3, first 2 shown]
	buffer_store_dword v1, off, s[0:3], 0 offset:256
	buffer_store_dword v1, off, s[0:3], 0 offset:260
	;; [unrolled: 1-line block ×4, first 2 shown]
	s_waitcnt vmcnt(0)
	ds_write_b128 v141, v[2:5]
.LBB39_223:
	s_or_b32 exec_lo, exec_lo, s4
	s_waitcnt lgkmcnt(0)
	s_waitcnt_vscnt null, 0x0
	s_barrier
	buffer_gl0_inv
	s_clause 0x37
	buffer_load_dword v10, off, s[0:3], 0 offset:280
	buffer_load_dword v11, off, s[0:3], 0 offset:284
	;; [unrolled: 1-line block ×56, first 2 shown]
	ds_read_b128 v[2:5], v1 offset:896
	s_clause 0x2
	buffer_load_dword v149, off, s[0:3], 0 offset:508
	buffer_load_dword v153, off, s[0:3], 0 offset:484
	;; [unrolled: 1-line block ×3, first 2 shown]
	ds_read_b128 v[6:9], v1 offset:912
	s_clause 0x4
	buffer_load_dword v159, off, s[0:3], 0 offset:524
	buffer_load_dword v160, off, s[0:3], 0 offset:536
	;; [unrolled: 1-line block ×5, first 2 shown]
	s_mov_b32 s4, exec_lo
	s_waitcnt vmcnt(62) lgkmcnt(1)
	v_mul_f64 v[154:155], v[4:5], v[10:11]
	v_mul_f64 v[156:157], v[2:3], v[10:11]
	s_waitcnt vmcnt(60) lgkmcnt(0)
	v_mul_f64 v[163:164], v[8:9], v[14:15]
	ds_read_b128 v[10:13], v1 offset:928
	v_mul_f64 v[14:15], v[6:7], v[14:15]
	s_waitcnt vmcnt(58)
	v_fma_f64 v[154:155], v[2:3], v[16:17], -v[154:155]
	v_fma_f64 v[16:17], v[4:5], v[16:17], v[156:157]
	s_clause 0x2
	buffer_load_dword v161, off, s[0:3], 0 offset:540
	buffer_load_dword v157, off, s[0:3], 0 offset:516
	;; [unrolled: 1-line block ×3, first 2 shown]
	s_waitcnt vmcnt(59) lgkmcnt(0)
	v_mul_f64 v[165:166], v[10:11], v[18:19]
	v_mul_f64 v[18:19], v[12:13], v[18:19]
	s_waitcnt vmcnt(57)
	v_fma_f64 v[167:168], v[6:7], v[20:21], -v[163:164]
	ds_read_b128 v[2:5], v1 offset:944
	v_fma_f64 v[14:15], v[8:9], v[20:21], v[14:15]
	s_clause 0x4
	buffer_load_dword v21, off, s[0:3], 0 offset:556
	buffer_load_dword v164, off, s[0:3], 0 offset:568
	;; [unrolled: 1-line block ×5, first 2 shown]
	ds_read_b128 v[6:9], v1 offset:960
	v_add_f64 v[154:155], v[154:155], 0
	v_add_f64 v[16:17], v[16:17], 0
	s_waitcnt vmcnt(58) lgkmcnt(1)
	v_mul_f64 v[170:171], v[2:3], v[22:23]
	v_mul_f64 v[22:23], v[4:5], v[22:23]
	s_waitcnt vmcnt(56)
	v_fma_f64 v[18:19], v[10:11], v[35:36], -v[18:19]
	v_fma_f64 v[35:36], v[12:13], v[35:36], v[165:166]
	v_add_f64 v[154:155], v[154:155], v[167:168]
	v_add_f64 v[14:15], v[16:17], v[14:15]
	s_clause 0x2
	buffer_load_dword v165, off, s[0:3], 0 offset:572
	buffer_load_dword v17, off, s[0:3], 0 offset:548
	;; [unrolled: 1-line block ×3, first 2 shown]
	s_waitcnt vmcnt(58) lgkmcnt(0)
	v_mul_f64 v[166:167], v[6:7], v[31:32]
	v_mul_f64 v[31:32], v[8:9], v[31:32]
	s_waitcnt vmcnt(56)
	v_fma_f64 v[22:23], v[2:3], v[37:38], -v[22:23]
	ds_read_b128 v[10:13], v1 offset:976
	v_fma_f64 v[37:38], v[4:5], v[37:38], v[170:171]
	v_add_f64 v[18:19], v[154:155], v[18:19]
	v_add_f64 v[14:15], v[14:15], v[35:36]
	s_clause 0x4
	buffer_load_dword v36, off, s[0:3], 0 offset:588
	buffer_load_dword v154, off, s[0:3], 0 offset:600
	;; [unrolled: 1-line block ×5, first 2 shown]
	ds_read_b128 v[2:5], v1 offset:992
	s_waitcnt vmcnt(57) lgkmcnt(1)
	v_mul_f64 v[172:173], v[10:11], v[39:40]
	v_mul_f64 v[39:40], v[12:13], v[39:40]
	s_waitcnt vmcnt(56)
	v_fma_f64 v[31:32], v[6:7], v[33:34], -v[31:32]
	v_add_f64 v[18:19], v[18:19], v[22:23]
	v_fma_f64 v[22:23], v[8:9], v[33:34], v[166:167]
	v_add_f64 v[14:15], v[14:15], v[37:38]
	s_clause 0x2
	buffer_load_dword v155, off, s[0:3], 0 offset:604
	buffer_load_dword v34, off, s[0:3], 0 offset:580
	;; [unrolled: 1-line block ×3, first 2 shown]
	s_waitcnt vmcnt(58) lgkmcnt(0)
	v_mul_f64 v[37:38], v[2:3], v[41:42]
	v_mul_f64 v[41:42], v[4:5], v[41:42]
	s_waitcnt vmcnt(56)
	v_fma_f64 v[39:40], v[10:11], v[47:48], -v[39:40]
	ds_read_b128 v[6:9], v1 offset:1008
	v_add_f64 v[18:19], v[18:19], v[31:32]
	v_fma_f64 v[31:32], v[12:13], v[47:48], v[172:173]
	v_add_f64 v[14:15], v[14:15], v[22:23]
	s_clause 0x4
	buffer_load_dword v23, off, s[0:3], 0 offset:620
	buffer_load_dword v47, off, s[0:3], 0 offset:632
	;; [unrolled: 1-line block ×5, first 2 shown]
	ds_read_b128 v[10:13], v1 offset:1024
	s_waitcnt vmcnt(57) lgkmcnt(1)
	v_mul_f64 v[167:168], v[6:7], v[49:50]
	v_mul_f64 v[49:50], v[8:9], v[49:50]
	s_waitcnt vmcnt(56)
	v_fma_f64 v[41:42], v[2:3], v[43:44], -v[41:42]
	v_fma_f64 v[37:38], v[4:5], v[43:44], v[37:38]
	v_add_f64 v[18:19], v[18:19], v[39:40]
	v_add_f64 v[14:15], v[14:15], v[31:32]
	s_clause 0x2
	buffer_load_dword v48, off, s[0:3], 0 offset:636
	buffer_load_dword v32, off, s[0:3], 0 offset:612
	;; [unrolled: 1-line block ×3, first 2 shown]
	s_waitcnt vmcnt(58) lgkmcnt(0)
	v_mul_f64 v[43:44], v[12:13], v[51:52]
	ds_read_b128 v[2:5], v1 offset:1040
	s_waitcnt vmcnt(56)
	v_fma_f64 v[49:50], v[6:7], v[55:56], -v[49:50]
	v_mul_f64 v[39:40], v[10:11], v[51:52]
	v_add_f64 v[18:19], v[18:19], v[41:42]
	v_fma_f64 v[41:42], v[8:9], v[55:56], v[167:168]
	v_add_f64 v[14:15], v[14:15], v[37:38]
	s_clause 0x2
	buffer_load_dword v38, off, s[0:3], 0 offset:652
	buffer_load_dword v37, off, s[0:3], 0 offset:648
	;; [unrolled: 1-line block ×3, first 2 shown]
	s_waitcnt vmcnt(55) lgkmcnt(0)
	v_mul_f64 v[55:56], v[4:5], v[57:58]
	s_waitcnt vmcnt(54)
	v_fma_f64 v[43:44], v[10:11], v[53:54], -v[43:44]
	ds_read_b128 v[6:9], v1 offset:1056
	v_mul_f64 v[51:52], v[2:3], v[57:58]
	v_fma_f64 v[39:40], v[12:13], v[53:54], v[39:40]
	v_add_f64 v[18:19], v[18:19], v[49:50]
	v_add_f64 v[14:15], v[14:15], v[41:42]
	s_clause 0x1
	buffer_load_dword v42, off, s[0:3], 0 offset:644
	buffer_load_dword v41, off, s[0:3], 0 offset:640
	s_waitcnt vmcnt(55) lgkmcnt(0)
	v_mul_f64 v[53:54], v[8:9], v[59:60]
	s_waitcnt vmcnt(53)
	v_fma_f64 v[55:56], v[2:3], v[63:64], -v[55:56]
	ds_read_b128 v[10:13], v1 offset:1072
	v_mul_f64 v[49:50], v[6:7], v[59:60]
	v_add_f64 v[18:19], v[18:19], v[43:44]
	v_fma_f64 v[43:44], v[4:5], v[63:64], v[51:52]
	v_add_f64 v[14:15], v[14:15], v[39:40]
	ds_read_b128 v[2:5], v1 offset:1088
	s_waitcnt vmcnt(49) lgkmcnt(1)
	v_mul_f64 v[51:52], v[12:13], v[137:138]
	s_waitcnt vmcnt(48)
	v_fma_f64 v[53:54], v[6:7], v[61:62], -v[53:54]
	v_mul_f64 v[39:40], v[10:11], v[137:138]
	v_fma_f64 v[49:50], v[8:9], v[61:62], v[49:50]
	v_add_f64 v[18:19], v[18:19], v[55:56]
	s_waitcnt vmcnt(47) lgkmcnt(0)
	v_mul_f64 v[59:60], v[4:5], v[139:140]
	v_add_f64 v[14:15], v[14:15], v[43:44]
	s_clause 0x3
	buffer_load_dword v43, off, s[0:3], 0 offset:256
	buffer_load_dword v44, off, s[0:3], 0 offset:260
	;; [unrolled: 1-line block ×4, first 2 shown]
	s_waitcnt vmcnt(49)
	v_fma_f64 v[51:52], v[10:11], v[144:145], -v[51:52]
	ds_read_b128 v[6:9], v1 offset:1104
	v_mul_f64 v[57:58], v[2:3], v[139:140]
	v_fma_f64 v[39:40], v[12:13], v[144:145], v[39:40]
	ds_read_b128 v[10:13], v1 offset:1120
	v_add_f64 v[18:19], v[18:19], v[53:54]
	s_waitcnt vmcnt(44)
	v_fma_f64 v[59:60], v[2:3], v[142:143], -v[59:60]
	v_add_f64 v[14:15], v[14:15], v[49:50]
	s_waitcnt lgkmcnt(1)
	v_mul_f64 v[53:54], v[8:9], v[146:147]
	v_mul_f64 v[49:50], v[6:7], v[146:147]
	v_add_f64 v[18:19], v[18:19], v[51:52]
	v_fma_f64 v[51:52], v[4:5], v[142:143], v[57:58]
	v_add_f64 v[14:15], v[14:15], v[39:40]
	s_waitcnt vmcnt(43) lgkmcnt(0)
	v_mul_f64 v[57:58], v[12:13], v[148:149]
	s_waitcnt vmcnt(41)
	v_fma_f64 v[53:54], v[6:7], v[152:153], -v[53:54]
	ds_read_b128 v[2:5], v1 offset:1136
	v_mul_f64 v[39:40], v[10:11], v[148:149]
	v_fma_f64 v[49:50], v[8:9], v[152:153], v[49:50]
	ds_read_b128 v[6:9], v1 offset:1152
	v_add_f64 v[18:19], v[18:19], v[59:60]
	v_add_f64 v[14:15], v[14:15], v[51:52]
	s_waitcnt vmcnt(37) lgkmcnt(1)
	v_mul_f64 v[59:60], v[4:5], v[158:159]
	s_waitcnt vmcnt(36)
	v_fma_f64 v[57:58], v[10:11], v[150:151], -v[57:58]
	v_mul_f64 v[51:52], v[2:3], v[158:159]
	v_fma_f64 v[39:40], v[12:13], v[150:151], v[39:40]
	ds_read_b128 v[10:13], v1 offset:1168
	v_add_f64 v[18:19], v[18:19], v[53:54]
	v_add_f64 v[14:15], v[14:15], v[49:50]
	s_waitcnt vmcnt(35) lgkmcnt(1)
	v_mul_f64 v[53:54], v[8:9], v[160:161]
	v_mul_f64 v[49:50], v[6:7], v[160:161]
	s_waitcnt vmcnt(33)
	v_fma_f64 v[59:60], v[2:3], v[156:157], -v[59:60]
	v_fma_f64 v[51:52], v[4:5], v[156:157], v[51:52]
	ds_read_b128 v[2:5], v1 offset:1184
	v_add_f64 v[18:19], v[18:19], v[57:58]
	v_add_f64 v[14:15], v[14:15], v[39:40]
	s_waitcnt vmcnt(29) lgkmcnt(1)
	v_mul_f64 v[39:40], v[10:11], v[20:21]
	v_mul_f64 v[20:21], v[12:13], v[20:21]
	s_waitcnt vmcnt(28)
	v_fma_f64 v[53:54], v[6:7], v[162:163], -v[53:54]
	;; [unrolled: 9-line block ×4, first 2 shown]
	v_add_f64 v[18:19], v[18:19], v[20:21]
	v_fma_f64 v[20:21], v[4:5], v[169:170], v[51:52]
	v_add_f64 v[14:15], v[14:15], v[16:17]
	ds_read_b128 v[2:5], v1 offset:1232
	s_waitcnt vmcnt(19) lgkmcnt(1)
	v_mul_f64 v[51:52], v[12:13], v[154:155]
	v_mul_f64 v[16:17], v[10:11], v[154:155]
	s_waitcnt vmcnt(17)
	v_fma_f64 v[35:36], v[6:7], v[33:34], -v[35:36]
	v_fma_f64 v[33:34], v[8:9], v[33:34], v[39:40]
	ds_read_b128 v[6:9], v1 offset:1248
	v_add_f64 v[18:19], v[18:19], v[49:50]
	v_add_f64 v[14:15], v[14:15], v[20:21]
	s_waitcnt vmcnt(13) lgkmcnt(1)
	v_mul_f64 v[20:21], v[2:3], v[22:23]
	v_mul_f64 v[22:23], v[4:5], v[22:23]
	s_waitcnt vmcnt(12)
	v_fma_f64 v[39:40], v[10:11], v[171:172], -v[51:52]
	v_fma_f64 v[16:17], v[12:13], v[171:172], v[16:17]
	ds_read_b128 v[10:13], v1 offset:1264
	v_add_f64 v[18:19], v[18:19], v[35:36]
	v_add_f64 v[14:15], v[14:15], v[33:34]
	s_waitcnt vmcnt(11) lgkmcnt(1)
	v_mul_f64 v[35:36], v[8:9], v[47:48]
	v_mul_f64 v[33:34], v[6:7], v[47:48]
	s_waitcnt vmcnt(9)
	v_fma_f64 v[1:2], v[2:3], v[31:32], -v[22:23]
	v_fma_f64 v[3:4], v[4:5], v[31:32], v[20:21]
	v_add_f64 v[18:19], v[18:19], v[39:40]
	v_add_f64 v[14:15], v[14:15], v[16:17]
	s_waitcnt vmcnt(7) lgkmcnt(0)
	v_mul_f64 v[20:21], v[12:13], v[37:38]
	s_waitcnt vmcnt(6)
	v_fma_f64 v[5:6], v[6:7], v[166:167], -v[35:36]
	v_mul_f64 v[16:17], v[10:11], v[37:38]
	v_fma_f64 v[7:8], v[8:9], v[166:167], v[33:34]
	v_add_f64 v[1:2], v[18:19], v[1:2]
	v_add_f64 v[3:4], v[14:15], v[3:4]
	s_waitcnt vmcnt(4)
	v_fma_f64 v[9:10], v[10:11], v[41:42], -v[20:21]
	v_add_f64 v[1:2], v[1:2], v[5:6]
	v_fma_f64 v[5:6], v[12:13], v[41:42], v[16:17]
	v_add_f64 v[3:4], v[3:4], v[7:8]
	v_add_f64 v[1:2], v[1:2], v[9:10]
	;; [unrolled: 1-line block ×3, first 2 shown]
	s_waitcnt vmcnt(2)
	v_add_f64 v[1:2], v[43:44], -v[1:2]
	s_waitcnt vmcnt(0)
	v_add_f64 v[3:4], v[55:56], -v[3:4]
	buffer_store_dword v2, off, s[0:3], 0 offset:260
	buffer_store_dword v1, off, s[0:3], 0 offset:256
	;; [unrolled: 1-line block ×4, first 2 shown]
	v_cmpx_lt_u32_e32 14, v0
	s_cbranch_execz .LBB39_225
; %bb.224:
	v_mov_b32_e32 v4, s38
	v_mov_b32_e32 v5, 0
	s_clause 0x3
	buffer_load_dword v1, v4, s[0:3], 0 offen
	buffer_load_dword v2, v4, s[0:3], 0 offen offset:4
	buffer_load_dword v3, v4, s[0:3], 0 offen offset:8
	;; [unrolled: 1-line block ×3, first 2 shown]
	buffer_store_dword v5, off, s[0:3], 0 offset:240
	buffer_store_dword v5, off, s[0:3], 0 offset:244
	;; [unrolled: 1-line block ×4, first 2 shown]
	s_waitcnt vmcnt(0)
	ds_write_b128 v141, v[1:4]
.LBB39_225:
	s_or_b32 exec_lo, exec_lo, s4
	s_waitcnt lgkmcnt(0)
	s_waitcnt_vscnt null, 0x0
	s_barrier
	buffer_gl0_inv
	s_clause 0x37
	buffer_load_dword v10, off, s[0:3], 0 offset:264
	buffer_load_dword v11, off, s[0:3], 0 offset:268
	;; [unrolled: 1-line block ×56, first 2 shown]
	v_mov_b32_e32 v1, 0
	s_mov_b32 s4, exec_lo
	ds_read_b128 v[2:5], v1 offset:880
	s_clause 0x2
	buffer_load_dword v149, off, s[0:3], 0 offset:492
	buffer_load_dword v153, off, s[0:3], 0 offset:468
	;; [unrolled: 1-line block ×3, first 2 shown]
	ds_read_b128 v[6:9], v1 offset:896
	s_clause 0x4
	buffer_load_dword v159, off, s[0:3], 0 offset:508
	buffer_load_dword v160, off, s[0:3], 0 offset:520
	;; [unrolled: 1-line block ×5, first 2 shown]
	s_waitcnt vmcnt(62) lgkmcnt(1)
	v_mul_f64 v[154:155], v[4:5], v[10:11]
	v_mul_f64 v[156:157], v[2:3], v[10:11]
	s_waitcnt vmcnt(60) lgkmcnt(0)
	v_mul_f64 v[163:164], v[8:9], v[14:15]
	ds_read_b128 v[10:13], v1 offset:912
	v_mul_f64 v[14:15], v[6:7], v[14:15]
	s_waitcnt vmcnt(58)
	v_fma_f64 v[154:155], v[2:3], v[16:17], -v[154:155]
	v_fma_f64 v[16:17], v[4:5], v[16:17], v[156:157]
	s_clause 0x2
	buffer_load_dword v161, off, s[0:3], 0 offset:524
	buffer_load_dword v157, off, s[0:3], 0 offset:500
	;; [unrolled: 1-line block ×3, first 2 shown]
	s_waitcnt vmcnt(59) lgkmcnt(0)
	v_mul_f64 v[165:166], v[10:11], v[18:19]
	v_mul_f64 v[18:19], v[12:13], v[18:19]
	s_waitcnt vmcnt(57)
	v_fma_f64 v[167:168], v[6:7], v[20:21], -v[163:164]
	ds_read_b128 v[2:5], v1 offset:928
	v_fma_f64 v[14:15], v[8:9], v[20:21], v[14:15]
	s_clause 0x4
	buffer_load_dword v21, off, s[0:3], 0 offset:540
	buffer_load_dword v164, off, s[0:3], 0 offset:552
	;; [unrolled: 1-line block ×5, first 2 shown]
	ds_read_b128 v[6:9], v1 offset:944
	v_add_f64 v[154:155], v[154:155], 0
	v_add_f64 v[16:17], v[16:17], 0
	s_waitcnt vmcnt(58) lgkmcnt(1)
	v_mul_f64 v[170:171], v[2:3], v[22:23]
	v_mul_f64 v[22:23], v[4:5], v[22:23]
	s_waitcnt vmcnt(56)
	v_fma_f64 v[18:19], v[10:11], v[35:36], -v[18:19]
	v_fma_f64 v[35:36], v[12:13], v[35:36], v[165:166]
	v_add_f64 v[154:155], v[154:155], v[167:168]
	v_add_f64 v[14:15], v[16:17], v[14:15]
	s_clause 0x2
	buffer_load_dword v165, off, s[0:3], 0 offset:556
	buffer_load_dword v17, off, s[0:3], 0 offset:532
	;; [unrolled: 1-line block ×3, first 2 shown]
	s_waitcnt vmcnt(58) lgkmcnt(0)
	v_mul_f64 v[166:167], v[6:7], v[31:32]
	v_mul_f64 v[31:32], v[8:9], v[31:32]
	s_waitcnt vmcnt(56)
	v_fma_f64 v[22:23], v[2:3], v[37:38], -v[22:23]
	ds_read_b128 v[10:13], v1 offset:960
	v_fma_f64 v[37:38], v[4:5], v[37:38], v[170:171]
	v_add_f64 v[18:19], v[154:155], v[18:19]
	v_add_f64 v[14:15], v[14:15], v[35:36]
	s_clause 0x4
	buffer_load_dword v36, off, s[0:3], 0 offset:572
	buffer_load_dword v154, off, s[0:3], 0 offset:584
	;; [unrolled: 1-line block ×5, first 2 shown]
	ds_read_b128 v[2:5], v1 offset:976
	s_waitcnt vmcnt(57) lgkmcnt(1)
	v_mul_f64 v[172:173], v[10:11], v[39:40]
	v_mul_f64 v[39:40], v[12:13], v[39:40]
	s_waitcnt vmcnt(56)
	v_fma_f64 v[31:32], v[6:7], v[33:34], -v[31:32]
	v_add_f64 v[18:19], v[18:19], v[22:23]
	v_fma_f64 v[22:23], v[8:9], v[33:34], v[166:167]
	v_add_f64 v[14:15], v[14:15], v[37:38]
	s_clause 0x2
	buffer_load_dword v155, off, s[0:3], 0 offset:588
	buffer_load_dword v34, off, s[0:3], 0 offset:564
	;; [unrolled: 1-line block ×3, first 2 shown]
	s_waitcnt vmcnt(58) lgkmcnt(0)
	v_mul_f64 v[37:38], v[2:3], v[41:42]
	v_mul_f64 v[41:42], v[4:5], v[41:42]
	s_waitcnt vmcnt(56)
	v_fma_f64 v[39:40], v[10:11], v[47:48], -v[39:40]
	ds_read_b128 v[6:9], v1 offset:992
	v_add_f64 v[18:19], v[18:19], v[31:32]
	v_fma_f64 v[31:32], v[12:13], v[47:48], v[172:173]
	v_add_f64 v[14:15], v[14:15], v[22:23]
	s_clause 0x4
	buffer_load_dword v23, off, s[0:3], 0 offset:604
	buffer_load_dword v47, off, s[0:3], 0 offset:616
	;; [unrolled: 1-line block ×5, first 2 shown]
	ds_read_b128 v[10:13], v1 offset:1008
	s_waitcnt vmcnt(57) lgkmcnt(1)
	v_mul_f64 v[167:168], v[6:7], v[49:50]
	v_mul_f64 v[49:50], v[8:9], v[49:50]
	s_waitcnt vmcnt(56)
	v_fma_f64 v[41:42], v[2:3], v[43:44], -v[41:42]
	v_fma_f64 v[37:38], v[4:5], v[43:44], v[37:38]
	v_add_f64 v[18:19], v[18:19], v[39:40]
	v_add_f64 v[14:15], v[14:15], v[31:32]
	s_clause 0x2
	buffer_load_dword v48, off, s[0:3], 0 offset:620
	buffer_load_dword v32, off, s[0:3], 0 offset:596
	;; [unrolled: 1-line block ×3, first 2 shown]
	s_waitcnt vmcnt(58) lgkmcnt(0)
	v_mul_f64 v[43:44], v[12:13], v[51:52]
	ds_read_b128 v[2:5], v1 offset:1024
	s_waitcnt vmcnt(56)
	v_fma_f64 v[49:50], v[6:7], v[55:56], -v[49:50]
	v_mul_f64 v[39:40], v[10:11], v[51:52]
	v_add_f64 v[18:19], v[18:19], v[41:42]
	v_fma_f64 v[41:42], v[8:9], v[55:56], v[167:168]
	v_add_f64 v[14:15], v[14:15], v[37:38]
	s_clause 0x4
	buffer_load_dword v38, off, s[0:3], 0 offset:636
	buffer_load_dword v51, off, s[0:3], 0 offset:648
	;; [unrolled: 1-line block ×5, first 2 shown]
	s_waitcnt vmcnt(57) lgkmcnt(0)
	v_mul_f64 v[173:174], v[2:3], v[57:58]
	v_mul_f64 v[56:57], v[4:5], v[57:58]
	s_waitcnt vmcnt(56)
	v_fma_f64 v[43:44], v[10:11], v[53:54], -v[43:44]
	ds_read_b128 v[6:9], v1 offset:1040
	v_fma_f64 v[39:40], v[12:13], v[53:54], v[39:40]
	v_add_f64 v[18:19], v[18:19], v[49:50]
	v_add_f64 v[14:15], v[14:15], v[41:42]
	s_clause 0x2
	buffer_load_dword v52, off, s[0:3], 0 offset:652
	buffer_load_dword v42, off, s[0:3], 0 offset:628
	buffer_load_dword v41, off, s[0:3], 0 offset:624
	ds_read_b128 v[10:13], v1 offset:1056
	s_waitcnt vmcnt(58) lgkmcnt(1)
	v_mul_f64 v[53:54], v[8:9], v[59:60]
	s_waitcnt vmcnt(56)
	v_fma_f64 v[57:58], v[2:3], v[63:64], -v[56:57]
	v_mul_f64 v[49:50], v[6:7], v[59:60]
	buffer_load_dword v56, off, s[0:3], 0 offset:644
	v_add_f64 v[18:19], v[18:19], v[43:44]
	v_fma_f64 v[43:44], v[4:5], v[63:64], v[173:174]
	v_add_f64 v[14:15], v[14:15], v[39:40]
	ds_read_b128 v[2:5], v1 offset:1072
	s_waitcnt vmcnt(53) lgkmcnt(1)
	v_mul_f64 v[59:60], v[12:13], v[137:138]
	s_waitcnt vmcnt(52)
	v_fma_f64 v[53:54], v[6:7], v[61:62], -v[53:54]
	v_mul_f64 v[39:40], v[10:11], v[137:138]
	v_fma_f64 v[49:50], v[8:9], v[61:62], v[49:50]
	ds_read_b128 v[6:9], v1 offset:1088
	v_add_f64 v[18:19], v[18:19], v[57:58]
	s_waitcnt vmcnt(51) lgkmcnt(1)
	v_mul_f64 v[57:58], v[4:5], v[139:140]
	v_add_f64 v[14:15], v[14:15], v[43:44]
	v_mul_f64 v[43:44], v[2:3], v[139:140]
	s_waitcnt vmcnt(49)
	v_fma_f64 v[59:60], v[10:11], v[144:145], -v[59:60]
	v_fma_f64 v[39:40], v[12:13], v[144:145], v[39:40]
	s_waitcnt vmcnt(45) lgkmcnt(0)
	v_mul_f64 v[63:64], v[8:9], v[146:147]
	v_mul_f64 v[61:62], v[6:7], v[146:147]
	v_add_f64 v[18:19], v[18:19], v[53:54]
	s_waitcnt vmcnt(44)
	v_fma_f64 v[57:58], v[2:3], v[142:143], -v[57:58]
	v_add_f64 v[14:15], v[14:15], v[49:50]
	s_clause 0x3
	buffer_load_dword v49, off, s[0:3], 0 offset:240
	buffer_load_dword v50, off, s[0:3], 0 offset:244
	;; [unrolled: 1-line block ×4, first 2 shown]
	ds_read_b128 v[10:13], v1 offset:1104
	v_fma_f64 v[43:44], v[4:5], v[142:143], v[43:44]
	ds_read_b128 v[2:5], v1 offset:1120
	s_waitcnt vmcnt(45)
	v_fma_f64 v[63:64], v[6:7], v[152:153], -v[63:64]
	v_add_f64 v[18:19], v[18:19], v[59:60]
	v_add_f64 v[14:15], v[14:15], v[39:40]
	s_waitcnt lgkmcnt(1)
	v_mul_f64 v[59:60], v[12:13], v[148:149]
	v_mul_f64 v[39:40], v[10:11], v[148:149]
	v_add_f64 v[18:19], v[18:19], v[57:58]
	v_fma_f64 v[57:58], v[8:9], v[152:153], v[61:62]
	v_add_f64 v[14:15], v[14:15], v[43:44]
	s_waitcnt vmcnt(41) lgkmcnt(0)
	v_mul_f64 v[61:62], v[4:5], v[158:159]
	s_waitcnt vmcnt(40)
	v_fma_f64 v[59:60], v[10:11], v[150:151], -v[59:60]
	ds_read_b128 v[6:9], v1 offset:1136
	v_mul_f64 v[43:44], v[2:3], v[158:159]
	v_fma_f64 v[39:40], v[12:13], v[150:151], v[39:40]
	ds_read_b128 v[10:13], v1 offset:1152
	v_add_f64 v[18:19], v[18:19], v[63:64]
	v_add_f64 v[14:15], v[14:15], v[57:58]
	s_waitcnt vmcnt(39) lgkmcnt(1)
	v_mul_f64 v[63:64], v[8:9], v[160:161]
	v_mul_f64 v[57:58], v[6:7], v[160:161]
	s_waitcnt vmcnt(37)
	v_fma_f64 v[61:62], v[2:3], v[156:157], -v[61:62]
	v_fma_f64 v[43:44], v[4:5], v[156:157], v[43:44]
	ds_read_b128 v[2:5], v1 offset:1168
	v_add_f64 v[18:19], v[18:19], v[59:60]
	v_add_f64 v[14:15], v[14:15], v[39:40]
	s_waitcnt vmcnt(33) lgkmcnt(1)
	v_mul_f64 v[39:40], v[10:11], v[20:21]
	v_mul_f64 v[20:21], v[12:13], v[20:21]
	s_waitcnt vmcnt(32)
	v_fma_f64 v[59:60], v[6:7], v[162:163], -v[63:64]
	;; [unrolled: 9-line block ×4, first 2 shown]
	v_add_f64 v[18:19], v[18:19], v[20:21]
	v_fma_f64 v[20:21], v[4:5], v[169:170], v[43:44]
	v_add_f64 v[14:15], v[14:15], v[16:17]
	ds_read_b128 v[2:5], v1 offset:1216
	s_waitcnt vmcnt(23) lgkmcnt(1)
	v_mul_f64 v[43:44], v[12:13], v[154:155]
	v_mul_f64 v[16:17], v[10:11], v[154:155]
	s_waitcnt vmcnt(21)
	v_fma_f64 v[35:36], v[6:7], v[33:34], -v[35:36]
	v_fma_f64 v[33:34], v[8:9], v[33:34], v[39:40]
	ds_read_b128 v[6:9], v1 offset:1232
	v_add_f64 v[18:19], v[18:19], v[57:58]
	v_add_f64 v[14:15], v[14:15], v[20:21]
	s_waitcnt vmcnt(17) lgkmcnt(1)
	v_mul_f64 v[20:21], v[2:3], v[22:23]
	v_mul_f64 v[22:23], v[4:5], v[22:23]
	s_waitcnt vmcnt(16)
	v_fma_f64 v[39:40], v[10:11], v[171:172], -v[43:44]
	v_fma_f64 v[16:17], v[12:13], v[171:172], v[16:17]
	ds_read_b128 v[10:13], v1 offset:1248
	v_add_f64 v[18:19], v[18:19], v[35:36]
	v_add_f64 v[14:15], v[14:15], v[33:34]
	;; [unrolled: 9-line block ×3, first 2 shown]
	s_waitcnt vmcnt(9) lgkmcnt(1)
	v_mul_f64 v[31:32], v[12:13], v[37:38]
	s_waitcnt vmcnt(8)
	v_fma_f64 v[6:7], v[6:7], v[166:167], -v[35:36]
	v_mul_f64 v[16:17], v[10:11], v[37:38]
	v_fma_f64 v[8:9], v[8:9], v[166:167], v[33:34]
	v_add_f64 v[18:19], v[18:19], v[22:23]
	v_add_f64 v[14:15], v[14:15], v[20:21]
	s_waitcnt vmcnt(7) lgkmcnt(0)
	v_mul_f64 v[22:23], v[4:5], v[51:52]
	v_mul_f64 v[20:21], v[2:3], v[51:52]
	s_waitcnt vmcnt(5)
	v_fma_f64 v[10:11], v[10:11], v[41:42], -v[31:32]
	v_fma_f64 v[12:13], v[12:13], v[41:42], v[16:17]
	v_add_f64 v[6:7], v[18:19], v[6:7]
	v_add_f64 v[8:9], v[14:15], v[8:9]
	s_waitcnt vmcnt(4)
	v_fma_f64 v[2:3], v[2:3], v[55:56], -v[22:23]
	v_fma_f64 v[4:5], v[4:5], v[55:56], v[20:21]
	v_add_f64 v[6:7], v[6:7], v[10:11]
	v_add_f64 v[8:9], v[8:9], v[12:13]
	v_add_f64 v[2:3], v[6:7], v[2:3]
	v_add_f64 v[4:5], v[8:9], v[4:5]
	s_waitcnt vmcnt(2)
	v_add_f64 v[2:3], v[49:50], -v[2:3]
	s_waitcnt vmcnt(0)
	v_add_f64 v[4:5], v[53:54], -v[4:5]
	buffer_store_dword v3, off, s[0:3], 0 offset:244
	buffer_store_dword v2, off, s[0:3], 0 offset:240
	buffer_store_dword v5, off, s[0:3], 0 offset:252
	buffer_store_dword v4, off, s[0:3], 0 offset:248
	v_cmpx_lt_u32_e32 13, v0
	s_cbranch_execz .LBB39_227
; %bb.226:
	v_mov_b32_e32 v5, s39
	s_clause 0x3
	buffer_load_dword v2, v5, s[0:3], 0 offen
	buffer_load_dword v3, v5, s[0:3], 0 offen offset:4
	buffer_load_dword v4, v5, s[0:3], 0 offen offset:8
	;; [unrolled: 1-line block ×3, first 2 shown]
	buffer_store_dword v1, off, s[0:3], 0 offset:224
	buffer_store_dword v1, off, s[0:3], 0 offset:228
	;; [unrolled: 1-line block ×4, first 2 shown]
	s_waitcnt vmcnt(0)
	ds_write_b128 v141, v[2:5]
.LBB39_227:
	s_or_b32 exec_lo, exec_lo, s4
	s_waitcnt lgkmcnt(0)
	s_waitcnt_vscnt null, 0x0
	s_barrier
	buffer_gl0_inv
	s_clause 0x37
	buffer_load_dword v10, off, s[0:3], 0 offset:248
	buffer_load_dword v11, off, s[0:3], 0 offset:252
	;; [unrolled: 1-line block ×56, first 2 shown]
	ds_read_b128 v[2:5], v1 offset:864
	s_clause 0x2
	buffer_load_dword v149, off, s[0:3], 0 offset:476
	buffer_load_dword v153, off, s[0:3], 0 offset:452
	;; [unrolled: 1-line block ×3, first 2 shown]
	ds_read_b128 v[6:9], v1 offset:880
	s_clause 0x4
	buffer_load_dword v159, off, s[0:3], 0 offset:492
	buffer_load_dword v160, off, s[0:3], 0 offset:504
	;; [unrolled: 1-line block ×5, first 2 shown]
	s_mov_b32 s4, exec_lo
	s_waitcnt vmcnt(62) lgkmcnt(1)
	v_mul_f64 v[154:155], v[4:5], v[10:11]
	v_mul_f64 v[156:157], v[2:3], v[10:11]
	s_waitcnt vmcnt(60) lgkmcnt(0)
	v_mul_f64 v[163:164], v[8:9], v[14:15]
	ds_read_b128 v[10:13], v1 offset:896
	v_mul_f64 v[14:15], v[6:7], v[14:15]
	s_waitcnt vmcnt(58)
	v_fma_f64 v[154:155], v[2:3], v[16:17], -v[154:155]
	v_fma_f64 v[16:17], v[4:5], v[16:17], v[156:157]
	s_clause 0x2
	buffer_load_dword v161, off, s[0:3], 0 offset:508
	buffer_load_dword v157, off, s[0:3], 0 offset:484
	;; [unrolled: 1-line block ×3, first 2 shown]
	s_waitcnt vmcnt(59) lgkmcnt(0)
	v_mul_f64 v[165:166], v[10:11], v[18:19]
	v_mul_f64 v[18:19], v[12:13], v[18:19]
	s_waitcnt vmcnt(57)
	v_fma_f64 v[167:168], v[6:7], v[20:21], -v[163:164]
	ds_read_b128 v[2:5], v1 offset:912
	v_fma_f64 v[14:15], v[8:9], v[20:21], v[14:15]
	s_clause 0x4
	buffer_load_dword v21, off, s[0:3], 0 offset:524
	buffer_load_dword v164, off, s[0:3], 0 offset:536
	;; [unrolled: 1-line block ×5, first 2 shown]
	ds_read_b128 v[6:9], v1 offset:928
	v_add_f64 v[154:155], v[154:155], 0
	v_add_f64 v[16:17], v[16:17], 0
	s_waitcnt vmcnt(58) lgkmcnt(1)
	v_mul_f64 v[170:171], v[2:3], v[22:23]
	v_mul_f64 v[22:23], v[4:5], v[22:23]
	s_waitcnt vmcnt(56)
	v_fma_f64 v[18:19], v[10:11], v[35:36], -v[18:19]
	v_fma_f64 v[35:36], v[12:13], v[35:36], v[165:166]
	v_add_f64 v[154:155], v[154:155], v[167:168]
	v_add_f64 v[14:15], v[16:17], v[14:15]
	s_clause 0x2
	buffer_load_dword v165, off, s[0:3], 0 offset:540
	buffer_load_dword v17, off, s[0:3], 0 offset:516
	;; [unrolled: 1-line block ×3, first 2 shown]
	s_waitcnt vmcnt(58) lgkmcnt(0)
	v_mul_f64 v[166:167], v[6:7], v[31:32]
	v_mul_f64 v[31:32], v[8:9], v[31:32]
	s_waitcnt vmcnt(56)
	v_fma_f64 v[22:23], v[2:3], v[37:38], -v[22:23]
	ds_read_b128 v[10:13], v1 offset:944
	v_fma_f64 v[37:38], v[4:5], v[37:38], v[170:171]
	v_add_f64 v[18:19], v[154:155], v[18:19]
	v_add_f64 v[14:15], v[14:15], v[35:36]
	s_clause 0x4
	buffer_load_dword v36, off, s[0:3], 0 offset:556
	buffer_load_dword v154, off, s[0:3], 0 offset:568
	;; [unrolled: 1-line block ×5, first 2 shown]
	ds_read_b128 v[2:5], v1 offset:960
	s_waitcnt vmcnt(57) lgkmcnt(1)
	v_mul_f64 v[172:173], v[10:11], v[39:40]
	v_mul_f64 v[39:40], v[12:13], v[39:40]
	s_waitcnt vmcnt(56)
	v_fma_f64 v[31:32], v[6:7], v[33:34], -v[31:32]
	v_add_f64 v[18:19], v[18:19], v[22:23]
	v_fma_f64 v[22:23], v[8:9], v[33:34], v[166:167]
	v_add_f64 v[14:15], v[14:15], v[37:38]
	s_clause 0x2
	buffer_load_dword v155, off, s[0:3], 0 offset:572
	buffer_load_dword v34, off, s[0:3], 0 offset:548
	buffer_load_dword v33, off, s[0:3], 0 offset:544
	s_waitcnt vmcnt(58) lgkmcnt(0)
	v_mul_f64 v[37:38], v[2:3], v[41:42]
	v_mul_f64 v[41:42], v[4:5], v[41:42]
	s_waitcnt vmcnt(56)
	v_fma_f64 v[39:40], v[10:11], v[47:48], -v[39:40]
	ds_read_b128 v[6:9], v1 offset:976
	v_add_f64 v[18:19], v[18:19], v[31:32]
	v_fma_f64 v[31:32], v[12:13], v[47:48], v[172:173]
	v_add_f64 v[14:15], v[14:15], v[22:23]
	s_clause 0x4
	buffer_load_dword v23, off, s[0:3], 0 offset:588
	buffer_load_dword v47, off, s[0:3], 0 offset:600
	;; [unrolled: 1-line block ×5, first 2 shown]
	ds_read_b128 v[10:13], v1 offset:992
	s_waitcnt vmcnt(57) lgkmcnt(1)
	v_mul_f64 v[167:168], v[6:7], v[49:50]
	v_mul_f64 v[49:50], v[8:9], v[49:50]
	s_waitcnt vmcnt(56)
	v_fma_f64 v[41:42], v[2:3], v[43:44], -v[41:42]
	v_fma_f64 v[37:38], v[4:5], v[43:44], v[37:38]
	v_add_f64 v[18:19], v[18:19], v[39:40]
	v_add_f64 v[14:15], v[14:15], v[31:32]
	s_clause 0x2
	buffer_load_dword v48, off, s[0:3], 0 offset:604
	buffer_load_dword v32, off, s[0:3], 0 offset:580
	;; [unrolled: 1-line block ×3, first 2 shown]
	s_waitcnt vmcnt(58) lgkmcnt(0)
	v_mul_f64 v[43:44], v[12:13], v[51:52]
	ds_read_b128 v[2:5], v1 offset:1008
	s_waitcnt vmcnt(56)
	v_fma_f64 v[49:50], v[6:7], v[55:56], -v[49:50]
	v_mul_f64 v[39:40], v[10:11], v[51:52]
	v_add_f64 v[18:19], v[18:19], v[41:42]
	v_fma_f64 v[41:42], v[8:9], v[55:56], v[167:168]
	v_add_f64 v[14:15], v[14:15], v[37:38]
	s_clause 0x4
	buffer_load_dword v38, off, s[0:3], 0 offset:620
	buffer_load_dword v51, off, s[0:3], 0 offset:632
	buffer_load_dword v55, off, s[0:3], 0 offset:624
	buffer_load_dword v37, off, s[0:3], 0 offset:616
	buffer_load_dword v167, off, s[0:3], 0 offset:596
	s_waitcnt vmcnt(57) lgkmcnt(0)
	v_mul_f64 v[173:174], v[2:3], v[57:58]
	v_mul_f64 v[56:57], v[4:5], v[57:58]
	s_waitcnt vmcnt(56)
	v_fma_f64 v[43:44], v[10:11], v[53:54], -v[43:44]
	ds_read_b128 v[6:9], v1 offset:1024
	v_fma_f64 v[39:40], v[12:13], v[53:54], v[39:40]
	v_add_f64 v[18:19], v[18:19], v[49:50]
	v_add_f64 v[14:15], v[14:15], v[41:42]
	s_clause 0x2
	buffer_load_dword v52, off, s[0:3], 0 offset:636
	buffer_load_dword v42, off, s[0:3], 0 offset:612
	;; [unrolled: 1-line block ×3, first 2 shown]
	ds_read_b128 v[10:13], v1 offset:1040
	s_waitcnt vmcnt(58) lgkmcnt(1)
	v_mul_f64 v[53:54], v[8:9], v[59:60]
	s_waitcnt vmcnt(56)
	v_fma_f64 v[57:58], v[2:3], v[63:64], -v[56:57]
	v_mul_f64 v[49:50], v[6:7], v[59:60]
	v_add_f64 v[18:19], v[18:19], v[43:44]
	v_fma_f64 v[43:44], v[4:5], v[63:64], v[173:174]
	v_add_f64 v[14:15], v[14:15], v[39:40]
	s_clause 0x2
	buffer_load_dword v40, off, s[0:3], 0 offset:652
	buffer_load_dword v39, off, s[0:3], 0 offset:648
	;; [unrolled: 1-line block ×3, first 2 shown]
	s_waitcnt vmcnt(55) lgkmcnt(0)
	v_mul_f64 v[63:64], v[12:13], v[137:138]
	s_waitcnt vmcnt(54)
	v_fma_f64 v[53:54], v[6:7], v[61:62], -v[53:54]
	ds_read_b128 v[2:5], v1 offset:1056
	v_mul_f64 v[59:60], v[10:11], v[137:138]
	v_fma_f64 v[49:50], v[8:9], v[61:62], v[49:50]
	v_add_f64 v[18:19], v[18:19], v[57:58]
	v_add_f64 v[14:15], v[14:15], v[43:44]
	s_clause 0x1
	buffer_load_dword v44, off, s[0:3], 0 offset:644
	buffer_load_dword v43, off, s[0:3], 0 offset:640
	s_waitcnt vmcnt(55) lgkmcnt(0)
	v_mul_f64 v[61:62], v[4:5], v[139:140]
	s_waitcnt vmcnt(53)
	v_fma_f64 v[63:64], v[10:11], v[144:145], -v[63:64]
	ds_read_b128 v[6:9], v1 offset:1072
	v_mul_f64 v[57:58], v[2:3], v[139:140]
	v_add_f64 v[18:19], v[18:19], v[53:54]
	v_fma_f64 v[53:54], v[12:13], v[144:145], v[59:60]
	v_add_f64 v[14:15], v[14:15], v[49:50]
	ds_read_b128 v[10:13], v1 offset:1088
	s_waitcnt vmcnt(49) lgkmcnt(1)
	v_mul_f64 v[59:60], v[8:9], v[146:147]
	s_waitcnt vmcnt(48)
	v_fma_f64 v[61:62], v[2:3], v[142:143], -v[61:62]
	v_mul_f64 v[49:50], v[6:7], v[146:147]
	v_fma_f64 v[57:58], v[4:5], v[142:143], v[57:58]
	v_add_f64 v[18:19], v[18:19], v[63:64]
	s_waitcnt vmcnt(47) lgkmcnt(0)
	v_mul_f64 v[139:140], v[12:13], v[148:149]
	v_add_f64 v[14:15], v[14:15], v[53:54]
	s_clause 0x3
	buffer_load_dword v53, off, s[0:3], 0 offset:224
	buffer_load_dword v54, off, s[0:3], 0 offset:228
	;; [unrolled: 1-line block ×4, first 2 shown]
	s_waitcnt vmcnt(49)
	v_fma_f64 v[59:60], v[6:7], v[152:153], -v[59:60]
	ds_read_b128 v[2:5], v1 offset:1104
	v_mul_f64 v[137:138], v[10:11], v[148:149]
	v_fma_f64 v[49:50], v[8:9], v[152:153], v[49:50]
	ds_read_b128 v[6:9], v1 offset:1120
	v_add_f64 v[18:19], v[18:19], v[61:62]
	s_waitcnt vmcnt(44)
	v_fma_f64 v[139:140], v[10:11], v[150:151], -v[139:140]
	v_add_f64 v[14:15], v[14:15], v[57:58]
	s_waitcnt lgkmcnt(1)
	v_mul_f64 v[61:62], v[4:5], v[158:159]
	v_mul_f64 v[57:58], v[2:3], v[158:159]
	v_add_f64 v[18:19], v[18:19], v[59:60]
	v_fma_f64 v[59:60], v[12:13], v[150:151], v[137:138]
	v_add_f64 v[14:15], v[14:15], v[49:50]
	ds_read_b128 v[10:13], v1 offset:1136
	s_waitcnt vmcnt(43) lgkmcnt(1)
	v_mul_f64 v[137:138], v[8:9], v[160:161]
	v_mul_f64 v[49:50], v[6:7], v[160:161]
	s_waitcnt vmcnt(41)
	v_fma_f64 v[61:62], v[2:3], v[156:157], -v[61:62]
	v_fma_f64 v[57:58], v[4:5], v[156:157], v[57:58]
	ds_read_b128 v[2:5], v1 offset:1152
	v_add_f64 v[18:19], v[18:19], v[139:140]
	v_add_f64 v[14:15], v[14:15], v[59:60]
	s_waitcnt vmcnt(37) lgkmcnt(1)
	v_mul_f64 v[59:60], v[10:11], v[20:21]
	v_mul_f64 v[20:21], v[12:13], v[20:21]
	s_waitcnt vmcnt(36)
	v_fma_f64 v[137:138], v[6:7], v[162:163], -v[137:138]
	v_fma_f64 v[49:50], v[8:9], v[162:163], v[49:50]
	ds_read_b128 v[6:9], v1 offset:1168
	v_add_f64 v[18:19], v[18:19], v[61:62]
	v_add_f64 v[14:15], v[14:15], v[57:58]
	s_waitcnt vmcnt(35) lgkmcnt(1)
	v_mul_f64 v[61:62], v[4:5], v[164:165]
	v_mul_f64 v[57:58], v[2:3], v[164:165]
	s_waitcnt vmcnt(33)
	v_fma_f64 v[20:21], v[10:11], v[16:17], -v[20:21]
	v_fma_f64 v[16:17], v[12:13], v[16:17], v[59:60]
	ds_read_b128 v[10:13], v1 offset:1184
	v_add_f64 v[18:19], v[18:19], v[137:138]
	v_add_f64 v[14:15], v[14:15], v[49:50]
	s_waitcnt vmcnt(29) lgkmcnt(1)
	v_mul_f64 v[49:50], v[6:7], v[35:36]
	v_mul_f64 v[35:36], v[8:9], v[35:36]
	s_waitcnt vmcnt(28)
	v_fma_f64 v[59:60], v[2:3], v[169:170], -v[61:62]
	v_add_f64 v[18:19], v[18:19], v[20:21]
	v_fma_f64 v[20:21], v[4:5], v[169:170], v[57:58]
	v_add_f64 v[14:15], v[14:15], v[16:17]
	ds_read_b128 v[2:5], v1 offset:1200
	s_waitcnt vmcnt(27) lgkmcnt(1)
	v_mul_f64 v[57:58], v[12:13], v[154:155]
	v_mul_f64 v[16:17], v[10:11], v[154:155]
	s_waitcnt vmcnt(25)
	v_fma_f64 v[35:36], v[6:7], v[33:34], -v[35:36]
	v_fma_f64 v[33:34], v[8:9], v[33:34], v[49:50]
	ds_read_b128 v[6:9], v1 offset:1216
	v_add_f64 v[18:19], v[18:19], v[59:60]
	v_add_f64 v[14:15], v[14:15], v[20:21]
	s_waitcnt vmcnt(21) lgkmcnt(1)
	v_mul_f64 v[20:21], v[2:3], v[22:23]
	v_mul_f64 v[22:23], v[4:5], v[22:23]
	s_waitcnt vmcnt(20)
	v_fma_f64 v[49:50], v[10:11], v[171:172], -v[57:58]
	v_fma_f64 v[16:17], v[12:13], v[171:172], v[16:17]
	ds_read_b128 v[10:13], v1 offset:1232
	v_add_f64 v[18:19], v[18:19], v[35:36]
	v_add_f64 v[14:15], v[14:15], v[33:34]
	;; [unrolled: 9-line block ×3, first 2 shown]
	s_waitcnt vmcnt(13) lgkmcnt(1)
	v_mul_f64 v[31:32], v[12:13], v[37:38]
	s_waitcnt vmcnt(12)
	v_fma_f64 v[35:36], v[6:7], v[166:167], -v[35:36]
	v_mul_f64 v[16:17], v[10:11], v[37:38]
	v_add_f64 v[18:19], v[18:19], v[22:23]
	v_fma_f64 v[22:23], v[8:9], v[166:167], v[33:34]
	v_add_f64 v[14:15], v[14:15], v[20:21]
	ds_read_b128 v[6:9], v1 offset:1264
	s_waitcnt vmcnt(11) lgkmcnt(1)
	v_mul_f64 v[33:34], v[4:5], v[51:52]
	v_mul_f64 v[20:21], v[2:3], v[51:52]
	s_waitcnt vmcnt(9)
	v_fma_f64 v[10:11], v[10:11], v[41:42], -v[31:32]
	v_fma_f64 v[12:13], v[12:13], v[41:42], v[16:17]
	v_add_f64 v[18:19], v[18:19], v[35:36]
	v_add_f64 v[14:15], v[14:15], v[22:23]
	s_waitcnt vmcnt(7) lgkmcnt(0)
	v_mul_f64 v[22:23], v[8:9], v[39:40]
	s_waitcnt vmcnt(6)
	v_fma_f64 v[1:2], v[2:3], v[55:56], -v[33:34]
	v_mul_f64 v[16:17], v[6:7], v[39:40]
	v_fma_f64 v[3:4], v[4:5], v[55:56], v[20:21]
	v_add_f64 v[10:11], v[18:19], v[10:11]
	v_add_f64 v[12:13], v[14:15], v[12:13]
	s_waitcnt vmcnt(4)
	v_fma_f64 v[5:6], v[6:7], v[43:44], -v[22:23]
	v_fma_f64 v[7:8], v[8:9], v[43:44], v[16:17]
	v_add_f64 v[1:2], v[10:11], v[1:2]
	v_add_f64 v[3:4], v[12:13], v[3:4]
	;; [unrolled: 1-line block ×4, first 2 shown]
	s_waitcnt vmcnt(2)
	v_add_f64 v[1:2], v[53:54], -v[1:2]
	s_waitcnt vmcnt(0)
	v_add_f64 v[3:4], v[63:64], -v[3:4]
	buffer_store_dword v2, off, s[0:3], 0 offset:228
	buffer_store_dword v1, off, s[0:3], 0 offset:224
	;; [unrolled: 1-line block ×4, first 2 shown]
	v_cmpx_lt_u32_e32 12, v0
	s_cbranch_execz .LBB39_229
; %bb.228:
	v_mov_b32_e32 v4, s40
	v_mov_b32_e32 v5, 0
	s_clause 0x3
	buffer_load_dword v1, v4, s[0:3], 0 offen
	buffer_load_dword v2, v4, s[0:3], 0 offen offset:4
	buffer_load_dword v3, v4, s[0:3], 0 offen offset:8
	buffer_load_dword v4, v4, s[0:3], 0 offen offset:12
	buffer_store_dword v5, off, s[0:3], 0 offset:208
	buffer_store_dword v5, off, s[0:3], 0 offset:212
	;; [unrolled: 1-line block ×4, first 2 shown]
	s_waitcnt vmcnt(0)
	ds_write_b128 v141, v[1:4]
.LBB39_229:
	s_or_b32 exec_lo, exec_lo, s4
	s_waitcnt lgkmcnt(0)
	s_waitcnt_vscnt null, 0x0
	s_barrier
	buffer_gl0_inv
	s_clause 0x37
	buffer_load_dword v10, off, s[0:3], 0 offset:232
	buffer_load_dword v11, off, s[0:3], 0 offset:236
	buffer_load_dword v14, off, s[0:3], 0 offset:248
	buffer_load_dword v15, off, s[0:3], 0 offset:252
	buffer_load_dword v16, off, s[0:3], 0 offset:224
	buffer_load_dword v17, off, s[0:3], 0 offset:228
	buffer_load_dword v18, off, s[0:3], 0 offset:264
	buffer_load_dword v19, off, s[0:3], 0 offset:268
	buffer_load_dword v20, off, s[0:3], 0 offset:240
	buffer_load_dword v21, off, s[0:3], 0 offset:244
	buffer_load_dword v23, off, s[0:3], 0 offset:284
	buffer_load_dword v31, off, s[0:3], 0 offset:296
	buffer_load_dword v33, off, s[0:3], 0 offset:288
	buffer_load_dword v22, off, s[0:3], 0 offset:280
	buffer_load_dword v35, off, s[0:3], 0 offset:256
	buffer_load_dword v36, off, s[0:3], 0 offset:260
	buffer_load_dword v32, off, s[0:3], 0 offset:300
	buffer_load_dword v38, off, s[0:3], 0 offset:276
	buffer_load_dword v37, off, s[0:3], 0 offset:272
	buffer_load_dword v40, off, s[0:3], 0 offset:316
	buffer_load_dword v41, off, s[0:3], 0 offset:328
	buffer_load_dword v43, off, s[0:3], 0 offset:320
	buffer_load_dword v39, off, s[0:3], 0 offset:312
	buffer_load_dword v34, off, s[0:3], 0 offset:292
	buffer_load_dword v42, off, s[0:3], 0 offset:332
	buffer_load_dword v48, off, s[0:3], 0 offset:308
	buffer_load_dword v47, off, s[0:3], 0 offset:304
	buffer_load_dword v50, off, s[0:3], 0 offset:348
	buffer_load_dword v51, off, s[0:3], 0 offset:360
	buffer_load_dword v53, off, s[0:3], 0 offset:352
	buffer_load_dword v49, off, s[0:3], 0 offset:344
	buffer_load_dword v44, off, s[0:3], 0 offset:324
	buffer_load_dword v52, off, s[0:3], 0 offset:364
	buffer_load_dword v56, off, s[0:3], 0 offset:340
	buffer_load_dword v55, off, s[0:3], 0 offset:336
	buffer_load_dword v58, off, s[0:3], 0 offset:380
	buffer_load_dword v59, off, s[0:3], 0 offset:392
	buffer_load_dword v61, off, s[0:3], 0 offset:384
	buffer_load_dword v57, off, s[0:3], 0 offset:376
	buffer_load_dword v54, off, s[0:3], 0 offset:356
	buffer_load_dword v60, off, s[0:3], 0 offset:396
	buffer_load_dword v64, off, s[0:3], 0 offset:372
	buffer_load_dword v63, off, s[0:3], 0 offset:368
	buffer_load_dword v138, off, s[0:3], 0 offset:412
	buffer_load_dword v139, off, s[0:3], 0 offset:424
	buffer_load_dword v142, off, s[0:3], 0 offset:416
	buffer_load_dword v137, off, s[0:3], 0 offset:408
	buffer_load_dword v62, off, s[0:3], 0 offset:388
	buffer_load_dword v140, off, s[0:3], 0 offset:428
	buffer_load_dword v145, off, s[0:3], 0 offset:404
	buffer_load_dword v144, off, s[0:3], 0 offset:400
	buffer_load_dword v147, off, s[0:3], 0 offset:444
	buffer_load_dword v148, off, s[0:3], 0 offset:456
	buffer_load_dword v150, off, s[0:3], 0 offset:448
	buffer_load_dword v146, off, s[0:3], 0 offset:440
	buffer_load_dword v143, off, s[0:3], 0 offset:420
	v_mov_b32_e32 v1, 0
	s_mov_b32 s4, exec_lo
	ds_read_b128 v[2:5], v1 offset:848
	s_clause 0x2
	buffer_load_dword v149, off, s[0:3], 0 offset:460
	buffer_load_dword v153, off, s[0:3], 0 offset:436
	;; [unrolled: 1-line block ×3, first 2 shown]
	ds_read_b128 v[6:9], v1 offset:864
	s_clause 0x4
	buffer_load_dword v159, off, s[0:3], 0 offset:476
	buffer_load_dword v160, off, s[0:3], 0 offset:488
	;; [unrolled: 1-line block ×5, first 2 shown]
	s_waitcnt vmcnt(62) lgkmcnt(1)
	v_mul_f64 v[154:155], v[4:5], v[10:11]
	v_mul_f64 v[156:157], v[2:3], v[10:11]
	s_waitcnt vmcnt(60) lgkmcnt(0)
	v_mul_f64 v[163:164], v[8:9], v[14:15]
	ds_read_b128 v[10:13], v1 offset:880
	v_mul_f64 v[14:15], v[6:7], v[14:15]
	s_waitcnt vmcnt(58)
	v_fma_f64 v[154:155], v[2:3], v[16:17], -v[154:155]
	v_fma_f64 v[16:17], v[4:5], v[16:17], v[156:157]
	s_clause 0x2
	buffer_load_dword v161, off, s[0:3], 0 offset:492
	buffer_load_dword v157, off, s[0:3], 0 offset:468
	;; [unrolled: 1-line block ×3, first 2 shown]
	s_waitcnt vmcnt(59) lgkmcnt(0)
	v_mul_f64 v[165:166], v[10:11], v[18:19]
	v_mul_f64 v[18:19], v[12:13], v[18:19]
	s_waitcnt vmcnt(57)
	v_fma_f64 v[167:168], v[6:7], v[20:21], -v[163:164]
	ds_read_b128 v[2:5], v1 offset:896
	v_fma_f64 v[14:15], v[8:9], v[20:21], v[14:15]
	s_clause 0x4
	buffer_load_dword v21, off, s[0:3], 0 offset:508
	buffer_load_dword v164, off, s[0:3], 0 offset:520
	;; [unrolled: 1-line block ×5, first 2 shown]
	ds_read_b128 v[6:9], v1 offset:912
	v_add_f64 v[154:155], v[154:155], 0
	v_add_f64 v[16:17], v[16:17], 0
	s_waitcnt vmcnt(58) lgkmcnt(1)
	v_mul_f64 v[170:171], v[2:3], v[22:23]
	v_mul_f64 v[22:23], v[4:5], v[22:23]
	s_waitcnt vmcnt(56)
	v_fma_f64 v[18:19], v[10:11], v[35:36], -v[18:19]
	v_fma_f64 v[35:36], v[12:13], v[35:36], v[165:166]
	v_add_f64 v[154:155], v[154:155], v[167:168]
	v_add_f64 v[14:15], v[16:17], v[14:15]
	s_clause 0x2
	buffer_load_dword v165, off, s[0:3], 0 offset:524
	buffer_load_dword v17, off, s[0:3], 0 offset:500
	;; [unrolled: 1-line block ×3, first 2 shown]
	s_waitcnt vmcnt(58) lgkmcnt(0)
	v_mul_f64 v[166:167], v[6:7], v[31:32]
	v_mul_f64 v[31:32], v[8:9], v[31:32]
	s_waitcnt vmcnt(56)
	v_fma_f64 v[22:23], v[2:3], v[37:38], -v[22:23]
	ds_read_b128 v[10:13], v1 offset:928
	v_fma_f64 v[37:38], v[4:5], v[37:38], v[170:171]
	v_add_f64 v[18:19], v[154:155], v[18:19]
	v_add_f64 v[14:15], v[14:15], v[35:36]
	s_clause 0x4
	buffer_load_dword v36, off, s[0:3], 0 offset:540
	buffer_load_dword v154, off, s[0:3], 0 offset:552
	;; [unrolled: 1-line block ×5, first 2 shown]
	ds_read_b128 v[2:5], v1 offset:944
	s_waitcnt vmcnt(57) lgkmcnt(1)
	v_mul_f64 v[172:173], v[10:11], v[39:40]
	v_mul_f64 v[39:40], v[12:13], v[39:40]
	s_waitcnt vmcnt(56)
	v_fma_f64 v[31:32], v[6:7], v[33:34], -v[31:32]
	v_add_f64 v[18:19], v[18:19], v[22:23]
	v_fma_f64 v[22:23], v[8:9], v[33:34], v[166:167]
	v_add_f64 v[14:15], v[14:15], v[37:38]
	s_clause 0x2
	buffer_load_dword v155, off, s[0:3], 0 offset:556
	buffer_load_dword v34, off, s[0:3], 0 offset:532
	;; [unrolled: 1-line block ×3, first 2 shown]
	s_waitcnt vmcnt(58) lgkmcnt(0)
	v_mul_f64 v[37:38], v[2:3], v[41:42]
	v_mul_f64 v[41:42], v[4:5], v[41:42]
	s_waitcnt vmcnt(56)
	v_fma_f64 v[39:40], v[10:11], v[47:48], -v[39:40]
	ds_read_b128 v[6:9], v1 offset:960
	v_add_f64 v[18:19], v[18:19], v[31:32]
	v_fma_f64 v[31:32], v[12:13], v[47:48], v[172:173]
	v_add_f64 v[14:15], v[14:15], v[22:23]
	s_clause 0x4
	buffer_load_dword v23, off, s[0:3], 0 offset:572
	buffer_load_dword v47, off, s[0:3], 0 offset:584
	;; [unrolled: 1-line block ×5, first 2 shown]
	ds_read_b128 v[10:13], v1 offset:976
	s_waitcnt vmcnt(57) lgkmcnt(1)
	v_mul_f64 v[167:168], v[6:7], v[49:50]
	v_mul_f64 v[49:50], v[8:9], v[49:50]
	s_waitcnt vmcnt(56)
	v_fma_f64 v[41:42], v[2:3], v[43:44], -v[41:42]
	v_fma_f64 v[37:38], v[4:5], v[43:44], v[37:38]
	v_add_f64 v[18:19], v[18:19], v[39:40]
	v_add_f64 v[14:15], v[14:15], v[31:32]
	s_clause 0x2
	buffer_load_dword v48, off, s[0:3], 0 offset:588
	buffer_load_dword v32, off, s[0:3], 0 offset:564
	;; [unrolled: 1-line block ×3, first 2 shown]
	s_waitcnt vmcnt(58) lgkmcnt(0)
	v_mul_f64 v[43:44], v[12:13], v[51:52]
	ds_read_b128 v[2:5], v1 offset:992
	s_waitcnt vmcnt(56)
	v_fma_f64 v[49:50], v[6:7], v[55:56], -v[49:50]
	v_mul_f64 v[39:40], v[10:11], v[51:52]
	v_add_f64 v[18:19], v[18:19], v[41:42]
	v_fma_f64 v[41:42], v[8:9], v[55:56], v[167:168]
	v_add_f64 v[14:15], v[14:15], v[37:38]
	s_clause 0x4
	buffer_load_dword v38, off, s[0:3], 0 offset:604
	buffer_load_dword v51, off, s[0:3], 0 offset:616
	;; [unrolled: 1-line block ×5, first 2 shown]
	s_waitcnt vmcnt(57) lgkmcnt(0)
	v_mul_f64 v[173:174], v[2:3], v[57:58]
	v_mul_f64 v[56:57], v[4:5], v[57:58]
	s_waitcnt vmcnt(56)
	v_fma_f64 v[43:44], v[10:11], v[53:54], -v[43:44]
	ds_read_b128 v[6:9], v1 offset:1008
	v_fma_f64 v[39:40], v[12:13], v[53:54], v[39:40]
	v_add_f64 v[18:19], v[18:19], v[49:50]
	v_add_f64 v[14:15], v[14:15], v[41:42]
	s_clause 0x2
	buffer_load_dword v52, off, s[0:3], 0 offset:620
	buffer_load_dword v42, off, s[0:3], 0 offset:596
	;; [unrolled: 1-line block ×3, first 2 shown]
	ds_read_b128 v[10:13], v1 offset:1024
	s_waitcnt vmcnt(58) lgkmcnt(1)
	v_mul_f64 v[53:54], v[8:9], v[59:60]
	s_waitcnt vmcnt(56)
	v_fma_f64 v[57:58], v[2:3], v[63:64], -v[56:57]
	v_mul_f64 v[49:50], v[6:7], v[59:60]
	v_add_f64 v[18:19], v[18:19], v[43:44]
	v_fma_f64 v[43:44], v[4:5], v[63:64], v[173:174]
	v_add_f64 v[14:15], v[14:15], v[39:40]
	s_clause 0x4
	buffer_load_dword v40, off, s[0:3], 0 offset:636
	buffer_load_dword v59, off, s[0:3], 0 offset:648
	;; [unrolled: 1-line block ×5, first 2 shown]
	s_waitcnt vmcnt(57) lgkmcnt(0)
	v_mul_f64 v[173:174], v[10:11], v[137:138]
	v_mul_f64 v[137:138], v[12:13], v[137:138]
	s_waitcnt vmcnt(56)
	v_fma_f64 v[53:54], v[6:7], v[61:62], -v[53:54]
	ds_read_b128 v[2:5], v1 offset:1040
	v_fma_f64 v[49:50], v[8:9], v[61:62], v[49:50]
	v_add_f64 v[18:19], v[18:19], v[57:58]
	v_add_f64 v[14:15], v[14:15], v[43:44]
	s_clause 0x2
	buffer_load_dword v60, off, s[0:3], 0 offset:652
	buffer_load_dword v44, off, s[0:3], 0 offset:628
	;; [unrolled: 1-line block ×3, first 2 shown]
	ds_read_b128 v[6:9], v1 offset:1056
	s_waitcnt vmcnt(58) lgkmcnt(1)
	v_mul_f64 v[61:62], v[4:5], v[139:140]
	s_waitcnt vmcnt(56)
	v_fma_f64 v[137:138], v[10:11], v[144:145], -v[137:138]
	v_mul_f64 v[57:58], v[2:3], v[139:140]
	buffer_load_dword v64, off, s[0:3], 0 offset:644
	v_add_f64 v[18:19], v[18:19], v[53:54]
	v_fma_f64 v[53:54], v[12:13], v[144:145], v[173:174]
	v_add_f64 v[14:15], v[14:15], v[49:50]
	ds_read_b128 v[10:13], v1 offset:1072
	s_waitcnt vmcnt(53) lgkmcnt(1)
	v_mul_f64 v[139:140], v[8:9], v[146:147]
	s_waitcnt vmcnt(52)
	v_fma_f64 v[61:62], v[2:3], v[142:143], -v[61:62]
	v_mul_f64 v[49:50], v[6:7], v[146:147]
	v_fma_f64 v[57:58], v[4:5], v[142:143], v[57:58]
	ds_read_b128 v[2:5], v1 offset:1088
	v_add_f64 v[18:19], v[18:19], v[137:138]
	s_waitcnt vmcnt(51) lgkmcnt(1)
	v_mul_f64 v[137:138], v[12:13], v[148:149]
	v_add_f64 v[14:15], v[14:15], v[53:54]
	v_mul_f64 v[53:54], v[10:11], v[148:149]
	s_waitcnt vmcnt(49)
	v_fma_f64 v[139:140], v[6:7], v[152:153], -v[139:140]
	v_fma_f64 v[49:50], v[8:9], v[152:153], v[49:50]
	s_waitcnt vmcnt(45) lgkmcnt(0)
	v_mul_f64 v[144:145], v[4:5], v[158:159]
	v_mul_f64 v[142:143], v[2:3], v[158:159]
	v_add_f64 v[18:19], v[18:19], v[61:62]
	s_waitcnt vmcnt(44)
	v_fma_f64 v[137:138], v[10:11], v[150:151], -v[137:138]
	v_add_f64 v[14:15], v[14:15], v[57:58]
	s_clause 0x3
	buffer_load_dword v57, off, s[0:3], 0 offset:208
	buffer_load_dword v58, off, s[0:3], 0 offset:212
	;; [unrolled: 1-line block ×4, first 2 shown]
	ds_read_b128 v[6:9], v1 offset:1104
	v_fma_f64 v[53:54], v[12:13], v[150:151], v[53:54]
	ds_read_b128 v[10:13], v1 offset:1120
	v_add_f64 v[18:19], v[18:19], v[139:140]
	v_add_f64 v[14:15], v[14:15], v[49:50]
	s_waitcnt vmcnt(47) lgkmcnt(1)
	v_mul_f64 v[139:140], v[8:9], v[160:161]
	v_mul_f64 v[49:50], v[6:7], v[160:161]
	s_waitcnt vmcnt(45)
	v_fma_f64 v[144:145], v[2:3], v[156:157], -v[144:145]
	v_add_f64 v[18:19], v[18:19], v[137:138]
	v_fma_f64 v[137:138], v[4:5], v[156:157], v[142:143]
	v_add_f64 v[14:15], v[14:15], v[53:54]
	s_waitcnt vmcnt(41) lgkmcnt(0)
	v_mul_f64 v[53:54], v[10:11], v[20:21]
	v_mul_f64 v[20:21], v[12:13], v[20:21]
	ds_read_b128 v[2:5], v1 offset:1136
	s_waitcnt vmcnt(40)
	v_fma_f64 v[139:140], v[6:7], v[162:163], -v[139:140]
	v_fma_f64 v[49:50], v[8:9], v[162:163], v[49:50]
	ds_read_b128 v[6:9], v1 offset:1152
	v_add_f64 v[18:19], v[18:19], v[144:145]
	v_add_f64 v[14:15], v[14:15], v[137:138]
	s_waitcnt vmcnt(39) lgkmcnt(1)
	v_mul_f64 v[142:143], v[4:5], v[164:165]
	v_mul_f64 v[137:138], v[2:3], v[164:165]
	s_waitcnt vmcnt(37)
	v_fma_f64 v[20:21], v[10:11], v[16:17], -v[20:21]
	v_fma_f64 v[16:17], v[12:13], v[16:17], v[53:54]
	ds_read_b128 v[10:13], v1 offset:1168
	v_add_f64 v[18:19], v[18:19], v[139:140]
	v_add_f64 v[14:15], v[14:15], v[49:50]
	s_waitcnt vmcnt(33) lgkmcnt(1)
	v_mul_f64 v[49:50], v[6:7], v[35:36]
	v_mul_f64 v[35:36], v[8:9], v[35:36]
	s_waitcnt vmcnt(32)
	v_fma_f64 v[53:54], v[2:3], v[169:170], -v[142:143]
	v_add_f64 v[18:19], v[18:19], v[20:21]
	v_fma_f64 v[20:21], v[4:5], v[169:170], v[137:138]
	v_add_f64 v[14:15], v[14:15], v[16:17]
	ds_read_b128 v[2:5], v1 offset:1184
	s_waitcnt vmcnt(31) lgkmcnt(1)
	v_mul_f64 v[137:138], v[12:13], v[154:155]
	v_mul_f64 v[16:17], v[10:11], v[154:155]
	s_waitcnt vmcnt(29)
	v_fma_f64 v[35:36], v[6:7], v[33:34], -v[35:36]
	v_fma_f64 v[33:34], v[8:9], v[33:34], v[49:50]
	ds_read_b128 v[6:9], v1 offset:1200
	v_add_f64 v[18:19], v[18:19], v[53:54]
	v_add_f64 v[14:15], v[14:15], v[20:21]
	s_waitcnt vmcnt(25) lgkmcnt(1)
	v_mul_f64 v[20:21], v[2:3], v[22:23]
	v_mul_f64 v[22:23], v[4:5], v[22:23]
	s_waitcnt vmcnt(24)
	v_fma_f64 v[49:50], v[10:11], v[171:172], -v[137:138]
	v_fma_f64 v[16:17], v[12:13], v[171:172], v[16:17]
	ds_read_b128 v[10:13], v1 offset:1216
	v_add_f64 v[18:19], v[18:19], v[35:36]
	v_add_f64 v[14:15], v[14:15], v[33:34]
	;; [unrolled: 9-line block ×3, first 2 shown]
	s_waitcnt vmcnt(17) lgkmcnt(1)
	v_mul_f64 v[31:32], v[12:13], v[37:38]
	s_waitcnt vmcnt(16)
	v_fma_f64 v[35:36], v[6:7], v[166:167], -v[35:36]
	v_mul_f64 v[16:17], v[10:11], v[37:38]
	v_add_f64 v[18:19], v[18:19], v[22:23]
	v_fma_f64 v[22:23], v[8:9], v[166:167], v[33:34]
	v_add_f64 v[14:15], v[14:15], v[20:21]
	ds_read_b128 v[6:9], v1 offset:1248
	s_waitcnt vmcnt(15) lgkmcnt(1)
	v_mul_f64 v[33:34], v[4:5], v[51:52]
	v_mul_f64 v[20:21], v[2:3], v[51:52]
	s_waitcnt vmcnt(13)
	v_fma_f64 v[31:32], v[10:11], v[41:42], -v[31:32]
	v_fma_f64 v[16:17], v[12:13], v[41:42], v[16:17]
	ds_read_b128 v[10:13], v1 offset:1264
	v_add_f64 v[18:19], v[18:19], v[35:36]
	v_add_f64 v[14:15], v[14:15], v[22:23]
	s_waitcnt vmcnt(9) lgkmcnt(1)
	v_mul_f64 v[35:36], v[8:9], v[39:40]
	s_waitcnt vmcnt(8)
	v_fma_f64 v[2:3], v[2:3], v[55:56], -v[33:34]
	v_mul_f64 v[22:23], v[6:7], v[39:40]
	v_fma_f64 v[4:5], v[4:5], v[55:56], v[20:21]
	v_add_f64 v[18:19], v[18:19], v[31:32]
	v_add_f64 v[14:15], v[14:15], v[16:17]
	s_waitcnt vmcnt(7) lgkmcnt(0)
	v_mul_f64 v[20:21], v[12:13], v[59:60]
	v_mul_f64 v[16:17], v[10:11], v[59:60]
	s_waitcnt vmcnt(5)
	v_fma_f64 v[6:7], v[6:7], v[43:44], -v[35:36]
	v_fma_f64 v[8:9], v[8:9], v[43:44], v[22:23]
	v_add_f64 v[2:3], v[18:19], v[2:3]
	v_add_f64 v[4:5], v[14:15], v[4:5]
	s_waitcnt vmcnt(4)
	v_fma_f64 v[10:11], v[10:11], v[63:64], -v[20:21]
	v_add_f64 v[2:3], v[2:3], v[6:7]
	v_fma_f64 v[6:7], v[12:13], v[63:64], v[16:17]
	v_add_f64 v[4:5], v[4:5], v[8:9]
	v_add_f64 v[2:3], v[2:3], v[10:11]
	;; [unrolled: 1-line block ×3, first 2 shown]
	s_waitcnt vmcnt(2)
	v_add_f64 v[2:3], v[57:58], -v[2:3]
	s_waitcnt vmcnt(0)
	v_add_f64 v[4:5], v[61:62], -v[4:5]
	buffer_store_dword v3, off, s[0:3], 0 offset:212
	buffer_store_dword v2, off, s[0:3], 0 offset:208
	;; [unrolled: 1-line block ×4, first 2 shown]
	v_cmpx_lt_u32_e32 11, v0
	s_cbranch_execz .LBB39_231
; %bb.230:
	v_mov_b32_e32 v5, s41
	s_clause 0x3
	buffer_load_dword v2, v5, s[0:3], 0 offen
	buffer_load_dword v3, v5, s[0:3], 0 offen offset:4
	buffer_load_dword v4, v5, s[0:3], 0 offen offset:8
	;; [unrolled: 1-line block ×3, first 2 shown]
	buffer_store_dword v1, off, s[0:3], 0 offset:192
	buffer_store_dword v1, off, s[0:3], 0 offset:196
	;; [unrolled: 1-line block ×4, first 2 shown]
	s_waitcnt vmcnt(0)
	ds_write_b128 v141, v[2:5]
.LBB39_231:
	s_or_b32 exec_lo, exec_lo, s4
	s_waitcnt lgkmcnt(0)
	s_waitcnt_vscnt null, 0x0
	s_barrier
	buffer_gl0_inv
	s_clause 0x37
	buffer_load_dword v10, off, s[0:3], 0 offset:216
	buffer_load_dword v11, off, s[0:3], 0 offset:220
	;; [unrolled: 1-line block ×56, first 2 shown]
	ds_read_b128 v[2:5], v1 offset:832
	s_clause 0x2
	buffer_load_dword v149, off, s[0:3], 0 offset:444
	buffer_load_dword v153, off, s[0:3], 0 offset:420
	;; [unrolled: 1-line block ×3, first 2 shown]
	ds_read_b128 v[6:9], v1 offset:848
	s_clause 0x4
	buffer_load_dword v159, off, s[0:3], 0 offset:460
	buffer_load_dword v160, off, s[0:3], 0 offset:472
	;; [unrolled: 1-line block ×5, first 2 shown]
	s_mov_b32 s4, exec_lo
	s_waitcnt vmcnt(62) lgkmcnt(1)
	v_mul_f64 v[154:155], v[4:5], v[10:11]
	v_mul_f64 v[156:157], v[2:3], v[10:11]
	s_waitcnt vmcnt(60) lgkmcnt(0)
	v_mul_f64 v[163:164], v[8:9], v[14:15]
	ds_read_b128 v[10:13], v1 offset:864
	v_mul_f64 v[14:15], v[6:7], v[14:15]
	s_waitcnt vmcnt(58)
	v_fma_f64 v[154:155], v[2:3], v[16:17], -v[154:155]
	v_fma_f64 v[16:17], v[4:5], v[16:17], v[156:157]
	s_clause 0x2
	buffer_load_dword v161, off, s[0:3], 0 offset:476
	buffer_load_dword v157, off, s[0:3], 0 offset:452
	;; [unrolled: 1-line block ×3, first 2 shown]
	s_waitcnt vmcnt(59) lgkmcnt(0)
	v_mul_f64 v[165:166], v[10:11], v[18:19]
	v_mul_f64 v[18:19], v[12:13], v[18:19]
	s_waitcnt vmcnt(57)
	v_fma_f64 v[167:168], v[6:7], v[20:21], -v[163:164]
	ds_read_b128 v[2:5], v1 offset:880
	v_fma_f64 v[14:15], v[8:9], v[20:21], v[14:15]
	s_clause 0x4
	buffer_load_dword v21, off, s[0:3], 0 offset:492
	buffer_load_dword v164, off, s[0:3], 0 offset:504
	buffer_load_dword v169, off, s[0:3], 0 offset:496
	buffer_load_dword v20, off, s[0:3], 0 offset:488
	buffer_load_dword v163, off, s[0:3], 0 offset:468
	ds_read_b128 v[6:9], v1 offset:896
	v_add_f64 v[154:155], v[154:155], 0
	v_add_f64 v[16:17], v[16:17], 0
	s_waitcnt vmcnt(58) lgkmcnt(1)
	v_mul_f64 v[170:171], v[2:3], v[22:23]
	v_mul_f64 v[22:23], v[4:5], v[22:23]
	s_waitcnt vmcnt(56)
	v_fma_f64 v[18:19], v[10:11], v[35:36], -v[18:19]
	v_fma_f64 v[35:36], v[12:13], v[35:36], v[165:166]
	v_add_f64 v[154:155], v[154:155], v[167:168]
	v_add_f64 v[14:15], v[16:17], v[14:15]
	s_clause 0x2
	buffer_load_dword v165, off, s[0:3], 0 offset:508
	buffer_load_dword v17, off, s[0:3], 0 offset:484
	;; [unrolled: 1-line block ×3, first 2 shown]
	s_waitcnt vmcnt(58) lgkmcnt(0)
	v_mul_f64 v[166:167], v[6:7], v[31:32]
	v_mul_f64 v[31:32], v[8:9], v[31:32]
	s_waitcnt vmcnt(56)
	v_fma_f64 v[22:23], v[2:3], v[37:38], -v[22:23]
	ds_read_b128 v[10:13], v1 offset:912
	v_fma_f64 v[37:38], v[4:5], v[37:38], v[170:171]
	v_add_f64 v[18:19], v[154:155], v[18:19]
	v_add_f64 v[14:15], v[14:15], v[35:36]
	s_clause 0x4
	buffer_load_dword v36, off, s[0:3], 0 offset:524
	buffer_load_dword v154, off, s[0:3], 0 offset:536
	;; [unrolled: 1-line block ×5, first 2 shown]
	ds_read_b128 v[2:5], v1 offset:928
	s_waitcnt vmcnt(57) lgkmcnt(1)
	v_mul_f64 v[172:173], v[10:11], v[39:40]
	v_mul_f64 v[39:40], v[12:13], v[39:40]
	s_waitcnt vmcnt(56)
	v_fma_f64 v[31:32], v[6:7], v[33:34], -v[31:32]
	v_add_f64 v[18:19], v[18:19], v[22:23]
	v_fma_f64 v[22:23], v[8:9], v[33:34], v[166:167]
	v_add_f64 v[14:15], v[14:15], v[37:38]
	s_clause 0x2
	buffer_load_dword v155, off, s[0:3], 0 offset:540
	buffer_load_dword v34, off, s[0:3], 0 offset:516
	;; [unrolled: 1-line block ×3, first 2 shown]
	s_waitcnt vmcnt(58) lgkmcnt(0)
	v_mul_f64 v[37:38], v[2:3], v[41:42]
	v_mul_f64 v[41:42], v[4:5], v[41:42]
	s_waitcnt vmcnt(56)
	v_fma_f64 v[39:40], v[10:11], v[47:48], -v[39:40]
	ds_read_b128 v[6:9], v1 offset:944
	v_add_f64 v[18:19], v[18:19], v[31:32]
	v_fma_f64 v[31:32], v[12:13], v[47:48], v[172:173]
	v_add_f64 v[14:15], v[14:15], v[22:23]
	s_clause 0x4
	buffer_load_dword v23, off, s[0:3], 0 offset:556
	buffer_load_dword v47, off, s[0:3], 0 offset:568
	;; [unrolled: 1-line block ×5, first 2 shown]
	ds_read_b128 v[10:13], v1 offset:960
	s_waitcnt vmcnt(57) lgkmcnt(1)
	v_mul_f64 v[167:168], v[6:7], v[49:50]
	v_mul_f64 v[49:50], v[8:9], v[49:50]
	s_waitcnt vmcnt(56)
	v_fma_f64 v[41:42], v[2:3], v[43:44], -v[41:42]
	v_fma_f64 v[37:38], v[4:5], v[43:44], v[37:38]
	v_add_f64 v[18:19], v[18:19], v[39:40]
	v_add_f64 v[14:15], v[14:15], v[31:32]
	s_clause 0x2
	buffer_load_dword v48, off, s[0:3], 0 offset:572
	buffer_load_dword v32, off, s[0:3], 0 offset:548
	;; [unrolled: 1-line block ×3, first 2 shown]
	s_waitcnt vmcnt(58) lgkmcnt(0)
	v_mul_f64 v[43:44], v[12:13], v[51:52]
	ds_read_b128 v[2:5], v1 offset:976
	s_waitcnt vmcnt(56)
	v_fma_f64 v[49:50], v[6:7], v[55:56], -v[49:50]
	v_mul_f64 v[39:40], v[10:11], v[51:52]
	v_add_f64 v[18:19], v[18:19], v[41:42]
	v_fma_f64 v[41:42], v[8:9], v[55:56], v[167:168]
	v_add_f64 v[14:15], v[14:15], v[37:38]
	s_clause 0x4
	buffer_load_dword v38, off, s[0:3], 0 offset:588
	buffer_load_dword v51, off, s[0:3], 0 offset:600
	;; [unrolled: 1-line block ×5, first 2 shown]
	s_waitcnt vmcnt(57) lgkmcnt(0)
	v_mul_f64 v[173:174], v[2:3], v[57:58]
	v_mul_f64 v[56:57], v[4:5], v[57:58]
	s_waitcnt vmcnt(56)
	v_fma_f64 v[43:44], v[10:11], v[53:54], -v[43:44]
	ds_read_b128 v[6:9], v1 offset:992
	v_fma_f64 v[39:40], v[12:13], v[53:54], v[39:40]
	v_add_f64 v[18:19], v[18:19], v[49:50]
	v_add_f64 v[14:15], v[14:15], v[41:42]
	s_clause 0x2
	buffer_load_dword v52, off, s[0:3], 0 offset:604
	buffer_load_dword v42, off, s[0:3], 0 offset:580
	;; [unrolled: 1-line block ×3, first 2 shown]
	ds_read_b128 v[10:13], v1 offset:1008
	s_waitcnt vmcnt(58) lgkmcnt(1)
	v_mul_f64 v[53:54], v[8:9], v[59:60]
	s_waitcnt vmcnt(56)
	v_fma_f64 v[57:58], v[2:3], v[63:64], -v[56:57]
	v_mul_f64 v[49:50], v[6:7], v[59:60]
	v_add_f64 v[18:19], v[18:19], v[43:44]
	v_fma_f64 v[43:44], v[4:5], v[63:64], v[173:174]
	v_add_f64 v[14:15], v[14:15], v[39:40]
	s_clause 0x4
	buffer_load_dword v40, off, s[0:3], 0 offset:620
	buffer_load_dword v59, off, s[0:3], 0 offset:632
	;; [unrolled: 1-line block ×5, first 2 shown]
	s_waitcnt vmcnt(57) lgkmcnt(0)
	v_mul_f64 v[173:174], v[10:11], v[137:138]
	v_mul_f64 v[137:138], v[12:13], v[137:138]
	s_waitcnt vmcnt(56)
	v_fma_f64 v[53:54], v[6:7], v[61:62], -v[53:54]
	ds_read_b128 v[2:5], v1 offset:1024
	v_fma_f64 v[49:50], v[8:9], v[61:62], v[49:50]
	v_add_f64 v[18:19], v[18:19], v[57:58]
	v_add_f64 v[14:15], v[14:15], v[43:44]
	s_clause 0x2
	buffer_load_dword v60, off, s[0:3], 0 offset:636
	buffer_load_dword v44, off, s[0:3], 0 offset:612
	;; [unrolled: 1-line block ×3, first 2 shown]
	ds_read_b128 v[6:9], v1 offset:1040
	s_waitcnt vmcnt(58) lgkmcnt(1)
	v_mul_f64 v[61:62], v[4:5], v[139:140]
	s_waitcnt vmcnt(56)
	v_fma_f64 v[137:138], v[10:11], v[144:145], -v[137:138]
	v_mul_f64 v[57:58], v[2:3], v[139:140]
	v_add_f64 v[18:19], v[18:19], v[53:54]
	v_fma_f64 v[53:54], v[12:13], v[144:145], v[173:174]
	v_add_f64 v[14:15], v[14:15], v[49:50]
	s_clause 0x2
	buffer_load_dword v50, off, s[0:3], 0 offset:652
	buffer_load_dword v49, off, s[0:3], 0 offset:648
	;; [unrolled: 1-line block ×3, first 2 shown]
	s_waitcnt vmcnt(55) lgkmcnt(0)
	v_mul_f64 v[144:145], v[8:9], v[146:147]
	s_waitcnt vmcnt(54)
	v_fma_f64 v[61:62], v[2:3], v[142:143], -v[61:62]
	ds_read_b128 v[10:13], v1 offset:1056
	v_mul_f64 v[139:140], v[6:7], v[146:147]
	v_fma_f64 v[57:58], v[4:5], v[142:143], v[57:58]
	v_add_f64 v[18:19], v[18:19], v[137:138]
	v_add_f64 v[14:15], v[14:15], v[53:54]
	s_clause 0x1
	buffer_load_dword v54, off, s[0:3], 0 offset:644
	buffer_load_dword v53, off, s[0:3], 0 offset:640
	s_waitcnt vmcnt(55) lgkmcnt(0)
	v_mul_f64 v[142:143], v[12:13], v[148:149]
	s_waitcnt vmcnt(53)
	v_fma_f64 v[144:145], v[6:7], v[152:153], -v[144:145]
	ds_read_b128 v[2:5], v1 offset:1072
	v_mul_f64 v[137:138], v[10:11], v[148:149]
	v_add_f64 v[18:19], v[18:19], v[61:62]
	v_fma_f64 v[61:62], v[8:9], v[152:153], v[139:140]
	v_add_f64 v[14:15], v[14:15], v[57:58]
	ds_read_b128 v[6:9], v1 offset:1088
	s_waitcnt vmcnt(49) lgkmcnt(1)
	v_mul_f64 v[139:140], v[4:5], v[158:159]
	s_waitcnt vmcnt(48)
	v_fma_f64 v[142:143], v[10:11], v[150:151], -v[142:143]
	v_mul_f64 v[57:58], v[2:3], v[158:159]
	v_fma_f64 v[137:138], v[12:13], v[150:151], v[137:138]
	v_add_f64 v[18:19], v[18:19], v[144:145]
	v_add_f64 v[14:15], v[14:15], v[61:62]
	s_clause 0x3
	buffer_load_dword v61, off, s[0:3], 0 offset:192
	buffer_load_dword v62, off, s[0:3], 0 offset:196
	;; [unrolled: 1-line block ×4, first 2 shown]
	ds_read_b128 v[10:13], v1 offset:1104
	s_waitcnt vmcnt(51) lgkmcnt(1)
	v_mul_f64 v[148:149], v[8:9], v[160:161]
	v_mul_f64 v[146:147], v[6:7], v[160:161]
	s_waitcnt vmcnt(49)
	v_fma_f64 v[139:140], v[2:3], v[156:157], -v[139:140]
	v_fma_f64 v[57:58], v[4:5], v[156:157], v[57:58]
	ds_read_b128 v[2:5], v1 offset:1120
	v_add_f64 v[18:19], v[18:19], v[142:143]
	v_add_f64 v[14:15], v[14:15], v[137:138]
	s_waitcnt vmcnt(45) lgkmcnt(1)
	v_mul_f64 v[137:138], v[10:11], v[20:21]
	v_mul_f64 v[20:21], v[12:13], v[20:21]
	s_waitcnt vmcnt(44)
	v_fma_f64 v[142:143], v[6:7], v[162:163], -v[148:149]
	v_add_f64 v[18:19], v[18:19], v[139:140]
	v_fma_f64 v[139:140], v[8:9], v[162:163], v[146:147]
	v_add_f64 v[14:15], v[14:15], v[57:58]
	ds_read_b128 v[6:9], v1 offset:1136
	s_waitcnt vmcnt(43) lgkmcnt(1)
	v_mul_f64 v[146:147], v[4:5], v[164:165]
	v_mul_f64 v[57:58], v[2:3], v[164:165]
	s_waitcnt vmcnt(41)
	v_fma_f64 v[20:21], v[10:11], v[16:17], -v[20:21]
	v_fma_f64 v[16:17], v[12:13], v[16:17], v[137:138]
	ds_read_b128 v[10:13], v1 offset:1152
	v_add_f64 v[18:19], v[18:19], v[142:143]
	v_add_f64 v[14:15], v[14:15], v[139:140]
	s_waitcnt vmcnt(37) lgkmcnt(1)
	v_mul_f64 v[137:138], v[6:7], v[35:36]
	v_mul_f64 v[35:36], v[8:9], v[35:36]
	s_waitcnt vmcnt(36)
	v_fma_f64 v[139:140], v[2:3], v[169:170], -v[146:147]
	v_add_f64 v[18:19], v[18:19], v[20:21]
	v_fma_f64 v[20:21], v[4:5], v[169:170], v[57:58]
	v_add_f64 v[14:15], v[14:15], v[16:17]
	ds_read_b128 v[2:5], v1 offset:1168
	s_waitcnt vmcnt(35) lgkmcnt(1)
	v_mul_f64 v[57:58], v[12:13], v[154:155]
	v_mul_f64 v[16:17], v[10:11], v[154:155]
	s_waitcnt vmcnt(33)
	v_fma_f64 v[35:36], v[6:7], v[33:34], -v[35:36]
	v_fma_f64 v[33:34], v[8:9], v[33:34], v[137:138]
	ds_read_b128 v[6:9], v1 offset:1184
	v_add_f64 v[18:19], v[18:19], v[139:140]
	v_add_f64 v[14:15], v[14:15], v[20:21]
	s_waitcnt vmcnt(29) lgkmcnt(1)
	v_mul_f64 v[20:21], v[2:3], v[22:23]
	v_mul_f64 v[22:23], v[4:5], v[22:23]
	s_waitcnt vmcnt(28)
	v_fma_f64 v[57:58], v[10:11], v[171:172], -v[57:58]
	v_fma_f64 v[16:17], v[12:13], v[171:172], v[16:17]
	ds_read_b128 v[10:13], v1 offset:1200
	v_add_f64 v[18:19], v[18:19], v[35:36]
	v_add_f64 v[14:15], v[14:15], v[33:34]
	;; [unrolled: 9-line block ×3, first 2 shown]
	s_waitcnt vmcnt(21) lgkmcnt(1)
	v_mul_f64 v[31:32], v[12:13], v[37:38]
	s_waitcnt vmcnt(20)
	v_fma_f64 v[35:36], v[6:7], v[166:167], -v[35:36]
	v_mul_f64 v[16:17], v[10:11], v[37:38]
	v_add_f64 v[18:19], v[18:19], v[22:23]
	v_fma_f64 v[22:23], v[8:9], v[166:167], v[33:34]
	v_add_f64 v[14:15], v[14:15], v[20:21]
	ds_read_b128 v[6:9], v1 offset:1232
	s_waitcnt vmcnt(19) lgkmcnt(1)
	v_mul_f64 v[33:34], v[4:5], v[51:52]
	v_mul_f64 v[20:21], v[2:3], v[51:52]
	s_waitcnt vmcnt(17)
	v_fma_f64 v[31:32], v[10:11], v[41:42], -v[31:32]
	v_fma_f64 v[16:17], v[12:13], v[41:42], v[16:17]
	ds_read_b128 v[10:13], v1 offset:1248
	v_add_f64 v[18:19], v[18:19], v[35:36]
	v_add_f64 v[14:15], v[14:15], v[22:23]
	s_waitcnt vmcnt(13) lgkmcnt(1)
	v_mul_f64 v[35:36], v[8:9], v[39:40]
	s_waitcnt vmcnt(12)
	v_fma_f64 v[33:34], v[2:3], v[55:56], -v[33:34]
	v_mul_f64 v[22:23], v[6:7], v[39:40]
	v_fma_f64 v[20:21], v[4:5], v[55:56], v[20:21]
	ds_read_b128 v[1:4], v1 offset:1264
	v_add_f64 v[18:19], v[18:19], v[31:32]
	v_add_f64 v[14:15], v[14:15], v[16:17]
	s_waitcnt vmcnt(11) lgkmcnt(1)
	v_mul_f64 v[31:32], v[12:13], v[59:60]
	v_mul_f64 v[16:17], v[10:11], v[59:60]
	s_waitcnt vmcnt(9)
	v_fma_f64 v[5:6], v[6:7], v[43:44], -v[35:36]
	v_fma_f64 v[7:8], v[8:9], v[43:44], v[22:23]
	v_add_f64 v[18:19], v[18:19], v[33:34]
	v_add_f64 v[14:15], v[14:15], v[20:21]
	s_waitcnt vmcnt(7) lgkmcnt(0)
	v_mul_f64 v[22:23], v[3:4], v[49:50]
	s_waitcnt vmcnt(6)
	v_fma_f64 v[9:10], v[10:11], v[63:64], -v[31:32]
	v_mul_f64 v[20:21], v[1:2], v[49:50]
	v_fma_f64 v[11:12], v[12:13], v[63:64], v[16:17]
	v_add_f64 v[5:6], v[18:19], v[5:6]
	v_add_f64 v[7:8], v[14:15], v[7:8]
	s_waitcnt vmcnt(4)
	v_fma_f64 v[1:2], v[1:2], v[53:54], -v[22:23]
	v_fma_f64 v[3:4], v[3:4], v[53:54], v[20:21]
	v_add_f64 v[5:6], v[5:6], v[9:10]
	v_add_f64 v[7:8], v[7:8], v[11:12]
	;; [unrolled: 1-line block ×4, first 2 shown]
	s_waitcnt vmcnt(2)
	v_add_f64 v[1:2], v[61:62], -v[1:2]
	s_waitcnt vmcnt(0)
	v_add_f64 v[3:4], v[144:145], -v[3:4]
	buffer_store_dword v2, off, s[0:3], 0 offset:196
	buffer_store_dword v1, off, s[0:3], 0 offset:192
	;; [unrolled: 1-line block ×4, first 2 shown]
	v_cmpx_lt_u32_e32 10, v0
	s_cbranch_execz .LBB39_233
; %bb.232:
	v_mov_b32_e32 v4, s42
	v_mov_b32_e32 v5, 0
	s_clause 0x3
	buffer_load_dword v1, v4, s[0:3], 0 offen
	buffer_load_dword v2, v4, s[0:3], 0 offen offset:4
	buffer_load_dword v3, v4, s[0:3], 0 offen offset:8
	;; [unrolled: 1-line block ×3, first 2 shown]
	buffer_store_dword v5, off, s[0:3], 0 offset:176
	buffer_store_dword v5, off, s[0:3], 0 offset:180
	;; [unrolled: 1-line block ×4, first 2 shown]
	s_waitcnt vmcnt(0)
	ds_write_b128 v141, v[1:4]
.LBB39_233:
	s_or_b32 exec_lo, exec_lo, s4
	s_waitcnt lgkmcnt(0)
	s_waitcnt_vscnt null, 0x0
	s_barrier
	buffer_gl0_inv
	s_clause 0x37
	buffer_load_dword v9, off, s[0:3], 0 offset:200
	buffer_load_dword v10, off, s[0:3], 0 offset:204
	;; [unrolled: 1-line block ×56, first 2 shown]
	v_mov_b32_e32 v11, 0
	s_mov_b32 s4, exec_lo
	ds_read_b128 v[5:8], v11 offset:816
	s_clause 0x2
	buffer_load_dword v151, off, s[0:3], 0 offset:428
	buffer_load_dword v155, off, s[0:3], 0 offset:404
	;; [unrolled: 1-line block ×3, first 2 shown]
	ds_read_b128 v[12:15], v11 offset:832
	s_clause 0x4
	buffer_load_dword v159, off, s[0:3], 0 offset:444
	buffer_load_dword v160, off, s[0:3], 0 offset:456
	;; [unrolled: 1-line block ×5, first 2 shown]
	ds_read_b128 v[16:19], v11 offset:848
	s_waitcnt vmcnt(62) lgkmcnt(2)
	v_mul_f64 v[156:157], v[7:8], v[9:10]
	v_mul_f64 v[9:10], v[5:6], v[9:10]
	s_waitcnt vmcnt(60) lgkmcnt(1)
	v_mul_f64 v[163:164], v[14:15], v[20:21]
	v_mul_f64 v[20:21], v[12:13], v[20:21]
	;; [unrolled: 3-line block ×3, first 2 shown]
	v_fma_f64 v[156:157], v[5:6], v[22:23], -v[156:157]
	v_fma_f64 v[9:10], v[7:8], v[22:23], v[9:10]
	s_clause 0x2
	buffer_load_dword v161, off, s[0:3], 0 offset:460
	buffer_load_dword v23, off, s[0:3], 0 offset:436
	;; [unrolled: 1-line block ×3, first 2 shown]
	s_waitcnt vmcnt(57)
	v_fma_f64 v[12:13], v[12:13], v[1:2], -v[163:164]
	ds_read_b128 v[5:8], v11 offset:864
	v_fma_f64 v[14:15], v[14:15], v[1:2], v[20:21]
	s_clause 0x4
	buffer_load_dword v21, off, s[0:3], 0 offset:476
	buffer_load_dword v164, off, s[0:3], 0 offset:488
	;; [unrolled: 1-line block ×5, first 2 shown]
	s_waitcnt vmcnt(56)
	v_fma_f64 v[16:17], v[16:17], v[37:38], -v[167:168]
	ds_read_b128 v[1:4], v11 offset:880
	v_fma_f64 v[18:19], v[18:19], v[37:38], v[165:166]
	s_clause 0x2
	buffer_load_dword v165, off, s[0:3], 0 offset:492
	buffer_load_dword v38, off, s[0:3], 0 offset:468
	;; [unrolled: 1-line block ×3, first 2 shown]
	v_add_f64 v[156:157], v[156:157], 0
	v_add_f64 v[9:10], v[9:10], 0
	s_waitcnt lgkmcnt(1)
	v_mul_f64 v[170:171], v[5:6], v[31:32]
	v_mul_f64 v[31:32], v[7:8], v[31:32]
	s_waitcnt vmcnt(58) lgkmcnt(0)
	v_mul_f64 v[166:167], v[1:2], v[33:34]
	v_mul_f64 v[33:34], v[3:4], v[33:34]
	v_add_f64 v[156:157], v[156:157], v[12:13]
	v_add_f64 v[9:10], v[9:10], v[14:15]
	ds_read_b128 v[12:15], v11 offset:896
	s_waitcnt vmcnt(56)
	v_fma_f64 v[31:32], v[5:6], v[39:40], -v[31:32]
	v_fma_f64 v[39:40], v[7:8], v[39:40], v[170:171]
	s_waitcnt vmcnt(51)
	v_fma_f64 v[33:34], v[1:2], v[35:36], -v[33:34]
	s_waitcnt lgkmcnt(0)
	v_mul_f64 v[172:173], v[12:13], v[41:42]
	v_add_f64 v[16:17], v[156:157], v[16:17]
	v_add_f64 v[9:10], v[9:10], v[18:19]
	s_clause 0x4
	buffer_load_dword v19, off, s[0:3], 0 offset:508
	buffer_load_dword v156, off, s[0:3], 0 offset:520
	;; [unrolled: 1-line block ×5, first 2 shown]
	v_mul_f64 v[41:42], v[14:15], v[41:42]
	ds_read_b128 v[5:8], v11 offset:912
	v_add_f64 v[16:17], v[16:17], v[31:32]
	v_fma_f64 v[31:32], v[3:4], v[35:36], v[166:167]
	v_add_f64 v[9:10], v[9:10], v[39:40]
	s_clause 0x2
	buffer_load_dword v157, off, s[0:3], 0 offset:524
	buffer_load_dword v36, off, s[0:3], 0 offset:500
	;; [unrolled: 1-line block ×3, first 2 shown]
	s_waitcnt vmcnt(58) lgkmcnt(0)
	v_mul_f64 v[39:40], v[5:6], v[43:44]
	v_mul_f64 v[43:44], v[7:8], v[43:44]
	s_waitcnt vmcnt(56)
	v_fma_f64 v[41:42], v[12:13], v[49:50], -v[41:42]
	ds_read_b128 v[1:4], v11 offset:928
	v_add_f64 v[16:17], v[16:17], v[33:34]
	v_fma_f64 v[33:34], v[14:15], v[49:50], v[172:173]
	v_add_f64 v[9:10], v[9:10], v[31:32]
	s_clause 0x4
	buffer_load_dword v32, off, s[0:3], 0 offset:540
	buffer_load_dword v49, off, s[0:3], 0 offset:552
	;; [unrolled: 1-line block ×5, first 2 shown]
	ds_read_b128 v[12:15], v11 offset:944
	s_waitcnt vmcnt(57) lgkmcnt(1)
	v_mul_f64 v[167:168], v[1:2], v[51:52]
	v_mul_f64 v[51:52], v[3:4], v[51:52]
	s_waitcnt vmcnt(56)
	v_fma_f64 v[43:44], v[5:6], v[47:48], -v[43:44]
	v_fma_f64 v[39:40], v[7:8], v[47:48], v[39:40]
	v_add_f64 v[16:17], v[16:17], v[41:42]
	v_add_f64 v[9:10], v[9:10], v[33:34]
	s_clause 0x2
	buffer_load_dword v50, off, s[0:3], 0 offset:556
	buffer_load_dword v34, off, s[0:3], 0 offset:532
	;; [unrolled: 1-line block ×3, first 2 shown]
	s_waitcnt vmcnt(58) lgkmcnt(0)
	v_mul_f64 v[47:48], v[14:15], v[53:54]
	ds_read_b128 v[5:8], v11 offset:960
	s_waitcnt vmcnt(56)
	v_fma_f64 v[51:52], v[1:2], v[57:58], -v[51:52]
	v_mul_f64 v[41:42], v[12:13], v[53:54]
	v_add_f64 v[16:17], v[16:17], v[43:44]
	v_fma_f64 v[43:44], v[3:4], v[57:58], v[167:168]
	v_add_f64 v[9:10], v[9:10], v[39:40]
	s_clause 0x4
	buffer_load_dword v40, off, s[0:3], 0 offset:572
	buffer_load_dword v53, off, s[0:3], 0 offset:584
	buffer_load_dword v57, off, s[0:3], 0 offset:576
	buffer_load_dword v39, off, s[0:3], 0 offset:568
	buffer_load_dword v167, off, s[0:3], 0 offset:548
	s_waitcnt vmcnt(57) lgkmcnt(0)
	v_mul_f64 v[173:174], v[5:6], v[59:60]
	v_mul_f64 v[58:59], v[7:8], v[59:60]
	s_waitcnt vmcnt(56)
	v_fma_f64 v[47:48], v[12:13], v[55:56], -v[47:48]
	ds_read_b128 v[1:4], v11 offset:976
	v_fma_f64 v[41:42], v[14:15], v[55:56], v[41:42]
	v_add_f64 v[16:17], v[16:17], v[51:52]
	v_add_f64 v[9:10], v[9:10], v[43:44]
	s_clause 0x2
	buffer_load_dword v54, off, s[0:3], 0 offset:588
	buffer_load_dword v44, off, s[0:3], 0 offset:564
	buffer_load_dword v43, off, s[0:3], 0 offset:560
	ds_read_b128 v[12:15], v11 offset:992
	s_waitcnt vmcnt(58) lgkmcnt(1)
	v_mul_f64 v[55:56], v[3:4], v[61:62]
	s_waitcnt vmcnt(56)
	v_fma_f64 v[59:60], v[5:6], v[137:138], -v[58:59]
	v_mul_f64 v[51:52], v[1:2], v[61:62]
	v_add_f64 v[16:17], v[16:17], v[47:48]
	v_fma_f64 v[47:48], v[7:8], v[137:138], v[173:174]
	v_add_f64 v[9:10], v[9:10], v[41:42]
	s_clause 0x4
	buffer_load_dword v42, off, s[0:3], 0 offset:604
	buffer_load_dword v61, off, s[0:3], 0 offset:616
	buffer_load_dword v137, off, s[0:3], 0 offset:608
	buffer_load_dword v41, off, s[0:3], 0 offset:600
	buffer_load_dword v58, off, s[0:3], 0 offset:580
	s_waitcnt vmcnt(57) lgkmcnt(0)
	v_mul_f64 v[173:174], v[12:13], v[139:140]
	v_mul_f64 v[138:139], v[14:15], v[139:140]
	s_waitcnt vmcnt(56)
	v_fma_f64 v[55:56], v[1:2], v[63:64], -v[55:56]
	ds_read_b128 v[5:8], v11 offset:1008
	v_fma_f64 v[51:52], v[3:4], v[63:64], v[51:52]
	v_add_f64 v[16:17], v[16:17], v[59:60]
	v_add_f64 v[9:10], v[9:10], v[47:48]
	s_clause 0x2
	buffer_load_dword v62, off, s[0:3], 0 offset:620
	buffer_load_dword v48, off, s[0:3], 0 offset:596
	buffer_load_dword v47, off, s[0:3], 0 offset:592
	ds_read_b128 v[1:4], v11 offset:1024
	s_waitcnt vmcnt(58) lgkmcnt(1)
	v_mul_f64 v[63:64], v[7:8], v[142:143]
	;; [unrolled: 28-line block ×3, first 2 shown]
	s_waitcnt vmcnt(56)
	v_fma_f64 v[148:149], v[1:2], v[154:155], -v[147:148]
	v_mul_f64 v[139:140], v[12:13], v[150:151]
	buffer_load_dword v147, off, s[0:3], 0 offset:644
	v_add_f64 v[16:17], v[16:17], v[63:64]
	v_fma_f64 v[63:64], v[3:4], v[154:155], v[173:174]
	v_add_f64 v[9:10], v[9:10], v[59:60]
	ds_read_b128 v[1:4], v11 offset:1072
	s_waitcnt vmcnt(53) lgkmcnt(1)
	v_mul_f64 v[150:151], v[7:8], v[158:159]
	s_waitcnt vmcnt(52)
	v_fma_f64 v[144:145], v[12:13], v[152:153], -v[144:145]
	v_mul_f64 v[59:60], v[5:6], v[158:159]
	v_fma_f64 v[139:140], v[14:15], v[152:153], v[139:140]
	ds_read_b128 v[12:15], v11 offset:1088
	v_add_f64 v[16:17], v[16:17], v[148:149]
	v_add_f64 v[9:10], v[9:10], v[63:64]
	s_waitcnt vmcnt(51) lgkmcnt(1)
	v_mul_f64 v[148:149], v[3:4], v[160:161]
	v_mul_f64 v[63:64], v[1:2], v[160:161]
	s_waitcnt vmcnt(49)
	v_fma_f64 v[150:151], v[5:6], v[22:23], -v[150:151]
	v_fma_f64 v[22:23], v[7:8], v[22:23], v[59:60]
	v_add_f64 v[16:17], v[16:17], v[144:145]
	s_waitcnt vmcnt(45) lgkmcnt(0)
	v_mul_f64 v[144:145], v[12:13], v[20:21]
	v_add_f64 v[9:10], v[9:10], v[139:140]
	s_clause 0x3
	buffer_load_dword v59, off, s[0:3], 0 offset:176
	buffer_load_dword v60, off, s[0:3], 0 offset:180
	;; [unrolled: 1-line block ×4, first 2 shown]
	v_mul_f64 v[20:21], v[14:15], v[20:21]
	ds_read_b128 v[5:8], v11 offset:1104
	s_waitcnt vmcnt(48)
	v_fma_f64 v[148:149], v[1:2], v[162:163], -v[148:149]
	v_fma_f64 v[63:64], v[3:4], v[162:163], v[63:64]
	ds_read_b128 v[1:4], v11 offset:1120
	v_add_f64 v[16:17], v[16:17], v[150:151]
	v_add_f64 v[9:10], v[9:10], v[22:23]
	s_waitcnt vmcnt(47) lgkmcnt(1)
	v_mul_f64 v[150:151], v[7:8], v[164:165]
	s_waitcnt vmcnt(45)
	v_fma_f64 v[20:21], v[12:13], v[37:38], -v[20:21]
	v_mul_f64 v[22:23], v[5:6], v[164:165]
	v_fma_f64 v[37:38], v[14:15], v[37:38], v[144:145]
	ds_read_b128 v[12:15], v11 offset:1136
	v_add_f64 v[16:17], v[16:17], v[148:149]
	v_add_f64 v[9:10], v[9:10], v[63:64]
	s_waitcnt vmcnt(41) lgkmcnt(1)
	v_mul_f64 v[63:64], v[1:2], v[18:19]
	v_mul_f64 v[18:19], v[3:4], v[18:19]
	s_waitcnt vmcnt(40)
	v_fma_f64 v[144:145], v[5:6], v[169:170], -v[150:151]
	v_add_f64 v[16:17], v[16:17], v[20:21]
	v_fma_f64 v[20:21], v[7:8], v[169:170], v[22:23]
	v_add_f64 v[9:10], v[9:10], v[37:38]
	ds_read_b128 v[5:8], v11 offset:1152
	s_waitcnt vmcnt(39) lgkmcnt(1)
	v_mul_f64 v[37:38], v[14:15], v[156:157]
	v_mul_f64 v[22:23], v[12:13], v[156:157]
	s_waitcnt vmcnt(37)
	v_fma_f64 v[18:19], v[1:2], v[35:36], -v[18:19]
	v_fma_f64 v[35:36], v[3:4], v[35:36], v[63:64]
	ds_read_b128 v[1:4], v11 offset:1168
	v_add_f64 v[16:17], v[16:17], v[144:145]
	v_add_f64 v[9:10], v[9:10], v[20:21]
	s_waitcnt vmcnt(33) lgkmcnt(1)
	v_mul_f64 v[20:21], v[5:6], v[31:32]
	v_mul_f64 v[31:32], v[7:8], v[31:32]
	s_waitcnt vmcnt(32)
	v_fma_f64 v[37:38], v[12:13], v[171:172], -v[37:38]
	v_add_f64 v[16:17], v[16:17], v[18:19]
	v_fma_f64 v[18:19], v[14:15], v[171:172], v[22:23]
	v_add_f64 v[9:10], v[9:10], v[35:36]
	ds_read_b128 v[12:15], v11 offset:1184
	s_waitcnt vmcnt(31) lgkmcnt(1)
	v_mul_f64 v[35:36], v[3:4], v[49:50]
	v_mul_f64 v[22:23], v[1:2], v[49:50]
	s_waitcnt vmcnt(29)
	v_fma_f64 v[31:32], v[5:6], v[33:34], -v[31:32]
	v_fma_f64 v[20:21], v[7:8], v[33:34], v[20:21]
	ds_read_b128 v[5:8], v11 offset:1200
	v_add_f64 v[16:17], v[16:17], v[37:38]
	v_add_f64 v[9:10], v[9:10], v[18:19]
	s_waitcnt vmcnt(25) lgkmcnt(1)
	v_mul_f64 v[33:34], v[14:15], v[39:40]
	s_waitcnt vmcnt(24)
	v_fma_f64 v[35:36], v[1:2], v[166:167], -v[35:36]
	v_mul_f64 v[18:19], v[12:13], v[39:40]
	v_fma_f64 v[22:23], v[3:4], v[166:167], v[22:23]
	ds_read_b128 v[1:4], v11 offset:1216
	v_add_f64 v[16:17], v[16:17], v[31:32]
	v_add_f64 v[9:10], v[9:10], v[20:21]
	s_waitcnt vmcnt(23) lgkmcnt(1)
	v_mul_f64 v[31:32], v[7:8], v[53:54]
	v_mul_f64 v[20:21], v[5:6], v[53:54]
	s_waitcnt vmcnt(21)
	v_fma_f64 v[33:34], v[12:13], v[43:44], -v[33:34]
	v_fma_f64 v[18:19], v[14:15], v[43:44], v[18:19]
	ds_read_b128 v[12:15], v11 offset:1232
	v_add_f64 v[16:17], v[16:17], v[35:36]
	v_add_f64 v[9:10], v[9:10], v[22:23]
	s_waitcnt vmcnt(17) lgkmcnt(1)
	v_mul_f64 v[35:36], v[3:4], v[41:42]
	s_waitcnt vmcnt(16)
	v_fma_f64 v[31:32], v[5:6], v[57:58], -v[31:32]
	v_mul_f64 v[22:23], v[1:2], v[41:42]
	v_fma_f64 v[20:21], v[7:8], v[57:58], v[20:21]
	ds_read_b128 v[5:8], v11 offset:1248
	v_add_f64 v[16:17], v[16:17], v[33:34]
	v_add_f64 v[9:10], v[9:10], v[18:19]
	s_waitcnt vmcnt(15) lgkmcnt(1)
	v_mul_f64 v[33:34], v[14:15], v[61:62]
	v_mul_f64 v[18:19], v[12:13], v[61:62]
	s_waitcnt vmcnt(13)
	v_fma_f64 v[35:36], v[1:2], v[47:48], -v[35:36]
	v_fma_f64 v[22:23], v[3:4], v[47:48], v[22:23]
	ds_read_b128 v[1:4], v11 offset:1264
	v_add_f64 v[16:17], v[16:17], v[31:32]
	v_add_f64 v[9:10], v[9:10], v[20:21]
	s_waitcnt vmcnt(9) lgkmcnt(1)
	v_mul_f64 v[31:32], v[7:8], v[51:52]
	s_waitcnt vmcnt(8)
	v_fma_f64 v[12:13], v[12:13], v[137:138], -v[33:34]
	v_mul_f64 v[20:21], v[5:6], v[51:52]
	v_fma_f64 v[14:15], v[14:15], v[137:138], v[18:19]
	v_add_f64 v[16:17], v[16:17], v[35:36]
	v_add_f64 v[9:10], v[9:10], v[22:23]
	s_waitcnt vmcnt(7) lgkmcnt(0)
	v_mul_f64 v[22:23], v[3:4], v[142:143]
	v_mul_f64 v[18:19], v[1:2], v[142:143]
	s_waitcnt vmcnt(5)
	v_fma_f64 v[5:6], v[5:6], v[55:56], -v[31:32]
	v_fma_f64 v[7:8], v[7:8], v[55:56], v[20:21]
	v_add_f64 v[12:13], v[16:17], v[12:13]
	v_add_f64 v[9:10], v[9:10], v[14:15]
	s_waitcnt vmcnt(4)
	v_fma_f64 v[1:2], v[1:2], v[146:147], -v[22:23]
	v_fma_f64 v[3:4], v[3:4], v[146:147], v[18:19]
	v_add_f64 v[5:6], v[12:13], v[5:6]
	v_add_f64 v[7:8], v[9:10], v[7:8]
	;; [unrolled: 1-line block ×4, first 2 shown]
	s_waitcnt vmcnt(2)
	v_add_f64 v[1:2], v[59:60], -v[1:2]
	s_waitcnt vmcnt(0)
	v_add_f64 v[3:4], v[139:140], -v[3:4]
	buffer_store_dword v2, off, s[0:3], 0 offset:180
	buffer_store_dword v1, off, s[0:3], 0 offset:176
	;; [unrolled: 1-line block ×4, first 2 shown]
	v_cmpx_lt_u32_e32 9, v0
	s_cbranch_execz .LBB39_235
; %bb.234:
	v_mov_b32_e32 v4, s43
	s_clause 0x3
	buffer_load_dword v1, v4, s[0:3], 0 offen
	buffer_load_dword v2, v4, s[0:3], 0 offen offset:4
	buffer_load_dword v3, v4, s[0:3], 0 offen offset:8
	;; [unrolled: 1-line block ×3, first 2 shown]
	buffer_store_dword v11, off, s[0:3], 0 offset:160
	buffer_store_dword v11, off, s[0:3], 0 offset:164
	;; [unrolled: 1-line block ×4, first 2 shown]
	s_waitcnt vmcnt(0)
	ds_write_b128 v141, v[1:4]
.LBB39_235:
	s_or_b32 exec_lo, exec_lo, s4
	s_waitcnt lgkmcnt(0)
	s_waitcnt_vscnt null, 0x0
	s_barrier
	buffer_gl0_inv
	s_clause 0x37
	buffer_load_dword v9, off, s[0:3], 0 offset:184
	buffer_load_dword v10, off, s[0:3], 0 offset:188
	;; [unrolled: 1-line block ×56, first 2 shown]
	ds_read_b128 v[12:15], v11 offset:800
	s_clause 0x2
	buffer_load_dword v151, off, s[0:3], 0 offset:412
	buffer_load_dword v155, off, s[0:3], 0 offset:388
	;; [unrolled: 1-line block ×3, first 2 shown]
	ds_read_b128 v[16:19], v11 offset:816
	s_clause 0x4
	buffer_load_dword v159, off, s[0:3], 0 offset:428
	buffer_load_dword v160, off, s[0:3], 0 offset:440
	;; [unrolled: 1-line block ×5, first 2 shown]
	ds_read_b128 v[20:23], v11 offset:832
	s_clause 0x2
	buffer_load_dword v161, off, s[0:3], 0 offset:444
	buffer_load_dword v166, off, s[0:3], 0 offset:420
	;; [unrolled: 1-line block ×3, first 2 shown]
	s_mov_b32 s4, exec_lo
	s_waitcnt vmcnt(62) lgkmcnt(2)
	v_mul_f64 v[156:157], v[14:15], v[9:10]
	v_mul_f64 v[9:10], v[12:13], v[9:10]
	s_waitcnt lgkmcnt(1)
	v_mul_f64 v[163:164], v[18:19], v[5:6]
	s_waitcnt vmcnt(59) lgkmcnt(0)
	v_mul_f64 v[167:168], v[22:23], v[3:4]
	v_fma_f64 v[12:13], v[12:13], v[7:8], -v[156:157]
	v_mul_f64 v[156:157], v[16:17], v[5:6]
	v_fma_f64 v[9:10], v[14:15], v[7:8], v[9:10]
	s_waitcnt vmcnt(57)
	v_fma_f64 v[16:17], v[16:17], v[1:2], -v[163:164]
	ds_read_b128 v[5:8], v11 offset:848
	v_mul_f64 v[14:15], v[20:21], v[3:4]
	s_waitcnt vmcnt(51)
	v_fma_f64 v[20:21], v[20:21], v[37:38], -v[167:168]
	v_add_f64 v[12:13], v[12:13], 0
	v_fma_f64 v[18:19], v[18:19], v[1:2], v[156:157]
	v_add_f64 v[9:10], v[9:10], 0
	s_clause 0x4
	buffer_load_dword v157, off, s[0:3], 0 offset:460
	buffer_load_dword v169, off, s[0:3], 0 offset:472
	buffer_load_dword v171, off, s[0:3], 0 offset:464
	buffer_load_dword v156, off, s[0:3], 0 offset:456
	buffer_load_dword v163, off, s[0:3], 0 offset:436
	s_waitcnt lgkmcnt(0)
	v_mul_f64 v[172:173], v[5:6], v[31:32]
	v_mul_f64 v[31:32], v[7:8], v[31:32]
	ds_read_b128 v[1:4], v11 offset:864
	v_fma_f64 v[22:23], v[22:23], v[37:38], v[14:15]
	v_add_f64 v[16:17], v[12:13], v[16:17]
	v_add_f64 v[9:10], v[9:10], v[18:19]
	s_clause 0x2
	buffer_load_dword v170, off, s[0:3], 0 offset:476
	buffer_load_dword v19, off, s[0:3], 0 offset:452
	buffer_load_dword v18, off, s[0:3], 0 offset:448
	s_waitcnt vmcnt(58) lgkmcnt(0)
	v_mul_f64 v[37:38], v[1:2], v[33:34]
	v_mul_f64 v[33:34], v[3:4], v[33:34]
	s_waitcnt vmcnt(56)
	v_fma_f64 v[31:32], v[5:6], v[39:40], -v[31:32]
	ds_read_b128 v[12:15], v11 offset:880
	v_add_f64 v[16:17], v[16:17], v[20:21]
	v_fma_f64 v[20:21], v[7:8], v[39:40], v[172:173]
	v_add_f64 v[9:10], v[9:10], v[22:23]
	s_clause 0x4
	buffer_load_dword v23, off, s[0:3], 0 offset:492
	buffer_load_dword v39, off, s[0:3], 0 offset:504
	;; [unrolled: 1-line block ×5, first 2 shown]
	ds_read_b128 v[5:8], v11 offset:896
	s_waitcnt vmcnt(57) lgkmcnt(1)
	v_mul_f64 v[173:174], v[12:13], v[41:42]
	v_mul_f64 v[41:42], v[14:15], v[41:42]
	s_waitcnt vmcnt(56)
	v_fma_f64 v[33:34], v[1:2], v[35:36], -v[33:34]
	v_add_f64 v[16:17], v[16:17], v[31:32]
	v_fma_f64 v[31:32], v[3:4], v[35:36], v[37:38]
	v_add_f64 v[9:10], v[9:10], v[20:21]
	s_clause 0x2
	buffer_load_dword v40, off, s[0:3], 0 offset:508
	buffer_load_dword v21, off, s[0:3], 0 offset:484
	;; [unrolled: 1-line block ×3, first 2 shown]
	s_waitcnt vmcnt(58) lgkmcnt(0)
	v_mul_f64 v[37:38], v[7:8], v[43:44]
	ds_read_b128 v[1:4], v11 offset:912
	s_waitcnt vmcnt(56)
	v_fma_f64 v[41:42], v[12:13], v[49:50], -v[41:42]
	v_mul_f64 v[35:36], v[5:6], v[43:44]
	v_add_f64 v[16:17], v[16:17], v[33:34]
	v_fma_f64 v[33:34], v[14:15], v[49:50], v[173:174]
	v_add_f64 v[9:10], v[9:10], v[31:32]
	s_clause 0x4
	buffer_load_dword v32, off, s[0:3], 0 offset:524
	buffer_load_dword v43, off, s[0:3], 0 offset:536
	buffer_load_dword v49, off, s[0:3], 0 offset:528
	buffer_load_dword v31, off, s[0:3], 0 offset:520
	buffer_load_dword v168, off, s[0:3], 0 offset:500
	s_waitcnt vmcnt(57) lgkmcnt(0)
	v_mul_f64 v[173:174], v[1:2], v[51:52]
	v_mul_f64 v[50:51], v[3:4], v[51:52]
	s_waitcnt vmcnt(56)
	v_fma_f64 v[37:38], v[5:6], v[47:48], -v[37:38]
	ds_read_b128 v[12:15], v11 offset:928
	v_fma_f64 v[35:36], v[7:8], v[47:48], v[35:36]
	v_add_f64 v[16:17], v[16:17], v[41:42]
	v_add_f64 v[9:10], v[9:10], v[33:34]
	s_clause 0x2
	buffer_load_dword v44, off, s[0:3], 0 offset:540
	buffer_load_dword v34, off, s[0:3], 0 offset:516
	buffer_load_dword v33, off, s[0:3], 0 offset:512
	ds_read_b128 v[5:8], v11 offset:944
	s_waitcnt vmcnt(58) lgkmcnt(1)
	v_mul_f64 v[47:48], v[14:15], v[53:54]
	s_waitcnt vmcnt(56)
	v_fma_f64 v[51:52], v[1:2], v[57:58], -v[50:51]
	v_mul_f64 v[41:42], v[12:13], v[53:54]
	v_add_f64 v[16:17], v[16:17], v[37:38]
	v_fma_f64 v[37:38], v[3:4], v[57:58], v[173:174]
	v_add_f64 v[9:10], v[9:10], v[35:36]
	s_clause 0x4
	buffer_load_dword v36, off, s[0:3], 0 offset:556
	buffer_load_dword v53, off, s[0:3], 0 offset:568
	buffer_load_dword v57, off, s[0:3], 0 offset:560
	buffer_load_dword v35, off, s[0:3], 0 offset:552
	buffer_load_dword v50, off, s[0:3], 0 offset:532
	s_waitcnt vmcnt(57) lgkmcnt(0)
	v_mul_f64 v[173:174], v[5:6], v[59:60]
	v_mul_f64 v[58:59], v[7:8], v[59:60]
	s_waitcnt vmcnt(56)
	v_fma_f64 v[47:48], v[12:13], v[55:56], -v[47:48]
	ds_read_b128 v[1:4], v11 offset:960
	v_fma_f64 v[41:42], v[14:15], v[55:56], v[41:42]
	v_add_f64 v[16:17], v[16:17], v[51:52]
	v_add_f64 v[9:10], v[9:10], v[37:38]
	s_clause 0x2
	buffer_load_dword v54, off, s[0:3], 0 offset:572
	buffer_load_dword v38, off, s[0:3], 0 offset:548
	buffer_load_dword v37, off, s[0:3], 0 offset:544
	ds_read_b128 v[12:15], v11 offset:976
	s_waitcnt vmcnt(58) lgkmcnt(1)
	v_mul_f64 v[55:56], v[3:4], v[61:62]
	;; [unrolled: 28-line block ×4, first 2 shown]
	s_waitcnt vmcnt(56)
	v_fma_f64 v[148:149], v[1:2], v[154:155], -v[147:148]
	v_mul_f64 v[139:140], v[12:13], v[150:151]
	v_add_f64 v[16:17], v[16:17], v[63:64]
	v_fma_f64 v[63:64], v[3:4], v[154:155], v[173:174]
	v_add_f64 v[9:10], v[9:10], v[59:60]
	s_clause 0x2
	buffer_load_dword v60, off, s[0:3], 0 offset:652
	buffer_load_dword v59, off, s[0:3], 0 offset:648
	;; [unrolled: 1-line block ×3, first 2 shown]
	s_waitcnt vmcnt(55) lgkmcnt(0)
	v_mul_f64 v[154:155], v[7:8], v[158:159]
	s_waitcnt vmcnt(54)
	v_fma_f64 v[144:145], v[12:13], v[152:153], -v[144:145]
	ds_read_b128 v[1:4], v11 offset:1056
	v_mul_f64 v[150:151], v[5:6], v[158:159]
	v_fma_f64 v[139:140], v[14:15], v[152:153], v[139:140]
	v_add_f64 v[16:17], v[16:17], v[148:149]
	v_add_f64 v[9:10], v[9:10], v[63:64]
	s_clause 0x1
	buffer_load_dword v64, off, s[0:3], 0 offset:644
	buffer_load_dword v63, off, s[0:3], 0 offset:640
	s_waitcnt vmcnt(55) lgkmcnt(0)
	v_mul_f64 v[152:153], v[3:4], v[160:161]
	s_waitcnt vmcnt(53)
	v_fma_f64 v[154:155], v[5:6], v[165:166], -v[154:155]
	ds_read_b128 v[12:15], v11 offset:1072
	v_mul_f64 v[148:149], v[1:2], v[160:161]
	v_add_f64 v[16:17], v[16:17], v[144:145]
	v_fma_f64 v[144:145], v[7:8], v[165:166], v[150:151]
	v_add_f64 v[9:10], v[9:10], v[139:140]
	ds_read_b128 v[5:8], v11 offset:1088
	s_waitcnt vmcnt(49) lgkmcnt(1)
	v_mul_f64 v[150:151], v[14:15], v[156:157]
	s_waitcnt vmcnt(48)
	v_fma_f64 v[152:153], v[1:2], v[162:163], -v[152:153]
	v_mul_f64 v[139:140], v[12:13], v[156:157]
	v_fma_f64 v[148:149], v[3:4], v[162:163], v[148:149]
	v_add_f64 v[16:17], v[16:17], v[154:155]
	v_add_f64 v[9:10], v[9:10], v[144:145]
	s_clause 0x3
	buffer_load_dword v144, off, s[0:3], 0 offset:160
	buffer_load_dword v145, off, s[0:3], 0 offset:164
	;; [unrolled: 1-line block ×4, first 2 shown]
	ds_read_b128 v[1:4], v11 offset:1104
	s_waitcnt vmcnt(51) lgkmcnt(1)
	v_mul_f64 v[158:159], v[7:8], v[169:170]
	v_mul_f64 v[156:157], v[5:6], v[169:170]
	s_waitcnt vmcnt(49)
	v_fma_f64 v[150:151], v[12:13], v[18:19], -v[150:151]
	v_fma_f64 v[18:19], v[14:15], v[18:19], v[139:140]
	ds_read_b128 v[12:15], v11 offset:1120
	v_add_f64 v[16:17], v[16:17], v[152:153]
	v_add_f64 v[9:10], v[9:10], v[148:149]
	s_waitcnt vmcnt(45) lgkmcnt(1)
	v_mul_f64 v[139:140], v[1:2], v[22:23]
	v_mul_f64 v[22:23], v[3:4], v[22:23]
	s_waitcnt vmcnt(44)
	v_fma_f64 v[148:149], v[5:6], v[171:172], -v[158:159]
	v_add_f64 v[16:17], v[16:17], v[150:151]
	v_fma_f64 v[150:151], v[7:8], v[171:172], v[156:157]
	v_add_f64 v[9:10], v[9:10], v[18:19]
	ds_read_b128 v[5:8], v11 offset:1136
	s_waitcnt vmcnt(43) lgkmcnt(1)
	v_mul_f64 v[18:19], v[12:13], v[39:40]
	v_mul_f64 v[39:40], v[14:15], v[39:40]
	s_waitcnt vmcnt(41)
	v_fma_f64 v[22:23], v[1:2], v[20:21], -v[22:23]
	v_fma_f64 v[20:21], v[3:4], v[20:21], v[139:140]
	ds_read_b128 v[1:4], v11 offset:1152
	v_add_f64 v[16:17], v[16:17], v[148:149]
	v_add_f64 v[9:10], v[9:10], v[150:151]
	s_waitcnt vmcnt(37) lgkmcnt(1)
	v_mul_f64 v[139:140], v[5:6], v[31:32]
	v_mul_f64 v[31:32], v[7:8], v[31:32]
	s_waitcnt vmcnt(36)
	v_fma_f64 v[39:40], v[12:13], v[167:168], -v[39:40]
	v_fma_f64 v[18:19], v[14:15], v[167:168], v[18:19]
	ds_read_b128 v[12:15], v11 offset:1168
	v_add_f64 v[16:17], v[16:17], v[22:23]
	v_add_f64 v[9:10], v[9:10], v[20:21]
	;; [unrolled: 9-line block ×5, first 2 shown]
	s_waitcnt vmcnt(21) lgkmcnt(1)
	v_mul_f64 v[22:23], v[3:4], v[41:42]
	s_waitcnt vmcnt(20)
	v_fma_f64 v[33:34], v[5:6], v[57:58], -v[33:34]
	v_mul_f64 v[20:21], v[1:2], v[41:42]
	v_fma_f64 v[31:32], v[7:8], v[57:58], v[31:32]
	ds_read_b128 v[5:8], v11 offset:1232
	v_add_f64 v[16:17], v[16:17], v[35:36]
	v_add_f64 v[9:10], v[9:10], v[18:19]
	s_waitcnt vmcnt(19) lgkmcnt(1)
	v_mul_f64 v[35:36], v[14:15], v[61:62]
	v_mul_f64 v[18:19], v[12:13], v[61:62]
	s_waitcnt vmcnt(17)
	v_fma_f64 v[22:23], v[1:2], v[47:48], -v[22:23]
	v_fma_f64 v[20:21], v[3:4], v[47:48], v[20:21]
	ds_read_b128 v[1:4], v11 offset:1248
	v_add_f64 v[16:17], v[16:17], v[33:34]
	v_add_f64 v[9:10], v[9:10], v[31:32]
	s_waitcnt vmcnt(13) lgkmcnt(1)
	v_mul_f64 v[33:34], v[7:8], v[51:52]
	s_waitcnt vmcnt(12)
	v_fma_f64 v[35:36], v[12:13], v[137:138], -v[35:36]
	v_mul_f64 v[31:32], v[5:6], v[51:52]
	v_fma_f64 v[13:14], v[14:15], v[137:138], v[18:19]
	v_add_f64 v[16:17], v[16:17], v[22:23]
	v_add_f64 v[18:19], v[9:10], v[20:21]
	ds_read_b128 v[9:12], v11 offset:1264
	s_waitcnt vmcnt(11) lgkmcnt(1)
	v_mul_f64 v[22:23], v[3:4], v[142:143]
	v_mul_f64 v[20:21], v[1:2], v[142:143]
	s_waitcnt vmcnt(9)
	v_fma_f64 v[5:6], v[5:6], v[55:56], -v[33:34]
	v_fma_f64 v[7:8], v[7:8], v[55:56], v[31:32]
	v_add_f64 v[15:16], v[16:17], v[35:36]
	v_add_f64 v[13:14], v[18:19], v[13:14]
	s_waitcnt vmcnt(7) lgkmcnt(0)
	v_mul_f64 v[31:32], v[11:12], v[59:60]
	s_waitcnt vmcnt(6)
	v_fma_f64 v[1:2], v[1:2], v[146:147], -v[22:23]
	v_mul_f64 v[17:18], v[9:10], v[59:60]
	v_fma_f64 v[3:4], v[3:4], v[146:147], v[20:21]
	v_add_f64 v[5:6], v[15:16], v[5:6]
	v_add_f64 v[7:8], v[13:14], v[7:8]
	s_waitcnt vmcnt(4)
	v_fma_f64 v[9:10], v[9:10], v[63:64], -v[31:32]
	v_add_f64 v[1:2], v[5:6], v[1:2]
	v_fma_f64 v[5:6], v[11:12], v[63:64], v[17:18]
	v_add_f64 v[3:4], v[7:8], v[3:4]
	v_add_f64 v[1:2], v[1:2], v[9:10]
	;; [unrolled: 1-line block ×3, first 2 shown]
	s_waitcnt vmcnt(2)
	v_add_f64 v[1:2], v[144:145], -v[1:2]
	s_waitcnt vmcnt(0)
	v_add_f64 v[3:4], v[154:155], -v[3:4]
	buffer_store_dword v2, off, s[0:3], 0 offset:164
	buffer_store_dword v1, off, s[0:3], 0 offset:160
	;; [unrolled: 1-line block ×4, first 2 shown]
	v_cmpx_lt_u32_e32 8, v0
	s_cbranch_execz .LBB39_237
; %bb.236:
	v_mov_b32_e32 v4, s44
	v_mov_b32_e32 v5, 0
	s_clause 0x3
	buffer_load_dword v1, v4, s[0:3], 0 offen
	buffer_load_dword v2, v4, s[0:3], 0 offen offset:4
	buffer_load_dword v3, v4, s[0:3], 0 offen offset:8
	;; [unrolled: 1-line block ×3, first 2 shown]
	buffer_store_dword v5, off, s[0:3], 0 offset:144
	buffer_store_dword v5, off, s[0:3], 0 offset:148
	;; [unrolled: 1-line block ×4, first 2 shown]
	s_waitcnt vmcnt(0)
	ds_write_b128 v141, v[1:4]
.LBB39_237:
	s_or_b32 exec_lo, exec_lo, s4
	s_waitcnt lgkmcnt(0)
	s_waitcnt_vscnt null, 0x0
	s_barrier
	buffer_gl0_inv
	s_clause 0x37
	buffer_load_dword v9, off, s[0:3], 0 offset:168
	buffer_load_dword v10, off, s[0:3], 0 offset:172
	;; [unrolled: 1-line block ×56, first 2 shown]
	v_mov_b32_e32 v35, 0
	s_mov_b32 s4, exec_lo
	ds_read_b128 v[17:20], v35 offset:784
	s_clause 0x2
	buffer_load_dword v151, off, s[0:3], 0 offset:396
	buffer_load_dword v155, off, s[0:3], 0 offset:372
	buffer_load_dword v154, off, s[0:3], 0 offset:368
	ds_read_b128 v[21:24], v35 offset:800
	s_clause 0x4
	buffer_load_dword v159, off, s[0:3], 0 offset:412
	buffer_load_dword v160, off, s[0:3], 0 offset:424
	;; [unrolled: 1-line block ×5, first 2 shown]
	ds_read_b128 v[31:34], v35 offset:816
	s_clause 0x2
	buffer_load_dword v161, off, s[0:3], 0 offset:428
	buffer_load_dword v166, off, s[0:3], 0 offset:404
	;; [unrolled: 1-line block ×3, first 2 shown]
	s_waitcnt vmcnt(62) lgkmcnt(2)
	v_mul_f64 v[156:157], v[19:20], v[9:10]
	v_mul_f64 v[9:10], v[17:18], v[9:10]
	s_waitcnt lgkmcnt(1)
	v_mul_f64 v[163:164], v[23:24], v[5:6]
	s_waitcnt vmcnt(59) lgkmcnt(0)
	v_mul_f64 v[167:168], v[33:34], v[3:4]
	v_fma_f64 v[17:18], v[17:18], v[7:8], -v[156:157]
	v_mul_f64 v[156:157], v[21:22], v[5:6]
	v_fma_f64 v[9:10], v[19:20], v[7:8], v[9:10]
	s_waitcnt vmcnt(57)
	v_fma_f64 v[21:22], v[21:22], v[1:2], -v[163:164]
	ds_read_b128 v[5:8], v35 offset:832
	v_mul_f64 v[19:20], v[31:32], v[3:4]
	s_waitcnt vmcnt(51)
	v_fma_f64 v[31:32], v[31:32], v[38:39], -v[167:168]
	v_add_f64 v[17:18], v[17:18], 0
	v_fma_f64 v[23:24], v[23:24], v[1:2], v[156:157]
	v_add_f64 v[9:10], v[9:10], 0
	s_clause 0x4
	buffer_load_dword v157, off, s[0:3], 0 offset:444
	buffer_load_dword v169, off, s[0:3], 0 offset:456
	;; [unrolled: 1-line block ×5, first 2 shown]
	s_waitcnt lgkmcnt(0)
	v_mul_f64 v[172:173], v[5:6], v[13:14]
	v_mul_f64 v[13:14], v[7:8], v[13:14]
	ds_read_b128 v[1:4], v35 offset:848
	v_fma_f64 v[33:34], v[33:34], v[38:39], v[19:20]
	v_add_f64 v[21:22], v[17:18], v[21:22]
	v_add_f64 v[9:10], v[9:10], v[23:24]
	s_clause 0x2
	buffer_load_dword v170, off, s[0:3], 0 offset:460
	buffer_load_dword v24, off, s[0:3], 0 offset:436
	;; [unrolled: 1-line block ×3, first 2 shown]
	s_waitcnt vmcnt(58) lgkmcnt(0)
	v_mul_f64 v[38:39], v[1:2], v[36:37]
	v_mul_f64 v[36:37], v[3:4], v[36:37]
	s_waitcnt vmcnt(56)
	v_fma_f64 v[13:14], v[5:6], v[40:41], -v[13:14]
	ds_read_b128 v[17:20], v35 offset:864
	v_add_f64 v[21:22], v[21:22], v[31:32]
	v_fma_f64 v[31:32], v[7:8], v[40:41], v[172:173]
	v_add_f64 v[9:10], v[9:10], v[33:34]
	s_clause 0x4
	buffer_load_dword v34, off, s[0:3], 0 offset:476
	buffer_load_dword v40, off, s[0:3], 0 offset:488
	;; [unrolled: 1-line block ×5, first 2 shown]
	ds_read_b128 v[5:8], v35 offset:880
	s_waitcnt vmcnt(57) lgkmcnt(1)
	v_mul_f64 v[173:174], v[17:18], v[42:43]
	v_mul_f64 v[42:43], v[19:20], v[42:43]
	s_waitcnt vmcnt(56)
	v_fma_f64 v[36:37], v[1:2], v[11:12], -v[36:37]
	v_fma_f64 v[11:12], v[3:4], v[11:12], v[38:39]
	v_add_f64 v[13:14], v[21:22], v[13:14]
	s_clause 0x2
	buffer_load_dword v41, off, s[0:3], 0 offset:492
	buffer_load_dword v22, off, s[0:3], 0 offset:468
	;; [unrolled: 1-line block ×3, first 2 shown]
	v_add_f64 v[9:10], v[9:10], v[31:32]
	s_waitcnt vmcnt(58) lgkmcnt(0)
	v_mul_f64 v[38:39], v[7:8], v[47:48]
	ds_read_b128 v[1:4], v35 offset:896
	v_mul_f64 v[31:32], v[5:6], v[47:48]
	s_waitcnt vmcnt(56)
	v_fma_f64 v[17:18], v[17:18], v[49:50], -v[42:43]
	v_fma_f64 v[19:20], v[19:20], v[49:50], v[173:174]
	s_clause 0x4
	buffer_load_dword v43, off, s[0:3], 0 offset:508
	buffer_load_dword v47, off, s[0:3], 0 offset:520
	buffer_load_dword v49, off, s[0:3], 0 offset:512
	buffer_load_dword v42, off, s[0:3], 0 offset:504
	buffer_load_dword v168, off, s[0:3], 0 offset:484
	v_add_f64 v[13:14], v[13:14], v[36:37]
	v_add_f64 v[36:37], v[9:10], v[11:12]
	s_waitcnt vmcnt(57) lgkmcnt(0)
	v_mul_f64 v[173:174], v[1:2], v[51:52]
	v_mul_f64 v[50:51], v[3:4], v[51:52]
	s_waitcnt vmcnt(56)
	v_fma_f64 v[38:39], v[5:6], v[15:16], -v[38:39]
	ds_read_b128 v[9:12], v35 offset:912
	v_fma_f64 v[15:16], v[7:8], v[15:16], v[31:32]
	v_add_f64 v[13:14], v[13:14], v[17:18]
	v_add_f64 v[17:18], v[36:37], v[19:20]
	s_clause 0x2
	buffer_load_dword v48, off, s[0:3], 0 offset:524
	buffer_load_dword v20, off, s[0:3], 0 offset:500
	;; [unrolled: 1-line block ×3, first 2 shown]
	s_waitcnt vmcnt(58) lgkmcnt(0)
	v_mul_f64 v[36:37], v[11:12], v[53:54]
	s_waitcnt vmcnt(56)
	v_fma_f64 v[51:52], v[1:2], v[57:58], -v[50:51]
	ds_read_b128 v[5:8], v35 offset:928
	v_mul_f64 v[31:32], v[9:10], v[53:54]
	v_add_f64 v[13:14], v[13:14], v[38:39]
	v_fma_f64 v[38:39], v[3:4], v[57:58], v[173:174]
	v_add_f64 v[15:16], v[17:18], v[15:16]
	s_clause 0x4
	buffer_load_dword v18, off, s[0:3], 0 offset:540
	buffer_load_dword v53, off, s[0:3], 0 offset:552
	buffer_load_dword v57, off, s[0:3], 0 offset:544
	buffer_load_dword v17, off, s[0:3], 0 offset:536
	buffer_load_dword v50, off, s[0:3], 0 offset:516
	s_waitcnt vmcnt(57) lgkmcnt(0)
	v_mul_f64 v[173:174], v[5:6], v[59:60]
	v_mul_f64 v[58:59], v[7:8], v[59:60]
	s_waitcnt vmcnt(56)
	v_fma_f64 v[36:37], v[9:10], v[55:56], -v[36:37]
	ds_read_b128 v[1:4], v35 offset:944
	v_fma_f64 v[31:32], v[11:12], v[55:56], v[31:32]
	v_add_f64 v[13:14], v[13:14], v[51:52]
	v_add_f64 v[15:16], v[15:16], v[38:39]
	s_clause 0x2
	buffer_load_dword v54, off, s[0:3], 0 offset:556
	buffer_load_dword v39, off, s[0:3], 0 offset:532
	buffer_load_dword v38, off, s[0:3], 0 offset:528
	ds_read_b128 v[9:12], v35 offset:960
	s_waitcnt vmcnt(58) lgkmcnt(1)
	v_mul_f64 v[55:56], v[3:4], v[61:62]
	s_waitcnt vmcnt(56)
	v_fma_f64 v[59:60], v[5:6], v[137:138], -v[58:59]
	v_mul_f64 v[51:52], v[1:2], v[61:62]
	v_add_f64 v[13:14], v[13:14], v[36:37]
	v_fma_f64 v[36:37], v[7:8], v[137:138], v[173:174]
	v_add_f64 v[15:16], v[15:16], v[31:32]
	s_clause 0x4
	buffer_load_dword v32, off, s[0:3], 0 offset:572
	buffer_load_dword v61, off, s[0:3], 0 offset:584
	buffer_load_dword v137, off, s[0:3], 0 offset:576
	buffer_load_dword v31, off, s[0:3], 0 offset:568
	buffer_load_dword v58, off, s[0:3], 0 offset:548
	s_waitcnt vmcnt(57) lgkmcnt(0)
	v_mul_f64 v[173:174], v[9:10], v[139:140]
	v_mul_f64 v[138:139], v[11:12], v[139:140]
	s_waitcnt vmcnt(56)
	v_fma_f64 v[55:56], v[1:2], v[63:64], -v[55:56]
	ds_read_b128 v[5:8], v35 offset:976
	v_fma_f64 v[51:52], v[3:4], v[63:64], v[51:52]
	v_add_f64 v[13:14], v[13:14], v[59:60]
	v_add_f64 v[15:16], v[15:16], v[36:37]
	s_clause 0x2
	buffer_load_dword v62, off, s[0:3], 0 offset:588
	buffer_load_dword v37, off, s[0:3], 0 offset:564
	buffer_load_dword v36, off, s[0:3], 0 offset:560
	ds_read_b128 v[1:4], v35 offset:992
	s_waitcnt vmcnt(58) lgkmcnt(1)
	v_mul_f64 v[63:64], v[7:8], v[142:143]
	s_waitcnt vmcnt(56)
	v_fma_f64 v[139:140], v[9:10], v[146:147], -v[138:139]
	;; [unrolled: 28-line block ×4, first 2 shown]
	v_mul_f64 v[148:149], v[1:2], v[160:161]
	buffer_load_dword v155, off, s[0:3], 0 offset:644
	v_add_f64 v[13:14], v[13:14], v[144:145]
	v_fma_f64 v[144:145], v[7:8], v[165:166], v[173:174]
	v_add_f64 v[15:16], v[15:16], v[139:140]
	ds_read_b128 v[5:8], v35 offset:1072
	s_waitcnt vmcnt(53) lgkmcnt(1)
	v_mul_f64 v[139:140], v[9:10], v[156:157]
	v_mul_f64 v[156:157], v[11:12], v[156:157]
	s_waitcnt vmcnt(52)
	v_fma_f64 v[152:153], v[1:2], v[162:163], -v[152:153]
	v_fma_f64 v[148:149], v[3:4], v[162:163], v[148:149]
	ds_read_b128 v[1:4], v35 offset:1088
	v_add_f64 v[13:14], v[13:14], v[158:159]
	v_add_f64 v[15:16], v[15:16], v[144:145]
	s_waitcnt vmcnt(51) lgkmcnt(1)
	v_mul_f64 v[158:159], v[7:8], v[169:170]
	v_mul_f64 v[144:145], v[5:6], v[169:170]
	s_waitcnt vmcnt(49)
	v_fma_f64 v[156:157], v[9:10], v[23:24], -v[156:157]
	v_fma_f64 v[23:24], v[11:12], v[23:24], v[139:140]
	v_add_f64 v[13:14], v[13:14], v[152:153]
	v_add_f64 v[15:16], v[15:16], v[148:149]
	s_clause 0x3
	buffer_load_dword v139, off, s[0:3], 0 offset:144
	buffer_load_dword v140, off, s[0:3], 0 offset:148
	;; [unrolled: 1-line block ×4, first 2 shown]
	ds_read_b128 v[9:12], v35 offset:1104
	s_waitcnt vmcnt(49) lgkmcnt(1)
	v_mul_f64 v[152:153], v[1:2], v[33:34]
	v_mul_f64 v[33:34], v[3:4], v[33:34]
	s_waitcnt vmcnt(48)
	v_fma_f64 v[158:159], v[5:6], v[171:172], -v[158:159]
	v_fma_f64 v[144:145], v[7:8], v[171:172], v[144:145]
	ds_read_b128 v[5:8], v35 offset:1120
	v_add_f64 v[13:14], v[13:14], v[156:157]
	v_add_f64 v[15:16], v[15:16], v[23:24]
	s_waitcnt vmcnt(47) lgkmcnt(1)
	v_mul_f64 v[23:24], v[9:10], v[40:41]
	v_mul_f64 v[40:41], v[11:12], v[40:41]
	s_waitcnt vmcnt(45)
	v_fma_f64 v[33:34], v[1:2], v[21:22], -v[33:34]
	v_fma_f64 v[21:22], v[3:4], v[21:22], v[152:153]
	ds_read_b128 v[1:4], v35 offset:1136
	v_add_f64 v[13:14], v[13:14], v[158:159]
	v_add_f64 v[15:16], v[15:16], v[144:145]
	s_waitcnt vmcnt(41) lgkmcnt(1)
	v_mul_f64 v[144:145], v[5:6], v[42:43]
	v_mul_f64 v[42:43], v[7:8], v[42:43]
	s_waitcnt vmcnt(40)
	v_fma_f64 v[23:24], v[11:12], v[167:168], v[23:24]
	v_fma_f64 v[40:41], v[9:10], v[167:168], -v[40:41]
	ds_read_b128 v[9:12], v35 offset:1152
	v_add_f64 v[13:14], v[13:14], v[33:34]
	v_add_f64 v[15:16], v[15:16], v[21:22]
	s_waitcnt vmcnt(39) lgkmcnt(1)
	v_mul_f64 v[33:34], v[3:4], v[47:48]
	v_mul_f64 v[21:22], v[1:2], v[47:48]
	s_waitcnt vmcnt(37)
	v_fma_f64 v[42:43], v[5:6], v[19:20], -v[42:43]
	v_fma_f64 v[19:20], v[7:8], v[19:20], v[144:145]
	ds_read_b128 v[5:8], v35 offset:1168
	v_add_f64 v[13:14], v[13:14], v[40:41]
	v_add_f64 v[15:16], v[15:16], v[23:24]
	s_waitcnt vmcnt(33) lgkmcnt(1)
	v_mul_f64 v[23:24], v[9:10], v[17:18]
	v_mul_f64 v[17:18], v[11:12], v[17:18]
	s_waitcnt vmcnt(32)
	v_fma_f64 v[33:34], v[1:2], v[49:50], -v[33:34]
	v_fma_f64 v[21:22], v[3:4], v[49:50], v[21:22]
	ds_read_b128 v[1:4], v35 offset:1184
	v_add_f64 v[13:14], v[13:14], v[42:43]
	v_add_f64 v[15:16], v[15:16], v[19:20]
	s_waitcnt vmcnt(31) lgkmcnt(1)
	v_mul_f64 v[40:41], v[7:8], v[53:54]
	v_mul_f64 v[19:20], v[5:6], v[53:54]
	s_waitcnt vmcnt(29)
	v_fma_f64 v[17:18], v[9:10], v[38:39], -v[17:18]
	v_fma_f64 v[23:24], v[11:12], v[38:39], v[23:24]
	ds_read_b128 v[9:12], v35 offset:1200
	v_add_f64 v[13:14], v[13:14], v[33:34]
	v_add_f64 v[15:16], v[15:16], v[21:22]
	s_waitcnt vmcnt(25) lgkmcnt(1)
	v_mul_f64 v[21:22], v[1:2], v[31:32]
	v_mul_f64 v[31:32], v[3:4], v[31:32]
	s_waitcnt vmcnt(24)
	v_fma_f64 v[33:34], v[5:6], v[57:58], -v[40:41]
	v_add_f64 v[13:14], v[13:14], v[17:18]
	v_fma_f64 v[17:18], v[7:8], v[57:58], v[19:20]
	v_add_f64 v[15:16], v[15:16], v[23:24]
	ds_read_b128 v[5:8], v35 offset:1216
	s_waitcnt vmcnt(23) lgkmcnt(1)
	v_mul_f64 v[23:24], v[11:12], v[61:62]
	v_mul_f64 v[19:20], v[9:10], v[61:62]
	s_waitcnt vmcnt(21)
	v_fma_f64 v[31:32], v[1:2], v[36:37], -v[31:32]
	v_fma_f64 v[21:22], v[3:4], v[36:37], v[21:22]
	ds_read_b128 v[1:4], v35 offset:1232
	v_add_f64 v[13:14], v[13:14], v[33:34]
	v_add_f64 v[15:16], v[15:16], v[17:18]
	s_waitcnt vmcnt(17) lgkmcnt(1)
	v_mul_f64 v[33:34], v[7:8], v[51:52]
	s_waitcnt vmcnt(16)
	v_fma_f64 v[23:24], v[9:10], v[137:138], -v[23:24]
	v_mul_f64 v[17:18], v[5:6], v[51:52]
	v_fma_f64 v[19:20], v[11:12], v[137:138], v[19:20]
	ds_read_b128 v[9:12], v35 offset:1248
	v_add_f64 v[13:14], v[13:14], v[31:32]
	v_add_f64 v[15:16], v[15:16], v[21:22]
	s_waitcnt vmcnt(15) lgkmcnt(1)
	v_mul_f64 v[31:32], v[3:4], v[142:143]
	v_mul_f64 v[21:22], v[1:2], v[142:143]
	s_waitcnt vmcnt(13)
	v_fma_f64 v[33:34], v[5:6], v[55:56], -v[33:34]
	v_fma_f64 v[17:18], v[7:8], v[55:56], v[17:18]
	ds_read_b128 v[5:8], v35 offset:1264
	v_add_f64 v[13:14], v[13:14], v[23:24]
	v_add_f64 v[15:16], v[15:16], v[19:20]
	s_waitcnt vmcnt(9) lgkmcnt(1)
	v_mul_f64 v[23:24], v[11:12], v[59:60]
	s_waitcnt vmcnt(8)
	v_fma_f64 v[1:2], v[1:2], v[146:147], -v[31:32]
	v_mul_f64 v[19:20], v[9:10], v[59:60]
	v_fma_f64 v[3:4], v[3:4], v[146:147], v[21:22]
	v_add_f64 v[13:14], v[13:14], v[33:34]
	v_add_f64 v[15:16], v[15:16], v[17:18]
	s_waitcnt vmcnt(7) lgkmcnt(0)
	v_mul_f64 v[21:22], v[7:8], v[150:151]
	v_mul_f64 v[17:18], v[5:6], v[150:151]
	s_waitcnt vmcnt(5)
	v_fma_f64 v[9:10], v[9:10], v[63:64], -v[23:24]
	v_fma_f64 v[11:12], v[11:12], v[63:64], v[19:20]
	v_add_f64 v[1:2], v[13:14], v[1:2]
	v_add_f64 v[3:4], v[15:16], v[3:4]
	s_waitcnt vmcnt(4)
	v_fma_f64 v[5:6], v[5:6], v[154:155], -v[21:22]
	v_fma_f64 v[7:8], v[7:8], v[154:155], v[17:18]
	v_add_f64 v[1:2], v[1:2], v[9:10]
	v_add_f64 v[3:4], v[3:4], v[11:12]
	;; [unrolled: 1-line block ×4, first 2 shown]
	s_waitcnt vmcnt(2)
	v_add_f64 v[1:2], v[139:140], -v[1:2]
	s_waitcnt vmcnt(0)
	v_add_f64 v[3:4], v[148:149], -v[3:4]
	buffer_store_dword v2, off, s[0:3], 0 offset:148
	buffer_store_dword v1, off, s[0:3], 0 offset:144
	;; [unrolled: 1-line block ×4, first 2 shown]
	v_cmpx_lt_u32_e32 7, v0
	s_cbranch_execz .LBB39_239
; %bb.238:
	v_mov_b32_e32 v4, s45
	s_clause 0x3
	buffer_load_dword v1, v4, s[0:3], 0 offen
	buffer_load_dword v2, v4, s[0:3], 0 offen offset:4
	buffer_load_dword v3, v4, s[0:3], 0 offen offset:8
	buffer_load_dword v4, v4, s[0:3], 0 offen offset:12
	buffer_store_dword v35, off, s[0:3], 0 offset:128
	buffer_store_dword v35, off, s[0:3], 0 offset:132
	buffer_store_dword v35, off, s[0:3], 0 offset:136
	buffer_store_dword v35, off, s[0:3], 0 offset:140
	s_waitcnt vmcnt(0)
	ds_write_b128 v141, v[1:4]
.LBB39_239:
	s_or_b32 exec_lo, exec_lo, s4
	s_waitcnt lgkmcnt(0)
	s_waitcnt_vscnt null, 0x0
	s_barrier
	buffer_gl0_inv
	s_clause 0x37
	buffer_load_dword v9, off, s[0:3], 0 offset:152
	buffer_load_dword v10, off, s[0:3], 0 offset:156
	;; [unrolled: 1-line block ×56, first 2 shown]
	ds_read_b128 v[36:39], v35 offset:768
	s_clause 0x2
	buffer_load_dword v151, off, s[0:3], 0 offset:380
	buffer_load_dword v155, off, s[0:3], 0 offset:356
	;; [unrolled: 1-line block ×3, first 2 shown]
	ds_read_b128 v[40:43], v35 offset:784
	s_clause 0x4
	buffer_load_dword v159, off, s[0:3], 0 offset:396
	buffer_load_dword v160, off, s[0:3], 0 offset:408
	buffer_load_dword v162, off, s[0:3], 0 offset:400
	buffer_load_dword v158, off, s[0:3], 0 offset:392
	buffer_load_dword v153, off, s[0:3], 0 offset:372
	ds_read_b128 v[47:50], v35 offset:800
	s_clause 0x2
	buffer_load_dword v161, off, s[0:3], 0 offset:412
	buffer_load_dword v166, off, s[0:3], 0 offset:388
	;; [unrolled: 1-line block ×3, first 2 shown]
	s_mov_b32 s4, exec_lo
	s_waitcnt vmcnt(62) lgkmcnt(2)
	v_mul_f64 v[156:157], v[38:39], v[9:10]
	v_mul_f64 v[9:10], v[36:37], v[9:10]
	s_waitcnt lgkmcnt(1)
	v_mul_f64 v[163:164], v[42:43], v[5:6]
	s_waitcnt vmcnt(59) lgkmcnt(0)
	v_mul_f64 v[167:168], v[49:50], v[3:4]
	v_fma_f64 v[36:37], v[36:37], v[7:8], -v[156:157]
	v_mul_f64 v[156:157], v[40:41], v[5:6]
	v_fma_f64 v[9:10], v[38:39], v[7:8], v[9:10]
	s_waitcnt vmcnt(57)
	v_fma_f64 v[40:41], v[40:41], v[1:2], -v[163:164]
	ds_read_b128 v[5:8], v35 offset:816
	v_mul_f64 v[38:39], v[47:48], v[3:4]
	s_waitcnt vmcnt(51)
	v_fma_f64 v[47:48], v[47:48], v[31:32], -v[167:168]
	v_add_f64 v[36:37], v[36:37], 0
	v_fma_f64 v[42:43], v[42:43], v[1:2], v[156:157]
	v_add_f64 v[9:10], v[9:10], 0
	s_clause 0x4
	buffer_load_dword v157, off, s[0:3], 0 offset:428
	buffer_load_dword v169, off, s[0:3], 0 offset:440
	;; [unrolled: 1-line block ×5, first 2 shown]
	s_waitcnt lgkmcnt(0)
	v_mul_f64 v[172:173], v[5:6], v[13:14]
	v_mul_f64 v[13:14], v[7:8], v[13:14]
	ds_read_b128 v[1:4], v35 offset:832
	v_fma_f64 v[31:32], v[49:50], v[31:32], v[38:39]
	v_add_f64 v[40:41], v[36:37], v[40:41]
	v_add_f64 v[9:10], v[9:10], v[42:43]
	s_clause 0x2
	buffer_load_dword v170, off, s[0:3], 0 offset:444
	buffer_load_dword v43, off, s[0:3], 0 offset:420
	;; [unrolled: 1-line block ×3, first 2 shown]
	s_waitcnt vmcnt(58) lgkmcnt(0)
	v_mul_f64 v[49:50], v[1:2], v[17:18]
	v_mul_f64 v[17:18], v[3:4], v[17:18]
	s_waitcnt vmcnt(56)
	v_fma_f64 v[13:14], v[5:6], v[19:20], -v[13:14]
	ds_read_b128 v[36:39], v35 offset:848
	v_fma_f64 v[19:20], v[7:8], v[19:20], v[172:173]
	v_add_f64 v[40:41], v[40:41], v[47:48]
	v_add_f64 v[9:10], v[9:10], v[31:32]
	s_clause 0x4
	buffer_load_dword v32, off, s[0:3], 0 offset:460
	buffer_load_dword v47, off, s[0:3], 0 offset:472
	;; [unrolled: 1-line block ×5, first 2 shown]
	ds_read_b128 v[5:8], v35 offset:864
	s_waitcnt vmcnt(57) lgkmcnt(1)
	v_mul_f64 v[173:174], v[36:37], v[21:22]
	v_mul_f64 v[21:22], v[38:39], v[21:22]
	s_waitcnt vmcnt(56)
	v_fma_f64 v[17:18], v[1:2], v[11:12], -v[17:18]
	v_fma_f64 v[11:12], v[3:4], v[11:12], v[49:50]
	v_add_f64 v[13:14], v[40:41], v[13:14]
	v_add_f64 v[9:10], v[9:10], v[19:20]
	s_clause 0x2
	buffer_load_dword v48, off, s[0:3], 0 offset:476
	buffer_load_dword v20, off, s[0:3], 0 offset:452
	;; [unrolled: 1-line block ×3, first 2 shown]
	s_waitcnt vmcnt(58) lgkmcnt(0)
	v_mul_f64 v[40:41], v[5:6], v[33:34]
	v_mul_f64 v[33:34], v[7:8], v[33:34]
	s_waitcnt vmcnt(56)
	v_fma_f64 v[21:22], v[36:37], v[51:52], -v[21:22]
	ds_read_b128 v[1:4], v35 offset:880
	v_add_f64 v[13:14], v[13:14], v[17:18]
	v_fma_f64 v[17:18], v[38:39], v[51:52], v[173:174]
	v_add_f64 v[36:37], v[9:10], v[11:12]
	s_clause 0x4
	buffer_load_dword v39, off, s[0:3], 0 offset:492
	buffer_load_dword v49, off, s[0:3], 0 offset:504
	;; [unrolled: 1-line block ×5, first 2 shown]
	ds_read_b128 v[9:12], v35 offset:896
	s_waitcnt vmcnt(57) lgkmcnt(1)
	v_mul_f64 v[173:174], v[1:2], v[53:54]
	v_mul_f64 v[52:53], v[3:4], v[53:54]
	s_waitcnt vmcnt(56)
	v_fma_f64 v[33:34], v[5:6], v[15:16], -v[33:34]
	v_fma_f64 v[15:16], v[7:8], v[15:16], v[40:41]
	v_add_f64 v[13:14], v[13:14], v[21:22]
	s_clause 0x2
	buffer_load_dword v50, off, s[0:3], 0 offset:508
	buffer_load_dword v22, off, s[0:3], 0 offset:484
	;; [unrolled: 1-line block ×3, first 2 shown]
	v_add_f64 v[17:18], v[36:37], v[17:18]
	s_waitcnt vmcnt(58) lgkmcnt(0)
	v_mul_f64 v[40:41], v[11:12], v[55:56]
	ds_read_b128 v[5:8], v35 offset:912
	v_mul_f64 v[36:37], v[9:10], v[55:56]
	s_waitcnt vmcnt(56)
	v_fma_f64 v[53:54], v[1:2], v[57:58], -v[52:53]
	v_add_f64 v[13:14], v[13:14], v[33:34]
	v_fma_f64 v[33:34], v[3:4], v[57:58], v[173:174]
	v_add_f64 v[15:16], v[17:18], v[15:16]
	s_clause 0x4
	buffer_load_dword v18, off, s[0:3], 0 offset:524
	buffer_load_dword v55, off, s[0:3], 0 offset:536
	buffer_load_dword v57, off, s[0:3], 0 offset:528
	buffer_load_dword v17, off, s[0:3], 0 offset:520
	buffer_load_dword v52, off, s[0:3], 0 offset:500
	s_waitcnt vmcnt(57) lgkmcnt(0)
	v_mul_f64 v[173:174], v[5:6], v[59:60]
	v_mul_f64 v[58:59], v[7:8], v[59:60]
	s_waitcnt vmcnt(56)
	v_fma_f64 v[40:41], v[9:10], v[23:24], -v[40:41]
	ds_read_b128 v[1:4], v35 offset:928
	v_fma_f64 v[23:24], v[11:12], v[23:24], v[36:37]
	v_add_f64 v[13:14], v[13:14], v[53:54]
	v_add_f64 v[15:16], v[15:16], v[33:34]
	s_clause 0x2
	buffer_load_dword v56, off, s[0:3], 0 offset:540
	buffer_load_dword v34, off, s[0:3], 0 offset:516
	buffer_load_dword v33, off, s[0:3], 0 offset:512
	ds_read_b128 v[9:12], v35 offset:944
	s_waitcnt vmcnt(58) lgkmcnt(1)
	v_mul_f64 v[53:54], v[3:4], v[61:62]
	s_waitcnt vmcnt(56)
	v_fma_f64 v[59:60], v[5:6], v[137:138], -v[58:59]
	v_mul_f64 v[36:37], v[1:2], v[61:62]
	v_add_f64 v[13:14], v[13:14], v[40:41]
	v_fma_f64 v[40:41], v[7:8], v[137:138], v[173:174]
	v_add_f64 v[15:16], v[15:16], v[23:24]
	s_clause 0x4
	buffer_load_dword v24, off, s[0:3], 0 offset:556
	buffer_load_dword v61, off, s[0:3], 0 offset:568
	buffer_load_dword v137, off, s[0:3], 0 offset:560
	buffer_load_dword v23, off, s[0:3], 0 offset:552
	buffer_load_dword v58, off, s[0:3], 0 offset:532
	s_waitcnt vmcnt(57) lgkmcnt(0)
	v_mul_f64 v[173:174], v[9:10], v[139:140]
	v_mul_f64 v[138:139], v[11:12], v[139:140]
	s_waitcnt vmcnt(56)
	v_fma_f64 v[53:54], v[1:2], v[63:64], -v[53:54]
	ds_read_b128 v[5:8], v35 offset:960
	v_fma_f64 v[36:37], v[3:4], v[63:64], v[36:37]
	v_add_f64 v[13:14], v[13:14], v[59:60]
	v_add_f64 v[15:16], v[15:16], v[40:41]
	s_clause 0x2
	buffer_load_dword v62, off, s[0:3], 0 offset:572
	buffer_load_dword v41, off, s[0:3], 0 offset:548
	buffer_load_dword v40, off, s[0:3], 0 offset:544
	ds_read_b128 v[1:4], v35 offset:976
	s_waitcnt vmcnt(58) lgkmcnt(1)
	v_mul_f64 v[63:64], v[7:8], v[142:143]
	s_waitcnt vmcnt(56)
	v_fma_f64 v[139:140], v[9:10], v[146:147], -v[138:139]
	v_mul_f64 v[59:60], v[5:6], v[142:143]
	;; [unrolled: 28-line block ×4, first 2 shown]
	v_add_f64 v[13:14], v[13:14], v[144:145]
	v_fma_f64 v[144:145], v[7:8], v[165:166], v[173:174]
	v_add_f64 v[15:16], v[15:16], v[139:140]
	s_clause 0x2
	buffer_load_dword v140, off, s[0:3], 0 offset:652
	buffer_load_dword v139, off, s[0:3], 0 offset:648
	;; [unrolled: 1-line block ×3, first 2 shown]
	ds_read_b128 v[5:8], v35 offset:1056
	s_waitcnt vmcnt(55) lgkmcnt(1)
	v_mul_f64 v[160:161], v[9:10], v[156:157]
	v_mul_f64 v[156:157], v[11:12], v[156:157]
	s_waitcnt vmcnt(54)
	v_fma_f64 v[152:153], v[1:2], v[162:163], -v[152:153]
	v_fma_f64 v[148:149], v[3:4], v[162:163], v[148:149]
	v_add_f64 v[13:14], v[13:14], v[158:159]
	v_add_f64 v[15:16], v[15:16], v[144:145]
	s_clause 0x1
	buffer_load_dword v145, off, s[0:3], 0 offset:644
	buffer_load_dword v144, off, s[0:3], 0 offset:640
	ds_read_b128 v[1:4], v35 offset:1072
	s_waitcnt vmcnt(55) lgkmcnt(1)
	v_mul_f64 v[162:163], v[7:8], v[169:170]
	v_mul_f64 v[158:159], v[5:6], v[169:170]
	s_waitcnt vmcnt(53)
	v_fma_f64 v[156:157], v[9:10], v[42:43], -v[156:157]
	v_fma_f64 v[42:43], v[11:12], v[42:43], v[160:161]
	ds_read_b128 v[9:12], v35 offset:1088
	v_add_f64 v[13:14], v[13:14], v[152:153]
	v_add_f64 v[15:16], v[15:16], v[148:149]
	s_waitcnt vmcnt(49) lgkmcnt(1)
	v_mul_f64 v[148:149], v[1:2], v[31:32]
	v_mul_f64 v[31:32], v[3:4], v[31:32]
	s_waitcnt vmcnt(48)
	v_fma_f64 v[152:153], v[5:6], v[171:172], -v[162:163]
	v_add_f64 v[13:14], v[13:14], v[156:157]
	v_fma_f64 v[156:157], v[7:8], v[171:172], v[158:159]
	v_add_f64 v[15:16], v[15:16], v[42:43]
	s_clause 0x3
	buffer_load_dword v42, off, s[0:3], 0 offset:128
	buffer_load_dword v43, off, s[0:3], 0 offset:132
	;; [unrolled: 1-line block ×4, first 2 shown]
	ds_read_b128 v[5:8], v35 offset:1104
	s_waitcnt vmcnt(51) lgkmcnt(1)
	v_mul_f64 v[160:161], v[9:10], v[47:48]
	v_mul_f64 v[47:48], v[11:12], v[47:48]
	s_waitcnt vmcnt(49)
	v_fma_f64 v[31:32], v[1:2], v[19:20], -v[31:32]
	v_fma_f64 v[19:20], v[3:4], v[19:20], v[148:149]
	ds_read_b128 v[1:4], v35 offset:1120
	v_add_f64 v[13:14], v[13:14], v[152:153]
	v_add_f64 v[15:16], v[15:16], v[156:157]
	s_waitcnt vmcnt(45) lgkmcnt(1)
	v_mul_f64 v[148:149], v[5:6], v[38:39]
	v_mul_f64 v[38:39], v[7:8], v[38:39]
	s_waitcnt vmcnt(44)
	v_fma_f64 v[47:48], v[9:10], v[167:168], -v[47:48]
	v_add_f64 v[13:14], v[13:14], v[31:32]
	v_fma_f64 v[31:32], v[11:12], v[167:168], v[160:161]
	v_add_f64 v[15:16], v[15:16], v[19:20]
	ds_read_b128 v[9:12], v35 offset:1136
	s_waitcnt vmcnt(43) lgkmcnt(1)
	v_mul_f64 v[19:20], v[1:2], v[49:50]
	v_mul_f64 v[49:50], v[3:4], v[49:50]
	s_waitcnt vmcnt(41)
	v_fma_f64 v[38:39], v[5:6], v[21:22], -v[38:39]
	v_fma_f64 v[21:22], v[7:8], v[21:22], v[148:149]
	ds_read_b128 v[5:8], v35 offset:1152
	v_add_f64 v[13:14], v[13:14], v[47:48]
	v_add_f64 v[15:16], v[15:16], v[31:32]
	s_waitcnt vmcnt(37) lgkmcnt(1)
	v_mul_f64 v[31:32], v[9:10], v[17:18]
	v_mul_f64 v[17:18], v[11:12], v[17:18]
	s_waitcnt vmcnt(36)
	v_fma_f64 v[47:48], v[1:2], v[51:52], -v[49:50]
	v_fma_f64 v[19:20], v[3:4], v[51:52], v[19:20]
	ds_read_b128 v[1:4], v35 offset:1168
	v_add_f64 v[13:14], v[13:14], v[38:39]
	v_add_f64 v[15:16], v[15:16], v[21:22]
	;; [unrolled: 9-line block ×3, first 2 shown]
	s_waitcnt vmcnt(29) lgkmcnt(1)
	v_mul_f64 v[19:20], v[1:2], v[23:24]
	v_mul_f64 v[23:24], v[3:4], v[23:24]
	s_waitcnt vmcnt(28)
	v_fma_f64 v[33:34], v[5:6], v[57:58], -v[38:39]
	v_add_f64 v[13:14], v[13:14], v[17:18]
	v_fma_f64 v[17:18], v[7:8], v[57:58], v[21:22]
	v_add_f64 v[15:16], v[15:16], v[31:32]
	ds_read_b128 v[5:8], v35 offset:1200
	s_waitcnt vmcnt(27) lgkmcnt(1)
	v_mul_f64 v[31:32], v[11:12], v[61:62]
	v_mul_f64 v[21:22], v[9:10], v[61:62]
	s_waitcnt vmcnt(25)
	v_fma_f64 v[23:24], v[1:2], v[40:41], -v[23:24]
	v_fma_f64 v[19:20], v[3:4], v[40:41], v[19:20]
	ds_read_b128 v[1:4], v35 offset:1216
	v_add_f64 v[13:14], v[13:14], v[33:34]
	v_add_f64 v[15:16], v[15:16], v[17:18]
	s_waitcnt vmcnt(21) lgkmcnt(1)
	v_mul_f64 v[33:34], v[7:8], v[36:37]
	s_waitcnt vmcnt(20)
	v_fma_f64 v[31:32], v[9:10], v[137:138], -v[31:32]
	v_mul_f64 v[17:18], v[5:6], v[36:37]
	v_fma_f64 v[21:22], v[11:12], v[137:138], v[21:22]
	ds_read_b128 v[9:12], v35 offset:1232
	v_add_f64 v[13:14], v[13:14], v[23:24]
	v_add_f64 v[15:16], v[15:16], v[19:20]
	s_waitcnt vmcnt(19) lgkmcnt(1)
	v_mul_f64 v[23:24], v[3:4], v[142:143]
	v_mul_f64 v[19:20], v[1:2], v[142:143]
	s_waitcnt vmcnt(17)
	v_fma_f64 v[33:34], v[5:6], v[53:54], -v[33:34]
	v_fma_f64 v[17:18], v[7:8], v[53:54], v[17:18]
	ds_read_b128 v[5:8], v35 offset:1248
	v_add_f64 v[13:14], v[13:14], v[31:32]
	v_add_f64 v[15:16], v[15:16], v[21:22]
	s_waitcnt vmcnt(13) lgkmcnt(1)
	v_mul_f64 v[31:32], v[11:12], v[59:60]
	s_waitcnt vmcnt(12)
	v_fma_f64 v[23:24], v[1:2], v[146:147], -v[23:24]
	v_mul_f64 v[21:22], v[9:10], v[59:60]
	v_fma_f64 v[19:20], v[3:4], v[146:147], v[19:20]
	ds_read_b128 v[1:4], v35 offset:1264
	v_add_f64 v[13:14], v[13:14], v[33:34]
	v_add_f64 v[15:16], v[15:16], v[17:18]
	s_waitcnt vmcnt(11) lgkmcnt(1)
	v_mul_f64 v[33:34], v[7:8], v[150:151]
	v_mul_f64 v[17:18], v[5:6], v[150:151]
	s_waitcnt vmcnt(9)
	v_fma_f64 v[9:10], v[9:10], v[63:64], -v[31:32]
	v_fma_f64 v[11:12], v[11:12], v[63:64], v[21:22]
	v_add_f64 v[13:14], v[13:14], v[23:24]
	v_add_f64 v[15:16], v[15:16], v[19:20]
	s_waitcnt vmcnt(7) lgkmcnt(0)
	v_mul_f64 v[21:22], v[3:4], v[139:140]
	s_waitcnt vmcnt(6)
	v_fma_f64 v[5:6], v[5:6], v[154:155], -v[33:34]
	v_mul_f64 v[19:20], v[1:2], v[139:140]
	v_fma_f64 v[7:8], v[7:8], v[154:155], v[17:18]
	v_add_f64 v[9:10], v[13:14], v[9:10]
	v_add_f64 v[11:12], v[15:16], v[11:12]
	s_waitcnt vmcnt(4)
	v_fma_f64 v[1:2], v[1:2], v[144:145], -v[21:22]
	v_fma_f64 v[3:4], v[3:4], v[144:145], v[19:20]
	v_add_f64 v[5:6], v[9:10], v[5:6]
	v_add_f64 v[7:8], v[11:12], v[7:8]
	;; [unrolled: 1-line block ×4, first 2 shown]
	s_waitcnt vmcnt(2)
	v_add_f64 v[1:2], v[42:43], -v[1:2]
	s_waitcnt vmcnt(0)
	v_add_f64 v[3:4], v[158:159], -v[3:4]
	buffer_store_dword v2, off, s[0:3], 0 offset:132
	buffer_store_dword v1, off, s[0:3], 0 offset:128
	;; [unrolled: 1-line block ×4, first 2 shown]
	v_cmpx_lt_u32_e32 6, v0
	s_cbranch_execz .LBB39_241
; %bb.240:
	v_mov_b32_e32 v4, s46
	v_mov_b32_e32 v5, 0
	s_clause 0x3
	buffer_load_dword v1, v4, s[0:3], 0 offen
	buffer_load_dword v2, v4, s[0:3], 0 offen offset:4
	buffer_load_dword v3, v4, s[0:3], 0 offen offset:8
	;; [unrolled: 1-line block ×3, first 2 shown]
	buffer_store_dword v5, off, s[0:3], 0 offset:112
	buffer_store_dword v5, off, s[0:3], 0 offset:116
	;; [unrolled: 1-line block ×4, first 2 shown]
	s_waitcnt vmcnt(0)
	ds_write_b128 v141, v[1:4]
.LBB39_241:
	s_or_b32 exec_lo, exec_lo, s4
	s_waitcnt lgkmcnt(0)
	s_waitcnt_vscnt null, 0x0
	s_barrier
	buffer_gl0_inv
	s_clause 0x37
	buffer_load_dword v9, off, s[0:3], 0 offset:136
	buffer_load_dword v10, off, s[0:3], 0 offset:140
	;; [unrolled: 1-line block ×56, first 2 shown]
	v_mov_b32_e32 v59, 0
	s_mov_b32 s4, exec_lo
	ds_read_b128 v[47:50], v59 offset:752
	s_clause 0x2
	buffer_load_dword v151, off, s[0:3], 0 offset:364
	buffer_load_dword v155, off, s[0:3], 0 offset:340
	;; [unrolled: 1-line block ×3, first 2 shown]
	ds_read_b128 v[51:54], v59 offset:768
	s_clause 0x4
	buffer_load_dword v159, off, s[0:3], 0 offset:380
	buffer_load_dword v160, off, s[0:3], 0 offset:392
	;; [unrolled: 1-line block ×5, first 2 shown]
	ds_read_b128 v[55:58], v59 offset:784
	s_clause 0x2
	buffer_load_dword v161, off, s[0:3], 0 offset:396
	buffer_load_dword v166, off, s[0:3], 0 offset:372
	;; [unrolled: 1-line block ×3, first 2 shown]
	s_waitcnt vmcnt(62) lgkmcnt(2)
	v_mul_f64 v[156:157], v[49:50], v[9:10]
	v_mul_f64 v[9:10], v[47:48], v[9:10]
	s_waitcnt lgkmcnt(1)
	v_mul_f64 v[163:164], v[53:54], v[5:6]
	s_waitcnt vmcnt(59) lgkmcnt(0)
	v_mul_f64 v[167:168], v[57:58], v[3:4]
	v_fma_f64 v[47:48], v[47:48], v[7:8], -v[156:157]
	v_mul_f64 v[156:157], v[51:52], v[5:6]
	v_fma_f64 v[9:10], v[49:50], v[7:8], v[9:10]
	s_waitcnt vmcnt(57)
	v_fma_f64 v[51:52], v[51:52], v[1:2], -v[163:164]
	ds_read_b128 v[5:8], v59 offset:800
	v_mul_f64 v[49:50], v[55:56], v[3:4]
	s_waitcnt vmcnt(51)
	v_fma_f64 v[55:56], v[55:56], v[31:32], -v[167:168]
	v_add_f64 v[47:48], v[47:48], 0
	v_fma_f64 v[53:54], v[53:54], v[1:2], v[156:157]
	v_add_f64 v[9:10], v[9:10], 0
	s_clause 0x4
	buffer_load_dword v157, off, s[0:3], 0 offset:412
	buffer_load_dword v169, off, s[0:3], 0 offset:424
	;; [unrolled: 1-line block ×5, first 2 shown]
	s_waitcnt lgkmcnt(0)
	v_mul_f64 v[172:173], v[5:6], v[13:14]
	v_mul_f64 v[13:14], v[7:8], v[13:14]
	ds_read_b128 v[1:4], v59 offset:816
	v_fma_f64 v[31:32], v[57:58], v[31:32], v[49:50]
	v_add_f64 v[51:52], v[47:48], v[51:52]
	v_add_f64 v[9:10], v[9:10], v[53:54]
	s_clause 0x2
	buffer_load_dword v170, off, s[0:3], 0 offset:428
	buffer_load_dword v54, off, s[0:3], 0 offset:404
	;; [unrolled: 1-line block ×3, first 2 shown]
	s_waitcnt vmcnt(58) lgkmcnt(0)
	v_mul_f64 v[57:58], v[1:2], v[17:18]
	v_mul_f64 v[17:18], v[3:4], v[17:18]
	s_waitcnt vmcnt(56)
	v_fma_f64 v[13:14], v[5:6], v[19:20], -v[13:14]
	ds_read_b128 v[47:50], v59 offset:832
	v_fma_f64 v[19:20], v[7:8], v[19:20], v[172:173]
	v_add_f64 v[51:52], v[51:52], v[55:56]
	v_add_f64 v[9:10], v[9:10], v[31:32]
	s_clause 0x4
	buffer_load_dword v32, off, s[0:3], 0 offset:444
	buffer_load_dword v55, off, s[0:3], 0 offset:456
	;; [unrolled: 1-line block ×5, first 2 shown]
	ds_read_b128 v[5:8], v59 offset:848
	s_waitcnt vmcnt(57) lgkmcnt(1)
	v_mul_f64 v[173:174], v[47:48], v[21:22]
	v_mul_f64 v[21:22], v[49:50], v[21:22]
	s_waitcnt vmcnt(56)
	v_fma_f64 v[17:18], v[1:2], v[11:12], -v[17:18]
	v_fma_f64 v[11:12], v[3:4], v[11:12], v[57:58]
	v_add_f64 v[13:14], v[51:52], v[13:14]
	v_add_f64 v[9:10], v[9:10], v[19:20]
	s_clause 0x2
	buffer_load_dword v56, off, s[0:3], 0 offset:460
	buffer_load_dword v20, off, s[0:3], 0 offset:436
	;; [unrolled: 1-line block ×3, first 2 shown]
	s_waitcnt vmcnt(58) lgkmcnt(0)
	v_mul_f64 v[51:52], v[5:6], v[33:34]
	v_mul_f64 v[33:34], v[7:8], v[33:34]
	s_waitcnt vmcnt(56)
	v_fma_f64 v[21:22], v[47:48], v[35:36], -v[21:22]
	ds_read_b128 v[1:4], v59 offset:864
	v_add_f64 v[13:14], v[13:14], v[17:18]
	v_fma_f64 v[17:18], v[49:50], v[35:36], v[173:174]
	v_add_f64 v[35:36], v[9:10], v[11:12]
	s_clause 0x4
	buffer_load_dword v48, off, s[0:3], 0 offset:476
	buffer_load_dword v49, off, s[0:3], 0 offset:488
	;; [unrolled: 1-line block ×5, first 2 shown]
	ds_read_b128 v[9:12], v59 offset:880
	s_waitcnt vmcnt(57) lgkmcnt(1)
	v_mul_f64 v[173:174], v[1:2], v[37:38]
	v_mul_f64 v[37:38], v[3:4], v[37:38]
	s_waitcnt vmcnt(56)
	v_fma_f64 v[33:34], v[5:6], v[15:16], -v[33:34]
	v_fma_f64 v[15:16], v[7:8], v[15:16], v[51:52]
	v_add_f64 v[13:14], v[13:14], v[21:22]
	s_clause 0x2
	buffer_load_dword v50, off, s[0:3], 0 offset:492
	buffer_load_dword v22, off, s[0:3], 0 offset:468
	;; [unrolled: 1-line block ×3, first 2 shown]
	v_add_f64 v[17:18], v[35:36], v[17:18]
	s_waitcnt vmcnt(58) lgkmcnt(0)
	v_mul_f64 v[35:36], v[9:10], v[41:42]
	v_mul_f64 v[41:42], v[11:12], v[41:42]
	ds_read_b128 v[5:8], v59 offset:896
	s_waitcnt vmcnt(56)
	v_fma_f64 v[37:38], v[1:2], v[43:44], -v[37:38]
	v_add_f64 v[13:14], v[13:14], v[33:34]
	v_fma_f64 v[33:34], v[3:4], v[43:44], v[173:174]
	v_add_f64 v[15:16], v[17:18], v[15:16]
	s_clause 0x4
	buffer_load_dword v18, off, s[0:3], 0 offset:508
	buffer_load_dword v43, off, s[0:3], 0 offset:520
	buffer_load_dword v51, off, s[0:3], 0 offset:512
	buffer_load_dword v17, off, s[0:3], 0 offset:504
	buffer_load_dword v58, off, s[0:3], 0 offset:484
	s_waitcnt vmcnt(57) lgkmcnt(0)
	v_mul_f64 v[173:174], v[5:6], v[60:61]
	v_mul_f64 v[60:61], v[7:8], v[60:61]
	s_waitcnt vmcnt(56)
	v_fma_f64 v[41:42], v[9:10], v[23:24], -v[41:42]
	ds_read_b128 v[1:4], v59 offset:912
	v_fma_f64 v[23:24], v[11:12], v[23:24], v[35:36]
	v_add_f64 v[13:14], v[13:14], v[37:38]
	v_add_f64 v[15:16], v[15:16], v[33:34]
	s_clause 0x2
	buffer_load_dword v44, off, s[0:3], 0 offset:524
	buffer_load_dword v34, off, s[0:3], 0 offset:500
	;; [unrolled: 1-line block ×3, first 2 shown]
	ds_read_b128 v[9:12], v59 offset:928
	s_waitcnt vmcnt(58) lgkmcnt(1)
	v_mul_f64 v[37:38], v[3:4], v[62:63]
	s_waitcnt vmcnt(56)
	v_fma_f64 v[60:61], v[5:6], v[137:138], -v[60:61]
	v_mul_f64 v[35:36], v[1:2], v[62:63]
	v_add_f64 v[13:14], v[13:14], v[41:42]
	v_fma_f64 v[41:42], v[7:8], v[137:138], v[173:174]
	v_add_f64 v[15:16], v[15:16], v[23:24]
	s_clause 0x4
	buffer_load_dword v24, off, s[0:3], 0 offset:540
	buffer_load_dword v62, off, s[0:3], 0 offset:552
	;; [unrolled: 1-line block ×5, first 2 shown]
	s_waitcnt vmcnt(57) lgkmcnt(0)
	v_mul_f64 v[173:174], v[9:10], v[139:140]
	v_mul_f64 v[138:139], v[11:12], v[139:140]
	s_waitcnt vmcnt(56)
	v_fma_f64 v[37:38], v[1:2], v[39:40], -v[37:38]
	ds_read_b128 v[5:8], v59 offset:944
	v_fma_f64 v[35:36], v[3:4], v[39:40], v[35:36]
	s_clause 0x2
	buffer_load_dword v63, off, s[0:3], 0 offset:556
	buffer_load_dword v40, off, s[0:3], 0 offset:532
	;; [unrolled: 1-line block ×3, first 2 shown]
	ds_read_b128 v[1:4], v59 offset:960
	v_add_f64 v[13:14], v[13:14], v[60:61]
	v_add_f64 v[15:16], v[15:16], v[41:42]
	s_waitcnt vmcnt(58) lgkmcnt(1)
	v_mul_f64 v[60:61], v[7:8], v[142:143]
	s_waitcnt vmcnt(56)
	v_fma_f64 v[139:140], v[9:10], v[146:147], -v[138:139]
	v_mul_f64 v[41:42], v[5:6], v[142:143]
	v_add_f64 v[13:14], v[13:14], v[37:38]
	v_fma_f64 v[37:38], v[11:12], v[146:147], v[173:174]
	v_add_f64 v[15:16], v[15:16], v[35:36]
	s_clause 0x4
	buffer_load_dword v36, off, s[0:3], 0 offset:572
	buffer_load_dword v142, off, s[0:3], 0 offset:584
	;; [unrolled: 1-line block ×5, first 2 shown]
	s_waitcnt vmcnt(57) lgkmcnt(0)
	v_mul_f64 v[173:174], v[1:2], v[148:149]
	v_mul_f64 v[147:148], v[3:4], v[148:149]
	s_waitcnt vmcnt(56)
	v_fma_f64 v[60:61], v[5:6], v[144:145], -v[60:61]
	ds_read_b128 v[9:12], v59 offset:976
	v_fma_f64 v[41:42], v[7:8], v[144:145], v[41:42]
	v_add_f64 v[13:14], v[13:14], v[139:140]
	v_add_f64 v[15:16], v[15:16], v[37:38]
	s_clause 0x2
	buffer_load_dword v143, off, s[0:3], 0 offset:588
	buffer_load_dword v38, off, s[0:3], 0 offset:564
	;; [unrolled: 1-line block ×3, first 2 shown]
	ds_read_b128 v[5:8], v59 offset:992
	s_waitcnt vmcnt(58) lgkmcnt(1)
	v_mul_f64 v[144:145], v[11:12], v[150:151]
	s_waitcnt vmcnt(56)
	v_fma_f64 v[148:149], v[1:2], v[154:155], -v[147:148]
	v_mul_f64 v[139:140], v[9:10], v[150:151]
	v_add_f64 v[13:14], v[13:14], v[60:61]
	v_fma_f64 v[60:61], v[3:4], v[154:155], v[173:174]
	v_add_f64 v[15:16], v[15:16], v[41:42]
	s_clause 0x4
	buffer_load_dword v42, off, s[0:3], 0 offset:604
	buffer_load_dword v150, off, s[0:3], 0 offset:616
	;; [unrolled: 1-line block ×5, first 2 shown]
	s_waitcnt vmcnt(57) lgkmcnt(0)
	v_mul_f64 v[173:174], v[5:6], v[158:159]
	v_mul_f64 v[158:159], v[7:8], v[158:159]
	s_waitcnt vmcnt(56)
	v_fma_f64 v[144:145], v[9:10], v[152:153], -v[144:145]
	ds_read_b128 v[1:4], v59 offset:1008
	v_fma_f64 v[139:140], v[11:12], v[152:153], v[139:140]
	v_add_f64 v[13:14], v[13:14], v[148:149]
	v_add_f64 v[15:16], v[15:16], v[60:61]
	s_clause 0x2
	buffer_load_dword v151, off, s[0:3], 0 offset:620
	buffer_load_dword v61, off, s[0:3], 0 offset:596
	;; [unrolled: 1-line block ×3, first 2 shown]
	ds_read_b128 v[9:12], v59 offset:1024
	s_waitcnt vmcnt(58) lgkmcnt(1)
	v_mul_f64 v[152:153], v[3:4], v[160:161]
	s_waitcnt vmcnt(56)
	v_fma_f64 v[158:159], v[5:6], v[165:166], -v[158:159]
	v_mul_f64 v[148:149], v[1:2], v[160:161]
	v_add_f64 v[13:14], v[13:14], v[144:145]
	v_fma_f64 v[144:145], v[7:8], v[165:166], v[173:174]
	v_add_f64 v[15:16], v[15:16], v[139:140]
	s_clause 0x4
	buffer_load_dword v140, off, s[0:3], 0 offset:636
	buffer_load_dword v160, off, s[0:3], 0 offset:648
	;; [unrolled: 1-line block ×5, first 2 shown]
	ds_read_b128 v[5:8], v59 offset:1040
	s_waitcnt vmcnt(57) lgkmcnt(1)
	v_mul_f64 v[165:166], v[9:10], v[156:157]
	v_mul_f64 v[156:157], v[11:12], v[156:157]
	s_waitcnt vmcnt(56)
	v_fma_f64 v[152:153], v[1:2], v[162:163], -v[152:153]
	v_fma_f64 v[148:149], v[3:4], v[162:163], v[148:149]
	v_add_f64 v[13:14], v[13:14], v[158:159]
	v_add_f64 v[15:16], v[15:16], v[144:145]
	s_clause 0x2
	buffer_load_dword v161, off, s[0:3], 0 offset:652
	buffer_load_dword v145, off, s[0:3], 0 offset:628
	;; [unrolled: 1-line block ×3, first 2 shown]
	ds_read_b128 v[1:4], v59 offset:1056
	s_waitcnt vmcnt(58) lgkmcnt(1)
	v_mul_f64 v[162:163], v[7:8], v[169:170]
	v_mul_f64 v[158:159], v[5:6], v[169:170]
	s_waitcnt vmcnt(56)
	v_fma_f64 v[156:157], v[9:10], v[53:54], -v[156:157]
	v_fma_f64 v[53:54], v[11:12], v[53:54], v[165:166]
	buffer_load_dword v165, off, s[0:3], 0 offset:644
	ds_read_b128 v[9:12], v59 offset:1072
	v_add_f64 v[13:14], v[13:14], v[152:153]
	v_add_f64 v[15:16], v[15:16], v[148:149]
	s_waitcnt vmcnt(53) lgkmcnt(1)
	v_mul_f64 v[148:149], v[1:2], v[31:32]
	v_mul_f64 v[31:32], v[3:4], v[31:32]
	s_waitcnt vmcnt(52)
	v_fma_f64 v[152:153], v[5:6], v[171:172], -v[162:163]
	v_add_f64 v[13:14], v[13:14], v[156:157]
	v_fma_f64 v[156:157], v[7:8], v[171:172], v[158:159]
	v_add_f64 v[15:16], v[15:16], v[53:54]
	ds_read_b128 v[5:8], v59 offset:1088
	s_waitcnt vmcnt(51) lgkmcnt(1)
	v_mul_f64 v[53:54], v[9:10], v[55:56]
	v_mul_f64 v[55:56], v[11:12], v[55:56]
	s_waitcnt vmcnt(49)
	v_fma_f64 v[31:32], v[1:2], v[19:20], -v[31:32]
	v_fma_f64 v[19:20], v[3:4], v[19:20], v[148:149]
	v_add_f64 v[13:14], v[13:14], v[152:153]
	s_clause 0x3
	buffer_load_dword v148, off, s[0:3], 0 offset:112
	buffer_load_dword v149, off, s[0:3], 0 offset:116
	;; [unrolled: 1-line block ×4, first 2 shown]
	v_add_f64 v[15:16], v[15:16], v[156:157]
	ds_read_b128 v[1:4], v59 offset:1104
	s_waitcnt vmcnt(49) lgkmcnt(1)
	v_mul_f64 v[156:157], v[5:6], v[47:48]
	v_mul_f64 v[47:48], v[7:8], v[47:48]
	s_waitcnt vmcnt(48)
	v_fma_f64 v[55:56], v[9:10], v[167:168], -v[55:56]
	v_add_f64 v[13:14], v[13:14], v[31:32]
	v_fma_f64 v[31:32], v[11:12], v[167:168], v[53:54]
	v_add_f64 v[15:16], v[15:16], v[19:20]
	ds_read_b128 v[9:12], v59 offset:1120
	s_waitcnt vmcnt(47) lgkmcnt(1)
	v_mul_f64 v[19:20], v[1:2], v[49:50]
	v_mul_f64 v[49:50], v[3:4], v[49:50]
	s_waitcnt vmcnt(45)
	v_fma_f64 v[47:48], v[5:6], v[21:22], -v[47:48]
	v_fma_f64 v[21:22], v[7:8], v[21:22], v[156:157]
	ds_read_b128 v[5:8], v59 offset:1136
	v_add_f64 v[13:14], v[13:14], v[55:56]
	v_add_f64 v[15:16], v[15:16], v[31:32]
	s_waitcnt vmcnt(41) lgkmcnt(1)
	v_mul_f64 v[31:32], v[9:10], v[17:18]
	v_mul_f64 v[17:18], v[11:12], v[17:18]
	s_waitcnt vmcnt(40)
	v_fma_f64 v[49:50], v[1:2], v[57:58], -v[49:50]
	v_fma_f64 v[19:20], v[3:4], v[57:58], v[19:20]
	ds_read_b128 v[1:4], v59 offset:1152
	v_add_f64 v[13:14], v[13:14], v[47:48]
	v_add_f64 v[15:16], v[15:16], v[21:22]
	;; [unrolled: 9-line block ×3, first 2 shown]
	s_waitcnt vmcnt(33) lgkmcnt(1)
	v_mul_f64 v[19:20], v[1:2], v[23:24]
	v_mul_f64 v[23:24], v[3:4], v[23:24]
	s_waitcnt vmcnt(32)
	v_fma_f64 v[33:34], v[5:6], v[51:52], -v[43:44]
	v_add_f64 v[13:14], v[13:14], v[17:18]
	v_fma_f64 v[17:18], v[7:8], v[51:52], v[21:22]
	v_add_f64 v[15:16], v[15:16], v[31:32]
	ds_read_b128 v[5:8], v59 offset:1184
	s_waitcnt vmcnt(31) lgkmcnt(1)
	v_mul_f64 v[31:32], v[11:12], v[62:63]
	v_mul_f64 v[21:22], v[9:10], v[62:63]
	s_waitcnt vmcnt(29)
	v_fma_f64 v[19:20], v[3:4], v[39:40], v[19:20]
	v_fma_f64 v[23:24], v[1:2], v[39:40], -v[23:24]
	ds_read_b128 v[1:4], v59 offset:1200
	v_add_f64 v[13:14], v[13:14], v[33:34]
	v_add_f64 v[15:16], v[15:16], v[17:18]
	s_waitcnt vmcnt(25) lgkmcnt(1)
	v_mul_f64 v[33:34], v[7:8], v[35:36]
	s_waitcnt vmcnt(24)
	v_fma_f64 v[31:32], v[9:10], v[137:138], -v[31:32]
	v_mul_f64 v[17:18], v[5:6], v[35:36]
	v_fma_f64 v[21:22], v[11:12], v[137:138], v[21:22]
	ds_read_b128 v[9:12], v59 offset:1216
	v_add_f64 v[13:14], v[13:14], v[23:24]
	v_add_f64 v[15:16], v[15:16], v[19:20]
	s_waitcnt vmcnt(23) lgkmcnt(1)
	v_mul_f64 v[23:24], v[3:4], v[142:143]
	v_mul_f64 v[19:20], v[1:2], v[142:143]
	s_waitcnt vmcnt(21)
	v_fma_f64 v[33:34], v[5:6], v[37:38], -v[33:34]
	v_fma_f64 v[17:18], v[7:8], v[37:38], v[17:18]
	ds_read_b128 v[5:8], v59 offset:1232
	v_add_f64 v[13:14], v[13:14], v[31:32]
	v_add_f64 v[15:16], v[15:16], v[21:22]
	s_waitcnt vmcnt(17) lgkmcnt(1)
	v_mul_f64 v[31:32], v[11:12], v[41:42]
	s_waitcnt vmcnt(16)
	v_fma_f64 v[23:24], v[1:2], v[146:147], -v[23:24]
	v_mul_f64 v[21:22], v[9:10], v[41:42]
	v_fma_f64 v[19:20], v[3:4], v[146:147], v[19:20]
	ds_read_b128 v[1:4], v59 offset:1248
	v_add_f64 v[13:14], v[13:14], v[33:34]
	v_add_f64 v[15:16], v[15:16], v[17:18]
	s_waitcnt vmcnt(15) lgkmcnt(1)
	v_mul_f64 v[33:34], v[7:8], v[150:151]
	v_mul_f64 v[17:18], v[5:6], v[150:151]
	s_waitcnt vmcnt(13)
	v_fma_f64 v[31:32], v[9:10], v[60:61], -v[31:32]
	v_fma_f64 v[21:22], v[11:12], v[60:61], v[21:22]
	ds_read_b128 v[9:12], v59 offset:1264
	v_add_f64 v[13:14], v[13:14], v[23:24]
	v_add_f64 v[15:16], v[15:16], v[19:20]
	s_waitcnt vmcnt(9) lgkmcnt(1)
	v_mul_f64 v[23:24], v[3:4], v[139:140]
	s_waitcnt vmcnt(8)
	v_fma_f64 v[5:6], v[5:6], v[154:155], -v[33:34]
	v_mul_f64 v[19:20], v[1:2], v[139:140]
	v_fma_f64 v[7:8], v[7:8], v[154:155], v[17:18]
	v_add_f64 v[13:14], v[13:14], v[31:32]
	v_add_f64 v[15:16], v[15:16], v[21:22]
	s_waitcnt vmcnt(7) lgkmcnt(0)
	v_mul_f64 v[21:22], v[11:12], v[160:161]
	v_mul_f64 v[17:18], v[9:10], v[160:161]
	s_waitcnt vmcnt(5)
	v_fma_f64 v[1:2], v[1:2], v[144:145], -v[23:24]
	v_fma_f64 v[3:4], v[3:4], v[144:145], v[19:20]
	v_add_f64 v[5:6], v[13:14], v[5:6]
	v_add_f64 v[7:8], v[15:16], v[7:8]
	s_waitcnt vmcnt(4)
	v_fma_f64 v[9:10], v[9:10], v[164:165], -v[21:22]
	v_add_f64 v[1:2], v[5:6], v[1:2]
	v_fma_f64 v[5:6], v[11:12], v[164:165], v[17:18]
	v_add_f64 v[3:4], v[7:8], v[3:4]
	v_add_f64 v[1:2], v[1:2], v[9:10]
	;; [unrolled: 1-line block ×3, first 2 shown]
	s_waitcnt vmcnt(2)
	v_add_f64 v[1:2], v[148:149], -v[1:2]
	s_waitcnt vmcnt(0)
	v_add_f64 v[3:4], v[152:153], -v[3:4]
	buffer_store_dword v2, off, s[0:3], 0 offset:116
	buffer_store_dword v1, off, s[0:3], 0 offset:112
	buffer_store_dword v4, off, s[0:3], 0 offset:124
	buffer_store_dword v3, off, s[0:3], 0 offset:120
	v_cmpx_lt_u32_e32 5, v0
	s_cbranch_execz .LBB39_243
; %bb.242:
	v_mov_b32_e32 v4, s47
	s_clause 0x3
	buffer_load_dword v1, v4, s[0:3], 0 offen
	buffer_load_dword v2, v4, s[0:3], 0 offen offset:4
	buffer_load_dword v3, v4, s[0:3], 0 offen offset:8
	;; [unrolled: 1-line block ×3, first 2 shown]
	buffer_store_dword v59, off, s[0:3], 0 offset:96
	buffer_store_dword v59, off, s[0:3], 0 offset:100
	;; [unrolled: 1-line block ×4, first 2 shown]
	s_waitcnt vmcnt(0)
	ds_write_b128 v141, v[1:4]
.LBB39_243:
	s_or_b32 exec_lo, exec_lo, s4
	s_waitcnt lgkmcnt(0)
	s_waitcnt_vscnt null, 0x0
	s_barrier
	buffer_gl0_inv
	s_clause 0x37
	buffer_load_dword v9, off, s[0:3], 0 offset:120
	buffer_load_dword v10, off, s[0:3], 0 offset:124
	;; [unrolled: 1-line block ×56, first 2 shown]
	ds_read_b128 v[60:63], v59 offset:736
	s_clause 0x2
	buffer_load_dword v153, off, s[0:3], 0 offset:348
	buffer_load_dword v155, off, s[0:3], 0 offset:324
	;; [unrolled: 1-line block ×3, first 2 shown]
	ds_read_b128 v[137:140], v59 offset:752
	s_clause 0x4
	buffer_load_dword v159, off, s[0:3], 0 offset:364
	buffer_load_dword v160, off, s[0:3], 0 offset:376
	;; [unrolled: 1-line block ×5, first 2 shown]
	ds_read_b128 v[142:145], v59 offset:768
	s_clause 0x2
	buffer_load_dword v161, off, s[0:3], 0 offset:380
	buffer_load_dword v166, off, s[0:3], 0 offset:356
	;; [unrolled: 1-line block ×3, first 2 shown]
	s_mov_b32 s4, exec_lo
	s_waitcnt vmcnt(62) lgkmcnt(2)
	v_mul_f64 v[156:157], v[62:63], v[9:10]
	v_mul_f64 v[9:10], v[60:61], v[9:10]
	s_waitcnt lgkmcnt(1)
	v_mul_f64 v[163:164], v[139:140], v[5:6]
	s_waitcnt vmcnt(59) lgkmcnt(0)
	v_mul_f64 v[167:168], v[144:145], v[3:4]
	v_fma_f64 v[60:61], v[60:61], v[7:8], -v[156:157]
	v_mul_f64 v[156:157], v[137:138], v[5:6]
	v_fma_f64 v[9:10], v[62:63], v[7:8], v[9:10]
	s_waitcnt vmcnt(57)
	v_fma_f64 v[137:138], v[137:138], v[1:2], -v[163:164]
	ds_read_b128 v[5:8], v59 offset:784
	v_mul_f64 v[62:63], v[142:143], v[3:4]
	s_waitcnt vmcnt(51)
	v_fma_f64 v[142:143], v[142:143], v[31:32], -v[167:168]
	v_add_f64 v[60:61], v[60:61], 0
	v_fma_f64 v[139:140], v[139:140], v[1:2], v[156:157]
	v_add_f64 v[9:10], v[9:10], 0
	s_clause 0x4
	buffer_load_dword v157, off, s[0:3], 0 offset:396
	buffer_load_dword v169, off, s[0:3], 0 offset:408
	;; [unrolled: 1-line block ×5, first 2 shown]
	s_waitcnt lgkmcnt(0)
	v_mul_f64 v[172:173], v[5:6], v[13:14]
	v_mul_f64 v[13:14], v[7:8], v[13:14]
	ds_read_b128 v[1:4], v59 offset:800
	v_fma_f64 v[31:32], v[144:145], v[31:32], v[62:63]
	v_add_f64 v[137:138], v[60:61], v[137:138]
	v_add_f64 v[9:10], v[9:10], v[139:140]
	s_clause 0x2
	buffer_load_dword v170, off, s[0:3], 0 offset:412
	buffer_load_dword v140, off, s[0:3], 0 offset:388
	;; [unrolled: 1-line block ×3, first 2 shown]
	s_waitcnt vmcnt(58) lgkmcnt(0)
	v_mul_f64 v[144:145], v[1:2], v[17:18]
	v_mul_f64 v[17:18], v[3:4], v[17:18]
	s_waitcnt vmcnt(56)
	v_fma_f64 v[13:14], v[5:6], v[19:20], -v[13:14]
	ds_read_b128 v[60:63], v59 offset:816
	v_fma_f64 v[19:20], v[7:8], v[19:20], v[172:173]
	v_add_f64 v[137:138], v[137:138], v[142:143]
	v_add_f64 v[9:10], v[9:10], v[31:32]
	s_clause 0x4
	buffer_load_dword v32, off, s[0:3], 0 offset:428
	buffer_load_dword v142, off, s[0:3], 0 offset:440
	;; [unrolled: 1-line block ×5, first 2 shown]
	ds_read_b128 v[5:8], v59 offset:832
	s_waitcnt vmcnt(57) lgkmcnt(1)
	v_mul_f64 v[173:174], v[60:61], v[21:22]
	v_mul_f64 v[21:22], v[62:63], v[21:22]
	s_waitcnt vmcnt(56)
	v_fma_f64 v[17:18], v[1:2], v[11:12], -v[17:18]
	v_fma_f64 v[11:12], v[3:4], v[11:12], v[144:145]
	v_add_f64 v[13:14], v[137:138], v[13:14]
	v_add_f64 v[9:10], v[9:10], v[19:20]
	s_clause 0x2
	buffer_load_dword v143, off, s[0:3], 0 offset:444
	buffer_load_dword v20, off, s[0:3], 0 offset:420
	;; [unrolled: 1-line block ×3, first 2 shown]
	s_waitcnt vmcnt(58) lgkmcnt(0)
	v_mul_f64 v[137:138], v[5:6], v[33:34]
	v_mul_f64 v[33:34], v[7:8], v[33:34]
	s_waitcnt vmcnt(56)
	v_fma_f64 v[21:22], v[60:61], v[35:36], -v[21:22]
	ds_read_b128 v[1:4], v59 offset:848
	v_add_f64 v[13:14], v[13:14], v[17:18]
	v_fma_f64 v[17:18], v[62:63], v[35:36], v[173:174]
	v_add_f64 v[35:36], v[9:10], v[11:12]
	s_clause 0x4
	buffer_load_dword v61, off, s[0:3], 0 offset:460
	buffer_load_dword v62, off, s[0:3], 0 offset:472
	;; [unrolled: 1-line block ×5, first 2 shown]
	ds_read_b128 v[9:12], v59 offset:864
	s_waitcnt vmcnt(57) lgkmcnt(1)
	v_mul_f64 v[173:174], v[1:2], v[37:38]
	v_mul_f64 v[37:38], v[3:4], v[37:38]
	s_waitcnt vmcnt(56)
	v_fma_f64 v[33:34], v[5:6], v[15:16], -v[33:34]
	v_fma_f64 v[15:16], v[7:8], v[15:16], v[137:138]
	v_add_f64 v[13:14], v[13:14], v[21:22]
	s_clause 0x2
	buffer_load_dword v63, off, s[0:3], 0 offset:476
	buffer_load_dword v22, off, s[0:3], 0 offset:452
	;; [unrolled: 1-line block ×3, first 2 shown]
	v_add_f64 v[17:18], v[35:36], v[17:18]
	s_waitcnt vmcnt(58) lgkmcnt(0)
	v_mul_f64 v[35:36], v[9:10], v[41:42]
	v_mul_f64 v[41:42], v[11:12], v[41:42]
	ds_read_b128 v[5:8], v59 offset:880
	s_waitcnt vmcnt(56)
	v_fma_f64 v[37:38], v[1:2], v[43:44], -v[37:38]
	v_add_f64 v[13:14], v[13:14], v[33:34]
	v_fma_f64 v[33:34], v[3:4], v[43:44], v[173:174]
	v_add_f64 v[15:16], v[17:18], v[15:16]
	s_clause 0x4
	buffer_load_dword v18, off, s[0:3], 0 offset:492
	buffer_load_dword v43, off, s[0:3], 0 offset:504
	;; [unrolled: 1-line block ×5, first 2 shown]
	s_waitcnt vmcnt(57) lgkmcnt(0)
	v_mul_f64 v[173:174], v[5:6], v[47:48]
	v_mul_f64 v[47:48], v[7:8], v[47:48]
	s_waitcnt vmcnt(56)
	v_fma_f64 v[41:42], v[9:10], v[23:24], -v[41:42]
	ds_read_b128 v[1:4], v59 offset:896
	v_fma_f64 v[23:24], v[11:12], v[23:24], v[35:36]
	v_add_f64 v[13:14], v[13:14], v[37:38]
	v_add_f64 v[15:16], v[15:16], v[33:34]
	s_clause 0x2
	buffer_load_dword v44, off, s[0:3], 0 offset:508
	buffer_load_dword v34, off, s[0:3], 0 offset:484
	buffer_load_dword v33, off, s[0:3], 0 offset:480
	ds_read_b128 v[9:12], v59 offset:912
	s_waitcnt vmcnt(58) lgkmcnt(1)
	v_mul_f64 v[37:38], v[3:4], v[51:52]
	s_waitcnt vmcnt(56)
	v_fma_f64 v[47:48], v[5:6], v[53:54], -v[47:48]
	v_mul_f64 v[35:36], v[1:2], v[51:52]
	v_add_f64 v[13:14], v[13:14], v[41:42]
	v_fma_f64 v[41:42], v[7:8], v[53:54], v[173:174]
	v_add_f64 v[15:16], v[15:16], v[23:24]
	s_clause 0x4
	buffer_load_dword v24, off, s[0:3], 0 offset:524
	buffer_load_dword v51, off, s[0:3], 0 offset:536
	;; [unrolled: 1-line block ×5, first 2 shown]
	s_waitcnt vmcnt(57) lgkmcnt(0)
	v_mul_f64 v[173:174], v[9:10], v[55:56]
	v_mul_f64 v[54:55], v[11:12], v[55:56]
	s_waitcnt vmcnt(56)
	v_fma_f64 v[37:38], v[1:2], v[39:40], -v[37:38]
	ds_read_b128 v[5:8], v59 offset:928
	v_fma_f64 v[35:36], v[3:4], v[39:40], v[35:36]
	s_clause 0x2
	buffer_load_dword v52, off, s[0:3], 0 offset:540
	buffer_load_dword v40, off, s[0:3], 0 offset:516
	;; [unrolled: 1-line block ×3, first 2 shown]
	ds_read_b128 v[1:4], v59 offset:944
	v_add_f64 v[13:14], v[13:14], v[47:48]
	v_add_f64 v[15:16], v[15:16], v[41:42]
	s_waitcnt vmcnt(58) lgkmcnt(1)
	v_mul_f64 v[47:48], v[7:8], v[146:147]
	s_waitcnt vmcnt(56)
	v_fma_f64 v[55:56], v[9:10], v[148:149], -v[54:55]
	v_mul_f64 v[41:42], v[5:6], v[146:147]
	v_add_f64 v[13:14], v[13:14], v[37:38]
	v_fma_f64 v[37:38], v[11:12], v[148:149], v[173:174]
	v_add_f64 v[15:16], v[15:16], v[35:36]
	s_clause 0x4
	buffer_load_dword v36, off, s[0:3], 0 offset:556
	buffer_load_dword v146, off, s[0:3], 0 offset:568
	;; [unrolled: 1-line block ×5, first 2 shown]
	s_waitcnt vmcnt(57) lgkmcnt(0)
	v_mul_f64 v[173:174], v[1:2], v[150:151]
	v_mul_f64 v[149:150], v[3:4], v[150:151]
	s_waitcnt vmcnt(56)
	v_fma_f64 v[47:48], v[5:6], v[49:50], -v[47:48]
	ds_read_b128 v[9:12], v59 offset:960
	v_fma_f64 v[41:42], v[7:8], v[49:50], v[41:42]
	v_add_f64 v[13:14], v[13:14], v[55:56]
	v_add_f64 v[15:16], v[15:16], v[37:38]
	s_clause 0x2
	buffer_load_dword v147, off, s[0:3], 0 offset:572
	buffer_load_dword v38, off, s[0:3], 0 offset:548
	;; [unrolled: 1-line block ×3, first 2 shown]
	ds_read_b128 v[5:8], v59 offset:976
	s_waitcnt vmcnt(58) lgkmcnt(1)
	v_mul_f64 v[55:56], v[11:12], v[152:153]
	s_waitcnt vmcnt(56)
	v_fma_f64 v[150:151], v[1:2], v[154:155], -v[149:150]
	v_mul_f64 v[49:50], v[9:10], v[152:153]
	v_add_f64 v[13:14], v[13:14], v[47:48]
	v_fma_f64 v[47:48], v[3:4], v[154:155], v[173:174]
	v_add_f64 v[15:16], v[15:16], v[41:42]
	s_clause 0x4
	buffer_load_dword v42, off, s[0:3], 0 offset:588
	buffer_load_dword v152, off, s[0:3], 0 offset:600
	;; [unrolled: 1-line block ×5, first 2 shown]
	s_waitcnt vmcnt(57) lgkmcnt(0)
	v_mul_f64 v[173:174], v[5:6], v[158:159]
	v_mul_f64 v[158:159], v[7:8], v[158:159]
	s_waitcnt vmcnt(56)
	v_fma_f64 v[55:56], v[9:10], v[57:58], -v[55:56]
	ds_read_b128 v[1:4], v59 offset:992
	v_fma_f64 v[49:50], v[11:12], v[57:58], v[49:50]
	v_add_f64 v[13:14], v[13:14], v[150:151]
	v_add_f64 v[15:16], v[15:16], v[47:48]
	s_clause 0x2
	buffer_load_dword v153, off, s[0:3], 0 offset:604
	buffer_load_dword v48, off, s[0:3], 0 offset:580
	;; [unrolled: 1-line block ×3, first 2 shown]
	ds_read_b128 v[9:12], v59 offset:1008
	s_waitcnt vmcnt(58) lgkmcnt(1)
	v_mul_f64 v[150:151], v[3:4], v[160:161]
	s_waitcnt vmcnt(56)
	v_fma_f64 v[158:159], v[5:6], v[165:166], -v[158:159]
	v_mul_f64 v[57:58], v[1:2], v[160:161]
	v_add_f64 v[13:14], v[13:14], v[55:56]
	v_fma_f64 v[55:56], v[7:8], v[165:166], v[173:174]
	v_add_f64 v[15:16], v[15:16], v[49:50]
	s_clause 0x4
	buffer_load_dword v50, off, s[0:3], 0 offset:620
	buffer_load_dword v160, off, s[0:3], 0 offset:632
	;; [unrolled: 1-line block ×5, first 2 shown]
	ds_read_b128 v[5:8], v59 offset:1024
	s_waitcnt vmcnt(57) lgkmcnt(1)
	v_mul_f64 v[165:166], v[9:10], v[156:157]
	v_mul_f64 v[156:157], v[11:12], v[156:157]
	s_waitcnt vmcnt(56)
	v_fma_f64 v[150:151], v[1:2], v[162:163], -v[150:151]
	v_fma_f64 v[57:58], v[3:4], v[162:163], v[57:58]
	v_add_f64 v[13:14], v[13:14], v[158:159]
	v_add_f64 v[15:16], v[15:16], v[55:56]
	s_clause 0x2
	buffer_load_dword v161, off, s[0:3], 0 offset:636
	buffer_load_dword v56, off, s[0:3], 0 offset:612
	;; [unrolled: 1-line block ×3, first 2 shown]
	ds_read_b128 v[1:4], v59 offset:1040
	s_waitcnt vmcnt(58) lgkmcnt(1)
	v_mul_f64 v[162:163], v[7:8], v[169:170]
	v_mul_f64 v[158:159], v[5:6], v[169:170]
	s_waitcnt vmcnt(56)
	v_fma_f64 v[156:157], v[9:10], v[139:140], -v[156:157]
	v_fma_f64 v[139:140], v[11:12], v[139:140], v[165:166]
	v_add_f64 v[13:14], v[13:14], v[150:151]
	v_add_f64 v[15:16], v[15:16], v[57:58]
	s_clause 0x2
	buffer_load_dword v58, off, s[0:3], 0 offset:652
	buffer_load_dword v57, off, s[0:3], 0 offset:648
	;; [unrolled: 1-line block ×3, first 2 shown]
	ds_read_b128 v[9:12], v59 offset:1056
	s_waitcnt vmcnt(55) lgkmcnt(1)
	v_mul_f64 v[150:151], v[1:2], v[31:32]
	v_mul_f64 v[31:32], v[3:4], v[31:32]
	s_waitcnt vmcnt(54)
	v_fma_f64 v[162:163], v[5:6], v[171:172], -v[162:163]
	v_add_f64 v[13:14], v[13:14], v[156:157]
	v_fma_f64 v[156:157], v[7:8], v[171:172], v[158:159]
	v_add_f64 v[15:16], v[15:16], v[139:140]
	s_clause 0x1
	buffer_load_dword v140, off, s[0:3], 0 offset:644
	buffer_load_dword v139, off, s[0:3], 0 offset:640
	ds_read_b128 v[5:8], v59 offset:1072
	s_waitcnt vmcnt(55) lgkmcnt(1)
	v_mul_f64 v[158:159], v[9:10], v[142:143]
	v_mul_f64 v[142:143], v[11:12], v[142:143]
	s_waitcnt vmcnt(53)
	v_fma_f64 v[31:32], v[1:2], v[19:20], -v[31:32]
	v_fma_f64 v[19:20], v[3:4], v[19:20], v[150:151]
	ds_read_b128 v[1:4], v59 offset:1088
	v_add_f64 v[13:14], v[13:14], v[162:163]
	v_add_f64 v[15:16], v[15:16], v[156:157]
	s_waitcnt vmcnt(49) lgkmcnt(1)
	v_mul_f64 v[150:151], v[5:6], v[60:61]
	v_mul_f64 v[60:61], v[7:8], v[60:61]
	s_waitcnt vmcnt(48)
	v_fma_f64 v[142:143], v[9:10], v[167:168], -v[142:143]
	v_add_f64 v[13:14], v[13:14], v[31:32]
	v_fma_f64 v[31:32], v[11:12], v[167:168], v[158:159]
	v_add_f64 v[15:16], v[15:16], v[19:20]
	s_clause 0x3
	buffer_load_dword v19, off, s[0:3], 0 offset:96
	buffer_load_dword v20, off, s[0:3], 0 offset:100
	;; [unrolled: 1-line block ×4, first 2 shown]
	ds_read_b128 v[9:12], v59 offset:1104
	s_waitcnt vmcnt(51) lgkmcnt(1)
	v_mul_f64 v[158:159], v[1:2], v[62:63]
	v_mul_f64 v[62:63], v[3:4], v[62:63]
	s_waitcnt vmcnt(49)
	v_fma_f64 v[60:61], v[5:6], v[21:22], -v[60:61]
	v_fma_f64 v[21:22], v[7:8], v[21:22], v[150:151]
	ds_read_b128 v[5:8], v59 offset:1120
	v_add_f64 v[13:14], v[13:14], v[142:143]
	v_add_f64 v[15:16], v[15:16], v[31:32]
	s_waitcnt vmcnt(45) lgkmcnt(1)
	v_mul_f64 v[31:32], v[9:10], v[17:18]
	v_mul_f64 v[17:18], v[11:12], v[17:18]
	s_waitcnt vmcnt(44)
	v_fma_f64 v[62:63], v[1:2], v[144:145], -v[62:63]
	v_add_f64 v[13:14], v[13:14], v[60:61]
	v_fma_f64 v[60:61], v[3:4], v[144:145], v[158:159]
	v_add_f64 v[15:16], v[15:16], v[21:22]
	ds_read_b128 v[1:4], v59 offset:1136
	s_waitcnt vmcnt(43) lgkmcnt(1)
	v_mul_f64 v[21:22], v[5:6], v[43:44]
	v_mul_f64 v[43:44], v[7:8], v[43:44]
	s_waitcnt vmcnt(41)
	v_fma_f64 v[17:18], v[9:10], v[33:34], -v[17:18]
	v_fma_f64 v[31:32], v[11:12], v[33:34], v[31:32]
	ds_read_b128 v[9:12], v59 offset:1152
	v_add_f64 v[13:14], v[13:14], v[62:63]
	v_add_f64 v[15:16], v[15:16], v[60:61]
	s_waitcnt vmcnt(37) lgkmcnt(1)
	v_mul_f64 v[33:34], v[1:2], v[23:24]
	v_mul_f64 v[23:24], v[3:4], v[23:24]
	s_waitcnt vmcnt(36)
	v_fma_f64 v[43:44], v[5:6], v[137:138], -v[43:44]
	v_add_f64 v[13:14], v[13:14], v[17:18]
	v_fma_f64 v[17:18], v[7:8], v[137:138], v[21:22]
	v_add_f64 v[15:16], v[15:16], v[31:32]
	s_waitcnt vmcnt(35) lgkmcnt(0)
	v_mul_f64 v[31:32], v[11:12], v[51:52]
	ds_read_b128 v[5:8], v59 offset:1168
	v_mul_f64 v[21:22], v[9:10], v[51:52]
	s_waitcnt vmcnt(33)
	v_fma_f64 v[33:34], v[3:4], v[39:40], v[33:34]
	v_fma_f64 v[23:24], v[1:2], v[39:40], -v[23:24]
	ds_read_b128 v[1:4], v59 offset:1184
	v_add_f64 v[13:14], v[13:14], v[43:44]
	v_add_f64 v[15:16], v[15:16], v[17:18]
	s_waitcnt vmcnt(29) lgkmcnt(1)
	v_mul_f64 v[17:18], v[5:6], v[35:36]
	v_mul_f64 v[35:36], v[7:8], v[35:36]
	s_waitcnt vmcnt(28)
	v_fma_f64 v[31:32], v[9:10], v[53:54], -v[31:32]
	v_fma_f64 v[21:22], v[11:12], v[53:54], v[21:22]
	ds_read_b128 v[9:12], v59 offset:1200
	v_add_f64 v[13:14], v[13:14], v[23:24]
	v_add_f64 v[15:16], v[15:16], v[33:34]
	s_waitcnt vmcnt(27) lgkmcnt(1)
	v_mul_f64 v[33:34], v[3:4], v[146:147]
	v_mul_f64 v[23:24], v[1:2], v[146:147]
	s_waitcnt vmcnt(25)
	v_fma_f64 v[35:36], v[5:6], v[37:38], -v[35:36]
	v_fma_f64 v[17:18], v[7:8], v[37:38], v[17:18]
	ds_read_b128 v[5:8], v59 offset:1216
	v_add_f64 v[13:14], v[13:14], v[31:32]
	v_add_f64 v[15:16], v[15:16], v[21:22]
	s_waitcnt vmcnt(21) lgkmcnt(1)
	v_mul_f64 v[31:32], v[11:12], v[41:42]
	s_waitcnt vmcnt(20)
	v_fma_f64 v[33:34], v[1:2], v[148:149], -v[33:34]
	v_mul_f64 v[21:22], v[9:10], v[41:42]
	v_fma_f64 v[23:24], v[3:4], v[148:149], v[23:24]
	ds_read_b128 v[1:4], v59 offset:1232
	v_add_f64 v[13:14], v[13:14], v[35:36]
	v_add_f64 v[15:16], v[15:16], v[17:18]
	s_waitcnt vmcnt(19) lgkmcnt(1)
	v_mul_f64 v[35:36], v[7:8], v[152:153]
	v_mul_f64 v[17:18], v[5:6], v[152:153]
	s_waitcnt vmcnt(17)
	v_fma_f64 v[31:32], v[9:10], v[47:48], -v[31:32]
	v_fma_f64 v[21:22], v[11:12], v[47:48], v[21:22]
	ds_read_b128 v[9:12], v59 offset:1248
	v_add_f64 v[13:14], v[13:14], v[33:34]
	v_add_f64 v[15:16], v[15:16], v[23:24]
	s_waitcnt vmcnt(13) lgkmcnt(1)
	v_mul_f64 v[33:34], v[3:4], v[49:50]
	s_waitcnt vmcnt(12)
	v_fma_f64 v[35:36], v[5:6], v[154:155], -v[35:36]
	v_mul_f64 v[23:24], v[1:2], v[49:50]
	v_fma_f64 v[17:18], v[7:8], v[154:155], v[17:18]
	ds_read_b128 v[5:8], v59 offset:1264
	v_add_f64 v[13:14], v[13:14], v[31:32]
	v_add_f64 v[15:16], v[15:16], v[21:22]
	s_waitcnt vmcnt(11) lgkmcnt(1)
	v_mul_f64 v[31:32], v[11:12], v[160:161]
	v_mul_f64 v[21:22], v[9:10], v[160:161]
	s_waitcnt vmcnt(9)
	v_fma_f64 v[1:2], v[1:2], v[55:56], -v[33:34]
	v_fma_f64 v[3:4], v[3:4], v[55:56], v[23:24]
	v_add_f64 v[13:14], v[13:14], v[35:36]
	v_add_f64 v[15:16], v[15:16], v[17:18]
	s_waitcnt vmcnt(7) lgkmcnt(0)
	v_mul_f64 v[23:24], v[7:8], v[57:58]
	s_waitcnt vmcnt(6)
	v_fma_f64 v[9:10], v[9:10], v[164:165], -v[31:32]
	v_mul_f64 v[17:18], v[5:6], v[57:58]
	v_fma_f64 v[11:12], v[11:12], v[164:165], v[21:22]
	v_add_f64 v[1:2], v[13:14], v[1:2]
	v_add_f64 v[3:4], v[15:16], v[3:4]
	s_waitcnt vmcnt(4)
	v_fma_f64 v[5:6], v[5:6], v[139:140], -v[23:24]
	v_fma_f64 v[7:8], v[7:8], v[139:140], v[17:18]
	v_add_f64 v[1:2], v[1:2], v[9:10]
	v_add_f64 v[3:4], v[3:4], v[11:12]
	;; [unrolled: 1-line block ×4, first 2 shown]
	s_waitcnt vmcnt(2)
	v_add_f64 v[1:2], v[19:20], -v[1:2]
	s_waitcnt vmcnt(0)
	v_add_f64 v[3:4], v[156:157], -v[3:4]
	buffer_store_dword v2, off, s[0:3], 0 offset:100
	buffer_store_dword v1, off, s[0:3], 0 offset:96
	;; [unrolled: 1-line block ×4, first 2 shown]
	v_cmpx_lt_u32_e32 4, v0
	s_cbranch_execz .LBB39_245
; %bb.244:
	v_mov_b32_e32 v4, s48
	v_mov_b32_e32 v5, 0
	s_clause 0x3
	buffer_load_dword v1, v4, s[0:3], 0 offen
	buffer_load_dword v2, v4, s[0:3], 0 offen offset:4
	buffer_load_dword v3, v4, s[0:3], 0 offen offset:8
	;; [unrolled: 1-line block ×3, first 2 shown]
	buffer_store_dword v5, off, s[0:3], 0 offset:80
	buffer_store_dword v5, off, s[0:3], 0 offset:84
	buffer_store_dword v5, off, s[0:3], 0 offset:88
	buffer_store_dword v5, off, s[0:3], 0 offset:92
	s_waitcnt vmcnt(0)
	ds_write_b128 v141, v[1:4]
.LBB39_245:
	s_or_b32 exec_lo, exec_lo, s4
	s_waitcnt lgkmcnt(0)
	s_waitcnt_vscnt null, 0x0
	s_barrier
	buffer_gl0_inv
	s_clause 0x37
	buffer_load_dword v9, off, s[0:3], 0 offset:104
	buffer_load_dword v10, off, s[0:3], 0 offset:108
	;; [unrolled: 1-line block ×56, first 2 shown]
	v_mov_b32_e32 v142, 0
	s_mov_b32 s4, exec_lo
	ds_read_b128 v[143:146], v142 offset:720
	s_clause 0x2
	buffer_load_dword v138, off, s[0:3], 0 offset:332
	buffer_load_dword v140, off, s[0:3], 0 offset:308
	buffer_load_dword v139, off, s[0:3], 0 offset:304
	ds_read_b128 v[147:150], v142 offset:736
	s_clause 0x4
	buffer_load_dword v158, off, s[0:3], 0 offset:348
	buffer_load_dword v159, off, s[0:3], 0 offset:360
	;; [unrolled: 1-line block ×5, first 2 shown]
	ds_read_b128 v[151:154], v142 offset:752
	s_clause 0x2
	buffer_load_dword v160, off, s[0:3], 0 offset:364
	buffer_load_dword v165, off, s[0:3], 0 offset:340
	;; [unrolled: 1-line block ×3, first 2 shown]
	s_waitcnt vmcnt(62) lgkmcnt(2)
	v_mul_f64 v[155:156], v[145:146], v[9:10]
	v_mul_f64 v[9:10], v[143:144], v[9:10]
	s_waitcnt lgkmcnt(1)
	v_mul_f64 v[162:163], v[149:150], v[5:6]
	s_waitcnt vmcnt(59) lgkmcnt(0)
	v_mul_f64 v[166:167], v[153:154], v[3:4]
	v_fma_f64 v[143:144], v[143:144], v[7:8], -v[155:156]
	v_mul_f64 v[155:156], v[147:148], v[5:6]
	v_fma_f64 v[9:10], v[145:146], v[7:8], v[9:10]
	s_waitcnt vmcnt(57)
	v_fma_f64 v[147:148], v[147:148], v[1:2], -v[162:163]
	ds_read_b128 v[5:8], v142 offset:768
	v_mul_f64 v[145:146], v[151:152], v[3:4]
	s_waitcnt vmcnt(51)
	v_fma_f64 v[151:152], v[151:152], v[31:32], -v[166:167]
	v_add_f64 v[143:144], v[143:144], 0
	v_fma_f64 v[149:150], v[149:150], v[1:2], v[155:156]
	v_add_f64 v[9:10], v[9:10], 0
	s_clause 0x4
	buffer_load_dword v156, off, s[0:3], 0 offset:380
	buffer_load_dword v168, off, s[0:3], 0 offset:392
	;; [unrolled: 1-line block ×5, first 2 shown]
	s_waitcnt lgkmcnt(0)
	v_mul_f64 v[171:172], v[5:6], v[13:14]
	v_mul_f64 v[13:14], v[7:8], v[13:14]
	ds_read_b128 v[1:4], v142 offset:784
	v_fma_f64 v[31:32], v[153:154], v[31:32], v[145:146]
	v_add_f64 v[147:148], v[143:144], v[147:148]
	v_add_f64 v[9:10], v[9:10], v[149:150]
	s_clause 0x2
	buffer_load_dword v169, off, s[0:3], 0 offset:396
	buffer_load_dword v150, off, s[0:3], 0 offset:372
	;; [unrolled: 1-line block ×3, first 2 shown]
	s_waitcnt vmcnt(58) lgkmcnt(0)
	v_mul_f64 v[153:154], v[1:2], v[17:18]
	v_mul_f64 v[17:18], v[3:4], v[17:18]
	s_waitcnt vmcnt(56)
	v_fma_f64 v[13:14], v[5:6], v[19:20], -v[13:14]
	ds_read_b128 v[143:146], v142 offset:800
	v_fma_f64 v[19:20], v[7:8], v[19:20], v[171:172]
	v_add_f64 v[147:148], v[147:148], v[151:152]
	v_add_f64 v[9:10], v[9:10], v[31:32]
	s_clause 0x4
	buffer_load_dword v32, off, s[0:3], 0 offset:412
	buffer_load_dword v151, off, s[0:3], 0 offset:424
	;; [unrolled: 1-line block ×5, first 2 shown]
	ds_read_b128 v[5:8], v142 offset:816
	s_waitcnt vmcnt(57) lgkmcnt(1)
	v_mul_f64 v[172:173], v[143:144], v[21:22]
	v_mul_f64 v[21:22], v[145:146], v[21:22]
	s_waitcnt vmcnt(56)
	v_fma_f64 v[17:18], v[1:2], v[11:12], -v[17:18]
	v_fma_f64 v[11:12], v[3:4], v[11:12], v[153:154]
	v_add_f64 v[13:14], v[147:148], v[13:14]
	v_add_f64 v[9:10], v[9:10], v[19:20]
	s_clause 0x2
	buffer_load_dword v152, off, s[0:3], 0 offset:428
	buffer_load_dword v20, off, s[0:3], 0 offset:404
	;; [unrolled: 1-line block ×3, first 2 shown]
	s_waitcnt vmcnt(58) lgkmcnt(0)
	v_mul_f64 v[147:148], v[5:6], v[33:34]
	v_mul_f64 v[33:34], v[7:8], v[33:34]
	s_waitcnt vmcnt(56)
	v_fma_f64 v[21:22], v[143:144], v[35:36], -v[21:22]
	ds_read_b128 v[1:4], v142 offset:832
	v_add_f64 v[13:14], v[13:14], v[17:18]
	v_fma_f64 v[17:18], v[145:146], v[35:36], v[172:173]
	v_add_f64 v[35:36], v[9:10], v[11:12]
	s_clause 0x4
	buffer_load_dword v144, off, s[0:3], 0 offset:444
	buffer_load_dword v145, off, s[0:3], 0 offset:456
	;; [unrolled: 1-line block ×5, first 2 shown]
	ds_read_b128 v[9:12], v142 offset:848
	s_waitcnt vmcnt(57) lgkmcnt(1)
	v_mul_f64 v[172:173], v[1:2], v[37:38]
	v_mul_f64 v[37:38], v[3:4], v[37:38]
	s_waitcnt vmcnt(56)
	v_fma_f64 v[33:34], v[5:6], v[15:16], -v[33:34]
	v_fma_f64 v[15:16], v[7:8], v[15:16], v[147:148]
	v_add_f64 v[13:14], v[13:14], v[21:22]
	s_clause 0x2
	buffer_load_dword v146, off, s[0:3], 0 offset:460
	buffer_load_dword v22, off, s[0:3], 0 offset:436
	;; [unrolled: 1-line block ×3, first 2 shown]
	v_add_f64 v[17:18], v[35:36], v[17:18]
	s_waitcnt vmcnt(58) lgkmcnt(0)
	v_mul_f64 v[35:36], v[9:10], v[41:42]
	v_mul_f64 v[41:42], v[11:12], v[41:42]
	ds_read_b128 v[5:8], v142 offset:864
	s_waitcnt vmcnt(56)
	v_fma_f64 v[37:38], v[1:2], v[43:44], -v[37:38]
	v_add_f64 v[13:14], v[13:14], v[33:34]
	v_fma_f64 v[33:34], v[3:4], v[43:44], v[172:173]
	v_add_f64 v[15:16], v[17:18], v[15:16]
	s_clause 0x4
	buffer_load_dword v18, off, s[0:3], 0 offset:476
	buffer_load_dword v43, off, s[0:3], 0 offset:488
	;; [unrolled: 1-line block ×5, first 2 shown]
	s_waitcnt vmcnt(57) lgkmcnt(0)
	v_mul_f64 v[172:173], v[5:6], v[47:48]
	v_mul_f64 v[47:48], v[7:8], v[47:48]
	s_waitcnt vmcnt(56)
	v_fma_f64 v[41:42], v[9:10], v[23:24], -v[41:42]
	ds_read_b128 v[1:4], v142 offset:880
	v_fma_f64 v[23:24], v[11:12], v[23:24], v[35:36]
	v_add_f64 v[13:14], v[13:14], v[37:38]
	v_add_f64 v[15:16], v[15:16], v[33:34]
	s_clause 0x2
	buffer_load_dword v44, off, s[0:3], 0 offset:492
	buffer_load_dword v34, off, s[0:3], 0 offset:468
	;; [unrolled: 1-line block ×3, first 2 shown]
	ds_read_b128 v[9:12], v142 offset:896
	s_waitcnt vmcnt(58) lgkmcnt(1)
	v_mul_f64 v[37:38], v[3:4], v[51:52]
	s_waitcnt vmcnt(56)
	v_fma_f64 v[47:48], v[5:6], v[53:54], -v[47:48]
	v_mul_f64 v[35:36], v[1:2], v[51:52]
	v_add_f64 v[13:14], v[13:14], v[41:42]
	v_fma_f64 v[41:42], v[7:8], v[53:54], v[172:173]
	v_add_f64 v[15:16], v[15:16], v[23:24]
	s_clause 0x4
	buffer_load_dword v24, off, s[0:3], 0 offset:508
	buffer_load_dword v51, off, s[0:3], 0 offset:520
	;; [unrolled: 1-line block ×5, first 2 shown]
	s_waitcnt vmcnt(57) lgkmcnt(0)
	v_mul_f64 v[172:173], v[9:10], v[55:56]
	v_mul_f64 v[54:55], v[11:12], v[55:56]
	s_waitcnt vmcnt(56)
	v_fma_f64 v[37:38], v[1:2], v[39:40], -v[37:38]
	ds_read_b128 v[5:8], v142 offset:912
	v_fma_f64 v[35:36], v[3:4], v[39:40], v[35:36]
	s_clause 0x2
	buffer_load_dword v52, off, s[0:3], 0 offset:524
	buffer_load_dword v40, off, s[0:3], 0 offset:500
	;; [unrolled: 1-line block ×3, first 2 shown]
	ds_read_b128 v[1:4], v142 offset:928
	v_add_f64 v[13:14], v[13:14], v[47:48]
	v_add_f64 v[15:16], v[15:16], v[41:42]
	s_waitcnt vmcnt(58) lgkmcnt(1)
	v_mul_f64 v[47:48], v[7:8], v[59:60]
	s_waitcnt vmcnt(56)
	v_fma_f64 v[55:56], v[9:10], v[61:62], -v[54:55]
	v_mul_f64 v[41:42], v[5:6], v[59:60]
	v_add_f64 v[13:14], v[13:14], v[37:38]
	v_fma_f64 v[37:38], v[11:12], v[61:62], v[172:173]
	v_add_f64 v[15:16], v[15:16], v[35:36]
	s_clause 0x4
	buffer_load_dword v36, off, s[0:3], 0 offset:540
	buffer_load_dword v59, off, s[0:3], 0 offset:552
	buffer_load_dword v61, off, s[0:3], 0 offset:544
	buffer_load_dword v35, off, s[0:3], 0 offset:536
	buffer_load_dword v54, off, s[0:3], 0 offset:516
	s_waitcnt vmcnt(57) lgkmcnt(0)
	v_mul_f64 v[172:173], v[1:2], v[63:64]
	v_mul_f64 v[62:63], v[3:4], v[63:64]
	s_waitcnt vmcnt(56)
	v_fma_f64 v[47:48], v[5:6], v[49:50], -v[47:48]
	ds_read_b128 v[9:12], v142 offset:944
	v_fma_f64 v[41:42], v[7:8], v[49:50], v[41:42]
	v_add_f64 v[13:14], v[13:14], v[55:56]
	v_add_f64 v[15:16], v[15:16], v[37:38]
	s_clause 0x2
	buffer_load_dword v60, off, s[0:3], 0 offset:556
	buffer_load_dword v38, off, s[0:3], 0 offset:532
	;; [unrolled: 1-line block ×3, first 2 shown]
	ds_read_b128 v[5:8], v142 offset:960
	s_waitcnt vmcnt(58) lgkmcnt(1)
	v_mul_f64 v[55:56], v[11:12], v[137:138]
	s_waitcnt vmcnt(56)
	v_fma_f64 v[63:64], v[1:2], v[139:140], -v[62:63]
	v_mul_f64 v[49:50], v[9:10], v[137:138]
	v_add_f64 v[13:14], v[13:14], v[47:48]
	v_fma_f64 v[47:48], v[3:4], v[139:140], v[172:173]
	v_add_f64 v[15:16], v[15:16], v[41:42]
	s_clause 0x4
	buffer_load_dword v42, off, s[0:3], 0 offset:572
	buffer_load_dword v137, off, s[0:3], 0 offset:584
	;; [unrolled: 1-line block ×5, first 2 shown]
	s_waitcnt vmcnt(57) lgkmcnt(0)
	v_mul_f64 v[172:173], v[5:6], v[157:158]
	v_mul_f64 v[157:158], v[7:8], v[157:158]
	s_waitcnt vmcnt(56)
	v_fma_f64 v[55:56], v[9:10], v[57:58], -v[55:56]
	ds_read_b128 v[1:4], v142 offset:976
	v_fma_f64 v[49:50], v[11:12], v[57:58], v[49:50]
	v_add_f64 v[13:14], v[13:14], v[63:64]
	v_add_f64 v[15:16], v[15:16], v[47:48]
	s_clause 0x2
	buffer_load_dword v138, off, s[0:3], 0 offset:588
	buffer_load_dword v48, off, s[0:3], 0 offset:564
	;; [unrolled: 1-line block ×3, first 2 shown]
	ds_read_b128 v[9:12], v142 offset:992
	s_waitcnt vmcnt(58) lgkmcnt(1)
	v_mul_f64 v[63:64], v[3:4], v[159:160]
	s_waitcnt vmcnt(56)
	v_fma_f64 v[157:158], v[5:6], v[164:165], -v[157:158]
	v_mul_f64 v[57:58], v[1:2], v[159:160]
	v_add_f64 v[13:14], v[13:14], v[55:56]
	v_fma_f64 v[55:56], v[7:8], v[164:165], v[172:173]
	v_add_f64 v[15:16], v[15:16], v[49:50]
	s_clause 0x4
	buffer_load_dword v50, off, s[0:3], 0 offset:604
	buffer_load_dword v159, off, s[0:3], 0 offset:616
	;; [unrolled: 1-line block ×5, first 2 shown]
	ds_read_b128 v[5:8], v142 offset:1008
	s_waitcnt vmcnt(57) lgkmcnt(1)
	v_mul_f64 v[164:165], v[9:10], v[155:156]
	v_mul_f64 v[155:156], v[11:12], v[155:156]
	s_waitcnt vmcnt(56)
	v_fma_f64 v[63:64], v[1:2], v[161:162], -v[63:64]
	v_fma_f64 v[57:58], v[3:4], v[161:162], v[57:58]
	v_add_f64 v[13:14], v[13:14], v[157:158]
	v_add_f64 v[15:16], v[15:16], v[55:56]
	s_clause 0x2
	buffer_load_dword v160, off, s[0:3], 0 offset:620
	buffer_load_dword v56, off, s[0:3], 0 offset:596
	;; [unrolled: 1-line block ×3, first 2 shown]
	ds_read_b128 v[1:4], v142 offset:1024
	s_waitcnt vmcnt(58) lgkmcnt(1)
	v_mul_f64 v[161:162], v[7:8], v[168:169]
	v_mul_f64 v[157:158], v[5:6], v[168:169]
	s_waitcnt vmcnt(56)
	v_fma_f64 v[155:156], v[9:10], v[149:150], -v[155:156]
	v_add_f64 v[13:14], v[13:14], v[63:64]
	v_fma_f64 v[63:64], v[11:12], v[149:150], v[164:165]
	v_add_f64 v[15:16], v[15:16], v[57:58]
	s_clause 0x4
	buffer_load_dword v58, off, s[0:3], 0 offset:636
	buffer_load_dword v149, off, s[0:3], 0 offset:648
	;; [unrolled: 1-line block ×5, first 2 shown]
	ds_read_b128 v[9:12], v142 offset:1040
	s_waitcnt vmcnt(57) lgkmcnt(1)
	v_mul_f64 v[172:173], v[1:2], v[31:32]
	v_mul_f64 v[31:32], v[3:4], v[31:32]
	s_waitcnt vmcnt(56)
	v_fma_f64 v[161:162], v[5:6], v[170:171], -v[161:162]
	v_add_f64 v[13:14], v[13:14], v[155:156]
	v_fma_f64 v[155:156], v[7:8], v[170:171], v[157:158]
	v_add_f64 v[15:16], v[15:16], v[63:64]
	s_clause 0x2
	buffer_load_dword v150, off, s[0:3], 0 offset:652
	buffer_load_dword v64, off, s[0:3], 0 offset:628
	;; [unrolled: 1-line block ×3, first 2 shown]
	ds_read_b128 v[5:8], v142 offset:1056
	buffer_load_dword v169, off, s[0:3], 0 offset:644
	s_waitcnt vmcnt(59) lgkmcnt(1)
	v_mul_f64 v[157:158], v[9:10], v[151:152]
	v_mul_f64 v[151:152], v[11:12], v[151:152]
	s_waitcnt vmcnt(57)
	v_fma_f64 v[31:32], v[1:2], v[19:20], -v[31:32]
	v_fma_f64 v[19:20], v[3:4], v[19:20], v[172:173]
	ds_read_b128 v[1:4], v142 offset:1072
	v_add_f64 v[13:14], v[13:14], v[161:162]
	v_add_f64 v[15:16], v[15:16], v[155:156]
	s_waitcnt vmcnt(53) lgkmcnt(1)
	v_mul_f64 v[155:156], v[5:6], v[143:144]
	v_mul_f64 v[143:144], v[7:8], v[143:144]
	s_waitcnt vmcnt(52)
	v_fma_f64 v[151:152], v[9:10], v[166:167], -v[151:152]
	v_add_f64 v[13:14], v[13:14], v[31:32]
	v_fma_f64 v[31:32], v[11:12], v[166:167], v[157:158]
	v_add_f64 v[15:16], v[15:16], v[19:20]
	ds_read_b128 v[9:12], v142 offset:1088
	s_waitcnt vmcnt(51) lgkmcnt(1)
	v_mul_f64 v[19:20], v[1:2], v[145:146]
	v_mul_f64 v[145:146], v[3:4], v[145:146]
	s_waitcnt vmcnt(49)
	v_fma_f64 v[143:144], v[5:6], v[21:22], -v[143:144]
	v_fma_f64 v[21:22], v[7:8], v[21:22], v[155:156]
	v_add_f64 v[13:14], v[13:14], v[151:152]
	v_add_f64 v[15:16], v[15:16], v[31:32]
	s_clause 0x3
	buffer_load_dword v31, off, s[0:3], 0 offset:80
	buffer_load_dword v32, off, s[0:3], 0 offset:84
	;; [unrolled: 1-line block ×4, first 2 shown]
	ds_read_b128 v[5:8], v142 offset:1104
	s_waitcnt vmcnt(49) lgkmcnt(1)
	v_mul_f64 v[155:156], v[9:10], v[17:18]
	v_mul_f64 v[17:18], v[11:12], v[17:18]
	s_waitcnt vmcnt(48)
	v_fma_f64 v[145:146], v[1:2], v[153:154], -v[145:146]
	v_fma_f64 v[19:20], v[3:4], v[153:154], v[19:20]
	ds_read_b128 v[1:4], v142 offset:1120
	v_add_f64 v[13:14], v[13:14], v[143:144]
	v_add_f64 v[15:16], v[15:16], v[21:22]
	s_waitcnt vmcnt(47) lgkmcnt(1)
	v_mul_f64 v[21:22], v[5:6], v[43:44]
	v_mul_f64 v[43:44], v[7:8], v[43:44]
	s_waitcnt vmcnt(45)
	v_fma_f64 v[17:18], v[9:10], v[33:34], -v[17:18]
	v_fma_f64 v[33:34], v[11:12], v[33:34], v[155:156]
	ds_read_b128 v[9:12], v142 offset:1136
	v_add_f64 v[13:14], v[13:14], v[145:146]
	v_add_f64 v[15:16], v[15:16], v[19:20]
	s_waitcnt vmcnt(41) lgkmcnt(1)
	v_mul_f64 v[19:20], v[1:2], v[23:24]
	v_mul_f64 v[23:24], v[3:4], v[23:24]
	s_waitcnt vmcnt(40)
	v_fma_f64 v[43:44], v[5:6], v[147:148], -v[43:44]
	v_add_f64 v[13:14], v[13:14], v[17:18]
	v_fma_f64 v[17:18], v[7:8], v[147:148], v[21:22]
	v_add_f64 v[15:16], v[15:16], v[33:34]
	ds_read_b128 v[5:8], v142 offset:1152
	s_waitcnt vmcnt(39) lgkmcnt(1)
	v_mul_f64 v[33:34], v[11:12], v[51:52]
	v_mul_f64 v[21:22], v[9:10], v[51:52]
	s_waitcnt vmcnt(37)
	v_fma_f64 v[19:20], v[3:4], v[39:40], v[19:20]
	v_fma_f64 v[23:24], v[1:2], v[39:40], -v[23:24]
	ds_read_b128 v[1:4], v142 offset:1168
	v_add_f64 v[13:14], v[13:14], v[43:44]
	v_add_f64 v[15:16], v[15:16], v[17:18]
	s_waitcnt vmcnt(33) lgkmcnt(1)
	v_mul_f64 v[17:18], v[5:6], v[35:36]
	v_mul_f64 v[35:36], v[7:8], v[35:36]
	s_waitcnt vmcnt(32)
	v_fma_f64 v[33:34], v[9:10], v[53:54], -v[33:34]
	v_fma_f64 v[21:22], v[11:12], v[53:54], v[21:22]
	ds_read_b128 v[9:12], v142 offset:1184
	v_add_f64 v[13:14], v[13:14], v[23:24]
	v_add_f64 v[15:16], v[15:16], v[19:20]
	s_waitcnt vmcnt(31) lgkmcnt(1)
	v_mul_f64 v[23:24], v[3:4], v[59:60]
	v_mul_f64 v[19:20], v[1:2], v[59:60]
	s_waitcnt vmcnt(29)
	v_fma_f64 v[35:36], v[5:6], v[37:38], -v[35:36]
	v_fma_f64 v[17:18], v[7:8], v[37:38], v[17:18]
	ds_read_b128 v[5:8], v142 offset:1200
	v_add_f64 v[13:14], v[13:14], v[33:34]
	v_add_f64 v[15:16], v[15:16], v[21:22]
	s_waitcnt vmcnt(25) lgkmcnt(1)
	v_mul_f64 v[33:34], v[11:12], v[41:42]
	s_waitcnt vmcnt(24)
	v_fma_f64 v[23:24], v[1:2], v[61:62], -v[23:24]
	v_mul_f64 v[21:22], v[9:10], v[41:42]
	v_fma_f64 v[19:20], v[3:4], v[61:62], v[19:20]
	ds_read_b128 v[1:4], v142 offset:1216
	v_add_f64 v[13:14], v[13:14], v[35:36]
	v_add_f64 v[15:16], v[15:16], v[17:18]
	s_waitcnt vmcnt(23) lgkmcnt(1)
	v_mul_f64 v[35:36], v[7:8], v[137:138]
	v_mul_f64 v[17:18], v[5:6], v[137:138]
	s_waitcnt vmcnt(21)
	v_fma_f64 v[33:34], v[9:10], v[47:48], -v[33:34]
	v_fma_f64 v[21:22], v[11:12], v[47:48], v[21:22]
	ds_read_b128 v[9:12], v142 offset:1232
	v_add_f64 v[13:14], v[13:14], v[23:24]
	v_add_f64 v[15:16], v[15:16], v[19:20]
	s_waitcnt vmcnt(17) lgkmcnt(1)
	v_mul_f64 v[23:24], v[3:4], v[49:50]
	s_waitcnt vmcnt(16)
	v_fma_f64 v[35:36], v[5:6], v[139:140], -v[35:36]
	v_mul_f64 v[19:20], v[1:2], v[49:50]
	;; [unrolled: 18-line block ×3, first 2 shown]
	v_fma_f64 v[11:12], v[11:12], v[163:164], v[21:22]
	v_add_f64 v[13:14], v[13:14], v[23:24]
	v_add_f64 v[15:16], v[15:16], v[19:20]
	s_waitcnt vmcnt(7) lgkmcnt(0)
	v_mul_f64 v[21:22], v[3:4], v[149:150]
	v_mul_f64 v[19:20], v[1:2], v[149:150]
	s_waitcnt vmcnt(5)
	v_fma_f64 v[5:6], v[5:6], v[63:64], -v[35:36]
	v_fma_f64 v[7:8], v[7:8], v[63:64], v[17:18]
	v_add_f64 v[9:10], v[13:14], v[9:10]
	v_add_f64 v[11:12], v[15:16], v[11:12]
	s_waitcnt vmcnt(4)
	v_fma_f64 v[1:2], v[1:2], v[168:169], -v[21:22]
	v_fma_f64 v[3:4], v[3:4], v[168:169], v[19:20]
	v_add_f64 v[5:6], v[9:10], v[5:6]
	v_add_f64 v[7:8], v[11:12], v[7:8]
	;; [unrolled: 1-line block ×4, first 2 shown]
	s_waitcnt vmcnt(2)
	v_add_f64 v[1:2], v[31:32], -v[1:2]
	s_waitcnt vmcnt(0)
	v_add_f64 v[3:4], v[151:152], -v[3:4]
	buffer_store_dword v2, off, s[0:3], 0 offset:84
	buffer_store_dword v1, off, s[0:3], 0 offset:80
	;; [unrolled: 1-line block ×4, first 2 shown]
	v_cmpx_lt_u32_e32 3, v0
	s_cbranch_execz .LBB39_247
; %bb.246:
	v_mov_b32_e32 v4, s49
	s_clause 0x3
	buffer_load_dword v1, v4, s[0:3], 0 offen
	buffer_load_dword v2, v4, s[0:3], 0 offen offset:4
	buffer_load_dword v3, v4, s[0:3], 0 offen offset:8
	;; [unrolled: 1-line block ×3, first 2 shown]
	buffer_store_dword v142, off, s[0:3], 0 offset:64
	buffer_store_dword v142, off, s[0:3], 0 offset:68
	;; [unrolled: 1-line block ×4, first 2 shown]
	s_waitcnt vmcnt(0)
	ds_write_b128 v141, v[1:4]
.LBB39_247:
	s_or_b32 exec_lo, exec_lo, s4
	s_waitcnt lgkmcnt(0)
	s_waitcnt_vscnt null, 0x0
	s_barrier
	buffer_gl0_inv
	s_clause 0x37
	buffer_load_dword v9, off, s[0:3], 0 offset:88
	buffer_load_dword v10, off, s[0:3], 0 offset:92
	;; [unrolled: 1-line block ×56, first 2 shown]
	ds_read_b128 v[143:146], v142 offset:704
	s_clause 0x2
	buffer_load_dword v138, off, s[0:3], 0 offset:316
	buffer_load_dword v140, off, s[0:3], 0 offset:292
	;; [unrolled: 1-line block ×3, first 2 shown]
	ds_read_b128 v[147:150], v142 offset:720
	s_clause 0x4
	buffer_load_dword v158, off, s[0:3], 0 offset:332
	buffer_load_dword v159, off, s[0:3], 0 offset:344
	;; [unrolled: 1-line block ×5, first 2 shown]
	ds_read_b128 v[151:154], v142 offset:736
	s_clause 0x2
	buffer_load_dword v160, off, s[0:3], 0 offset:348
	buffer_load_dword v165, off, s[0:3], 0 offset:324
	;; [unrolled: 1-line block ×3, first 2 shown]
	s_mov_b32 s4, exec_lo
	s_waitcnt vmcnt(62) lgkmcnt(2)
	v_mul_f64 v[155:156], v[145:146], v[9:10]
	v_mul_f64 v[9:10], v[143:144], v[9:10]
	s_waitcnt lgkmcnt(1)
	v_mul_f64 v[162:163], v[149:150], v[5:6]
	s_waitcnt vmcnt(59) lgkmcnt(0)
	v_mul_f64 v[166:167], v[153:154], v[3:4]
	v_fma_f64 v[143:144], v[143:144], v[7:8], -v[155:156]
	v_mul_f64 v[155:156], v[147:148], v[5:6]
	v_fma_f64 v[9:10], v[145:146], v[7:8], v[9:10]
	s_waitcnt vmcnt(57)
	v_fma_f64 v[147:148], v[147:148], v[1:2], -v[162:163]
	ds_read_b128 v[5:8], v142 offset:752
	v_mul_f64 v[145:146], v[151:152], v[3:4]
	s_waitcnt vmcnt(51)
	v_fma_f64 v[151:152], v[151:152], v[31:32], -v[166:167]
	v_add_f64 v[143:144], v[143:144], 0
	v_fma_f64 v[149:150], v[149:150], v[1:2], v[155:156]
	v_add_f64 v[9:10], v[9:10], 0
	s_clause 0x4
	buffer_load_dword v156, off, s[0:3], 0 offset:364
	buffer_load_dword v168, off, s[0:3], 0 offset:376
	;; [unrolled: 1-line block ×5, first 2 shown]
	s_waitcnt lgkmcnt(0)
	v_mul_f64 v[171:172], v[5:6], v[13:14]
	v_mul_f64 v[13:14], v[7:8], v[13:14]
	ds_read_b128 v[1:4], v142 offset:768
	v_fma_f64 v[31:32], v[153:154], v[31:32], v[145:146]
	v_add_f64 v[147:148], v[143:144], v[147:148]
	v_add_f64 v[9:10], v[9:10], v[149:150]
	s_clause 0x2
	buffer_load_dword v169, off, s[0:3], 0 offset:380
	buffer_load_dword v150, off, s[0:3], 0 offset:356
	;; [unrolled: 1-line block ×3, first 2 shown]
	s_waitcnt vmcnt(58) lgkmcnt(0)
	v_mul_f64 v[153:154], v[1:2], v[17:18]
	v_mul_f64 v[17:18], v[3:4], v[17:18]
	s_waitcnt vmcnt(56)
	v_fma_f64 v[13:14], v[5:6], v[19:20], -v[13:14]
	ds_read_b128 v[143:146], v142 offset:784
	v_fma_f64 v[19:20], v[7:8], v[19:20], v[171:172]
	v_add_f64 v[147:148], v[147:148], v[151:152]
	v_add_f64 v[9:10], v[9:10], v[31:32]
	s_clause 0x4
	buffer_load_dword v32, off, s[0:3], 0 offset:396
	buffer_load_dword v151, off, s[0:3], 0 offset:408
	buffer_load_dword v166, off, s[0:3], 0 offset:400
	buffer_load_dword v31, off, s[0:3], 0 offset:392
	buffer_load_dword v171, off, s[0:3], 0 offset:372
	ds_read_b128 v[5:8], v142 offset:800
	s_waitcnt vmcnt(57) lgkmcnt(1)
	v_mul_f64 v[172:173], v[143:144], v[21:22]
	v_mul_f64 v[21:22], v[145:146], v[21:22]
	s_waitcnt vmcnt(56)
	v_fma_f64 v[17:18], v[1:2], v[11:12], -v[17:18]
	v_fma_f64 v[11:12], v[3:4], v[11:12], v[153:154]
	v_add_f64 v[13:14], v[147:148], v[13:14]
	v_add_f64 v[9:10], v[9:10], v[19:20]
	s_clause 0x2
	buffer_load_dword v152, off, s[0:3], 0 offset:412
	buffer_load_dword v20, off, s[0:3], 0 offset:388
	;; [unrolled: 1-line block ×3, first 2 shown]
	s_waitcnt vmcnt(58) lgkmcnt(0)
	v_mul_f64 v[147:148], v[5:6], v[33:34]
	v_mul_f64 v[33:34], v[7:8], v[33:34]
	s_waitcnt vmcnt(56)
	v_fma_f64 v[21:22], v[143:144], v[35:36], -v[21:22]
	ds_read_b128 v[1:4], v142 offset:816
	v_add_f64 v[13:14], v[13:14], v[17:18]
	v_fma_f64 v[17:18], v[145:146], v[35:36], v[172:173]
	v_add_f64 v[35:36], v[9:10], v[11:12]
	s_clause 0x4
	buffer_load_dword v144, off, s[0:3], 0 offset:428
	buffer_load_dword v145, off, s[0:3], 0 offset:440
	;; [unrolled: 1-line block ×5, first 2 shown]
	ds_read_b128 v[9:12], v142 offset:832
	s_waitcnt vmcnt(57) lgkmcnt(1)
	v_mul_f64 v[172:173], v[1:2], v[37:38]
	v_mul_f64 v[37:38], v[3:4], v[37:38]
	s_waitcnt vmcnt(56)
	v_fma_f64 v[33:34], v[5:6], v[15:16], -v[33:34]
	v_fma_f64 v[15:16], v[7:8], v[15:16], v[147:148]
	v_add_f64 v[13:14], v[13:14], v[21:22]
	s_clause 0x2
	buffer_load_dword v146, off, s[0:3], 0 offset:444
	buffer_load_dword v22, off, s[0:3], 0 offset:420
	;; [unrolled: 1-line block ×3, first 2 shown]
	v_add_f64 v[17:18], v[35:36], v[17:18]
	s_waitcnt vmcnt(58) lgkmcnt(0)
	v_mul_f64 v[35:36], v[9:10], v[41:42]
	v_mul_f64 v[41:42], v[11:12], v[41:42]
	ds_read_b128 v[5:8], v142 offset:848
	s_waitcnt vmcnt(56)
	v_fma_f64 v[37:38], v[1:2], v[43:44], -v[37:38]
	v_add_f64 v[13:14], v[13:14], v[33:34]
	v_fma_f64 v[33:34], v[3:4], v[43:44], v[172:173]
	v_add_f64 v[15:16], v[17:18], v[15:16]
	s_clause 0x4
	buffer_load_dword v18, off, s[0:3], 0 offset:460
	buffer_load_dword v43, off, s[0:3], 0 offset:472
	;; [unrolled: 1-line block ×5, first 2 shown]
	s_waitcnt vmcnt(57) lgkmcnt(0)
	v_mul_f64 v[172:173], v[5:6], v[47:48]
	v_mul_f64 v[47:48], v[7:8], v[47:48]
	s_waitcnt vmcnt(56)
	v_fma_f64 v[41:42], v[9:10], v[23:24], -v[41:42]
	ds_read_b128 v[1:4], v142 offset:864
	v_fma_f64 v[23:24], v[11:12], v[23:24], v[35:36]
	v_add_f64 v[13:14], v[13:14], v[37:38]
	v_add_f64 v[15:16], v[15:16], v[33:34]
	s_clause 0x2
	buffer_load_dword v44, off, s[0:3], 0 offset:476
	buffer_load_dword v34, off, s[0:3], 0 offset:452
	;; [unrolled: 1-line block ×3, first 2 shown]
	ds_read_b128 v[9:12], v142 offset:880
	s_waitcnt vmcnt(58) lgkmcnt(1)
	v_mul_f64 v[37:38], v[3:4], v[51:52]
	s_waitcnt vmcnt(56)
	v_fma_f64 v[47:48], v[5:6], v[53:54], -v[47:48]
	v_mul_f64 v[35:36], v[1:2], v[51:52]
	v_add_f64 v[13:14], v[13:14], v[41:42]
	v_fma_f64 v[41:42], v[7:8], v[53:54], v[172:173]
	v_add_f64 v[15:16], v[15:16], v[23:24]
	s_clause 0x4
	buffer_load_dword v24, off, s[0:3], 0 offset:492
	buffer_load_dword v51, off, s[0:3], 0 offset:504
	;; [unrolled: 1-line block ×5, first 2 shown]
	s_waitcnt vmcnt(57) lgkmcnt(0)
	v_mul_f64 v[172:173], v[9:10], v[55:56]
	v_mul_f64 v[54:55], v[11:12], v[55:56]
	s_waitcnt vmcnt(56)
	v_fma_f64 v[37:38], v[1:2], v[39:40], -v[37:38]
	ds_read_b128 v[5:8], v142 offset:896
	v_fma_f64 v[35:36], v[3:4], v[39:40], v[35:36]
	s_clause 0x2
	buffer_load_dword v52, off, s[0:3], 0 offset:508
	buffer_load_dword v40, off, s[0:3], 0 offset:484
	buffer_load_dword v39, off, s[0:3], 0 offset:480
	ds_read_b128 v[1:4], v142 offset:912
	v_add_f64 v[13:14], v[13:14], v[47:48]
	v_add_f64 v[15:16], v[15:16], v[41:42]
	s_waitcnt vmcnt(58) lgkmcnt(1)
	v_mul_f64 v[47:48], v[7:8], v[59:60]
	s_waitcnt vmcnt(56)
	v_fma_f64 v[55:56], v[9:10], v[61:62], -v[54:55]
	v_mul_f64 v[41:42], v[5:6], v[59:60]
	v_add_f64 v[13:14], v[13:14], v[37:38]
	v_fma_f64 v[37:38], v[11:12], v[61:62], v[172:173]
	v_add_f64 v[15:16], v[15:16], v[35:36]
	s_clause 0x4
	buffer_load_dword v36, off, s[0:3], 0 offset:524
	buffer_load_dword v59, off, s[0:3], 0 offset:536
	;; [unrolled: 1-line block ×5, first 2 shown]
	s_waitcnt vmcnt(57) lgkmcnt(0)
	v_mul_f64 v[172:173], v[1:2], v[63:64]
	v_mul_f64 v[62:63], v[3:4], v[63:64]
	s_waitcnt vmcnt(56)
	v_fma_f64 v[47:48], v[5:6], v[49:50], -v[47:48]
	ds_read_b128 v[9:12], v142 offset:928
	v_fma_f64 v[41:42], v[7:8], v[49:50], v[41:42]
	v_add_f64 v[13:14], v[13:14], v[55:56]
	v_add_f64 v[15:16], v[15:16], v[37:38]
	s_clause 0x2
	buffer_load_dword v60, off, s[0:3], 0 offset:540
	buffer_load_dword v38, off, s[0:3], 0 offset:516
	;; [unrolled: 1-line block ×3, first 2 shown]
	ds_read_b128 v[5:8], v142 offset:944
	s_waitcnt vmcnt(58) lgkmcnt(1)
	v_mul_f64 v[55:56], v[11:12], v[137:138]
	s_waitcnt vmcnt(56)
	v_fma_f64 v[63:64], v[1:2], v[139:140], -v[62:63]
	v_mul_f64 v[49:50], v[9:10], v[137:138]
	v_add_f64 v[13:14], v[13:14], v[47:48]
	v_fma_f64 v[47:48], v[3:4], v[139:140], v[172:173]
	v_add_f64 v[15:16], v[15:16], v[41:42]
	s_clause 0x4
	buffer_load_dword v42, off, s[0:3], 0 offset:556
	buffer_load_dword v137, off, s[0:3], 0 offset:568
	;; [unrolled: 1-line block ×5, first 2 shown]
	s_waitcnt vmcnt(57) lgkmcnt(0)
	v_mul_f64 v[172:173], v[5:6], v[157:158]
	v_mul_f64 v[157:158], v[7:8], v[157:158]
	s_waitcnt vmcnt(56)
	v_fma_f64 v[55:56], v[9:10], v[57:58], -v[55:56]
	ds_read_b128 v[1:4], v142 offset:960
	v_fma_f64 v[49:50], v[11:12], v[57:58], v[49:50]
	v_add_f64 v[13:14], v[13:14], v[63:64]
	v_add_f64 v[15:16], v[15:16], v[47:48]
	s_clause 0x2
	buffer_load_dword v138, off, s[0:3], 0 offset:572
	buffer_load_dword v48, off, s[0:3], 0 offset:548
	;; [unrolled: 1-line block ×3, first 2 shown]
	ds_read_b128 v[9:12], v142 offset:976
	s_waitcnt vmcnt(58) lgkmcnt(1)
	v_mul_f64 v[63:64], v[3:4], v[159:160]
	s_waitcnt vmcnt(56)
	v_fma_f64 v[157:158], v[5:6], v[164:165], -v[157:158]
	v_mul_f64 v[57:58], v[1:2], v[159:160]
	v_add_f64 v[13:14], v[13:14], v[55:56]
	v_fma_f64 v[55:56], v[7:8], v[164:165], v[172:173]
	v_add_f64 v[15:16], v[15:16], v[49:50]
	s_clause 0x4
	buffer_load_dword v50, off, s[0:3], 0 offset:588
	buffer_load_dword v159, off, s[0:3], 0 offset:600
	;; [unrolled: 1-line block ×5, first 2 shown]
	ds_read_b128 v[5:8], v142 offset:992
	s_waitcnt vmcnt(57) lgkmcnt(1)
	v_mul_f64 v[164:165], v[9:10], v[155:156]
	v_mul_f64 v[155:156], v[11:12], v[155:156]
	s_waitcnt vmcnt(56)
	v_fma_f64 v[63:64], v[1:2], v[161:162], -v[63:64]
	v_fma_f64 v[57:58], v[3:4], v[161:162], v[57:58]
	v_add_f64 v[13:14], v[13:14], v[157:158]
	v_add_f64 v[15:16], v[15:16], v[55:56]
	s_clause 0x2
	buffer_load_dword v160, off, s[0:3], 0 offset:604
	buffer_load_dword v56, off, s[0:3], 0 offset:580
	;; [unrolled: 1-line block ×3, first 2 shown]
	ds_read_b128 v[1:4], v142 offset:1008
	s_waitcnt vmcnt(58) lgkmcnt(1)
	v_mul_f64 v[161:162], v[7:8], v[168:169]
	v_mul_f64 v[157:158], v[5:6], v[168:169]
	s_waitcnt vmcnt(56)
	v_fma_f64 v[155:156], v[9:10], v[149:150], -v[155:156]
	v_add_f64 v[13:14], v[13:14], v[63:64]
	v_fma_f64 v[63:64], v[11:12], v[149:150], v[164:165]
	v_add_f64 v[15:16], v[15:16], v[57:58]
	s_clause 0x4
	buffer_load_dword v58, off, s[0:3], 0 offset:620
	buffer_load_dword v149, off, s[0:3], 0 offset:632
	;; [unrolled: 1-line block ×5, first 2 shown]
	ds_read_b128 v[9:12], v142 offset:1024
	s_waitcnt vmcnt(57) lgkmcnt(1)
	v_mul_f64 v[172:173], v[1:2], v[31:32]
	v_mul_f64 v[31:32], v[3:4], v[31:32]
	s_waitcnt vmcnt(56)
	v_fma_f64 v[161:162], v[5:6], v[170:171], -v[161:162]
	v_add_f64 v[13:14], v[13:14], v[155:156]
	v_fma_f64 v[155:156], v[7:8], v[170:171], v[157:158]
	v_add_f64 v[15:16], v[15:16], v[63:64]
	s_clause 0x2
	buffer_load_dword v150, off, s[0:3], 0 offset:636
	buffer_load_dword v64, off, s[0:3], 0 offset:612
	;; [unrolled: 1-line block ×3, first 2 shown]
	ds_read_b128 v[5:8], v142 offset:1040
	s_waitcnt vmcnt(58) lgkmcnt(1)
	v_mul_f64 v[157:158], v[9:10], v[151:152]
	v_mul_f64 v[151:152], v[11:12], v[151:152]
	s_waitcnt vmcnt(56)
	v_fma_f64 v[31:32], v[1:2], v[19:20], -v[31:32]
	v_fma_f64 v[19:20], v[3:4], v[19:20], v[172:173]
	v_add_f64 v[13:14], v[13:14], v[161:162]
	v_add_f64 v[15:16], v[15:16], v[155:156]
	s_clause 0x2
	buffer_load_dword v156, off, s[0:3], 0 offset:652
	buffer_load_dword v155, off, s[0:3], 0 offset:648
	;; [unrolled: 1-line block ×3, first 2 shown]
	ds_read_b128 v[1:4], v142 offset:1056
	s_waitcnt vmcnt(55) lgkmcnt(1)
	v_mul_f64 v[161:162], v[5:6], v[143:144]
	v_mul_f64 v[143:144], v[7:8], v[143:144]
	s_waitcnt vmcnt(54)
	v_fma_f64 v[151:152], v[9:10], v[166:167], -v[151:152]
	v_add_f64 v[13:14], v[13:14], v[31:32]
	v_fma_f64 v[31:32], v[11:12], v[166:167], v[157:158]
	v_add_f64 v[15:16], v[15:16], v[19:20]
	s_clause 0x1
	buffer_load_dword v20, off, s[0:3], 0 offset:644
	buffer_load_dword v19, off, s[0:3], 0 offset:640
	ds_read_b128 v[9:12], v142 offset:1072
	s_waitcnt vmcnt(55) lgkmcnt(1)
	v_mul_f64 v[157:158], v[1:2], v[145:146]
	v_mul_f64 v[145:146], v[3:4], v[145:146]
	s_waitcnt vmcnt(53)
	v_fma_f64 v[143:144], v[5:6], v[21:22], -v[143:144]
	v_fma_f64 v[21:22], v[7:8], v[21:22], v[161:162]
	ds_read_b128 v[5:8], v142 offset:1088
	v_add_f64 v[13:14], v[13:14], v[151:152]
	v_add_f64 v[15:16], v[15:16], v[31:32]
	s_waitcnt vmcnt(49) lgkmcnt(1)
	v_mul_f64 v[31:32], v[9:10], v[17:18]
	v_mul_f64 v[17:18], v[11:12], v[17:18]
	s_waitcnt vmcnt(48)
	v_fma_f64 v[145:146], v[1:2], v[153:154], -v[145:146]
	v_add_f64 v[13:14], v[13:14], v[143:144]
	v_fma_f64 v[143:144], v[3:4], v[153:154], v[157:158]
	v_add_f64 v[15:16], v[15:16], v[21:22]
	s_clause 0x3
	buffer_load_dword v21, off, s[0:3], 0 offset:64
	buffer_load_dword v22, off, s[0:3], 0 offset:68
	;; [unrolled: 1-line block ×4, first 2 shown]
	ds_read_b128 v[1:4], v142 offset:1104
	s_waitcnt vmcnt(51) lgkmcnt(1)
	v_mul_f64 v[153:154], v[5:6], v[43:44]
	v_mul_f64 v[43:44], v[7:8], v[43:44]
	s_waitcnt vmcnt(49)
	v_fma_f64 v[17:18], v[9:10], v[33:34], -v[17:18]
	v_fma_f64 v[31:32], v[11:12], v[33:34], v[31:32]
	ds_read_b128 v[9:12], v142 offset:1120
	v_add_f64 v[13:14], v[13:14], v[145:146]
	v_add_f64 v[15:16], v[15:16], v[143:144]
	s_waitcnt vmcnt(45) lgkmcnt(1)
	v_mul_f64 v[33:34], v[1:2], v[23:24]
	v_mul_f64 v[23:24], v[3:4], v[23:24]
	s_waitcnt vmcnt(44)
	v_fma_f64 v[43:44], v[5:6], v[147:148], -v[43:44]
	v_add_f64 v[13:14], v[13:14], v[17:18]
	v_fma_f64 v[17:18], v[7:8], v[147:148], v[153:154]
	v_add_f64 v[15:16], v[15:16], v[31:32]
	s_waitcnt vmcnt(43) lgkmcnt(0)
	v_mul_f64 v[31:32], v[9:10], v[51:52]
	v_mul_f64 v[51:52], v[11:12], v[51:52]
	ds_read_b128 v[5:8], v142 offset:1136
	s_waitcnt vmcnt(41)
	v_fma_f64 v[33:34], v[3:4], v[39:40], v[33:34]
	v_fma_f64 v[23:24], v[1:2], v[39:40], -v[23:24]
	ds_read_b128 v[1:4], v142 offset:1152
	v_add_f64 v[13:14], v[13:14], v[43:44]
	v_add_f64 v[15:16], v[15:16], v[17:18]
	s_waitcnt vmcnt(37) lgkmcnt(1)
	v_mul_f64 v[17:18], v[5:6], v[35:36]
	v_mul_f64 v[35:36], v[7:8], v[35:36]
	s_waitcnt vmcnt(36)
	v_fma_f64 v[39:40], v[9:10], v[53:54], -v[51:52]
	v_add_f64 v[13:14], v[13:14], v[23:24]
	v_fma_f64 v[23:24], v[11:12], v[53:54], v[31:32]
	v_add_f64 v[15:16], v[15:16], v[33:34]
	ds_read_b128 v[9:12], v142 offset:1168
	s_waitcnt vmcnt(35) lgkmcnt(1)
	v_mul_f64 v[33:34], v[3:4], v[59:60]
	v_mul_f64 v[31:32], v[1:2], v[59:60]
	s_waitcnt vmcnt(33)
	v_fma_f64 v[35:36], v[5:6], v[37:38], -v[35:36]
	v_fma_f64 v[17:18], v[7:8], v[37:38], v[17:18]
	ds_read_b128 v[5:8], v142 offset:1184
	v_add_f64 v[13:14], v[13:14], v[39:40]
	v_add_f64 v[15:16], v[15:16], v[23:24]
	s_waitcnt vmcnt(29) lgkmcnt(1)
	v_mul_f64 v[37:38], v[11:12], v[41:42]
	s_waitcnt vmcnt(28)
	v_fma_f64 v[33:34], v[1:2], v[61:62], -v[33:34]
	v_mul_f64 v[23:24], v[9:10], v[41:42]
	v_fma_f64 v[31:32], v[3:4], v[61:62], v[31:32]
	ds_read_b128 v[1:4], v142 offset:1200
	v_add_f64 v[13:14], v[13:14], v[35:36]
	v_add_f64 v[15:16], v[15:16], v[17:18]
	s_waitcnt vmcnt(27) lgkmcnt(1)
	v_mul_f64 v[35:36], v[7:8], v[137:138]
	v_mul_f64 v[17:18], v[5:6], v[137:138]
	s_waitcnt vmcnt(25)
	v_fma_f64 v[37:38], v[9:10], v[47:48], -v[37:38]
	v_fma_f64 v[23:24], v[11:12], v[47:48], v[23:24]
	ds_read_b128 v[9:12], v142 offset:1216
	v_add_f64 v[13:14], v[13:14], v[33:34]
	v_add_f64 v[15:16], v[15:16], v[31:32]
	s_waitcnt vmcnt(21) lgkmcnt(1)
	v_mul_f64 v[33:34], v[3:4], v[49:50]
	s_waitcnt vmcnt(20)
	v_fma_f64 v[35:36], v[5:6], v[139:140], -v[35:36]
	v_mul_f64 v[31:32], v[1:2], v[49:50]
	v_fma_f64 v[17:18], v[7:8], v[139:140], v[17:18]
	ds_read_b128 v[5:8], v142 offset:1232
	v_add_f64 v[13:14], v[13:14], v[37:38]
	v_add_f64 v[15:16], v[15:16], v[23:24]
	;; [unrolled: 18-line block ×3, first 2 shown]
	s_waitcnt vmcnt(11) lgkmcnt(1)
	v_mul_f64 v[33:34], v[3:4], v[149:150]
	v_mul_f64 v[31:32], v[1:2], v[149:150]
	s_waitcnt vmcnt(9)
	v_fma_f64 v[5:6], v[5:6], v[63:64], -v[35:36]
	v_fma_f64 v[7:8], v[7:8], v[63:64], v[17:18]
	v_add_f64 v[13:14], v[13:14], v[37:38]
	v_add_f64 v[15:16], v[15:16], v[23:24]
	s_waitcnt vmcnt(7) lgkmcnt(0)
	v_mul_f64 v[23:24], v[11:12], v[155:156]
	s_waitcnt vmcnt(6)
	v_fma_f64 v[1:2], v[1:2], v[168:169], -v[33:34]
	v_mul_f64 v[17:18], v[9:10], v[155:156]
	v_fma_f64 v[3:4], v[3:4], v[168:169], v[31:32]
	v_add_f64 v[5:6], v[13:14], v[5:6]
	v_add_f64 v[7:8], v[15:16], v[7:8]
	s_waitcnt vmcnt(4)
	v_fma_f64 v[9:10], v[9:10], v[19:20], -v[23:24]
	v_add_f64 v[1:2], v[5:6], v[1:2]
	v_fma_f64 v[5:6], v[11:12], v[19:20], v[17:18]
	v_add_f64 v[3:4], v[7:8], v[3:4]
	v_add_f64 v[1:2], v[1:2], v[9:10]
	;; [unrolled: 1-line block ×3, first 2 shown]
	s_waitcnt vmcnt(2)
	v_add_f64 v[1:2], v[21:22], -v[1:2]
	s_waitcnt vmcnt(0)
	v_add_f64 v[3:4], v[151:152], -v[3:4]
	buffer_store_dword v2, off, s[0:3], 0 offset:68
	buffer_store_dword v1, off, s[0:3], 0 offset:64
	;; [unrolled: 1-line block ×4, first 2 shown]
	v_cmpx_lt_u32_e32 2, v0
	s_cbranch_execz .LBB39_249
; %bb.248:
	v_mov_b32_e32 v4, s50
	v_mov_b32_e32 v5, 0
	s_clause 0x3
	buffer_load_dword v1, v4, s[0:3], 0 offen
	buffer_load_dword v2, v4, s[0:3], 0 offen offset:4
	buffer_load_dword v3, v4, s[0:3], 0 offen offset:8
	;; [unrolled: 1-line block ×3, first 2 shown]
	buffer_store_dword v5, off, s[0:3], 0 offset:48
	buffer_store_dword v5, off, s[0:3], 0 offset:52
	buffer_store_dword v5, off, s[0:3], 0 offset:56
	buffer_store_dword v5, off, s[0:3], 0 offset:60
	s_waitcnt vmcnt(0)
	ds_write_b128 v141, v[1:4]
.LBB39_249:
	s_or_b32 exec_lo, exec_lo, s4
	s_waitcnt lgkmcnt(0)
	s_waitcnt_vscnt null, 0x0
	s_barrier
	buffer_gl0_inv
	s_clause 0x37
	buffer_load_dword v9, off, s[0:3], 0 offset:72
	buffer_load_dword v10, off, s[0:3], 0 offset:76
	;; [unrolled: 1-line block ×56, first 2 shown]
	v_mov_b32_e32 v142, 0
	s_mov_b32 s4, exec_lo
	ds_read_b128 v[143:146], v142 offset:688
	s_clause 0x2
	buffer_load_dword v138, off, s[0:3], 0 offset:300
	buffer_load_dword v140, off, s[0:3], 0 offset:276
	;; [unrolled: 1-line block ×3, first 2 shown]
	ds_read_b128 v[147:150], v142 offset:704
	s_clause 0x4
	buffer_load_dword v158, off, s[0:3], 0 offset:316
	buffer_load_dword v159, off, s[0:3], 0 offset:328
	;; [unrolled: 1-line block ×5, first 2 shown]
	ds_read_b128 v[151:154], v142 offset:720
	s_clause 0x2
	buffer_load_dword v160, off, s[0:3], 0 offset:332
	buffer_load_dword v165, off, s[0:3], 0 offset:308
	;; [unrolled: 1-line block ×3, first 2 shown]
	s_waitcnt vmcnt(62) lgkmcnt(2)
	v_mul_f64 v[155:156], v[145:146], v[9:10]
	v_mul_f64 v[9:10], v[143:144], v[9:10]
	s_waitcnt lgkmcnt(1)
	v_mul_f64 v[162:163], v[149:150], v[5:6]
	s_waitcnt vmcnt(59) lgkmcnt(0)
	v_mul_f64 v[166:167], v[153:154], v[3:4]
	v_fma_f64 v[143:144], v[143:144], v[7:8], -v[155:156]
	v_mul_f64 v[155:156], v[147:148], v[5:6]
	v_fma_f64 v[9:10], v[145:146], v[7:8], v[9:10]
	s_waitcnt vmcnt(57)
	v_fma_f64 v[147:148], v[147:148], v[1:2], -v[162:163]
	ds_read_b128 v[5:8], v142 offset:736
	v_mul_f64 v[145:146], v[151:152], v[3:4]
	s_waitcnt vmcnt(51)
	v_fma_f64 v[151:152], v[151:152], v[31:32], -v[166:167]
	v_add_f64 v[143:144], v[143:144], 0
	v_fma_f64 v[149:150], v[149:150], v[1:2], v[155:156]
	v_add_f64 v[9:10], v[9:10], 0
	s_clause 0x4
	buffer_load_dword v156, off, s[0:3], 0 offset:348
	buffer_load_dword v168, off, s[0:3], 0 offset:360
	;; [unrolled: 1-line block ×5, first 2 shown]
	s_waitcnt lgkmcnt(0)
	v_mul_f64 v[171:172], v[5:6], v[13:14]
	v_mul_f64 v[13:14], v[7:8], v[13:14]
	ds_read_b128 v[1:4], v142 offset:752
	v_fma_f64 v[31:32], v[153:154], v[31:32], v[145:146]
	v_add_f64 v[147:148], v[143:144], v[147:148]
	v_add_f64 v[9:10], v[9:10], v[149:150]
	s_clause 0x2
	buffer_load_dword v169, off, s[0:3], 0 offset:364
	buffer_load_dword v150, off, s[0:3], 0 offset:340
	;; [unrolled: 1-line block ×3, first 2 shown]
	s_waitcnt vmcnt(58) lgkmcnt(0)
	v_mul_f64 v[153:154], v[1:2], v[17:18]
	v_mul_f64 v[17:18], v[3:4], v[17:18]
	s_waitcnt vmcnt(56)
	v_fma_f64 v[13:14], v[5:6], v[19:20], -v[13:14]
	ds_read_b128 v[143:146], v142 offset:768
	v_fma_f64 v[19:20], v[7:8], v[19:20], v[171:172]
	v_add_f64 v[147:148], v[147:148], v[151:152]
	v_add_f64 v[9:10], v[9:10], v[31:32]
	s_clause 0x4
	buffer_load_dword v32, off, s[0:3], 0 offset:380
	buffer_load_dword v151, off, s[0:3], 0 offset:392
	;; [unrolled: 1-line block ×5, first 2 shown]
	ds_read_b128 v[5:8], v142 offset:784
	s_waitcnt vmcnt(57) lgkmcnt(1)
	v_mul_f64 v[172:173], v[143:144], v[21:22]
	v_mul_f64 v[21:22], v[145:146], v[21:22]
	s_waitcnt vmcnt(56)
	v_fma_f64 v[17:18], v[1:2], v[11:12], -v[17:18]
	v_fma_f64 v[11:12], v[3:4], v[11:12], v[153:154]
	v_add_f64 v[13:14], v[147:148], v[13:14]
	v_add_f64 v[9:10], v[9:10], v[19:20]
	s_clause 0x2
	buffer_load_dword v152, off, s[0:3], 0 offset:396
	buffer_load_dword v20, off, s[0:3], 0 offset:372
	;; [unrolled: 1-line block ×3, first 2 shown]
	s_waitcnt vmcnt(58) lgkmcnt(0)
	v_mul_f64 v[147:148], v[5:6], v[33:34]
	v_mul_f64 v[33:34], v[7:8], v[33:34]
	s_waitcnt vmcnt(56)
	v_fma_f64 v[21:22], v[143:144], v[35:36], -v[21:22]
	ds_read_b128 v[1:4], v142 offset:800
	v_add_f64 v[13:14], v[13:14], v[17:18]
	v_fma_f64 v[17:18], v[145:146], v[35:36], v[172:173]
	v_add_f64 v[35:36], v[9:10], v[11:12]
	s_clause 0x4
	buffer_load_dword v144, off, s[0:3], 0 offset:412
	buffer_load_dword v145, off, s[0:3], 0 offset:424
	;; [unrolled: 1-line block ×5, first 2 shown]
	ds_read_b128 v[9:12], v142 offset:816
	s_waitcnt vmcnt(57) lgkmcnt(1)
	v_mul_f64 v[172:173], v[1:2], v[37:38]
	v_mul_f64 v[37:38], v[3:4], v[37:38]
	s_waitcnt vmcnt(56)
	v_fma_f64 v[33:34], v[5:6], v[15:16], -v[33:34]
	v_fma_f64 v[15:16], v[7:8], v[15:16], v[147:148]
	v_add_f64 v[13:14], v[13:14], v[21:22]
	s_clause 0x2
	buffer_load_dword v146, off, s[0:3], 0 offset:428
	buffer_load_dword v22, off, s[0:3], 0 offset:404
	;; [unrolled: 1-line block ×3, first 2 shown]
	v_add_f64 v[17:18], v[35:36], v[17:18]
	s_waitcnt vmcnt(58) lgkmcnt(0)
	v_mul_f64 v[35:36], v[9:10], v[41:42]
	v_mul_f64 v[41:42], v[11:12], v[41:42]
	ds_read_b128 v[5:8], v142 offset:832
	s_waitcnt vmcnt(56)
	v_fma_f64 v[37:38], v[1:2], v[43:44], -v[37:38]
	v_add_f64 v[13:14], v[13:14], v[33:34]
	v_fma_f64 v[33:34], v[3:4], v[43:44], v[172:173]
	v_add_f64 v[15:16], v[17:18], v[15:16]
	s_clause 0x4
	buffer_load_dword v18, off, s[0:3], 0 offset:444
	buffer_load_dword v43, off, s[0:3], 0 offset:456
	;; [unrolled: 1-line block ×5, first 2 shown]
	s_waitcnt vmcnt(57) lgkmcnt(0)
	v_mul_f64 v[172:173], v[5:6], v[47:48]
	v_mul_f64 v[47:48], v[7:8], v[47:48]
	s_waitcnt vmcnt(56)
	v_fma_f64 v[41:42], v[9:10], v[23:24], -v[41:42]
	ds_read_b128 v[1:4], v142 offset:848
	v_fma_f64 v[23:24], v[11:12], v[23:24], v[35:36]
	v_add_f64 v[13:14], v[13:14], v[37:38]
	v_add_f64 v[15:16], v[15:16], v[33:34]
	s_clause 0x2
	buffer_load_dword v44, off, s[0:3], 0 offset:460
	buffer_load_dword v34, off, s[0:3], 0 offset:436
	;; [unrolled: 1-line block ×3, first 2 shown]
	ds_read_b128 v[9:12], v142 offset:864
	s_waitcnt vmcnt(58) lgkmcnt(1)
	v_mul_f64 v[37:38], v[3:4], v[51:52]
	s_waitcnt vmcnt(56)
	v_fma_f64 v[47:48], v[5:6], v[53:54], -v[47:48]
	v_mul_f64 v[35:36], v[1:2], v[51:52]
	v_add_f64 v[13:14], v[13:14], v[41:42]
	v_fma_f64 v[41:42], v[7:8], v[53:54], v[172:173]
	v_add_f64 v[15:16], v[15:16], v[23:24]
	s_clause 0x4
	buffer_load_dword v24, off, s[0:3], 0 offset:476
	buffer_load_dword v51, off, s[0:3], 0 offset:488
	;; [unrolled: 1-line block ×5, first 2 shown]
	s_waitcnt vmcnt(57) lgkmcnt(0)
	v_mul_f64 v[172:173], v[9:10], v[55:56]
	v_mul_f64 v[54:55], v[11:12], v[55:56]
	s_waitcnt vmcnt(56)
	v_fma_f64 v[37:38], v[1:2], v[39:40], -v[37:38]
	ds_read_b128 v[5:8], v142 offset:880
	v_fma_f64 v[35:36], v[3:4], v[39:40], v[35:36]
	s_clause 0x2
	buffer_load_dword v52, off, s[0:3], 0 offset:492
	buffer_load_dword v40, off, s[0:3], 0 offset:468
	;; [unrolled: 1-line block ×3, first 2 shown]
	ds_read_b128 v[1:4], v142 offset:896
	v_add_f64 v[13:14], v[13:14], v[47:48]
	v_add_f64 v[15:16], v[15:16], v[41:42]
	s_waitcnt vmcnt(58) lgkmcnt(1)
	v_mul_f64 v[47:48], v[7:8], v[59:60]
	s_waitcnt vmcnt(56)
	v_fma_f64 v[55:56], v[9:10], v[61:62], -v[54:55]
	v_mul_f64 v[41:42], v[5:6], v[59:60]
	v_add_f64 v[13:14], v[13:14], v[37:38]
	v_fma_f64 v[37:38], v[11:12], v[61:62], v[172:173]
	v_add_f64 v[15:16], v[15:16], v[35:36]
	s_clause 0x4
	buffer_load_dword v36, off, s[0:3], 0 offset:508
	buffer_load_dword v59, off, s[0:3], 0 offset:520
	;; [unrolled: 1-line block ×5, first 2 shown]
	s_waitcnt vmcnt(57) lgkmcnt(0)
	v_mul_f64 v[172:173], v[1:2], v[63:64]
	v_mul_f64 v[62:63], v[3:4], v[63:64]
	s_waitcnt vmcnt(56)
	v_fma_f64 v[47:48], v[5:6], v[49:50], -v[47:48]
	ds_read_b128 v[9:12], v142 offset:912
	v_fma_f64 v[41:42], v[7:8], v[49:50], v[41:42]
	v_add_f64 v[13:14], v[13:14], v[55:56]
	v_add_f64 v[15:16], v[15:16], v[37:38]
	s_clause 0x2
	buffer_load_dword v60, off, s[0:3], 0 offset:524
	buffer_load_dword v38, off, s[0:3], 0 offset:500
	;; [unrolled: 1-line block ×3, first 2 shown]
	ds_read_b128 v[5:8], v142 offset:928
	s_waitcnt vmcnt(58) lgkmcnt(1)
	v_mul_f64 v[55:56], v[11:12], v[137:138]
	s_waitcnt vmcnt(56)
	v_fma_f64 v[63:64], v[1:2], v[139:140], -v[62:63]
	v_mul_f64 v[49:50], v[9:10], v[137:138]
	v_add_f64 v[13:14], v[13:14], v[47:48]
	v_fma_f64 v[47:48], v[3:4], v[139:140], v[172:173]
	v_add_f64 v[15:16], v[15:16], v[41:42]
	s_clause 0x4
	buffer_load_dword v42, off, s[0:3], 0 offset:540
	buffer_load_dword v137, off, s[0:3], 0 offset:552
	;; [unrolled: 1-line block ×5, first 2 shown]
	s_waitcnt vmcnt(57) lgkmcnt(0)
	v_mul_f64 v[172:173], v[5:6], v[157:158]
	v_mul_f64 v[157:158], v[7:8], v[157:158]
	s_waitcnt vmcnt(56)
	v_fma_f64 v[55:56], v[9:10], v[57:58], -v[55:56]
	ds_read_b128 v[1:4], v142 offset:944
	v_fma_f64 v[49:50], v[11:12], v[57:58], v[49:50]
	v_add_f64 v[13:14], v[13:14], v[63:64]
	v_add_f64 v[15:16], v[15:16], v[47:48]
	s_clause 0x2
	buffer_load_dword v138, off, s[0:3], 0 offset:556
	buffer_load_dword v48, off, s[0:3], 0 offset:532
	;; [unrolled: 1-line block ×3, first 2 shown]
	ds_read_b128 v[9:12], v142 offset:960
	s_waitcnt vmcnt(58) lgkmcnt(1)
	v_mul_f64 v[63:64], v[3:4], v[159:160]
	s_waitcnt vmcnt(56)
	v_fma_f64 v[157:158], v[5:6], v[164:165], -v[157:158]
	v_mul_f64 v[57:58], v[1:2], v[159:160]
	v_add_f64 v[13:14], v[13:14], v[55:56]
	v_fma_f64 v[55:56], v[7:8], v[164:165], v[172:173]
	v_add_f64 v[15:16], v[15:16], v[49:50]
	s_clause 0x4
	buffer_load_dword v50, off, s[0:3], 0 offset:572
	buffer_load_dword v159, off, s[0:3], 0 offset:584
	;; [unrolled: 1-line block ×5, first 2 shown]
	ds_read_b128 v[5:8], v142 offset:976
	s_waitcnt vmcnt(57) lgkmcnt(1)
	v_mul_f64 v[164:165], v[9:10], v[155:156]
	v_mul_f64 v[155:156], v[11:12], v[155:156]
	s_waitcnt vmcnt(56)
	v_fma_f64 v[63:64], v[1:2], v[161:162], -v[63:64]
	v_fma_f64 v[57:58], v[3:4], v[161:162], v[57:58]
	v_add_f64 v[13:14], v[13:14], v[157:158]
	v_add_f64 v[15:16], v[15:16], v[55:56]
	s_clause 0x2
	buffer_load_dword v160, off, s[0:3], 0 offset:588
	buffer_load_dword v56, off, s[0:3], 0 offset:564
	;; [unrolled: 1-line block ×3, first 2 shown]
	ds_read_b128 v[1:4], v142 offset:992
	s_waitcnt vmcnt(58) lgkmcnt(1)
	v_mul_f64 v[161:162], v[7:8], v[168:169]
	v_mul_f64 v[157:158], v[5:6], v[168:169]
	s_waitcnt vmcnt(56)
	v_fma_f64 v[155:156], v[9:10], v[149:150], -v[155:156]
	v_add_f64 v[13:14], v[13:14], v[63:64]
	v_fma_f64 v[63:64], v[11:12], v[149:150], v[164:165]
	v_add_f64 v[15:16], v[15:16], v[57:58]
	s_clause 0x4
	buffer_load_dword v58, off, s[0:3], 0 offset:604
	buffer_load_dword v149, off, s[0:3], 0 offset:616
	;; [unrolled: 1-line block ×5, first 2 shown]
	ds_read_b128 v[9:12], v142 offset:1008
	s_waitcnt vmcnt(57) lgkmcnt(1)
	v_mul_f64 v[172:173], v[1:2], v[31:32]
	v_mul_f64 v[31:32], v[3:4], v[31:32]
	s_waitcnt vmcnt(56)
	v_fma_f64 v[161:162], v[5:6], v[170:171], -v[161:162]
	v_add_f64 v[13:14], v[13:14], v[155:156]
	v_fma_f64 v[155:156], v[7:8], v[170:171], v[157:158]
	v_add_f64 v[15:16], v[15:16], v[63:64]
	s_clause 0x2
	buffer_load_dword v150, off, s[0:3], 0 offset:620
	buffer_load_dword v64, off, s[0:3], 0 offset:596
	;; [unrolled: 1-line block ×3, first 2 shown]
	ds_read_b128 v[5:8], v142 offset:1024
	s_waitcnt vmcnt(58) lgkmcnt(1)
	v_mul_f64 v[157:158], v[9:10], v[151:152]
	v_mul_f64 v[151:152], v[11:12], v[151:152]
	s_waitcnt vmcnt(56)
	v_fma_f64 v[31:32], v[1:2], v[19:20], -v[31:32]
	v_fma_f64 v[19:20], v[3:4], v[19:20], v[172:173]
	v_add_f64 v[13:14], v[13:14], v[161:162]
	v_add_f64 v[15:16], v[15:16], v[155:156]
	s_clause 0x4
	buffer_load_dword v156, off, s[0:3], 0 offset:636
	buffer_load_dword v161, off, s[0:3], 0 offset:648
	;; [unrolled: 1-line block ×5, first 2 shown]
	ds_read_b128 v[1:4], v142 offset:1040
	s_waitcnt vmcnt(57) lgkmcnt(1)
	v_mul_f64 v[170:171], v[5:6], v[143:144]
	v_mul_f64 v[143:144], v[7:8], v[143:144]
	s_waitcnt vmcnt(56)
	v_fma_f64 v[151:152], v[9:10], v[166:167], -v[151:152]
	v_add_f64 v[13:14], v[13:14], v[31:32]
	v_fma_f64 v[31:32], v[11:12], v[166:167], v[157:158]
	v_add_f64 v[15:16], v[15:16], v[19:20]
	s_clause 0x2
	buffer_load_dword v162, off, s[0:3], 0 offset:652
	buffer_load_dword v20, off, s[0:3], 0 offset:628
	;; [unrolled: 1-line block ×3, first 2 shown]
	ds_read_b128 v[9:12], v142 offset:1056
	buffer_load_dword v166, off, s[0:3], 0 offset:644
	s_waitcnt vmcnt(59) lgkmcnt(1)
	v_mul_f64 v[157:158], v[1:2], v[145:146]
	v_mul_f64 v[145:146], v[3:4], v[145:146]
	s_waitcnt vmcnt(57)
	v_fma_f64 v[143:144], v[5:6], v[21:22], -v[143:144]
	v_fma_f64 v[21:22], v[7:8], v[21:22], v[170:171]
	ds_read_b128 v[5:8], v142 offset:1072
	v_add_f64 v[13:14], v[13:14], v[151:152]
	v_add_f64 v[15:16], v[15:16], v[31:32]
	s_waitcnt vmcnt(53) lgkmcnt(1)
	v_mul_f64 v[31:32], v[9:10], v[17:18]
	v_mul_f64 v[17:18], v[11:12], v[17:18]
	s_waitcnt vmcnt(52)
	v_fma_f64 v[145:146], v[1:2], v[153:154], -v[145:146]
	v_add_f64 v[13:14], v[13:14], v[143:144]
	v_fma_f64 v[143:144], v[3:4], v[153:154], v[157:158]
	v_add_f64 v[15:16], v[15:16], v[21:22]
	ds_read_b128 v[1:4], v142 offset:1088
	s_waitcnt vmcnt(51) lgkmcnt(1)
	v_mul_f64 v[21:22], v[5:6], v[43:44]
	v_mul_f64 v[43:44], v[7:8], v[43:44]
	s_waitcnt vmcnt(49)
	v_fma_f64 v[17:18], v[9:10], v[33:34], -v[17:18]
	v_fma_f64 v[31:32], v[11:12], v[33:34], v[31:32]
	v_add_f64 v[13:14], v[13:14], v[145:146]
	v_add_f64 v[15:16], v[15:16], v[143:144]
	s_clause 0x3
	buffer_load_dword v33, off, s[0:3], 0 offset:48
	buffer_load_dword v34, off, s[0:3], 0 offset:52
	buffer_load_dword v143, off, s[0:3], 0 offset:56
	buffer_load_dword v144, off, s[0:3], 0 offset:60
	ds_read_b128 v[9:12], v142 offset:1104
	s_waitcnt vmcnt(49) lgkmcnt(1)
	v_mul_f64 v[145:146], v[1:2], v[23:24]
	v_mul_f64 v[23:24], v[3:4], v[23:24]
	s_waitcnt vmcnt(48)
	v_fma_f64 v[43:44], v[5:6], v[147:148], -v[43:44]
	v_add_f64 v[13:14], v[13:14], v[17:18]
	v_fma_f64 v[17:18], v[7:8], v[147:148], v[21:22]
	v_add_f64 v[15:16], v[15:16], v[31:32]
	ds_read_b128 v[5:8], v142 offset:1120
	s_waitcnt vmcnt(47) lgkmcnt(1)
	v_mul_f64 v[31:32], v[11:12], v[51:52]
	v_mul_f64 v[21:22], v[9:10], v[51:52]
	s_waitcnt vmcnt(45)
	v_fma_f64 v[23:24], v[1:2], v[39:40], -v[23:24]
	v_fma_f64 v[39:40], v[3:4], v[39:40], v[145:146]
	ds_read_b128 v[1:4], v142 offset:1136
	v_add_f64 v[13:14], v[13:14], v[43:44]
	v_add_f64 v[15:16], v[15:16], v[17:18]
	s_waitcnt vmcnt(41) lgkmcnt(1)
	v_mul_f64 v[17:18], v[5:6], v[35:36]
	v_mul_f64 v[35:36], v[7:8], v[35:36]
	s_waitcnt vmcnt(40)
	v_fma_f64 v[31:32], v[9:10], v[53:54], -v[31:32]
	v_fma_f64 v[21:22], v[11:12], v[53:54], v[21:22]
	ds_read_b128 v[9:12], v142 offset:1152
	v_add_f64 v[13:14], v[13:14], v[23:24]
	v_add_f64 v[15:16], v[15:16], v[39:40]
	;; [unrolled: 9-line block ×3, first 2 shown]
	s_waitcnt vmcnt(33) lgkmcnt(1)
	v_mul_f64 v[31:32], v[11:12], v[41:42]
	s_waitcnt vmcnt(32)
	v_fma_f64 v[37:38], v[1:2], v[61:62], -v[39:40]
	v_mul_f64 v[21:22], v[9:10], v[41:42]
	v_fma_f64 v[23:24], v[3:4], v[61:62], v[23:24]
	ds_read_b128 v[1:4], v142 offset:1184
	v_add_f64 v[13:14], v[13:14], v[35:36]
	v_add_f64 v[15:16], v[15:16], v[17:18]
	s_waitcnt vmcnt(31) lgkmcnt(1)
	v_mul_f64 v[35:36], v[7:8], v[137:138]
	v_mul_f64 v[17:18], v[5:6], v[137:138]
	s_waitcnt vmcnt(29)
	v_fma_f64 v[31:32], v[9:10], v[47:48], -v[31:32]
	v_fma_f64 v[21:22], v[11:12], v[47:48], v[21:22]
	ds_read_b128 v[9:12], v142 offset:1200
	v_add_f64 v[13:14], v[13:14], v[37:38]
	v_add_f64 v[15:16], v[15:16], v[23:24]
	s_waitcnt vmcnt(25) lgkmcnt(1)
	v_mul_f64 v[37:38], v[3:4], v[49:50]
	s_waitcnt vmcnt(24)
	v_fma_f64 v[35:36], v[5:6], v[139:140], -v[35:36]
	v_mul_f64 v[23:24], v[1:2], v[49:50]
	v_fma_f64 v[17:18], v[7:8], v[139:140], v[17:18]
	ds_read_b128 v[5:8], v142 offset:1216
	v_add_f64 v[13:14], v[13:14], v[31:32]
	v_add_f64 v[15:16], v[15:16], v[21:22]
	s_waitcnt vmcnt(23) lgkmcnt(1)
	v_mul_f64 v[31:32], v[11:12], v[159:160]
	v_mul_f64 v[21:22], v[9:10], v[159:160]
	s_waitcnt vmcnt(21)
	v_fma_f64 v[37:38], v[1:2], v[55:56], -v[37:38]
	v_fma_f64 v[23:24], v[3:4], v[55:56], v[23:24]
	ds_read_b128 v[1:4], v142 offset:1232
	v_add_f64 v[13:14], v[13:14], v[35:36]
	v_add_f64 v[15:16], v[15:16], v[17:18]
	;; [unrolled: 18-line block ×3, first 2 shown]
	s_waitcnt vmcnt(9) lgkmcnt(1)
	v_mul_f64 v[31:32], v[11:12], v[155:156]
	s_waitcnt vmcnt(8)
	v_fma_f64 v[1:2], v[1:2], v[168:169], -v[37:38]
	v_mul_f64 v[21:22], v[9:10], v[155:156]
	v_fma_f64 v[3:4], v[3:4], v[168:169], v[23:24]
	v_add_f64 v[13:14], v[13:14], v[35:36]
	v_add_f64 v[15:16], v[15:16], v[17:18]
	s_waitcnt vmcnt(7) lgkmcnt(0)
	v_mul_f64 v[23:24], v[7:8], v[161:162]
	v_mul_f64 v[17:18], v[5:6], v[161:162]
	s_waitcnt vmcnt(5)
	v_fma_f64 v[9:10], v[9:10], v[19:20], -v[31:32]
	v_fma_f64 v[11:12], v[11:12], v[19:20], v[21:22]
	v_add_f64 v[1:2], v[13:14], v[1:2]
	v_add_f64 v[3:4], v[15:16], v[3:4]
	s_waitcnt vmcnt(4)
	v_fma_f64 v[5:6], v[5:6], v[165:166], -v[23:24]
	v_fma_f64 v[7:8], v[7:8], v[165:166], v[17:18]
	v_add_f64 v[1:2], v[1:2], v[9:10]
	v_add_f64 v[3:4], v[3:4], v[11:12]
	;; [unrolled: 1-line block ×4, first 2 shown]
	s_waitcnt vmcnt(2)
	v_add_f64 v[1:2], v[33:34], -v[1:2]
	s_waitcnt vmcnt(0)
	v_add_f64 v[3:4], v[143:144], -v[3:4]
	buffer_store_dword v2, off, s[0:3], 0 offset:52
	buffer_store_dword v1, off, s[0:3], 0 offset:48
	buffer_store_dword v4, off, s[0:3], 0 offset:60
	buffer_store_dword v3, off, s[0:3], 0 offset:56
	v_cmpx_lt_u32_e32 1, v0
	s_cbranch_execz .LBB39_251
; %bb.250:
	v_mov_b32_e32 v4, s51
	s_clause 0x3
	buffer_load_dword v1, v4, s[0:3], 0 offen
	buffer_load_dword v2, v4, s[0:3], 0 offen offset:4
	buffer_load_dword v3, v4, s[0:3], 0 offen offset:8
	buffer_load_dword v4, v4, s[0:3], 0 offen offset:12
	buffer_store_dword v142, off, s[0:3], 0 offset:32
	buffer_store_dword v142, off, s[0:3], 0 offset:36
	;; [unrolled: 1-line block ×4, first 2 shown]
	s_waitcnt vmcnt(0)
	ds_write_b128 v141, v[1:4]
.LBB39_251:
	s_or_b32 exec_lo, exec_lo, s4
	s_waitcnt lgkmcnt(0)
	s_waitcnt_vscnt null, 0x0
	s_barrier
	buffer_gl0_inv
	s_clause 0x37
	buffer_load_dword v9, off, s[0:3], 0 offset:56
	buffer_load_dword v10, off, s[0:3], 0 offset:60
	buffer_load_dword v5, off, s[0:3], 0 offset:72
	buffer_load_dword v6, off, s[0:3], 0 offset:76
	buffer_load_dword v7, off, s[0:3], 0 offset:48
	buffer_load_dword v8, off, s[0:3], 0 offset:52
	buffer_load_dword v3, off, s[0:3], 0 offset:88
	buffer_load_dword v4, off, s[0:3], 0 offset:92
	buffer_load_dword v1, off, s[0:3], 0 offset:64
	buffer_load_dword v2, off, s[0:3], 0 offset:68
	buffer_load_dword v14, off, s[0:3], 0 offset:108
	buffer_load_dword v17, off, s[0:3], 0 offset:120
	buffer_load_dword v11, off, s[0:3], 0 offset:112
	buffer_load_dword v13, off, s[0:3], 0 offset:104
	buffer_load_dword v31, off, s[0:3], 0 offset:80
	buffer_load_dword v32, off, s[0:3], 0 offset:84
	buffer_load_dword v18, off, s[0:3], 0 offset:124
	buffer_load_dword v20, off, s[0:3], 0 offset:100
	buffer_load_dword v19, off, s[0:3], 0 offset:96
	buffer_load_dword v22, off, s[0:3], 0 offset:140
	buffer_load_dword v33, off, s[0:3], 0 offset:152
	buffer_load_dword v15, off, s[0:3], 0 offset:144
	buffer_load_dword v21, off, s[0:3], 0 offset:136
	buffer_load_dword v12, off, s[0:3], 0 offset:116
	buffer_load_dword v34, off, s[0:3], 0 offset:156
	buffer_load_dword v36, off, s[0:3], 0 offset:132
	buffer_load_dword v35, off, s[0:3], 0 offset:128
	buffer_load_dword v38, off, s[0:3], 0 offset:172
	buffer_load_dword v41, off, s[0:3], 0 offset:184
	buffer_load_dword v23, off, s[0:3], 0 offset:176
	buffer_load_dword v37, off, s[0:3], 0 offset:168
	buffer_load_dword v16, off, s[0:3], 0 offset:148
	buffer_load_dword v42, off, s[0:3], 0 offset:188
	buffer_load_dword v44, off, s[0:3], 0 offset:164
	buffer_load_dword v43, off, s[0:3], 0 offset:160
	buffer_load_dword v48, off, s[0:3], 0 offset:204
	buffer_load_dword v51, off, s[0:3], 0 offset:216
	buffer_load_dword v39, off, s[0:3], 0 offset:208
	buffer_load_dword v47, off, s[0:3], 0 offset:200
	buffer_load_dword v24, off, s[0:3], 0 offset:180
	buffer_load_dword v52, off, s[0:3], 0 offset:220
	buffer_load_dword v54, off, s[0:3], 0 offset:196
	buffer_load_dword v53, off, s[0:3], 0 offset:192
	buffer_load_dword v56, off, s[0:3], 0 offset:236
	buffer_load_dword v59, off, s[0:3], 0 offset:248
	buffer_load_dword v49, off, s[0:3], 0 offset:240
	buffer_load_dword v55, off, s[0:3], 0 offset:232
	buffer_load_dword v40, off, s[0:3], 0 offset:212
	buffer_load_dword v60, off, s[0:3], 0 offset:252
	buffer_load_dword v62, off, s[0:3], 0 offset:228
	buffer_load_dword v61, off, s[0:3], 0 offset:224
	buffer_load_dword v64, off, s[0:3], 0 offset:268
	buffer_load_dword v137, off, s[0:3], 0 offset:280
	buffer_load_dword v57, off, s[0:3], 0 offset:272
	buffer_load_dword v63, off, s[0:3], 0 offset:264
	buffer_load_dword v50, off, s[0:3], 0 offset:244
	ds_read_b128 v[143:146], v142 offset:672
	s_clause 0x2
	buffer_load_dword v138, off, s[0:3], 0 offset:284
	buffer_load_dword v140, off, s[0:3], 0 offset:260
	;; [unrolled: 1-line block ×3, first 2 shown]
	ds_read_b128 v[147:150], v142 offset:688
	s_clause 0x4
	buffer_load_dword v158, off, s[0:3], 0 offset:300
	buffer_load_dword v159, off, s[0:3], 0 offset:312
	;; [unrolled: 1-line block ×5, first 2 shown]
	ds_read_b128 v[151:154], v142 offset:704
	s_clause 0x2
	buffer_load_dword v160, off, s[0:3], 0 offset:316
	buffer_load_dword v165, off, s[0:3], 0 offset:292
	;; [unrolled: 1-line block ×3, first 2 shown]
	s_mov_b32 s4, exec_lo
	s_waitcnt vmcnt(62) lgkmcnt(2)
	v_mul_f64 v[155:156], v[145:146], v[9:10]
	v_mul_f64 v[9:10], v[143:144], v[9:10]
	s_waitcnt lgkmcnt(1)
	v_mul_f64 v[162:163], v[149:150], v[5:6]
	s_waitcnt vmcnt(59) lgkmcnt(0)
	v_mul_f64 v[166:167], v[153:154], v[3:4]
	v_fma_f64 v[143:144], v[143:144], v[7:8], -v[155:156]
	v_mul_f64 v[155:156], v[147:148], v[5:6]
	v_fma_f64 v[9:10], v[145:146], v[7:8], v[9:10]
	s_waitcnt vmcnt(57)
	v_fma_f64 v[147:148], v[147:148], v[1:2], -v[162:163]
	ds_read_b128 v[5:8], v142 offset:720
	v_mul_f64 v[145:146], v[151:152], v[3:4]
	s_waitcnt vmcnt(51)
	v_fma_f64 v[151:152], v[151:152], v[31:32], -v[166:167]
	v_add_f64 v[143:144], v[143:144], 0
	v_fma_f64 v[149:150], v[149:150], v[1:2], v[155:156]
	v_add_f64 v[9:10], v[9:10], 0
	s_clause 0x4
	buffer_load_dword v156, off, s[0:3], 0 offset:332
	buffer_load_dword v168, off, s[0:3], 0 offset:344
	;; [unrolled: 1-line block ×5, first 2 shown]
	s_waitcnt lgkmcnt(0)
	v_mul_f64 v[171:172], v[5:6], v[13:14]
	v_mul_f64 v[13:14], v[7:8], v[13:14]
	ds_read_b128 v[1:4], v142 offset:736
	v_fma_f64 v[31:32], v[153:154], v[31:32], v[145:146]
	v_add_f64 v[147:148], v[143:144], v[147:148]
	v_add_f64 v[9:10], v[9:10], v[149:150]
	s_clause 0x2
	buffer_load_dword v169, off, s[0:3], 0 offset:348
	buffer_load_dword v150, off, s[0:3], 0 offset:324
	;; [unrolled: 1-line block ×3, first 2 shown]
	s_waitcnt vmcnt(58) lgkmcnt(0)
	v_mul_f64 v[153:154], v[1:2], v[17:18]
	v_mul_f64 v[17:18], v[3:4], v[17:18]
	s_waitcnt vmcnt(56)
	v_fma_f64 v[13:14], v[5:6], v[19:20], -v[13:14]
	ds_read_b128 v[143:146], v142 offset:752
	v_fma_f64 v[19:20], v[7:8], v[19:20], v[171:172]
	v_add_f64 v[147:148], v[147:148], v[151:152]
	v_add_f64 v[9:10], v[9:10], v[31:32]
	s_clause 0x4
	buffer_load_dword v32, off, s[0:3], 0 offset:364
	buffer_load_dword v151, off, s[0:3], 0 offset:376
	;; [unrolled: 1-line block ×5, first 2 shown]
	ds_read_b128 v[5:8], v142 offset:768
	s_waitcnt vmcnt(57) lgkmcnt(1)
	v_mul_f64 v[172:173], v[143:144], v[21:22]
	v_mul_f64 v[21:22], v[145:146], v[21:22]
	s_waitcnt vmcnt(56)
	v_fma_f64 v[17:18], v[1:2], v[11:12], -v[17:18]
	v_fma_f64 v[11:12], v[3:4], v[11:12], v[153:154]
	v_add_f64 v[13:14], v[147:148], v[13:14]
	v_add_f64 v[9:10], v[9:10], v[19:20]
	s_clause 0x2
	buffer_load_dword v152, off, s[0:3], 0 offset:380
	buffer_load_dword v20, off, s[0:3], 0 offset:356
	;; [unrolled: 1-line block ×3, first 2 shown]
	s_waitcnt vmcnt(58) lgkmcnt(0)
	v_mul_f64 v[147:148], v[5:6], v[33:34]
	v_mul_f64 v[33:34], v[7:8], v[33:34]
	s_waitcnt vmcnt(56)
	v_fma_f64 v[21:22], v[143:144], v[35:36], -v[21:22]
	ds_read_b128 v[1:4], v142 offset:784
	v_add_f64 v[13:14], v[13:14], v[17:18]
	v_fma_f64 v[17:18], v[145:146], v[35:36], v[172:173]
	v_add_f64 v[35:36], v[9:10], v[11:12]
	s_clause 0x4
	buffer_load_dword v144, off, s[0:3], 0 offset:396
	buffer_load_dword v145, off, s[0:3], 0 offset:408
	;; [unrolled: 1-line block ×5, first 2 shown]
	ds_read_b128 v[9:12], v142 offset:800
	s_waitcnt vmcnt(57) lgkmcnt(1)
	v_mul_f64 v[172:173], v[1:2], v[37:38]
	v_mul_f64 v[37:38], v[3:4], v[37:38]
	s_waitcnt vmcnt(56)
	v_fma_f64 v[33:34], v[5:6], v[15:16], -v[33:34]
	v_fma_f64 v[15:16], v[7:8], v[15:16], v[147:148]
	v_add_f64 v[13:14], v[13:14], v[21:22]
	s_clause 0x2
	buffer_load_dword v146, off, s[0:3], 0 offset:412
	buffer_load_dword v22, off, s[0:3], 0 offset:388
	;; [unrolled: 1-line block ×3, first 2 shown]
	v_add_f64 v[17:18], v[35:36], v[17:18]
	s_waitcnt vmcnt(58) lgkmcnt(0)
	v_mul_f64 v[35:36], v[9:10], v[41:42]
	v_mul_f64 v[41:42], v[11:12], v[41:42]
	ds_read_b128 v[5:8], v142 offset:816
	s_waitcnt vmcnt(56)
	v_fma_f64 v[37:38], v[1:2], v[43:44], -v[37:38]
	v_add_f64 v[13:14], v[13:14], v[33:34]
	v_fma_f64 v[33:34], v[3:4], v[43:44], v[172:173]
	v_add_f64 v[15:16], v[17:18], v[15:16]
	s_clause 0x4
	buffer_load_dword v18, off, s[0:3], 0 offset:428
	buffer_load_dword v43, off, s[0:3], 0 offset:440
	;; [unrolled: 1-line block ×5, first 2 shown]
	s_waitcnt vmcnt(57) lgkmcnt(0)
	v_mul_f64 v[172:173], v[5:6], v[47:48]
	v_mul_f64 v[47:48], v[7:8], v[47:48]
	s_waitcnt vmcnt(56)
	v_fma_f64 v[41:42], v[9:10], v[23:24], -v[41:42]
	ds_read_b128 v[1:4], v142 offset:832
	v_fma_f64 v[23:24], v[11:12], v[23:24], v[35:36]
	v_add_f64 v[13:14], v[13:14], v[37:38]
	v_add_f64 v[15:16], v[15:16], v[33:34]
	s_clause 0x2
	buffer_load_dword v44, off, s[0:3], 0 offset:444
	buffer_load_dword v34, off, s[0:3], 0 offset:420
	;; [unrolled: 1-line block ×3, first 2 shown]
	ds_read_b128 v[9:12], v142 offset:848
	s_waitcnt vmcnt(58) lgkmcnt(1)
	v_mul_f64 v[37:38], v[3:4], v[51:52]
	s_waitcnt vmcnt(56)
	v_fma_f64 v[47:48], v[5:6], v[53:54], -v[47:48]
	v_mul_f64 v[35:36], v[1:2], v[51:52]
	v_add_f64 v[13:14], v[13:14], v[41:42]
	v_fma_f64 v[41:42], v[7:8], v[53:54], v[172:173]
	v_add_f64 v[15:16], v[15:16], v[23:24]
	s_clause 0x4
	buffer_load_dword v24, off, s[0:3], 0 offset:460
	buffer_load_dword v51, off, s[0:3], 0 offset:472
	;; [unrolled: 1-line block ×5, first 2 shown]
	s_waitcnt vmcnt(57) lgkmcnt(0)
	v_mul_f64 v[172:173], v[9:10], v[55:56]
	v_mul_f64 v[54:55], v[11:12], v[55:56]
	s_waitcnt vmcnt(56)
	v_fma_f64 v[37:38], v[1:2], v[39:40], -v[37:38]
	ds_read_b128 v[5:8], v142 offset:864
	v_fma_f64 v[35:36], v[3:4], v[39:40], v[35:36]
	s_clause 0x2
	buffer_load_dword v52, off, s[0:3], 0 offset:476
	buffer_load_dword v40, off, s[0:3], 0 offset:452
	;; [unrolled: 1-line block ×3, first 2 shown]
	ds_read_b128 v[1:4], v142 offset:880
	v_add_f64 v[13:14], v[13:14], v[47:48]
	v_add_f64 v[15:16], v[15:16], v[41:42]
	s_waitcnt vmcnt(58) lgkmcnt(1)
	v_mul_f64 v[47:48], v[7:8], v[59:60]
	s_waitcnt vmcnt(56)
	v_fma_f64 v[55:56], v[9:10], v[61:62], -v[54:55]
	v_mul_f64 v[41:42], v[5:6], v[59:60]
	v_add_f64 v[13:14], v[13:14], v[37:38]
	v_fma_f64 v[37:38], v[11:12], v[61:62], v[172:173]
	v_add_f64 v[15:16], v[15:16], v[35:36]
	s_clause 0x4
	buffer_load_dword v36, off, s[0:3], 0 offset:492
	buffer_load_dword v59, off, s[0:3], 0 offset:504
	buffer_load_dword v61, off, s[0:3], 0 offset:496
	buffer_load_dword v35, off, s[0:3], 0 offset:488
	buffer_load_dword v54, off, s[0:3], 0 offset:468
	s_waitcnt vmcnt(57) lgkmcnt(0)
	v_mul_f64 v[172:173], v[1:2], v[63:64]
	v_mul_f64 v[62:63], v[3:4], v[63:64]
	s_waitcnt vmcnt(56)
	v_fma_f64 v[47:48], v[5:6], v[49:50], -v[47:48]
	ds_read_b128 v[9:12], v142 offset:896
	v_fma_f64 v[41:42], v[7:8], v[49:50], v[41:42]
	v_add_f64 v[13:14], v[13:14], v[55:56]
	v_add_f64 v[15:16], v[15:16], v[37:38]
	s_clause 0x2
	buffer_load_dword v60, off, s[0:3], 0 offset:508
	buffer_load_dword v38, off, s[0:3], 0 offset:484
	;; [unrolled: 1-line block ×3, first 2 shown]
	ds_read_b128 v[5:8], v142 offset:912
	s_waitcnt vmcnt(58) lgkmcnt(1)
	v_mul_f64 v[55:56], v[11:12], v[137:138]
	s_waitcnt vmcnt(56)
	v_fma_f64 v[63:64], v[1:2], v[139:140], -v[62:63]
	v_mul_f64 v[49:50], v[9:10], v[137:138]
	v_add_f64 v[13:14], v[13:14], v[47:48]
	v_fma_f64 v[47:48], v[3:4], v[139:140], v[172:173]
	v_add_f64 v[15:16], v[15:16], v[41:42]
	s_clause 0x4
	buffer_load_dword v42, off, s[0:3], 0 offset:524
	buffer_load_dword v137, off, s[0:3], 0 offset:536
	;; [unrolled: 1-line block ×5, first 2 shown]
	s_waitcnt vmcnt(57) lgkmcnt(0)
	v_mul_f64 v[172:173], v[5:6], v[157:158]
	v_mul_f64 v[157:158], v[7:8], v[157:158]
	s_waitcnt vmcnt(56)
	v_fma_f64 v[55:56], v[9:10], v[57:58], -v[55:56]
	ds_read_b128 v[1:4], v142 offset:928
	v_fma_f64 v[49:50], v[11:12], v[57:58], v[49:50]
	v_add_f64 v[13:14], v[13:14], v[63:64]
	v_add_f64 v[15:16], v[15:16], v[47:48]
	s_clause 0x2
	buffer_load_dword v138, off, s[0:3], 0 offset:540
	buffer_load_dword v48, off, s[0:3], 0 offset:516
	;; [unrolled: 1-line block ×3, first 2 shown]
	ds_read_b128 v[9:12], v142 offset:944
	s_waitcnt vmcnt(58) lgkmcnt(1)
	v_mul_f64 v[63:64], v[3:4], v[159:160]
	s_waitcnt vmcnt(56)
	v_fma_f64 v[157:158], v[5:6], v[164:165], -v[157:158]
	v_mul_f64 v[57:58], v[1:2], v[159:160]
	v_add_f64 v[13:14], v[13:14], v[55:56]
	v_fma_f64 v[55:56], v[7:8], v[164:165], v[172:173]
	v_add_f64 v[15:16], v[15:16], v[49:50]
	s_clause 0x4
	buffer_load_dword v50, off, s[0:3], 0 offset:556
	buffer_load_dword v159, off, s[0:3], 0 offset:568
	;; [unrolled: 1-line block ×5, first 2 shown]
	ds_read_b128 v[5:8], v142 offset:960
	s_waitcnt vmcnt(57) lgkmcnt(1)
	v_mul_f64 v[164:165], v[9:10], v[155:156]
	v_mul_f64 v[155:156], v[11:12], v[155:156]
	s_waitcnt vmcnt(56)
	v_fma_f64 v[63:64], v[1:2], v[161:162], -v[63:64]
	v_fma_f64 v[57:58], v[3:4], v[161:162], v[57:58]
	v_add_f64 v[13:14], v[13:14], v[157:158]
	v_add_f64 v[15:16], v[15:16], v[55:56]
	s_clause 0x2
	buffer_load_dword v160, off, s[0:3], 0 offset:572
	buffer_load_dword v56, off, s[0:3], 0 offset:548
	;; [unrolled: 1-line block ×3, first 2 shown]
	ds_read_b128 v[1:4], v142 offset:976
	s_waitcnt vmcnt(58) lgkmcnt(1)
	v_mul_f64 v[161:162], v[7:8], v[168:169]
	v_mul_f64 v[157:158], v[5:6], v[168:169]
	s_waitcnt vmcnt(56)
	v_fma_f64 v[155:156], v[9:10], v[149:150], -v[155:156]
	v_add_f64 v[13:14], v[13:14], v[63:64]
	v_fma_f64 v[63:64], v[11:12], v[149:150], v[164:165]
	v_add_f64 v[15:16], v[15:16], v[57:58]
	s_clause 0x4
	buffer_load_dword v58, off, s[0:3], 0 offset:588
	buffer_load_dword v149, off, s[0:3], 0 offset:600
	buffer_load_dword v168, off, s[0:3], 0 offset:592
	buffer_load_dword v57, off, s[0:3], 0 offset:584
	buffer_load_dword v164, off, s[0:3], 0 offset:564
	ds_read_b128 v[9:12], v142 offset:992
	s_waitcnt vmcnt(57) lgkmcnt(1)
	v_mul_f64 v[172:173], v[1:2], v[31:32]
	v_mul_f64 v[31:32], v[3:4], v[31:32]
	s_waitcnt vmcnt(56)
	v_fma_f64 v[161:162], v[5:6], v[170:171], -v[161:162]
	v_add_f64 v[13:14], v[13:14], v[155:156]
	v_fma_f64 v[155:156], v[7:8], v[170:171], v[157:158]
	v_add_f64 v[15:16], v[15:16], v[63:64]
	s_clause 0x2
	buffer_load_dword v150, off, s[0:3], 0 offset:604
	buffer_load_dword v64, off, s[0:3], 0 offset:580
	;; [unrolled: 1-line block ×3, first 2 shown]
	ds_read_b128 v[5:8], v142 offset:1008
	s_waitcnt vmcnt(58) lgkmcnt(1)
	v_mul_f64 v[157:158], v[9:10], v[151:152]
	v_mul_f64 v[151:152], v[11:12], v[151:152]
	s_waitcnt vmcnt(56)
	v_fma_f64 v[31:32], v[1:2], v[19:20], -v[31:32]
	v_fma_f64 v[19:20], v[3:4], v[19:20], v[172:173]
	v_add_f64 v[13:14], v[13:14], v[161:162]
	v_add_f64 v[15:16], v[15:16], v[155:156]
	s_clause 0x4
	buffer_load_dword v156, off, s[0:3], 0 offset:620
	buffer_load_dword v161, off, s[0:3], 0 offset:632
	;; [unrolled: 1-line block ×5, first 2 shown]
	ds_read_b128 v[1:4], v142 offset:1024
	s_waitcnt vmcnt(57) lgkmcnt(1)
	v_mul_f64 v[170:171], v[5:6], v[143:144]
	v_mul_f64 v[143:144], v[7:8], v[143:144]
	s_waitcnt vmcnt(56)
	v_fma_f64 v[151:152], v[9:10], v[166:167], -v[151:152]
	v_add_f64 v[13:14], v[13:14], v[31:32]
	v_fma_f64 v[31:32], v[11:12], v[166:167], v[157:158]
	v_add_f64 v[15:16], v[15:16], v[19:20]
	s_clause 0x2
	buffer_load_dword v162, off, s[0:3], 0 offset:636
	buffer_load_dword v20, off, s[0:3], 0 offset:612
	;; [unrolled: 1-line block ×3, first 2 shown]
	ds_read_b128 v[9:12], v142 offset:1040
	s_waitcnt vmcnt(58) lgkmcnt(1)
	v_mul_f64 v[157:158], v[1:2], v[145:146]
	v_mul_f64 v[145:146], v[3:4], v[145:146]
	s_waitcnt vmcnt(56)
	v_fma_f64 v[143:144], v[5:6], v[21:22], -v[143:144]
	v_fma_f64 v[21:22], v[7:8], v[21:22], v[170:171]
	v_add_f64 v[13:14], v[13:14], v[151:152]
	v_add_f64 v[15:16], v[15:16], v[31:32]
	s_clause 0x2
	buffer_load_dword v32, off, s[0:3], 0 offset:652
	buffer_load_dword v31, off, s[0:3], 0 offset:648
	;; [unrolled: 1-line block ×3, first 2 shown]
	ds_read_b128 v[5:8], v142 offset:1056
	s_waitcnt vmcnt(55) lgkmcnt(1)
	v_mul_f64 v[151:152], v[9:10], v[17:18]
	v_mul_f64 v[17:18], v[11:12], v[17:18]
	s_waitcnt vmcnt(54)
	v_fma_f64 v[145:146], v[1:2], v[153:154], -v[145:146]
	v_add_f64 v[13:14], v[13:14], v[143:144]
	v_fma_f64 v[143:144], v[3:4], v[153:154], v[157:158]
	v_add_f64 v[15:16], v[15:16], v[21:22]
	s_clause 0x1
	buffer_load_dword v22, off, s[0:3], 0 offset:644
	buffer_load_dword v21, off, s[0:3], 0 offset:640
	ds_read_b128 v[1:4], v142 offset:1072
	s_waitcnt vmcnt(55) lgkmcnt(1)
	v_mul_f64 v[153:154], v[5:6], v[43:44]
	v_mul_f64 v[43:44], v[7:8], v[43:44]
	s_waitcnt vmcnt(53)
	v_fma_f64 v[17:18], v[9:10], v[33:34], -v[17:18]
	v_fma_f64 v[33:34], v[11:12], v[33:34], v[151:152]
	ds_read_b128 v[9:12], v142 offset:1088
	v_add_f64 v[13:14], v[13:14], v[145:146]
	v_add_f64 v[15:16], v[15:16], v[143:144]
	s_waitcnt vmcnt(49) lgkmcnt(1)
	v_mul_f64 v[143:144], v[1:2], v[23:24]
	v_mul_f64 v[23:24], v[3:4], v[23:24]
	s_waitcnt vmcnt(48)
	v_fma_f64 v[43:44], v[5:6], v[147:148], -v[43:44]
	v_add_f64 v[13:14], v[13:14], v[17:18]
	v_fma_f64 v[17:18], v[7:8], v[147:148], v[153:154]
	v_add_f64 v[15:16], v[15:16], v[33:34]
	s_clause 0x3
	buffer_load_dword v33, off, s[0:3], 0 offset:32
	buffer_load_dword v34, off, s[0:3], 0 offset:36
	;; [unrolled: 1-line block ×4, first 2 shown]
	s_waitcnt vmcnt(51) lgkmcnt(0)
	v_mul_f64 v[147:148], v[9:10], v[51:52]
	v_mul_f64 v[51:52], v[11:12], v[51:52]
	ds_read_b128 v[5:8], v142 offset:1104
	s_waitcnt vmcnt(49)
	v_fma_f64 v[23:24], v[1:2], v[39:40], -v[23:24]
	v_fma_f64 v[39:40], v[3:4], v[39:40], v[143:144]
	ds_read_b128 v[1:4], v142 offset:1120
	v_add_f64 v[13:14], v[13:14], v[43:44]
	v_add_f64 v[15:16], v[15:16], v[17:18]
	s_waitcnt vmcnt(45) lgkmcnt(1)
	v_mul_f64 v[17:18], v[5:6], v[35:36]
	v_mul_f64 v[35:36], v[7:8], v[35:36]
	s_waitcnt vmcnt(44)
	v_fma_f64 v[43:44], v[9:10], v[53:54], -v[51:52]
	v_add_f64 v[13:14], v[13:14], v[23:24]
	v_fma_f64 v[23:24], v[11:12], v[53:54], v[147:148]
	v_add_f64 v[15:16], v[15:16], v[39:40]
	ds_read_b128 v[9:12], v142 offset:1136
	s_waitcnt vmcnt(43) lgkmcnt(1)
	v_mul_f64 v[51:52], v[3:4], v[59:60]
	v_mul_f64 v[39:40], v[1:2], v[59:60]
	s_waitcnt vmcnt(41)
	v_fma_f64 v[35:36], v[5:6], v[37:38], -v[35:36]
	v_fma_f64 v[17:18], v[7:8], v[37:38], v[17:18]
	ds_read_b128 v[5:8], v142 offset:1152
	v_add_f64 v[13:14], v[13:14], v[43:44]
	v_add_f64 v[15:16], v[15:16], v[23:24]
	s_waitcnt vmcnt(37) lgkmcnt(1)
	v_mul_f64 v[23:24], v[9:10], v[41:42]
	v_mul_f64 v[37:38], v[11:12], v[41:42]
	s_waitcnt vmcnt(36)
	v_fma_f64 v[41:42], v[1:2], v[61:62], -v[51:52]
	v_add_f64 v[13:14], v[13:14], v[35:36]
	v_fma_f64 v[35:36], v[3:4], v[61:62], v[39:40]
	v_add_f64 v[15:16], v[15:16], v[17:18]
	ds_read_b128 v[1:4], v142 offset:1168
	s_waitcnt vmcnt(35) lgkmcnt(1)
	v_mul_f64 v[39:40], v[7:8], v[137:138]
	v_mul_f64 v[17:18], v[5:6], v[137:138]
	s_waitcnt vmcnt(33)
	v_fma_f64 v[37:38], v[9:10], v[47:48], -v[37:38]
	v_fma_f64 v[23:24], v[11:12], v[47:48], v[23:24]
	ds_read_b128 v[9:12], v142 offset:1184
	v_add_f64 v[13:14], v[13:14], v[41:42]
	v_add_f64 v[15:16], v[15:16], v[35:36]
	s_waitcnt vmcnt(29) lgkmcnt(1)
	v_mul_f64 v[41:42], v[3:4], v[49:50]
	s_waitcnt vmcnt(28)
	v_fma_f64 v[39:40], v[5:6], v[139:140], -v[39:40]
	v_mul_f64 v[35:36], v[1:2], v[49:50]
	v_fma_f64 v[17:18], v[7:8], v[139:140], v[17:18]
	ds_read_b128 v[5:8], v142 offset:1200
	v_add_f64 v[13:14], v[13:14], v[37:38]
	v_add_f64 v[15:16], v[15:16], v[23:24]
	s_waitcnt vmcnt(27) lgkmcnt(1)
	v_mul_f64 v[37:38], v[11:12], v[159:160]
	v_mul_f64 v[23:24], v[9:10], v[159:160]
	s_waitcnt vmcnt(25)
	v_fma_f64 v[41:42], v[1:2], v[55:56], -v[41:42]
	v_fma_f64 v[35:36], v[3:4], v[55:56], v[35:36]
	ds_read_b128 v[1:4], v142 offset:1216
	v_add_f64 v[13:14], v[13:14], v[39:40]
	v_add_f64 v[15:16], v[15:16], v[17:18]
	s_waitcnt vmcnt(21) lgkmcnt(1)
	v_mul_f64 v[39:40], v[7:8], v[57:58]
	s_waitcnt vmcnt(20)
	v_fma_f64 v[37:38], v[9:10], v[163:164], -v[37:38]
	v_mul_f64 v[17:18], v[5:6], v[57:58]
	v_fma_f64 v[23:24], v[11:12], v[163:164], v[23:24]
	ds_read_b128 v[9:12], v142 offset:1232
	v_add_f64 v[13:14], v[13:14], v[41:42]
	v_add_f64 v[15:16], v[15:16], v[35:36]
	;; [unrolled: 18-line block ×3, first 2 shown]
	s_waitcnt vmcnt(11) lgkmcnt(1)
	v_mul_f64 v[39:40], v[7:8], v[161:162]
	v_mul_f64 v[17:18], v[5:6], v[161:162]
	s_waitcnt vmcnt(9)
	v_fma_f64 v[9:10], v[9:10], v[19:20], -v[37:38]
	v_fma_f64 v[11:12], v[11:12], v[19:20], v[23:24]
	v_add_f64 v[13:14], v[13:14], v[41:42]
	v_add_f64 v[15:16], v[15:16], v[35:36]
	s_waitcnt vmcnt(7) lgkmcnt(0)
	v_mul_f64 v[23:24], v[3:4], v[31:32]
	s_waitcnt vmcnt(6)
	v_fma_f64 v[5:6], v[5:6], v[165:166], -v[39:40]
	v_mul_f64 v[19:20], v[1:2], v[31:32]
	v_fma_f64 v[7:8], v[7:8], v[165:166], v[17:18]
	v_add_f64 v[9:10], v[13:14], v[9:10]
	v_add_f64 v[11:12], v[15:16], v[11:12]
	s_waitcnt vmcnt(4)
	v_fma_f64 v[1:2], v[1:2], v[21:22], -v[23:24]
	v_fma_f64 v[3:4], v[3:4], v[21:22], v[19:20]
	v_add_f64 v[5:6], v[9:10], v[5:6]
	v_add_f64 v[7:8], v[11:12], v[7:8]
	v_add_f64 v[1:2], v[5:6], v[1:2]
	v_add_f64 v[3:4], v[7:8], v[3:4]
	s_waitcnt vmcnt(2)
	v_add_f64 v[1:2], v[33:34], -v[1:2]
	s_waitcnt vmcnt(0)
	v_add_f64 v[3:4], v[145:146], -v[3:4]
	buffer_store_dword v2, off, s[0:3], 0 offset:36
	buffer_store_dword v1, off, s[0:3], 0 offset:32
	;; [unrolled: 1-line block ×4, first 2 shown]
	v_cmpx_ne_u32_e32 0, v0
	s_cbranch_execz .LBB39_253
; %bb.252:
	s_clause 0x3
	buffer_load_dword v0, off, s[0:3], 0 offset:16
	buffer_load_dword v1, off, s[0:3], 0 offset:20
	;; [unrolled: 1-line block ×4, first 2 shown]
	v_mov_b32_e32 v4, 0
	buffer_store_dword v4, off, s[0:3], 0 offset:16
	buffer_store_dword v4, off, s[0:3], 0 offset:20
	;; [unrolled: 1-line block ×4, first 2 shown]
	s_waitcnt vmcnt(0)
	ds_write_b128 v141, v[0:3]
.LBB39_253:
	s_or_b32 exec_lo, exec_lo, s4
	s_waitcnt lgkmcnt(0)
	s_waitcnt_vscnt null, 0x0
	s_barrier
	buffer_gl0_inv
	s_clause 0x37
	buffer_load_dword v8, off, s[0:3], 0 offset:40
	buffer_load_dword v9, off, s[0:3], 0 offset:44
	;; [unrolled: 1-line block ×56, first 2 shown]
	v_mov_b32_e32 v24, 0
	s_and_b32 vcc_lo, exec_lo, s52
	ds_read_b128 v[141:144], v24 offset:656
	s_clause 0x2
	buffer_load_dword v138, off, s[0:3], 0 offset:268
	buffer_load_dword v140, off, s[0:3], 0 offset:244
	;; [unrolled: 1-line block ×3, first 2 shown]
	ds_read_b128 v[145:148], v24 offset:672
	s_clause 0x4
	buffer_load_dword v156, off, s[0:3], 0 offset:284
	buffer_load_dword v157, off, s[0:3], 0 offset:296
	;; [unrolled: 1-line block ×5, first 2 shown]
	ds_read_b128 v[149:152], v24 offset:688
	s_clause 0x2
	buffer_load_dword v158, off, s[0:3], 0 offset:300
	buffer_load_dword v163, off, s[0:3], 0 offset:276
	;; [unrolled: 1-line block ×3, first 2 shown]
	s_waitcnt vmcnt(62) lgkmcnt(2)
	v_mul_f64 v[153:154], v[143:144], v[8:9]
	v_mul_f64 v[8:9], v[141:142], v[8:9]
	s_waitcnt lgkmcnt(1)
	v_mul_f64 v[160:161], v[147:148], v[4:5]
	s_waitcnt vmcnt(59) lgkmcnt(0)
	v_mul_f64 v[164:165], v[151:152], v[2:3]
	v_fma_f64 v[141:142], v[141:142], v[6:7], -v[153:154]
	v_mul_f64 v[153:154], v[145:146], v[4:5]
	v_fma_f64 v[8:9], v[143:144], v[6:7], v[8:9]
	s_waitcnt vmcnt(57)
	v_fma_f64 v[145:146], v[145:146], v[0:1], -v[160:161]
	ds_read_b128 v[4:7], v24 offset:704
	v_mul_f64 v[143:144], v[149:150], v[2:3]
	s_waitcnt vmcnt(51)
	v_fma_f64 v[149:150], v[149:150], v[31:32], -v[164:165]
	v_add_f64 v[141:142], v[141:142], 0
	v_fma_f64 v[147:148], v[147:148], v[0:1], v[153:154]
	v_add_f64 v[8:9], v[8:9], 0
	s_clause 0x4
	buffer_load_dword v154, off, s[0:3], 0 offset:316
	buffer_load_dword v166, off, s[0:3], 0 offset:328
	;; [unrolled: 1-line block ×5, first 2 shown]
	s_waitcnt lgkmcnt(0)
	v_mul_f64 v[169:170], v[4:5], v[12:13]
	v_mul_f64 v[12:13], v[6:7], v[12:13]
	ds_read_b128 v[0:3], v24 offset:720
	v_fma_f64 v[31:32], v[151:152], v[31:32], v[143:144]
	v_add_f64 v[145:146], v[141:142], v[145:146]
	v_add_f64 v[8:9], v[8:9], v[147:148]
	s_clause 0x2
	buffer_load_dword v167, off, s[0:3], 0 offset:332
	buffer_load_dword v148, off, s[0:3], 0 offset:308
	;; [unrolled: 1-line block ×3, first 2 shown]
	s_waitcnt vmcnt(58) lgkmcnt(0)
	v_mul_f64 v[151:152], v[0:1], v[16:17]
	v_mul_f64 v[16:17], v[2:3], v[16:17]
	s_waitcnt vmcnt(56)
	v_fma_f64 v[12:13], v[4:5], v[18:19], -v[12:13]
	ds_read_b128 v[141:144], v24 offset:736
	v_fma_f64 v[18:19], v[6:7], v[18:19], v[169:170]
	v_add_f64 v[145:146], v[145:146], v[149:150]
	v_add_f64 v[8:9], v[8:9], v[31:32]
	s_clause 0x4
	buffer_load_dword v32, off, s[0:3], 0 offset:348
	buffer_load_dword v149, off, s[0:3], 0 offset:360
	;; [unrolled: 1-line block ×5, first 2 shown]
	ds_read_b128 v[4:7], v24 offset:752
	s_waitcnt vmcnt(57) lgkmcnt(1)
	v_mul_f64 v[170:171], v[141:142], v[20:21]
	v_mul_f64 v[20:21], v[143:144], v[20:21]
	s_waitcnt vmcnt(56)
	v_fma_f64 v[16:17], v[0:1], v[10:11], -v[16:17]
	v_fma_f64 v[10:11], v[2:3], v[10:11], v[151:152]
	v_add_f64 v[12:13], v[145:146], v[12:13]
	v_add_f64 v[8:9], v[8:9], v[18:19]
	s_clause 0x2
	buffer_load_dword v150, off, s[0:3], 0 offset:364
	buffer_load_dword v19, off, s[0:3], 0 offset:340
	;; [unrolled: 1-line block ×3, first 2 shown]
	s_waitcnt vmcnt(58) lgkmcnt(0)
	v_mul_f64 v[145:146], v[4:5], v[33:34]
	v_mul_f64 v[33:34], v[6:7], v[33:34]
	s_waitcnt vmcnt(56)
	v_fma_f64 v[20:21], v[141:142], v[35:36], -v[20:21]
	ds_read_b128 v[0:3], v24 offset:768
	v_add_f64 v[12:13], v[12:13], v[16:17]
	v_fma_f64 v[16:17], v[143:144], v[35:36], v[170:171]
	v_add_f64 v[35:36], v[8:9], v[10:11]
	s_clause 0x4
	buffer_load_dword v142, off, s[0:3], 0 offset:380
	buffer_load_dword v143, off, s[0:3], 0 offset:392
	;; [unrolled: 1-line block ×5, first 2 shown]
	ds_read_b128 v[8:11], v24 offset:784
	s_waitcnt vmcnt(57) lgkmcnt(1)
	v_mul_f64 v[170:171], v[0:1], v[37:38]
	v_mul_f64 v[37:38], v[2:3], v[37:38]
	s_waitcnt vmcnt(56)
	v_fma_f64 v[33:34], v[4:5], v[14:15], -v[33:34]
	v_fma_f64 v[14:15], v[6:7], v[14:15], v[145:146]
	v_add_f64 v[12:13], v[12:13], v[20:21]
	s_clause 0x2
	buffer_load_dword v144, off, s[0:3], 0 offset:396
	buffer_load_dword v21, off, s[0:3], 0 offset:372
	;; [unrolled: 1-line block ×3, first 2 shown]
	v_add_f64 v[16:17], v[35:36], v[16:17]
	s_waitcnt vmcnt(58) lgkmcnt(0)
	v_mul_f64 v[35:36], v[8:9], v[41:42]
	v_mul_f64 v[41:42], v[10:11], v[41:42]
	ds_read_b128 v[4:7], v24 offset:800
	s_waitcnt vmcnt(56)
	v_fma_f64 v[37:38], v[0:1], v[43:44], -v[37:38]
	v_add_f64 v[12:13], v[12:13], v[33:34]
	v_fma_f64 v[33:34], v[2:3], v[43:44], v[170:171]
	v_add_f64 v[14:15], v[16:17], v[14:15]
	s_clause 0x4
	buffer_load_dword v17, off, s[0:3], 0 offset:412
	buffer_load_dword v43, off, s[0:3], 0 offset:424
	;; [unrolled: 1-line block ×5, first 2 shown]
	s_waitcnt vmcnt(57) lgkmcnt(0)
	v_mul_f64 v[170:171], v[4:5], v[47:48]
	v_mul_f64 v[47:48], v[6:7], v[47:48]
	s_waitcnt vmcnt(56)
	v_fma_f64 v[41:42], v[8:9], v[22:23], -v[41:42]
	ds_read_b128 v[0:3], v24 offset:816
	v_fma_f64 v[22:23], v[10:11], v[22:23], v[35:36]
	v_add_f64 v[12:13], v[12:13], v[37:38]
	v_add_f64 v[14:15], v[14:15], v[33:34]
	s_clause 0x2
	buffer_load_dword v44, off, s[0:3], 0 offset:428
	buffer_load_dword v34, off, s[0:3], 0 offset:404
	;; [unrolled: 1-line block ×3, first 2 shown]
	ds_read_b128 v[8:11], v24 offset:832
	s_waitcnt vmcnt(58) lgkmcnt(1)
	v_mul_f64 v[37:38], v[2:3], v[51:52]
	s_waitcnt vmcnt(56)
	v_fma_f64 v[47:48], v[4:5], v[53:54], -v[47:48]
	v_mul_f64 v[35:36], v[0:1], v[51:52]
	v_add_f64 v[12:13], v[12:13], v[41:42]
	v_fma_f64 v[41:42], v[6:7], v[53:54], v[170:171]
	v_add_f64 v[14:15], v[14:15], v[22:23]
	s_clause 0x4
	buffer_load_dword v23, off, s[0:3], 0 offset:444
	buffer_load_dword v51, off, s[0:3], 0 offset:456
	;; [unrolled: 1-line block ×5, first 2 shown]
	s_waitcnt vmcnt(57) lgkmcnt(0)
	v_mul_f64 v[170:171], v[8:9], v[55:56]
	v_mul_f64 v[54:55], v[10:11], v[55:56]
	s_waitcnt vmcnt(56)
	v_fma_f64 v[37:38], v[0:1], v[39:40], -v[37:38]
	ds_read_b128 v[4:7], v24 offset:848
	v_fma_f64 v[35:36], v[2:3], v[39:40], v[35:36]
	s_clause 0x2
	buffer_load_dword v52, off, s[0:3], 0 offset:460
	buffer_load_dword v40, off, s[0:3], 0 offset:436
	;; [unrolled: 1-line block ×3, first 2 shown]
	ds_read_b128 v[0:3], v24 offset:864
	v_add_f64 v[12:13], v[12:13], v[47:48]
	v_add_f64 v[14:15], v[14:15], v[41:42]
	s_waitcnt vmcnt(58) lgkmcnt(1)
	v_mul_f64 v[47:48], v[6:7], v[59:60]
	s_waitcnt vmcnt(56)
	v_fma_f64 v[55:56], v[8:9], v[61:62], -v[54:55]
	v_mul_f64 v[41:42], v[4:5], v[59:60]
	v_add_f64 v[12:13], v[12:13], v[37:38]
	v_fma_f64 v[37:38], v[10:11], v[61:62], v[170:171]
	v_add_f64 v[14:15], v[14:15], v[35:36]
	s_clause 0x4
	buffer_load_dword v36, off, s[0:3], 0 offset:476
	buffer_load_dword v59, off, s[0:3], 0 offset:488
	;; [unrolled: 1-line block ×5, first 2 shown]
	s_waitcnt vmcnt(57) lgkmcnt(0)
	v_mul_f64 v[170:171], v[0:1], v[63:64]
	v_mul_f64 v[62:63], v[2:3], v[63:64]
	s_waitcnt vmcnt(56)
	v_fma_f64 v[47:48], v[4:5], v[49:50], -v[47:48]
	ds_read_b128 v[8:11], v24 offset:880
	v_fma_f64 v[41:42], v[6:7], v[49:50], v[41:42]
	v_add_f64 v[12:13], v[12:13], v[55:56]
	v_add_f64 v[14:15], v[14:15], v[37:38]
	s_clause 0x2
	buffer_load_dword v60, off, s[0:3], 0 offset:492
	buffer_load_dword v38, off, s[0:3], 0 offset:468
	;; [unrolled: 1-line block ×3, first 2 shown]
	ds_read_b128 v[4:7], v24 offset:896
	s_waitcnt vmcnt(58) lgkmcnt(1)
	v_mul_f64 v[55:56], v[10:11], v[137:138]
	s_waitcnt vmcnt(56)
	v_fma_f64 v[63:64], v[0:1], v[139:140], -v[62:63]
	v_mul_f64 v[49:50], v[8:9], v[137:138]
	v_add_f64 v[12:13], v[12:13], v[47:48]
	v_fma_f64 v[47:48], v[2:3], v[139:140], v[170:171]
	v_add_f64 v[14:15], v[14:15], v[41:42]
	s_clause 0x4
	buffer_load_dword v42, off, s[0:3], 0 offset:508
	buffer_load_dword v137, off, s[0:3], 0 offset:520
	;; [unrolled: 1-line block ×5, first 2 shown]
	s_waitcnt vmcnt(57) lgkmcnt(0)
	v_mul_f64 v[170:171], v[4:5], v[155:156]
	v_mul_f64 v[155:156], v[6:7], v[155:156]
	s_waitcnt vmcnt(56)
	v_fma_f64 v[55:56], v[8:9], v[57:58], -v[55:56]
	ds_read_b128 v[0:3], v24 offset:912
	v_fma_f64 v[49:50], v[10:11], v[57:58], v[49:50]
	v_add_f64 v[12:13], v[12:13], v[63:64]
	v_add_f64 v[14:15], v[14:15], v[47:48]
	s_clause 0x2
	buffer_load_dword v138, off, s[0:3], 0 offset:524
	buffer_load_dword v48, off, s[0:3], 0 offset:500
	;; [unrolled: 1-line block ×3, first 2 shown]
	ds_read_b128 v[8:11], v24 offset:928
	s_waitcnt vmcnt(58) lgkmcnt(1)
	v_mul_f64 v[63:64], v[2:3], v[157:158]
	s_waitcnt vmcnt(56)
	v_fma_f64 v[155:156], v[4:5], v[162:163], -v[155:156]
	v_mul_f64 v[57:58], v[0:1], v[157:158]
	v_add_f64 v[12:13], v[12:13], v[55:56]
	v_fma_f64 v[55:56], v[6:7], v[162:163], v[170:171]
	v_add_f64 v[14:15], v[14:15], v[49:50]
	s_clause 0x4
	buffer_load_dword v50, off, s[0:3], 0 offset:540
	buffer_load_dword v157, off, s[0:3], 0 offset:552
	;; [unrolled: 1-line block ×5, first 2 shown]
	ds_read_b128 v[4:7], v24 offset:944
	s_waitcnt vmcnt(57) lgkmcnt(1)
	v_mul_f64 v[162:163], v[8:9], v[153:154]
	v_mul_f64 v[153:154], v[10:11], v[153:154]
	s_waitcnt vmcnt(56)
	v_fma_f64 v[63:64], v[0:1], v[159:160], -v[63:64]
	v_fma_f64 v[57:58], v[2:3], v[159:160], v[57:58]
	v_add_f64 v[12:13], v[12:13], v[155:156]
	v_add_f64 v[14:15], v[14:15], v[55:56]
	s_clause 0x2
	buffer_load_dword v158, off, s[0:3], 0 offset:556
	buffer_load_dword v56, off, s[0:3], 0 offset:532
	;; [unrolled: 1-line block ×3, first 2 shown]
	ds_read_b128 v[0:3], v24 offset:960
	s_waitcnt vmcnt(58) lgkmcnt(1)
	v_mul_f64 v[159:160], v[6:7], v[166:167]
	v_mul_f64 v[155:156], v[4:5], v[166:167]
	s_waitcnt vmcnt(56)
	v_fma_f64 v[153:154], v[8:9], v[147:148], -v[153:154]
	v_add_f64 v[12:13], v[12:13], v[63:64]
	v_fma_f64 v[63:64], v[10:11], v[147:148], v[162:163]
	v_add_f64 v[14:15], v[14:15], v[57:58]
	s_clause 0x4
	buffer_load_dword v58, off, s[0:3], 0 offset:572
	buffer_load_dword v147, off, s[0:3], 0 offset:584
	;; [unrolled: 1-line block ×5, first 2 shown]
	ds_read_b128 v[8:11], v24 offset:976
	s_waitcnt vmcnt(57) lgkmcnt(1)
	v_mul_f64 v[170:171], v[0:1], v[31:32]
	v_mul_f64 v[31:32], v[2:3], v[31:32]
	s_waitcnt vmcnt(56)
	v_fma_f64 v[159:160], v[4:5], v[168:169], -v[159:160]
	v_add_f64 v[12:13], v[12:13], v[153:154]
	v_fma_f64 v[153:154], v[6:7], v[168:169], v[155:156]
	v_add_f64 v[14:15], v[14:15], v[63:64]
	s_clause 0x2
	buffer_load_dword v148, off, s[0:3], 0 offset:588
	buffer_load_dword v64, off, s[0:3], 0 offset:564
	;; [unrolled: 1-line block ×3, first 2 shown]
	ds_read_b128 v[4:7], v24 offset:992
	s_waitcnt vmcnt(58) lgkmcnt(1)
	v_mul_f64 v[155:156], v[8:9], v[149:150]
	v_mul_f64 v[149:150], v[10:11], v[149:150]
	s_waitcnt vmcnt(56)
	v_fma_f64 v[31:32], v[0:1], v[18:19], -v[31:32]
	v_fma_f64 v[18:19], v[2:3], v[18:19], v[170:171]
	v_add_f64 v[12:13], v[12:13], v[159:160]
	v_add_f64 v[14:15], v[14:15], v[153:154]
	s_clause 0x4
	buffer_load_dword v154, off, s[0:3], 0 offset:604
	buffer_load_dword v159, off, s[0:3], 0 offset:616
	;; [unrolled: 1-line block ×5, first 2 shown]
	ds_read_b128 v[0:3], v24 offset:1008
	s_waitcnt vmcnt(57) lgkmcnt(1)
	v_mul_f64 v[168:169], v[4:5], v[141:142]
	v_mul_f64 v[141:142], v[6:7], v[141:142]
	s_waitcnt vmcnt(56)
	v_fma_f64 v[149:150], v[8:9], v[164:165], -v[149:150]
	v_add_f64 v[12:13], v[12:13], v[31:32]
	v_fma_f64 v[31:32], v[10:11], v[164:165], v[155:156]
	v_add_f64 v[14:15], v[14:15], v[18:19]
	s_clause 0x2
	buffer_load_dword v160, off, s[0:3], 0 offset:620
	buffer_load_dword v19, off, s[0:3], 0 offset:596
	;; [unrolled: 1-line block ×3, first 2 shown]
	ds_read_b128 v[8:11], v24 offset:1024
	s_waitcnt vmcnt(58) lgkmcnt(1)
	v_mul_f64 v[155:156], v[0:1], v[143:144]
	v_mul_f64 v[143:144], v[2:3], v[143:144]
	s_waitcnt vmcnt(56)
	v_fma_f64 v[141:142], v[4:5], v[20:21], -v[141:142]
	v_fma_f64 v[20:21], v[6:7], v[20:21], v[168:169]
	v_add_f64 v[12:13], v[12:13], v[149:150]
	v_add_f64 v[14:15], v[14:15], v[31:32]
	s_clause 0x4
	buffer_load_dword v32, off, s[0:3], 0 offset:636
	buffer_load_dword v149, off, s[0:3], 0 offset:648
	;; [unrolled: 1-line block ×5, first 2 shown]
	ds_read_b128 v[4:7], v24 offset:1040
	s_waitcnt vmcnt(57) lgkmcnt(1)
	v_mul_f64 v[169:170], v[8:9], v[16:17]
	v_mul_f64 v[16:17], v[10:11], v[16:17]
	s_waitcnt vmcnt(56)
	v_fma_f64 v[143:144], v[0:1], v[151:152], -v[143:144]
	v_add_f64 v[12:13], v[12:13], v[141:142]
	v_fma_f64 v[141:142], v[2:3], v[151:152], v[155:156]
	v_add_f64 v[14:15], v[14:15], v[20:21]
	s_clause 0x2
	buffer_load_dword v150, off, s[0:3], 0 offset:652
	buffer_load_dword v21, off, s[0:3], 0 offset:628
	;; [unrolled: 1-line block ×3, first 2 shown]
	ds_read_b128 v[0:3], v24 offset:1056
	s_waitcnt vmcnt(58) lgkmcnt(1)
	v_mul_f64 v[151:152], v[4:5], v[43:44]
	v_mul_f64 v[43:44], v[6:7], v[43:44]
	s_waitcnt vmcnt(56)
	v_fma_f64 v[16:17], v[8:9], v[33:34], -v[16:17]
	v_fma_f64 v[33:34], v[10:11], v[33:34], v[169:170]
	buffer_load_dword v169, off, s[0:3], 0 offset:644
	ds_read_b128 v[8:11], v24 offset:1072
	v_add_f64 v[12:13], v[12:13], v[143:144]
	v_add_f64 v[14:15], v[14:15], v[141:142]
	s_waitcnt vmcnt(53) lgkmcnt(1)
	v_mul_f64 v[141:142], v[0:1], v[22:23]
	v_mul_f64 v[22:23], v[2:3], v[22:23]
	s_waitcnt vmcnt(52)
	v_fma_f64 v[43:44], v[4:5], v[145:146], -v[43:44]
	v_add_f64 v[12:13], v[12:13], v[16:17]
	v_fma_f64 v[16:17], v[6:7], v[145:146], v[151:152]
	v_add_f64 v[14:15], v[14:15], v[33:34]
	s_waitcnt vmcnt(51) lgkmcnt(0)
	v_mul_f64 v[33:34], v[8:9], v[51:52]
	v_mul_f64 v[51:52], v[10:11], v[51:52]
	ds_read_b128 v[4:7], v24 offset:1088
	s_waitcnt vmcnt(49)
	v_fma_f64 v[22:23], v[0:1], v[39:40], -v[22:23]
	v_fma_f64 v[39:40], v[2:3], v[39:40], v[141:142]
	v_add_f64 v[12:13], v[12:13], v[43:44]
	v_add_f64 v[14:15], v[14:15], v[16:17]
	s_clause 0x3
	buffer_load_dword v16, off, s[0:3], 0 offset:16
	buffer_load_dword v17, off, s[0:3], 0 offset:20
	buffer_load_dword v43, off, s[0:3], 0 offset:24
	buffer_load_dword v44, off, s[0:3], 0 offset:28
	ds_read_b128 v[0:3], v24 offset:1104
	s_waitcnt vmcnt(49) lgkmcnt(1)
	v_mul_f64 v[141:142], v[4:5], v[35:36]
	v_mul_f64 v[35:36], v[6:7], v[35:36]
	s_waitcnt vmcnt(48)
	v_fma_f64 v[51:52], v[8:9], v[53:54], -v[51:52]
	v_add_f64 v[12:13], v[12:13], v[22:23]
	v_fma_f64 v[22:23], v[10:11], v[53:54], v[33:34]
	v_add_f64 v[14:15], v[14:15], v[39:40]
	ds_read_b128 v[8:11], v24 offset:1120
	s_waitcnt vmcnt(47) lgkmcnt(1)
	v_mul_f64 v[39:40], v[2:3], v[59:60]
	v_mul_f64 v[33:34], v[0:1], v[59:60]
	s_waitcnt vmcnt(45)
	v_fma_f64 v[35:36], v[4:5], v[37:38], -v[35:36]
	v_fma_f64 v[37:38], v[6:7], v[37:38], v[141:142]
	ds_read_b128 v[4:7], v24 offset:1136
	v_add_f64 v[12:13], v[12:13], v[51:52]
	v_add_f64 v[14:15], v[14:15], v[22:23]
	s_waitcnt vmcnt(41) lgkmcnt(1)
	v_mul_f64 v[22:23], v[8:9], v[41:42]
	v_mul_f64 v[41:42], v[10:11], v[41:42]
	s_waitcnt vmcnt(40)
	v_fma_f64 v[39:40], v[0:1], v[61:62], -v[39:40]
	v_fma_f64 v[33:34], v[2:3], v[61:62], v[33:34]
	ds_read_b128 v[0:3], v24 offset:1152
	v_add_f64 v[12:13], v[12:13], v[35:36]
	v_add_f64 v[14:15], v[14:15], v[37:38]
	;; [unrolled: 9-line block ×3, first 2 shown]
	s_waitcnt vmcnt(33) lgkmcnt(1)
	v_mul_f64 v[39:40], v[2:3], v[49:50]
	s_waitcnt vmcnt(32)
	v_fma_f64 v[37:38], v[4:5], v[139:140], -v[37:38]
	v_mul_f64 v[33:34], v[0:1], v[49:50]
	v_fma_f64 v[35:36], v[6:7], v[139:140], v[35:36]
	ds_read_b128 v[4:7], v24 offset:1184
	v_add_f64 v[12:13], v[12:13], v[41:42]
	v_add_f64 v[14:15], v[14:15], v[22:23]
	s_waitcnt vmcnt(31) lgkmcnt(1)
	v_mul_f64 v[41:42], v[10:11], v[157:158]
	v_mul_f64 v[22:23], v[8:9], v[157:158]
	s_waitcnt vmcnt(29)
	v_fma_f64 v[39:40], v[0:1], v[55:56], -v[39:40]
	v_fma_f64 v[33:34], v[2:3], v[55:56], v[33:34]
	ds_read_b128 v[0:3], v24 offset:1200
	v_add_f64 v[12:13], v[12:13], v[37:38]
	v_add_f64 v[14:15], v[14:15], v[35:36]
	s_waitcnt vmcnt(25) lgkmcnt(1)
	v_mul_f64 v[37:38], v[6:7], v[57:58]
	s_waitcnt vmcnt(24)
	v_fma_f64 v[41:42], v[8:9], v[161:162], -v[41:42]
	v_mul_f64 v[35:36], v[4:5], v[57:58]
	v_fma_f64 v[22:23], v[10:11], v[161:162], v[22:23]
	ds_read_b128 v[8:11], v24 offset:1216
	v_add_f64 v[12:13], v[12:13], v[39:40]
	v_add_f64 v[14:15], v[14:15], v[33:34]
	s_waitcnt vmcnt(23) lgkmcnt(1)
	v_mul_f64 v[39:40], v[2:3], v[147:148]
	v_mul_f64 v[33:34], v[0:1], v[147:148]
	s_waitcnt vmcnt(21)
	v_fma_f64 v[37:38], v[4:5], v[63:64], -v[37:38]
	v_fma_f64 v[35:36], v[6:7], v[63:64], v[35:36]
	ds_read_b128 v[4:7], v24 offset:1232
	v_add_f64 v[12:13], v[12:13], v[41:42]
	v_add_f64 v[14:15], v[14:15], v[22:23]
	;; [unrolled: 18-line block ×3, first 2 shown]
	s_waitcnt vmcnt(9) lgkmcnt(1)
	v_mul_f64 v[22:23], v[0:1], v[31:32]
	v_mul_f64 v[31:32], v[2:3], v[31:32]
	s_waitcnt vmcnt(8)
	v_fma_f64 v[4:5], v[4:5], v[163:164], -v[37:38]
	v_fma_f64 v[6:7], v[6:7], v[163:164], v[35:36]
	v_add_f64 v[12:13], v[12:13], v[41:42]
	v_add_f64 v[14:15], v[14:15], v[18:19]
	s_waitcnt vmcnt(7) lgkmcnt(0)
	v_mul_f64 v[33:34], v[10:11], v[149:150]
	v_mul_f64 v[18:19], v[8:9], v[149:150]
	s_waitcnt vmcnt(5)
	v_fma_f64 v[0:1], v[0:1], v[20:21], -v[31:32]
	v_fma_f64 v[2:3], v[2:3], v[20:21], v[22:23]
	v_add_f64 v[4:5], v[12:13], v[4:5]
	v_add_f64 v[6:7], v[14:15], v[6:7]
	s_waitcnt vmcnt(4)
	v_fma_f64 v[8:9], v[8:9], v[168:169], -v[33:34]
	v_add_f64 v[0:1], v[4:5], v[0:1]
	v_fma_f64 v[4:5], v[10:11], v[168:169], v[18:19]
	v_add_f64 v[2:3], v[6:7], v[2:3]
	v_add_f64 v[0:1], v[0:1], v[8:9]
	;; [unrolled: 1-line block ×3, first 2 shown]
	s_waitcnt vmcnt(2)
	v_add_f64 v[0:1], v[16:17], -v[0:1]
	s_waitcnt vmcnt(0)
	v_add_f64 v[2:3], v[43:44], -v[2:3]
	buffer_store_dword v1, off, s[0:3], 0 offset:20
	buffer_store_dword v0, off, s[0:3], 0 offset:16
	;; [unrolled: 1-line block ×4, first 2 shown]
	s_cbranch_vccz .LBB39_332
; %bb.254:
	global_load_dword v0, v24, s[20:21] offset:152
	s_waitcnt vmcnt(0)
	v_add_nc_u32_e32 v0, -1, v0
	v_cmp_ne_u32_e32 vcc_lo, 38, v0
	s_cbranch_vccz .LBB39_256
; %bb.255:
	v_lshlrev_b32_e32 v0, 4, v0
	v_mov_b32_e32 v1, s15
	v_add_nc_u32_e32 v0, 16, v0
	s_clause 0x7
	buffer_load_dword v2, v0, s[0:3], 0 offen
	buffer_load_dword v3, v0, s[0:3], 0 offen offset:4
	buffer_load_dword v4, v0, s[0:3], 0 offen offset:8
	;; [unrolled: 1-line block ×6, first 2 shown]
	buffer_load_dword v9, v1, s[0:3], 0 offen
	s_waitcnt vmcnt(7)
	buffer_store_dword v2, v1, s[0:3], 0 offen
	s_waitcnt vmcnt(6)
	buffer_store_dword v3, v1, s[0:3], 0 offen offset:4
	s_waitcnt vmcnt(5)
	buffer_store_dword v4, v1, s[0:3], 0 offen offset:8
	;; [unrolled: 2-line block ×6, first 2 shown]
	s_waitcnt vmcnt(0)
	buffer_store_dword v9, v0, s[0:3], 0 offen
.LBB39_256:
	v_mov_b32_e32 v0, 0
	global_load_dword v1, v0, s[20:21] offset:148
	s_waitcnt vmcnt(0)
	v_add_nc_u32_e32 v1, -1, v1
	v_cmp_eq_u32_e32 vcc_lo, 37, v1
	s_cbranch_vccnz .LBB39_258
; %bb.257:
	v_lshlrev_b32_e32 v1, 4, v1
	v_mov_b32_e32 v2, s17
	v_add_nc_u32_e32 v1, 16, v1
	s_clause 0x7
	buffer_load_dword v3, v1, s[0:3], 0 offen
	buffer_load_dword v4, v1, s[0:3], 0 offen offset:4
	buffer_load_dword v5, v1, s[0:3], 0 offen offset:8
	;; [unrolled: 1-line block ×6, first 2 shown]
	buffer_load_dword v10, v2, s[0:3], 0 offen
	s_waitcnt vmcnt(7)
	buffer_store_dword v3, v2, s[0:3], 0 offen
	s_waitcnt vmcnt(6)
	buffer_store_dword v4, v2, s[0:3], 0 offen offset:4
	s_waitcnt vmcnt(5)
	buffer_store_dword v5, v2, s[0:3], 0 offen offset:8
	;; [unrolled: 2-line block ×6, first 2 shown]
	s_waitcnt vmcnt(0)
	buffer_store_dword v10, v1, s[0:3], 0 offen
.LBB39_258:
	global_load_dword v0, v0, s[20:21] offset:144
	s_waitcnt vmcnt(0)
	v_add_nc_u32_e32 v0, -1, v0
	v_cmp_eq_u32_e32 vcc_lo, 36, v0
	s_cbranch_vccnz .LBB39_260
; %bb.259:
	v_lshlrev_b32_e32 v0, 4, v0
	v_mov_b32_e32 v1, s19
	v_add_nc_u32_e32 v0, 16, v0
	s_clause 0x7
	buffer_load_dword v2, v0, s[0:3], 0 offen
	buffer_load_dword v3, v0, s[0:3], 0 offen offset:4
	buffer_load_dword v4, v0, s[0:3], 0 offen offset:8
	;; [unrolled: 1-line block ×6, first 2 shown]
	buffer_load_dword v9, v1, s[0:3], 0 offen
	s_waitcnt vmcnt(7)
	buffer_store_dword v2, v1, s[0:3], 0 offen
	s_waitcnt vmcnt(6)
	buffer_store_dword v3, v1, s[0:3], 0 offen offset:4
	s_waitcnt vmcnt(5)
	buffer_store_dword v4, v1, s[0:3], 0 offen offset:8
	;; [unrolled: 2-line block ×6, first 2 shown]
	s_waitcnt vmcnt(0)
	buffer_store_dword v9, v0, s[0:3], 0 offen
.LBB39_260:
	v_mov_b32_e32 v0, 0
	global_load_dword v1, v0, s[20:21] offset:140
	s_waitcnt vmcnt(0)
	v_add_nc_u32_e32 v1, -1, v1
	v_cmp_eq_u32_e32 vcc_lo, 35, v1
	s_cbranch_vccnz .LBB39_262
; %bb.261:
	v_lshlrev_b32_e32 v1, 4, v1
	v_mov_b32_e32 v2, s23
	v_add_nc_u32_e32 v1, 16, v1
	s_clause 0x7
	buffer_load_dword v3, v1, s[0:3], 0 offen
	buffer_load_dword v4, v1, s[0:3], 0 offen offset:4
	buffer_load_dword v5, v1, s[0:3], 0 offen offset:8
	;; [unrolled: 1-line block ×6, first 2 shown]
	buffer_load_dword v10, v2, s[0:3], 0 offen
	s_waitcnt vmcnt(7)
	buffer_store_dword v3, v2, s[0:3], 0 offen
	s_waitcnt vmcnt(6)
	buffer_store_dword v4, v2, s[0:3], 0 offen offset:4
	s_waitcnt vmcnt(5)
	buffer_store_dword v5, v2, s[0:3], 0 offen offset:8
	;; [unrolled: 2-line block ×6, first 2 shown]
	s_waitcnt vmcnt(0)
	buffer_store_dword v10, v1, s[0:3], 0 offen
.LBB39_262:
	global_load_dword v0, v0, s[20:21] offset:136
	s_waitcnt vmcnt(0)
	v_add_nc_u32_e32 v0, -1, v0
	v_cmp_eq_u32_e32 vcc_lo, 34, v0
	s_cbranch_vccnz .LBB39_264
; %bb.263:
	v_lshlrev_b32_e32 v0, 4, v0
	v_mov_b32_e32 v1, s25
	v_add_nc_u32_e32 v0, 16, v0
	s_clause 0x7
	buffer_load_dword v2, v0, s[0:3], 0 offen
	buffer_load_dword v3, v0, s[0:3], 0 offen offset:4
	buffer_load_dword v4, v0, s[0:3], 0 offen offset:8
	;; [unrolled: 1-line block ×6, first 2 shown]
	buffer_load_dword v9, v1, s[0:3], 0 offen
	s_waitcnt vmcnt(7)
	buffer_store_dword v2, v1, s[0:3], 0 offen
	s_waitcnt vmcnt(6)
	buffer_store_dword v3, v1, s[0:3], 0 offen offset:4
	s_waitcnt vmcnt(5)
	buffer_store_dword v4, v1, s[0:3], 0 offen offset:8
	s_waitcnt vmcnt(4)
	buffer_store_dword v5, v1, s[0:3], 0 offen offset:12
	s_waitcnt vmcnt(3)
	buffer_store_dword v6, v0, s[0:3], 0 offen offset:12
	s_waitcnt vmcnt(2)
	buffer_store_dword v7, v0, s[0:3], 0 offen offset:8
	s_waitcnt vmcnt(1)
	buffer_store_dword v8, v0, s[0:3], 0 offen offset:4
	s_waitcnt vmcnt(0)
	buffer_store_dword v9, v0, s[0:3], 0 offen
.LBB39_264:
	v_mov_b32_e32 v0, 0
	global_load_dword v1, v0, s[20:21] offset:132
	s_waitcnt vmcnt(0)
	v_add_nc_u32_e32 v1, -1, v1
	v_cmp_eq_u32_e32 vcc_lo, 33, v1
	s_cbranch_vccnz .LBB39_266
; %bb.265:
	v_lshlrev_b32_e32 v1, 4, v1
	v_mov_b32_e32 v2, s26
	v_add_nc_u32_e32 v1, 16, v1
	s_clause 0x7
	buffer_load_dword v3, v1, s[0:3], 0 offen
	buffer_load_dword v4, v1, s[0:3], 0 offen offset:4
	buffer_load_dword v5, v1, s[0:3], 0 offen offset:8
	buffer_load_dword v6, v1, s[0:3], 0 offen offset:12
	buffer_load_dword v7, v2, s[0:3], 0 offen offset:12
	buffer_load_dword v8, v2, s[0:3], 0 offen offset:8
	buffer_load_dword v9, v2, s[0:3], 0 offen offset:4
	buffer_load_dword v10, v2, s[0:3], 0 offen
	s_waitcnt vmcnt(7)
	buffer_store_dword v3, v2, s[0:3], 0 offen
	s_waitcnt vmcnt(6)
	buffer_store_dword v4, v2, s[0:3], 0 offen offset:4
	s_waitcnt vmcnt(5)
	buffer_store_dword v5, v2, s[0:3], 0 offen offset:8
	;; [unrolled: 2-line block ×6, first 2 shown]
	s_waitcnt vmcnt(0)
	buffer_store_dword v10, v1, s[0:3], 0 offen
.LBB39_266:
	global_load_dword v0, v0, s[20:21] offset:128
	s_waitcnt vmcnt(0)
	v_add_nc_u32_e32 v0, -1, v0
	v_cmp_eq_u32_e32 vcc_lo, 32, v0
	s_cbranch_vccnz .LBB39_268
; %bb.267:
	v_lshlrev_b32_e32 v0, 4, v0
	v_mov_b32_e32 v1, s28
	v_add_nc_u32_e32 v0, 16, v0
	s_clause 0x7
	buffer_load_dword v2, v0, s[0:3], 0 offen
	buffer_load_dword v3, v0, s[0:3], 0 offen offset:4
	buffer_load_dword v4, v0, s[0:3], 0 offen offset:8
	;; [unrolled: 1-line block ×6, first 2 shown]
	buffer_load_dword v9, v1, s[0:3], 0 offen
	s_waitcnt vmcnt(7)
	buffer_store_dword v2, v1, s[0:3], 0 offen
	s_waitcnt vmcnt(6)
	buffer_store_dword v3, v1, s[0:3], 0 offen offset:4
	s_waitcnt vmcnt(5)
	buffer_store_dword v4, v1, s[0:3], 0 offen offset:8
	;; [unrolled: 2-line block ×6, first 2 shown]
	s_waitcnt vmcnt(0)
	buffer_store_dword v9, v0, s[0:3], 0 offen
.LBB39_268:
	v_mov_b32_e32 v0, 0
	global_load_dword v1, v0, s[20:21] offset:124
	s_waitcnt vmcnt(0)
	v_add_nc_u32_e32 v1, -1, v1
	v_cmp_eq_u32_e32 vcc_lo, 31, v1
	s_cbranch_vccnz .LBB39_270
; %bb.269:
	v_lshlrev_b32_e32 v1, 4, v1
	v_mov_b32_e32 v2, s30
	v_add_nc_u32_e32 v1, 16, v1
	s_clause 0x7
	buffer_load_dword v3, v1, s[0:3], 0 offen
	buffer_load_dword v4, v1, s[0:3], 0 offen offset:4
	buffer_load_dword v5, v1, s[0:3], 0 offen offset:8
	;; [unrolled: 1-line block ×6, first 2 shown]
	buffer_load_dword v10, v2, s[0:3], 0 offen
	s_waitcnt vmcnt(7)
	buffer_store_dword v3, v2, s[0:3], 0 offen
	s_waitcnt vmcnt(6)
	buffer_store_dword v4, v2, s[0:3], 0 offen offset:4
	s_waitcnt vmcnt(5)
	buffer_store_dword v5, v2, s[0:3], 0 offen offset:8
	;; [unrolled: 2-line block ×6, first 2 shown]
	s_waitcnt vmcnt(0)
	buffer_store_dword v10, v1, s[0:3], 0 offen
.LBB39_270:
	global_load_dword v0, v0, s[20:21] offset:120
	s_waitcnt vmcnt(0)
	v_add_nc_u32_e32 v0, -1, v0
	v_cmp_eq_u32_e32 vcc_lo, 30, v0
	s_cbranch_vccnz .LBB39_272
; %bb.271:
	v_lshlrev_b32_e32 v0, 4, v0
	v_mov_b32_e32 v1, s33
	v_add_nc_u32_e32 v0, 16, v0
	s_clause 0x7
	buffer_load_dword v2, v0, s[0:3], 0 offen
	buffer_load_dword v3, v0, s[0:3], 0 offen offset:4
	buffer_load_dword v4, v0, s[0:3], 0 offen offset:8
	;; [unrolled: 1-line block ×6, first 2 shown]
	buffer_load_dword v9, v1, s[0:3], 0 offen
	s_waitcnt vmcnt(7)
	buffer_store_dword v2, v1, s[0:3], 0 offen
	s_waitcnt vmcnt(6)
	buffer_store_dword v3, v1, s[0:3], 0 offen offset:4
	s_waitcnt vmcnt(5)
	buffer_store_dword v4, v1, s[0:3], 0 offen offset:8
	;; [unrolled: 2-line block ×6, first 2 shown]
	s_waitcnt vmcnt(0)
	buffer_store_dword v9, v0, s[0:3], 0 offen
.LBB39_272:
	v_mov_b32_e32 v0, 0
	global_load_dword v1, v0, s[20:21] offset:116
	s_waitcnt vmcnt(0)
	v_add_nc_u32_e32 v1, -1, v1
	v_cmp_eq_u32_e32 vcc_lo, 29, v1
	s_cbranch_vccnz .LBB39_274
; %bb.273:
	v_lshlrev_b32_e32 v1, 4, v1
	v_mov_b32_e32 v2, s8
	v_add_nc_u32_e32 v1, 16, v1
	s_clause 0x7
	buffer_load_dword v3, v1, s[0:3], 0 offen
	buffer_load_dword v4, v1, s[0:3], 0 offen offset:4
	buffer_load_dword v5, v1, s[0:3], 0 offen offset:8
	buffer_load_dword v6, v1, s[0:3], 0 offen offset:12
	buffer_load_dword v7, v2, s[0:3], 0 offen offset:12
	buffer_load_dword v8, v2, s[0:3], 0 offen offset:8
	buffer_load_dword v9, v2, s[0:3], 0 offen offset:4
	buffer_load_dword v10, v2, s[0:3], 0 offen
	s_waitcnt vmcnt(7)
	buffer_store_dword v3, v2, s[0:3], 0 offen
	s_waitcnt vmcnt(6)
	buffer_store_dword v4, v2, s[0:3], 0 offen offset:4
	s_waitcnt vmcnt(5)
	buffer_store_dword v5, v2, s[0:3], 0 offen offset:8
	;; [unrolled: 2-line block ×6, first 2 shown]
	s_waitcnt vmcnt(0)
	buffer_store_dword v10, v1, s[0:3], 0 offen
.LBB39_274:
	global_load_dword v0, v0, s[20:21] offset:112
	s_waitcnt vmcnt(0)
	v_add_nc_u32_e32 v0, -1, v0
	v_cmp_eq_u32_e32 vcc_lo, 28, v0
	s_cbranch_vccnz .LBB39_276
; %bb.275:
	v_lshlrev_b32_e32 v0, 4, v0
	v_mov_b32_e32 v1, s9
	v_add_nc_u32_e32 v0, 16, v0
	s_clause 0x7
	buffer_load_dword v2, v0, s[0:3], 0 offen
	buffer_load_dword v3, v0, s[0:3], 0 offen offset:4
	buffer_load_dword v4, v0, s[0:3], 0 offen offset:8
	;; [unrolled: 1-line block ×6, first 2 shown]
	buffer_load_dword v9, v1, s[0:3], 0 offen
	s_waitcnt vmcnt(7)
	buffer_store_dword v2, v1, s[0:3], 0 offen
	s_waitcnt vmcnt(6)
	buffer_store_dword v3, v1, s[0:3], 0 offen offset:4
	s_waitcnt vmcnt(5)
	buffer_store_dword v4, v1, s[0:3], 0 offen offset:8
	;; [unrolled: 2-line block ×6, first 2 shown]
	s_waitcnt vmcnt(0)
	buffer_store_dword v9, v0, s[0:3], 0 offen
.LBB39_276:
	v_mov_b32_e32 v0, 0
	global_load_dword v1, v0, s[20:21] offset:108
	s_waitcnt vmcnt(0)
	v_add_nc_u32_e32 v1, -1, v1
	v_cmp_eq_u32_e32 vcc_lo, 27, v1
	s_cbranch_vccnz .LBB39_278
; %bb.277:
	v_lshlrev_b32_e32 v1, 4, v1
	v_mov_b32_e32 v2, s12
	v_add_nc_u32_e32 v1, 16, v1
	s_clause 0x7
	buffer_load_dword v3, v1, s[0:3], 0 offen
	buffer_load_dword v4, v1, s[0:3], 0 offen offset:4
	buffer_load_dword v5, v1, s[0:3], 0 offen offset:8
	;; [unrolled: 1-line block ×6, first 2 shown]
	buffer_load_dword v10, v2, s[0:3], 0 offen
	s_waitcnt vmcnt(7)
	buffer_store_dword v3, v2, s[0:3], 0 offen
	s_waitcnt vmcnt(6)
	buffer_store_dword v4, v2, s[0:3], 0 offen offset:4
	s_waitcnt vmcnt(5)
	buffer_store_dword v5, v2, s[0:3], 0 offen offset:8
	;; [unrolled: 2-line block ×6, first 2 shown]
	s_waitcnt vmcnt(0)
	buffer_store_dword v10, v1, s[0:3], 0 offen
.LBB39_278:
	global_load_dword v0, v0, s[20:21] offset:104
	s_waitcnt vmcnt(0)
	v_add_nc_u32_e32 v0, -1, v0
	v_cmp_eq_u32_e32 vcc_lo, 26, v0
	s_cbranch_vccnz .LBB39_280
; %bb.279:
	v_lshlrev_b32_e32 v0, 4, v0
	v_mov_b32_e32 v1, s14
	v_add_nc_u32_e32 v0, 16, v0
	s_clause 0x7
	buffer_load_dword v2, v0, s[0:3], 0 offen
	buffer_load_dword v3, v0, s[0:3], 0 offen offset:4
	buffer_load_dword v4, v0, s[0:3], 0 offen offset:8
	;; [unrolled: 1-line block ×6, first 2 shown]
	buffer_load_dword v9, v1, s[0:3], 0 offen
	s_waitcnt vmcnt(7)
	buffer_store_dword v2, v1, s[0:3], 0 offen
	s_waitcnt vmcnt(6)
	buffer_store_dword v3, v1, s[0:3], 0 offen offset:4
	s_waitcnt vmcnt(5)
	buffer_store_dword v4, v1, s[0:3], 0 offen offset:8
	;; [unrolled: 2-line block ×6, first 2 shown]
	s_waitcnt vmcnt(0)
	buffer_store_dword v9, v0, s[0:3], 0 offen
.LBB39_280:
	v_mov_b32_e32 v0, 0
	global_load_dword v1, v0, s[20:21] offset:100
	s_waitcnt vmcnt(0)
	v_add_nc_u32_e32 v1, -1, v1
	v_cmp_eq_u32_e32 vcc_lo, 25, v1
	s_cbranch_vccnz .LBB39_282
; %bb.281:
	v_lshlrev_b32_e32 v1, 4, v1
	v_mov_b32_e32 v2, s16
	v_add_nc_u32_e32 v1, 16, v1
	s_clause 0x7
	buffer_load_dword v3, v1, s[0:3], 0 offen
	buffer_load_dword v4, v1, s[0:3], 0 offen offset:4
	buffer_load_dword v5, v1, s[0:3], 0 offen offset:8
	;; [unrolled: 1-line block ×6, first 2 shown]
	buffer_load_dword v10, v2, s[0:3], 0 offen
	s_waitcnt vmcnt(7)
	buffer_store_dword v3, v2, s[0:3], 0 offen
	s_waitcnt vmcnt(6)
	buffer_store_dword v4, v2, s[0:3], 0 offen offset:4
	s_waitcnt vmcnt(5)
	buffer_store_dword v5, v2, s[0:3], 0 offen offset:8
	;; [unrolled: 2-line block ×6, first 2 shown]
	s_waitcnt vmcnt(0)
	buffer_store_dword v10, v1, s[0:3], 0 offen
.LBB39_282:
	global_load_dword v0, v0, s[20:21] offset:96
	s_waitcnt vmcnt(0)
	v_add_nc_u32_e32 v0, -1, v0
	v_cmp_eq_u32_e32 vcc_lo, 24, v0
	s_cbranch_vccnz .LBB39_284
; %bb.283:
	v_lshlrev_b32_e32 v0, 4, v0
	v_mov_b32_e32 v1, s18
	v_add_nc_u32_e32 v0, 16, v0
	s_clause 0x7
	buffer_load_dword v2, v0, s[0:3], 0 offen
	buffer_load_dword v3, v0, s[0:3], 0 offen offset:4
	buffer_load_dword v4, v0, s[0:3], 0 offen offset:8
	;; [unrolled: 1-line block ×6, first 2 shown]
	buffer_load_dword v9, v1, s[0:3], 0 offen
	s_waitcnt vmcnt(7)
	buffer_store_dword v2, v1, s[0:3], 0 offen
	s_waitcnt vmcnt(6)
	buffer_store_dword v3, v1, s[0:3], 0 offen offset:4
	s_waitcnt vmcnt(5)
	buffer_store_dword v4, v1, s[0:3], 0 offen offset:8
	;; [unrolled: 2-line block ×6, first 2 shown]
	s_waitcnt vmcnt(0)
	buffer_store_dword v9, v0, s[0:3], 0 offen
.LBB39_284:
	v_mov_b32_e32 v0, 0
	global_load_dword v1, v0, s[20:21] offset:92
	s_waitcnt vmcnt(0)
	v_add_nc_u32_e32 v1, -1, v1
	v_cmp_eq_u32_e32 vcc_lo, 23, v1
	s_cbranch_vccnz .LBB39_286
; %bb.285:
	v_lshlrev_b32_e32 v1, 4, v1
	v_mov_b32_e32 v2, s22
	v_add_nc_u32_e32 v1, 16, v1
	s_clause 0x7
	buffer_load_dword v3, v1, s[0:3], 0 offen
	buffer_load_dword v4, v1, s[0:3], 0 offen offset:4
	buffer_load_dword v5, v1, s[0:3], 0 offen offset:8
	;; [unrolled: 1-line block ×6, first 2 shown]
	buffer_load_dword v10, v2, s[0:3], 0 offen
	s_waitcnt vmcnt(7)
	buffer_store_dword v3, v2, s[0:3], 0 offen
	s_waitcnt vmcnt(6)
	buffer_store_dword v4, v2, s[0:3], 0 offen offset:4
	s_waitcnt vmcnt(5)
	buffer_store_dword v5, v2, s[0:3], 0 offen offset:8
	;; [unrolled: 2-line block ×6, first 2 shown]
	s_waitcnt vmcnt(0)
	buffer_store_dword v10, v1, s[0:3], 0 offen
.LBB39_286:
	global_load_dword v0, v0, s[20:21] offset:88
	s_waitcnt vmcnt(0)
	v_add_nc_u32_e32 v0, -1, v0
	v_cmp_eq_u32_e32 vcc_lo, 22, v0
	s_cbranch_vccnz .LBB39_288
; %bb.287:
	v_lshlrev_b32_e32 v0, 4, v0
	v_mov_b32_e32 v1, s24
	v_add_nc_u32_e32 v0, 16, v0
	s_clause 0x7
	buffer_load_dword v2, v0, s[0:3], 0 offen
	buffer_load_dword v3, v0, s[0:3], 0 offen offset:4
	buffer_load_dword v4, v0, s[0:3], 0 offen offset:8
	;; [unrolled: 1-line block ×6, first 2 shown]
	buffer_load_dword v9, v1, s[0:3], 0 offen
	s_waitcnt vmcnt(7)
	buffer_store_dword v2, v1, s[0:3], 0 offen
	s_waitcnt vmcnt(6)
	buffer_store_dword v3, v1, s[0:3], 0 offen offset:4
	s_waitcnt vmcnt(5)
	buffer_store_dword v4, v1, s[0:3], 0 offen offset:8
	;; [unrolled: 2-line block ×6, first 2 shown]
	s_waitcnt vmcnt(0)
	buffer_store_dword v9, v0, s[0:3], 0 offen
.LBB39_288:
	v_mov_b32_e32 v0, 0
	global_load_dword v1, v0, s[20:21] offset:84
	s_waitcnt vmcnt(0)
	v_add_nc_u32_e32 v1, -1, v1
	v_cmp_eq_u32_e32 vcc_lo, 21, v1
	s_cbranch_vccnz .LBB39_290
; %bb.289:
	v_lshlrev_b32_e32 v1, 4, v1
	v_mov_b32_e32 v2, s27
	v_add_nc_u32_e32 v1, 16, v1
	s_clause 0x7
	buffer_load_dword v3, v1, s[0:3], 0 offen
	buffer_load_dword v4, v1, s[0:3], 0 offen offset:4
	buffer_load_dword v5, v1, s[0:3], 0 offen offset:8
	;; [unrolled: 1-line block ×6, first 2 shown]
	buffer_load_dword v10, v2, s[0:3], 0 offen
	s_waitcnt vmcnt(7)
	buffer_store_dword v3, v2, s[0:3], 0 offen
	s_waitcnt vmcnt(6)
	buffer_store_dword v4, v2, s[0:3], 0 offen offset:4
	s_waitcnt vmcnt(5)
	buffer_store_dword v5, v2, s[0:3], 0 offen offset:8
	s_waitcnt vmcnt(4)
	buffer_store_dword v6, v2, s[0:3], 0 offen offset:12
	s_waitcnt vmcnt(3)
	buffer_store_dword v7, v1, s[0:3], 0 offen offset:12
	s_waitcnt vmcnt(2)
	buffer_store_dword v8, v1, s[0:3], 0 offen offset:8
	s_waitcnt vmcnt(1)
	buffer_store_dword v9, v1, s[0:3], 0 offen offset:4
	s_waitcnt vmcnt(0)
	buffer_store_dword v10, v1, s[0:3], 0 offen
.LBB39_290:
	global_load_dword v0, v0, s[20:21] offset:80
	s_waitcnt vmcnt(0)
	v_add_nc_u32_e32 v0, -1, v0
	v_cmp_eq_u32_e32 vcc_lo, 20, v0
	s_cbranch_vccnz .LBB39_292
; %bb.291:
	v_lshlrev_b32_e32 v0, 4, v0
	v_mov_b32_e32 v1, s29
	v_add_nc_u32_e32 v0, 16, v0
	s_clause 0x7
	buffer_load_dword v2, v0, s[0:3], 0 offen
	buffer_load_dword v3, v0, s[0:3], 0 offen offset:4
	buffer_load_dword v4, v0, s[0:3], 0 offen offset:8
	;; [unrolled: 1-line block ×6, first 2 shown]
	buffer_load_dword v9, v1, s[0:3], 0 offen
	s_waitcnt vmcnt(7)
	buffer_store_dword v2, v1, s[0:3], 0 offen
	s_waitcnt vmcnt(6)
	buffer_store_dword v3, v1, s[0:3], 0 offen offset:4
	s_waitcnt vmcnt(5)
	buffer_store_dword v4, v1, s[0:3], 0 offen offset:8
	;; [unrolled: 2-line block ×6, first 2 shown]
	s_waitcnt vmcnt(0)
	buffer_store_dword v9, v0, s[0:3], 0 offen
.LBB39_292:
	v_mov_b32_e32 v0, 0
	global_load_dword v1, v0, s[20:21] offset:76
	s_waitcnt vmcnt(0)
	v_add_nc_u32_e32 v1, -1, v1
	v_cmp_eq_u32_e32 vcc_lo, 19, v1
	s_cbranch_vccnz .LBB39_294
; %bb.293:
	v_lshlrev_b32_e32 v1, 4, v1
	v_mov_b32_e32 v2, s31
	v_add_nc_u32_e32 v1, 16, v1
	s_clause 0x7
	buffer_load_dword v3, v1, s[0:3], 0 offen
	buffer_load_dword v4, v1, s[0:3], 0 offen offset:4
	buffer_load_dword v5, v1, s[0:3], 0 offen offset:8
	buffer_load_dword v6, v1, s[0:3], 0 offen offset:12
	buffer_load_dword v7, v2, s[0:3], 0 offen offset:12
	buffer_load_dword v8, v2, s[0:3], 0 offen offset:8
	buffer_load_dword v9, v2, s[0:3], 0 offen offset:4
	buffer_load_dword v10, v2, s[0:3], 0 offen
	s_waitcnt vmcnt(7)
	buffer_store_dword v3, v2, s[0:3], 0 offen
	s_waitcnt vmcnt(6)
	buffer_store_dword v4, v2, s[0:3], 0 offen offset:4
	s_waitcnt vmcnt(5)
	buffer_store_dword v5, v2, s[0:3], 0 offen offset:8
	;; [unrolled: 2-line block ×6, first 2 shown]
	s_waitcnt vmcnt(0)
	buffer_store_dword v10, v1, s[0:3], 0 offen
.LBB39_294:
	global_load_dword v0, v0, s[20:21] offset:72
	s_waitcnt vmcnt(0)
	v_add_nc_u32_e32 v0, -1, v0
	v_cmp_eq_u32_e32 vcc_lo, 18, v0
	s_cbranch_vccnz .LBB39_296
; %bb.295:
	v_lshlrev_b32_e32 v0, 4, v0
	v_mov_b32_e32 v1, s34
	v_add_nc_u32_e32 v0, 16, v0
	s_clause 0x7
	buffer_load_dword v2, v0, s[0:3], 0 offen
	buffer_load_dword v3, v0, s[0:3], 0 offen offset:4
	buffer_load_dword v4, v0, s[0:3], 0 offen offset:8
	;; [unrolled: 1-line block ×6, first 2 shown]
	buffer_load_dword v9, v1, s[0:3], 0 offen
	s_waitcnt vmcnt(7)
	buffer_store_dword v2, v1, s[0:3], 0 offen
	s_waitcnt vmcnt(6)
	buffer_store_dword v3, v1, s[0:3], 0 offen offset:4
	s_waitcnt vmcnt(5)
	buffer_store_dword v4, v1, s[0:3], 0 offen offset:8
	;; [unrolled: 2-line block ×6, first 2 shown]
	s_waitcnt vmcnt(0)
	buffer_store_dword v9, v0, s[0:3], 0 offen
.LBB39_296:
	v_mov_b32_e32 v0, 0
	global_load_dword v1, v0, s[20:21] offset:68
	s_waitcnt vmcnt(0)
	v_add_nc_u32_e32 v1, -1, v1
	v_cmp_eq_u32_e32 vcc_lo, 17, v1
	s_cbranch_vccnz .LBB39_298
; %bb.297:
	v_lshlrev_b32_e32 v1, 4, v1
	v_mov_b32_e32 v2, s35
	v_add_nc_u32_e32 v1, 16, v1
	s_clause 0x7
	buffer_load_dword v3, v1, s[0:3], 0 offen
	buffer_load_dword v4, v1, s[0:3], 0 offen offset:4
	buffer_load_dword v5, v1, s[0:3], 0 offen offset:8
	;; [unrolled: 1-line block ×6, first 2 shown]
	buffer_load_dword v10, v2, s[0:3], 0 offen
	s_waitcnt vmcnt(7)
	buffer_store_dword v3, v2, s[0:3], 0 offen
	s_waitcnt vmcnt(6)
	buffer_store_dword v4, v2, s[0:3], 0 offen offset:4
	s_waitcnt vmcnt(5)
	buffer_store_dword v5, v2, s[0:3], 0 offen offset:8
	;; [unrolled: 2-line block ×6, first 2 shown]
	s_waitcnt vmcnt(0)
	buffer_store_dword v10, v1, s[0:3], 0 offen
.LBB39_298:
	global_load_dword v0, v0, s[20:21] offset:64
	s_waitcnt vmcnt(0)
	v_add_nc_u32_e32 v0, -1, v0
	v_cmp_eq_u32_e32 vcc_lo, 16, v0
	s_cbranch_vccnz .LBB39_300
; %bb.299:
	v_lshlrev_b32_e32 v0, 4, v0
	v_mov_b32_e32 v1, s36
	v_add_nc_u32_e32 v0, 16, v0
	s_clause 0x7
	buffer_load_dword v2, v0, s[0:3], 0 offen
	buffer_load_dword v3, v0, s[0:3], 0 offen offset:4
	buffer_load_dword v4, v0, s[0:3], 0 offen offset:8
	buffer_load_dword v5, v0, s[0:3], 0 offen offset:12
	buffer_load_dword v6, v1, s[0:3], 0 offen offset:12
	buffer_load_dword v7, v1, s[0:3], 0 offen offset:8
	buffer_load_dword v8, v1, s[0:3], 0 offen offset:4
	buffer_load_dword v9, v1, s[0:3], 0 offen
	s_waitcnt vmcnt(7)
	buffer_store_dword v2, v1, s[0:3], 0 offen
	s_waitcnt vmcnt(6)
	buffer_store_dword v3, v1, s[0:3], 0 offen offset:4
	s_waitcnt vmcnt(5)
	buffer_store_dword v4, v1, s[0:3], 0 offen offset:8
	;; [unrolled: 2-line block ×6, first 2 shown]
	s_waitcnt vmcnt(0)
	buffer_store_dword v9, v0, s[0:3], 0 offen
.LBB39_300:
	v_mov_b32_e32 v0, 0
	global_load_dword v1, v0, s[20:21] offset:60
	s_waitcnt vmcnt(0)
	v_add_nc_u32_e32 v1, -1, v1
	v_cmp_eq_u32_e32 vcc_lo, 15, v1
	s_cbranch_vccnz .LBB39_302
; %bb.301:
	v_lshlrev_b32_e32 v1, 4, v1
	v_mov_b32_e32 v2, s37
	v_add_nc_u32_e32 v1, 16, v1
	s_clause 0x7
	buffer_load_dword v3, v1, s[0:3], 0 offen
	buffer_load_dword v4, v1, s[0:3], 0 offen offset:4
	buffer_load_dword v5, v1, s[0:3], 0 offen offset:8
	buffer_load_dword v6, v1, s[0:3], 0 offen offset:12
	buffer_load_dword v7, v2, s[0:3], 0 offen offset:12
	buffer_load_dword v8, v2, s[0:3], 0 offen offset:8
	buffer_load_dword v9, v2, s[0:3], 0 offen offset:4
	buffer_load_dword v10, v2, s[0:3], 0 offen
	s_waitcnt vmcnt(7)
	buffer_store_dword v3, v2, s[0:3], 0 offen
	s_waitcnt vmcnt(6)
	buffer_store_dword v4, v2, s[0:3], 0 offen offset:4
	s_waitcnt vmcnt(5)
	buffer_store_dword v5, v2, s[0:3], 0 offen offset:8
	;; [unrolled: 2-line block ×6, first 2 shown]
	s_waitcnt vmcnt(0)
	buffer_store_dword v10, v1, s[0:3], 0 offen
.LBB39_302:
	global_load_dword v0, v0, s[20:21] offset:56
	s_waitcnt vmcnt(0)
	v_add_nc_u32_e32 v0, -1, v0
	v_cmp_eq_u32_e32 vcc_lo, 14, v0
	s_cbranch_vccnz .LBB39_304
; %bb.303:
	v_lshlrev_b32_e32 v0, 4, v0
	v_mov_b32_e32 v1, s38
	v_add_nc_u32_e32 v0, 16, v0
	s_clause 0x7
	buffer_load_dword v2, v0, s[0:3], 0 offen
	buffer_load_dword v3, v0, s[0:3], 0 offen offset:4
	buffer_load_dword v4, v0, s[0:3], 0 offen offset:8
	;; [unrolled: 1-line block ×6, first 2 shown]
	buffer_load_dword v9, v1, s[0:3], 0 offen
	s_waitcnt vmcnt(7)
	buffer_store_dword v2, v1, s[0:3], 0 offen
	s_waitcnt vmcnt(6)
	buffer_store_dword v3, v1, s[0:3], 0 offen offset:4
	s_waitcnt vmcnt(5)
	buffer_store_dword v4, v1, s[0:3], 0 offen offset:8
	;; [unrolled: 2-line block ×6, first 2 shown]
	s_waitcnt vmcnt(0)
	buffer_store_dword v9, v0, s[0:3], 0 offen
.LBB39_304:
	v_mov_b32_e32 v0, 0
	global_load_dword v1, v0, s[20:21] offset:52
	s_waitcnt vmcnt(0)
	v_add_nc_u32_e32 v1, -1, v1
	v_cmp_eq_u32_e32 vcc_lo, 13, v1
	s_cbranch_vccnz .LBB39_306
; %bb.305:
	v_lshlrev_b32_e32 v1, 4, v1
	v_mov_b32_e32 v2, s39
	v_add_nc_u32_e32 v1, 16, v1
	s_clause 0x7
	buffer_load_dword v3, v1, s[0:3], 0 offen
	buffer_load_dword v4, v1, s[0:3], 0 offen offset:4
	buffer_load_dword v5, v1, s[0:3], 0 offen offset:8
	;; [unrolled: 1-line block ×6, first 2 shown]
	buffer_load_dword v10, v2, s[0:3], 0 offen
	s_waitcnt vmcnt(7)
	buffer_store_dword v3, v2, s[0:3], 0 offen
	s_waitcnt vmcnt(6)
	buffer_store_dword v4, v2, s[0:3], 0 offen offset:4
	s_waitcnt vmcnt(5)
	buffer_store_dword v5, v2, s[0:3], 0 offen offset:8
	;; [unrolled: 2-line block ×6, first 2 shown]
	s_waitcnt vmcnt(0)
	buffer_store_dword v10, v1, s[0:3], 0 offen
.LBB39_306:
	global_load_dword v0, v0, s[20:21] offset:48
	s_waitcnt vmcnt(0)
	v_add_nc_u32_e32 v0, -1, v0
	v_cmp_eq_u32_e32 vcc_lo, 12, v0
	s_cbranch_vccnz .LBB39_308
; %bb.307:
	v_lshlrev_b32_e32 v0, 4, v0
	v_mov_b32_e32 v1, s40
	v_add_nc_u32_e32 v0, 16, v0
	s_clause 0x7
	buffer_load_dword v2, v0, s[0:3], 0 offen
	buffer_load_dword v3, v0, s[0:3], 0 offen offset:4
	buffer_load_dword v4, v0, s[0:3], 0 offen offset:8
	;; [unrolled: 1-line block ×6, first 2 shown]
	buffer_load_dword v9, v1, s[0:3], 0 offen
	s_waitcnt vmcnt(7)
	buffer_store_dword v2, v1, s[0:3], 0 offen
	s_waitcnt vmcnt(6)
	buffer_store_dword v3, v1, s[0:3], 0 offen offset:4
	s_waitcnt vmcnt(5)
	buffer_store_dword v4, v1, s[0:3], 0 offen offset:8
	s_waitcnt vmcnt(4)
	buffer_store_dword v5, v1, s[0:3], 0 offen offset:12
	s_waitcnt vmcnt(3)
	buffer_store_dword v6, v0, s[0:3], 0 offen offset:12
	s_waitcnt vmcnt(2)
	buffer_store_dword v7, v0, s[0:3], 0 offen offset:8
	s_waitcnt vmcnt(1)
	buffer_store_dword v8, v0, s[0:3], 0 offen offset:4
	s_waitcnt vmcnt(0)
	buffer_store_dword v9, v0, s[0:3], 0 offen
.LBB39_308:
	v_mov_b32_e32 v0, 0
	global_load_dword v1, v0, s[20:21] offset:44
	s_waitcnt vmcnt(0)
	v_add_nc_u32_e32 v1, -1, v1
	v_cmp_eq_u32_e32 vcc_lo, 11, v1
	s_cbranch_vccnz .LBB39_310
; %bb.309:
	v_lshlrev_b32_e32 v1, 4, v1
	v_mov_b32_e32 v2, s41
	v_add_nc_u32_e32 v1, 16, v1
	s_clause 0x7
	buffer_load_dword v3, v1, s[0:3], 0 offen
	buffer_load_dword v4, v1, s[0:3], 0 offen offset:4
	buffer_load_dword v5, v1, s[0:3], 0 offen offset:8
	buffer_load_dword v6, v1, s[0:3], 0 offen offset:12
	buffer_load_dword v7, v2, s[0:3], 0 offen offset:12
	buffer_load_dword v8, v2, s[0:3], 0 offen offset:8
	buffer_load_dword v9, v2, s[0:3], 0 offen offset:4
	buffer_load_dword v10, v2, s[0:3], 0 offen
	s_waitcnt vmcnt(7)
	buffer_store_dword v3, v2, s[0:3], 0 offen
	s_waitcnt vmcnt(6)
	buffer_store_dword v4, v2, s[0:3], 0 offen offset:4
	s_waitcnt vmcnt(5)
	buffer_store_dword v5, v2, s[0:3], 0 offen offset:8
	;; [unrolled: 2-line block ×6, first 2 shown]
	s_waitcnt vmcnt(0)
	buffer_store_dword v10, v1, s[0:3], 0 offen
.LBB39_310:
	global_load_dword v0, v0, s[20:21] offset:40
	s_waitcnt vmcnt(0)
	v_add_nc_u32_e32 v0, -1, v0
	v_cmp_eq_u32_e32 vcc_lo, 10, v0
	s_cbranch_vccnz .LBB39_312
; %bb.311:
	v_lshlrev_b32_e32 v0, 4, v0
	v_mov_b32_e32 v1, s42
	v_add_nc_u32_e32 v0, 16, v0
	s_clause 0x7
	buffer_load_dword v2, v0, s[0:3], 0 offen
	buffer_load_dword v3, v0, s[0:3], 0 offen offset:4
	buffer_load_dword v4, v0, s[0:3], 0 offen offset:8
	;; [unrolled: 1-line block ×6, first 2 shown]
	buffer_load_dword v9, v1, s[0:3], 0 offen
	s_waitcnt vmcnt(7)
	buffer_store_dword v2, v1, s[0:3], 0 offen
	s_waitcnt vmcnt(6)
	buffer_store_dword v3, v1, s[0:3], 0 offen offset:4
	s_waitcnt vmcnt(5)
	buffer_store_dword v4, v1, s[0:3], 0 offen offset:8
	;; [unrolled: 2-line block ×6, first 2 shown]
	s_waitcnt vmcnt(0)
	buffer_store_dword v9, v0, s[0:3], 0 offen
.LBB39_312:
	v_mov_b32_e32 v0, 0
	global_load_dword v1, v0, s[20:21] offset:36
	s_waitcnt vmcnt(0)
	v_add_nc_u32_e32 v1, -1, v1
	v_cmp_eq_u32_e32 vcc_lo, 9, v1
	s_cbranch_vccnz .LBB39_314
; %bb.313:
	v_lshlrev_b32_e32 v1, 4, v1
	v_mov_b32_e32 v2, s43
	v_add_nc_u32_e32 v1, 16, v1
	s_clause 0x7
	buffer_load_dword v3, v1, s[0:3], 0 offen
	buffer_load_dword v4, v1, s[0:3], 0 offen offset:4
	buffer_load_dword v5, v1, s[0:3], 0 offen offset:8
	;; [unrolled: 1-line block ×6, first 2 shown]
	buffer_load_dword v10, v2, s[0:3], 0 offen
	s_waitcnt vmcnt(7)
	buffer_store_dword v3, v2, s[0:3], 0 offen
	s_waitcnt vmcnt(6)
	buffer_store_dword v4, v2, s[0:3], 0 offen offset:4
	s_waitcnt vmcnt(5)
	buffer_store_dword v5, v2, s[0:3], 0 offen offset:8
	;; [unrolled: 2-line block ×6, first 2 shown]
	s_waitcnt vmcnt(0)
	buffer_store_dword v10, v1, s[0:3], 0 offen
.LBB39_314:
	global_load_dword v0, v0, s[20:21] offset:32
	s_waitcnt vmcnt(0)
	v_add_nc_u32_e32 v0, -1, v0
	v_cmp_eq_u32_e32 vcc_lo, 8, v0
	s_cbranch_vccnz .LBB39_316
; %bb.315:
	v_lshlrev_b32_e32 v0, 4, v0
	v_mov_b32_e32 v1, s44
	v_add_nc_u32_e32 v0, 16, v0
	s_clause 0x7
	buffer_load_dword v2, v0, s[0:3], 0 offen
	buffer_load_dword v3, v0, s[0:3], 0 offen offset:4
	buffer_load_dword v4, v0, s[0:3], 0 offen offset:8
	;; [unrolled: 1-line block ×6, first 2 shown]
	buffer_load_dword v9, v1, s[0:3], 0 offen
	s_waitcnt vmcnt(7)
	buffer_store_dword v2, v1, s[0:3], 0 offen
	s_waitcnt vmcnt(6)
	buffer_store_dword v3, v1, s[0:3], 0 offen offset:4
	s_waitcnt vmcnt(5)
	buffer_store_dword v4, v1, s[0:3], 0 offen offset:8
	;; [unrolled: 2-line block ×6, first 2 shown]
	s_waitcnt vmcnt(0)
	buffer_store_dword v9, v0, s[0:3], 0 offen
.LBB39_316:
	v_mov_b32_e32 v0, 0
	global_load_dword v1, v0, s[20:21] offset:28
	s_waitcnt vmcnt(0)
	v_add_nc_u32_e32 v1, -1, v1
	v_cmp_eq_u32_e32 vcc_lo, 7, v1
	s_cbranch_vccnz .LBB39_318
; %bb.317:
	v_lshlrev_b32_e32 v1, 4, v1
	v_mov_b32_e32 v2, s45
	v_add_nc_u32_e32 v1, 16, v1
	s_clause 0x7
	buffer_load_dword v3, v1, s[0:3], 0 offen
	buffer_load_dword v4, v1, s[0:3], 0 offen offset:4
	buffer_load_dword v5, v1, s[0:3], 0 offen offset:8
	;; [unrolled: 1-line block ×6, first 2 shown]
	buffer_load_dword v10, v2, s[0:3], 0 offen
	s_waitcnt vmcnt(7)
	buffer_store_dword v3, v2, s[0:3], 0 offen
	s_waitcnt vmcnt(6)
	buffer_store_dword v4, v2, s[0:3], 0 offen offset:4
	s_waitcnt vmcnt(5)
	buffer_store_dword v5, v2, s[0:3], 0 offen offset:8
	;; [unrolled: 2-line block ×6, first 2 shown]
	s_waitcnt vmcnt(0)
	buffer_store_dword v10, v1, s[0:3], 0 offen
.LBB39_318:
	global_load_dword v0, v0, s[20:21] offset:24
	s_waitcnt vmcnt(0)
	v_add_nc_u32_e32 v0, -1, v0
	v_cmp_eq_u32_e32 vcc_lo, 6, v0
	s_cbranch_vccnz .LBB39_320
; %bb.319:
	v_lshlrev_b32_e32 v0, 4, v0
	v_mov_b32_e32 v1, s46
	v_add_nc_u32_e32 v0, 16, v0
	s_clause 0x7
	buffer_load_dword v2, v0, s[0:3], 0 offen
	buffer_load_dword v3, v0, s[0:3], 0 offen offset:4
	buffer_load_dword v4, v0, s[0:3], 0 offen offset:8
	;; [unrolled: 1-line block ×6, first 2 shown]
	buffer_load_dword v9, v1, s[0:3], 0 offen
	s_waitcnt vmcnt(7)
	buffer_store_dword v2, v1, s[0:3], 0 offen
	s_waitcnt vmcnt(6)
	buffer_store_dword v3, v1, s[0:3], 0 offen offset:4
	s_waitcnt vmcnt(5)
	buffer_store_dword v4, v1, s[0:3], 0 offen offset:8
	s_waitcnt vmcnt(4)
	buffer_store_dword v5, v1, s[0:3], 0 offen offset:12
	s_waitcnt vmcnt(3)
	buffer_store_dword v6, v0, s[0:3], 0 offen offset:12
	s_waitcnt vmcnt(2)
	buffer_store_dword v7, v0, s[0:3], 0 offen offset:8
	s_waitcnt vmcnt(1)
	buffer_store_dword v8, v0, s[0:3], 0 offen offset:4
	s_waitcnt vmcnt(0)
	buffer_store_dword v9, v0, s[0:3], 0 offen
.LBB39_320:
	v_mov_b32_e32 v0, 0
	global_load_dword v1, v0, s[20:21] offset:20
	s_waitcnt vmcnt(0)
	v_add_nc_u32_e32 v1, -1, v1
	v_cmp_eq_u32_e32 vcc_lo, 5, v1
	s_cbranch_vccnz .LBB39_322
; %bb.321:
	v_lshlrev_b32_e32 v1, 4, v1
	v_mov_b32_e32 v2, s47
	v_add_nc_u32_e32 v1, 16, v1
	s_clause 0x7
	buffer_load_dword v3, v1, s[0:3], 0 offen
	buffer_load_dword v4, v1, s[0:3], 0 offen offset:4
	buffer_load_dword v5, v1, s[0:3], 0 offen offset:8
	;; [unrolled: 1-line block ×6, first 2 shown]
	buffer_load_dword v10, v2, s[0:3], 0 offen
	s_waitcnt vmcnt(7)
	buffer_store_dword v3, v2, s[0:3], 0 offen
	s_waitcnt vmcnt(6)
	buffer_store_dword v4, v2, s[0:3], 0 offen offset:4
	s_waitcnt vmcnt(5)
	buffer_store_dword v5, v2, s[0:3], 0 offen offset:8
	;; [unrolled: 2-line block ×6, first 2 shown]
	s_waitcnt vmcnt(0)
	buffer_store_dword v10, v1, s[0:3], 0 offen
.LBB39_322:
	global_load_dword v0, v0, s[20:21] offset:16
	s_waitcnt vmcnt(0)
	v_add_nc_u32_e32 v0, -1, v0
	v_cmp_eq_u32_e32 vcc_lo, 4, v0
	s_cbranch_vccnz .LBB39_324
; %bb.323:
	v_lshlrev_b32_e32 v0, 4, v0
	v_mov_b32_e32 v1, s48
	v_add_nc_u32_e32 v0, 16, v0
	s_clause 0x7
	buffer_load_dword v2, v0, s[0:3], 0 offen
	buffer_load_dword v3, v0, s[0:3], 0 offen offset:4
	buffer_load_dword v4, v0, s[0:3], 0 offen offset:8
	;; [unrolled: 1-line block ×6, first 2 shown]
	buffer_load_dword v9, v1, s[0:3], 0 offen
	s_waitcnt vmcnt(7)
	buffer_store_dword v2, v1, s[0:3], 0 offen
	s_waitcnt vmcnt(6)
	buffer_store_dword v3, v1, s[0:3], 0 offen offset:4
	s_waitcnt vmcnt(5)
	buffer_store_dword v4, v1, s[0:3], 0 offen offset:8
	;; [unrolled: 2-line block ×6, first 2 shown]
	s_waitcnt vmcnt(0)
	buffer_store_dword v9, v0, s[0:3], 0 offen
.LBB39_324:
	v_mov_b32_e32 v0, 0
	global_load_dword v1, v0, s[20:21] offset:12
	s_waitcnt vmcnt(0)
	v_add_nc_u32_e32 v1, -1, v1
	v_cmp_eq_u32_e32 vcc_lo, 3, v1
	s_cbranch_vccnz .LBB39_326
; %bb.325:
	v_lshlrev_b32_e32 v1, 4, v1
	v_mov_b32_e32 v2, s49
	v_add_nc_u32_e32 v1, 16, v1
	s_clause 0x7
	buffer_load_dword v3, v1, s[0:3], 0 offen
	buffer_load_dword v4, v1, s[0:3], 0 offen offset:4
	buffer_load_dword v5, v1, s[0:3], 0 offen offset:8
	;; [unrolled: 1-line block ×6, first 2 shown]
	buffer_load_dword v10, v2, s[0:3], 0 offen
	s_waitcnt vmcnt(7)
	buffer_store_dword v3, v2, s[0:3], 0 offen
	s_waitcnt vmcnt(6)
	buffer_store_dword v4, v2, s[0:3], 0 offen offset:4
	s_waitcnt vmcnt(5)
	buffer_store_dword v5, v2, s[0:3], 0 offen offset:8
	;; [unrolled: 2-line block ×6, first 2 shown]
	s_waitcnt vmcnt(0)
	buffer_store_dword v10, v1, s[0:3], 0 offen
.LBB39_326:
	global_load_dword v0, v0, s[20:21] offset:8
	s_waitcnt vmcnt(0)
	v_add_nc_u32_e32 v0, -1, v0
	v_cmp_eq_u32_e32 vcc_lo, 2, v0
	s_cbranch_vccnz .LBB39_328
; %bb.327:
	v_lshlrev_b32_e32 v0, 4, v0
	v_mov_b32_e32 v1, s50
	v_add_nc_u32_e32 v0, 16, v0
	s_clause 0x7
	buffer_load_dword v2, v0, s[0:3], 0 offen
	buffer_load_dword v3, v0, s[0:3], 0 offen offset:4
	buffer_load_dword v4, v0, s[0:3], 0 offen offset:8
	;; [unrolled: 1-line block ×6, first 2 shown]
	buffer_load_dword v9, v1, s[0:3], 0 offen
	s_waitcnt vmcnt(7)
	buffer_store_dword v2, v1, s[0:3], 0 offen
	s_waitcnt vmcnt(6)
	buffer_store_dword v3, v1, s[0:3], 0 offen offset:4
	s_waitcnt vmcnt(5)
	buffer_store_dword v4, v1, s[0:3], 0 offen offset:8
	;; [unrolled: 2-line block ×6, first 2 shown]
	s_waitcnt vmcnt(0)
	buffer_store_dword v9, v0, s[0:3], 0 offen
.LBB39_328:
	v_mov_b32_e32 v0, 0
	global_load_dword v1, v0, s[20:21] offset:4
	s_waitcnt vmcnt(0)
	v_add_nc_u32_e32 v1, -1, v1
	v_cmp_eq_u32_e32 vcc_lo, 1, v1
	s_cbranch_vccnz .LBB39_330
; %bb.329:
	v_lshlrev_b32_e32 v1, 4, v1
	v_mov_b32_e32 v2, s51
	v_add_nc_u32_e32 v1, 16, v1
	s_clause 0x7
	buffer_load_dword v3, v1, s[0:3], 0 offen
	buffer_load_dword v4, v1, s[0:3], 0 offen offset:4
	buffer_load_dword v5, v1, s[0:3], 0 offen offset:8
	;; [unrolled: 1-line block ×6, first 2 shown]
	buffer_load_dword v10, v2, s[0:3], 0 offen
	s_waitcnt vmcnt(7)
	buffer_store_dword v3, v2, s[0:3], 0 offen
	s_waitcnt vmcnt(6)
	buffer_store_dword v4, v2, s[0:3], 0 offen offset:4
	s_waitcnt vmcnt(5)
	buffer_store_dword v5, v2, s[0:3], 0 offen offset:8
	;; [unrolled: 2-line block ×6, first 2 shown]
	s_waitcnt vmcnt(0)
	buffer_store_dword v10, v1, s[0:3], 0 offen
.LBB39_330:
	global_load_dword v0, v0, s[20:21]
	s_waitcnt vmcnt(0)
	v_add_nc_u32_e32 v0, -1, v0
	v_cmp_eq_u32_e32 vcc_lo, 0, v0
	s_cbranch_vccnz .LBB39_332
; %bb.331:
	v_lshlrev_b32_e32 v0, 4, v0
	v_add_nc_u32_e32 v0, 16, v0
	s_clause 0x7
	buffer_load_dword v1, v0, s[0:3], 0 offen
	buffer_load_dword v2, v0, s[0:3], 0 offen offset:4
	buffer_load_dword v3, v0, s[0:3], 0 offen offset:8
	;; [unrolled: 1-line block ×3, first 2 shown]
	buffer_load_dword v5, off, s[0:3], 0 offset:28
	buffer_load_dword v6, off, s[0:3], 0 offset:24
	;; [unrolled: 1-line block ×4, first 2 shown]
	s_waitcnt vmcnt(7)
	buffer_store_dword v1, off, s[0:3], 0 offset:16
	s_waitcnt vmcnt(6)
	buffer_store_dword v2, off, s[0:3], 0 offset:20
	;; [unrolled: 2-line block ×4, first 2 shown]
	s_waitcnt vmcnt(3)
	buffer_store_dword v5, v0, s[0:3], 0 offen offset:12
	s_waitcnt vmcnt(2)
	buffer_store_dword v6, v0, s[0:3], 0 offen offset:8
	;; [unrolled: 2-line block ×3, first 2 shown]
	s_waitcnt vmcnt(0)
	buffer_store_dword v8, v0, s[0:3], 0 offen
.LBB39_332:
	v_mov_b32_e32 v7, s51
	v_mov_b32_e32 v11, s50
	;; [unrolled: 1-line block ×6, first 2 shown]
	s_clause 0x1b
	buffer_load_dword v0, off, s[0:3], 0 offset:16
	buffer_load_dword v1, off, s[0:3], 0 offset:20
	;; [unrolled: 1-line block ×4, first 2 shown]
	buffer_load_dword v4, v7, s[0:3], 0 offen
	buffer_load_dword v5, v7, s[0:3], 0 offen offset:4
	buffer_load_dword v6, v7, s[0:3], 0 offen offset:8
	buffer_load_dword v7, v7, s[0:3], 0 offen offset:12
	buffer_load_dword v8, v11, s[0:3], 0 offen
	buffer_load_dword v9, v11, s[0:3], 0 offen offset:4
	buffer_load_dword v10, v11, s[0:3], 0 offen offset:8
	buffer_load_dword v11, v11, s[0:3], 0 offen offset:12
	;; [unrolled: 4-line block ×6, first 2 shown]
	v_mov_b32_e32 v24, s45
	s_clause 0x3
	buffer_load_dword v35, v24, s[0:3], 0 offen
	buffer_load_dword v36, v24, s[0:3], 0 offen offset:4
	buffer_load_dword v37, v24, s[0:3], 0 offen offset:8
	;; [unrolled: 1-line block ×3, first 2 shown]
	v_mov_b32_e32 v24, s44
	s_clause 0x3
	buffer_load_dword v39, v24, s[0:3], 0 offen
	buffer_load_dword v40, v24, s[0:3], 0 offen offset:4
	buffer_load_dword v41, v24, s[0:3], 0 offen offset:8
	;; [unrolled: 1-line block ×3, first 2 shown]
	v_mov_b32_e32 v24, s43
	v_mov_b32_e32 v173, s24
	;; [unrolled: 1-line block ×19, first 2 shown]
	s_clause 0x33
	buffer_load_dword v47, v24, s[0:3], 0 offen
	buffer_load_dword v48, v24, s[0:3], 0 offen offset:4
	buffer_load_dword v49, v24, s[0:3], 0 offen offset:8
	buffer_load_dword v50, v24, s[0:3], 0 offen offset:12
	buffer_load_dword v51, v43, s[0:3], 0 offen
	buffer_load_dword v52, v43, s[0:3], 0 offen offset:4
	buffer_load_dword v53, v43, s[0:3], 0 offen offset:8
	buffer_load_dword v54, v43, s[0:3], 0 offen offset:12
	;; [unrolled: 4-line block ×13, first 2 shown]
	v_mov_b32_e32 v176, s16
	v_mov_b32_e32 v187, s28
	v_mov_b32_e32 v180, s12
	v_mov_b32_e32 v189, s25
	v_mov_b32_e32 v184, s8
	v_mov_b32_e32 v191, s19
	v_mov_b32_e32 v186, s30
	v_mov_b32_e32 v193, s15
	v_mov_b32_e32 v188, s26
	v_mov_b32_e32 v190, s23
	v_mov_b32_e32 v192, s17
	v_mov_b32_e32 v194, s13
	s_waitcnt vmcnt(62)
	global_store_dwordx4 v[65:66], v[0:3], off
	s_clause 0x7
	buffer_load_dword v0, v173, s[0:3], 0 offen
	buffer_load_dword v1, v173, s[0:3], 0 offen offset:4
	buffer_load_dword v2, v173, s[0:3], 0 offen offset:8
	buffer_load_dword v3, v173, s[0:3], 0 offen offset:12
	buffer_load_dword v63, v174, s[0:3], 0 offen
	buffer_load_dword v64, v174, s[0:3], 0 offen offset:4
	buffer_load_dword v65, v174, s[0:3], 0 offen offset:8
	buffer_load_dword v66, v174, s[0:3], 0 offen offset:12
	global_store_dwordx4 v[67:68], v[4:7], off
	s_clause 0x7
	buffer_load_dword v4, v175, s[0:3], 0 offen
	buffer_load_dword v5, v175, s[0:3], 0 offen offset:4
	buffer_load_dword v6, v175, s[0:3], 0 offen offset:8
	buffer_load_dword v7, v175, s[0:3], 0 offen offset:12
	buffer_load_dword v173, v176, s[0:3], 0 offen
	buffer_load_dword v174, v176, s[0:3], 0 offen offset:4
	buffer_load_dword v175, v176, s[0:3], 0 offen offset:8
	buffer_load_dword v176, v176, s[0:3], 0 offen offset:12
	;; [unrolled: 10-line block ×6, first 2 shown]
	s_waitcnt vmcnt(62)
	global_store_dwordx4 v[81:82], v[31:34], off
	s_clause 0x7
	buffer_load_dword v31, v189, s[0:3], 0 offen
	buffer_load_dword v32, v189, s[0:3], 0 offen offset:4
	buffer_load_dword v33, v189, s[0:3], 0 offen offset:8
	buffer_load_dword v34, v189, s[0:3], 0 offen offset:12
	buffer_load_dword v185, v190, s[0:3], 0 offen
	buffer_load_dword v186, v190, s[0:3], 0 offen offset:4
	buffer_load_dword v187, v190, s[0:3], 0 offen offset:8
	buffer_load_dword v188, v190, s[0:3], 0 offen offset:12
	global_store_dwordx4 v[73:74], v[35:38], off
	s_clause 0x7
	buffer_load_dword v35, v191, s[0:3], 0 offen
	buffer_load_dword v36, v191, s[0:3], 0 offen offset:4
	buffer_load_dword v37, v191, s[0:3], 0 offen offset:8
	buffer_load_dword v38, v191, s[0:3], 0 offen offset:12
	buffer_load_dword v71, v192, s[0:3], 0 offen
	buffer_load_dword v72, v192, s[0:3], 0 offen offset:4
	buffer_load_dword v73, v192, s[0:3], 0 offen offset:8
	buffer_load_dword v74, v192, s[0:3], 0 offen offset:12
	;; [unrolled: 10-line block ×3, first 2 shown]
	global_store_dwordx4 v[83:84], v[47:50], off
	global_store_dwordx4 v[85:86], v[51:54], off
	;; [unrolled: 1-line block ×9, first 2 shown]
	s_waitcnt vmcnt(62)
	global_store_dwordx4 v[101:102], v[157:160], off
	global_store_dwordx4 v[103:104], v[161:164], off
	;; [unrolled: 1-line block ×6, first 2 shown]
	s_waitcnt vmcnt(60)
	global_store_dwordx4 v[113:114], v[4:7], off
	s_waitcnt vmcnt(56)
	global_store_dwordx4 v[115:116], v[173:176], off
	s_waitcnt vmcnt(52)
	global_store_dwordx4 v[117:118], v[8:11], off
	s_waitcnt vmcnt(48)
	global_store_dwordx4 v[119:120], v[177:180], off
	s_waitcnt vmcnt(44)
	global_store_dwordx4 v[121:122], v[12:15], off
	s_waitcnt vmcnt(40)
	global_store_dwordx4 v[123:124], v[181:184], off
	s_waitcnt vmcnt(36)
	global_store_dwordx4 v[125:126], v[16:19], off
	s_waitcnt vmcnt(32)
	global_store_dwordx4 v[127:128], v[67:70], off
	s_waitcnt vmcnt(28)
	global_store_dwordx4 v[129:130], v[20:23], off
	s_waitcnt vmcnt(24)
	global_store_dwordx4 v[131:132], v[75:78], off
	s_waitcnt vmcnt(20)
	global_store_dwordx4 v[133:134], v[31:34], off
	s_waitcnt vmcnt(16)
	global_store_dwordx4 v[135:136], v[185:188], off
	s_waitcnt vmcnt(12)
	global_store_dwordx4 v[45:46], v[35:38], off
	s_waitcnt vmcnt(8)
	global_store_dwordx4 v[25:26], v[71:74], off
	s_waitcnt vmcnt(4)
	global_store_dwordx4 v[27:28], v[39:42], off
	s_waitcnt vmcnt(0)
	global_store_dwordx4 v[29:30], v[79:82], off
	s_endpgm
	.section	.rodata,"a",@progbits
	.p2align	6, 0x0
	.amdhsa_kernel _ZN9rocsolver6v33100L18getri_kernel_smallILi40E19rocblas_complex_numIdEPS3_EEvT1_iilPiilS6_bb
		.amdhsa_group_segment_fixed_size 1288
		.amdhsa_private_segment_fixed_size 672
		.amdhsa_kernarg_size 60
		.amdhsa_user_sgpr_count 6
		.amdhsa_user_sgpr_private_segment_buffer 1
		.amdhsa_user_sgpr_dispatch_ptr 0
		.amdhsa_user_sgpr_queue_ptr 0
		.amdhsa_user_sgpr_kernarg_segment_ptr 1
		.amdhsa_user_sgpr_dispatch_id 0
		.amdhsa_user_sgpr_flat_scratch_init 0
		.amdhsa_user_sgpr_private_segment_size 0
		.amdhsa_wavefront_size32 1
		.amdhsa_uses_dynamic_stack 0
		.amdhsa_system_sgpr_private_segment_wavefront_offset 1
		.amdhsa_system_sgpr_workgroup_id_x 1
		.amdhsa_system_sgpr_workgroup_id_y 0
		.amdhsa_system_sgpr_workgroup_id_z 0
		.amdhsa_system_sgpr_workgroup_info 0
		.amdhsa_system_vgpr_workitem_id 0
		.amdhsa_next_free_vgpr 195
		.amdhsa_next_free_sgpr 59
		.amdhsa_reserve_vcc 1
		.amdhsa_reserve_flat_scratch 0
		.amdhsa_float_round_mode_32 0
		.amdhsa_float_round_mode_16_64 0
		.amdhsa_float_denorm_mode_32 3
		.amdhsa_float_denorm_mode_16_64 3
		.amdhsa_dx10_clamp 1
		.amdhsa_ieee_mode 1
		.amdhsa_fp16_overflow 0
		.amdhsa_workgroup_processor_mode 1
		.amdhsa_memory_ordered 1
		.amdhsa_forward_progress 1
		.amdhsa_shared_vgpr_count 0
		.amdhsa_exception_fp_ieee_invalid_op 0
		.amdhsa_exception_fp_denorm_src 0
		.amdhsa_exception_fp_ieee_div_zero 0
		.amdhsa_exception_fp_ieee_overflow 0
		.amdhsa_exception_fp_ieee_underflow 0
		.amdhsa_exception_fp_ieee_inexact 0
		.amdhsa_exception_int_div_zero 0
	.end_amdhsa_kernel
	.section	.text._ZN9rocsolver6v33100L18getri_kernel_smallILi40E19rocblas_complex_numIdEPS3_EEvT1_iilPiilS6_bb,"axG",@progbits,_ZN9rocsolver6v33100L18getri_kernel_smallILi40E19rocblas_complex_numIdEPS3_EEvT1_iilPiilS6_bb,comdat
.Lfunc_end39:
	.size	_ZN9rocsolver6v33100L18getri_kernel_smallILi40E19rocblas_complex_numIdEPS3_EEvT1_iilPiilS6_bb, .Lfunc_end39-_ZN9rocsolver6v33100L18getri_kernel_smallILi40E19rocblas_complex_numIdEPS3_EEvT1_iilPiilS6_bb
                                        ; -- End function
	.set _ZN9rocsolver6v33100L18getri_kernel_smallILi40E19rocblas_complex_numIdEPS3_EEvT1_iilPiilS6_bb.num_vgpr, 195
	.set _ZN9rocsolver6v33100L18getri_kernel_smallILi40E19rocblas_complex_numIdEPS3_EEvT1_iilPiilS6_bb.num_agpr, 0
	.set _ZN9rocsolver6v33100L18getri_kernel_smallILi40E19rocblas_complex_numIdEPS3_EEvT1_iilPiilS6_bb.numbered_sgpr, 59
	.set _ZN9rocsolver6v33100L18getri_kernel_smallILi40E19rocblas_complex_numIdEPS3_EEvT1_iilPiilS6_bb.num_named_barrier, 0
	.set _ZN9rocsolver6v33100L18getri_kernel_smallILi40E19rocblas_complex_numIdEPS3_EEvT1_iilPiilS6_bb.private_seg_size, 672
	.set _ZN9rocsolver6v33100L18getri_kernel_smallILi40E19rocblas_complex_numIdEPS3_EEvT1_iilPiilS6_bb.uses_vcc, 1
	.set _ZN9rocsolver6v33100L18getri_kernel_smallILi40E19rocblas_complex_numIdEPS3_EEvT1_iilPiilS6_bb.uses_flat_scratch, 0
	.set _ZN9rocsolver6v33100L18getri_kernel_smallILi40E19rocblas_complex_numIdEPS3_EEvT1_iilPiilS6_bb.has_dyn_sized_stack, 0
	.set _ZN9rocsolver6v33100L18getri_kernel_smallILi40E19rocblas_complex_numIdEPS3_EEvT1_iilPiilS6_bb.has_recursion, 0
	.set _ZN9rocsolver6v33100L18getri_kernel_smallILi40E19rocblas_complex_numIdEPS3_EEvT1_iilPiilS6_bb.has_indirect_call, 0
	.section	.AMDGPU.csdata,"",@progbits
; Kernel info:
; codeLenInByte = 113856
; TotalNumSgprs: 61
; NumVgprs: 195
; ScratchSize: 672
; MemoryBound: 0
; FloatMode: 240
; IeeeMode: 1
; LDSByteSize: 1288 bytes/workgroup (compile time only)
; SGPRBlocks: 0
; VGPRBlocks: 24
; NumSGPRsForWavesPerEU: 61
; NumVGPRsForWavesPerEU: 195
; Occupancy: 4
; WaveLimiterHint : 1
; COMPUTE_PGM_RSRC2:SCRATCH_EN: 1
; COMPUTE_PGM_RSRC2:USER_SGPR: 6
; COMPUTE_PGM_RSRC2:TRAP_HANDLER: 0
; COMPUTE_PGM_RSRC2:TGID_X_EN: 1
; COMPUTE_PGM_RSRC2:TGID_Y_EN: 0
; COMPUTE_PGM_RSRC2:TGID_Z_EN: 0
; COMPUTE_PGM_RSRC2:TIDIG_COMP_CNT: 0
	.section	.text._ZN9rocsolver6v33100L18getri_kernel_smallILi41E19rocblas_complex_numIdEPS3_EEvT1_iilPiilS6_bb,"axG",@progbits,_ZN9rocsolver6v33100L18getri_kernel_smallILi41E19rocblas_complex_numIdEPS3_EEvT1_iilPiilS6_bb,comdat
	.globl	_ZN9rocsolver6v33100L18getri_kernel_smallILi41E19rocblas_complex_numIdEPS3_EEvT1_iilPiilS6_bb ; -- Begin function _ZN9rocsolver6v33100L18getri_kernel_smallILi41E19rocblas_complex_numIdEPS3_EEvT1_iilPiilS6_bb
	.p2align	8
	.type	_ZN9rocsolver6v33100L18getri_kernel_smallILi41E19rocblas_complex_numIdEPS3_EEvT1_iilPiilS6_bb,@function
_ZN9rocsolver6v33100L18getri_kernel_smallILi41E19rocblas_complex_numIdEPS3_EEvT1_iilPiilS6_bb: ; @_ZN9rocsolver6v33100L18getri_kernel_smallILi41E19rocblas_complex_numIdEPS3_EEvT1_iilPiilS6_bb
; %bb.0:
	s_add_u32 s0, s0, s7
	s_addc_u32 s1, s1, 0
	s_mov_b32 s7, exec_lo
	v_cmpx_gt_u32_e32 41, v0
	s_cbranch_execz .LBB40_178
; %bb.1:
	s_clause 0x2
	s_load_dword s7, s[4:5], 0x38
	s_load_dwordx4 s[16:19], s[4:5], 0x10
	s_load_dwordx4 s[8:11], s[4:5], 0x28
                                        ; implicit-def: $sgpr20_sgpr21
	s_waitcnt lgkmcnt(0)
	s_bitcmp1_b32 s7, 8
	s_cselect_b32 s53, -1, 0
	s_bfe_u32 s12, s7, 0x10008
	s_ashr_i32 s7, s6, 31
	s_cmp_eq_u32 s12, 0
	s_cbranch_scc1 .LBB40_3
; %bb.2:
	s_load_dword s12, s[4:5], 0x20
	s_mul_i32 s13, s8, s7
	s_mul_hi_u32 s14, s8, s6
	s_mul_i32 s9, s9, s6
	s_add_i32 s13, s14, s13
	s_mul_i32 s8, s8, s6
	s_add_i32 s9, s13, s9
	s_lshl_b64 s[8:9], s[8:9], 2
	s_waitcnt lgkmcnt(0)
	s_ashr_i32 s13, s12, 31
	s_add_u32 s14, s18, s8
	s_addc_u32 s15, s19, s9
	s_lshl_b64 s[8:9], s[12:13], 2
	s_add_u32 s20, s14, s8
	s_addc_u32 s21, s15, s9
.LBB40_3:
	s_clause 0x1
	s_load_dwordx4 s[12:15], s[4:5], 0x0
	s_load_dword s54, s[4:5], 0x38
	s_mul_i32 s4, s16, s7
	s_mul_hi_u32 s5, s16, s6
	s_mul_i32 s8, s17, s6
	s_add_i32 s5, s5, s4
	s_mul_i32 s4, s16, s6
	s_add_i32 s5, s5, s8
	v_lshlrev_b32_e32 v167, 4, v0
	s_lshl_b64 s[4:5], s[4:5], 4
	s_movk_i32 s34, 0x190
	s_movk_i32 s36, 0x1a0
	;; [unrolled: 1-line block ×10, first 2 shown]
	s_waitcnt lgkmcnt(0)
	v_add3_u32 v5, s15, s15, v0
	s_ashr_i32 s9, s14, 31
	s_mov_b32 s8, s14
	s_add_u32 s12, s12, s4
	s_addc_u32 s13, s13, s5
	v_add_nc_u32_e32 v7, s15, v5
	s_lshl_b64 s[4:5], s[8:9], 4
	v_ashrrev_i32_e32 v6, 31, v5
	s_add_u32 s4, s12, s4
	s_addc_u32 s5, s13, s5
	v_add_nc_u32_e32 v9, s15, v7
	v_add_co_u32 v85, s12, s4, v167
	s_mov_b32 s8, s15
	s_ashr_i32 s9, s15, 31
	v_lshlrev_b64 v[5:6], 4, v[5:6]
	v_ashrrev_i32_e32 v8, 31, v7
	v_add_co_ci_u32_e64 v86, null, s5, 0, s12
	s_lshl_b64 s[8:9], s[8:9], 4
	v_ashrrev_i32_e32 v10, 31, v9
	v_add_nc_u32_e32 v11, s15, v9
	v_add_co_u32 v87, vcc_lo, v85, s8
	v_lshlrev_b64 v[7:8], 4, v[7:8]
	v_add_co_ci_u32_e64 v88, null, s9, v86, vcc_lo
	v_add_co_u32 v89, vcc_lo, s4, v5
	v_add_co_ci_u32_e64 v90, null, s5, v6, vcc_lo
	v_lshlrev_b64 v[5:6], 4, v[9:10]
	v_ashrrev_i32_e32 v12, 31, v11
	v_add_nc_u32_e32 v9, s15, v11
	v_add_co_u32 v91, vcc_lo, s4, v7
	v_add_co_ci_u32_e64 v92, null, s5, v8, vcc_lo
	v_lshlrev_b64 v[7:8], 4, v[11:12]
	v_ashrrev_i32_e32 v10, 31, v9
	v_add_nc_u32_e32 v11, s15, v9
	;; [unrolled: 5-line block ×8, first 2 shown]
	v_add_co_u32 v105, vcc_lo, s4, v5
	v_add_co_ci_u32_e64 v106, null, s5, v6, vcc_lo
	v_lshlrev_b64 v[5:6], 4, v[9:10]
	v_add_nc_u32_e32 v9, s15, v11
	v_ashrrev_i32_e32 v12, 31, v11
	v_add_co_u32 v107, vcc_lo, s4, v7
	v_add_co_ci_u32_e64 v108, null, s5, v8, vcc_lo
	v_ashrrev_i32_e32 v10, 31, v9
	v_lshlrev_b64 v[7:8], 4, v[11:12]
	v_add_co_u32 v109, vcc_lo, s4, v5
	v_add_co_ci_u32_e64 v110, null, s5, v6, vcc_lo
	v_lshlrev_b64 v[5:6], 4, v[9:10]
	s_clause 0x1
	global_load_dwordx4 v[1:4], v167, s[4:5]
	global_load_dwordx4 v[13:16], v[87:88], off
	v_add_co_u32 v111, vcc_lo, s4, v7
	s_clause 0x4
	global_load_dwordx4 v[17:20], v[89:90], off
	global_load_dwordx4 v[21:24], v[91:92], off
	;; [unrolled: 1-line block ×5, first 2 shown]
	v_add_co_ci_u32_e64 v112, null, s5, v8, vcc_lo
	v_add_co_u32 v113, vcc_lo, s4, v5
	s_clause 0x3
	global_load_dwordx4 v[45:48], v[99:100], off
	global_load_dwordx4 v[49:52], v[101:102], off
	;; [unrolled: 1-line block ×4, first 2 shown]
	v_add_co_ci_u32_e64 v114, null, s5, v6, vcc_lo
	s_clause 0x3
	global_load_dwordx4 v[61:64], v[107:108], off
	global_load_dwordx4 v[65:68], v[109:110], off
	;; [unrolled: 1-line block ×4, first 2 shown]
	v_add_nc_u32_e32 v5, s15, v9
	s_movk_i32 s13, 0xa0
	s_add_i32 s38, s36, 16
	s_add_i32 s43, s13, 16
	;; [unrolled: 1-line block ×3, first 2 shown]
	v_add_nc_u32_e32 v7, s15, v5
	v_ashrrev_i32_e32 v6, 31, v5
	s_add_i32 s39, s17, 16
	s_add_i32 s17, s29, 16
	s_movk_i32 s24, 0x130
	v_add_nc_u32_e32 v9, s15, v7
	v_lshlrev_b64 v[5:6], 4, v[5:6]
	v_ashrrev_i32_e32 v8, 31, v7
	s_add_i32 s35, s19, 16
	s_add_i32 s30, s23, 16
	v_add_nc_u32_e32 v11, s15, v9
	v_ashrrev_i32_e32 v10, 31, v9
	v_lshlrev_b64 v[7:8], 4, v[7:8]
	v_add_co_u32 v115, vcc_lo, s4, v5
	v_add_nc_u32_e32 v25, s15, v11
	v_ashrrev_i32_e32 v12, 31, v11
	v_add_co_ci_u32_e64 v116, null, s5, v6, vcc_lo
	v_lshlrev_b64 v[5:6], 4, v[9:10]
	v_add_nc_u32_e32 v33, s15, v25
	v_ashrrev_i32_e32 v26, 31, v25
	v_lshlrev_b64 v[27:28], 4, v[11:12]
	v_add_co_u32 v117, vcc_lo, s4, v7
	v_add_nc_u32_e32 v77, s15, v33
	v_ashrrev_i32_e32 v34, 31, v33
	v_lshlrev_b64 v[25:26], 4, v[25:26]
	v_add_co_ci_u32_e64 v118, null, s5, v8, vcc_lo
	v_add_nc_u32_e32 v81, s15, v77
	v_ashrrev_i32_e32 v78, 31, v77
	v_add_co_u32 v119, vcc_lo, s4, v5
	v_lshlrev_b64 v[79:80], 4, v[33:34]
	v_add_nc_u32_e32 v129, s15, v81
	v_ashrrev_i32_e32 v82, 31, v81
	v_add_co_ci_u32_e64 v120, null, s5, v6, vcc_lo
	v_add_co_u32 v121, vcc_lo, s4, v27
	v_add_nc_u32_e32 v133, s15, v129
	v_ashrrev_i32_e32 v130, 31, v129
	v_lshlrev_b64 v[77:78], 4, v[77:78]
	v_add_co_ci_u32_e64 v122, null, s5, v28, vcc_lo
	v_add_co_u32 v123, vcc_lo, s4, v25
	v_lshlrev_b64 v[131:132], 4, v[81:82]
	v_add_nc_u32_e32 v137, s15, v133
	v_add_co_ci_u32_e64 v124, null, s5, v26, vcc_lo
	v_add_co_u32 v125, vcc_lo, s4, v79
	v_lshlrev_b64 v[135:136], 4, v[129:130]
	v_add_co_ci_u32_e64 v126, null, s5, v80, vcc_lo
	v_add_co_u32 v127, vcc_lo, s4, v77
	v_ashrrev_i32_e32 v138, 31, v137
	v_add_nc_u32_e32 v139, s15, v137
	v_add_co_ci_u32_e64 v128, null, s5, v78, vcc_lo
	v_add_co_u32 v129, vcc_lo, s4, v131
	v_add_co_ci_u32_e64 v130, null, s5, v132, vcc_lo
	v_add_co_u32 v131, vcc_lo, s4, v135
	v_add_co_ci_u32_e64 v132, null, s5, v136, vcc_lo
	v_lshlrev_b64 v[135:136], 4, v[137:138]
	v_add_nc_u32_e32 v137, s15, v139
	v_ashrrev_i32_e32 v134, 31, v133
	v_ashrrev_i32_e32 v140, 31, v139
	s_clause 0x3
	global_load_dwordx4 v[5:8], v[115:116], off
	global_load_dwordx4 v[9:12], v[117:118], off
	;; [unrolled: 1-line block ×4, first 2 shown]
	v_add_nc_u32_e32 v141, s15, v137
	v_lshlrev_b64 v[133:134], 4, v[133:134]
	v_ashrrev_i32_e32 v138, 31, v137
	v_lshlrev_b64 v[139:140], 4, v[139:140]
	s_clause 0x1
	global_load_dwordx4 v[81:84], v[123:124], off
	global_load_dwordx4 v[77:80], v[125:126], off
	v_add_nc_u32_e32 v145, s15, v141
	v_ashrrev_i32_e32 v142, 31, v141
	v_add_co_u32 v133, vcc_lo, s4, v133
	v_lshlrev_b64 v[143:144], 4, v[137:138]
	v_add_co_ci_u32_e64 v134, null, s5, v134, vcc_lo
	v_add_co_u32 v135, vcc_lo, s4, v135
	v_ashrrev_i32_e32 v146, 31, v145
	v_add_nc_u32_e32 v147, s15, v145
	v_add_co_ci_u32_e64 v136, null, s5, v136, vcc_lo
	v_add_co_u32 v137, vcc_lo, s4, v139
	v_add_co_ci_u32_e64 v138, null, s5, v140, vcc_lo
	v_add_co_u32 v139, vcc_lo, s4, v143
	v_add_co_ci_u32_e64 v140, null, s5, v144, vcc_lo
	v_lshlrev_b64 v[143:144], 4, v[145:146]
	v_add_nc_u32_e32 v145, s15, v147
	v_ashrrev_i32_e32 v148, 31, v147
	v_lshlrev_b64 v[141:142], 4, v[141:142]
	s_clause 0x3
	global_load_dwordx4 v[168:171], v[127:128], off
	global_load_dwordx4 v[172:175], v[129:130], off
	;; [unrolled: 1-line block ×4, first 2 shown]
	v_add_nc_u32_e32 v149, s15, v145
	v_ashrrev_i32_e32 v146, 31, v145
	v_lshlrev_b64 v[147:148], 4, v[147:148]
	v_add_co_u32 v141, vcc_lo, s4, v141
	v_add_nc_u32_e32 v153, s15, v149
	v_lshlrev_b64 v[151:152], 4, v[145:146]
	v_add_co_ci_u32_e64 v142, null, s5, v142, vcc_lo
	v_add_co_u32 v143, vcc_lo, s4, v143
	v_ashrrev_i32_e32 v154, 31, v153
	v_add_nc_u32_e32 v155, s15, v153
	v_add_co_ci_u32_e64 v144, null, s5, v144, vcc_lo
	v_add_co_u32 v145, vcc_lo, s4, v147
	v_add_co_ci_u32_e64 v146, null, s5, v148, vcc_lo
	v_add_co_u32 v147, vcc_lo, s4, v151
	v_add_co_ci_u32_e64 v148, null, s5, v152, vcc_lo
	v_lshlrev_b64 v[151:152], 4, v[153:154]
	v_add_nc_u32_e32 v153, s15, v155
	v_ashrrev_i32_e32 v150, 31, v149
	v_ashrrev_i32_e32 v156, 31, v155
	s_add_i32 s23, s26, 16
	s_add_i32 s19, s28, 16
	v_add_nc_u32_e32 v157, s15, v153
	v_lshlrev_b64 v[149:150], 4, v[149:150]
	v_ashrrev_i32_e32 v154, 31, v153
	v_lshlrev_b64 v[155:156], 4, v[155:156]
	s_movk_i32 s16, 0xd0
	v_add_nc_u32_e32 v161, s15, v157
	v_ashrrev_i32_e32 v158, 31, v157
	v_add_co_u32 v149, vcc_lo, s4, v149
	v_lshlrev_b64 v[159:160], 4, v[153:154]
	v_add_co_ci_u32_e64 v150, null, s5, v150, vcc_lo
	v_add_co_u32 v151, vcc_lo, s4, v151
	v_ashrrev_i32_e32 v162, 31, v161
	v_add_nc_u32_e32 v163, s15, v161
	v_add_co_ci_u32_e64 v152, null, s5, v152, vcc_lo
	v_add_co_u32 v153, vcc_lo, s4, v155
	v_add_co_ci_u32_e64 v154, null, s5, v156, vcc_lo
	v_add_co_u32 v155, vcc_lo, s4, v159
	v_add_co_ci_u32_e64 v156, null, s5, v160, vcc_lo
	v_lshlrev_b64 v[159:160], 4, v[161:162]
	v_add_nc_u32_e32 v161, s15, v163
	v_ashrrev_i32_e32 v164, 31, v163
	v_lshlrev_b64 v[157:158], 4, v[157:158]
	s_movk_i32 s18, 0xf0
	s_add_i32 s33, s22, 16
	v_add_nc_u32_e32 v165, s15, v161
	v_ashrrev_i32_e32 v162, 31, v161
	v_lshlrev_b64 v[163:164], 4, v[163:164]
	v_add_co_u32 v157, vcc_lo, s4, v157
	v_ashrrev_i32_e32 v166, 31, v165
	v_add_co_ci_u32_e64 v158, null, s5, v158, vcc_lo
	v_add_co_u32 v159, vcc_lo, s4, v159
	v_lshlrev_b64 v[184:185], 4, v[161:162]
	v_add_co_ci_u32_e64 v160, null, s5, v160, vcc_lo
	v_add_co_u32 v161, vcc_lo, s4, v163
	v_add_co_ci_u32_e64 v162, null, s5, v164, vcc_lo
	v_lshlrev_b64 v[163:164], 4, v[165:166]
	v_add_co_u32 v165, vcc_lo, s4, v184
	v_add_co_ci_u32_e64 v166, null, s5, v185, vcc_lo
	s_movk_i32 s15, 0xc0
	v_add_co_u32 v163, vcc_lo, s4, v163
	v_add_co_ci_u32_e64 v164, null, s5, v164, vcc_lo
	s_movk_i32 s4, 0x50
	s_movk_i32 s5, 0x60
	s_add_i32 s48, s4, 16
	s_waitcnt vmcnt(24)
	buffer_store_dword v4, off, s[0:3], 0 offset:28
	buffer_store_dword v3, off, s[0:3], 0 offset:24
	buffer_store_dword v2, off, s[0:3], 0 offset:20
	buffer_store_dword v1, off, s[0:3], 0 offset:16
	s_clause 0x1
	global_load_dwordx4 v[1:4], v[135:136], off
	global_load_dwordx4 v[184:187], v[137:138], off
	s_waitcnt vmcnt(25)
	buffer_store_dword v16, off, s[0:3], 0 offset:44
	buffer_store_dword v15, off, s[0:3], 0 offset:40
	buffer_store_dword v14, off, s[0:3], 0 offset:36
	buffer_store_dword v13, off, s[0:3], 0 offset:32
	s_waitcnt vmcnt(24)
	buffer_store_dword v20, off, s[0:3], 0 offset:60
	buffer_store_dword v19, off, s[0:3], 0 offset:56
	buffer_store_dword v18, off, s[0:3], 0 offset:52
	buffer_store_dword v17, off, s[0:3], 0 offset:48
	s_clause 0x1
	global_load_dwordx4 v[13:16], v[139:140], off
	global_load_dwordx4 v[17:20], v[141:142], off
	s_waitcnt vmcnt(25)
	buffer_store_dword v24, off, s[0:3], 0 offset:76
	buffer_store_dword v23, off, s[0:3], 0 offset:72
	buffer_store_dword v22, off, s[0:3], 0 offset:68
	buffer_store_dword v21, off, s[0:3], 0 offset:64
	;; [unrolled: 13-line block ×6, first 2 shown]
	global_load_dwordx4 v[61:64], v[159:160], off
	s_waitcnt vmcnt(25)
	buffer_store_dword v68, off, s[0:3], 0 offset:220
	buffer_store_dword v67, off, s[0:3], 0 offset:216
	buffer_store_dword v66, off, s[0:3], 0 offset:212
	buffer_store_dword v65, off, s[0:3], 0 offset:208
	global_load_dwordx4 v[65:68], v[161:162], off
	s_waitcnt vmcnt(25)
	buffer_store_dword v72, off, s[0:3], 0 offset:236
	buffer_store_dword v71, off, s[0:3], 0 offset:232
	buffer_store_dword v70, off, s[0:3], 0 offset:228
	buffer_store_dword v69, off, s[0:3], 0 offset:224
	;; [unrolled: 6-line block ×3, first 2 shown]
	global_load_dwordx4 v[73:76], v[163:164], off
	s_add_i32 s47, s5, 16
	s_movk_i32 s4, 0x1b0
	s_movk_i32 s5, 0x1c0
	s_add_i32 s36, s4, 16
	s_add_i32 s34, s5, 16
	s_movk_i32 s4, 0x1d0
	s_movk_i32 s5, 0x1e0
	s_add_i32 s41, s15, 16
	s_add_i32 s15, s31, 16
	;; [unrolled: 1-line block ×4, first 2 shown]
	s_movk_i32 s4, 0x1f0
	s_movk_i32 s5, 0x200
	s_add_i32 s28, s4, 16
	s_add_i32 s26, s5, 16
	s_movk_i32 s4, 0x210
	s_movk_i32 s5, 0x220
	s_add_i32 s27, s24, 16
	s_add_i32 s24, s4, 16
	;; [unrolled: 1-line block ×3, first 2 shown]
	s_movk_i32 s4, 0x230
	s_movk_i32 s5, 0x240
	;; [unrolled: 1-line block ×4, first 2 shown]
	s_add_i32 s40, s16, 16
	s_add_i32 s37, s18, 16
	;; [unrolled: 1-line block ×4, first 2 shown]
	s_movk_i32 s4, 0x250
	s_movk_i32 s5, 0x260
	;; [unrolled: 1-line block ×5, first 2 shown]
	s_add_i32 s44, s12, 16
	s_add_i32 s42, s14, 16
	;; [unrolled: 1-line block ×4, first 2 shown]
	s_movk_i32 s4, 0x270
	s_movk_i32 s5, 0x280
	s_add_i32 s46, s8, 16
	s_add_i32 s45, s9, 16
	;; [unrolled: 1-line block ×5, first 2 shown]
	s_mov_b32 s52, 32
	s_mov_b32 s51, 48
	;; [unrolled: 1-line block ×3, first 2 shown]
	s_movk_i32 s49, 0x50
	s_bitcmp0_b32 s54, 0
	s_mov_b32 s5, -1
	s_waitcnt vmcnt(25)
	buffer_store_dword v8, off, s[0:3], 0 offset:268
	buffer_store_dword v7, off, s[0:3], 0 offset:264
	buffer_store_dword v6, off, s[0:3], 0 offset:260
	buffer_store_dword v5, off, s[0:3], 0 offset:256
	s_waitcnt vmcnt(24)
	buffer_store_dword v12, off, s[0:3], 0 offset:284
	buffer_store_dword v11, off, s[0:3], 0 offset:280
	buffer_store_dword v10, off, s[0:3], 0 offset:276
	buffer_store_dword v9, off, s[0:3], 0 offset:272
	;; [unrolled: 5-line block ×26, first 2 shown]
	s_cbranch_scc1 .LBB40_176
; %bb.4:
	v_cmp_eq_u32_e64 s4, 0, v0
	s_and_saveexec_b32 s5, s4
; %bb.5:
	v_mov_b32_e32 v1, 0
	ds_write_b32 v1, v1 offset:1312
; %bb.6:
	s_or_b32 exec_lo, exec_lo, s5
	v_lshl_add_u32 v11, v0, 4, 16
	s_waitcnt lgkmcnt(0)
	s_waitcnt_vscnt null, 0x0
	s_barrier
	buffer_gl0_inv
	s_clause 0x3
	buffer_load_dword v1, v11, s[0:3], 0 offen
	buffer_load_dword v2, v11, s[0:3], 0 offen offset:4
	buffer_load_dword v3, v11, s[0:3], 0 offen offset:8
	;; [unrolled: 1-line block ×3, first 2 shown]
	s_waitcnt vmcnt(2)
	v_cmp_eq_f64_e32 vcc_lo, 0, v[1:2]
	s_waitcnt vmcnt(0)
	v_cmp_eq_f64_e64 s5, 0, v[3:4]
	s_and_b32 s5, vcc_lo, s5
	s_and_saveexec_b32 s54, s5
	s_cbranch_execz .LBB40_10
; %bb.7:
	v_mov_b32_e32 v1, 0
	s_mov_b32 s55, 0
	ds_read_b32 v2, v1 offset:1312
	s_waitcnt lgkmcnt(0)
	v_readfirstlane_b32 s5, v2
	v_add_nc_u32_e32 v2, 1, v0
	s_cmp_eq_u32 s5, 0
	v_cmp_gt_i32_e32 vcc_lo, s5, v2
	s_cselect_b32 s56, -1, 0
	s_or_b32 s56, s56, vcc_lo
	s_and_b32 exec_lo, exec_lo, s56
	s_cbranch_execz .LBB40_10
; %bb.8:
	v_mov_b32_e32 v3, s5
.LBB40_9:                               ; =>This Inner Loop Header: Depth=1
	ds_cmpst_rtn_b32 v3, v1, v3, v2 offset:1312
	s_waitcnt lgkmcnt(0)
	v_cmp_ne_u32_e32 vcc_lo, 0, v3
	v_cmp_le_i32_e64 s5, v3, v2
	s_and_b32 s5, vcc_lo, s5
	s_and_b32 s5, exec_lo, s5
	s_or_b32 s55, s5, s55
	s_andn2_b32 exec_lo, exec_lo, s55
	s_cbranch_execnz .LBB40_9
.LBB40_10:
	s_or_b32 exec_lo, exec_lo, s54
	v_mov_b32_e32 v1, 0
	s_barrier
	buffer_gl0_inv
	ds_read_b32 v2, v1 offset:1312
	s_and_saveexec_b32 s5, s4
	s_cbranch_execz .LBB40_12
; %bb.11:
	s_lshl_b64 s[54:55], s[6:7], 2
	s_add_u32 s54, s10, s54
	s_addc_u32 s55, s11, s55
	s_waitcnt lgkmcnt(0)
	global_store_dword v1, v2, s[54:55]
.LBB40_12:
	s_or_b32 exec_lo, exec_lo, s5
	s_waitcnt lgkmcnt(0)
	v_cmp_ne_u32_e32 vcc_lo, 0, v2
	s_mov_b32 s5, 0
	s_cbranch_vccnz .LBB40_176
; %bb.13:
	s_clause 0x3
	buffer_load_dword v7, v11, s[0:3], 0 offen
	buffer_load_dword v8, v11, s[0:3], 0 offen offset:4
	buffer_load_dword v9, v11, s[0:3], 0 offen offset:8
	;; [unrolled: 1-line block ×3, first 2 shown]
                                        ; implicit-def: $vgpr5_vgpr6
                                        ; implicit-def: $vgpr3_vgpr4
	s_waitcnt vmcnt(0)
	v_cmp_ngt_f64_e64 s5, |v[7:8]|, |v[9:10]|
	s_and_saveexec_b32 s54, s5
	s_xor_b32 s5, exec_lo, s54
	s_cbranch_execz .LBB40_15
; %bb.14:
	v_div_scale_f64 v[1:2], null, v[9:10], v[9:10], v[7:8]
	v_div_scale_f64 v[12:13], vcc_lo, v[7:8], v[9:10], v[7:8]
	v_rcp_f64_e32 v[3:4], v[1:2]
	v_fma_f64 v[5:6], -v[1:2], v[3:4], 1.0
	v_fma_f64 v[3:4], v[3:4], v[5:6], v[3:4]
	v_fma_f64 v[5:6], -v[1:2], v[3:4], 1.0
	v_fma_f64 v[3:4], v[3:4], v[5:6], v[3:4]
	v_mul_f64 v[5:6], v[12:13], v[3:4]
	v_fma_f64 v[1:2], -v[1:2], v[5:6], v[12:13]
	v_div_fmas_f64 v[1:2], v[1:2], v[3:4], v[5:6]
	v_div_fixup_f64 v[1:2], v[1:2], v[9:10], v[7:8]
	v_fma_f64 v[3:4], v[7:8], v[1:2], v[9:10]
	v_div_scale_f64 v[5:6], null, v[3:4], v[3:4], 1.0
	v_div_scale_f64 v[12:13], vcc_lo, 1.0, v[3:4], 1.0
	v_rcp_f64_e32 v[7:8], v[5:6]
	v_fma_f64 v[9:10], -v[5:6], v[7:8], 1.0
	v_fma_f64 v[7:8], v[7:8], v[9:10], v[7:8]
	v_fma_f64 v[9:10], -v[5:6], v[7:8], 1.0
	v_fma_f64 v[7:8], v[7:8], v[9:10], v[7:8]
	v_mul_f64 v[9:10], v[12:13], v[7:8]
	v_fma_f64 v[5:6], -v[5:6], v[9:10], v[12:13]
	v_div_fmas_f64 v[5:6], v[5:6], v[7:8], v[9:10]
                                        ; implicit-def: $vgpr7_vgpr8
                                        ; implicit-def: $vgpr9_vgpr10
	v_div_fixup_f64 v[3:4], v[5:6], v[3:4], 1.0
	v_mul_f64 v[5:6], v[1:2], v[3:4]
	v_xor_b32_e32 v4, 0x80000000, v4
	v_xor_b32_e32 v2, 0x80000000, v6
	v_mov_b32_e32 v1, v5
.LBB40_15:
	s_andn2_saveexec_b32 s5, s5
	s_cbranch_execz .LBB40_17
; %bb.16:
	v_div_scale_f64 v[1:2], null, v[7:8], v[7:8], v[9:10]
	v_div_scale_f64 v[12:13], vcc_lo, v[9:10], v[7:8], v[9:10]
	v_rcp_f64_e32 v[3:4], v[1:2]
	v_fma_f64 v[5:6], -v[1:2], v[3:4], 1.0
	v_fma_f64 v[3:4], v[3:4], v[5:6], v[3:4]
	v_fma_f64 v[5:6], -v[1:2], v[3:4], 1.0
	v_fma_f64 v[3:4], v[3:4], v[5:6], v[3:4]
	v_mul_f64 v[5:6], v[12:13], v[3:4]
	v_fma_f64 v[1:2], -v[1:2], v[5:6], v[12:13]
	v_div_fmas_f64 v[1:2], v[1:2], v[3:4], v[5:6]
	v_div_fixup_f64 v[1:2], v[1:2], v[7:8], v[9:10]
	v_fma_f64 v[3:4], v[9:10], v[1:2], v[7:8]
	v_div_scale_f64 v[5:6], null, v[3:4], v[3:4], 1.0
	v_rcp_f64_e32 v[7:8], v[5:6]
	v_fma_f64 v[9:10], -v[5:6], v[7:8], 1.0
	v_fma_f64 v[7:8], v[7:8], v[9:10], v[7:8]
	v_fma_f64 v[9:10], -v[5:6], v[7:8], 1.0
	v_fma_f64 v[7:8], v[7:8], v[9:10], v[7:8]
	v_div_scale_f64 v[9:10], vcc_lo, 1.0, v[3:4], 1.0
	v_mul_f64 v[12:13], v[9:10], v[7:8]
	v_fma_f64 v[5:6], -v[5:6], v[12:13], v[9:10]
	v_div_fmas_f64 v[5:6], v[5:6], v[7:8], v[12:13]
	v_div_fixup_f64 v[5:6], v[5:6], v[3:4], 1.0
	v_mul_f64 v[3:4], v[1:2], -v[5:6]
	v_xor_b32_e32 v2, 0x80000000, v6
	v_mov_b32_e32 v1, v5
.LBB40_17:
	s_or_b32 exec_lo, exec_lo, s5
	v_mov_b32_e32 v10, s52
	buffer_store_dword v6, v11, s[0:3], 0 offen offset:4
	buffer_store_dword v5, v11, s[0:3], 0 offen
	buffer_store_dword v4, v11, s[0:3], 0 offen offset:12
	buffer_store_dword v3, v11, s[0:3], 0 offen offset:8
	v_xor_b32_e32 v4, 0x80000000, v4
	v_add_nc_u32_e32 v5, 0x290, v167
	s_clause 0x3
	buffer_load_dword v9, v10, s[0:3], 0 offen offset:12
	buffer_load_dword v8, v10, s[0:3], 0 offen offset:8
	;; [unrolled: 1-line block ×3, first 2 shown]
	buffer_load_dword v6, v10, s[0:3], 0 offen
	ds_write_b128 v167, v[1:4]
	s_waitcnt vmcnt(0)
	ds_write_b128 v167, v[6:9] offset:656
	s_waitcnt lgkmcnt(0)
	s_waitcnt_vscnt null, 0x0
	s_barrier
	buffer_gl0_inv
	s_and_saveexec_b32 s5, s4
	s_cbranch_execz .LBB40_19
; %bb.18:
	s_clause 0x3
	buffer_load_dword v12, v11, s[0:3], 0 offen offset:8
	buffer_load_dword v13, v11, s[0:3], 0 offen offset:12
	buffer_load_dword v14, v11, s[0:3], 0 offen
	buffer_load_dword v15, v11, s[0:3], 0 offen offset:4
	ds_read_b128 v[1:4], v5
	v_mov_b32_e32 v6, 0
	ds_read_b128 v[6:9], v6 offset:16
	s_waitcnt vmcnt(2) lgkmcnt(1)
	v_mul_f64 v[16:17], v[1:2], v[12:13]
	v_mul_f64 v[12:13], v[3:4], v[12:13]
	s_waitcnt vmcnt(0)
	v_fma_f64 v[3:4], v[3:4], v[14:15], v[16:17]
	v_fma_f64 v[1:2], v[1:2], v[14:15], -v[12:13]
	v_add_f64 v[3:4], v[3:4], 0
	v_add_f64 v[1:2], v[1:2], 0
	s_waitcnt lgkmcnt(0)
	v_mul_f64 v[12:13], v[3:4], v[8:9]
	v_mul_f64 v[8:9], v[1:2], v[8:9]
	v_fma_f64 v[1:2], v[1:2], v[6:7], -v[12:13]
	v_fma_f64 v[3:4], v[3:4], v[6:7], v[8:9]
	buffer_store_dword v1, off, s[0:3], 0 offset:32
	buffer_store_dword v2, off, s[0:3], 0 offset:36
	buffer_store_dword v3, off, s[0:3], 0 offset:40
	buffer_store_dword v4, off, s[0:3], 0 offset:44
.LBB40_19:
	s_or_b32 exec_lo, exec_lo, s5
	v_mov_b32_e32 v4, s51
	s_waitcnt_vscnt null, 0x0
	s_barrier
	buffer_gl0_inv
	s_mov_b32 s5, exec_lo
	s_clause 0x3
	buffer_load_dword v1, v4, s[0:3], 0 offen
	buffer_load_dword v2, v4, s[0:3], 0 offen offset:4
	buffer_load_dword v3, v4, s[0:3], 0 offen offset:8
	;; [unrolled: 1-line block ×3, first 2 shown]
	s_waitcnt vmcnt(0)
	ds_write_b128 v5, v[1:4]
	s_waitcnt lgkmcnt(0)
	s_barrier
	buffer_gl0_inv
	v_cmpx_gt_u32_e32 2, v0
	s_cbranch_execz .LBB40_23
; %bb.20:
	s_clause 0x3
	buffer_load_dword v6, v11, s[0:3], 0 offen offset:8
	buffer_load_dword v7, v11, s[0:3], 0 offen offset:12
	buffer_load_dword v8, v11, s[0:3], 0 offen
	buffer_load_dword v9, v11, s[0:3], 0 offen offset:4
	ds_read_b128 v[1:4], v5
	s_waitcnt vmcnt(2) lgkmcnt(0)
	v_mul_f64 v[10:11], v[3:4], v[6:7]
	v_mul_f64 v[6:7], v[1:2], v[6:7]
	s_waitcnt vmcnt(0)
	v_fma_f64 v[1:2], v[1:2], v[8:9], -v[10:11]
	v_fma_f64 v[3:4], v[3:4], v[8:9], v[6:7]
	v_add_f64 v[1:2], v[1:2], 0
	v_add_f64 v[3:4], v[3:4], 0
	s_and_saveexec_b32 s54, s4
	s_cbranch_execz .LBB40_22
; %bb.21:
	s_clause 0x3
	buffer_load_dword v10, off, s[0:3], 0 offset:40
	buffer_load_dword v11, off, s[0:3], 0 offset:44
	;; [unrolled: 1-line block ×4, first 2 shown]
	v_mov_b32_e32 v6, 0
	ds_read_b128 v[6:9], v6 offset:672
	s_waitcnt vmcnt(2) lgkmcnt(0)
	v_mul_f64 v[14:15], v[6:7], v[10:11]
	v_mul_f64 v[10:11], v[8:9], v[10:11]
	s_waitcnt vmcnt(0)
	v_fma_f64 v[8:9], v[8:9], v[12:13], v[14:15]
	v_fma_f64 v[6:7], v[6:7], v[12:13], -v[10:11]
	v_add_f64 v[3:4], v[3:4], v[8:9]
	v_add_f64 v[1:2], v[1:2], v[6:7]
.LBB40_22:
	s_or_b32 exec_lo, exec_lo, s54
	v_mov_b32_e32 v6, 0
	ds_read_b128 v[6:9], v6 offset:32
	s_waitcnt lgkmcnt(0)
	v_mul_f64 v[10:11], v[3:4], v[8:9]
	v_mul_f64 v[8:9], v[1:2], v[8:9]
	v_fma_f64 v[1:2], v[1:2], v[6:7], -v[10:11]
	v_fma_f64 v[3:4], v[3:4], v[6:7], v[8:9]
	buffer_store_dword v2, off, s[0:3], 0 offset:52
	buffer_store_dword v1, off, s[0:3], 0 offset:48
	;; [unrolled: 1-line block ×4, first 2 shown]
.LBB40_23:
	s_or_b32 exec_lo, exec_lo, s5
	v_mov_b32_e32 v4, s50
	s_waitcnt_vscnt null, 0x0
	s_barrier
	buffer_gl0_inv
	v_add_nc_u32_e32 v6, -1, v0
	s_clause 0x3
	buffer_load_dword v1, v4, s[0:3], 0 offen
	buffer_load_dword v2, v4, s[0:3], 0 offen offset:4
	buffer_load_dword v3, v4, s[0:3], 0 offen offset:8
	;; [unrolled: 1-line block ×3, first 2 shown]
	s_mov_b32 s4, exec_lo
	s_waitcnt vmcnt(0)
	ds_write_b128 v5, v[1:4]
	s_waitcnt lgkmcnt(0)
	s_barrier
	buffer_gl0_inv
	v_cmpx_gt_u32_e32 3, v0
	s_cbranch_execz .LBB40_27
; %bb.24:
	v_mov_b32_e32 v1, 0
	v_mov_b32_e32 v3, 0
	v_add_nc_u32_e32 v7, -1, v0
	v_add_nc_u32_e32 v8, 0x290, v167
	v_mov_b32_e32 v2, 0
	v_mov_b32_e32 v4, 0
	v_add_nc_u32_e32 v9, 16, v167
	s_mov_b32 s5, 0
	.p2align	6
.LBB40_25:                              ; =>This Inner Loop Header: Depth=1
	s_clause 0x3
	buffer_load_dword v14, v9, s[0:3], 0 offen offset:8
	buffer_load_dword v15, v9, s[0:3], 0 offen offset:12
	buffer_load_dword v16, v9, s[0:3], 0 offen
	buffer_load_dword v17, v9, s[0:3], 0 offen offset:4
	ds_read_b128 v[10:13], v8
	v_add_nc_u32_e32 v7, 1, v7
	v_add_nc_u32_e32 v8, 16, v8
	;; [unrolled: 1-line block ×3, first 2 shown]
	v_cmp_lt_u32_e32 vcc_lo, 1, v7
	s_or_b32 s5, vcc_lo, s5
	s_waitcnt vmcnt(2) lgkmcnt(0)
	v_mul_f64 v[18:19], v[12:13], v[14:15]
	v_mul_f64 v[14:15], v[10:11], v[14:15]
	s_waitcnt vmcnt(0)
	v_fma_f64 v[10:11], v[10:11], v[16:17], -v[18:19]
	v_fma_f64 v[12:13], v[12:13], v[16:17], v[14:15]
	v_add_f64 v[3:4], v[3:4], v[10:11]
	v_add_f64 v[1:2], v[1:2], v[12:13]
	s_andn2_b32 exec_lo, exec_lo, s5
	s_cbranch_execnz .LBB40_25
; %bb.26:
	s_or_b32 exec_lo, exec_lo, s5
	v_mov_b32_e32 v7, 0
	ds_read_b128 v[7:10], v7 offset:48
	s_waitcnt lgkmcnt(0)
	v_mul_f64 v[11:12], v[1:2], v[9:10]
	v_mul_f64 v[9:10], v[3:4], v[9:10]
	v_fma_f64 v[3:4], v[3:4], v[7:8], -v[11:12]
	v_fma_f64 v[1:2], v[1:2], v[7:8], v[9:10]
	buffer_store_dword v4, off, s[0:3], 0 offset:68
	buffer_store_dword v3, off, s[0:3], 0 offset:64
	;; [unrolled: 1-line block ×4, first 2 shown]
.LBB40_27:
	s_or_b32 exec_lo, exec_lo, s4
	v_mov_b32_e32 v4, s49
	s_waitcnt_vscnt null, 0x0
	s_barrier
	buffer_gl0_inv
	s_mov_b32 s4, exec_lo
	s_clause 0x3
	buffer_load_dword v1, v4, s[0:3], 0 offen
	buffer_load_dword v2, v4, s[0:3], 0 offen offset:4
	buffer_load_dword v3, v4, s[0:3], 0 offen offset:8
	;; [unrolled: 1-line block ×3, first 2 shown]
	s_waitcnt vmcnt(0)
	ds_write_b128 v5, v[1:4]
	s_waitcnt lgkmcnt(0)
	s_barrier
	buffer_gl0_inv
	v_cmpx_gt_u32_e32 4, v0
	s_cbranch_execz .LBB40_31
; %bb.28:
	v_mov_b32_e32 v1, 0
	v_mov_b32_e32 v3, 0
	v_add_nc_u32_e32 v7, -1, v0
	v_add_nc_u32_e32 v8, 0x290, v167
	v_mov_b32_e32 v2, 0
	v_mov_b32_e32 v4, 0
	v_add_nc_u32_e32 v9, 16, v167
	s_mov_b32 s5, 0
	.p2align	6
.LBB40_29:                              ; =>This Inner Loop Header: Depth=1
	s_clause 0x3
	buffer_load_dword v14, v9, s[0:3], 0 offen offset:8
	buffer_load_dword v15, v9, s[0:3], 0 offen offset:12
	buffer_load_dword v16, v9, s[0:3], 0 offen
	buffer_load_dword v17, v9, s[0:3], 0 offen offset:4
	ds_read_b128 v[10:13], v8
	v_add_nc_u32_e32 v7, 1, v7
	v_add_nc_u32_e32 v8, 16, v8
	;; [unrolled: 1-line block ×3, first 2 shown]
	v_cmp_lt_u32_e32 vcc_lo, 2, v7
	s_or_b32 s5, vcc_lo, s5
	s_waitcnt vmcnt(2) lgkmcnt(0)
	v_mul_f64 v[18:19], v[12:13], v[14:15]
	v_mul_f64 v[14:15], v[10:11], v[14:15]
	s_waitcnt vmcnt(0)
	v_fma_f64 v[10:11], v[10:11], v[16:17], -v[18:19]
	v_fma_f64 v[12:13], v[12:13], v[16:17], v[14:15]
	v_add_f64 v[3:4], v[3:4], v[10:11]
	v_add_f64 v[1:2], v[1:2], v[12:13]
	s_andn2_b32 exec_lo, exec_lo, s5
	s_cbranch_execnz .LBB40_29
; %bb.30:
	s_or_b32 exec_lo, exec_lo, s5
	v_mov_b32_e32 v7, 0
	ds_read_b128 v[7:10], v7 offset:64
	s_waitcnt lgkmcnt(0)
	v_mul_f64 v[11:12], v[1:2], v[9:10]
	v_mul_f64 v[9:10], v[3:4], v[9:10]
	v_fma_f64 v[3:4], v[3:4], v[7:8], -v[11:12]
	v_fma_f64 v[1:2], v[1:2], v[7:8], v[9:10]
	buffer_store_dword v4, off, s[0:3], 0 offset:84
	buffer_store_dword v3, off, s[0:3], 0 offset:80
	;; [unrolled: 1-line block ×4, first 2 shown]
.LBB40_31:
	s_or_b32 exec_lo, exec_lo, s4
	v_mov_b32_e32 v4, s48
	s_waitcnt_vscnt null, 0x0
	s_barrier
	buffer_gl0_inv
	s_mov_b32 s4, exec_lo
	s_clause 0x3
	buffer_load_dword v1, v4, s[0:3], 0 offen
	buffer_load_dword v2, v4, s[0:3], 0 offen offset:4
	buffer_load_dword v3, v4, s[0:3], 0 offen offset:8
	;; [unrolled: 1-line block ×3, first 2 shown]
	s_waitcnt vmcnt(0)
	ds_write_b128 v5, v[1:4]
	s_waitcnt lgkmcnt(0)
	s_barrier
	buffer_gl0_inv
	v_cmpx_gt_u32_e32 5, v0
	s_cbranch_execz .LBB40_35
; %bb.32:
	v_mov_b32_e32 v1, 0
	v_mov_b32_e32 v3, 0
	v_add_nc_u32_e32 v7, -1, v0
	v_add_nc_u32_e32 v8, 0x290, v167
	v_mov_b32_e32 v2, 0
	v_mov_b32_e32 v4, 0
	v_add_nc_u32_e32 v9, 16, v167
	s_mov_b32 s5, 0
	.p2align	6
.LBB40_33:                              ; =>This Inner Loop Header: Depth=1
	s_clause 0x3
	buffer_load_dword v14, v9, s[0:3], 0 offen offset:8
	buffer_load_dword v15, v9, s[0:3], 0 offen offset:12
	buffer_load_dword v16, v9, s[0:3], 0 offen
	buffer_load_dword v17, v9, s[0:3], 0 offen offset:4
	ds_read_b128 v[10:13], v8
	v_add_nc_u32_e32 v7, 1, v7
	v_add_nc_u32_e32 v8, 16, v8
	;; [unrolled: 1-line block ×3, first 2 shown]
	v_cmp_lt_u32_e32 vcc_lo, 3, v7
	s_or_b32 s5, vcc_lo, s5
	s_waitcnt vmcnt(2) lgkmcnt(0)
	v_mul_f64 v[18:19], v[12:13], v[14:15]
	v_mul_f64 v[14:15], v[10:11], v[14:15]
	s_waitcnt vmcnt(0)
	v_fma_f64 v[10:11], v[10:11], v[16:17], -v[18:19]
	v_fma_f64 v[12:13], v[12:13], v[16:17], v[14:15]
	v_add_f64 v[3:4], v[3:4], v[10:11]
	v_add_f64 v[1:2], v[1:2], v[12:13]
	s_andn2_b32 exec_lo, exec_lo, s5
	s_cbranch_execnz .LBB40_33
; %bb.34:
	s_or_b32 exec_lo, exec_lo, s5
	v_mov_b32_e32 v7, 0
	ds_read_b128 v[7:10], v7 offset:80
	s_waitcnt lgkmcnt(0)
	v_mul_f64 v[11:12], v[1:2], v[9:10]
	v_mul_f64 v[9:10], v[3:4], v[9:10]
	v_fma_f64 v[3:4], v[3:4], v[7:8], -v[11:12]
	v_fma_f64 v[1:2], v[1:2], v[7:8], v[9:10]
	buffer_store_dword v4, off, s[0:3], 0 offset:100
	buffer_store_dword v3, off, s[0:3], 0 offset:96
	;; [unrolled: 1-line block ×4, first 2 shown]
.LBB40_35:
	s_or_b32 exec_lo, exec_lo, s4
	v_mov_b32_e32 v4, s47
	s_waitcnt_vscnt null, 0x0
	s_barrier
	buffer_gl0_inv
	s_mov_b32 s4, exec_lo
	s_clause 0x3
	buffer_load_dword v1, v4, s[0:3], 0 offen
	buffer_load_dword v2, v4, s[0:3], 0 offen offset:4
	buffer_load_dword v3, v4, s[0:3], 0 offen offset:8
	;; [unrolled: 1-line block ×3, first 2 shown]
	s_waitcnt vmcnt(0)
	ds_write_b128 v5, v[1:4]
	s_waitcnt lgkmcnt(0)
	s_barrier
	buffer_gl0_inv
	v_cmpx_gt_u32_e32 6, v0
	s_cbranch_execz .LBB40_39
; %bb.36:
	v_mov_b32_e32 v1, 0
	v_mov_b32_e32 v3, 0
	v_add_nc_u32_e32 v7, -1, v0
	v_add_nc_u32_e32 v8, 0x290, v167
	v_mov_b32_e32 v2, 0
	v_mov_b32_e32 v4, 0
	v_add_nc_u32_e32 v9, 16, v167
	s_mov_b32 s5, 0
	.p2align	6
.LBB40_37:                              ; =>This Inner Loop Header: Depth=1
	s_clause 0x3
	buffer_load_dword v14, v9, s[0:3], 0 offen offset:8
	buffer_load_dword v15, v9, s[0:3], 0 offen offset:12
	buffer_load_dword v16, v9, s[0:3], 0 offen
	buffer_load_dword v17, v9, s[0:3], 0 offen offset:4
	ds_read_b128 v[10:13], v8
	v_add_nc_u32_e32 v7, 1, v7
	v_add_nc_u32_e32 v8, 16, v8
	;; [unrolled: 1-line block ×3, first 2 shown]
	v_cmp_lt_u32_e32 vcc_lo, 4, v7
	s_or_b32 s5, vcc_lo, s5
	s_waitcnt vmcnt(2) lgkmcnt(0)
	v_mul_f64 v[18:19], v[12:13], v[14:15]
	v_mul_f64 v[14:15], v[10:11], v[14:15]
	s_waitcnt vmcnt(0)
	v_fma_f64 v[10:11], v[10:11], v[16:17], -v[18:19]
	v_fma_f64 v[12:13], v[12:13], v[16:17], v[14:15]
	v_add_f64 v[3:4], v[3:4], v[10:11]
	v_add_f64 v[1:2], v[1:2], v[12:13]
	s_andn2_b32 exec_lo, exec_lo, s5
	s_cbranch_execnz .LBB40_37
; %bb.38:
	s_or_b32 exec_lo, exec_lo, s5
	v_mov_b32_e32 v7, 0
	ds_read_b128 v[7:10], v7 offset:96
	s_waitcnt lgkmcnt(0)
	v_mul_f64 v[11:12], v[1:2], v[9:10]
	v_mul_f64 v[9:10], v[3:4], v[9:10]
	v_fma_f64 v[3:4], v[3:4], v[7:8], -v[11:12]
	v_fma_f64 v[1:2], v[1:2], v[7:8], v[9:10]
	buffer_store_dword v4, off, s[0:3], 0 offset:116
	buffer_store_dword v3, off, s[0:3], 0 offset:112
	;; [unrolled: 1-line block ×4, first 2 shown]
.LBB40_39:
	s_or_b32 exec_lo, exec_lo, s4
	v_mov_b32_e32 v4, s46
	s_waitcnt_vscnt null, 0x0
	s_barrier
	buffer_gl0_inv
	s_mov_b32 s4, exec_lo
	s_clause 0x3
	buffer_load_dword v1, v4, s[0:3], 0 offen
	buffer_load_dword v2, v4, s[0:3], 0 offen offset:4
	buffer_load_dword v3, v4, s[0:3], 0 offen offset:8
	;; [unrolled: 1-line block ×3, first 2 shown]
	s_waitcnt vmcnt(0)
	ds_write_b128 v5, v[1:4]
	s_waitcnt lgkmcnt(0)
	s_barrier
	buffer_gl0_inv
	v_cmpx_gt_u32_e32 7, v0
	s_cbranch_execz .LBB40_43
; %bb.40:
	v_mov_b32_e32 v1, 0
	v_mov_b32_e32 v3, 0
	v_add_nc_u32_e32 v7, -1, v0
	v_add_nc_u32_e32 v8, 0x290, v167
	v_mov_b32_e32 v2, 0
	v_mov_b32_e32 v4, 0
	v_add_nc_u32_e32 v9, 16, v167
	s_mov_b32 s5, 0
	.p2align	6
.LBB40_41:                              ; =>This Inner Loop Header: Depth=1
	s_clause 0x3
	buffer_load_dword v14, v9, s[0:3], 0 offen offset:8
	buffer_load_dword v15, v9, s[0:3], 0 offen offset:12
	buffer_load_dword v16, v9, s[0:3], 0 offen
	buffer_load_dword v17, v9, s[0:3], 0 offen offset:4
	ds_read_b128 v[10:13], v8
	v_add_nc_u32_e32 v7, 1, v7
	v_add_nc_u32_e32 v8, 16, v8
	;; [unrolled: 1-line block ×3, first 2 shown]
	v_cmp_lt_u32_e32 vcc_lo, 5, v7
	s_or_b32 s5, vcc_lo, s5
	s_waitcnt vmcnt(2) lgkmcnt(0)
	v_mul_f64 v[18:19], v[12:13], v[14:15]
	v_mul_f64 v[14:15], v[10:11], v[14:15]
	s_waitcnt vmcnt(0)
	v_fma_f64 v[10:11], v[10:11], v[16:17], -v[18:19]
	v_fma_f64 v[12:13], v[12:13], v[16:17], v[14:15]
	v_add_f64 v[3:4], v[3:4], v[10:11]
	v_add_f64 v[1:2], v[1:2], v[12:13]
	s_andn2_b32 exec_lo, exec_lo, s5
	s_cbranch_execnz .LBB40_41
; %bb.42:
	s_or_b32 exec_lo, exec_lo, s5
	v_mov_b32_e32 v7, 0
	ds_read_b128 v[7:10], v7 offset:112
	s_waitcnt lgkmcnt(0)
	v_mul_f64 v[11:12], v[1:2], v[9:10]
	v_mul_f64 v[9:10], v[3:4], v[9:10]
	v_fma_f64 v[3:4], v[3:4], v[7:8], -v[11:12]
	v_fma_f64 v[1:2], v[1:2], v[7:8], v[9:10]
	buffer_store_dword v4, off, s[0:3], 0 offset:132
	buffer_store_dword v3, off, s[0:3], 0 offset:128
	;; [unrolled: 1-line block ×4, first 2 shown]
.LBB40_43:
	s_or_b32 exec_lo, exec_lo, s4
	v_mov_b32_e32 v4, s45
	s_waitcnt_vscnt null, 0x0
	s_barrier
	buffer_gl0_inv
	s_mov_b32 s4, exec_lo
	s_clause 0x3
	buffer_load_dword v1, v4, s[0:3], 0 offen
	buffer_load_dword v2, v4, s[0:3], 0 offen offset:4
	buffer_load_dword v3, v4, s[0:3], 0 offen offset:8
	;; [unrolled: 1-line block ×3, first 2 shown]
	s_waitcnt vmcnt(0)
	ds_write_b128 v5, v[1:4]
	s_waitcnt lgkmcnt(0)
	s_barrier
	buffer_gl0_inv
	v_cmpx_gt_u32_e32 8, v0
	s_cbranch_execz .LBB40_47
; %bb.44:
	v_mov_b32_e32 v1, 0
	v_mov_b32_e32 v3, 0
	v_add_nc_u32_e32 v7, -1, v0
	v_add_nc_u32_e32 v8, 0x290, v167
	v_mov_b32_e32 v2, 0
	v_mov_b32_e32 v4, 0
	v_add_nc_u32_e32 v9, 16, v167
	s_mov_b32 s5, 0
	.p2align	6
.LBB40_45:                              ; =>This Inner Loop Header: Depth=1
	s_clause 0x3
	buffer_load_dword v14, v9, s[0:3], 0 offen offset:8
	buffer_load_dword v15, v9, s[0:3], 0 offen offset:12
	buffer_load_dword v16, v9, s[0:3], 0 offen
	buffer_load_dword v17, v9, s[0:3], 0 offen offset:4
	ds_read_b128 v[10:13], v8
	v_add_nc_u32_e32 v7, 1, v7
	v_add_nc_u32_e32 v8, 16, v8
	;; [unrolled: 1-line block ×3, first 2 shown]
	v_cmp_lt_u32_e32 vcc_lo, 6, v7
	s_or_b32 s5, vcc_lo, s5
	s_waitcnt vmcnt(2) lgkmcnt(0)
	v_mul_f64 v[18:19], v[12:13], v[14:15]
	v_mul_f64 v[14:15], v[10:11], v[14:15]
	s_waitcnt vmcnt(0)
	v_fma_f64 v[10:11], v[10:11], v[16:17], -v[18:19]
	v_fma_f64 v[12:13], v[12:13], v[16:17], v[14:15]
	v_add_f64 v[3:4], v[3:4], v[10:11]
	v_add_f64 v[1:2], v[1:2], v[12:13]
	s_andn2_b32 exec_lo, exec_lo, s5
	s_cbranch_execnz .LBB40_45
; %bb.46:
	s_or_b32 exec_lo, exec_lo, s5
	v_mov_b32_e32 v7, 0
	ds_read_b128 v[7:10], v7 offset:128
	s_waitcnt lgkmcnt(0)
	v_mul_f64 v[11:12], v[1:2], v[9:10]
	v_mul_f64 v[9:10], v[3:4], v[9:10]
	v_fma_f64 v[3:4], v[3:4], v[7:8], -v[11:12]
	v_fma_f64 v[1:2], v[1:2], v[7:8], v[9:10]
	buffer_store_dword v4, off, s[0:3], 0 offset:148
	buffer_store_dword v3, off, s[0:3], 0 offset:144
	;; [unrolled: 1-line block ×4, first 2 shown]
.LBB40_47:
	s_or_b32 exec_lo, exec_lo, s4
	v_mov_b32_e32 v4, s44
	s_waitcnt_vscnt null, 0x0
	s_barrier
	buffer_gl0_inv
	s_mov_b32 s4, exec_lo
	s_clause 0x3
	buffer_load_dword v1, v4, s[0:3], 0 offen
	buffer_load_dword v2, v4, s[0:3], 0 offen offset:4
	buffer_load_dword v3, v4, s[0:3], 0 offen offset:8
	;; [unrolled: 1-line block ×3, first 2 shown]
	s_waitcnt vmcnt(0)
	ds_write_b128 v5, v[1:4]
	s_waitcnt lgkmcnt(0)
	s_barrier
	buffer_gl0_inv
	v_cmpx_gt_u32_e32 9, v0
	s_cbranch_execz .LBB40_51
; %bb.48:
	v_mov_b32_e32 v1, 0
	v_mov_b32_e32 v3, 0
	v_add_nc_u32_e32 v7, -1, v0
	v_add_nc_u32_e32 v8, 0x290, v167
	v_mov_b32_e32 v2, 0
	v_mov_b32_e32 v4, 0
	v_add_nc_u32_e32 v9, 16, v167
	s_mov_b32 s5, 0
	.p2align	6
.LBB40_49:                              ; =>This Inner Loop Header: Depth=1
	s_clause 0x3
	buffer_load_dword v14, v9, s[0:3], 0 offen offset:8
	buffer_load_dword v15, v9, s[0:3], 0 offen offset:12
	buffer_load_dword v16, v9, s[0:3], 0 offen
	buffer_load_dword v17, v9, s[0:3], 0 offen offset:4
	ds_read_b128 v[10:13], v8
	v_add_nc_u32_e32 v7, 1, v7
	v_add_nc_u32_e32 v8, 16, v8
	;; [unrolled: 1-line block ×3, first 2 shown]
	v_cmp_lt_u32_e32 vcc_lo, 7, v7
	s_or_b32 s5, vcc_lo, s5
	s_waitcnt vmcnt(2) lgkmcnt(0)
	v_mul_f64 v[18:19], v[12:13], v[14:15]
	v_mul_f64 v[14:15], v[10:11], v[14:15]
	s_waitcnt vmcnt(0)
	v_fma_f64 v[10:11], v[10:11], v[16:17], -v[18:19]
	v_fma_f64 v[12:13], v[12:13], v[16:17], v[14:15]
	v_add_f64 v[3:4], v[3:4], v[10:11]
	v_add_f64 v[1:2], v[1:2], v[12:13]
	s_andn2_b32 exec_lo, exec_lo, s5
	s_cbranch_execnz .LBB40_49
; %bb.50:
	s_or_b32 exec_lo, exec_lo, s5
	v_mov_b32_e32 v7, 0
	ds_read_b128 v[7:10], v7 offset:144
	s_waitcnt lgkmcnt(0)
	v_mul_f64 v[11:12], v[1:2], v[9:10]
	v_mul_f64 v[9:10], v[3:4], v[9:10]
	v_fma_f64 v[3:4], v[3:4], v[7:8], -v[11:12]
	v_fma_f64 v[1:2], v[1:2], v[7:8], v[9:10]
	buffer_store_dword v4, off, s[0:3], 0 offset:164
	buffer_store_dword v3, off, s[0:3], 0 offset:160
	buffer_store_dword v2, off, s[0:3], 0 offset:172
	buffer_store_dword v1, off, s[0:3], 0 offset:168
.LBB40_51:
	s_or_b32 exec_lo, exec_lo, s4
	v_mov_b32_e32 v4, s43
	s_waitcnt_vscnt null, 0x0
	s_barrier
	buffer_gl0_inv
	s_mov_b32 s4, exec_lo
	s_clause 0x3
	buffer_load_dword v1, v4, s[0:3], 0 offen
	buffer_load_dword v2, v4, s[0:3], 0 offen offset:4
	buffer_load_dword v3, v4, s[0:3], 0 offen offset:8
	buffer_load_dword v4, v4, s[0:3], 0 offen offset:12
	s_waitcnt vmcnt(0)
	ds_write_b128 v5, v[1:4]
	s_waitcnt lgkmcnt(0)
	s_barrier
	buffer_gl0_inv
	v_cmpx_gt_u32_e32 10, v0
	s_cbranch_execz .LBB40_55
; %bb.52:
	v_mov_b32_e32 v1, 0
	v_mov_b32_e32 v3, 0
	v_add_nc_u32_e32 v7, -1, v0
	v_add_nc_u32_e32 v8, 0x290, v167
	v_mov_b32_e32 v2, 0
	v_mov_b32_e32 v4, 0
	v_add_nc_u32_e32 v9, 16, v167
	s_mov_b32 s5, 0
	.p2align	6
.LBB40_53:                              ; =>This Inner Loop Header: Depth=1
	s_clause 0x3
	buffer_load_dword v14, v9, s[0:3], 0 offen offset:8
	buffer_load_dword v15, v9, s[0:3], 0 offen offset:12
	buffer_load_dword v16, v9, s[0:3], 0 offen
	buffer_load_dword v17, v9, s[0:3], 0 offen offset:4
	ds_read_b128 v[10:13], v8
	v_add_nc_u32_e32 v7, 1, v7
	v_add_nc_u32_e32 v8, 16, v8
	;; [unrolled: 1-line block ×3, first 2 shown]
	v_cmp_lt_u32_e32 vcc_lo, 8, v7
	s_or_b32 s5, vcc_lo, s5
	s_waitcnt vmcnt(2) lgkmcnt(0)
	v_mul_f64 v[18:19], v[12:13], v[14:15]
	v_mul_f64 v[14:15], v[10:11], v[14:15]
	s_waitcnt vmcnt(0)
	v_fma_f64 v[10:11], v[10:11], v[16:17], -v[18:19]
	v_fma_f64 v[12:13], v[12:13], v[16:17], v[14:15]
	v_add_f64 v[3:4], v[3:4], v[10:11]
	v_add_f64 v[1:2], v[1:2], v[12:13]
	s_andn2_b32 exec_lo, exec_lo, s5
	s_cbranch_execnz .LBB40_53
; %bb.54:
	s_or_b32 exec_lo, exec_lo, s5
	v_mov_b32_e32 v7, 0
	ds_read_b128 v[7:10], v7 offset:160
	s_waitcnt lgkmcnt(0)
	v_mul_f64 v[11:12], v[1:2], v[9:10]
	v_mul_f64 v[9:10], v[3:4], v[9:10]
	v_fma_f64 v[3:4], v[3:4], v[7:8], -v[11:12]
	v_fma_f64 v[1:2], v[1:2], v[7:8], v[9:10]
	buffer_store_dword v4, off, s[0:3], 0 offset:180
	buffer_store_dword v3, off, s[0:3], 0 offset:176
	;; [unrolled: 1-line block ×4, first 2 shown]
.LBB40_55:
	s_or_b32 exec_lo, exec_lo, s4
	v_mov_b32_e32 v4, s42
	s_waitcnt_vscnt null, 0x0
	s_barrier
	buffer_gl0_inv
	s_mov_b32 s4, exec_lo
	s_clause 0x3
	buffer_load_dword v1, v4, s[0:3], 0 offen
	buffer_load_dword v2, v4, s[0:3], 0 offen offset:4
	buffer_load_dword v3, v4, s[0:3], 0 offen offset:8
	;; [unrolled: 1-line block ×3, first 2 shown]
	s_waitcnt vmcnt(0)
	ds_write_b128 v5, v[1:4]
	s_waitcnt lgkmcnt(0)
	s_barrier
	buffer_gl0_inv
	v_cmpx_gt_u32_e32 11, v0
	s_cbranch_execz .LBB40_59
; %bb.56:
	v_mov_b32_e32 v1, 0
	v_mov_b32_e32 v3, 0
	v_add_nc_u32_e32 v7, -1, v0
	v_add_nc_u32_e32 v8, 0x290, v167
	v_mov_b32_e32 v2, 0
	v_mov_b32_e32 v4, 0
	v_add_nc_u32_e32 v9, 16, v167
	s_mov_b32 s5, 0
	.p2align	6
.LBB40_57:                              ; =>This Inner Loop Header: Depth=1
	s_clause 0x3
	buffer_load_dword v14, v9, s[0:3], 0 offen offset:8
	buffer_load_dword v15, v9, s[0:3], 0 offen offset:12
	buffer_load_dword v16, v9, s[0:3], 0 offen
	buffer_load_dword v17, v9, s[0:3], 0 offen offset:4
	ds_read_b128 v[10:13], v8
	v_add_nc_u32_e32 v7, 1, v7
	v_add_nc_u32_e32 v8, 16, v8
	;; [unrolled: 1-line block ×3, first 2 shown]
	v_cmp_lt_u32_e32 vcc_lo, 9, v7
	s_or_b32 s5, vcc_lo, s5
	s_waitcnt vmcnt(2) lgkmcnt(0)
	v_mul_f64 v[18:19], v[12:13], v[14:15]
	v_mul_f64 v[14:15], v[10:11], v[14:15]
	s_waitcnt vmcnt(0)
	v_fma_f64 v[10:11], v[10:11], v[16:17], -v[18:19]
	v_fma_f64 v[12:13], v[12:13], v[16:17], v[14:15]
	v_add_f64 v[3:4], v[3:4], v[10:11]
	v_add_f64 v[1:2], v[1:2], v[12:13]
	s_andn2_b32 exec_lo, exec_lo, s5
	s_cbranch_execnz .LBB40_57
; %bb.58:
	s_or_b32 exec_lo, exec_lo, s5
	v_mov_b32_e32 v7, 0
	ds_read_b128 v[7:10], v7 offset:176
	s_waitcnt lgkmcnt(0)
	v_mul_f64 v[11:12], v[1:2], v[9:10]
	v_mul_f64 v[9:10], v[3:4], v[9:10]
	v_fma_f64 v[3:4], v[3:4], v[7:8], -v[11:12]
	v_fma_f64 v[1:2], v[1:2], v[7:8], v[9:10]
	buffer_store_dword v4, off, s[0:3], 0 offset:196
	buffer_store_dword v3, off, s[0:3], 0 offset:192
	;; [unrolled: 1-line block ×4, first 2 shown]
.LBB40_59:
	s_or_b32 exec_lo, exec_lo, s4
	v_mov_b32_e32 v4, s41
	s_waitcnt_vscnt null, 0x0
	s_barrier
	buffer_gl0_inv
	s_mov_b32 s4, exec_lo
	s_clause 0x3
	buffer_load_dword v1, v4, s[0:3], 0 offen
	buffer_load_dword v2, v4, s[0:3], 0 offen offset:4
	buffer_load_dword v3, v4, s[0:3], 0 offen offset:8
	;; [unrolled: 1-line block ×3, first 2 shown]
	s_waitcnt vmcnt(0)
	ds_write_b128 v5, v[1:4]
	s_waitcnt lgkmcnt(0)
	s_barrier
	buffer_gl0_inv
	v_cmpx_gt_u32_e32 12, v0
	s_cbranch_execz .LBB40_63
; %bb.60:
	v_mov_b32_e32 v1, 0
	v_mov_b32_e32 v3, 0
	v_add_nc_u32_e32 v7, -1, v0
	v_add_nc_u32_e32 v8, 0x290, v167
	v_mov_b32_e32 v2, 0
	v_mov_b32_e32 v4, 0
	v_add_nc_u32_e32 v9, 16, v167
	s_mov_b32 s5, 0
	.p2align	6
.LBB40_61:                              ; =>This Inner Loop Header: Depth=1
	s_clause 0x3
	buffer_load_dword v14, v9, s[0:3], 0 offen offset:8
	buffer_load_dword v15, v9, s[0:3], 0 offen offset:12
	buffer_load_dword v16, v9, s[0:3], 0 offen
	buffer_load_dword v17, v9, s[0:3], 0 offen offset:4
	ds_read_b128 v[10:13], v8
	v_add_nc_u32_e32 v7, 1, v7
	v_add_nc_u32_e32 v8, 16, v8
	;; [unrolled: 1-line block ×3, first 2 shown]
	v_cmp_lt_u32_e32 vcc_lo, 10, v7
	s_or_b32 s5, vcc_lo, s5
	s_waitcnt vmcnt(2) lgkmcnt(0)
	v_mul_f64 v[18:19], v[12:13], v[14:15]
	v_mul_f64 v[14:15], v[10:11], v[14:15]
	s_waitcnt vmcnt(0)
	v_fma_f64 v[10:11], v[10:11], v[16:17], -v[18:19]
	v_fma_f64 v[12:13], v[12:13], v[16:17], v[14:15]
	v_add_f64 v[3:4], v[3:4], v[10:11]
	v_add_f64 v[1:2], v[1:2], v[12:13]
	s_andn2_b32 exec_lo, exec_lo, s5
	s_cbranch_execnz .LBB40_61
; %bb.62:
	s_or_b32 exec_lo, exec_lo, s5
	v_mov_b32_e32 v7, 0
	ds_read_b128 v[7:10], v7 offset:192
	s_waitcnt lgkmcnt(0)
	v_mul_f64 v[11:12], v[1:2], v[9:10]
	v_mul_f64 v[9:10], v[3:4], v[9:10]
	v_fma_f64 v[3:4], v[3:4], v[7:8], -v[11:12]
	v_fma_f64 v[1:2], v[1:2], v[7:8], v[9:10]
	buffer_store_dword v4, off, s[0:3], 0 offset:212
	buffer_store_dword v3, off, s[0:3], 0 offset:208
	;; [unrolled: 1-line block ×4, first 2 shown]
.LBB40_63:
	s_or_b32 exec_lo, exec_lo, s4
	v_mov_b32_e32 v4, s40
	s_waitcnt_vscnt null, 0x0
	s_barrier
	buffer_gl0_inv
	s_mov_b32 s4, exec_lo
	s_clause 0x3
	buffer_load_dword v1, v4, s[0:3], 0 offen
	buffer_load_dword v2, v4, s[0:3], 0 offen offset:4
	buffer_load_dword v3, v4, s[0:3], 0 offen offset:8
	buffer_load_dword v4, v4, s[0:3], 0 offen offset:12
	s_waitcnt vmcnt(0)
	ds_write_b128 v5, v[1:4]
	s_waitcnt lgkmcnt(0)
	s_barrier
	buffer_gl0_inv
	v_cmpx_gt_u32_e32 13, v0
	s_cbranch_execz .LBB40_67
; %bb.64:
	v_mov_b32_e32 v1, 0
	v_mov_b32_e32 v3, 0
	v_add_nc_u32_e32 v7, -1, v0
	v_add_nc_u32_e32 v8, 0x290, v167
	v_mov_b32_e32 v2, 0
	v_mov_b32_e32 v4, 0
	v_add_nc_u32_e32 v9, 16, v167
	s_mov_b32 s5, 0
	.p2align	6
.LBB40_65:                              ; =>This Inner Loop Header: Depth=1
	s_clause 0x3
	buffer_load_dword v14, v9, s[0:3], 0 offen offset:8
	buffer_load_dword v15, v9, s[0:3], 0 offen offset:12
	buffer_load_dword v16, v9, s[0:3], 0 offen
	buffer_load_dword v17, v9, s[0:3], 0 offen offset:4
	ds_read_b128 v[10:13], v8
	v_add_nc_u32_e32 v7, 1, v7
	v_add_nc_u32_e32 v8, 16, v8
	;; [unrolled: 1-line block ×3, first 2 shown]
	v_cmp_lt_u32_e32 vcc_lo, 11, v7
	s_or_b32 s5, vcc_lo, s5
	s_waitcnt vmcnt(2) lgkmcnt(0)
	v_mul_f64 v[18:19], v[12:13], v[14:15]
	v_mul_f64 v[14:15], v[10:11], v[14:15]
	s_waitcnt vmcnt(0)
	v_fma_f64 v[10:11], v[10:11], v[16:17], -v[18:19]
	v_fma_f64 v[12:13], v[12:13], v[16:17], v[14:15]
	v_add_f64 v[3:4], v[3:4], v[10:11]
	v_add_f64 v[1:2], v[1:2], v[12:13]
	s_andn2_b32 exec_lo, exec_lo, s5
	s_cbranch_execnz .LBB40_65
; %bb.66:
	s_or_b32 exec_lo, exec_lo, s5
	v_mov_b32_e32 v7, 0
	ds_read_b128 v[7:10], v7 offset:208
	s_waitcnt lgkmcnt(0)
	v_mul_f64 v[11:12], v[1:2], v[9:10]
	v_mul_f64 v[9:10], v[3:4], v[9:10]
	v_fma_f64 v[3:4], v[3:4], v[7:8], -v[11:12]
	v_fma_f64 v[1:2], v[1:2], v[7:8], v[9:10]
	buffer_store_dword v4, off, s[0:3], 0 offset:228
	buffer_store_dword v3, off, s[0:3], 0 offset:224
	;; [unrolled: 1-line block ×4, first 2 shown]
.LBB40_67:
	s_or_b32 exec_lo, exec_lo, s4
	v_mov_b32_e32 v4, s39
	s_waitcnt_vscnt null, 0x0
	s_barrier
	buffer_gl0_inv
	s_mov_b32 s4, exec_lo
	s_clause 0x3
	buffer_load_dword v1, v4, s[0:3], 0 offen
	buffer_load_dword v2, v4, s[0:3], 0 offen offset:4
	buffer_load_dword v3, v4, s[0:3], 0 offen offset:8
	;; [unrolled: 1-line block ×3, first 2 shown]
	s_waitcnt vmcnt(0)
	ds_write_b128 v5, v[1:4]
	s_waitcnt lgkmcnt(0)
	s_barrier
	buffer_gl0_inv
	v_cmpx_gt_u32_e32 14, v0
	s_cbranch_execz .LBB40_71
; %bb.68:
	v_mov_b32_e32 v1, 0
	v_mov_b32_e32 v3, 0
	v_add_nc_u32_e32 v7, -1, v0
	v_add_nc_u32_e32 v8, 0x290, v167
	v_mov_b32_e32 v2, 0
	v_mov_b32_e32 v4, 0
	v_add_nc_u32_e32 v9, 16, v167
	s_mov_b32 s5, 0
	.p2align	6
.LBB40_69:                              ; =>This Inner Loop Header: Depth=1
	s_clause 0x3
	buffer_load_dword v14, v9, s[0:3], 0 offen offset:8
	buffer_load_dword v15, v9, s[0:3], 0 offen offset:12
	buffer_load_dword v16, v9, s[0:3], 0 offen
	buffer_load_dword v17, v9, s[0:3], 0 offen offset:4
	ds_read_b128 v[10:13], v8
	v_add_nc_u32_e32 v7, 1, v7
	v_add_nc_u32_e32 v8, 16, v8
	;; [unrolled: 1-line block ×3, first 2 shown]
	v_cmp_lt_u32_e32 vcc_lo, 12, v7
	s_or_b32 s5, vcc_lo, s5
	s_waitcnt vmcnt(2) lgkmcnt(0)
	v_mul_f64 v[18:19], v[12:13], v[14:15]
	v_mul_f64 v[14:15], v[10:11], v[14:15]
	s_waitcnt vmcnt(0)
	v_fma_f64 v[10:11], v[10:11], v[16:17], -v[18:19]
	v_fma_f64 v[12:13], v[12:13], v[16:17], v[14:15]
	v_add_f64 v[3:4], v[3:4], v[10:11]
	v_add_f64 v[1:2], v[1:2], v[12:13]
	s_andn2_b32 exec_lo, exec_lo, s5
	s_cbranch_execnz .LBB40_69
; %bb.70:
	s_or_b32 exec_lo, exec_lo, s5
	v_mov_b32_e32 v7, 0
	ds_read_b128 v[7:10], v7 offset:224
	s_waitcnt lgkmcnt(0)
	v_mul_f64 v[11:12], v[1:2], v[9:10]
	v_mul_f64 v[9:10], v[3:4], v[9:10]
	v_fma_f64 v[3:4], v[3:4], v[7:8], -v[11:12]
	v_fma_f64 v[1:2], v[1:2], v[7:8], v[9:10]
	buffer_store_dword v4, off, s[0:3], 0 offset:244
	buffer_store_dword v3, off, s[0:3], 0 offset:240
	buffer_store_dword v2, off, s[0:3], 0 offset:252
	buffer_store_dword v1, off, s[0:3], 0 offset:248
.LBB40_71:
	s_or_b32 exec_lo, exec_lo, s4
	v_mov_b32_e32 v4, s37
	s_waitcnt_vscnt null, 0x0
	s_barrier
	buffer_gl0_inv
	s_mov_b32 s4, exec_lo
	s_clause 0x3
	buffer_load_dword v1, v4, s[0:3], 0 offen
	buffer_load_dword v2, v4, s[0:3], 0 offen offset:4
	buffer_load_dword v3, v4, s[0:3], 0 offen offset:8
	;; [unrolled: 1-line block ×3, first 2 shown]
	s_waitcnt vmcnt(0)
	ds_write_b128 v5, v[1:4]
	s_waitcnt lgkmcnt(0)
	s_barrier
	buffer_gl0_inv
	v_cmpx_gt_u32_e32 15, v0
	s_cbranch_execz .LBB40_75
; %bb.72:
	v_mov_b32_e32 v1, 0
	v_mov_b32_e32 v3, 0
	v_add_nc_u32_e32 v7, -1, v0
	v_add_nc_u32_e32 v8, 0x290, v167
	v_mov_b32_e32 v2, 0
	v_mov_b32_e32 v4, 0
	v_add_nc_u32_e32 v9, 16, v167
	s_mov_b32 s5, 0
	.p2align	6
.LBB40_73:                              ; =>This Inner Loop Header: Depth=1
	s_clause 0x3
	buffer_load_dword v14, v9, s[0:3], 0 offen offset:8
	buffer_load_dword v15, v9, s[0:3], 0 offen offset:12
	buffer_load_dword v16, v9, s[0:3], 0 offen
	buffer_load_dword v17, v9, s[0:3], 0 offen offset:4
	ds_read_b128 v[10:13], v8
	v_add_nc_u32_e32 v7, 1, v7
	v_add_nc_u32_e32 v8, 16, v8
	;; [unrolled: 1-line block ×3, first 2 shown]
	v_cmp_lt_u32_e32 vcc_lo, 13, v7
	s_or_b32 s5, vcc_lo, s5
	s_waitcnt vmcnt(2) lgkmcnt(0)
	v_mul_f64 v[18:19], v[12:13], v[14:15]
	v_mul_f64 v[14:15], v[10:11], v[14:15]
	s_waitcnt vmcnt(0)
	v_fma_f64 v[10:11], v[10:11], v[16:17], -v[18:19]
	v_fma_f64 v[12:13], v[12:13], v[16:17], v[14:15]
	v_add_f64 v[3:4], v[3:4], v[10:11]
	v_add_f64 v[1:2], v[1:2], v[12:13]
	s_andn2_b32 exec_lo, exec_lo, s5
	s_cbranch_execnz .LBB40_73
; %bb.74:
	s_or_b32 exec_lo, exec_lo, s5
	v_mov_b32_e32 v7, 0
	ds_read_b128 v[7:10], v7 offset:240
	s_waitcnt lgkmcnt(0)
	v_mul_f64 v[11:12], v[1:2], v[9:10]
	v_mul_f64 v[9:10], v[3:4], v[9:10]
	v_fma_f64 v[3:4], v[3:4], v[7:8], -v[11:12]
	v_fma_f64 v[1:2], v[1:2], v[7:8], v[9:10]
	buffer_store_dword v4, off, s[0:3], 0 offset:260
	buffer_store_dword v3, off, s[0:3], 0 offset:256
	;; [unrolled: 1-line block ×4, first 2 shown]
.LBB40_75:
	s_or_b32 exec_lo, exec_lo, s4
	v_mov_b32_e32 v4, s35
	s_waitcnt_vscnt null, 0x0
	s_barrier
	buffer_gl0_inv
	s_mov_b32 s4, exec_lo
	s_clause 0x3
	buffer_load_dword v1, v4, s[0:3], 0 offen
	buffer_load_dword v2, v4, s[0:3], 0 offen offset:4
	buffer_load_dword v3, v4, s[0:3], 0 offen offset:8
	;; [unrolled: 1-line block ×3, first 2 shown]
	s_waitcnt vmcnt(0)
	ds_write_b128 v5, v[1:4]
	s_waitcnt lgkmcnt(0)
	s_barrier
	buffer_gl0_inv
	v_cmpx_gt_u32_e32 16, v0
	s_cbranch_execz .LBB40_79
; %bb.76:
	v_mov_b32_e32 v1, 0
	v_mov_b32_e32 v3, 0
	v_add_nc_u32_e32 v7, -1, v0
	v_add_nc_u32_e32 v8, 0x290, v167
	v_mov_b32_e32 v2, 0
	v_mov_b32_e32 v4, 0
	v_add_nc_u32_e32 v9, 16, v167
	s_mov_b32 s5, 0
	.p2align	6
.LBB40_77:                              ; =>This Inner Loop Header: Depth=1
	s_clause 0x3
	buffer_load_dword v14, v9, s[0:3], 0 offen offset:8
	buffer_load_dword v15, v9, s[0:3], 0 offen offset:12
	buffer_load_dword v16, v9, s[0:3], 0 offen
	buffer_load_dword v17, v9, s[0:3], 0 offen offset:4
	ds_read_b128 v[10:13], v8
	v_add_nc_u32_e32 v7, 1, v7
	v_add_nc_u32_e32 v8, 16, v8
	;; [unrolled: 1-line block ×3, first 2 shown]
	v_cmp_lt_u32_e32 vcc_lo, 14, v7
	s_or_b32 s5, vcc_lo, s5
	s_waitcnt vmcnt(2) lgkmcnt(0)
	v_mul_f64 v[18:19], v[12:13], v[14:15]
	v_mul_f64 v[14:15], v[10:11], v[14:15]
	s_waitcnt vmcnt(0)
	v_fma_f64 v[10:11], v[10:11], v[16:17], -v[18:19]
	v_fma_f64 v[12:13], v[12:13], v[16:17], v[14:15]
	v_add_f64 v[3:4], v[3:4], v[10:11]
	v_add_f64 v[1:2], v[1:2], v[12:13]
	s_andn2_b32 exec_lo, exec_lo, s5
	s_cbranch_execnz .LBB40_77
; %bb.78:
	s_or_b32 exec_lo, exec_lo, s5
	v_mov_b32_e32 v7, 0
	ds_read_b128 v[7:10], v7 offset:256
	s_waitcnt lgkmcnt(0)
	v_mul_f64 v[11:12], v[1:2], v[9:10]
	v_mul_f64 v[9:10], v[3:4], v[9:10]
	v_fma_f64 v[3:4], v[3:4], v[7:8], -v[11:12]
	v_fma_f64 v[1:2], v[1:2], v[7:8], v[9:10]
	buffer_store_dword v4, off, s[0:3], 0 offset:276
	buffer_store_dword v3, off, s[0:3], 0 offset:272
	;; [unrolled: 1-line block ×4, first 2 shown]
.LBB40_79:
	s_or_b32 exec_lo, exec_lo, s4
	v_mov_b32_e32 v4, s33
	s_waitcnt_vscnt null, 0x0
	s_barrier
	buffer_gl0_inv
	s_mov_b32 s4, exec_lo
	s_clause 0x3
	buffer_load_dword v1, v4, s[0:3], 0 offen
	buffer_load_dword v2, v4, s[0:3], 0 offen offset:4
	buffer_load_dword v3, v4, s[0:3], 0 offen offset:8
	;; [unrolled: 1-line block ×3, first 2 shown]
	s_waitcnt vmcnt(0)
	ds_write_b128 v5, v[1:4]
	s_waitcnt lgkmcnt(0)
	s_barrier
	buffer_gl0_inv
	v_cmpx_gt_u32_e32 17, v0
	s_cbranch_execz .LBB40_83
; %bb.80:
	v_mov_b32_e32 v1, 0
	v_mov_b32_e32 v3, 0
	v_add_nc_u32_e32 v7, -1, v0
	v_add_nc_u32_e32 v8, 0x290, v167
	v_mov_b32_e32 v2, 0
	v_mov_b32_e32 v4, 0
	v_add_nc_u32_e32 v9, 16, v167
	s_mov_b32 s5, 0
	.p2align	6
.LBB40_81:                              ; =>This Inner Loop Header: Depth=1
	s_clause 0x3
	buffer_load_dword v14, v9, s[0:3], 0 offen offset:8
	buffer_load_dword v15, v9, s[0:3], 0 offen offset:12
	buffer_load_dword v16, v9, s[0:3], 0 offen
	buffer_load_dword v17, v9, s[0:3], 0 offen offset:4
	ds_read_b128 v[10:13], v8
	v_add_nc_u32_e32 v7, 1, v7
	v_add_nc_u32_e32 v8, 16, v8
	;; [unrolled: 1-line block ×3, first 2 shown]
	v_cmp_lt_u32_e32 vcc_lo, 15, v7
	s_or_b32 s5, vcc_lo, s5
	s_waitcnt vmcnt(2) lgkmcnt(0)
	v_mul_f64 v[18:19], v[12:13], v[14:15]
	v_mul_f64 v[14:15], v[10:11], v[14:15]
	s_waitcnt vmcnt(0)
	v_fma_f64 v[10:11], v[10:11], v[16:17], -v[18:19]
	v_fma_f64 v[12:13], v[12:13], v[16:17], v[14:15]
	v_add_f64 v[3:4], v[3:4], v[10:11]
	v_add_f64 v[1:2], v[1:2], v[12:13]
	s_andn2_b32 exec_lo, exec_lo, s5
	s_cbranch_execnz .LBB40_81
; %bb.82:
	s_or_b32 exec_lo, exec_lo, s5
	v_mov_b32_e32 v7, 0
	ds_read_b128 v[7:10], v7 offset:272
	s_waitcnt lgkmcnt(0)
	v_mul_f64 v[11:12], v[1:2], v[9:10]
	v_mul_f64 v[9:10], v[3:4], v[9:10]
	v_fma_f64 v[3:4], v[3:4], v[7:8], -v[11:12]
	v_fma_f64 v[1:2], v[1:2], v[7:8], v[9:10]
	buffer_store_dword v4, off, s[0:3], 0 offset:292
	buffer_store_dword v3, off, s[0:3], 0 offset:288
	;; [unrolled: 1-line block ×4, first 2 shown]
.LBB40_83:
	s_or_b32 exec_lo, exec_lo, s4
	v_mov_b32_e32 v4, s30
	s_waitcnt_vscnt null, 0x0
	s_barrier
	buffer_gl0_inv
	s_mov_b32 s4, exec_lo
	s_clause 0x3
	buffer_load_dword v1, v4, s[0:3], 0 offen
	buffer_load_dword v2, v4, s[0:3], 0 offen offset:4
	buffer_load_dword v3, v4, s[0:3], 0 offen offset:8
	;; [unrolled: 1-line block ×3, first 2 shown]
	s_waitcnt vmcnt(0)
	ds_write_b128 v5, v[1:4]
	s_waitcnt lgkmcnt(0)
	s_barrier
	buffer_gl0_inv
	v_cmpx_gt_u32_e32 18, v0
	s_cbranch_execz .LBB40_87
; %bb.84:
	v_mov_b32_e32 v1, 0
	v_mov_b32_e32 v3, 0
	v_add_nc_u32_e32 v7, -1, v0
	v_add_nc_u32_e32 v8, 0x290, v167
	v_mov_b32_e32 v2, 0
	v_mov_b32_e32 v4, 0
	v_add_nc_u32_e32 v9, 16, v167
	s_mov_b32 s5, 0
	.p2align	6
.LBB40_85:                              ; =>This Inner Loop Header: Depth=1
	s_clause 0x3
	buffer_load_dword v14, v9, s[0:3], 0 offen offset:8
	buffer_load_dword v15, v9, s[0:3], 0 offen offset:12
	buffer_load_dword v16, v9, s[0:3], 0 offen
	buffer_load_dword v17, v9, s[0:3], 0 offen offset:4
	ds_read_b128 v[10:13], v8
	v_add_nc_u32_e32 v7, 1, v7
	v_add_nc_u32_e32 v8, 16, v8
	;; [unrolled: 1-line block ×3, first 2 shown]
	v_cmp_lt_u32_e32 vcc_lo, 16, v7
	s_or_b32 s5, vcc_lo, s5
	s_waitcnt vmcnt(2) lgkmcnt(0)
	v_mul_f64 v[18:19], v[12:13], v[14:15]
	v_mul_f64 v[14:15], v[10:11], v[14:15]
	s_waitcnt vmcnt(0)
	v_fma_f64 v[10:11], v[10:11], v[16:17], -v[18:19]
	v_fma_f64 v[12:13], v[12:13], v[16:17], v[14:15]
	v_add_f64 v[3:4], v[3:4], v[10:11]
	v_add_f64 v[1:2], v[1:2], v[12:13]
	s_andn2_b32 exec_lo, exec_lo, s5
	s_cbranch_execnz .LBB40_85
; %bb.86:
	s_or_b32 exec_lo, exec_lo, s5
	v_mov_b32_e32 v7, 0
	ds_read_b128 v[7:10], v7 offset:288
	s_waitcnt lgkmcnt(0)
	v_mul_f64 v[11:12], v[1:2], v[9:10]
	v_mul_f64 v[9:10], v[3:4], v[9:10]
	v_fma_f64 v[3:4], v[3:4], v[7:8], -v[11:12]
	v_fma_f64 v[1:2], v[1:2], v[7:8], v[9:10]
	buffer_store_dword v4, off, s[0:3], 0 offset:308
	buffer_store_dword v3, off, s[0:3], 0 offset:304
	;; [unrolled: 1-line block ×4, first 2 shown]
.LBB40_87:
	s_or_b32 exec_lo, exec_lo, s4
	v_mov_b32_e32 v4, s27
	s_waitcnt_vscnt null, 0x0
	s_barrier
	buffer_gl0_inv
	s_mov_b32 s4, exec_lo
	s_clause 0x3
	buffer_load_dword v1, v4, s[0:3], 0 offen
	buffer_load_dword v2, v4, s[0:3], 0 offen offset:4
	buffer_load_dword v3, v4, s[0:3], 0 offen offset:8
	;; [unrolled: 1-line block ×3, first 2 shown]
	s_waitcnt vmcnt(0)
	ds_write_b128 v5, v[1:4]
	s_waitcnt lgkmcnt(0)
	s_barrier
	buffer_gl0_inv
	v_cmpx_gt_u32_e32 19, v0
	s_cbranch_execz .LBB40_91
; %bb.88:
	v_mov_b32_e32 v1, 0
	v_mov_b32_e32 v3, 0
	v_add_nc_u32_e32 v7, -1, v0
	v_add_nc_u32_e32 v8, 0x290, v167
	v_mov_b32_e32 v2, 0
	v_mov_b32_e32 v4, 0
	v_add_nc_u32_e32 v9, 16, v167
	s_mov_b32 s5, 0
	.p2align	6
.LBB40_89:                              ; =>This Inner Loop Header: Depth=1
	s_clause 0x3
	buffer_load_dword v14, v9, s[0:3], 0 offen offset:8
	buffer_load_dword v15, v9, s[0:3], 0 offen offset:12
	buffer_load_dword v16, v9, s[0:3], 0 offen
	buffer_load_dword v17, v9, s[0:3], 0 offen offset:4
	ds_read_b128 v[10:13], v8
	v_add_nc_u32_e32 v7, 1, v7
	v_add_nc_u32_e32 v8, 16, v8
	v_add_nc_u32_e32 v9, 16, v9
	v_cmp_lt_u32_e32 vcc_lo, 17, v7
	s_or_b32 s5, vcc_lo, s5
	s_waitcnt vmcnt(2) lgkmcnt(0)
	v_mul_f64 v[18:19], v[12:13], v[14:15]
	v_mul_f64 v[14:15], v[10:11], v[14:15]
	s_waitcnt vmcnt(0)
	v_fma_f64 v[10:11], v[10:11], v[16:17], -v[18:19]
	v_fma_f64 v[12:13], v[12:13], v[16:17], v[14:15]
	v_add_f64 v[3:4], v[3:4], v[10:11]
	v_add_f64 v[1:2], v[1:2], v[12:13]
	s_andn2_b32 exec_lo, exec_lo, s5
	s_cbranch_execnz .LBB40_89
; %bb.90:
	s_or_b32 exec_lo, exec_lo, s5
	v_mov_b32_e32 v7, 0
	ds_read_b128 v[7:10], v7 offset:304
	s_waitcnt lgkmcnt(0)
	v_mul_f64 v[11:12], v[1:2], v[9:10]
	v_mul_f64 v[9:10], v[3:4], v[9:10]
	v_fma_f64 v[3:4], v[3:4], v[7:8], -v[11:12]
	v_fma_f64 v[1:2], v[1:2], v[7:8], v[9:10]
	buffer_store_dword v4, off, s[0:3], 0 offset:324
	buffer_store_dword v3, off, s[0:3], 0 offset:320
	;; [unrolled: 1-line block ×4, first 2 shown]
.LBB40_91:
	s_or_b32 exec_lo, exec_lo, s4
	v_mov_b32_e32 v4, s25
	s_waitcnt_vscnt null, 0x0
	s_barrier
	buffer_gl0_inv
	s_mov_b32 s4, exec_lo
	s_clause 0x3
	buffer_load_dword v1, v4, s[0:3], 0 offen
	buffer_load_dword v2, v4, s[0:3], 0 offen offset:4
	buffer_load_dword v3, v4, s[0:3], 0 offen offset:8
	buffer_load_dword v4, v4, s[0:3], 0 offen offset:12
	s_waitcnt vmcnt(0)
	ds_write_b128 v5, v[1:4]
	s_waitcnt lgkmcnt(0)
	s_barrier
	buffer_gl0_inv
	v_cmpx_gt_u32_e32 20, v0
	s_cbranch_execz .LBB40_95
; %bb.92:
	v_mov_b32_e32 v1, 0
	v_mov_b32_e32 v3, 0
	v_add_nc_u32_e32 v7, -1, v0
	v_add_nc_u32_e32 v8, 0x290, v167
	v_mov_b32_e32 v2, 0
	v_mov_b32_e32 v4, 0
	v_add_nc_u32_e32 v9, 16, v167
	s_mov_b32 s5, 0
	.p2align	6
.LBB40_93:                              ; =>This Inner Loop Header: Depth=1
	s_clause 0x3
	buffer_load_dword v14, v9, s[0:3], 0 offen offset:8
	buffer_load_dword v15, v9, s[0:3], 0 offen offset:12
	buffer_load_dword v16, v9, s[0:3], 0 offen
	buffer_load_dword v17, v9, s[0:3], 0 offen offset:4
	ds_read_b128 v[10:13], v8
	v_add_nc_u32_e32 v7, 1, v7
	v_add_nc_u32_e32 v8, 16, v8
	;; [unrolled: 1-line block ×3, first 2 shown]
	v_cmp_lt_u32_e32 vcc_lo, 18, v7
	s_or_b32 s5, vcc_lo, s5
	s_waitcnt vmcnt(2) lgkmcnt(0)
	v_mul_f64 v[18:19], v[12:13], v[14:15]
	v_mul_f64 v[14:15], v[10:11], v[14:15]
	s_waitcnt vmcnt(0)
	v_fma_f64 v[10:11], v[10:11], v[16:17], -v[18:19]
	v_fma_f64 v[12:13], v[12:13], v[16:17], v[14:15]
	v_add_f64 v[3:4], v[3:4], v[10:11]
	v_add_f64 v[1:2], v[1:2], v[12:13]
	s_andn2_b32 exec_lo, exec_lo, s5
	s_cbranch_execnz .LBB40_93
; %bb.94:
	s_or_b32 exec_lo, exec_lo, s5
	v_mov_b32_e32 v7, 0
	ds_read_b128 v[7:10], v7 offset:320
	s_waitcnt lgkmcnt(0)
	v_mul_f64 v[11:12], v[1:2], v[9:10]
	v_mul_f64 v[9:10], v[3:4], v[9:10]
	v_fma_f64 v[3:4], v[3:4], v[7:8], -v[11:12]
	v_fma_f64 v[1:2], v[1:2], v[7:8], v[9:10]
	buffer_store_dword v4, off, s[0:3], 0 offset:340
	buffer_store_dword v3, off, s[0:3], 0 offset:336
	;; [unrolled: 1-line block ×4, first 2 shown]
.LBB40_95:
	s_or_b32 exec_lo, exec_lo, s4
	v_mov_b32_e32 v4, s23
	s_waitcnt_vscnt null, 0x0
	s_barrier
	buffer_gl0_inv
	s_mov_b32 s4, exec_lo
	s_clause 0x3
	buffer_load_dword v1, v4, s[0:3], 0 offen
	buffer_load_dword v2, v4, s[0:3], 0 offen offset:4
	buffer_load_dword v3, v4, s[0:3], 0 offen offset:8
	;; [unrolled: 1-line block ×3, first 2 shown]
	s_waitcnt vmcnt(0)
	ds_write_b128 v5, v[1:4]
	s_waitcnt lgkmcnt(0)
	s_barrier
	buffer_gl0_inv
	v_cmpx_gt_u32_e32 21, v0
	s_cbranch_execz .LBB40_99
; %bb.96:
	v_mov_b32_e32 v1, 0
	v_mov_b32_e32 v3, 0
	v_add_nc_u32_e32 v7, -1, v0
	v_add_nc_u32_e32 v8, 0x290, v167
	v_mov_b32_e32 v2, 0
	v_mov_b32_e32 v4, 0
	v_add_nc_u32_e32 v9, 16, v167
	s_mov_b32 s5, 0
	.p2align	6
.LBB40_97:                              ; =>This Inner Loop Header: Depth=1
	s_clause 0x3
	buffer_load_dword v14, v9, s[0:3], 0 offen offset:8
	buffer_load_dword v15, v9, s[0:3], 0 offen offset:12
	buffer_load_dword v16, v9, s[0:3], 0 offen
	buffer_load_dword v17, v9, s[0:3], 0 offen offset:4
	ds_read_b128 v[10:13], v8
	v_add_nc_u32_e32 v7, 1, v7
	v_add_nc_u32_e32 v8, 16, v8
	;; [unrolled: 1-line block ×3, first 2 shown]
	v_cmp_lt_u32_e32 vcc_lo, 19, v7
	s_or_b32 s5, vcc_lo, s5
	s_waitcnt vmcnt(2) lgkmcnt(0)
	v_mul_f64 v[18:19], v[12:13], v[14:15]
	v_mul_f64 v[14:15], v[10:11], v[14:15]
	s_waitcnt vmcnt(0)
	v_fma_f64 v[10:11], v[10:11], v[16:17], -v[18:19]
	v_fma_f64 v[12:13], v[12:13], v[16:17], v[14:15]
	v_add_f64 v[3:4], v[3:4], v[10:11]
	v_add_f64 v[1:2], v[1:2], v[12:13]
	s_andn2_b32 exec_lo, exec_lo, s5
	s_cbranch_execnz .LBB40_97
; %bb.98:
	s_or_b32 exec_lo, exec_lo, s5
	v_mov_b32_e32 v7, 0
	ds_read_b128 v[7:10], v7 offset:336
	s_waitcnt lgkmcnt(0)
	v_mul_f64 v[11:12], v[1:2], v[9:10]
	v_mul_f64 v[9:10], v[3:4], v[9:10]
	v_fma_f64 v[3:4], v[3:4], v[7:8], -v[11:12]
	v_fma_f64 v[1:2], v[1:2], v[7:8], v[9:10]
	buffer_store_dword v4, off, s[0:3], 0 offset:356
	buffer_store_dword v3, off, s[0:3], 0 offset:352
	;; [unrolled: 1-line block ×4, first 2 shown]
.LBB40_99:
	s_or_b32 exec_lo, exec_lo, s4
	v_mov_b32_e32 v4, s19
	s_waitcnt_vscnt null, 0x0
	s_barrier
	buffer_gl0_inv
	s_mov_b32 s4, exec_lo
	s_clause 0x3
	buffer_load_dword v1, v4, s[0:3], 0 offen
	buffer_load_dword v2, v4, s[0:3], 0 offen offset:4
	buffer_load_dword v3, v4, s[0:3], 0 offen offset:8
	;; [unrolled: 1-line block ×3, first 2 shown]
	s_waitcnt vmcnt(0)
	ds_write_b128 v5, v[1:4]
	s_waitcnt lgkmcnt(0)
	s_barrier
	buffer_gl0_inv
	v_cmpx_gt_u32_e32 22, v0
	s_cbranch_execz .LBB40_103
; %bb.100:
	v_mov_b32_e32 v1, 0
	v_mov_b32_e32 v3, 0
	v_add_nc_u32_e32 v7, -1, v0
	v_add_nc_u32_e32 v8, 0x290, v167
	v_mov_b32_e32 v2, 0
	v_mov_b32_e32 v4, 0
	v_add_nc_u32_e32 v9, 16, v167
	s_mov_b32 s5, 0
	.p2align	6
.LBB40_101:                             ; =>This Inner Loop Header: Depth=1
	s_clause 0x3
	buffer_load_dword v14, v9, s[0:3], 0 offen offset:8
	buffer_load_dword v15, v9, s[0:3], 0 offen offset:12
	buffer_load_dword v16, v9, s[0:3], 0 offen
	buffer_load_dword v17, v9, s[0:3], 0 offen offset:4
	ds_read_b128 v[10:13], v8
	v_add_nc_u32_e32 v7, 1, v7
	v_add_nc_u32_e32 v8, 16, v8
	;; [unrolled: 1-line block ×3, first 2 shown]
	v_cmp_lt_u32_e32 vcc_lo, 20, v7
	s_or_b32 s5, vcc_lo, s5
	s_waitcnt vmcnt(2) lgkmcnt(0)
	v_mul_f64 v[18:19], v[12:13], v[14:15]
	v_mul_f64 v[14:15], v[10:11], v[14:15]
	s_waitcnt vmcnt(0)
	v_fma_f64 v[10:11], v[10:11], v[16:17], -v[18:19]
	v_fma_f64 v[12:13], v[12:13], v[16:17], v[14:15]
	v_add_f64 v[3:4], v[3:4], v[10:11]
	v_add_f64 v[1:2], v[1:2], v[12:13]
	s_andn2_b32 exec_lo, exec_lo, s5
	s_cbranch_execnz .LBB40_101
; %bb.102:
	s_or_b32 exec_lo, exec_lo, s5
	v_mov_b32_e32 v7, 0
	ds_read_b128 v[7:10], v7 offset:352
	s_waitcnt lgkmcnt(0)
	v_mul_f64 v[11:12], v[1:2], v[9:10]
	v_mul_f64 v[9:10], v[3:4], v[9:10]
	v_fma_f64 v[3:4], v[3:4], v[7:8], -v[11:12]
	v_fma_f64 v[1:2], v[1:2], v[7:8], v[9:10]
	buffer_store_dword v4, off, s[0:3], 0 offset:372
	buffer_store_dword v3, off, s[0:3], 0 offset:368
	;; [unrolled: 1-line block ×4, first 2 shown]
.LBB40_103:
	s_or_b32 exec_lo, exec_lo, s4
	v_mov_b32_e32 v4, s17
	s_waitcnt_vscnt null, 0x0
	s_barrier
	buffer_gl0_inv
	s_mov_b32 s4, exec_lo
	s_clause 0x3
	buffer_load_dword v1, v4, s[0:3], 0 offen
	buffer_load_dword v2, v4, s[0:3], 0 offen offset:4
	buffer_load_dword v3, v4, s[0:3], 0 offen offset:8
	;; [unrolled: 1-line block ×3, first 2 shown]
	s_waitcnt vmcnt(0)
	ds_write_b128 v5, v[1:4]
	s_waitcnt lgkmcnt(0)
	s_barrier
	buffer_gl0_inv
	v_cmpx_gt_u32_e32 23, v0
	s_cbranch_execz .LBB40_107
; %bb.104:
	v_mov_b32_e32 v1, 0
	v_mov_b32_e32 v3, 0
	v_add_nc_u32_e32 v7, -1, v0
	v_add_nc_u32_e32 v8, 0x290, v167
	v_mov_b32_e32 v2, 0
	v_mov_b32_e32 v4, 0
	v_add_nc_u32_e32 v9, 16, v167
	s_mov_b32 s5, 0
	.p2align	6
.LBB40_105:                             ; =>This Inner Loop Header: Depth=1
	s_clause 0x3
	buffer_load_dword v14, v9, s[0:3], 0 offen offset:8
	buffer_load_dword v15, v9, s[0:3], 0 offen offset:12
	buffer_load_dword v16, v9, s[0:3], 0 offen
	buffer_load_dword v17, v9, s[0:3], 0 offen offset:4
	ds_read_b128 v[10:13], v8
	v_add_nc_u32_e32 v7, 1, v7
	v_add_nc_u32_e32 v8, 16, v8
	;; [unrolled: 1-line block ×3, first 2 shown]
	v_cmp_lt_u32_e32 vcc_lo, 21, v7
	s_or_b32 s5, vcc_lo, s5
	s_waitcnt vmcnt(2) lgkmcnt(0)
	v_mul_f64 v[18:19], v[12:13], v[14:15]
	v_mul_f64 v[14:15], v[10:11], v[14:15]
	s_waitcnt vmcnt(0)
	v_fma_f64 v[10:11], v[10:11], v[16:17], -v[18:19]
	v_fma_f64 v[12:13], v[12:13], v[16:17], v[14:15]
	v_add_f64 v[3:4], v[3:4], v[10:11]
	v_add_f64 v[1:2], v[1:2], v[12:13]
	s_andn2_b32 exec_lo, exec_lo, s5
	s_cbranch_execnz .LBB40_105
; %bb.106:
	s_or_b32 exec_lo, exec_lo, s5
	v_mov_b32_e32 v7, 0
	ds_read_b128 v[7:10], v7 offset:368
	s_waitcnt lgkmcnt(0)
	v_mul_f64 v[11:12], v[1:2], v[9:10]
	v_mul_f64 v[9:10], v[3:4], v[9:10]
	v_fma_f64 v[3:4], v[3:4], v[7:8], -v[11:12]
	v_fma_f64 v[1:2], v[1:2], v[7:8], v[9:10]
	buffer_store_dword v4, off, s[0:3], 0 offset:388
	buffer_store_dword v3, off, s[0:3], 0 offset:384
	;; [unrolled: 1-line block ×4, first 2 shown]
.LBB40_107:
	s_or_b32 exec_lo, exec_lo, s4
	v_mov_b32_e32 v4, s15
	s_waitcnt_vscnt null, 0x0
	s_barrier
	buffer_gl0_inv
	s_mov_b32 s4, exec_lo
	s_clause 0x3
	buffer_load_dword v1, v4, s[0:3], 0 offen
	buffer_load_dword v2, v4, s[0:3], 0 offen offset:4
	buffer_load_dword v3, v4, s[0:3], 0 offen offset:8
	;; [unrolled: 1-line block ×3, first 2 shown]
	s_waitcnt vmcnt(0)
	ds_write_b128 v5, v[1:4]
	s_waitcnt lgkmcnt(0)
	s_barrier
	buffer_gl0_inv
	v_cmpx_gt_u32_e32 24, v0
	s_cbranch_execz .LBB40_111
; %bb.108:
	v_mov_b32_e32 v1, 0
	v_mov_b32_e32 v3, 0
	v_add_nc_u32_e32 v7, -1, v0
	v_add_nc_u32_e32 v8, 0x290, v167
	v_mov_b32_e32 v2, 0
	v_mov_b32_e32 v4, 0
	v_add_nc_u32_e32 v9, 16, v167
	s_mov_b32 s5, 0
	.p2align	6
.LBB40_109:                             ; =>This Inner Loop Header: Depth=1
	s_clause 0x3
	buffer_load_dword v14, v9, s[0:3], 0 offen offset:8
	buffer_load_dword v15, v9, s[0:3], 0 offen offset:12
	buffer_load_dword v16, v9, s[0:3], 0 offen
	buffer_load_dword v17, v9, s[0:3], 0 offen offset:4
	ds_read_b128 v[10:13], v8
	v_add_nc_u32_e32 v7, 1, v7
	v_add_nc_u32_e32 v8, 16, v8
	;; [unrolled: 1-line block ×3, first 2 shown]
	v_cmp_lt_u32_e32 vcc_lo, 22, v7
	s_or_b32 s5, vcc_lo, s5
	s_waitcnt vmcnt(2) lgkmcnt(0)
	v_mul_f64 v[18:19], v[12:13], v[14:15]
	v_mul_f64 v[14:15], v[10:11], v[14:15]
	s_waitcnt vmcnt(0)
	v_fma_f64 v[10:11], v[10:11], v[16:17], -v[18:19]
	v_fma_f64 v[12:13], v[12:13], v[16:17], v[14:15]
	v_add_f64 v[3:4], v[3:4], v[10:11]
	v_add_f64 v[1:2], v[1:2], v[12:13]
	s_andn2_b32 exec_lo, exec_lo, s5
	s_cbranch_execnz .LBB40_109
; %bb.110:
	s_or_b32 exec_lo, exec_lo, s5
	v_mov_b32_e32 v7, 0
	ds_read_b128 v[7:10], v7 offset:384
	s_waitcnt lgkmcnt(0)
	v_mul_f64 v[11:12], v[1:2], v[9:10]
	v_mul_f64 v[9:10], v[3:4], v[9:10]
	v_fma_f64 v[3:4], v[3:4], v[7:8], -v[11:12]
	v_fma_f64 v[1:2], v[1:2], v[7:8], v[9:10]
	buffer_store_dword v4, off, s[0:3], 0 offset:404
	buffer_store_dword v3, off, s[0:3], 0 offset:400
	;; [unrolled: 1-line block ×4, first 2 shown]
.LBB40_111:
	s_or_b32 exec_lo, exec_lo, s4
	v_mov_b32_e32 v4, s13
	s_waitcnt_vscnt null, 0x0
	s_barrier
	buffer_gl0_inv
	s_mov_b32 s4, exec_lo
	s_clause 0x3
	buffer_load_dword v1, v4, s[0:3], 0 offen
	buffer_load_dword v2, v4, s[0:3], 0 offen offset:4
	buffer_load_dword v3, v4, s[0:3], 0 offen offset:8
	;; [unrolled: 1-line block ×3, first 2 shown]
	s_waitcnt vmcnt(0)
	ds_write_b128 v5, v[1:4]
	s_waitcnt lgkmcnt(0)
	s_barrier
	buffer_gl0_inv
	v_cmpx_gt_u32_e32 25, v0
	s_cbranch_execz .LBB40_115
; %bb.112:
	v_mov_b32_e32 v1, 0
	v_mov_b32_e32 v3, 0
	v_add_nc_u32_e32 v7, -1, v0
	v_add_nc_u32_e32 v8, 0x290, v167
	v_mov_b32_e32 v2, 0
	v_mov_b32_e32 v4, 0
	v_add_nc_u32_e32 v9, 16, v167
	s_mov_b32 s5, 0
	.p2align	6
.LBB40_113:                             ; =>This Inner Loop Header: Depth=1
	s_clause 0x3
	buffer_load_dword v14, v9, s[0:3], 0 offen offset:8
	buffer_load_dword v15, v9, s[0:3], 0 offen offset:12
	buffer_load_dword v16, v9, s[0:3], 0 offen
	buffer_load_dword v17, v9, s[0:3], 0 offen offset:4
	ds_read_b128 v[10:13], v8
	v_add_nc_u32_e32 v7, 1, v7
	v_add_nc_u32_e32 v8, 16, v8
	v_add_nc_u32_e32 v9, 16, v9
	v_cmp_lt_u32_e32 vcc_lo, 23, v7
	s_or_b32 s5, vcc_lo, s5
	s_waitcnt vmcnt(2) lgkmcnt(0)
	v_mul_f64 v[18:19], v[12:13], v[14:15]
	v_mul_f64 v[14:15], v[10:11], v[14:15]
	s_waitcnt vmcnt(0)
	v_fma_f64 v[10:11], v[10:11], v[16:17], -v[18:19]
	v_fma_f64 v[12:13], v[12:13], v[16:17], v[14:15]
	v_add_f64 v[3:4], v[3:4], v[10:11]
	v_add_f64 v[1:2], v[1:2], v[12:13]
	s_andn2_b32 exec_lo, exec_lo, s5
	s_cbranch_execnz .LBB40_113
; %bb.114:
	s_or_b32 exec_lo, exec_lo, s5
	v_mov_b32_e32 v7, 0
	ds_read_b128 v[7:10], v7 offset:400
	s_waitcnt lgkmcnt(0)
	v_mul_f64 v[11:12], v[1:2], v[9:10]
	v_mul_f64 v[9:10], v[3:4], v[9:10]
	v_fma_f64 v[3:4], v[3:4], v[7:8], -v[11:12]
	v_fma_f64 v[1:2], v[1:2], v[7:8], v[9:10]
	buffer_store_dword v4, off, s[0:3], 0 offset:420
	buffer_store_dword v3, off, s[0:3], 0 offset:416
	;; [unrolled: 1-line block ×4, first 2 shown]
.LBB40_115:
	s_or_b32 exec_lo, exec_lo, s4
	v_mov_b32_e32 v4, s38
	s_waitcnt_vscnt null, 0x0
	s_barrier
	buffer_gl0_inv
	s_mov_b32 s4, exec_lo
	s_clause 0x3
	buffer_load_dword v1, v4, s[0:3], 0 offen
	buffer_load_dword v2, v4, s[0:3], 0 offen offset:4
	buffer_load_dword v3, v4, s[0:3], 0 offen offset:8
	;; [unrolled: 1-line block ×3, first 2 shown]
	s_waitcnt vmcnt(0)
	ds_write_b128 v5, v[1:4]
	s_waitcnt lgkmcnt(0)
	s_barrier
	buffer_gl0_inv
	v_cmpx_gt_u32_e32 26, v0
	s_cbranch_execz .LBB40_119
; %bb.116:
	v_mov_b32_e32 v1, 0
	v_mov_b32_e32 v3, 0
	v_add_nc_u32_e32 v7, -1, v0
	v_add_nc_u32_e32 v8, 0x290, v167
	v_mov_b32_e32 v2, 0
	v_mov_b32_e32 v4, 0
	v_add_nc_u32_e32 v9, 16, v167
	s_mov_b32 s5, 0
	.p2align	6
.LBB40_117:                             ; =>This Inner Loop Header: Depth=1
	s_clause 0x3
	buffer_load_dword v14, v9, s[0:3], 0 offen offset:8
	buffer_load_dword v15, v9, s[0:3], 0 offen offset:12
	buffer_load_dword v16, v9, s[0:3], 0 offen
	buffer_load_dword v17, v9, s[0:3], 0 offen offset:4
	ds_read_b128 v[10:13], v8
	v_add_nc_u32_e32 v7, 1, v7
	v_add_nc_u32_e32 v8, 16, v8
	;; [unrolled: 1-line block ×3, first 2 shown]
	v_cmp_lt_u32_e32 vcc_lo, 24, v7
	s_or_b32 s5, vcc_lo, s5
	s_waitcnt vmcnt(2) lgkmcnt(0)
	v_mul_f64 v[18:19], v[12:13], v[14:15]
	v_mul_f64 v[14:15], v[10:11], v[14:15]
	s_waitcnt vmcnt(0)
	v_fma_f64 v[10:11], v[10:11], v[16:17], -v[18:19]
	v_fma_f64 v[12:13], v[12:13], v[16:17], v[14:15]
	v_add_f64 v[3:4], v[3:4], v[10:11]
	v_add_f64 v[1:2], v[1:2], v[12:13]
	s_andn2_b32 exec_lo, exec_lo, s5
	s_cbranch_execnz .LBB40_117
; %bb.118:
	s_or_b32 exec_lo, exec_lo, s5
	v_mov_b32_e32 v7, 0
	ds_read_b128 v[7:10], v7 offset:416
	s_waitcnt lgkmcnt(0)
	v_mul_f64 v[11:12], v[1:2], v[9:10]
	v_mul_f64 v[9:10], v[3:4], v[9:10]
	v_fma_f64 v[3:4], v[3:4], v[7:8], -v[11:12]
	v_fma_f64 v[1:2], v[1:2], v[7:8], v[9:10]
	buffer_store_dword v4, off, s[0:3], 0 offset:436
	buffer_store_dword v3, off, s[0:3], 0 offset:432
	;; [unrolled: 1-line block ×4, first 2 shown]
.LBB40_119:
	s_or_b32 exec_lo, exec_lo, s4
	v_mov_b32_e32 v4, s36
	s_waitcnt_vscnt null, 0x0
	s_barrier
	buffer_gl0_inv
	s_mov_b32 s4, exec_lo
	s_clause 0x3
	buffer_load_dword v1, v4, s[0:3], 0 offen
	buffer_load_dword v2, v4, s[0:3], 0 offen offset:4
	buffer_load_dword v3, v4, s[0:3], 0 offen offset:8
	;; [unrolled: 1-line block ×3, first 2 shown]
	s_waitcnt vmcnt(0)
	ds_write_b128 v5, v[1:4]
	s_waitcnt lgkmcnt(0)
	s_barrier
	buffer_gl0_inv
	v_cmpx_gt_u32_e32 27, v0
	s_cbranch_execz .LBB40_123
; %bb.120:
	v_mov_b32_e32 v1, 0
	v_mov_b32_e32 v3, 0
	v_add_nc_u32_e32 v7, -1, v0
	v_add_nc_u32_e32 v8, 0x290, v167
	v_mov_b32_e32 v2, 0
	v_mov_b32_e32 v4, 0
	v_add_nc_u32_e32 v9, 16, v167
	s_mov_b32 s5, 0
	.p2align	6
.LBB40_121:                             ; =>This Inner Loop Header: Depth=1
	s_clause 0x3
	buffer_load_dword v14, v9, s[0:3], 0 offen offset:8
	buffer_load_dword v15, v9, s[0:3], 0 offen offset:12
	buffer_load_dword v16, v9, s[0:3], 0 offen
	buffer_load_dword v17, v9, s[0:3], 0 offen offset:4
	ds_read_b128 v[10:13], v8
	v_add_nc_u32_e32 v7, 1, v7
	v_add_nc_u32_e32 v8, 16, v8
	;; [unrolled: 1-line block ×3, first 2 shown]
	v_cmp_lt_u32_e32 vcc_lo, 25, v7
	s_or_b32 s5, vcc_lo, s5
	s_waitcnt vmcnt(2) lgkmcnt(0)
	v_mul_f64 v[18:19], v[12:13], v[14:15]
	v_mul_f64 v[14:15], v[10:11], v[14:15]
	s_waitcnt vmcnt(0)
	v_fma_f64 v[10:11], v[10:11], v[16:17], -v[18:19]
	v_fma_f64 v[12:13], v[12:13], v[16:17], v[14:15]
	v_add_f64 v[3:4], v[3:4], v[10:11]
	v_add_f64 v[1:2], v[1:2], v[12:13]
	s_andn2_b32 exec_lo, exec_lo, s5
	s_cbranch_execnz .LBB40_121
; %bb.122:
	s_or_b32 exec_lo, exec_lo, s5
	v_mov_b32_e32 v7, 0
	ds_read_b128 v[7:10], v7 offset:432
	s_waitcnt lgkmcnt(0)
	v_mul_f64 v[11:12], v[1:2], v[9:10]
	v_mul_f64 v[9:10], v[3:4], v[9:10]
	v_fma_f64 v[3:4], v[3:4], v[7:8], -v[11:12]
	v_fma_f64 v[1:2], v[1:2], v[7:8], v[9:10]
	buffer_store_dword v4, off, s[0:3], 0 offset:452
	buffer_store_dword v3, off, s[0:3], 0 offset:448
	;; [unrolled: 1-line block ×4, first 2 shown]
.LBB40_123:
	s_or_b32 exec_lo, exec_lo, s4
	v_mov_b32_e32 v4, s34
	s_waitcnt_vscnt null, 0x0
	s_barrier
	buffer_gl0_inv
	s_mov_b32 s4, exec_lo
	s_clause 0x3
	buffer_load_dword v1, v4, s[0:3], 0 offen
	buffer_load_dword v2, v4, s[0:3], 0 offen offset:4
	buffer_load_dword v3, v4, s[0:3], 0 offen offset:8
	;; [unrolled: 1-line block ×3, first 2 shown]
	s_waitcnt vmcnt(0)
	ds_write_b128 v5, v[1:4]
	s_waitcnt lgkmcnt(0)
	s_barrier
	buffer_gl0_inv
	v_cmpx_gt_u32_e32 28, v0
	s_cbranch_execz .LBB40_127
; %bb.124:
	v_mov_b32_e32 v1, 0
	v_mov_b32_e32 v3, 0
	v_add_nc_u32_e32 v7, -1, v0
	v_add_nc_u32_e32 v8, 0x290, v167
	v_mov_b32_e32 v2, 0
	v_mov_b32_e32 v4, 0
	v_add_nc_u32_e32 v9, 16, v167
	s_mov_b32 s5, 0
	.p2align	6
.LBB40_125:                             ; =>This Inner Loop Header: Depth=1
	s_clause 0x3
	buffer_load_dword v14, v9, s[0:3], 0 offen offset:8
	buffer_load_dword v15, v9, s[0:3], 0 offen offset:12
	buffer_load_dword v16, v9, s[0:3], 0 offen
	buffer_load_dword v17, v9, s[0:3], 0 offen offset:4
	ds_read_b128 v[10:13], v8
	v_add_nc_u32_e32 v7, 1, v7
	v_add_nc_u32_e32 v8, 16, v8
	;; [unrolled: 1-line block ×3, first 2 shown]
	v_cmp_lt_u32_e32 vcc_lo, 26, v7
	s_or_b32 s5, vcc_lo, s5
	s_waitcnt vmcnt(2) lgkmcnt(0)
	v_mul_f64 v[18:19], v[12:13], v[14:15]
	v_mul_f64 v[14:15], v[10:11], v[14:15]
	s_waitcnt vmcnt(0)
	v_fma_f64 v[10:11], v[10:11], v[16:17], -v[18:19]
	v_fma_f64 v[12:13], v[12:13], v[16:17], v[14:15]
	v_add_f64 v[3:4], v[3:4], v[10:11]
	v_add_f64 v[1:2], v[1:2], v[12:13]
	s_andn2_b32 exec_lo, exec_lo, s5
	s_cbranch_execnz .LBB40_125
; %bb.126:
	s_or_b32 exec_lo, exec_lo, s5
	v_mov_b32_e32 v7, 0
	ds_read_b128 v[7:10], v7 offset:448
	s_waitcnt lgkmcnt(0)
	v_mul_f64 v[11:12], v[1:2], v[9:10]
	v_mul_f64 v[9:10], v[3:4], v[9:10]
	v_fma_f64 v[3:4], v[3:4], v[7:8], -v[11:12]
	v_fma_f64 v[1:2], v[1:2], v[7:8], v[9:10]
	buffer_store_dword v4, off, s[0:3], 0 offset:468
	buffer_store_dword v3, off, s[0:3], 0 offset:464
	;; [unrolled: 1-line block ×4, first 2 shown]
.LBB40_127:
	s_or_b32 exec_lo, exec_lo, s4
	v_mov_b32_e32 v4, s31
	s_waitcnt_vscnt null, 0x0
	s_barrier
	buffer_gl0_inv
	s_mov_b32 s4, exec_lo
	s_clause 0x3
	buffer_load_dword v1, v4, s[0:3], 0 offen
	buffer_load_dword v2, v4, s[0:3], 0 offen offset:4
	buffer_load_dword v3, v4, s[0:3], 0 offen offset:8
	;; [unrolled: 1-line block ×3, first 2 shown]
	s_waitcnt vmcnt(0)
	ds_write_b128 v5, v[1:4]
	s_waitcnt lgkmcnt(0)
	s_barrier
	buffer_gl0_inv
	v_cmpx_gt_u32_e32 29, v0
	s_cbranch_execz .LBB40_131
; %bb.128:
	v_mov_b32_e32 v1, 0
	v_mov_b32_e32 v3, 0
	v_add_nc_u32_e32 v7, -1, v0
	v_add_nc_u32_e32 v8, 0x290, v167
	v_mov_b32_e32 v2, 0
	v_mov_b32_e32 v4, 0
	v_add_nc_u32_e32 v9, 16, v167
	s_mov_b32 s5, 0
	.p2align	6
.LBB40_129:                             ; =>This Inner Loop Header: Depth=1
	s_clause 0x3
	buffer_load_dword v14, v9, s[0:3], 0 offen offset:8
	buffer_load_dword v15, v9, s[0:3], 0 offen offset:12
	buffer_load_dword v16, v9, s[0:3], 0 offen
	buffer_load_dword v17, v9, s[0:3], 0 offen offset:4
	ds_read_b128 v[10:13], v8
	v_add_nc_u32_e32 v7, 1, v7
	v_add_nc_u32_e32 v8, 16, v8
	;; [unrolled: 1-line block ×3, first 2 shown]
	v_cmp_lt_u32_e32 vcc_lo, 27, v7
	s_or_b32 s5, vcc_lo, s5
	s_waitcnt vmcnt(2) lgkmcnt(0)
	v_mul_f64 v[18:19], v[12:13], v[14:15]
	v_mul_f64 v[14:15], v[10:11], v[14:15]
	s_waitcnt vmcnt(0)
	v_fma_f64 v[10:11], v[10:11], v[16:17], -v[18:19]
	v_fma_f64 v[12:13], v[12:13], v[16:17], v[14:15]
	v_add_f64 v[3:4], v[3:4], v[10:11]
	v_add_f64 v[1:2], v[1:2], v[12:13]
	s_andn2_b32 exec_lo, exec_lo, s5
	s_cbranch_execnz .LBB40_129
; %bb.130:
	s_or_b32 exec_lo, exec_lo, s5
	v_mov_b32_e32 v7, 0
	ds_read_b128 v[7:10], v7 offset:464
	s_waitcnt lgkmcnt(0)
	v_mul_f64 v[11:12], v[1:2], v[9:10]
	v_mul_f64 v[9:10], v[3:4], v[9:10]
	v_fma_f64 v[3:4], v[3:4], v[7:8], -v[11:12]
	v_fma_f64 v[1:2], v[1:2], v[7:8], v[9:10]
	buffer_store_dword v4, off, s[0:3], 0 offset:484
	buffer_store_dword v3, off, s[0:3], 0 offset:480
	buffer_store_dword v2, off, s[0:3], 0 offset:492
	buffer_store_dword v1, off, s[0:3], 0 offset:488
.LBB40_131:
	s_or_b32 exec_lo, exec_lo, s4
	v_mov_b32_e32 v4, s29
	s_waitcnt_vscnt null, 0x0
	s_barrier
	buffer_gl0_inv
	s_mov_b32 s4, exec_lo
	s_clause 0x3
	buffer_load_dword v1, v4, s[0:3], 0 offen
	buffer_load_dword v2, v4, s[0:3], 0 offen offset:4
	buffer_load_dword v3, v4, s[0:3], 0 offen offset:8
	;; [unrolled: 1-line block ×3, first 2 shown]
	s_waitcnt vmcnt(0)
	ds_write_b128 v5, v[1:4]
	s_waitcnt lgkmcnt(0)
	s_barrier
	buffer_gl0_inv
	v_cmpx_gt_u32_e32 30, v0
	s_cbranch_execz .LBB40_135
; %bb.132:
	v_mov_b32_e32 v1, 0
	v_mov_b32_e32 v3, 0
	v_add_nc_u32_e32 v7, -1, v0
	v_add_nc_u32_e32 v8, 0x290, v167
	v_mov_b32_e32 v2, 0
	v_mov_b32_e32 v4, 0
	v_add_nc_u32_e32 v9, 16, v167
	s_mov_b32 s5, 0
	.p2align	6
.LBB40_133:                             ; =>This Inner Loop Header: Depth=1
	s_clause 0x3
	buffer_load_dword v14, v9, s[0:3], 0 offen offset:8
	buffer_load_dword v15, v9, s[0:3], 0 offen offset:12
	buffer_load_dword v16, v9, s[0:3], 0 offen
	buffer_load_dword v17, v9, s[0:3], 0 offen offset:4
	ds_read_b128 v[10:13], v8
	v_add_nc_u32_e32 v7, 1, v7
	v_add_nc_u32_e32 v8, 16, v8
	;; [unrolled: 1-line block ×3, first 2 shown]
	v_cmp_lt_u32_e32 vcc_lo, 28, v7
	s_or_b32 s5, vcc_lo, s5
	s_waitcnt vmcnt(2) lgkmcnt(0)
	v_mul_f64 v[18:19], v[12:13], v[14:15]
	v_mul_f64 v[14:15], v[10:11], v[14:15]
	s_waitcnt vmcnt(0)
	v_fma_f64 v[10:11], v[10:11], v[16:17], -v[18:19]
	v_fma_f64 v[12:13], v[12:13], v[16:17], v[14:15]
	v_add_f64 v[3:4], v[3:4], v[10:11]
	v_add_f64 v[1:2], v[1:2], v[12:13]
	s_andn2_b32 exec_lo, exec_lo, s5
	s_cbranch_execnz .LBB40_133
; %bb.134:
	s_or_b32 exec_lo, exec_lo, s5
	v_mov_b32_e32 v7, 0
	ds_read_b128 v[7:10], v7 offset:480
	s_waitcnt lgkmcnt(0)
	v_mul_f64 v[11:12], v[1:2], v[9:10]
	v_mul_f64 v[9:10], v[3:4], v[9:10]
	v_fma_f64 v[3:4], v[3:4], v[7:8], -v[11:12]
	v_fma_f64 v[1:2], v[1:2], v[7:8], v[9:10]
	buffer_store_dword v4, off, s[0:3], 0 offset:500
	buffer_store_dword v3, off, s[0:3], 0 offset:496
	;; [unrolled: 1-line block ×4, first 2 shown]
.LBB40_135:
	s_or_b32 exec_lo, exec_lo, s4
	v_mov_b32_e32 v4, s28
	s_waitcnt_vscnt null, 0x0
	s_barrier
	buffer_gl0_inv
	s_mov_b32 s4, exec_lo
	s_clause 0x3
	buffer_load_dword v1, v4, s[0:3], 0 offen
	buffer_load_dword v2, v4, s[0:3], 0 offen offset:4
	buffer_load_dword v3, v4, s[0:3], 0 offen offset:8
	;; [unrolled: 1-line block ×3, first 2 shown]
	s_waitcnt vmcnt(0)
	ds_write_b128 v5, v[1:4]
	s_waitcnt lgkmcnt(0)
	s_barrier
	buffer_gl0_inv
	v_cmpx_gt_u32_e32 31, v0
	s_cbranch_execz .LBB40_139
; %bb.136:
	v_mov_b32_e32 v1, 0
	v_mov_b32_e32 v3, 0
	v_add_nc_u32_e32 v7, -1, v0
	v_add_nc_u32_e32 v8, 0x290, v167
	v_mov_b32_e32 v2, 0
	v_mov_b32_e32 v4, 0
	v_add_nc_u32_e32 v9, 16, v167
	s_mov_b32 s5, 0
	.p2align	6
.LBB40_137:                             ; =>This Inner Loop Header: Depth=1
	s_clause 0x3
	buffer_load_dword v14, v9, s[0:3], 0 offen offset:8
	buffer_load_dword v15, v9, s[0:3], 0 offen offset:12
	buffer_load_dword v16, v9, s[0:3], 0 offen
	buffer_load_dword v17, v9, s[0:3], 0 offen offset:4
	ds_read_b128 v[10:13], v8
	v_add_nc_u32_e32 v7, 1, v7
	v_add_nc_u32_e32 v8, 16, v8
	;; [unrolled: 1-line block ×3, first 2 shown]
	v_cmp_lt_u32_e32 vcc_lo, 29, v7
	s_or_b32 s5, vcc_lo, s5
	s_waitcnt vmcnt(2) lgkmcnt(0)
	v_mul_f64 v[18:19], v[12:13], v[14:15]
	v_mul_f64 v[14:15], v[10:11], v[14:15]
	s_waitcnt vmcnt(0)
	v_fma_f64 v[10:11], v[10:11], v[16:17], -v[18:19]
	v_fma_f64 v[12:13], v[12:13], v[16:17], v[14:15]
	v_add_f64 v[3:4], v[3:4], v[10:11]
	v_add_f64 v[1:2], v[1:2], v[12:13]
	s_andn2_b32 exec_lo, exec_lo, s5
	s_cbranch_execnz .LBB40_137
; %bb.138:
	s_or_b32 exec_lo, exec_lo, s5
	v_mov_b32_e32 v7, 0
	ds_read_b128 v[7:10], v7 offset:496
	s_waitcnt lgkmcnt(0)
	v_mul_f64 v[11:12], v[1:2], v[9:10]
	v_mul_f64 v[9:10], v[3:4], v[9:10]
	v_fma_f64 v[3:4], v[3:4], v[7:8], -v[11:12]
	v_fma_f64 v[1:2], v[1:2], v[7:8], v[9:10]
	buffer_store_dword v4, off, s[0:3], 0 offset:516
	buffer_store_dword v3, off, s[0:3], 0 offset:512
	;; [unrolled: 1-line block ×4, first 2 shown]
.LBB40_139:
	s_or_b32 exec_lo, exec_lo, s4
	v_mov_b32_e32 v4, s26
	s_waitcnt_vscnt null, 0x0
	s_barrier
	buffer_gl0_inv
	s_mov_b32 s4, exec_lo
	s_clause 0x3
	buffer_load_dword v1, v4, s[0:3], 0 offen
	buffer_load_dword v2, v4, s[0:3], 0 offen offset:4
	buffer_load_dword v3, v4, s[0:3], 0 offen offset:8
	;; [unrolled: 1-line block ×3, first 2 shown]
	s_waitcnt vmcnt(0)
	ds_write_b128 v5, v[1:4]
	s_waitcnt lgkmcnt(0)
	s_barrier
	buffer_gl0_inv
	v_cmpx_gt_u32_e32 32, v0
	s_cbranch_execz .LBB40_143
; %bb.140:
	v_mov_b32_e32 v1, 0
	v_mov_b32_e32 v3, 0
	v_add_nc_u32_e32 v7, -1, v0
	v_add_nc_u32_e32 v8, 0x290, v167
	v_mov_b32_e32 v2, 0
	v_mov_b32_e32 v4, 0
	v_add_nc_u32_e32 v9, 16, v167
	s_mov_b32 s5, 0
	.p2align	6
.LBB40_141:                             ; =>This Inner Loop Header: Depth=1
	s_clause 0x3
	buffer_load_dword v14, v9, s[0:3], 0 offen offset:8
	buffer_load_dword v15, v9, s[0:3], 0 offen offset:12
	buffer_load_dword v16, v9, s[0:3], 0 offen
	buffer_load_dword v17, v9, s[0:3], 0 offen offset:4
	ds_read_b128 v[10:13], v8
	v_add_nc_u32_e32 v7, 1, v7
	v_add_nc_u32_e32 v8, 16, v8
	;; [unrolled: 1-line block ×3, first 2 shown]
	v_cmp_lt_u32_e32 vcc_lo, 30, v7
	s_or_b32 s5, vcc_lo, s5
	s_waitcnt vmcnt(2) lgkmcnt(0)
	v_mul_f64 v[18:19], v[12:13], v[14:15]
	v_mul_f64 v[14:15], v[10:11], v[14:15]
	s_waitcnt vmcnt(0)
	v_fma_f64 v[10:11], v[10:11], v[16:17], -v[18:19]
	v_fma_f64 v[12:13], v[12:13], v[16:17], v[14:15]
	v_add_f64 v[3:4], v[3:4], v[10:11]
	v_add_f64 v[1:2], v[1:2], v[12:13]
	s_andn2_b32 exec_lo, exec_lo, s5
	s_cbranch_execnz .LBB40_141
; %bb.142:
	s_or_b32 exec_lo, exec_lo, s5
	v_mov_b32_e32 v7, 0
	ds_read_b128 v[7:10], v7 offset:512
	s_waitcnt lgkmcnt(0)
	v_mul_f64 v[11:12], v[1:2], v[9:10]
	v_mul_f64 v[9:10], v[3:4], v[9:10]
	v_fma_f64 v[3:4], v[3:4], v[7:8], -v[11:12]
	v_fma_f64 v[1:2], v[1:2], v[7:8], v[9:10]
	buffer_store_dword v4, off, s[0:3], 0 offset:532
	buffer_store_dword v3, off, s[0:3], 0 offset:528
	;; [unrolled: 1-line block ×4, first 2 shown]
.LBB40_143:
	s_or_b32 exec_lo, exec_lo, s4
	v_mov_b32_e32 v4, s24
	s_waitcnt_vscnt null, 0x0
	s_barrier
	buffer_gl0_inv
	s_mov_b32 s4, exec_lo
	s_clause 0x3
	buffer_load_dword v1, v4, s[0:3], 0 offen
	buffer_load_dword v2, v4, s[0:3], 0 offen offset:4
	buffer_load_dword v3, v4, s[0:3], 0 offen offset:8
	;; [unrolled: 1-line block ×3, first 2 shown]
	s_waitcnt vmcnt(0)
	ds_write_b128 v5, v[1:4]
	s_waitcnt lgkmcnt(0)
	s_barrier
	buffer_gl0_inv
	v_cmpx_gt_u32_e32 33, v0
	s_cbranch_execz .LBB40_147
; %bb.144:
	v_mov_b32_e32 v1, 0
	v_mov_b32_e32 v3, 0
	v_add_nc_u32_e32 v7, -1, v0
	v_add_nc_u32_e32 v8, 0x290, v167
	v_mov_b32_e32 v2, 0
	v_mov_b32_e32 v4, 0
	v_add_nc_u32_e32 v9, 16, v167
	s_mov_b32 s5, 0
	.p2align	6
.LBB40_145:                             ; =>This Inner Loop Header: Depth=1
	s_clause 0x3
	buffer_load_dword v14, v9, s[0:3], 0 offen offset:8
	buffer_load_dword v15, v9, s[0:3], 0 offen offset:12
	buffer_load_dword v16, v9, s[0:3], 0 offen
	buffer_load_dword v17, v9, s[0:3], 0 offen offset:4
	ds_read_b128 v[10:13], v8
	v_add_nc_u32_e32 v7, 1, v7
	v_add_nc_u32_e32 v8, 16, v8
	;; [unrolled: 1-line block ×3, first 2 shown]
	v_cmp_lt_u32_e32 vcc_lo, 31, v7
	s_or_b32 s5, vcc_lo, s5
	s_waitcnt vmcnt(2) lgkmcnt(0)
	v_mul_f64 v[18:19], v[12:13], v[14:15]
	v_mul_f64 v[14:15], v[10:11], v[14:15]
	s_waitcnt vmcnt(0)
	v_fma_f64 v[10:11], v[10:11], v[16:17], -v[18:19]
	v_fma_f64 v[12:13], v[12:13], v[16:17], v[14:15]
	v_add_f64 v[3:4], v[3:4], v[10:11]
	v_add_f64 v[1:2], v[1:2], v[12:13]
	s_andn2_b32 exec_lo, exec_lo, s5
	s_cbranch_execnz .LBB40_145
; %bb.146:
	s_or_b32 exec_lo, exec_lo, s5
	v_mov_b32_e32 v7, 0
	ds_read_b128 v[7:10], v7 offset:528
	s_waitcnt lgkmcnt(0)
	v_mul_f64 v[11:12], v[1:2], v[9:10]
	v_mul_f64 v[9:10], v[3:4], v[9:10]
	v_fma_f64 v[3:4], v[3:4], v[7:8], -v[11:12]
	v_fma_f64 v[1:2], v[1:2], v[7:8], v[9:10]
	buffer_store_dword v4, off, s[0:3], 0 offset:548
	buffer_store_dword v3, off, s[0:3], 0 offset:544
	buffer_store_dword v2, off, s[0:3], 0 offset:556
	buffer_store_dword v1, off, s[0:3], 0 offset:552
.LBB40_147:
	s_or_b32 exec_lo, exec_lo, s4
	v_mov_b32_e32 v4, s22
	s_waitcnt_vscnt null, 0x0
	s_barrier
	buffer_gl0_inv
	s_mov_b32 s4, exec_lo
	s_clause 0x3
	buffer_load_dword v1, v4, s[0:3], 0 offen
	buffer_load_dword v2, v4, s[0:3], 0 offen offset:4
	buffer_load_dword v3, v4, s[0:3], 0 offen offset:8
	;; [unrolled: 1-line block ×3, first 2 shown]
	s_waitcnt vmcnt(0)
	ds_write_b128 v5, v[1:4]
	s_waitcnt lgkmcnt(0)
	s_barrier
	buffer_gl0_inv
	v_cmpx_gt_u32_e32 34, v0
	s_cbranch_execz .LBB40_151
; %bb.148:
	v_mov_b32_e32 v1, 0
	v_mov_b32_e32 v3, 0
	v_add_nc_u32_e32 v7, -1, v0
	v_add_nc_u32_e32 v8, 0x290, v167
	v_mov_b32_e32 v2, 0
	v_mov_b32_e32 v4, 0
	v_add_nc_u32_e32 v9, 16, v167
	s_mov_b32 s5, 0
	.p2align	6
.LBB40_149:                             ; =>This Inner Loop Header: Depth=1
	s_clause 0x3
	buffer_load_dword v14, v9, s[0:3], 0 offen offset:8
	buffer_load_dword v15, v9, s[0:3], 0 offen offset:12
	buffer_load_dword v16, v9, s[0:3], 0 offen
	buffer_load_dword v17, v9, s[0:3], 0 offen offset:4
	ds_read_b128 v[10:13], v8
	v_add_nc_u32_e32 v7, 1, v7
	v_add_nc_u32_e32 v8, 16, v8
	;; [unrolled: 1-line block ×3, first 2 shown]
	v_cmp_lt_u32_e32 vcc_lo, 32, v7
	s_or_b32 s5, vcc_lo, s5
	s_waitcnt vmcnt(2) lgkmcnt(0)
	v_mul_f64 v[18:19], v[12:13], v[14:15]
	v_mul_f64 v[14:15], v[10:11], v[14:15]
	s_waitcnt vmcnt(0)
	v_fma_f64 v[10:11], v[10:11], v[16:17], -v[18:19]
	v_fma_f64 v[12:13], v[12:13], v[16:17], v[14:15]
	v_add_f64 v[3:4], v[3:4], v[10:11]
	v_add_f64 v[1:2], v[1:2], v[12:13]
	s_andn2_b32 exec_lo, exec_lo, s5
	s_cbranch_execnz .LBB40_149
; %bb.150:
	s_or_b32 exec_lo, exec_lo, s5
	v_mov_b32_e32 v7, 0
	ds_read_b128 v[7:10], v7 offset:544
	s_waitcnt lgkmcnt(0)
	v_mul_f64 v[11:12], v[1:2], v[9:10]
	v_mul_f64 v[9:10], v[3:4], v[9:10]
	v_fma_f64 v[3:4], v[3:4], v[7:8], -v[11:12]
	v_fma_f64 v[1:2], v[1:2], v[7:8], v[9:10]
	buffer_store_dword v4, off, s[0:3], 0 offset:564
	buffer_store_dword v3, off, s[0:3], 0 offset:560
	;; [unrolled: 1-line block ×4, first 2 shown]
.LBB40_151:
	s_or_b32 exec_lo, exec_lo, s4
	v_mov_b32_e32 v4, s18
	s_waitcnt_vscnt null, 0x0
	s_barrier
	buffer_gl0_inv
	s_mov_b32 s4, exec_lo
	s_clause 0x3
	buffer_load_dword v1, v4, s[0:3], 0 offen
	buffer_load_dword v2, v4, s[0:3], 0 offen offset:4
	buffer_load_dword v3, v4, s[0:3], 0 offen offset:8
	;; [unrolled: 1-line block ×3, first 2 shown]
	s_waitcnt vmcnt(0)
	ds_write_b128 v5, v[1:4]
	s_waitcnt lgkmcnt(0)
	s_barrier
	buffer_gl0_inv
	v_cmpx_gt_u32_e32 35, v0
	s_cbranch_execz .LBB40_155
; %bb.152:
	v_mov_b32_e32 v1, 0
	v_mov_b32_e32 v3, 0
	v_add_nc_u32_e32 v7, -1, v0
	v_add_nc_u32_e32 v8, 0x290, v167
	v_mov_b32_e32 v2, 0
	v_mov_b32_e32 v4, 0
	v_add_nc_u32_e32 v9, 16, v167
	s_mov_b32 s5, 0
	.p2align	6
.LBB40_153:                             ; =>This Inner Loop Header: Depth=1
	s_clause 0x3
	buffer_load_dword v14, v9, s[0:3], 0 offen offset:8
	buffer_load_dword v15, v9, s[0:3], 0 offen offset:12
	buffer_load_dword v16, v9, s[0:3], 0 offen
	buffer_load_dword v17, v9, s[0:3], 0 offen offset:4
	ds_read_b128 v[10:13], v8
	v_add_nc_u32_e32 v7, 1, v7
	v_add_nc_u32_e32 v8, 16, v8
	;; [unrolled: 1-line block ×3, first 2 shown]
	v_cmp_lt_u32_e32 vcc_lo, 33, v7
	s_or_b32 s5, vcc_lo, s5
	s_waitcnt vmcnt(2) lgkmcnt(0)
	v_mul_f64 v[18:19], v[12:13], v[14:15]
	v_mul_f64 v[14:15], v[10:11], v[14:15]
	s_waitcnt vmcnt(0)
	v_fma_f64 v[10:11], v[10:11], v[16:17], -v[18:19]
	v_fma_f64 v[12:13], v[12:13], v[16:17], v[14:15]
	v_add_f64 v[3:4], v[3:4], v[10:11]
	v_add_f64 v[1:2], v[1:2], v[12:13]
	s_andn2_b32 exec_lo, exec_lo, s5
	s_cbranch_execnz .LBB40_153
; %bb.154:
	s_or_b32 exec_lo, exec_lo, s5
	v_mov_b32_e32 v7, 0
	ds_read_b128 v[7:10], v7 offset:560
	s_waitcnt lgkmcnt(0)
	v_mul_f64 v[11:12], v[1:2], v[9:10]
	v_mul_f64 v[9:10], v[3:4], v[9:10]
	v_fma_f64 v[3:4], v[3:4], v[7:8], -v[11:12]
	v_fma_f64 v[1:2], v[1:2], v[7:8], v[9:10]
	buffer_store_dword v4, off, s[0:3], 0 offset:580
	buffer_store_dword v3, off, s[0:3], 0 offset:576
	;; [unrolled: 1-line block ×4, first 2 shown]
.LBB40_155:
	s_or_b32 exec_lo, exec_lo, s4
	v_mov_b32_e32 v4, s16
	s_waitcnt_vscnt null, 0x0
	s_barrier
	buffer_gl0_inv
	s_mov_b32 s4, exec_lo
	s_clause 0x3
	buffer_load_dword v1, v4, s[0:3], 0 offen
	buffer_load_dword v2, v4, s[0:3], 0 offen offset:4
	buffer_load_dword v3, v4, s[0:3], 0 offen offset:8
	;; [unrolled: 1-line block ×3, first 2 shown]
	s_waitcnt vmcnt(0)
	ds_write_b128 v5, v[1:4]
	s_waitcnt lgkmcnt(0)
	s_barrier
	buffer_gl0_inv
	v_cmpx_gt_u32_e32 36, v0
	s_cbranch_execz .LBB40_159
; %bb.156:
	v_mov_b32_e32 v1, 0
	v_mov_b32_e32 v3, 0
	v_add_nc_u32_e32 v7, -1, v0
	v_add_nc_u32_e32 v8, 0x290, v167
	v_mov_b32_e32 v2, 0
	v_mov_b32_e32 v4, 0
	v_add_nc_u32_e32 v9, 16, v167
	s_mov_b32 s5, 0
	.p2align	6
.LBB40_157:                             ; =>This Inner Loop Header: Depth=1
	s_clause 0x3
	buffer_load_dword v14, v9, s[0:3], 0 offen offset:8
	buffer_load_dword v15, v9, s[0:3], 0 offen offset:12
	buffer_load_dword v16, v9, s[0:3], 0 offen
	buffer_load_dword v17, v9, s[0:3], 0 offen offset:4
	ds_read_b128 v[10:13], v8
	v_add_nc_u32_e32 v7, 1, v7
	v_add_nc_u32_e32 v8, 16, v8
	;; [unrolled: 1-line block ×3, first 2 shown]
	v_cmp_lt_u32_e32 vcc_lo, 34, v7
	s_or_b32 s5, vcc_lo, s5
	s_waitcnt vmcnt(2) lgkmcnt(0)
	v_mul_f64 v[18:19], v[12:13], v[14:15]
	v_mul_f64 v[14:15], v[10:11], v[14:15]
	s_waitcnt vmcnt(0)
	v_fma_f64 v[10:11], v[10:11], v[16:17], -v[18:19]
	v_fma_f64 v[12:13], v[12:13], v[16:17], v[14:15]
	v_add_f64 v[3:4], v[3:4], v[10:11]
	v_add_f64 v[1:2], v[1:2], v[12:13]
	s_andn2_b32 exec_lo, exec_lo, s5
	s_cbranch_execnz .LBB40_157
; %bb.158:
	s_or_b32 exec_lo, exec_lo, s5
	v_mov_b32_e32 v7, 0
	ds_read_b128 v[7:10], v7 offset:576
	s_waitcnt lgkmcnt(0)
	v_mul_f64 v[11:12], v[1:2], v[9:10]
	v_mul_f64 v[9:10], v[3:4], v[9:10]
	v_fma_f64 v[3:4], v[3:4], v[7:8], -v[11:12]
	v_fma_f64 v[1:2], v[1:2], v[7:8], v[9:10]
	buffer_store_dword v4, off, s[0:3], 0 offset:596
	buffer_store_dword v3, off, s[0:3], 0 offset:592
	;; [unrolled: 1-line block ×4, first 2 shown]
.LBB40_159:
	s_or_b32 exec_lo, exec_lo, s4
	v_mov_b32_e32 v4, s14
	s_waitcnt_vscnt null, 0x0
	s_barrier
	buffer_gl0_inv
	s_mov_b32 s4, exec_lo
	s_clause 0x3
	buffer_load_dword v1, v4, s[0:3], 0 offen
	buffer_load_dword v2, v4, s[0:3], 0 offen offset:4
	buffer_load_dword v3, v4, s[0:3], 0 offen offset:8
	;; [unrolled: 1-line block ×3, first 2 shown]
	s_waitcnt vmcnt(0)
	ds_write_b128 v5, v[1:4]
	s_waitcnt lgkmcnt(0)
	s_barrier
	buffer_gl0_inv
	v_cmpx_gt_u32_e32 37, v0
	s_cbranch_execz .LBB40_163
; %bb.160:
	v_mov_b32_e32 v1, 0
	v_mov_b32_e32 v3, 0
	v_add_nc_u32_e32 v7, -1, v0
	v_add_nc_u32_e32 v8, 0x290, v167
	v_mov_b32_e32 v2, 0
	v_mov_b32_e32 v4, 0
	v_add_nc_u32_e32 v9, 16, v167
	s_mov_b32 s5, 0
	.p2align	6
.LBB40_161:                             ; =>This Inner Loop Header: Depth=1
	s_clause 0x3
	buffer_load_dword v14, v9, s[0:3], 0 offen offset:8
	buffer_load_dword v15, v9, s[0:3], 0 offen offset:12
	buffer_load_dword v16, v9, s[0:3], 0 offen
	buffer_load_dword v17, v9, s[0:3], 0 offen offset:4
	ds_read_b128 v[10:13], v8
	v_add_nc_u32_e32 v7, 1, v7
	v_add_nc_u32_e32 v8, 16, v8
	;; [unrolled: 1-line block ×3, first 2 shown]
	v_cmp_lt_u32_e32 vcc_lo, 35, v7
	s_or_b32 s5, vcc_lo, s5
	s_waitcnt vmcnt(2) lgkmcnt(0)
	v_mul_f64 v[18:19], v[12:13], v[14:15]
	v_mul_f64 v[14:15], v[10:11], v[14:15]
	s_waitcnt vmcnt(0)
	v_fma_f64 v[10:11], v[10:11], v[16:17], -v[18:19]
	v_fma_f64 v[12:13], v[12:13], v[16:17], v[14:15]
	v_add_f64 v[3:4], v[3:4], v[10:11]
	v_add_f64 v[1:2], v[1:2], v[12:13]
	s_andn2_b32 exec_lo, exec_lo, s5
	s_cbranch_execnz .LBB40_161
; %bb.162:
	s_or_b32 exec_lo, exec_lo, s5
	v_mov_b32_e32 v7, 0
	ds_read_b128 v[7:10], v7 offset:592
	s_waitcnt lgkmcnt(0)
	v_mul_f64 v[11:12], v[1:2], v[9:10]
	v_mul_f64 v[9:10], v[3:4], v[9:10]
	v_fma_f64 v[3:4], v[3:4], v[7:8], -v[11:12]
	v_fma_f64 v[1:2], v[1:2], v[7:8], v[9:10]
	buffer_store_dword v4, off, s[0:3], 0 offset:612
	buffer_store_dword v3, off, s[0:3], 0 offset:608
	;; [unrolled: 1-line block ×4, first 2 shown]
.LBB40_163:
	s_or_b32 exec_lo, exec_lo, s4
	v_mov_b32_e32 v4, s12
	s_waitcnt_vscnt null, 0x0
	s_barrier
	buffer_gl0_inv
	s_mov_b32 s4, exec_lo
	s_clause 0x3
	buffer_load_dword v1, v4, s[0:3], 0 offen
	buffer_load_dword v2, v4, s[0:3], 0 offen offset:4
	buffer_load_dword v3, v4, s[0:3], 0 offen offset:8
	buffer_load_dword v4, v4, s[0:3], 0 offen offset:12
	s_waitcnt vmcnt(0)
	ds_write_b128 v5, v[1:4]
	s_waitcnt lgkmcnt(0)
	s_barrier
	buffer_gl0_inv
	v_cmpx_gt_u32_e32 38, v0
	s_cbranch_execz .LBB40_167
; %bb.164:
	v_mov_b32_e32 v1, 0
	v_mov_b32_e32 v3, 0
	v_add_nc_u32_e32 v7, -1, v0
	v_add_nc_u32_e32 v8, 0x290, v167
	v_mov_b32_e32 v2, 0
	v_mov_b32_e32 v4, 0
	v_add_nc_u32_e32 v9, 16, v167
	s_mov_b32 s5, 0
	.p2align	6
.LBB40_165:                             ; =>This Inner Loop Header: Depth=1
	s_clause 0x3
	buffer_load_dword v14, v9, s[0:3], 0 offen offset:8
	buffer_load_dword v15, v9, s[0:3], 0 offen offset:12
	buffer_load_dword v16, v9, s[0:3], 0 offen
	buffer_load_dword v17, v9, s[0:3], 0 offen offset:4
	ds_read_b128 v[10:13], v8
	v_add_nc_u32_e32 v7, 1, v7
	v_add_nc_u32_e32 v8, 16, v8
	;; [unrolled: 1-line block ×3, first 2 shown]
	v_cmp_lt_u32_e32 vcc_lo, 36, v7
	s_or_b32 s5, vcc_lo, s5
	s_waitcnt vmcnt(2) lgkmcnt(0)
	v_mul_f64 v[18:19], v[12:13], v[14:15]
	v_mul_f64 v[14:15], v[10:11], v[14:15]
	s_waitcnt vmcnt(0)
	v_fma_f64 v[10:11], v[10:11], v[16:17], -v[18:19]
	v_fma_f64 v[12:13], v[12:13], v[16:17], v[14:15]
	v_add_f64 v[3:4], v[3:4], v[10:11]
	v_add_f64 v[1:2], v[1:2], v[12:13]
	s_andn2_b32 exec_lo, exec_lo, s5
	s_cbranch_execnz .LBB40_165
; %bb.166:
	s_or_b32 exec_lo, exec_lo, s5
	v_mov_b32_e32 v7, 0
	ds_read_b128 v[7:10], v7 offset:608
	s_waitcnt lgkmcnt(0)
	v_mul_f64 v[11:12], v[1:2], v[9:10]
	v_mul_f64 v[9:10], v[3:4], v[9:10]
	v_fma_f64 v[3:4], v[3:4], v[7:8], -v[11:12]
	v_fma_f64 v[1:2], v[1:2], v[7:8], v[9:10]
	buffer_store_dword v4, off, s[0:3], 0 offset:628
	buffer_store_dword v3, off, s[0:3], 0 offset:624
	;; [unrolled: 1-line block ×4, first 2 shown]
.LBB40_167:
	s_or_b32 exec_lo, exec_lo, s4
	v_mov_b32_e32 v4, s9
	s_waitcnt_vscnt null, 0x0
	s_barrier
	buffer_gl0_inv
	s_mov_b32 s4, exec_lo
	s_clause 0x3
	buffer_load_dword v1, v4, s[0:3], 0 offen
	buffer_load_dword v2, v4, s[0:3], 0 offen offset:4
	buffer_load_dword v3, v4, s[0:3], 0 offen offset:8
	;; [unrolled: 1-line block ×3, first 2 shown]
	s_waitcnt vmcnt(0)
	ds_write_b128 v5, v[1:4]
	s_waitcnt lgkmcnt(0)
	s_barrier
	buffer_gl0_inv
	v_cmpx_gt_u32_e32 39, v0
	s_cbranch_execz .LBB40_171
; %bb.168:
	v_mov_b32_e32 v1, 0
	v_mov_b32_e32 v3, 0
	v_add_nc_u32_e32 v7, -1, v0
	v_add_nc_u32_e32 v8, 0x290, v167
	v_mov_b32_e32 v2, 0
	v_mov_b32_e32 v4, 0
	v_add_nc_u32_e32 v9, 16, v167
	s_mov_b32 s5, 0
	.p2align	6
.LBB40_169:                             ; =>This Inner Loop Header: Depth=1
	s_clause 0x3
	buffer_load_dword v14, v9, s[0:3], 0 offen offset:8
	buffer_load_dword v15, v9, s[0:3], 0 offen offset:12
	buffer_load_dword v16, v9, s[0:3], 0 offen
	buffer_load_dword v17, v9, s[0:3], 0 offen offset:4
	ds_read_b128 v[10:13], v8
	v_add_nc_u32_e32 v7, 1, v7
	v_add_nc_u32_e32 v8, 16, v8
	;; [unrolled: 1-line block ×3, first 2 shown]
	v_cmp_lt_u32_e32 vcc_lo, 37, v7
	s_or_b32 s5, vcc_lo, s5
	s_waitcnt vmcnt(2) lgkmcnt(0)
	v_mul_f64 v[18:19], v[12:13], v[14:15]
	v_mul_f64 v[14:15], v[10:11], v[14:15]
	s_waitcnt vmcnt(0)
	v_fma_f64 v[10:11], v[10:11], v[16:17], -v[18:19]
	v_fma_f64 v[12:13], v[12:13], v[16:17], v[14:15]
	v_add_f64 v[3:4], v[3:4], v[10:11]
	v_add_f64 v[1:2], v[1:2], v[12:13]
	s_andn2_b32 exec_lo, exec_lo, s5
	s_cbranch_execnz .LBB40_169
; %bb.170:
	s_or_b32 exec_lo, exec_lo, s5
	v_mov_b32_e32 v7, 0
	ds_read_b128 v[7:10], v7 offset:624
	s_waitcnt lgkmcnt(0)
	v_mul_f64 v[11:12], v[1:2], v[9:10]
	v_mul_f64 v[9:10], v[3:4], v[9:10]
	v_fma_f64 v[3:4], v[3:4], v[7:8], -v[11:12]
	v_fma_f64 v[1:2], v[1:2], v[7:8], v[9:10]
	buffer_store_dword v4, off, s[0:3], 0 offset:644
	buffer_store_dword v3, off, s[0:3], 0 offset:640
	;; [unrolled: 1-line block ×4, first 2 shown]
.LBB40_171:
	s_or_b32 exec_lo, exec_lo, s4
	v_mov_b32_e32 v4, s8
	s_waitcnt_vscnt null, 0x0
	s_barrier
	buffer_gl0_inv
	s_mov_b32 s4, exec_lo
	s_clause 0x3
	buffer_load_dword v1, v4, s[0:3], 0 offen
	buffer_load_dword v2, v4, s[0:3], 0 offen offset:4
	buffer_load_dword v3, v4, s[0:3], 0 offen offset:8
	;; [unrolled: 1-line block ×3, first 2 shown]
	s_waitcnt vmcnt(0)
	ds_write_b128 v5, v[1:4]
	s_waitcnt lgkmcnt(0)
	s_barrier
	buffer_gl0_inv
	v_cmpx_ne_u32_e32 40, v0
	s_cbranch_execz .LBB40_175
; %bb.172:
	v_mov_b32_e32 v1, 0
	v_mov_b32_e32 v3, 0
	;; [unrolled: 1-line block ×4, first 2 shown]
	v_add_nc_u32_e32 v7, 16, v167
	s_mov_b32 s5, 0
	.p2align	6
.LBB40_173:                             ; =>This Inner Loop Header: Depth=1
	s_clause 0x3
	buffer_load_dword v12, v7, s[0:3], 0 offen offset:8
	buffer_load_dword v13, v7, s[0:3], 0 offen offset:12
	buffer_load_dword v14, v7, s[0:3], 0 offen
	buffer_load_dword v15, v7, s[0:3], 0 offen offset:4
	ds_read_b128 v[8:11], v5
	v_add_nc_u32_e32 v6, 1, v6
	v_add_nc_u32_e32 v5, 16, v5
	v_add_nc_u32_e32 v7, 16, v7
	v_cmp_lt_u32_e32 vcc_lo, 38, v6
	s_or_b32 s5, vcc_lo, s5
	s_waitcnt vmcnt(2) lgkmcnt(0)
	v_mul_f64 v[16:17], v[10:11], v[12:13]
	v_mul_f64 v[12:13], v[8:9], v[12:13]
	s_waitcnt vmcnt(0)
	v_fma_f64 v[8:9], v[8:9], v[14:15], -v[16:17]
	v_fma_f64 v[10:11], v[10:11], v[14:15], v[12:13]
	v_add_f64 v[3:4], v[3:4], v[8:9]
	v_add_f64 v[1:2], v[1:2], v[10:11]
	s_andn2_b32 exec_lo, exec_lo, s5
	s_cbranch_execnz .LBB40_173
; %bb.174:
	s_or_b32 exec_lo, exec_lo, s5
	v_mov_b32_e32 v5, 0
	ds_read_b128 v[5:8], v5 offset:640
	s_waitcnt lgkmcnt(0)
	v_mul_f64 v[9:10], v[1:2], v[7:8]
	v_mul_f64 v[7:8], v[3:4], v[7:8]
	v_fma_f64 v[3:4], v[3:4], v[5:6], -v[9:10]
	v_fma_f64 v[1:2], v[1:2], v[5:6], v[7:8]
	buffer_store_dword v4, off, s[0:3], 0 offset:660
	buffer_store_dword v3, off, s[0:3], 0 offset:656
	;; [unrolled: 1-line block ×4, first 2 shown]
.LBB40_175:
	s_or_b32 exec_lo, exec_lo, s4
	s_mov_b32 s5, -1
	s_waitcnt_vscnt null, 0x0
	s_barrier
	buffer_gl0_inv
.LBB40_176:
	s_and_b32 vcc_lo, exec_lo, s5
	s_cbranch_vccz .LBB40_178
; %bb.177:
	s_lshl_b64 s[4:5], s[6:7], 2
	v_mov_b32_e32 v1, 0
	s_add_u32 s4, s10, s4
	s_addc_u32 s5, s11, s5
	global_load_dword v1, v1, s[4:5]
	s_waitcnt vmcnt(0)
	v_cmp_ne_u32_e32 vcc_lo, 0, v1
	s_cbranch_vccz .LBB40_179
.LBB40_178:
	s_endpgm
.LBB40_179:
	v_lshl_add_u32 v61, v0, 4, 0x290
	s_mov_b32 s4, exec_lo
	v_cmpx_eq_u32_e32 40, v0
	s_cbranch_execz .LBB40_181
; %bb.180:
	v_mov_b32_e32 v4, s9
	v_mov_b32_e32 v5, 0
	s_clause 0x3
	buffer_load_dword v1, v4, s[0:3], 0 offen
	buffer_load_dword v2, v4, s[0:3], 0 offen offset:4
	buffer_load_dword v3, v4, s[0:3], 0 offen offset:8
	;; [unrolled: 1-line block ×3, first 2 shown]
	buffer_store_dword v5, off, s[0:3], 0 offset:640
	buffer_store_dword v5, off, s[0:3], 0 offset:644
	;; [unrolled: 1-line block ×4, first 2 shown]
	s_waitcnt vmcnt(0)
	ds_write_b128 v61, v[1:4]
.LBB40_181:
	s_or_b32 exec_lo, exec_lo, s4
	s_waitcnt lgkmcnt(0)
	s_waitcnt_vscnt null, 0x0
	s_barrier
	buffer_gl0_inv
	s_clause 0x7
	buffer_load_dword v6, off, s[0:3], 0 offset:664
	buffer_load_dword v7, off, s[0:3], 0 offset:668
	;; [unrolled: 1-line block ×8, first 2 shown]
	v_mov_b32_e32 v1, 0
	s_mov_b32 s4, exec_lo
	ds_read_b128 v[2:5], v1 offset:1296
	s_waitcnt vmcnt(6) lgkmcnt(0)
	v_mul_f64 v[14:15], v[4:5], v[6:7]
	v_mul_f64 v[6:7], v[2:3], v[6:7]
	s_waitcnt vmcnt(4)
	v_fma_f64 v[2:3], v[2:3], v[8:9], -v[14:15]
	v_fma_f64 v[4:5], v[4:5], v[8:9], v[6:7]
	v_add_f64 v[2:3], v[2:3], 0
	v_add_f64 v[4:5], v[4:5], 0
	s_waitcnt vmcnt(2)
	v_add_f64 v[2:3], v[10:11], -v[2:3]
	s_waitcnt vmcnt(0)
	v_add_f64 v[4:5], v[12:13], -v[4:5]
	buffer_store_dword v2, off, s[0:3], 0 offset:640
	buffer_store_dword v3, off, s[0:3], 0 offset:644
	;; [unrolled: 1-line block ×4, first 2 shown]
	v_cmpx_lt_u32_e32 38, v0
	s_cbranch_execz .LBB40_183
; %bb.182:
	v_mov_b32_e32 v5, s12
	s_clause 0x3
	buffer_load_dword v2, v5, s[0:3], 0 offen
	buffer_load_dword v3, v5, s[0:3], 0 offen offset:4
	buffer_load_dword v4, v5, s[0:3], 0 offen offset:8
	;; [unrolled: 1-line block ×3, first 2 shown]
	buffer_store_dword v1, off, s[0:3], 0 offset:624
	buffer_store_dword v1, off, s[0:3], 0 offset:628
	;; [unrolled: 1-line block ×4, first 2 shown]
	s_waitcnt vmcnt(0)
	ds_write_b128 v61, v[2:5]
.LBB40_183:
	s_or_b32 exec_lo, exec_lo, s4
	s_waitcnt lgkmcnt(0)
	s_waitcnt_vscnt null, 0x0
	s_barrier
	buffer_gl0_inv
	s_clause 0xb
	buffer_load_dword v10, off, s[0:3], 0 offset:648
	buffer_load_dword v11, off, s[0:3], 0 offset:652
	;; [unrolled: 1-line block ×12, first 2 shown]
	ds_read_b128 v[2:5], v1 offset:1280
	ds_read_b128 v[6:9], v1 offset:1296
	s_mov_b32 s4, exec_lo
	s_waitcnt vmcnt(10) lgkmcnt(1)
	v_mul_f64 v[22:23], v[4:5], v[10:11]
	v_mul_f64 v[10:11], v[2:3], v[10:11]
	s_waitcnt vmcnt(8) lgkmcnt(0)
	v_mul_f64 v[24:25], v[8:9], v[12:13]
	v_mul_f64 v[12:13], v[6:7], v[12:13]
	s_waitcnt vmcnt(6)
	v_fma_f64 v[1:2], v[2:3], v[14:15], -v[22:23]
	v_fma_f64 v[3:4], v[4:5], v[14:15], v[10:11]
	s_waitcnt vmcnt(4)
	v_fma_f64 v[5:6], v[6:7], v[16:17], -v[24:25]
	v_fma_f64 v[7:8], v[8:9], v[16:17], v[12:13]
	v_add_f64 v[1:2], v[1:2], 0
	v_add_f64 v[3:4], v[3:4], 0
	;; [unrolled: 1-line block ×4, first 2 shown]
	s_waitcnt vmcnt(2)
	v_add_f64 v[1:2], v[18:19], -v[1:2]
	s_waitcnt vmcnt(0)
	v_add_f64 v[3:4], v[20:21], -v[3:4]
	buffer_store_dword v1, off, s[0:3], 0 offset:624
	buffer_store_dword v2, off, s[0:3], 0 offset:628
	;; [unrolled: 1-line block ×4, first 2 shown]
	v_cmpx_lt_u32_e32 37, v0
	s_cbranch_execz .LBB40_185
; %bb.184:
	v_mov_b32_e32 v4, s14
	v_mov_b32_e32 v5, 0
	s_clause 0x3
	buffer_load_dword v1, v4, s[0:3], 0 offen
	buffer_load_dword v2, v4, s[0:3], 0 offen offset:4
	buffer_load_dword v3, v4, s[0:3], 0 offen offset:8
	;; [unrolled: 1-line block ×3, first 2 shown]
	buffer_store_dword v5, off, s[0:3], 0 offset:608
	buffer_store_dword v5, off, s[0:3], 0 offset:612
	;; [unrolled: 1-line block ×4, first 2 shown]
	s_waitcnt vmcnt(0)
	ds_write_b128 v61, v[1:4]
.LBB40_185:
	s_or_b32 exec_lo, exec_lo, s4
	s_waitcnt lgkmcnt(0)
	s_waitcnt_vscnt null, 0x0
	s_barrier
	buffer_gl0_inv
	s_clause 0xf
	buffer_load_dword v10, off, s[0:3], 0 offset:632
	buffer_load_dword v11, off, s[0:3], 0 offset:636
	;; [unrolled: 1-line block ×16, first 2 shown]
	v_mov_b32_e32 v1, 0
	ds_read_b128 v[2:5], v1 offset:1264
	ds_read_b128 v[6:9], v1 offset:1280
	s_mov_b32 s4, exec_lo
	s_waitcnt vmcnt(14) lgkmcnt(1)
	v_mul_f64 v[28:29], v[4:5], v[10:11]
	v_mul_f64 v[30:31], v[2:3], v[10:11]
	s_waitcnt vmcnt(12) lgkmcnt(0)
	v_mul_f64 v[32:33], v[8:9], v[14:15]
	ds_read_b128 v[10:13], v1 offset:1296
	v_mul_f64 v[14:15], v[6:7], v[14:15]
	s_waitcnt vmcnt(10)
	v_fma_f64 v[2:3], v[2:3], v[16:17], -v[28:29]
	v_fma_f64 v[4:5], v[4:5], v[16:17], v[30:31]
	s_waitcnt vmcnt(8) lgkmcnt(0)
	v_mul_f64 v[16:17], v[10:11], v[18:19]
	v_mul_f64 v[18:19], v[12:13], v[18:19]
	s_waitcnt vmcnt(6)
	v_fma_f64 v[6:7], v[6:7], v[20:21], -v[32:33]
	v_fma_f64 v[8:9], v[8:9], v[20:21], v[14:15]
	v_add_f64 v[2:3], v[2:3], 0
	v_add_f64 v[4:5], v[4:5], 0
	s_waitcnt vmcnt(4)
	v_fma_f64 v[10:11], v[10:11], v[22:23], -v[18:19]
	v_add_f64 v[2:3], v[2:3], v[6:7]
	v_fma_f64 v[6:7], v[12:13], v[22:23], v[16:17]
	v_add_f64 v[4:5], v[4:5], v[8:9]
	v_add_f64 v[2:3], v[2:3], v[10:11]
	;; [unrolled: 1-line block ×3, first 2 shown]
	s_waitcnt vmcnt(2)
	v_add_f64 v[2:3], v[24:25], -v[2:3]
	s_waitcnt vmcnt(0)
	v_add_f64 v[4:5], v[26:27], -v[4:5]
	buffer_store_dword v2, off, s[0:3], 0 offset:608
	buffer_store_dword v3, off, s[0:3], 0 offset:612
	;; [unrolled: 1-line block ×4, first 2 shown]
	v_cmpx_lt_u32_e32 36, v0
	s_cbranch_execz .LBB40_187
; %bb.186:
	v_mov_b32_e32 v5, s16
	s_clause 0x3
	buffer_load_dword v2, v5, s[0:3], 0 offen
	buffer_load_dword v3, v5, s[0:3], 0 offen offset:4
	buffer_load_dword v4, v5, s[0:3], 0 offen offset:8
	buffer_load_dword v5, v5, s[0:3], 0 offen offset:12
	buffer_store_dword v1, off, s[0:3], 0 offset:592
	buffer_store_dword v1, off, s[0:3], 0 offset:596
	;; [unrolled: 1-line block ×4, first 2 shown]
	s_waitcnt vmcnt(0)
	ds_write_b128 v61, v[2:5]
.LBB40_187:
	s_or_b32 exec_lo, exec_lo, s4
	s_waitcnt lgkmcnt(0)
	s_waitcnt_vscnt null, 0x0
	s_barrier
	buffer_gl0_inv
	s_clause 0x13
	buffer_load_dword v10, off, s[0:3], 0 offset:616
	buffer_load_dword v11, off, s[0:3], 0 offset:620
	;; [unrolled: 1-line block ×20, first 2 shown]
	ds_read_b128 v[2:5], v1 offset:1248
	ds_read_b128 v[6:9], v1 offset:1264
	s_mov_b32 s4, exec_lo
	s_waitcnt vmcnt(18) lgkmcnt(1)
	v_mul_f64 v[32:33], v[4:5], v[10:11]
	v_mul_f64 v[34:35], v[2:3], v[10:11]
	s_waitcnt vmcnt(16) lgkmcnt(0)
	v_mul_f64 v[36:37], v[8:9], v[14:15]
	ds_read_b128 v[10:13], v1 offset:1280
	v_mul_f64 v[14:15], v[6:7], v[14:15]
	s_waitcnt vmcnt(14)
	v_fma_f64 v[32:33], v[2:3], v[16:17], -v[32:33]
	v_fma_f64 v[16:17], v[4:5], v[16:17], v[34:35]
	s_waitcnt vmcnt(12) lgkmcnt(0)
	v_mul_f64 v[34:35], v[10:11], v[18:19]
	v_mul_f64 v[18:19], v[12:13], v[18:19]
	s_waitcnt vmcnt(10)
	v_fma_f64 v[5:6], v[6:7], v[20:21], -v[36:37]
	ds_read_b128 v[1:4], v1 offset:1296
	v_fma_f64 v[7:8], v[8:9], v[20:21], v[14:15]
	v_add_f64 v[32:33], v[32:33], 0
	v_add_f64 v[14:15], v[16:17], 0
	s_waitcnt vmcnt(8) lgkmcnt(0)
	v_mul_f64 v[20:21], v[3:4], v[22:23]
	s_waitcnt vmcnt(6)
	v_fma_f64 v[9:10], v[10:11], v[24:25], -v[18:19]
	v_mul_f64 v[16:17], v[1:2], v[22:23]
	v_fma_f64 v[11:12], v[12:13], v[24:25], v[34:35]
	v_add_f64 v[5:6], v[32:33], v[5:6]
	v_add_f64 v[7:8], v[14:15], v[7:8]
	s_waitcnt vmcnt(4)
	v_fma_f64 v[1:2], v[1:2], v[26:27], -v[20:21]
	v_fma_f64 v[3:4], v[3:4], v[26:27], v[16:17]
	v_add_f64 v[5:6], v[5:6], v[9:10]
	v_add_f64 v[7:8], v[7:8], v[11:12]
	;; [unrolled: 1-line block ×4, first 2 shown]
	s_waitcnt vmcnt(2)
	v_add_f64 v[1:2], v[28:29], -v[1:2]
	s_waitcnt vmcnt(0)
	v_add_f64 v[3:4], v[30:31], -v[3:4]
	buffer_store_dword v1, off, s[0:3], 0 offset:592
	buffer_store_dword v2, off, s[0:3], 0 offset:596
	;; [unrolled: 1-line block ×4, first 2 shown]
	v_cmpx_lt_u32_e32 35, v0
	s_cbranch_execz .LBB40_189
; %bb.188:
	v_mov_b32_e32 v4, s18
	v_mov_b32_e32 v5, 0
	s_clause 0x3
	buffer_load_dword v1, v4, s[0:3], 0 offen
	buffer_load_dword v2, v4, s[0:3], 0 offen offset:4
	buffer_load_dword v3, v4, s[0:3], 0 offen offset:8
	;; [unrolled: 1-line block ×3, first 2 shown]
	buffer_store_dword v5, off, s[0:3], 0 offset:576
	buffer_store_dword v5, off, s[0:3], 0 offset:580
	buffer_store_dword v5, off, s[0:3], 0 offset:584
	buffer_store_dword v5, off, s[0:3], 0 offset:588
	s_waitcnt vmcnt(0)
	ds_write_b128 v61, v[1:4]
.LBB40_189:
	s_or_b32 exec_lo, exec_lo, s4
	s_waitcnt lgkmcnt(0)
	s_waitcnt_vscnt null, 0x0
	s_barrier
	buffer_gl0_inv
	s_clause 0x17
	buffer_load_dword v10, off, s[0:3], 0 offset:600
	buffer_load_dword v11, off, s[0:3], 0 offset:604
	;; [unrolled: 1-line block ×24, first 2 shown]
	v_mov_b32_e32 v1, 0
	ds_read_b128 v[2:5], v1 offset:1232
	ds_read_b128 v[6:9], v1 offset:1248
	s_mov_b32 s4, exec_lo
	s_waitcnt vmcnt(22) lgkmcnt(1)
	v_mul_f64 v[36:37], v[4:5], v[10:11]
	v_mul_f64 v[38:39], v[2:3], v[10:11]
	s_waitcnt vmcnt(20) lgkmcnt(0)
	v_mul_f64 v[40:41], v[8:9], v[14:15]
	ds_read_b128 v[10:13], v1 offset:1264
	v_mul_f64 v[14:15], v[6:7], v[14:15]
	s_waitcnt vmcnt(18)
	v_fma_f64 v[36:37], v[2:3], v[16:17], -v[36:37]
	v_fma_f64 v[16:17], v[4:5], v[16:17], v[38:39]
	ds_read_b128 v[2:5], v1 offset:1280
	s_waitcnt vmcnt(16) lgkmcnt(1)
	v_mul_f64 v[38:39], v[10:11], v[18:19]
	v_mul_f64 v[18:19], v[12:13], v[18:19]
	s_waitcnt vmcnt(14)
	v_fma_f64 v[40:41], v[6:7], v[20:21], -v[40:41]
	v_fma_f64 v[14:15], v[8:9], v[20:21], v[14:15]
	ds_read_b128 v[6:9], v1 offset:1296
	s_waitcnt vmcnt(10) lgkmcnt(1)
	v_mul_f64 v[20:21], v[2:3], v[22:23]
	v_add_f64 v[36:37], v[36:37], 0
	v_add_f64 v[16:17], v[16:17], 0
	v_mul_f64 v[22:23], v[4:5], v[22:23]
	s_waitcnt vmcnt(8)
	v_fma_f64 v[10:11], v[10:11], v[28:29], -v[18:19]
	v_fma_f64 v[12:13], v[12:13], v[28:29], v[38:39]
	s_waitcnt vmcnt(5)
	v_fma_f64 v[4:5], v[4:5], v[30:31], v[20:21]
	v_add_f64 v[18:19], v[36:37], v[40:41]
	v_add_f64 v[14:15], v[16:17], v[14:15]
	s_waitcnt lgkmcnt(0)
	v_mul_f64 v[16:17], v[6:7], v[24:25]
	v_mul_f64 v[24:25], v[8:9], v[24:25]
	v_fma_f64 v[2:3], v[2:3], v[30:31], -v[22:23]
	v_add_f64 v[10:11], v[18:19], v[10:11]
	v_add_f64 v[12:13], v[14:15], v[12:13]
	s_waitcnt vmcnt(4)
	v_fma_f64 v[8:9], v[8:9], v[26:27], v[16:17]
	v_fma_f64 v[6:7], v[6:7], v[26:27], -v[24:25]
	v_add_f64 v[2:3], v[10:11], v[2:3]
	v_add_f64 v[4:5], v[12:13], v[4:5]
	;; [unrolled: 1-line block ×4, first 2 shown]
	s_waitcnt vmcnt(2)
	v_add_f64 v[2:3], v[32:33], -v[2:3]
	s_waitcnt vmcnt(0)
	v_add_f64 v[4:5], v[34:35], -v[4:5]
	buffer_store_dword v3, off, s[0:3], 0 offset:580
	buffer_store_dword v2, off, s[0:3], 0 offset:576
	;; [unrolled: 1-line block ×4, first 2 shown]
	v_cmpx_lt_u32_e32 34, v0
	s_cbranch_execz .LBB40_191
; %bb.190:
	v_mov_b32_e32 v5, s22
	s_clause 0x3
	buffer_load_dword v2, v5, s[0:3], 0 offen
	buffer_load_dword v3, v5, s[0:3], 0 offen offset:4
	buffer_load_dword v4, v5, s[0:3], 0 offen offset:8
	;; [unrolled: 1-line block ×3, first 2 shown]
	buffer_store_dword v1, off, s[0:3], 0 offset:560
	buffer_store_dword v1, off, s[0:3], 0 offset:564
	;; [unrolled: 1-line block ×4, first 2 shown]
	s_waitcnt vmcnt(0)
	ds_write_b128 v61, v[2:5]
.LBB40_191:
	s_or_b32 exec_lo, exec_lo, s4
	s_waitcnt lgkmcnt(0)
	s_waitcnt_vscnt null, 0x0
	s_barrier
	buffer_gl0_inv
	s_clause 0x1b
	buffer_load_dword v10, off, s[0:3], 0 offset:584
	buffer_load_dword v11, off, s[0:3], 0 offset:588
	buffer_load_dword v14, off, s[0:3], 0 offset:600
	buffer_load_dword v15, off, s[0:3], 0 offset:604
	buffer_load_dword v16, off, s[0:3], 0 offset:576
	buffer_load_dword v17, off, s[0:3], 0 offset:580
	buffer_load_dword v18, off, s[0:3], 0 offset:616
	buffer_load_dword v19, off, s[0:3], 0 offset:620
	buffer_load_dword v20, off, s[0:3], 0 offset:592
	buffer_load_dword v21, off, s[0:3], 0 offset:596
	buffer_load_dword v23, off, s[0:3], 0 offset:636
	buffer_load_dword v24, off, s[0:3], 0 offset:648
	buffer_load_dword v26, off, s[0:3], 0 offset:640
	buffer_load_dword v22, off, s[0:3], 0 offset:632
	buffer_load_dword v28, off, s[0:3], 0 offset:608
	buffer_load_dword v29, off, s[0:3], 0 offset:612
	buffer_load_dword v25, off, s[0:3], 0 offset:652
	buffer_load_dword v31, off, s[0:3], 0 offset:628
	buffer_load_dword v30, off, s[0:3], 0 offset:624
	buffer_load_dword v33, off, s[0:3], 0 offset:668
	buffer_load_dword v32, off, s[0:3], 0 offset:664
	buffer_load_dword v27, off, s[0:3], 0 offset:644
	buffer_load_dword v35, off, s[0:3], 0 offset:660
	buffer_load_dword v34, off, s[0:3], 0 offset:656
	buffer_load_dword v36, off, s[0:3], 0 offset:560
	buffer_load_dword v37, off, s[0:3], 0 offset:564
	buffer_load_dword v38, off, s[0:3], 0 offset:568
	buffer_load_dword v39, off, s[0:3], 0 offset:572
	ds_read_b128 v[2:5], v1 offset:1216
	ds_read_b128 v[6:9], v1 offset:1232
	s_mov_b32 s4, exec_lo
	s_waitcnt vmcnt(26) lgkmcnt(1)
	v_mul_f64 v[40:41], v[4:5], v[10:11]
	v_mul_f64 v[42:43], v[2:3], v[10:11]
	s_waitcnt vmcnt(24) lgkmcnt(0)
	v_mul_f64 v[44:45], v[8:9], v[14:15]
	ds_read_b128 v[10:13], v1 offset:1248
	v_mul_f64 v[14:15], v[6:7], v[14:15]
	s_waitcnt vmcnt(22)
	v_fma_f64 v[40:41], v[2:3], v[16:17], -v[40:41]
	v_fma_f64 v[16:17], v[4:5], v[16:17], v[42:43]
	ds_read_b128 v[2:5], v1 offset:1264
	s_waitcnt vmcnt(20) lgkmcnt(1)
	v_mul_f64 v[42:43], v[10:11], v[18:19]
	v_mul_f64 v[18:19], v[12:13], v[18:19]
	s_waitcnt vmcnt(18)
	v_fma_f64 v[44:45], v[6:7], v[20:21], -v[44:45]
	v_fma_f64 v[14:15], v[8:9], v[20:21], v[14:15]
	ds_read_b128 v[6:9], v1 offset:1280
	s_waitcnt vmcnt(14) lgkmcnt(1)
	v_mul_f64 v[20:21], v[2:3], v[22:23]
	v_add_f64 v[40:41], v[40:41], 0
	v_add_f64 v[16:17], v[16:17], 0
	v_mul_f64 v[22:23], v[4:5], v[22:23]
	s_waitcnt vmcnt(12)
	v_fma_f64 v[18:19], v[10:11], v[28:29], -v[18:19]
	v_fma_f64 v[28:29], v[12:13], v[28:29], v[42:43]
	ds_read_b128 v[10:13], v1 offset:1296
	v_add_f64 v[40:41], v[40:41], v[44:45]
	v_add_f64 v[14:15], v[16:17], v[14:15]
	s_waitcnt vmcnt(11) lgkmcnt(1)
	v_mul_f64 v[16:17], v[6:7], v[24:25]
	v_mul_f64 v[24:25], v[8:9], v[24:25]
	s_waitcnt vmcnt(9)
	v_fma_f64 v[1:2], v[2:3], v[30:31], -v[22:23]
	v_fma_f64 v[3:4], v[4:5], v[30:31], v[20:21]
	s_waitcnt vmcnt(7) lgkmcnt(0)
	v_mul_f64 v[22:23], v[12:13], v[32:33]
	v_mul_f64 v[20:21], v[10:11], v[32:33]
	v_add_f64 v[18:19], v[40:41], v[18:19]
	v_add_f64 v[14:15], v[14:15], v[28:29]
	s_waitcnt vmcnt(6)
	v_fma_f64 v[5:6], v[6:7], v[26:27], -v[24:25]
	v_fma_f64 v[7:8], v[8:9], v[26:27], v[16:17]
	s_waitcnt vmcnt(4)
	v_fma_f64 v[9:10], v[10:11], v[34:35], -v[22:23]
	v_add_f64 v[1:2], v[18:19], v[1:2]
	v_add_f64 v[3:4], v[14:15], v[3:4]
	;; [unrolled: 1-line block ×3, first 2 shown]
	v_fma_f64 v[5:6], v[12:13], v[34:35], v[20:21]
	v_add_f64 v[3:4], v[3:4], v[7:8]
	v_add_f64 v[1:2], v[1:2], v[9:10]
	;; [unrolled: 1-line block ×3, first 2 shown]
	s_waitcnt vmcnt(2)
	v_add_f64 v[1:2], v[36:37], -v[1:2]
	s_waitcnt vmcnt(0)
	v_add_f64 v[3:4], v[38:39], -v[3:4]
	buffer_store_dword v2, off, s[0:3], 0 offset:564
	buffer_store_dword v1, off, s[0:3], 0 offset:560
	;; [unrolled: 1-line block ×4, first 2 shown]
	v_cmpx_lt_u32_e32 33, v0
	s_cbranch_execz .LBB40_193
; %bb.192:
	v_mov_b32_e32 v4, s24
	v_mov_b32_e32 v5, 0
	s_clause 0x3
	buffer_load_dword v1, v4, s[0:3], 0 offen
	buffer_load_dword v2, v4, s[0:3], 0 offen offset:4
	buffer_load_dword v3, v4, s[0:3], 0 offen offset:8
	;; [unrolled: 1-line block ×3, first 2 shown]
	buffer_store_dword v5, off, s[0:3], 0 offset:544
	buffer_store_dword v5, off, s[0:3], 0 offset:548
	;; [unrolled: 1-line block ×4, first 2 shown]
	s_waitcnt vmcnt(0)
	ds_write_b128 v61, v[1:4]
.LBB40_193:
	s_or_b32 exec_lo, exec_lo, s4
	s_waitcnt lgkmcnt(0)
	s_waitcnt_vscnt null, 0x0
	s_barrier
	buffer_gl0_inv
	s_clause 0x1f
	buffer_load_dword v10, off, s[0:3], 0 offset:568
	buffer_load_dword v11, off, s[0:3], 0 offset:572
	;; [unrolled: 1-line block ×32, first 2 shown]
	v_mov_b32_e32 v1, 0
	ds_read_b128 v[2:5], v1 offset:1200
	ds_read_b128 v[6:9], v1 offset:1216
	s_mov_b32 s4, exec_lo
	s_waitcnt vmcnt(30) lgkmcnt(1)
	v_mul_f64 v[44:45], v[4:5], v[10:11]
	v_mul_f64 v[46:47], v[2:3], v[10:11]
	s_waitcnt vmcnt(28) lgkmcnt(0)
	v_mul_f64 v[48:49], v[8:9], v[14:15]
	ds_read_b128 v[10:13], v1 offset:1232
	v_mul_f64 v[14:15], v[6:7], v[14:15]
	s_waitcnt vmcnt(26)
	v_fma_f64 v[44:45], v[2:3], v[16:17], -v[44:45]
	v_fma_f64 v[16:17], v[4:5], v[16:17], v[46:47]
	ds_read_b128 v[2:5], v1 offset:1248
	s_waitcnt vmcnt(24) lgkmcnt(1)
	v_mul_f64 v[46:47], v[10:11], v[18:19]
	v_mul_f64 v[18:19], v[12:13], v[18:19]
	s_waitcnt vmcnt(22)
	v_fma_f64 v[48:49], v[6:7], v[20:21], -v[48:49]
	v_fma_f64 v[14:15], v[8:9], v[20:21], v[14:15]
	ds_read_b128 v[6:9], v1 offset:1264
	s_waitcnt vmcnt(18) lgkmcnt(1)
	v_mul_f64 v[20:21], v[2:3], v[22:23]
	v_add_f64 v[44:45], v[44:45], 0
	v_add_f64 v[16:17], v[16:17], 0
	v_mul_f64 v[22:23], v[4:5], v[22:23]
	s_waitcnt vmcnt(16)
	v_fma_f64 v[18:19], v[10:11], v[28:29], -v[18:19]
	v_fma_f64 v[28:29], v[12:13], v[28:29], v[46:47]
	ds_read_b128 v[10:13], v1 offset:1280
	s_waitcnt vmcnt(13)
	v_fma_f64 v[20:21], v[4:5], v[30:31], v[20:21]
	v_add_f64 v[44:45], v[44:45], v[48:49]
	v_add_f64 v[14:15], v[16:17], v[14:15]
	s_waitcnt lgkmcnt(1)
	v_mul_f64 v[16:17], v[6:7], v[24:25]
	v_mul_f64 v[24:25], v[8:9], v[24:25]
	v_fma_f64 v[22:23], v[2:3], v[30:31], -v[22:23]
	s_waitcnt vmcnt(9) lgkmcnt(0)
	v_mul_f64 v[30:31], v[12:13], v[32:33]
	ds_read_b128 v[2:5], v1 offset:1296
	v_add_f64 v[18:19], v[44:45], v[18:19]
	v_add_f64 v[14:15], v[14:15], v[28:29]
	v_mul_f64 v[28:29], v[10:11], v[32:33]
	s_waitcnt vmcnt(8)
	v_fma_f64 v[6:7], v[6:7], v[26:27], -v[24:25]
	v_fma_f64 v[8:9], v[8:9], v[26:27], v[16:17]
	s_waitcnt vmcnt(5)
	v_fma_f64 v[10:11], v[10:11], v[38:39], -v[30:31]
	s_waitcnt lgkmcnt(0)
	v_mul_f64 v[16:17], v[2:3], v[34:35]
	v_add_f64 v[18:19], v[18:19], v[22:23]
	v_add_f64 v[14:15], v[14:15], v[20:21]
	v_mul_f64 v[20:21], v[4:5], v[34:35]
	v_fma_f64 v[12:13], v[12:13], v[38:39], v[28:29]
	s_waitcnt vmcnt(4)
	v_fma_f64 v[4:5], v[4:5], v[36:37], v[16:17]
	v_add_f64 v[6:7], v[18:19], v[6:7]
	v_add_f64 v[8:9], v[14:15], v[8:9]
	v_fma_f64 v[2:3], v[2:3], v[36:37], -v[20:21]
	v_add_f64 v[6:7], v[6:7], v[10:11]
	v_add_f64 v[8:9], v[8:9], v[12:13]
	;; [unrolled: 1-line block ×4, first 2 shown]
	s_waitcnt vmcnt(2)
	v_add_f64 v[2:3], v[40:41], -v[2:3]
	s_waitcnt vmcnt(0)
	v_add_f64 v[4:5], v[42:43], -v[4:5]
	buffer_store_dword v3, off, s[0:3], 0 offset:548
	buffer_store_dword v2, off, s[0:3], 0 offset:544
	;; [unrolled: 1-line block ×4, first 2 shown]
	v_cmpx_lt_u32_e32 32, v0
	s_cbranch_execz .LBB40_195
; %bb.194:
	v_mov_b32_e32 v5, s26
	s_clause 0x3
	buffer_load_dword v2, v5, s[0:3], 0 offen
	buffer_load_dword v3, v5, s[0:3], 0 offen offset:4
	buffer_load_dword v4, v5, s[0:3], 0 offen offset:8
	;; [unrolled: 1-line block ×3, first 2 shown]
	buffer_store_dword v1, off, s[0:3], 0 offset:528
	buffer_store_dword v1, off, s[0:3], 0 offset:532
	;; [unrolled: 1-line block ×4, first 2 shown]
	s_waitcnt vmcnt(0)
	ds_write_b128 v61, v[2:5]
.LBB40_195:
	s_or_b32 exec_lo, exec_lo, s4
	s_waitcnt lgkmcnt(0)
	s_waitcnt_vscnt null, 0x0
	s_barrier
	buffer_gl0_inv
	s_clause 0x23
	buffer_load_dword v10, off, s[0:3], 0 offset:552
	buffer_load_dword v11, off, s[0:3], 0 offset:556
	;; [unrolled: 1-line block ×36, first 2 shown]
	ds_read_b128 v[2:5], v1 offset:1184
	ds_read_b128 v[6:9], v1 offset:1200
	s_mov_b32 s4, exec_lo
	s_waitcnt vmcnt(34) lgkmcnt(1)
	v_mul_f64 v[48:49], v[4:5], v[10:11]
	v_mul_f64 v[50:51], v[2:3], v[10:11]
	s_waitcnt vmcnt(32) lgkmcnt(0)
	v_mul_f64 v[52:53], v[8:9], v[14:15]
	ds_read_b128 v[10:13], v1 offset:1216
	v_mul_f64 v[14:15], v[6:7], v[14:15]
	s_waitcnt vmcnt(30)
	v_fma_f64 v[48:49], v[2:3], v[16:17], -v[48:49]
	v_fma_f64 v[16:17], v[4:5], v[16:17], v[50:51]
	ds_read_b128 v[2:5], v1 offset:1232
	s_waitcnt vmcnt(28) lgkmcnt(1)
	v_mul_f64 v[50:51], v[10:11], v[18:19]
	v_mul_f64 v[18:19], v[12:13], v[18:19]
	s_waitcnt vmcnt(26)
	v_fma_f64 v[52:53], v[6:7], v[20:21], -v[52:53]
	v_fma_f64 v[14:15], v[8:9], v[20:21], v[14:15]
	ds_read_b128 v[6:9], v1 offset:1248
	s_waitcnt vmcnt(22) lgkmcnt(1)
	v_mul_f64 v[20:21], v[2:3], v[22:23]
	v_add_f64 v[48:49], v[48:49], 0
	v_add_f64 v[16:17], v[16:17], 0
	v_mul_f64 v[22:23], v[4:5], v[22:23]
	s_waitcnt vmcnt(20)
	v_fma_f64 v[18:19], v[10:11], v[28:29], -v[18:19]
	v_fma_f64 v[28:29], v[12:13], v[28:29], v[50:51]
	ds_read_b128 v[10:13], v1 offset:1264
	s_waitcnt vmcnt(17)
	v_fma_f64 v[20:21], v[4:5], v[30:31], v[20:21]
	v_add_f64 v[48:49], v[48:49], v[52:53]
	v_add_f64 v[14:15], v[16:17], v[14:15]
	s_waitcnt lgkmcnt(1)
	v_mul_f64 v[16:17], v[6:7], v[24:25]
	v_mul_f64 v[24:25], v[8:9], v[24:25]
	v_fma_f64 v[22:23], v[2:3], v[30:31], -v[22:23]
	s_waitcnt vmcnt(13) lgkmcnt(0)
	v_mul_f64 v[30:31], v[12:13], v[32:33]
	ds_read_b128 v[2:5], v1 offset:1280
	v_add_f64 v[18:19], v[48:49], v[18:19]
	v_add_f64 v[14:15], v[14:15], v[28:29]
	v_mul_f64 v[28:29], v[10:11], v[32:33]
	s_waitcnt vmcnt(12)
	v_fma_f64 v[24:25], v[6:7], v[26:27], -v[24:25]
	v_fma_f64 v[16:17], v[8:9], v[26:27], v[16:17]
	ds_read_b128 v[6:9], v1 offset:1296
	s_waitcnt vmcnt(9)
	v_fma_f64 v[10:11], v[10:11], v[38:39], -v[30:31]
	v_add_f64 v[18:19], v[18:19], v[22:23]
	v_add_f64 v[14:15], v[14:15], v[20:21]
	s_waitcnt lgkmcnt(1)
	v_mul_f64 v[22:23], v[4:5], v[34:35]
	v_mul_f64 v[20:21], v[2:3], v[34:35]
	v_fma_f64 v[12:13], v[12:13], v[38:39], v[28:29]
	v_add_f64 v[18:19], v[18:19], v[24:25]
	v_add_f64 v[14:15], v[14:15], v[16:17]
	s_waitcnt vmcnt(7) lgkmcnt(0)
	v_mul_f64 v[24:25], v[8:9], v[40:41]
	s_waitcnt vmcnt(6)
	v_fma_f64 v[1:2], v[2:3], v[36:37], -v[22:23]
	v_mul_f64 v[16:17], v[6:7], v[40:41]
	v_fma_f64 v[3:4], v[4:5], v[36:37], v[20:21]
	v_add_f64 v[10:11], v[18:19], v[10:11]
	v_add_f64 v[12:13], v[14:15], v[12:13]
	s_waitcnt vmcnt(4)
	v_fma_f64 v[5:6], v[6:7], v[42:43], -v[24:25]
	v_fma_f64 v[7:8], v[8:9], v[42:43], v[16:17]
	v_add_f64 v[1:2], v[10:11], v[1:2]
	v_add_f64 v[3:4], v[12:13], v[3:4]
	;; [unrolled: 1-line block ×4, first 2 shown]
	s_waitcnt vmcnt(2)
	v_add_f64 v[1:2], v[44:45], -v[1:2]
	s_waitcnt vmcnt(0)
	v_add_f64 v[3:4], v[46:47], -v[3:4]
	buffer_store_dword v2, off, s[0:3], 0 offset:532
	buffer_store_dword v1, off, s[0:3], 0 offset:528
	;; [unrolled: 1-line block ×4, first 2 shown]
	v_cmpx_lt_u32_e32 31, v0
	s_cbranch_execz .LBB40_197
; %bb.196:
	v_mov_b32_e32 v4, s28
	v_mov_b32_e32 v5, 0
	s_clause 0x3
	buffer_load_dword v1, v4, s[0:3], 0 offen
	buffer_load_dword v2, v4, s[0:3], 0 offen offset:4
	buffer_load_dword v3, v4, s[0:3], 0 offen offset:8
	;; [unrolled: 1-line block ×3, first 2 shown]
	buffer_store_dword v5, off, s[0:3], 0 offset:512
	buffer_store_dword v5, off, s[0:3], 0 offset:516
	;; [unrolled: 1-line block ×4, first 2 shown]
	s_waitcnt vmcnt(0)
	ds_write_b128 v61, v[1:4]
.LBB40_197:
	s_or_b32 exec_lo, exec_lo, s4
	s_waitcnt lgkmcnt(0)
	s_waitcnt_vscnt null, 0x0
	s_barrier
	buffer_gl0_inv
	s_clause 0x27
	buffer_load_dword v10, off, s[0:3], 0 offset:536
	buffer_load_dword v11, off, s[0:3], 0 offset:540
	;; [unrolled: 1-line block ×40, first 2 shown]
	v_mov_b32_e32 v1, 0
	ds_read_b128 v[2:5], v1 offset:1168
	ds_read_b128 v[6:9], v1 offset:1184
	s_mov_b32 s4, exec_lo
	s_waitcnt vmcnt(38) lgkmcnt(1)
	v_mul_f64 v[52:53], v[4:5], v[10:11]
	v_mul_f64 v[54:55], v[2:3], v[10:11]
	s_waitcnt vmcnt(36) lgkmcnt(0)
	v_mul_f64 v[56:57], v[8:9], v[14:15]
	ds_read_b128 v[10:13], v1 offset:1200
	v_mul_f64 v[14:15], v[6:7], v[14:15]
	s_waitcnt vmcnt(34)
	v_fma_f64 v[52:53], v[2:3], v[16:17], -v[52:53]
	v_fma_f64 v[16:17], v[4:5], v[16:17], v[54:55]
	ds_read_b128 v[2:5], v1 offset:1216
	s_waitcnt vmcnt(32) lgkmcnt(1)
	v_mul_f64 v[54:55], v[10:11], v[18:19]
	v_mul_f64 v[18:19], v[12:13], v[18:19]
	s_waitcnt vmcnt(30)
	v_fma_f64 v[56:57], v[6:7], v[20:21], -v[56:57]
	v_fma_f64 v[14:15], v[8:9], v[20:21], v[14:15]
	ds_read_b128 v[6:9], v1 offset:1232
	s_waitcnt vmcnt(26) lgkmcnt(1)
	v_mul_f64 v[20:21], v[2:3], v[22:23]
	v_add_f64 v[52:53], v[52:53], 0
	v_add_f64 v[16:17], v[16:17], 0
	v_mul_f64 v[22:23], v[4:5], v[22:23]
	s_waitcnt vmcnt(24)
	v_fma_f64 v[18:19], v[10:11], v[28:29], -v[18:19]
	v_fma_f64 v[28:29], v[12:13], v[28:29], v[54:55]
	ds_read_b128 v[10:13], v1 offset:1248
	s_waitcnt vmcnt(21)
	v_fma_f64 v[20:21], v[4:5], v[30:31], v[20:21]
	v_add_f64 v[52:53], v[52:53], v[56:57]
	v_add_f64 v[14:15], v[16:17], v[14:15]
	s_waitcnt lgkmcnt(1)
	v_mul_f64 v[16:17], v[6:7], v[24:25]
	v_mul_f64 v[24:25], v[8:9], v[24:25]
	v_fma_f64 v[22:23], v[2:3], v[30:31], -v[22:23]
	s_waitcnt vmcnt(17) lgkmcnt(0)
	v_mul_f64 v[30:31], v[12:13], v[32:33]
	ds_read_b128 v[2:5], v1 offset:1264
	v_add_f64 v[18:19], v[52:53], v[18:19]
	v_add_f64 v[14:15], v[14:15], v[28:29]
	v_mul_f64 v[28:29], v[10:11], v[32:33]
	s_waitcnt vmcnt(16)
	v_fma_f64 v[24:25], v[6:7], v[26:27], -v[24:25]
	v_fma_f64 v[16:17], v[8:9], v[26:27], v[16:17]
	ds_read_b128 v[6:9], v1 offset:1280
	s_waitcnt vmcnt(13)
	v_fma_f64 v[26:27], v[10:11], v[38:39], -v[30:31]
	v_add_f64 v[18:19], v[18:19], v[22:23]
	v_add_f64 v[14:15], v[14:15], v[20:21]
	s_waitcnt lgkmcnt(1)
	v_mul_f64 v[22:23], v[4:5], v[34:35]
	v_mul_f64 v[20:21], v[2:3], v[34:35]
	v_add_f64 v[18:19], v[18:19], v[24:25]
	v_fma_f64 v[24:25], v[12:13], v[38:39], v[28:29]
	v_add_f64 v[14:15], v[14:15], v[16:17]
	s_waitcnt vmcnt(9) lgkmcnt(0)
	v_mul_f64 v[28:29], v[8:9], v[40:41]
	s_waitcnt vmcnt(8)
	v_fma_f64 v[2:3], v[2:3], v[36:37], -v[22:23]
	ds_read_b128 v[10:13], v1 offset:1296
	v_mul_f64 v[16:17], v[6:7], v[40:41]
	v_fma_f64 v[4:5], v[4:5], v[36:37], v[20:21]
	v_add_f64 v[18:19], v[18:19], v[26:27]
	v_add_f64 v[14:15], v[14:15], v[24:25]
	s_waitcnt vmcnt(7) lgkmcnt(0)
	v_mul_f64 v[22:23], v[12:13], v[42:43]
	s_waitcnt vmcnt(5)
	v_fma_f64 v[6:7], v[6:7], v[46:47], -v[28:29]
	v_mul_f64 v[20:21], v[10:11], v[42:43]
	v_fma_f64 v[8:9], v[8:9], v[46:47], v[16:17]
	v_add_f64 v[2:3], v[18:19], v[2:3]
	v_add_f64 v[4:5], v[14:15], v[4:5]
	s_waitcnt vmcnt(4)
	v_fma_f64 v[10:11], v[10:11], v[44:45], -v[22:23]
	v_add_f64 v[2:3], v[2:3], v[6:7]
	v_fma_f64 v[6:7], v[12:13], v[44:45], v[20:21]
	v_add_f64 v[4:5], v[4:5], v[8:9]
	v_add_f64 v[2:3], v[2:3], v[10:11]
	v_add_f64 v[4:5], v[4:5], v[6:7]
	s_waitcnt vmcnt(2)
	v_add_f64 v[2:3], v[48:49], -v[2:3]
	s_waitcnt vmcnt(0)
	v_add_f64 v[4:5], v[50:51], -v[4:5]
	buffer_store_dword v3, off, s[0:3], 0 offset:516
	buffer_store_dword v2, off, s[0:3], 0 offset:512
	;; [unrolled: 1-line block ×4, first 2 shown]
	v_cmpx_lt_u32_e32 30, v0
	s_cbranch_execz .LBB40_199
; %bb.198:
	v_mov_b32_e32 v5, s29
	s_clause 0x3
	buffer_load_dword v2, v5, s[0:3], 0 offen
	buffer_load_dword v3, v5, s[0:3], 0 offen offset:4
	buffer_load_dword v4, v5, s[0:3], 0 offen offset:8
	;; [unrolled: 1-line block ×3, first 2 shown]
	buffer_store_dword v1, off, s[0:3], 0 offset:496
	buffer_store_dword v1, off, s[0:3], 0 offset:500
	;; [unrolled: 1-line block ×4, first 2 shown]
	s_waitcnt vmcnt(0)
	ds_write_b128 v61, v[2:5]
.LBB40_199:
	s_or_b32 exec_lo, exec_lo, s4
	s_waitcnt lgkmcnt(0)
	s_waitcnt_vscnt null, 0x0
	s_barrier
	buffer_gl0_inv
	s_clause 0x2b
	buffer_load_dword v10, off, s[0:3], 0 offset:520
	buffer_load_dword v11, off, s[0:3], 0 offset:524
	buffer_load_dword v14, off, s[0:3], 0 offset:536
	buffer_load_dword v15, off, s[0:3], 0 offset:540
	buffer_load_dword v16, off, s[0:3], 0 offset:512
	buffer_load_dword v17, off, s[0:3], 0 offset:516
	buffer_load_dword v18, off, s[0:3], 0 offset:552
	buffer_load_dword v19, off, s[0:3], 0 offset:556
	buffer_load_dword v20, off, s[0:3], 0 offset:528
	buffer_load_dword v21, off, s[0:3], 0 offset:532
	buffer_load_dword v23, off, s[0:3], 0 offset:572
	buffer_load_dword v24, off, s[0:3], 0 offset:584
	buffer_load_dword v26, off, s[0:3], 0 offset:576
	buffer_load_dword v22, off, s[0:3], 0 offset:568
	buffer_load_dword v28, off, s[0:3], 0 offset:544
	buffer_load_dword v29, off, s[0:3], 0 offset:548
	buffer_load_dword v25, off, s[0:3], 0 offset:588
	buffer_load_dword v31, off, s[0:3], 0 offset:564
	buffer_load_dword v30, off, s[0:3], 0 offset:560
	buffer_load_dword v33, off, s[0:3], 0 offset:604
	buffer_load_dword v34, off, s[0:3], 0 offset:616
	buffer_load_dword v36, off, s[0:3], 0 offset:608
	buffer_load_dword v32, off, s[0:3], 0 offset:600
	buffer_load_dword v27, off, s[0:3], 0 offset:580
	buffer_load_dword v35, off, s[0:3], 0 offset:620
	buffer_load_dword v39, off, s[0:3], 0 offset:596
	buffer_load_dword v38, off, s[0:3], 0 offset:592
	buffer_load_dword v41, off, s[0:3], 0 offset:636
	buffer_load_dword v42, off, s[0:3], 0 offset:648
	buffer_load_dword v44, off, s[0:3], 0 offset:640
	buffer_load_dword v40, off, s[0:3], 0 offset:632
	buffer_load_dword v37, off, s[0:3], 0 offset:612
	buffer_load_dword v43, off, s[0:3], 0 offset:652
	buffer_load_dword v47, off, s[0:3], 0 offset:628
	buffer_load_dword v46, off, s[0:3], 0 offset:624
	buffer_load_dword v49, off, s[0:3], 0 offset:668
	buffer_load_dword v48, off, s[0:3], 0 offset:664
	buffer_load_dword v45, off, s[0:3], 0 offset:644
	buffer_load_dword v51, off, s[0:3], 0 offset:660
	buffer_load_dword v50, off, s[0:3], 0 offset:656
	buffer_load_dword v52, off, s[0:3], 0 offset:496
	buffer_load_dword v53, off, s[0:3], 0 offset:500
	buffer_load_dword v54, off, s[0:3], 0 offset:504
	buffer_load_dword v55, off, s[0:3], 0 offset:508
	ds_read_b128 v[2:5], v1 offset:1152
	ds_read_b128 v[6:9], v1 offset:1168
	s_mov_b32 s4, exec_lo
	s_waitcnt vmcnt(42) lgkmcnt(1)
	v_mul_f64 v[56:57], v[4:5], v[10:11]
	v_mul_f64 v[58:59], v[2:3], v[10:11]
	s_waitcnt vmcnt(40) lgkmcnt(0)
	v_mul_f64 v[62:63], v[8:9], v[14:15]
	ds_read_b128 v[10:13], v1 offset:1184
	v_mul_f64 v[14:15], v[6:7], v[14:15]
	s_waitcnt vmcnt(38)
	v_fma_f64 v[56:57], v[2:3], v[16:17], -v[56:57]
	v_fma_f64 v[16:17], v[4:5], v[16:17], v[58:59]
	ds_read_b128 v[2:5], v1 offset:1200
	s_waitcnt vmcnt(36) lgkmcnt(1)
	v_mul_f64 v[58:59], v[10:11], v[18:19]
	v_mul_f64 v[18:19], v[12:13], v[18:19]
	s_waitcnt vmcnt(34)
	v_fma_f64 v[62:63], v[6:7], v[20:21], -v[62:63]
	v_fma_f64 v[14:15], v[8:9], v[20:21], v[14:15]
	ds_read_b128 v[6:9], v1 offset:1216
	s_waitcnt vmcnt(30) lgkmcnt(1)
	v_mul_f64 v[20:21], v[2:3], v[22:23]
	v_add_f64 v[56:57], v[56:57], 0
	v_add_f64 v[16:17], v[16:17], 0
	v_mul_f64 v[22:23], v[4:5], v[22:23]
	s_waitcnt vmcnt(28)
	v_fma_f64 v[18:19], v[10:11], v[28:29], -v[18:19]
	v_fma_f64 v[28:29], v[12:13], v[28:29], v[58:59]
	ds_read_b128 v[10:13], v1 offset:1232
	s_waitcnt vmcnt(25)
	v_fma_f64 v[20:21], v[4:5], v[30:31], v[20:21]
	v_add_f64 v[56:57], v[56:57], v[62:63]
	v_add_f64 v[14:15], v[16:17], v[14:15]
	s_waitcnt lgkmcnt(1)
	v_mul_f64 v[16:17], v[6:7], v[24:25]
	v_mul_f64 v[24:25], v[8:9], v[24:25]
	v_fma_f64 v[22:23], v[2:3], v[30:31], -v[22:23]
	s_waitcnt vmcnt(21) lgkmcnt(0)
	v_mul_f64 v[30:31], v[12:13], v[32:33]
	ds_read_b128 v[2:5], v1 offset:1248
	v_add_f64 v[18:19], v[56:57], v[18:19]
	v_add_f64 v[14:15], v[14:15], v[28:29]
	v_mul_f64 v[28:29], v[10:11], v[32:33]
	s_waitcnt vmcnt(20)
	v_fma_f64 v[24:25], v[6:7], v[26:27], -v[24:25]
	v_fma_f64 v[16:17], v[8:9], v[26:27], v[16:17]
	ds_read_b128 v[6:9], v1 offset:1264
	s_waitcnt vmcnt(17)
	v_fma_f64 v[26:27], v[10:11], v[38:39], -v[30:31]
	v_add_f64 v[18:19], v[18:19], v[22:23]
	v_add_f64 v[14:15], v[14:15], v[20:21]
	s_waitcnt lgkmcnt(1)
	v_mul_f64 v[22:23], v[4:5], v[34:35]
	v_mul_f64 v[20:21], v[2:3], v[34:35]
	v_add_f64 v[18:19], v[18:19], v[24:25]
	v_fma_f64 v[24:25], v[12:13], v[38:39], v[28:29]
	v_add_f64 v[14:15], v[14:15], v[16:17]
	s_waitcnt vmcnt(13) lgkmcnt(0)
	v_mul_f64 v[28:29], v[8:9], v[40:41]
	s_waitcnt vmcnt(12)
	v_fma_f64 v[22:23], v[2:3], v[36:37], -v[22:23]
	ds_read_b128 v[10:13], v1 offset:1280
	v_mul_f64 v[16:17], v[6:7], v[40:41]
	v_fma_f64 v[20:21], v[4:5], v[36:37], v[20:21]
	ds_read_b128 v[1:4], v1 offset:1296
	v_add_f64 v[18:19], v[18:19], v[26:27]
	v_add_f64 v[14:15], v[14:15], v[24:25]
	s_waitcnt vmcnt(11) lgkmcnt(1)
	v_mul_f64 v[26:27], v[12:13], v[42:43]
	s_waitcnt vmcnt(9)
	v_fma_f64 v[5:6], v[6:7], v[46:47], -v[28:29]
	v_mul_f64 v[24:25], v[10:11], v[42:43]
	v_fma_f64 v[7:8], v[8:9], v[46:47], v[16:17]
	s_waitcnt vmcnt(7) lgkmcnt(0)
	v_mul_f64 v[16:17], v[1:2], v[48:49]
	v_add_f64 v[18:19], v[18:19], v[22:23]
	v_add_f64 v[14:15], v[14:15], v[20:21]
	v_mul_f64 v[20:21], v[3:4], v[48:49]
	s_waitcnt vmcnt(6)
	v_fma_f64 v[9:10], v[10:11], v[44:45], -v[26:27]
	v_fma_f64 v[11:12], v[12:13], v[44:45], v[24:25]
	s_waitcnt vmcnt(4)
	v_fma_f64 v[3:4], v[3:4], v[50:51], v[16:17]
	v_add_f64 v[5:6], v[18:19], v[5:6]
	v_add_f64 v[7:8], v[14:15], v[7:8]
	v_fma_f64 v[1:2], v[1:2], v[50:51], -v[20:21]
	v_add_f64 v[5:6], v[5:6], v[9:10]
	v_add_f64 v[7:8], v[7:8], v[11:12]
	;; [unrolled: 1-line block ×4, first 2 shown]
	s_waitcnt vmcnt(2)
	v_add_f64 v[1:2], v[52:53], -v[1:2]
	s_waitcnt vmcnt(0)
	v_add_f64 v[3:4], v[54:55], -v[3:4]
	buffer_store_dword v2, off, s[0:3], 0 offset:500
	buffer_store_dword v1, off, s[0:3], 0 offset:496
	;; [unrolled: 1-line block ×4, first 2 shown]
	v_cmpx_lt_u32_e32 29, v0
	s_cbranch_execz .LBB40_201
; %bb.200:
	v_mov_b32_e32 v4, s31
	v_mov_b32_e32 v5, 0
	s_clause 0x3
	buffer_load_dword v1, v4, s[0:3], 0 offen
	buffer_load_dword v2, v4, s[0:3], 0 offen offset:4
	buffer_load_dword v3, v4, s[0:3], 0 offen offset:8
	buffer_load_dword v4, v4, s[0:3], 0 offen offset:12
	buffer_store_dword v5, off, s[0:3], 0 offset:480
	buffer_store_dword v5, off, s[0:3], 0 offset:484
	;; [unrolled: 1-line block ×4, first 2 shown]
	s_waitcnt vmcnt(0)
	ds_write_b128 v61, v[1:4]
.LBB40_201:
	s_or_b32 exec_lo, exec_lo, s4
	s_waitcnt lgkmcnt(0)
	s_waitcnt_vscnt null, 0x0
	s_barrier
	buffer_gl0_inv
	s_clause 0x2f
	buffer_load_dword v10, off, s[0:3], 0 offset:504
	buffer_load_dword v11, off, s[0:3], 0 offset:508
	;; [unrolled: 1-line block ×48, first 2 shown]
	v_mov_b32_e32 v1, 0
	ds_read_b128 v[2:5], v1 offset:1136
	ds_read_b128 v[6:9], v1 offset:1152
	s_mov_b32 s4, exec_lo
	s_waitcnt vmcnt(46) lgkmcnt(1)
	v_mul_f64 v[62:63], v[4:5], v[10:11]
	v_mul_f64 v[64:65], v[2:3], v[10:11]
	s_waitcnt vmcnt(44) lgkmcnt(0)
	v_mul_f64 v[66:67], v[8:9], v[14:15]
	ds_read_b128 v[10:13], v1 offset:1168
	v_mul_f64 v[14:15], v[6:7], v[14:15]
	s_waitcnt vmcnt(42)
	v_fma_f64 v[62:63], v[2:3], v[16:17], -v[62:63]
	v_fma_f64 v[16:17], v[4:5], v[16:17], v[64:65]
	ds_read_b128 v[2:5], v1 offset:1184
	s_waitcnt vmcnt(40) lgkmcnt(1)
	v_mul_f64 v[64:65], v[10:11], v[18:19]
	v_mul_f64 v[18:19], v[12:13], v[18:19]
	s_waitcnt vmcnt(38)
	v_fma_f64 v[66:67], v[6:7], v[20:21], -v[66:67]
	v_fma_f64 v[14:15], v[8:9], v[20:21], v[14:15]
	ds_read_b128 v[6:9], v1 offset:1200
	s_waitcnt vmcnt(34) lgkmcnt(1)
	v_mul_f64 v[20:21], v[2:3], v[22:23]
	v_add_f64 v[62:63], v[62:63], 0
	v_add_f64 v[16:17], v[16:17], 0
	v_mul_f64 v[22:23], v[4:5], v[22:23]
	s_waitcnt vmcnt(32)
	v_fma_f64 v[18:19], v[10:11], v[28:29], -v[18:19]
	v_fma_f64 v[28:29], v[12:13], v[28:29], v[64:65]
	ds_read_b128 v[10:13], v1 offset:1216
	s_waitcnt vmcnt(29)
	v_fma_f64 v[20:21], v[4:5], v[30:31], v[20:21]
	v_add_f64 v[62:63], v[62:63], v[66:67]
	v_add_f64 v[14:15], v[16:17], v[14:15]
	s_waitcnt lgkmcnt(1)
	v_mul_f64 v[16:17], v[6:7], v[24:25]
	v_mul_f64 v[24:25], v[8:9], v[24:25]
	v_fma_f64 v[22:23], v[2:3], v[30:31], -v[22:23]
	s_waitcnt vmcnt(25) lgkmcnt(0)
	v_mul_f64 v[30:31], v[12:13], v[32:33]
	ds_read_b128 v[2:5], v1 offset:1232
	v_add_f64 v[18:19], v[62:63], v[18:19]
	v_add_f64 v[14:15], v[14:15], v[28:29]
	v_mul_f64 v[28:29], v[10:11], v[32:33]
	s_waitcnt vmcnt(24)
	v_fma_f64 v[24:25], v[6:7], v[26:27], -v[24:25]
	v_fma_f64 v[16:17], v[8:9], v[26:27], v[16:17]
	ds_read_b128 v[6:9], v1 offset:1248
	s_waitcnt vmcnt(21)
	v_fma_f64 v[26:27], v[10:11], v[38:39], -v[30:31]
	v_add_f64 v[18:19], v[18:19], v[22:23]
	v_add_f64 v[14:15], v[14:15], v[20:21]
	s_waitcnt lgkmcnt(1)
	v_mul_f64 v[22:23], v[4:5], v[34:35]
	v_mul_f64 v[20:21], v[2:3], v[34:35]
	v_add_f64 v[18:19], v[18:19], v[24:25]
	v_fma_f64 v[24:25], v[12:13], v[38:39], v[28:29]
	v_add_f64 v[14:15], v[14:15], v[16:17]
	s_waitcnt vmcnt(17) lgkmcnt(0)
	v_mul_f64 v[28:29], v[8:9], v[40:41]
	s_waitcnt vmcnt(16)
	v_fma_f64 v[22:23], v[2:3], v[36:37], -v[22:23]
	ds_read_b128 v[10:13], v1 offset:1264
	v_mul_f64 v[16:17], v[6:7], v[40:41]
	v_fma_f64 v[20:21], v[4:5], v[36:37], v[20:21]
	ds_read_b128 v[2:5], v1 offset:1280
	v_add_f64 v[18:19], v[18:19], v[26:27]
	v_add_f64 v[14:15], v[14:15], v[24:25]
	s_waitcnt vmcnt(15) lgkmcnt(1)
	v_mul_f64 v[26:27], v[12:13], v[42:43]
	s_waitcnt vmcnt(13)
	v_fma_f64 v[28:29], v[6:7], v[46:47], -v[28:29]
	v_mul_f64 v[24:25], v[10:11], v[42:43]
	v_fma_f64 v[16:17], v[8:9], v[46:47], v[16:17]
	ds_read_b128 v[6:9], v1 offset:1296
	v_add_f64 v[18:19], v[18:19], v[22:23]
	s_waitcnt vmcnt(9) lgkmcnt(1)
	v_mul_f64 v[22:23], v[4:5], v[48:49]
	v_add_f64 v[14:15], v[14:15], v[20:21]
	s_waitcnt vmcnt(8)
	v_fma_f64 v[10:11], v[10:11], v[44:45], -v[26:27]
	v_mul_f64 v[20:21], v[2:3], v[48:49]
	v_fma_f64 v[12:13], v[12:13], v[44:45], v[24:25]
	s_waitcnt vmcnt(7) lgkmcnt(0)
	v_mul_f64 v[24:25], v[8:9], v[50:51]
	v_add_f64 v[18:19], v[18:19], v[28:29]
	s_waitcnt vmcnt(5)
	v_fma_f64 v[2:3], v[2:3], v[54:55], -v[22:23]
	v_add_f64 v[14:15], v[14:15], v[16:17]
	v_mul_f64 v[16:17], v[6:7], v[50:51]
	v_fma_f64 v[4:5], v[4:5], v[54:55], v[20:21]
	s_waitcnt vmcnt(4)
	v_fma_f64 v[6:7], v[6:7], v[52:53], -v[24:25]
	v_add_f64 v[10:11], v[18:19], v[10:11]
	v_add_f64 v[12:13], v[14:15], v[12:13]
	v_fma_f64 v[8:9], v[8:9], v[52:53], v[16:17]
	v_add_f64 v[2:3], v[10:11], v[2:3]
	v_add_f64 v[4:5], v[12:13], v[4:5]
	;; [unrolled: 1-line block ×4, first 2 shown]
	s_waitcnt vmcnt(2)
	v_add_f64 v[2:3], v[56:57], -v[2:3]
	s_waitcnt vmcnt(0)
	v_add_f64 v[4:5], v[58:59], -v[4:5]
	buffer_store_dword v3, off, s[0:3], 0 offset:484
	buffer_store_dword v2, off, s[0:3], 0 offset:480
	buffer_store_dword v5, off, s[0:3], 0 offset:492
	buffer_store_dword v4, off, s[0:3], 0 offset:488
	v_cmpx_lt_u32_e32 28, v0
	s_cbranch_execz .LBB40_203
; %bb.202:
	v_mov_b32_e32 v5, s34
	s_clause 0x3
	buffer_load_dword v2, v5, s[0:3], 0 offen
	buffer_load_dword v3, v5, s[0:3], 0 offen offset:4
	buffer_load_dword v4, v5, s[0:3], 0 offen offset:8
	;; [unrolled: 1-line block ×3, first 2 shown]
	buffer_store_dword v1, off, s[0:3], 0 offset:464
	buffer_store_dword v1, off, s[0:3], 0 offset:468
	;; [unrolled: 1-line block ×4, first 2 shown]
	s_waitcnt vmcnt(0)
	ds_write_b128 v61, v[2:5]
.LBB40_203:
	s_or_b32 exec_lo, exec_lo, s4
	s_waitcnt lgkmcnt(0)
	s_waitcnt_vscnt null, 0x0
	s_barrier
	buffer_gl0_inv
	s_clause 0x2f
	buffer_load_dword v10, off, s[0:3], 0 offset:488
	buffer_load_dword v11, off, s[0:3], 0 offset:492
	;; [unrolled: 1-line block ×48, first 2 shown]
	ds_read_b128 v[2:5], v1 offset:1120
	s_clause 0x3
	buffer_load_dword v62, off, s[0:3], 0 offset:464
	buffer_load_dword v63, off, s[0:3], 0 offset:468
	;; [unrolled: 1-line block ×4, first 2 shown]
	ds_read_b128 v[6:9], v1 offset:1136
	s_mov_b32 s4, exec_lo
	s_waitcnt vmcnt(50) lgkmcnt(1)
	v_mul_f64 v[66:67], v[4:5], v[10:11]
	v_mul_f64 v[68:69], v[2:3], v[10:11]
	ds_read_b128 v[10:13], v1 offset:1152
	s_waitcnt vmcnt(48) lgkmcnt(1)
	v_mul_f64 v[70:71], v[8:9], v[14:15]
	v_mul_f64 v[14:15], v[6:7], v[14:15]
	s_waitcnt vmcnt(46)
	v_fma_f64 v[66:67], v[2:3], v[16:17], -v[66:67]
	v_fma_f64 v[16:17], v[4:5], v[16:17], v[68:69]
	s_waitcnt vmcnt(44) lgkmcnt(0)
	v_mul_f64 v[68:69], v[10:11], v[18:19]
	v_mul_f64 v[18:19], v[12:13], v[18:19]
	s_waitcnt vmcnt(42)
	v_fma_f64 v[70:71], v[6:7], v[20:21], -v[70:71]
	ds_read_b128 v[2:5], v1 offset:1168
	v_fma_f64 v[14:15], v[8:9], v[20:21], v[14:15]
	ds_read_b128 v[6:9], v1 offset:1184
	v_add_f64 v[66:67], v[66:67], 0
	v_add_f64 v[16:17], v[16:17], 0
	s_waitcnt vmcnt(38) lgkmcnt(1)
	v_mul_f64 v[20:21], v[2:3], v[22:23]
	v_mul_f64 v[22:23], v[4:5], v[22:23]
	s_waitcnt vmcnt(36)
	v_fma_f64 v[18:19], v[10:11], v[28:29], -v[18:19]
	v_fma_f64 v[28:29], v[12:13], v[28:29], v[68:69]
	ds_read_b128 v[10:13], v1 offset:1200
	v_add_f64 v[66:67], v[66:67], v[70:71]
	v_add_f64 v[14:15], v[16:17], v[14:15]
	s_waitcnt vmcnt(35) lgkmcnt(1)
	v_mul_f64 v[16:17], v[6:7], v[24:25]
	v_mul_f64 v[24:25], v[8:9], v[24:25]
	s_waitcnt vmcnt(33)
	v_fma_f64 v[22:23], v[2:3], v[30:31], -v[22:23]
	v_fma_f64 v[20:21], v[4:5], v[30:31], v[20:21]
	ds_read_b128 v[2:5], v1 offset:1216
	s_waitcnt vmcnt(29) lgkmcnt(1)
	v_mul_f64 v[30:31], v[12:13], v[32:33]
	v_add_f64 v[18:19], v[66:67], v[18:19]
	v_add_f64 v[14:15], v[14:15], v[28:29]
	v_mul_f64 v[28:29], v[10:11], v[32:33]
	s_waitcnt vmcnt(28)
	v_fma_f64 v[24:25], v[6:7], v[26:27], -v[24:25]
	v_fma_f64 v[16:17], v[8:9], v[26:27], v[16:17]
	ds_read_b128 v[6:9], v1 offset:1232
	s_waitcnt vmcnt(25)
	v_fma_f64 v[26:27], v[10:11], v[38:39], -v[30:31]
	v_add_f64 v[18:19], v[18:19], v[22:23]
	v_add_f64 v[14:15], v[14:15], v[20:21]
	s_waitcnt lgkmcnt(1)
	v_mul_f64 v[22:23], v[4:5], v[34:35]
	v_mul_f64 v[20:21], v[2:3], v[34:35]
	v_add_f64 v[18:19], v[18:19], v[24:25]
	v_fma_f64 v[24:25], v[12:13], v[38:39], v[28:29]
	v_add_f64 v[14:15], v[14:15], v[16:17]
	ds_read_b128 v[10:13], v1 offset:1248
	s_waitcnt vmcnt(21) lgkmcnt(1)
	v_mul_f64 v[28:29], v[8:9], v[40:41]
	s_waitcnt vmcnt(20)
	v_fma_f64 v[22:23], v[2:3], v[36:37], -v[22:23]
	v_mul_f64 v[16:17], v[6:7], v[40:41]
	v_fma_f64 v[20:21], v[4:5], v[36:37], v[20:21]
	ds_read_b128 v[2:5], v1 offset:1264
	v_add_f64 v[18:19], v[18:19], v[26:27]
	s_waitcnt vmcnt(19) lgkmcnt(1)
	v_mul_f64 v[26:27], v[12:13], v[42:43]
	v_add_f64 v[14:15], v[14:15], v[24:25]
	v_mul_f64 v[24:25], v[10:11], v[42:43]
	s_waitcnt vmcnt(17)
	v_fma_f64 v[28:29], v[6:7], v[46:47], -v[28:29]
	v_fma_f64 v[16:17], v[8:9], v[46:47], v[16:17]
	ds_read_b128 v[6:9], v1 offset:1280
	v_add_f64 v[18:19], v[18:19], v[22:23]
	s_waitcnt vmcnt(13) lgkmcnt(1)
	v_mul_f64 v[22:23], v[4:5], v[48:49]
	v_add_f64 v[14:15], v[14:15], v[20:21]
	s_waitcnt vmcnt(12)
	v_fma_f64 v[26:27], v[10:11], v[44:45], -v[26:27]
	v_mul_f64 v[20:21], v[2:3], v[48:49]
	v_fma_f64 v[24:25], v[12:13], v[44:45], v[24:25]
	ds_read_b128 v[10:13], v1 offset:1296
	v_add_f64 v[18:19], v[18:19], v[28:29]
	s_waitcnt vmcnt(11) lgkmcnt(1)
	v_mul_f64 v[28:29], v[8:9], v[50:51]
	v_add_f64 v[14:15], v[14:15], v[16:17]
	s_waitcnt vmcnt(9)
	v_fma_f64 v[1:2], v[2:3], v[54:55], -v[22:23]
	v_mul_f64 v[16:17], v[6:7], v[50:51]
	v_fma_f64 v[3:4], v[4:5], v[54:55], v[20:21]
	s_waitcnt vmcnt(7) lgkmcnt(0)
	v_mul_f64 v[22:23], v[12:13], v[56:57]
	v_mul_f64 v[20:21], v[10:11], v[56:57]
	v_add_f64 v[18:19], v[18:19], v[26:27]
	s_waitcnt vmcnt(6)
	v_fma_f64 v[5:6], v[6:7], v[52:53], -v[28:29]
	v_add_f64 v[14:15], v[14:15], v[24:25]
	v_fma_f64 v[7:8], v[8:9], v[52:53], v[16:17]
	s_waitcnt vmcnt(4)
	v_fma_f64 v[9:10], v[10:11], v[58:59], -v[22:23]
	v_add_f64 v[1:2], v[18:19], v[1:2]
	v_add_f64 v[3:4], v[14:15], v[3:4]
	;; [unrolled: 1-line block ×3, first 2 shown]
	v_fma_f64 v[5:6], v[12:13], v[58:59], v[20:21]
	v_add_f64 v[3:4], v[3:4], v[7:8]
	v_add_f64 v[1:2], v[1:2], v[9:10]
	;; [unrolled: 1-line block ×3, first 2 shown]
	s_waitcnt vmcnt(2)
	v_add_f64 v[1:2], v[62:63], -v[1:2]
	s_waitcnt vmcnt(0)
	v_add_f64 v[3:4], v[64:65], -v[3:4]
	buffer_store_dword v2, off, s[0:3], 0 offset:468
	buffer_store_dword v1, off, s[0:3], 0 offset:464
	;; [unrolled: 1-line block ×4, first 2 shown]
	v_cmpx_lt_u32_e32 27, v0
	s_cbranch_execz .LBB40_205
; %bb.204:
	v_mov_b32_e32 v4, s36
	v_mov_b32_e32 v5, 0
	s_clause 0x3
	buffer_load_dword v1, v4, s[0:3], 0 offen
	buffer_load_dword v2, v4, s[0:3], 0 offen offset:4
	buffer_load_dword v3, v4, s[0:3], 0 offen offset:8
	buffer_load_dword v4, v4, s[0:3], 0 offen offset:12
	buffer_store_dword v5, off, s[0:3], 0 offset:448
	buffer_store_dword v5, off, s[0:3], 0 offset:452
	;; [unrolled: 1-line block ×4, first 2 shown]
	s_waitcnt vmcnt(0)
	ds_write_b128 v61, v[1:4]
.LBB40_205:
	s_or_b32 exec_lo, exec_lo, s4
	s_waitcnt lgkmcnt(0)
	s_waitcnt_vscnt null, 0x0
	s_barrier
	buffer_gl0_inv
	s_clause 0x33
	buffer_load_dword v10, off, s[0:3], 0 offset:472
	buffer_load_dword v11, off, s[0:3], 0 offset:476
	;; [unrolled: 1-line block ×52, first 2 shown]
	v_mov_b32_e32 v1, 0
	ds_read_b128 v[2:5], v1 offset:1104
	ds_read_b128 v[6:9], v1 offset:1120
	s_clause 0x3
	buffer_load_dword v70, off, s[0:3], 0 offset:448
	buffer_load_dword v71, off, s[0:3], 0 offset:452
	;; [unrolled: 1-line block ×4, first 2 shown]
	s_mov_b32 s4, exec_lo
	s_waitcnt vmcnt(54) lgkmcnt(1)
	v_mul_f64 v[66:67], v[4:5], v[10:11]
	v_mul_f64 v[68:69], v[2:3], v[10:11]
	s_waitcnt vmcnt(52) lgkmcnt(0)
	v_mul_f64 v[74:75], v[8:9], v[14:15]
	ds_read_b128 v[10:13], v1 offset:1136
	v_mul_f64 v[14:15], v[6:7], v[14:15]
	s_waitcnt vmcnt(50)
	v_fma_f64 v[66:67], v[2:3], v[16:17], -v[66:67]
	v_fma_f64 v[16:17], v[4:5], v[16:17], v[68:69]
	ds_read_b128 v[2:5], v1 offset:1152
	s_waitcnt vmcnt(48) lgkmcnt(1)
	v_mul_f64 v[68:69], v[10:11], v[18:19]
	v_mul_f64 v[18:19], v[12:13], v[18:19]
	s_waitcnt vmcnt(46)
	v_fma_f64 v[74:75], v[6:7], v[20:21], -v[74:75]
	v_fma_f64 v[14:15], v[8:9], v[20:21], v[14:15]
	ds_read_b128 v[6:9], v1 offset:1168
	s_waitcnt vmcnt(42) lgkmcnt(1)
	v_mul_f64 v[20:21], v[2:3], v[22:23]
	v_add_f64 v[66:67], v[66:67], 0
	v_add_f64 v[16:17], v[16:17], 0
	v_mul_f64 v[22:23], v[4:5], v[22:23]
	s_waitcnt vmcnt(40)
	v_fma_f64 v[18:19], v[10:11], v[28:29], -v[18:19]
	v_fma_f64 v[28:29], v[12:13], v[28:29], v[68:69]
	ds_read_b128 v[10:13], v1 offset:1184
	s_waitcnt vmcnt(37)
	v_fma_f64 v[20:21], v[4:5], v[30:31], v[20:21]
	v_add_f64 v[66:67], v[66:67], v[74:75]
	v_add_f64 v[14:15], v[16:17], v[14:15]
	s_waitcnt lgkmcnt(1)
	v_mul_f64 v[16:17], v[6:7], v[24:25]
	v_mul_f64 v[24:25], v[8:9], v[24:25]
	v_fma_f64 v[22:23], v[2:3], v[30:31], -v[22:23]
	s_waitcnt vmcnt(33) lgkmcnt(0)
	v_mul_f64 v[30:31], v[12:13], v[32:33]
	ds_read_b128 v[2:5], v1 offset:1200
	v_add_f64 v[18:19], v[66:67], v[18:19]
	v_add_f64 v[14:15], v[14:15], v[28:29]
	v_mul_f64 v[28:29], v[10:11], v[32:33]
	s_waitcnt vmcnt(32)
	v_fma_f64 v[24:25], v[6:7], v[26:27], -v[24:25]
	v_fma_f64 v[16:17], v[8:9], v[26:27], v[16:17]
	ds_read_b128 v[6:9], v1 offset:1216
	s_waitcnt vmcnt(29)
	v_fma_f64 v[26:27], v[10:11], v[38:39], -v[30:31]
	v_add_f64 v[18:19], v[18:19], v[22:23]
	v_add_f64 v[14:15], v[14:15], v[20:21]
	s_waitcnt lgkmcnt(1)
	v_mul_f64 v[22:23], v[4:5], v[34:35]
	v_mul_f64 v[20:21], v[2:3], v[34:35]
	v_add_f64 v[18:19], v[18:19], v[24:25]
	v_fma_f64 v[24:25], v[12:13], v[38:39], v[28:29]
	v_add_f64 v[14:15], v[14:15], v[16:17]
	s_waitcnt vmcnt(25) lgkmcnt(0)
	v_mul_f64 v[28:29], v[8:9], v[40:41]
	s_waitcnt vmcnt(24)
	v_fma_f64 v[22:23], v[2:3], v[36:37], -v[22:23]
	ds_read_b128 v[10:13], v1 offset:1232
	v_mul_f64 v[16:17], v[6:7], v[40:41]
	v_fma_f64 v[20:21], v[4:5], v[36:37], v[20:21]
	ds_read_b128 v[2:5], v1 offset:1248
	v_add_f64 v[18:19], v[18:19], v[26:27]
	v_add_f64 v[14:15], v[14:15], v[24:25]
	s_waitcnt vmcnt(23) lgkmcnt(1)
	v_mul_f64 v[26:27], v[12:13], v[42:43]
	s_waitcnt vmcnt(21)
	v_fma_f64 v[28:29], v[6:7], v[46:47], -v[28:29]
	v_mul_f64 v[24:25], v[10:11], v[42:43]
	v_fma_f64 v[16:17], v[8:9], v[46:47], v[16:17]
	ds_read_b128 v[6:9], v1 offset:1264
	v_add_f64 v[18:19], v[18:19], v[22:23]
	s_waitcnt vmcnt(17) lgkmcnt(1)
	v_mul_f64 v[22:23], v[4:5], v[48:49]
	v_add_f64 v[14:15], v[14:15], v[20:21]
	s_waitcnt vmcnt(16)
	v_fma_f64 v[26:27], v[10:11], v[44:45], -v[26:27]
	v_mul_f64 v[20:21], v[2:3], v[48:49]
	v_fma_f64 v[24:25], v[12:13], v[44:45], v[24:25]
	ds_read_b128 v[10:13], v1 offset:1280
	v_add_f64 v[18:19], v[18:19], v[28:29]
	s_waitcnt vmcnt(15) lgkmcnt(1)
	v_mul_f64 v[28:29], v[8:9], v[50:51]
	v_add_f64 v[14:15], v[14:15], v[16:17]
	;; [unrolled: 9-line block ×3, first 2 shown]
	s_waitcnt vmcnt(8)
	v_fma_f64 v[6:7], v[6:7], v[52:53], -v[28:29]
	v_mul_f64 v[24:25], v[10:11], v[56:57]
	v_fma_f64 v[8:9], v[8:9], v[52:53], v[16:17]
	s_waitcnt vmcnt(7) lgkmcnt(0)
	v_mul_f64 v[16:17], v[2:3], v[58:59]
	v_add_f64 v[18:19], v[18:19], v[22:23]
	s_waitcnt vmcnt(5)
	v_fma_f64 v[10:11], v[10:11], v[64:65], -v[26:27]
	v_add_f64 v[14:15], v[14:15], v[20:21]
	v_mul_f64 v[20:21], v[4:5], v[58:59]
	v_fma_f64 v[12:13], v[12:13], v[64:65], v[24:25]
	s_waitcnt vmcnt(4)
	v_fma_f64 v[4:5], v[4:5], v[62:63], v[16:17]
	v_add_f64 v[6:7], v[18:19], v[6:7]
	v_add_f64 v[8:9], v[14:15], v[8:9]
	v_fma_f64 v[2:3], v[2:3], v[62:63], -v[20:21]
	v_add_f64 v[6:7], v[6:7], v[10:11]
	v_add_f64 v[8:9], v[8:9], v[12:13]
	;; [unrolled: 1-line block ×4, first 2 shown]
	s_waitcnt vmcnt(2)
	v_add_f64 v[2:3], v[70:71], -v[2:3]
	s_waitcnt vmcnt(0)
	v_add_f64 v[4:5], v[72:73], -v[4:5]
	buffer_store_dword v3, off, s[0:3], 0 offset:452
	buffer_store_dword v2, off, s[0:3], 0 offset:448
	;; [unrolled: 1-line block ×4, first 2 shown]
	v_cmpx_lt_u32_e32 26, v0
	s_cbranch_execz .LBB40_207
; %bb.206:
	v_mov_b32_e32 v5, s38
	s_clause 0x3
	buffer_load_dword v2, v5, s[0:3], 0 offen
	buffer_load_dword v3, v5, s[0:3], 0 offen offset:4
	buffer_load_dword v4, v5, s[0:3], 0 offen offset:8
	;; [unrolled: 1-line block ×3, first 2 shown]
	buffer_store_dword v1, off, s[0:3], 0 offset:432
	buffer_store_dword v1, off, s[0:3], 0 offset:436
	;; [unrolled: 1-line block ×4, first 2 shown]
	s_waitcnt vmcnt(0)
	ds_write_b128 v61, v[2:5]
.LBB40_207:
	s_or_b32 exec_lo, exec_lo, s4
	s_waitcnt lgkmcnt(0)
	s_waitcnt_vscnt null, 0x0
	s_barrier
	buffer_gl0_inv
	s_clause 0x35
	buffer_load_dword v10, off, s[0:3], 0 offset:456
	buffer_load_dword v11, off, s[0:3], 0 offset:460
	;; [unrolled: 1-line block ×54, first 2 shown]
	ds_read_b128 v[2:5], v1 offset:1088
	s_clause 0x1
	buffer_load_dword v69, off, s[0:3], 0 offset:660
	buffer_load_dword v68, off, s[0:3], 0 offset:656
	ds_read_b128 v[6:9], v1 offset:1104
	s_mov_b32 s4, exec_lo
	s_waitcnt vmcnt(54) lgkmcnt(1)
	v_mul_f64 v[70:71], v[4:5], v[10:11]
	v_mul_f64 v[72:73], v[2:3], v[10:11]
	ds_read_b128 v[10:13], v1 offset:1120
	s_waitcnt vmcnt(52) lgkmcnt(1)
	v_mul_f64 v[74:75], v[8:9], v[14:15]
	v_mul_f64 v[14:15], v[6:7], v[14:15]
	s_waitcnt vmcnt(48) lgkmcnt(0)
	v_mul_f64 v[78:79], v[10:11], v[18:19]
	v_fma_f64 v[70:71], v[2:3], v[16:17], -v[70:71]
	v_fma_f64 v[16:17], v[4:5], v[16:17], v[72:73]
	s_clause 0x3
	buffer_load_dword v72, off, s[0:3], 0 offset:432
	buffer_load_dword v73, off, s[0:3], 0 offset:436
	;; [unrolled: 1-line block ×4, first 2 shown]
	v_mul_f64 v[18:19], v[12:13], v[18:19]
	s_waitcnt vmcnt(50)
	v_fma_f64 v[74:75], v[6:7], v[20:21], -v[74:75]
	ds_read_b128 v[2:5], v1 offset:1136
	v_fma_f64 v[14:15], v[8:9], v[20:21], v[14:15]
	ds_read_b128 v[6:9], v1 offset:1152
	v_add_f64 v[70:71], v[70:71], 0
	v_add_f64 v[16:17], v[16:17], 0
	s_waitcnt vmcnt(48) lgkmcnt(1)
	v_mul_f64 v[20:21], v[2:3], v[22:23]
	v_mul_f64 v[22:23], v[4:5], v[22:23]
	s_waitcnt vmcnt(46)
	v_fma_f64 v[18:19], v[10:11], v[24:25], -v[18:19]
	v_fma_f64 v[24:25], v[12:13], v[24:25], v[78:79]
	ds_read_b128 v[10:13], v1 offset:1168
	v_add_f64 v[70:71], v[70:71], v[74:75]
	v_add_f64 v[14:15], v[16:17], v[14:15]
	s_waitcnt vmcnt(44) lgkmcnt(1)
	v_mul_f64 v[16:17], v[6:7], v[26:27]
	v_mul_f64 v[26:27], v[8:9], v[26:27]
	s_waitcnt vmcnt(42)
	v_fma_f64 v[22:23], v[2:3], v[28:29], -v[22:23]
	v_fma_f64 v[20:21], v[4:5], v[28:29], v[20:21]
	ds_read_b128 v[2:5], v1 offset:1184
	s_waitcnt vmcnt(40) lgkmcnt(1)
	v_mul_f64 v[28:29], v[12:13], v[30:31]
	v_add_f64 v[18:19], v[70:71], v[18:19]
	v_add_f64 v[14:15], v[14:15], v[24:25]
	v_mul_f64 v[24:25], v[10:11], v[30:31]
	s_waitcnt vmcnt(38)
	v_fma_f64 v[26:27], v[6:7], v[32:33], -v[26:27]
	v_fma_f64 v[16:17], v[8:9], v[32:33], v[16:17]
	ds_read_b128 v[6:9], v1 offset:1200
	s_waitcnt vmcnt(34)
	v_fma_f64 v[28:29], v[10:11], v[36:37], -v[28:29]
	v_add_f64 v[18:19], v[18:19], v[22:23]
	v_add_f64 v[14:15], v[14:15], v[20:21]
	s_waitcnt lgkmcnt(1)
	v_mul_f64 v[22:23], v[4:5], v[34:35]
	v_mul_f64 v[20:21], v[2:3], v[34:35]
	v_fma_f64 v[24:25], v[12:13], v[36:37], v[24:25]
	ds_read_b128 v[10:13], v1 offset:1216
	v_add_f64 v[18:19], v[18:19], v[26:27]
	v_add_f64 v[14:15], v[14:15], v[16:17]
	s_waitcnt vmcnt(32) lgkmcnt(1)
	v_mul_f64 v[26:27], v[8:9], v[38:39]
	s_waitcnt vmcnt(30)
	v_fma_f64 v[22:23], v[2:3], v[40:41], -v[22:23]
	v_mul_f64 v[16:17], v[6:7], v[38:39]
	v_fma_f64 v[20:21], v[4:5], v[40:41], v[20:21]
	ds_read_b128 v[2:5], v1 offset:1232
	v_add_f64 v[18:19], v[18:19], v[28:29]
	v_add_f64 v[14:15], v[14:15], v[24:25]
	s_waitcnt vmcnt(28) lgkmcnt(1)
	v_mul_f64 v[28:29], v[12:13], v[42:43]
	s_waitcnt vmcnt(26)
	v_fma_f64 v[26:27], v[6:7], v[44:45], -v[26:27]
	;; [unrolled: 9-line block ×6, first 2 shown]
	v_mul_f64 v[20:21], v[2:3], v[58:59]
	v_fma_f64 v[12:13], v[12:13], v[62:63], v[24:25]
	s_waitcnt vmcnt(8) lgkmcnt(0)
	v_mul_f64 v[24:25], v[8:9], v[64:65]
	v_add_f64 v[18:19], v[18:19], v[26:27]
	v_add_f64 v[14:15], v[14:15], v[16:17]
	s_waitcnt vmcnt(6)
	v_fma_f64 v[1:2], v[2:3], v[66:67], -v[22:23]
	v_mul_f64 v[16:17], v[6:7], v[64:65]
	v_fma_f64 v[3:4], v[4:5], v[66:67], v[20:21]
	s_waitcnt vmcnt(4)
	v_fma_f64 v[5:6], v[6:7], v[68:69], -v[24:25]
	v_add_f64 v[10:11], v[18:19], v[10:11]
	v_add_f64 v[12:13], v[14:15], v[12:13]
	v_fma_f64 v[7:8], v[8:9], v[68:69], v[16:17]
	v_add_f64 v[1:2], v[10:11], v[1:2]
	v_add_f64 v[3:4], v[12:13], v[3:4]
	;; [unrolled: 1-line block ×4, first 2 shown]
	s_waitcnt vmcnt(2)
	v_add_f64 v[1:2], v[72:73], -v[1:2]
	s_waitcnt vmcnt(0)
	v_add_f64 v[3:4], v[76:77], -v[3:4]
	buffer_store_dword v2, off, s[0:3], 0 offset:436
	buffer_store_dword v1, off, s[0:3], 0 offset:432
	;; [unrolled: 1-line block ×4, first 2 shown]
	v_cmpx_lt_u32_e32 25, v0
	s_cbranch_execz .LBB40_209
; %bb.208:
	v_mov_b32_e32 v4, s13
	v_mov_b32_e32 v5, 0
	s_clause 0x3
	buffer_load_dword v1, v4, s[0:3], 0 offen
	buffer_load_dword v2, v4, s[0:3], 0 offen offset:4
	buffer_load_dword v3, v4, s[0:3], 0 offen offset:8
	buffer_load_dword v4, v4, s[0:3], 0 offen offset:12
	buffer_store_dword v5, off, s[0:3], 0 offset:416
	buffer_store_dword v5, off, s[0:3], 0 offset:420
	;; [unrolled: 1-line block ×4, first 2 shown]
	s_waitcnt vmcnt(0)
	ds_write_b128 v61, v[1:4]
.LBB40_209:
	s_or_b32 exec_lo, exec_lo, s4
	s_waitcnt lgkmcnt(0)
	s_waitcnt_vscnt null, 0x0
	s_barrier
	buffer_gl0_inv
	s_clause 0x37
	buffer_load_dword v10, off, s[0:3], 0 offset:440
	buffer_load_dword v11, off, s[0:3], 0 offset:444
	;; [unrolled: 1-line block ×56, first 2 shown]
	v_mov_b32_e32 v1, 0
	s_mov_b32 s4, exec_lo
	ds_read_b128 v[2:5], v1 offset:1072
	s_clause 0x2
	buffer_load_dword v69, off, s[0:3], 0 offset:668
	buffer_load_dword v73, off, s[0:3], 0 offset:644
	;; [unrolled: 1-line block ×3, first 2 shown]
	ds_read_b128 v[6:9], v1 offset:1088
	buffer_load_dword v71, off, s[0:3], 0 offset:660
	s_waitcnt vmcnt(58) lgkmcnt(1)
	v_mul_f64 v[74:75], v[4:5], v[10:11]
	v_mul_f64 v[76:77], v[2:3], v[10:11]
	ds_read_b128 v[10:13], v1 offset:1104
	s_waitcnt vmcnt(56) lgkmcnt(1)
	v_mul_f64 v[78:79], v[8:9], v[14:15]
	v_mul_f64 v[14:15], v[6:7], v[14:15]
	s_waitcnt vmcnt(54)
	v_fma_f64 v[74:75], v[2:3], v[16:17], -v[74:75]
	v_fma_f64 v[16:17], v[4:5], v[16:17], v[76:77]
	s_waitcnt vmcnt(52) lgkmcnt(0)
	v_mul_f64 v[76:77], v[10:11], v[18:19]
	v_mul_f64 v[18:19], v[12:13], v[18:19]
	s_waitcnt vmcnt(50)
	v_fma_f64 v[78:79], v[6:7], v[20:21], -v[78:79]
	ds_read_b128 v[2:5], v1 offset:1120
	v_fma_f64 v[14:15], v[8:9], v[20:21], v[14:15]
	s_clause 0x3
	buffer_load_dword v20, off, s[0:3], 0 offset:416
	buffer_load_dword v21, off, s[0:3], 0 offset:420
	;; [unrolled: 1-line block ×4, first 2 shown]
	ds_read_b128 v[6:9], v1 offset:1136
	v_add_f64 v[74:75], v[74:75], 0
	v_add_f64 v[16:17], v[16:17], 0
	s_waitcnt vmcnt(50) lgkmcnt(1)
	v_mul_f64 v[82:83], v[2:3], v[22:23]
	v_mul_f64 v[22:23], v[4:5], v[22:23]
	s_waitcnt vmcnt(48)
	v_fma_f64 v[18:19], v[10:11], v[28:29], -v[18:19]
	v_fma_f64 v[28:29], v[12:13], v[28:29], v[76:77]
	ds_read_b128 v[10:13], v1 offset:1152
	v_add_f64 v[74:75], v[74:75], v[78:79]
	v_add_f64 v[14:15], v[16:17], v[14:15]
	s_waitcnt vmcnt(47) lgkmcnt(1)
	v_mul_f64 v[16:17], v[6:7], v[24:25]
	v_mul_f64 v[24:25], v[8:9], v[24:25]
	s_waitcnt vmcnt(45)
	v_fma_f64 v[22:23], v[2:3], v[30:31], -v[22:23]
	v_fma_f64 v[30:31], v[4:5], v[30:31], v[82:83]
	;; [unrolled: 9-line block ×3, first 2 shown]
	ds_read_b128 v[6:9], v1 offset:1184
	s_waitcnt vmcnt(39) lgkmcnt(1)
	v_mul_f64 v[26:27], v[4:5], v[34:35]
	v_add_f64 v[18:19], v[18:19], v[22:23]
	v_add_f64 v[14:15], v[14:15], v[30:31]
	v_mul_f64 v[22:23], v[2:3], v[34:35]
	s_waitcnt vmcnt(37)
	v_fma_f64 v[30:31], v[10:11], v[38:39], -v[32:33]
	s_waitcnt vmcnt(32)
	v_fma_f64 v[26:27], v[2:3], v[36:37], -v[26:27]
	v_add_f64 v[18:19], v[18:19], v[24:25]
	v_fma_f64 v[24:25], v[12:13], v[38:39], v[28:29]
	v_add_f64 v[14:15], v[14:15], v[16:17]
	s_waitcnt lgkmcnt(0)
	v_mul_f64 v[28:29], v[8:9], v[40:41]
	ds_read_b128 v[10:13], v1 offset:1200
	v_mul_f64 v[16:17], v[6:7], v[40:41]
	v_fma_f64 v[22:23], v[4:5], v[36:37], v[22:23]
	ds_read_b128 v[2:5], v1 offset:1216
	v_add_f64 v[18:19], v[18:19], v[30:31]
	v_add_f64 v[14:15], v[14:15], v[24:25]
	s_waitcnt vmcnt(31) lgkmcnt(1)
	v_mul_f64 v[30:31], v[12:13], v[42:43]
	s_waitcnt vmcnt(29)
	v_fma_f64 v[28:29], v[6:7], v[46:47], -v[28:29]
	v_mul_f64 v[24:25], v[10:11], v[42:43]
	v_fma_f64 v[16:17], v[8:9], v[46:47], v[16:17]
	ds_read_b128 v[6:9], v1 offset:1232
	v_add_f64 v[18:19], v[18:19], v[26:27]
	s_waitcnt vmcnt(25) lgkmcnt(1)
	v_mul_f64 v[26:27], v[4:5], v[48:49]
	v_add_f64 v[14:15], v[14:15], v[22:23]
	s_waitcnt vmcnt(24)
	v_fma_f64 v[30:31], v[10:11], v[44:45], -v[30:31]
	v_mul_f64 v[22:23], v[2:3], v[48:49]
	v_fma_f64 v[24:25], v[12:13], v[44:45], v[24:25]
	ds_read_b128 v[10:13], v1 offset:1248
	v_add_f64 v[18:19], v[18:19], v[28:29]
	s_waitcnt vmcnt(23) lgkmcnt(1)
	v_mul_f64 v[28:29], v[8:9], v[50:51]
	v_add_f64 v[14:15], v[14:15], v[16:17]
	;; [unrolled: 9-line block ×5, first 2 shown]
	s_waitcnt vmcnt(8)
	v_fma_f64 v[2:3], v[2:3], v[62:63], -v[26:27]
	v_mul_f64 v[16:17], v[6:7], v[66:67]
	v_fma_f64 v[4:5], v[4:5], v[62:63], v[22:23]
	s_waitcnt vmcnt(7) lgkmcnt(0)
	v_mul_f64 v[22:23], v[10:11], v[68:69]
	v_add_f64 v[18:19], v[18:19], v[30:31]
	s_waitcnt vmcnt(5)
	v_fma_f64 v[6:7], v[6:7], v[72:73], -v[28:29]
	v_add_f64 v[14:15], v[14:15], v[24:25]
	v_mul_f64 v[24:25], v[12:13], v[68:69]
	v_fma_f64 v[8:9], v[8:9], v[72:73], v[16:17]
	v_add_f64 v[2:3], v[18:19], v[2:3]
	v_add_f64 v[4:5], v[14:15], v[4:5]
	s_waitcnt vmcnt(4)
	v_fma_f64 v[10:11], v[10:11], v[70:71], -v[24:25]
	v_add_f64 v[2:3], v[2:3], v[6:7]
	v_fma_f64 v[6:7], v[12:13], v[70:71], v[22:23]
	v_add_f64 v[4:5], v[4:5], v[8:9]
	v_add_f64 v[2:3], v[2:3], v[10:11]
	;; [unrolled: 1-line block ×3, first 2 shown]
	s_waitcnt vmcnt(2)
	v_add_f64 v[2:3], v[20:21], -v[2:3]
	s_waitcnt vmcnt(0)
	v_add_f64 v[4:5], v[80:81], -v[4:5]
	buffer_store_dword v3, off, s[0:3], 0 offset:420
	buffer_store_dword v2, off, s[0:3], 0 offset:416
	;; [unrolled: 1-line block ×4, first 2 shown]
	v_cmpx_lt_u32_e32 24, v0
	s_cbranch_execz .LBB40_211
; %bb.210:
	v_mov_b32_e32 v5, s15
	s_clause 0x3
	buffer_load_dword v2, v5, s[0:3], 0 offen
	buffer_load_dword v3, v5, s[0:3], 0 offen offset:4
	buffer_load_dword v4, v5, s[0:3], 0 offen offset:8
	;; [unrolled: 1-line block ×3, first 2 shown]
	buffer_store_dword v1, off, s[0:3], 0 offset:400
	buffer_store_dword v1, off, s[0:3], 0 offset:404
	;; [unrolled: 1-line block ×4, first 2 shown]
	s_waitcnt vmcnt(0)
	ds_write_b128 v61, v[2:5]
.LBB40_211:
	s_or_b32 exec_lo, exec_lo, s4
	s_waitcnt lgkmcnt(0)
	s_waitcnt_vscnt null, 0x0
	s_barrier
	buffer_gl0_inv
	s_clause 0x37
	buffer_load_dword v10, off, s[0:3], 0 offset:424
	buffer_load_dword v11, off, s[0:3], 0 offset:428
	;; [unrolled: 1-line block ×56, first 2 shown]
	ds_read_b128 v[2:5], v1 offset:1056
	s_clause 0x2
	buffer_load_dword v69, off, s[0:3], 0 offset:652
	buffer_load_dword v73, off, s[0:3], 0 offset:628
	;; [unrolled: 1-line block ×3, first 2 shown]
	ds_read_b128 v[6:9], v1 offset:1072
	s_clause 0x2
	buffer_load_dword v79, off, s[0:3], 0 offset:668
	buffer_load_dword v78, off, s[0:3], 0 offset:664
	;; [unrolled: 1-line block ×3, first 2 shown]
	s_mov_b32 s4, exec_lo
	s_waitcnt vmcnt(60) lgkmcnt(1)
	v_mul_f64 v[74:75], v[4:5], v[10:11]
	v_mul_f64 v[76:77], v[2:3], v[10:11]
	s_waitcnt vmcnt(58) lgkmcnt(0)
	v_mul_f64 v[80:81], v[8:9], v[14:15]
	ds_read_b128 v[10:13], v1 offset:1088
	v_mul_f64 v[14:15], v[6:7], v[14:15]
	s_waitcnt vmcnt(56)
	v_fma_f64 v[74:75], v[2:3], v[16:17], -v[74:75]
	v_fma_f64 v[16:17], v[4:5], v[16:17], v[76:77]
	s_clause 0x1
	buffer_load_dword v77, off, s[0:3], 0 offset:660
	buffer_load_dword v76, off, s[0:3], 0 offset:656
	s_waitcnt vmcnt(56) lgkmcnt(0)
	v_mul_f64 v[82:83], v[10:11], v[18:19]
	v_mul_f64 v[18:19], v[12:13], v[18:19]
	s_waitcnt vmcnt(54)
	v_fma_f64 v[80:81], v[6:7], v[20:21], -v[80:81]
	ds_read_b128 v[2:5], v1 offset:1104
	v_fma_f64 v[14:15], v[8:9], v[20:21], v[14:15]
	ds_read_b128 v[6:9], v1 offset:1120
	v_add_f64 v[74:75], v[74:75], 0
	v_add_f64 v[16:17], v[16:17], 0
	s_waitcnt vmcnt(50) lgkmcnt(1)
	v_mul_f64 v[20:21], v[2:3], v[22:23]
	v_mul_f64 v[22:23], v[4:5], v[22:23]
	s_waitcnt vmcnt(48)
	v_fma_f64 v[18:19], v[10:11], v[28:29], -v[18:19]
	v_fma_f64 v[28:29], v[12:13], v[28:29], v[82:83]
	s_waitcnt vmcnt(47) lgkmcnt(0)
	v_mul_f64 v[82:83], v[6:7], v[24:25]
	v_mul_f64 v[24:25], v[8:9], v[24:25]
	v_add_f64 v[74:75], v[74:75], v[80:81]
	v_add_f64 v[14:15], v[16:17], v[14:15]
	s_clause 0x3
	buffer_load_dword v16, off, s[0:3], 0 offset:400
	buffer_load_dword v17, off, s[0:3], 0 offset:404
	;; [unrolled: 1-line block ×4, first 2 shown]
	ds_read_b128 v[10:13], v1 offset:1136
	s_waitcnt vmcnt(49)
	v_fma_f64 v[20:21], v[4:5], v[30:31], v[20:21]
	v_fma_f64 v[22:23], v[2:3], v[30:31], -v[22:23]
	ds_read_b128 v[2:5], v1 offset:1152
	s_waitcnt vmcnt(44)
	v_fma_f64 v[24:25], v[6:7], v[26:27], -v[24:25]
	v_add_f64 v[18:19], v[74:75], v[18:19]
	v_add_f64 v[14:15], v[14:15], v[28:29]
	s_waitcnt lgkmcnt(1)
	v_mul_f64 v[30:31], v[12:13], v[32:33]
	v_mul_f64 v[28:29], v[10:11], v[32:33]
	v_add_f64 v[18:19], v[18:19], v[22:23]
	v_fma_f64 v[22:23], v[8:9], v[26:27], v[82:83]
	v_add_f64 v[14:15], v[14:15], v[20:21]
	s_waitcnt vmcnt(43) lgkmcnt(0)
	v_mul_f64 v[26:27], v[4:5], v[34:35]
	s_waitcnt vmcnt(41)
	v_fma_f64 v[30:31], v[10:11], v[38:39], -v[30:31]
	ds_read_b128 v[6:9], v1 offset:1168
	v_mul_f64 v[20:21], v[2:3], v[34:35]
	v_add_f64 v[18:19], v[18:19], v[24:25]
	v_fma_f64 v[24:25], v[12:13], v[38:39], v[28:29]
	v_add_f64 v[14:15], v[14:15], v[22:23]
	ds_read_b128 v[10:13], v1 offset:1184
	s_waitcnt vmcnt(37) lgkmcnt(1)
	v_mul_f64 v[28:29], v[8:9], v[40:41]
	s_waitcnt vmcnt(36)
	v_fma_f64 v[26:27], v[2:3], v[36:37], -v[26:27]
	v_mul_f64 v[22:23], v[6:7], v[40:41]
	v_fma_f64 v[20:21], v[4:5], v[36:37], v[20:21]
	ds_read_b128 v[2:5], v1 offset:1200
	v_add_f64 v[18:19], v[18:19], v[30:31]
	s_waitcnt vmcnt(35) lgkmcnt(1)
	v_mul_f64 v[30:31], v[12:13], v[42:43]
	v_add_f64 v[14:15], v[14:15], v[24:25]
	v_mul_f64 v[24:25], v[10:11], v[42:43]
	s_waitcnt vmcnt(33)
	v_fma_f64 v[28:29], v[6:7], v[46:47], -v[28:29]
	v_fma_f64 v[22:23], v[8:9], v[46:47], v[22:23]
	ds_read_b128 v[6:9], v1 offset:1216
	v_add_f64 v[18:19], v[18:19], v[26:27]
	s_waitcnt vmcnt(29) lgkmcnt(1)
	v_mul_f64 v[26:27], v[4:5], v[48:49]
	v_add_f64 v[14:15], v[14:15], v[20:21]
	s_waitcnt vmcnt(28)
	v_fma_f64 v[30:31], v[10:11], v[44:45], -v[30:31]
	v_mul_f64 v[20:21], v[2:3], v[48:49]
	v_fma_f64 v[24:25], v[12:13], v[44:45], v[24:25]
	ds_read_b128 v[10:13], v1 offset:1232
	v_add_f64 v[18:19], v[18:19], v[28:29]
	s_waitcnt vmcnt(27) lgkmcnt(1)
	v_mul_f64 v[28:29], v[8:9], v[50:51]
	v_add_f64 v[14:15], v[14:15], v[22:23]
	s_waitcnt vmcnt(25)
	v_fma_f64 v[26:27], v[2:3], v[54:55], -v[26:27]
	v_mul_f64 v[22:23], v[6:7], v[50:51]
	;; [unrolled: 9-line block ×6, first 2 shown]
	v_fma_f64 v[7:8], v[8:9], v[72:73], v[22:23]
	s_waitcnt vmcnt(7) lgkmcnt(0)
	v_mul_f64 v[22:23], v[3:4], v[78:79]
	v_add_f64 v[18:19], v[18:19], v[26:27]
	s_waitcnt vmcnt(6)
	v_fma_f64 v[9:10], v[10:11], v[70:71], -v[30:31]
	v_add_f64 v[14:15], v[14:15], v[20:21]
	v_mul_f64 v[20:21], v[1:2], v[78:79]
	v_fma_f64 v[11:12], v[12:13], v[70:71], v[24:25]
	v_add_f64 v[5:6], v[18:19], v[5:6]
	v_add_f64 v[7:8], v[14:15], v[7:8]
	s_waitcnt vmcnt(4)
	v_fma_f64 v[1:2], v[1:2], v[76:77], -v[22:23]
	v_fma_f64 v[3:4], v[3:4], v[76:77], v[20:21]
	v_add_f64 v[5:6], v[5:6], v[9:10]
	v_add_f64 v[7:8], v[7:8], v[11:12]
	;; [unrolled: 1-line block ×4, first 2 shown]
	s_waitcnt vmcnt(2)
	v_add_f64 v[1:2], v[16:17], -v[1:2]
	s_waitcnt vmcnt(0)
	v_add_f64 v[3:4], v[80:81], -v[3:4]
	buffer_store_dword v2, off, s[0:3], 0 offset:404
	buffer_store_dword v1, off, s[0:3], 0 offset:400
	;; [unrolled: 1-line block ×4, first 2 shown]
	v_cmpx_lt_u32_e32 23, v0
	s_cbranch_execz .LBB40_213
; %bb.212:
	v_mov_b32_e32 v4, s17
	v_mov_b32_e32 v5, 0
	s_clause 0x3
	buffer_load_dword v1, v4, s[0:3], 0 offen
	buffer_load_dword v2, v4, s[0:3], 0 offen offset:4
	buffer_load_dword v3, v4, s[0:3], 0 offen offset:8
	;; [unrolled: 1-line block ×3, first 2 shown]
	buffer_store_dword v5, off, s[0:3], 0 offset:384
	buffer_store_dword v5, off, s[0:3], 0 offset:388
	;; [unrolled: 1-line block ×4, first 2 shown]
	s_waitcnt vmcnt(0)
	ds_write_b128 v61, v[1:4]
.LBB40_213:
	s_or_b32 exec_lo, exec_lo, s4
	s_waitcnt lgkmcnt(0)
	s_waitcnt_vscnt null, 0x0
	s_barrier
	buffer_gl0_inv
	s_clause 0x37
	buffer_load_dword v10, off, s[0:3], 0 offset:408
	buffer_load_dword v11, off, s[0:3], 0 offset:412
	;; [unrolled: 1-line block ×56, first 2 shown]
	v_mov_b32_e32 v1, 0
	s_mov_b32 s4, exec_lo
	ds_read_b128 v[2:5], v1 offset:1040
	s_clause 0x2
	buffer_load_dword v69, off, s[0:3], 0 offset:636
	buffer_load_dword v73, off, s[0:3], 0 offset:612
	;; [unrolled: 1-line block ×3, first 2 shown]
	ds_read_b128 v[6:9], v1 offset:1056
	s_clause 0x4
	buffer_load_dword v79, off, s[0:3], 0 offset:652
	buffer_load_dword v80, off, s[0:3], 0 offset:664
	;; [unrolled: 1-line block ×5, first 2 shown]
	s_waitcnt vmcnt(62) lgkmcnt(1)
	v_mul_f64 v[74:75], v[4:5], v[10:11]
	v_mul_f64 v[76:77], v[2:3], v[10:11]
	s_waitcnt vmcnt(60) lgkmcnt(0)
	v_mul_f64 v[83:84], v[8:9], v[14:15]
	ds_read_b128 v[10:13], v1 offset:1072
	v_mul_f64 v[14:15], v[6:7], v[14:15]
	s_waitcnt vmcnt(58)
	v_fma_f64 v[74:75], v[2:3], v[16:17], -v[74:75]
	v_fma_f64 v[16:17], v[4:5], v[16:17], v[76:77]
	s_clause 0x2
	buffer_load_dword v81, off, s[0:3], 0 offset:668
	buffer_load_dword v77, off, s[0:3], 0 offset:644
	;; [unrolled: 1-line block ×3, first 2 shown]
	s_waitcnt vmcnt(59) lgkmcnt(0)
	v_mul_f64 v[167:168], v[10:11], v[18:19]
	v_mul_f64 v[18:19], v[12:13], v[18:19]
	s_waitcnt vmcnt(57)
	v_fma_f64 v[169:170], v[6:7], v[20:21], -v[83:84]
	ds_read_b128 v[2:5], v1 offset:1088
	v_fma_f64 v[14:15], v[8:9], v[20:21], v[14:15]
	buffer_load_dword v83, off, s[0:3], 0 offset:660
	ds_read_b128 v[6:9], v1 offset:1104
	v_add_f64 v[74:75], v[74:75], 0
	v_add_f64 v[16:17], v[16:17], 0
	s_waitcnt vmcnt(54) lgkmcnt(1)
	v_mul_f64 v[20:21], v[2:3], v[22:23]
	v_mul_f64 v[22:23], v[4:5], v[22:23]
	s_waitcnt vmcnt(52)
	v_fma_f64 v[18:19], v[10:11], v[28:29], -v[18:19]
	v_fma_f64 v[28:29], v[12:13], v[28:29], v[167:168]
	ds_read_b128 v[10:13], v1 offset:1120
	v_add_f64 v[74:75], v[74:75], v[169:170]
	v_add_f64 v[14:15], v[16:17], v[14:15]
	s_waitcnt vmcnt(51) lgkmcnt(1)
	v_mul_f64 v[16:17], v[6:7], v[24:25]
	v_mul_f64 v[24:25], v[8:9], v[24:25]
	s_waitcnt vmcnt(49)
	v_fma_f64 v[20:21], v[4:5], v[30:31], v[20:21]
	v_fma_f64 v[22:23], v[2:3], v[30:31], -v[22:23]
	v_add_f64 v[18:19], v[74:75], v[18:19]
	v_add_f64 v[14:15], v[14:15], v[28:29]
	s_clause 0x3
	buffer_load_dword v28, off, s[0:3], 0 offset:384
	buffer_load_dword v29, off, s[0:3], 0 offset:388
	;; [unrolled: 1-line block ×4, first 2 shown]
	s_waitcnt vmcnt(49) lgkmcnt(0)
	v_mul_f64 v[74:75], v[10:11], v[32:33]
	v_mul_f64 v[32:33], v[12:13], v[32:33]
	s_waitcnt vmcnt(48)
	v_fma_f64 v[24:25], v[6:7], v[26:27], -v[24:25]
	ds_read_b128 v[2:5], v1 offset:1136
	v_fma_f64 v[16:17], v[8:9], v[26:27], v[16:17]
	ds_read_b128 v[6:9], v1 offset:1152
	v_add_f64 v[18:19], v[18:19], v[22:23]
	v_add_f64 v[14:15], v[14:15], v[20:21]
	s_waitcnt vmcnt(47) lgkmcnt(1)
	v_mul_f64 v[22:23], v[4:5], v[34:35]
	s_waitcnt vmcnt(45)
	v_fma_f64 v[26:27], v[10:11], v[38:39], -v[32:33]
	v_mul_f64 v[20:21], v[2:3], v[34:35]
	s_waitcnt vmcnt(41) lgkmcnt(0)
	v_mul_f64 v[32:33], v[8:9], v[40:41]
	v_add_f64 v[18:19], v[18:19], v[24:25]
	v_fma_f64 v[24:25], v[12:13], v[38:39], v[74:75]
	v_add_f64 v[14:15], v[14:15], v[16:17]
	ds_read_b128 v[10:13], v1 offset:1168
	s_waitcnt vmcnt(40)
	v_fma_f64 v[22:23], v[2:3], v[36:37], -v[22:23]
	v_mul_f64 v[16:17], v[6:7], v[40:41]
	v_fma_f64 v[20:21], v[4:5], v[36:37], v[20:21]
	ds_read_b128 v[2:5], v1 offset:1184
	s_waitcnt vmcnt(37)
	v_fma_f64 v[32:33], v[6:7], v[46:47], -v[32:33]
	v_add_f64 v[18:19], v[18:19], v[26:27]
	s_waitcnt lgkmcnt(1)
	v_mul_f64 v[26:27], v[12:13], v[42:43]
	v_add_f64 v[14:15], v[14:15], v[24:25]
	v_mul_f64 v[24:25], v[10:11], v[42:43]
	v_fma_f64 v[16:17], v[8:9], v[46:47], v[16:17]
	ds_read_b128 v[6:9], v1 offset:1200
	v_add_f64 v[18:19], v[18:19], v[22:23]
	s_waitcnt vmcnt(33) lgkmcnt(1)
	v_mul_f64 v[22:23], v[4:5], v[48:49]
	v_add_f64 v[14:15], v[14:15], v[20:21]
	s_waitcnt vmcnt(32)
	v_fma_f64 v[26:27], v[10:11], v[44:45], -v[26:27]
	v_mul_f64 v[20:21], v[2:3], v[48:49]
	v_fma_f64 v[24:25], v[12:13], v[44:45], v[24:25]
	ds_read_b128 v[10:13], v1 offset:1216
	v_add_f64 v[18:19], v[18:19], v[32:33]
	s_waitcnt vmcnt(31) lgkmcnt(1)
	v_mul_f64 v[32:33], v[8:9], v[50:51]
	v_add_f64 v[14:15], v[14:15], v[16:17]
	s_waitcnt vmcnt(29)
	v_fma_f64 v[22:23], v[2:3], v[54:55], -v[22:23]
	;; [unrolled: 9-line block ×7, first 2 shown]
	v_mul_f64 v[20:21], v[2:3], v[78:79]
	v_fma_f64 v[12:13], v[12:13], v[70:71], v[24:25]
	v_add_f64 v[18:19], v[18:19], v[32:33]
	v_add_f64 v[14:15], v[14:15], v[16:17]
	s_waitcnt vmcnt(7) lgkmcnt(0)
	v_mul_f64 v[24:25], v[8:9], v[80:81]
	v_mul_f64 v[16:17], v[6:7], v[80:81]
	s_waitcnt vmcnt(5)
	v_fma_f64 v[2:3], v[2:3], v[76:77], -v[22:23]
	v_fma_f64 v[4:5], v[4:5], v[76:77], v[20:21]
	v_add_f64 v[10:11], v[18:19], v[10:11]
	v_add_f64 v[12:13], v[14:15], v[12:13]
	s_waitcnt vmcnt(4)
	v_fma_f64 v[6:7], v[6:7], v[82:83], -v[24:25]
	v_fma_f64 v[8:9], v[8:9], v[82:83], v[16:17]
	v_add_f64 v[2:3], v[10:11], v[2:3]
	v_add_f64 v[4:5], v[12:13], v[4:5]
	;; [unrolled: 1-line block ×4, first 2 shown]
	s_waitcnt vmcnt(2)
	v_add_f64 v[2:3], v[28:29], -v[2:3]
	s_waitcnt vmcnt(0)
	v_add_f64 v[4:5], v[30:31], -v[4:5]
	buffer_store_dword v3, off, s[0:3], 0 offset:388
	buffer_store_dword v2, off, s[0:3], 0 offset:384
	buffer_store_dword v5, off, s[0:3], 0 offset:396
	buffer_store_dword v4, off, s[0:3], 0 offset:392
	v_cmpx_lt_u32_e32 22, v0
	s_cbranch_execz .LBB40_215
; %bb.214:
	v_mov_b32_e32 v5, s19
	s_clause 0x3
	buffer_load_dword v2, v5, s[0:3], 0 offen
	buffer_load_dword v3, v5, s[0:3], 0 offen offset:4
	buffer_load_dword v4, v5, s[0:3], 0 offen offset:8
	;; [unrolled: 1-line block ×3, first 2 shown]
	buffer_store_dword v1, off, s[0:3], 0 offset:368
	buffer_store_dword v1, off, s[0:3], 0 offset:372
	;; [unrolled: 1-line block ×4, first 2 shown]
	s_waitcnt vmcnt(0)
	ds_write_b128 v61, v[2:5]
.LBB40_215:
	s_or_b32 exec_lo, exec_lo, s4
	s_waitcnt lgkmcnt(0)
	s_waitcnt_vscnt null, 0x0
	s_barrier
	buffer_gl0_inv
	s_clause 0x37
	buffer_load_dword v10, off, s[0:3], 0 offset:392
	buffer_load_dword v11, off, s[0:3], 0 offset:396
	;; [unrolled: 1-line block ×56, first 2 shown]
	ds_read_b128 v[2:5], v1 offset:1024
	s_clause 0x2
	buffer_load_dword v69, off, s[0:3], 0 offset:620
	buffer_load_dword v73, off, s[0:3], 0 offset:596
	;; [unrolled: 1-line block ×3, first 2 shown]
	ds_read_b128 v[6:9], v1 offset:1040
	s_clause 0x4
	buffer_load_dword v79, off, s[0:3], 0 offset:636
	buffer_load_dword v80, off, s[0:3], 0 offset:648
	;; [unrolled: 1-line block ×5, first 2 shown]
	s_mov_b32 s4, exec_lo
	s_waitcnt vmcnt(62) lgkmcnt(1)
	v_mul_f64 v[74:75], v[4:5], v[10:11]
	v_mul_f64 v[76:77], v[2:3], v[10:11]
	s_waitcnt vmcnt(60) lgkmcnt(0)
	v_mul_f64 v[83:84], v[8:9], v[14:15]
	ds_read_b128 v[10:13], v1 offset:1056
	v_mul_f64 v[14:15], v[6:7], v[14:15]
	s_waitcnt vmcnt(58)
	v_fma_f64 v[74:75], v[2:3], v[16:17], -v[74:75]
	v_fma_f64 v[16:17], v[4:5], v[16:17], v[76:77]
	s_clause 0x2
	buffer_load_dword v81, off, s[0:3], 0 offset:652
	buffer_load_dword v77, off, s[0:3], 0 offset:628
	;; [unrolled: 1-line block ×3, first 2 shown]
	s_waitcnt vmcnt(59) lgkmcnt(0)
	v_mul_f64 v[167:168], v[10:11], v[18:19]
	v_mul_f64 v[18:19], v[12:13], v[18:19]
	s_waitcnt vmcnt(57)
	v_fma_f64 v[169:170], v[6:7], v[20:21], -v[83:84]
	ds_read_b128 v[2:5], v1 offset:1072
	v_fma_f64 v[14:15], v[8:9], v[20:21], v[14:15]
	s_clause 0x2
	buffer_load_dword v21, off, s[0:3], 0 offset:668
	buffer_load_dword v20, off, s[0:3], 0 offset:664
	;; [unrolled: 1-line block ×3, first 2 shown]
	ds_read_b128 v[6:9], v1 offset:1088
	v_add_f64 v[74:75], v[74:75], 0
	v_add_f64 v[16:17], v[16:17], 0
	s_waitcnt vmcnt(56) lgkmcnt(1)
	v_mul_f64 v[171:172], v[2:3], v[22:23]
	v_mul_f64 v[22:23], v[4:5], v[22:23]
	s_waitcnt vmcnt(54)
	v_fma_f64 v[18:19], v[10:11], v[28:29], -v[18:19]
	v_fma_f64 v[28:29], v[12:13], v[28:29], v[167:168]
	s_waitcnt vmcnt(53) lgkmcnt(0)
	v_mul_f64 v[167:168], v[6:7], v[24:25]
	v_mul_f64 v[24:25], v[8:9], v[24:25]
	v_add_f64 v[74:75], v[74:75], v[169:170]
	v_add_f64 v[14:15], v[16:17], v[14:15]
	s_clause 0x1
	buffer_load_dword v17, off, s[0:3], 0 offset:660
	buffer_load_dword v16, off, s[0:3], 0 offset:656
	ds_read_b128 v[10:13], v1 offset:1104
	s_waitcnt vmcnt(53)
	v_fma_f64 v[22:23], v[2:3], v[30:31], -v[22:23]
	v_fma_f64 v[30:31], v[4:5], v[30:31], v[171:172]
	ds_read_b128 v[2:5], v1 offset:1120
	s_waitcnt vmcnt(48)
	v_fma_f64 v[24:25], v[6:7], v[26:27], -v[24:25]
	v_add_f64 v[18:19], v[74:75], v[18:19]
	v_add_f64 v[14:15], v[14:15], v[28:29]
	s_waitcnt lgkmcnt(1)
	v_mul_f64 v[28:29], v[10:11], v[32:33]
	v_mul_f64 v[32:33], v[12:13], v[32:33]
	s_waitcnt vmcnt(47) lgkmcnt(0)
	v_mul_f64 v[74:75], v[2:3], v[34:35]
	v_mul_f64 v[34:35], v[4:5], v[34:35]
	v_add_f64 v[18:19], v[18:19], v[22:23]
	v_fma_f64 v[22:23], v[8:9], v[26:27], v[167:168]
	v_add_f64 v[14:15], v[14:15], v[30:31]
	s_clause 0x3
	buffer_load_dword v26, off, s[0:3], 0 offset:368
	buffer_load_dword v27, off, s[0:3], 0 offset:372
	;; [unrolled: 1-line block ×4, first 2 shown]
	s_waitcnt vmcnt(49)
	v_fma_f64 v[32:33], v[10:11], v[38:39], -v[32:33]
	ds_read_b128 v[6:9], v1 offset:1136
	s_waitcnt vmcnt(44)
	v_fma_f64 v[34:35], v[2:3], v[36:37], -v[34:35]
	v_add_f64 v[18:19], v[18:19], v[24:25]
	v_fma_f64 v[24:25], v[12:13], v[38:39], v[28:29]
	v_add_f64 v[14:15], v[14:15], v[22:23]
	ds_read_b128 v[10:13], v1 offset:1152
	s_waitcnt lgkmcnt(1)
	v_mul_f64 v[28:29], v[8:9], v[40:41]
	v_mul_f64 v[22:23], v[6:7], v[40:41]
	v_add_f64 v[18:19], v[18:19], v[32:33]
	v_fma_f64 v[32:33], v[4:5], v[36:37], v[74:75]
	v_add_f64 v[14:15], v[14:15], v[24:25]
	s_waitcnt vmcnt(43) lgkmcnt(0)
	v_mul_f64 v[36:37], v[12:13], v[42:43]
	s_waitcnt vmcnt(41)
	v_fma_f64 v[28:29], v[6:7], v[46:47], -v[28:29]
	ds_read_b128 v[2:5], v1 offset:1168
	v_mul_f64 v[24:25], v[10:11], v[42:43]
	v_fma_f64 v[22:23], v[8:9], v[46:47], v[22:23]
	ds_read_b128 v[6:9], v1 offset:1184
	v_add_f64 v[18:19], v[18:19], v[34:35]
	v_add_f64 v[14:15], v[14:15], v[32:33]
	s_waitcnt vmcnt(37) lgkmcnt(1)
	v_mul_f64 v[34:35], v[4:5], v[48:49]
	s_waitcnt vmcnt(36)
	v_fma_f64 v[36:37], v[10:11], v[44:45], -v[36:37]
	v_mul_f64 v[32:33], v[2:3], v[48:49]
	v_fma_f64 v[24:25], v[12:13], v[44:45], v[24:25]
	ds_read_b128 v[10:13], v1 offset:1200
	v_add_f64 v[18:19], v[18:19], v[28:29]
	s_waitcnt vmcnt(35) lgkmcnt(1)
	v_mul_f64 v[28:29], v[8:9], v[50:51]
	v_add_f64 v[14:15], v[14:15], v[22:23]
	s_waitcnt vmcnt(33)
	v_fma_f64 v[34:35], v[2:3], v[54:55], -v[34:35]
	v_mul_f64 v[22:23], v[6:7], v[50:51]
	v_fma_f64 v[32:33], v[4:5], v[54:55], v[32:33]
	ds_read_b128 v[2:5], v1 offset:1216
	v_add_f64 v[18:19], v[18:19], v[36:37]
	s_waitcnt vmcnt(29) lgkmcnt(1)
	v_mul_f64 v[36:37], v[12:13], v[56:57]
	v_add_f64 v[14:15], v[14:15], v[24:25]
	;; [unrolled: 9-line block ×6, first 2 shown]
	s_waitcnt vmcnt(12)
	v_fma_f64 v[36:37], v[10:11], v[70:71], -v[36:37]
	v_mul_f64 v[32:33], v[2:3], v[78:79]
	v_fma_f64 v[24:25], v[12:13], v[70:71], v[24:25]
	ds_read_b128 v[10:13], v1 offset:1296
	v_add_f64 v[18:19], v[18:19], v[28:29]
	v_add_f64 v[14:15], v[14:15], v[22:23]
	s_waitcnt vmcnt(11) lgkmcnt(1)
	v_mul_f64 v[28:29], v[8:9], v[80:81]
	v_mul_f64 v[22:23], v[6:7], v[80:81]
	s_waitcnt vmcnt(9)
	v_fma_f64 v[1:2], v[2:3], v[76:77], -v[34:35]
	v_fma_f64 v[3:4], v[4:5], v[76:77], v[32:33]
	v_add_f64 v[18:19], v[18:19], v[36:37]
	v_add_f64 v[14:15], v[14:15], v[24:25]
	s_waitcnt vmcnt(7) lgkmcnt(0)
	v_mul_f64 v[24:25], v[10:11], v[20:21]
	v_mul_f64 v[20:21], v[12:13], v[20:21]
	s_waitcnt vmcnt(6)
	v_fma_f64 v[5:6], v[6:7], v[82:83], -v[28:29]
	v_fma_f64 v[7:8], v[8:9], v[82:83], v[22:23]
	v_add_f64 v[1:2], v[18:19], v[1:2]
	v_add_f64 v[3:4], v[14:15], v[3:4]
	s_waitcnt vmcnt(4)
	v_fma_f64 v[9:10], v[10:11], v[16:17], -v[20:21]
	v_add_f64 v[1:2], v[1:2], v[5:6]
	v_fma_f64 v[5:6], v[12:13], v[16:17], v[24:25]
	v_add_f64 v[3:4], v[3:4], v[7:8]
	v_add_f64 v[1:2], v[1:2], v[9:10]
	;; [unrolled: 1-line block ×3, first 2 shown]
	s_waitcnt vmcnt(2)
	v_add_f64 v[1:2], v[26:27], -v[1:2]
	s_waitcnt vmcnt(0)
	v_add_f64 v[3:4], v[30:31], -v[3:4]
	buffer_store_dword v2, off, s[0:3], 0 offset:372
	buffer_store_dword v1, off, s[0:3], 0 offset:368
	;; [unrolled: 1-line block ×4, first 2 shown]
	v_cmpx_lt_u32_e32 21, v0
	s_cbranch_execz .LBB40_217
; %bb.216:
	v_mov_b32_e32 v4, s23
	v_mov_b32_e32 v5, 0
	s_clause 0x3
	buffer_load_dword v1, v4, s[0:3], 0 offen
	buffer_load_dword v2, v4, s[0:3], 0 offen offset:4
	buffer_load_dword v3, v4, s[0:3], 0 offen offset:8
	;; [unrolled: 1-line block ×3, first 2 shown]
	buffer_store_dword v5, off, s[0:3], 0 offset:352
	buffer_store_dword v5, off, s[0:3], 0 offset:356
	;; [unrolled: 1-line block ×4, first 2 shown]
	s_waitcnt vmcnt(0)
	ds_write_b128 v61, v[1:4]
.LBB40_217:
	s_or_b32 exec_lo, exec_lo, s4
	s_waitcnt lgkmcnt(0)
	s_waitcnt_vscnt null, 0x0
	s_barrier
	buffer_gl0_inv
	s_clause 0x37
	buffer_load_dword v10, off, s[0:3], 0 offset:376
	buffer_load_dword v11, off, s[0:3], 0 offset:380
	;; [unrolled: 1-line block ×56, first 2 shown]
	v_mov_b32_e32 v1, 0
	s_mov_b32 s4, exec_lo
	ds_read_b128 v[2:5], v1 offset:1008
	s_clause 0x2
	buffer_load_dword v69, off, s[0:3], 0 offset:604
	buffer_load_dword v73, off, s[0:3], 0 offset:580
	;; [unrolled: 1-line block ×3, first 2 shown]
	ds_read_b128 v[6:9], v1 offset:1024
	s_clause 0x4
	buffer_load_dword v79, off, s[0:3], 0 offset:620
	buffer_load_dword v80, off, s[0:3], 0 offset:632
	;; [unrolled: 1-line block ×5, first 2 shown]
	s_waitcnt vmcnt(62) lgkmcnt(1)
	v_mul_f64 v[74:75], v[4:5], v[10:11]
	v_mul_f64 v[76:77], v[2:3], v[10:11]
	s_waitcnt vmcnt(60) lgkmcnt(0)
	v_mul_f64 v[83:84], v[8:9], v[14:15]
	ds_read_b128 v[10:13], v1 offset:1040
	v_mul_f64 v[14:15], v[6:7], v[14:15]
	s_waitcnt vmcnt(58)
	v_fma_f64 v[74:75], v[2:3], v[16:17], -v[74:75]
	v_fma_f64 v[16:17], v[4:5], v[16:17], v[76:77]
	s_clause 0x2
	buffer_load_dword v81, off, s[0:3], 0 offset:636
	buffer_load_dword v77, off, s[0:3], 0 offset:612
	;; [unrolled: 1-line block ×3, first 2 shown]
	s_waitcnt vmcnt(59) lgkmcnt(0)
	v_mul_f64 v[167:168], v[10:11], v[18:19]
	v_mul_f64 v[18:19], v[12:13], v[18:19]
	s_waitcnt vmcnt(57)
	v_fma_f64 v[169:170], v[6:7], v[20:21], -v[83:84]
	ds_read_b128 v[2:5], v1 offset:1056
	v_fma_f64 v[14:15], v[8:9], v[20:21], v[14:15]
	s_clause 0x4
	buffer_load_dword v21, off, s[0:3], 0 offset:652
	buffer_load_dword v171, off, s[0:3], 0 offset:664
	;; [unrolled: 1-line block ×5, first 2 shown]
	ds_read_b128 v[6:9], v1 offset:1072
	v_add_f64 v[74:75], v[74:75], 0
	v_add_f64 v[16:17], v[16:17], 0
	s_waitcnt vmcnt(58) lgkmcnt(1)
	v_mul_f64 v[174:175], v[2:3], v[22:23]
	v_mul_f64 v[22:23], v[4:5], v[22:23]
	s_waitcnt vmcnt(56)
	v_fma_f64 v[18:19], v[10:11], v[28:29], -v[18:19]
	v_fma_f64 v[28:29], v[12:13], v[28:29], v[167:168]
	s_waitcnt vmcnt(55) lgkmcnt(0)
	v_mul_f64 v[167:168], v[6:7], v[24:25]
	v_mul_f64 v[24:25], v[8:9], v[24:25]
	v_add_f64 v[74:75], v[74:75], v[169:170]
	v_add_f64 v[14:15], v[16:17], v[14:15]
	s_clause 0x2
	buffer_load_dword v172, off, s[0:3], 0 offset:668
	buffer_load_dword v17, off, s[0:3], 0 offset:644
	;; [unrolled: 1-line block ×3, first 2 shown]
	ds_read_b128 v[10:13], v1 offset:1088
	s_waitcnt vmcnt(56)
	v_fma_f64 v[22:23], v[2:3], v[30:31], -v[22:23]
	v_fma_f64 v[30:31], v[4:5], v[30:31], v[174:175]
	buffer_load_dword v174, off, s[0:3], 0 offset:660
	ds_read_b128 v[2:5], v1 offset:1104
	s_waitcnt vmcnt(52)
	v_fma_f64 v[24:25], v[6:7], v[26:27], -v[24:25]
	v_add_f64 v[18:19], v[74:75], v[18:19]
	v_add_f64 v[14:15], v[14:15], v[28:29]
	s_waitcnt lgkmcnt(1)
	v_mul_f64 v[28:29], v[10:11], v[32:33]
	v_mul_f64 v[32:33], v[12:13], v[32:33]
	v_add_f64 v[18:19], v[18:19], v[22:23]
	v_fma_f64 v[22:23], v[8:9], v[26:27], v[167:168]
	v_add_f64 v[14:15], v[14:15], v[30:31]
	s_waitcnt vmcnt(51) lgkmcnt(0)
	v_mul_f64 v[30:31], v[4:5], v[34:35]
	s_waitcnt vmcnt(49)
	v_fma_f64 v[32:33], v[10:11], v[38:39], -v[32:33]
	ds_read_b128 v[6:9], v1 offset:1120
	v_mul_f64 v[26:27], v[2:3], v[34:35]
	v_add_f64 v[18:19], v[18:19], v[24:25]
	v_fma_f64 v[24:25], v[12:13], v[38:39], v[28:29]
	v_add_f64 v[14:15], v[14:15], v[22:23]
	s_clause 0x3
	buffer_load_dword v22, off, s[0:3], 0 offset:352
	buffer_load_dword v23, off, s[0:3], 0 offset:356
	;; [unrolled: 1-line block ×4, first 2 shown]
	s_waitcnt vmcnt(49) lgkmcnt(0)
	v_mul_f64 v[38:39], v[8:9], v[40:41]
	s_waitcnt vmcnt(48)
	v_fma_f64 v[30:31], v[2:3], v[36:37], -v[30:31]
	ds_read_b128 v[10:13], v1 offset:1136
	v_mul_f64 v[34:35], v[6:7], v[40:41]
	v_fma_f64 v[26:27], v[4:5], v[36:37], v[26:27]
	ds_read_b128 v[2:5], v1 offset:1152
	v_add_f64 v[18:19], v[18:19], v[32:33]
	v_add_f64 v[14:15], v[14:15], v[24:25]
	s_waitcnt vmcnt(47) lgkmcnt(1)
	v_mul_f64 v[32:33], v[12:13], v[42:43]
	s_waitcnt vmcnt(45)
	v_fma_f64 v[36:37], v[6:7], v[46:47], -v[38:39]
	v_mul_f64 v[24:25], v[10:11], v[42:43]
	v_add_f64 v[18:19], v[18:19], v[30:31]
	v_fma_f64 v[30:31], v[8:9], v[46:47], v[34:35]
	v_add_f64 v[14:15], v[14:15], v[26:27]
	s_waitcnt vmcnt(41) lgkmcnt(0)
	v_mul_f64 v[34:35], v[4:5], v[48:49]
	s_waitcnt vmcnt(40)
	v_fma_f64 v[32:33], v[10:11], v[44:45], -v[32:33]
	ds_read_b128 v[6:9], v1 offset:1168
	v_mul_f64 v[26:27], v[2:3], v[48:49]
	v_fma_f64 v[24:25], v[12:13], v[44:45], v[24:25]
	ds_read_b128 v[10:13], v1 offset:1184
	v_add_f64 v[18:19], v[18:19], v[36:37]
	v_add_f64 v[14:15], v[14:15], v[30:31]
	s_waitcnt vmcnt(39) lgkmcnt(1)
	v_mul_f64 v[36:37], v[8:9], v[50:51]
	s_waitcnt vmcnt(37)
	v_fma_f64 v[34:35], v[2:3], v[54:55], -v[34:35]
	v_mul_f64 v[30:31], v[6:7], v[50:51]
	v_fma_f64 v[26:27], v[4:5], v[54:55], v[26:27]
	ds_read_b128 v[2:5], v1 offset:1200
	v_add_f64 v[18:19], v[18:19], v[32:33]
	s_waitcnt vmcnt(33) lgkmcnt(1)
	v_mul_f64 v[32:33], v[12:13], v[56:57]
	v_add_f64 v[14:15], v[14:15], v[24:25]
	s_waitcnt vmcnt(32)
	v_fma_f64 v[36:37], v[6:7], v[52:53], -v[36:37]
	v_mul_f64 v[24:25], v[10:11], v[56:57]
	v_fma_f64 v[30:31], v[8:9], v[52:53], v[30:31]
	ds_read_b128 v[6:9], v1 offset:1216
	v_add_f64 v[18:19], v[18:19], v[34:35]
	s_waitcnt vmcnt(31) lgkmcnt(1)
	v_mul_f64 v[34:35], v[4:5], v[58:59]
	v_add_f64 v[14:15], v[14:15], v[26:27]
	;; [unrolled: 9-line block ×5, first 2 shown]
	s_waitcnt vmcnt(16)
	v_fma_f64 v[32:33], v[10:11], v[70:71], -v[32:33]
	v_mul_f64 v[26:27], v[2:3], v[78:79]
	v_fma_f64 v[24:25], v[12:13], v[70:71], v[24:25]
	ds_read_b128 v[10:13], v1 offset:1280
	v_add_f64 v[18:19], v[18:19], v[36:37]
	v_add_f64 v[14:15], v[14:15], v[30:31]
	s_waitcnt vmcnt(15) lgkmcnt(1)
	v_mul_f64 v[36:37], v[8:9], v[80:81]
	v_mul_f64 v[30:31], v[6:7], v[80:81]
	s_waitcnt vmcnt(13)
	v_fma_f64 v[34:35], v[2:3], v[76:77], -v[34:35]
	v_fma_f64 v[26:27], v[4:5], v[76:77], v[26:27]
	ds_read_b128 v[2:5], v1 offset:1296
	v_add_f64 v[18:19], v[18:19], v[32:33]
	v_add_f64 v[14:15], v[14:15], v[24:25]
	s_waitcnt vmcnt(9) lgkmcnt(1)
	v_mul_f64 v[24:25], v[10:11], v[20:21]
	v_mul_f64 v[20:21], v[12:13], v[20:21]
	s_waitcnt vmcnt(8)
	v_fma_f64 v[6:7], v[6:7], v[82:83], -v[36:37]
	v_fma_f64 v[8:9], v[8:9], v[82:83], v[30:31]
	v_add_f64 v[18:19], v[18:19], v[34:35]
	v_add_f64 v[14:15], v[14:15], v[26:27]
	s_waitcnt vmcnt(7) lgkmcnt(0)
	v_mul_f64 v[30:31], v[4:5], v[171:172]
	v_mul_f64 v[26:27], v[2:3], v[171:172]
	s_waitcnt vmcnt(5)
	v_fma_f64 v[10:11], v[10:11], v[16:17], -v[20:21]
	v_fma_f64 v[12:13], v[12:13], v[16:17], v[24:25]
	v_add_f64 v[6:7], v[18:19], v[6:7]
	v_add_f64 v[8:9], v[14:15], v[8:9]
	s_waitcnt vmcnt(4)
	v_fma_f64 v[2:3], v[2:3], v[173:174], -v[30:31]
	v_fma_f64 v[4:5], v[4:5], v[173:174], v[26:27]
	v_add_f64 v[6:7], v[6:7], v[10:11]
	v_add_f64 v[8:9], v[8:9], v[12:13]
	;; [unrolled: 1-line block ×4, first 2 shown]
	s_waitcnt vmcnt(2)
	v_add_f64 v[2:3], v[22:23], -v[2:3]
	s_waitcnt vmcnt(0)
	v_add_f64 v[4:5], v[28:29], -v[4:5]
	buffer_store_dword v3, off, s[0:3], 0 offset:356
	buffer_store_dword v2, off, s[0:3], 0 offset:352
	;; [unrolled: 1-line block ×4, first 2 shown]
	v_cmpx_lt_u32_e32 20, v0
	s_cbranch_execz .LBB40_219
; %bb.218:
	v_mov_b32_e32 v5, s25
	s_clause 0x3
	buffer_load_dword v2, v5, s[0:3], 0 offen
	buffer_load_dword v3, v5, s[0:3], 0 offen offset:4
	buffer_load_dword v4, v5, s[0:3], 0 offen offset:8
	;; [unrolled: 1-line block ×3, first 2 shown]
	buffer_store_dword v1, off, s[0:3], 0 offset:336
	buffer_store_dword v1, off, s[0:3], 0 offset:340
	;; [unrolled: 1-line block ×4, first 2 shown]
	s_waitcnt vmcnt(0)
	ds_write_b128 v61, v[2:5]
.LBB40_219:
	s_or_b32 exec_lo, exec_lo, s4
	s_waitcnt lgkmcnt(0)
	s_waitcnt_vscnt null, 0x0
	s_barrier
	buffer_gl0_inv
	s_clause 0x37
	buffer_load_dword v10, off, s[0:3], 0 offset:360
	buffer_load_dword v11, off, s[0:3], 0 offset:364
	;; [unrolled: 1-line block ×56, first 2 shown]
	ds_read_b128 v[2:5], v1 offset:992
	s_clause 0x2
	buffer_load_dword v69, off, s[0:3], 0 offset:588
	buffer_load_dword v73, off, s[0:3], 0 offset:564
	;; [unrolled: 1-line block ×3, first 2 shown]
	ds_read_b128 v[6:9], v1 offset:1008
	s_clause 0x4
	buffer_load_dword v79, off, s[0:3], 0 offset:604
	buffer_load_dword v80, off, s[0:3], 0 offset:616
	buffer_load_dword v82, off, s[0:3], 0 offset:608
	buffer_load_dword v78, off, s[0:3], 0 offset:600
	buffer_load_dword v71, off, s[0:3], 0 offset:580
	s_mov_b32 s4, exec_lo
	s_waitcnt vmcnt(62) lgkmcnt(1)
	v_mul_f64 v[74:75], v[4:5], v[10:11]
	v_mul_f64 v[76:77], v[2:3], v[10:11]
	s_waitcnt vmcnt(60) lgkmcnt(0)
	v_mul_f64 v[83:84], v[8:9], v[14:15]
	ds_read_b128 v[10:13], v1 offset:1024
	v_mul_f64 v[14:15], v[6:7], v[14:15]
	s_waitcnt vmcnt(58)
	v_fma_f64 v[74:75], v[2:3], v[16:17], -v[74:75]
	v_fma_f64 v[16:17], v[4:5], v[16:17], v[76:77]
	s_clause 0x2
	buffer_load_dword v81, off, s[0:3], 0 offset:620
	buffer_load_dword v77, off, s[0:3], 0 offset:596
	;; [unrolled: 1-line block ×3, first 2 shown]
	s_waitcnt vmcnt(59) lgkmcnt(0)
	v_mul_f64 v[167:168], v[10:11], v[18:19]
	v_mul_f64 v[18:19], v[12:13], v[18:19]
	s_waitcnt vmcnt(57)
	v_fma_f64 v[169:170], v[6:7], v[20:21], -v[83:84]
	ds_read_b128 v[2:5], v1 offset:1040
	v_fma_f64 v[14:15], v[8:9], v[20:21], v[14:15]
	s_clause 0x4
	buffer_load_dword v21, off, s[0:3], 0 offset:636
	buffer_load_dword v171, off, s[0:3], 0 offset:648
	;; [unrolled: 1-line block ×5, first 2 shown]
	ds_read_b128 v[6:9], v1 offset:1056
	v_add_f64 v[74:75], v[74:75], 0
	v_add_f64 v[16:17], v[16:17], 0
	s_waitcnt vmcnt(58) lgkmcnt(1)
	v_mul_f64 v[174:175], v[2:3], v[22:23]
	v_mul_f64 v[22:23], v[4:5], v[22:23]
	s_waitcnt vmcnt(56)
	v_fma_f64 v[18:19], v[10:11], v[28:29], -v[18:19]
	v_fma_f64 v[28:29], v[12:13], v[28:29], v[167:168]
	s_waitcnt vmcnt(55) lgkmcnt(0)
	v_mul_f64 v[167:168], v[6:7], v[24:25]
	v_mul_f64 v[24:25], v[8:9], v[24:25]
	v_add_f64 v[74:75], v[74:75], v[169:170]
	v_add_f64 v[14:15], v[16:17], v[14:15]
	s_clause 0x2
	buffer_load_dword v172, off, s[0:3], 0 offset:652
	buffer_load_dword v17, off, s[0:3], 0 offset:628
	;; [unrolled: 1-line block ×3, first 2 shown]
	ds_read_b128 v[10:13], v1 offset:1072
	s_waitcnt vmcnt(56)
	v_fma_f64 v[22:23], v[2:3], v[30:31], -v[22:23]
	v_fma_f64 v[30:31], v[4:5], v[30:31], v[174:175]
	s_waitcnt vmcnt(51)
	v_fma_f64 v[24:25], v[6:7], v[26:27], -v[24:25]
	v_add_f64 v[18:19], v[74:75], v[18:19]
	v_add_f64 v[14:15], v[14:15], v[28:29]
	s_clause 0x2
	buffer_load_dword v29, off, s[0:3], 0 offset:668
	buffer_load_dword v28, off, s[0:3], 0 offset:664
	;; [unrolled: 1-line block ×3, first 2 shown]
	s_waitcnt lgkmcnt(0)
	v_mul_f64 v[74:75], v[10:11], v[32:33]
	v_mul_f64 v[32:33], v[12:13], v[32:33]
	ds_read_b128 v[2:5], v1 offset:1088
	v_add_f64 v[18:19], v[18:19], v[22:23]
	v_fma_f64 v[22:23], v[8:9], v[26:27], v[167:168]
	v_add_f64 v[14:15], v[14:15], v[30:31]
	s_clause 0x1
	buffer_load_dword v27, off, s[0:3], 0 offset:660
	buffer_load_dword v26, off, s[0:3], 0 offset:656
	s_waitcnt vmcnt(55) lgkmcnt(0)
	v_mul_f64 v[30:31], v[2:3], v[34:35]
	v_mul_f64 v[34:35], v[4:5], v[34:35]
	s_waitcnt vmcnt(53)
	v_fma_f64 v[32:33], v[10:11], v[38:39], -v[32:33]
	ds_read_b128 v[6:9], v1 offset:1104
	v_add_f64 v[18:19], v[18:19], v[24:25]
	v_fma_f64 v[24:25], v[12:13], v[38:39], v[74:75]
	v_add_f64 v[14:15], v[14:15], v[22:23]
	ds_read_b128 v[10:13], v1 offset:1120
	s_waitcnt vmcnt(48)
	v_fma_f64 v[30:31], v[4:5], v[36:37], v[30:31]
	s_waitcnt lgkmcnt(1)
	v_mul_f64 v[38:39], v[8:9], v[40:41]
	v_fma_f64 v[34:35], v[2:3], v[36:37], -v[34:35]
	v_mul_f64 v[22:23], v[6:7], v[40:41]
	v_add_f64 v[18:19], v[18:19], v[32:33]
	s_waitcnt vmcnt(47) lgkmcnt(0)
	v_mul_f64 v[40:41], v[12:13], v[42:43]
	v_add_f64 v[14:15], v[14:15], v[24:25]
	s_clause 0x3
	buffer_load_dword v24, off, s[0:3], 0 offset:336
	buffer_load_dword v25, off, s[0:3], 0 offset:340
	;; [unrolled: 1-line block ×4, first 2 shown]
	ds_read_b128 v[2:5], v1 offset:1136
	s_waitcnt vmcnt(49)
	v_fma_f64 v[38:39], v[6:7], v[46:47], -v[38:39]
	v_mul_f64 v[36:37], v[10:11], v[42:43]
	v_fma_f64 v[22:23], v[8:9], v[46:47], v[22:23]
	ds_read_b128 v[6:9], v1 offset:1152
	v_add_f64 v[18:19], v[18:19], v[34:35]
	s_waitcnt vmcnt(44)
	v_fma_f64 v[40:41], v[10:11], v[44:45], -v[40:41]
	v_add_f64 v[14:15], v[14:15], v[30:31]
	s_waitcnt lgkmcnt(1)
	v_mul_f64 v[34:35], v[4:5], v[48:49]
	v_mul_f64 v[30:31], v[2:3], v[48:49]
	v_fma_f64 v[36:37], v[12:13], v[44:45], v[36:37]
	ds_read_b128 v[10:13], v1 offset:1168
	v_add_f64 v[18:19], v[18:19], v[38:39]
	s_waitcnt vmcnt(43) lgkmcnt(1)
	v_mul_f64 v[38:39], v[8:9], v[50:51]
	v_add_f64 v[14:15], v[14:15], v[22:23]
	s_waitcnt vmcnt(41)
	v_fma_f64 v[34:35], v[2:3], v[54:55], -v[34:35]
	v_mul_f64 v[22:23], v[6:7], v[50:51]
	v_fma_f64 v[30:31], v[4:5], v[54:55], v[30:31]
	ds_read_b128 v[2:5], v1 offset:1184
	v_add_f64 v[18:19], v[18:19], v[40:41]
	s_waitcnt vmcnt(37) lgkmcnt(1)
	v_mul_f64 v[40:41], v[12:13], v[56:57]
	v_add_f64 v[14:15], v[14:15], v[36:37]
	s_waitcnt vmcnt(36)
	v_fma_f64 v[38:39], v[6:7], v[52:53], -v[38:39]
	;; [unrolled: 9-line block ×6, first 2 shown]
	v_mul_f64 v[30:31], v[2:3], v[78:79]
	v_fma_f64 v[36:37], v[12:13], v[70:71], v[36:37]
	ds_read_b128 v[10:13], v1 offset:1264
	v_add_f64 v[18:19], v[18:19], v[38:39]
	v_add_f64 v[14:15], v[14:15], v[22:23]
	s_waitcnt vmcnt(19) lgkmcnt(1)
	v_mul_f64 v[38:39], v[8:9], v[80:81]
	v_mul_f64 v[22:23], v[6:7], v[80:81]
	s_waitcnt vmcnt(17)
	v_fma_f64 v[34:35], v[2:3], v[76:77], -v[34:35]
	v_fma_f64 v[30:31], v[4:5], v[76:77], v[30:31]
	ds_read_b128 v[2:5], v1 offset:1280
	v_add_f64 v[18:19], v[18:19], v[40:41]
	v_add_f64 v[14:15], v[14:15], v[36:37]
	s_waitcnt vmcnt(13) lgkmcnt(1)
	v_mul_f64 v[36:37], v[10:11], v[20:21]
	v_mul_f64 v[20:21], v[12:13], v[20:21]
	s_waitcnt vmcnt(12)
	v_fma_f64 v[38:39], v[6:7], v[82:83], -v[38:39]
	;; [unrolled: 9-line block ×3, first 2 shown]
	v_fma_f64 v[12:13], v[12:13], v[16:17], v[36:37]
	v_add_f64 v[18:19], v[18:19], v[38:39]
	v_add_f64 v[14:15], v[14:15], v[22:23]
	s_waitcnt vmcnt(7) lgkmcnt(0)
	v_mul_f64 v[20:21], v[8:9], v[28:29]
	s_waitcnt vmcnt(6)
	v_fma_f64 v[1:2], v[2:3], v[173:174], -v[34:35]
	v_mul_f64 v[16:17], v[6:7], v[28:29]
	v_fma_f64 v[3:4], v[4:5], v[173:174], v[30:31]
	v_add_f64 v[10:11], v[18:19], v[10:11]
	v_add_f64 v[12:13], v[14:15], v[12:13]
	s_waitcnt vmcnt(4)
	v_fma_f64 v[5:6], v[6:7], v[26:27], -v[20:21]
	v_fma_f64 v[7:8], v[8:9], v[26:27], v[16:17]
	v_add_f64 v[1:2], v[10:11], v[1:2]
	v_add_f64 v[3:4], v[12:13], v[3:4]
	;; [unrolled: 1-line block ×4, first 2 shown]
	s_waitcnt vmcnt(2)
	v_add_f64 v[1:2], v[24:25], -v[1:2]
	s_waitcnt vmcnt(0)
	v_add_f64 v[3:4], v[32:33], -v[3:4]
	buffer_store_dword v2, off, s[0:3], 0 offset:340
	buffer_store_dword v1, off, s[0:3], 0 offset:336
	buffer_store_dword v4, off, s[0:3], 0 offset:348
	buffer_store_dword v3, off, s[0:3], 0 offset:344
	v_cmpx_lt_u32_e32 19, v0
	s_cbranch_execz .LBB40_221
; %bb.220:
	v_mov_b32_e32 v4, s27
	v_mov_b32_e32 v5, 0
	s_clause 0x3
	buffer_load_dword v1, v4, s[0:3], 0 offen
	buffer_load_dword v2, v4, s[0:3], 0 offen offset:4
	buffer_load_dword v3, v4, s[0:3], 0 offen offset:8
	buffer_load_dword v4, v4, s[0:3], 0 offen offset:12
	buffer_store_dword v5, off, s[0:3], 0 offset:320
	buffer_store_dword v5, off, s[0:3], 0 offset:324
	;; [unrolled: 1-line block ×4, first 2 shown]
	s_waitcnt vmcnt(0)
	ds_write_b128 v61, v[1:4]
.LBB40_221:
	s_or_b32 exec_lo, exec_lo, s4
	s_waitcnt lgkmcnt(0)
	s_waitcnt_vscnt null, 0x0
	s_barrier
	buffer_gl0_inv
	s_clause 0x37
	buffer_load_dword v10, off, s[0:3], 0 offset:344
	buffer_load_dword v11, off, s[0:3], 0 offset:348
	;; [unrolled: 1-line block ×56, first 2 shown]
	v_mov_b32_e32 v1, 0
	s_mov_b32 s4, exec_lo
	ds_read_b128 v[2:5], v1 offset:976
	s_clause 0x2
	buffer_load_dword v69, off, s[0:3], 0 offset:572
	buffer_load_dword v73, off, s[0:3], 0 offset:548
	;; [unrolled: 1-line block ×3, first 2 shown]
	ds_read_b128 v[6:9], v1 offset:992
	s_clause 0x4
	buffer_load_dword v79, off, s[0:3], 0 offset:588
	buffer_load_dword v80, off, s[0:3], 0 offset:600
	;; [unrolled: 1-line block ×5, first 2 shown]
	s_waitcnt vmcnt(62) lgkmcnt(1)
	v_mul_f64 v[74:75], v[4:5], v[10:11]
	v_mul_f64 v[76:77], v[2:3], v[10:11]
	s_waitcnt vmcnt(60) lgkmcnt(0)
	v_mul_f64 v[83:84], v[8:9], v[14:15]
	ds_read_b128 v[10:13], v1 offset:1008
	v_mul_f64 v[14:15], v[6:7], v[14:15]
	s_waitcnt vmcnt(58)
	v_fma_f64 v[74:75], v[2:3], v[16:17], -v[74:75]
	v_fma_f64 v[16:17], v[4:5], v[16:17], v[76:77]
	s_clause 0x2
	buffer_load_dword v81, off, s[0:3], 0 offset:604
	buffer_load_dword v77, off, s[0:3], 0 offset:580
	;; [unrolled: 1-line block ×3, first 2 shown]
	s_waitcnt vmcnt(59) lgkmcnt(0)
	v_mul_f64 v[167:168], v[10:11], v[18:19]
	v_mul_f64 v[18:19], v[12:13], v[18:19]
	s_waitcnt vmcnt(57)
	v_fma_f64 v[169:170], v[6:7], v[20:21], -v[83:84]
	ds_read_b128 v[2:5], v1 offset:1024
	v_fma_f64 v[14:15], v[8:9], v[20:21], v[14:15]
	s_clause 0x4
	buffer_load_dword v21, off, s[0:3], 0 offset:620
	buffer_load_dword v171, off, s[0:3], 0 offset:632
	;; [unrolled: 1-line block ×5, first 2 shown]
	ds_read_b128 v[6:9], v1 offset:1040
	v_add_f64 v[74:75], v[74:75], 0
	v_add_f64 v[16:17], v[16:17], 0
	s_waitcnt vmcnt(58) lgkmcnt(1)
	v_mul_f64 v[174:175], v[2:3], v[22:23]
	v_mul_f64 v[22:23], v[4:5], v[22:23]
	s_waitcnt vmcnt(56)
	v_fma_f64 v[18:19], v[10:11], v[28:29], -v[18:19]
	v_fma_f64 v[28:29], v[12:13], v[28:29], v[167:168]
	s_waitcnt vmcnt(55) lgkmcnt(0)
	v_mul_f64 v[167:168], v[6:7], v[24:25]
	v_mul_f64 v[24:25], v[8:9], v[24:25]
	v_add_f64 v[74:75], v[74:75], v[169:170]
	v_add_f64 v[14:15], v[16:17], v[14:15]
	s_clause 0x2
	buffer_load_dword v172, off, s[0:3], 0 offset:636
	buffer_load_dword v17, off, s[0:3], 0 offset:612
	;; [unrolled: 1-line block ×3, first 2 shown]
	ds_read_b128 v[10:13], v1 offset:1056
	s_waitcnt vmcnt(56)
	v_fma_f64 v[22:23], v[2:3], v[30:31], -v[22:23]
	v_fma_f64 v[30:31], v[4:5], v[30:31], v[174:175]
	s_waitcnt vmcnt(51)
	v_fma_f64 v[24:25], v[6:7], v[26:27], -v[24:25]
	v_add_f64 v[18:19], v[74:75], v[18:19]
	v_add_f64 v[14:15], v[14:15], v[28:29]
	s_clause 0x4
	buffer_load_dword v29, off, s[0:3], 0 offset:652
	buffer_load_dword v74, off, s[0:3], 0 offset:664
	;; [unrolled: 1-line block ×5, first 2 shown]
	s_waitcnt lgkmcnt(0)
	v_mul_f64 v[175:176], v[10:11], v[32:33]
	v_mul_f64 v[32:33], v[12:13], v[32:33]
	ds_read_b128 v[2:5], v1 offset:1072
	v_add_f64 v[18:19], v[18:19], v[22:23]
	v_fma_f64 v[22:23], v[8:9], v[26:27], v[167:168]
	v_add_f64 v[14:15], v[14:15], v[30:31]
	s_clause 0x2
	buffer_load_dword v75, off, s[0:3], 0 offset:668
	buffer_load_dword v27, off, s[0:3], 0 offset:644
	;; [unrolled: 1-line block ×3, first 2 shown]
	s_waitcnt vmcnt(58) lgkmcnt(0)
	v_mul_f64 v[30:31], v[2:3], v[34:35]
	v_mul_f64 v[34:35], v[4:5], v[34:35]
	s_waitcnt vmcnt(56)
	v_fma_f64 v[32:33], v[10:11], v[38:39], -v[32:33]
	ds_read_b128 v[6:9], v1 offset:1088
	buffer_load_dword v170, off, s[0:3], 0 offset:660
	v_add_f64 v[18:19], v[18:19], v[24:25]
	v_fma_f64 v[24:25], v[12:13], v[38:39], v[175:176]
	v_add_f64 v[14:15], v[14:15], v[22:23]
	ds_read_b128 v[10:13], v1 offset:1104
	s_waitcnt vmcnt(52)
	v_fma_f64 v[30:31], v[4:5], v[36:37], v[30:31]
	s_waitcnt lgkmcnt(1)
	v_mul_f64 v[38:39], v[8:9], v[40:41]
	v_fma_f64 v[34:35], v[2:3], v[36:37], -v[34:35]
	v_mul_f64 v[22:23], v[6:7], v[40:41]
	ds_read_b128 v[2:5], v1 offset:1120
	v_add_f64 v[18:19], v[18:19], v[32:33]
	s_waitcnt vmcnt(51) lgkmcnt(1)
	v_mul_f64 v[32:33], v[12:13], v[42:43]
	v_add_f64 v[14:15], v[14:15], v[24:25]
	v_mul_f64 v[24:25], v[10:11], v[42:43]
	s_waitcnt vmcnt(49)
	v_fma_f64 v[36:37], v[6:7], v[46:47], -v[38:39]
	s_waitcnt vmcnt(45) lgkmcnt(0)
	v_mul_f64 v[40:41], v[4:5], v[48:49]
	v_fma_f64 v[22:23], v[8:9], v[46:47], v[22:23]
	v_mul_f64 v[38:39], v[2:3], v[48:49]
	v_add_f64 v[18:19], v[18:19], v[34:35]
	s_waitcnt vmcnt(44)
	v_fma_f64 v[32:33], v[10:11], v[44:45], -v[32:33]
	v_add_f64 v[14:15], v[14:15], v[30:31]
	s_clause 0x3
	buffer_load_dword v30, off, s[0:3], 0 offset:320
	buffer_load_dword v31, off, s[0:3], 0 offset:324
	;; [unrolled: 1-line block ×4, first 2 shown]
	ds_read_b128 v[6:9], v1 offset:1136
	v_fma_f64 v[24:25], v[12:13], v[44:45], v[24:25]
	ds_read_b128 v[10:13], v1 offset:1152
	s_waitcnt vmcnt(45)
	v_fma_f64 v[40:41], v[2:3], v[54:55], -v[40:41]
	v_add_f64 v[18:19], v[18:19], v[36:37]
	v_add_f64 v[14:15], v[14:15], v[22:23]
	s_waitcnt lgkmcnt(1)
	v_mul_f64 v[36:37], v[8:9], v[50:51]
	v_mul_f64 v[22:23], v[6:7], v[50:51]
	v_add_f64 v[18:19], v[18:19], v[32:33]
	v_fma_f64 v[32:33], v[4:5], v[54:55], v[38:39]
	v_add_f64 v[14:15], v[14:15], v[24:25]
	s_waitcnt vmcnt(41) lgkmcnt(0)
	v_mul_f64 v[38:39], v[12:13], v[56:57]
	s_waitcnt vmcnt(40)
	v_fma_f64 v[36:37], v[6:7], v[52:53], -v[36:37]
	ds_read_b128 v[2:5], v1 offset:1168
	v_mul_f64 v[24:25], v[10:11], v[56:57]
	v_fma_f64 v[22:23], v[8:9], v[52:53], v[22:23]
	ds_read_b128 v[6:9], v1 offset:1184
	v_add_f64 v[18:19], v[18:19], v[40:41]
	v_add_f64 v[14:15], v[14:15], v[32:33]
	s_waitcnt vmcnt(39) lgkmcnt(1)
	v_mul_f64 v[40:41], v[4:5], v[58:59]
	s_waitcnt vmcnt(37)
	v_fma_f64 v[38:39], v[10:11], v[64:65], -v[38:39]
	v_mul_f64 v[32:33], v[2:3], v[58:59]
	v_fma_f64 v[24:25], v[12:13], v[64:65], v[24:25]
	ds_read_b128 v[10:13], v1 offset:1200
	v_add_f64 v[18:19], v[18:19], v[36:37]
	s_waitcnt vmcnt(33) lgkmcnt(1)
	v_mul_f64 v[36:37], v[8:9], v[66:67]
	v_add_f64 v[14:15], v[14:15], v[22:23]
	s_waitcnt vmcnt(32)
	v_fma_f64 v[40:41], v[2:3], v[62:63], -v[40:41]
	v_mul_f64 v[22:23], v[6:7], v[66:67]
	v_fma_f64 v[32:33], v[4:5], v[62:63], v[32:33]
	ds_read_b128 v[2:5], v1 offset:1216
	v_add_f64 v[18:19], v[18:19], v[38:39]
	s_waitcnt vmcnt(31) lgkmcnt(1)
	v_mul_f64 v[38:39], v[12:13], v[68:69]
	v_add_f64 v[14:15], v[14:15], v[24:25]
	;; [unrolled: 9-line block ×3, first 2 shown]
	s_waitcnt vmcnt(24)
	v_fma_f64 v[38:39], v[10:11], v[70:71], -v[38:39]
	v_mul_f64 v[32:33], v[2:3], v[78:79]
	v_fma_f64 v[24:25], v[12:13], v[70:71], v[24:25]
	ds_read_b128 v[10:13], v1 offset:1248
	v_add_f64 v[18:19], v[18:19], v[36:37]
	v_add_f64 v[14:15], v[14:15], v[22:23]
	s_waitcnt vmcnt(23) lgkmcnt(1)
	v_mul_f64 v[36:37], v[8:9], v[80:81]
	v_mul_f64 v[22:23], v[6:7], v[80:81]
	s_waitcnt vmcnt(21)
	v_fma_f64 v[40:41], v[2:3], v[76:77], -v[40:41]
	v_fma_f64 v[32:33], v[4:5], v[76:77], v[32:33]
	ds_read_b128 v[2:5], v1 offset:1264
	v_add_f64 v[18:19], v[18:19], v[38:39]
	v_add_f64 v[14:15], v[14:15], v[24:25]
	s_waitcnt vmcnt(17) lgkmcnt(1)
	v_mul_f64 v[24:25], v[10:11], v[20:21]
	v_mul_f64 v[20:21], v[12:13], v[20:21]
	s_waitcnt vmcnt(16)
	v_fma_f64 v[36:37], v[6:7], v[82:83], -v[36:37]
	;; [unrolled: 9-line block ×3, first 2 shown]
	v_fma_f64 v[16:17], v[12:13], v[16:17], v[24:25]
	ds_read_b128 v[10:13], v1 offset:1296
	v_add_f64 v[18:19], v[18:19], v[36:37]
	v_add_f64 v[14:15], v[14:15], v[22:23]
	s_waitcnt vmcnt(9) lgkmcnt(1)
	v_mul_f64 v[24:25], v[8:9], v[28:29]
	s_waitcnt vmcnt(8)
	v_fma_f64 v[2:3], v[2:3], v[173:174], -v[38:39]
	v_mul_f64 v[22:23], v[6:7], v[28:29]
	v_fma_f64 v[4:5], v[4:5], v[173:174], v[32:33]
	v_add_f64 v[18:19], v[18:19], v[20:21]
	v_add_f64 v[14:15], v[14:15], v[16:17]
	s_waitcnt vmcnt(7) lgkmcnt(0)
	v_mul_f64 v[20:21], v[12:13], v[74:75]
	v_mul_f64 v[16:17], v[10:11], v[74:75]
	s_waitcnt vmcnt(5)
	v_fma_f64 v[6:7], v[6:7], v[26:27], -v[24:25]
	v_fma_f64 v[8:9], v[8:9], v[26:27], v[22:23]
	v_add_f64 v[2:3], v[18:19], v[2:3]
	v_add_f64 v[4:5], v[14:15], v[4:5]
	s_waitcnt vmcnt(4)
	v_fma_f64 v[10:11], v[10:11], v[169:170], -v[20:21]
	v_add_f64 v[2:3], v[2:3], v[6:7]
	v_fma_f64 v[6:7], v[12:13], v[169:170], v[16:17]
	v_add_f64 v[4:5], v[4:5], v[8:9]
	v_add_f64 v[2:3], v[2:3], v[10:11]
	;; [unrolled: 1-line block ×3, first 2 shown]
	s_waitcnt vmcnt(2)
	v_add_f64 v[2:3], v[30:31], -v[2:3]
	s_waitcnt vmcnt(0)
	v_add_f64 v[4:5], v[34:35], -v[4:5]
	buffer_store_dword v3, off, s[0:3], 0 offset:324
	buffer_store_dword v2, off, s[0:3], 0 offset:320
	;; [unrolled: 1-line block ×4, first 2 shown]
	v_cmpx_lt_u32_e32 18, v0
	s_cbranch_execz .LBB40_223
; %bb.222:
	v_mov_b32_e32 v5, s30
	s_clause 0x3
	buffer_load_dword v2, v5, s[0:3], 0 offen
	buffer_load_dword v3, v5, s[0:3], 0 offen offset:4
	buffer_load_dword v4, v5, s[0:3], 0 offen offset:8
	;; [unrolled: 1-line block ×3, first 2 shown]
	buffer_store_dword v1, off, s[0:3], 0 offset:304
	buffer_store_dword v1, off, s[0:3], 0 offset:308
	;; [unrolled: 1-line block ×4, first 2 shown]
	s_waitcnt vmcnt(0)
	ds_write_b128 v61, v[2:5]
.LBB40_223:
	s_or_b32 exec_lo, exec_lo, s4
	s_waitcnt lgkmcnt(0)
	s_waitcnt_vscnt null, 0x0
	s_barrier
	buffer_gl0_inv
	s_clause 0x37
	buffer_load_dword v10, off, s[0:3], 0 offset:328
	buffer_load_dword v11, off, s[0:3], 0 offset:332
	;; [unrolled: 1-line block ×56, first 2 shown]
	ds_read_b128 v[2:5], v1 offset:960
	s_clause 0x2
	buffer_load_dword v69, off, s[0:3], 0 offset:556
	buffer_load_dword v73, off, s[0:3], 0 offset:532
	;; [unrolled: 1-line block ×3, first 2 shown]
	ds_read_b128 v[6:9], v1 offset:976
	s_clause 0x4
	buffer_load_dword v79, off, s[0:3], 0 offset:572
	buffer_load_dword v80, off, s[0:3], 0 offset:584
	;; [unrolled: 1-line block ×5, first 2 shown]
	s_mov_b32 s4, exec_lo
	s_waitcnt vmcnt(62) lgkmcnt(1)
	v_mul_f64 v[74:75], v[4:5], v[10:11]
	v_mul_f64 v[76:77], v[2:3], v[10:11]
	s_waitcnt vmcnt(60) lgkmcnt(0)
	v_mul_f64 v[83:84], v[8:9], v[14:15]
	ds_read_b128 v[10:13], v1 offset:992
	v_mul_f64 v[14:15], v[6:7], v[14:15]
	s_waitcnt vmcnt(58)
	v_fma_f64 v[74:75], v[2:3], v[16:17], -v[74:75]
	v_fma_f64 v[16:17], v[4:5], v[16:17], v[76:77]
	s_clause 0x2
	buffer_load_dword v81, off, s[0:3], 0 offset:588
	buffer_load_dword v77, off, s[0:3], 0 offset:564
	;; [unrolled: 1-line block ×3, first 2 shown]
	s_waitcnt vmcnt(59) lgkmcnt(0)
	v_mul_f64 v[167:168], v[10:11], v[18:19]
	v_mul_f64 v[18:19], v[12:13], v[18:19]
	s_waitcnt vmcnt(57)
	v_fma_f64 v[169:170], v[6:7], v[20:21], -v[83:84]
	ds_read_b128 v[2:5], v1 offset:1008
	v_fma_f64 v[14:15], v[8:9], v[20:21], v[14:15]
	s_clause 0x4
	buffer_load_dword v21, off, s[0:3], 0 offset:604
	buffer_load_dword v171, off, s[0:3], 0 offset:616
	;; [unrolled: 1-line block ×5, first 2 shown]
	ds_read_b128 v[6:9], v1 offset:1024
	v_add_f64 v[74:75], v[74:75], 0
	v_add_f64 v[16:17], v[16:17], 0
	s_waitcnt vmcnt(58) lgkmcnt(1)
	v_mul_f64 v[174:175], v[2:3], v[22:23]
	v_mul_f64 v[22:23], v[4:5], v[22:23]
	s_waitcnt vmcnt(56)
	v_fma_f64 v[18:19], v[10:11], v[28:29], -v[18:19]
	v_fma_f64 v[28:29], v[12:13], v[28:29], v[167:168]
	s_waitcnt vmcnt(55) lgkmcnt(0)
	v_mul_f64 v[167:168], v[6:7], v[24:25]
	v_mul_f64 v[24:25], v[8:9], v[24:25]
	v_add_f64 v[74:75], v[74:75], v[169:170]
	v_add_f64 v[14:15], v[16:17], v[14:15]
	s_clause 0x2
	buffer_load_dword v172, off, s[0:3], 0 offset:620
	buffer_load_dword v17, off, s[0:3], 0 offset:596
	;; [unrolled: 1-line block ×3, first 2 shown]
	ds_read_b128 v[10:13], v1 offset:1040
	s_waitcnt vmcnt(56)
	v_fma_f64 v[22:23], v[2:3], v[30:31], -v[22:23]
	v_fma_f64 v[30:31], v[4:5], v[30:31], v[174:175]
	s_waitcnt vmcnt(51)
	v_fma_f64 v[24:25], v[6:7], v[26:27], -v[24:25]
	v_add_f64 v[18:19], v[74:75], v[18:19]
	v_add_f64 v[14:15], v[14:15], v[28:29]
	s_clause 0x4
	buffer_load_dword v29, off, s[0:3], 0 offset:636
	buffer_load_dword v74, off, s[0:3], 0 offset:648
	;; [unrolled: 1-line block ×5, first 2 shown]
	s_waitcnt lgkmcnt(0)
	v_mul_f64 v[175:176], v[10:11], v[32:33]
	v_mul_f64 v[32:33], v[12:13], v[32:33]
	ds_read_b128 v[2:5], v1 offset:1056
	v_add_f64 v[18:19], v[18:19], v[22:23]
	v_fma_f64 v[22:23], v[8:9], v[26:27], v[167:168]
	v_add_f64 v[14:15], v[14:15], v[30:31]
	s_clause 0x2
	buffer_load_dword v75, off, s[0:3], 0 offset:652
	buffer_load_dword v27, off, s[0:3], 0 offset:628
	;; [unrolled: 1-line block ×3, first 2 shown]
	s_waitcnt vmcnt(58) lgkmcnt(0)
	v_mul_f64 v[30:31], v[2:3], v[34:35]
	v_mul_f64 v[34:35], v[4:5], v[34:35]
	s_waitcnt vmcnt(56)
	v_fma_f64 v[32:33], v[10:11], v[38:39], -v[32:33]
	ds_read_b128 v[6:9], v1 offset:1072
	v_add_f64 v[18:19], v[18:19], v[24:25]
	v_fma_f64 v[24:25], v[12:13], v[38:39], v[175:176]
	v_add_f64 v[14:15], v[14:15], v[22:23]
	s_clause 0x2
	buffer_load_dword v23, off, s[0:3], 0 offset:668
	buffer_load_dword v22, off, s[0:3], 0 offset:664
	;; [unrolled: 1-line block ×3, first 2 shown]
	ds_read_b128 v[10:13], v1 offset:1088
	s_waitcnt vmcnt(55) lgkmcnt(1)
	v_mul_f64 v[38:39], v[6:7], v[40:41]
	v_mul_f64 v[40:41], v[8:9], v[40:41]
	s_waitcnt vmcnt(54)
	v_fma_f64 v[34:35], v[2:3], v[36:37], -v[34:35]
	v_fma_f64 v[30:31], v[4:5], v[36:37], v[30:31]
	v_add_f64 v[18:19], v[18:19], v[32:33]
	v_add_f64 v[14:15], v[14:15], v[24:25]
	s_clause 0x1
	buffer_load_dword v25, off, s[0:3], 0 offset:660
	buffer_load_dword v24, off, s[0:3], 0 offset:656
	s_waitcnt vmcnt(55) lgkmcnt(0)
	v_mul_f64 v[36:37], v[12:13], v[42:43]
	ds_read_b128 v[2:5], v1 offset:1104
	s_waitcnt vmcnt(53)
	v_fma_f64 v[40:41], v[6:7], v[46:47], -v[40:41]
	v_mul_f64 v[32:33], v[10:11], v[42:43]
	v_add_f64 v[18:19], v[18:19], v[34:35]
	v_fma_f64 v[34:35], v[8:9], v[46:47], v[38:39]
	v_add_f64 v[14:15], v[14:15], v[30:31]
	ds_read_b128 v[6:9], v1 offset:1120
	s_waitcnt vmcnt(49) lgkmcnt(1)
	v_mul_f64 v[38:39], v[4:5], v[48:49]
	s_waitcnt vmcnt(48)
	v_fma_f64 v[36:37], v[10:11], v[44:45], -v[36:37]
	v_mul_f64 v[30:31], v[2:3], v[48:49]
	v_fma_f64 v[32:33], v[12:13], v[44:45], v[32:33]
	v_add_f64 v[18:19], v[18:19], v[40:41]
	s_waitcnt vmcnt(47) lgkmcnt(0)
	v_mul_f64 v[44:45], v[8:9], v[50:51]
	v_add_f64 v[14:15], v[14:15], v[34:35]
	s_clause 0x3
	buffer_load_dword v34, off, s[0:3], 0 offset:304
	buffer_load_dword v35, off, s[0:3], 0 offset:308
	;; [unrolled: 1-line block ×4, first 2 shown]
	s_waitcnt vmcnt(49)
	v_fma_f64 v[38:39], v[2:3], v[54:55], -v[38:39]
	ds_read_b128 v[10:13], v1 offset:1136
	v_mul_f64 v[42:43], v[6:7], v[50:51]
	v_fma_f64 v[30:31], v[4:5], v[54:55], v[30:31]
	ds_read_b128 v[2:5], v1 offset:1152
	v_add_f64 v[18:19], v[18:19], v[36:37]
	s_waitcnt vmcnt(44)
	v_fma_f64 v[44:45], v[6:7], v[52:53], -v[44:45]
	v_add_f64 v[14:15], v[14:15], v[32:33]
	s_waitcnt lgkmcnt(1)
	v_mul_f64 v[36:37], v[12:13], v[56:57]
	v_mul_f64 v[32:33], v[10:11], v[56:57]
	v_add_f64 v[18:19], v[18:19], v[38:39]
	v_fma_f64 v[38:39], v[8:9], v[52:53], v[42:43]
	v_add_f64 v[14:15], v[14:15], v[30:31]
	s_waitcnt vmcnt(43) lgkmcnt(0)
	v_mul_f64 v[42:43], v[4:5], v[58:59]
	s_waitcnt vmcnt(41)
	v_fma_f64 v[36:37], v[10:11], v[64:65], -v[36:37]
	ds_read_b128 v[6:9], v1 offset:1168
	v_mul_f64 v[30:31], v[2:3], v[58:59]
	v_fma_f64 v[32:33], v[12:13], v[64:65], v[32:33]
	ds_read_b128 v[10:13], v1 offset:1184
	v_add_f64 v[18:19], v[18:19], v[44:45]
	v_add_f64 v[14:15], v[14:15], v[38:39]
	s_waitcnt vmcnt(37) lgkmcnt(1)
	v_mul_f64 v[44:45], v[8:9], v[66:67]
	s_waitcnt vmcnt(36)
	v_fma_f64 v[42:43], v[2:3], v[62:63], -v[42:43]
	v_mul_f64 v[38:39], v[6:7], v[66:67]
	v_fma_f64 v[30:31], v[4:5], v[62:63], v[30:31]
	ds_read_b128 v[2:5], v1 offset:1200
	v_add_f64 v[18:19], v[18:19], v[36:37]
	s_waitcnt vmcnt(35) lgkmcnt(1)
	v_mul_f64 v[36:37], v[12:13], v[68:69]
	v_add_f64 v[14:15], v[14:15], v[32:33]
	s_waitcnt vmcnt(33)
	v_fma_f64 v[44:45], v[6:7], v[72:73], -v[44:45]
	v_mul_f64 v[32:33], v[10:11], v[68:69]
	v_fma_f64 v[38:39], v[8:9], v[72:73], v[38:39]
	ds_read_b128 v[6:9], v1 offset:1216
	v_add_f64 v[18:19], v[18:19], v[42:43]
	s_waitcnt vmcnt(29) lgkmcnt(1)
	v_mul_f64 v[42:43], v[4:5], v[78:79]
	v_add_f64 v[14:15], v[14:15], v[30:31]
	s_waitcnt vmcnt(28)
	v_fma_f64 v[36:37], v[10:11], v[70:71], -v[36:37]
	v_mul_f64 v[30:31], v[2:3], v[78:79]
	v_fma_f64 v[32:33], v[12:13], v[70:71], v[32:33]
	ds_read_b128 v[10:13], v1 offset:1232
	v_add_f64 v[18:19], v[18:19], v[44:45]
	v_add_f64 v[14:15], v[14:15], v[38:39]
	s_waitcnt vmcnt(27) lgkmcnt(1)
	v_mul_f64 v[44:45], v[8:9], v[80:81]
	v_mul_f64 v[38:39], v[6:7], v[80:81]
	s_waitcnt vmcnt(25)
	v_fma_f64 v[42:43], v[2:3], v[76:77], -v[42:43]
	v_fma_f64 v[30:31], v[4:5], v[76:77], v[30:31]
	ds_read_b128 v[2:5], v1 offset:1248
	v_add_f64 v[18:19], v[18:19], v[36:37]
	v_add_f64 v[14:15], v[14:15], v[32:33]
	s_waitcnt vmcnt(21) lgkmcnt(1)
	v_mul_f64 v[32:33], v[10:11], v[20:21]
	v_mul_f64 v[20:21], v[12:13], v[20:21]
	s_waitcnt vmcnt(20)
	v_fma_f64 v[36:37], v[6:7], v[82:83], -v[44:45]
	;; [unrolled: 9-line block ×4, first 2 shown]
	v_add_f64 v[18:19], v[18:19], v[20:21]
	v_fma_f64 v[20:21], v[4:5], v[173:174], v[30:31]
	v_add_f64 v[14:15], v[14:15], v[16:17]
	ds_read_b128 v[1:4], v1 offset:1296
	s_waitcnt vmcnt(11) lgkmcnt(1)
	v_mul_f64 v[30:31], v[12:13], v[74:75]
	v_mul_f64 v[16:17], v[10:11], v[74:75]
	s_waitcnt vmcnt(9)
	v_fma_f64 v[5:6], v[6:7], v[26:27], -v[28:29]
	v_fma_f64 v[7:8], v[8:9], v[26:27], v[32:33]
	v_add_f64 v[18:19], v[18:19], v[36:37]
	v_add_f64 v[14:15], v[14:15], v[20:21]
	s_waitcnt vmcnt(7) lgkmcnt(0)
	v_mul_f64 v[20:21], v[1:2], v[22:23]
	v_mul_f64 v[22:23], v[3:4], v[22:23]
	s_waitcnt vmcnt(6)
	v_fma_f64 v[9:10], v[10:11], v[169:170], -v[30:31]
	v_fma_f64 v[11:12], v[12:13], v[169:170], v[16:17]
	v_add_f64 v[5:6], v[18:19], v[5:6]
	v_add_f64 v[7:8], v[14:15], v[7:8]
	s_waitcnt vmcnt(4)
	v_fma_f64 v[1:2], v[1:2], v[24:25], -v[22:23]
	v_fma_f64 v[3:4], v[3:4], v[24:25], v[20:21]
	v_add_f64 v[5:6], v[5:6], v[9:10]
	v_add_f64 v[7:8], v[7:8], v[11:12]
	;; [unrolled: 1-line block ×4, first 2 shown]
	s_waitcnt vmcnt(2)
	v_add_f64 v[1:2], v[34:35], -v[1:2]
	s_waitcnt vmcnt(0)
	v_add_f64 v[3:4], v[40:41], -v[3:4]
	buffer_store_dword v2, off, s[0:3], 0 offset:308
	buffer_store_dword v1, off, s[0:3], 0 offset:304
	;; [unrolled: 1-line block ×4, first 2 shown]
	v_cmpx_lt_u32_e32 17, v0
	s_cbranch_execz .LBB40_225
; %bb.224:
	v_mov_b32_e32 v4, s33
	v_mov_b32_e32 v5, 0
	s_clause 0x3
	buffer_load_dword v1, v4, s[0:3], 0 offen
	buffer_load_dword v2, v4, s[0:3], 0 offen offset:4
	buffer_load_dword v3, v4, s[0:3], 0 offen offset:8
	;; [unrolled: 1-line block ×3, first 2 shown]
	buffer_store_dword v5, off, s[0:3], 0 offset:288
	buffer_store_dword v5, off, s[0:3], 0 offset:292
	;; [unrolled: 1-line block ×4, first 2 shown]
	s_waitcnt vmcnt(0)
	ds_write_b128 v61, v[1:4]
.LBB40_225:
	s_or_b32 exec_lo, exec_lo, s4
	s_waitcnt lgkmcnt(0)
	s_waitcnt_vscnt null, 0x0
	s_barrier
	buffer_gl0_inv
	s_clause 0x37
	buffer_load_dword v10, off, s[0:3], 0 offset:312
	buffer_load_dword v11, off, s[0:3], 0 offset:316
	;; [unrolled: 1-line block ×56, first 2 shown]
	v_mov_b32_e32 v1, 0
	s_mov_b32 s4, exec_lo
	ds_read_b128 v[2:5], v1 offset:944
	s_clause 0x2
	buffer_load_dword v69, off, s[0:3], 0 offset:540
	buffer_load_dword v73, off, s[0:3], 0 offset:516
	;; [unrolled: 1-line block ×3, first 2 shown]
	ds_read_b128 v[6:9], v1 offset:960
	s_clause 0x4
	buffer_load_dword v79, off, s[0:3], 0 offset:556
	buffer_load_dword v80, off, s[0:3], 0 offset:568
	;; [unrolled: 1-line block ×5, first 2 shown]
	s_waitcnt vmcnt(62) lgkmcnt(1)
	v_mul_f64 v[74:75], v[4:5], v[10:11]
	v_mul_f64 v[76:77], v[2:3], v[10:11]
	s_waitcnt vmcnt(60) lgkmcnt(0)
	v_mul_f64 v[83:84], v[8:9], v[14:15]
	ds_read_b128 v[10:13], v1 offset:976
	v_mul_f64 v[14:15], v[6:7], v[14:15]
	s_waitcnt vmcnt(58)
	v_fma_f64 v[74:75], v[2:3], v[16:17], -v[74:75]
	v_fma_f64 v[16:17], v[4:5], v[16:17], v[76:77]
	s_clause 0x2
	buffer_load_dword v81, off, s[0:3], 0 offset:572
	buffer_load_dword v77, off, s[0:3], 0 offset:548
	;; [unrolled: 1-line block ×3, first 2 shown]
	s_waitcnt vmcnt(59) lgkmcnt(0)
	v_mul_f64 v[167:168], v[10:11], v[18:19]
	v_mul_f64 v[18:19], v[12:13], v[18:19]
	s_waitcnt vmcnt(57)
	v_fma_f64 v[169:170], v[6:7], v[20:21], -v[83:84]
	ds_read_b128 v[2:5], v1 offset:992
	v_fma_f64 v[14:15], v[8:9], v[20:21], v[14:15]
	s_clause 0x4
	buffer_load_dword v21, off, s[0:3], 0 offset:588
	buffer_load_dword v171, off, s[0:3], 0 offset:600
	;; [unrolled: 1-line block ×5, first 2 shown]
	ds_read_b128 v[6:9], v1 offset:1008
	v_add_f64 v[74:75], v[74:75], 0
	v_add_f64 v[16:17], v[16:17], 0
	s_waitcnt vmcnt(58) lgkmcnt(1)
	v_mul_f64 v[174:175], v[2:3], v[22:23]
	v_mul_f64 v[22:23], v[4:5], v[22:23]
	s_waitcnt vmcnt(56)
	v_fma_f64 v[18:19], v[10:11], v[28:29], -v[18:19]
	v_fma_f64 v[28:29], v[12:13], v[28:29], v[167:168]
	s_waitcnt vmcnt(55) lgkmcnt(0)
	v_mul_f64 v[167:168], v[6:7], v[24:25]
	v_mul_f64 v[24:25], v[8:9], v[24:25]
	v_add_f64 v[74:75], v[74:75], v[169:170]
	v_add_f64 v[14:15], v[16:17], v[14:15]
	s_clause 0x2
	buffer_load_dword v172, off, s[0:3], 0 offset:604
	buffer_load_dword v17, off, s[0:3], 0 offset:580
	;; [unrolled: 1-line block ×3, first 2 shown]
	ds_read_b128 v[10:13], v1 offset:1024
	s_waitcnt vmcnt(56)
	v_fma_f64 v[22:23], v[2:3], v[30:31], -v[22:23]
	v_fma_f64 v[30:31], v[4:5], v[30:31], v[174:175]
	s_waitcnt vmcnt(51)
	v_fma_f64 v[24:25], v[6:7], v[26:27], -v[24:25]
	v_add_f64 v[18:19], v[74:75], v[18:19]
	v_add_f64 v[14:15], v[14:15], v[28:29]
	s_clause 0x4
	buffer_load_dword v29, off, s[0:3], 0 offset:620
	buffer_load_dword v74, off, s[0:3], 0 offset:632
	;; [unrolled: 1-line block ×5, first 2 shown]
	s_waitcnt lgkmcnt(0)
	v_mul_f64 v[175:176], v[10:11], v[32:33]
	v_mul_f64 v[32:33], v[12:13], v[32:33]
	ds_read_b128 v[2:5], v1 offset:1040
	v_add_f64 v[18:19], v[18:19], v[22:23]
	v_fma_f64 v[22:23], v[8:9], v[26:27], v[167:168]
	v_add_f64 v[14:15], v[14:15], v[30:31]
	s_clause 0x2
	buffer_load_dword v75, off, s[0:3], 0 offset:636
	buffer_load_dword v27, off, s[0:3], 0 offset:612
	;; [unrolled: 1-line block ×3, first 2 shown]
	s_waitcnt vmcnt(58) lgkmcnt(0)
	v_mul_f64 v[30:31], v[2:3], v[34:35]
	v_mul_f64 v[34:35], v[4:5], v[34:35]
	s_waitcnt vmcnt(56)
	v_fma_f64 v[32:33], v[10:11], v[38:39], -v[32:33]
	ds_read_b128 v[6:9], v1 offset:1056
	v_add_f64 v[18:19], v[18:19], v[24:25]
	v_fma_f64 v[24:25], v[12:13], v[38:39], v[175:176]
	v_add_f64 v[14:15], v[14:15], v[22:23]
	s_clause 0x4
	buffer_load_dword v23, off, s[0:3], 0 offset:652
	buffer_load_dword v38, off, s[0:3], 0 offset:664
	;; [unrolled: 1-line block ×5, first 2 shown]
	ds_read_b128 v[10:13], v1 offset:1072
	s_waitcnt vmcnt(57) lgkmcnt(1)
	v_mul_f64 v[175:176], v[6:7], v[40:41]
	v_mul_f64 v[40:41], v[8:9], v[40:41]
	s_waitcnt vmcnt(56)
	v_fma_f64 v[34:35], v[2:3], v[36:37], -v[34:35]
	v_fma_f64 v[30:31], v[4:5], v[36:37], v[30:31]
	v_add_f64 v[18:19], v[18:19], v[32:33]
	v_add_f64 v[14:15], v[14:15], v[24:25]
	s_clause 0x2
	buffer_load_dword v39, off, s[0:3], 0 offset:668
	buffer_load_dword v25, off, s[0:3], 0 offset:644
	;; [unrolled: 1-line block ×3, first 2 shown]
	s_waitcnt vmcnt(58) lgkmcnt(0)
	v_mul_f64 v[36:37], v[12:13], v[42:43]
	ds_read_b128 v[2:5], v1 offset:1088
	s_waitcnt vmcnt(56)
	v_fma_f64 v[40:41], v[6:7], v[46:47], -v[40:41]
	v_mul_f64 v[32:33], v[10:11], v[42:43]
	buffer_load_dword v168, off, s[0:3], 0 offset:660
	v_add_f64 v[18:19], v[18:19], v[34:35]
	v_fma_f64 v[34:35], v[8:9], v[46:47], v[175:176]
	v_add_f64 v[14:15], v[14:15], v[30:31]
	ds_read_b128 v[6:9], v1 offset:1104
	s_waitcnt vmcnt(53) lgkmcnt(1)
	v_mul_f64 v[42:43], v[4:5], v[48:49]
	s_waitcnt vmcnt(52)
	v_fma_f64 v[36:37], v[10:11], v[44:45], -v[36:37]
	v_mul_f64 v[30:31], v[2:3], v[48:49]
	v_fma_f64 v[32:33], v[12:13], v[44:45], v[32:33]
	ds_read_b128 v[10:13], v1 offset:1120
	v_add_f64 v[18:19], v[18:19], v[40:41]
	s_waitcnt vmcnt(51) lgkmcnt(1)
	v_mul_f64 v[40:41], v[8:9], v[50:51]
	v_add_f64 v[14:15], v[14:15], v[34:35]
	v_mul_f64 v[34:35], v[6:7], v[50:51]
	s_waitcnt vmcnt(49)
	v_fma_f64 v[42:43], v[2:3], v[54:55], -v[42:43]
	v_fma_f64 v[30:31], v[4:5], v[54:55], v[30:31]
	s_waitcnt vmcnt(45) lgkmcnt(0)
	v_mul_f64 v[46:47], v[12:13], v[56:57]
	v_mul_f64 v[44:45], v[10:11], v[56:57]
	v_add_f64 v[18:19], v[18:19], v[36:37]
	s_waitcnt vmcnt(44)
	v_fma_f64 v[40:41], v[6:7], v[52:53], -v[40:41]
	v_add_f64 v[14:15], v[14:15], v[32:33]
	s_clause 0x3
	buffer_load_dword v32, off, s[0:3], 0 offset:288
	buffer_load_dword v33, off, s[0:3], 0 offset:292
	;; [unrolled: 1-line block ×4, first 2 shown]
	ds_read_b128 v[2:5], v1 offset:1136
	v_fma_f64 v[34:35], v[8:9], v[52:53], v[34:35]
	ds_read_b128 v[6:9], v1 offset:1152
	s_waitcnt vmcnt(45)
	v_fma_f64 v[46:47], v[10:11], v[64:65], -v[46:47]
	v_add_f64 v[18:19], v[18:19], v[42:43]
	v_add_f64 v[14:15], v[14:15], v[30:31]
	s_waitcnt lgkmcnt(1)
	v_mul_f64 v[42:43], v[4:5], v[58:59]
	v_mul_f64 v[30:31], v[2:3], v[58:59]
	v_add_f64 v[18:19], v[18:19], v[40:41]
	v_fma_f64 v[40:41], v[12:13], v[64:65], v[44:45]
	v_add_f64 v[14:15], v[14:15], v[34:35]
	s_waitcnt vmcnt(41) lgkmcnt(0)
	v_mul_f64 v[44:45], v[8:9], v[66:67]
	s_waitcnt vmcnt(40)
	v_fma_f64 v[42:43], v[2:3], v[62:63], -v[42:43]
	ds_read_b128 v[10:13], v1 offset:1168
	v_mul_f64 v[34:35], v[6:7], v[66:67]
	v_fma_f64 v[30:31], v[4:5], v[62:63], v[30:31]
	ds_read_b128 v[2:5], v1 offset:1184
	v_add_f64 v[18:19], v[18:19], v[46:47]
	v_add_f64 v[14:15], v[14:15], v[40:41]
	s_waitcnt vmcnt(39) lgkmcnt(1)
	v_mul_f64 v[46:47], v[12:13], v[68:69]
	s_waitcnt vmcnt(37)
	v_fma_f64 v[44:45], v[6:7], v[72:73], -v[44:45]
	v_mul_f64 v[40:41], v[10:11], v[68:69]
	v_fma_f64 v[34:35], v[8:9], v[72:73], v[34:35]
	ds_read_b128 v[6:9], v1 offset:1200
	v_add_f64 v[18:19], v[18:19], v[42:43]
	s_waitcnt vmcnt(33) lgkmcnt(1)
	v_mul_f64 v[42:43], v[4:5], v[78:79]
	v_add_f64 v[14:15], v[14:15], v[30:31]
	s_waitcnt vmcnt(32)
	v_fma_f64 v[46:47], v[10:11], v[70:71], -v[46:47]
	v_mul_f64 v[30:31], v[2:3], v[78:79]
	v_fma_f64 v[40:41], v[12:13], v[70:71], v[40:41]
	ds_read_b128 v[10:13], v1 offset:1216
	v_add_f64 v[18:19], v[18:19], v[44:45]
	v_add_f64 v[14:15], v[14:15], v[34:35]
	s_waitcnt vmcnt(31) lgkmcnt(1)
	v_mul_f64 v[44:45], v[8:9], v[80:81]
	v_mul_f64 v[34:35], v[6:7], v[80:81]
	s_waitcnt vmcnt(29)
	v_fma_f64 v[42:43], v[2:3], v[76:77], -v[42:43]
	v_fma_f64 v[30:31], v[4:5], v[76:77], v[30:31]
	ds_read_b128 v[2:5], v1 offset:1232
	v_add_f64 v[18:19], v[18:19], v[46:47]
	v_add_f64 v[14:15], v[14:15], v[40:41]
	s_waitcnt vmcnt(25) lgkmcnt(1)
	v_mul_f64 v[40:41], v[10:11], v[20:21]
	v_mul_f64 v[20:21], v[12:13], v[20:21]
	s_waitcnt vmcnt(24)
	v_fma_f64 v[44:45], v[6:7], v[82:83], -v[44:45]
	;; [unrolled: 9-line block ×4, first 2 shown]
	v_add_f64 v[18:19], v[18:19], v[20:21]
	v_fma_f64 v[20:21], v[4:5], v[173:174], v[30:31]
	v_add_f64 v[14:15], v[14:15], v[16:17]
	ds_read_b128 v[2:5], v1 offset:1280
	s_waitcnt vmcnt(15) lgkmcnt(1)
	v_mul_f64 v[30:31], v[12:13], v[74:75]
	v_mul_f64 v[16:17], v[10:11], v[74:75]
	s_waitcnt vmcnt(13)
	v_fma_f64 v[28:29], v[6:7], v[26:27], -v[28:29]
	v_fma_f64 v[26:27], v[8:9], v[26:27], v[34:35]
	ds_read_b128 v[6:9], v1 offset:1296
	v_add_f64 v[18:19], v[18:19], v[40:41]
	v_add_f64 v[14:15], v[14:15], v[20:21]
	s_waitcnt vmcnt(9) lgkmcnt(1)
	v_mul_f64 v[20:21], v[2:3], v[22:23]
	v_mul_f64 v[22:23], v[4:5], v[22:23]
	s_waitcnt vmcnt(8)
	v_fma_f64 v[10:11], v[10:11], v[169:170], -v[30:31]
	v_fma_f64 v[12:13], v[12:13], v[169:170], v[16:17]
	v_add_f64 v[18:19], v[18:19], v[28:29]
	v_add_f64 v[14:15], v[14:15], v[26:27]
	s_waitcnt vmcnt(7) lgkmcnt(0)
	v_mul_f64 v[26:27], v[8:9], v[38:39]
	v_mul_f64 v[16:17], v[6:7], v[38:39]
	s_waitcnt vmcnt(5)
	v_fma_f64 v[2:3], v[2:3], v[24:25], -v[22:23]
	v_fma_f64 v[4:5], v[4:5], v[24:25], v[20:21]
	v_add_f64 v[10:11], v[18:19], v[10:11]
	v_add_f64 v[12:13], v[14:15], v[12:13]
	s_waitcnt vmcnt(4)
	v_fma_f64 v[6:7], v[6:7], v[167:168], -v[26:27]
	v_fma_f64 v[8:9], v[8:9], v[167:168], v[16:17]
	v_add_f64 v[2:3], v[10:11], v[2:3]
	v_add_f64 v[4:5], v[12:13], v[4:5]
	;; [unrolled: 1-line block ×4, first 2 shown]
	s_waitcnt vmcnt(2)
	v_add_f64 v[2:3], v[32:33], -v[2:3]
	s_waitcnt vmcnt(0)
	v_add_f64 v[4:5], v[36:37], -v[4:5]
	buffer_store_dword v3, off, s[0:3], 0 offset:292
	buffer_store_dword v2, off, s[0:3], 0 offset:288
	;; [unrolled: 1-line block ×4, first 2 shown]
	v_cmpx_lt_u32_e32 16, v0
	s_cbranch_execz .LBB40_227
; %bb.226:
	v_mov_b32_e32 v5, s35
	s_clause 0x3
	buffer_load_dword v2, v5, s[0:3], 0 offen
	buffer_load_dword v3, v5, s[0:3], 0 offen offset:4
	buffer_load_dword v4, v5, s[0:3], 0 offen offset:8
	;; [unrolled: 1-line block ×3, first 2 shown]
	buffer_store_dword v1, off, s[0:3], 0 offset:272
	buffer_store_dword v1, off, s[0:3], 0 offset:276
	;; [unrolled: 1-line block ×4, first 2 shown]
	s_waitcnt vmcnt(0)
	ds_write_b128 v61, v[2:5]
.LBB40_227:
	s_or_b32 exec_lo, exec_lo, s4
	s_waitcnt lgkmcnt(0)
	s_waitcnt_vscnt null, 0x0
	s_barrier
	buffer_gl0_inv
	s_clause 0x37
	buffer_load_dword v10, off, s[0:3], 0 offset:296
	buffer_load_dword v11, off, s[0:3], 0 offset:300
	;; [unrolled: 1-line block ×56, first 2 shown]
	ds_read_b128 v[2:5], v1 offset:928
	s_clause 0x2
	buffer_load_dword v69, off, s[0:3], 0 offset:524
	buffer_load_dword v73, off, s[0:3], 0 offset:500
	;; [unrolled: 1-line block ×3, first 2 shown]
	ds_read_b128 v[6:9], v1 offset:944
	s_clause 0x4
	buffer_load_dword v79, off, s[0:3], 0 offset:540
	buffer_load_dword v80, off, s[0:3], 0 offset:552
	;; [unrolled: 1-line block ×5, first 2 shown]
	s_mov_b32 s4, exec_lo
	s_waitcnt vmcnt(62) lgkmcnt(1)
	v_mul_f64 v[74:75], v[4:5], v[10:11]
	v_mul_f64 v[76:77], v[2:3], v[10:11]
	s_waitcnt vmcnt(60) lgkmcnt(0)
	v_mul_f64 v[83:84], v[8:9], v[14:15]
	ds_read_b128 v[10:13], v1 offset:960
	v_mul_f64 v[14:15], v[6:7], v[14:15]
	s_waitcnt vmcnt(58)
	v_fma_f64 v[74:75], v[2:3], v[16:17], -v[74:75]
	v_fma_f64 v[16:17], v[4:5], v[16:17], v[76:77]
	s_clause 0x2
	buffer_load_dword v81, off, s[0:3], 0 offset:556
	buffer_load_dword v77, off, s[0:3], 0 offset:532
	;; [unrolled: 1-line block ×3, first 2 shown]
	s_waitcnt vmcnt(59) lgkmcnt(0)
	v_mul_f64 v[167:168], v[10:11], v[18:19]
	v_mul_f64 v[18:19], v[12:13], v[18:19]
	s_waitcnt vmcnt(57)
	v_fma_f64 v[169:170], v[6:7], v[20:21], -v[83:84]
	ds_read_b128 v[2:5], v1 offset:976
	v_fma_f64 v[14:15], v[8:9], v[20:21], v[14:15]
	s_clause 0x4
	buffer_load_dword v21, off, s[0:3], 0 offset:572
	buffer_load_dword v171, off, s[0:3], 0 offset:584
	;; [unrolled: 1-line block ×5, first 2 shown]
	ds_read_b128 v[6:9], v1 offset:992
	v_add_f64 v[74:75], v[74:75], 0
	v_add_f64 v[16:17], v[16:17], 0
	s_waitcnt vmcnt(58) lgkmcnt(1)
	v_mul_f64 v[174:175], v[2:3], v[22:23]
	v_mul_f64 v[22:23], v[4:5], v[22:23]
	s_waitcnt vmcnt(56)
	v_fma_f64 v[18:19], v[10:11], v[28:29], -v[18:19]
	v_fma_f64 v[28:29], v[12:13], v[28:29], v[167:168]
	s_waitcnt vmcnt(55) lgkmcnt(0)
	v_mul_f64 v[167:168], v[6:7], v[24:25]
	v_mul_f64 v[24:25], v[8:9], v[24:25]
	v_add_f64 v[74:75], v[74:75], v[169:170]
	v_add_f64 v[14:15], v[16:17], v[14:15]
	s_clause 0x2
	buffer_load_dword v172, off, s[0:3], 0 offset:588
	buffer_load_dword v17, off, s[0:3], 0 offset:564
	;; [unrolled: 1-line block ×3, first 2 shown]
	ds_read_b128 v[10:13], v1 offset:1008
	s_waitcnt vmcnt(56)
	v_fma_f64 v[22:23], v[2:3], v[30:31], -v[22:23]
	v_fma_f64 v[30:31], v[4:5], v[30:31], v[174:175]
	s_waitcnt vmcnt(51)
	v_fma_f64 v[24:25], v[6:7], v[26:27], -v[24:25]
	v_add_f64 v[18:19], v[74:75], v[18:19]
	v_add_f64 v[14:15], v[14:15], v[28:29]
	s_clause 0x4
	buffer_load_dword v29, off, s[0:3], 0 offset:604
	buffer_load_dword v74, off, s[0:3], 0 offset:616
	;; [unrolled: 1-line block ×5, first 2 shown]
	s_waitcnt lgkmcnt(0)
	v_mul_f64 v[175:176], v[10:11], v[32:33]
	v_mul_f64 v[32:33], v[12:13], v[32:33]
	ds_read_b128 v[2:5], v1 offset:1024
	v_add_f64 v[18:19], v[18:19], v[22:23]
	v_fma_f64 v[22:23], v[8:9], v[26:27], v[167:168]
	v_add_f64 v[14:15], v[14:15], v[30:31]
	s_clause 0x2
	buffer_load_dword v75, off, s[0:3], 0 offset:620
	buffer_load_dword v27, off, s[0:3], 0 offset:596
	;; [unrolled: 1-line block ×3, first 2 shown]
	s_waitcnt vmcnt(58) lgkmcnt(0)
	v_mul_f64 v[30:31], v[2:3], v[34:35]
	v_mul_f64 v[34:35], v[4:5], v[34:35]
	s_waitcnt vmcnt(56)
	v_fma_f64 v[32:33], v[10:11], v[38:39], -v[32:33]
	ds_read_b128 v[6:9], v1 offset:1040
	v_add_f64 v[18:19], v[18:19], v[24:25]
	v_fma_f64 v[24:25], v[12:13], v[38:39], v[175:176]
	v_add_f64 v[14:15], v[14:15], v[22:23]
	s_clause 0x4
	buffer_load_dword v23, off, s[0:3], 0 offset:636
	buffer_load_dword v38, off, s[0:3], 0 offset:648
	;; [unrolled: 1-line block ×5, first 2 shown]
	ds_read_b128 v[10:13], v1 offset:1056
	s_waitcnt vmcnt(57) lgkmcnt(1)
	v_mul_f64 v[175:176], v[6:7], v[40:41]
	v_mul_f64 v[40:41], v[8:9], v[40:41]
	s_waitcnt vmcnt(56)
	v_fma_f64 v[34:35], v[2:3], v[36:37], -v[34:35]
	v_fma_f64 v[30:31], v[4:5], v[36:37], v[30:31]
	v_add_f64 v[18:19], v[18:19], v[32:33]
	v_add_f64 v[14:15], v[14:15], v[24:25]
	s_clause 0x2
	buffer_load_dword v39, off, s[0:3], 0 offset:652
	buffer_load_dword v25, off, s[0:3], 0 offset:628
	;; [unrolled: 1-line block ×3, first 2 shown]
	s_waitcnt vmcnt(58) lgkmcnt(0)
	v_mul_f64 v[36:37], v[12:13], v[42:43]
	ds_read_b128 v[2:5], v1 offset:1072
	s_waitcnt vmcnt(56)
	v_fma_f64 v[40:41], v[6:7], v[46:47], -v[40:41]
	v_mul_f64 v[32:33], v[10:11], v[42:43]
	v_add_f64 v[18:19], v[18:19], v[34:35]
	v_fma_f64 v[34:35], v[8:9], v[46:47], v[175:176]
	v_add_f64 v[14:15], v[14:15], v[30:31]
	s_clause 0x2
	buffer_load_dword v31, off, s[0:3], 0 offset:668
	buffer_load_dword v30, off, s[0:3], 0 offset:664
	;; [unrolled: 1-line block ×3, first 2 shown]
	s_waitcnt vmcnt(55) lgkmcnt(0)
	v_mul_f64 v[46:47], v[4:5], v[48:49]
	s_waitcnt vmcnt(54)
	v_fma_f64 v[36:37], v[10:11], v[44:45], -v[36:37]
	ds_read_b128 v[6:9], v1 offset:1088
	v_mul_f64 v[42:43], v[2:3], v[48:49]
	v_fma_f64 v[32:33], v[12:13], v[44:45], v[32:33]
	v_add_f64 v[18:19], v[18:19], v[40:41]
	v_add_f64 v[14:15], v[14:15], v[34:35]
	s_clause 0x1
	buffer_load_dword v35, off, s[0:3], 0 offset:660
	buffer_load_dword v34, off, s[0:3], 0 offset:656
	s_waitcnt vmcnt(55) lgkmcnt(0)
	v_mul_f64 v[44:45], v[8:9], v[50:51]
	s_waitcnt vmcnt(53)
	v_fma_f64 v[46:47], v[2:3], v[54:55], -v[46:47]
	ds_read_b128 v[10:13], v1 offset:1104
	v_mul_f64 v[40:41], v[6:7], v[50:51]
	v_add_f64 v[18:19], v[18:19], v[36:37]
	v_fma_f64 v[36:37], v[4:5], v[54:55], v[42:43]
	v_add_f64 v[14:15], v[14:15], v[32:33]
	ds_read_b128 v[2:5], v1 offset:1120
	s_waitcnt vmcnt(49) lgkmcnt(1)
	v_mul_f64 v[42:43], v[12:13], v[56:57]
	s_waitcnt vmcnt(48)
	v_fma_f64 v[44:45], v[6:7], v[52:53], -v[44:45]
	v_mul_f64 v[32:33], v[10:11], v[56:57]
	v_fma_f64 v[40:41], v[8:9], v[52:53], v[40:41]
	v_add_f64 v[18:19], v[18:19], v[46:47]
	s_waitcnt vmcnt(47) lgkmcnt(0)
	v_mul_f64 v[50:51], v[4:5], v[58:59]
	v_add_f64 v[14:15], v[14:15], v[36:37]
	s_clause 0x3
	buffer_load_dword v36, off, s[0:3], 0 offset:272
	buffer_load_dword v37, off, s[0:3], 0 offset:276
	;; [unrolled: 1-line block ×4, first 2 shown]
	s_waitcnt vmcnt(49)
	v_fma_f64 v[42:43], v[10:11], v[64:65], -v[42:43]
	ds_read_b128 v[6:9], v1 offset:1136
	v_mul_f64 v[48:49], v[2:3], v[58:59]
	v_fma_f64 v[32:33], v[12:13], v[64:65], v[32:33]
	ds_read_b128 v[10:13], v1 offset:1152
	v_add_f64 v[18:19], v[18:19], v[44:45]
	s_waitcnt vmcnt(44)
	v_fma_f64 v[50:51], v[2:3], v[62:63], -v[50:51]
	v_add_f64 v[14:15], v[14:15], v[40:41]
	s_waitcnt lgkmcnt(1)
	v_mul_f64 v[44:45], v[8:9], v[66:67]
	v_mul_f64 v[40:41], v[6:7], v[66:67]
	v_add_f64 v[18:19], v[18:19], v[42:43]
	v_fma_f64 v[42:43], v[4:5], v[62:63], v[48:49]
	v_add_f64 v[14:15], v[14:15], v[32:33]
	s_waitcnt vmcnt(43) lgkmcnt(0)
	v_mul_f64 v[48:49], v[12:13], v[68:69]
	s_waitcnt vmcnt(41)
	v_fma_f64 v[44:45], v[6:7], v[72:73], -v[44:45]
	ds_read_b128 v[2:5], v1 offset:1168
	v_mul_f64 v[32:33], v[10:11], v[68:69]
	v_fma_f64 v[40:41], v[8:9], v[72:73], v[40:41]
	ds_read_b128 v[6:9], v1 offset:1184
	v_add_f64 v[18:19], v[18:19], v[50:51]
	v_add_f64 v[14:15], v[14:15], v[42:43]
	s_waitcnt vmcnt(37) lgkmcnt(1)
	v_mul_f64 v[50:51], v[4:5], v[78:79]
	s_waitcnt vmcnt(36)
	v_fma_f64 v[48:49], v[10:11], v[70:71], -v[48:49]
	v_mul_f64 v[42:43], v[2:3], v[78:79]
	v_fma_f64 v[32:33], v[12:13], v[70:71], v[32:33]
	ds_read_b128 v[10:13], v1 offset:1200
	v_add_f64 v[18:19], v[18:19], v[44:45]
	v_add_f64 v[14:15], v[14:15], v[40:41]
	s_waitcnt vmcnt(35) lgkmcnt(1)
	v_mul_f64 v[44:45], v[8:9], v[80:81]
	v_mul_f64 v[40:41], v[6:7], v[80:81]
	s_waitcnt vmcnt(33)
	v_fma_f64 v[50:51], v[2:3], v[76:77], -v[50:51]
	v_fma_f64 v[42:43], v[4:5], v[76:77], v[42:43]
	ds_read_b128 v[2:5], v1 offset:1216
	v_add_f64 v[18:19], v[18:19], v[48:49]
	v_add_f64 v[14:15], v[14:15], v[32:33]
	s_waitcnt vmcnt(29) lgkmcnt(1)
	v_mul_f64 v[32:33], v[10:11], v[20:21]
	v_mul_f64 v[20:21], v[12:13], v[20:21]
	s_waitcnt vmcnt(28)
	v_fma_f64 v[44:45], v[6:7], v[82:83], -v[44:45]
	;; [unrolled: 9-line block ×4, first 2 shown]
	v_add_f64 v[18:19], v[18:19], v[20:21]
	v_fma_f64 v[20:21], v[4:5], v[173:174], v[42:43]
	v_add_f64 v[14:15], v[14:15], v[16:17]
	ds_read_b128 v[2:5], v1 offset:1264
	s_waitcnt vmcnt(19) lgkmcnt(1)
	v_mul_f64 v[42:43], v[12:13], v[74:75]
	v_mul_f64 v[16:17], v[10:11], v[74:75]
	s_waitcnt vmcnt(17)
	v_fma_f64 v[28:29], v[6:7], v[26:27], -v[28:29]
	v_fma_f64 v[26:27], v[8:9], v[26:27], v[32:33]
	ds_read_b128 v[6:9], v1 offset:1280
	v_add_f64 v[18:19], v[18:19], v[40:41]
	v_add_f64 v[14:15], v[14:15], v[20:21]
	s_waitcnt vmcnt(13) lgkmcnt(1)
	v_mul_f64 v[20:21], v[2:3], v[22:23]
	v_mul_f64 v[22:23], v[4:5], v[22:23]
	s_waitcnt vmcnt(12)
	v_fma_f64 v[32:33], v[10:11], v[169:170], -v[42:43]
	v_fma_f64 v[16:17], v[12:13], v[169:170], v[16:17]
	ds_read_b128 v[10:13], v1 offset:1296
	v_add_f64 v[18:19], v[18:19], v[28:29]
	v_add_f64 v[14:15], v[14:15], v[26:27]
	s_waitcnt vmcnt(11) lgkmcnt(1)
	v_mul_f64 v[28:29], v[8:9], v[38:39]
	v_mul_f64 v[26:27], v[6:7], v[38:39]
	s_waitcnt vmcnt(9)
	v_fma_f64 v[1:2], v[2:3], v[24:25], -v[22:23]
	v_fma_f64 v[3:4], v[4:5], v[24:25], v[20:21]
	v_add_f64 v[18:19], v[18:19], v[32:33]
	v_add_f64 v[14:15], v[14:15], v[16:17]
	s_waitcnt vmcnt(7) lgkmcnt(0)
	v_mul_f64 v[20:21], v[12:13], v[30:31]
	s_waitcnt vmcnt(6)
	v_fma_f64 v[5:6], v[6:7], v[167:168], -v[28:29]
	v_mul_f64 v[16:17], v[10:11], v[30:31]
	v_fma_f64 v[7:8], v[8:9], v[167:168], v[26:27]
	v_add_f64 v[1:2], v[18:19], v[1:2]
	v_add_f64 v[3:4], v[14:15], v[3:4]
	s_waitcnt vmcnt(4)
	v_fma_f64 v[9:10], v[10:11], v[34:35], -v[20:21]
	v_add_f64 v[1:2], v[1:2], v[5:6]
	v_fma_f64 v[5:6], v[12:13], v[34:35], v[16:17]
	v_add_f64 v[3:4], v[3:4], v[7:8]
	v_add_f64 v[1:2], v[1:2], v[9:10]
	;; [unrolled: 1-line block ×3, first 2 shown]
	s_waitcnt vmcnt(2)
	v_add_f64 v[1:2], v[36:37], -v[1:2]
	s_waitcnt vmcnt(0)
	v_add_f64 v[3:4], v[46:47], -v[3:4]
	buffer_store_dword v2, off, s[0:3], 0 offset:276
	buffer_store_dword v1, off, s[0:3], 0 offset:272
	;; [unrolled: 1-line block ×4, first 2 shown]
	v_cmpx_lt_u32_e32 15, v0
	s_cbranch_execz .LBB40_229
; %bb.228:
	v_mov_b32_e32 v4, s37
	v_mov_b32_e32 v5, 0
	s_clause 0x3
	buffer_load_dword v1, v4, s[0:3], 0 offen
	buffer_load_dword v2, v4, s[0:3], 0 offen offset:4
	buffer_load_dword v3, v4, s[0:3], 0 offen offset:8
	;; [unrolled: 1-line block ×3, first 2 shown]
	buffer_store_dword v5, off, s[0:3], 0 offset:256
	buffer_store_dword v5, off, s[0:3], 0 offset:260
	;; [unrolled: 1-line block ×4, first 2 shown]
	s_waitcnt vmcnt(0)
	ds_write_b128 v61, v[1:4]
.LBB40_229:
	s_or_b32 exec_lo, exec_lo, s4
	s_waitcnt lgkmcnt(0)
	s_waitcnt_vscnt null, 0x0
	s_barrier
	buffer_gl0_inv
	s_clause 0x37
	buffer_load_dword v10, off, s[0:3], 0 offset:280
	buffer_load_dword v11, off, s[0:3], 0 offset:284
	;; [unrolled: 1-line block ×56, first 2 shown]
	v_mov_b32_e32 v1, 0
	s_mov_b32 s4, exec_lo
	ds_read_b128 v[2:5], v1 offset:912
	s_clause 0x2
	buffer_load_dword v69, off, s[0:3], 0 offset:508
	buffer_load_dword v73, off, s[0:3], 0 offset:484
	;; [unrolled: 1-line block ×3, first 2 shown]
	ds_read_b128 v[6:9], v1 offset:928
	s_clause 0x4
	buffer_load_dword v79, off, s[0:3], 0 offset:524
	buffer_load_dword v80, off, s[0:3], 0 offset:536
	;; [unrolled: 1-line block ×5, first 2 shown]
	s_waitcnt vmcnt(62) lgkmcnt(1)
	v_mul_f64 v[74:75], v[4:5], v[10:11]
	v_mul_f64 v[76:77], v[2:3], v[10:11]
	s_waitcnt vmcnt(60) lgkmcnt(0)
	v_mul_f64 v[83:84], v[8:9], v[14:15]
	ds_read_b128 v[10:13], v1 offset:944
	v_mul_f64 v[14:15], v[6:7], v[14:15]
	s_waitcnt vmcnt(58)
	v_fma_f64 v[74:75], v[2:3], v[16:17], -v[74:75]
	v_fma_f64 v[16:17], v[4:5], v[16:17], v[76:77]
	s_clause 0x2
	buffer_load_dword v81, off, s[0:3], 0 offset:540
	buffer_load_dword v77, off, s[0:3], 0 offset:516
	;; [unrolled: 1-line block ×3, first 2 shown]
	s_waitcnt vmcnt(59) lgkmcnt(0)
	v_mul_f64 v[167:168], v[10:11], v[18:19]
	v_mul_f64 v[18:19], v[12:13], v[18:19]
	s_waitcnt vmcnt(57)
	v_fma_f64 v[169:170], v[6:7], v[20:21], -v[83:84]
	ds_read_b128 v[2:5], v1 offset:960
	v_fma_f64 v[14:15], v[8:9], v[20:21], v[14:15]
	s_clause 0x4
	buffer_load_dword v21, off, s[0:3], 0 offset:556
	buffer_load_dword v171, off, s[0:3], 0 offset:568
	;; [unrolled: 1-line block ×5, first 2 shown]
	ds_read_b128 v[6:9], v1 offset:976
	v_add_f64 v[74:75], v[74:75], 0
	v_add_f64 v[16:17], v[16:17], 0
	s_waitcnt vmcnt(58) lgkmcnt(1)
	v_mul_f64 v[174:175], v[2:3], v[22:23]
	v_mul_f64 v[22:23], v[4:5], v[22:23]
	s_waitcnt vmcnt(56)
	v_fma_f64 v[18:19], v[10:11], v[28:29], -v[18:19]
	v_fma_f64 v[28:29], v[12:13], v[28:29], v[167:168]
	s_waitcnt vmcnt(55) lgkmcnt(0)
	v_mul_f64 v[167:168], v[6:7], v[24:25]
	v_mul_f64 v[24:25], v[8:9], v[24:25]
	v_add_f64 v[74:75], v[74:75], v[169:170]
	v_add_f64 v[14:15], v[16:17], v[14:15]
	s_clause 0x2
	buffer_load_dword v172, off, s[0:3], 0 offset:572
	buffer_load_dword v17, off, s[0:3], 0 offset:548
	;; [unrolled: 1-line block ×3, first 2 shown]
	ds_read_b128 v[10:13], v1 offset:992
	s_waitcnt vmcnt(56)
	v_fma_f64 v[22:23], v[2:3], v[30:31], -v[22:23]
	v_fma_f64 v[30:31], v[4:5], v[30:31], v[174:175]
	s_waitcnt vmcnt(51)
	v_fma_f64 v[24:25], v[6:7], v[26:27], -v[24:25]
	v_add_f64 v[18:19], v[74:75], v[18:19]
	v_add_f64 v[14:15], v[14:15], v[28:29]
	s_clause 0x4
	buffer_load_dword v29, off, s[0:3], 0 offset:588
	buffer_load_dword v74, off, s[0:3], 0 offset:600
	;; [unrolled: 1-line block ×5, first 2 shown]
	s_waitcnt lgkmcnt(0)
	v_mul_f64 v[175:176], v[10:11], v[32:33]
	v_mul_f64 v[32:33], v[12:13], v[32:33]
	ds_read_b128 v[2:5], v1 offset:1008
	v_add_f64 v[18:19], v[18:19], v[22:23]
	v_fma_f64 v[22:23], v[8:9], v[26:27], v[167:168]
	v_add_f64 v[14:15], v[14:15], v[30:31]
	s_clause 0x2
	buffer_load_dword v75, off, s[0:3], 0 offset:604
	buffer_load_dword v27, off, s[0:3], 0 offset:580
	;; [unrolled: 1-line block ×3, first 2 shown]
	s_waitcnt vmcnt(58) lgkmcnt(0)
	v_mul_f64 v[30:31], v[2:3], v[34:35]
	v_mul_f64 v[34:35], v[4:5], v[34:35]
	s_waitcnt vmcnt(56)
	v_fma_f64 v[32:33], v[10:11], v[38:39], -v[32:33]
	ds_read_b128 v[6:9], v1 offset:1024
	v_add_f64 v[18:19], v[18:19], v[24:25]
	v_fma_f64 v[24:25], v[12:13], v[38:39], v[175:176]
	v_add_f64 v[14:15], v[14:15], v[22:23]
	s_clause 0x4
	buffer_load_dword v23, off, s[0:3], 0 offset:620
	buffer_load_dword v38, off, s[0:3], 0 offset:632
	;; [unrolled: 1-line block ×5, first 2 shown]
	ds_read_b128 v[10:13], v1 offset:1040
	s_waitcnt vmcnt(57) lgkmcnt(1)
	v_mul_f64 v[175:176], v[6:7], v[40:41]
	v_mul_f64 v[40:41], v[8:9], v[40:41]
	s_waitcnt vmcnt(56)
	v_fma_f64 v[34:35], v[2:3], v[36:37], -v[34:35]
	v_fma_f64 v[30:31], v[4:5], v[36:37], v[30:31]
	v_add_f64 v[18:19], v[18:19], v[32:33]
	v_add_f64 v[14:15], v[14:15], v[24:25]
	s_clause 0x2
	buffer_load_dword v39, off, s[0:3], 0 offset:636
	buffer_load_dword v25, off, s[0:3], 0 offset:612
	buffer_load_dword v24, off, s[0:3], 0 offset:608
	s_waitcnt vmcnt(58) lgkmcnt(0)
	v_mul_f64 v[36:37], v[12:13], v[42:43]
	ds_read_b128 v[2:5], v1 offset:1056
	s_waitcnt vmcnt(56)
	v_fma_f64 v[40:41], v[6:7], v[46:47], -v[40:41]
	v_mul_f64 v[32:33], v[10:11], v[42:43]
	v_add_f64 v[18:19], v[18:19], v[34:35]
	v_fma_f64 v[34:35], v[8:9], v[46:47], v[175:176]
	v_add_f64 v[14:15], v[14:15], v[30:31]
	s_clause 0x4
	buffer_load_dword v31, off, s[0:3], 0 offset:652
	buffer_load_dword v42, off, s[0:3], 0 offset:664
	;; [unrolled: 1-line block ×5, first 2 shown]
	s_waitcnt vmcnt(57) lgkmcnt(0)
	v_mul_f64 v[175:176], v[2:3], v[48:49]
	v_mul_f64 v[47:48], v[4:5], v[48:49]
	s_waitcnt vmcnt(56)
	v_fma_f64 v[36:37], v[10:11], v[44:45], -v[36:37]
	ds_read_b128 v[6:9], v1 offset:1072
	v_fma_f64 v[32:33], v[12:13], v[44:45], v[32:33]
	v_add_f64 v[18:19], v[18:19], v[40:41]
	v_add_f64 v[14:15], v[14:15], v[34:35]
	s_clause 0x2
	buffer_load_dword v43, off, s[0:3], 0 offset:668
	buffer_load_dword v35, off, s[0:3], 0 offset:644
	;; [unrolled: 1-line block ×3, first 2 shown]
	ds_read_b128 v[10:13], v1 offset:1088
	s_waitcnt vmcnt(58) lgkmcnt(1)
	v_mul_f64 v[44:45], v[8:9], v[50:51]
	s_waitcnt vmcnt(56)
	v_fma_f64 v[48:49], v[2:3], v[54:55], -v[47:48]
	v_mul_f64 v[40:41], v[6:7], v[50:51]
	buffer_load_dword v47, off, s[0:3], 0 offset:660
	v_add_f64 v[18:19], v[18:19], v[36:37]
	v_fma_f64 v[36:37], v[4:5], v[54:55], v[175:176]
	v_add_f64 v[14:15], v[14:15], v[32:33]
	ds_read_b128 v[2:5], v1 offset:1104
	s_waitcnt vmcnt(53) lgkmcnt(1)
	v_mul_f64 v[50:51], v[12:13], v[56:57]
	s_waitcnt vmcnt(52)
	v_fma_f64 v[44:45], v[6:7], v[52:53], -v[44:45]
	v_mul_f64 v[32:33], v[10:11], v[56:57]
	v_fma_f64 v[40:41], v[8:9], v[52:53], v[40:41]
	ds_read_b128 v[6:9], v1 offset:1120
	v_add_f64 v[18:19], v[18:19], v[48:49]
	s_waitcnt vmcnt(51) lgkmcnt(1)
	v_mul_f64 v[48:49], v[4:5], v[58:59]
	v_add_f64 v[14:15], v[14:15], v[36:37]
	v_mul_f64 v[36:37], v[2:3], v[58:59]
	s_waitcnt vmcnt(49)
	v_fma_f64 v[50:51], v[10:11], v[64:65], -v[50:51]
	v_fma_f64 v[32:33], v[12:13], v[64:65], v[32:33]
	s_waitcnt vmcnt(45) lgkmcnt(0)
	v_mul_f64 v[54:55], v[8:9], v[66:67]
	v_mul_f64 v[52:53], v[6:7], v[66:67]
	v_add_f64 v[18:19], v[18:19], v[44:45]
	s_waitcnt vmcnt(44)
	v_fma_f64 v[48:49], v[2:3], v[62:63], -v[48:49]
	v_add_f64 v[14:15], v[14:15], v[40:41]
	s_clause 0x3
	buffer_load_dword v40, off, s[0:3], 0 offset:256
	buffer_load_dword v41, off, s[0:3], 0 offset:260
	;; [unrolled: 1-line block ×4, first 2 shown]
	ds_read_b128 v[10:13], v1 offset:1136
	v_fma_f64 v[36:37], v[4:5], v[62:63], v[36:37]
	ds_read_b128 v[2:5], v1 offset:1152
	s_waitcnt vmcnt(45)
	v_fma_f64 v[54:55], v[6:7], v[72:73], -v[54:55]
	v_add_f64 v[18:19], v[18:19], v[50:51]
	v_add_f64 v[14:15], v[14:15], v[32:33]
	s_waitcnt lgkmcnt(1)
	v_mul_f64 v[50:51], v[12:13], v[68:69]
	v_mul_f64 v[32:33], v[10:11], v[68:69]
	v_add_f64 v[18:19], v[18:19], v[48:49]
	v_fma_f64 v[48:49], v[8:9], v[72:73], v[52:53]
	v_add_f64 v[14:15], v[14:15], v[36:37]
	s_waitcnt vmcnt(41) lgkmcnt(0)
	v_mul_f64 v[52:53], v[4:5], v[78:79]
	s_waitcnt vmcnt(40)
	v_fma_f64 v[50:51], v[10:11], v[70:71], -v[50:51]
	ds_read_b128 v[6:9], v1 offset:1168
	v_mul_f64 v[36:37], v[2:3], v[78:79]
	v_fma_f64 v[32:33], v[12:13], v[70:71], v[32:33]
	ds_read_b128 v[10:13], v1 offset:1184
	v_add_f64 v[18:19], v[18:19], v[54:55]
	v_add_f64 v[14:15], v[14:15], v[48:49]
	s_waitcnt vmcnt(39) lgkmcnt(1)
	v_mul_f64 v[54:55], v[8:9], v[80:81]
	v_mul_f64 v[48:49], v[6:7], v[80:81]
	s_waitcnt vmcnt(37)
	v_fma_f64 v[52:53], v[2:3], v[76:77], -v[52:53]
	v_fma_f64 v[36:37], v[4:5], v[76:77], v[36:37]
	ds_read_b128 v[2:5], v1 offset:1200
	v_add_f64 v[18:19], v[18:19], v[50:51]
	v_add_f64 v[14:15], v[14:15], v[32:33]
	s_waitcnt vmcnt(33) lgkmcnt(1)
	v_mul_f64 v[32:33], v[10:11], v[20:21]
	v_mul_f64 v[20:21], v[12:13], v[20:21]
	s_waitcnt vmcnt(32)
	v_fma_f64 v[50:51], v[6:7], v[82:83], -v[54:55]
	;; [unrolled: 9-line block ×4, first 2 shown]
	v_add_f64 v[18:19], v[18:19], v[20:21]
	v_fma_f64 v[20:21], v[4:5], v[173:174], v[36:37]
	v_add_f64 v[14:15], v[14:15], v[16:17]
	ds_read_b128 v[2:5], v1 offset:1248
	s_waitcnt vmcnt(23) lgkmcnt(1)
	v_mul_f64 v[36:37], v[12:13], v[74:75]
	v_mul_f64 v[16:17], v[10:11], v[74:75]
	s_waitcnt vmcnt(21)
	v_fma_f64 v[28:29], v[6:7], v[26:27], -v[28:29]
	v_fma_f64 v[26:27], v[8:9], v[26:27], v[32:33]
	ds_read_b128 v[6:9], v1 offset:1264
	v_add_f64 v[18:19], v[18:19], v[48:49]
	v_add_f64 v[14:15], v[14:15], v[20:21]
	s_waitcnt vmcnt(17) lgkmcnt(1)
	v_mul_f64 v[20:21], v[2:3], v[22:23]
	v_mul_f64 v[22:23], v[4:5], v[22:23]
	s_waitcnt vmcnt(16)
	v_fma_f64 v[32:33], v[10:11], v[169:170], -v[36:37]
	v_fma_f64 v[16:17], v[12:13], v[169:170], v[16:17]
	ds_read_b128 v[10:13], v1 offset:1280
	v_add_f64 v[18:19], v[18:19], v[28:29]
	v_add_f64 v[14:15], v[14:15], v[26:27]
	;; [unrolled: 9-line block ×3, first 2 shown]
	s_waitcnt vmcnt(9) lgkmcnt(1)
	v_mul_f64 v[24:25], v[12:13], v[30:31]
	s_waitcnt vmcnt(8)
	v_fma_f64 v[6:7], v[6:7], v[167:168], -v[28:29]
	v_mul_f64 v[16:17], v[10:11], v[30:31]
	v_fma_f64 v[8:9], v[8:9], v[167:168], v[26:27]
	v_add_f64 v[18:19], v[18:19], v[22:23]
	v_add_f64 v[14:15], v[14:15], v[20:21]
	s_waitcnt vmcnt(7) lgkmcnt(0)
	v_mul_f64 v[22:23], v[4:5], v[42:43]
	v_mul_f64 v[20:21], v[2:3], v[42:43]
	s_waitcnt vmcnt(5)
	v_fma_f64 v[10:11], v[10:11], v[34:35], -v[24:25]
	v_fma_f64 v[12:13], v[12:13], v[34:35], v[16:17]
	v_add_f64 v[6:7], v[18:19], v[6:7]
	v_add_f64 v[8:9], v[14:15], v[8:9]
	s_waitcnt vmcnt(4)
	v_fma_f64 v[2:3], v[2:3], v[46:47], -v[22:23]
	v_fma_f64 v[4:5], v[4:5], v[46:47], v[20:21]
	v_add_f64 v[6:7], v[6:7], v[10:11]
	v_add_f64 v[8:9], v[8:9], v[12:13]
	;; [unrolled: 1-line block ×4, first 2 shown]
	s_waitcnt vmcnt(2)
	v_add_f64 v[2:3], v[40:41], -v[2:3]
	s_waitcnt vmcnt(0)
	v_add_f64 v[4:5], v[44:45], -v[4:5]
	buffer_store_dword v3, off, s[0:3], 0 offset:260
	buffer_store_dword v2, off, s[0:3], 0 offset:256
	buffer_store_dword v5, off, s[0:3], 0 offset:268
	buffer_store_dword v4, off, s[0:3], 0 offset:264
	v_cmpx_lt_u32_e32 14, v0
	s_cbranch_execz .LBB40_231
; %bb.230:
	v_mov_b32_e32 v5, s39
	s_clause 0x3
	buffer_load_dword v2, v5, s[0:3], 0 offen
	buffer_load_dword v3, v5, s[0:3], 0 offen offset:4
	buffer_load_dword v4, v5, s[0:3], 0 offen offset:8
	;; [unrolled: 1-line block ×3, first 2 shown]
	buffer_store_dword v1, off, s[0:3], 0 offset:240
	buffer_store_dword v1, off, s[0:3], 0 offset:244
	;; [unrolled: 1-line block ×4, first 2 shown]
	s_waitcnt vmcnt(0)
	ds_write_b128 v61, v[2:5]
.LBB40_231:
	s_or_b32 exec_lo, exec_lo, s4
	s_waitcnt lgkmcnt(0)
	s_waitcnt_vscnt null, 0x0
	s_barrier
	buffer_gl0_inv
	s_clause 0x37
	buffer_load_dword v10, off, s[0:3], 0 offset:264
	buffer_load_dword v11, off, s[0:3], 0 offset:268
	;; [unrolled: 1-line block ×56, first 2 shown]
	ds_read_b128 v[2:5], v1 offset:896
	s_clause 0x2
	buffer_load_dword v69, off, s[0:3], 0 offset:492
	buffer_load_dword v73, off, s[0:3], 0 offset:468
	;; [unrolled: 1-line block ×3, first 2 shown]
	ds_read_b128 v[6:9], v1 offset:912
	s_clause 0x4
	buffer_load_dword v79, off, s[0:3], 0 offset:508
	buffer_load_dword v80, off, s[0:3], 0 offset:520
	;; [unrolled: 1-line block ×5, first 2 shown]
	s_mov_b32 s4, exec_lo
	s_waitcnt vmcnt(62) lgkmcnt(1)
	v_mul_f64 v[74:75], v[4:5], v[10:11]
	v_mul_f64 v[76:77], v[2:3], v[10:11]
	s_waitcnt vmcnt(60) lgkmcnt(0)
	v_mul_f64 v[83:84], v[8:9], v[14:15]
	ds_read_b128 v[10:13], v1 offset:928
	v_mul_f64 v[14:15], v[6:7], v[14:15]
	s_waitcnt vmcnt(58)
	v_fma_f64 v[74:75], v[2:3], v[16:17], -v[74:75]
	v_fma_f64 v[16:17], v[4:5], v[16:17], v[76:77]
	s_clause 0x2
	buffer_load_dword v81, off, s[0:3], 0 offset:524
	buffer_load_dword v77, off, s[0:3], 0 offset:500
	;; [unrolled: 1-line block ×3, first 2 shown]
	s_waitcnt vmcnt(59) lgkmcnt(0)
	v_mul_f64 v[167:168], v[10:11], v[18:19]
	v_mul_f64 v[18:19], v[12:13], v[18:19]
	s_waitcnt vmcnt(57)
	v_fma_f64 v[169:170], v[6:7], v[20:21], -v[83:84]
	ds_read_b128 v[2:5], v1 offset:944
	v_fma_f64 v[14:15], v[8:9], v[20:21], v[14:15]
	s_clause 0x4
	buffer_load_dword v21, off, s[0:3], 0 offset:540
	buffer_load_dword v171, off, s[0:3], 0 offset:552
	;; [unrolled: 1-line block ×5, first 2 shown]
	ds_read_b128 v[6:9], v1 offset:960
	v_add_f64 v[74:75], v[74:75], 0
	v_add_f64 v[16:17], v[16:17], 0
	s_waitcnt vmcnt(58) lgkmcnt(1)
	v_mul_f64 v[174:175], v[2:3], v[22:23]
	v_mul_f64 v[22:23], v[4:5], v[22:23]
	s_waitcnt vmcnt(56)
	v_fma_f64 v[18:19], v[10:11], v[28:29], -v[18:19]
	v_fma_f64 v[28:29], v[12:13], v[28:29], v[167:168]
	s_waitcnt vmcnt(55) lgkmcnt(0)
	v_mul_f64 v[167:168], v[6:7], v[24:25]
	v_mul_f64 v[24:25], v[8:9], v[24:25]
	v_add_f64 v[74:75], v[74:75], v[169:170]
	v_add_f64 v[14:15], v[16:17], v[14:15]
	s_clause 0x2
	buffer_load_dword v172, off, s[0:3], 0 offset:556
	buffer_load_dword v17, off, s[0:3], 0 offset:532
	;; [unrolled: 1-line block ×3, first 2 shown]
	ds_read_b128 v[10:13], v1 offset:976
	s_waitcnt vmcnt(56)
	v_fma_f64 v[22:23], v[2:3], v[30:31], -v[22:23]
	v_fma_f64 v[30:31], v[4:5], v[30:31], v[174:175]
	s_waitcnt vmcnt(51)
	v_fma_f64 v[24:25], v[6:7], v[26:27], -v[24:25]
	v_add_f64 v[18:19], v[74:75], v[18:19]
	v_add_f64 v[14:15], v[14:15], v[28:29]
	s_clause 0x4
	buffer_load_dword v29, off, s[0:3], 0 offset:572
	buffer_load_dword v74, off, s[0:3], 0 offset:584
	;; [unrolled: 1-line block ×5, first 2 shown]
	s_waitcnt lgkmcnt(0)
	v_mul_f64 v[175:176], v[10:11], v[32:33]
	v_mul_f64 v[32:33], v[12:13], v[32:33]
	ds_read_b128 v[2:5], v1 offset:992
	v_add_f64 v[18:19], v[18:19], v[22:23]
	v_fma_f64 v[22:23], v[8:9], v[26:27], v[167:168]
	v_add_f64 v[14:15], v[14:15], v[30:31]
	s_clause 0x2
	buffer_load_dword v75, off, s[0:3], 0 offset:588
	buffer_load_dword v27, off, s[0:3], 0 offset:564
	;; [unrolled: 1-line block ×3, first 2 shown]
	s_waitcnt vmcnt(58) lgkmcnt(0)
	v_mul_f64 v[30:31], v[2:3], v[34:35]
	v_mul_f64 v[34:35], v[4:5], v[34:35]
	s_waitcnt vmcnt(56)
	v_fma_f64 v[32:33], v[10:11], v[38:39], -v[32:33]
	ds_read_b128 v[6:9], v1 offset:1008
	v_add_f64 v[18:19], v[18:19], v[24:25]
	v_fma_f64 v[24:25], v[12:13], v[38:39], v[175:176]
	v_add_f64 v[14:15], v[14:15], v[22:23]
	s_clause 0x4
	buffer_load_dword v23, off, s[0:3], 0 offset:604
	buffer_load_dword v38, off, s[0:3], 0 offset:616
	;; [unrolled: 1-line block ×5, first 2 shown]
	ds_read_b128 v[10:13], v1 offset:1024
	s_waitcnt vmcnt(57) lgkmcnt(1)
	v_mul_f64 v[175:176], v[6:7], v[40:41]
	v_mul_f64 v[40:41], v[8:9], v[40:41]
	s_waitcnt vmcnt(56)
	v_fma_f64 v[34:35], v[2:3], v[36:37], -v[34:35]
	v_fma_f64 v[30:31], v[4:5], v[36:37], v[30:31]
	v_add_f64 v[18:19], v[18:19], v[32:33]
	v_add_f64 v[14:15], v[14:15], v[24:25]
	s_clause 0x2
	buffer_load_dword v39, off, s[0:3], 0 offset:620
	buffer_load_dword v25, off, s[0:3], 0 offset:596
	;; [unrolled: 1-line block ×3, first 2 shown]
	s_waitcnt vmcnt(58) lgkmcnt(0)
	v_mul_f64 v[36:37], v[12:13], v[42:43]
	ds_read_b128 v[2:5], v1 offset:1040
	s_waitcnt vmcnt(56)
	v_fma_f64 v[40:41], v[6:7], v[46:47], -v[40:41]
	v_mul_f64 v[32:33], v[10:11], v[42:43]
	v_add_f64 v[18:19], v[18:19], v[34:35]
	v_fma_f64 v[34:35], v[8:9], v[46:47], v[175:176]
	v_add_f64 v[14:15], v[14:15], v[30:31]
	s_clause 0x4
	buffer_load_dword v31, off, s[0:3], 0 offset:636
	buffer_load_dword v42, off, s[0:3], 0 offset:648
	;; [unrolled: 1-line block ×5, first 2 shown]
	s_waitcnt vmcnt(57) lgkmcnt(0)
	v_mul_f64 v[175:176], v[2:3], v[48:49]
	v_mul_f64 v[47:48], v[4:5], v[48:49]
	s_waitcnt vmcnt(56)
	v_fma_f64 v[36:37], v[10:11], v[44:45], -v[36:37]
	ds_read_b128 v[6:9], v1 offset:1056
	v_fma_f64 v[32:33], v[12:13], v[44:45], v[32:33]
	v_add_f64 v[18:19], v[18:19], v[40:41]
	v_add_f64 v[14:15], v[14:15], v[34:35]
	s_clause 0x2
	buffer_load_dword v43, off, s[0:3], 0 offset:652
	buffer_load_dword v35, off, s[0:3], 0 offset:628
	buffer_load_dword v34, off, s[0:3], 0 offset:624
	ds_read_b128 v[10:13], v1 offset:1072
	s_waitcnt vmcnt(58) lgkmcnt(1)
	v_mul_f64 v[44:45], v[8:9], v[50:51]
	s_waitcnt vmcnt(56)
	v_fma_f64 v[48:49], v[2:3], v[54:55], -v[47:48]
	v_mul_f64 v[40:41], v[6:7], v[50:51]
	v_add_f64 v[18:19], v[18:19], v[36:37]
	v_fma_f64 v[36:37], v[4:5], v[54:55], v[175:176]
	v_add_f64 v[14:15], v[14:15], v[32:33]
	s_clause 0x2
	buffer_load_dword v33, off, s[0:3], 0 offset:668
	buffer_load_dword v32, off, s[0:3], 0 offset:664
	;; [unrolled: 1-line block ×3, first 2 shown]
	s_waitcnt vmcnt(55) lgkmcnt(0)
	v_mul_f64 v[54:55], v[12:13], v[56:57]
	s_waitcnt vmcnt(54)
	v_fma_f64 v[44:45], v[6:7], v[52:53], -v[44:45]
	ds_read_b128 v[2:5], v1 offset:1088
	v_mul_f64 v[50:51], v[10:11], v[56:57]
	v_fma_f64 v[40:41], v[8:9], v[52:53], v[40:41]
	v_add_f64 v[18:19], v[18:19], v[48:49]
	v_add_f64 v[14:15], v[14:15], v[36:37]
	s_clause 0x1
	buffer_load_dword v37, off, s[0:3], 0 offset:660
	buffer_load_dword v36, off, s[0:3], 0 offset:656
	s_waitcnt vmcnt(55) lgkmcnt(0)
	v_mul_f64 v[52:53], v[4:5], v[58:59]
	s_waitcnt vmcnt(53)
	v_fma_f64 v[54:55], v[10:11], v[64:65], -v[54:55]
	ds_read_b128 v[6:9], v1 offset:1104
	v_mul_f64 v[48:49], v[2:3], v[58:59]
	v_add_f64 v[18:19], v[18:19], v[44:45]
	v_fma_f64 v[44:45], v[12:13], v[64:65], v[50:51]
	v_add_f64 v[14:15], v[14:15], v[40:41]
	ds_read_b128 v[10:13], v1 offset:1120
	s_waitcnt vmcnt(49) lgkmcnt(1)
	v_mul_f64 v[50:51], v[8:9], v[66:67]
	s_waitcnt vmcnt(48)
	v_fma_f64 v[52:53], v[2:3], v[62:63], -v[52:53]
	v_mul_f64 v[40:41], v[6:7], v[66:67]
	v_fma_f64 v[48:49], v[4:5], v[62:63], v[48:49]
	v_add_f64 v[18:19], v[18:19], v[54:55]
	s_waitcnt vmcnt(47) lgkmcnt(0)
	v_mul_f64 v[58:59], v[12:13], v[68:69]
	v_add_f64 v[14:15], v[14:15], v[44:45]
	s_clause 0x3
	buffer_load_dword v44, off, s[0:3], 0 offset:240
	buffer_load_dword v45, off, s[0:3], 0 offset:244
	;; [unrolled: 1-line block ×4, first 2 shown]
	s_waitcnt vmcnt(49)
	v_fma_f64 v[50:51], v[6:7], v[72:73], -v[50:51]
	ds_read_b128 v[2:5], v1 offset:1136
	v_mul_f64 v[56:57], v[10:11], v[68:69]
	v_fma_f64 v[40:41], v[8:9], v[72:73], v[40:41]
	ds_read_b128 v[6:9], v1 offset:1152
	v_add_f64 v[18:19], v[18:19], v[52:53]
	s_waitcnt vmcnt(44)
	v_fma_f64 v[58:59], v[10:11], v[70:71], -v[58:59]
	v_add_f64 v[14:15], v[14:15], v[48:49]
	s_waitcnt lgkmcnt(1)
	v_mul_f64 v[52:53], v[4:5], v[78:79]
	v_mul_f64 v[48:49], v[2:3], v[78:79]
	v_add_f64 v[18:19], v[18:19], v[50:51]
	v_fma_f64 v[50:51], v[12:13], v[70:71], v[56:57]
	v_add_f64 v[14:15], v[14:15], v[40:41]
	ds_read_b128 v[10:13], v1 offset:1168
	s_waitcnt vmcnt(43) lgkmcnt(1)
	v_mul_f64 v[56:57], v[8:9], v[80:81]
	v_mul_f64 v[40:41], v[6:7], v[80:81]
	s_waitcnt vmcnt(41)
	v_fma_f64 v[52:53], v[2:3], v[76:77], -v[52:53]
	v_fma_f64 v[48:49], v[4:5], v[76:77], v[48:49]
	ds_read_b128 v[2:5], v1 offset:1184
	v_add_f64 v[18:19], v[18:19], v[58:59]
	v_add_f64 v[14:15], v[14:15], v[50:51]
	s_waitcnt vmcnt(37) lgkmcnt(1)
	v_mul_f64 v[50:51], v[10:11], v[20:21]
	v_mul_f64 v[20:21], v[12:13], v[20:21]
	s_waitcnt vmcnt(36)
	v_fma_f64 v[56:57], v[6:7], v[82:83], -v[56:57]
	v_fma_f64 v[40:41], v[8:9], v[82:83], v[40:41]
	ds_read_b128 v[6:9], v1 offset:1200
	v_add_f64 v[18:19], v[18:19], v[52:53]
	v_add_f64 v[14:15], v[14:15], v[48:49]
	;; [unrolled: 9-line block ×3, first 2 shown]
	s_waitcnt vmcnt(29) lgkmcnt(1)
	v_mul_f64 v[40:41], v[6:7], v[28:29]
	v_mul_f64 v[28:29], v[8:9], v[28:29]
	s_waitcnt vmcnt(28)
	v_fma_f64 v[50:51], v[2:3], v[173:174], -v[52:53]
	v_add_f64 v[18:19], v[18:19], v[20:21]
	v_fma_f64 v[20:21], v[4:5], v[173:174], v[48:49]
	v_add_f64 v[14:15], v[14:15], v[16:17]
	ds_read_b128 v[2:5], v1 offset:1232
	s_waitcnt vmcnt(27) lgkmcnt(1)
	v_mul_f64 v[48:49], v[12:13], v[74:75]
	v_mul_f64 v[16:17], v[10:11], v[74:75]
	s_waitcnt vmcnt(25)
	v_fma_f64 v[28:29], v[6:7], v[26:27], -v[28:29]
	v_fma_f64 v[26:27], v[8:9], v[26:27], v[40:41]
	ds_read_b128 v[6:9], v1 offset:1248
	v_add_f64 v[18:19], v[18:19], v[50:51]
	v_add_f64 v[14:15], v[14:15], v[20:21]
	s_waitcnt vmcnt(21) lgkmcnt(1)
	v_mul_f64 v[20:21], v[2:3], v[22:23]
	v_mul_f64 v[22:23], v[4:5], v[22:23]
	s_waitcnt vmcnt(20)
	v_fma_f64 v[40:41], v[10:11], v[169:170], -v[48:49]
	v_fma_f64 v[16:17], v[12:13], v[169:170], v[16:17]
	ds_read_b128 v[10:13], v1 offset:1264
	v_add_f64 v[18:19], v[18:19], v[28:29]
	v_add_f64 v[14:15], v[14:15], v[26:27]
	;; [unrolled: 9-line block ×3, first 2 shown]
	s_waitcnt vmcnt(13) lgkmcnt(1)
	v_mul_f64 v[24:25], v[12:13], v[30:31]
	s_waitcnt vmcnt(12)
	v_fma_f64 v[28:29], v[6:7], v[167:168], -v[28:29]
	v_mul_f64 v[16:17], v[10:11], v[30:31]
	v_add_f64 v[18:19], v[18:19], v[22:23]
	v_fma_f64 v[22:23], v[8:9], v[167:168], v[26:27]
	v_add_f64 v[14:15], v[14:15], v[20:21]
	ds_read_b128 v[6:9], v1 offset:1296
	s_waitcnt vmcnt(11) lgkmcnt(1)
	v_mul_f64 v[26:27], v[4:5], v[42:43]
	v_mul_f64 v[20:21], v[2:3], v[42:43]
	s_waitcnt vmcnt(9)
	v_fma_f64 v[10:11], v[10:11], v[34:35], -v[24:25]
	v_fma_f64 v[12:13], v[12:13], v[34:35], v[16:17]
	v_add_f64 v[18:19], v[18:19], v[28:29]
	v_add_f64 v[14:15], v[14:15], v[22:23]
	s_waitcnt vmcnt(7) lgkmcnt(0)
	v_mul_f64 v[22:23], v[8:9], v[32:33]
	s_waitcnt vmcnt(6)
	v_fma_f64 v[1:2], v[2:3], v[46:47], -v[26:27]
	v_mul_f64 v[16:17], v[6:7], v[32:33]
	v_fma_f64 v[3:4], v[4:5], v[46:47], v[20:21]
	v_add_f64 v[10:11], v[18:19], v[10:11]
	v_add_f64 v[12:13], v[14:15], v[12:13]
	s_waitcnt vmcnt(4)
	v_fma_f64 v[5:6], v[6:7], v[36:37], -v[22:23]
	v_fma_f64 v[7:8], v[8:9], v[36:37], v[16:17]
	v_add_f64 v[1:2], v[10:11], v[1:2]
	v_add_f64 v[3:4], v[12:13], v[3:4]
	;; [unrolled: 1-line block ×4, first 2 shown]
	s_waitcnt vmcnt(2)
	v_add_f64 v[1:2], v[44:45], -v[1:2]
	s_waitcnt vmcnt(0)
	v_add_f64 v[3:4], v[54:55], -v[3:4]
	buffer_store_dword v2, off, s[0:3], 0 offset:244
	buffer_store_dword v1, off, s[0:3], 0 offset:240
	;; [unrolled: 1-line block ×4, first 2 shown]
	v_cmpx_lt_u32_e32 13, v0
	s_cbranch_execz .LBB40_233
; %bb.232:
	v_mov_b32_e32 v4, s40
	v_mov_b32_e32 v5, 0
	s_clause 0x3
	buffer_load_dword v1, v4, s[0:3], 0 offen
	buffer_load_dword v2, v4, s[0:3], 0 offen offset:4
	buffer_load_dword v3, v4, s[0:3], 0 offen offset:8
	;; [unrolled: 1-line block ×3, first 2 shown]
	buffer_store_dword v5, off, s[0:3], 0 offset:224
	buffer_store_dword v5, off, s[0:3], 0 offset:228
	;; [unrolled: 1-line block ×4, first 2 shown]
	s_waitcnt vmcnt(0)
	ds_write_b128 v61, v[1:4]
.LBB40_233:
	s_or_b32 exec_lo, exec_lo, s4
	s_waitcnt lgkmcnt(0)
	s_waitcnt_vscnt null, 0x0
	s_barrier
	buffer_gl0_inv
	s_clause 0x37
	buffer_load_dword v10, off, s[0:3], 0 offset:248
	buffer_load_dword v11, off, s[0:3], 0 offset:252
	;; [unrolled: 1-line block ×56, first 2 shown]
	v_mov_b32_e32 v1, 0
	s_mov_b32 s4, exec_lo
	ds_read_b128 v[2:5], v1 offset:880
	s_clause 0x2
	buffer_load_dword v69, off, s[0:3], 0 offset:476
	buffer_load_dword v73, off, s[0:3], 0 offset:452
	;; [unrolled: 1-line block ×3, first 2 shown]
	ds_read_b128 v[6:9], v1 offset:896
	s_clause 0x4
	buffer_load_dword v79, off, s[0:3], 0 offset:492
	buffer_load_dword v80, off, s[0:3], 0 offset:504
	;; [unrolled: 1-line block ×5, first 2 shown]
	s_waitcnt vmcnt(62) lgkmcnt(1)
	v_mul_f64 v[74:75], v[4:5], v[10:11]
	v_mul_f64 v[76:77], v[2:3], v[10:11]
	s_waitcnt vmcnt(60) lgkmcnt(0)
	v_mul_f64 v[83:84], v[8:9], v[14:15]
	ds_read_b128 v[10:13], v1 offset:912
	v_mul_f64 v[14:15], v[6:7], v[14:15]
	s_waitcnt vmcnt(58)
	v_fma_f64 v[74:75], v[2:3], v[16:17], -v[74:75]
	v_fma_f64 v[16:17], v[4:5], v[16:17], v[76:77]
	s_clause 0x2
	buffer_load_dword v81, off, s[0:3], 0 offset:508
	buffer_load_dword v77, off, s[0:3], 0 offset:484
	buffer_load_dword v76, off, s[0:3], 0 offset:480
	s_waitcnt vmcnt(59) lgkmcnt(0)
	v_mul_f64 v[167:168], v[10:11], v[18:19]
	v_mul_f64 v[18:19], v[12:13], v[18:19]
	s_waitcnt vmcnt(57)
	v_fma_f64 v[169:170], v[6:7], v[20:21], -v[83:84]
	ds_read_b128 v[2:5], v1 offset:928
	v_fma_f64 v[14:15], v[8:9], v[20:21], v[14:15]
	s_clause 0x4
	buffer_load_dword v21, off, s[0:3], 0 offset:524
	buffer_load_dword v171, off, s[0:3], 0 offset:536
	;; [unrolled: 1-line block ×5, first 2 shown]
	ds_read_b128 v[6:9], v1 offset:944
	v_add_f64 v[74:75], v[74:75], 0
	v_add_f64 v[16:17], v[16:17], 0
	s_waitcnt vmcnt(58) lgkmcnt(1)
	v_mul_f64 v[174:175], v[2:3], v[22:23]
	v_mul_f64 v[22:23], v[4:5], v[22:23]
	s_waitcnt vmcnt(56)
	v_fma_f64 v[18:19], v[10:11], v[28:29], -v[18:19]
	v_fma_f64 v[28:29], v[12:13], v[28:29], v[167:168]
	s_waitcnt vmcnt(55) lgkmcnt(0)
	v_mul_f64 v[167:168], v[6:7], v[24:25]
	v_mul_f64 v[24:25], v[8:9], v[24:25]
	v_add_f64 v[74:75], v[74:75], v[169:170]
	v_add_f64 v[14:15], v[16:17], v[14:15]
	s_clause 0x2
	buffer_load_dword v172, off, s[0:3], 0 offset:540
	buffer_load_dword v17, off, s[0:3], 0 offset:516
	;; [unrolled: 1-line block ×3, first 2 shown]
	ds_read_b128 v[10:13], v1 offset:960
	s_waitcnt vmcnt(56)
	v_fma_f64 v[22:23], v[2:3], v[30:31], -v[22:23]
	v_fma_f64 v[30:31], v[4:5], v[30:31], v[174:175]
	s_waitcnt vmcnt(51)
	v_fma_f64 v[24:25], v[6:7], v[26:27], -v[24:25]
	v_add_f64 v[18:19], v[74:75], v[18:19]
	v_add_f64 v[14:15], v[14:15], v[28:29]
	s_clause 0x4
	buffer_load_dword v29, off, s[0:3], 0 offset:556
	buffer_load_dword v74, off, s[0:3], 0 offset:568
	;; [unrolled: 1-line block ×5, first 2 shown]
	s_waitcnt lgkmcnt(0)
	v_mul_f64 v[175:176], v[10:11], v[32:33]
	v_mul_f64 v[32:33], v[12:13], v[32:33]
	ds_read_b128 v[2:5], v1 offset:976
	v_add_f64 v[18:19], v[18:19], v[22:23]
	v_fma_f64 v[22:23], v[8:9], v[26:27], v[167:168]
	v_add_f64 v[14:15], v[14:15], v[30:31]
	s_clause 0x2
	buffer_load_dword v75, off, s[0:3], 0 offset:572
	buffer_load_dword v27, off, s[0:3], 0 offset:548
	;; [unrolled: 1-line block ×3, first 2 shown]
	s_waitcnt vmcnt(58) lgkmcnt(0)
	v_mul_f64 v[30:31], v[2:3], v[34:35]
	v_mul_f64 v[34:35], v[4:5], v[34:35]
	s_waitcnt vmcnt(56)
	v_fma_f64 v[32:33], v[10:11], v[38:39], -v[32:33]
	ds_read_b128 v[6:9], v1 offset:992
	v_add_f64 v[18:19], v[18:19], v[24:25]
	v_fma_f64 v[24:25], v[12:13], v[38:39], v[175:176]
	v_add_f64 v[14:15], v[14:15], v[22:23]
	s_clause 0x4
	buffer_load_dword v23, off, s[0:3], 0 offset:588
	buffer_load_dword v38, off, s[0:3], 0 offset:600
	;; [unrolled: 1-line block ×5, first 2 shown]
	ds_read_b128 v[10:13], v1 offset:1008
	s_waitcnt vmcnt(57) lgkmcnt(1)
	v_mul_f64 v[175:176], v[6:7], v[40:41]
	v_mul_f64 v[40:41], v[8:9], v[40:41]
	s_waitcnt vmcnt(56)
	v_fma_f64 v[34:35], v[2:3], v[36:37], -v[34:35]
	v_fma_f64 v[30:31], v[4:5], v[36:37], v[30:31]
	v_add_f64 v[18:19], v[18:19], v[32:33]
	v_add_f64 v[14:15], v[14:15], v[24:25]
	s_clause 0x2
	buffer_load_dword v39, off, s[0:3], 0 offset:604
	buffer_load_dword v25, off, s[0:3], 0 offset:580
	;; [unrolled: 1-line block ×3, first 2 shown]
	s_waitcnt vmcnt(58) lgkmcnt(0)
	v_mul_f64 v[36:37], v[12:13], v[42:43]
	ds_read_b128 v[2:5], v1 offset:1024
	s_waitcnt vmcnt(56)
	v_fma_f64 v[40:41], v[6:7], v[46:47], -v[40:41]
	v_mul_f64 v[32:33], v[10:11], v[42:43]
	v_add_f64 v[18:19], v[18:19], v[34:35]
	v_fma_f64 v[34:35], v[8:9], v[46:47], v[175:176]
	v_add_f64 v[14:15], v[14:15], v[30:31]
	s_clause 0x4
	buffer_load_dword v31, off, s[0:3], 0 offset:620
	buffer_load_dword v42, off, s[0:3], 0 offset:632
	;; [unrolled: 1-line block ×5, first 2 shown]
	s_waitcnt vmcnt(57) lgkmcnt(0)
	v_mul_f64 v[175:176], v[2:3], v[48:49]
	v_mul_f64 v[47:48], v[4:5], v[48:49]
	s_waitcnt vmcnt(56)
	v_fma_f64 v[36:37], v[10:11], v[44:45], -v[36:37]
	ds_read_b128 v[6:9], v1 offset:1040
	v_fma_f64 v[32:33], v[12:13], v[44:45], v[32:33]
	v_add_f64 v[18:19], v[18:19], v[40:41]
	v_add_f64 v[14:15], v[14:15], v[34:35]
	s_clause 0x2
	buffer_load_dword v43, off, s[0:3], 0 offset:636
	buffer_load_dword v35, off, s[0:3], 0 offset:612
	;; [unrolled: 1-line block ×3, first 2 shown]
	ds_read_b128 v[10:13], v1 offset:1056
	s_waitcnt vmcnt(58) lgkmcnt(1)
	v_mul_f64 v[44:45], v[8:9], v[50:51]
	s_waitcnt vmcnt(56)
	v_fma_f64 v[48:49], v[2:3], v[54:55], -v[47:48]
	v_mul_f64 v[40:41], v[6:7], v[50:51]
	v_add_f64 v[18:19], v[18:19], v[36:37]
	v_fma_f64 v[36:37], v[4:5], v[54:55], v[175:176]
	v_add_f64 v[14:15], v[14:15], v[32:33]
	s_clause 0x4
	buffer_load_dword v33, off, s[0:3], 0 offset:652
	buffer_load_dword v50, off, s[0:3], 0 offset:664
	buffer_load_dword v54, off, s[0:3], 0 offset:656
	buffer_load_dword v32, off, s[0:3], 0 offset:648
	buffer_load_dword v47, off, s[0:3], 0 offset:628
	s_waitcnt vmcnt(57) lgkmcnt(0)
	v_mul_f64 v[175:176], v[10:11], v[56:57]
	v_mul_f64 v[55:56], v[12:13], v[56:57]
	s_waitcnt vmcnt(56)
	v_fma_f64 v[44:45], v[6:7], v[52:53], -v[44:45]
	ds_read_b128 v[2:5], v1 offset:1072
	v_fma_f64 v[40:41], v[8:9], v[52:53], v[40:41]
	v_add_f64 v[18:19], v[18:19], v[48:49]
	v_add_f64 v[14:15], v[14:15], v[36:37]
	s_clause 0x2
	buffer_load_dword v51, off, s[0:3], 0 offset:668
	buffer_load_dword v37, off, s[0:3], 0 offset:644
	;; [unrolled: 1-line block ×3, first 2 shown]
	ds_read_b128 v[6:9], v1 offset:1088
	s_waitcnt vmcnt(58) lgkmcnt(1)
	v_mul_f64 v[52:53], v[4:5], v[58:59]
	s_waitcnt vmcnt(56)
	v_fma_f64 v[56:57], v[10:11], v[64:65], -v[55:56]
	v_mul_f64 v[48:49], v[2:3], v[58:59]
	buffer_load_dword v55, off, s[0:3], 0 offset:660
	v_add_f64 v[18:19], v[18:19], v[44:45]
	v_fma_f64 v[44:45], v[12:13], v[64:65], v[175:176]
	v_add_f64 v[14:15], v[14:15], v[40:41]
	ds_read_b128 v[10:13], v1 offset:1104
	s_waitcnt vmcnt(53) lgkmcnt(1)
	v_mul_f64 v[58:59], v[8:9], v[66:67]
	s_waitcnt vmcnt(52)
	v_fma_f64 v[52:53], v[2:3], v[62:63], -v[52:53]
	v_mul_f64 v[40:41], v[6:7], v[66:67]
	v_fma_f64 v[48:49], v[4:5], v[62:63], v[48:49]
	ds_read_b128 v[2:5], v1 offset:1120
	v_add_f64 v[18:19], v[18:19], v[56:57]
	s_waitcnt vmcnt(51) lgkmcnt(1)
	v_mul_f64 v[56:57], v[12:13], v[68:69]
	v_add_f64 v[14:15], v[14:15], v[44:45]
	v_mul_f64 v[44:45], v[10:11], v[68:69]
	s_waitcnt vmcnt(49)
	v_fma_f64 v[58:59], v[6:7], v[72:73], -v[58:59]
	v_fma_f64 v[40:41], v[8:9], v[72:73], v[40:41]
	s_waitcnt vmcnt(45) lgkmcnt(0)
	v_mul_f64 v[64:65], v[4:5], v[78:79]
	v_mul_f64 v[62:63], v[2:3], v[78:79]
	v_add_f64 v[18:19], v[18:19], v[52:53]
	s_waitcnt vmcnt(44)
	v_fma_f64 v[56:57], v[10:11], v[70:71], -v[56:57]
	v_add_f64 v[14:15], v[14:15], v[48:49]
	s_clause 0x3
	buffer_load_dword v48, off, s[0:3], 0 offset:224
	buffer_load_dword v49, off, s[0:3], 0 offset:228
	;; [unrolled: 1-line block ×4, first 2 shown]
	ds_read_b128 v[6:9], v1 offset:1136
	v_fma_f64 v[44:45], v[12:13], v[70:71], v[44:45]
	ds_read_b128 v[10:13], v1 offset:1152
	v_add_f64 v[18:19], v[18:19], v[58:59]
	v_add_f64 v[14:15], v[14:15], v[40:41]
	s_waitcnt vmcnt(47) lgkmcnt(1)
	v_mul_f64 v[58:59], v[8:9], v[80:81]
	v_mul_f64 v[40:41], v[6:7], v[80:81]
	s_waitcnt vmcnt(45)
	v_fma_f64 v[64:65], v[2:3], v[76:77], -v[64:65]
	v_add_f64 v[18:19], v[18:19], v[56:57]
	v_fma_f64 v[56:57], v[4:5], v[76:77], v[62:63]
	v_add_f64 v[14:15], v[14:15], v[44:45]
	s_waitcnt vmcnt(41) lgkmcnt(0)
	v_mul_f64 v[44:45], v[10:11], v[20:21]
	v_mul_f64 v[20:21], v[12:13], v[20:21]
	ds_read_b128 v[2:5], v1 offset:1168
	s_waitcnt vmcnt(40)
	v_fma_f64 v[58:59], v[6:7], v[82:83], -v[58:59]
	v_fma_f64 v[40:41], v[8:9], v[82:83], v[40:41]
	ds_read_b128 v[6:9], v1 offset:1184
	v_add_f64 v[18:19], v[18:19], v[64:65]
	v_add_f64 v[14:15], v[14:15], v[56:57]
	s_waitcnt vmcnt(39) lgkmcnt(1)
	v_mul_f64 v[62:63], v[4:5], v[171:172]
	v_mul_f64 v[56:57], v[2:3], v[171:172]
	s_waitcnt vmcnt(37)
	v_fma_f64 v[20:21], v[10:11], v[16:17], -v[20:21]
	v_fma_f64 v[16:17], v[12:13], v[16:17], v[44:45]
	ds_read_b128 v[10:13], v1 offset:1200
	v_add_f64 v[18:19], v[18:19], v[58:59]
	v_add_f64 v[14:15], v[14:15], v[40:41]
	s_waitcnt vmcnt(33) lgkmcnt(1)
	v_mul_f64 v[40:41], v[6:7], v[28:29]
	v_mul_f64 v[28:29], v[8:9], v[28:29]
	s_waitcnt vmcnt(32)
	v_fma_f64 v[44:45], v[2:3], v[173:174], -v[62:63]
	v_add_f64 v[18:19], v[18:19], v[20:21]
	v_fma_f64 v[20:21], v[4:5], v[173:174], v[56:57]
	v_add_f64 v[14:15], v[14:15], v[16:17]
	ds_read_b128 v[2:5], v1 offset:1216
	s_waitcnt vmcnt(31) lgkmcnt(1)
	v_mul_f64 v[56:57], v[12:13], v[74:75]
	v_mul_f64 v[16:17], v[10:11], v[74:75]
	s_waitcnt vmcnt(29)
	v_fma_f64 v[28:29], v[6:7], v[26:27], -v[28:29]
	v_fma_f64 v[26:27], v[8:9], v[26:27], v[40:41]
	ds_read_b128 v[6:9], v1 offset:1232
	v_add_f64 v[18:19], v[18:19], v[44:45]
	v_add_f64 v[14:15], v[14:15], v[20:21]
	s_waitcnt vmcnt(25) lgkmcnt(1)
	v_mul_f64 v[20:21], v[2:3], v[22:23]
	v_mul_f64 v[22:23], v[4:5], v[22:23]
	s_waitcnt vmcnt(24)
	v_fma_f64 v[40:41], v[10:11], v[169:170], -v[56:57]
	v_fma_f64 v[16:17], v[12:13], v[169:170], v[16:17]
	ds_read_b128 v[10:13], v1 offset:1248
	v_add_f64 v[18:19], v[18:19], v[28:29]
	v_add_f64 v[14:15], v[14:15], v[26:27]
	;; [unrolled: 9-line block ×3, first 2 shown]
	s_waitcnt vmcnt(17) lgkmcnt(1)
	v_mul_f64 v[24:25], v[12:13], v[30:31]
	s_waitcnt vmcnt(16)
	v_fma_f64 v[28:29], v[6:7], v[167:168], -v[28:29]
	v_mul_f64 v[16:17], v[10:11], v[30:31]
	v_add_f64 v[18:19], v[18:19], v[22:23]
	v_fma_f64 v[22:23], v[8:9], v[167:168], v[26:27]
	v_add_f64 v[14:15], v[14:15], v[20:21]
	ds_read_b128 v[6:9], v1 offset:1280
	s_waitcnt vmcnt(15) lgkmcnt(1)
	v_mul_f64 v[26:27], v[4:5], v[42:43]
	v_mul_f64 v[20:21], v[2:3], v[42:43]
	s_waitcnt vmcnt(13)
	v_fma_f64 v[24:25], v[10:11], v[34:35], -v[24:25]
	v_fma_f64 v[16:17], v[12:13], v[34:35], v[16:17]
	ds_read_b128 v[10:13], v1 offset:1296
	v_add_f64 v[18:19], v[18:19], v[28:29]
	v_add_f64 v[14:15], v[14:15], v[22:23]
	s_waitcnt vmcnt(9) lgkmcnt(1)
	v_mul_f64 v[28:29], v[8:9], v[32:33]
	s_waitcnt vmcnt(8)
	v_fma_f64 v[2:3], v[2:3], v[46:47], -v[26:27]
	v_mul_f64 v[22:23], v[6:7], v[32:33]
	v_fma_f64 v[4:5], v[4:5], v[46:47], v[20:21]
	v_add_f64 v[18:19], v[18:19], v[24:25]
	v_add_f64 v[14:15], v[14:15], v[16:17]
	s_waitcnt vmcnt(7) lgkmcnt(0)
	v_mul_f64 v[20:21], v[12:13], v[50:51]
	v_mul_f64 v[16:17], v[10:11], v[50:51]
	s_waitcnt vmcnt(5)
	v_fma_f64 v[6:7], v[6:7], v[36:37], -v[28:29]
	v_fma_f64 v[8:9], v[8:9], v[36:37], v[22:23]
	v_add_f64 v[2:3], v[18:19], v[2:3]
	v_add_f64 v[4:5], v[14:15], v[4:5]
	s_waitcnt vmcnt(4)
	v_fma_f64 v[10:11], v[10:11], v[54:55], -v[20:21]
	v_add_f64 v[2:3], v[2:3], v[6:7]
	v_fma_f64 v[6:7], v[12:13], v[54:55], v[16:17]
	v_add_f64 v[4:5], v[4:5], v[8:9]
	v_add_f64 v[2:3], v[2:3], v[10:11]
	;; [unrolled: 1-line block ×3, first 2 shown]
	s_waitcnt vmcnt(2)
	v_add_f64 v[2:3], v[48:49], -v[2:3]
	s_waitcnt vmcnt(0)
	v_add_f64 v[4:5], v[52:53], -v[4:5]
	buffer_store_dword v3, off, s[0:3], 0 offset:228
	buffer_store_dword v2, off, s[0:3], 0 offset:224
	buffer_store_dword v5, off, s[0:3], 0 offset:236
	buffer_store_dword v4, off, s[0:3], 0 offset:232
	v_cmpx_lt_u32_e32 12, v0
	s_cbranch_execz .LBB40_235
; %bb.234:
	v_mov_b32_e32 v5, s41
	s_clause 0x3
	buffer_load_dword v2, v5, s[0:3], 0 offen
	buffer_load_dword v3, v5, s[0:3], 0 offen offset:4
	buffer_load_dword v4, v5, s[0:3], 0 offen offset:8
	;; [unrolled: 1-line block ×3, first 2 shown]
	buffer_store_dword v1, off, s[0:3], 0 offset:208
	buffer_store_dword v1, off, s[0:3], 0 offset:212
	;; [unrolled: 1-line block ×4, first 2 shown]
	s_waitcnt vmcnt(0)
	ds_write_b128 v61, v[2:5]
.LBB40_235:
	s_or_b32 exec_lo, exec_lo, s4
	s_waitcnt lgkmcnt(0)
	s_waitcnt_vscnt null, 0x0
	s_barrier
	buffer_gl0_inv
	s_clause 0x37
	buffer_load_dword v10, off, s[0:3], 0 offset:232
	buffer_load_dword v11, off, s[0:3], 0 offset:236
	;; [unrolled: 1-line block ×56, first 2 shown]
	ds_read_b128 v[2:5], v1 offset:864
	s_clause 0x2
	buffer_load_dword v69, off, s[0:3], 0 offset:460
	buffer_load_dword v73, off, s[0:3], 0 offset:436
	;; [unrolled: 1-line block ×3, first 2 shown]
	ds_read_b128 v[6:9], v1 offset:880
	s_clause 0x4
	buffer_load_dword v79, off, s[0:3], 0 offset:476
	buffer_load_dword v80, off, s[0:3], 0 offset:488
	;; [unrolled: 1-line block ×5, first 2 shown]
	s_mov_b32 s4, exec_lo
	s_waitcnt vmcnt(62) lgkmcnt(1)
	v_mul_f64 v[74:75], v[4:5], v[10:11]
	v_mul_f64 v[76:77], v[2:3], v[10:11]
	s_waitcnt vmcnt(60) lgkmcnt(0)
	v_mul_f64 v[83:84], v[8:9], v[14:15]
	ds_read_b128 v[10:13], v1 offset:896
	v_mul_f64 v[14:15], v[6:7], v[14:15]
	s_waitcnt vmcnt(58)
	v_fma_f64 v[74:75], v[2:3], v[16:17], -v[74:75]
	v_fma_f64 v[16:17], v[4:5], v[16:17], v[76:77]
	s_clause 0x2
	buffer_load_dword v81, off, s[0:3], 0 offset:492
	buffer_load_dword v77, off, s[0:3], 0 offset:468
	;; [unrolled: 1-line block ×3, first 2 shown]
	s_waitcnt vmcnt(59) lgkmcnt(0)
	v_mul_f64 v[167:168], v[10:11], v[18:19]
	v_mul_f64 v[18:19], v[12:13], v[18:19]
	s_waitcnt vmcnt(57)
	v_fma_f64 v[169:170], v[6:7], v[20:21], -v[83:84]
	ds_read_b128 v[2:5], v1 offset:912
	v_fma_f64 v[14:15], v[8:9], v[20:21], v[14:15]
	s_clause 0x4
	buffer_load_dword v21, off, s[0:3], 0 offset:508
	buffer_load_dword v171, off, s[0:3], 0 offset:520
	;; [unrolled: 1-line block ×5, first 2 shown]
	ds_read_b128 v[6:9], v1 offset:928
	v_add_f64 v[74:75], v[74:75], 0
	v_add_f64 v[16:17], v[16:17], 0
	s_waitcnt vmcnt(58) lgkmcnt(1)
	v_mul_f64 v[174:175], v[2:3], v[22:23]
	v_mul_f64 v[22:23], v[4:5], v[22:23]
	s_waitcnt vmcnt(56)
	v_fma_f64 v[18:19], v[10:11], v[28:29], -v[18:19]
	v_fma_f64 v[28:29], v[12:13], v[28:29], v[167:168]
	s_waitcnt vmcnt(55) lgkmcnt(0)
	v_mul_f64 v[167:168], v[6:7], v[24:25]
	v_mul_f64 v[24:25], v[8:9], v[24:25]
	v_add_f64 v[74:75], v[74:75], v[169:170]
	v_add_f64 v[14:15], v[16:17], v[14:15]
	s_clause 0x2
	buffer_load_dword v172, off, s[0:3], 0 offset:524
	buffer_load_dword v17, off, s[0:3], 0 offset:500
	;; [unrolled: 1-line block ×3, first 2 shown]
	ds_read_b128 v[10:13], v1 offset:944
	s_waitcnt vmcnt(56)
	v_fma_f64 v[22:23], v[2:3], v[30:31], -v[22:23]
	v_fma_f64 v[30:31], v[4:5], v[30:31], v[174:175]
	s_waitcnt vmcnt(51)
	v_fma_f64 v[24:25], v[6:7], v[26:27], -v[24:25]
	v_add_f64 v[18:19], v[74:75], v[18:19]
	v_add_f64 v[14:15], v[14:15], v[28:29]
	s_clause 0x4
	buffer_load_dword v29, off, s[0:3], 0 offset:540
	buffer_load_dword v74, off, s[0:3], 0 offset:552
	;; [unrolled: 1-line block ×5, first 2 shown]
	s_waitcnt lgkmcnt(0)
	v_mul_f64 v[175:176], v[10:11], v[32:33]
	v_mul_f64 v[32:33], v[12:13], v[32:33]
	ds_read_b128 v[2:5], v1 offset:960
	v_add_f64 v[18:19], v[18:19], v[22:23]
	v_fma_f64 v[22:23], v[8:9], v[26:27], v[167:168]
	v_add_f64 v[14:15], v[14:15], v[30:31]
	s_clause 0x2
	buffer_load_dword v75, off, s[0:3], 0 offset:556
	buffer_load_dword v27, off, s[0:3], 0 offset:532
	;; [unrolled: 1-line block ×3, first 2 shown]
	s_waitcnt vmcnt(58) lgkmcnt(0)
	v_mul_f64 v[30:31], v[2:3], v[34:35]
	v_mul_f64 v[34:35], v[4:5], v[34:35]
	s_waitcnt vmcnt(56)
	v_fma_f64 v[32:33], v[10:11], v[38:39], -v[32:33]
	ds_read_b128 v[6:9], v1 offset:976
	v_add_f64 v[18:19], v[18:19], v[24:25]
	v_fma_f64 v[24:25], v[12:13], v[38:39], v[175:176]
	v_add_f64 v[14:15], v[14:15], v[22:23]
	s_clause 0x4
	buffer_load_dword v23, off, s[0:3], 0 offset:572
	buffer_load_dword v38, off, s[0:3], 0 offset:584
	;; [unrolled: 1-line block ×5, first 2 shown]
	ds_read_b128 v[10:13], v1 offset:992
	s_waitcnt vmcnt(57) lgkmcnt(1)
	v_mul_f64 v[175:176], v[6:7], v[40:41]
	v_mul_f64 v[40:41], v[8:9], v[40:41]
	s_waitcnt vmcnt(56)
	v_fma_f64 v[34:35], v[2:3], v[36:37], -v[34:35]
	v_fma_f64 v[30:31], v[4:5], v[36:37], v[30:31]
	v_add_f64 v[18:19], v[18:19], v[32:33]
	v_add_f64 v[14:15], v[14:15], v[24:25]
	s_clause 0x2
	buffer_load_dword v39, off, s[0:3], 0 offset:588
	buffer_load_dword v25, off, s[0:3], 0 offset:564
	;; [unrolled: 1-line block ×3, first 2 shown]
	s_waitcnt vmcnt(58) lgkmcnt(0)
	v_mul_f64 v[36:37], v[12:13], v[42:43]
	ds_read_b128 v[2:5], v1 offset:1008
	s_waitcnt vmcnt(56)
	v_fma_f64 v[40:41], v[6:7], v[46:47], -v[40:41]
	v_mul_f64 v[32:33], v[10:11], v[42:43]
	v_add_f64 v[18:19], v[18:19], v[34:35]
	v_fma_f64 v[34:35], v[8:9], v[46:47], v[175:176]
	v_add_f64 v[14:15], v[14:15], v[30:31]
	s_clause 0x4
	buffer_load_dword v31, off, s[0:3], 0 offset:604
	buffer_load_dword v42, off, s[0:3], 0 offset:616
	;; [unrolled: 1-line block ×5, first 2 shown]
	s_waitcnt vmcnt(57) lgkmcnt(0)
	v_mul_f64 v[175:176], v[2:3], v[48:49]
	v_mul_f64 v[47:48], v[4:5], v[48:49]
	s_waitcnt vmcnt(56)
	v_fma_f64 v[36:37], v[10:11], v[44:45], -v[36:37]
	ds_read_b128 v[6:9], v1 offset:1024
	v_fma_f64 v[32:33], v[12:13], v[44:45], v[32:33]
	v_add_f64 v[18:19], v[18:19], v[40:41]
	v_add_f64 v[14:15], v[14:15], v[34:35]
	s_clause 0x2
	buffer_load_dword v43, off, s[0:3], 0 offset:620
	buffer_load_dword v35, off, s[0:3], 0 offset:596
	;; [unrolled: 1-line block ×3, first 2 shown]
	ds_read_b128 v[10:13], v1 offset:1040
	s_waitcnt vmcnt(58) lgkmcnt(1)
	v_mul_f64 v[44:45], v[8:9], v[50:51]
	s_waitcnt vmcnt(56)
	v_fma_f64 v[48:49], v[2:3], v[54:55], -v[47:48]
	v_mul_f64 v[40:41], v[6:7], v[50:51]
	v_add_f64 v[18:19], v[18:19], v[36:37]
	v_fma_f64 v[36:37], v[4:5], v[54:55], v[175:176]
	v_add_f64 v[14:15], v[14:15], v[32:33]
	s_clause 0x4
	buffer_load_dword v33, off, s[0:3], 0 offset:636
	buffer_load_dword v50, off, s[0:3], 0 offset:648
	buffer_load_dword v54, off, s[0:3], 0 offset:640
	buffer_load_dword v32, off, s[0:3], 0 offset:632
	buffer_load_dword v47, off, s[0:3], 0 offset:612
	s_waitcnt vmcnt(57) lgkmcnt(0)
	v_mul_f64 v[175:176], v[10:11], v[56:57]
	v_mul_f64 v[55:56], v[12:13], v[56:57]
	s_waitcnt vmcnt(56)
	v_fma_f64 v[44:45], v[6:7], v[52:53], -v[44:45]
	ds_read_b128 v[2:5], v1 offset:1056
	v_fma_f64 v[40:41], v[8:9], v[52:53], v[40:41]
	v_add_f64 v[18:19], v[18:19], v[48:49]
	v_add_f64 v[14:15], v[14:15], v[36:37]
	s_clause 0x2
	buffer_load_dword v51, off, s[0:3], 0 offset:652
	buffer_load_dword v37, off, s[0:3], 0 offset:628
	;; [unrolled: 1-line block ×3, first 2 shown]
	ds_read_b128 v[6:9], v1 offset:1072
	s_waitcnt vmcnt(58) lgkmcnt(1)
	v_mul_f64 v[52:53], v[4:5], v[58:59]
	s_waitcnt vmcnt(56)
	v_fma_f64 v[56:57], v[10:11], v[64:65], -v[55:56]
	v_mul_f64 v[48:49], v[2:3], v[58:59]
	v_add_f64 v[18:19], v[18:19], v[44:45]
	v_fma_f64 v[44:45], v[12:13], v[64:65], v[175:176]
	v_add_f64 v[14:15], v[14:15], v[40:41]
	s_clause 0x2
	buffer_load_dword v41, off, s[0:3], 0 offset:668
	buffer_load_dword v40, off, s[0:3], 0 offset:664
	;; [unrolled: 1-line block ×3, first 2 shown]
	s_waitcnt vmcnt(55) lgkmcnt(0)
	v_mul_f64 v[64:65], v[8:9], v[66:67]
	s_waitcnt vmcnt(54)
	v_fma_f64 v[52:53], v[2:3], v[62:63], -v[52:53]
	ds_read_b128 v[10:13], v1 offset:1088
	v_mul_f64 v[58:59], v[6:7], v[66:67]
	v_fma_f64 v[48:49], v[4:5], v[62:63], v[48:49]
	v_add_f64 v[18:19], v[18:19], v[56:57]
	v_add_f64 v[14:15], v[14:15], v[44:45]
	s_clause 0x1
	buffer_load_dword v45, off, s[0:3], 0 offset:660
	buffer_load_dword v44, off, s[0:3], 0 offset:656
	s_waitcnt vmcnt(55) lgkmcnt(0)
	v_mul_f64 v[62:63], v[12:13], v[68:69]
	s_waitcnt vmcnt(53)
	v_fma_f64 v[64:65], v[6:7], v[72:73], -v[64:65]
	ds_read_b128 v[2:5], v1 offset:1104
	v_mul_f64 v[56:57], v[10:11], v[68:69]
	v_add_f64 v[18:19], v[18:19], v[52:53]
	v_fma_f64 v[52:53], v[8:9], v[72:73], v[58:59]
	v_add_f64 v[14:15], v[14:15], v[48:49]
	ds_read_b128 v[6:9], v1 offset:1120
	s_waitcnt vmcnt(49) lgkmcnt(1)
	v_mul_f64 v[58:59], v[4:5], v[78:79]
	s_waitcnt vmcnt(48)
	v_fma_f64 v[62:63], v[10:11], v[70:71], -v[62:63]
	v_mul_f64 v[48:49], v[2:3], v[78:79]
	v_fma_f64 v[56:57], v[12:13], v[70:71], v[56:57]
	v_add_f64 v[18:19], v[18:19], v[64:65]
	v_add_f64 v[14:15], v[14:15], v[52:53]
	s_clause 0x3
	buffer_load_dword v52, off, s[0:3], 0 offset:208
	buffer_load_dword v53, off, s[0:3], 0 offset:212
	;; [unrolled: 1-line block ×4, first 2 shown]
	ds_read_b128 v[10:13], v1 offset:1136
	s_waitcnt vmcnt(51) lgkmcnt(1)
	v_mul_f64 v[68:69], v[8:9], v[80:81]
	v_mul_f64 v[66:67], v[6:7], v[80:81]
	s_waitcnt vmcnt(49)
	v_fma_f64 v[58:59], v[2:3], v[76:77], -v[58:59]
	v_fma_f64 v[48:49], v[4:5], v[76:77], v[48:49]
	ds_read_b128 v[2:5], v1 offset:1152
	v_add_f64 v[18:19], v[18:19], v[62:63]
	v_add_f64 v[14:15], v[14:15], v[56:57]
	s_waitcnt vmcnt(45) lgkmcnt(1)
	v_mul_f64 v[56:57], v[10:11], v[20:21]
	v_mul_f64 v[20:21], v[12:13], v[20:21]
	s_waitcnt vmcnt(44)
	v_fma_f64 v[62:63], v[6:7], v[82:83], -v[68:69]
	v_add_f64 v[18:19], v[18:19], v[58:59]
	v_fma_f64 v[58:59], v[8:9], v[82:83], v[66:67]
	v_add_f64 v[14:15], v[14:15], v[48:49]
	ds_read_b128 v[6:9], v1 offset:1168
	s_waitcnt vmcnt(43) lgkmcnt(1)
	v_mul_f64 v[66:67], v[4:5], v[171:172]
	v_mul_f64 v[48:49], v[2:3], v[171:172]
	s_waitcnt vmcnt(41)
	v_fma_f64 v[20:21], v[10:11], v[16:17], -v[20:21]
	v_fma_f64 v[16:17], v[12:13], v[16:17], v[56:57]
	ds_read_b128 v[10:13], v1 offset:1184
	v_add_f64 v[18:19], v[18:19], v[62:63]
	v_add_f64 v[14:15], v[14:15], v[58:59]
	s_waitcnt vmcnt(37) lgkmcnt(1)
	v_mul_f64 v[56:57], v[6:7], v[28:29]
	v_mul_f64 v[28:29], v[8:9], v[28:29]
	s_waitcnt vmcnt(36)
	v_fma_f64 v[58:59], v[2:3], v[173:174], -v[66:67]
	v_add_f64 v[18:19], v[18:19], v[20:21]
	v_fma_f64 v[20:21], v[4:5], v[173:174], v[48:49]
	v_add_f64 v[14:15], v[14:15], v[16:17]
	ds_read_b128 v[2:5], v1 offset:1200
	s_waitcnt vmcnt(35) lgkmcnt(1)
	v_mul_f64 v[48:49], v[12:13], v[74:75]
	v_mul_f64 v[16:17], v[10:11], v[74:75]
	s_waitcnt vmcnt(33)
	v_fma_f64 v[28:29], v[6:7], v[26:27], -v[28:29]
	v_fma_f64 v[26:27], v[8:9], v[26:27], v[56:57]
	ds_read_b128 v[6:9], v1 offset:1216
	v_add_f64 v[18:19], v[18:19], v[58:59]
	v_add_f64 v[14:15], v[14:15], v[20:21]
	s_waitcnt vmcnt(29) lgkmcnt(1)
	v_mul_f64 v[20:21], v[2:3], v[22:23]
	v_mul_f64 v[22:23], v[4:5], v[22:23]
	s_waitcnt vmcnt(28)
	v_fma_f64 v[48:49], v[10:11], v[169:170], -v[48:49]
	v_fma_f64 v[16:17], v[12:13], v[169:170], v[16:17]
	ds_read_b128 v[10:13], v1 offset:1232
	v_add_f64 v[18:19], v[18:19], v[28:29]
	v_add_f64 v[14:15], v[14:15], v[26:27]
	;; [unrolled: 9-line block ×3, first 2 shown]
	s_waitcnt vmcnt(21) lgkmcnt(1)
	v_mul_f64 v[24:25], v[12:13], v[30:31]
	s_waitcnt vmcnt(20)
	v_fma_f64 v[28:29], v[6:7], v[167:168], -v[28:29]
	v_mul_f64 v[16:17], v[10:11], v[30:31]
	v_add_f64 v[18:19], v[18:19], v[22:23]
	v_fma_f64 v[22:23], v[8:9], v[167:168], v[26:27]
	v_add_f64 v[14:15], v[14:15], v[20:21]
	ds_read_b128 v[6:9], v1 offset:1264
	s_waitcnt vmcnt(19) lgkmcnt(1)
	v_mul_f64 v[26:27], v[4:5], v[42:43]
	v_mul_f64 v[20:21], v[2:3], v[42:43]
	s_waitcnt vmcnt(17)
	v_fma_f64 v[24:25], v[10:11], v[34:35], -v[24:25]
	v_fma_f64 v[16:17], v[12:13], v[34:35], v[16:17]
	ds_read_b128 v[10:13], v1 offset:1280
	v_add_f64 v[18:19], v[18:19], v[28:29]
	v_add_f64 v[14:15], v[14:15], v[22:23]
	s_waitcnt vmcnt(13) lgkmcnt(1)
	v_mul_f64 v[28:29], v[8:9], v[32:33]
	s_waitcnt vmcnt(12)
	v_fma_f64 v[26:27], v[2:3], v[46:47], -v[26:27]
	v_mul_f64 v[22:23], v[6:7], v[32:33]
	v_fma_f64 v[20:21], v[4:5], v[46:47], v[20:21]
	ds_read_b128 v[1:4], v1 offset:1296
	v_add_f64 v[18:19], v[18:19], v[24:25]
	v_add_f64 v[14:15], v[14:15], v[16:17]
	s_waitcnt vmcnt(11) lgkmcnt(1)
	v_mul_f64 v[24:25], v[12:13], v[50:51]
	v_mul_f64 v[16:17], v[10:11], v[50:51]
	s_waitcnt vmcnt(9)
	v_fma_f64 v[5:6], v[6:7], v[36:37], -v[28:29]
	v_fma_f64 v[7:8], v[8:9], v[36:37], v[22:23]
	v_add_f64 v[18:19], v[18:19], v[26:27]
	v_add_f64 v[14:15], v[14:15], v[20:21]
	s_waitcnt vmcnt(7) lgkmcnt(0)
	v_mul_f64 v[22:23], v[3:4], v[40:41]
	s_waitcnt vmcnt(6)
	v_fma_f64 v[9:10], v[10:11], v[54:55], -v[24:25]
	v_mul_f64 v[20:21], v[1:2], v[40:41]
	v_fma_f64 v[11:12], v[12:13], v[54:55], v[16:17]
	v_add_f64 v[5:6], v[18:19], v[5:6]
	v_add_f64 v[7:8], v[14:15], v[7:8]
	s_waitcnt vmcnt(4)
	v_fma_f64 v[1:2], v[1:2], v[44:45], -v[22:23]
	v_fma_f64 v[3:4], v[3:4], v[44:45], v[20:21]
	v_add_f64 v[5:6], v[5:6], v[9:10]
	v_add_f64 v[7:8], v[7:8], v[11:12]
	;; [unrolled: 1-line block ×4, first 2 shown]
	s_waitcnt vmcnt(2)
	v_add_f64 v[1:2], v[52:53], -v[1:2]
	s_waitcnt vmcnt(0)
	v_add_f64 v[3:4], v[64:65], -v[3:4]
	buffer_store_dword v2, off, s[0:3], 0 offset:212
	buffer_store_dword v1, off, s[0:3], 0 offset:208
	;; [unrolled: 1-line block ×4, first 2 shown]
	v_cmpx_lt_u32_e32 11, v0
	s_cbranch_execz .LBB40_237
; %bb.236:
	v_mov_b32_e32 v4, s42
	v_mov_b32_e32 v5, 0
	s_clause 0x3
	buffer_load_dword v1, v4, s[0:3], 0 offen
	buffer_load_dword v2, v4, s[0:3], 0 offen offset:4
	buffer_load_dword v3, v4, s[0:3], 0 offen offset:8
	;; [unrolled: 1-line block ×3, first 2 shown]
	buffer_store_dword v5, off, s[0:3], 0 offset:192
	buffer_store_dword v5, off, s[0:3], 0 offset:196
	;; [unrolled: 1-line block ×4, first 2 shown]
	s_waitcnt vmcnt(0)
	ds_write_b128 v61, v[1:4]
.LBB40_237:
	s_or_b32 exec_lo, exec_lo, s4
	s_waitcnt lgkmcnt(0)
	s_waitcnt_vscnt null, 0x0
	s_barrier
	buffer_gl0_inv
	s_clause 0x37
	buffer_load_dword v9, off, s[0:3], 0 offset:216
	buffer_load_dword v10, off, s[0:3], 0 offset:220
	;; [unrolled: 1-line block ×56, first 2 shown]
	v_mov_b32_e32 v11, 0
	s_mov_b32 s4, exec_lo
	ds_read_b128 v[5:8], v11 offset:848
	s_clause 0x2
	buffer_load_dword v71, off, s[0:3], 0 offset:444
	buffer_load_dword v75, off, s[0:3], 0 offset:420
	;; [unrolled: 1-line block ×3, first 2 shown]
	ds_read_b128 v[12:15], v11 offset:864
	s_clause 0x4
	buffer_load_dword v79, off, s[0:3], 0 offset:460
	buffer_load_dword v80, off, s[0:3], 0 offset:472
	;; [unrolled: 1-line block ×5, first 2 shown]
	ds_read_b128 v[16:19], v11 offset:880
	s_waitcnt vmcnt(62) lgkmcnt(2)
	v_mul_f64 v[76:77], v[7:8], v[9:10]
	v_mul_f64 v[9:10], v[5:6], v[9:10]
	s_waitcnt vmcnt(60) lgkmcnt(1)
	v_mul_f64 v[83:84], v[14:15], v[20:21]
	v_mul_f64 v[20:21], v[12:13], v[20:21]
	;; [unrolled: 3-line block ×3, first 2 shown]
	v_fma_f64 v[76:77], v[5:6], v[22:23], -v[76:77]
	v_fma_f64 v[9:10], v[7:8], v[22:23], v[9:10]
	s_clause 0x2
	buffer_load_dword v81, off, s[0:3], 0 offset:476
	buffer_load_dword v23, off, s[0:3], 0 offset:452
	;; [unrolled: 1-line block ×3, first 2 shown]
	s_waitcnt vmcnt(57)
	v_fma_f64 v[12:13], v[12:13], v[1:2], -v[83:84]
	ds_read_b128 v[5:8], v11 offset:896
	v_fma_f64 v[14:15], v[14:15], v[1:2], v[20:21]
	s_clause 0x4
	buffer_load_dword v21, off, s[0:3], 0 offset:492
	buffer_load_dword v171, off, s[0:3], 0 offset:504
	;; [unrolled: 1-line block ×5, first 2 shown]
	s_waitcnt vmcnt(56)
	v_fma_f64 v[16:17], v[16:17], v[30:31], -v[169:170]
	ds_read_b128 v[1:4], v11 offset:912
	v_fma_f64 v[18:19], v[18:19], v[30:31], v[167:168]
	s_clause 0x2
	buffer_load_dword v172, off, s[0:3], 0 offset:508
	buffer_load_dword v31, off, s[0:3], 0 offset:484
	;; [unrolled: 1-line block ×3, first 2 shown]
	v_add_f64 v[76:77], v[76:77], 0
	v_add_f64 v[9:10], v[9:10], 0
	s_waitcnt lgkmcnt(1)
	v_mul_f64 v[174:175], v[5:6], v[24:25]
	v_mul_f64 v[24:25], v[7:8], v[24:25]
	s_waitcnt vmcnt(58) lgkmcnt(0)
	v_mul_f64 v[167:168], v[1:2], v[26:27]
	v_mul_f64 v[26:27], v[3:4], v[26:27]
	v_add_f64 v[76:77], v[76:77], v[12:13]
	v_add_f64 v[9:10], v[9:10], v[14:15]
	ds_read_b128 v[12:15], v11 offset:928
	s_waitcnt vmcnt(56)
	v_fma_f64 v[24:25], v[5:6], v[32:33], -v[24:25]
	v_fma_f64 v[32:33], v[7:8], v[32:33], v[174:175]
	s_waitcnt vmcnt(51)
	v_fma_f64 v[26:27], v[1:2], v[28:29], -v[26:27]
	s_waitcnt lgkmcnt(0)
	v_mul_f64 v[175:176], v[12:13], v[34:35]
	v_add_f64 v[16:17], v[76:77], v[16:17]
	v_add_f64 v[9:10], v[9:10], v[18:19]
	s_clause 0x4
	buffer_load_dword v19, off, s[0:3], 0 offset:524
	buffer_load_dword v76, off, s[0:3], 0 offset:536
	;; [unrolled: 1-line block ×5, first 2 shown]
	v_mul_f64 v[34:35], v[14:15], v[34:35]
	ds_read_b128 v[5:8], v11 offset:944
	v_add_f64 v[16:17], v[16:17], v[24:25]
	v_fma_f64 v[24:25], v[3:4], v[28:29], v[167:168]
	v_add_f64 v[9:10], v[9:10], v[32:33]
	s_clause 0x2
	buffer_load_dword v77, off, s[0:3], 0 offset:540
	buffer_load_dword v29, off, s[0:3], 0 offset:516
	buffer_load_dword v28, off, s[0:3], 0 offset:512
	s_waitcnt vmcnt(58) lgkmcnt(0)
	v_mul_f64 v[32:33], v[5:6], v[36:37]
	v_mul_f64 v[36:37], v[7:8], v[36:37]
	s_waitcnt vmcnt(56)
	v_fma_f64 v[34:35], v[12:13], v[40:41], -v[34:35]
	ds_read_b128 v[1:4], v11 offset:960
	v_add_f64 v[16:17], v[16:17], v[26:27]
	v_fma_f64 v[26:27], v[14:15], v[40:41], v[175:176]
	v_add_f64 v[9:10], v[9:10], v[24:25]
	s_clause 0x4
	buffer_load_dword v25, off, s[0:3], 0 offset:556
	buffer_load_dword v40, off, s[0:3], 0 offset:568
	;; [unrolled: 1-line block ×5, first 2 shown]
	ds_read_b128 v[12:15], v11 offset:976
	s_waitcnt vmcnt(57) lgkmcnt(1)
	v_mul_f64 v[175:176], v[1:2], v[42:43]
	v_mul_f64 v[42:43], v[3:4], v[42:43]
	s_waitcnt vmcnt(56)
	v_fma_f64 v[36:37], v[5:6], v[38:39], -v[36:37]
	v_fma_f64 v[32:33], v[7:8], v[38:39], v[32:33]
	v_add_f64 v[16:17], v[16:17], v[34:35]
	v_add_f64 v[9:10], v[9:10], v[26:27]
	s_clause 0x2
	buffer_load_dword v41, off, s[0:3], 0 offset:572
	buffer_load_dword v27, off, s[0:3], 0 offset:548
	;; [unrolled: 1-line block ×3, first 2 shown]
	s_waitcnt vmcnt(58) lgkmcnt(0)
	v_mul_f64 v[38:39], v[14:15], v[44:45]
	ds_read_b128 v[5:8], v11 offset:992
	s_waitcnt vmcnt(56)
	v_fma_f64 v[42:43], v[1:2], v[48:49], -v[42:43]
	v_mul_f64 v[34:35], v[12:13], v[44:45]
	v_add_f64 v[16:17], v[16:17], v[36:37]
	v_fma_f64 v[36:37], v[3:4], v[48:49], v[175:176]
	v_add_f64 v[9:10], v[9:10], v[32:33]
	s_clause 0x4
	buffer_load_dword v33, off, s[0:3], 0 offset:588
	buffer_load_dword v44, off, s[0:3], 0 offset:600
	buffer_load_dword v48, off, s[0:3], 0 offset:592
	buffer_load_dword v32, off, s[0:3], 0 offset:584
	buffer_load_dword v168, off, s[0:3], 0 offset:564
	s_waitcnt vmcnt(57) lgkmcnt(0)
	v_mul_f64 v[175:176], v[5:6], v[50:51]
	v_mul_f64 v[49:50], v[7:8], v[50:51]
	s_waitcnt vmcnt(56)
	v_fma_f64 v[38:39], v[12:13], v[46:47], -v[38:39]
	ds_read_b128 v[1:4], v11 offset:1008
	v_fma_f64 v[34:35], v[14:15], v[46:47], v[34:35]
	v_add_f64 v[16:17], v[16:17], v[42:43]
	v_add_f64 v[9:10], v[9:10], v[36:37]
	s_clause 0x2
	buffer_load_dword v45, off, s[0:3], 0 offset:604
	buffer_load_dword v37, off, s[0:3], 0 offset:580
	buffer_load_dword v36, off, s[0:3], 0 offset:576
	ds_read_b128 v[12:15], v11 offset:1024
	s_waitcnt vmcnt(58) lgkmcnt(1)
	v_mul_f64 v[46:47], v[3:4], v[52:53]
	s_waitcnt vmcnt(56)
	v_fma_f64 v[50:51], v[5:6], v[56:57], -v[49:50]
	v_mul_f64 v[42:43], v[1:2], v[52:53]
	v_add_f64 v[16:17], v[16:17], v[38:39]
	v_fma_f64 v[38:39], v[7:8], v[56:57], v[175:176]
	v_add_f64 v[9:10], v[9:10], v[34:35]
	s_clause 0x4
	buffer_load_dword v35, off, s[0:3], 0 offset:620
	buffer_load_dword v52, off, s[0:3], 0 offset:632
	buffer_load_dword v56, off, s[0:3], 0 offset:624
	buffer_load_dword v34, off, s[0:3], 0 offset:616
	buffer_load_dword v49, off, s[0:3], 0 offset:596
	s_waitcnt vmcnt(57) lgkmcnt(0)
	v_mul_f64 v[175:176], v[12:13], v[58:59]
	v_mul_f64 v[57:58], v[14:15], v[58:59]
	s_waitcnt vmcnt(56)
	v_fma_f64 v[46:47], v[1:2], v[54:55], -v[46:47]
	ds_read_b128 v[5:8], v11 offset:1040
	v_fma_f64 v[42:43], v[3:4], v[54:55], v[42:43]
	v_add_f64 v[16:17], v[16:17], v[50:51]
	v_add_f64 v[9:10], v[9:10], v[38:39]
	s_clause 0x2
	buffer_load_dword v53, off, s[0:3], 0 offset:636
	buffer_load_dword v39, off, s[0:3], 0 offset:612
	buffer_load_dword v38, off, s[0:3], 0 offset:608
	ds_read_b128 v[1:4], v11 offset:1056
	s_waitcnt vmcnt(58) lgkmcnt(1)
	v_mul_f64 v[54:55], v[7:8], v[62:63]
	;; [unrolled: 28-line block ×3, first 2 shown]
	s_waitcnt vmcnt(56)
	v_fma_f64 v[68:69], v[1:2], v[74:75], -v[67:68]
	v_mul_f64 v[58:59], v[12:13], v[70:71]
	buffer_load_dword v67, off, s[0:3], 0 offset:660
	v_add_f64 v[16:17], v[16:17], v[54:55]
	v_fma_f64 v[54:55], v[3:4], v[74:75], v[175:176]
	v_add_f64 v[9:10], v[9:10], v[50:51]
	ds_read_b128 v[1:4], v11 offset:1104
	s_waitcnt vmcnt(53) lgkmcnt(1)
	v_mul_f64 v[70:71], v[7:8], v[78:79]
	s_waitcnt vmcnt(52)
	v_fma_f64 v[64:65], v[12:13], v[72:73], -v[64:65]
	v_mul_f64 v[50:51], v[5:6], v[78:79]
	v_fma_f64 v[58:59], v[14:15], v[72:73], v[58:59]
	ds_read_b128 v[12:15], v11 offset:1120
	v_add_f64 v[16:17], v[16:17], v[68:69]
	v_add_f64 v[9:10], v[9:10], v[54:55]
	s_waitcnt vmcnt(51) lgkmcnt(1)
	v_mul_f64 v[68:69], v[3:4], v[80:81]
	v_mul_f64 v[54:55], v[1:2], v[80:81]
	s_waitcnt vmcnt(49)
	v_fma_f64 v[70:71], v[5:6], v[22:23], -v[70:71]
	v_fma_f64 v[22:23], v[7:8], v[22:23], v[50:51]
	v_add_f64 v[16:17], v[16:17], v[64:65]
	s_waitcnt vmcnt(45) lgkmcnt(0)
	v_mul_f64 v[64:65], v[12:13], v[20:21]
	v_add_f64 v[9:10], v[9:10], v[58:59]
	s_clause 0x3
	buffer_load_dword v50, off, s[0:3], 0 offset:192
	buffer_load_dword v51, off, s[0:3], 0 offset:196
	;; [unrolled: 1-line block ×4, first 2 shown]
	v_mul_f64 v[20:21], v[14:15], v[20:21]
	ds_read_b128 v[5:8], v11 offset:1136
	s_waitcnt vmcnt(48)
	v_fma_f64 v[68:69], v[1:2], v[82:83], -v[68:69]
	v_fma_f64 v[54:55], v[3:4], v[82:83], v[54:55]
	ds_read_b128 v[1:4], v11 offset:1152
	v_add_f64 v[16:17], v[16:17], v[70:71]
	v_add_f64 v[9:10], v[9:10], v[22:23]
	s_waitcnt vmcnt(47) lgkmcnt(1)
	v_mul_f64 v[70:71], v[7:8], v[171:172]
	s_waitcnt vmcnt(45)
	v_fma_f64 v[20:21], v[12:13], v[30:31], -v[20:21]
	v_mul_f64 v[22:23], v[5:6], v[171:172]
	v_fma_f64 v[30:31], v[14:15], v[30:31], v[64:65]
	ds_read_b128 v[12:15], v11 offset:1168
	v_add_f64 v[16:17], v[16:17], v[68:69]
	v_add_f64 v[9:10], v[9:10], v[54:55]
	s_waitcnt vmcnt(41) lgkmcnt(1)
	v_mul_f64 v[54:55], v[1:2], v[18:19]
	v_mul_f64 v[18:19], v[3:4], v[18:19]
	s_waitcnt vmcnt(40)
	v_fma_f64 v[64:65], v[5:6], v[173:174], -v[70:71]
	v_add_f64 v[16:17], v[16:17], v[20:21]
	v_fma_f64 v[20:21], v[7:8], v[173:174], v[22:23]
	v_add_f64 v[9:10], v[9:10], v[30:31]
	ds_read_b128 v[5:8], v11 offset:1184
	s_waitcnt vmcnt(39) lgkmcnt(1)
	v_mul_f64 v[30:31], v[14:15], v[76:77]
	v_mul_f64 v[22:23], v[12:13], v[76:77]
	s_waitcnt vmcnt(37)
	v_fma_f64 v[18:19], v[1:2], v[28:29], -v[18:19]
	v_fma_f64 v[28:29], v[3:4], v[28:29], v[54:55]
	ds_read_b128 v[1:4], v11 offset:1200
	v_add_f64 v[16:17], v[16:17], v[64:65]
	v_add_f64 v[9:10], v[9:10], v[20:21]
	s_waitcnt vmcnt(33) lgkmcnt(1)
	v_mul_f64 v[20:21], v[5:6], v[24:25]
	v_mul_f64 v[24:25], v[7:8], v[24:25]
	s_waitcnt vmcnt(32)
	v_fma_f64 v[30:31], v[12:13], v[169:170], -v[30:31]
	v_add_f64 v[16:17], v[16:17], v[18:19]
	v_fma_f64 v[18:19], v[14:15], v[169:170], v[22:23]
	v_add_f64 v[9:10], v[9:10], v[28:29]
	ds_read_b128 v[12:15], v11 offset:1216
	s_waitcnt vmcnt(31) lgkmcnt(1)
	v_mul_f64 v[28:29], v[3:4], v[40:41]
	v_mul_f64 v[22:23], v[1:2], v[40:41]
	s_waitcnt vmcnt(29)
	v_fma_f64 v[24:25], v[5:6], v[26:27], -v[24:25]
	v_fma_f64 v[20:21], v[7:8], v[26:27], v[20:21]
	ds_read_b128 v[5:8], v11 offset:1232
	v_add_f64 v[16:17], v[16:17], v[30:31]
	v_add_f64 v[9:10], v[9:10], v[18:19]
	s_waitcnt vmcnt(25) lgkmcnt(1)
	v_mul_f64 v[26:27], v[14:15], v[32:33]
	s_waitcnt vmcnt(24)
	v_fma_f64 v[28:29], v[1:2], v[167:168], -v[28:29]
	v_mul_f64 v[18:19], v[12:13], v[32:33]
	v_fma_f64 v[22:23], v[3:4], v[167:168], v[22:23]
	ds_read_b128 v[1:4], v11 offset:1248
	v_add_f64 v[16:17], v[16:17], v[24:25]
	v_add_f64 v[9:10], v[9:10], v[20:21]
	s_waitcnt vmcnt(23) lgkmcnt(1)
	v_mul_f64 v[24:25], v[7:8], v[44:45]
	v_mul_f64 v[20:21], v[5:6], v[44:45]
	s_waitcnt vmcnt(21)
	v_fma_f64 v[26:27], v[12:13], v[36:37], -v[26:27]
	v_fma_f64 v[18:19], v[14:15], v[36:37], v[18:19]
	ds_read_b128 v[12:15], v11 offset:1264
	v_add_f64 v[16:17], v[16:17], v[28:29]
	v_add_f64 v[9:10], v[9:10], v[22:23]
	s_waitcnt vmcnt(17) lgkmcnt(1)
	v_mul_f64 v[28:29], v[3:4], v[34:35]
	s_waitcnt vmcnt(16)
	v_fma_f64 v[24:25], v[5:6], v[48:49], -v[24:25]
	v_mul_f64 v[22:23], v[1:2], v[34:35]
	v_fma_f64 v[20:21], v[7:8], v[48:49], v[20:21]
	ds_read_b128 v[5:8], v11 offset:1280
	v_add_f64 v[16:17], v[16:17], v[26:27]
	v_add_f64 v[9:10], v[9:10], v[18:19]
	s_waitcnt vmcnt(15) lgkmcnt(1)
	v_mul_f64 v[26:27], v[14:15], v[52:53]
	v_mul_f64 v[18:19], v[12:13], v[52:53]
	s_waitcnt vmcnt(13)
	v_fma_f64 v[28:29], v[1:2], v[38:39], -v[28:29]
	v_fma_f64 v[22:23], v[3:4], v[38:39], v[22:23]
	ds_read_b128 v[1:4], v11 offset:1296
	v_add_f64 v[16:17], v[16:17], v[24:25]
	v_add_f64 v[9:10], v[9:10], v[20:21]
	s_waitcnt vmcnt(9) lgkmcnt(1)
	v_mul_f64 v[24:25], v[7:8], v[42:43]
	s_waitcnt vmcnt(8)
	v_fma_f64 v[12:13], v[12:13], v[56:57], -v[26:27]
	v_mul_f64 v[20:21], v[5:6], v[42:43]
	v_fma_f64 v[14:15], v[14:15], v[56:57], v[18:19]
	v_add_f64 v[16:17], v[16:17], v[28:29]
	v_add_f64 v[9:10], v[9:10], v[22:23]
	s_waitcnt vmcnt(7) lgkmcnt(0)
	v_mul_f64 v[22:23], v[3:4], v[62:63]
	v_mul_f64 v[18:19], v[1:2], v[62:63]
	s_waitcnt vmcnt(5)
	v_fma_f64 v[5:6], v[5:6], v[46:47], -v[24:25]
	v_fma_f64 v[7:8], v[7:8], v[46:47], v[20:21]
	v_add_f64 v[12:13], v[16:17], v[12:13]
	v_add_f64 v[9:10], v[9:10], v[14:15]
	s_waitcnt vmcnt(4)
	v_fma_f64 v[1:2], v[1:2], v[66:67], -v[22:23]
	v_fma_f64 v[3:4], v[3:4], v[66:67], v[18:19]
	v_add_f64 v[5:6], v[12:13], v[5:6]
	v_add_f64 v[7:8], v[9:10], v[7:8]
	;; [unrolled: 1-line block ×4, first 2 shown]
	s_waitcnt vmcnt(2)
	v_add_f64 v[1:2], v[50:51], -v[1:2]
	s_waitcnt vmcnt(0)
	v_add_f64 v[3:4], v[58:59], -v[3:4]
	buffer_store_dword v2, off, s[0:3], 0 offset:196
	buffer_store_dword v1, off, s[0:3], 0 offset:192
	buffer_store_dword v4, off, s[0:3], 0 offset:204
	buffer_store_dword v3, off, s[0:3], 0 offset:200
	v_cmpx_lt_u32_e32 10, v0
	s_cbranch_execz .LBB40_239
; %bb.238:
	v_mov_b32_e32 v4, s43
	s_clause 0x3
	buffer_load_dword v1, v4, s[0:3], 0 offen
	buffer_load_dword v2, v4, s[0:3], 0 offen offset:4
	buffer_load_dword v3, v4, s[0:3], 0 offen offset:8
	;; [unrolled: 1-line block ×3, first 2 shown]
	buffer_store_dword v11, off, s[0:3], 0 offset:176
	buffer_store_dword v11, off, s[0:3], 0 offset:180
	;; [unrolled: 1-line block ×4, first 2 shown]
	s_waitcnt vmcnt(0)
	ds_write_b128 v61, v[1:4]
.LBB40_239:
	s_or_b32 exec_lo, exec_lo, s4
	s_waitcnt lgkmcnt(0)
	s_waitcnt_vscnt null, 0x0
	s_barrier
	buffer_gl0_inv
	s_clause 0x37
	buffer_load_dword v9, off, s[0:3], 0 offset:200
	buffer_load_dword v10, off, s[0:3], 0 offset:204
	;; [unrolled: 1-line block ×56, first 2 shown]
	ds_read_b128 v[12:15], v11 offset:832
	s_clause 0x2
	buffer_load_dword v71, off, s[0:3], 0 offset:428
	buffer_load_dword v75, off, s[0:3], 0 offset:404
	;; [unrolled: 1-line block ×3, first 2 shown]
	ds_read_b128 v[16:19], v11 offset:848
	s_clause 0x4
	buffer_load_dword v79, off, s[0:3], 0 offset:444
	buffer_load_dword v80, off, s[0:3], 0 offset:456
	buffer_load_dword v82, off, s[0:3], 0 offset:448
	buffer_load_dword v78, off, s[0:3], 0 offset:440
	buffer_load_dword v73, off, s[0:3], 0 offset:420
	ds_read_b128 v[20:23], v11 offset:864
	s_clause 0x2
	buffer_load_dword v81, off, s[0:3], 0 offset:460
	buffer_load_dword v168, off, s[0:3], 0 offset:436
	;; [unrolled: 1-line block ×3, first 2 shown]
	s_mov_b32 s4, exec_lo
	s_waitcnt vmcnt(62) lgkmcnt(2)
	v_mul_f64 v[76:77], v[14:15], v[9:10]
	v_mul_f64 v[9:10], v[12:13], v[9:10]
	s_waitcnt lgkmcnt(1)
	v_mul_f64 v[83:84], v[18:19], v[5:6]
	s_waitcnt vmcnt(59) lgkmcnt(0)
	v_mul_f64 v[169:170], v[22:23], v[3:4]
	v_fma_f64 v[12:13], v[12:13], v[7:8], -v[76:77]
	v_mul_f64 v[76:77], v[16:17], v[5:6]
	v_fma_f64 v[9:10], v[14:15], v[7:8], v[9:10]
	s_waitcnt vmcnt(57)
	v_fma_f64 v[16:17], v[16:17], v[1:2], -v[83:84]
	ds_read_b128 v[5:8], v11 offset:880
	v_mul_f64 v[14:15], v[20:21], v[3:4]
	s_waitcnt vmcnt(51)
	v_fma_f64 v[20:21], v[20:21], v[30:31], -v[169:170]
	v_add_f64 v[12:13], v[12:13], 0
	v_fma_f64 v[18:19], v[18:19], v[1:2], v[76:77]
	v_add_f64 v[9:10], v[9:10], 0
	s_clause 0x4
	buffer_load_dword v77, off, s[0:3], 0 offset:476
	buffer_load_dword v171, off, s[0:3], 0 offset:488
	;; [unrolled: 1-line block ×5, first 2 shown]
	s_waitcnt lgkmcnt(0)
	v_mul_f64 v[174:175], v[5:6], v[24:25]
	v_mul_f64 v[24:25], v[7:8], v[24:25]
	ds_read_b128 v[1:4], v11 offset:896
	v_fma_f64 v[22:23], v[22:23], v[30:31], v[14:15]
	v_add_f64 v[16:17], v[12:13], v[16:17]
	v_add_f64 v[9:10], v[9:10], v[18:19]
	s_clause 0x2
	buffer_load_dword v172, off, s[0:3], 0 offset:492
	buffer_load_dword v19, off, s[0:3], 0 offset:468
	;; [unrolled: 1-line block ×3, first 2 shown]
	s_waitcnt vmcnt(58) lgkmcnt(0)
	v_mul_f64 v[30:31], v[1:2], v[26:27]
	v_mul_f64 v[26:27], v[3:4], v[26:27]
	s_waitcnt vmcnt(56)
	v_fma_f64 v[24:25], v[5:6], v[32:33], -v[24:25]
	ds_read_b128 v[12:15], v11 offset:912
	v_add_f64 v[16:17], v[16:17], v[20:21]
	v_fma_f64 v[20:21], v[7:8], v[32:33], v[174:175]
	v_add_f64 v[9:10], v[9:10], v[22:23]
	s_clause 0x4
	buffer_load_dword v23, off, s[0:3], 0 offset:508
	buffer_load_dword v32, off, s[0:3], 0 offset:520
	;; [unrolled: 1-line block ×5, first 2 shown]
	ds_read_b128 v[5:8], v11 offset:928
	s_waitcnt vmcnt(57) lgkmcnt(1)
	v_mul_f64 v[175:176], v[12:13], v[34:35]
	v_mul_f64 v[34:35], v[14:15], v[34:35]
	s_waitcnt vmcnt(56)
	v_fma_f64 v[26:27], v[1:2], v[28:29], -v[26:27]
	v_add_f64 v[16:17], v[16:17], v[24:25]
	v_fma_f64 v[24:25], v[3:4], v[28:29], v[30:31]
	v_add_f64 v[9:10], v[9:10], v[20:21]
	s_clause 0x2
	buffer_load_dword v33, off, s[0:3], 0 offset:524
	buffer_load_dword v21, off, s[0:3], 0 offset:500
	;; [unrolled: 1-line block ×3, first 2 shown]
	s_waitcnt vmcnt(58) lgkmcnt(0)
	v_mul_f64 v[30:31], v[7:8], v[36:37]
	ds_read_b128 v[1:4], v11 offset:944
	s_waitcnt vmcnt(56)
	v_fma_f64 v[34:35], v[12:13], v[40:41], -v[34:35]
	v_mul_f64 v[28:29], v[5:6], v[36:37]
	v_add_f64 v[16:17], v[16:17], v[26:27]
	v_fma_f64 v[26:27], v[14:15], v[40:41], v[175:176]
	v_add_f64 v[9:10], v[9:10], v[24:25]
	s_clause 0x4
	buffer_load_dword v25, off, s[0:3], 0 offset:540
	buffer_load_dword v36, off, s[0:3], 0 offset:552
	buffer_load_dword v40, off, s[0:3], 0 offset:544
	buffer_load_dword v24, off, s[0:3], 0 offset:536
	buffer_load_dword v170, off, s[0:3], 0 offset:516
	s_waitcnt vmcnt(57) lgkmcnt(0)
	v_mul_f64 v[175:176], v[1:2], v[42:43]
	v_mul_f64 v[41:42], v[3:4], v[42:43]
	s_waitcnt vmcnt(56)
	v_fma_f64 v[30:31], v[5:6], v[38:39], -v[30:31]
	ds_read_b128 v[12:15], v11 offset:960
	v_fma_f64 v[28:29], v[7:8], v[38:39], v[28:29]
	v_add_f64 v[16:17], v[16:17], v[34:35]
	v_add_f64 v[9:10], v[9:10], v[26:27]
	s_clause 0x2
	buffer_load_dword v37, off, s[0:3], 0 offset:556
	buffer_load_dword v27, off, s[0:3], 0 offset:532
	buffer_load_dword v26, off, s[0:3], 0 offset:528
	ds_read_b128 v[5:8], v11 offset:976
	s_waitcnt vmcnt(58) lgkmcnt(1)
	v_mul_f64 v[38:39], v[14:15], v[44:45]
	s_waitcnt vmcnt(56)
	v_fma_f64 v[42:43], v[1:2], v[48:49], -v[41:42]
	v_mul_f64 v[34:35], v[12:13], v[44:45]
	v_add_f64 v[16:17], v[16:17], v[30:31]
	v_fma_f64 v[30:31], v[3:4], v[48:49], v[175:176]
	v_add_f64 v[9:10], v[9:10], v[28:29]
	s_clause 0x4
	buffer_load_dword v29, off, s[0:3], 0 offset:572
	buffer_load_dword v44, off, s[0:3], 0 offset:584
	buffer_load_dword v48, off, s[0:3], 0 offset:576
	buffer_load_dword v28, off, s[0:3], 0 offset:568
	buffer_load_dword v41, off, s[0:3], 0 offset:548
	s_waitcnt vmcnt(57) lgkmcnt(0)
	v_mul_f64 v[175:176], v[5:6], v[50:51]
	v_mul_f64 v[49:50], v[7:8], v[50:51]
	s_waitcnt vmcnt(56)
	v_fma_f64 v[38:39], v[12:13], v[46:47], -v[38:39]
	ds_read_b128 v[1:4], v11 offset:992
	v_fma_f64 v[34:35], v[14:15], v[46:47], v[34:35]
	v_add_f64 v[16:17], v[16:17], v[42:43]
	v_add_f64 v[9:10], v[9:10], v[30:31]
	s_clause 0x2
	buffer_load_dword v45, off, s[0:3], 0 offset:588
	buffer_load_dword v31, off, s[0:3], 0 offset:564
	buffer_load_dword v30, off, s[0:3], 0 offset:560
	ds_read_b128 v[12:15], v11 offset:1008
	s_waitcnt vmcnt(58) lgkmcnt(1)
	v_mul_f64 v[46:47], v[3:4], v[52:53]
	;; [unrolled: 28-line block ×4, first 2 shown]
	s_waitcnt vmcnt(56)
	v_fma_f64 v[68:69], v[1:2], v[74:75], -v[67:68]
	v_mul_f64 v[58:59], v[12:13], v[70:71]
	v_add_f64 v[16:17], v[16:17], v[54:55]
	v_fma_f64 v[54:55], v[3:4], v[74:75], v[175:176]
	v_add_f64 v[9:10], v[9:10], v[50:51]
	s_clause 0x2
	buffer_load_dword v51, off, s[0:3], 0 offset:668
	buffer_load_dword v50, off, s[0:3], 0 offset:664
	;; [unrolled: 1-line block ×3, first 2 shown]
	s_waitcnt vmcnt(55) lgkmcnt(0)
	v_mul_f64 v[74:75], v[7:8], v[78:79]
	s_waitcnt vmcnt(54)
	v_fma_f64 v[64:65], v[12:13], v[72:73], -v[64:65]
	ds_read_b128 v[1:4], v11 offset:1088
	v_mul_f64 v[70:71], v[5:6], v[78:79]
	v_fma_f64 v[58:59], v[14:15], v[72:73], v[58:59]
	v_add_f64 v[16:17], v[16:17], v[68:69]
	v_add_f64 v[9:10], v[9:10], v[54:55]
	s_clause 0x1
	buffer_load_dword v55, off, s[0:3], 0 offset:660
	buffer_load_dword v54, off, s[0:3], 0 offset:656
	s_waitcnt vmcnt(55) lgkmcnt(0)
	v_mul_f64 v[72:73], v[3:4], v[80:81]
	s_waitcnt vmcnt(53)
	v_fma_f64 v[74:75], v[5:6], v[167:168], -v[74:75]
	ds_read_b128 v[12:15], v11 offset:1104
	v_mul_f64 v[68:69], v[1:2], v[80:81]
	v_add_f64 v[16:17], v[16:17], v[64:65]
	v_fma_f64 v[64:65], v[7:8], v[167:168], v[70:71]
	v_add_f64 v[9:10], v[9:10], v[58:59]
	ds_read_b128 v[5:8], v11 offset:1120
	s_waitcnt vmcnt(49) lgkmcnt(1)
	v_mul_f64 v[70:71], v[14:15], v[76:77]
	s_waitcnt vmcnt(48)
	v_fma_f64 v[72:73], v[1:2], v[82:83], -v[72:73]
	v_mul_f64 v[58:59], v[12:13], v[76:77]
	v_fma_f64 v[68:69], v[3:4], v[82:83], v[68:69]
	v_add_f64 v[16:17], v[16:17], v[74:75]
	v_add_f64 v[9:10], v[9:10], v[64:65]
	s_clause 0x3
	buffer_load_dword v64, off, s[0:3], 0 offset:176
	buffer_load_dword v65, off, s[0:3], 0 offset:180
	;; [unrolled: 1-line block ×4, first 2 shown]
	ds_read_b128 v[1:4], v11 offset:1136
	s_waitcnt vmcnt(51) lgkmcnt(1)
	v_mul_f64 v[78:79], v[7:8], v[171:172]
	v_mul_f64 v[76:77], v[5:6], v[171:172]
	s_waitcnt vmcnt(49)
	v_fma_f64 v[70:71], v[12:13], v[18:19], -v[70:71]
	v_fma_f64 v[18:19], v[14:15], v[18:19], v[58:59]
	ds_read_b128 v[12:15], v11 offset:1152
	v_add_f64 v[16:17], v[16:17], v[72:73]
	v_add_f64 v[9:10], v[9:10], v[68:69]
	s_waitcnt vmcnt(45) lgkmcnt(1)
	v_mul_f64 v[58:59], v[1:2], v[22:23]
	v_mul_f64 v[22:23], v[3:4], v[22:23]
	s_waitcnt vmcnt(44)
	v_fma_f64 v[68:69], v[5:6], v[173:174], -v[78:79]
	v_add_f64 v[16:17], v[16:17], v[70:71]
	v_fma_f64 v[70:71], v[7:8], v[173:174], v[76:77]
	v_add_f64 v[9:10], v[9:10], v[18:19]
	ds_read_b128 v[5:8], v11 offset:1168
	s_waitcnt vmcnt(43) lgkmcnt(1)
	v_mul_f64 v[18:19], v[12:13], v[32:33]
	v_mul_f64 v[32:33], v[14:15], v[32:33]
	s_waitcnt vmcnt(41)
	v_fma_f64 v[22:23], v[1:2], v[20:21], -v[22:23]
	v_fma_f64 v[20:21], v[3:4], v[20:21], v[58:59]
	ds_read_b128 v[1:4], v11 offset:1184
	v_add_f64 v[16:17], v[16:17], v[68:69]
	v_add_f64 v[9:10], v[9:10], v[70:71]
	s_waitcnt vmcnt(37) lgkmcnt(1)
	v_mul_f64 v[58:59], v[5:6], v[24:25]
	v_mul_f64 v[24:25], v[7:8], v[24:25]
	s_waitcnt vmcnt(36)
	v_fma_f64 v[32:33], v[12:13], v[169:170], -v[32:33]
	v_fma_f64 v[18:19], v[14:15], v[169:170], v[18:19]
	ds_read_b128 v[12:15], v11 offset:1200
	v_add_f64 v[16:17], v[16:17], v[22:23]
	v_add_f64 v[9:10], v[9:10], v[20:21]
	;; [unrolled: 9-line block ×5, first 2 shown]
	s_waitcnt vmcnt(21) lgkmcnt(1)
	v_mul_f64 v[22:23], v[3:4], v[34:35]
	s_waitcnt vmcnt(20)
	v_fma_f64 v[26:27], v[5:6], v[48:49], -v[26:27]
	v_mul_f64 v[20:21], v[1:2], v[34:35]
	v_fma_f64 v[24:25], v[7:8], v[48:49], v[24:25]
	ds_read_b128 v[5:8], v11 offset:1264
	v_add_f64 v[16:17], v[16:17], v[28:29]
	v_add_f64 v[9:10], v[9:10], v[18:19]
	s_waitcnt vmcnt(19) lgkmcnt(1)
	v_mul_f64 v[28:29], v[14:15], v[52:53]
	v_mul_f64 v[18:19], v[12:13], v[52:53]
	s_waitcnt vmcnt(17)
	v_fma_f64 v[22:23], v[1:2], v[38:39], -v[22:23]
	v_fma_f64 v[20:21], v[3:4], v[38:39], v[20:21]
	ds_read_b128 v[1:4], v11 offset:1280
	v_add_f64 v[16:17], v[16:17], v[26:27]
	v_add_f64 v[9:10], v[9:10], v[24:25]
	s_waitcnt vmcnt(13) lgkmcnt(1)
	v_mul_f64 v[26:27], v[7:8], v[42:43]
	s_waitcnt vmcnt(12)
	v_fma_f64 v[28:29], v[12:13], v[56:57], -v[28:29]
	v_mul_f64 v[24:25], v[5:6], v[42:43]
	v_fma_f64 v[13:14], v[14:15], v[56:57], v[18:19]
	v_add_f64 v[16:17], v[16:17], v[22:23]
	v_add_f64 v[18:19], v[9:10], v[20:21]
	ds_read_b128 v[9:12], v11 offset:1296
	s_waitcnt vmcnt(11) lgkmcnt(1)
	v_mul_f64 v[22:23], v[3:4], v[62:63]
	v_mul_f64 v[20:21], v[1:2], v[62:63]
	s_waitcnt vmcnt(9)
	v_fma_f64 v[5:6], v[5:6], v[46:47], -v[26:27]
	v_fma_f64 v[7:8], v[7:8], v[46:47], v[24:25]
	v_add_f64 v[15:16], v[16:17], v[28:29]
	v_add_f64 v[13:14], v[18:19], v[13:14]
	s_waitcnt vmcnt(7) lgkmcnt(0)
	v_mul_f64 v[24:25], v[11:12], v[50:51]
	s_waitcnt vmcnt(6)
	v_fma_f64 v[1:2], v[1:2], v[66:67], -v[22:23]
	v_mul_f64 v[17:18], v[9:10], v[50:51]
	v_fma_f64 v[3:4], v[3:4], v[66:67], v[20:21]
	v_add_f64 v[5:6], v[15:16], v[5:6]
	v_add_f64 v[7:8], v[13:14], v[7:8]
	s_waitcnt vmcnt(4)
	v_fma_f64 v[9:10], v[9:10], v[54:55], -v[24:25]
	v_add_f64 v[1:2], v[5:6], v[1:2]
	v_fma_f64 v[5:6], v[11:12], v[54:55], v[17:18]
	v_add_f64 v[3:4], v[7:8], v[3:4]
	v_add_f64 v[1:2], v[1:2], v[9:10]
	;; [unrolled: 1-line block ×3, first 2 shown]
	s_waitcnt vmcnt(2)
	v_add_f64 v[1:2], v[64:65], -v[1:2]
	s_waitcnt vmcnt(0)
	v_add_f64 v[3:4], v[74:75], -v[3:4]
	buffer_store_dword v2, off, s[0:3], 0 offset:180
	buffer_store_dword v1, off, s[0:3], 0 offset:176
	;; [unrolled: 1-line block ×4, first 2 shown]
	v_cmpx_lt_u32_e32 9, v0
	s_cbranch_execz .LBB40_241
; %bb.240:
	v_mov_b32_e32 v4, s44
	v_mov_b32_e32 v5, 0
	s_clause 0x3
	buffer_load_dword v1, v4, s[0:3], 0 offen
	buffer_load_dword v2, v4, s[0:3], 0 offen offset:4
	buffer_load_dword v3, v4, s[0:3], 0 offen offset:8
	;; [unrolled: 1-line block ×3, first 2 shown]
	buffer_store_dword v5, off, s[0:3], 0 offset:160
	buffer_store_dword v5, off, s[0:3], 0 offset:164
	;; [unrolled: 1-line block ×4, first 2 shown]
	s_waitcnt vmcnt(0)
	ds_write_b128 v61, v[1:4]
.LBB40_241:
	s_or_b32 exec_lo, exec_lo, s4
	s_waitcnt lgkmcnt(0)
	s_waitcnt_vscnt null, 0x0
	s_barrier
	buffer_gl0_inv
	s_clause 0x37
	buffer_load_dword v9, off, s[0:3], 0 offset:184
	buffer_load_dword v10, off, s[0:3], 0 offset:188
	;; [unrolled: 1-line block ×56, first 2 shown]
	v_mov_b32_e32 v29, 0
	s_mov_b32 s4, exec_lo
	ds_read_b128 v[17:20], v29 offset:816
	s_clause 0x2
	buffer_load_dword v71, off, s[0:3], 0 offset:412
	buffer_load_dword v75, off, s[0:3], 0 offset:388
	;; [unrolled: 1-line block ×3, first 2 shown]
	ds_read_b128 v[21:24], v29 offset:832
	s_clause 0x4
	buffer_load_dword v79, off, s[0:3], 0 offset:428
	buffer_load_dword v80, off, s[0:3], 0 offset:440
	;; [unrolled: 1-line block ×5, first 2 shown]
	ds_read_b128 v[25:28], v29 offset:848
	s_clause 0x2
	buffer_load_dword v81, off, s[0:3], 0 offset:444
	buffer_load_dword v168, off, s[0:3], 0 offset:420
	;; [unrolled: 1-line block ×3, first 2 shown]
	s_waitcnt vmcnt(62) lgkmcnt(2)
	v_mul_f64 v[76:77], v[19:20], v[9:10]
	v_mul_f64 v[9:10], v[17:18], v[9:10]
	s_waitcnt lgkmcnt(1)
	v_mul_f64 v[83:84], v[23:24], v[5:6]
	s_waitcnt vmcnt(59) lgkmcnt(0)
	v_mul_f64 v[169:170], v[27:28], v[3:4]
	v_fma_f64 v[17:18], v[17:18], v[7:8], -v[76:77]
	v_mul_f64 v[76:77], v[21:22], v[5:6]
	v_fma_f64 v[9:10], v[19:20], v[7:8], v[9:10]
	s_waitcnt vmcnt(57)
	v_fma_f64 v[21:22], v[21:22], v[1:2], -v[83:84]
	ds_read_b128 v[5:8], v29 offset:864
	v_mul_f64 v[19:20], v[25:26], v[3:4]
	s_waitcnt vmcnt(51)
	v_fma_f64 v[25:26], v[25:26], v[32:33], -v[169:170]
	v_add_f64 v[17:18], v[17:18], 0
	v_fma_f64 v[23:24], v[23:24], v[1:2], v[76:77]
	v_add_f64 v[9:10], v[9:10], 0
	s_clause 0x4
	buffer_load_dword v77, off, s[0:3], 0 offset:460
	buffer_load_dword v171, off, s[0:3], 0 offset:472
	buffer_load_dword v173, off, s[0:3], 0 offset:464
	buffer_load_dword v76, off, s[0:3], 0 offset:456
	buffer_load_dword v83, off, s[0:3], 0 offset:436
	s_waitcnt lgkmcnt(0)
	v_mul_f64 v[174:175], v[5:6], v[13:14]
	v_mul_f64 v[13:14], v[7:8], v[13:14]
	ds_read_b128 v[1:4], v29 offset:880
	v_fma_f64 v[27:28], v[27:28], v[32:33], v[19:20]
	v_add_f64 v[21:22], v[17:18], v[21:22]
	v_add_f64 v[9:10], v[9:10], v[23:24]
	s_clause 0x2
	buffer_load_dword v172, off, s[0:3], 0 offset:476
	buffer_load_dword v24, off, s[0:3], 0 offset:452
	;; [unrolled: 1-line block ×3, first 2 shown]
	s_waitcnt vmcnt(58) lgkmcnt(0)
	v_mul_f64 v[32:33], v[1:2], v[30:31]
	v_mul_f64 v[30:31], v[3:4], v[30:31]
	s_waitcnt vmcnt(56)
	v_fma_f64 v[13:14], v[5:6], v[34:35], -v[13:14]
	ds_read_b128 v[17:20], v29 offset:896
	v_add_f64 v[21:22], v[21:22], v[25:26]
	v_fma_f64 v[25:26], v[7:8], v[34:35], v[174:175]
	v_add_f64 v[9:10], v[9:10], v[27:28]
	s_clause 0x4
	buffer_load_dword v28, off, s[0:3], 0 offset:492
	buffer_load_dword v34, off, s[0:3], 0 offset:504
	;; [unrolled: 1-line block ×5, first 2 shown]
	ds_read_b128 v[5:8], v29 offset:912
	s_waitcnt vmcnt(57) lgkmcnt(1)
	v_mul_f64 v[175:176], v[17:18], v[36:37]
	v_mul_f64 v[36:37], v[19:20], v[36:37]
	s_waitcnt vmcnt(56)
	v_fma_f64 v[30:31], v[1:2], v[11:12], -v[30:31]
	v_fma_f64 v[11:12], v[3:4], v[11:12], v[32:33]
	v_add_f64 v[13:14], v[21:22], v[13:14]
	s_clause 0x2
	buffer_load_dword v35, off, s[0:3], 0 offset:508
	buffer_load_dword v22, off, s[0:3], 0 offset:484
	buffer_load_dword v21, off, s[0:3], 0 offset:480
	v_add_f64 v[9:10], v[9:10], v[25:26]
	s_waitcnt vmcnt(58) lgkmcnt(0)
	v_mul_f64 v[32:33], v[7:8], v[38:39]
	ds_read_b128 v[1:4], v29 offset:928
	v_mul_f64 v[25:26], v[5:6], v[38:39]
	s_waitcnt vmcnt(56)
	v_fma_f64 v[17:18], v[17:18], v[40:41], -v[36:37]
	v_fma_f64 v[19:20], v[19:20], v[40:41], v[175:176]
	s_clause 0x4
	buffer_load_dword v37, off, s[0:3], 0 offset:524
	buffer_load_dword v38, off, s[0:3], 0 offset:536
	;; [unrolled: 1-line block ×5, first 2 shown]
	v_add_f64 v[13:14], v[13:14], v[30:31]
	v_add_f64 v[30:31], v[9:10], v[11:12]
	s_waitcnt vmcnt(57) lgkmcnt(0)
	v_mul_f64 v[175:176], v[1:2], v[42:43]
	v_mul_f64 v[41:42], v[3:4], v[42:43]
	s_waitcnt vmcnt(56)
	v_fma_f64 v[32:33], v[5:6], v[15:16], -v[32:33]
	ds_read_b128 v[9:12], v29 offset:944
	v_fma_f64 v[15:16], v[7:8], v[15:16], v[25:26]
	v_add_f64 v[13:14], v[13:14], v[17:18]
	v_add_f64 v[17:18], v[30:31], v[19:20]
	s_clause 0x2
	buffer_load_dword v39, off, s[0:3], 0 offset:540
	buffer_load_dword v20, off, s[0:3], 0 offset:516
	;; [unrolled: 1-line block ×3, first 2 shown]
	s_waitcnt vmcnt(58) lgkmcnt(0)
	v_mul_f64 v[30:31], v[11:12], v[44:45]
	s_waitcnt vmcnt(56)
	v_fma_f64 v[42:43], v[1:2], v[48:49], -v[41:42]
	ds_read_b128 v[5:8], v29 offset:960
	v_mul_f64 v[25:26], v[9:10], v[44:45]
	v_add_f64 v[13:14], v[13:14], v[32:33]
	v_fma_f64 v[32:33], v[3:4], v[48:49], v[175:176]
	v_add_f64 v[15:16], v[17:18], v[15:16]
	s_clause 0x4
	buffer_load_dword v18, off, s[0:3], 0 offset:556
	buffer_load_dword v44, off, s[0:3], 0 offset:568
	buffer_load_dword v48, off, s[0:3], 0 offset:560
	buffer_load_dword v17, off, s[0:3], 0 offset:552
	buffer_load_dword v41, off, s[0:3], 0 offset:532
	s_waitcnt vmcnt(57) lgkmcnt(0)
	v_mul_f64 v[175:176], v[5:6], v[50:51]
	v_mul_f64 v[49:50], v[7:8], v[50:51]
	s_waitcnt vmcnt(56)
	v_fma_f64 v[30:31], v[9:10], v[46:47], -v[30:31]
	ds_read_b128 v[1:4], v29 offset:976
	v_fma_f64 v[25:26], v[11:12], v[46:47], v[25:26]
	v_add_f64 v[13:14], v[13:14], v[42:43]
	v_add_f64 v[15:16], v[15:16], v[32:33]
	s_clause 0x2
	buffer_load_dword v45, off, s[0:3], 0 offset:572
	buffer_load_dword v33, off, s[0:3], 0 offset:548
	buffer_load_dword v32, off, s[0:3], 0 offset:544
	ds_read_b128 v[9:12], v29 offset:992
	s_waitcnt vmcnt(58) lgkmcnt(1)
	v_mul_f64 v[46:47], v[3:4], v[52:53]
	s_waitcnt vmcnt(56)
	v_fma_f64 v[50:51], v[5:6], v[56:57], -v[49:50]
	v_mul_f64 v[42:43], v[1:2], v[52:53]
	v_add_f64 v[13:14], v[13:14], v[30:31]
	v_fma_f64 v[30:31], v[7:8], v[56:57], v[175:176]
	v_add_f64 v[15:16], v[15:16], v[25:26]
	s_clause 0x4
	buffer_load_dword v26, off, s[0:3], 0 offset:588
	buffer_load_dword v52, off, s[0:3], 0 offset:600
	buffer_load_dword v56, off, s[0:3], 0 offset:592
	buffer_load_dword v25, off, s[0:3], 0 offset:584
	buffer_load_dword v49, off, s[0:3], 0 offset:564
	s_waitcnt vmcnt(57) lgkmcnt(0)
	v_mul_f64 v[175:176], v[9:10], v[58:59]
	v_mul_f64 v[57:58], v[11:12], v[58:59]
	s_waitcnt vmcnt(56)
	v_fma_f64 v[46:47], v[1:2], v[54:55], -v[46:47]
	ds_read_b128 v[5:8], v29 offset:1008
	v_fma_f64 v[42:43], v[3:4], v[54:55], v[42:43]
	v_add_f64 v[13:14], v[13:14], v[50:51]
	v_add_f64 v[15:16], v[15:16], v[30:31]
	s_clause 0x2
	buffer_load_dword v53, off, s[0:3], 0 offset:604
	buffer_load_dword v31, off, s[0:3], 0 offset:580
	buffer_load_dword v30, off, s[0:3], 0 offset:576
	ds_read_b128 v[1:4], v29 offset:1024
	s_waitcnt vmcnt(58) lgkmcnt(1)
	v_mul_f64 v[54:55], v[7:8], v[62:63]
	s_waitcnt vmcnt(56)
	v_fma_f64 v[58:59], v[9:10], v[66:67], -v[57:58]
	;; [unrolled: 28-line block ×4, first 2 shown]
	v_mul_f64 v[68:69], v[1:2], v[80:81]
	buffer_load_dword v75, off, s[0:3], 0 offset:660
	v_add_f64 v[13:14], v[13:14], v[64:65]
	v_fma_f64 v[64:65], v[7:8], v[167:168], v[175:176]
	v_add_f64 v[15:16], v[15:16], v[58:59]
	ds_read_b128 v[5:8], v29 offset:1104
	s_waitcnt vmcnt(53) lgkmcnt(1)
	v_mul_f64 v[58:59], v[9:10], v[76:77]
	v_mul_f64 v[76:77], v[11:12], v[76:77]
	s_waitcnt vmcnt(52)
	v_fma_f64 v[72:73], v[1:2], v[82:83], -v[72:73]
	v_fma_f64 v[68:69], v[3:4], v[82:83], v[68:69]
	ds_read_b128 v[1:4], v29 offset:1120
	v_add_f64 v[13:14], v[13:14], v[78:79]
	v_add_f64 v[15:16], v[15:16], v[64:65]
	s_waitcnt vmcnt(51) lgkmcnt(1)
	v_mul_f64 v[78:79], v[7:8], v[171:172]
	v_mul_f64 v[64:65], v[5:6], v[171:172]
	s_waitcnt vmcnt(49)
	v_fma_f64 v[76:77], v[9:10], v[23:24], -v[76:77]
	v_fma_f64 v[23:24], v[11:12], v[23:24], v[58:59]
	v_add_f64 v[13:14], v[13:14], v[72:73]
	v_add_f64 v[15:16], v[15:16], v[68:69]
	s_clause 0x3
	buffer_load_dword v58, off, s[0:3], 0 offset:160
	buffer_load_dword v59, off, s[0:3], 0 offset:164
	;; [unrolled: 1-line block ×4, first 2 shown]
	ds_read_b128 v[9:12], v29 offset:1136
	s_waitcnt vmcnt(49) lgkmcnt(1)
	v_mul_f64 v[72:73], v[1:2], v[27:28]
	v_mul_f64 v[27:28], v[3:4], v[27:28]
	s_waitcnt vmcnt(48)
	v_fma_f64 v[78:79], v[5:6], v[173:174], -v[78:79]
	v_fma_f64 v[64:65], v[7:8], v[173:174], v[64:65]
	ds_read_b128 v[5:8], v29 offset:1152
	v_add_f64 v[13:14], v[13:14], v[76:77]
	v_add_f64 v[15:16], v[15:16], v[23:24]
	s_waitcnt vmcnt(47) lgkmcnt(1)
	v_mul_f64 v[23:24], v[9:10], v[34:35]
	v_mul_f64 v[34:35], v[11:12], v[34:35]
	s_waitcnt vmcnt(45)
	v_fma_f64 v[27:28], v[1:2], v[21:22], -v[27:28]
	v_fma_f64 v[21:22], v[3:4], v[21:22], v[72:73]
	ds_read_b128 v[1:4], v29 offset:1168
	v_add_f64 v[13:14], v[13:14], v[78:79]
	v_add_f64 v[15:16], v[15:16], v[64:65]
	s_waitcnt vmcnt(41) lgkmcnt(1)
	v_mul_f64 v[64:65], v[5:6], v[36:37]
	v_mul_f64 v[36:37], v[7:8], v[36:37]
	s_waitcnt vmcnt(40)
	v_fma_f64 v[23:24], v[11:12], v[169:170], v[23:24]
	v_fma_f64 v[34:35], v[9:10], v[169:170], -v[34:35]
	ds_read_b128 v[9:12], v29 offset:1184
	v_add_f64 v[13:14], v[13:14], v[27:28]
	v_add_f64 v[15:16], v[15:16], v[21:22]
	s_waitcnt vmcnt(39) lgkmcnt(1)
	v_mul_f64 v[27:28], v[3:4], v[38:39]
	v_mul_f64 v[21:22], v[1:2], v[38:39]
	s_waitcnt vmcnt(37)
	v_fma_f64 v[36:37], v[5:6], v[19:20], -v[36:37]
	v_fma_f64 v[19:20], v[7:8], v[19:20], v[64:65]
	ds_read_b128 v[5:8], v29 offset:1200
	v_add_f64 v[13:14], v[13:14], v[34:35]
	v_add_f64 v[15:16], v[15:16], v[23:24]
	s_waitcnt vmcnt(33) lgkmcnt(1)
	v_mul_f64 v[23:24], v[9:10], v[17:18]
	v_mul_f64 v[17:18], v[11:12], v[17:18]
	s_waitcnt vmcnt(32)
	v_fma_f64 v[27:28], v[1:2], v[40:41], -v[27:28]
	v_fma_f64 v[21:22], v[3:4], v[40:41], v[21:22]
	;; [unrolled: 9-line block ×3, first 2 shown]
	ds_read_b128 v[9:12], v29 offset:1232
	v_add_f64 v[13:14], v[13:14], v[27:28]
	v_add_f64 v[15:16], v[15:16], v[21:22]
	s_waitcnt vmcnt(25) lgkmcnt(1)
	v_mul_f64 v[21:22], v[1:2], v[25:26]
	v_mul_f64 v[25:26], v[3:4], v[25:26]
	s_waitcnt vmcnt(24)
	v_fma_f64 v[27:28], v[5:6], v[48:49], -v[34:35]
	v_add_f64 v[13:14], v[13:14], v[17:18]
	v_fma_f64 v[17:18], v[7:8], v[48:49], v[19:20]
	v_add_f64 v[15:16], v[15:16], v[23:24]
	ds_read_b128 v[5:8], v29 offset:1248
	s_waitcnt vmcnt(23) lgkmcnt(1)
	v_mul_f64 v[23:24], v[11:12], v[52:53]
	v_mul_f64 v[19:20], v[9:10], v[52:53]
	s_waitcnt vmcnt(21)
	v_fma_f64 v[25:26], v[1:2], v[30:31], -v[25:26]
	v_fma_f64 v[21:22], v[3:4], v[30:31], v[21:22]
	ds_read_b128 v[1:4], v29 offset:1264
	v_add_f64 v[13:14], v[13:14], v[27:28]
	v_add_f64 v[15:16], v[15:16], v[17:18]
	s_waitcnt vmcnt(17) lgkmcnt(1)
	v_mul_f64 v[27:28], v[7:8], v[42:43]
	s_waitcnt vmcnt(16)
	v_fma_f64 v[23:24], v[9:10], v[56:57], -v[23:24]
	v_mul_f64 v[17:18], v[5:6], v[42:43]
	v_fma_f64 v[19:20], v[11:12], v[56:57], v[19:20]
	ds_read_b128 v[9:12], v29 offset:1280
	v_add_f64 v[13:14], v[13:14], v[25:26]
	v_add_f64 v[15:16], v[15:16], v[21:22]
	s_waitcnt vmcnt(15) lgkmcnt(1)
	v_mul_f64 v[25:26], v[3:4], v[62:63]
	v_mul_f64 v[21:22], v[1:2], v[62:63]
	s_waitcnt vmcnt(13)
	v_fma_f64 v[27:28], v[5:6], v[46:47], -v[27:28]
	v_fma_f64 v[17:18], v[7:8], v[46:47], v[17:18]
	ds_read_b128 v[5:8], v29 offset:1296
	v_add_f64 v[13:14], v[13:14], v[23:24]
	v_add_f64 v[15:16], v[15:16], v[19:20]
	s_waitcnt vmcnt(9) lgkmcnt(1)
	v_mul_f64 v[23:24], v[11:12], v[50:51]
	s_waitcnt vmcnt(8)
	v_fma_f64 v[1:2], v[1:2], v[66:67], -v[25:26]
	v_mul_f64 v[19:20], v[9:10], v[50:51]
	v_fma_f64 v[3:4], v[3:4], v[66:67], v[21:22]
	v_add_f64 v[13:14], v[13:14], v[27:28]
	v_add_f64 v[15:16], v[15:16], v[17:18]
	s_waitcnt vmcnt(7) lgkmcnt(0)
	v_mul_f64 v[21:22], v[7:8], v[70:71]
	v_mul_f64 v[17:18], v[5:6], v[70:71]
	s_waitcnt vmcnt(5)
	v_fma_f64 v[9:10], v[9:10], v[54:55], -v[23:24]
	v_fma_f64 v[11:12], v[11:12], v[54:55], v[19:20]
	v_add_f64 v[1:2], v[13:14], v[1:2]
	v_add_f64 v[3:4], v[15:16], v[3:4]
	s_waitcnt vmcnt(4)
	v_fma_f64 v[5:6], v[5:6], v[74:75], -v[21:22]
	v_fma_f64 v[7:8], v[7:8], v[74:75], v[17:18]
	v_add_f64 v[1:2], v[1:2], v[9:10]
	v_add_f64 v[3:4], v[3:4], v[11:12]
	;; [unrolled: 1-line block ×4, first 2 shown]
	s_waitcnt vmcnt(2)
	v_add_f64 v[1:2], v[58:59], -v[1:2]
	s_waitcnt vmcnt(0)
	v_add_f64 v[3:4], v[68:69], -v[3:4]
	buffer_store_dword v2, off, s[0:3], 0 offset:164
	buffer_store_dword v1, off, s[0:3], 0 offset:160
	;; [unrolled: 1-line block ×4, first 2 shown]
	v_cmpx_lt_u32_e32 8, v0
	s_cbranch_execz .LBB40_243
; %bb.242:
	v_mov_b32_e32 v4, s45
	s_clause 0x3
	buffer_load_dword v1, v4, s[0:3], 0 offen
	buffer_load_dword v2, v4, s[0:3], 0 offen offset:4
	buffer_load_dword v3, v4, s[0:3], 0 offen offset:8
	;; [unrolled: 1-line block ×3, first 2 shown]
	buffer_store_dword v29, off, s[0:3], 0 offset:144
	buffer_store_dword v29, off, s[0:3], 0 offset:148
	;; [unrolled: 1-line block ×4, first 2 shown]
	s_waitcnt vmcnt(0)
	ds_write_b128 v61, v[1:4]
.LBB40_243:
	s_or_b32 exec_lo, exec_lo, s4
	s_waitcnt lgkmcnt(0)
	s_waitcnt_vscnt null, 0x0
	s_barrier
	buffer_gl0_inv
	s_clause 0x37
	buffer_load_dword v9, off, s[0:3], 0 offset:168
	buffer_load_dword v10, off, s[0:3], 0 offset:172
	;; [unrolled: 1-line block ×56, first 2 shown]
	ds_read_b128 v[30:33], v29 offset:800
	s_clause 0x2
	buffer_load_dword v71, off, s[0:3], 0 offset:396
	buffer_load_dword v75, off, s[0:3], 0 offset:372
	;; [unrolled: 1-line block ×3, first 2 shown]
	ds_read_b128 v[34:37], v29 offset:816
	s_clause 0x4
	buffer_load_dword v79, off, s[0:3], 0 offset:412
	buffer_load_dword v80, off, s[0:3], 0 offset:424
	;; [unrolled: 1-line block ×5, first 2 shown]
	ds_read_b128 v[38:41], v29 offset:832
	s_clause 0x2
	buffer_load_dword v81, off, s[0:3], 0 offset:428
	buffer_load_dword v168, off, s[0:3], 0 offset:404
	;; [unrolled: 1-line block ×3, first 2 shown]
	s_mov_b32 s4, exec_lo
	s_waitcnt vmcnt(62) lgkmcnt(2)
	v_mul_f64 v[76:77], v[32:33], v[9:10]
	v_mul_f64 v[9:10], v[30:31], v[9:10]
	s_waitcnt lgkmcnt(1)
	v_mul_f64 v[83:84], v[36:37], v[5:6]
	s_waitcnt vmcnt(59) lgkmcnt(0)
	v_mul_f64 v[169:170], v[40:41], v[3:4]
	v_fma_f64 v[30:31], v[30:31], v[7:8], -v[76:77]
	v_mul_f64 v[76:77], v[34:35], v[5:6]
	v_fma_f64 v[9:10], v[32:33], v[7:8], v[9:10]
	s_waitcnt vmcnt(57)
	v_fma_f64 v[34:35], v[34:35], v[1:2], -v[83:84]
	ds_read_b128 v[5:8], v29 offset:848
	v_mul_f64 v[32:33], v[38:39], v[3:4]
	s_waitcnt vmcnt(51)
	v_fma_f64 v[38:39], v[38:39], v[25:26], -v[169:170]
	v_add_f64 v[30:31], v[30:31], 0
	v_fma_f64 v[36:37], v[36:37], v[1:2], v[76:77]
	v_add_f64 v[9:10], v[9:10], 0
	s_clause 0x4
	buffer_load_dword v77, off, s[0:3], 0 offset:444
	buffer_load_dword v171, off, s[0:3], 0 offset:456
	buffer_load_dword v173, off, s[0:3], 0 offset:448
	buffer_load_dword v76, off, s[0:3], 0 offset:440
	buffer_load_dword v83, off, s[0:3], 0 offset:420
	s_waitcnt lgkmcnt(0)
	v_mul_f64 v[174:175], v[5:6], v[13:14]
	v_mul_f64 v[13:14], v[7:8], v[13:14]
	ds_read_b128 v[1:4], v29 offset:864
	v_fma_f64 v[25:26], v[40:41], v[25:26], v[32:33]
	v_add_f64 v[34:35], v[30:31], v[34:35]
	v_add_f64 v[9:10], v[9:10], v[36:37]
	s_clause 0x2
	buffer_load_dword v172, off, s[0:3], 0 offset:460
	buffer_load_dword v37, off, s[0:3], 0 offset:436
	;; [unrolled: 1-line block ×3, first 2 shown]
	s_waitcnt vmcnt(58) lgkmcnt(0)
	v_mul_f64 v[40:41], v[1:2], v[17:18]
	v_mul_f64 v[17:18], v[3:4], v[17:18]
	s_waitcnt vmcnt(56)
	v_fma_f64 v[13:14], v[5:6], v[19:20], -v[13:14]
	ds_read_b128 v[30:33], v29 offset:880
	v_fma_f64 v[19:20], v[7:8], v[19:20], v[174:175]
	v_add_f64 v[34:35], v[34:35], v[38:39]
	v_add_f64 v[9:10], v[9:10], v[25:26]
	s_clause 0x4
	buffer_load_dword v26, off, s[0:3], 0 offset:476
	buffer_load_dword v38, off, s[0:3], 0 offset:488
	;; [unrolled: 1-line block ×5, first 2 shown]
	ds_read_b128 v[5:8], v29 offset:896
	s_waitcnt vmcnt(57) lgkmcnt(1)
	v_mul_f64 v[175:176], v[30:31], v[21:22]
	v_mul_f64 v[21:22], v[32:33], v[21:22]
	s_waitcnt vmcnt(56)
	v_fma_f64 v[17:18], v[1:2], v[11:12], -v[17:18]
	v_fma_f64 v[11:12], v[3:4], v[11:12], v[40:41]
	v_add_f64 v[13:14], v[34:35], v[13:14]
	v_add_f64 v[9:10], v[9:10], v[19:20]
	s_clause 0x2
	buffer_load_dword v39, off, s[0:3], 0 offset:492
	buffer_load_dword v20, off, s[0:3], 0 offset:468
	;; [unrolled: 1-line block ×3, first 2 shown]
	s_waitcnt vmcnt(58) lgkmcnt(0)
	v_mul_f64 v[34:35], v[5:6], v[27:28]
	v_mul_f64 v[27:28], v[7:8], v[27:28]
	s_waitcnt vmcnt(56)
	v_fma_f64 v[21:22], v[30:31], v[42:43], -v[21:22]
	ds_read_b128 v[1:4], v29 offset:912
	v_add_f64 v[13:14], v[13:14], v[17:18]
	v_fma_f64 v[17:18], v[32:33], v[42:43], v[175:176]
	v_add_f64 v[30:31], v[9:10], v[11:12]
	s_clause 0x4
	buffer_load_dword v33, off, s[0:3], 0 offset:508
	buffer_load_dword v40, off, s[0:3], 0 offset:520
	;; [unrolled: 1-line block ×5, first 2 shown]
	ds_read_b128 v[9:12], v29 offset:928
	s_waitcnt vmcnt(57) lgkmcnt(1)
	v_mul_f64 v[175:176], v[1:2], v[44:45]
	v_mul_f64 v[43:44], v[3:4], v[44:45]
	s_waitcnt vmcnt(56)
	v_fma_f64 v[27:28], v[5:6], v[15:16], -v[27:28]
	v_fma_f64 v[15:16], v[7:8], v[15:16], v[34:35]
	v_add_f64 v[13:14], v[13:14], v[21:22]
	s_clause 0x2
	buffer_load_dword v41, off, s[0:3], 0 offset:524
	buffer_load_dword v22, off, s[0:3], 0 offset:500
	;; [unrolled: 1-line block ×3, first 2 shown]
	v_add_f64 v[17:18], v[30:31], v[17:18]
	s_waitcnt vmcnt(58) lgkmcnt(0)
	v_mul_f64 v[34:35], v[11:12], v[46:47]
	ds_read_b128 v[5:8], v29 offset:944
	v_mul_f64 v[30:31], v[9:10], v[46:47]
	s_waitcnt vmcnt(56)
	v_fma_f64 v[44:45], v[1:2], v[48:49], -v[43:44]
	v_add_f64 v[13:14], v[13:14], v[27:28]
	v_fma_f64 v[27:28], v[3:4], v[48:49], v[175:176]
	v_add_f64 v[15:16], v[17:18], v[15:16]
	s_clause 0x4
	buffer_load_dword v18, off, s[0:3], 0 offset:540
	buffer_load_dword v46, off, s[0:3], 0 offset:552
	buffer_load_dword v48, off, s[0:3], 0 offset:544
	buffer_load_dword v17, off, s[0:3], 0 offset:536
	buffer_load_dword v43, off, s[0:3], 0 offset:516
	s_waitcnt vmcnt(57) lgkmcnt(0)
	v_mul_f64 v[175:176], v[5:6], v[50:51]
	v_mul_f64 v[49:50], v[7:8], v[50:51]
	s_waitcnt vmcnt(56)
	v_fma_f64 v[34:35], v[9:10], v[23:24], -v[34:35]
	ds_read_b128 v[1:4], v29 offset:960
	v_fma_f64 v[23:24], v[11:12], v[23:24], v[30:31]
	v_add_f64 v[13:14], v[13:14], v[44:45]
	v_add_f64 v[15:16], v[15:16], v[27:28]
	s_clause 0x2
	buffer_load_dword v47, off, s[0:3], 0 offset:556
	buffer_load_dword v28, off, s[0:3], 0 offset:532
	buffer_load_dword v27, off, s[0:3], 0 offset:528
	ds_read_b128 v[9:12], v29 offset:976
	s_waitcnt vmcnt(58) lgkmcnt(1)
	v_mul_f64 v[44:45], v[3:4], v[52:53]
	s_waitcnt vmcnt(56)
	v_fma_f64 v[50:51], v[5:6], v[56:57], -v[49:50]
	v_mul_f64 v[30:31], v[1:2], v[52:53]
	v_add_f64 v[13:14], v[13:14], v[34:35]
	v_fma_f64 v[34:35], v[7:8], v[56:57], v[175:176]
	v_add_f64 v[15:16], v[15:16], v[23:24]
	s_clause 0x4
	buffer_load_dword v24, off, s[0:3], 0 offset:572
	buffer_load_dword v52, off, s[0:3], 0 offset:584
	buffer_load_dword v56, off, s[0:3], 0 offset:576
	buffer_load_dword v23, off, s[0:3], 0 offset:568
	buffer_load_dword v49, off, s[0:3], 0 offset:548
	s_waitcnt vmcnt(57) lgkmcnt(0)
	v_mul_f64 v[175:176], v[9:10], v[58:59]
	v_mul_f64 v[57:58], v[11:12], v[58:59]
	s_waitcnt vmcnt(56)
	v_fma_f64 v[44:45], v[1:2], v[54:55], -v[44:45]
	ds_read_b128 v[5:8], v29 offset:992
	v_fma_f64 v[30:31], v[3:4], v[54:55], v[30:31]
	v_add_f64 v[13:14], v[13:14], v[50:51]
	v_add_f64 v[15:16], v[15:16], v[34:35]
	s_clause 0x2
	buffer_load_dword v53, off, s[0:3], 0 offset:588
	buffer_load_dword v35, off, s[0:3], 0 offset:564
	buffer_load_dword v34, off, s[0:3], 0 offset:560
	ds_read_b128 v[1:4], v29 offset:1008
	s_waitcnt vmcnt(58) lgkmcnt(1)
	v_mul_f64 v[54:55], v[7:8], v[62:63]
	s_waitcnt vmcnt(56)
	v_fma_f64 v[58:59], v[9:10], v[66:67], -v[57:58]
	v_mul_f64 v[50:51], v[5:6], v[62:63]
	v_add_f64 v[13:14], v[13:14], v[44:45]
	v_fma_f64 v[44:45], v[11:12], v[66:67], v[175:176]
	v_add_f64 v[15:16], v[15:16], v[30:31]
	s_clause 0x4
	buffer_load_dword v31, off, s[0:3], 0 offset:604
	buffer_load_dword v62, off, s[0:3], 0 offset:616
	buffer_load_dword v66, off, s[0:3], 0 offset:608
	buffer_load_dword v30, off, s[0:3], 0 offset:600
	buffer_load_dword v57, off, s[0:3], 0 offset:580
	s_waitcnt vmcnt(57) lgkmcnt(0)
	v_mul_f64 v[175:176], v[1:2], v[68:69]
	v_mul_f64 v[67:68], v[3:4], v[68:69]
	s_waitcnt vmcnt(56)
	v_fma_f64 v[54:55], v[5:6], v[64:65], -v[54:55]
	ds_read_b128 v[9:12], v29 offset:1024
	v_fma_f64 v[50:51], v[7:8], v[64:65], v[50:51]
	v_add_f64 v[13:14], v[13:14], v[58:59]
	v_add_f64 v[15:16], v[15:16], v[44:45]
	s_clause 0x2
	buffer_load_dword v63, off, s[0:3], 0 offset:620
	buffer_load_dword v45, off, s[0:3], 0 offset:596
	buffer_load_dword v44, off, s[0:3], 0 offset:592
	ds_read_b128 v[5:8], v29 offset:1040
	s_waitcnt vmcnt(58) lgkmcnt(1)
	v_mul_f64 v[64:65], v[11:12], v[70:71]
	s_waitcnt vmcnt(56)
	v_fma_f64 v[68:69], v[1:2], v[74:75], -v[67:68]
	v_mul_f64 v[58:59], v[9:10], v[70:71]
	v_add_f64 v[13:14], v[13:14], v[54:55]
	v_fma_f64 v[54:55], v[3:4], v[74:75], v[175:176]
	v_add_f64 v[15:16], v[15:16], v[50:51]
	s_clause 0x4
	buffer_load_dword v51, off, s[0:3], 0 offset:636
	buffer_load_dword v70, off, s[0:3], 0 offset:648
	buffer_load_dword v74, off, s[0:3], 0 offset:640
	buffer_load_dword v50, off, s[0:3], 0 offset:632
	buffer_load_dword v67, off, s[0:3], 0 offset:612
	s_waitcnt vmcnt(57) lgkmcnt(0)
	v_mul_f64 v[175:176], v[5:6], v[78:79]
	v_mul_f64 v[78:79], v[7:8], v[78:79]
	s_waitcnt vmcnt(56)
	v_fma_f64 v[64:65], v[9:10], v[72:73], -v[64:65]
	ds_read_b128 v[1:4], v29 offset:1056
	v_fma_f64 v[58:59], v[11:12], v[72:73], v[58:59]
	v_add_f64 v[13:14], v[13:14], v[68:69]
	v_add_f64 v[15:16], v[15:16], v[54:55]
	s_clause 0x2
	buffer_load_dword v71, off, s[0:3], 0 offset:652
	buffer_load_dword v55, off, s[0:3], 0 offset:628
	buffer_load_dword v54, off, s[0:3], 0 offset:624
	ds_read_b128 v[9:12], v29 offset:1072
	s_waitcnt vmcnt(58) lgkmcnt(1)
	v_mul_f64 v[72:73], v[3:4], v[80:81]
	s_waitcnt vmcnt(56)
	v_fma_f64 v[78:79], v[5:6], v[167:168], -v[78:79]
	v_mul_f64 v[68:69], v[1:2], v[80:81]
	v_add_f64 v[13:14], v[13:14], v[64:65]
	v_fma_f64 v[64:65], v[7:8], v[167:168], v[175:176]
	v_add_f64 v[15:16], v[15:16], v[58:59]
	s_clause 0x2
	buffer_load_dword v59, off, s[0:3], 0 offset:668
	buffer_load_dword v58, off, s[0:3], 0 offset:664
	;; [unrolled: 1-line block ×3, first 2 shown]
	ds_read_b128 v[5:8], v29 offset:1088
	s_waitcnt vmcnt(55) lgkmcnt(1)
	v_mul_f64 v[80:81], v[9:10], v[76:77]
	v_mul_f64 v[76:77], v[11:12], v[76:77]
	s_waitcnt vmcnt(54)
	v_fma_f64 v[72:73], v[1:2], v[82:83], -v[72:73]
	v_fma_f64 v[68:69], v[3:4], v[82:83], v[68:69]
	v_add_f64 v[13:14], v[13:14], v[78:79]
	v_add_f64 v[15:16], v[15:16], v[64:65]
	s_clause 0x1
	buffer_load_dword v65, off, s[0:3], 0 offset:660
	buffer_load_dword v64, off, s[0:3], 0 offset:656
	ds_read_b128 v[1:4], v29 offset:1104
	s_waitcnt vmcnt(55) lgkmcnt(1)
	v_mul_f64 v[82:83], v[7:8], v[171:172]
	v_mul_f64 v[78:79], v[5:6], v[171:172]
	s_waitcnt vmcnt(53)
	v_fma_f64 v[76:77], v[9:10], v[36:37], -v[76:77]
	v_fma_f64 v[36:37], v[11:12], v[36:37], v[80:81]
	ds_read_b128 v[9:12], v29 offset:1120
	v_add_f64 v[13:14], v[13:14], v[72:73]
	v_add_f64 v[15:16], v[15:16], v[68:69]
	s_waitcnt vmcnt(49) lgkmcnt(1)
	v_mul_f64 v[68:69], v[1:2], v[25:26]
	v_mul_f64 v[25:26], v[3:4], v[25:26]
	s_waitcnt vmcnt(48)
	v_fma_f64 v[72:73], v[5:6], v[173:174], -v[82:83]
	v_add_f64 v[13:14], v[13:14], v[76:77]
	v_fma_f64 v[76:77], v[7:8], v[173:174], v[78:79]
	v_add_f64 v[15:16], v[15:16], v[36:37]
	s_clause 0x3
	buffer_load_dword v36, off, s[0:3], 0 offset:144
	buffer_load_dword v37, off, s[0:3], 0 offset:148
	;; [unrolled: 1-line block ×4, first 2 shown]
	ds_read_b128 v[5:8], v29 offset:1136
	s_waitcnt vmcnt(51) lgkmcnt(1)
	v_mul_f64 v[80:81], v[9:10], v[38:39]
	v_mul_f64 v[38:39], v[11:12], v[38:39]
	s_waitcnt vmcnt(49)
	v_fma_f64 v[25:26], v[1:2], v[19:20], -v[25:26]
	v_fma_f64 v[19:20], v[3:4], v[19:20], v[68:69]
	ds_read_b128 v[1:4], v29 offset:1152
	v_add_f64 v[13:14], v[13:14], v[72:73]
	v_add_f64 v[15:16], v[15:16], v[76:77]
	s_waitcnt vmcnt(45) lgkmcnt(1)
	v_mul_f64 v[68:69], v[5:6], v[32:33]
	v_mul_f64 v[32:33], v[7:8], v[32:33]
	s_waitcnt vmcnt(44)
	v_fma_f64 v[38:39], v[9:10], v[169:170], -v[38:39]
	v_add_f64 v[13:14], v[13:14], v[25:26]
	v_fma_f64 v[25:26], v[11:12], v[169:170], v[80:81]
	v_add_f64 v[15:16], v[15:16], v[19:20]
	ds_read_b128 v[9:12], v29 offset:1168
	s_waitcnt vmcnt(43) lgkmcnt(1)
	v_mul_f64 v[19:20], v[1:2], v[40:41]
	v_mul_f64 v[40:41], v[3:4], v[40:41]
	s_waitcnt vmcnt(41)
	v_fma_f64 v[32:33], v[5:6], v[21:22], -v[32:33]
	v_fma_f64 v[21:22], v[7:8], v[21:22], v[68:69]
	ds_read_b128 v[5:8], v29 offset:1184
	v_add_f64 v[13:14], v[13:14], v[38:39]
	v_add_f64 v[15:16], v[15:16], v[25:26]
	s_waitcnt vmcnt(37) lgkmcnt(1)
	v_mul_f64 v[25:26], v[9:10], v[17:18]
	v_mul_f64 v[17:18], v[11:12], v[17:18]
	s_waitcnt vmcnt(36)
	v_fma_f64 v[38:39], v[1:2], v[42:43], -v[40:41]
	v_fma_f64 v[19:20], v[3:4], v[42:43], v[19:20]
	ds_read_b128 v[1:4], v29 offset:1200
	v_add_f64 v[13:14], v[13:14], v[32:33]
	v_add_f64 v[15:16], v[15:16], v[21:22]
	;; [unrolled: 9-line block ×3, first 2 shown]
	s_waitcnt vmcnt(29) lgkmcnt(1)
	v_mul_f64 v[19:20], v[1:2], v[23:24]
	v_mul_f64 v[23:24], v[3:4], v[23:24]
	s_waitcnt vmcnt(28)
	v_fma_f64 v[27:28], v[5:6], v[48:49], -v[32:33]
	v_add_f64 v[13:14], v[13:14], v[17:18]
	v_fma_f64 v[17:18], v[7:8], v[48:49], v[21:22]
	v_add_f64 v[15:16], v[15:16], v[25:26]
	ds_read_b128 v[5:8], v29 offset:1232
	s_waitcnt vmcnt(27) lgkmcnt(1)
	v_mul_f64 v[25:26], v[11:12], v[52:53]
	v_mul_f64 v[21:22], v[9:10], v[52:53]
	s_waitcnt vmcnt(25)
	v_fma_f64 v[23:24], v[1:2], v[34:35], -v[23:24]
	v_fma_f64 v[19:20], v[3:4], v[34:35], v[19:20]
	ds_read_b128 v[1:4], v29 offset:1248
	v_add_f64 v[13:14], v[13:14], v[27:28]
	v_add_f64 v[15:16], v[15:16], v[17:18]
	s_waitcnt vmcnt(21) lgkmcnt(1)
	v_mul_f64 v[27:28], v[7:8], v[30:31]
	s_waitcnt vmcnt(20)
	v_fma_f64 v[25:26], v[9:10], v[56:57], -v[25:26]
	v_mul_f64 v[17:18], v[5:6], v[30:31]
	v_fma_f64 v[21:22], v[11:12], v[56:57], v[21:22]
	ds_read_b128 v[9:12], v29 offset:1264
	v_add_f64 v[13:14], v[13:14], v[23:24]
	v_add_f64 v[15:16], v[15:16], v[19:20]
	s_waitcnt vmcnt(19) lgkmcnt(1)
	v_mul_f64 v[23:24], v[3:4], v[62:63]
	v_mul_f64 v[19:20], v[1:2], v[62:63]
	s_waitcnt vmcnt(17)
	v_fma_f64 v[27:28], v[5:6], v[44:45], -v[27:28]
	v_fma_f64 v[17:18], v[7:8], v[44:45], v[17:18]
	ds_read_b128 v[5:8], v29 offset:1280
	v_add_f64 v[13:14], v[13:14], v[25:26]
	v_add_f64 v[15:16], v[15:16], v[21:22]
	s_waitcnt vmcnt(13) lgkmcnt(1)
	v_mul_f64 v[25:26], v[11:12], v[50:51]
	s_waitcnt vmcnt(12)
	v_fma_f64 v[23:24], v[1:2], v[66:67], -v[23:24]
	v_mul_f64 v[21:22], v[9:10], v[50:51]
	v_fma_f64 v[19:20], v[3:4], v[66:67], v[19:20]
	ds_read_b128 v[1:4], v29 offset:1296
	v_add_f64 v[13:14], v[13:14], v[27:28]
	v_add_f64 v[15:16], v[15:16], v[17:18]
	s_waitcnt vmcnt(11) lgkmcnt(1)
	v_mul_f64 v[27:28], v[7:8], v[70:71]
	v_mul_f64 v[17:18], v[5:6], v[70:71]
	s_waitcnt vmcnt(9)
	v_fma_f64 v[9:10], v[9:10], v[54:55], -v[25:26]
	v_fma_f64 v[11:12], v[11:12], v[54:55], v[21:22]
	v_add_f64 v[13:14], v[13:14], v[23:24]
	v_add_f64 v[15:16], v[15:16], v[19:20]
	s_waitcnt vmcnt(7) lgkmcnt(0)
	v_mul_f64 v[21:22], v[3:4], v[58:59]
	s_waitcnt vmcnt(6)
	v_fma_f64 v[5:6], v[5:6], v[74:75], -v[27:28]
	v_mul_f64 v[19:20], v[1:2], v[58:59]
	v_fma_f64 v[7:8], v[7:8], v[74:75], v[17:18]
	v_add_f64 v[9:10], v[13:14], v[9:10]
	v_add_f64 v[11:12], v[15:16], v[11:12]
	s_waitcnt vmcnt(4)
	v_fma_f64 v[1:2], v[1:2], v[64:65], -v[21:22]
	v_fma_f64 v[3:4], v[3:4], v[64:65], v[19:20]
	v_add_f64 v[5:6], v[9:10], v[5:6]
	v_add_f64 v[7:8], v[11:12], v[7:8]
	;; [unrolled: 1-line block ×4, first 2 shown]
	s_waitcnt vmcnt(2)
	v_add_f64 v[1:2], v[36:37], -v[1:2]
	s_waitcnt vmcnt(0)
	v_add_f64 v[3:4], v[78:79], -v[3:4]
	buffer_store_dword v2, off, s[0:3], 0 offset:148
	buffer_store_dword v1, off, s[0:3], 0 offset:144
	;; [unrolled: 1-line block ×4, first 2 shown]
	v_cmpx_lt_u32_e32 7, v0
	s_cbranch_execz .LBB40_245
; %bb.244:
	v_mov_b32_e32 v4, s46
	v_mov_b32_e32 v5, 0
	s_clause 0x3
	buffer_load_dword v1, v4, s[0:3], 0 offen
	buffer_load_dword v2, v4, s[0:3], 0 offen offset:4
	buffer_load_dword v3, v4, s[0:3], 0 offen offset:8
	buffer_load_dword v4, v4, s[0:3], 0 offen offset:12
	buffer_store_dword v5, off, s[0:3], 0 offset:128
	buffer_store_dword v5, off, s[0:3], 0 offset:132
	;; [unrolled: 1-line block ×4, first 2 shown]
	s_waitcnt vmcnt(0)
	ds_write_b128 v61, v[1:4]
.LBB40_245:
	s_or_b32 exec_lo, exec_lo, s4
	s_waitcnt lgkmcnt(0)
	s_waitcnt_vscnt null, 0x0
	s_barrier
	buffer_gl0_inv
	s_clause 0x37
	buffer_load_dword v9, off, s[0:3], 0 offset:152
	buffer_load_dword v10, off, s[0:3], 0 offset:156
	;; [unrolled: 1-line block ×56, first 2 shown]
	v_mov_b32_e32 v51, 0
	s_mov_b32 s4, exec_lo
	ds_read_b128 v[39:42], v51 offset:784
	s_clause 0x2
	buffer_load_dword v71, off, s[0:3], 0 offset:380
	buffer_load_dword v75, off, s[0:3], 0 offset:356
	;; [unrolled: 1-line block ×3, first 2 shown]
	ds_read_b128 v[43:46], v51 offset:800
	s_clause 0x4
	buffer_load_dword v79, off, s[0:3], 0 offset:396
	buffer_load_dword v80, off, s[0:3], 0 offset:408
	;; [unrolled: 1-line block ×5, first 2 shown]
	ds_read_b128 v[47:50], v51 offset:816
	s_clause 0x2
	buffer_load_dword v81, off, s[0:3], 0 offset:412
	buffer_load_dword v168, off, s[0:3], 0 offset:388
	;; [unrolled: 1-line block ×3, first 2 shown]
	s_waitcnt vmcnt(62) lgkmcnt(2)
	v_mul_f64 v[76:77], v[41:42], v[9:10]
	v_mul_f64 v[9:10], v[39:40], v[9:10]
	s_waitcnt lgkmcnt(1)
	v_mul_f64 v[83:84], v[45:46], v[5:6]
	s_waitcnt vmcnt(59) lgkmcnt(0)
	v_mul_f64 v[169:170], v[49:50], v[3:4]
	v_fma_f64 v[39:40], v[39:40], v[7:8], -v[76:77]
	v_mul_f64 v[76:77], v[43:44], v[5:6]
	v_fma_f64 v[9:10], v[41:42], v[7:8], v[9:10]
	s_waitcnt vmcnt(57)
	v_fma_f64 v[43:44], v[43:44], v[1:2], -v[83:84]
	ds_read_b128 v[5:8], v51 offset:832
	v_mul_f64 v[41:42], v[47:48], v[3:4]
	s_waitcnt vmcnt(51)
	v_fma_f64 v[47:48], v[47:48], v[25:26], -v[169:170]
	v_add_f64 v[39:40], v[39:40], 0
	v_fma_f64 v[45:46], v[45:46], v[1:2], v[76:77]
	v_add_f64 v[9:10], v[9:10], 0
	s_clause 0x4
	buffer_load_dword v77, off, s[0:3], 0 offset:428
	buffer_load_dword v171, off, s[0:3], 0 offset:440
	;; [unrolled: 1-line block ×5, first 2 shown]
	s_waitcnt lgkmcnt(0)
	v_mul_f64 v[174:175], v[5:6], v[13:14]
	v_mul_f64 v[13:14], v[7:8], v[13:14]
	ds_read_b128 v[1:4], v51 offset:848
	v_fma_f64 v[25:26], v[49:50], v[25:26], v[41:42]
	v_add_f64 v[43:44], v[39:40], v[43:44]
	v_add_f64 v[9:10], v[9:10], v[45:46]
	s_clause 0x2
	buffer_load_dword v172, off, s[0:3], 0 offset:444
	buffer_load_dword v46, off, s[0:3], 0 offset:420
	;; [unrolled: 1-line block ×3, first 2 shown]
	s_waitcnt vmcnt(58) lgkmcnt(0)
	v_mul_f64 v[49:50], v[1:2], v[17:18]
	v_mul_f64 v[17:18], v[3:4], v[17:18]
	s_waitcnt vmcnt(56)
	v_fma_f64 v[13:14], v[5:6], v[19:20], -v[13:14]
	ds_read_b128 v[39:42], v51 offset:864
	v_fma_f64 v[19:20], v[7:8], v[19:20], v[174:175]
	v_add_f64 v[43:44], v[43:44], v[47:48]
	v_add_f64 v[9:10], v[9:10], v[25:26]
	s_clause 0x4
	buffer_load_dword v26, off, s[0:3], 0 offset:460
	buffer_load_dword v47, off, s[0:3], 0 offset:472
	;; [unrolled: 1-line block ×5, first 2 shown]
	ds_read_b128 v[5:8], v51 offset:880
	s_waitcnt vmcnt(57) lgkmcnt(1)
	v_mul_f64 v[175:176], v[39:40], v[21:22]
	v_mul_f64 v[21:22], v[41:42], v[21:22]
	s_waitcnt vmcnt(56)
	v_fma_f64 v[17:18], v[1:2], v[11:12], -v[17:18]
	v_fma_f64 v[11:12], v[3:4], v[11:12], v[49:50]
	v_add_f64 v[13:14], v[43:44], v[13:14]
	v_add_f64 v[9:10], v[9:10], v[19:20]
	s_clause 0x2
	buffer_load_dword v48, off, s[0:3], 0 offset:476
	buffer_load_dword v20, off, s[0:3], 0 offset:452
	;; [unrolled: 1-line block ×3, first 2 shown]
	s_waitcnt vmcnt(58) lgkmcnt(0)
	v_mul_f64 v[43:44], v[5:6], v[27:28]
	v_mul_f64 v[27:28], v[7:8], v[27:28]
	s_waitcnt vmcnt(56)
	v_fma_f64 v[21:22], v[39:40], v[29:30], -v[21:22]
	ds_read_b128 v[1:4], v51 offset:896
	v_add_f64 v[13:14], v[13:14], v[17:18]
	v_fma_f64 v[17:18], v[41:42], v[29:30], v[175:176]
	v_add_f64 v[29:30], v[9:10], v[11:12]
	s_clause 0x4
	buffer_load_dword v40, off, s[0:3], 0 offset:492
	buffer_load_dword v41, off, s[0:3], 0 offset:504
	;; [unrolled: 1-line block ×5, first 2 shown]
	ds_read_b128 v[9:12], v51 offset:912
	s_waitcnt vmcnt(57) lgkmcnt(1)
	v_mul_f64 v[175:176], v[1:2], v[31:32]
	v_mul_f64 v[31:32], v[3:4], v[31:32]
	s_waitcnt vmcnt(56)
	v_fma_f64 v[27:28], v[5:6], v[15:16], -v[27:28]
	v_fma_f64 v[15:16], v[7:8], v[15:16], v[43:44]
	v_add_f64 v[13:14], v[13:14], v[21:22]
	s_clause 0x2
	buffer_load_dword v42, off, s[0:3], 0 offset:508
	buffer_load_dword v22, off, s[0:3], 0 offset:484
	;; [unrolled: 1-line block ×3, first 2 shown]
	v_add_f64 v[17:18], v[29:30], v[17:18]
	s_waitcnt vmcnt(58) lgkmcnt(0)
	v_mul_f64 v[29:30], v[9:10], v[35:36]
	v_mul_f64 v[35:36], v[11:12], v[35:36]
	ds_read_b128 v[5:8], v51 offset:928
	s_waitcnt vmcnt(56)
	v_fma_f64 v[31:32], v[1:2], v[37:38], -v[31:32]
	v_add_f64 v[13:14], v[13:14], v[27:28]
	v_fma_f64 v[27:28], v[3:4], v[37:38], v[175:176]
	v_add_f64 v[15:16], v[17:18], v[15:16]
	s_clause 0x4
	buffer_load_dword v18, off, s[0:3], 0 offset:524
	buffer_load_dword v37, off, s[0:3], 0 offset:536
	;; [unrolled: 1-line block ×5, first 2 shown]
	s_waitcnt vmcnt(57) lgkmcnt(0)
	v_mul_f64 v[175:176], v[5:6], v[52:53]
	v_mul_f64 v[52:53], v[7:8], v[52:53]
	s_waitcnt vmcnt(56)
	v_fma_f64 v[35:36], v[9:10], v[23:24], -v[35:36]
	ds_read_b128 v[1:4], v51 offset:944
	v_fma_f64 v[23:24], v[11:12], v[23:24], v[29:30]
	v_add_f64 v[13:14], v[13:14], v[31:32]
	v_add_f64 v[15:16], v[15:16], v[27:28]
	s_clause 0x2
	buffer_load_dword v38, off, s[0:3], 0 offset:540
	buffer_load_dword v28, off, s[0:3], 0 offset:516
	;; [unrolled: 1-line block ×3, first 2 shown]
	ds_read_b128 v[9:12], v51 offset:960
	s_waitcnt vmcnt(58) lgkmcnt(1)
	v_mul_f64 v[31:32], v[3:4], v[54:55]
	s_waitcnt vmcnt(56)
	v_fma_f64 v[52:53], v[5:6], v[56:57], -v[52:53]
	v_mul_f64 v[29:30], v[1:2], v[54:55]
	v_add_f64 v[13:14], v[13:14], v[35:36]
	v_fma_f64 v[35:36], v[7:8], v[56:57], v[175:176]
	v_add_f64 v[15:16], v[15:16], v[23:24]
	s_clause 0x4
	buffer_load_dword v24, off, s[0:3], 0 offset:556
	buffer_load_dword v54, off, s[0:3], 0 offset:568
	;; [unrolled: 1-line block ×5, first 2 shown]
	s_waitcnt vmcnt(57) lgkmcnt(0)
	v_mul_f64 v[175:176], v[9:10], v[58:59]
	v_mul_f64 v[57:58], v[11:12], v[58:59]
	s_waitcnt vmcnt(56)
	v_fma_f64 v[31:32], v[1:2], v[33:34], -v[31:32]
	ds_read_b128 v[5:8], v51 offset:976
	v_fma_f64 v[29:30], v[3:4], v[33:34], v[29:30]
	s_clause 0x2
	buffer_load_dword v55, off, s[0:3], 0 offset:572
	buffer_load_dword v34, off, s[0:3], 0 offset:548
	;; [unrolled: 1-line block ×3, first 2 shown]
	ds_read_b128 v[1:4], v51 offset:992
	v_add_f64 v[13:14], v[13:14], v[52:53]
	v_add_f64 v[15:16], v[15:16], v[35:36]
	s_waitcnt vmcnt(58) lgkmcnt(1)
	v_mul_f64 v[52:53], v[7:8], v[62:63]
	s_waitcnt vmcnt(56)
	v_fma_f64 v[58:59], v[9:10], v[66:67], -v[57:58]
	v_mul_f64 v[35:36], v[5:6], v[62:63]
	v_add_f64 v[13:14], v[13:14], v[31:32]
	v_fma_f64 v[31:32], v[11:12], v[66:67], v[175:176]
	v_add_f64 v[15:16], v[15:16], v[29:30]
	s_clause 0x4
	buffer_load_dword v30, off, s[0:3], 0 offset:588
	buffer_load_dword v62, off, s[0:3], 0 offset:600
	;; [unrolled: 1-line block ×5, first 2 shown]
	s_waitcnt vmcnt(57) lgkmcnt(0)
	v_mul_f64 v[175:176], v[1:2], v[68:69]
	v_mul_f64 v[67:68], v[3:4], v[68:69]
	s_waitcnt vmcnt(56)
	v_fma_f64 v[52:53], v[5:6], v[64:65], -v[52:53]
	ds_read_b128 v[9:12], v51 offset:1008
	v_fma_f64 v[35:36], v[7:8], v[64:65], v[35:36]
	v_add_f64 v[13:14], v[13:14], v[58:59]
	v_add_f64 v[15:16], v[15:16], v[31:32]
	s_clause 0x2
	buffer_load_dword v63, off, s[0:3], 0 offset:604
	buffer_load_dword v32, off, s[0:3], 0 offset:580
	;; [unrolled: 1-line block ×3, first 2 shown]
	ds_read_b128 v[5:8], v51 offset:1024
	s_waitcnt vmcnt(58) lgkmcnt(1)
	v_mul_f64 v[64:65], v[11:12], v[70:71]
	s_waitcnt vmcnt(56)
	v_fma_f64 v[68:69], v[1:2], v[74:75], -v[67:68]
	v_mul_f64 v[58:59], v[9:10], v[70:71]
	v_add_f64 v[13:14], v[13:14], v[52:53]
	v_fma_f64 v[52:53], v[3:4], v[74:75], v[175:176]
	v_add_f64 v[15:16], v[15:16], v[35:36]
	s_clause 0x4
	buffer_load_dword v36, off, s[0:3], 0 offset:620
	buffer_load_dword v70, off, s[0:3], 0 offset:632
	;; [unrolled: 1-line block ×5, first 2 shown]
	s_waitcnt vmcnt(57) lgkmcnt(0)
	v_mul_f64 v[175:176], v[5:6], v[78:79]
	v_mul_f64 v[78:79], v[7:8], v[78:79]
	s_waitcnt vmcnt(56)
	v_fma_f64 v[64:65], v[9:10], v[72:73], -v[64:65]
	ds_read_b128 v[1:4], v51 offset:1040
	v_fma_f64 v[58:59], v[11:12], v[72:73], v[58:59]
	v_add_f64 v[13:14], v[13:14], v[68:69]
	v_add_f64 v[15:16], v[15:16], v[52:53]
	s_clause 0x2
	buffer_load_dword v71, off, s[0:3], 0 offset:636
	buffer_load_dword v53, off, s[0:3], 0 offset:612
	;; [unrolled: 1-line block ×3, first 2 shown]
	ds_read_b128 v[9:12], v51 offset:1056
	s_waitcnt vmcnt(58) lgkmcnt(1)
	v_mul_f64 v[72:73], v[3:4], v[80:81]
	s_waitcnt vmcnt(56)
	v_fma_f64 v[78:79], v[5:6], v[167:168], -v[78:79]
	v_mul_f64 v[68:69], v[1:2], v[80:81]
	v_add_f64 v[13:14], v[13:14], v[64:65]
	v_fma_f64 v[64:65], v[7:8], v[167:168], v[175:176]
	v_add_f64 v[15:16], v[15:16], v[58:59]
	s_clause 0x4
	buffer_load_dword v59, off, s[0:3], 0 offset:652
	buffer_load_dword v80, off, s[0:3], 0 offset:664
	;; [unrolled: 1-line block ×5, first 2 shown]
	ds_read_b128 v[5:8], v51 offset:1072
	s_waitcnt vmcnt(57) lgkmcnt(1)
	v_mul_f64 v[175:176], v[9:10], v[76:77]
	v_mul_f64 v[76:77], v[11:12], v[76:77]
	s_waitcnt vmcnt(56)
	v_fma_f64 v[72:73], v[1:2], v[82:83], -v[72:73]
	v_fma_f64 v[68:69], v[3:4], v[82:83], v[68:69]
	v_add_f64 v[13:14], v[13:14], v[78:79]
	v_add_f64 v[15:16], v[15:16], v[64:65]
	s_clause 0x2
	buffer_load_dword v81, off, s[0:3], 0 offset:668
	buffer_load_dword v65, off, s[0:3], 0 offset:644
	;; [unrolled: 1-line block ×3, first 2 shown]
	ds_read_b128 v[1:4], v51 offset:1088
	buffer_load_dword v168, off, s[0:3], 0 offset:660
	s_waitcnt vmcnt(59) lgkmcnt(1)
	v_mul_f64 v[82:83], v[7:8], v[171:172]
	v_mul_f64 v[78:79], v[5:6], v[171:172]
	s_waitcnt vmcnt(57)
	v_fma_f64 v[76:77], v[9:10], v[45:46], -v[76:77]
	v_fma_f64 v[45:46], v[11:12], v[45:46], v[175:176]
	ds_read_b128 v[9:12], v51 offset:1104
	v_add_f64 v[13:14], v[13:14], v[72:73]
	v_add_f64 v[15:16], v[15:16], v[68:69]
	s_waitcnt vmcnt(53) lgkmcnt(1)
	v_mul_f64 v[68:69], v[1:2], v[25:26]
	v_mul_f64 v[25:26], v[3:4], v[25:26]
	s_waitcnt vmcnt(52)
	v_fma_f64 v[72:73], v[5:6], v[173:174], -v[82:83]
	v_add_f64 v[13:14], v[13:14], v[76:77]
	v_fma_f64 v[76:77], v[7:8], v[173:174], v[78:79]
	v_add_f64 v[15:16], v[15:16], v[45:46]
	ds_read_b128 v[5:8], v51 offset:1120
	s_waitcnt vmcnt(51) lgkmcnt(1)
	v_mul_f64 v[45:46], v[9:10], v[47:48]
	v_mul_f64 v[47:48], v[11:12], v[47:48]
	s_waitcnt vmcnt(49)
	v_fma_f64 v[25:26], v[1:2], v[19:20], -v[25:26]
	v_fma_f64 v[19:20], v[3:4], v[19:20], v[68:69]
	v_add_f64 v[13:14], v[13:14], v[72:73]
	s_clause 0x3
	buffer_load_dword v68, off, s[0:3], 0 offset:128
	buffer_load_dword v69, off, s[0:3], 0 offset:132
	buffer_load_dword v72, off, s[0:3], 0 offset:136
	buffer_load_dword v73, off, s[0:3], 0 offset:140
	v_add_f64 v[15:16], v[15:16], v[76:77]
	ds_read_b128 v[1:4], v51 offset:1136
	s_waitcnt vmcnt(49) lgkmcnt(1)
	v_mul_f64 v[76:77], v[5:6], v[39:40]
	v_mul_f64 v[39:40], v[7:8], v[39:40]
	s_waitcnt vmcnt(48)
	v_fma_f64 v[47:48], v[9:10], v[169:170], -v[47:48]
	v_add_f64 v[13:14], v[13:14], v[25:26]
	v_fma_f64 v[25:26], v[11:12], v[169:170], v[45:46]
	v_add_f64 v[15:16], v[15:16], v[19:20]
	ds_read_b128 v[9:12], v51 offset:1152
	s_waitcnt vmcnt(47) lgkmcnt(1)
	v_mul_f64 v[19:20], v[1:2], v[41:42]
	v_mul_f64 v[41:42], v[3:4], v[41:42]
	s_waitcnt vmcnt(45)
	v_fma_f64 v[39:40], v[5:6], v[21:22], -v[39:40]
	v_fma_f64 v[21:22], v[7:8], v[21:22], v[76:77]
	ds_read_b128 v[5:8], v51 offset:1168
	v_add_f64 v[13:14], v[13:14], v[47:48]
	v_add_f64 v[15:16], v[15:16], v[25:26]
	s_waitcnt vmcnt(41) lgkmcnt(1)
	v_mul_f64 v[25:26], v[9:10], v[17:18]
	v_mul_f64 v[17:18], v[11:12], v[17:18]
	s_waitcnt vmcnt(40)
	v_fma_f64 v[41:42], v[1:2], v[49:50], -v[41:42]
	v_fma_f64 v[19:20], v[3:4], v[49:50], v[19:20]
	ds_read_b128 v[1:4], v51 offset:1184
	v_add_f64 v[13:14], v[13:14], v[39:40]
	v_add_f64 v[15:16], v[15:16], v[21:22]
	;; [unrolled: 9-line block ×3, first 2 shown]
	s_waitcnt vmcnt(33) lgkmcnt(1)
	v_mul_f64 v[19:20], v[1:2], v[23:24]
	v_mul_f64 v[23:24], v[3:4], v[23:24]
	s_waitcnt vmcnt(32)
	v_fma_f64 v[27:28], v[5:6], v[43:44], -v[37:38]
	v_add_f64 v[13:14], v[13:14], v[17:18]
	v_fma_f64 v[17:18], v[7:8], v[43:44], v[21:22]
	v_add_f64 v[15:16], v[15:16], v[25:26]
	ds_read_b128 v[5:8], v51 offset:1216
	s_waitcnt vmcnt(31) lgkmcnt(1)
	v_mul_f64 v[25:26], v[11:12], v[54:55]
	v_mul_f64 v[21:22], v[9:10], v[54:55]
	s_waitcnt vmcnt(29)
	v_fma_f64 v[19:20], v[3:4], v[33:34], v[19:20]
	v_fma_f64 v[23:24], v[1:2], v[33:34], -v[23:24]
	ds_read_b128 v[1:4], v51 offset:1232
	v_add_f64 v[13:14], v[13:14], v[27:28]
	v_add_f64 v[15:16], v[15:16], v[17:18]
	s_waitcnt vmcnt(25) lgkmcnt(1)
	v_mul_f64 v[27:28], v[7:8], v[29:30]
	s_waitcnt vmcnt(24)
	v_fma_f64 v[25:26], v[9:10], v[56:57], -v[25:26]
	v_mul_f64 v[17:18], v[5:6], v[29:30]
	v_fma_f64 v[21:22], v[11:12], v[56:57], v[21:22]
	ds_read_b128 v[9:12], v51 offset:1248
	v_add_f64 v[13:14], v[13:14], v[23:24]
	v_add_f64 v[15:16], v[15:16], v[19:20]
	s_waitcnt vmcnt(23) lgkmcnt(1)
	v_mul_f64 v[23:24], v[3:4], v[62:63]
	v_mul_f64 v[19:20], v[1:2], v[62:63]
	s_waitcnt vmcnt(21)
	v_fma_f64 v[27:28], v[5:6], v[31:32], -v[27:28]
	v_fma_f64 v[17:18], v[7:8], v[31:32], v[17:18]
	ds_read_b128 v[5:8], v51 offset:1264
	v_add_f64 v[13:14], v[13:14], v[25:26]
	v_add_f64 v[15:16], v[15:16], v[21:22]
	s_waitcnt vmcnt(17) lgkmcnt(1)
	v_mul_f64 v[25:26], v[11:12], v[35:36]
	s_waitcnt vmcnt(16)
	v_fma_f64 v[23:24], v[1:2], v[66:67], -v[23:24]
	v_mul_f64 v[21:22], v[9:10], v[35:36]
	v_fma_f64 v[19:20], v[3:4], v[66:67], v[19:20]
	ds_read_b128 v[1:4], v51 offset:1280
	v_add_f64 v[13:14], v[13:14], v[27:28]
	v_add_f64 v[15:16], v[15:16], v[17:18]
	s_waitcnt vmcnt(15) lgkmcnt(1)
	v_mul_f64 v[27:28], v[7:8], v[70:71]
	v_mul_f64 v[17:18], v[5:6], v[70:71]
	s_waitcnt vmcnt(13)
	v_fma_f64 v[25:26], v[9:10], v[52:53], -v[25:26]
	v_fma_f64 v[21:22], v[11:12], v[52:53], v[21:22]
	ds_read_b128 v[9:12], v51 offset:1296
	v_add_f64 v[13:14], v[13:14], v[23:24]
	v_add_f64 v[15:16], v[15:16], v[19:20]
	s_waitcnt vmcnt(9) lgkmcnt(1)
	v_mul_f64 v[23:24], v[3:4], v[58:59]
	s_waitcnt vmcnt(8)
	v_fma_f64 v[5:6], v[5:6], v[74:75], -v[27:28]
	v_mul_f64 v[19:20], v[1:2], v[58:59]
	v_fma_f64 v[7:8], v[7:8], v[74:75], v[17:18]
	v_add_f64 v[13:14], v[13:14], v[25:26]
	v_add_f64 v[15:16], v[15:16], v[21:22]
	s_waitcnt vmcnt(7) lgkmcnt(0)
	v_mul_f64 v[21:22], v[11:12], v[80:81]
	v_mul_f64 v[17:18], v[9:10], v[80:81]
	s_waitcnt vmcnt(5)
	v_fma_f64 v[1:2], v[1:2], v[64:65], -v[23:24]
	v_fma_f64 v[3:4], v[3:4], v[64:65], v[19:20]
	v_add_f64 v[5:6], v[13:14], v[5:6]
	v_add_f64 v[7:8], v[15:16], v[7:8]
	s_waitcnt vmcnt(4)
	v_fma_f64 v[9:10], v[9:10], v[167:168], -v[21:22]
	v_add_f64 v[1:2], v[5:6], v[1:2]
	v_fma_f64 v[5:6], v[11:12], v[167:168], v[17:18]
	v_add_f64 v[3:4], v[7:8], v[3:4]
	v_add_f64 v[1:2], v[1:2], v[9:10]
	;; [unrolled: 1-line block ×3, first 2 shown]
	s_waitcnt vmcnt(2)
	v_add_f64 v[1:2], v[68:69], -v[1:2]
	s_waitcnt vmcnt(0)
	v_add_f64 v[3:4], v[72:73], -v[3:4]
	buffer_store_dword v2, off, s[0:3], 0 offset:132
	buffer_store_dword v1, off, s[0:3], 0 offset:128
	;; [unrolled: 1-line block ×4, first 2 shown]
	v_cmpx_lt_u32_e32 6, v0
	s_cbranch_execz .LBB40_247
; %bb.246:
	v_mov_b32_e32 v4, s47
	s_clause 0x3
	buffer_load_dword v1, v4, s[0:3], 0 offen
	buffer_load_dword v2, v4, s[0:3], 0 offen offset:4
	buffer_load_dword v3, v4, s[0:3], 0 offen offset:8
	;; [unrolled: 1-line block ×3, first 2 shown]
	buffer_store_dword v51, off, s[0:3], 0 offset:112
	buffer_store_dword v51, off, s[0:3], 0 offset:116
	;; [unrolled: 1-line block ×4, first 2 shown]
	s_waitcnt vmcnt(0)
	ds_write_b128 v61, v[1:4]
.LBB40_247:
	s_or_b32 exec_lo, exec_lo, s4
	s_waitcnt lgkmcnt(0)
	s_waitcnt_vscnt null, 0x0
	s_barrier
	buffer_gl0_inv
	s_clause 0x37
	buffer_load_dword v9, off, s[0:3], 0 offset:136
	buffer_load_dword v10, off, s[0:3], 0 offset:140
	;; [unrolled: 1-line block ×56, first 2 shown]
	ds_read_b128 v[52:55], v51 offset:768
	s_clause 0x2
	buffer_load_dword v73, off, s[0:3], 0 offset:364
	buffer_load_dword v75, off, s[0:3], 0 offset:340
	;; [unrolled: 1-line block ×3, first 2 shown]
	ds_read_b128 v[56:59], v51 offset:784
	s_clause 0x4
	buffer_load_dword v79, off, s[0:3], 0 offset:380
	buffer_load_dword v80, off, s[0:3], 0 offset:392
	;; [unrolled: 1-line block ×5, first 2 shown]
	ds_read_b128 v[62:65], v51 offset:800
	s_clause 0x2
	buffer_load_dword v81, off, s[0:3], 0 offset:396
	buffer_load_dword v168, off, s[0:3], 0 offset:372
	buffer_load_dword v167, off, s[0:3], 0 offset:368
	s_mov_b32 s4, exec_lo
	s_waitcnt vmcnt(62) lgkmcnt(2)
	v_mul_f64 v[76:77], v[54:55], v[9:10]
	v_mul_f64 v[9:10], v[52:53], v[9:10]
	s_waitcnt lgkmcnt(1)
	v_mul_f64 v[83:84], v[58:59], v[5:6]
	s_waitcnt vmcnt(59) lgkmcnt(0)
	v_mul_f64 v[169:170], v[64:65], v[3:4]
	v_fma_f64 v[52:53], v[52:53], v[7:8], -v[76:77]
	v_mul_f64 v[76:77], v[56:57], v[5:6]
	v_fma_f64 v[9:10], v[54:55], v[7:8], v[9:10]
	s_waitcnt vmcnt(57)
	v_fma_f64 v[56:57], v[56:57], v[1:2], -v[83:84]
	ds_read_b128 v[5:8], v51 offset:816
	v_mul_f64 v[54:55], v[62:63], v[3:4]
	s_waitcnt vmcnt(51)
	v_fma_f64 v[62:63], v[62:63], v[25:26], -v[169:170]
	v_add_f64 v[52:53], v[52:53], 0
	v_fma_f64 v[58:59], v[58:59], v[1:2], v[76:77]
	v_add_f64 v[9:10], v[9:10], 0
	s_clause 0x4
	buffer_load_dword v77, off, s[0:3], 0 offset:412
	buffer_load_dword v171, off, s[0:3], 0 offset:424
	;; [unrolled: 1-line block ×5, first 2 shown]
	s_waitcnt lgkmcnt(0)
	v_mul_f64 v[174:175], v[5:6], v[13:14]
	v_mul_f64 v[13:14], v[7:8], v[13:14]
	ds_read_b128 v[1:4], v51 offset:832
	v_fma_f64 v[25:26], v[64:65], v[25:26], v[54:55]
	v_add_f64 v[56:57], v[52:53], v[56:57]
	v_add_f64 v[9:10], v[9:10], v[58:59]
	s_clause 0x2
	buffer_load_dword v172, off, s[0:3], 0 offset:428
	buffer_load_dword v59, off, s[0:3], 0 offset:404
	;; [unrolled: 1-line block ×3, first 2 shown]
	s_waitcnt vmcnt(58) lgkmcnt(0)
	v_mul_f64 v[64:65], v[1:2], v[17:18]
	v_mul_f64 v[17:18], v[3:4], v[17:18]
	s_waitcnt vmcnt(56)
	v_fma_f64 v[13:14], v[5:6], v[19:20], -v[13:14]
	ds_read_b128 v[52:55], v51 offset:848
	v_fma_f64 v[19:20], v[7:8], v[19:20], v[174:175]
	v_add_f64 v[56:57], v[56:57], v[62:63]
	v_add_f64 v[9:10], v[9:10], v[25:26]
	s_clause 0x4
	buffer_load_dword v26, off, s[0:3], 0 offset:444
	buffer_load_dword v62, off, s[0:3], 0 offset:456
	buffer_load_dword v169, off, s[0:3], 0 offset:448
	buffer_load_dword v25, off, s[0:3], 0 offset:440
	buffer_load_dword v174, off, s[0:3], 0 offset:420
	ds_read_b128 v[5:8], v51 offset:864
	s_waitcnt vmcnt(57) lgkmcnt(1)
	v_mul_f64 v[175:176], v[52:53], v[21:22]
	v_mul_f64 v[21:22], v[54:55], v[21:22]
	s_waitcnt vmcnt(56)
	v_fma_f64 v[17:18], v[1:2], v[11:12], -v[17:18]
	v_fma_f64 v[11:12], v[3:4], v[11:12], v[64:65]
	v_add_f64 v[13:14], v[56:57], v[13:14]
	v_add_f64 v[9:10], v[9:10], v[19:20]
	s_clause 0x2
	buffer_load_dword v63, off, s[0:3], 0 offset:460
	buffer_load_dword v20, off, s[0:3], 0 offset:436
	;; [unrolled: 1-line block ×3, first 2 shown]
	s_waitcnt vmcnt(58) lgkmcnt(0)
	v_mul_f64 v[56:57], v[5:6], v[27:28]
	v_mul_f64 v[27:28], v[7:8], v[27:28]
	s_waitcnt vmcnt(56)
	v_fma_f64 v[21:22], v[52:53], v[29:30], -v[21:22]
	ds_read_b128 v[1:4], v51 offset:880
	v_add_f64 v[13:14], v[13:14], v[17:18]
	v_fma_f64 v[17:18], v[54:55], v[29:30], v[175:176]
	v_add_f64 v[29:30], v[9:10], v[11:12]
	s_clause 0x4
	buffer_load_dword v53, off, s[0:3], 0 offset:476
	buffer_load_dword v54, off, s[0:3], 0 offset:488
	;; [unrolled: 1-line block ×5, first 2 shown]
	ds_read_b128 v[9:12], v51 offset:896
	s_waitcnt vmcnt(57) lgkmcnt(1)
	v_mul_f64 v[175:176], v[1:2], v[31:32]
	v_mul_f64 v[31:32], v[3:4], v[31:32]
	s_waitcnt vmcnt(56)
	v_fma_f64 v[27:28], v[5:6], v[15:16], -v[27:28]
	v_fma_f64 v[15:16], v[7:8], v[15:16], v[56:57]
	v_add_f64 v[13:14], v[13:14], v[21:22]
	s_clause 0x2
	buffer_load_dword v55, off, s[0:3], 0 offset:492
	buffer_load_dword v22, off, s[0:3], 0 offset:468
	;; [unrolled: 1-line block ×3, first 2 shown]
	v_add_f64 v[17:18], v[29:30], v[17:18]
	s_waitcnt vmcnt(58) lgkmcnt(0)
	v_mul_f64 v[29:30], v[9:10], v[35:36]
	v_mul_f64 v[35:36], v[11:12], v[35:36]
	ds_read_b128 v[5:8], v51 offset:912
	s_waitcnt vmcnt(56)
	v_fma_f64 v[31:32], v[1:2], v[37:38], -v[31:32]
	v_add_f64 v[13:14], v[13:14], v[27:28]
	v_fma_f64 v[27:28], v[3:4], v[37:38], v[175:176]
	v_add_f64 v[15:16], v[17:18], v[15:16]
	s_clause 0x4
	buffer_load_dword v18, off, s[0:3], 0 offset:508
	buffer_load_dword v37, off, s[0:3], 0 offset:520
	;; [unrolled: 1-line block ×5, first 2 shown]
	s_waitcnt vmcnt(57) lgkmcnt(0)
	v_mul_f64 v[175:176], v[5:6], v[39:40]
	v_mul_f64 v[39:40], v[7:8], v[39:40]
	s_waitcnt vmcnt(56)
	v_fma_f64 v[35:36], v[9:10], v[23:24], -v[35:36]
	ds_read_b128 v[1:4], v51 offset:928
	v_fma_f64 v[23:24], v[11:12], v[23:24], v[29:30]
	v_add_f64 v[13:14], v[13:14], v[31:32]
	v_add_f64 v[15:16], v[15:16], v[27:28]
	s_clause 0x2
	buffer_load_dword v38, off, s[0:3], 0 offset:524
	buffer_load_dword v28, off, s[0:3], 0 offset:500
	;; [unrolled: 1-line block ×3, first 2 shown]
	ds_read_b128 v[9:12], v51 offset:944
	s_waitcnt vmcnt(58) lgkmcnt(1)
	v_mul_f64 v[31:32], v[3:4], v[43:44]
	s_waitcnt vmcnt(56)
	v_fma_f64 v[39:40], v[5:6], v[45:46], -v[39:40]
	v_mul_f64 v[29:30], v[1:2], v[43:44]
	v_add_f64 v[13:14], v[13:14], v[35:36]
	v_fma_f64 v[35:36], v[7:8], v[45:46], v[175:176]
	v_add_f64 v[15:16], v[15:16], v[23:24]
	s_clause 0x4
	buffer_load_dword v24, off, s[0:3], 0 offset:540
	buffer_load_dword v43, off, s[0:3], 0 offset:552
	buffer_load_dword v45, off, s[0:3], 0 offset:544
	buffer_load_dword v23, off, s[0:3], 0 offset:536
	buffer_load_dword v57, off, s[0:3], 0 offset:516
	s_waitcnt vmcnt(57) lgkmcnt(0)
	v_mul_f64 v[175:176], v[9:10], v[47:48]
	v_mul_f64 v[46:47], v[11:12], v[47:48]
	s_waitcnt vmcnt(56)
	v_fma_f64 v[31:32], v[1:2], v[33:34], -v[31:32]
	ds_read_b128 v[5:8], v51 offset:960
	v_fma_f64 v[29:30], v[3:4], v[33:34], v[29:30]
	s_clause 0x2
	buffer_load_dword v44, off, s[0:3], 0 offset:556
	buffer_load_dword v34, off, s[0:3], 0 offset:532
	;; [unrolled: 1-line block ×3, first 2 shown]
	ds_read_b128 v[1:4], v51 offset:976
	v_add_f64 v[13:14], v[13:14], v[39:40]
	v_add_f64 v[15:16], v[15:16], v[35:36]
	s_waitcnt vmcnt(58) lgkmcnt(1)
	v_mul_f64 v[39:40], v[7:8], v[66:67]
	s_waitcnt vmcnt(56)
	v_fma_f64 v[47:48], v[9:10], v[68:69], -v[46:47]
	v_mul_f64 v[35:36], v[5:6], v[66:67]
	v_add_f64 v[13:14], v[13:14], v[31:32]
	v_fma_f64 v[31:32], v[11:12], v[68:69], v[175:176]
	v_add_f64 v[15:16], v[15:16], v[29:30]
	s_clause 0x4
	buffer_load_dword v30, off, s[0:3], 0 offset:572
	buffer_load_dword v66, off, s[0:3], 0 offset:584
	;; [unrolled: 1-line block ×5, first 2 shown]
	s_waitcnt vmcnt(57) lgkmcnt(0)
	v_mul_f64 v[175:176], v[1:2], v[70:71]
	v_mul_f64 v[69:70], v[3:4], v[70:71]
	s_waitcnt vmcnt(56)
	v_fma_f64 v[39:40], v[5:6], v[41:42], -v[39:40]
	ds_read_b128 v[9:12], v51 offset:992
	v_fma_f64 v[35:36], v[7:8], v[41:42], v[35:36]
	v_add_f64 v[13:14], v[13:14], v[47:48]
	v_add_f64 v[15:16], v[15:16], v[31:32]
	s_clause 0x2
	buffer_load_dword v67, off, s[0:3], 0 offset:588
	buffer_load_dword v32, off, s[0:3], 0 offset:564
	;; [unrolled: 1-line block ×3, first 2 shown]
	ds_read_b128 v[5:8], v51 offset:1008
	s_waitcnt vmcnt(58) lgkmcnt(1)
	v_mul_f64 v[47:48], v[11:12], v[72:73]
	s_waitcnt vmcnt(56)
	v_fma_f64 v[70:71], v[1:2], v[74:75], -v[69:70]
	v_mul_f64 v[41:42], v[9:10], v[72:73]
	v_add_f64 v[13:14], v[13:14], v[39:40]
	v_fma_f64 v[39:40], v[3:4], v[74:75], v[175:176]
	v_add_f64 v[15:16], v[15:16], v[35:36]
	s_clause 0x4
	buffer_load_dword v36, off, s[0:3], 0 offset:604
	buffer_load_dword v72, off, s[0:3], 0 offset:616
	;; [unrolled: 1-line block ×5, first 2 shown]
	s_waitcnt vmcnt(57) lgkmcnt(0)
	v_mul_f64 v[175:176], v[5:6], v[78:79]
	v_mul_f64 v[78:79], v[7:8], v[78:79]
	s_waitcnt vmcnt(56)
	v_fma_f64 v[47:48], v[9:10], v[49:50], -v[47:48]
	ds_read_b128 v[1:4], v51 offset:1024
	v_fma_f64 v[41:42], v[11:12], v[49:50], v[41:42]
	v_add_f64 v[13:14], v[13:14], v[70:71]
	v_add_f64 v[15:16], v[15:16], v[39:40]
	s_clause 0x2
	buffer_load_dword v73, off, s[0:3], 0 offset:620
	buffer_load_dword v40, off, s[0:3], 0 offset:596
	;; [unrolled: 1-line block ×3, first 2 shown]
	ds_read_b128 v[9:12], v51 offset:1040
	s_waitcnt vmcnt(58) lgkmcnt(1)
	v_mul_f64 v[70:71], v[3:4], v[80:81]
	s_waitcnt vmcnt(56)
	v_fma_f64 v[78:79], v[5:6], v[167:168], -v[78:79]
	v_mul_f64 v[49:50], v[1:2], v[80:81]
	v_add_f64 v[13:14], v[13:14], v[47:48]
	v_fma_f64 v[47:48], v[7:8], v[167:168], v[175:176]
	v_add_f64 v[15:16], v[15:16], v[41:42]
	s_clause 0x4
	buffer_load_dword v42, off, s[0:3], 0 offset:636
	buffer_load_dword v80, off, s[0:3], 0 offset:648
	;; [unrolled: 1-line block ×5, first 2 shown]
	ds_read_b128 v[5:8], v51 offset:1056
	s_waitcnt vmcnt(57) lgkmcnt(1)
	v_mul_f64 v[175:176], v[9:10], v[76:77]
	v_mul_f64 v[76:77], v[11:12], v[76:77]
	s_waitcnt vmcnt(56)
	v_fma_f64 v[70:71], v[1:2], v[82:83], -v[70:71]
	v_fma_f64 v[49:50], v[3:4], v[82:83], v[49:50]
	v_add_f64 v[13:14], v[13:14], v[78:79]
	v_add_f64 v[15:16], v[15:16], v[47:48]
	s_clause 0x2
	buffer_load_dword v81, off, s[0:3], 0 offset:652
	buffer_load_dword v48, off, s[0:3], 0 offset:628
	;; [unrolled: 1-line block ×3, first 2 shown]
	ds_read_b128 v[1:4], v51 offset:1072
	s_waitcnt vmcnt(58) lgkmcnt(1)
	v_mul_f64 v[82:83], v[7:8], v[171:172]
	v_mul_f64 v[78:79], v[5:6], v[171:172]
	s_waitcnt vmcnt(56)
	v_fma_f64 v[76:77], v[9:10], v[58:59], -v[76:77]
	v_fma_f64 v[58:59], v[11:12], v[58:59], v[175:176]
	v_add_f64 v[13:14], v[13:14], v[70:71]
	v_add_f64 v[15:16], v[15:16], v[49:50]
	s_clause 0x2
	buffer_load_dword v50, off, s[0:3], 0 offset:668
	buffer_load_dword v49, off, s[0:3], 0 offset:664
	;; [unrolled: 1-line block ×3, first 2 shown]
	ds_read_b128 v[9:12], v51 offset:1088
	s_waitcnt vmcnt(55) lgkmcnt(1)
	v_mul_f64 v[70:71], v[1:2], v[25:26]
	v_mul_f64 v[25:26], v[3:4], v[25:26]
	s_waitcnt vmcnt(54)
	v_fma_f64 v[82:83], v[5:6], v[173:174], -v[82:83]
	v_add_f64 v[13:14], v[13:14], v[76:77]
	v_fma_f64 v[76:77], v[7:8], v[173:174], v[78:79]
	v_add_f64 v[15:16], v[15:16], v[58:59]
	s_clause 0x1
	buffer_load_dword v59, off, s[0:3], 0 offset:660
	buffer_load_dword v58, off, s[0:3], 0 offset:656
	ds_read_b128 v[5:8], v51 offset:1104
	s_waitcnt vmcnt(55) lgkmcnt(1)
	v_mul_f64 v[78:79], v[9:10], v[62:63]
	v_mul_f64 v[62:63], v[11:12], v[62:63]
	s_waitcnt vmcnt(53)
	v_fma_f64 v[25:26], v[1:2], v[19:20], -v[25:26]
	v_fma_f64 v[19:20], v[3:4], v[19:20], v[70:71]
	ds_read_b128 v[1:4], v51 offset:1120
	v_add_f64 v[13:14], v[13:14], v[82:83]
	v_add_f64 v[15:16], v[15:16], v[76:77]
	s_waitcnt vmcnt(49) lgkmcnt(1)
	v_mul_f64 v[70:71], v[5:6], v[52:53]
	v_mul_f64 v[52:53], v[7:8], v[52:53]
	s_waitcnt vmcnt(48)
	v_fma_f64 v[62:63], v[9:10], v[169:170], -v[62:63]
	v_add_f64 v[13:14], v[13:14], v[25:26]
	v_fma_f64 v[25:26], v[11:12], v[169:170], v[78:79]
	v_add_f64 v[15:16], v[15:16], v[19:20]
	s_clause 0x3
	buffer_load_dword v19, off, s[0:3], 0 offset:112
	buffer_load_dword v20, off, s[0:3], 0 offset:116
	buffer_load_dword v76, off, s[0:3], 0 offset:120
	buffer_load_dword v77, off, s[0:3], 0 offset:124
	ds_read_b128 v[9:12], v51 offset:1136
	s_waitcnt vmcnt(51) lgkmcnt(1)
	v_mul_f64 v[78:79], v[1:2], v[54:55]
	v_mul_f64 v[54:55], v[3:4], v[54:55]
	s_waitcnt vmcnt(49)
	v_fma_f64 v[52:53], v[5:6], v[21:22], -v[52:53]
	v_fma_f64 v[21:22], v[7:8], v[21:22], v[70:71]
	ds_read_b128 v[5:8], v51 offset:1152
	v_add_f64 v[13:14], v[13:14], v[62:63]
	v_add_f64 v[15:16], v[15:16], v[25:26]
	s_waitcnt vmcnt(45) lgkmcnt(1)
	v_mul_f64 v[25:26], v[9:10], v[17:18]
	v_mul_f64 v[17:18], v[11:12], v[17:18]
	s_waitcnt vmcnt(44)
	v_fma_f64 v[54:55], v[1:2], v[64:65], -v[54:55]
	v_add_f64 v[13:14], v[13:14], v[52:53]
	v_fma_f64 v[52:53], v[3:4], v[64:65], v[78:79]
	v_add_f64 v[15:16], v[15:16], v[21:22]
	ds_read_b128 v[1:4], v51 offset:1168
	s_waitcnt vmcnt(43) lgkmcnt(1)
	v_mul_f64 v[21:22], v[5:6], v[37:38]
	v_mul_f64 v[37:38], v[7:8], v[37:38]
	s_waitcnt vmcnt(41)
	v_fma_f64 v[17:18], v[9:10], v[27:28], -v[17:18]
	v_fma_f64 v[25:26], v[11:12], v[27:28], v[25:26]
	ds_read_b128 v[9:12], v51 offset:1184
	v_add_f64 v[13:14], v[13:14], v[54:55]
	v_add_f64 v[15:16], v[15:16], v[52:53]
	s_waitcnt vmcnt(37) lgkmcnt(1)
	v_mul_f64 v[27:28], v[1:2], v[23:24]
	v_mul_f64 v[23:24], v[3:4], v[23:24]
	s_waitcnt vmcnt(36)
	v_fma_f64 v[37:38], v[5:6], v[56:57], -v[37:38]
	v_add_f64 v[13:14], v[13:14], v[17:18]
	v_fma_f64 v[17:18], v[7:8], v[56:57], v[21:22]
	v_add_f64 v[15:16], v[15:16], v[25:26]
	s_waitcnt vmcnt(35) lgkmcnt(0)
	v_mul_f64 v[25:26], v[11:12], v[43:44]
	ds_read_b128 v[5:8], v51 offset:1200
	v_mul_f64 v[21:22], v[9:10], v[43:44]
	s_waitcnt vmcnt(33)
	v_fma_f64 v[27:28], v[3:4], v[33:34], v[27:28]
	v_fma_f64 v[23:24], v[1:2], v[33:34], -v[23:24]
	ds_read_b128 v[1:4], v51 offset:1216
	v_add_f64 v[13:14], v[13:14], v[37:38]
	v_add_f64 v[15:16], v[15:16], v[17:18]
	s_waitcnt vmcnt(29) lgkmcnt(1)
	v_mul_f64 v[17:18], v[5:6], v[29:30]
	v_mul_f64 v[29:30], v[7:8], v[29:30]
	s_waitcnt vmcnt(28)
	v_fma_f64 v[25:26], v[9:10], v[45:46], -v[25:26]
	v_fma_f64 v[21:22], v[11:12], v[45:46], v[21:22]
	ds_read_b128 v[9:12], v51 offset:1232
	v_add_f64 v[13:14], v[13:14], v[23:24]
	v_add_f64 v[15:16], v[15:16], v[27:28]
	s_waitcnt vmcnt(27) lgkmcnt(1)
	v_mul_f64 v[27:28], v[3:4], v[66:67]
	v_mul_f64 v[23:24], v[1:2], v[66:67]
	s_waitcnt vmcnt(25)
	v_fma_f64 v[29:30], v[5:6], v[31:32], -v[29:30]
	v_fma_f64 v[17:18], v[7:8], v[31:32], v[17:18]
	ds_read_b128 v[5:8], v51 offset:1248
	v_add_f64 v[13:14], v[13:14], v[25:26]
	v_add_f64 v[15:16], v[15:16], v[21:22]
	s_waitcnt vmcnt(21) lgkmcnt(1)
	v_mul_f64 v[25:26], v[11:12], v[35:36]
	s_waitcnt vmcnt(20)
	v_fma_f64 v[27:28], v[1:2], v[68:69], -v[27:28]
	v_mul_f64 v[21:22], v[9:10], v[35:36]
	v_fma_f64 v[23:24], v[3:4], v[68:69], v[23:24]
	ds_read_b128 v[1:4], v51 offset:1264
	v_add_f64 v[13:14], v[13:14], v[29:30]
	v_add_f64 v[15:16], v[15:16], v[17:18]
	s_waitcnt vmcnt(19) lgkmcnt(1)
	v_mul_f64 v[29:30], v[7:8], v[72:73]
	v_mul_f64 v[17:18], v[5:6], v[72:73]
	s_waitcnt vmcnt(17)
	v_fma_f64 v[25:26], v[9:10], v[39:40], -v[25:26]
	v_fma_f64 v[21:22], v[11:12], v[39:40], v[21:22]
	ds_read_b128 v[9:12], v51 offset:1280
	v_add_f64 v[13:14], v[13:14], v[27:28]
	v_add_f64 v[15:16], v[15:16], v[23:24]
	s_waitcnt vmcnt(13) lgkmcnt(1)
	v_mul_f64 v[27:28], v[3:4], v[41:42]
	s_waitcnt vmcnt(12)
	v_fma_f64 v[29:30], v[5:6], v[74:75], -v[29:30]
	v_mul_f64 v[23:24], v[1:2], v[41:42]
	v_fma_f64 v[17:18], v[7:8], v[74:75], v[17:18]
	ds_read_b128 v[5:8], v51 offset:1296
	v_add_f64 v[13:14], v[13:14], v[25:26]
	v_add_f64 v[15:16], v[15:16], v[21:22]
	s_waitcnt vmcnt(11) lgkmcnt(1)
	v_mul_f64 v[25:26], v[11:12], v[80:81]
	v_mul_f64 v[21:22], v[9:10], v[80:81]
	s_waitcnt vmcnt(9)
	v_fma_f64 v[1:2], v[1:2], v[47:48], -v[27:28]
	v_fma_f64 v[3:4], v[3:4], v[47:48], v[23:24]
	v_add_f64 v[13:14], v[13:14], v[29:30]
	v_add_f64 v[15:16], v[15:16], v[17:18]
	s_waitcnt vmcnt(7) lgkmcnt(0)
	v_mul_f64 v[23:24], v[7:8], v[49:50]
	s_waitcnt vmcnt(6)
	v_fma_f64 v[9:10], v[9:10], v[167:168], -v[25:26]
	v_mul_f64 v[17:18], v[5:6], v[49:50]
	v_fma_f64 v[11:12], v[11:12], v[167:168], v[21:22]
	v_add_f64 v[1:2], v[13:14], v[1:2]
	v_add_f64 v[3:4], v[15:16], v[3:4]
	s_waitcnt vmcnt(4)
	v_fma_f64 v[5:6], v[5:6], v[58:59], -v[23:24]
	v_fma_f64 v[7:8], v[7:8], v[58:59], v[17:18]
	v_add_f64 v[1:2], v[1:2], v[9:10]
	v_add_f64 v[3:4], v[3:4], v[11:12]
	;; [unrolled: 1-line block ×4, first 2 shown]
	s_waitcnt vmcnt(2)
	v_add_f64 v[1:2], v[19:20], -v[1:2]
	s_waitcnt vmcnt(0)
	v_add_f64 v[3:4], v[76:77], -v[3:4]
	buffer_store_dword v2, off, s[0:3], 0 offset:116
	buffer_store_dword v1, off, s[0:3], 0 offset:112
	;; [unrolled: 1-line block ×4, first 2 shown]
	v_cmpx_lt_u32_e32 5, v0
	s_cbranch_execz .LBB40_249
; %bb.248:
	v_mov_b32_e32 v4, s48
	v_mov_b32_e32 v5, 0
	s_clause 0x3
	buffer_load_dword v1, v4, s[0:3], 0 offen
	buffer_load_dword v2, v4, s[0:3], 0 offen offset:4
	buffer_load_dword v3, v4, s[0:3], 0 offen offset:8
	;; [unrolled: 1-line block ×3, first 2 shown]
	buffer_store_dword v5, off, s[0:3], 0 offset:96
	buffer_store_dword v5, off, s[0:3], 0 offset:100
	;; [unrolled: 1-line block ×4, first 2 shown]
	s_waitcnt vmcnt(0)
	ds_write_b128 v61, v[1:4]
.LBB40_249:
	s_or_b32 exec_lo, exec_lo, s4
	s_waitcnt lgkmcnt(0)
	s_waitcnt_vscnt null, 0x0
	s_barrier
	buffer_gl0_inv
	s_clause 0x37
	buffer_load_dword v9, off, s[0:3], 0 offset:120
	buffer_load_dword v10, off, s[0:3], 0 offset:124
	;; [unrolled: 1-line block ×56, first 2 shown]
	v_mov_b32_e32 v62, 0
	s_mov_b32 s4, exec_lo
	ds_read_b128 v[63:66], v62 offset:752
	s_clause 0x2
	buffer_load_dword v58, off, s[0:3], 0 offset:348
	buffer_load_dword v60, off, s[0:3], 0 offset:324
	;; [unrolled: 1-line block ×3, first 2 shown]
	ds_read_b128 v[67:70], v62 offset:768
	s_clause 0x4
	buffer_load_dword v78, off, s[0:3], 0 offset:364
	buffer_load_dword v79, off, s[0:3], 0 offset:376
	;; [unrolled: 1-line block ×5, first 2 shown]
	ds_read_b128 v[71:74], v62 offset:784
	s_clause 0x2
	buffer_load_dword v80, off, s[0:3], 0 offset:380
	buffer_load_dword v168, off, s[0:3], 0 offset:356
	;; [unrolled: 1-line block ×3, first 2 shown]
	s_waitcnt vmcnt(62) lgkmcnt(2)
	v_mul_f64 v[75:76], v[65:66], v[9:10]
	v_mul_f64 v[9:10], v[63:64], v[9:10]
	s_waitcnt lgkmcnt(1)
	v_mul_f64 v[82:83], v[69:70], v[5:6]
	s_waitcnt vmcnt(59) lgkmcnt(0)
	v_mul_f64 v[169:170], v[73:74], v[3:4]
	v_fma_f64 v[63:64], v[63:64], v[7:8], -v[75:76]
	v_mul_f64 v[75:76], v[67:68], v[5:6]
	v_fma_f64 v[9:10], v[65:66], v[7:8], v[9:10]
	s_waitcnt vmcnt(57)
	v_fma_f64 v[67:68], v[67:68], v[1:2], -v[82:83]
	ds_read_b128 v[5:8], v62 offset:800
	v_mul_f64 v[65:66], v[71:72], v[3:4]
	s_waitcnt vmcnt(51)
	v_fma_f64 v[71:72], v[71:72], v[25:26], -v[169:170]
	v_add_f64 v[63:64], v[63:64], 0
	v_fma_f64 v[69:70], v[69:70], v[1:2], v[75:76]
	v_add_f64 v[9:10], v[9:10], 0
	s_clause 0x4
	buffer_load_dword v76, off, s[0:3], 0 offset:396
	buffer_load_dword v83, off, s[0:3], 0 offset:408
	buffer_load_dword v171, off, s[0:3], 0 offset:400
	buffer_load_dword v75, off, s[0:3], 0 offset:392
	buffer_load_dword v82, off, s[0:3], 0 offset:372
	s_waitcnt lgkmcnt(0)
	v_mul_f64 v[172:173], v[5:6], v[13:14]
	v_mul_f64 v[13:14], v[7:8], v[13:14]
	ds_read_b128 v[1:4], v62 offset:816
	v_fma_f64 v[25:26], v[73:74], v[25:26], v[65:66]
	v_add_f64 v[67:68], v[63:64], v[67:68]
	v_add_f64 v[9:10], v[9:10], v[69:70]
	s_clause 0x2
	buffer_load_dword v84, off, s[0:3], 0 offset:412
	buffer_load_dword v70, off, s[0:3], 0 offset:388
	;; [unrolled: 1-line block ×3, first 2 shown]
	s_waitcnt vmcnt(58) lgkmcnt(0)
	v_mul_f64 v[73:74], v[1:2], v[17:18]
	v_mul_f64 v[17:18], v[3:4], v[17:18]
	s_waitcnt vmcnt(56)
	v_fma_f64 v[13:14], v[5:6], v[19:20], -v[13:14]
	ds_read_b128 v[63:66], v62 offset:832
	v_fma_f64 v[19:20], v[7:8], v[19:20], v[172:173]
	v_add_f64 v[67:68], v[67:68], v[71:72]
	v_add_f64 v[9:10], v[9:10], v[25:26]
	s_clause 0x4
	buffer_load_dword v26, off, s[0:3], 0 offset:428
	buffer_load_dword v71, off, s[0:3], 0 offset:440
	buffer_load_dword v169, off, s[0:3], 0 offset:432
	buffer_load_dword v25, off, s[0:3], 0 offset:424
	buffer_load_dword v172, off, s[0:3], 0 offset:404
	ds_read_b128 v[5:8], v62 offset:848
	s_waitcnt vmcnt(57) lgkmcnt(1)
	v_mul_f64 v[173:174], v[63:64], v[21:22]
	v_mul_f64 v[21:22], v[65:66], v[21:22]
	s_waitcnt vmcnt(56)
	v_fma_f64 v[17:18], v[1:2], v[11:12], -v[17:18]
	v_fma_f64 v[11:12], v[3:4], v[11:12], v[73:74]
	v_add_f64 v[13:14], v[67:68], v[13:14]
	v_add_f64 v[9:10], v[9:10], v[19:20]
	s_clause 0x2
	buffer_load_dword v72, off, s[0:3], 0 offset:444
	buffer_load_dword v20, off, s[0:3], 0 offset:420
	;; [unrolled: 1-line block ×3, first 2 shown]
	s_waitcnt vmcnt(58) lgkmcnt(0)
	v_mul_f64 v[67:68], v[5:6], v[27:28]
	v_mul_f64 v[27:28], v[7:8], v[27:28]
	s_waitcnt vmcnt(56)
	v_fma_f64 v[21:22], v[63:64], v[29:30], -v[21:22]
	ds_read_b128 v[1:4], v62 offset:864
	v_add_f64 v[13:14], v[13:14], v[17:18]
	v_fma_f64 v[17:18], v[65:66], v[29:30], v[173:174]
	v_add_f64 v[29:30], v[9:10], v[11:12]
	s_clause 0x4
	buffer_load_dword v64, off, s[0:3], 0 offset:460
	buffer_load_dword v65, off, s[0:3], 0 offset:472
	;; [unrolled: 1-line block ×5, first 2 shown]
	ds_read_b128 v[9:12], v62 offset:880
	s_waitcnt vmcnt(57) lgkmcnt(1)
	v_mul_f64 v[173:174], v[1:2], v[31:32]
	v_mul_f64 v[31:32], v[3:4], v[31:32]
	s_waitcnt vmcnt(56)
	v_fma_f64 v[27:28], v[5:6], v[15:16], -v[27:28]
	v_fma_f64 v[15:16], v[7:8], v[15:16], v[67:68]
	v_add_f64 v[13:14], v[13:14], v[21:22]
	s_clause 0x2
	buffer_load_dword v66, off, s[0:3], 0 offset:476
	buffer_load_dword v22, off, s[0:3], 0 offset:452
	;; [unrolled: 1-line block ×3, first 2 shown]
	v_add_f64 v[17:18], v[29:30], v[17:18]
	s_waitcnt vmcnt(58) lgkmcnt(0)
	v_mul_f64 v[29:30], v[9:10], v[35:36]
	v_mul_f64 v[35:36], v[11:12], v[35:36]
	ds_read_b128 v[5:8], v62 offset:896
	s_waitcnt vmcnt(56)
	v_fma_f64 v[31:32], v[1:2], v[37:38], -v[31:32]
	v_add_f64 v[13:14], v[13:14], v[27:28]
	v_fma_f64 v[27:28], v[3:4], v[37:38], v[173:174]
	v_add_f64 v[15:16], v[17:18], v[15:16]
	s_clause 0x4
	buffer_load_dword v18, off, s[0:3], 0 offset:492
	buffer_load_dword v37, off, s[0:3], 0 offset:504
	;; [unrolled: 1-line block ×5, first 2 shown]
	s_waitcnt vmcnt(57) lgkmcnt(0)
	v_mul_f64 v[173:174], v[5:6], v[39:40]
	v_mul_f64 v[39:40], v[7:8], v[39:40]
	s_waitcnt vmcnt(56)
	v_fma_f64 v[35:36], v[9:10], v[23:24], -v[35:36]
	ds_read_b128 v[1:4], v62 offset:912
	v_fma_f64 v[23:24], v[11:12], v[23:24], v[29:30]
	v_add_f64 v[13:14], v[13:14], v[31:32]
	v_add_f64 v[15:16], v[15:16], v[27:28]
	s_clause 0x2
	buffer_load_dword v38, off, s[0:3], 0 offset:508
	buffer_load_dword v28, off, s[0:3], 0 offset:484
	;; [unrolled: 1-line block ×3, first 2 shown]
	ds_read_b128 v[9:12], v62 offset:928
	s_waitcnt vmcnt(58) lgkmcnt(1)
	v_mul_f64 v[31:32], v[3:4], v[43:44]
	s_waitcnt vmcnt(56)
	v_fma_f64 v[39:40], v[5:6], v[45:46], -v[39:40]
	v_mul_f64 v[29:30], v[1:2], v[43:44]
	v_add_f64 v[13:14], v[13:14], v[35:36]
	v_fma_f64 v[35:36], v[7:8], v[45:46], v[173:174]
	v_add_f64 v[15:16], v[15:16], v[23:24]
	s_clause 0x4
	buffer_load_dword v24, off, s[0:3], 0 offset:524
	buffer_load_dword v43, off, s[0:3], 0 offset:536
	;; [unrolled: 1-line block ×5, first 2 shown]
	s_waitcnt vmcnt(57) lgkmcnt(0)
	v_mul_f64 v[173:174], v[9:10], v[47:48]
	v_mul_f64 v[46:47], v[11:12], v[47:48]
	s_waitcnt vmcnt(56)
	v_fma_f64 v[31:32], v[1:2], v[33:34], -v[31:32]
	ds_read_b128 v[5:8], v62 offset:944
	v_fma_f64 v[29:30], v[3:4], v[33:34], v[29:30]
	s_clause 0x2
	buffer_load_dword v44, off, s[0:3], 0 offset:540
	buffer_load_dword v34, off, s[0:3], 0 offset:516
	;; [unrolled: 1-line block ×3, first 2 shown]
	ds_read_b128 v[1:4], v62 offset:960
	v_add_f64 v[13:14], v[13:14], v[39:40]
	v_add_f64 v[15:16], v[15:16], v[35:36]
	s_waitcnt vmcnt(58) lgkmcnt(1)
	v_mul_f64 v[39:40], v[7:8], v[51:52]
	s_waitcnt vmcnt(56)
	v_fma_f64 v[47:48], v[9:10], v[53:54], -v[46:47]
	v_mul_f64 v[35:36], v[5:6], v[51:52]
	v_add_f64 v[13:14], v[13:14], v[31:32]
	v_fma_f64 v[31:32], v[11:12], v[53:54], v[173:174]
	v_add_f64 v[15:16], v[15:16], v[29:30]
	s_clause 0x4
	buffer_load_dword v30, off, s[0:3], 0 offset:556
	buffer_load_dword v51, off, s[0:3], 0 offset:568
	;; [unrolled: 1-line block ×5, first 2 shown]
	s_waitcnt vmcnt(57) lgkmcnt(0)
	v_mul_f64 v[173:174], v[1:2], v[55:56]
	v_mul_f64 v[54:55], v[3:4], v[55:56]
	s_waitcnt vmcnt(56)
	v_fma_f64 v[39:40], v[5:6], v[41:42], -v[39:40]
	ds_read_b128 v[9:12], v62 offset:976
	v_fma_f64 v[35:36], v[7:8], v[41:42], v[35:36]
	v_add_f64 v[13:14], v[13:14], v[47:48]
	v_add_f64 v[15:16], v[15:16], v[31:32]
	s_clause 0x2
	buffer_load_dword v52, off, s[0:3], 0 offset:572
	buffer_load_dword v32, off, s[0:3], 0 offset:548
	;; [unrolled: 1-line block ×3, first 2 shown]
	ds_read_b128 v[5:8], v62 offset:992
	s_waitcnt vmcnt(58) lgkmcnt(1)
	v_mul_f64 v[47:48], v[11:12], v[57:58]
	s_waitcnt vmcnt(56)
	v_fma_f64 v[55:56], v[1:2], v[59:60], -v[54:55]
	v_mul_f64 v[41:42], v[9:10], v[57:58]
	v_add_f64 v[13:14], v[13:14], v[39:40]
	v_fma_f64 v[39:40], v[3:4], v[59:60], v[173:174]
	v_add_f64 v[15:16], v[15:16], v[35:36]
	s_clause 0x4
	buffer_load_dword v36, off, s[0:3], 0 offset:588
	buffer_load_dword v57, off, s[0:3], 0 offset:600
	;; [unrolled: 1-line block ×5, first 2 shown]
	s_waitcnt vmcnt(57) lgkmcnt(0)
	v_mul_f64 v[173:174], v[5:6], v[77:78]
	v_mul_f64 v[77:78], v[7:8], v[77:78]
	s_waitcnt vmcnt(56)
	v_fma_f64 v[47:48], v[9:10], v[49:50], -v[47:48]
	ds_read_b128 v[1:4], v62 offset:1008
	v_fma_f64 v[41:42], v[11:12], v[49:50], v[41:42]
	v_add_f64 v[13:14], v[13:14], v[55:56]
	v_add_f64 v[15:16], v[15:16], v[39:40]
	s_clause 0x2
	buffer_load_dword v58, off, s[0:3], 0 offset:604
	buffer_load_dword v40, off, s[0:3], 0 offset:580
	buffer_load_dword v39, off, s[0:3], 0 offset:576
	ds_read_b128 v[9:12], v62 offset:1024
	s_waitcnt vmcnt(58) lgkmcnt(1)
	v_mul_f64 v[55:56], v[3:4], v[79:80]
	s_waitcnt vmcnt(56)
	v_fma_f64 v[77:78], v[5:6], v[167:168], -v[77:78]
	v_mul_f64 v[49:50], v[1:2], v[79:80]
	v_add_f64 v[13:14], v[13:14], v[47:48]
	v_fma_f64 v[47:48], v[7:8], v[167:168], v[173:174]
	v_add_f64 v[15:16], v[15:16], v[41:42]
	s_clause 0x4
	buffer_load_dword v42, off, s[0:3], 0 offset:620
	buffer_load_dword v79, off, s[0:3], 0 offset:632
	;; [unrolled: 1-line block ×5, first 2 shown]
	ds_read_b128 v[5:8], v62 offset:1040
	s_waitcnt vmcnt(57) lgkmcnt(1)
	v_mul_f64 v[173:174], v[9:10], v[75:76]
	v_mul_f64 v[75:76], v[11:12], v[75:76]
	s_waitcnt vmcnt(56)
	v_fma_f64 v[55:56], v[1:2], v[81:82], -v[55:56]
	v_fma_f64 v[49:50], v[3:4], v[81:82], v[49:50]
	v_add_f64 v[13:14], v[13:14], v[77:78]
	v_add_f64 v[15:16], v[15:16], v[47:48]
	s_clause 0x2
	buffer_load_dword v80, off, s[0:3], 0 offset:636
	buffer_load_dword v48, off, s[0:3], 0 offset:612
	;; [unrolled: 1-line block ×3, first 2 shown]
	ds_read_b128 v[1:4], v62 offset:1056
	s_waitcnt vmcnt(58) lgkmcnt(1)
	v_mul_f64 v[81:82], v[7:8], v[83:84]
	v_mul_f64 v[77:78], v[5:6], v[83:84]
	s_waitcnt vmcnt(56)
	v_fma_f64 v[75:76], v[9:10], v[69:70], -v[75:76]
	v_add_f64 v[13:14], v[13:14], v[55:56]
	v_fma_f64 v[55:56], v[11:12], v[69:70], v[173:174]
	v_add_f64 v[15:16], v[15:16], v[49:50]
	s_clause 0x4
	buffer_load_dword v50, off, s[0:3], 0 offset:652
	buffer_load_dword v69, off, s[0:3], 0 offset:664
	;; [unrolled: 1-line block ×5, first 2 shown]
	ds_read_b128 v[9:12], v62 offset:1072
	s_waitcnt vmcnt(57) lgkmcnt(1)
	v_mul_f64 v[173:174], v[1:2], v[25:26]
	v_mul_f64 v[25:26], v[3:4], v[25:26]
	s_waitcnt vmcnt(56)
	v_fma_f64 v[81:82], v[5:6], v[171:172], -v[81:82]
	v_add_f64 v[13:14], v[13:14], v[75:76]
	v_fma_f64 v[75:76], v[7:8], v[171:172], v[77:78]
	v_add_f64 v[15:16], v[15:16], v[55:56]
	s_clause 0x2
	buffer_load_dword v70, off, s[0:3], 0 offset:668
	buffer_load_dword v56, off, s[0:3], 0 offset:644
	;; [unrolled: 1-line block ×3, first 2 shown]
	ds_read_b128 v[5:8], v62 offset:1088
	buffer_load_dword v84, off, s[0:3], 0 offset:660
	s_waitcnt vmcnt(59) lgkmcnt(1)
	v_mul_f64 v[77:78], v[9:10], v[71:72]
	v_mul_f64 v[71:72], v[11:12], v[71:72]
	s_waitcnt vmcnt(57)
	v_fma_f64 v[25:26], v[1:2], v[19:20], -v[25:26]
	v_fma_f64 v[19:20], v[3:4], v[19:20], v[173:174]
	ds_read_b128 v[1:4], v62 offset:1104
	v_add_f64 v[13:14], v[13:14], v[81:82]
	v_add_f64 v[15:16], v[15:16], v[75:76]
	s_waitcnt vmcnt(53) lgkmcnt(1)
	v_mul_f64 v[75:76], v[5:6], v[63:64]
	v_mul_f64 v[63:64], v[7:8], v[63:64]
	s_waitcnt vmcnt(52)
	v_fma_f64 v[71:72], v[9:10], v[169:170], -v[71:72]
	v_add_f64 v[13:14], v[13:14], v[25:26]
	v_fma_f64 v[25:26], v[11:12], v[169:170], v[77:78]
	v_add_f64 v[15:16], v[15:16], v[19:20]
	ds_read_b128 v[9:12], v62 offset:1120
	s_waitcnt vmcnt(51) lgkmcnt(1)
	v_mul_f64 v[19:20], v[1:2], v[65:66]
	v_mul_f64 v[65:66], v[3:4], v[65:66]
	s_waitcnt vmcnt(49)
	v_fma_f64 v[63:64], v[5:6], v[21:22], -v[63:64]
	v_fma_f64 v[21:22], v[7:8], v[21:22], v[75:76]
	v_add_f64 v[13:14], v[13:14], v[71:72]
	v_add_f64 v[15:16], v[15:16], v[25:26]
	s_clause 0x3
	buffer_load_dword v25, off, s[0:3], 0 offset:96
	buffer_load_dword v26, off, s[0:3], 0 offset:100
	buffer_load_dword v71, off, s[0:3], 0 offset:104
	buffer_load_dword v72, off, s[0:3], 0 offset:108
	ds_read_b128 v[5:8], v62 offset:1136
	s_waitcnt vmcnt(49) lgkmcnt(1)
	v_mul_f64 v[75:76], v[9:10], v[17:18]
	v_mul_f64 v[17:18], v[11:12], v[17:18]
	s_waitcnt vmcnt(48)
	v_fma_f64 v[65:66], v[1:2], v[73:74], -v[65:66]
	v_fma_f64 v[19:20], v[3:4], v[73:74], v[19:20]
	ds_read_b128 v[1:4], v62 offset:1152
	v_add_f64 v[13:14], v[13:14], v[63:64]
	v_add_f64 v[15:16], v[15:16], v[21:22]
	s_waitcnt vmcnt(47) lgkmcnt(1)
	v_mul_f64 v[21:22], v[5:6], v[37:38]
	v_mul_f64 v[37:38], v[7:8], v[37:38]
	s_waitcnt vmcnt(45)
	v_fma_f64 v[17:18], v[9:10], v[27:28], -v[17:18]
	v_fma_f64 v[27:28], v[11:12], v[27:28], v[75:76]
	ds_read_b128 v[9:12], v62 offset:1168
	v_add_f64 v[13:14], v[13:14], v[65:66]
	v_add_f64 v[15:16], v[15:16], v[19:20]
	s_waitcnt vmcnt(41) lgkmcnt(1)
	v_mul_f64 v[19:20], v[1:2], v[23:24]
	v_mul_f64 v[23:24], v[3:4], v[23:24]
	s_waitcnt vmcnt(40)
	v_fma_f64 v[37:38], v[5:6], v[67:68], -v[37:38]
	v_add_f64 v[13:14], v[13:14], v[17:18]
	v_fma_f64 v[17:18], v[7:8], v[67:68], v[21:22]
	v_add_f64 v[15:16], v[15:16], v[27:28]
	ds_read_b128 v[5:8], v62 offset:1184
	s_waitcnt vmcnt(39) lgkmcnt(1)
	v_mul_f64 v[27:28], v[11:12], v[43:44]
	v_mul_f64 v[21:22], v[9:10], v[43:44]
	s_waitcnt vmcnt(37)
	v_fma_f64 v[19:20], v[3:4], v[33:34], v[19:20]
	v_fma_f64 v[23:24], v[1:2], v[33:34], -v[23:24]
	ds_read_b128 v[1:4], v62 offset:1200
	v_add_f64 v[13:14], v[13:14], v[37:38]
	v_add_f64 v[15:16], v[15:16], v[17:18]
	s_waitcnt vmcnt(33) lgkmcnt(1)
	v_mul_f64 v[17:18], v[5:6], v[29:30]
	v_mul_f64 v[29:30], v[7:8], v[29:30]
	s_waitcnt vmcnt(32)
	v_fma_f64 v[27:28], v[9:10], v[45:46], -v[27:28]
	v_fma_f64 v[21:22], v[11:12], v[45:46], v[21:22]
	ds_read_b128 v[9:12], v62 offset:1216
	v_add_f64 v[13:14], v[13:14], v[23:24]
	v_add_f64 v[15:16], v[15:16], v[19:20]
	s_waitcnt vmcnt(31) lgkmcnt(1)
	v_mul_f64 v[23:24], v[3:4], v[51:52]
	v_mul_f64 v[19:20], v[1:2], v[51:52]
	s_waitcnt vmcnt(29)
	v_fma_f64 v[29:30], v[5:6], v[31:32], -v[29:30]
	v_fma_f64 v[17:18], v[7:8], v[31:32], v[17:18]
	ds_read_b128 v[5:8], v62 offset:1232
	v_add_f64 v[13:14], v[13:14], v[27:28]
	v_add_f64 v[15:16], v[15:16], v[21:22]
	s_waitcnt vmcnt(25) lgkmcnt(1)
	v_mul_f64 v[27:28], v[11:12], v[35:36]
	s_waitcnt vmcnt(24)
	v_fma_f64 v[23:24], v[1:2], v[53:54], -v[23:24]
	v_mul_f64 v[21:22], v[9:10], v[35:36]
	v_fma_f64 v[19:20], v[3:4], v[53:54], v[19:20]
	ds_read_b128 v[1:4], v62 offset:1248
	v_add_f64 v[13:14], v[13:14], v[29:30]
	v_add_f64 v[15:16], v[15:16], v[17:18]
	s_waitcnt vmcnt(23) lgkmcnt(1)
	v_mul_f64 v[29:30], v[7:8], v[57:58]
	v_mul_f64 v[17:18], v[5:6], v[57:58]
	s_waitcnt vmcnt(21)
	v_fma_f64 v[27:28], v[9:10], v[39:40], -v[27:28]
	v_fma_f64 v[21:22], v[11:12], v[39:40], v[21:22]
	ds_read_b128 v[9:12], v62 offset:1264
	v_add_f64 v[13:14], v[13:14], v[23:24]
	v_add_f64 v[15:16], v[15:16], v[19:20]
	s_waitcnt vmcnt(17) lgkmcnt(1)
	v_mul_f64 v[23:24], v[3:4], v[41:42]
	s_waitcnt vmcnt(16)
	v_fma_f64 v[29:30], v[5:6], v[59:60], -v[29:30]
	v_mul_f64 v[19:20], v[1:2], v[41:42]
	;; [unrolled: 18-line block ×3, first 2 shown]
	v_fma_f64 v[11:12], v[11:12], v[167:168], v[21:22]
	v_add_f64 v[13:14], v[13:14], v[23:24]
	v_add_f64 v[15:16], v[15:16], v[19:20]
	s_waitcnt vmcnt(7) lgkmcnt(0)
	v_mul_f64 v[21:22], v[3:4], v[69:70]
	v_mul_f64 v[19:20], v[1:2], v[69:70]
	s_waitcnt vmcnt(5)
	v_fma_f64 v[5:6], v[5:6], v[55:56], -v[29:30]
	v_fma_f64 v[7:8], v[7:8], v[55:56], v[17:18]
	v_add_f64 v[9:10], v[13:14], v[9:10]
	v_add_f64 v[11:12], v[15:16], v[11:12]
	s_waitcnt vmcnt(4)
	v_fma_f64 v[1:2], v[1:2], v[83:84], -v[21:22]
	v_fma_f64 v[3:4], v[3:4], v[83:84], v[19:20]
	v_add_f64 v[5:6], v[9:10], v[5:6]
	v_add_f64 v[7:8], v[11:12], v[7:8]
	v_add_f64 v[1:2], v[5:6], v[1:2]
	v_add_f64 v[3:4], v[7:8], v[3:4]
	s_waitcnt vmcnt(2)
	v_add_f64 v[1:2], v[25:26], -v[1:2]
	s_waitcnt vmcnt(0)
	v_add_f64 v[3:4], v[71:72], -v[3:4]
	buffer_store_dword v2, off, s[0:3], 0 offset:100
	buffer_store_dword v1, off, s[0:3], 0 offset:96
	;; [unrolled: 1-line block ×4, first 2 shown]
	v_cmpx_lt_u32_e32 4, v0
	s_cbranch_execz .LBB40_251
; %bb.250:
	v_mov_b32_e32 v4, s49
	s_clause 0x3
	buffer_load_dword v1, v4, s[0:3], 0 offen
	buffer_load_dword v2, v4, s[0:3], 0 offen offset:4
	buffer_load_dword v3, v4, s[0:3], 0 offen offset:8
	;; [unrolled: 1-line block ×3, first 2 shown]
	buffer_store_dword v62, off, s[0:3], 0 offset:80
	buffer_store_dword v62, off, s[0:3], 0 offset:84
	;; [unrolled: 1-line block ×4, first 2 shown]
	s_waitcnt vmcnt(0)
	ds_write_b128 v61, v[1:4]
.LBB40_251:
	s_or_b32 exec_lo, exec_lo, s4
	s_waitcnt lgkmcnt(0)
	s_waitcnt_vscnt null, 0x0
	s_barrier
	buffer_gl0_inv
	s_clause 0x37
	buffer_load_dword v9, off, s[0:3], 0 offset:104
	buffer_load_dword v10, off, s[0:3], 0 offset:108
	;; [unrolled: 1-line block ×56, first 2 shown]
	ds_read_b128 v[63:66], v62 offset:736
	s_clause 0x2
	buffer_load_dword v58, off, s[0:3], 0 offset:332
	buffer_load_dword v60, off, s[0:3], 0 offset:308
	;; [unrolled: 1-line block ×3, first 2 shown]
	ds_read_b128 v[67:70], v62 offset:752
	s_clause 0x4
	buffer_load_dword v78, off, s[0:3], 0 offset:348
	buffer_load_dword v79, off, s[0:3], 0 offset:360
	;; [unrolled: 1-line block ×5, first 2 shown]
	ds_read_b128 v[71:74], v62 offset:768
	s_clause 0x2
	buffer_load_dword v80, off, s[0:3], 0 offset:364
	buffer_load_dword v168, off, s[0:3], 0 offset:340
	buffer_load_dword v167, off, s[0:3], 0 offset:336
	s_mov_b32 s4, exec_lo
	s_waitcnt vmcnt(62) lgkmcnt(2)
	v_mul_f64 v[75:76], v[65:66], v[9:10]
	v_mul_f64 v[9:10], v[63:64], v[9:10]
	s_waitcnt lgkmcnt(1)
	v_mul_f64 v[82:83], v[69:70], v[5:6]
	s_waitcnt vmcnt(59) lgkmcnt(0)
	v_mul_f64 v[169:170], v[73:74], v[3:4]
	v_fma_f64 v[63:64], v[63:64], v[7:8], -v[75:76]
	v_mul_f64 v[75:76], v[67:68], v[5:6]
	v_fma_f64 v[9:10], v[65:66], v[7:8], v[9:10]
	s_waitcnt vmcnt(57)
	v_fma_f64 v[67:68], v[67:68], v[1:2], -v[82:83]
	ds_read_b128 v[5:8], v62 offset:784
	v_mul_f64 v[65:66], v[71:72], v[3:4]
	s_waitcnt vmcnt(51)
	v_fma_f64 v[71:72], v[71:72], v[25:26], -v[169:170]
	v_add_f64 v[63:64], v[63:64], 0
	v_fma_f64 v[69:70], v[69:70], v[1:2], v[75:76]
	v_add_f64 v[9:10], v[9:10], 0
	s_clause 0x4
	buffer_load_dword v76, off, s[0:3], 0 offset:380
	buffer_load_dword v83, off, s[0:3], 0 offset:392
	;; [unrolled: 1-line block ×5, first 2 shown]
	s_waitcnt lgkmcnt(0)
	v_mul_f64 v[172:173], v[5:6], v[13:14]
	v_mul_f64 v[13:14], v[7:8], v[13:14]
	ds_read_b128 v[1:4], v62 offset:800
	v_fma_f64 v[25:26], v[73:74], v[25:26], v[65:66]
	v_add_f64 v[67:68], v[63:64], v[67:68]
	v_add_f64 v[9:10], v[9:10], v[69:70]
	s_clause 0x2
	buffer_load_dword v84, off, s[0:3], 0 offset:396
	buffer_load_dword v70, off, s[0:3], 0 offset:372
	;; [unrolled: 1-line block ×3, first 2 shown]
	s_waitcnt vmcnt(58) lgkmcnt(0)
	v_mul_f64 v[73:74], v[1:2], v[17:18]
	v_mul_f64 v[17:18], v[3:4], v[17:18]
	s_waitcnt vmcnt(56)
	v_fma_f64 v[13:14], v[5:6], v[19:20], -v[13:14]
	ds_read_b128 v[63:66], v62 offset:816
	v_fma_f64 v[19:20], v[7:8], v[19:20], v[172:173]
	v_add_f64 v[67:68], v[67:68], v[71:72]
	v_add_f64 v[9:10], v[9:10], v[25:26]
	s_clause 0x4
	buffer_load_dword v26, off, s[0:3], 0 offset:412
	buffer_load_dword v71, off, s[0:3], 0 offset:424
	;; [unrolled: 1-line block ×5, first 2 shown]
	ds_read_b128 v[5:8], v62 offset:832
	s_waitcnt vmcnt(57) lgkmcnt(1)
	v_mul_f64 v[173:174], v[63:64], v[21:22]
	v_mul_f64 v[21:22], v[65:66], v[21:22]
	s_waitcnt vmcnt(56)
	v_fma_f64 v[17:18], v[1:2], v[11:12], -v[17:18]
	v_fma_f64 v[11:12], v[3:4], v[11:12], v[73:74]
	v_add_f64 v[13:14], v[67:68], v[13:14]
	v_add_f64 v[9:10], v[9:10], v[19:20]
	s_clause 0x2
	buffer_load_dword v72, off, s[0:3], 0 offset:428
	buffer_load_dword v20, off, s[0:3], 0 offset:404
	;; [unrolled: 1-line block ×3, first 2 shown]
	s_waitcnt vmcnt(58) lgkmcnt(0)
	v_mul_f64 v[67:68], v[5:6], v[27:28]
	v_mul_f64 v[27:28], v[7:8], v[27:28]
	s_waitcnt vmcnt(56)
	v_fma_f64 v[21:22], v[63:64], v[29:30], -v[21:22]
	ds_read_b128 v[1:4], v62 offset:848
	v_add_f64 v[13:14], v[13:14], v[17:18]
	v_fma_f64 v[17:18], v[65:66], v[29:30], v[173:174]
	v_add_f64 v[29:30], v[9:10], v[11:12]
	s_clause 0x4
	buffer_load_dword v64, off, s[0:3], 0 offset:444
	buffer_load_dword v65, off, s[0:3], 0 offset:456
	;; [unrolled: 1-line block ×5, first 2 shown]
	ds_read_b128 v[9:12], v62 offset:864
	s_waitcnt vmcnt(57) lgkmcnt(1)
	v_mul_f64 v[173:174], v[1:2], v[31:32]
	v_mul_f64 v[31:32], v[3:4], v[31:32]
	s_waitcnt vmcnt(56)
	v_fma_f64 v[27:28], v[5:6], v[15:16], -v[27:28]
	v_fma_f64 v[15:16], v[7:8], v[15:16], v[67:68]
	v_add_f64 v[13:14], v[13:14], v[21:22]
	s_clause 0x2
	buffer_load_dword v66, off, s[0:3], 0 offset:460
	buffer_load_dword v22, off, s[0:3], 0 offset:436
	;; [unrolled: 1-line block ×3, first 2 shown]
	v_add_f64 v[17:18], v[29:30], v[17:18]
	s_waitcnt vmcnt(58) lgkmcnt(0)
	v_mul_f64 v[29:30], v[9:10], v[35:36]
	v_mul_f64 v[35:36], v[11:12], v[35:36]
	ds_read_b128 v[5:8], v62 offset:880
	s_waitcnt vmcnt(56)
	v_fma_f64 v[31:32], v[1:2], v[37:38], -v[31:32]
	v_add_f64 v[13:14], v[13:14], v[27:28]
	v_fma_f64 v[27:28], v[3:4], v[37:38], v[173:174]
	v_add_f64 v[15:16], v[17:18], v[15:16]
	s_clause 0x4
	buffer_load_dword v18, off, s[0:3], 0 offset:476
	buffer_load_dword v37, off, s[0:3], 0 offset:488
	;; [unrolled: 1-line block ×5, first 2 shown]
	s_waitcnt vmcnt(57) lgkmcnt(0)
	v_mul_f64 v[173:174], v[5:6], v[39:40]
	v_mul_f64 v[39:40], v[7:8], v[39:40]
	s_waitcnt vmcnt(56)
	v_fma_f64 v[35:36], v[9:10], v[23:24], -v[35:36]
	ds_read_b128 v[1:4], v62 offset:896
	v_fma_f64 v[23:24], v[11:12], v[23:24], v[29:30]
	v_add_f64 v[13:14], v[13:14], v[31:32]
	v_add_f64 v[15:16], v[15:16], v[27:28]
	s_clause 0x2
	buffer_load_dword v38, off, s[0:3], 0 offset:492
	buffer_load_dword v28, off, s[0:3], 0 offset:468
	;; [unrolled: 1-line block ×3, first 2 shown]
	ds_read_b128 v[9:12], v62 offset:912
	s_waitcnt vmcnt(58) lgkmcnt(1)
	v_mul_f64 v[31:32], v[3:4], v[43:44]
	s_waitcnt vmcnt(56)
	v_fma_f64 v[39:40], v[5:6], v[45:46], -v[39:40]
	v_mul_f64 v[29:30], v[1:2], v[43:44]
	v_add_f64 v[13:14], v[13:14], v[35:36]
	v_fma_f64 v[35:36], v[7:8], v[45:46], v[173:174]
	v_add_f64 v[15:16], v[15:16], v[23:24]
	s_clause 0x4
	buffer_load_dword v24, off, s[0:3], 0 offset:508
	buffer_load_dword v43, off, s[0:3], 0 offset:520
	;; [unrolled: 1-line block ×5, first 2 shown]
	s_waitcnt vmcnt(57) lgkmcnt(0)
	v_mul_f64 v[173:174], v[9:10], v[47:48]
	v_mul_f64 v[46:47], v[11:12], v[47:48]
	s_waitcnt vmcnt(56)
	v_fma_f64 v[31:32], v[1:2], v[33:34], -v[31:32]
	ds_read_b128 v[5:8], v62 offset:928
	v_fma_f64 v[29:30], v[3:4], v[33:34], v[29:30]
	s_clause 0x2
	buffer_load_dword v44, off, s[0:3], 0 offset:524
	buffer_load_dword v34, off, s[0:3], 0 offset:500
	;; [unrolled: 1-line block ×3, first 2 shown]
	ds_read_b128 v[1:4], v62 offset:944
	v_add_f64 v[13:14], v[13:14], v[39:40]
	v_add_f64 v[15:16], v[15:16], v[35:36]
	s_waitcnt vmcnt(58) lgkmcnt(1)
	v_mul_f64 v[39:40], v[7:8], v[51:52]
	s_waitcnt vmcnt(56)
	v_fma_f64 v[47:48], v[9:10], v[53:54], -v[46:47]
	v_mul_f64 v[35:36], v[5:6], v[51:52]
	v_add_f64 v[13:14], v[13:14], v[31:32]
	v_fma_f64 v[31:32], v[11:12], v[53:54], v[173:174]
	v_add_f64 v[15:16], v[15:16], v[29:30]
	s_clause 0x4
	buffer_load_dword v30, off, s[0:3], 0 offset:540
	buffer_load_dword v51, off, s[0:3], 0 offset:552
	;; [unrolled: 1-line block ×5, first 2 shown]
	s_waitcnt vmcnt(57) lgkmcnt(0)
	v_mul_f64 v[173:174], v[1:2], v[55:56]
	v_mul_f64 v[54:55], v[3:4], v[55:56]
	s_waitcnt vmcnt(56)
	v_fma_f64 v[39:40], v[5:6], v[41:42], -v[39:40]
	ds_read_b128 v[9:12], v62 offset:960
	v_fma_f64 v[35:36], v[7:8], v[41:42], v[35:36]
	v_add_f64 v[13:14], v[13:14], v[47:48]
	v_add_f64 v[15:16], v[15:16], v[31:32]
	s_clause 0x2
	buffer_load_dword v52, off, s[0:3], 0 offset:556
	buffer_load_dword v32, off, s[0:3], 0 offset:532
	buffer_load_dword v31, off, s[0:3], 0 offset:528
	ds_read_b128 v[5:8], v62 offset:976
	s_waitcnt vmcnt(58) lgkmcnt(1)
	v_mul_f64 v[47:48], v[11:12], v[57:58]
	s_waitcnt vmcnt(56)
	v_fma_f64 v[55:56], v[1:2], v[59:60], -v[54:55]
	v_mul_f64 v[41:42], v[9:10], v[57:58]
	v_add_f64 v[13:14], v[13:14], v[39:40]
	v_fma_f64 v[39:40], v[3:4], v[59:60], v[173:174]
	v_add_f64 v[15:16], v[15:16], v[35:36]
	s_clause 0x4
	buffer_load_dword v36, off, s[0:3], 0 offset:572
	buffer_load_dword v57, off, s[0:3], 0 offset:584
	;; [unrolled: 1-line block ×5, first 2 shown]
	s_waitcnt vmcnt(57) lgkmcnt(0)
	v_mul_f64 v[173:174], v[5:6], v[77:78]
	v_mul_f64 v[77:78], v[7:8], v[77:78]
	s_waitcnt vmcnt(56)
	v_fma_f64 v[47:48], v[9:10], v[49:50], -v[47:48]
	ds_read_b128 v[1:4], v62 offset:992
	v_fma_f64 v[41:42], v[11:12], v[49:50], v[41:42]
	v_add_f64 v[13:14], v[13:14], v[55:56]
	v_add_f64 v[15:16], v[15:16], v[39:40]
	s_clause 0x2
	buffer_load_dword v58, off, s[0:3], 0 offset:588
	buffer_load_dword v40, off, s[0:3], 0 offset:564
	buffer_load_dword v39, off, s[0:3], 0 offset:560
	ds_read_b128 v[9:12], v62 offset:1008
	s_waitcnt vmcnt(58) lgkmcnt(1)
	v_mul_f64 v[55:56], v[3:4], v[79:80]
	s_waitcnt vmcnt(56)
	v_fma_f64 v[77:78], v[5:6], v[167:168], -v[77:78]
	v_mul_f64 v[49:50], v[1:2], v[79:80]
	v_add_f64 v[13:14], v[13:14], v[47:48]
	v_fma_f64 v[47:48], v[7:8], v[167:168], v[173:174]
	v_add_f64 v[15:16], v[15:16], v[41:42]
	s_clause 0x4
	buffer_load_dword v42, off, s[0:3], 0 offset:604
	buffer_load_dword v79, off, s[0:3], 0 offset:616
	;; [unrolled: 1-line block ×5, first 2 shown]
	ds_read_b128 v[5:8], v62 offset:1024
	s_waitcnt vmcnt(57) lgkmcnt(1)
	v_mul_f64 v[173:174], v[9:10], v[75:76]
	v_mul_f64 v[75:76], v[11:12], v[75:76]
	s_waitcnt vmcnt(56)
	v_fma_f64 v[55:56], v[1:2], v[81:82], -v[55:56]
	v_fma_f64 v[49:50], v[3:4], v[81:82], v[49:50]
	v_add_f64 v[13:14], v[13:14], v[77:78]
	v_add_f64 v[15:16], v[15:16], v[47:48]
	s_clause 0x2
	buffer_load_dword v80, off, s[0:3], 0 offset:620
	buffer_load_dword v48, off, s[0:3], 0 offset:596
	;; [unrolled: 1-line block ×3, first 2 shown]
	ds_read_b128 v[1:4], v62 offset:1040
	s_waitcnt vmcnt(58) lgkmcnt(1)
	v_mul_f64 v[81:82], v[7:8], v[83:84]
	v_mul_f64 v[77:78], v[5:6], v[83:84]
	s_waitcnt vmcnt(56)
	v_fma_f64 v[75:76], v[9:10], v[69:70], -v[75:76]
	v_add_f64 v[13:14], v[13:14], v[55:56]
	v_fma_f64 v[55:56], v[11:12], v[69:70], v[173:174]
	v_add_f64 v[15:16], v[15:16], v[49:50]
	s_clause 0x4
	buffer_load_dword v50, off, s[0:3], 0 offset:636
	buffer_load_dword v69, off, s[0:3], 0 offset:648
	buffer_load_dword v83, off, s[0:3], 0 offset:640
	buffer_load_dword v49, off, s[0:3], 0 offset:632
	buffer_load_dword v168, off, s[0:3], 0 offset:612
	ds_read_b128 v[9:12], v62 offset:1056
	s_waitcnt vmcnt(57) lgkmcnt(1)
	v_mul_f64 v[173:174], v[1:2], v[25:26]
	v_mul_f64 v[25:26], v[3:4], v[25:26]
	s_waitcnt vmcnt(56)
	v_fma_f64 v[81:82], v[5:6], v[171:172], -v[81:82]
	v_add_f64 v[13:14], v[13:14], v[75:76]
	v_fma_f64 v[75:76], v[7:8], v[171:172], v[77:78]
	v_add_f64 v[15:16], v[15:16], v[55:56]
	s_clause 0x2
	buffer_load_dword v70, off, s[0:3], 0 offset:652
	buffer_load_dword v56, off, s[0:3], 0 offset:628
	;; [unrolled: 1-line block ×3, first 2 shown]
	ds_read_b128 v[5:8], v62 offset:1072
	s_waitcnt vmcnt(58) lgkmcnt(1)
	v_mul_f64 v[77:78], v[9:10], v[71:72]
	v_mul_f64 v[71:72], v[11:12], v[71:72]
	s_waitcnt vmcnt(56)
	v_fma_f64 v[25:26], v[1:2], v[19:20], -v[25:26]
	v_fma_f64 v[19:20], v[3:4], v[19:20], v[173:174]
	v_add_f64 v[13:14], v[13:14], v[81:82]
	v_add_f64 v[15:16], v[15:16], v[75:76]
	s_clause 0x2
	buffer_load_dword v76, off, s[0:3], 0 offset:668
	buffer_load_dword v75, off, s[0:3], 0 offset:664
	;; [unrolled: 1-line block ×3, first 2 shown]
	ds_read_b128 v[1:4], v62 offset:1088
	s_waitcnt vmcnt(55) lgkmcnt(1)
	v_mul_f64 v[81:82], v[5:6], v[63:64]
	v_mul_f64 v[63:64], v[7:8], v[63:64]
	s_waitcnt vmcnt(54)
	v_fma_f64 v[71:72], v[9:10], v[169:170], -v[71:72]
	v_add_f64 v[13:14], v[13:14], v[25:26]
	v_fma_f64 v[25:26], v[11:12], v[169:170], v[77:78]
	v_add_f64 v[15:16], v[15:16], v[19:20]
	s_clause 0x1
	buffer_load_dword v20, off, s[0:3], 0 offset:660
	buffer_load_dword v19, off, s[0:3], 0 offset:656
	ds_read_b128 v[9:12], v62 offset:1104
	s_waitcnt vmcnt(55) lgkmcnt(1)
	v_mul_f64 v[77:78], v[1:2], v[65:66]
	v_mul_f64 v[65:66], v[3:4], v[65:66]
	s_waitcnt vmcnt(53)
	v_fma_f64 v[63:64], v[5:6], v[21:22], -v[63:64]
	v_fma_f64 v[21:22], v[7:8], v[21:22], v[81:82]
	ds_read_b128 v[5:8], v62 offset:1120
	v_add_f64 v[13:14], v[13:14], v[71:72]
	v_add_f64 v[15:16], v[15:16], v[25:26]
	s_waitcnt vmcnt(49) lgkmcnt(1)
	v_mul_f64 v[25:26], v[9:10], v[17:18]
	v_mul_f64 v[17:18], v[11:12], v[17:18]
	s_waitcnt vmcnt(48)
	v_fma_f64 v[65:66], v[1:2], v[73:74], -v[65:66]
	v_add_f64 v[13:14], v[13:14], v[63:64]
	v_fma_f64 v[63:64], v[3:4], v[73:74], v[77:78]
	v_add_f64 v[15:16], v[15:16], v[21:22]
	s_clause 0x3
	buffer_load_dword v21, off, s[0:3], 0 offset:80
	buffer_load_dword v22, off, s[0:3], 0 offset:84
	;; [unrolled: 1-line block ×4, first 2 shown]
	ds_read_b128 v[1:4], v62 offset:1136
	s_waitcnt vmcnt(51) lgkmcnt(1)
	v_mul_f64 v[73:74], v[5:6], v[37:38]
	v_mul_f64 v[37:38], v[7:8], v[37:38]
	s_waitcnt vmcnt(49)
	v_fma_f64 v[17:18], v[9:10], v[27:28], -v[17:18]
	v_fma_f64 v[25:26], v[11:12], v[27:28], v[25:26]
	ds_read_b128 v[9:12], v62 offset:1152
	v_add_f64 v[13:14], v[13:14], v[65:66]
	v_add_f64 v[15:16], v[15:16], v[63:64]
	s_waitcnt vmcnt(45) lgkmcnt(1)
	v_mul_f64 v[27:28], v[1:2], v[23:24]
	v_mul_f64 v[23:24], v[3:4], v[23:24]
	s_waitcnt vmcnt(44)
	v_fma_f64 v[37:38], v[5:6], v[67:68], -v[37:38]
	v_add_f64 v[13:14], v[13:14], v[17:18]
	v_fma_f64 v[17:18], v[7:8], v[67:68], v[73:74]
	v_add_f64 v[15:16], v[15:16], v[25:26]
	s_waitcnt vmcnt(43) lgkmcnt(0)
	v_mul_f64 v[25:26], v[9:10], v[43:44]
	v_mul_f64 v[43:44], v[11:12], v[43:44]
	ds_read_b128 v[5:8], v62 offset:1168
	s_waitcnt vmcnt(41)
	v_fma_f64 v[27:28], v[3:4], v[33:34], v[27:28]
	v_fma_f64 v[23:24], v[1:2], v[33:34], -v[23:24]
	ds_read_b128 v[1:4], v62 offset:1184
	v_add_f64 v[13:14], v[13:14], v[37:38]
	v_add_f64 v[15:16], v[15:16], v[17:18]
	s_waitcnt vmcnt(37) lgkmcnt(1)
	v_mul_f64 v[17:18], v[5:6], v[29:30]
	v_mul_f64 v[29:30], v[7:8], v[29:30]
	s_waitcnt vmcnt(36)
	v_fma_f64 v[33:34], v[9:10], v[45:46], -v[43:44]
	v_add_f64 v[13:14], v[13:14], v[23:24]
	v_fma_f64 v[23:24], v[11:12], v[45:46], v[25:26]
	v_add_f64 v[15:16], v[15:16], v[27:28]
	ds_read_b128 v[9:12], v62 offset:1200
	s_waitcnt vmcnt(35) lgkmcnt(1)
	v_mul_f64 v[27:28], v[3:4], v[51:52]
	v_mul_f64 v[25:26], v[1:2], v[51:52]
	s_waitcnt vmcnt(33)
	v_fma_f64 v[29:30], v[5:6], v[31:32], -v[29:30]
	v_fma_f64 v[17:18], v[7:8], v[31:32], v[17:18]
	ds_read_b128 v[5:8], v62 offset:1216
	v_add_f64 v[13:14], v[13:14], v[33:34]
	v_add_f64 v[15:16], v[15:16], v[23:24]
	s_waitcnt vmcnt(29) lgkmcnt(1)
	v_mul_f64 v[31:32], v[11:12], v[35:36]
	s_waitcnt vmcnt(28)
	v_fma_f64 v[27:28], v[1:2], v[53:54], -v[27:28]
	v_mul_f64 v[23:24], v[9:10], v[35:36]
	v_fma_f64 v[25:26], v[3:4], v[53:54], v[25:26]
	ds_read_b128 v[1:4], v62 offset:1232
	v_add_f64 v[13:14], v[13:14], v[29:30]
	v_add_f64 v[15:16], v[15:16], v[17:18]
	s_waitcnt vmcnt(27) lgkmcnt(1)
	v_mul_f64 v[29:30], v[7:8], v[57:58]
	v_mul_f64 v[17:18], v[5:6], v[57:58]
	s_waitcnt vmcnt(25)
	v_fma_f64 v[31:32], v[9:10], v[39:40], -v[31:32]
	v_fma_f64 v[23:24], v[11:12], v[39:40], v[23:24]
	ds_read_b128 v[9:12], v62 offset:1248
	v_add_f64 v[13:14], v[13:14], v[27:28]
	v_add_f64 v[15:16], v[15:16], v[25:26]
	s_waitcnt vmcnt(21) lgkmcnt(1)
	v_mul_f64 v[27:28], v[3:4], v[41:42]
	s_waitcnt vmcnt(20)
	v_fma_f64 v[29:30], v[5:6], v[59:60], -v[29:30]
	v_mul_f64 v[25:26], v[1:2], v[41:42]
	v_fma_f64 v[17:18], v[7:8], v[59:60], v[17:18]
	ds_read_b128 v[5:8], v62 offset:1264
	v_add_f64 v[13:14], v[13:14], v[31:32]
	v_add_f64 v[15:16], v[15:16], v[23:24]
	;; [unrolled: 18-line block ×3, first 2 shown]
	s_waitcnt vmcnt(11) lgkmcnt(1)
	v_mul_f64 v[27:28], v[3:4], v[69:70]
	v_mul_f64 v[25:26], v[1:2], v[69:70]
	s_waitcnt vmcnt(9)
	v_fma_f64 v[5:6], v[5:6], v[55:56], -v[29:30]
	v_fma_f64 v[7:8], v[7:8], v[55:56], v[17:18]
	v_add_f64 v[13:14], v[13:14], v[31:32]
	v_add_f64 v[15:16], v[15:16], v[23:24]
	s_waitcnt vmcnt(7) lgkmcnt(0)
	v_mul_f64 v[23:24], v[11:12], v[75:76]
	s_waitcnt vmcnt(6)
	v_fma_f64 v[1:2], v[1:2], v[83:84], -v[27:28]
	v_mul_f64 v[17:18], v[9:10], v[75:76]
	v_fma_f64 v[3:4], v[3:4], v[83:84], v[25:26]
	v_add_f64 v[5:6], v[13:14], v[5:6]
	v_add_f64 v[7:8], v[15:16], v[7:8]
	s_waitcnt vmcnt(4)
	v_fma_f64 v[9:10], v[9:10], v[19:20], -v[23:24]
	v_add_f64 v[1:2], v[5:6], v[1:2]
	v_fma_f64 v[5:6], v[11:12], v[19:20], v[17:18]
	v_add_f64 v[3:4], v[7:8], v[3:4]
	v_add_f64 v[1:2], v[1:2], v[9:10]
	;; [unrolled: 1-line block ×3, first 2 shown]
	s_waitcnt vmcnt(2)
	v_add_f64 v[1:2], v[21:22], -v[1:2]
	s_waitcnt vmcnt(0)
	v_add_f64 v[3:4], v[71:72], -v[3:4]
	buffer_store_dword v2, off, s[0:3], 0 offset:84
	buffer_store_dword v1, off, s[0:3], 0 offset:80
	;; [unrolled: 1-line block ×4, first 2 shown]
	v_cmpx_lt_u32_e32 3, v0
	s_cbranch_execz .LBB40_253
; %bb.252:
	v_mov_b32_e32 v4, s50
	v_mov_b32_e32 v5, 0
	s_clause 0x3
	buffer_load_dword v1, v4, s[0:3], 0 offen
	buffer_load_dword v2, v4, s[0:3], 0 offen offset:4
	buffer_load_dword v3, v4, s[0:3], 0 offen offset:8
	buffer_load_dword v4, v4, s[0:3], 0 offen offset:12
	buffer_store_dword v5, off, s[0:3], 0 offset:64
	buffer_store_dword v5, off, s[0:3], 0 offset:68
	;; [unrolled: 1-line block ×4, first 2 shown]
	s_waitcnt vmcnt(0)
	ds_write_b128 v61, v[1:4]
.LBB40_253:
	s_or_b32 exec_lo, exec_lo, s4
	s_waitcnt lgkmcnt(0)
	s_waitcnt_vscnt null, 0x0
	s_barrier
	buffer_gl0_inv
	s_clause 0x37
	buffer_load_dword v9, off, s[0:3], 0 offset:88
	buffer_load_dword v10, off, s[0:3], 0 offset:92
	;; [unrolled: 1-line block ×56, first 2 shown]
	v_mov_b32_e32 v62, 0
	s_mov_b32 s4, exec_lo
	ds_read_b128 v[63:66], v62 offset:720
	s_clause 0x2
	buffer_load_dword v58, off, s[0:3], 0 offset:316
	buffer_load_dword v60, off, s[0:3], 0 offset:292
	;; [unrolled: 1-line block ×3, first 2 shown]
	ds_read_b128 v[67:70], v62 offset:736
	s_clause 0x4
	buffer_load_dword v78, off, s[0:3], 0 offset:332
	buffer_load_dword v79, off, s[0:3], 0 offset:344
	;; [unrolled: 1-line block ×5, first 2 shown]
	ds_read_b128 v[71:74], v62 offset:752
	s_clause 0x2
	buffer_load_dword v80, off, s[0:3], 0 offset:348
	buffer_load_dword v168, off, s[0:3], 0 offset:324
	;; [unrolled: 1-line block ×3, first 2 shown]
	s_waitcnt vmcnt(62) lgkmcnt(2)
	v_mul_f64 v[75:76], v[65:66], v[9:10]
	v_mul_f64 v[9:10], v[63:64], v[9:10]
	s_waitcnt lgkmcnt(1)
	v_mul_f64 v[82:83], v[69:70], v[5:6]
	s_waitcnt vmcnt(59) lgkmcnt(0)
	v_mul_f64 v[169:170], v[73:74], v[3:4]
	v_fma_f64 v[63:64], v[63:64], v[7:8], -v[75:76]
	v_mul_f64 v[75:76], v[67:68], v[5:6]
	v_fma_f64 v[9:10], v[65:66], v[7:8], v[9:10]
	s_waitcnt vmcnt(57)
	v_fma_f64 v[67:68], v[67:68], v[1:2], -v[82:83]
	ds_read_b128 v[5:8], v62 offset:768
	v_mul_f64 v[65:66], v[71:72], v[3:4]
	s_waitcnt vmcnt(51)
	v_fma_f64 v[71:72], v[71:72], v[25:26], -v[169:170]
	v_add_f64 v[63:64], v[63:64], 0
	v_fma_f64 v[69:70], v[69:70], v[1:2], v[75:76]
	v_add_f64 v[9:10], v[9:10], 0
	s_clause 0x4
	buffer_load_dword v76, off, s[0:3], 0 offset:364
	buffer_load_dword v83, off, s[0:3], 0 offset:376
	;; [unrolled: 1-line block ×5, first 2 shown]
	s_waitcnt lgkmcnt(0)
	v_mul_f64 v[172:173], v[5:6], v[13:14]
	v_mul_f64 v[13:14], v[7:8], v[13:14]
	ds_read_b128 v[1:4], v62 offset:784
	v_fma_f64 v[25:26], v[73:74], v[25:26], v[65:66]
	v_add_f64 v[67:68], v[63:64], v[67:68]
	v_add_f64 v[9:10], v[9:10], v[69:70]
	s_clause 0x2
	buffer_load_dword v84, off, s[0:3], 0 offset:380
	buffer_load_dword v70, off, s[0:3], 0 offset:356
	;; [unrolled: 1-line block ×3, first 2 shown]
	s_waitcnt vmcnt(58) lgkmcnt(0)
	v_mul_f64 v[73:74], v[1:2], v[17:18]
	v_mul_f64 v[17:18], v[3:4], v[17:18]
	s_waitcnt vmcnt(56)
	v_fma_f64 v[13:14], v[5:6], v[19:20], -v[13:14]
	ds_read_b128 v[63:66], v62 offset:800
	v_fma_f64 v[19:20], v[7:8], v[19:20], v[172:173]
	v_add_f64 v[67:68], v[67:68], v[71:72]
	v_add_f64 v[9:10], v[9:10], v[25:26]
	s_clause 0x4
	buffer_load_dword v26, off, s[0:3], 0 offset:396
	buffer_load_dword v71, off, s[0:3], 0 offset:408
	;; [unrolled: 1-line block ×5, first 2 shown]
	ds_read_b128 v[5:8], v62 offset:816
	s_waitcnt vmcnt(57) lgkmcnt(1)
	v_mul_f64 v[173:174], v[63:64], v[21:22]
	v_mul_f64 v[21:22], v[65:66], v[21:22]
	s_waitcnt vmcnt(56)
	v_fma_f64 v[17:18], v[1:2], v[11:12], -v[17:18]
	v_fma_f64 v[11:12], v[3:4], v[11:12], v[73:74]
	v_add_f64 v[13:14], v[67:68], v[13:14]
	v_add_f64 v[9:10], v[9:10], v[19:20]
	s_clause 0x2
	buffer_load_dword v72, off, s[0:3], 0 offset:412
	buffer_load_dword v20, off, s[0:3], 0 offset:388
	;; [unrolled: 1-line block ×3, first 2 shown]
	s_waitcnt vmcnt(58) lgkmcnt(0)
	v_mul_f64 v[67:68], v[5:6], v[27:28]
	v_mul_f64 v[27:28], v[7:8], v[27:28]
	s_waitcnt vmcnt(56)
	v_fma_f64 v[21:22], v[63:64], v[29:30], -v[21:22]
	ds_read_b128 v[1:4], v62 offset:832
	v_add_f64 v[13:14], v[13:14], v[17:18]
	v_fma_f64 v[17:18], v[65:66], v[29:30], v[173:174]
	v_add_f64 v[29:30], v[9:10], v[11:12]
	s_clause 0x4
	buffer_load_dword v64, off, s[0:3], 0 offset:428
	buffer_load_dword v65, off, s[0:3], 0 offset:440
	;; [unrolled: 1-line block ×5, first 2 shown]
	ds_read_b128 v[9:12], v62 offset:848
	s_waitcnt vmcnt(57) lgkmcnt(1)
	v_mul_f64 v[173:174], v[1:2], v[31:32]
	v_mul_f64 v[31:32], v[3:4], v[31:32]
	s_waitcnt vmcnt(56)
	v_fma_f64 v[27:28], v[5:6], v[15:16], -v[27:28]
	v_fma_f64 v[15:16], v[7:8], v[15:16], v[67:68]
	v_add_f64 v[13:14], v[13:14], v[21:22]
	s_clause 0x2
	buffer_load_dword v66, off, s[0:3], 0 offset:444
	buffer_load_dword v22, off, s[0:3], 0 offset:420
	;; [unrolled: 1-line block ×3, first 2 shown]
	v_add_f64 v[17:18], v[29:30], v[17:18]
	s_waitcnt vmcnt(58) lgkmcnt(0)
	v_mul_f64 v[29:30], v[9:10], v[35:36]
	v_mul_f64 v[35:36], v[11:12], v[35:36]
	ds_read_b128 v[5:8], v62 offset:864
	s_waitcnt vmcnt(56)
	v_fma_f64 v[31:32], v[1:2], v[37:38], -v[31:32]
	v_add_f64 v[13:14], v[13:14], v[27:28]
	v_fma_f64 v[27:28], v[3:4], v[37:38], v[173:174]
	v_add_f64 v[15:16], v[17:18], v[15:16]
	s_clause 0x4
	buffer_load_dword v18, off, s[0:3], 0 offset:460
	buffer_load_dword v37, off, s[0:3], 0 offset:472
	buffer_load_dword v67, off, s[0:3], 0 offset:464
	buffer_load_dword v17, off, s[0:3], 0 offset:456
	buffer_load_dword v74, off, s[0:3], 0 offset:436
	s_waitcnt vmcnt(57) lgkmcnt(0)
	v_mul_f64 v[173:174], v[5:6], v[39:40]
	v_mul_f64 v[39:40], v[7:8], v[39:40]
	s_waitcnt vmcnt(56)
	v_fma_f64 v[35:36], v[9:10], v[23:24], -v[35:36]
	ds_read_b128 v[1:4], v62 offset:880
	v_fma_f64 v[23:24], v[11:12], v[23:24], v[29:30]
	v_add_f64 v[13:14], v[13:14], v[31:32]
	v_add_f64 v[15:16], v[15:16], v[27:28]
	s_clause 0x2
	buffer_load_dword v38, off, s[0:3], 0 offset:476
	buffer_load_dword v28, off, s[0:3], 0 offset:452
	;; [unrolled: 1-line block ×3, first 2 shown]
	ds_read_b128 v[9:12], v62 offset:896
	s_waitcnt vmcnt(58) lgkmcnt(1)
	v_mul_f64 v[31:32], v[3:4], v[43:44]
	s_waitcnt vmcnt(56)
	v_fma_f64 v[39:40], v[5:6], v[45:46], -v[39:40]
	v_mul_f64 v[29:30], v[1:2], v[43:44]
	v_add_f64 v[13:14], v[13:14], v[35:36]
	v_fma_f64 v[35:36], v[7:8], v[45:46], v[173:174]
	v_add_f64 v[15:16], v[15:16], v[23:24]
	s_clause 0x4
	buffer_load_dword v24, off, s[0:3], 0 offset:492
	buffer_load_dword v43, off, s[0:3], 0 offset:504
	;; [unrolled: 1-line block ×5, first 2 shown]
	s_waitcnt vmcnt(57) lgkmcnt(0)
	v_mul_f64 v[173:174], v[9:10], v[47:48]
	v_mul_f64 v[46:47], v[11:12], v[47:48]
	s_waitcnt vmcnt(56)
	v_fma_f64 v[31:32], v[1:2], v[33:34], -v[31:32]
	ds_read_b128 v[5:8], v62 offset:912
	v_fma_f64 v[29:30], v[3:4], v[33:34], v[29:30]
	s_clause 0x2
	buffer_load_dword v44, off, s[0:3], 0 offset:508
	buffer_load_dword v34, off, s[0:3], 0 offset:484
	;; [unrolled: 1-line block ×3, first 2 shown]
	ds_read_b128 v[1:4], v62 offset:928
	v_add_f64 v[13:14], v[13:14], v[39:40]
	v_add_f64 v[15:16], v[15:16], v[35:36]
	s_waitcnt vmcnt(58) lgkmcnt(1)
	v_mul_f64 v[39:40], v[7:8], v[51:52]
	s_waitcnt vmcnt(56)
	v_fma_f64 v[47:48], v[9:10], v[53:54], -v[46:47]
	v_mul_f64 v[35:36], v[5:6], v[51:52]
	v_add_f64 v[13:14], v[13:14], v[31:32]
	v_fma_f64 v[31:32], v[11:12], v[53:54], v[173:174]
	v_add_f64 v[15:16], v[15:16], v[29:30]
	s_clause 0x4
	buffer_load_dword v30, off, s[0:3], 0 offset:524
	buffer_load_dword v51, off, s[0:3], 0 offset:536
	;; [unrolled: 1-line block ×5, first 2 shown]
	s_waitcnt vmcnt(57) lgkmcnt(0)
	v_mul_f64 v[173:174], v[1:2], v[55:56]
	v_mul_f64 v[54:55], v[3:4], v[55:56]
	s_waitcnt vmcnt(56)
	v_fma_f64 v[39:40], v[5:6], v[41:42], -v[39:40]
	ds_read_b128 v[9:12], v62 offset:944
	v_fma_f64 v[35:36], v[7:8], v[41:42], v[35:36]
	v_add_f64 v[13:14], v[13:14], v[47:48]
	v_add_f64 v[15:16], v[15:16], v[31:32]
	s_clause 0x2
	buffer_load_dword v52, off, s[0:3], 0 offset:540
	buffer_load_dword v32, off, s[0:3], 0 offset:516
	;; [unrolled: 1-line block ×3, first 2 shown]
	ds_read_b128 v[5:8], v62 offset:960
	s_waitcnt vmcnt(58) lgkmcnt(1)
	v_mul_f64 v[47:48], v[11:12], v[57:58]
	s_waitcnt vmcnt(56)
	v_fma_f64 v[55:56], v[1:2], v[59:60], -v[54:55]
	v_mul_f64 v[41:42], v[9:10], v[57:58]
	v_add_f64 v[13:14], v[13:14], v[39:40]
	v_fma_f64 v[39:40], v[3:4], v[59:60], v[173:174]
	v_add_f64 v[15:16], v[15:16], v[35:36]
	s_clause 0x4
	buffer_load_dword v36, off, s[0:3], 0 offset:556
	buffer_load_dword v57, off, s[0:3], 0 offset:568
	buffer_load_dword v59, off, s[0:3], 0 offset:560
	buffer_load_dword v35, off, s[0:3], 0 offset:552
	buffer_load_dword v54, off, s[0:3], 0 offset:532
	s_waitcnt vmcnt(57) lgkmcnt(0)
	v_mul_f64 v[173:174], v[5:6], v[77:78]
	v_mul_f64 v[77:78], v[7:8], v[77:78]
	s_waitcnt vmcnt(56)
	v_fma_f64 v[47:48], v[9:10], v[49:50], -v[47:48]
	ds_read_b128 v[1:4], v62 offset:976
	v_fma_f64 v[41:42], v[11:12], v[49:50], v[41:42]
	v_add_f64 v[13:14], v[13:14], v[55:56]
	v_add_f64 v[15:16], v[15:16], v[39:40]
	s_clause 0x2
	buffer_load_dword v58, off, s[0:3], 0 offset:572
	buffer_load_dword v40, off, s[0:3], 0 offset:548
	;; [unrolled: 1-line block ×3, first 2 shown]
	ds_read_b128 v[9:12], v62 offset:992
	s_waitcnt vmcnt(58) lgkmcnt(1)
	v_mul_f64 v[55:56], v[3:4], v[79:80]
	s_waitcnt vmcnt(56)
	v_fma_f64 v[77:78], v[5:6], v[167:168], -v[77:78]
	v_mul_f64 v[49:50], v[1:2], v[79:80]
	v_add_f64 v[13:14], v[13:14], v[47:48]
	v_fma_f64 v[47:48], v[7:8], v[167:168], v[173:174]
	v_add_f64 v[15:16], v[15:16], v[41:42]
	s_clause 0x4
	buffer_load_dword v42, off, s[0:3], 0 offset:588
	buffer_load_dword v79, off, s[0:3], 0 offset:600
	;; [unrolled: 1-line block ×5, first 2 shown]
	ds_read_b128 v[5:8], v62 offset:1008
	s_waitcnt vmcnt(57) lgkmcnt(1)
	v_mul_f64 v[173:174], v[9:10], v[75:76]
	v_mul_f64 v[75:76], v[11:12], v[75:76]
	s_waitcnt vmcnt(56)
	v_fma_f64 v[55:56], v[1:2], v[81:82], -v[55:56]
	v_fma_f64 v[49:50], v[3:4], v[81:82], v[49:50]
	v_add_f64 v[13:14], v[13:14], v[77:78]
	v_add_f64 v[15:16], v[15:16], v[47:48]
	s_clause 0x2
	buffer_load_dword v80, off, s[0:3], 0 offset:604
	buffer_load_dword v48, off, s[0:3], 0 offset:580
	buffer_load_dword v47, off, s[0:3], 0 offset:576
	ds_read_b128 v[1:4], v62 offset:1024
	s_waitcnt vmcnt(58) lgkmcnt(1)
	v_mul_f64 v[81:82], v[7:8], v[83:84]
	v_mul_f64 v[77:78], v[5:6], v[83:84]
	s_waitcnt vmcnt(56)
	v_fma_f64 v[75:76], v[9:10], v[69:70], -v[75:76]
	v_add_f64 v[13:14], v[13:14], v[55:56]
	v_fma_f64 v[55:56], v[11:12], v[69:70], v[173:174]
	v_add_f64 v[15:16], v[15:16], v[49:50]
	s_clause 0x4
	buffer_load_dword v50, off, s[0:3], 0 offset:620
	buffer_load_dword v69, off, s[0:3], 0 offset:632
	;; [unrolled: 1-line block ×5, first 2 shown]
	ds_read_b128 v[9:12], v62 offset:1040
	s_waitcnt vmcnt(57) lgkmcnt(1)
	v_mul_f64 v[173:174], v[1:2], v[25:26]
	v_mul_f64 v[25:26], v[3:4], v[25:26]
	s_waitcnt vmcnt(56)
	v_fma_f64 v[81:82], v[5:6], v[171:172], -v[81:82]
	v_add_f64 v[13:14], v[13:14], v[75:76]
	v_fma_f64 v[75:76], v[7:8], v[171:172], v[77:78]
	v_add_f64 v[15:16], v[15:16], v[55:56]
	s_clause 0x2
	buffer_load_dword v70, off, s[0:3], 0 offset:636
	buffer_load_dword v56, off, s[0:3], 0 offset:612
	;; [unrolled: 1-line block ×3, first 2 shown]
	ds_read_b128 v[5:8], v62 offset:1056
	s_waitcnt vmcnt(58) lgkmcnt(1)
	v_mul_f64 v[77:78], v[9:10], v[71:72]
	v_mul_f64 v[71:72], v[11:12], v[71:72]
	s_waitcnt vmcnt(56)
	v_fma_f64 v[25:26], v[1:2], v[19:20], -v[25:26]
	v_fma_f64 v[19:20], v[3:4], v[19:20], v[173:174]
	v_add_f64 v[13:14], v[13:14], v[81:82]
	v_add_f64 v[15:16], v[15:16], v[75:76]
	s_clause 0x4
	buffer_load_dword v76, off, s[0:3], 0 offset:652
	buffer_load_dword v81, off, s[0:3], 0 offset:664
	;; [unrolled: 1-line block ×5, first 2 shown]
	ds_read_b128 v[1:4], v62 offset:1072
	s_waitcnt vmcnt(57) lgkmcnt(1)
	v_mul_f64 v[172:173], v[5:6], v[63:64]
	v_mul_f64 v[63:64], v[7:8], v[63:64]
	s_waitcnt vmcnt(56)
	v_fma_f64 v[71:72], v[9:10], v[169:170], -v[71:72]
	v_add_f64 v[13:14], v[13:14], v[25:26]
	v_fma_f64 v[25:26], v[11:12], v[169:170], v[77:78]
	v_add_f64 v[15:16], v[15:16], v[19:20]
	s_clause 0x2
	buffer_load_dword v82, off, s[0:3], 0 offset:668
	buffer_load_dword v20, off, s[0:3], 0 offset:644
	;; [unrolled: 1-line block ×3, first 2 shown]
	ds_read_b128 v[9:12], v62 offset:1088
	s_waitcnt vmcnt(58) lgkmcnt(1)
	v_mul_f64 v[77:78], v[1:2], v[65:66]
	v_mul_f64 v[65:66], v[3:4], v[65:66]
	s_waitcnt vmcnt(56)
	v_fma_f64 v[63:64], v[5:6], v[21:22], -v[63:64]
	v_fma_f64 v[21:22], v[7:8], v[21:22], v[172:173]
	buffer_load_dword v172, off, s[0:3], 0 offset:660
	ds_read_b128 v[5:8], v62 offset:1104
	v_add_f64 v[13:14], v[13:14], v[71:72]
	v_add_f64 v[15:16], v[15:16], v[25:26]
	s_waitcnt vmcnt(53) lgkmcnt(1)
	v_mul_f64 v[25:26], v[9:10], v[17:18]
	v_mul_f64 v[17:18], v[11:12], v[17:18]
	s_waitcnt vmcnt(52)
	v_fma_f64 v[65:66], v[1:2], v[73:74], -v[65:66]
	v_add_f64 v[13:14], v[13:14], v[63:64]
	v_fma_f64 v[63:64], v[3:4], v[73:74], v[77:78]
	v_add_f64 v[15:16], v[15:16], v[21:22]
	ds_read_b128 v[1:4], v62 offset:1120
	s_waitcnt vmcnt(51) lgkmcnt(1)
	v_mul_f64 v[21:22], v[5:6], v[37:38]
	v_mul_f64 v[37:38], v[7:8], v[37:38]
	s_waitcnt vmcnt(49)
	v_fma_f64 v[17:18], v[9:10], v[27:28], -v[17:18]
	v_fma_f64 v[25:26], v[11:12], v[27:28], v[25:26]
	v_add_f64 v[13:14], v[13:14], v[65:66]
	v_add_f64 v[15:16], v[15:16], v[63:64]
	s_clause 0x3
	buffer_load_dword v27, off, s[0:3], 0 offset:64
	buffer_load_dword v28, off, s[0:3], 0 offset:68
	buffer_load_dword v63, off, s[0:3], 0 offset:72
	buffer_load_dword v64, off, s[0:3], 0 offset:76
	ds_read_b128 v[9:12], v62 offset:1136
	s_waitcnt vmcnt(49) lgkmcnt(1)
	v_mul_f64 v[65:66], v[1:2], v[23:24]
	v_mul_f64 v[23:24], v[3:4], v[23:24]
	s_waitcnt vmcnt(48)
	v_fma_f64 v[37:38], v[5:6], v[67:68], -v[37:38]
	v_add_f64 v[13:14], v[13:14], v[17:18]
	v_fma_f64 v[17:18], v[7:8], v[67:68], v[21:22]
	v_add_f64 v[15:16], v[15:16], v[25:26]
	ds_read_b128 v[5:8], v62 offset:1152
	s_waitcnt vmcnt(47) lgkmcnt(1)
	v_mul_f64 v[25:26], v[11:12], v[43:44]
	v_mul_f64 v[21:22], v[9:10], v[43:44]
	s_waitcnt vmcnt(45)
	v_fma_f64 v[23:24], v[1:2], v[33:34], -v[23:24]
	v_fma_f64 v[33:34], v[3:4], v[33:34], v[65:66]
	ds_read_b128 v[1:4], v62 offset:1168
	v_add_f64 v[13:14], v[13:14], v[37:38]
	v_add_f64 v[15:16], v[15:16], v[17:18]
	s_waitcnt vmcnt(41) lgkmcnt(1)
	v_mul_f64 v[17:18], v[5:6], v[29:30]
	v_mul_f64 v[29:30], v[7:8], v[29:30]
	s_waitcnt vmcnt(40)
	v_fma_f64 v[25:26], v[9:10], v[45:46], -v[25:26]
	v_fma_f64 v[21:22], v[11:12], v[45:46], v[21:22]
	ds_read_b128 v[9:12], v62 offset:1184
	v_add_f64 v[13:14], v[13:14], v[23:24]
	v_add_f64 v[15:16], v[15:16], v[33:34]
	;; [unrolled: 9-line block ×3, first 2 shown]
	s_waitcnt vmcnt(33) lgkmcnt(1)
	v_mul_f64 v[25:26], v[11:12], v[35:36]
	s_waitcnt vmcnt(32)
	v_fma_f64 v[31:32], v[1:2], v[53:54], -v[33:34]
	v_mul_f64 v[21:22], v[9:10], v[35:36]
	v_fma_f64 v[23:24], v[3:4], v[53:54], v[23:24]
	ds_read_b128 v[1:4], v62 offset:1216
	v_add_f64 v[13:14], v[13:14], v[29:30]
	v_add_f64 v[15:16], v[15:16], v[17:18]
	s_waitcnt vmcnt(31) lgkmcnt(1)
	v_mul_f64 v[29:30], v[7:8], v[57:58]
	v_mul_f64 v[17:18], v[5:6], v[57:58]
	s_waitcnt vmcnt(29)
	v_fma_f64 v[25:26], v[9:10], v[39:40], -v[25:26]
	v_fma_f64 v[21:22], v[11:12], v[39:40], v[21:22]
	ds_read_b128 v[9:12], v62 offset:1232
	v_add_f64 v[13:14], v[13:14], v[31:32]
	v_add_f64 v[15:16], v[15:16], v[23:24]
	s_waitcnt vmcnt(25) lgkmcnt(1)
	v_mul_f64 v[31:32], v[3:4], v[41:42]
	s_waitcnt vmcnt(24)
	v_fma_f64 v[29:30], v[5:6], v[59:60], -v[29:30]
	v_mul_f64 v[23:24], v[1:2], v[41:42]
	v_fma_f64 v[17:18], v[7:8], v[59:60], v[17:18]
	ds_read_b128 v[5:8], v62 offset:1248
	v_add_f64 v[13:14], v[13:14], v[25:26]
	v_add_f64 v[15:16], v[15:16], v[21:22]
	s_waitcnt vmcnt(23) lgkmcnt(1)
	v_mul_f64 v[25:26], v[11:12], v[79:80]
	v_mul_f64 v[21:22], v[9:10], v[79:80]
	s_waitcnt vmcnt(21)
	v_fma_f64 v[31:32], v[1:2], v[47:48], -v[31:32]
	v_fma_f64 v[23:24], v[3:4], v[47:48], v[23:24]
	ds_read_b128 v[1:4], v62 offset:1264
	v_add_f64 v[13:14], v[13:14], v[29:30]
	v_add_f64 v[15:16], v[15:16], v[17:18]
	;; [unrolled: 18-line block ×3, first 2 shown]
	s_waitcnt vmcnt(9) lgkmcnt(1)
	v_mul_f64 v[25:26], v[11:12], v[75:76]
	s_waitcnt vmcnt(8)
	v_fma_f64 v[1:2], v[1:2], v[83:84], -v[31:32]
	v_mul_f64 v[21:22], v[9:10], v[75:76]
	v_fma_f64 v[3:4], v[3:4], v[83:84], v[23:24]
	v_add_f64 v[13:14], v[13:14], v[29:30]
	v_add_f64 v[15:16], v[15:16], v[17:18]
	s_waitcnt vmcnt(7) lgkmcnt(0)
	v_mul_f64 v[23:24], v[7:8], v[81:82]
	v_mul_f64 v[17:18], v[5:6], v[81:82]
	s_waitcnt vmcnt(5)
	v_fma_f64 v[9:10], v[9:10], v[19:20], -v[25:26]
	v_fma_f64 v[11:12], v[11:12], v[19:20], v[21:22]
	v_add_f64 v[1:2], v[13:14], v[1:2]
	v_add_f64 v[3:4], v[15:16], v[3:4]
	s_waitcnt vmcnt(4)
	v_fma_f64 v[5:6], v[5:6], v[171:172], -v[23:24]
	v_fma_f64 v[7:8], v[7:8], v[171:172], v[17:18]
	v_add_f64 v[1:2], v[1:2], v[9:10]
	v_add_f64 v[3:4], v[3:4], v[11:12]
	;; [unrolled: 1-line block ×4, first 2 shown]
	s_waitcnt vmcnt(2)
	v_add_f64 v[1:2], v[27:28], -v[1:2]
	s_waitcnt vmcnt(0)
	v_add_f64 v[3:4], v[63:64], -v[3:4]
	buffer_store_dword v2, off, s[0:3], 0 offset:68
	buffer_store_dword v1, off, s[0:3], 0 offset:64
	;; [unrolled: 1-line block ×4, first 2 shown]
	v_cmpx_lt_u32_e32 2, v0
	s_cbranch_execz .LBB40_255
; %bb.254:
	v_mov_b32_e32 v4, s51
	s_clause 0x3
	buffer_load_dword v1, v4, s[0:3], 0 offen
	buffer_load_dword v2, v4, s[0:3], 0 offen offset:4
	buffer_load_dword v3, v4, s[0:3], 0 offen offset:8
	;; [unrolled: 1-line block ×3, first 2 shown]
	buffer_store_dword v62, off, s[0:3], 0 offset:48
	buffer_store_dword v62, off, s[0:3], 0 offset:52
	;; [unrolled: 1-line block ×4, first 2 shown]
	s_waitcnt vmcnt(0)
	ds_write_b128 v61, v[1:4]
.LBB40_255:
	s_or_b32 exec_lo, exec_lo, s4
	s_waitcnt lgkmcnt(0)
	s_waitcnt_vscnt null, 0x0
	s_barrier
	buffer_gl0_inv
	s_clause 0x37
	buffer_load_dword v9, off, s[0:3], 0 offset:72
	buffer_load_dword v10, off, s[0:3], 0 offset:76
	;; [unrolled: 1-line block ×56, first 2 shown]
	ds_read_b128 v[63:66], v62 offset:704
	s_clause 0x2
	buffer_load_dword v58, off, s[0:3], 0 offset:300
	buffer_load_dword v60, off, s[0:3], 0 offset:276
	;; [unrolled: 1-line block ×3, first 2 shown]
	ds_read_b128 v[67:70], v62 offset:720
	s_clause 0x4
	buffer_load_dword v78, off, s[0:3], 0 offset:316
	buffer_load_dword v79, off, s[0:3], 0 offset:328
	buffer_load_dword v81, off, s[0:3], 0 offset:320
	buffer_load_dword v77, off, s[0:3], 0 offset:312
	buffer_load_dword v50, off, s[0:3], 0 offset:292
	ds_read_b128 v[71:74], v62 offset:736
	s_clause 0x2
	buffer_load_dword v80, off, s[0:3], 0 offset:332
	buffer_load_dword v168, off, s[0:3], 0 offset:308
	;; [unrolled: 1-line block ×3, first 2 shown]
	s_mov_b32 s4, exec_lo
	s_waitcnt vmcnt(62) lgkmcnt(2)
	v_mul_f64 v[75:76], v[65:66], v[9:10]
	v_mul_f64 v[9:10], v[63:64], v[9:10]
	s_waitcnt lgkmcnt(1)
	v_mul_f64 v[82:83], v[69:70], v[5:6]
	s_waitcnt vmcnt(59) lgkmcnt(0)
	v_mul_f64 v[169:170], v[73:74], v[3:4]
	v_fma_f64 v[63:64], v[63:64], v[7:8], -v[75:76]
	v_mul_f64 v[75:76], v[67:68], v[5:6]
	v_fma_f64 v[9:10], v[65:66], v[7:8], v[9:10]
	s_waitcnt vmcnt(57)
	v_fma_f64 v[67:68], v[67:68], v[1:2], -v[82:83]
	ds_read_b128 v[5:8], v62 offset:752
	v_mul_f64 v[65:66], v[71:72], v[3:4]
	s_waitcnt vmcnt(51)
	v_fma_f64 v[71:72], v[71:72], v[25:26], -v[169:170]
	v_add_f64 v[63:64], v[63:64], 0
	v_fma_f64 v[69:70], v[69:70], v[1:2], v[75:76]
	v_add_f64 v[9:10], v[9:10], 0
	s_clause 0x4
	buffer_load_dword v76, off, s[0:3], 0 offset:348
	buffer_load_dword v83, off, s[0:3], 0 offset:360
	;; [unrolled: 1-line block ×5, first 2 shown]
	s_waitcnt lgkmcnt(0)
	v_mul_f64 v[172:173], v[5:6], v[13:14]
	v_mul_f64 v[13:14], v[7:8], v[13:14]
	ds_read_b128 v[1:4], v62 offset:768
	v_fma_f64 v[25:26], v[73:74], v[25:26], v[65:66]
	v_add_f64 v[67:68], v[63:64], v[67:68]
	v_add_f64 v[9:10], v[9:10], v[69:70]
	s_clause 0x2
	buffer_load_dword v84, off, s[0:3], 0 offset:364
	buffer_load_dword v70, off, s[0:3], 0 offset:340
	;; [unrolled: 1-line block ×3, first 2 shown]
	s_waitcnt vmcnt(58) lgkmcnt(0)
	v_mul_f64 v[73:74], v[1:2], v[17:18]
	v_mul_f64 v[17:18], v[3:4], v[17:18]
	s_waitcnt vmcnt(56)
	v_fma_f64 v[13:14], v[5:6], v[19:20], -v[13:14]
	ds_read_b128 v[63:66], v62 offset:784
	v_fma_f64 v[19:20], v[7:8], v[19:20], v[172:173]
	v_add_f64 v[67:68], v[67:68], v[71:72]
	v_add_f64 v[9:10], v[9:10], v[25:26]
	s_clause 0x4
	buffer_load_dword v26, off, s[0:3], 0 offset:380
	buffer_load_dword v71, off, s[0:3], 0 offset:392
	;; [unrolled: 1-line block ×5, first 2 shown]
	ds_read_b128 v[5:8], v62 offset:800
	s_waitcnt vmcnt(57) lgkmcnt(1)
	v_mul_f64 v[173:174], v[63:64], v[21:22]
	v_mul_f64 v[21:22], v[65:66], v[21:22]
	s_waitcnt vmcnt(56)
	v_fma_f64 v[17:18], v[1:2], v[11:12], -v[17:18]
	v_fma_f64 v[11:12], v[3:4], v[11:12], v[73:74]
	v_add_f64 v[13:14], v[67:68], v[13:14]
	v_add_f64 v[9:10], v[9:10], v[19:20]
	s_clause 0x2
	buffer_load_dword v72, off, s[0:3], 0 offset:396
	buffer_load_dword v20, off, s[0:3], 0 offset:372
	;; [unrolled: 1-line block ×3, first 2 shown]
	s_waitcnt vmcnt(58) lgkmcnt(0)
	v_mul_f64 v[67:68], v[5:6], v[27:28]
	v_mul_f64 v[27:28], v[7:8], v[27:28]
	s_waitcnt vmcnt(56)
	v_fma_f64 v[21:22], v[63:64], v[29:30], -v[21:22]
	ds_read_b128 v[1:4], v62 offset:816
	v_add_f64 v[13:14], v[13:14], v[17:18]
	v_fma_f64 v[17:18], v[65:66], v[29:30], v[173:174]
	v_add_f64 v[29:30], v[9:10], v[11:12]
	s_clause 0x4
	buffer_load_dword v64, off, s[0:3], 0 offset:412
	buffer_load_dword v65, off, s[0:3], 0 offset:424
	;; [unrolled: 1-line block ×5, first 2 shown]
	ds_read_b128 v[9:12], v62 offset:832
	s_waitcnt vmcnt(57) lgkmcnt(1)
	v_mul_f64 v[173:174], v[1:2], v[31:32]
	v_mul_f64 v[31:32], v[3:4], v[31:32]
	s_waitcnt vmcnt(56)
	v_fma_f64 v[27:28], v[5:6], v[15:16], -v[27:28]
	v_fma_f64 v[15:16], v[7:8], v[15:16], v[67:68]
	v_add_f64 v[13:14], v[13:14], v[21:22]
	s_clause 0x2
	buffer_load_dword v66, off, s[0:3], 0 offset:428
	buffer_load_dword v22, off, s[0:3], 0 offset:404
	;; [unrolled: 1-line block ×3, first 2 shown]
	v_add_f64 v[17:18], v[29:30], v[17:18]
	s_waitcnt vmcnt(58) lgkmcnt(0)
	v_mul_f64 v[29:30], v[9:10], v[35:36]
	v_mul_f64 v[35:36], v[11:12], v[35:36]
	ds_read_b128 v[5:8], v62 offset:848
	s_waitcnt vmcnt(56)
	v_fma_f64 v[31:32], v[1:2], v[37:38], -v[31:32]
	v_add_f64 v[13:14], v[13:14], v[27:28]
	v_fma_f64 v[27:28], v[3:4], v[37:38], v[173:174]
	v_add_f64 v[15:16], v[17:18], v[15:16]
	s_clause 0x4
	buffer_load_dword v18, off, s[0:3], 0 offset:444
	buffer_load_dword v37, off, s[0:3], 0 offset:456
	;; [unrolled: 1-line block ×5, first 2 shown]
	s_waitcnt vmcnt(57) lgkmcnt(0)
	v_mul_f64 v[173:174], v[5:6], v[39:40]
	v_mul_f64 v[39:40], v[7:8], v[39:40]
	s_waitcnt vmcnt(56)
	v_fma_f64 v[35:36], v[9:10], v[23:24], -v[35:36]
	ds_read_b128 v[1:4], v62 offset:864
	v_fma_f64 v[23:24], v[11:12], v[23:24], v[29:30]
	v_add_f64 v[13:14], v[13:14], v[31:32]
	v_add_f64 v[15:16], v[15:16], v[27:28]
	s_clause 0x2
	buffer_load_dword v38, off, s[0:3], 0 offset:460
	buffer_load_dword v28, off, s[0:3], 0 offset:436
	;; [unrolled: 1-line block ×3, first 2 shown]
	ds_read_b128 v[9:12], v62 offset:880
	s_waitcnt vmcnt(58) lgkmcnt(1)
	v_mul_f64 v[31:32], v[3:4], v[43:44]
	s_waitcnt vmcnt(56)
	v_fma_f64 v[39:40], v[5:6], v[45:46], -v[39:40]
	v_mul_f64 v[29:30], v[1:2], v[43:44]
	v_add_f64 v[13:14], v[13:14], v[35:36]
	v_fma_f64 v[35:36], v[7:8], v[45:46], v[173:174]
	v_add_f64 v[15:16], v[15:16], v[23:24]
	s_clause 0x4
	buffer_load_dword v24, off, s[0:3], 0 offset:476
	buffer_load_dword v43, off, s[0:3], 0 offset:488
	;; [unrolled: 1-line block ×5, first 2 shown]
	s_waitcnt vmcnt(57) lgkmcnt(0)
	v_mul_f64 v[173:174], v[9:10], v[47:48]
	v_mul_f64 v[46:47], v[11:12], v[47:48]
	s_waitcnt vmcnt(56)
	v_fma_f64 v[31:32], v[1:2], v[33:34], -v[31:32]
	ds_read_b128 v[5:8], v62 offset:896
	v_fma_f64 v[29:30], v[3:4], v[33:34], v[29:30]
	s_clause 0x2
	buffer_load_dword v44, off, s[0:3], 0 offset:492
	buffer_load_dword v34, off, s[0:3], 0 offset:468
	;; [unrolled: 1-line block ×3, first 2 shown]
	ds_read_b128 v[1:4], v62 offset:912
	v_add_f64 v[13:14], v[13:14], v[39:40]
	v_add_f64 v[15:16], v[15:16], v[35:36]
	s_waitcnt vmcnt(58) lgkmcnt(1)
	v_mul_f64 v[39:40], v[7:8], v[51:52]
	s_waitcnt vmcnt(56)
	v_fma_f64 v[47:48], v[9:10], v[53:54], -v[46:47]
	v_mul_f64 v[35:36], v[5:6], v[51:52]
	v_add_f64 v[13:14], v[13:14], v[31:32]
	v_fma_f64 v[31:32], v[11:12], v[53:54], v[173:174]
	v_add_f64 v[15:16], v[15:16], v[29:30]
	s_clause 0x4
	buffer_load_dword v30, off, s[0:3], 0 offset:508
	buffer_load_dword v51, off, s[0:3], 0 offset:520
	;; [unrolled: 1-line block ×5, first 2 shown]
	s_waitcnt vmcnt(57) lgkmcnt(0)
	v_mul_f64 v[173:174], v[1:2], v[55:56]
	v_mul_f64 v[54:55], v[3:4], v[55:56]
	s_waitcnt vmcnt(56)
	v_fma_f64 v[39:40], v[5:6], v[41:42], -v[39:40]
	ds_read_b128 v[9:12], v62 offset:928
	v_fma_f64 v[35:36], v[7:8], v[41:42], v[35:36]
	v_add_f64 v[13:14], v[13:14], v[47:48]
	v_add_f64 v[15:16], v[15:16], v[31:32]
	s_clause 0x2
	buffer_load_dword v52, off, s[0:3], 0 offset:524
	buffer_load_dword v32, off, s[0:3], 0 offset:500
	;; [unrolled: 1-line block ×3, first 2 shown]
	ds_read_b128 v[5:8], v62 offset:944
	s_waitcnt vmcnt(58) lgkmcnt(1)
	v_mul_f64 v[47:48], v[11:12], v[57:58]
	s_waitcnt vmcnt(56)
	v_fma_f64 v[55:56], v[1:2], v[59:60], -v[54:55]
	v_mul_f64 v[41:42], v[9:10], v[57:58]
	v_add_f64 v[13:14], v[13:14], v[39:40]
	v_fma_f64 v[39:40], v[3:4], v[59:60], v[173:174]
	v_add_f64 v[15:16], v[15:16], v[35:36]
	s_clause 0x4
	buffer_load_dword v36, off, s[0:3], 0 offset:540
	buffer_load_dword v57, off, s[0:3], 0 offset:552
	;; [unrolled: 1-line block ×5, first 2 shown]
	s_waitcnt vmcnt(57) lgkmcnt(0)
	v_mul_f64 v[173:174], v[5:6], v[77:78]
	v_mul_f64 v[77:78], v[7:8], v[77:78]
	s_waitcnt vmcnt(56)
	v_fma_f64 v[47:48], v[9:10], v[49:50], -v[47:48]
	ds_read_b128 v[1:4], v62 offset:960
	v_fma_f64 v[41:42], v[11:12], v[49:50], v[41:42]
	v_add_f64 v[13:14], v[13:14], v[55:56]
	v_add_f64 v[15:16], v[15:16], v[39:40]
	s_clause 0x2
	buffer_load_dword v58, off, s[0:3], 0 offset:556
	buffer_load_dword v40, off, s[0:3], 0 offset:532
	;; [unrolled: 1-line block ×3, first 2 shown]
	ds_read_b128 v[9:12], v62 offset:976
	s_waitcnt vmcnt(58) lgkmcnt(1)
	v_mul_f64 v[55:56], v[3:4], v[79:80]
	s_waitcnt vmcnt(56)
	v_fma_f64 v[77:78], v[5:6], v[167:168], -v[77:78]
	v_mul_f64 v[49:50], v[1:2], v[79:80]
	v_add_f64 v[13:14], v[13:14], v[47:48]
	v_fma_f64 v[47:48], v[7:8], v[167:168], v[173:174]
	v_add_f64 v[15:16], v[15:16], v[41:42]
	s_clause 0x4
	buffer_load_dword v42, off, s[0:3], 0 offset:572
	buffer_load_dword v79, off, s[0:3], 0 offset:584
	;; [unrolled: 1-line block ×5, first 2 shown]
	ds_read_b128 v[5:8], v62 offset:992
	s_waitcnt vmcnt(57) lgkmcnt(1)
	v_mul_f64 v[173:174], v[9:10], v[75:76]
	v_mul_f64 v[75:76], v[11:12], v[75:76]
	s_waitcnt vmcnt(56)
	v_fma_f64 v[55:56], v[1:2], v[81:82], -v[55:56]
	v_fma_f64 v[49:50], v[3:4], v[81:82], v[49:50]
	v_add_f64 v[13:14], v[13:14], v[77:78]
	v_add_f64 v[15:16], v[15:16], v[47:48]
	s_clause 0x2
	buffer_load_dword v80, off, s[0:3], 0 offset:588
	buffer_load_dword v48, off, s[0:3], 0 offset:564
	buffer_load_dword v47, off, s[0:3], 0 offset:560
	ds_read_b128 v[1:4], v62 offset:1008
	s_waitcnt vmcnt(58) lgkmcnt(1)
	v_mul_f64 v[81:82], v[7:8], v[83:84]
	v_mul_f64 v[77:78], v[5:6], v[83:84]
	s_waitcnt vmcnt(56)
	v_fma_f64 v[75:76], v[9:10], v[69:70], -v[75:76]
	v_add_f64 v[13:14], v[13:14], v[55:56]
	v_fma_f64 v[55:56], v[11:12], v[69:70], v[173:174]
	v_add_f64 v[15:16], v[15:16], v[49:50]
	s_clause 0x4
	buffer_load_dword v50, off, s[0:3], 0 offset:604
	buffer_load_dword v69, off, s[0:3], 0 offset:616
	buffer_load_dword v83, off, s[0:3], 0 offset:608
	buffer_load_dword v49, off, s[0:3], 0 offset:600
	buffer_load_dword v168, off, s[0:3], 0 offset:580
	ds_read_b128 v[9:12], v62 offset:1024
	s_waitcnt vmcnt(57) lgkmcnt(1)
	v_mul_f64 v[173:174], v[1:2], v[25:26]
	v_mul_f64 v[25:26], v[3:4], v[25:26]
	s_waitcnt vmcnt(56)
	v_fma_f64 v[81:82], v[5:6], v[171:172], -v[81:82]
	v_add_f64 v[13:14], v[13:14], v[75:76]
	v_fma_f64 v[75:76], v[7:8], v[171:172], v[77:78]
	v_add_f64 v[15:16], v[15:16], v[55:56]
	s_clause 0x2
	buffer_load_dword v70, off, s[0:3], 0 offset:620
	buffer_load_dword v56, off, s[0:3], 0 offset:596
	;; [unrolled: 1-line block ×3, first 2 shown]
	ds_read_b128 v[5:8], v62 offset:1040
	s_waitcnt vmcnt(58) lgkmcnt(1)
	v_mul_f64 v[77:78], v[9:10], v[71:72]
	v_mul_f64 v[71:72], v[11:12], v[71:72]
	s_waitcnt vmcnt(56)
	v_fma_f64 v[25:26], v[1:2], v[19:20], -v[25:26]
	v_fma_f64 v[19:20], v[3:4], v[19:20], v[173:174]
	v_add_f64 v[13:14], v[13:14], v[81:82]
	v_add_f64 v[15:16], v[15:16], v[75:76]
	s_clause 0x4
	buffer_load_dword v76, off, s[0:3], 0 offset:636
	buffer_load_dword v81, off, s[0:3], 0 offset:648
	;; [unrolled: 1-line block ×5, first 2 shown]
	ds_read_b128 v[1:4], v62 offset:1056
	s_waitcnt vmcnt(57) lgkmcnt(1)
	v_mul_f64 v[172:173], v[5:6], v[63:64]
	v_mul_f64 v[63:64], v[7:8], v[63:64]
	s_waitcnt vmcnt(56)
	v_fma_f64 v[71:72], v[9:10], v[169:170], -v[71:72]
	v_add_f64 v[13:14], v[13:14], v[25:26]
	v_fma_f64 v[25:26], v[11:12], v[169:170], v[77:78]
	v_add_f64 v[15:16], v[15:16], v[19:20]
	s_clause 0x2
	buffer_load_dword v82, off, s[0:3], 0 offset:652
	buffer_load_dword v20, off, s[0:3], 0 offset:628
	;; [unrolled: 1-line block ×3, first 2 shown]
	ds_read_b128 v[9:12], v62 offset:1072
	s_waitcnt vmcnt(58) lgkmcnt(1)
	v_mul_f64 v[77:78], v[1:2], v[65:66]
	v_mul_f64 v[65:66], v[3:4], v[65:66]
	s_waitcnt vmcnt(56)
	v_fma_f64 v[63:64], v[5:6], v[21:22], -v[63:64]
	v_fma_f64 v[21:22], v[7:8], v[21:22], v[172:173]
	v_add_f64 v[13:14], v[13:14], v[71:72]
	v_add_f64 v[15:16], v[15:16], v[25:26]
	s_clause 0x2
	buffer_load_dword v26, off, s[0:3], 0 offset:668
	buffer_load_dword v25, off, s[0:3], 0 offset:664
	;; [unrolled: 1-line block ×3, first 2 shown]
	ds_read_b128 v[5:8], v62 offset:1088
	s_waitcnt vmcnt(55) lgkmcnt(1)
	v_mul_f64 v[71:72], v[9:10], v[17:18]
	v_mul_f64 v[17:18], v[11:12], v[17:18]
	s_waitcnt vmcnt(54)
	v_fma_f64 v[65:66], v[1:2], v[73:74], -v[65:66]
	v_add_f64 v[13:14], v[13:14], v[63:64]
	v_fma_f64 v[63:64], v[3:4], v[73:74], v[77:78]
	v_add_f64 v[15:16], v[15:16], v[21:22]
	s_clause 0x1
	buffer_load_dword v22, off, s[0:3], 0 offset:660
	buffer_load_dword v21, off, s[0:3], 0 offset:656
	ds_read_b128 v[1:4], v62 offset:1104
	s_waitcnt vmcnt(55) lgkmcnt(1)
	v_mul_f64 v[73:74], v[5:6], v[37:38]
	v_mul_f64 v[37:38], v[7:8], v[37:38]
	s_waitcnt vmcnt(53)
	v_fma_f64 v[17:18], v[9:10], v[27:28], -v[17:18]
	v_fma_f64 v[27:28], v[11:12], v[27:28], v[71:72]
	ds_read_b128 v[9:12], v62 offset:1120
	v_add_f64 v[13:14], v[13:14], v[65:66]
	v_add_f64 v[15:16], v[15:16], v[63:64]
	s_waitcnt vmcnt(49) lgkmcnt(1)
	v_mul_f64 v[63:64], v[1:2], v[23:24]
	v_mul_f64 v[23:24], v[3:4], v[23:24]
	s_waitcnt vmcnt(48)
	v_fma_f64 v[37:38], v[5:6], v[67:68], -v[37:38]
	v_add_f64 v[13:14], v[13:14], v[17:18]
	v_fma_f64 v[17:18], v[7:8], v[67:68], v[73:74]
	v_add_f64 v[15:16], v[15:16], v[27:28]
	s_clause 0x3
	buffer_load_dword v27, off, s[0:3], 0 offset:48
	buffer_load_dword v28, off, s[0:3], 0 offset:52
	;; [unrolled: 1-line block ×4, first 2 shown]
	s_waitcnt vmcnt(51) lgkmcnt(0)
	v_mul_f64 v[67:68], v[9:10], v[43:44]
	v_mul_f64 v[43:44], v[11:12], v[43:44]
	ds_read_b128 v[5:8], v62 offset:1136
	s_waitcnt vmcnt(49)
	v_fma_f64 v[23:24], v[1:2], v[33:34], -v[23:24]
	v_fma_f64 v[33:34], v[3:4], v[33:34], v[63:64]
	ds_read_b128 v[1:4], v62 offset:1152
	v_add_f64 v[13:14], v[13:14], v[37:38]
	v_add_f64 v[15:16], v[15:16], v[17:18]
	s_waitcnt vmcnt(45) lgkmcnt(1)
	v_mul_f64 v[17:18], v[5:6], v[29:30]
	v_mul_f64 v[29:30], v[7:8], v[29:30]
	s_waitcnt vmcnt(44)
	v_fma_f64 v[37:38], v[9:10], v[45:46], -v[43:44]
	v_add_f64 v[13:14], v[13:14], v[23:24]
	v_fma_f64 v[23:24], v[11:12], v[45:46], v[67:68]
	v_add_f64 v[15:16], v[15:16], v[33:34]
	ds_read_b128 v[9:12], v62 offset:1168
	s_waitcnt vmcnt(43) lgkmcnt(1)
	v_mul_f64 v[43:44], v[3:4], v[51:52]
	v_mul_f64 v[33:34], v[1:2], v[51:52]
	s_waitcnt vmcnt(41)
	v_fma_f64 v[29:30], v[5:6], v[31:32], -v[29:30]
	v_fma_f64 v[17:18], v[7:8], v[31:32], v[17:18]
	ds_read_b128 v[5:8], v62 offset:1184
	v_add_f64 v[13:14], v[13:14], v[37:38]
	v_add_f64 v[15:16], v[15:16], v[23:24]
	s_waitcnt vmcnt(37) lgkmcnt(1)
	v_mul_f64 v[23:24], v[9:10], v[35:36]
	v_mul_f64 v[31:32], v[11:12], v[35:36]
	s_waitcnt vmcnt(36)
	v_fma_f64 v[35:36], v[1:2], v[53:54], -v[43:44]
	v_add_f64 v[13:14], v[13:14], v[29:30]
	v_fma_f64 v[29:30], v[3:4], v[53:54], v[33:34]
	v_add_f64 v[15:16], v[15:16], v[17:18]
	ds_read_b128 v[1:4], v62 offset:1200
	s_waitcnt vmcnt(35) lgkmcnt(1)
	v_mul_f64 v[33:34], v[7:8], v[57:58]
	v_mul_f64 v[17:18], v[5:6], v[57:58]
	s_waitcnt vmcnt(33)
	v_fma_f64 v[31:32], v[9:10], v[39:40], -v[31:32]
	v_fma_f64 v[23:24], v[11:12], v[39:40], v[23:24]
	ds_read_b128 v[9:12], v62 offset:1216
	v_add_f64 v[13:14], v[13:14], v[35:36]
	v_add_f64 v[15:16], v[15:16], v[29:30]
	s_waitcnt vmcnt(29) lgkmcnt(1)
	v_mul_f64 v[35:36], v[3:4], v[41:42]
	s_waitcnt vmcnt(28)
	v_fma_f64 v[33:34], v[5:6], v[59:60], -v[33:34]
	v_mul_f64 v[29:30], v[1:2], v[41:42]
	v_fma_f64 v[17:18], v[7:8], v[59:60], v[17:18]
	ds_read_b128 v[5:8], v62 offset:1232
	v_add_f64 v[13:14], v[13:14], v[31:32]
	v_add_f64 v[15:16], v[15:16], v[23:24]
	s_waitcnt vmcnt(27) lgkmcnt(1)
	v_mul_f64 v[31:32], v[11:12], v[79:80]
	v_mul_f64 v[23:24], v[9:10], v[79:80]
	s_waitcnt vmcnt(25)
	v_fma_f64 v[35:36], v[1:2], v[47:48], -v[35:36]
	v_fma_f64 v[29:30], v[3:4], v[47:48], v[29:30]
	ds_read_b128 v[1:4], v62 offset:1248
	v_add_f64 v[13:14], v[13:14], v[33:34]
	v_add_f64 v[15:16], v[15:16], v[17:18]
	s_waitcnt vmcnt(21) lgkmcnt(1)
	v_mul_f64 v[33:34], v[7:8], v[49:50]
	s_waitcnt vmcnt(20)
	v_fma_f64 v[31:32], v[9:10], v[167:168], -v[31:32]
	v_mul_f64 v[17:18], v[5:6], v[49:50]
	v_fma_f64 v[23:24], v[11:12], v[167:168], v[23:24]
	ds_read_b128 v[9:12], v62 offset:1264
	v_add_f64 v[13:14], v[13:14], v[35:36]
	v_add_f64 v[15:16], v[15:16], v[29:30]
	;; [unrolled: 18-line block ×3, first 2 shown]
	s_waitcnt vmcnt(11) lgkmcnt(1)
	v_mul_f64 v[33:34], v[7:8], v[81:82]
	v_mul_f64 v[17:18], v[5:6], v[81:82]
	s_waitcnt vmcnt(9)
	v_fma_f64 v[9:10], v[9:10], v[19:20], -v[31:32]
	v_fma_f64 v[11:12], v[11:12], v[19:20], v[23:24]
	v_add_f64 v[13:14], v[13:14], v[35:36]
	v_add_f64 v[15:16], v[15:16], v[29:30]
	s_waitcnt vmcnt(7) lgkmcnt(0)
	v_mul_f64 v[23:24], v[3:4], v[25:26]
	s_waitcnt vmcnt(6)
	v_fma_f64 v[5:6], v[5:6], v[171:172], -v[33:34]
	v_mul_f64 v[19:20], v[1:2], v[25:26]
	v_fma_f64 v[7:8], v[7:8], v[171:172], v[17:18]
	v_add_f64 v[9:10], v[13:14], v[9:10]
	v_add_f64 v[11:12], v[15:16], v[11:12]
	s_waitcnt vmcnt(4)
	v_fma_f64 v[1:2], v[1:2], v[21:22], -v[23:24]
	v_fma_f64 v[3:4], v[3:4], v[21:22], v[19:20]
	v_add_f64 v[5:6], v[9:10], v[5:6]
	v_add_f64 v[7:8], v[11:12], v[7:8]
	;; [unrolled: 1-line block ×4, first 2 shown]
	s_waitcnt vmcnt(2)
	v_add_f64 v[1:2], v[27:28], -v[1:2]
	s_waitcnt vmcnt(0)
	v_add_f64 v[3:4], v[65:66], -v[3:4]
	buffer_store_dword v2, off, s[0:3], 0 offset:52
	buffer_store_dword v1, off, s[0:3], 0 offset:48
	;; [unrolled: 1-line block ×4, first 2 shown]
	v_cmpx_lt_u32_e32 1, v0
	s_cbranch_execz .LBB40_257
; %bb.256:
	v_mov_b32_e32 v4, s52
	v_mov_b32_e32 v5, 0
	s_clause 0x3
	buffer_load_dword v1, v4, s[0:3], 0 offen
	buffer_load_dword v2, v4, s[0:3], 0 offen offset:4
	buffer_load_dword v3, v4, s[0:3], 0 offen offset:8
	;; [unrolled: 1-line block ×3, first 2 shown]
	buffer_store_dword v5, off, s[0:3], 0 offset:32
	buffer_store_dword v5, off, s[0:3], 0 offset:36
	;; [unrolled: 1-line block ×4, first 2 shown]
	s_waitcnt vmcnt(0)
	ds_write_b128 v61, v[1:4]
.LBB40_257:
	s_or_b32 exec_lo, exec_lo, s4
	s_waitcnt lgkmcnt(0)
	s_waitcnt_vscnt null, 0x0
	s_barrier
	buffer_gl0_inv
	s_clause 0x37
	buffer_load_dword v9, off, s[0:3], 0 offset:56
	buffer_load_dword v10, off, s[0:3], 0 offset:60
	;; [unrolled: 1-line block ×56, first 2 shown]
	v_mov_b32_e32 v62, 0
	s_mov_b32 s4, exec_lo
	ds_read_b128 v[63:66], v62 offset:688
	s_clause 0x2
	buffer_load_dword v58, off, s[0:3], 0 offset:284
	buffer_load_dword v60, off, s[0:3], 0 offset:260
	;; [unrolled: 1-line block ×3, first 2 shown]
	ds_read_b128 v[67:70], v62 offset:704
	s_clause 0x4
	buffer_load_dword v78, off, s[0:3], 0 offset:300
	buffer_load_dword v79, off, s[0:3], 0 offset:312
	;; [unrolled: 1-line block ×5, first 2 shown]
	ds_read_b128 v[71:74], v62 offset:720
	s_clause 0x2
	buffer_load_dword v80, off, s[0:3], 0 offset:316
	buffer_load_dword v168, off, s[0:3], 0 offset:292
	;; [unrolled: 1-line block ×3, first 2 shown]
	s_waitcnt vmcnt(62) lgkmcnt(2)
	v_mul_f64 v[75:76], v[65:66], v[9:10]
	v_mul_f64 v[9:10], v[63:64], v[9:10]
	s_waitcnt lgkmcnt(1)
	v_mul_f64 v[82:83], v[69:70], v[5:6]
	s_waitcnt vmcnt(59) lgkmcnt(0)
	v_mul_f64 v[169:170], v[73:74], v[3:4]
	v_fma_f64 v[63:64], v[63:64], v[7:8], -v[75:76]
	v_mul_f64 v[75:76], v[67:68], v[5:6]
	v_fma_f64 v[9:10], v[65:66], v[7:8], v[9:10]
	s_waitcnt vmcnt(57)
	v_fma_f64 v[67:68], v[67:68], v[1:2], -v[82:83]
	ds_read_b128 v[5:8], v62 offset:736
	v_mul_f64 v[65:66], v[71:72], v[3:4]
	s_waitcnt vmcnt(51)
	v_fma_f64 v[71:72], v[71:72], v[25:26], -v[169:170]
	v_add_f64 v[63:64], v[63:64], 0
	v_fma_f64 v[69:70], v[69:70], v[1:2], v[75:76]
	v_add_f64 v[9:10], v[9:10], 0
	s_clause 0x4
	buffer_load_dword v76, off, s[0:3], 0 offset:332
	buffer_load_dword v83, off, s[0:3], 0 offset:344
	;; [unrolled: 1-line block ×5, first 2 shown]
	s_waitcnt lgkmcnt(0)
	v_mul_f64 v[172:173], v[5:6], v[13:14]
	v_mul_f64 v[13:14], v[7:8], v[13:14]
	ds_read_b128 v[1:4], v62 offset:752
	v_fma_f64 v[25:26], v[73:74], v[25:26], v[65:66]
	v_add_f64 v[67:68], v[63:64], v[67:68]
	v_add_f64 v[9:10], v[9:10], v[69:70]
	s_clause 0x2
	buffer_load_dword v84, off, s[0:3], 0 offset:348
	buffer_load_dword v70, off, s[0:3], 0 offset:324
	;; [unrolled: 1-line block ×3, first 2 shown]
	s_waitcnt vmcnt(58) lgkmcnt(0)
	v_mul_f64 v[73:74], v[1:2], v[17:18]
	v_mul_f64 v[17:18], v[3:4], v[17:18]
	s_waitcnt vmcnt(56)
	v_fma_f64 v[13:14], v[5:6], v[19:20], -v[13:14]
	ds_read_b128 v[63:66], v62 offset:768
	v_fma_f64 v[19:20], v[7:8], v[19:20], v[172:173]
	v_add_f64 v[67:68], v[67:68], v[71:72]
	v_add_f64 v[9:10], v[9:10], v[25:26]
	s_clause 0x4
	buffer_load_dword v26, off, s[0:3], 0 offset:364
	buffer_load_dword v71, off, s[0:3], 0 offset:376
	buffer_load_dword v169, off, s[0:3], 0 offset:368
	buffer_load_dword v25, off, s[0:3], 0 offset:360
	buffer_load_dword v172, off, s[0:3], 0 offset:340
	ds_read_b128 v[5:8], v62 offset:784
	s_waitcnt vmcnt(57) lgkmcnt(1)
	v_mul_f64 v[173:174], v[63:64], v[21:22]
	v_mul_f64 v[21:22], v[65:66], v[21:22]
	s_waitcnt vmcnt(56)
	v_fma_f64 v[17:18], v[1:2], v[11:12], -v[17:18]
	v_fma_f64 v[11:12], v[3:4], v[11:12], v[73:74]
	v_add_f64 v[13:14], v[67:68], v[13:14]
	v_add_f64 v[9:10], v[9:10], v[19:20]
	s_clause 0x2
	buffer_load_dword v72, off, s[0:3], 0 offset:380
	buffer_load_dword v20, off, s[0:3], 0 offset:356
	;; [unrolled: 1-line block ×3, first 2 shown]
	s_waitcnt vmcnt(58) lgkmcnt(0)
	v_mul_f64 v[67:68], v[5:6], v[27:28]
	v_mul_f64 v[27:28], v[7:8], v[27:28]
	s_waitcnt vmcnt(56)
	v_fma_f64 v[21:22], v[63:64], v[29:30], -v[21:22]
	ds_read_b128 v[1:4], v62 offset:800
	v_add_f64 v[13:14], v[13:14], v[17:18]
	v_fma_f64 v[17:18], v[65:66], v[29:30], v[173:174]
	v_add_f64 v[29:30], v[9:10], v[11:12]
	s_clause 0x4
	buffer_load_dword v64, off, s[0:3], 0 offset:396
	buffer_load_dword v65, off, s[0:3], 0 offset:408
	;; [unrolled: 1-line block ×5, first 2 shown]
	ds_read_b128 v[9:12], v62 offset:816
	s_waitcnt vmcnt(57) lgkmcnt(1)
	v_mul_f64 v[173:174], v[1:2], v[31:32]
	v_mul_f64 v[31:32], v[3:4], v[31:32]
	s_waitcnt vmcnt(56)
	v_fma_f64 v[27:28], v[5:6], v[15:16], -v[27:28]
	v_fma_f64 v[15:16], v[7:8], v[15:16], v[67:68]
	v_add_f64 v[13:14], v[13:14], v[21:22]
	s_clause 0x2
	buffer_load_dword v66, off, s[0:3], 0 offset:412
	buffer_load_dword v22, off, s[0:3], 0 offset:388
	;; [unrolled: 1-line block ×3, first 2 shown]
	v_add_f64 v[17:18], v[29:30], v[17:18]
	s_waitcnt vmcnt(58) lgkmcnt(0)
	v_mul_f64 v[29:30], v[9:10], v[35:36]
	v_mul_f64 v[35:36], v[11:12], v[35:36]
	ds_read_b128 v[5:8], v62 offset:832
	s_waitcnt vmcnt(56)
	v_fma_f64 v[31:32], v[1:2], v[37:38], -v[31:32]
	v_add_f64 v[13:14], v[13:14], v[27:28]
	v_fma_f64 v[27:28], v[3:4], v[37:38], v[173:174]
	v_add_f64 v[15:16], v[17:18], v[15:16]
	s_clause 0x4
	buffer_load_dword v18, off, s[0:3], 0 offset:428
	buffer_load_dword v37, off, s[0:3], 0 offset:440
	;; [unrolled: 1-line block ×5, first 2 shown]
	s_waitcnt vmcnt(57) lgkmcnt(0)
	v_mul_f64 v[173:174], v[5:6], v[39:40]
	v_mul_f64 v[39:40], v[7:8], v[39:40]
	s_waitcnt vmcnt(56)
	v_fma_f64 v[35:36], v[9:10], v[23:24], -v[35:36]
	ds_read_b128 v[1:4], v62 offset:848
	v_fma_f64 v[23:24], v[11:12], v[23:24], v[29:30]
	v_add_f64 v[13:14], v[13:14], v[31:32]
	v_add_f64 v[15:16], v[15:16], v[27:28]
	s_clause 0x2
	buffer_load_dword v38, off, s[0:3], 0 offset:444
	buffer_load_dword v28, off, s[0:3], 0 offset:420
	;; [unrolled: 1-line block ×3, first 2 shown]
	ds_read_b128 v[9:12], v62 offset:864
	s_waitcnt vmcnt(58) lgkmcnt(1)
	v_mul_f64 v[31:32], v[3:4], v[43:44]
	s_waitcnt vmcnt(56)
	v_fma_f64 v[39:40], v[5:6], v[45:46], -v[39:40]
	v_mul_f64 v[29:30], v[1:2], v[43:44]
	v_add_f64 v[13:14], v[13:14], v[35:36]
	v_fma_f64 v[35:36], v[7:8], v[45:46], v[173:174]
	v_add_f64 v[15:16], v[15:16], v[23:24]
	s_clause 0x4
	buffer_load_dword v24, off, s[0:3], 0 offset:460
	buffer_load_dword v43, off, s[0:3], 0 offset:472
	;; [unrolled: 1-line block ×5, first 2 shown]
	s_waitcnt vmcnt(57) lgkmcnt(0)
	v_mul_f64 v[173:174], v[9:10], v[47:48]
	v_mul_f64 v[46:47], v[11:12], v[47:48]
	s_waitcnt vmcnt(56)
	v_fma_f64 v[31:32], v[1:2], v[33:34], -v[31:32]
	ds_read_b128 v[5:8], v62 offset:880
	v_fma_f64 v[29:30], v[3:4], v[33:34], v[29:30]
	s_clause 0x2
	buffer_load_dword v44, off, s[0:3], 0 offset:476
	buffer_load_dword v34, off, s[0:3], 0 offset:452
	;; [unrolled: 1-line block ×3, first 2 shown]
	ds_read_b128 v[1:4], v62 offset:896
	v_add_f64 v[13:14], v[13:14], v[39:40]
	v_add_f64 v[15:16], v[15:16], v[35:36]
	s_waitcnt vmcnt(58) lgkmcnt(1)
	v_mul_f64 v[39:40], v[7:8], v[51:52]
	s_waitcnt vmcnt(56)
	v_fma_f64 v[47:48], v[9:10], v[53:54], -v[46:47]
	v_mul_f64 v[35:36], v[5:6], v[51:52]
	v_add_f64 v[13:14], v[13:14], v[31:32]
	v_fma_f64 v[31:32], v[11:12], v[53:54], v[173:174]
	v_add_f64 v[15:16], v[15:16], v[29:30]
	s_clause 0x4
	buffer_load_dword v30, off, s[0:3], 0 offset:492
	buffer_load_dword v51, off, s[0:3], 0 offset:504
	;; [unrolled: 1-line block ×5, first 2 shown]
	s_waitcnt vmcnt(57) lgkmcnt(0)
	v_mul_f64 v[173:174], v[1:2], v[55:56]
	v_mul_f64 v[54:55], v[3:4], v[55:56]
	s_waitcnt vmcnt(56)
	v_fma_f64 v[39:40], v[5:6], v[41:42], -v[39:40]
	ds_read_b128 v[9:12], v62 offset:912
	v_fma_f64 v[35:36], v[7:8], v[41:42], v[35:36]
	v_add_f64 v[13:14], v[13:14], v[47:48]
	v_add_f64 v[15:16], v[15:16], v[31:32]
	s_clause 0x2
	buffer_load_dword v52, off, s[0:3], 0 offset:508
	buffer_load_dword v32, off, s[0:3], 0 offset:484
	;; [unrolled: 1-line block ×3, first 2 shown]
	ds_read_b128 v[5:8], v62 offset:928
	s_waitcnt vmcnt(58) lgkmcnt(1)
	v_mul_f64 v[47:48], v[11:12], v[57:58]
	s_waitcnt vmcnt(56)
	v_fma_f64 v[55:56], v[1:2], v[59:60], -v[54:55]
	v_mul_f64 v[41:42], v[9:10], v[57:58]
	v_add_f64 v[13:14], v[13:14], v[39:40]
	v_fma_f64 v[39:40], v[3:4], v[59:60], v[173:174]
	v_add_f64 v[15:16], v[15:16], v[35:36]
	s_clause 0x4
	buffer_load_dword v36, off, s[0:3], 0 offset:524
	buffer_load_dword v57, off, s[0:3], 0 offset:536
	;; [unrolled: 1-line block ×5, first 2 shown]
	s_waitcnt vmcnt(57) lgkmcnt(0)
	v_mul_f64 v[173:174], v[5:6], v[77:78]
	v_mul_f64 v[77:78], v[7:8], v[77:78]
	s_waitcnt vmcnt(56)
	v_fma_f64 v[47:48], v[9:10], v[49:50], -v[47:48]
	ds_read_b128 v[1:4], v62 offset:944
	v_fma_f64 v[41:42], v[11:12], v[49:50], v[41:42]
	v_add_f64 v[13:14], v[13:14], v[55:56]
	v_add_f64 v[15:16], v[15:16], v[39:40]
	s_clause 0x2
	buffer_load_dword v58, off, s[0:3], 0 offset:540
	buffer_load_dword v40, off, s[0:3], 0 offset:516
	buffer_load_dword v39, off, s[0:3], 0 offset:512
	ds_read_b128 v[9:12], v62 offset:960
	s_waitcnt vmcnt(58) lgkmcnt(1)
	v_mul_f64 v[55:56], v[3:4], v[79:80]
	s_waitcnt vmcnt(56)
	v_fma_f64 v[77:78], v[5:6], v[167:168], -v[77:78]
	v_mul_f64 v[49:50], v[1:2], v[79:80]
	v_add_f64 v[13:14], v[13:14], v[47:48]
	v_fma_f64 v[47:48], v[7:8], v[167:168], v[173:174]
	v_add_f64 v[15:16], v[15:16], v[41:42]
	s_clause 0x4
	buffer_load_dword v42, off, s[0:3], 0 offset:556
	buffer_load_dword v79, off, s[0:3], 0 offset:568
	;; [unrolled: 1-line block ×5, first 2 shown]
	ds_read_b128 v[5:8], v62 offset:976
	s_waitcnt vmcnt(57) lgkmcnt(1)
	v_mul_f64 v[173:174], v[9:10], v[75:76]
	v_mul_f64 v[75:76], v[11:12], v[75:76]
	s_waitcnt vmcnt(56)
	v_fma_f64 v[55:56], v[1:2], v[81:82], -v[55:56]
	v_fma_f64 v[49:50], v[3:4], v[81:82], v[49:50]
	v_add_f64 v[13:14], v[13:14], v[77:78]
	v_add_f64 v[15:16], v[15:16], v[47:48]
	s_clause 0x2
	buffer_load_dword v80, off, s[0:3], 0 offset:572
	buffer_load_dword v48, off, s[0:3], 0 offset:548
	;; [unrolled: 1-line block ×3, first 2 shown]
	ds_read_b128 v[1:4], v62 offset:992
	s_waitcnt vmcnt(58) lgkmcnt(1)
	v_mul_f64 v[81:82], v[7:8], v[83:84]
	v_mul_f64 v[77:78], v[5:6], v[83:84]
	s_waitcnt vmcnt(56)
	v_fma_f64 v[75:76], v[9:10], v[69:70], -v[75:76]
	v_add_f64 v[13:14], v[13:14], v[55:56]
	v_fma_f64 v[55:56], v[11:12], v[69:70], v[173:174]
	v_add_f64 v[15:16], v[15:16], v[49:50]
	s_clause 0x4
	buffer_load_dword v50, off, s[0:3], 0 offset:588
	buffer_load_dword v69, off, s[0:3], 0 offset:600
	;; [unrolled: 1-line block ×5, first 2 shown]
	ds_read_b128 v[9:12], v62 offset:1008
	s_waitcnt vmcnt(57) lgkmcnt(1)
	v_mul_f64 v[173:174], v[1:2], v[25:26]
	v_mul_f64 v[25:26], v[3:4], v[25:26]
	s_waitcnt vmcnt(56)
	v_fma_f64 v[81:82], v[5:6], v[171:172], -v[81:82]
	v_add_f64 v[13:14], v[13:14], v[75:76]
	v_fma_f64 v[75:76], v[7:8], v[171:172], v[77:78]
	v_add_f64 v[15:16], v[15:16], v[55:56]
	s_clause 0x2
	buffer_load_dword v70, off, s[0:3], 0 offset:604
	buffer_load_dword v56, off, s[0:3], 0 offset:580
	;; [unrolled: 1-line block ×3, first 2 shown]
	ds_read_b128 v[5:8], v62 offset:1024
	s_waitcnt vmcnt(58) lgkmcnt(1)
	v_mul_f64 v[77:78], v[9:10], v[71:72]
	v_mul_f64 v[71:72], v[11:12], v[71:72]
	s_waitcnt vmcnt(56)
	v_fma_f64 v[25:26], v[1:2], v[19:20], -v[25:26]
	v_fma_f64 v[19:20], v[3:4], v[19:20], v[173:174]
	v_add_f64 v[13:14], v[13:14], v[81:82]
	v_add_f64 v[15:16], v[15:16], v[75:76]
	s_clause 0x4
	buffer_load_dword v76, off, s[0:3], 0 offset:620
	buffer_load_dword v81, off, s[0:3], 0 offset:632
	;; [unrolled: 1-line block ×5, first 2 shown]
	ds_read_b128 v[1:4], v62 offset:1040
	s_waitcnt vmcnt(57) lgkmcnt(1)
	v_mul_f64 v[172:173], v[5:6], v[63:64]
	v_mul_f64 v[63:64], v[7:8], v[63:64]
	s_waitcnt vmcnt(56)
	v_fma_f64 v[71:72], v[9:10], v[169:170], -v[71:72]
	v_add_f64 v[13:14], v[13:14], v[25:26]
	v_fma_f64 v[25:26], v[11:12], v[169:170], v[77:78]
	v_add_f64 v[15:16], v[15:16], v[19:20]
	s_clause 0x2
	buffer_load_dword v82, off, s[0:3], 0 offset:636
	buffer_load_dword v20, off, s[0:3], 0 offset:612
	;; [unrolled: 1-line block ×3, first 2 shown]
	ds_read_b128 v[9:12], v62 offset:1056
	s_waitcnt vmcnt(58) lgkmcnt(1)
	v_mul_f64 v[77:78], v[1:2], v[65:66]
	v_mul_f64 v[65:66], v[3:4], v[65:66]
	s_waitcnt vmcnt(56)
	v_fma_f64 v[63:64], v[5:6], v[21:22], -v[63:64]
	v_fma_f64 v[21:22], v[7:8], v[21:22], v[172:173]
	v_add_f64 v[13:14], v[13:14], v[71:72]
	v_add_f64 v[15:16], v[15:16], v[25:26]
	s_clause 0x4
	buffer_load_dword v26, off, s[0:3], 0 offset:652
	buffer_load_dword v71, off, s[0:3], 0 offset:664
	;; [unrolled: 1-line block ×5, first 2 shown]
	ds_read_b128 v[5:8], v62 offset:1072
	s_waitcnt vmcnt(57) lgkmcnt(1)
	v_mul_f64 v[173:174], v[9:10], v[17:18]
	v_mul_f64 v[17:18], v[11:12], v[17:18]
	s_waitcnt vmcnt(56)
	v_fma_f64 v[65:66], v[1:2], v[73:74], -v[65:66]
	v_add_f64 v[13:14], v[13:14], v[63:64]
	v_fma_f64 v[63:64], v[3:4], v[73:74], v[77:78]
	v_add_f64 v[15:16], v[15:16], v[21:22]
	s_clause 0x2
	buffer_load_dword v72, off, s[0:3], 0 offset:668
	buffer_load_dword v22, off, s[0:3], 0 offset:644
	;; [unrolled: 1-line block ×3, first 2 shown]
	ds_read_b128 v[1:4], v62 offset:1088
	buffer_load_dword v170, off, s[0:3], 0 offset:660
	s_waitcnt vmcnt(59) lgkmcnt(1)
	v_mul_f64 v[73:74], v[5:6], v[37:38]
	v_mul_f64 v[37:38], v[7:8], v[37:38]
	s_waitcnt vmcnt(57)
	v_fma_f64 v[17:18], v[9:10], v[27:28], -v[17:18]
	v_fma_f64 v[27:28], v[11:12], v[27:28], v[173:174]
	ds_read_b128 v[9:12], v62 offset:1104
	v_add_f64 v[13:14], v[13:14], v[65:66]
	v_add_f64 v[15:16], v[15:16], v[63:64]
	s_waitcnt vmcnt(53) lgkmcnt(1)
	v_mul_f64 v[63:64], v[1:2], v[23:24]
	v_mul_f64 v[23:24], v[3:4], v[23:24]
	s_waitcnt vmcnt(52)
	v_fma_f64 v[37:38], v[5:6], v[67:68], -v[37:38]
	v_add_f64 v[13:14], v[13:14], v[17:18]
	v_fma_f64 v[17:18], v[7:8], v[67:68], v[73:74]
	v_add_f64 v[15:16], v[15:16], v[27:28]
	s_waitcnt vmcnt(51) lgkmcnt(0)
	v_mul_f64 v[27:28], v[9:10], v[43:44]
	v_mul_f64 v[43:44], v[11:12], v[43:44]
	ds_read_b128 v[5:8], v62 offset:1120
	s_waitcnt vmcnt(49)
	v_fma_f64 v[23:24], v[1:2], v[33:34], -v[23:24]
	v_fma_f64 v[33:34], v[3:4], v[33:34], v[63:64]
	v_add_f64 v[13:14], v[13:14], v[37:38]
	v_add_f64 v[15:16], v[15:16], v[17:18]
	s_clause 0x3
	buffer_load_dword v17, off, s[0:3], 0 offset:32
	buffer_load_dword v18, off, s[0:3], 0 offset:36
	;; [unrolled: 1-line block ×4, first 2 shown]
	ds_read_b128 v[1:4], v62 offset:1136
	s_waitcnt vmcnt(49) lgkmcnt(1)
	v_mul_f64 v[63:64], v[5:6], v[29:30]
	v_mul_f64 v[29:30], v[7:8], v[29:30]
	s_waitcnt vmcnt(48)
	v_fma_f64 v[43:44], v[9:10], v[45:46], -v[43:44]
	v_add_f64 v[13:14], v[13:14], v[23:24]
	v_fma_f64 v[23:24], v[11:12], v[45:46], v[27:28]
	v_add_f64 v[15:16], v[15:16], v[33:34]
	ds_read_b128 v[9:12], v62 offset:1152
	s_waitcnt vmcnt(47) lgkmcnt(1)
	v_mul_f64 v[33:34], v[3:4], v[51:52]
	v_mul_f64 v[27:28], v[1:2], v[51:52]
	s_waitcnt vmcnt(45)
	v_fma_f64 v[29:30], v[5:6], v[31:32], -v[29:30]
	v_fma_f64 v[31:32], v[7:8], v[31:32], v[63:64]
	ds_read_b128 v[5:8], v62 offset:1168
	v_add_f64 v[13:14], v[13:14], v[43:44]
	v_add_f64 v[15:16], v[15:16], v[23:24]
	s_waitcnt vmcnt(41) lgkmcnt(1)
	v_mul_f64 v[23:24], v[9:10], v[35:36]
	v_mul_f64 v[35:36], v[11:12], v[35:36]
	s_waitcnt vmcnt(40)
	v_fma_f64 v[33:34], v[1:2], v[53:54], -v[33:34]
	v_fma_f64 v[27:28], v[3:4], v[53:54], v[27:28]
	ds_read_b128 v[1:4], v62 offset:1184
	v_add_f64 v[13:14], v[13:14], v[29:30]
	v_add_f64 v[15:16], v[15:16], v[31:32]
	;; [unrolled: 9-line block ×3, first 2 shown]
	s_waitcnt vmcnt(33) lgkmcnt(1)
	v_mul_f64 v[33:34], v[3:4], v[41:42]
	s_waitcnt vmcnt(32)
	v_fma_f64 v[31:32], v[5:6], v[59:60], -v[31:32]
	v_mul_f64 v[27:28], v[1:2], v[41:42]
	v_fma_f64 v[29:30], v[7:8], v[59:60], v[29:30]
	ds_read_b128 v[5:8], v62 offset:1216
	v_add_f64 v[13:14], v[13:14], v[35:36]
	v_add_f64 v[15:16], v[15:16], v[23:24]
	s_waitcnt vmcnt(31) lgkmcnt(1)
	v_mul_f64 v[35:36], v[11:12], v[79:80]
	v_mul_f64 v[23:24], v[9:10], v[79:80]
	s_waitcnt vmcnt(29)
	v_fma_f64 v[33:34], v[1:2], v[47:48], -v[33:34]
	v_fma_f64 v[27:28], v[3:4], v[47:48], v[27:28]
	ds_read_b128 v[1:4], v62 offset:1232
	v_add_f64 v[13:14], v[13:14], v[31:32]
	v_add_f64 v[15:16], v[15:16], v[29:30]
	s_waitcnt vmcnt(25) lgkmcnt(1)
	v_mul_f64 v[31:32], v[7:8], v[49:50]
	s_waitcnt vmcnt(24)
	v_fma_f64 v[35:36], v[9:10], v[167:168], -v[35:36]
	v_mul_f64 v[29:30], v[5:6], v[49:50]
	v_fma_f64 v[23:24], v[11:12], v[167:168], v[23:24]
	ds_read_b128 v[9:12], v62 offset:1248
	v_add_f64 v[13:14], v[13:14], v[33:34]
	v_add_f64 v[15:16], v[15:16], v[27:28]
	s_waitcnt vmcnt(23) lgkmcnt(1)
	v_mul_f64 v[33:34], v[3:4], v[69:70]
	v_mul_f64 v[27:28], v[1:2], v[69:70]
	s_waitcnt vmcnt(21)
	v_fma_f64 v[31:32], v[5:6], v[55:56], -v[31:32]
	v_fma_f64 v[29:30], v[7:8], v[55:56], v[29:30]
	ds_read_b128 v[5:8], v62 offset:1264
	v_add_f64 v[13:14], v[13:14], v[35:36]
	v_add_f64 v[15:16], v[15:16], v[23:24]
	;; [unrolled: 18-line block ×3, first 2 shown]
	s_waitcnt vmcnt(9) lgkmcnt(1)
	v_mul_f64 v[23:24], v[1:2], v[25:26]
	v_mul_f64 v[25:26], v[3:4], v[25:26]
	s_waitcnt vmcnt(8)
	v_fma_f64 v[5:6], v[5:6], v[171:172], -v[31:32]
	v_fma_f64 v[7:8], v[7:8], v[171:172], v[29:30]
	v_add_f64 v[13:14], v[13:14], v[35:36]
	v_add_f64 v[15:16], v[15:16], v[19:20]
	s_waitcnt vmcnt(7) lgkmcnt(0)
	v_mul_f64 v[27:28], v[11:12], v[71:72]
	v_mul_f64 v[19:20], v[9:10], v[71:72]
	s_waitcnt vmcnt(5)
	v_fma_f64 v[1:2], v[1:2], v[21:22], -v[25:26]
	v_fma_f64 v[3:4], v[3:4], v[21:22], v[23:24]
	v_add_f64 v[5:6], v[13:14], v[5:6]
	v_add_f64 v[7:8], v[15:16], v[7:8]
	s_waitcnt vmcnt(4)
	v_fma_f64 v[9:10], v[9:10], v[169:170], -v[27:28]
	v_add_f64 v[1:2], v[5:6], v[1:2]
	v_fma_f64 v[5:6], v[11:12], v[169:170], v[19:20]
	v_add_f64 v[3:4], v[7:8], v[3:4]
	v_add_f64 v[1:2], v[1:2], v[9:10]
	;; [unrolled: 1-line block ×3, first 2 shown]
	s_waitcnt vmcnt(2)
	v_add_f64 v[1:2], v[17:18], -v[1:2]
	s_waitcnt vmcnt(0)
	v_add_f64 v[3:4], v[37:38], -v[3:4]
	buffer_store_dword v2, off, s[0:3], 0 offset:36
	buffer_store_dword v1, off, s[0:3], 0 offset:32
	buffer_store_dword v4, off, s[0:3], 0 offset:44
	buffer_store_dword v3, off, s[0:3], 0 offset:40
	v_cmpx_ne_u32_e32 0, v0
	s_cbranch_execz .LBB40_259
; %bb.258:
	s_clause 0x3
	buffer_load_dword v0, off, s[0:3], 0 offset:16
	buffer_load_dword v1, off, s[0:3], 0 offset:20
	;; [unrolled: 1-line block ×4, first 2 shown]
	buffer_store_dword v62, off, s[0:3], 0 offset:16
	buffer_store_dword v62, off, s[0:3], 0 offset:20
	;; [unrolled: 1-line block ×4, first 2 shown]
	s_waitcnt vmcnt(0)
	ds_write_b128 v61, v[0:3]
.LBB40_259:
	s_or_b32 exec_lo, exec_lo, s4
	s_waitcnt lgkmcnt(0)
	s_waitcnt_vscnt null, 0x0
	s_barrier
	buffer_gl0_inv
	s_clause 0x37
	buffer_load_dword v8, off, s[0:3], 0 offset:40
	buffer_load_dword v9, off, s[0:3], 0 offset:44
	;; [unrolled: 1-line block ×56, first 2 shown]
	ds_read_b128 v[63:66], v62 offset:672
	s_clause 0x2
	buffer_load_dword v57, off, s[0:3], 0 offset:268
	buffer_load_dword v59, off, s[0:3], 0 offset:244
	;; [unrolled: 1-line block ×3, first 2 shown]
	ds_read_b128 v[67:70], v62 offset:688
	s_clause 0x4
	buffer_load_dword v76, off, s[0:3], 0 offset:284
	buffer_load_dword v77, off, s[0:3], 0 offset:296
	;; [unrolled: 1-line block ×5, first 2 shown]
	ds_read_b128 v[71:74], v62 offset:704
	s_clause 0x2
	buffer_load_dword v78, off, s[0:3], 0 offset:300
	buffer_load_dword v83, off, s[0:3], 0 offset:276
	;; [unrolled: 1-line block ×3, first 2 shown]
	s_and_b32 vcc_lo, exec_lo, s53
	s_waitcnt vmcnt(62) lgkmcnt(2)
	v_mul_f64 v[60:61], v[65:66], v[8:9]
	v_mul_f64 v[8:9], v[63:64], v[8:9]
	s_waitcnt lgkmcnt(1)
	v_mul_f64 v[80:81], v[69:70], v[4:5]
	s_waitcnt vmcnt(59) lgkmcnt(0)
	v_mul_f64 v[167:168], v[73:74], v[2:3]
	v_fma_f64 v[60:61], v[63:64], v[6:7], -v[60:61]
	v_mul_f64 v[63:64], v[67:68], v[4:5]
	v_fma_f64 v[8:9], v[65:66], v[6:7], v[8:9]
	s_waitcnt vmcnt(57)
	v_fma_f64 v[67:68], v[67:68], v[0:1], -v[80:81]
	ds_read_b128 v[4:7], v62 offset:720
	v_mul_f64 v[65:66], v[71:72], v[2:3]
	s_waitcnt vmcnt(51)
	v_fma_f64 v[71:72], v[71:72], v[24:25], -v[167:168]
	v_add_f64 v[60:61], v[60:61], 0
	v_fma_f64 v[63:64], v[69:70], v[0:1], v[63:64]
	v_add_f64 v[8:9], v[8:9], 0
	s_clause 0x4
	buffer_load_dword v70, off, s[0:3], 0 offset:316
	buffer_load_dword v169, off, s[0:3], 0 offset:328
	;; [unrolled: 1-line block ×5, first 2 shown]
	s_waitcnt lgkmcnt(0)
	v_mul_f64 v[172:173], v[4:5], v[12:13]
	v_mul_f64 v[12:13], v[6:7], v[12:13]
	ds_read_b128 v[0:3], v62 offset:736
	v_fma_f64 v[24:25], v[73:74], v[24:25], v[65:66]
	v_add_f64 v[60:61], v[60:61], v[67:68]
	s_clause 0x2
	buffer_load_dword v170, off, s[0:3], 0 offset:332
	buffer_load_dword v68, off, s[0:3], 0 offset:308
	;; [unrolled: 1-line block ×3, first 2 shown]
	v_add_f64 v[8:9], v[8:9], v[63:64]
	ds_read_b128 v[63:66], v62 offset:752
	s_waitcnt vmcnt(58) lgkmcnt(1)
	v_mul_f64 v[73:74], v[0:1], v[16:17]
	v_mul_f64 v[16:17], v[2:3], v[16:17]
	s_waitcnt vmcnt(56)
	v_fma_f64 v[12:13], v[4:5], v[18:19], -v[12:13]
	v_fma_f64 v[18:19], v[6:7], v[18:19], v[172:173]
	v_add_f64 v[60:61], v[60:61], v[71:72]
	s_waitcnt vmcnt(52) lgkmcnt(0)
	v_mul_f64 v[173:174], v[63:64], v[20:21]
	v_add_f64 v[8:9], v[8:9], v[24:25]
	s_clause 0x4
	buffer_load_dword v25, off, s[0:3], 0 offset:348
	buffer_load_dword v71, off, s[0:3], 0 offset:360
	;; [unrolled: 1-line block ×5, first 2 shown]
	v_mul_f64 v[20:21], v[65:66], v[20:21]
	s_waitcnt vmcnt(56)
	v_fma_f64 v[16:17], v[0:1], v[10:11], -v[16:17]
	ds_read_b128 v[4:7], v62 offset:768
	v_fma_f64 v[10:11], v[2:3], v[10:11], v[73:74]
	v_add_f64 v[12:13], v[60:61], v[12:13]
	v_add_f64 v[8:9], v[8:9], v[18:19]
	s_clause 0x2
	buffer_load_dword v72, off, s[0:3], 0 offset:364
	buffer_load_dword v19, off, s[0:3], 0 offset:340
	;; [unrolled: 1-line block ×3, first 2 shown]
	s_waitcnt vmcnt(58) lgkmcnt(0)
	v_mul_f64 v[60:61], v[4:5], v[26:27]
	v_mul_f64 v[26:27], v[6:7], v[26:27]
	s_waitcnt vmcnt(56)
	v_fma_f64 v[20:21], v[63:64], v[28:29], -v[20:21]
	ds_read_b128 v[0:3], v62 offset:784
	v_add_f64 v[12:13], v[12:13], v[16:17]
	v_fma_f64 v[16:17], v[65:66], v[28:29], v[173:174]
	v_add_f64 v[28:29], v[8:9], v[10:11]
	s_clause 0x4
	buffer_load_dword v64, off, s[0:3], 0 offset:380
	buffer_load_dword v65, off, s[0:3], 0 offset:392
	buffer_load_dword v73, off, s[0:3], 0 offset:384
	buffer_load_dword v63, off, s[0:3], 0 offset:376
	buffer_load_dword v168, off, s[0:3], 0 offset:356
	ds_read_b128 v[8:11], v62 offset:800
	s_waitcnt vmcnt(57) lgkmcnt(1)
	v_mul_f64 v[173:174], v[0:1], v[30:31]
	v_mul_f64 v[30:31], v[2:3], v[30:31]
	s_waitcnt vmcnt(56)
	v_fma_f64 v[26:27], v[4:5], v[14:15], -v[26:27]
	v_fma_f64 v[14:15], v[6:7], v[14:15], v[60:61]
	v_add_f64 v[12:13], v[12:13], v[20:21]
	s_clause 0x2
	buffer_load_dword v66, off, s[0:3], 0 offset:396
	buffer_load_dword v21, off, s[0:3], 0 offset:372
	buffer_load_dword v20, off, s[0:3], 0 offset:368
	v_add_f64 v[16:17], v[28:29], v[16:17]
	s_waitcnt vmcnt(58) lgkmcnt(0)
	v_mul_f64 v[28:29], v[8:9], v[34:35]
	v_mul_f64 v[34:35], v[10:11], v[34:35]
	ds_read_b128 v[4:7], v62 offset:816
	s_waitcnt vmcnt(56)
	v_fma_f64 v[30:31], v[0:1], v[36:37], -v[30:31]
	v_add_f64 v[12:13], v[12:13], v[26:27]
	v_fma_f64 v[26:27], v[2:3], v[36:37], v[173:174]
	v_add_f64 v[14:15], v[16:17], v[14:15]
	s_clause 0x4
	buffer_load_dword v17, off, s[0:3], 0 offset:412
	buffer_load_dword v36, off, s[0:3], 0 offset:424
	;; [unrolled: 1-line block ×5, first 2 shown]
	s_waitcnt vmcnt(57) lgkmcnt(0)
	v_mul_f64 v[173:174], v[4:5], v[38:39]
	v_mul_f64 v[38:39], v[6:7], v[38:39]
	s_waitcnt vmcnt(56)
	v_fma_f64 v[34:35], v[8:9], v[22:23], -v[34:35]
	ds_read_b128 v[0:3], v62 offset:832
	v_fma_f64 v[22:23], v[10:11], v[22:23], v[28:29]
	v_add_f64 v[12:13], v[12:13], v[30:31]
	v_add_f64 v[14:15], v[14:15], v[26:27]
	s_clause 0x2
	buffer_load_dword v37, off, s[0:3], 0 offset:428
	buffer_load_dword v27, off, s[0:3], 0 offset:404
	;; [unrolled: 1-line block ×3, first 2 shown]
	ds_read_b128 v[8:11], v62 offset:848
	s_waitcnt vmcnt(58) lgkmcnt(1)
	v_mul_f64 v[30:31], v[2:3], v[42:43]
	s_waitcnt vmcnt(56)
	v_fma_f64 v[38:39], v[4:5], v[44:45], -v[38:39]
	v_mul_f64 v[28:29], v[0:1], v[42:43]
	v_add_f64 v[12:13], v[12:13], v[34:35]
	v_fma_f64 v[34:35], v[6:7], v[44:45], v[173:174]
	v_add_f64 v[14:15], v[14:15], v[22:23]
	s_clause 0x4
	buffer_load_dword v23, off, s[0:3], 0 offset:444
	buffer_load_dword v42, off, s[0:3], 0 offset:456
	;; [unrolled: 1-line block ×5, first 2 shown]
	s_waitcnt vmcnt(57) lgkmcnt(0)
	v_mul_f64 v[173:174], v[8:9], v[46:47]
	v_mul_f64 v[45:46], v[10:11], v[46:47]
	s_waitcnt vmcnt(56)
	v_fma_f64 v[30:31], v[0:1], v[32:33], -v[30:31]
	ds_read_b128 v[4:7], v62 offset:864
	v_fma_f64 v[28:29], v[2:3], v[32:33], v[28:29]
	s_clause 0x2
	buffer_load_dword v43, off, s[0:3], 0 offset:460
	buffer_load_dword v33, off, s[0:3], 0 offset:436
	;; [unrolled: 1-line block ×3, first 2 shown]
	ds_read_b128 v[0:3], v62 offset:880
	v_add_f64 v[12:13], v[12:13], v[38:39]
	v_add_f64 v[14:15], v[14:15], v[34:35]
	s_waitcnt vmcnt(58) lgkmcnt(1)
	v_mul_f64 v[38:39], v[6:7], v[50:51]
	s_waitcnt vmcnt(56)
	v_fma_f64 v[46:47], v[8:9], v[52:53], -v[45:46]
	v_mul_f64 v[34:35], v[4:5], v[50:51]
	v_add_f64 v[12:13], v[12:13], v[30:31]
	v_fma_f64 v[30:31], v[10:11], v[52:53], v[173:174]
	v_add_f64 v[14:15], v[14:15], v[28:29]
	s_clause 0x4
	buffer_load_dword v29, off, s[0:3], 0 offset:476
	buffer_load_dword v50, off, s[0:3], 0 offset:488
	buffer_load_dword v52, off, s[0:3], 0 offset:480
	buffer_load_dword v28, off, s[0:3], 0 offset:472
	buffer_load_dword v45, off, s[0:3], 0 offset:452
	s_waitcnt vmcnt(57) lgkmcnt(0)
	v_mul_f64 v[173:174], v[0:1], v[54:55]
	v_mul_f64 v[53:54], v[2:3], v[54:55]
	s_waitcnt vmcnt(56)
	v_fma_f64 v[38:39], v[4:5], v[40:41], -v[38:39]
	ds_read_b128 v[8:11], v62 offset:896
	v_fma_f64 v[34:35], v[6:7], v[40:41], v[34:35]
	v_add_f64 v[12:13], v[12:13], v[46:47]
	v_add_f64 v[14:15], v[14:15], v[30:31]
	s_clause 0x2
	buffer_load_dword v51, off, s[0:3], 0 offset:492
	buffer_load_dword v31, off, s[0:3], 0 offset:468
	;; [unrolled: 1-line block ×3, first 2 shown]
	ds_read_b128 v[4:7], v62 offset:912
	s_waitcnt vmcnt(58) lgkmcnt(1)
	v_mul_f64 v[46:47], v[10:11], v[56:57]
	s_waitcnt vmcnt(56)
	v_fma_f64 v[54:55], v[0:1], v[58:59], -v[53:54]
	v_mul_f64 v[40:41], v[8:9], v[56:57]
	v_add_f64 v[12:13], v[12:13], v[38:39]
	v_fma_f64 v[38:39], v[2:3], v[58:59], v[173:174]
	v_add_f64 v[14:15], v[14:15], v[34:35]
	s_clause 0x4
	buffer_load_dword v35, off, s[0:3], 0 offset:508
	buffer_load_dword v56, off, s[0:3], 0 offset:520
	;; [unrolled: 1-line block ×5, first 2 shown]
	s_waitcnt vmcnt(57) lgkmcnt(0)
	v_mul_f64 v[173:174], v[4:5], v[75:76]
	v_mul_f64 v[75:76], v[6:7], v[75:76]
	s_waitcnt vmcnt(56)
	v_fma_f64 v[46:47], v[8:9], v[48:49], -v[46:47]
	ds_read_b128 v[0:3], v62 offset:928
	v_fma_f64 v[40:41], v[10:11], v[48:49], v[40:41]
	v_add_f64 v[12:13], v[12:13], v[54:55]
	v_add_f64 v[14:15], v[14:15], v[38:39]
	s_clause 0x2
	buffer_load_dword v57, off, s[0:3], 0 offset:524
	buffer_load_dword v39, off, s[0:3], 0 offset:500
	;; [unrolled: 1-line block ×3, first 2 shown]
	ds_read_b128 v[8:11], v62 offset:944
	s_waitcnt vmcnt(58) lgkmcnt(1)
	v_mul_f64 v[54:55], v[2:3], v[77:78]
	s_waitcnt vmcnt(56)
	v_fma_f64 v[75:76], v[4:5], v[82:83], -v[75:76]
	v_mul_f64 v[48:49], v[0:1], v[77:78]
	v_add_f64 v[12:13], v[12:13], v[46:47]
	v_fma_f64 v[46:47], v[6:7], v[82:83], v[173:174]
	v_add_f64 v[14:15], v[14:15], v[40:41]
	s_clause 0x4
	buffer_load_dword v41, off, s[0:3], 0 offset:540
	buffer_load_dword v77, off, s[0:3], 0 offset:552
	;; [unrolled: 1-line block ×5, first 2 shown]
	ds_read_b128 v[4:7], v62 offset:960
	s_waitcnt vmcnt(57) lgkmcnt(1)
	v_mul_f64 v[82:83], v[8:9], v[69:70]
	v_mul_f64 v[69:70], v[10:11], v[69:70]
	s_waitcnt vmcnt(56)
	v_fma_f64 v[54:55], v[0:1], v[79:80], -v[54:55]
	v_fma_f64 v[48:49], v[2:3], v[79:80], v[48:49]
	v_add_f64 v[12:13], v[12:13], v[75:76]
	v_add_f64 v[14:15], v[14:15], v[46:47]
	s_clause 0x2
	buffer_load_dword v78, off, s[0:3], 0 offset:556
	buffer_load_dword v47, off, s[0:3], 0 offset:532
	;; [unrolled: 1-line block ×3, first 2 shown]
	ds_read_b128 v[0:3], v62 offset:976
	s_waitcnt vmcnt(58) lgkmcnt(1)
	v_mul_f64 v[79:80], v[6:7], v[169:170]
	v_mul_f64 v[75:76], v[4:5], v[169:170]
	s_waitcnt vmcnt(56)
	v_fma_f64 v[69:70], v[8:9], v[67:68], -v[69:70]
	v_add_f64 v[12:13], v[12:13], v[54:55]
	v_fma_f64 v[54:55], v[10:11], v[67:68], v[82:83]
	v_add_f64 v[14:15], v[14:15], v[48:49]
	s_clause 0x4
	buffer_load_dword v49, off, s[0:3], 0 offset:572
	buffer_load_dword v67, off, s[0:3], 0 offset:584
	buffer_load_dword v83, off, s[0:3], 0 offset:576
	buffer_load_dword v48, off, s[0:3], 0 offset:568
	buffer_load_dword v82, off, s[0:3], 0 offset:548
	ds_read_b128 v[8:11], v62 offset:992
	s_waitcnt vmcnt(57) lgkmcnt(1)
	v_mul_f64 v[169:170], v[0:1], v[24:25]
	v_mul_f64 v[24:25], v[2:3], v[24:25]
	s_waitcnt vmcnt(56)
	v_fma_f64 v[79:80], v[4:5], v[171:172], -v[79:80]
	v_add_f64 v[12:13], v[12:13], v[69:70]
	v_fma_f64 v[69:70], v[6:7], v[171:172], v[75:76]
	v_add_f64 v[14:15], v[14:15], v[54:55]
	s_clause 0x2
	buffer_load_dword v68, off, s[0:3], 0 offset:588
	buffer_load_dword v55, off, s[0:3], 0 offset:564
	buffer_load_dword v54, off, s[0:3], 0 offset:560
	ds_read_b128 v[4:7], v62 offset:1008
	s_waitcnt vmcnt(58) lgkmcnt(1)
	v_mul_f64 v[75:76], v[8:9], v[71:72]
	v_mul_f64 v[71:72], v[10:11], v[71:72]
	s_waitcnt vmcnt(56)
	v_fma_f64 v[24:25], v[0:1], v[18:19], -v[24:25]
	v_fma_f64 v[18:19], v[2:3], v[18:19], v[169:170]
	v_add_f64 v[12:13], v[12:13], v[79:80]
	v_add_f64 v[14:15], v[14:15], v[69:70]
	s_clause 0x4
	buffer_load_dword v70, off, s[0:3], 0 offset:604
	buffer_load_dword v79, off, s[0:3], 0 offset:616
	buffer_load_dword v169, off, s[0:3], 0 offset:608
	buffer_load_dword v69, off, s[0:3], 0 offset:600
	buffer_load_dword v84, off, s[0:3], 0 offset:580
	ds_read_b128 v[0:3], v62 offset:1024
	s_waitcnt vmcnt(57) lgkmcnt(1)
	v_mul_f64 v[170:171], v[4:5], v[63:64]
	v_mul_f64 v[63:64], v[6:7], v[63:64]
	s_waitcnt vmcnt(56)
	v_fma_f64 v[71:72], v[8:9], v[167:168], -v[71:72]
	v_add_f64 v[12:13], v[12:13], v[24:25]
	v_fma_f64 v[24:25], v[10:11], v[167:168], v[75:76]
	v_add_f64 v[14:15], v[14:15], v[18:19]
	s_clause 0x2
	buffer_load_dword v80, off, s[0:3], 0 offset:620
	buffer_load_dword v19, off, s[0:3], 0 offset:596
	buffer_load_dword v18, off, s[0:3], 0 offset:592
	ds_read_b128 v[8:11], v62 offset:1040
	s_waitcnt vmcnt(58) lgkmcnt(1)
	v_mul_f64 v[75:76], v[0:1], v[65:66]
	v_mul_f64 v[65:66], v[2:3], v[65:66]
	s_waitcnt vmcnt(56)
	v_fma_f64 v[63:64], v[4:5], v[20:21], -v[63:64]
	v_fma_f64 v[20:21], v[6:7], v[20:21], v[170:171]
	v_add_f64 v[12:13], v[12:13], v[71:72]
	;; [unrolled: 28-line block ×3, first 2 shown]
	v_add_f64 v[14:15], v[14:15], v[63:64]
	s_clause 0x2
	buffer_load_dword v64, off, s[0:3], 0 offset:668
	buffer_load_dword v63, off, s[0:3], 0 offset:664
	;; [unrolled: 1-line block ×3, first 2 shown]
	ds_read_b128 v[8:11], v62 offset:1088
	s_waitcnt vmcnt(55) lgkmcnt(1)
	v_mul_f64 v[65:66], v[0:1], v[22:23]
	v_mul_f64 v[22:23], v[2:3], v[22:23]
	s_waitcnt vmcnt(54)
	v_fma_f64 v[36:37], v[4:5], v[60:61], -v[36:37]
	v_add_f64 v[12:13], v[12:13], v[16:17]
	v_fma_f64 v[16:17], v[6:7], v[60:61], v[73:74]
	v_add_f64 v[14:15], v[14:15], v[26:27]
	s_clause 0x1
	buffer_load_dword v27, off, s[0:3], 0 offset:660
	buffer_load_dword v26, off, s[0:3], 0 offset:656
	s_waitcnt vmcnt(55) lgkmcnt(0)
	v_mul_f64 v[60:61], v[8:9], v[42:43]
	v_mul_f64 v[42:43], v[10:11], v[42:43]
	ds_read_b128 v[4:7], v62 offset:1104
	s_waitcnt vmcnt(53)
	v_fma_f64 v[22:23], v[0:1], v[32:33], -v[22:23]
	v_fma_f64 v[32:33], v[2:3], v[32:33], v[65:66]
	ds_read_b128 v[0:3], v62 offset:1120
	v_add_f64 v[12:13], v[12:13], v[36:37]
	v_add_f64 v[14:15], v[14:15], v[16:17]
	s_waitcnt vmcnt(49) lgkmcnt(1)
	v_mul_f64 v[16:17], v[4:5], v[28:29]
	v_mul_f64 v[28:29], v[6:7], v[28:29]
	s_waitcnt vmcnt(48)
	v_fma_f64 v[36:37], v[8:9], v[44:45], -v[42:43]
	v_add_f64 v[12:13], v[12:13], v[22:23]
	v_fma_f64 v[22:23], v[10:11], v[44:45], v[60:61]
	v_add_f64 v[14:15], v[14:15], v[32:33]
	s_clause 0x3
	buffer_load_dword v32, off, s[0:3], 0 offset:16
	buffer_load_dword v33, off, s[0:3], 0 offset:20
	;; [unrolled: 1-line block ×4, first 2 shown]
	ds_read_b128 v[8:11], v62 offset:1136
	s_waitcnt vmcnt(51) lgkmcnt(1)
	v_mul_f64 v[44:45], v[0:1], v[50:51]
	v_mul_f64 v[50:51], v[2:3], v[50:51]
	s_waitcnt vmcnt(49)
	v_fma_f64 v[28:29], v[4:5], v[30:31], -v[28:29]
	v_fma_f64 v[16:17], v[6:7], v[30:31], v[16:17]
	ds_read_b128 v[4:7], v62 offset:1152
	v_add_f64 v[12:13], v[12:13], v[36:37]
	v_add_f64 v[14:15], v[14:15], v[22:23]
	s_waitcnt vmcnt(45) lgkmcnt(1)
	v_mul_f64 v[22:23], v[8:9], v[34:35]
	v_mul_f64 v[30:31], v[10:11], v[34:35]
	s_waitcnt vmcnt(44)
	v_fma_f64 v[34:35], v[0:1], v[52:53], -v[50:51]
	v_add_f64 v[12:13], v[12:13], v[28:29]
	v_fma_f64 v[28:29], v[2:3], v[52:53], v[44:45]
	v_add_f64 v[14:15], v[14:15], v[16:17]
	ds_read_b128 v[0:3], v62 offset:1168
	s_waitcnt vmcnt(43) lgkmcnt(1)
	v_mul_f64 v[36:37], v[6:7], v[56:57]
	v_mul_f64 v[16:17], v[4:5], v[56:57]
	s_waitcnt vmcnt(41)
	v_fma_f64 v[30:31], v[8:9], v[38:39], -v[30:31]
	v_fma_f64 v[22:23], v[10:11], v[38:39], v[22:23]
	ds_read_b128 v[8:11], v62 offset:1184
	v_add_f64 v[12:13], v[12:13], v[34:35]
	v_add_f64 v[14:15], v[14:15], v[28:29]
	s_waitcnt vmcnt(37) lgkmcnt(1)
	v_mul_f64 v[34:35], v[2:3], v[40:41]
	s_waitcnt vmcnt(36)
	v_fma_f64 v[36:37], v[4:5], v[58:59], -v[36:37]
	v_mul_f64 v[28:29], v[0:1], v[40:41]
	v_fma_f64 v[16:17], v[6:7], v[58:59], v[16:17]
	ds_read_b128 v[4:7], v62 offset:1200
	v_add_f64 v[12:13], v[12:13], v[30:31]
	v_add_f64 v[14:15], v[14:15], v[22:23]
	s_waitcnt vmcnt(35) lgkmcnt(1)
	v_mul_f64 v[30:31], v[10:11], v[77:78]
	v_mul_f64 v[22:23], v[8:9], v[77:78]
	s_waitcnt vmcnt(33)
	v_fma_f64 v[34:35], v[0:1], v[46:47], -v[34:35]
	v_fma_f64 v[28:29], v[2:3], v[46:47], v[28:29]
	ds_read_b128 v[0:3], v62 offset:1216
	v_add_f64 v[12:13], v[12:13], v[36:37]
	v_add_f64 v[14:15], v[14:15], v[16:17]
	s_waitcnt vmcnt(29) lgkmcnt(1)
	v_mul_f64 v[36:37], v[6:7], v[48:49]
	s_waitcnt vmcnt(28)
	v_fma_f64 v[30:31], v[8:9], v[81:82], -v[30:31]
	v_mul_f64 v[16:17], v[4:5], v[48:49]
	v_fma_f64 v[22:23], v[10:11], v[81:82], v[22:23]
	ds_read_b128 v[8:11], v62 offset:1232
	v_add_f64 v[12:13], v[12:13], v[34:35]
	v_add_f64 v[14:15], v[14:15], v[28:29]
	;; [unrolled: 18-line block ×3, first 2 shown]
	s_waitcnt vmcnt(19) lgkmcnt(1)
	v_mul_f64 v[36:37], v[6:7], v[79:80]
	v_mul_f64 v[16:17], v[4:5], v[79:80]
	s_waitcnt vmcnt(17)
	v_fma_f64 v[30:31], v[8:9], v[18:19], -v[30:31]
	v_fma_f64 v[18:19], v[10:11], v[18:19], v[22:23]
	ds_read_b128 v[8:11], v62 offset:1280
	v_add_f64 v[12:13], v[12:13], v[34:35]
	v_add_f64 v[14:15], v[14:15], v[28:29]
	s_waitcnt vmcnt(13) lgkmcnt(1)
	v_mul_f64 v[22:23], v[0:1], v[24:25]
	v_mul_f64 v[24:25], v[2:3], v[24:25]
	s_waitcnt vmcnt(12)
	v_fma_f64 v[28:29], v[4:5], v[169:170], -v[36:37]
	v_fma_f64 v[16:17], v[6:7], v[169:170], v[16:17]
	ds_read_b128 v[4:7], v62 offset:1296
	v_add_f64 v[12:13], v[12:13], v[30:31]
	v_add_f64 v[14:15], v[14:15], v[18:19]
	s_waitcnt vmcnt(11) lgkmcnt(1)
	v_mul_f64 v[30:31], v[10:11], v[71:72]
	v_mul_f64 v[18:19], v[8:9], v[71:72]
	s_waitcnt vmcnt(9)
	v_fma_f64 v[0:1], v[0:1], v[20:21], -v[24:25]
	v_fma_f64 v[2:3], v[2:3], v[20:21], v[22:23]
	v_add_f64 v[12:13], v[12:13], v[28:29]
	v_add_f64 v[14:15], v[14:15], v[16:17]
	s_waitcnt vmcnt(7) lgkmcnt(0)
	v_mul_f64 v[20:21], v[6:7], v[63:64]
	s_waitcnt vmcnt(6)
	v_fma_f64 v[8:9], v[8:9], v[167:168], -v[30:31]
	v_mul_f64 v[16:17], v[4:5], v[63:64]
	v_fma_f64 v[10:11], v[10:11], v[167:168], v[18:19]
	v_add_f64 v[0:1], v[12:13], v[0:1]
	v_add_f64 v[2:3], v[14:15], v[2:3]
	s_waitcnt vmcnt(4)
	v_fma_f64 v[4:5], v[4:5], v[26:27], -v[20:21]
	v_fma_f64 v[6:7], v[6:7], v[26:27], v[16:17]
	v_add_f64 v[0:1], v[0:1], v[8:9]
	v_add_f64 v[2:3], v[2:3], v[10:11]
	;; [unrolled: 1-line block ×4, first 2 shown]
	s_waitcnt vmcnt(2)
	v_add_f64 v[0:1], v[32:33], -v[0:1]
	s_waitcnt vmcnt(0)
	v_add_f64 v[2:3], v[42:43], -v[2:3]
	buffer_store_dword v1, off, s[0:3], 0 offset:20
	buffer_store_dword v0, off, s[0:3], 0 offset:16
	;; [unrolled: 1-line block ×4, first 2 shown]
	s_cbranch_vccz .LBB40_340
; %bb.260:
	v_mov_b32_e32 v0, 0
	global_load_dword v1, v0, s[20:21] offset:156
	s_waitcnt vmcnt(0)
	v_add_nc_u32_e32 v1, -1, v1
	v_cmp_ne_u32_e32 vcc_lo, 39, v1
	s_cbranch_vccz .LBB40_262
; %bb.261:
	v_lshlrev_b32_e32 v1, 4, v1
	v_mov_b32_e32 v2, s9
	v_add_nc_u32_e32 v1, 16, v1
	s_clause 0x7
	buffer_load_dword v3, v1, s[0:3], 0 offen
	buffer_load_dword v4, v1, s[0:3], 0 offen offset:4
	buffer_load_dword v5, v1, s[0:3], 0 offen offset:8
	;; [unrolled: 1-line block ×6, first 2 shown]
	buffer_load_dword v10, v2, s[0:3], 0 offen
	s_waitcnt vmcnt(7)
	buffer_store_dword v3, v2, s[0:3], 0 offen
	s_waitcnt vmcnt(6)
	buffer_store_dword v4, v2, s[0:3], 0 offen offset:4
	s_waitcnt vmcnt(5)
	buffer_store_dword v5, v2, s[0:3], 0 offen offset:8
	;; [unrolled: 2-line block ×6, first 2 shown]
	s_waitcnt vmcnt(0)
	buffer_store_dword v10, v1, s[0:3], 0 offen
.LBB40_262:
	global_load_dword v0, v0, s[20:21] offset:152
	s_waitcnt vmcnt(0)
	v_add_nc_u32_e32 v0, -1, v0
	v_cmp_eq_u32_e32 vcc_lo, 38, v0
	s_cbranch_vccnz .LBB40_264
; %bb.263:
	v_lshlrev_b32_e32 v0, 4, v0
	v_mov_b32_e32 v1, s12
	v_add_nc_u32_e32 v0, 16, v0
	s_clause 0x7
	buffer_load_dword v2, v0, s[0:3], 0 offen
	buffer_load_dword v3, v0, s[0:3], 0 offen offset:4
	buffer_load_dword v4, v0, s[0:3], 0 offen offset:8
	;; [unrolled: 1-line block ×6, first 2 shown]
	buffer_load_dword v9, v1, s[0:3], 0 offen
	s_waitcnt vmcnt(7)
	buffer_store_dword v2, v1, s[0:3], 0 offen
	s_waitcnt vmcnt(6)
	buffer_store_dword v3, v1, s[0:3], 0 offen offset:4
	s_waitcnt vmcnt(5)
	buffer_store_dword v4, v1, s[0:3], 0 offen offset:8
	;; [unrolled: 2-line block ×6, first 2 shown]
	s_waitcnt vmcnt(0)
	buffer_store_dword v9, v0, s[0:3], 0 offen
.LBB40_264:
	v_mov_b32_e32 v0, 0
	global_load_dword v1, v0, s[20:21] offset:148
	s_waitcnt vmcnt(0)
	v_add_nc_u32_e32 v1, -1, v1
	v_cmp_eq_u32_e32 vcc_lo, 37, v1
	s_cbranch_vccnz .LBB40_266
; %bb.265:
	v_lshlrev_b32_e32 v1, 4, v1
	v_mov_b32_e32 v2, s14
	v_add_nc_u32_e32 v1, 16, v1
	s_clause 0x7
	buffer_load_dword v3, v1, s[0:3], 0 offen
	buffer_load_dword v4, v1, s[0:3], 0 offen offset:4
	buffer_load_dword v5, v1, s[0:3], 0 offen offset:8
	;; [unrolled: 1-line block ×6, first 2 shown]
	buffer_load_dword v10, v2, s[0:3], 0 offen
	s_waitcnt vmcnt(7)
	buffer_store_dword v3, v2, s[0:3], 0 offen
	s_waitcnt vmcnt(6)
	buffer_store_dword v4, v2, s[0:3], 0 offen offset:4
	s_waitcnt vmcnt(5)
	buffer_store_dword v5, v2, s[0:3], 0 offen offset:8
	;; [unrolled: 2-line block ×6, first 2 shown]
	s_waitcnt vmcnt(0)
	buffer_store_dword v10, v1, s[0:3], 0 offen
.LBB40_266:
	global_load_dword v0, v0, s[20:21] offset:144
	s_waitcnt vmcnt(0)
	v_add_nc_u32_e32 v0, -1, v0
	v_cmp_eq_u32_e32 vcc_lo, 36, v0
	s_cbranch_vccnz .LBB40_268
; %bb.267:
	v_lshlrev_b32_e32 v0, 4, v0
	v_mov_b32_e32 v1, s16
	v_add_nc_u32_e32 v0, 16, v0
	s_clause 0x7
	buffer_load_dword v2, v0, s[0:3], 0 offen
	buffer_load_dword v3, v0, s[0:3], 0 offen offset:4
	buffer_load_dword v4, v0, s[0:3], 0 offen offset:8
	;; [unrolled: 1-line block ×6, first 2 shown]
	buffer_load_dword v9, v1, s[0:3], 0 offen
	s_waitcnt vmcnt(7)
	buffer_store_dword v2, v1, s[0:3], 0 offen
	s_waitcnt vmcnt(6)
	buffer_store_dword v3, v1, s[0:3], 0 offen offset:4
	s_waitcnt vmcnt(5)
	buffer_store_dword v4, v1, s[0:3], 0 offen offset:8
	;; [unrolled: 2-line block ×6, first 2 shown]
	s_waitcnt vmcnt(0)
	buffer_store_dword v9, v0, s[0:3], 0 offen
.LBB40_268:
	v_mov_b32_e32 v0, 0
	global_load_dword v1, v0, s[20:21] offset:140
	s_waitcnt vmcnt(0)
	v_add_nc_u32_e32 v1, -1, v1
	v_cmp_eq_u32_e32 vcc_lo, 35, v1
	s_cbranch_vccnz .LBB40_270
; %bb.269:
	v_lshlrev_b32_e32 v1, 4, v1
	v_mov_b32_e32 v2, s18
	v_add_nc_u32_e32 v1, 16, v1
	s_clause 0x7
	buffer_load_dword v3, v1, s[0:3], 0 offen
	buffer_load_dword v4, v1, s[0:3], 0 offen offset:4
	buffer_load_dword v5, v1, s[0:3], 0 offen offset:8
	;; [unrolled: 1-line block ×6, first 2 shown]
	buffer_load_dword v10, v2, s[0:3], 0 offen
	s_waitcnt vmcnt(7)
	buffer_store_dword v3, v2, s[0:3], 0 offen
	s_waitcnt vmcnt(6)
	buffer_store_dword v4, v2, s[0:3], 0 offen offset:4
	s_waitcnt vmcnt(5)
	buffer_store_dword v5, v2, s[0:3], 0 offen offset:8
	;; [unrolled: 2-line block ×6, first 2 shown]
	s_waitcnt vmcnt(0)
	buffer_store_dword v10, v1, s[0:3], 0 offen
.LBB40_270:
	global_load_dword v0, v0, s[20:21] offset:136
	s_waitcnt vmcnt(0)
	v_add_nc_u32_e32 v0, -1, v0
	v_cmp_eq_u32_e32 vcc_lo, 34, v0
	s_cbranch_vccnz .LBB40_272
; %bb.271:
	v_lshlrev_b32_e32 v0, 4, v0
	v_mov_b32_e32 v1, s22
	v_add_nc_u32_e32 v0, 16, v0
	s_clause 0x7
	buffer_load_dword v2, v0, s[0:3], 0 offen
	buffer_load_dword v3, v0, s[0:3], 0 offen offset:4
	buffer_load_dword v4, v0, s[0:3], 0 offen offset:8
	;; [unrolled: 1-line block ×6, first 2 shown]
	buffer_load_dword v9, v1, s[0:3], 0 offen
	s_waitcnt vmcnt(7)
	buffer_store_dword v2, v1, s[0:3], 0 offen
	s_waitcnt vmcnt(6)
	buffer_store_dword v3, v1, s[0:3], 0 offen offset:4
	s_waitcnt vmcnt(5)
	buffer_store_dword v4, v1, s[0:3], 0 offen offset:8
	;; [unrolled: 2-line block ×6, first 2 shown]
	s_waitcnt vmcnt(0)
	buffer_store_dword v9, v0, s[0:3], 0 offen
.LBB40_272:
	v_mov_b32_e32 v0, 0
	global_load_dword v1, v0, s[20:21] offset:132
	s_waitcnt vmcnt(0)
	v_add_nc_u32_e32 v1, -1, v1
	v_cmp_eq_u32_e32 vcc_lo, 33, v1
	s_cbranch_vccnz .LBB40_274
; %bb.273:
	v_lshlrev_b32_e32 v1, 4, v1
	v_mov_b32_e32 v2, s24
	v_add_nc_u32_e32 v1, 16, v1
	s_clause 0x7
	buffer_load_dword v3, v1, s[0:3], 0 offen
	buffer_load_dword v4, v1, s[0:3], 0 offen offset:4
	buffer_load_dword v5, v1, s[0:3], 0 offen offset:8
	buffer_load_dword v6, v1, s[0:3], 0 offen offset:12
	buffer_load_dword v7, v2, s[0:3], 0 offen offset:12
	buffer_load_dword v8, v2, s[0:3], 0 offen offset:8
	buffer_load_dword v9, v2, s[0:3], 0 offen offset:4
	buffer_load_dword v10, v2, s[0:3], 0 offen
	s_waitcnt vmcnt(7)
	buffer_store_dword v3, v2, s[0:3], 0 offen
	s_waitcnt vmcnt(6)
	buffer_store_dword v4, v2, s[0:3], 0 offen offset:4
	s_waitcnt vmcnt(5)
	buffer_store_dword v5, v2, s[0:3], 0 offen offset:8
	;; [unrolled: 2-line block ×6, first 2 shown]
	s_waitcnt vmcnt(0)
	buffer_store_dword v10, v1, s[0:3], 0 offen
.LBB40_274:
	global_load_dword v0, v0, s[20:21] offset:128
	s_waitcnt vmcnt(0)
	v_add_nc_u32_e32 v0, -1, v0
	v_cmp_eq_u32_e32 vcc_lo, 32, v0
	s_cbranch_vccnz .LBB40_276
; %bb.275:
	v_lshlrev_b32_e32 v0, 4, v0
	v_mov_b32_e32 v1, s26
	v_add_nc_u32_e32 v0, 16, v0
	s_clause 0x7
	buffer_load_dword v2, v0, s[0:3], 0 offen
	buffer_load_dword v3, v0, s[0:3], 0 offen offset:4
	buffer_load_dword v4, v0, s[0:3], 0 offen offset:8
	;; [unrolled: 1-line block ×6, first 2 shown]
	buffer_load_dword v9, v1, s[0:3], 0 offen
	s_waitcnt vmcnt(7)
	buffer_store_dword v2, v1, s[0:3], 0 offen
	s_waitcnt vmcnt(6)
	buffer_store_dword v3, v1, s[0:3], 0 offen offset:4
	s_waitcnt vmcnt(5)
	buffer_store_dword v4, v1, s[0:3], 0 offen offset:8
	;; [unrolled: 2-line block ×6, first 2 shown]
	s_waitcnt vmcnt(0)
	buffer_store_dword v9, v0, s[0:3], 0 offen
.LBB40_276:
	v_mov_b32_e32 v0, 0
	global_load_dword v1, v0, s[20:21] offset:124
	s_waitcnt vmcnt(0)
	v_add_nc_u32_e32 v1, -1, v1
	v_cmp_eq_u32_e32 vcc_lo, 31, v1
	s_cbranch_vccnz .LBB40_278
; %bb.277:
	v_lshlrev_b32_e32 v1, 4, v1
	v_mov_b32_e32 v2, s28
	v_add_nc_u32_e32 v1, 16, v1
	s_clause 0x7
	buffer_load_dword v3, v1, s[0:3], 0 offen
	buffer_load_dword v4, v1, s[0:3], 0 offen offset:4
	buffer_load_dword v5, v1, s[0:3], 0 offen offset:8
	;; [unrolled: 1-line block ×6, first 2 shown]
	buffer_load_dword v10, v2, s[0:3], 0 offen
	s_waitcnt vmcnt(7)
	buffer_store_dword v3, v2, s[0:3], 0 offen
	s_waitcnt vmcnt(6)
	buffer_store_dword v4, v2, s[0:3], 0 offen offset:4
	s_waitcnt vmcnt(5)
	buffer_store_dword v5, v2, s[0:3], 0 offen offset:8
	;; [unrolled: 2-line block ×6, first 2 shown]
	s_waitcnt vmcnt(0)
	buffer_store_dword v10, v1, s[0:3], 0 offen
.LBB40_278:
	global_load_dword v0, v0, s[20:21] offset:120
	s_waitcnt vmcnt(0)
	v_add_nc_u32_e32 v0, -1, v0
	v_cmp_eq_u32_e32 vcc_lo, 30, v0
	s_cbranch_vccnz .LBB40_280
; %bb.279:
	v_lshlrev_b32_e32 v0, 4, v0
	v_mov_b32_e32 v1, s29
	v_add_nc_u32_e32 v0, 16, v0
	s_clause 0x7
	buffer_load_dword v2, v0, s[0:3], 0 offen
	buffer_load_dword v3, v0, s[0:3], 0 offen offset:4
	buffer_load_dword v4, v0, s[0:3], 0 offen offset:8
	;; [unrolled: 1-line block ×6, first 2 shown]
	buffer_load_dword v9, v1, s[0:3], 0 offen
	s_waitcnt vmcnt(7)
	buffer_store_dword v2, v1, s[0:3], 0 offen
	s_waitcnt vmcnt(6)
	buffer_store_dword v3, v1, s[0:3], 0 offen offset:4
	s_waitcnt vmcnt(5)
	buffer_store_dword v4, v1, s[0:3], 0 offen offset:8
	;; [unrolled: 2-line block ×6, first 2 shown]
	s_waitcnt vmcnt(0)
	buffer_store_dword v9, v0, s[0:3], 0 offen
.LBB40_280:
	v_mov_b32_e32 v0, 0
	global_load_dword v1, v0, s[20:21] offset:116
	s_waitcnt vmcnt(0)
	v_add_nc_u32_e32 v1, -1, v1
	v_cmp_eq_u32_e32 vcc_lo, 29, v1
	s_cbranch_vccnz .LBB40_282
; %bb.281:
	v_lshlrev_b32_e32 v1, 4, v1
	v_mov_b32_e32 v2, s31
	v_add_nc_u32_e32 v1, 16, v1
	s_clause 0x7
	buffer_load_dword v3, v1, s[0:3], 0 offen
	buffer_load_dword v4, v1, s[0:3], 0 offen offset:4
	buffer_load_dword v5, v1, s[0:3], 0 offen offset:8
	;; [unrolled: 1-line block ×6, first 2 shown]
	buffer_load_dword v10, v2, s[0:3], 0 offen
	s_waitcnt vmcnt(7)
	buffer_store_dword v3, v2, s[0:3], 0 offen
	s_waitcnt vmcnt(6)
	buffer_store_dword v4, v2, s[0:3], 0 offen offset:4
	s_waitcnt vmcnt(5)
	buffer_store_dword v5, v2, s[0:3], 0 offen offset:8
	;; [unrolled: 2-line block ×6, first 2 shown]
	s_waitcnt vmcnt(0)
	buffer_store_dword v10, v1, s[0:3], 0 offen
.LBB40_282:
	global_load_dword v0, v0, s[20:21] offset:112
	s_waitcnt vmcnt(0)
	v_add_nc_u32_e32 v0, -1, v0
	v_cmp_eq_u32_e32 vcc_lo, 28, v0
	s_cbranch_vccnz .LBB40_284
; %bb.283:
	v_lshlrev_b32_e32 v0, 4, v0
	v_mov_b32_e32 v1, s34
	v_add_nc_u32_e32 v0, 16, v0
	s_clause 0x7
	buffer_load_dword v2, v0, s[0:3], 0 offen
	buffer_load_dword v3, v0, s[0:3], 0 offen offset:4
	buffer_load_dword v4, v0, s[0:3], 0 offen offset:8
	;; [unrolled: 1-line block ×6, first 2 shown]
	buffer_load_dword v9, v1, s[0:3], 0 offen
	s_waitcnt vmcnt(7)
	buffer_store_dword v2, v1, s[0:3], 0 offen
	s_waitcnt vmcnt(6)
	buffer_store_dword v3, v1, s[0:3], 0 offen offset:4
	s_waitcnt vmcnt(5)
	buffer_store_dword v4, v1, s[0:3], 0 offen offset:8
	;; [unrolled: 2-line block ×6, first 2 shown]
	s_waitcnt vmcnt(0)
	buffer_store_dword v9, v0, s[0:3], 0 offen
.LBB40_284:
	v_mov_b32_e32 v0, 0
	global_load_dword v1, v0, s[20:21] offset:108
	s_waitcnt vmcnt(0)
	v_add_nc_u32_e32 v1, -1, v1
	v_cmp_eq_u32_e32 vcc_lo, 27, v1
	s_cbranch_vccnz .LBB40_286
; %bb.285:
	v_lshlrev_b32_e32 v1, 4, v1
	v_mov_b32_e32 v2, s36
	v_add_nc_u32_e32 v1, 16, v1
	s_clause 0x7
	buffer_load_dword v3, v1, s[0:3], 0 offen
	buffer_load_dword v4, v1, s[0:3], 0 offen offset:4
	buffer_load_dword v5, v1, s[0:3], 0 offen offset:8
	;; [unrolled: 1-line block ×6, first 2 shown]
	buffer_load_dword v10, v2, s[0:3], 0 offen
	s_waitcnt vmcnt(7)
	buffer_store_dword v3, v2, s[0:3], 0 offen
	s_waitcnt vmcnt(6)
	buffer_store_dword v4, v2, s[0:3], 0 offen offset:4
	s_waitcnt vmcnt(5)
	buffer_store_dword v5, v2, s[0:3], 0 offen offset:8
	;; [unrolled: 2-line block ×6, first 2 shown]
	s_waitcnt vmcnt(0)
	buffer_store_dword v10, v1, s[0:3], 0 offen
.LBB40_286:
	global_load_dword v0, v0, s[20:21] offset:104
	s_waitcnt vmcnt(0)
	v_add_nc_u32_e32 v0, -1, v0
	v_cmp_eq_u32_e32 vcc_lo, 26, v0
	s_cbranch_vccnz .LBB40_288
; %bb.287:
	v_lshlrev_b32_e32 v0, 4, v0
	v_mov_b32_e32 v1, s38
	v_add_nc_u32_e32 v0, 16, v0
	s_clause 0x7
	buffer_load_dword v2, v0, s[0:3], 0 offen
	buffer_load_dword v3, v0, s[0:3], 0 offen offset:4
	buffer_load_dword v4, v0, s[0:3], 0 offen offset:8
	;; [unrolled: 1-line block ×6, first 2 shown]
	buffer_load_dword v9, v1, s[0:3], 0 offen
	s_waitcnt vmcnt(7)
	buffer_store_dword v2, v1, s[0:3], 0 offen
	s_waitcnt vmcnt(6)
	buffer_store_dword v3, v1, s[0:3], 0 offen offset:4
	s_waitcnt vmcnt(5)
	buffer_store_dword v4, v1, s[0:3], 0 offen offset:8
	;; [unrolled: 2-line block ×6, first 2 shown]
	s_waitcnt vmcnt(0)
	buffer_store_dword v9, v0, s[0:3], 0 offen
.LBB40_288:
	v_mov_b32_e32 v0, 0
	global_load_dword v1, v0, s[20:21] offset:100
	s_waitcnt vmcnt(0)
	v_add_nc_u32_e32 v1, -1, v1
	v_cmp_eq_u32_e32 vcc_lo, 25, v1
	s_cbranch_vccnz .LBB40_290
; %bb.289:
	v_lshlrev_b32_e32 v1, 4, v1
	v_mov_b32_e32 v2, s13
	v_add_nc_u32_e32 v1, 16, v1
	s_clause 0x7
	buffer_load_dword v3, v1, s[0:3], 0 offen
	buffer_load_dword v4, v1, s[0:3], 0 offen offset:4
	buffer_load_dword v5, v1, s[0:3], 0 offen offset:8
	;; [unrolled: 1-line block ×6, first 2 shown]
	buffer_load_dword v10, v2, s[0:3], 0 offen
	s_waitcnt vmcnt(7)
	buffer_store_dword v3, v2, s[0:3], 0 offen
	s_waitcnt vmcnt(6)
	buffer_store_dword v4, v2, s[0:3], 0 offen offset:4
	s_waitcnt vmcnt(5)
	buffer_store_dword v5, v2, s[0:3], 0 offen offset:8
	;; [unrolled: 2-line block ×6, first 2 shown]
	s_waitcnt vmcnt(0)
	buffer_store_dword v10, v1, s[0:3], 0 offen
.LBB40_290:
	global_load_dword v0, v0, s[20:21] offset:96
	s_waitcnt vmcnt(0)
	v_add_nc_u32_e32 v0, -1, v0
	v_cmp_eq_u32_e32 vcc_lo, 24, v0
	s_cbranch_vccnz .LBB40_292
; %bb.291:
	v_lshlrev_b32_e32 v0, 4, v0
	v_mov_b32_e32 v1, s15
	v_add_nc_u32_e32 v0, 16, v0
	s_clause 0x7
	buffer_load_dword v2, v0, s[0:3], 0 offen
	buffer_load_dword v3, v0, s[0:3], 0 offen offset:4
	buffer_load_dword v4, v0, s[0:3], 0 offen offset:8
	;; [unrolled: 1-line block ×6, first 2 shown]
	buffer_load_dword v9, v1, s[0:3], 0 offen
	s_waitcnt vmcnt(7)
	buffer_store_dword v2, v1, s[0:3], 0 offen
	s_waitcnt vmcnt(6)
	buffer_store_dword v3, v1, s[0:3], 0 offen offset:4
	s_waitcnt vmcnt(5)
	buffer_store_dword v4, v1, s[0:3], 0 offen offset:8
	;; [unrolled: 2-line block ×6, first 2 shown]
	s_waitcnt vmcnt(0)
	buffer_store_dword v9, v0, s[0:3], 0 offen
.LBB40_292:
	v_mov_b32_e32 v0, 0
	global_load_dword v1, v0, s[20:21] offset:92
	s_waitcnt vmcnt(0)
	v_add_nc_u32_e32 v1, -1, v1
	v_cmp_eq_u32_e32 vcc_lo, 23, v1
	s_cbranch_vccnz .LBB40_294
; %bb.293:
	v_lshlrev_b32_e32 v1, 4, v1
	v_mov_b32_e32 v2, s17
	v_add_nc_u32_e32 v1, 16, v1
	s_clause 0x7
	buffer_load_dword v3, v1, s[0:3], 0 offen
	buffer_load_dword v4, v1, s[0:3], 0 offen offset:4
	buffer_load_dword v5, v1, s[0:3], 0 offen offset:8
	;; [unrolled: 1-line block ×6, first 2 shown]
	buffer_load_dword v10, v2, s[0:3], 0 offen
	s_waitcnt vmcnt(7)
	buffer_store_dword v3, v2, s[0:3], 0 offen
	s_waitcnt vmcnt(6)
	buffer_store_dword v4, v2, s[0:3], 0 offen offset:4
	s_waitcnt vmcnt(5)
	buffer_store_dword v5, v2, s[0:3], 0 offen offset:8
	;; [unrolled: 2-line block ×6, first 2 shown]
	s_waitcnt vmcnt(0)
	buffer_store_dword v10, v1, s[0:3], 0 offen
.LBB40_294:
	global_load_dword v0, v0, s[20:21] offset:88
	s_waitcnt vmcnt(0)
	v_add_nc_u32_e32 v0, -1, v0
	v_cmp_eq_u32_e32 vcc_lo, 22, v0
	s_cbranch_vccnz .LBB40_296
; %bb.295:
	v_lshlrev_b32_e32 v0, 4, v0
	v_mov_b32_e32 v1, s19
	v_add_nc_u32_e32 v0, 16, v0
	s_clause 0x7
	buffer_load_dword v2, v0, s[0:3], 0 offen
	buffer_load_dword v3, v0, s[0:3], 0 offen offset:4
	buffer_load_dword v4, v0, s[0:3], 0 offen offset:8
	;; [unrolled: 1-line block ×6, first 2 shown]
	buffer_load_dword v9, v1, s[0:3], 0 offen
	s_waitcnt vmcnt(7)
	buffer_store_dword v2, v1, s[0:3], 0 offen
	s_waitcnt vmcnt(6)
	buffer_store_dword v3, v1, s[0:3], 0 offen offset:4
	s_waitcnt vmcnt(5)
	buffer_store_dword v4, v1, s[0:3], 0 offen offset:8
	;; [unrolled: 2-line block ×6, first 2 shown]
	s_waitcnt vmcnt(0)
	buffer_store_dword v9, v0, s[0:3], 0 offen
.LBB40_296:
	v_mov_b32_e32 v0, 0
	global_load_dword v1, v0, s[20:21] offset:84
	s_waitcnt vmcnt(0)
	v_add_nc_u32_e32 v1, -1, v1
	v_cmp_eq_u32_e32 vcc_lo, 21, v1
	s_cbranch_vccnz .LBB40_298
; %bb.297:
	v_lshlrev_b32_e32 v1, 4, v1
	v_mov_b32_e32 v2, s23
	v_add_nc_u32_e32 v1, 16, v1
	s_clause 0x7
	buffer_load_dword v3, v1, s[0:3], 0 offen
	buffer_load_dword v4, v1, s[0:3], 0 offen offset:4
	buffer_load_dword v5, v1, s[0:3], 0 offen offset:8
	;; [unrolled: 1-line block ×6, first 2 shown]
	buffer_load_dword v10, v2, s[0:3], 0 offen
	s_waitcnt vmcnt(7)
	buffer_store_dword v3, v2, s[0:3], 0 offen
	s_waitcnt vmcnt(6)
	buffer_store_dword v4, v2, s[0:3], 0 offen offset:4
	s_waitcnt vmcnt(5)
	buffer_store_dword v5, v2, s[0:3], 0 offen offset:8
	;; [unrolled: 2-line block ×6, first 2 shown]
	s_waitcnt vmcnt(0)
	buffer_store_dword v10, v1, s[0:3], 0 offen
.LBB40_298:
	global_load_dword v0, v0, s[20:21] offset:80
	s_waitcnt vmcnt(0)
	v_add_nc_u32_e32 v0, -1, v0
	v_cmp_eq_u32_e32 vcc_lo, 20, v0
	s_cbranch_vccnz .LBB40_300
; %bb.299:
	v_lshlrev_b32_e32 v0, 4, v0
	v_mov_b32_e32 v1, s25
	v_add_nc_u32_e32 v0, 16, v0
	s_clause 0x7
	buffer_load_dword v2, v0, s[0:3], 0 offen
	buffer_load_dword v3, v0, s[0:3], 0 offen offset:4
	buffer_load_dword v4, v0, s[0:3], 0 offen offset:8
	;; [unrolled: 1-line block ×6, first 2 shown]
	buffer_load_dword v9, v1, s[0:3], 0 offen
	s_waitcnt vmcnt(7)
	buffer_store_dword v2, v1, s[0:3], 0 offen
	s_waitcnt vmcnt(6)
	buffer_store_dword v3, v1, s[0:3], 0 offen offset:4
	s_waitcnt vmcnt(5)
	buffer_store_dword v4, v1, s[0:3], 0 offen offset:8
	;; [unrolled: 2-line block ×6, first 2 shown]
	s_waitcnt vmcnt(0)
	buffer_store_dword v9, v0, s[0:3], 0 offen
.LBB40_300:
	v_mov_b32_e32 v0, 0
	global_load_dword v1, v0, s[20:21] offset:76
	s_waitcnt vmcnt(0)
	v_add_nc_u32_e32 v1, -1, v1
	v_cmp_eq_u32_e32 vcc_lo, 19, v1
	s_cbranch_vccnz .LBB40_302
; %bb.301:
	v_lshlrev_b32_e32 v1, 4, v1
	v_mov_b32_e32 v2, s27
	v_add_nc_u32_e32 v1, 16, v1
	s_clause 0x7
	buffer_load_dword v3, v1, s[0:3], 0 offen
	buffer_load_dword v4, v1, s[0:3], 0 offen offset:4
	buffer_load_dword v5, v1, s[0:3], 0 offen offset:8
	;; [unrolled: 1-line block ×6, first 2 shown]
	buffer_load_dword v10, v2, s[0:3], 0 offen
	s_waitcnt vmcnt(7)
	buffer_store_dword v3, v2, s[0:3], 0 offen
	s_waitcnt vmcnt(6)
	buffer_store_dword v4, v2, s[0:3], 0 offen offset:4
	s_waitcnt vmcnt(5)
	buffer_store_dword v5, v2, s[0:3], 0 offen offset:8
	;; [unrolled: 2-line block ×6, first 2 shown]
	s_waitcnt vmcnt(0)
	buffer_store_dword v10, v1, s[0:3], 0 offen
.LBB40_302:
	global_load_dword v0, v0, s[20:21] offset:72
	s_waitcnt vmcnt(0)
	v_add_nc_u32_e32 v0, -1, v0
	v_cmp_eq_u32_e32 vcc_lo, 18, v0
	s_cbranch_vccnz .LBB40_304
; %bb.303:
	v_lshlrev_b32_e32 v0, 4, v0
	v_mov_b32_e32 v1, s30
	v_add_nc_u32_e32 v0, 16, v0
	s_clause 0x7
	buffer_load_dword v2, v0, s[0:3], 0 offen
	buffer_load_dword v3, v0, s[0:3], 0 offen offset:4
	buffer_load_dword v4, v0, s[0:3], 0 offen offset:8
	;; [unrolled: 1-line block ×6, first 2 shown]
	buffer_load_dword v9, v1, s[0:3], 0 offen
	s_waitcnt vmcnt(7)
	buffer_store_dword v2, v1, s[0:3], 0 offen
	s_waitcnt vmcnt(6)
	buffer_store_dword v3, v1, s[0:3], 0 offen offset:4
	s_waitcnt vmcnt(5)
	buffer_store_dword v4, v1, s[0:3], 0 offen offset:8
	;; [unrolled: 2-line block ×6, first 2 shown]
	s_waitcnt vmcnt(0)
	buffer_store_dword v9, v0, s[0:3], 0 offen
.LBB40_304:
	v_mov_b32_e32 v0, 0
	global_load_dword v1, v0, s[20:21] offset:68
	s_waitcnt vmcnt(0)
	v_add_nc_u32_e32 v1, -1, v1
	v_cmp_eq_u32_e32 vcc_lo, 17, v1
	s_cbranch_vccnz .LBB40_306
; %bb.305:
	v_lshlrev_b32_e32 v1, 4, v1
	v_mov_b32_e32 v2, s33
	v_add_nc_u32_e32 v1, 16, v1
	s_clause 0x7
	buffer_load_dword v3, v1, s[0:3], 0 offen
	buffer_load_dword v4, v1, s[0:3], 0 offen offset:4
	buffer_load_dword v5, v1, s[0:3], 0 offen offset:8
	;; [unrolled: 1-line block ×6, first 2 shown]
	buffer_load_dword v10, v2, s[0:3], 0 offen
	s_waitcnt vmcnt(7)
	buffer_store_dword v3, v2, s[0:3], 0 offen
	s_waitcnt vmcnt(6)
	buffer_store_dword v4, v2, s[0:3], 0 offen offset:4
	s_waitcnt vmcnt(5)
	buffer_store_dword v5, v2, s[0:3], 0 offen offset:8
	;; [unrolled: 2-line block ×6, first 2 shown]
	s_waitcnt vmcnt(0)
	buffer_store_dword v10, v1, s[0:3], 0 offen
.LBB40_306:
	global_load_dword v0, v0, s[20:21] offset:64
	s_waitcnt vmcnt(0)
	v_add_nc_u32_e32 v0, -1, v0
	v_cmp_eq_u32_e32 vcc_lo, 16, v0
	s_cbranch_vccnz .LBB40_308
; %bb.307:
	v_lshlrev_b32_e32 v0, 4, v0
	v_mov_b32_e32 v1, s35
	v_add_nc_u32_e32 v0, 16, v0
	s_clause 0x7
	buffer_load_dword v2, v0, s[0:3], 0 offen
	buffer_load_dword v3, v0, s[0:3], 0 offen offset:4
	buffer_load_dword v4, v0, s[0:3], 0 offen offset:8
	buffer_load_dword v5, v0, s[0:3], 0 offen offset:12
	buffer_load_dword v6, v1, s[0:3], 0 offen offset:12
	buffer_load_dword v7, v1, s[0:3], 0 offen offset:8
	buffer_load_dword v8, v1, s[0:3], 0 offen offset:4
	buffer_load_dword v9, v1, s[0:3], 0 offen
	s_waitcnt vmcnt(7)
	buffer_store_dword v2, v1, s[0:3], 0 offen
	s_waitcnt vmcnt(6)
	buffer_store_dword v3, v1, s[0:3], 0 offen offset:4
	s_waitcnt vmcnt(5)
	buffer_store_dword v4, v1, s[0:3], 0 offen offset:8
	;; [unrolled: 2-line block ×6, first 2 shown]
	s_waitcnt vmcnt(0)
	buffer_store_dword v9, v0, s[0:3], 0 offen
.LBB40_308:
	v_mov_b32_e32 v0, 0
	global_load_dword v1, v0, s[20:21] offset:60
	s_waitcnt vmcnt(0)
	v_add_nc_u32_e32 v1, -1, v1
	v_cmp_eq_u32_e32 vcc_lo, 15, v1
	s_cbranch_vccnz .LBB40_310
; %bb.309:
	v_lshlrev_b32_e32 v1, 4, v1
	v_mov_b32_e32 v2, s37
	v_add_nc_u32_e32 v1, 16, v1
	s_clause 0x7
	buffer_load_dword v3, v1, s[0:3], 0 offen
	buffer_load_dword v4, v1, s[0:3], 0 offen offset:4
	buffer_load_dword v5, v1, s[0:3], 0 offen offset:8
	;; [unrolled: 1-line block ×6, first 2 shown]
	buffer_load_dword v10, v2, s[0:3], 0 offen
	s_waitcnt vmcnt(7)
	buffer_store_dword v3, v2, s[0:3], 0 offen
	s_waitcnt vmcnt(6)
	buffer_store_dword v4, v2, s[0:3], 0 offen offset:4
	s_waitcnt vmcnt(5)
	buffer_store_dword v5, v2, s[0:3], 0 offen offset:8
	;; [unrolled: 2-line block ×6, first 2 shown]
	s_waitcnt vmcnt(0)
	buffer_store_dword v10, v1, s[0:3], 0 offen
.LBB40_310:
	global_load_dword v0, v0, s[20:21] offset:56
	s_waitcnt vmcnt(0)
	v_add_nc_u32_e32 v0, -1, v0
	v_cmp_eq_u32_e32 vcc_lo, 14, v0
	s_cbranch_vccnz .LBB40_312
; %bb.311:
	v_lshlrev_b32_e32 v0, 4, v0
	v_mov_b32_e32 v1, s39
	v_add_nc_u32_e32 v0, 16, v0
	s_clause 0x7
	buffer_load_dword v2, v0, s[0:3], 0 offen
	buffer_load_dword v3, v0, s[0:3], 0 offen offset:4
	buffer_load_dword v4, v0, s[0:3], 0 offen offset:8
	;; [unrolled: 1-line block ×6, first 2 shown]
	buffer_load_dword v9, v1, s[0:3], 0 offen
	s_waitcnt vmcnt(7)
	buffer_store_dword v2, v1, s[0:3], 0 offen
	s_waitcnt vmcnt(6)
	buffer_store_dword v3, v1, s[0:3], 0 offen offset:4
	s_waitcnt vmcnt(5)
	buffer_store_dword v4, v1, s[0:3], 0 offen offset:8
	;; [unrolled: 2-line block ×6, first 2 shown]
	s_waitcnt vmcnt(0)
	buffer_store_dword v9, v0, s[0:3], 0 offen
.LBB40_312:
	v_mov_b32_e32 v0, 0
	global_load_dword v1, v0, s[20:21] offset:52
	s_waitcnt vmcnt(0)
	v_add_nc_u32_e32 v1, -1, v1
	v_cmp_eq_u32_e32 vcc_lo, 13, v1
	s_cbranch_vccnz .LBB40_314
; %bb.313:
	v_lshlrev_b32_e32 v1, 4, v1
	v_mov_b32_e32 v2, s40
	v_add_nc_u32_e32 v1, 16, v1
	s_clause 0x7
	buffer_load_dword v3, v1, s[0:3], 0 offen
	buffer_load_dword v4, v1, s[0:3], 0 offen offset:4
	buffer_load_dword v5, v1, s[0:3], 0 offen offset:8
	buffer_load_dword v6, v1, s[0:3], 0 offen offset:12
	buffer_load_dword v7, v2, s[0:3], 0 offen offset:12
	buffer_load_dword v8, v2, s[0:3], 0 offen offset:8
	buffer_load_dword v9, v2, s[0:3], 0 offen offset:4
	buffer_load_dword v10, v2, s[0:3], 0 offen
	s_waitcnt vmcnt(7)
	buffer_store_dword v3, v2, s[0:3], 0 offen
	s_waitcnt vmcnt(6)
	buffer_store_dword v4, v2, s[0:3], 0 offen offset:4
	s_waitcnt vmcnt(5)
	buffer_store_dword v5, v2, s[0:3], 0 offen offset:8
	;; [unrolled: 2-line block ×6, first 2 shown]
	s_waitcnt vmcnt(0)
	buffer_store_dword v10, v1, s[0:3], 0 offen
.LBB40_314:
	global_load_dword v0, v0, s[20:21] offset:48
	s_waitcnt vmcnt(0)
	v_add_nc_u32_e32 v0, -1, v0
	v_cmp_eq_u32_e32 vcc_lo, 12, v0
	s_cbranch_vccnz .LBB40_316
; %bb.315:
	v_lshlrev_b32_e32 v0, 4, v0
	v_mov_b32_e32 v1, s41
	v_add_nc_u32_e32 v0, 16, v0
	s_clause 0x7
	buffer_load_dword v2, v0, s[0:3], 0 offen
	buffer_load_dword v3, v0, s[0:3], 0 offen offset:4
	buffer_load_dword v4, v0, s[0:3], 0 offen offset:8
	buffer_load_dword v5, v0, s[0:3], 0 offen offset:12
	buffer_load_dword v6, v1, s[0:3], 0 offen offset:12
	buffer_load_dword v7, v1, s[0:3], 0 offen offset:8
	buffer_load_dword v8, v1, s[0:3], 0 offen offset:4
	buffer_load_dword v9, v1, s[0:3], 0 offen
	s_waitcnt vmcnt(7)
	buffer_store_dword v2, v1, s[0:3], 0 offen
	s_waitcnt vmcnt(6)
	buffer_store_dword v3, v1, s[0:3], 0 offen offset:4
	s_waitcnt vmcnt(5)
	buffer_store_dword v4, v1, s[0:3], 0 offen offset:8
	;; [unrolled: 2-line block ×6, first 2 shown]
	s_waitcnt vmcnt(0)
	buffer_store_dword v9, v0, s[0:3], 0 offen
.LBB40_316:
	v_mov_b32_e32 v0, 0
	global_load_dword v1, v0, s[20:21] offset:44
	s_waitcnt vmcnt(0)
	v_add_nc_u32_e32 v1, -1, v1
	v_cmp_eq_u32_e32 vcc_lo, 11, v1
	s_cbranch_vccnz .LBB40_318
; %bb.317:
	v_lshlrev_b32_e32 v1, 4, v1
	v_mov_b32_e32 v2, s42
	v_add_nc_u32_e32 v1, 16, v1
	s_clause 0x7
	buffer_load_dword v3, v1, s[0:3], 0 offen
	buffer_load_dword v4, v1, s[0:3], 0 offen offset:4
	buffer_load_dword v5, v1, s[0:3], 0 offen offset:8
	;; [unrolled: 1-line block ×6, first 2 shown]
	buffer_load_dword v10, v2, s[0:3], 0 offen
	s_waitcnt vmcnt(7)
	buffer_store_dword v3, v2, s[0:3], 0 offen
	s_waitcnt vmcnt(6)
	buffer_store_dword v4, v2, s[0:3], 0 offen offset:4
	s_waitcnt vmcnt(5)
	buffer_store_dword v5, v2, s[0:3], 0 offen offset:8
	;; [unrolled: 2-line block ×6, first 2 shown]
	s_waitcnt vmcnt(0)
	buffer_store_dword v10, v1, s[0:3], 0 offen
.LBB40_318:
	global_load_dword v0, v0, s[20:21] offset:40
	s_waitcnt vmcnt(0)
	v_add_nc_u32_e32 v0, -1, v0
	v_cmp_eq_u32_e32 vcc_lo, 10, v0
	s_cbranch_vccnz .LBB40_320
; %bb.319:
	v_lshlrev_b32_e32 v0, 4, v0
	v_mov_b32_e32 v1, s43
	v_add_nc_u32_e32 v0, 16, v0
	s_clause 0x7
	buffer_load_dword v2, v0, s[0:3], 0 offen
	buffer_load_dword v3, v0, s[0:3], 0 offen offset:4
	buffer_load_dword v4, v0, s[0:3], 0 offen offset:8
	buffer_load_dword v5, v0, s[0:3], 0 offen offset:12
	buffer_load_dword v6, v1, s[0:3], 0 offen offset:12
	buffer_load_dword v7, v1, s[0:3], 0 offen offset:8
	buffer_load_dword v8, v1, s[0:3], 0 offen offset:4
	buffer_load_dword v9, v1, s[0:3], 0 offen
	s_waitcnt vmcnt(7)
	buffer_store_dword v2, v1, s[0:3], 0 offen
	s_waitcnt vmcnt(6)
	buffer_store_dword v3, v1, s[0:3], 0 offen offset:4
	s_waitcnt vmcnt(5)
	buffer_store_dword v4, v1, s[0:3], 0 offen offset:8
	;; [unrolled: 2-line block ×6, first 2 shown]
	s_waitcnt vmcnt(0)
	buffer_store_dword v9, v0, s[0:3], 0 offen
.LBB40_320:
	v_mov_b32_e32 v0, 0
	global_load_dword v1, v0, s[20:21] offset:36
	s_waitcnt vmcnt(0)
	v_add_nc_u32_e32 v1, -1, v1
	v_cmp_eq_u32_e32 vcc_lo, 9, v1
	s_cbranch_vccnz .LBB40_322
; %bb.321:
	v_lshlrev_b32_e32 v1, 4, v1
	v_mov_b32_e32 v2, s44
	v_add_nc_u32_e32 v1, 16, v1
	s_clause 0x7
	buffer_load_dword v3, v1, s[0:3], 0 offen
	buffer_load_dword v4, v1, s[0:3], 0 offen offset:4
	buffer_load_dword v5, v1, s[0:3], 0 offen offset:8
	;; [unrolled: 1-line block ×6, first 2 shown]
	buffer_load_dword v10, v2, s[0:3], 0 offen
	s_waitcnt vmcnt(7)
	buffer_store_dword v3, v2, s[0:3], 0 offen
	s_waitcnt vmcnt(6)
	buffer_store_dword v4, v2, s[0:3], 0 offen offset:4
	s_waitcnt vmcnt(5)
	buffer_store_dword v5, v2, s[0:3], 0 offen offset:8
	s_waitcnt vmcnt(4)
	buffer_store_dword v6, v2, s[0:3], 0 offen offset:12
	s_waitcnt vmcnt(3)
	buffer_store_dword v7, v1, s[0:3], 0 offen offset:12
	s_waitcnt vmcnt(2)
	buffer_store_dword v8, v1, s[0:3], 0 offen offset:8
	s_waitcnt vmcnt(1)
	buffer_store_dword v9, v1, s[0:3], 0 offen offset:4
	s_waitcnt vmcnt(0)
	buffer_store_dword v10, v1, s[0:3], 0 offen
.LBB40_322:
	global_load_dword v0, v0, s[20:21] offset:32
	s_waitcnt vmcnt(0)
	v_add_nc_u32_e32 v0, -1, v0
	v_cmp_eq_u32_e32 vcc_lo, 8, v0
	s_cbranch_vccnz .LBB40_324
; %bb.323:
	v_lshlrev_b32_e32 v0, 4, v0
	v_mov_b32_e32 v1, s45
	v_add_nc_u32_e32 v0, 16, v0
	s_clause 0x7
	buffer_load_dword v2, v0, s[0:3], 0 offen
	buffer_load_dword v3, v0, s[0:3], 0 offen offset:4
	buffer_load_dword v4, v0, s[0:3], 0 offen offset:8
	buffer_load_dword v5, v0, s[0:3], 0 offen offset:12
	buffer_load_dword v6, v1, s[0:3], 0 offen offset:12
	buffer_load_dword v7, v1, s[0:3], 0 offen offset:8
	buffer_load_dword v8, v1, s[0:3], 0 offen offset:4
	buffer_load_dword v9, v1, s[0:3], 0 offen
	s_waitcnt vmcnt(7)
	buffer_store_dword v2, v1, s[0:3], 0 offen
	s_waitcnt vmcnt(6)
	buffer_store_dword v3, v1, s[0:3], 0 offen offset:4
	s_waitcnt vmcnt(5)
	buffer_store_dword v4, v1, s[0:3], 0 offen offset:8
	s_waitcnt vmcnt(4)
	buffer_store_dword v5, v1, s[0:3], 0 offen offset:12
	s_waitcnt vmcnt(3)
	buffer_store_dword v6, v0, s[0:3], 0 offen offset:12
	s_waitcnt vmcnt(2)
	buffer_store_dword v7, v0, s[0:3], 0 offen offset:8
	s_waitcnt vmcnt(1)
	buffer_store_dword v8, v0, s[0:3], 0 offen offset:4
	s_waitcnt vmcnt(0)
	buffer_store_dword v9, v0, s[0:3], 0 offen
.LBB40_324:
	v_mov_b32_e32 v0, 0
	global_load_dword v1, v0, s[20:21] offset:28
	s_waitcnt vmcnt(0)
	v_add_nc_u32_e32 v1, -1, v1
	v_cmp_eq_u32_e32 vcc_lo, 7, v1
	s_cbranch_vccnz .LBB40_326
; %bb.325:
	v_lshlrev_b32_e32 v1, 4, v1
	v_mov_b32_e32 v2, s46
	v_add_nc_u32_e32 v1, 16, v1
	s_clause 0x7
	buffer_load_dword v3, v1, s[0:3], 0 offen
	buffer_load_dword v4, v1, s[0:3], 0 offen offset:4
	buffer_load_dword v5, v1, s[0:3], 0 offen offset:8
	;; [unrolled: 1-line block ×6, first 2 shown]
	buffer_load_dword v10, v2, s[0:3], 0 offen
	s_waitcnt vmcnt(7)
	buffer_store_dword v3, v2, s[0:3], 0 offen
	s_waitcnt vmcnt(6)
	buffer_store_dword v4, v2, s[0:3], 0 offen offset:4
	s_waitcnt vmcnt(5)
	buffer_store_dword v5, v2, s[0:3], 0 offen offset:8
	;; [unrolled: 2-line block ×6, first 2 shown]
	s_waitcnt vmcnt(0)
	buffer_store_dword v10, v1, s[0:3], 0 offen
.LBB40_326:
	global_load_dword v0, v0, s[20:21] offset:24
	s_waitcnt vmcnt(0)
	v_add_nc_u32_e32 v0, -1, v0
	v_cmp_eq_u32_e32 vcc_lo, 6, v0
	s_cbranch_vccnz .LBB40_328
; %bb.327:
	v_lshlrev_b32_e32 v0, 4, v0
	v_mov_b32_e32 v1, s47
	v_add_nc_u32_e32 v0, 16, v0
	s_clause 0x7
	buffer_load_dword v2, v0, s[0:3], 0 offen
	buffer_load_dword v3, v0, s[0:3], 0 offen offset:4
	buffer_load_dword v4, v0, s[0:3], 0 offen offset:8
	;; [unrolled: 1-line block ×6, first 2 shown]
	buffer_load_dword v9, v1, s[0:3], 0 offen
	s_waitcnt vmcnt(7)
	buffer_store_dword v2, v1, s[0:3], 0 offen
	s_waitcnt vmcnt(6)
	buffer_store_dword v3, v1, s[0:3], 0 offen offset:4
	s_waitcnt vmcnt(5)
	buffer_store_dword v4, v1, s[0:3], 0 offen offset:8
	;; [unrolled: 2-line block ×6, first 2 shown]
	s_waitcnt vmcnt(0)
	buffer_store_dword v9, v0, s[0:3], 0 offen
.LBB40_328:
	v_mov_b32_e32 v0, 0
	global_load_dword v1, v0, s[20:21] offset:20
	s_waitcnt vmcnt(0)
	v_add_nc_u32_e32 v1, -1, v1
	v_cmp_eq_u32_e32 vcc_lo, 5, v1
	s_cbranch_vccnz .LBB40_330
; %bb.329:
	v_lshlrev_b32_e32 v1, 4, v1
	v_mov_b32_e32 v2, s48
	v_add_nc_u32_e32 v1, 16, v1
	s_clause 0x7
	buffer_load_dword v3, v1, s[0:3], 0 offen
	buffer_load_dword v4, v1, s[0:3], 0 offen offset:4
	buffer_load_dword v5, v1, s[0:3], 0 offen offset:8
	;; [unrolled: 1-line block ×6, first 2 shown]
	buffer_load_dword v10, v2, s[0:3], 0 offen
	s_waitcnt vmcnt(7)
	buffer_store_dword v3, v2, s[0:3], 0 offen
	s_waitcnt vmcnt(6)
	buffer_store_dword v4, v2, s[0:3], 0 offen offset:4
	s_waitcnt vmcnt(5)
	buffer_store_dword v5, v2, s[0:3], 0 offen offset:8
	;; [unrolled: 2-line block ×6, first 2 shown]
	s_waitcnt vmcnt(0)
	buffer_store_dword v10, v1, s[0:3], 0 offen
.LBB40_330:
	global_load_dword v0, v0, s[20:21] offset:16
	s_waitcnt vmcnt(0)
	v_add_nc_u32_e32 v0, -1, v0
	v_cmp_eq_u32_e32 vcc_lo, 4, v0
	s_cbranch_vccnz .LBB40_332
; %bb.331:
	v_lshlrev_b32_e32 v0, 4, v0
	v_mov_b32_e32 v1, s49
	v_add_nc_u32_e32 v0, 16, v0
	s_clause 0x7
	buffer_load_dword v2, v0, s[0:3], 0 offen
	buffer_load_dword v3, v0, s[0:3], 0 offen offset:4
	buffer_load_dword v4, v0, s[0:3], 0 offen offset:8
	;; [unrolled: 1-line block ×6, first 2 shown]
	buffer_load_dword v9, v1, s[0:3], 0 offen
	s_waitcnt vmcnt(7)
	buffer_store_dword v2, v1, s[0:3], 0 offen
	s_waitcnt vmcnt(6)
	buffer_store_dword v3, v1, s[0:3], 0 offen offset:4
	s_waitcnt vmcnt(5)
	buffer_store_dword v4, v1, s[0:3], 0 offen offset:8
	;; [unrolled: 2-line block ×6, first 2 shown]
	s_waitcnt vmcnt(0)
	buffer_store_dword v9, v0, s[0:3], 0 offen
.LBB40_332:
	v_mov_b32_e32 v0, 0
	global_load_dword v1, v0, s[20:21] offset:12
	s_waitcnt vmcnt(0)
	v_add_nc_u32_e32 v1, -1, v1
	v_cmp_eq_u32_e32 vcc_lo, 3, v1
	s_cbranch_vccnz .LBB40_334
; %bb.333:
	v_lshlrev_b32_e32 v1, 4, v1
	v_mov_b32_e32 v2, s50
	v_add_nc_u32_e32 v1, 16, v1
	s_clause 0x7
	buffer_load_dword v3, v1, s[0:3], 0 offen
	buffer_load_dword v4, v1, s[0:3], 0 offen offset:4
	buffer_load_dword v5, v1, s[0:3], 0 offen offset:8
	;; [unrolled: 1-line block ×6, first 2 shown]
	buffer_load_dword v10, v2, s[0:3], 0 offen
	s_waitcnt vmcnt(7)
	buffer_store_dword v3, v2, s[0:3], 0 offen
	s_waitcnt vmcnt(6)
	buffer_store_dword v4, v2, s[0:3], 0 offen offset:4
	s_waitcnt vmcnt(5)
	buffer_store_dword v5, v2, s[0:3], 0 offen offset:8
	;; [unrolled: 2-line block ×6, first 2 shown]
	s_waitcnt vmcnt(0)
	buffer_store_dword v10, v1, s[0:3], 0 offen
.LBB40_334:
	global_load_dword v0, v0, s[20:21] offset:8
	s_waitcnt vmcnt(0)
	v_add_nc_u32_e32 v0, -1, v0
	v_cmp_eq_u32_e32 vcc_lo, 2, v0
	s_cbranch_vccnz .LBB40_336
; %bb.335:
	v_lshlrev_b32_e32 v0, 4, v0
	v_mov_b32_e32 v1, s51
	v_add_nc_u32_e32 v0, 16, v0
	s_clause 0x7
	buffer_load_dword v2, v0, s[0:3], 0 offen
	buffer_load_dword v3, v0, s[0:3], 0 offen offset:4
	buffer_load_dword v4, v0, s[0:3], 0 offen offset:8
	buffer_load_dword v5, v0, s[0:3], 0 offen offset:12
	buffer_load_dword v6, v1, s[0:3], 0 offen offset:12
	buffer_load_dword v7, v1, s[0:3], 0 offen offset:8
	buffer_load_dword v8, v1, s[0:3], 0 offen offset:4
	buffer_load_dword v9, v1, s[0:3], 0 offen
	s_waitcnt vmcnt(7)
	buffer_store_dword v2, v1, s[0:3], 0 offen
	s_waitcnt vmcnt(6)
	buffer_store_dword v3, v1, s[0:3], 0 offen offset:4
	s_waitcnt vmcnt(5)
	buffer_store_dword v4, v1, s[0:3], 0 offen offset:8
	;; [unrolled: 2-line block ×6, first 2 shown]
	s_waitcnt vmcnt(0)
	buffer_store_dword v9, v0, s[0:3], 0 offen
.LBB40_336:
	v_mov_b32_e32 v0, 0
	global_load_dword v1, v0, s[20:21] offset:4
	s_waitcnt vmcnt(0)
	v_add_nc_u32_e32 v1, -1, v1
	v_cmp_eq_u32_e32 vcc_lo, 1, v1
	s_cbranch_vccnz .LBB40_338
; %bb.337:
	v_lshlrev_b32_e32 v1, 4, v1
	v_mov_b32_e32 v2, s52
	v_add_nc_u32_e32 v1, 16, v1
	s_clause 0x7
	buffer_load_dword v3, v1, s[0:3], 0 offen
	buffer_load_dword v4, v1, s[0:3], 0 offen offset:4
	buffer_load_dword v5, v1, s[0:3], 0 offen offset:8
	;; [unrolled: 1-line block ×6, first 2 shown]
	buffer_load_dword v10, v2, s[0:3], 0 offen
	s_waitcnt vmcnt(7)
	buffer_store_dword v3, v2, s[0:3], 0 offen
	s_waitcnt vmcnt(6)
	buffer_store_dword v4, v2, s[0:3], 0 offen offset:4
	s_waitcnt vmcnt(5)
	buffer_store_dword v5, v2, s[0:3], 0 offen offset:8
	;; [unrolled: 2-line block ×6, first 2 shown]
	s_waitcnt vmcnt(0)
	buffer_store_dword v10, v1, s[0:3], 0 offen
.LBB40_338:
	global_load_dword v0, v0, s[20:21]
	s_waitcnt vmcnt(0)
	v_add_nc_u32_e32 v0, -1, v0
	v_cmp_eq_u32_e32 vcc_lo, 0, v0
	s_cbranch_vccnz .LBB40_340
; %bb.339:
	v_lshlrev_b32_e32 v0, 4, v0
	v_add_nc_u32_e32 v0, 16, v0
	s_clause 0x7
	buffer_load_dword v1, v0, s[0:3], 0 offen
	buffer_load_dword v2, v0, s[0:3], 0 offen offset:4
	buffer_load_dword v3, v0, s[0:3], 0 offen offset:8
	;; [unrolled: 1-line block ×3, first 2 shown]
	buffer_load_dword v5, off, s[0:3], 0 offset:28
	buffer_load_dword v6, off, s[0:3], 0 offset:24
	;; [unrolled: 1-line block ×4, first 2 shown]
	s_waitcnt vmcnt(7)
	buffer_store_dword v1, off, s[0:3], 0 offset:16
	s_waitcnt vmcnt(6)
	buffer_store_dword v2, off, s[0:3], 0 offset:20
	;; [unrolled: 2-line block ×4, first 2 shown]
	s_waitcnt vmcnt(3)
	buffer_store_dword v5, v0, s[0:3], 0 offen offset:12
	s_waitcnt vmcnt(2)
	buffer_store_dword v6, v0, s[0:3], 0 offen offset:8
	;; [unrolled: 2-line block ×3, first 2 shown]
	s_waitcnt vmcnt(0)
	buffer_store_dword v8, v0, s[0:3], 0 offen
.LBB40_340:
	v_mov_b32_e32 v7, s52
	v_mov_b32_e32 v11, s51
	;; [unrolled: 1-line block ×4, first 2 shown]
	s_clause 0x3
	buffer_load_dword v0, off, s[0:3], 0 offset:16
	buffer_load_dword v1, off, s[0:3], 0 offset:20
	;; [unrolled: 1-line block ×4, first 2 shown]
	v_mov_b32_e32 v23, s48
	s_clause 0x3
	buffer_load_dword v4, v7, s[0:3], 0 offen
	buffer_load_dword v5, v7, s[0:3], 0 offen offset:4
	buffer_load_dword v6, v7, s[0:3], 0 offen offset:8
	buffer_load_dword v7, v7, s[0:3], 0 offen offset:12
	v_mov_b32_e32 v27, s47
	s_clause 0x3
	buffer_load_dword v8, v11, s[0:3], 0 offen
	buffer_load_dword v9, v11, s[0:3], 0 offen offset:4
	buffer_load_dword v10, v11, s[0:3], 0 offen offset:8
	buffer_load_dword v11, v11, s[0:3], 0 offen offset:12
	;; [unrolled: 6-line block ×5, first 2 shown]
	buffer_load_dword v24, v27, s[0:3], 0 offen
	buffer_load_dword v25, v27, s[0:3], 0 offen offset:4
	buffer_load_dword v26, v27, s[0:3], 0 offen offset:8
	buffer_load_dword v27, v27, s[0:3], 0 offen offset:12
	buffer_load_dword v28, v31, s[0:3], 0 offen
	buffer_load_dword v29, v31, s[0:3], 0 offen offset:4
	buffer_load_dword v30, v31, s[0:3], 0 offen offset:8
	buffer_load_dword v31, v31, s[0:3], 0 offen offset:12
	;; [unrolled: 4-line block ×4, first 2 shown]
	v_mov_b32_e32 v43, s43
	v_mov_b32_e32 v80, s25
	;; [unrolled: 1-line block ×16, first 2 shown]
	s_clause 0x27
	buffer_load_dword v40, v43, s[0:3], 0 offen
	buffer_load_dword v41, v43, s[0:3], 0 offen offset:4
	buffer_load_dword v42, v43, s[0:3], 0 offen offset:8
	buffer_load_dword v43, v43, s[0:3], 0 offen offset:12
	buffer_load_dword v44, v47, s[0:3], 0 offen
	buffer_load_dword v45, v47, s[0:3], 0 offen offset:4
	buffer_load_dword v46, v47, s[0:3], 0 offen offset:8
	buffer_load_dword v47, v47, s[0:3], 0 offen offset:12
	;; [unrolled: 4-line block ×10, first 2 shown]
	v_mov_b32_e32 v167, s17
	v_mov_b32_e32 v175, s29
	;; [unrolled: 1-line block ×15, first 2 shown]
	s_waitcnt vmcnt(62)
	global_store_dwordx4 v[85:86], v[0:3], off
	s_clause 0x7
	buffer_load_dword v0, v80, s[0:3], 0 offen
	buffer_load_dword v1, v80, s[0:3], 0 offen offset:4
	buffer_load_dword v2, v80, s[0:3], 0 offen offset:8
	buffer_load_dword v3, v80, s[0:3], 0 offen offset:12
	buffer_load_dword v80, v83, s[0:3], 0 offen
	buffer_load_dword v81, v83, s[0:3], 0 offen offset:4
	buffer_load_dword v82, v83, s[0:3], 0 offen offset:8
	buffer_load_dword v83, v83, s[0:3], 0 offen offset:12
	global_store_dwordx4 v[87:88], v[4:7], off
	s_clause 0x7
	buffer_load_dword v4, v84, s[0:3], 0 offen
	buffer_load_dword v5, v84, s[0:3], 0 offen offset:4
	buffer_load_dword v6, v84, s[0:3], 0 offen offset:8
	buffer_load_dword v7, v84, s[0:3], 0 offen offset:12
	buffer_load_dword v84, v167, s[0:3], 0 offen
	buffer_load_dword v85, v167, s[0:3], 0 offen offset:4
	buffer_load_dword v86, v167, s[0:3], 0 offen offset:8
	buffer_load_dword v87, v167, s[0:3], 0 offen offset:12
	;; [unrolled: 10-line block ×4, first 2 shown]
	s_waitcnt vmcnt(62)
	global_store_dwordx4 v[93:94], v[16:19], off
	s_clause 0x7
	buffer_load_dword v16, v173, s[0:3], 0 offen
	buffer_load_dword v17, v173, s[0:3], 0 offen offset:4
	buffer_load_dword v18, v173, s[0:3], 0 offen offset:8
	buffer_load_dword v19, v173, s[0:3], 0 offen offset:12
	buffer_load_dword v171, v174, s[0:3], 0 offen
	buffer_load_dword v172, v174, s[0:3], 0 offen offset:4
	buffer_load_dword v173, v174, s[0:3], 0 offen offset:8
	buffer_load_dword v174, v174, s[0:3], 0 offen offset:12
	global_store_dwordx4 v[95:96], v[20:23], off
	s_clause 0x7
	buffer_load_dword v20, v175, s[0:3], 0 offen
	buffer_load_dword v21, v175, s[0:3], 0 offen offset:4
	buffer_load_dword v22, v175, s[0:3], 0 offen offset:8
	buffer_load_dword v23, v175, s[0:3], 0 offen offset:12
	buffer_load_dword v92, v176, s[0:3], 0 offen
	buffer_load_dword v93, v176, s[0:3], 0 offen offset:4
	buffer_load_dword v94, v176, s[0:3], 0 offen offset:8
	buffer_load_dword v95, v176, s[0:3], 0 offen offset:12
	;; [unrolled: 10-line block ×6, first 2 shown]
	buffer_load_dword v183, v186, s[0:3], 0 offen
	buffer_load_dword v184, v186, s[0:3], 0 offen offset:4
	buffer_load_dword v185, v186, s[0:3], 0 offen offset:8
	;; [unrolled: 1-line block ×3, first 2 shown]
	global_store_dwordx4 v[105:106], v[40:43], off
	global_store_dwordx4 v[107:108], v[44:47], off
	s_waitcnt vmcnt(62)
	global_store_dwordx4 v[109:110], v[48:51], off
	global_store_dwordx4 v[111:112], v[52:55], off
	;; [unrolled: 1-line block ×13, first 2 shown]
	s_waitcnt vmcnt(60)
	global_store_dwordx4 v[135:136], v[167:170], off
	s_waitcnt vmcnt(56)
	global_store_dwordx4 v[137:138], v[12:15], off
	;; [unrolled: 2-line block ×16, first 2 shown]
	s_endpgm
	.section	.rodata,"a",@progbits
	.p2align	6, 0x0
	.amdhsa_kernel _ZN9rocsolver6v33100L18getri_kernel_smallILi41E19rocblas_complex_numIdEPS3_EEvT1_iilPiilS6_bb
		.amdhsa_group_segment_fixed_size 1320
		.amdhsa_private_segment_fixed_size 688
		.amdhsa_kernarg_size 60
		.amdhsa_user_sgpr_count 6
		.amdhsa_user_sgpr_private_segment_buffer 1
		.amdhsa_user_sgpr_dispatch_ptr 0
		.amdhsa_user_sgpr_queue_ptr 0
		.amdhsa_user_sgpr_kernarg_segment_ptr 1
		.amdhsa_user_sgpr_dispatch_id 0
		.amdhsa_user_sgpr_flat_scratch_init 0
		.amdhsa_user_sgpr_private_segment_size 0
		.amdhsa_wavefront_size32 1
		.amdhsa_uses_dynamic_stack 0
		.amdhsa_system_sgpr_private_segment_wavefront_offset 1
		.amdhsa_system_sgpr_workgroup_id_x 1
		.amdhsa_system_sgpr_workgroup_id_y 0
		.amdhsa_system_sgpr_workgroup_id_z 0
		.amdhsa_system_sgpr_workgroup_info 0
		.amdhsa_system_vgpr_workitem_id 0
		.amdhsa_next_free_vgpr 188
		.amdhsa_next_free_sgpr 57
		.amdhsa_reserve_vcc 1
		.amdhsa_reserve_flat_scratch 0
		.amdhsa_float_round_mode_32 0
		.amdhsa_float_round_mode_16_64 0
		.amdhsa_float_denorm_mode_32 3
		.amdhsa_float_denorm_mode_16_64 3
		.amdhsa_dx10_clamp 1
		.amdhsa_ieee_mode 1
		.amdhsa_fp16_overflow 0
		.amdhsa_workgroup_processor_mode 1
		.amdhsa_memory_ordered 1
		.amdhsa_forward_progress 1
		.amdhsa_shared_vgpr_count 0
		.amdhsa_exception_fp_ieee_invalid_op 0
		.amdhsa_exception_fp_denorm_src 0
		.amdhsa_exception_fp_ieee_div_zero 0
		.amdhsa_exception_fp_ieee_overflow 0
		.amdhsa_exception_fp_ieee_underflow 0
		.amdhsa_exception_fp_ieee_inexact 0
		.amdhsa_exception_int_div_zero 0
	.end_amdhsa_kernel
	.section	.text._ZN9rocsolver6v33100L18getri_kernel_smallILi41E19rocblas_complex_numIdEPS3_EEvT1_iilPiilS6_bb,"axG",@progbits,_ZN9rocsolver6v33100L18getri_kernel_smallILi41E19rocblas_complex_numIdEPS3_EEvT1_iilPiilS6_bb,comdat
.Lfunc_end40:
	.size	_ZN9rocsolver6v33100L18getri_kernel_smallILi41E19rocblas_complex_numIdEPS3_EEvT1_iilPiilS6_bb, .Lfunc_end40-_ZN9rocsolver6v33100L18getri_kernel_smallILi41E19rocblas_complex_numIdEPS3_EEvT1_iilPiilS6_bb
                                        ; -- End function
	.set _ZN9rocsolver6v33100L18getri_kernel_smallILi41E19rocblas_complex_numIdEPS3_EEvT1_iilPiilS6_bb.num_vgpr, 188
	.set _ZN9rocsolver6v33100L18getri_kernel_smallILi41E19rocblas_complex_numIdEPS3_EEvT1_iilPiilS6_bb.num_agpr, 0
	.set _ZN9rocsolver6v33100L18getri_kernel_smallILi41E19rocblas_complex_numIdEPS3_EEvT1_iilPiilS6_bb.numbered_sgpr, 57
	.set _ZN9rocsolver6v33100L18getri_kernel_smallILi41E19rocblas_complex_numIdEPS3_EEvT1_iilPiilS6_bb.num_named_barrier, 0
	.set _ZN9rocsolver6v33100L18getri_kernel_smallILi41E19rocblas_complex_numIdEPS3_EEvT1_iilPiilS6_bb.private_seg_size, 688
	.set _ZN9rocsolver6v33100L18getri_kernel_smallILi41E19rocblas_complex_numIdEPS3_EEvT1_iilPiilS6_bb.uses_vcc, 1
	.set _ZN9rocsolver6v33100L18getri_kernel_smallILi41E19rocblas_complex_numIdEPS3_EEvT1_iilPiilS6_bb.uses_flat_scratch, 0
	.set _ZN9rocsolver6v33100L18getri_kernel_smallILi41E19rocblas_complex_numIdEPS3_EEvT1_iilPiilS6_bb.has_dyn_sized_stack, 0
	.set _ZN9rocsolver6v33100L18getri_kernel_smallILi41E19rocblas_complex_numIdEPS3_EEvT1_iilPiilS6_bb.has_recursion, 0
	.set _ZN9rocsolver6v33100L18getri_kernel_smallILi41E19rocblas_complex_numIdEPS3_EEvT1_iilPiilS6_bb.has_indirect_call, 0
	.section	.AMDGPU.csdata,"",@progbits
; Kernel info:
; codeLenInByte = 118792
; TotalNumSgprs: 59
; NumVgprs: 188
; ScratchSize: 688
; MemoryBound: 0
; FloatMode: 240
; IeeeMode: 1
; LDSByteSize: 1320 bytes/workgroup (compile time only)
; SGPRBlocks: 0
; VGPRBlocks: 23
; NumSGPRsForWavesPerEU: 59
; NumVGPRsForWavesPerEU: 188
; Occupancy: 5
; WaveLimiterHint : 1
; COMPUTE_PGM_RSRC2:SCRATCH_EN: 1
; COMPUTE_PGM_RSRC2:USER_SGPR: 6
; COMPUTE_PGM_RSRC2:TRAP_HANDLER: 0
; COMPUTE_PGM_RSRC2:TGID_X_EN: 1
; COMPUTE_PGM_RSRC2:TGID_Y_EN: 0
; COMPUTE_PGM_RSRC2:TGID_Z_EN: 0
; COMPUTE_PGM_RSRC2:TIDIG_COMP_CNT: 0
	.section	.text._ZN9rocsolver6v33100L18getri_kernel_smallILi42E19rocblas_complex_numIdEPS3_EEvT1_iilPiilS6_bb,"axG",@progbits,_ZN9rocsolver6v33100L18getri_kernel_smallILi42E19rocblas_complex_numIdEPS3_EEvT1_iilPiilS6_bb,comdat
	.globl	_ZN9rocsolver6v33100L18getri_kernel_smallILi42E19rocblas_complex_numIdEPS3_EEvT1_iilPiilS6_bb ; -- Begin function _ZN9rocsolver6v33100L18getri_kernel_smallILi42E19rocblas_complex_numIdEPS3_EEvT1_iilPiilS6_bb
	.p2align	8
	.type	_ZN9rocsolver6v33100L18getri_kernel_smallILi42E19rocblas_complex_numIdEPS3_EEvT1_iilPiilS6_bb,@function
_ZN9rocsolver6v33100L18getri_kernel_smallILi42E19rocblas_complex_numIdEPS3_EEvT1_iilPiilS6_bb: ; @_ZN9rocsolver6v33100L18getri_kernel_smallILi42E19rocblas_complex_numIdEPS3_EEvT1_iilPiilS6_bb
; %bb.0:
	s_add_u32 s0, s0, s7
	s_addc_u32 s1, s1, 0
	s_mov_b32 s7, exec_lo
	v_cmpx_gt_u32_e32 42, v0
	s_cbranch_execz .LBB41_182
; %bb.1:
	s_clause 0x2
	s_load_dword s7, s[4:5], 0x38
	s_load_dwordx4 s[16:19], s[4:5], 0x10
	s_load_dwordx4 s[8:11], s[4:5], 0x28
                                        ; implicit-def: $sgpr20_sgpr21
	s_waitcnt lgkmcnt(0)
	s_bitcmp1_b32 s7, 8
	s_cselect_b32 s54, -1, 0
	s_bfe_u32 s12, s7, 0x10008
	s_ashr_i32 s7, s6, 31
	s_cmp_eq_u32 s12, 0
	s_cbranch_scc1 .LBB41_3
; %bb.2:
	s_load_dword s12, s[4:5], 0x20
	s_mul_i32 s13, s8, s7
	s_mul_hi_u32 s14, s8, s6
	s_mul_i32 s9, s9, s6
	s_add_i32 s13, s14, s13
	s_mul_i32 s8, s8, s6
	s_add_i32 s9, s13, s9
	s_lshl_b64 s[8:9], s[8:9], 2
	s_waitcnt lgkmcnt(0)
	s_ashr_i32 s13, s12, 31
	s_add_u32 s14, s18, s8
	s_addc_u32 s15, s19, s9
	s_lshl_b64 s[8:9], s[12:13], 2
	s_add_u32 s20, s14, s8
	s_addc_u32 s21, s15, s9
.LBB41_3:
	s_clause 0x1
	s_load_dwordx4 s[12:15], s[4:5], 0x0
	s_load_dword s55, s[4:5], 0x38
	s_mul_i32 s4, s16, s7
	s_mul_hi_u32 s5, s16, s6
	s_mul_i32 s8, s17, s6
	s_add_i32 s5, s5, s4
	s_mul_i32 s4, s16, s6
	s_add_i32 s5, s5, s8
	v_lshlrev_b32_e32 v145, 4, v0
	s_lshl_b64 s[4:5], s[4:5], 4
	s_movk_i32 s33, 0x170
	s_movk_i32 s18, 0xf0
	s_movk_i32 s28, 0x150
	s_movk_i32 s30, 0x160
	s_movk_i32 s22, 0x110
	s_movk_i32 s24, 0x130
	s_movk_i32 s26, 0x140
	s_movk_i32 s19, 0x100
	s_movk_i32 s23, 0x120
	s_movk_i32 s16, 0xd0
	s_waitcnt lgkmcnt(0)
	v_add3_u32 v1, s15, s15, v0
	s_ashr_i32 s9, s14, 31
	s_mov_b32 s8, s14
	s_add_u32 s12, s12, s4
	s_addc_u32 s13, s13, s5
	s_lshl_b64 s[4:5], s[8:9], 4
	v_ashrrev_i32_e32 v2, 31, v1
	s_add_u32 s4, s12, s4
	s_addc_u32 s5, s13, s5
	v_add_nc_u32_e32 v5, s15, v1
	v_add_co_u32 v73, s12, s4, v145
	s_mov_b32 s8, s15
	s_ashr_i32 s9, s15, 31
	v_lshlrev_b64 v[6:7], 4, v[1:2]
	v_add_co_ci_u32_e64 v74, null, s5, 0, s12
	s_lshl_b64 s[8:9], s[8:9], 4
	v_add_nc_u32_e32 v8, s15, v5
	v_add_co_u32 v75, vcc_lo, v73, s8
	v_add_co_ci_u32_e64 v76, null, s9, v74, vcc_lo
	v_add_co_u32 v79, vcc_lo, s4, v6
	v_ashrrev_i32_e32 v6, 31, v5
	v_add_co_ci_u32_e64 v80, null, s5, v7, vcc_lo
	v_ashrrev_i32_e32 v9, 31, v8
	v_add_nc_u32_e32 v7, s15, v8
	v_lshlrev_b64 v[5:6], 4, v[5:6]
	s_clause 0x1
	global_load_dwordx4 v[1:4], v145, s[4:5]
	global_load_dwordx4 v[137:140], v[75:76], off
	v_lshlrev_b64 v[9:10], 4, v[8:9]
	v_ashrrev_i32_e32 v8, 31, v7
	v_add_nc_u32_e32 v11, s15, v7
	v_add_co_u32 v87, vcc_lo, s4, v5
	v_add_co_ci_u32_e64 v88, null, s5, v6, vcc_lo
	v_lshlrev_b64 v[5:6], 4, v[7:8]
	v_add_nc_u32_e32 v7, s15, v11
	v_ashrrev_i32_e32 v12, 31, v11
	v_add_co_u32 v77, vcc_lo, s4, v9
	v_add_co_ci_u32_e64 v78, null, s5, v10, vcc_lo
	v_ashrrev_i32_e32 v8, 31, v7
	v_add_co_u32 v83, vcc_lo, s4, v5
	v_add_nc_u32_e32 v5, s15, v7
	v_lshlrev_b64 v[9:10], 4, v[11:12]
	v_lshlrev_b64 v[7:8], 4, v[7:8]
	v_add_co_ci_u32_e64 v84, null, s5, v6, vcc_lo
	v_ashrrev_i32_e32 v6, 31, v5
	v_add_nc_u32_e32 v11, s15, v5
	v_add_co_u32 v91, vcc_lo, s4, v9
	v_add_co_ci_u32_e64 v92, null, s5, v10, vcc_lo
	v_add_co_u32 v81, vcc_lo, s4, v7
	v_lshlrev_b64 v[5:6], 4, v[5:6]
	v_add_nc_u32_e32 v7, s15, v11
	v_ashrrev_i32_e32 v12, 31, v11
	s_clause 0x1
	global_load_dwordx4 v[141:144], v[79:80], off
	global_load_dwordx4 v[150:153], v[77:78], off
	v_add_co_ci_u32_e64 v82, null, s5, v8, vcc_lo
	v_ashrrev_i32_e32 v8, 31, v7
	v_add_co_u32 v89, vcc_lo, s4, v5
	v_add_nc_u32_e32 v5, s15, v7
	v_lshlrev_b64 v[9:10], 4, v[11:12]
	v_lshlrev_b64 v[7:8], 4, v[7:8]
	v_add_co_ci_u32_e64 v90, null, s5, v6, vcc_lo
	v_add_nc_u32_e32 v11, s15, v5
	v_ashrrev_i32_e32 v6, 31, v5
	v_add_co_u32 v95, vcc_lo, s4, v9
	v_add_co_ci_u32_e64 v96, null, s5, v10, vcc_lo
	v_add_co_u32 v85, vcc_lo, s4, v7
	v_add_nc_u32_e32 v7, s15, v11
	v_lshlrev_b64 v[5:6], 4, v[5:6]
	v_ashrrev_i32_e32 v12, 31, v11
	v_add_co_ci_u32_e64 v86, null, s5, v8, vcc_lo
	v_ashrrev_i32_e32 v8, 31, v7
	global_load_dwordx4 v[146:149], v[87:88], off
	v_add_co_u32 v93, vcc_lo, s4, v5
	v_lshlrev_b64 v[9:10], 4, v[11:12]
	v_add_nc_u32_e32 v5, s15, v7
	s_clause 0x3
	global_load_dwordx4 v[154:157], v[83:84], off
	global_load_dwordx4 v[65:68], v[81:82], off
	;; [unrolled: 1-line block ×4, first 2 shown]
	v_add_co_ci_u32_e64 v94, null, s5, v6, vcc_lo
	v_lshlrev_b64 v[6:7], 4, v[7:8]
	v_add_nc_u32_e32 v8, s15, v5
	v_add_co_u32 v97, vcc_lo, s4, v9
	v_add_co_ci_u32_e64 v98, null, s5, v10, vcc_lo
	v_add_co_u32 v99, vcc_lo, s4, v6
	v_ashrrev_i32_e32 v6, 31, v5
	s_clause 0x1
	global_load_dwordx4 v[41:44], v[95:96], off
	global_load_dwordx4 v[49:52], v[93:94], off
	v_add_co_ci_u32_e64 v100, null, s5, v7, vcc_lo
	v_ashrrev_i32_e32 v9, 31, v8
	v_add_nc_u32_e32 v7, s15, v8
	v_lshlrev_b64 v[5:6], 4, v[5:6]
	s_clause 0x2
	global_load_dwordx4 v[45:48], v[85:86], off
	global_load_dwordx4 v[21:24], v[97:98], off
	;; [unrolled: 1-line block ×3, first 2 shown]
	v_lshlrev_b64 v[9:10], 4, v[8:9]
	v_ashrrev_i32_e32 v8, 31, v7
	v_add_co_u32 v101, vcc_lo, s4, v5
	v_add_co_ci_u32_e64 v102, null, s5, v6, vcc_lo
	v_lshlrev_b64 v[5:6], 4, v[7:8]
	v_add_co_u32 v103, vcc_lo, s4, v9
	v_add_co_ci_u32_e64 v104, null, s5, v10, vcc_lo
	global_load_dwordx4 v[29:32], v[101:102], off
	v_add_co_u32 v105, vcc_lo, s4, v5
	v_add_co_ci_u32_e64 v106, null, s5, v6, vcc_lo
	global_load_dwordx4 v[37:40], v[103:104], off
	v_add_nc_u32_e32 v5, s15, v7
	s_add_i32 s41, s33, 16
	global_load_dwordx4 v[33:36], v[105:106], off
	s_add_i32 s34, s18, 16
	s_add_i32 s18, s28, 16
	v_add_nc_u32_e32 v7, s15, v5
	v_ashrrev_i32_e32 v6, 31, v5
	s_add_i32 s43, s30, 16
	s_add_i32 s29, s22, 16
	;; [unrolled: 1-line block ×3, first 2 shown]
	v_add_nc_u32_e32 v9, s15, v7
	v_lshlrev_b64 v[5:6], 4, v[5:6]
	v_ashrrev_i32_e32 v8, 31, v7
	s_add_i32 s22, s26, 16
	s_movk_i32 s17, 0xe0
	v_add_nc_u32_e32 v11, s15, v9
	v_ashrrev_i32_e32 v10, 31, v9
	v_lshlrev_b64 v[7:8], 4, v[7:8]
	v_add_co_u32 v107, vcc_lo, s4, v5
	v_add_nc_u32_e32 v13, s15, v11
	v_ashrrev_i32_e32 v12, 31, v11
	v_add_co_ci_u32_e64 v108, null, s5, v6, vcc_lo
	v_lshlrev_b64 v[5:6], 4, v[9:10]
	v_add_nc_u32_e32 v17, s15, v13
	v_ashrrev_i32_e32 v14, 31, v13
	v_lshlrev_b64 v[15:16], 4, v[11:12]
	v_add_co_u32 v109, vcc_lo, s4, v7
	v_add_nc_u32_e32 v53, s15, v17
	v_ashrrev_i32_e32 v18, 31, v17
	v_lshlrev_b64 v[13:14], 4, v[13:14]
	v_add_co_ci_u32_e64 v110, null, s5, v8, vcc_lo
	v_add_nc_u32_e32 v57, s15, v53
	v_ashrrev_i32_e32 v54, 31, v53
	v_add_co_u32 v111, vcc_lo, s4, v5
	v_lshlrev_b64 v[55:56], 4, v[17:18]
	v_add_nc_u32_e32 v121, s15, v57
	v_ashrrev_i32_e32 v58, 31, v57
	v_add_co_ci_u32_e64 v112, null, s5, v6, vcc_lo
	v_add_co_u32 v113, vcc_lo, s4, v15
	v_add_nc_u32_e32 v125, s15, v121
	v_ashrrev_i32_e32 v122, 31, v121
	v_lshlrev_b64 v[53:54], 4, v[53:54]
	v_add_co_ci_u32_e64 v114, null, s5, v16, vcc_lo
	v_add_co_u32 v115, vcc_lo, s4, v13
	v_lshlrev_b64 v[123:124], 4, v[57:58]
	v_add_nc_u32_e32 v129, s15, v125
	v_add_co_ci_u32_e64 v116, null, s5, v14, vcc_lo
	v_add_co_u32 v117, vcc_lo, s4, v55
	v_lshlrev_b64 v[127:128], 4, v[121:122]
	v_add_co_ci_u32_e64 v118, null, s5, v56, vcc_lo
	v_add_co_u32 v119, vcc_lo, s4, v53
	v_ashrrev_i32_e32 v130, 31, v129
	v_add_nc_u32_e32 v131, s15, v129
	v_add_co_ci_u32_e64 v120, null, s5, v54, vcc_lo
	v_add_co_u32 v121, vcc_lo, s4, v123
	v_add_co_ci_u32_e64 v122, null, s5, v124, vcc_lo
	v_add_co_u32 v123, vcc_lo, s4, v127
	v_add_co_ci_u32_e64 v124, null, s5, v128, vcc_lo
	v_lshlrev_b64 v[127:128], 4, v[129:130]
	v_add_nc_u32_e32 v129, s15, v131
	v_ashrrev_i32_e32 v126, 31, v125
	v_ashrrev_i32_e32 v132, 31, v131
	s_clause 0x3
	global_load_dwordx4 v[5:8], v[107:108], off
	global_load_dwordx4 v[9:12], v[109:110], off
	;; [unrolled: 1-line block ×4, first 2 shown]
	v_add_nc_u32_e32 v133, s15, v129
	v_lshlrev_b64 v[125:126], 4, v[125:126]
	v_ashrrev_i32_e32 v130, 31, v129
	v_lshlrev_b64 v[131:132], 4, v[131:132]
	s_clause 0x1
	global_load_dwordx4 v[57:60], v[115:116], off
	global_load_dwordx4 v[53:56], v[117:118], off
	v_add_nc_u32_e32 v182, s15, v133
	v_ashrrev_i32_e32 v134, 31, v133
	v_add_co_u32 v125, vcc_lo, s4, v125
	v_lshlrev_b64 v[135:136], 4, v[129:130]
	v_add_nc_u32_e32 v184, s15, v182
	v_add_co_ci_u32_e64 v126, null, s5, v126, vcc_lo
	v_add_co_u32 v127, vcc_lo, s4, v127
	v_lshlrev_b64 v[133:134], 4, v[133:134]
	v_add_co_ci_u32_e64 v128, null, s5, v128, vcc_lo
	v_add_co_u32 v129, vcc_lo, s4, v131
	v_add_nc_u32_e32 v186, s15, v184
	v_add_co_ci_u32_e64 v130, null, s5, v132, vcc_lo
	v_add_co_u32 v131, vcc_lo, s4, v135
	v_add_co_ci_u32_e64 v132, null, s5, v136, vcc_lo
	v_add_co_u32 v133, vcc_lo, s4, v133
	v_ashrrev_i32_e32 v183, 31, v182
	v_ashrrev_i32_e32 v185, 31, v184
	v_add_nc_u32_e32 v190, s15, v186
	v_add_co_ci_u32_e64 v134, null, s5, v134, vcc_lo
	s_clause 0x5
	global_load_dwordx4 v[158:161], v[119:120], off
	global_load_dwordx4 v[162:165], v[121:122], off
	;; [unrolled: 1-line block ×6, first 2 shown]
	v_lshlrev_b64 v[135:136], 4, v[182:183]
	v_lshlrev_b64 v[188:189], 4, v[184:185]
	v_ashrrev_i32_e32 v187, 31, v186
	v_ashrrev_i32_e32 v191, 31, v190
	s_add_i32 s31, s19, 16
	s_add_i32 s27, s23, 16
	v_add_co_u32 v135, vcc_lo, s4, v135
	v_add_co_ci_u32_e64 v136, null, s5, v136, vcc_lo
	s_movk_i32 s14, 0xb0
	s_add_i32 s38, s16, 16
	s_add_i32 s36, s17, 16
	s_movk_i32 s12, 0x90
	s_movk_i32 s13, 0xa0
	s_add_i32 s42, s14, 16
	s_movk_i32 s8, 0x70
	s_movk_i32 s9, 0x80
	s_add_i32 s45, s12, 16
	s_add_i32 s44, s13, 16
	;; [unrolled: 1-line block ×4, first 2 shown]
	s_mov_b32 s53, 32
	s_mov_b32 s52, 48
	;; [unrolled: 1-line block ×3, first 2 shown]
	s_movk_i32 s50, 0x50
	s_waitcnt vmcnt(28)
	buffer_store_dword v4, off, s[0:3], 0 offset:28
	buffer_store_dword v3, off, s[0:3], 0 offset:24
	buffer_store_dword v2, off, s[0:3], 0 offset:20
	buffer_store_dword v1, off, s[0:3], 0 offset:16
	s_waitcnt vmcnt(27)
	buffer_store_dword v140, off, s[0:3], 0 offset:44
	buffer_store_dword v139, off, s[0:3], 0 offset:40
	;; [unrolled: 1-line block ×4, first 2 shown]
	s_clause 0x1
	global_load_dwordx4 v[1:4], v[131:132], off
	global_load_dwordx4 v[182:185], v[133:134], off
	s_waitcnt vmcnt(28)
	buffer_store_dword v144, off, s[0:3], 0 offset:60
	buffer_store_dword v143, off, s[0:3], 0 offset:56
	;; [unrolled: 1-line block ×4, first 2 shown]
	v_add_nc_u32_e32 v141, s15, v190
	v_lshlrev_b64 v[139:140], 4, v[186:187]
	v_add_co_u32 v137, vcc_lo, s4, v188
	v_lshlrev_b64 v[143:144], 4, v[190:191]
	v_ashrrev_i32_e32 v142, 31, v141
	v_add_nc_u32_e32 v186, s15, v141
	v_add_co_ci_u32_e64 v138, null, s5, v189, vcc_lo
	v_add_co_u32 v139, vcc_lo, s4, v139
	v_lshlrev_b64 v[188:189], 4, v[141:142]
	v_add_nc_u32_e32 v190, s15, v186
	v_ashrrev_i32_e32 v187, 31, v186
	v_add_co_ci_u32_e64 v140, null, s5, v140, vcc_lo
	v_add_co_u32 v141, vcc_lo, s4, v143
	v_add_co_ci_u32_e64 v142, null, s5, v144, vcc_lo
	v_ashrrev_i32_e32 v191, 31, v190
	v_add_co_u32 v143, vcc_lo, s4, v188
	v_add_nc_u32_e32 v188, s15, v190
	v_lshlrev_b64 v[186:187], 4, v[186:187]
	s_waitcnt vmcnt(26)
	buffer_store_dword v149, off, s[0:3], 0 offset:76
	buffer_store_dword v148, off, s[0:3], 0 offset:72
	;; [unrolled: 1-line block ×8, first 2 shown]
	s_clause 0x1
	global_load_dwordx4 v[146:149], v[135:136], off
	global_load_dwordx4 v[150:153], v[137:138], off
	s_waitcnt vmcnt(27)
	buffer_store_dword v157, off, s[0:3], 0 offset:108
	buffer_store_dword v156, off, s[0:3], 0 offset:104
	;; [unrolled: 1-line block ×4, first 2 shown]
	v_add_co_ci_u32_e64 v144, null, s5, v189, vcc_lo
	s_waitcnt vmcnt(25)
	buffer_store_dword v64, off, s[0:3], 0 offset:124
	buffer_store_dword v63, off, s[0:3], 0 offset:120
	;; [unrolled: 1-line block ×8, first 2 shown]
	v_lshlrev_b64 v[63:64], 4, v[190:191]
	v_ashrrev_i32_e32 v189, 31, v188
	v_add_nc_u32_e32 v190, s15, v188
	v_add_co_u32 v61, vcc_lo, s4, v186
	v_add_co_ci_u32_e64 v62, null, s5, v187, vcc_lo
	v_lshlrev_b64 v[186:187], 4, v[188:189]
	v_add_nc_u32_e32 v188, s15, v190
	s_clause 0x1
	global_load_dwordx4 v[65:68], v[139:140], off
	global_load_dwordx4 v[154:157], v[141:142], off
	s_waitcnt vmcnt(26)
	buffer_store_dword v72, off, s[0:3], 0 offset:156
	buffer_store_dword v71, off, s[0:3], 0 offset:152
	buffer_store_dword v70, off, s[0:3], 0 offset:148
	buffer_store_dword v69, off, s[0:3], 0 offset:144
	s_waitcnt vmcnt(25)
	buffer_store_dword v41, off, s[0:3], 0 offset:160
	buffer_store_dword v42, off, s[0:3], 0 offset:164
	buffer_store_dword v43, off, s[0:3], 0 offset:168
	buffer_store_dword v44, off, s[0:3], 0 offset:172
	;; [unrolled: 5-line block ×3, first 2 shown]
	s_clause 0x1
	global_load_dwordx4 v[43:46], v[143:144], off
	global_load_dwordx4 v[69:72], v[61:62], off
	buffer_store_dword v49, off, s[0:3], 0 offset:192
	buffer_store_dword v50, off, s[0:3], 0 offset:196
	;; [unrolled: 1-line block ×4, first 2 shown]
	v_add_nc_u32_e32 v51, s15, v188
	v_ashrrev_i32_e32 v191, 31, v190
	v_ashrrev_i32_e32 v189, 31, v188
	v_add_co_u32 v63, vcc_lo, s4, v63
	v_ashrrev_i32_e32 v52, 31, v51
	v_lshlrev_b64 v[190:191], 4, v[190:191]
	v_lshlrev_b64 v[192:193], 4, v[188:189]
	v_add_co_ci_u32_e64 v64, null, s5, v64, vcc_lo
	v_add_co_u32 v41, vcc_lo, s4, v186
	s_waitcnt vmcnt(24)
	buffer_store_dword v24, off, s[0:3], 0 offset:220
	buffer_store_dword v23, off, s[0:3], 0 offset:216
	buffer_store_dword v22, off, s[0:3], 0 offset:212
	buffer_store_dword v21, off, s[0:3], 0 offset:208
	s_waitcnt vmcnt(23)
	buffer_store_dword v28, off, s[0:3], 0 offset:236
	buffer_store_dword v27, off, s[0:3], 0 offset:232
	;; [unrolled: 1-line block ×4, first 2 shown]
	v_lshlrev_b64 v[25:26], 4, v[51:52]
	v_add_co_ci_u32_e64 v42, null, s5, v187, vcc_lo
	v_add_co_u32 v21, vcc_lo, s4, v190
	v_add_co_ci_u32_e64 v22, null, s5, v191, vcc_lo
	v_add_co_u32 v23, vcc_lo, s4, v192
	;; [unrolled: 2-line block ×3, first 2 shown]
	v_add_co_ci_u32_e64 v26, null, s5, v26, vcc_lo
	s_clause 0x1
	global_load_dwordx4 v[47:50], v[63:64], off
	global_load_dwordx4 v[186:189], v[41:42], off
	s_waitcnt vmcnt(24)
	buffer_store_dword v32, off, s[0:3], 0 offset:252
	buffer_store_dword v31, off, s[0:3], 0 offset:248
	;; [unrolled: 1-line block ×4, first 2 shown]
	s_waitcnt vmcnt(23)
	buffer_store_dword v40, off, s[0:3], 0 offset:268
	buffer_store_dword v39, off, s[0:3], 0 offset:264
	;; [unrolled: 1-line block ×4, first 2 shown]
	s_clause 0x1
	global_load_dwordx4 v[27:30], v[21:22], off
	global_load_dwordx4 v[37:40], v[23:24], off
	s_waitcnt vmcnt(24)
	buffer_store_dword v36, off, s[0:3], 0 offset:284
	buffer_store_dword v35, off, s[0:3], 0 offset:280
	;; [unrolled: 1-line block ×4, first 2 shown]
	global_load_dwordx4 v[31:34], v[25:26], off
	s_movk_i32 s4, 0x50
	s_movk_i32 s5, 0x60
	s_add_i32 s49, s4, 16
	s_add_i32 s48, s5, 16
	s_movk_i32 s4, 0x180
	s_movk_i32 s5, 0x190
	s_add_i32 s39, s4, 16
	s_add_i32 s37, s5, 16
	;; [unrolled: 4-line block ×6, first 2 shown]
	s_movk_i32 s4, 0x220
	s_movk_i32 s5, 0x230
	;; [unrolled: 1-line block ×3, first 2 shown]
	s_add_i32 s17, s4, 16
	s_add_i32 s16, s5, 16
	s_movk_i32 s4, 0x240
	s_movk_i32 s5, 0x250
	s_add_i32 s40, s15, 16
	s_add_i32 s15, s4, 16
	;; [unrolled: 1-line block ×3, first 2 shown]
	s_movk_i32 s4, 0x260
	s_movk_i32 s5, 0x270
	s_add_i32 s13, s4, 16
	s_add_i32 s12, s5, 16
	s_movk_i32 s4, 0x280
	s_movk_i32 s5, 0x290
	s_add_i32 s9, s4, 16
	s_add_i32 s8, s5, 16
	s_bitcmp0_b32 s55, 0
	s_mov_b32 s5, -1
	s_waitcnt vmcnt(24)
	buffer_store_dword v8, off, s[0:3], 0 offset:300
	buffer_store_dword v7, off, s[0:3], 0 offset:296
	buffer_store_dword v6, off, s[0:3], 0 offset:292
	buffer_store_dword v5, off, s[0:3], 0 offset:288
	s_waitcnt vmcnt(23)
	buffer_store_dword v12, off, s[0:3], 0 offset:316
	buffer_store_dword v11, off, s[0:3], 0 offset:312
	buffer_store_dword v10, off, s[0:3], 0 offset:308
	buffer_store_dword v9, off, s[0:3], 0 offset:304
	;; [unrolled: 5-line block ×25, first 2 shown]
	s_cbranch_scc1 .LBB41_180
; %bb.4:
	v_cmp_eq_u32_e64 s4, 0, v0
	s_and_saveexec_b32 s5, s4
; %bb.5:
	v_mov_b32_e32 v1, 0
	ds_write_b32 v1, v1 offset:1344
; %bb.6:
	s_or_b32 exec_lo, exec_lo, s5
	v_lshl_add_u32 v11, v0, 4, 16
	s_waitcnt lgkmcnt(0)
	s_waitcnt_vscnt null, 0x0
	s_barrier
	buffer_gl0_inv
	s_clause 0x3
	buffer_load_dword v1, v11, s[0:3], 0 offen
	buffer_load_dword v2, v11, s[0:3], 0 offen offset:4
	buffer_load_dword v3, v11, s[0:3], 0 offen offset:8
	;; [unrolled: 1-line block ×3, first 2 shown]
	s_waitcnt vmcnt(2)
	v_cmp_eq_f64_e32 vcc_lo, 0, v[1:2]
	s_waitcnt vmcnt(0)
	v_cmp_eq_f64_e64 s5, 0, v[3:4]
	s_and_b32 s5, vcc_lo, s5
	s_and_saveexec_b32 s55, s5
	s_cbranch_execz .LBB41_10
; %bb.7:
	v_mov_b32_e32 v1, 0
	s_mov_b32 s56, 0
	ds_read_b32 v2, v1 offset:1344
	s_waitcnt lgkmcnt(0)
	v_readfirstlane_b32 s5, v2
	v_add_nc_u32_e32 v2, 1, v0
	s_cmp_eq_u32 s5, 0
	v_cmp_gt_i32_e32 vcc_lo, s5, v2
	s_cselect_b32 s57, -1, 0
	s_or_b32 s57, s57, vcc_lo
	s_and_b32 exec_lo, exec_lo, s57
	s_cbranch_execz .LBB41_10
; %bb.8:
	v_mov_b32_e32 v3, s5
.LBB41_9:                               ; =>This Inner Loop Header: Depth=1
	ds_cmpst_rtn_b32 v3, v1, v3, v2 offset:1344
	s_waitcnt lgkmcnt(0)
	v_cmp_ne_u32_e32 vcc_lo, 0, v3
	v_cmp_le_i32_e64 s5, v3, v2
	s_and_b32 s5, vcc_lo, s5
	s_and_b32 s5, exec_lo, s5
	s_or_b32 s56, s5, s56
	s_andn2_b32 exec_lo, exec_lo, s56
	s_cbranch_execnz .LBB41_9
.LBB41_10:
	s_or_b32 exec_lo, exec_lo, s55
	v_mov_b32_e32 v1, 0
	s_barrier
	buffer_gl0_inv
	ds_read_b32 v2, v1 offset:1344
	s_and_saveexec_b32 s5, s4
	s_cbranch_execz .LBB41_12
; %bb.11:
	s_lshl_b64 s[56:57], s[6:7], 2
	s_add_u32 s56, s10, s56
	s_addc_u32 s57, s11, s57
	s_waitcnt lgkmcnt(0)
	global_store_dword v1, v2, s[56:57]
.LBB41_12:
	s_or_b32 exec_lo, exec_lo, s5
	s_waitcnt lgkmcnt(0)
	v_cmp_ne_u32_e32 vcc_lo, 0, v2
	s_mov_b32 s5, 0
	s_cbranch_vccnz .LBB41_180
; %bb.13:
	s_clause 0x3
	buffer_load_dword v7, v11, s[0:3], 0 offen
	buffer_load_dword v8, v11, s[0:3], 0 offen offset:4
	buffer_load_dword v9, v11, s[0:3], 0 offen offset:8
	;; [unrolled: 1-line block ×3, first 2 shown]
                                        ; implicit-def: $vgpr5_vgpr6
                                        ; implicit-def: $vgpr3_vgpr4
	s_waitcnt vmcnt(0)
	v_cmp_ngt_f64_e64 s5, |v[7:8]|, |v[9:10]|
	s_and_saveexec_b32 s55, s5
	s_xor_b32 s5, exec_lo, s55
	s_cbranch_execz .LBB41_15
; %bb.14:
	v_div_scale_f64 v[1:2], null, v[9:10], v[9:10], v[7:8]
	v_div_scale_f64 v[12:13], vcc_lo, v[7:8], v[9:10], v[7:8]
	v_rcp_f64_e32 v[3:4], v[1:2]
	v_fma_f64 v[5:6], -v[1:2], v[3:4], 1.0
	v_fma_f64 v[3:4], v[3:4], v[5:6], v[3:4]
	v_fma_f64 v[5:6], -v[1:2], v[3:4], 1.0
	v_fma_f64 v[3:4], v[3:4], v[5:6], v[3:4]
	v_mul_f64 v[5:6], v[12:13], v[3:4]
	v_fma_f64 v[1:2], -v[1:2], v[5:6], v[12:13]
	v_div_fmas_f64 v[1:2], v[1:2], v[3:4], v[5:6]
	v_div_fixup_f64 v[1:2], v[1:2], v[9:10], v[7:8]
	v_fma_f64 v[3:4], v[7:8], v[1:2], v[9:10]
	v_div_scale_f64 v[5:6], null, v[3:4], v[3:4], 1.0
	v_div_scale_f64 v[12:13], vcc_lo, 1.0, v[3:4], 1.0
	v_rcp_f64_e32 v[7:8], v[5:6]
	v_fma_f64 v[9:10], -v[5:6], v[7:8], 1.0
	v_fma_f64 v[7:8], v[7:8], v[9:10], v[7:8]
	v_fma_f64 v[9:10], -v[5:6], v[7:8], 1.0
	v_fma_f64 v[7:8], v[7:8], v[9:10], v[7:8]
	v_mul_f64 v[9:10], v[12:13], v[7:8]
	v_fma_f64 v[5:6], -v[5:6], v[9:10], v[12:13]
	v_div_fmas_f64 v[5:6], v[5:6], v[7:8], v[9:10]
                                        ; implicit-def: $vgpr7_vgpr8
                                        ; implicit-def: $vgpr9_vgpr10
	v_div_fixup_f64 v[3:4], v[5:6], v[3:4], 1.0
	v_mul_f64 v[5:6], v[1:2], v[3:4]
	v_xor_b32_e32 v4, 0x80000000, v4
	v_xor_b32_e32 v2, 0x80000000, v6
	v_mov_b32_e32 v1, v5
.LBB41_15:
	s_andn2_saveexec_b32 s5, s5
	s_cbranch_execz .LBB41_17
; %bb.16:
	v_div_scale_f64 v[1:2], null, v[7:8], v[7:8], v[9:10]
	v_div_scale_f64 v[12:13], vcc_lo, v[9:10], v[7:8], v[9:10]
	v_rcp_f64_e32 v[3:4], v[1:2]
	v_fma_f64 v[5:6], -v[1:2], v[3:4], 1.0
	v_fma_f64 v[3:4], v[3:4], v[5:6], v[3:4]
	v_fma_f64 v[5:6], -v[1:2], v[3:4], 1.0
	v_fma_f64 v[3:4], v[3:4], v[5:6], v[3:4]
	v_mul_f64 v[5:6], v[12:13], v[3:4]
	v_fma_f64 v[1:2], -v[1:2], v[5:6], v[12:13]
	v_div_fmas_f64 v[1:2], v[1:2], v[3:4], v[5:6]
	v_div_fixup_f64 v[1:2], v[1:2], v[7:8], v[9:10]
	v_fma_f64 v[3:4], v[9:10], v[1:2], v[7:8]
	v_div_scale_f64 v[5:6], null, v[3:4], v[3:4], 1.0
	v_rcp_f64_e32 v[7:8], v[5:6]
	v_fma_f64 v[9:10], -v[5:6], v[7:8], 1.0
	v_fma_f64 v[7:8], v[7:8], v[9:10], v[7:8]
	v_fma_f64 v[9:10], -v[5:6], v[7:8], 1.0
	v_fma_f64 v[7:8], v[7:8], v[9:10], v[7:8]
	v_div_scale_f64 v[9:10], vcc_lo, 1.0, v[3:4], 1.0
	v_mul_f64 v[12:13], v[9:10], v[7:8]
	v_fma_f64 v[5:6], -v[5:6], v[12:13], v[9:10]
	v_div_fmas_f64 v[5:6], v[5:6], v[7:8], v[12:13]
	v_div_fixup_f64 v[5:6], v[5:6], v[3:4], 1.0
	v_mul_f64 v[3:4], v[1:2], -v[5:6]
	v_xor_b32_e32 v2, 0x80000000, v6
	v_mov_b32_e32 v1, v5
.LBB41_17:
	s_or_b32 exec_lo, exec_lo, s5
	v_mov_b32_e32 v10, s53
	buffer_store_dword v6, v11, s[0:3], 0 offen offset:4
	buffer_store_dword v5, v11, s[0:3], 0 offen
	buffer_store_dword v4, v11, s[0:3], 0 offen offset:12
	buffer_store_dword v3, v11, s[0:3], 0 offen offset:8
	v_xor_b32_e32 v4, 0x80000000, v4
	v_add_nc_u32_e32 v5, 0x2a0, v145
	s_clause 0x3
	buffer_load_dword v9, v10, s[0:3], 0 offen offset:12
	buffer_load_dword v8, v10, s[0:3], 0 offen offset:8
	;; [unrolled: 1-line block ×3, first 2 shown]
	buffer_load_dword v6, v10, s[0:3], 0 offen
	ds_write_b128 v145, v[1:4]
	s_waitcnt vmcnt(0)
	ds_write_b128 v145, v[6:9] offset:672
	s_waitcnt lgkmcnt(0)
	s_waitcnt_vscnt null, 0x0
	s_barrier
	buffer_gl0_inv
	s_and_saveexec_b32 s5, s4
	s_cbranch_execz .LBB41_19
; %bb.18:
	s_clause 0x3
	buffer_load_dword v12, v11, s[0:3], 0 offen offset:8
	buffer_load_dword v13, v11, s[0:3], 0 offen offset:12
	buffer_load_dword v14, v11, s[0:3], 0 offen
	buffer_load_dword v15, v11, s[0:3], 0 offen offset:4
	ds_read_b128 v[1:4], v5
	v_mov_b32_e32 v6, 0
	ds_read_b128 v[6:9], v6 offset:16
	s_waitcnt vmcnt(2) lgkmcnt(1)
	v_mul_f64 v[16:17], v[1:2], v[12:13]
	v_mul_f64 v[12:13], v[3:4], v[12:13]
	s_waitcnt vmcnt(0)
	v_fma_f64 v[3:4], v[3:4], v[14:15], v[16:17]
	v_fma_f64 v[1:2], v[1:2], v[14:15], -v[12:13]
	v_add_f64 v[3:4], v[3:4], 0
	v_add_f64 v[1:2], v[1:2], 0
	s_waitcnt lgkmcnt(0)
	v_mul_f64 v[12:13], v[3:4], v[8:9]
	v_mul_f64 v[8:9], v[1:2], v[8:9]
	v_fma_f64 v[1:2], v[1:2], v[6:7], -v[12:13]
	v_fma_f64 v[3:4], v[3:4], v[6:7], v[8:9]
	buffer_store_dword v1, off, s[0:3], 0 offset:32
	buffer_store_dword v2, off, s[0:3], 0 offset:36
	;; [unrolled: 1-line block ×4, first 2 shown]
.LBB41_19:
	s_or_b32 exec_lo, exec_lo, s5
	v_mov_b32_e32 v4, s52
	s_waitcnt_vscnt null, 0x0
	s_barrier
	buffer_gl0_inv
	s_mov_b32 s5, exec_lo
	s_clause 0x3
	buffer_load_dword v1, v4, s[0:3], 0 offen
	buffer_load_dword v2, v4, s[0:3], 0 offen offset:4
	buffer_load_dword v3, v4, s[0:3], 0 offen offset:8
	;; [unrolled: 1-line block ×3, first 2 shown]
	s_waitcnt vmcnt(0)
	ds_write_b128 v5, v[1:4]
	s_waitcnt lgkmcnt(0)
	s_barrier
	buffer_gl0_inv
	v_cmpx_gt_u32_e32 2, v0
	s_cbranch_execz .LBB41_23
; %bb.20:
	s_clause 0x3
	buffer_load_dword v6, v11, s[0:3], 0 offen offset:8
	buffer_load_dword v7, v11, s[0:3], 0 offen offset:12
	buffer_load_dword v8, v11, s[0:3], 0 offen
	buffer_load_dword v9, v11, s[0:3], 0 offen offset:4
	ds_read_b128 v[1:4], v5
	s_waitcnt vmcnt(2) lgkmcnt(0)
	v_mul_f64 v[10:11], v[3:4], v[6:7]
	v_mul_f64 v[6:7], v[1:2], v[6:7]
	s_waitcnt vmcnt(0)
	v_fma_f64 v[1:2], v[1:2], v[8:9], -v[10:11]
	v_fma_f64 v[3:4], v[3:4], v[8:9], v[6:7]
	v_add_f64 v[1:2], v[1:2], 0
	v_add_f64 v[3:4], v[3:4], 0
	s_and_saveexec_b32 s55, s4
	s_cbranch_execz .LBB41_22
; %bb.21:
	s_clause 0x3
	buffer_load_dword v10, off, s[0:3], 0 offset:40
	buffer_load_dword v11, off, s[0:3], 0 offset:44
	;; [unrolled: 1-line block ×4, first 2 shown]
	v_mov_b32_e32 v6, 0
	ds_read_b128 v[6:9], v6 offset:688
	s_waitcnt vmcnt(2) lgkmcnt(0)
	v_mul_f64 v[14:15], v[6:7], v[10:11]
	v_mul_f64 v[10:11], v[8:9], v[10:11]
	s_waitcnt vmcnt(0)
	v_fma_f64 v[8:9], v[8:9], v[12:13], v[14:15]
	v_fma_f64 v[6:7], v[6:7], v[12:13], -v[10:11]
	v_add_f64 v[3:4], v[3:4], v[8:9]
	v_add_f64 v[1:2], v[1:2], v[6:7]
.LBB41_22:
	s_or_b32 exec_lo, exec_lo, s55
	v_mov_b32_e32 v6, 0
	ds_read_b128 v[6:9], v6 offset:32
	s_waitcnt lgkmcnt(0)
	v_mul_f64 v[10:11], v[3:4], v[8:9]
	v_mul_f64 v[8:9], v[1:2], v[8:9]
	v_fma_f64 v[1:2], v[1:2], v[6:7], -v[10:11]
	v_fma_f64 v[3:4], v[3:4], v[6:7], v[8:9]
	buffer_store_dword v2, off, s[0:3], 0 offset:52
	buffer_store_dword v1, off, s[0:3], 0 offset:48
	;; [unrolled: 1-line block ×4, first 2 shown]
.LBB41_23:
	s_or_b32 exec_lo, exec_lo, s5
	v_mov_b32_e32 v4, s51
	s_waitcnt_vscnt null, 0x0
	s_barrier
	buffer_gl0_inv
	v_add_nc_u32_e32 v6, -1, v0
	s_clause 0x3
	buffer_load_dword v1, v4, s[0:3], 0 offen
	buffer_load_dword v2, v4, s[0:3], 0 offen offset:4
	buffer_load_dword v3, v4, s[0:3], 0 offen offset:8
	;; [unrolled: 1-line block ×3, first 2 shown]
	s_mov_b32 s4, exec_lo
	s_waitcnt vmcnt(0)
	ds_write_b128 v5, v[1:4]
	s_waitcnt lgkmcnt(0)
	s_barrier
	buffer_gl0_inv
	v_cmpx_gt_u32_e32 3, v0
	s_cbranch_execz .LBB41_27
; %bb.24:
	v_mov_b32_e32 v1, 0
	v_mov_b32_e32 v3, 0
	v_add_nc_u32_e32 v7, -1, v0
	v_add_nc_u32_e32 v8, 0x2a0, v145
	v_mov_b32_e32 v2, 0
	v_mov_b32_e32 v4, 0
	v_add_nc_u32_e32 v9, 16, v145
	s_mov_b32 s5, 0
	.p2align	6
.LBB41_25:                              ; =>This Inner Loop Header: Depth=1
	s_clause 0x3
	buffer_load_dword v14, v9, s[0:3], 0 offen offset:8
	buffer_load_dword v15, v9, s[0:3], 0 offen offset:12
	buffer_load_dword v16, v9, s[0:3], 0 offen
	buffer_load_dword v17, v9, s[0:3], 0 offen offset:4
	ds_read_b128 v[10:13], v8
	v_add_nc_u32_e32 v7, 1, v7
	v_add_nc_u32_e32 v8, 16, v8
	;; [unrolled: 1-line block ×3, first 2 shown]
	v_cmp_lt_u32_e32 vcc_lo, 1, v7
	s_or_b32 s5, vcc_lo, s5
	s_waitcnt vmcnt(2) lgkmcnt(0)
	v_mul_f64 v[18:19], v[12:13], v[14:15]
	v_mul_f64 v[14:15], v[10:11], v[14:15]
	s_waitcnt vmcnt(0)
	v_fma_f64 v[10:11], v[10:11], v[16:17], -v[18:19]
	v_fma_f64 v[12:13], v[12:13], v[16:17], v[14:15]
	v_add_f64 v[3:4], v[3:4], v[10:11]
	v_add_f64 v[1:2], v[1:2], v[12:13]
	s_andn2_b32 exec_lo, exec_lo, s5
	s_cbranch_execnz .LBB41_25
; %bb.26:
	s_or_b32 exec_lo, exec_lo, s5
	v_mov_b32_e32 v7, 0
	ds_read_b128 v[7:10], v7 offset:48
	s_waitcnt lgkmcnt(0)
	v_mul_f64 v[11:12], v[1:2], v[9:10]
	v_mul_f64 v[9:10], v[3:4], v[9:10]
	v_fma_f64 v[3:4], v[3:4], v[7:8], -v[11:12]
	v_fma_f64 v[1:2], v[1:2], v[7:8], v[9:10]
	buffer_store_dword v4, off, s[0:3], 0 offset:68
	buffer_store_dword v3, off, s[0:3], 0 offset:64
	;; [unrolled: 1-line block ×4, first 2 shown]
.LBB41_27:
	s_or_b32 exec_lo, exec_lo, s4
	v_mov_b32_e32 v4, s50
	s_waitcnt_vscnt null, 0x0
	s_barrier
	buffer_gl0_inv
	s_mov_b32 s4, exec_lo
	s_clause 0x3
	buffer_load_dword v1, v4, s[0:3], 0 offen
	buffer_load_dword v2, v4, s[0:3], 0 offen offset:4
	buffer_load_dword v3, v4, s[0:3], 0 offen offset:8
	;; [unrolled: 1-line block ×3, first 2 shown]
	s_waitcnt vmcnt(0)
	ds_write_b128 v5, v[1:4]
	s_waitcnt lgkmcnt(0)
	s_barrier
	buffer_gl0_inv
	v_cmpx_gt_u32_e32 4, v0
	s_cbranch_execz .LBB41_31
; %bb.28:
	v_mov_b32_e32 v1, 0
	v_mov_b32_e32 v3, 0
	v_add_nc_u32_e32 v7, -1, v0
	v_add_nc_u32_e32 v8, 0x2a0, v145
	v_mov_b32_e32 v2, 0
	v_mov_b32_e32 v4, 0
	v_add_nc_u32_e32 v9, 16, v145
	s_mov_b32 s5, 0
	.p2align	6
.LBB41_29:                              ; =>This Inner Loop Header: Depth=1
	s_clause 0x3
	buffer_load_dword v14, v9, s[0:3], 0 offen offset:8
	buffer_load_dword v15, v9, s[0:3], 0 offen offset:12
	buffer_load_dword v16, v9, s[0:3], 0 offen
	buffer_load_dword v17, v9, s[0:3], 0 offen offset:4
	ds_read_b128 v[10:13], v8
	v_add_nc_u32_e32 v7, 1, v7
	v_add_nc_u32_e32 v8, 16, v8
	;; [unrolled: 1-line block ×3, first 2 shown]
	v_cmp_lt_u32_e32 vcc_lo, 2, v7
	s_or_b32 s5, vcc_lo, s5
	s_waitcnt vmcnt(2) lgkmcnt(0)
	v_mul_f64 v[18:19], v[12:13], v[14:15]
	v_mul_f64 v[14:15], v[10:11], v[14:15]
	s_waitcnt vmcnt(0)
	v_fma_f64 v[10:11], v[10:11], v[16:17], -v[18:19]
	v_fma_f64 v[12:13], v[12:13], v[16:17], v[14:15]
	v_add_f64 v[3:4], v[3:4], v[10:11]
	v_add_f64 v[1:2], v[1:2], v[12:13]
	s_andn2_b32 exec_lo, exec_lo, s5
	s_cbranch_execnz .LBB41_29
; %bb.30:
	s_or_b32 exec_lo, exec_lo, s5
	v_mov_b32_e32 v7, 0
	ds_read_b128 v[7:10], v7 offset:64
	s_waitcnt lgkmcnt(0)
	v_mul_f64 v[11:12], v[1:2], v[9:10]
	v_mul_f64 v[9:10], v[3:4], v[9:10]
	v_fma_f64 v[3:4], v[3:4], v[7:8], -v[11:12]
	v_fma_f64 v[1:2], v[1:2], v[7:8], v[9:10]
	buffer_store_dword v4, off, s[0:3], 0 offset:84
	buffer_store_dword v3, off, s[0:3], 0 offset:80
	;; [unrolled: 1-line block ×4, first 2 shown]
.LBB41_31:
	s_or_b32 exec_lo, exec_lo, s4
	v_mov_b32_e32 v4, s49
	s_waitcnt_vscnt null, 0x0
	s_barrier
	buffer_gl0_inv
	s_mov_b32 s4, exec_lo
	s_clause 0x3
	buffer_load_dword v1, v4, s[0:3], 0 offen
	buffer_load_dword v2, v4, s[0:3], 0 offen offset:4
	buffer_load_dword v3, v4, s[0:3], 0 offen offset:8
	;; [unrolled: 1-line block ×3, first 2 shown]
	s_waitcnt vmcnt(0)
	ds_write_b128 v5, v[1:4]
	s_waitcnt lgkmcnt(0)
	s_barrier
	buffer_gl0_inv
	v_cmpx_gt_u32_e32 5, v0
	s_cbranch_execz .LBB41_35
; %bb.32:
	v_mov_b32_e32 v1, 0
	v_mov_b32_e32 v3, 0
	v_add_nc_u32_e32 v7, -1, v0
	v_add_nc_u32_e32 v8, 0x2a0, v145
	v_mov_b32_e32 v2, 0
	v_mov_b32_e32 v4, 0
	v_add_nc_u32_e32 v9, 16, v145
	s_mov_b32 s5, 0
	.p2align	6
.LBB41_33:                              ; =>This Inner Loop Header: Depth=1
	s_clause 0x3
	buffer_load_dword v14, v9, s[0:3], 0 offen offset:8
	buffer_load_dword v15, v9, s[0:3], 0 offen offset:12
	buffer_load_dword v16, v9, s[0:3], 0 offen
	buffer_load_dword v17, v9, s[0:3], 0 offen offset:4
	ds_read_b128 v[10:13], v8
	v_add_nc_u32_e32 v7, 1, v7
	v_add_nc_u32_e32 v8, 16, v8
	;; [unrolled: 1-line block ×3, first 2 shown]
	v_cmp_lt_u32_e32 vcc_lo, 3, v7
	s_or_b32 s5, vcc_lo, s5
	s_waitcnt vmcnt(2) lgkmcnt(0)
	v_mul_f64 v[18:19], v[12:13], v[14:15]
	v_mul_f64 v[14:15], v[10:11], v[14:15]
	s_waitcnt vmcnt(0)
	v_fma_f64 v[10:11], v[10:11], v[16:17], -v[18:19]
	v_fma_f64 v[12:13], v[12:13], v[16:17], v[14:15]
	v_add_f64 v[3:4], v[3:4], v[10:11]
	v_add_f64 v[1:2], v[1:2], v[12:13]
	s_andn2_b32 exec_lo, exec_lo, s5
	s_cbranch_execnz .LBB41_33
; %bb.34:
	s_or_b32 exec_lo, exec_lo, s5
	v_mov_b32_e32 v7, 0
	ds_read_b128 v[7:10], v7 offset:80
	s_waitcnt lgkmcnt(0)
	v_mul_f64 v[11:12], v[1:2], v[9:10]
	v_mul_f64 v[9:10], v[3:4], v[9:10]
	v_fma_f64 v[3:4], v[3:4], v[7:8], -v[11:12]
	v_fma_f64 v[1:2], v[1:2], v[7:8], v[9:10]
	buffer_store_dword v4, off, s[0:3], 0 offset:100
	buffer_store_dword v3, off, s[0:3], 0 offset:96
	;; [unrolled: 1-line block ×4, first 2 shown]
.LBB41_35:
	s_or_b32 exec_lo, exec_lo, s4
	v_mov_b32_e32 v4, s48
	s_waitcnt_vscnt null, 0x0
	s_barrier
	buffer_gl0_inv
	s_mov_b32 s4, exec_lo
	s_clause 0x3
	buffer_load_dword v1, v4, s[0:3], 0 offen
	buffer_load_dword v2, v4, s[0:3], 0 offen offset:4
	buffer_load_dword v3, v4, s[0:3], 0 offen offset:8
	;; [unrolled: 1-line block ×3, first 2 shown]
	s_waitcnt vmcnt(0)
	ds_write_b128 v5, v[1:4]
	s_waitcnt lgkmcnt(0)
	s_barrier
	buffer_gl0_inv
	v_cmpx_gt_u32_e32 6, v0
	s_cbranch_execz .LBB41_39
; %bb.36:
	v_mov_b32_e32 v1, 0
	v_mov_b32_e32 v3, 0
	v_add_nc_u32_e32 v7, -1, v0
	v_add_nc_u32_e32 v8, 0x2a0, v145
	v_mov_b32_e32 v2, 0
	v_mov_b32_e32 v4, 0
	v_add_nc_u32_e32 v9, 16, v145
	s_mov_b32 s5, 0
	.p2align	6
.LBB41_37:                              ; =>This Inner Loop Header: Depth=1
	s_clause 0x3
	buffer_load_dword v14, v9, s[0:3], 0 offen offset:8
	buffer_load_dword v15, v9, s[0:3], 0 offen offset:12
	buffer_load_dword v16, v9, s[0:3], 0 offen
	buffer_load_dword v17, v9, s[0:3], 0 offen offset:4
	ds_read_b128 v[10:13], v8
	v_add_nc_u32_e32 v7, 1, v7
	v_add_nc_u32_e32 v8, 16, v8
	;; [unrolled: 1-line block ×3, first 2 shown]
	v_cmp_lt_u32_e32 vcc_lo, 4, v7
	s_or_b32 s5, vcc_lo, s5
	s_waitcnt vmcnt(2) lgkmcnt(0)
	v_mul_f64 v[18:19], v[12:13], v[14:15]
	v_mul_f64 v[14:15], v[10:11], v[14:15]
	s_waitcnt vmcnt(0)
	v_fma_f64 v[10:11], v[10:11], v[16:17], -v[18:19]
	v_fma_f64 v[12:13], v[12:13], v[16:17], v[14:15]
	v_add_f64 v[3:4], v[3:4], v[10:11]
	v_add_f64 v[1:2], v[1:2], v[12:13]
	s_andn2_b32 exec_lo, exec_lo, s5
	s_cbranch_execnz .LBB41_37
; %bb.38:
	s_or_b32 exec_lo, exec_lo, s5
	v_mov_b32_e32 v7, 0
	ds_read_b128 v[7:10], v7 offset:96
	s_waitcnt lgkmcnt(0)
	v_mul_f64 v[11:12], v[1:2], v[9:10]
	v_mul_f64 v[9:10], v[3:4], v[9:10]
	v_fma_f64 v[3:4], v[3:4], v[7:8], -v[11:12]
	v_fma_f64 v[1:2], v[1:2], v[7:8], v[9:10]
	buffer_store_dword v4, off, s[0:3], 0 offset:116
	buffer_store_dword v3, off, s[0:3], 0 offset:112
	;; [unrolled: 1-line block ×4, first 2 shown]
.LBB41_39:
	s_or_b32 exec_lo, exec_lo, s4
	v_mov_b32_e32 v4, s47
	s_waitcnt_vscnt null, 0x0
	s_barrier
	buffer_gl0_inv
	s_mov_b32 s4, exec_lo
	s_clause 0x3
	buffer_load_dword v1, v4, s[0:3], 0 offen
	buffer_load_dword v2, v4, s[0:3], 0 offen offset:4
	buffer_load_dword v3, v4, s[0:3], 0 offen offset:8
	;; [unrolled: 1-line block ×3, first 2 shown]
	s_waitcnt vmcnt(0)
	ds_write_b128 v5, v[1:4]
	s_waitcnt lgkmcnt(0)
	s_barrier
	buffer_gl0_inv
	v_cmpx_gt_u32_e32 7, v0
	s_cbranch_execz .LBB41_43
; %bb.40:
	v_mov_b32_e32 v1, 0
	v_mov_b32_e32 v3, 0
	v_add_nc_u32_e32 v7, -1, v0
	v_add_nc_u32_e32 v8, 0x2a0, v145
	v_mov_b32_e32 v2, 0
	v_mov_b32_e32 v4, 0
	v_add_nc_u32_e32 v9, 16, v145
	s_mov_b32 s5, 0
	.p2align	6
.LBB41_41:                              ; =>This Inner Loop Header: Depth=1
	s_clause 0x3
	buffer_load_dword v14, v9, s[0:3], 0 offen offset:8
	buffer_load_dword v15, v9, s[0:3], 0 offen offset:12
	buffer_load_dword v16, v9, s[0:3], 0 offen
	buffer_load_dword v17, v9, s[0:3], 0 offen offset:4
	ds_read_b128 v[10:13], v8
	v_add_nc_u32_e32 v7, 1, v7
	v_add_nc_u32_e32 v8, 16, v8
	;; [unrolled: 1-line block ×3, first 2 shown]
	v_cmp_lt_u32_e32 vcc_lo, 5, v7
	s_or_b32 s5, vcc_lo, s5
	s_waitcnt vmcnt(2) lgkmcnt(0)
	v_mul_f64 v[18:19], v[12:13], v[14:15]
	v_mul_f64 v[14:15], v[10:11], v[14:15]
	s_waitcnt vmcnt(0)
	v_fma_f64 v[10:11], v[10:11], v[16:17], -v[18:19]
	v_fma_f64 v[12:13], v[12:13], v[16:17], v[14:15]
	v_add_f64 v[3:4], v[3:4], v[10:11]
	v_add_f64 v[1:2], v[1:2], v[12:13]
	s_andn2_b32 exec_lo, exec_lo, s5
	s_cbranch_execnz .LBB41_41
; %bb.42:
	s_or_b32 exec_lo, exec_lo, s5
	v_mov_b32_e32 v7, 0
	ds_read_b128 v[7:10], v7 offset:112
	s_waitcnt lgkmcnt(0)
	v_mul_f64 v[11:12], v[1:2], v[9:10]
	v_mul_f64 v[9:10], v[3:4], v[9:10]
	v_fma_f64 v[3:4], v[3:4], v[7:8], -v[11:12]
	v_fma_f64 v[1:2], v[1:2], v[7:8], v[9:10]
	buffer_store_dword v4, off, s[0:3], 0 offset:132
	buffer_store_dword v3, off, s[0:3], 0 offset:128
	;; [unrolled: 1-line block ×4, first 2 shown]
.LBB41_43:
	s_or_b32 exec_lo, exec_lo, s4
	v_mov_b32_e32 v4, s46
	s_waitcnt_vscnt null, 0x0
	s_barrier
	buffer_gl0_inv
	s_mov_b32 s4, exec_lo
	s_clause 0x3
	buffer_load_dword v1, v4, s[0:3], 0 offen
	buffer_load_dword v2, v4, s[0:3], 0 offen offset:4
	buffer_load_dword v3, v4, s[0:3], 0 offen offset:8
	;; [unrolled: 1-line block ×3, first 2 shown]
	s_waitcnt vmcnt(0)
	ds_write_b128 v5, v[1:4]
	s_waitcnt lgkmcnt(0)
	s_barrier
	buffer_gl0_inv
	v_cmpx_gt_u32_e32 8, v0
	s_cbranch_execz .LBB41_47
; %bb.44:
	v_mov_b32_e32 v1, 0
	v_mov_b32_e32 v3, 0
	v_add_nc_u32_e32 v7, -1, v0
	v_add_nc_u32_e32 v8, 0x2a0, v145
	v_mov_b32_e32 v2, 0
	v_mov_b32_e32 v4, 0
	v_add_nc_u32_e32 v9, 16, v145
	s_mov_b32 s5, 0
	.p2align	6
.LBB41_45:                              ; =>This Inner Loop Header: Depth=1
	s_clause 0x3
	buffer_load_dword v14, v9, s[0:3], 0 offen offset:8
	buffer_load_dword v15, v9, s[0:3], 0 offen offset:12
	buffer_load_dword v16, v9, s[0:3], 0 offen
	buffer_load_dword v17, v9, s[0:3], 0 offen offset:4
	ds_read_b128 v[10:13], v8
	v_add_nc_u32_e32 v7, 1, v7
	v_add_nc_u32_e32 v8, 16, v8
	v_add_nc_u32_e32 v9, 16, v9
	v_cmp_lt_u32_e32 vcc_lo, 6, v7
	s_or_b32 s5, vcc_lo, s5
	s_waitcnt vmcnt(2) lgkmcnt(0)
	v_mul_f64 v[18:19], v[12:13], v[14:15]
	v_mul_f64 v[14:15], v[10:11], v[14:15]
	s_waitcnt vmcnt(0)
	v_fma_f64 v[10:11], v[10:11], v[16:17], -v[18:19]
	v_fma_f64 v[12:13], v[12:13], v[16:17], v[14:15]
	v_add_f64 v[3:4], v[3:4], v[10:11]
	v_add_f64 v[1:2], v[1:2], v[12:13]
	s_andn2_b32 exec_lo, exec_lo, s5
	s_cbranch_execnz .LBB41_45
; %bb.46:
	s_or_b32 exec_lo, exec_lo, s5
	v_mov_b32_e32 v7, 0
	ds_read_b128 v[7:10], v7 offset:128
	s_waitcnt lgkmcnt(0)
	v_mul_f64 v[11:12], v[1:2], v[9:10]
	v_mul_f64 v[9:10], v[3:4], v[9:10]
	v_fma_f64 v[3:4], v[3:4], v[7:8], -v[11:12]
	v_fma_f64 v[1:2], v[1:2], v[7:8], v[9:10]
	buffer_store_dword v4, off, s[0:3], 0 offset:148
	buffer_store_dword v3, off, s[0:3], 0 offset:144
	buffer_store_dword v2, off, s[0:3], 0 offset:156
	buffer_store_dword v1, off, s[0:3], 0 offset:152
.LBB41_47:
	s_or_b32 exec_lo, exec_lo, s4
	v_mov_b32_e32 v4, s45
	s_waitcnt_vscnt null, 0x0
	s_barrier
	buffer_gl0_inv
	s_mov_b32 s4, exec_lo
	s_clause 0x3
	buffer_load_dword v1, v4, s[0:3], 0 offen
	buffer_load_dword v2, v4, s[0:3], 0 offen offset:4
	buffer_load_dword v3, v4, s[0:3], 0 offen offset:8
	;; [unrolled: 1-line block ×3, first 2 shown]
	s_waitcnt vmcnt(0)
	ds_write_b128 v5, v[1:4]
	s_waitcnt lgkmcnt(0)
	s_barrier
	buffer_gl0_inv
	v_cmpx_gt_u32_e32 9, v0
	s_cbranch_execz .LBB41_51
; %bb.48:
	v_mov_b32_e32 v1, 0
	v_mov_b32_e32 v3, 0
	v_add_nc_u32_e32 v7, -1, v0
	v_add_nc_u32_e32 v8, 0x2a0, v145
	v_mov_b32_e32 v2, 0
	v_mov_b32_e32 v4, 0
	v_add_nc_u32_e32 v9, 16, v145
	s_mov_b32 s5, 0
	.p2align	6
.LBB41_49:                              ; =>This Inner Loop Header: Depth=1
	s_clause 0x3
	buffer_load_dword v14, v9, s[0:3], 0 offen offset:8
	buffer_load_dword v15, v9, s[0:3], 0 offen offset:12
	buffer_load_dword v16, v9, s[0:3], 0 offen
	buffer_load_dword v17, v9, s[0:3], 0 offen offset:4
	ds_read_b128 v[10:13], v8
	v_add_nc_u32_e32 v7, 1, v7
	v_add_nc_u32_e32 v8, 16, v8
	v_add_nc_u32_e32 v9, 16, v9
	v_cmp_lt_u32_e32 vcc_lo, 7, v7
	s_or_b32 s5, vcc_lo, s5
	s_waitcnt vmcnt(2) lgkmcnt(0)
	v_mul_f64 v[18:19], v[12:13], v[14:15]
	v_mul_f64 v[14:15], v[10:11], v[14:15]
	s_waitcnt vmcnt(0)
	v_fma_f64 v[10:11], v[10:11], v[16:17], -v[18:19]
	v_fma_f64 v[12:13], v[12:13], v[16:17], v[14:15]
	v_add_f64 v[3:4], v[3:4], v[10:11]
	v_add_f64 v[1:2], v[1:2], v[12:13]
	s_andn2_b32 exec_lo, exec_lo, s5
	s_cbranch_execnz .LBB41_49
; %bb.50:
	s_or_b32 exec_lo, exec_lo, s5
	v_mov_b32_e32 v7, 0
	ds_read_b128 v[7:10], v7 offset:144
	s_waitcnt lgkmcnt(0)
	v_mul_f64 v[11:12], v[1:2], v[9:10]
	v_mul_f64 v[9:10], v[3:4], v[9:10]
	v_fma_f64 v[3:4], v[3:4], v[7:8], -v[11:12]
	v_fma_f64 v[1:2], v[1:2], v[7:8], v[9:10]
	buffer_store_dword v4, off, s[0:3], 0 offset:164
	buffer_store_dword v3, off, s[0:3], 0 offset:160
	;; [unrolled: 1-line block ×4, first 2 shown]
.LBB41_51:
	s_or_b32 exec_lo, exec_lo, s4
	v_mov_b32_e32 v4, s44
	s_waitcnt_vscnt null, 0x0
	s_barrier
	buffer_gl0_inv
	s_mov_b32 s4, exec_lo
	s_clause 0x3
	buffer_load_dword v1, v4, s[0:3], 0 offen
	buffer_load_dword v2, v4, s[0:3], 0 offen offset:4
	buffer_load_dword v3, v4, s[0:3], 0 offen offset:8
	;; [unrolled: 1-line block ×3, first 2 shown]
	s_waitcnt vmcnt(0)
	ds_write_b128 v5, v[1:4]
	s_waitcnt lgkmcnt(0)
	s_barrier
	buffer_gl0_inv
	v_cmpx_gt_u32_e32 10, v0
	s_cbranch_execz .LBB41_55
; %bb.52:
	v_mov_b32_e32 v1, 0
	v_mov_b32_e32 v3, 0
	v_add_nc_u32_e32 v7, -1, v0
	v_add_nc_u32_e32 v8, 0x2a0, v145
	v_mov_b32_e32 v2, 0
	v_mov_b32_e32 v4, 0
	v_add_nc_u32_e32 v9, 16, v145
	s_mov_b32 s5, 0
	.p2align	6
.LBB41_53:                              ; =>This Inner Loop Header: Depth=1
	s_clause 0x3
	buffer_load_dword v14, v9, s[0:3], 0 offen offset:8
	buffer_load_dword v15, v9, s[0:3], 0 offen offset:12
	buffer_load_dword v16, v9, s[0:3], 0 offen
	buffer_load_dword v17, v9, s[0:3], 0 offen offset:4
	ds_read_b128 v[10:13], v8
	v_add_nc_u32_e32 v7, 1, v7
	v_add_nc_u32_e32 v8, 16, v8
	;; [unrolled: 1-line block ×3, first 2 shown]
	v_cmp_lt_u32_e32 vcc_lo, 8, v7
	s_or_b32 s5, vcc_lo, s5
	s_waitcnt vmcnt(2) lgkmcnt(0)
	v_mul_f64 v[18:19], v[12:13], v[14:15]
	v_mul_f64 v[14:15], v[10:11], v[14:15]
	s_waitcnt vmcnt(0)
	v_fma_f64 v[10:11], v[10:11], v[16:17], -v[18:19]
	v_fma_f64 v[12:13], v[12:13], v[16:17], v[14:15]
	v_add_f64 v[3:4], v[3:4], v[10:11]
	v_add_f64 v[1:2], v[1:2], v[12:13]
	s_andn2_b32 exec_lo, exec_lo, s5
	s_cbranch_execnz .LBB41_53
; %bb.54:
	s_or_b32 exec_lo, exec_lo, s5
	v_mov_b32_e32 v7, 0
	ds_read_b128 v[7:10], v7 offset:160
	s_waitcnt lgkmcnt(0)
	v_mul_f64 v[11:12], v[1:2], v[9:10]
	v_mul_f64 v[9:10], v[3:4], v[9:10]
	v_fma_f64 v[3:4], v[3:4], v[7:8], -v[11:12]
	v_fma_f64 v[1:2], v[1:2], v[7:8], v[9:10]
	buffer_store_dword v4, off, s[0:3], 0 offset:180
	buffer_store_dword v3, off, s[0:3], 0 offset:176
	;; [unrolled: 1-line block ×4, first 2 shown]
.LBB41_55:
	s_or_b32 exec_lo, exec_lo, s4
	v_mov_b32_e32 v4, s42
	s_waitcnt_vscnt null, 0x0
	s_barrier
	buffer_gl0_inv
	s_mov_b32 s4, exec_lo
	s_clause 0x3
	buffer_load_dword v1, v4, s[0:3], 0 offen
	buffer_load_dword v2, v4, s[0:3], 0 offen offset:4
	buffer_load_dword v3, v4, s[0:3], 0 offen offset:8
	;; [unrolled: 1-line block ×3, first 2 shown]
	s_waitcnt vmcnt(0)
	ds_write_b128 v5, v[1:4]
	s_waitcnt lgkmcnt(0)
	s_barrier
	buffer_gl0_inv
	v_cmpx_gt_u32_e32 11, v0
	s_cbranch_execz .LBB41_59
; %bb.56:
	v_mov_b32_e32 v1, 0
	v_mov_b32_e32 v3, 0
	v_add_nc_u32_e32 v7, -1, v0
	v_add_nc_u32_e32 v8, 0x2a0, v145
	v_mov_b32_e32 v2, 0
	v_mov_b32_e32 v4, 0
	v_add_nc_u32_e32 v9, 16, v145
	s_mov_b32 s5, 0
	.p2align	6
.LBB41_57:                              ; =>This Inner Loop Header: Depth=1
	s_clause 0x3
	buffer_load_dword v14, v9, s[0:3], 0 offen offset:8
	buffer_load_dword v15, v9, s[0:3], 0 offen offset:12
	buffer_load_dword v16, v9, s[0:3], 0 offen
	buffer_load_dword v17, v9, s[0:3], 0 offen offset:4
	ds_read_b128 v[10:13], v8
	v_add_nc_u32_e32 v7, 1, v7
	v_add_nc_u32_e32 v8, 16, v8
	;; [unrolled: 1-line block ×3, first 2 shown]
	v_cmp_lt_u32_e32 vcc_lo, 9, v7
	s_or_b32 s5, vcc_lo, s5
	s_waitcnt vmcnt(2) lgkmcnt(0)
	v_mul_f64 v[18:19], v[12:13], v[14:15]
	v_mul_f64 v[14:15], v[10:11], v[14:15]
	s_waitcnt vmcnt(0)
	v_fma_f64 v[10:11], v[10:11], v[16:17], -v[18:19]
	v_fma_f64 v[12:13], v[12:13], v[16:17], v[14:15]
	v_add_f64 v[3:4], v[3:4], v[10:11]
	v_add_f64 v[1:2], v[1:2], v[12:13]
	s_andn2_b32 exec_lo, exec_lo, s5
	s_cbranch_execnz .LBB41_57
; %bb.58:
	s_or_b32 exec_lo, exec_lo, s5
	v_mov_b32_e32 v7, 0
	ds_read_b128 v[7:10], v7 offset:176
	s_waitcnt lgkmcnt(0)
	v_mul_f64 v[11:12], v[1:2], v[9:10]
	v_mul_f64 v[9:10], v[3:4], v[9:10]
	v_fma_f64 v[3:4], v[3:4], v[7:8], -v[11:12]
	v_fma_f64 v[1:2], v[1:2], v[7:8], v[9:10]
	buffer_store_dword v4, off, s[0:3], 0 offset:196
	buffer_store_dword v3, off, s[0:3], 0 offset:192
	buffer_store_dword v2, off, s[0:3], 0 offset:204
	buffer_store_dword v1, off, s[0:3], 0 offset:200
.LBB41_59:
	s_or_b32 exec_lo, exec_lo, s4
	v_mov_b32_e32 v4, s40
	s_waitcnt_vscnt null, 0x0
	s_barrier
	buffer_gl0_inv
	s_mov_b32 s4, exec_lo
	s_clause 0x3
	buffer_load_dword v1, v4, s[0:3], 0 offen
	buffer_load_dword v2, v4, s[0:3], 0 offen offset:4
	buffer_load_dword v3, v4, s[0:3], 0 offen offset:8
	;; [unrolled: 1-line block ×3, first 2 shown]
	s_waitcnt vmcnt(0)
	ds_write_b128 v5, v[1:4]
	s_waitcnt lgkmcnt(0)
	s_barrier
	buffer_gl0_inv
	v_cmpx_gt_u32_e32 12, v0
	s_cbranch_execz .LBB41_63
; %bb.60:
	v_mov_b32_e32 v1, 0
	v_mov_b32_e32 v3, 0
	v_add_nc_u32_e32 v7, -1, v0
	v_add_nc_u32_e32 v8, 0x2a0, v145
	v_mov_b32_e32 v2, 0
	v_mov_b32_e32 v4, 0
	v_add_nc_u32_e32 v9, 16, v145
	s_mov_b32 s5, 0
	.p2align	6
.LBB41_61:                              ; =>This Inner Loop Header: Depth=1
	s_clause 0x3
	buffer_load_dword v14, v9, s[0:3], 0 offen offset:8
	buffer_load_dword v15, v9, s[0:3], 0 offen offset:12
	buffer_load_dword v16, v9, s[0:3], 0 offen
	buffer_load_dword v17, v9, s[0:3], 0 offen offset:4
	ds_read_b128 v[10:13], v8
	v_add_nc_u32_e32 v7, 1, v7
	v_add_nc_u32_e32 v8, 16, v8
	;; [unrolled: 1-line block ×3, first 2 shown]
	v_cmp_lt_u32_e32 vcc_lo, 10, v7
	s_or_b32 s5, vcc_lo, s5
	s_waitcnt vmcnt(2) lgkmcnt(0)
	v_mul_f64 v[18:19], v[12:13], v[14:15]
	v_mul_f64 v[14:15], v[10:11], v[14:15]
	s_waitcnt vmcnt(0)
	v_fma_f64 v[10:11], v[10:11], v[16:17], -v[18:19]
	v_fma_f64 v[12:13], v[12:13], v[16:17], v[14:15]
	v_add_f64 v[3:4], v[3:4], v[10:11]
	v_add_f64 v[1:2], v[1:2], v[12:13]
	s_andn2_b32 exec_lo, exec_lo, s5
	s_cbranch_execnz .LBB41_61
; %bb.62:
	s_or_b32 exec_lo, exec_lo, s5
	v_mov_b32_e32 v7, 0
	ds_read_b128 v[7:10], v7 offset:192
	s_waitcnt lgkmcnt(0)
	v_mul_f64 v[11:12], v[1:2], v[9:10]
	v_mul_f64 v[9:10], v[3:4], v[9:10]
	v_fma_f64 v[3:4], v[3:4], v[7:8], -v[11:12]
	v_fma_f64 v[1:2], v[1:2], v[7:8], v[9:10]
	buffer_store_dword v4, off, s[0:3], 0 offset:212
	buffer_store_dword v3, off, s[0:3], 0 offset:208
	buffer_store_dword v2, off, s[0:3], 0 offset:220
	buffer_store_dword v1, off, s[0:3], 0 offset:216
.LBB41_63:
	s_or_b32 exec_lo, exec_lo, s4
	v_mov_b32_e32 v4, s38
	s_waitcnt_vscnt null, 0x0
	s_barrier
	buffer_gl0_inv
	s_mov_b32 s4, exec_lo
	s_clause 0x3
	buffer_load_dword v1, v4, s[0:3], 0 offen
	buffer_load_dword v2, v4, s[0:3], 0 offen offset:4
	buffer_load_dword v3, v4, s[0:3], 0 offen offset:8
	;; [unrolled: 1-line block ×3, first 2 shown]
	s_waitcnt vmcnt(0)
	ds_write_b128 v5, v[1:4]
	s_waitcnt lgkmcnt(0)
	s_barrier
	buffer_gl0_inv
	v_cmpx_gt_u32_e32 13, v0
	s_cbranch_execz .LBB41_67
; %bb.64:
	v_mov_b32_e32 v1, 0
	v_mov_b32_e32 v3, 0
	v_add_nc_u32_e32 v7, -1, v0
	v_add_nc_u32_e32 v8, 0x2a0, v145
	v_mov_b32_e32 v2, 0
	v_mov_b32_e32 v4, 0
	v_add_nc_u32_e32 v9, 16, v145
	s_mov_b32 s5, 0
	.p2align	6
.LBB41_65:                              ; =>This Inner Loop Header: Depth=1
	s_clause 0x3
	buffer_load_dword v14, v9, s[0:3], 0 offen offset:8
	buffer_load_dword v15, v9, s[0:3], 0 offen offset:12
	buffer_load_dword v16, v9, s[0:3], 0 offen
	buffer_load_dword v17, v9, s[0:3], 0 offen offset:4
	ds_read_b128 v[10:13], v8
	v_add_nc_u32_e32 v7, 1, v7
	v_add_nc_u32_e32 v8, 16, v8
	;; [unrolled: 1-line block ×3, first 2 shown]
	v_cmp_lt_u32_e32 vcc_lo, 11, v7
	s_or_b32 s5, vcc_lo, s5
	s_waitcnt vmcnt(2) lgkmcnt(0)
	v_mul_f64 v[18:19], v[12:13], v[14:15]
	v_mul_f64 v[14:15], v[10:11], v[14:15]
	s_waitcnt vmcnt(0)
	v_fma_f64 v[10:11], v[10:11], v[16:17], -v[18:19]
	v_fma_f64 v[12:13], v[12:13], v[16:17], v[14:15]
	v_add_f64 v[3:4], v[3:4], v[10:11]
	v_add_f64 v[1:2], v[1:2], v[12:13]
	s_andn2_b32 exec_lo, exec_lo, s5
	s_cbranch_execnz .LBB41_65
; %bb.66:
	s_or_b32 exec_lo, exec_lo, s5
	v_mov_b32_e32 v7, 0
	ds_read_b128 v[7:10], v7 offset:208
	s_waitcnt lgkmcnt(0)
	v_mul_f64 v[11:12], v[1:2], v[9:10]
	v_mul_f64 v[9:10], v[3:4], v[9:10]
	v_fma_f64 v[3:4], v[3:4], v[7:8], -v[11:12]
	v_fma_f64 v[1:2], v[1:2], v[7:8], v[9:10]
	buffer_store_dword v4, off, s[0:3], 0 offset:228
	buffer_store_dword v3, off, s[0:3], 0 offset:224
	;; [unrolled: 1-line block ×4, first 2 shown]
.LBB41_67:
	s_or_b32 exec_lo, exec_lo, s4
	v_mov_b32_e32 v4, s36
	s_waitcnt_vscnt null, 0x0
	s_barrier
	buffer_gl0_inv
	s_mov_b32 s4, exec_lo
	s_clause 0x3
	buffer_load_dword v1, v4, s[0:3], 0 offen
	buffer_load_dword v2, v4, s[0:3], 0 offen offset:4
	buffer_load_dword v3, v4, s[0:3], 0 offen offset:8
	;; [unrolled: 1-line block ×3, first 2 shown]
	s_waitcnt vmcnt(0)
	ds_write_b128 v5, v[1:4]
	s_waitcnt lgkmcnt(0)
	s_barrier
	buffer_gl0_inv
	v_cmpx_gt_u32_e32 14, v0
	s_cbranch_execz .LBB41_71
; %bb.68:
	v_mov_b32_e32 v1, 0
	v_mov_b32_e32 v3, 0
	v_add_nc_u32_e32 v7, -1, v0
	v_add_nc_u32_e32 v8, 0x2a0, v145
	v_mov_b32_e32 v2, 0
	v_mov_b32_e32 v4, 0
	v_add_nc_u32_e32 v9, 16, v145
	s_mov_b32 s5, 0
	.p2align	6
.LBB41_69:                              ; =>This Inner Loop Header: Depth=1
	s_clause 0x3
	buffer_load_dword v14, v9, s[0:3], 0 offen offset:8
	buffer_load_dword v15, v9, s[0:3], 0 offen offset:12
	buffer_load_dword v16, v9, s[0:3], 0 offen
	buffer_load_dword v17, v9, s[0:3], 0 offen offset:4
	ds_read_b128 v[10:13], v8
	v_add_nc_u32_e32 v7, 1, v7
	v_add_nc_u32_e32 v8, 16, v8
	v_add_nc_u32_e32 v9, 16, v9
	v_cmp_lt_u32_e32 vcc_lo, 12, v7
	s_or_b32 s5, vcc_lo, s5
	s_waitcnt vmcnt(2) lgkmcnt(0)
	v_mul_f64 v[18:19], v[12:13], v[14:15]
	v_mul_f64 v[14:15], v[10:11], v[14:15]
	s_waitcnt vmcnt(0)
	v_fma_f64 v[10:11], v[10:11], v[16:17], -v[18:19]
	v_fma_f64 v[12:13], v[12:13], v[16:17], v[14:15]
	v_add_f64 v[3:4], v[3:4], v[10:11]
	v_add_f64 v[1:2], v[1:2], v[12:13]
	s_andn2_b32 exec_lo, exec_lo, s5
	s_cbranch_execnz .LBB41_69
; %bb.70:
	s_or_b32 exec_lo, exec_lo, s5
	v_mov_b32_e32 v7, 0
	ds_read_b128 v[7:10], v7 offset:224
	s_waitcnt lgkmcnt(0)
	v_mul_f64 v[11:12], v[1:2], v[9:10]
	v_mul_f64 v[9:10], v[3:4], v[9:10]
	v_fma_f64 v[3:4], v[3:4], v[7:8], -v[11:12]
	v_fma_f64 v[1:2], v[1:2], v[7:8], v[9:10]
	buffer_store_dword v4, off, s[0:3], 0 offset:244
	buffer_store_dword v3, off, s[0:3], 0 offset:240
	;; [unrolled: 1-line block ×4, first 2 shown]
.LBB41_71:
	s_or_b32 exec_lo, exec_lo, s4
	v_mov_b32_e32 v4, s34
	s_waitcnt_vscnt null, 0x0
	s_barrier
	buffer_gl0_inv
	s_mov_b32 s4, exec_lo
	s_clause 0x3
	buffer_load_dword v1, v4, s[0:3], 0 offen
	buffer_load_dword v2, v4, s[0:3], 0 offen offset:4
	buffer_load_dword v3, v4, s[0:3], 0 offen offset:8
	;; [unrolled: 1-line block ×3, first 2 shown]
	s_waitcnt vmcnt(0)
	ds_write_b128 v5, v[1:4]
	s_waitcnt lgkmcnt(0)
	s_barrier
	buffer_gl0_inv
	v_cmpx_gt_u32_e32 15, v0
	s_cbranch_execz .LBB41_75
; %bb.72:
	v_mov_b32_e32 v1, 0
	v_mov_b32_e32 v3, 0
	v_add_nc_u32_e32 v7, -1, v0
	v_add_nc_u32_e32 v8, 0x2a0, v145
	v_mov_b32_e32 v2, 0
	v_mov_b32_e32 v4, 0
	v_add_nc_u32_e32 v9, 16, v145
	s_mov_b32 s5, 0
	.p2align	6
.LBB41_73:                              ; =>This Inner Loop Header: Depth=1
	s_clause 0x3
	buffer_load_dword v14, v9, s[0:3], 0 offen offset:8
	buffer_load_dword v15, v9, s[0:3], 0 offen offset:12
	buffer_load_dword v16, v9, s[0:3], 0 offen
	buffer_load_dword v17, v9, s[0:3], 0 offen offset:4
	ds_read_b128 v[10:13], v8
	v_add_nc_u32_e32 v7, 1, v7
	v_add_nc_u32_e32 v8, 16, v8
	;; [unrolled: 1-line block ×3, first 2 shown]
	v_cmp_lt_u32_e32 vcc_lo, 13, v7
	s_or_b32 s5, vcc_lo, s5
	s_waitcnt vmcnt(2) lgkmcnt(0)
	v_mul_f64 v[18:19], v[12:13], v[14:15]
	v_mul_f64 v[14:15], v[10:11], v[14:15]
	s_waitcnt vmcnt(0)
	v_fma_f64 v[10:11], v[10:11], v[16:17], -v[18:19]
	v_fma_f64 v[12:13], v[12:13], v[16:17], v[14:15]
	v_add_f64 v[3:4], v[3:4], v[10:11]
	v_add_f64 v[1:2], v[1:2], v[12:13]
	s_andn2_b32 exec_lo, exec_lo, s5
	s_cbranch_execnz .LBB41_73
; %bb.74:
	s_or_b32 exec_lo, exec_lo, s5
	v_mov_b32_e32 v7, 0
	ds_read_b128 v[7:10], v7 offset:240
	s_waitcnt lgkmcnt(0)
	v_mul_f64 v[11:12], v[1:2], v[9:10]
	v_mul_f64 v[9:10], v[3:4], v[9:10]
	v_fma_f64 v[3:4], v[3:4], v[7:8], -v[11:12]
	v_fma_f64 v[1:2], v[1:2], v[7:8], v[9:10]
	buffer_store_dword v4, off, s[0:3], 0 offset:260
	buffer_store_dword v3, off, s[0:3], 0 offset:256
	;; [unrolled: 1-line block ×4, first 2 shown]
.LBB41_75:
	s_or_b32 exec_lo, exec_lo, s4
	v_mov_b32_e32 v4, s31
	s_waitcnt_vscnt null, 0x0
	s_barrier
	buffer_gl0_inv
	s_mov_b32 s4, exec_lo
	s_clause 0x3
	buffer_load_dword v1, v4, s[0:3], 0 offen
	buffer_load_dword v2, v4, s[0:3], 0 offen offset:4
	buffer_load_dword v3, v4, s[0:3], 0 offen offset:8
	;; [unrolled: 1-line block ×3, first 2 shown]
	s_waitcnt vmcnt(0)
	ds_write_b128 v5, v[1:4]
	s_waitcnt lgkmcnt(0)
	s_barrier
	buffer_gl0_inv
	v_cmpx_gt_u32_e32 16, v0
	s_cbranch_execz .LBB41_79
; %bb.76:
	v_mov_b32_e32 v1, 0
	v_mov_b32_e32 v3, 0
	v_add_nc_u32_e32 v7, -1, v0
	v_add_nc_u32_e32 v8, 0x2a0, v145
	v_mov_b32_e32 v2, 0
	v_mov_b32_e32 v4, 0
	v_add_nc_u32_e32 v9, 16, v145
	s_mov_b32 s5, 0
	.p2align	6
.LBB41_77:                              ; =>This Inner Loop Header: Depth=1
	s_clause 0x3
	buffer_load_dword v14, v9, s[0:3], 0 offen offset:8
	buffer_load_dword v15, v9, s[0:3], 0 offen offset:12
	buffer_load_dword v16, v9, s[0:3], 0 offen
	buffer_load_dword v17, v9, s[0:3], 0 offen offset:4
	ds_read_b128 v[10:13], v8
	v_add_nc_u32_e32 v7, 1, v7
	v_add_nc_u32_e32 v8, 16, v8
	;; [unrolled: 1-line block ×3, first 2 shown]
	v_cmp_lt_u32_e32 vcc_lo, 14, v7
	s_or_b32 s5, vcc_lo, s5
	s_waitcnt vmcnt(2) lgkmcnt(0)
	v_mul_f64 v[18:19], v[12:13], v[14:15]
	v_mul_f64 v[14:15], v[10:11], v[14:15]
	s_waitcnt vmcnt(0)
	v_fma_f64 v[10:11], v[10:11], v[16:17], -v[18:19]
	v_fma_f64 v[12:13], v[12:13], v[16:17], v[14:15]
	v_add_f64 v[3:4], v[3:4], v[10:11]
	v_add_f64 v[1:2], v[1:2], v[12:13]
	s_andn2_b32 exec_lo, exec_lo, s5
	s_cbranch_execnz .LBB41_77
; %bb.78:
	s_or_b32 exec_lo, exec_lo, s5
	v_mov_b32_e32 v7, 0
	ds_read_b128 v[7:10], v7 offset:256
	s_waitcnt lgkmcnt(0)
	v_mul_f64 v[11:12], v[1:2], v[9:10]
	v_mul_f64 v[9:10], v[3:4], v[9:10]
	v_fma_f64 v[3:4], v[3:4], v[7:8], -v[11:12]
	v_fma_f64 v[1:2], v[1:2], v[7:8], v[9:10]
	buffer_store_dword v4, off, s[0:3], 0 offset:276
	buffer_store_dword v3, off, s[0:3], 0 offset:272
	;; [unrolled: 1-line block ×4, first 2 shown]
.LBB41_79:
	s_or_b32 exec_lo, exec_lo, s4
	v_mov_b32_e32 v4, s29
	s_waitcnt_vscnt null, 0x0
	s_barrier
	buffer_gl0_inv
	s_mov_b32 s4, exec_lo
	s_clause 0x3
	buffer_load_dword v1, v4, s[0:3], 0 offen
	buffer_load_dword v2, v4, s[0:3], 0 offen offset:4
	buffer_load_dword v3, v4, s[0:3], 0 offen offset:8
	;; [unrolled: 1-line block ×3, first 2 shown]
	s_waitcnt vmcnt(0)
	ds_write_b128 v5, v[1:4]
	s_waitcnt lgkmcnt(0)
	s_barrier
	buffer_gl0_inv
	v_cmpx_gt_u32_e32 17, v0
	s_cbranch_execz .LBB41_83
; %bb.80:
	v_mov_b32_e32 v1, 0
	v_mov_b32_e32 v3, 0
	v_add_nc_u32_e32 v7, -1, v0
	v_add_nc_u32_e32 v8, 0x2a0, v145
	v_mov_b32_e32 v2, 0
	v_mov_b32_e32 v4, 0
	v_add_nc_u32_e32 v9, 16, v145
	s_mov_b32 s5, 0
	.p2align	6
.LBB41_81:                              ; =>This Inner Loop Header: Depth=1
	s_clause 0x3
	buffer_load_dword v14, v9, s[0:3], 0 offen offset:8
	buffer_load_dword v15, v9, s[0:3], 0 offen offset:12
	buffer_load_dword v16, v9, s[0:3], 0 offen
	buffer_load_dword v17, v9, s[0:3], 0 offen offset:4
	ds_read_b128 v[10:13], v8
	v_add_nc_u32_e32 v7, 1, v7
	v_add_nc_u32_e32 v8, 16, v8
	;; [unrolled: 1-line block ×3, first 2 shown]
	v_cmp_lt_u32_e32 vcc_lo, 15, v7
	s_or_b32 s5, vcc_lo, s5
	s_waitcnt vmcnt(2) lgkmcnt(0)
	v_mul_f64 v[18:19], v[12:13], v[14:15]
	v_mul_f64 v[14:15], v[10:11], v[14:15]
	s_waitcnt vmcnt(0)
	v_fma_f64 v[10:11], v[10:11], v[16:17], -v[18:19]
	v_fma_f64 v[12:13], v[12:13], v[16:17], v[14:15]
	v_add_f64 v[3:4], v[3:4], v[10:11]
	v_add_f64 v[1:2], v[1:2], v[12:13]
	s_andn2_b32 exec_lo, exec_lo, s5
	s_cbranch_execnz .LBB41_81
; %bb.82:
	s_or_b32 exec_lo, exec_lo, s5
	v_mov_b32_e32 v7, 0
	ds_read_b128 v[7:10], v7 offset:272
	s_waitcnt lgkmcnt(0)
	v_mul_f64 v[11:12], v[1:2], v[9:10]
	v_mul_f64 v[9:10], v[3:4], v[9:10]
	v_fma_f64 v[3:4], v[3:4], v[7:8], -v[11:12]
	v_fma_f64 v[1:2], v[1:2], v[7:8], v[9:10]
	buffer_store_dword v4, off, s[0:3], 0 offset:292
	buffer_store_dword v3, off, s[0:3], 0 offset:288
	;; [unrolled: 1-line block ×4, first 2 shown]
.LBB41_83:
	s_or_b32 exec_lo, exec_lo, s4
	v_mov_b32_e32 v4, s27
	s_waitcnt_vscnt null, 0x0
	s_barrier
	buffer_gl0_inv
	s_mov_b32 s4, exec_lo
	s_clause 0x3
	buffer_load_dword v1, v4, s[0:3], 0 offen
	buffer_load_dword v2, v4, s[0:3], 0 offen offset:4
	buffer_load_dword v3, v4, s[0:3], 0 offen offset:8
	;; [unrolled: 1-line block ×3, first 2 shown]
	s_waitcnt vmcnt(0)
	ds_write_b128 v5, v[1:4]
	s_waitcnt lgkmcnt(0)
	s_barrier
	buffer_gl0_inv
	v_cmpx_gt_u32_e32 18, v0
	s_cbranch_execz .LBB41_87
; %bb.84:
	v_mov_b32_e32 v1, 0
	v_mov_b32_e32 v3, 0
	v_add_nc_u32_e32 v7, -1, v0
	v_add_nc_u32_e32 v8, 0x2a0, v145
	v_mov_b32_e32 v2, 0
	v_mov_b32_e32 v4, 0
	v_add_nc_u32_e32 v9, 16, v145
	s_mov_b32 s5, 0
	.p2align	6
.LBB41_85:                              ; =>This Inner Loop Header: Depth=1
	s_clause 0x3
	buffer_load_dword v14, v9, s[0:3], 0 offen offset:8
	buffer_load_dword v15, v9, s[0:3], 0 offen offset:12
	buffer_load_dword v16, v9, s[0:3], 0 offen
	buffer_load_dword v17, v9, s[0:3], 0 offen offset:4
	ds_read_b128 v[10:13], v8
	v_add_nc_u32_e32 v7, 1, v7
	v_add_nc_u32_e32 v8, 16, v8
	;; [unrolled: 1-line block ×3, first 2 shown]
	v_cmp_lt_u32_e32 vcc_lo, 16, v7
	s_or_b32 s5, vcc_lo, s5
	s_waitcnt vmcnt(2) lgkmcnt(0)
	v_mul_f64 v[18:19], v[12:13], v[14:15]
	v_mul_f64 v[14:15], v[10:11], v[14:15]
	s_waitcnt vmcnt(0)
	v_fma_f64 v[10:11], v[10:11], v[16:17], -v[18:19]
	v_fma_f64 v[12:13], v[12:13], v[16:17], v[14:15]
	v_add_f64 v[3:4], v[3:4], v[10:11]
	v_add_f64 v[1:2], v[1:2], v[12:13]
	s_andn2_b32 exec_lo, exec_lo, s5
	s_cbranch_execnz .LBB41_85
; %bb.86:
	s_or_b32 exec_lo, exec_lo, s5
	v_mov_b32_e32 v7, 0
	ds_read_b128 v[7:10], v7 offset:288
	s_waitcnt lgkmcnt(0)
	v_mul_f64 v[11:12], v[1:2], v[9:10]
	v_mul_f64 v[9:10], v[3:4], v[9:10]
	v_fma_f64 v[3:4], v[3:4], v[7:8], -v[11:12]
	v_fma_f64 v[1:2], v[1:2], v[7:8], v[9:10]
	buffer_store_dword v4, off, s[0:3], 0 offset:308
	buffer_store_dword v3, off, s[0:3], 0 offset:304
	;; [unrolled: 1-line block ×4, first 2 shown]
.LBB41_87:
	s_or_b32 exec_lo, exec_lo, s4
	v_mov_b32_e32 v4, s25
	s_waitcnt_vscnt null, 0x0
	s_barrier
	buffer_gl0_inv
	s_mov_b32 s4, exec_lo
	s_clause 0x3
	buffer_load_dword v1, v4, s[0:3], 0 offen
	buffer_load_dword v2, v4, s[0:3], 0 offen offset:4
	buffer_load_dword v3, v4, s[0:3], 0 offen offset:8
	;; [unrolled: 1-line block ×3, first 2 shown]
	s_waitcnt vmcnt(0)
	ds_write_b128 v5, v[1:4]
	s_waitcnt lgkmcnt(0)
	s_barrier
	buffer_gl0_inv
	v_cmpx_gt_u32_e32 19, v0
	s_cbranch_execz .LBB41_91
; %bb.88:
	v_mov_b32_e32 v1, 0
	v_mov_b32_e32 v3, 0
	v_add_nc_u32_e32 v7, -1, v0
	v_add_nc_u32_e32 v8, 0x2a0, v145
	v_mov_b32_e32 v2, 0
	v_mov_b32_e32 v4, 0
	v_add_nc_u32_e32 v9, 16, v145
	s_mov_b32 s5, 0
	.p2align	6
.LBB41_89:                              ; =>This Inner Loop Header: Depth=1
	s_clause 0x3
	buffer_load_dword v14, v9, s[0:3], 0 offen offset:8
	buffer_load_dword v15, v9, s[0:3], 0 offen offset:12
	buffer_load_dword v16, v9, s[0:3], 0 offen
	buffer_load_dword v17, v9, s[0:3], 0 offen offset:4
	ds_read_b128 v[10:13], v8
	v_add_nc_u32_e32 v7, 1, v7
	v_add_nc_u32_e32 v8, 16, v8
	;; [unrolled: 1-line block ×3, first 2 shown]
	v_cmp_lt_u32_e32 vcc_lo, 17, v7
	s_or_b32 s5, vcc_lo, s5
	s_waitcnt vmcnt(2) lgkmcnt(0)
	v_mul_f64 v[18:19], v[12:13], v[14:15]
	v_mul_f64 v[14:15], v[10:11], v[14:15]
	s_waitcnt vmcnt(0)
	v_fma_f64 v[10:11], v[10:11], v[16:17], -v[18:19]
	v_fma_f64 v[12:13], v[12:13], v[16:17], v[14:15]
	v_add_f64 v[3:4], v[3:4], v[10:11]
	v_add_f64 v[1:2], v[1:2], v[12:13]
	s_andn2_b32 exec_lo, exec_lo, s5
	s_cbranch_execnz .LBB41_89
; %bb.90:
	s_or_b32 exec_lo, exec_lo, s5
	v_mov_b32_e32 v7, 0
	ds_read_b128 v[7:10], v7 offset:304
	s_waitcnt lgkmcnt(0)
	v_mul_f64 v[11:12], v[1:2], v[9:10]
	v_mul_f64 v[9:10], v[3:4], v[9:10]
	v_fma_f64 v[3:4], v[3:4], v[7:8], -v[11:12]
	v_fma_f64 v[1:2], v[1:2], v[7:8], v[9:10]
	buffer_store_dword v4, off, s[0:3], 0 offset:324
	buffer_store_dword v3, off, s[0:3], 0 offset:320
	;; [unrolled: 1-line block ×4, first 2 shown]
.LBB41_91:
	s_or_b32 exec_lo, exec_lo, s4
	v_mov_b32_e32 v4, s22
	s_waitcnt_vscnt null, 0x0
	s_barrier
	buffer_gl0_inv
	s_mov_b32 s4, exec_lo
	s_clause 0x3
	buffer_load_dword v1, v4, s[0:3], 0 offen
	buffer_load_dword v2, v4, s[0:3], 0 offen offset:4
	buffer_load_dword v3, v4, s[0:3], 0 offen offset:8
	;; [unrolled: 1-line block ×3, first 2 shown]
	s_waitcnt vmcnt(0)
	ds_write_b128 v5, v[1:4]
	s_waitcnt lgkmcnt(0)
	s_barrier
	buffer_gl0_inv
	v_cmpx_gt_u32_e32 20, v0
	s_cbranch_execz .LBB41_95
; %bb.92:
	v_mov_b32_e32 v1, 0
	v_mov_b32_e32 v3, 0
	v_add_nc_u32_e32 v7, -1, v0
	v_add_nc_u32_e32 v8, 0x2a0, v145
	v_mov_b32_e32 v2, 0
	v_mov_b32_e32 v4, 0
	v_add_nc_u32_e32 v9, 16, v145
	s_mov_b32 s5, 0
	.p2align	6
.LBB41_93:                              ; =>This Inner Loop Header: Depth=1
	s_clause 0x3
	buffer_load_dword v14, v9, s[0:3], 0 offen offset:8
	buffer_load_dword v15, v9, s[0:3], 0 offen offset:12
	buffer_load_dword v16, v9, s[0:3], 0 offen
	buffer_load_dword v17, v9, s[0:3], 0 offen offset:4
	ds_read_b128 v[10:13], v8
	v_add_nc_u32_e32 v7, 1, v7
	v_add_nc_u32_e32 v8, 16, v8
	;; [unrolled: 1-line block ×3, first 2 shown]
	v_cmp_lt_u32_e32 vcc_lo, 18, v7
	s_or_b32 s5, vcc_lo, s5
	s_waitcnt vmcnt(2) lgkmcnt(0)
	v_mul_f64 v[18:19], v[12:13], v[14:15]
	v_mul_f64 v[14:15], v[10:11], v[14:15]
	s_waitcnt vmcnt(0)
	v_fma_f64 v[10:11], v[10:11], v[16:17], -v[18:19]
	v_fma_f64 v[12:13], v[12:13], v[16:17], v[14:15]
	v_add_f64 v[3:4], v[3:4], v[10:11]
	v_add_f64 v[1:2], v[1:2], v[12:13]
	s_andn2_b32 exec_lo, exec_lo, s5
	s_cbranch_execnz .LBB41_93
; %bb.94:
	s_or_b32 exec_lo, exec_lo, s5
	v_mov_b32_e32 v7, 0
	ds_read_b128 v[7:10], v7 offset:320
	s_waitcnt lgkmcnt(0)
	v_mul_f64 v[11:12], v[1:2], v[9:10]
	v_mul_f64 v[9:10], v[3:4], v[9:10]
	v_fma_f64 v[3:4], v[3:4], v[7:8], -v[11:12]
	v_fma_f64 v[1:2], v[1:2], v[7:8], v[9:10]
	buffer_store_dword v4, off, s[0:3], 0 offset:340
	buffer_store_dword v3, off, s[0:3], 0 offset:336
	;; [unrolled: 1-line block ×4, first 2 shown]
.LBB41_95:
	s_or_b32 exec_lo, exec_lo, s4
	v_mov_b32_e32 v4, s18
	s_waitcnt_vscnt null, 0x0
	s_barrier
	buffer_gl0_inv
	s_mov_b32 s4, exec_lo
	s_clause 0x3
	buffer_load_dword v1, v4, s[0:3], 0 offen
	buffer_load_dword v2, v4, s[0:3], 0 offen offset:4
	buffer_load_dword v3, v4, s[0:3], 0 offen offset:8
	;; [unrolled: 1-line block ×3, first 2 shown]
	s_waitcnt vmcnt(0)
	ds_write_b128 v5, v[1:4]
	s_waitcnt lgkmcnt(0)
	s_barrier
	buffer_gl0_inv
	v_cmpx_gt_u32_e32 21, v0
	s_cbranch_execz .LBB41_99
; %bb.96:
	v_mov_b32_e32 v1, 0
	v_mov_b32_e32 v3, 0
	v_add_nc_u32_e32 v7, -1, v0
	v_add_nc_u32_e32 v8, 0x2a0, v145
	v_mov_b32_e32 v2, 0
	v_mov_b32_e32 v4, 0
	v_add_nc_u32_e32 v9, 16, v145
	s_mov_b32 s5, 0
	.p2align	6
.LBB41_97:                              ; =>This Inner Loop Header: Depth=1
	s_clause 0x3
	buffer_load_dword v14, v9, s[0:3], 0 offen offset:8
	buffer_load_dword v15, v9, s[0:3], 0 offen offset:12
	buffer_load_dword v16, v9, s[0:3], 0 offen
	buffer_load_dword v17, v9, s[0:3], 0 offen offset:4
	ds_read_b128 v[10:13], v8
	v_add_nc_u32_e32 v7, 1, v7
	v_add_nc_u32_e32 v8, 16, v8
	;; [unrolled: 1-line block ×3, first 2 shown]
	v_cmp_lt_u32_e32 vcc_lo, 19, v7
	s_or_b32 s5, vcc_lo, s5
	s_waitcnt vmcnt(2) lgkmcnt(0)
	v_mul_f64 v[18:19], v[12:13], v[14:15]
	v_mul_f64 v[14:15], v[10:11], v[14:15]
	s_waitcnt vmcnt(0)
	v_fma_f64 v[10:11], v[10:11], v[16:17], -v[18:19]
	v_fma_f64 v[12:13], v[12:13], v[16:17], v[14:15]
	v_add_f64 v[3:4], v[3:4], v[10:11]
	v_add_f64 v[1:2], v[1:2], v[12:13]
	s_andn2_b32 exec_lo, exec_lo, s5
	s_cbranch_execnz .LBB41_97
; %bb.98:
	s_or_b32 exec_lo, exec_lo, s5
	v_mov_b32_e32 v7, 0
	ds_read_b128 v[7:10], v7 offset:336
	s_waitcnt lgkmcnt(0)
	v_mul_f64 v[11:12], v[1:2], v[9:10]
	v_mul_f64 v[9:10], v[3:4], v[9:10]
	v_fma_f64 v[3:4], v[3:4], v[7:8], -v[11:12]
	v_fma_f64 v[1:2], v[1:2], v[7:8], v[9:10]
	buffer_store_dword v4, off, s[0:3], 0 offset:356
	buffer_store_dword v3, off, s[0:3], 0 offset:352
	;; [unrolled: 1-line block ×4, first 2 shown]
.LBB41_99:
	s_or_b32 exec_lo, exec_lo, s4
	v_mov_b32_e32 v4, s43
	s_waitcnt_vscnt null, 0x0
	s_barrier
	buffer_gl0_inv
	s_mov_b32 s4, exec_lo
	s_clause 0x3
	buffer_load_dword v1, v4, s[0:3], 0 offen
	buffer_load_dword v2, v4, s[0:3], 0 offen offset:4
	buffer_load_dword v3, v4, s[0:3], 0 offen offset:8
	;; [unrolled: 1-line block ×3, first 2 shown]
	s_waitcnt vmcnt(0)
	ds_write_b128 v5, v[1:4]
	s_waitcnt lgkmcnt(0)
	s_barrier
	buffer_gl0_inv
	v_cmpx_gt_u32_e32 22, v0
	s_cbranch_execz .LBB41_103
; %bb.100:
	v_mov_b32_e32 v1, 0
	v_mov_b32_e32 v3, 0
	v_add_nc_u32_e32 v7, -1, v0
	v_add_nc_u32_e32 v8, 0x2a0, v145
	v_mov_b32_e32 v2, 0
	v_mov_b32_e32 v4, 0
	v_add_nc_u32_e32 v9, 16, v145
	s_mov_b32 s5, 0
	.p2align	6
.LBB41_101:                             ; =>This Inner Loop Header: Depth=1
	s_clause 0x3
	buffer_load_dword v14, v9, s[0:3], 0 offen offset:8
	buffer_load_dword v15, v9, s[0:3], 0 offen offset:12
	buffer_load_dword v16, v9, s[0:3], 0 offen
	buffer_load_dword v17, v9, s[0:3], 0 offen offset:4
	ds_read_b128 v[10:13], v8
	v_add_nc_u32_e32 v7, 1, v7
	v_add_nc_u32_e32 v8, 16, v8
	;; [unrolled: 1-line block ×3, first 2 shown]
	v_cmp_lt_u32_e32 vcc_lo, 20, v7
	s_or_b32 s5, vcc_lo, s5
	s_waitcnt vmcnt(2) lgkmcnt(0)
	v_mul_f64 v[18:19], v[12:13], v[14:15]
	v_mul_f64 v[14:15], v[10:11], v[14:15]
	s_waitcnt vmcnt(0)
	v_fma_f64 v[10:11], v[10:11], v[16:17], -v[18:19]
	v_fma_f64 v[12:13], v[12:13], v[16:17], v[14:15]
	v_add_f64 v[3:4], v[3:4], v[10:11]
	v_add_f64 v[1:2], v[1:2], v[12:13]
	s_andn2_b32 exec_lo, exec_lo, s5
	s_cbranch_execnz .LBB41_101
; %bb.102:
	s_or_b32 exec_lo, exec_lo, s5
	v_mov_b32_e32 v7, 0
	ds_read_b128 v[7:10], v7 offset:352
	s_waitcnt lgkmcnt(0)
	v_mul_f64 v[11:12], v[1:2], v[9:10]
	v_mul_f64 v[9:10], v[3:4], v[9:10]
	v_fma_f64 v[3:4], v[3:4], v[7:8], -v[11:12]
	v_fma_f64 v[1:2], v[1:2], v[7:8], v[9:10]
	buffer_store_dword v4, off, s[0:3], 0 offset:372
	buffer_store_dword v3, off, s[0:3], 0 offset:368
	;; [unrolled: 1-line block ×4, first 2 shown]
.LBB41_103:
	s_or_b32 exec_lo, exec_lo, s4
	v_mov_b32_e32 v4, s41
	s_waitcnt_vscnt null, 0x0
	s_barrier
	buffer_gl0_inv
	s_mov_b32 s4, exec_lo
	s_clause 0x3
	buffer_load_dword v1, v4, s[0:3], 0 offen
	buffer_load_dword v2, v4, s[0:3], 0 offen offset:4
	buffer_load_dword v3, v4, s[0:3], 0 offen offset:8
	;; [unrolled: 1-line block ×3, first 2 shown]
	s_waitcnt vmcnt(0)
	ds_write_b128 v5, v[1:4]
	s_waitcnt lgkmcnt(0)
	s_barrier
	buffer_gl0_inv
	v_cmpx_gt_u32_e32 23, v0
	s_cbranch_execz .LBB41_107
; %bb.104:
	v_mov_b32_e32 v1, 0
	v_mov_b32_e32 v3, 0
	v_add_nc_u32_e32 v7, -1, v0
	v_add_nc_u32_e32 v8, 0x2a0, v145
	v_mov_b32_e32 v2, 0
	v_mov_b32_e32 v4, 0
	v_add_nc_u32_e32 v9, 16, v145
	s_mov_b32 s5, 0
	.p2align	6
.LBB41_105:                             ; =>This Inner Loop Header: Depth=1
	s_clause 0x3
	buffer_load_dword v14, v9, s[0:3], 0 offen offset:8
	buffer_load_dword v15, v9, s[0:3], 0 offen offset:12
	buffer_load_dword v16, v9, s[0:3], 0 offen
	buffer_load_dword v17, v9, s[0:3], 0 offen offset:4
	ds_read_b128 v[10:13], v8
	v_add_nc_u32_e32 v7, 1, v7
	v_add_nc_u32_e32 v8, 16, v8
	;; [unrolled: 1-line block ×3, first 2 shown]
	v_cmp_lt_u32_e32 vcc_lo, 21, v7
	s_or_b32 s5, vcc_lo, s5
	s_waitcnt vmcnt(2) lgkmcnt(0)
	v_mul_f64 v[18:19], v[12:13], v[14:15]
	v_mul_f64 v[14:15], v[10:11], v[14:15]
	s_waitcnt vmcnt(0)
	v_fma_f64 v[10:11], v[10:11], v[16:17], -v[18:19]
	v_fma_f64 v[12:13], v[12:13], v[16:17], v[14:15]
	v_add_f64 v[3:4], v[3:4], v[10:11]
	v_add_f64 v[1:2], v[1:2], v[12:13]
	s_andn2_b32 exec_lo, exec_lo, s5
	s_cbranch_execnz .LBB41_105
; %bb.106:
	s_or_b32 exec_lo, exec_lo, s5
	v_mov_b32_e32 v7, 0
	ds_read_b128 v[7:10], v7 offset:368
	s_waitcnt lgkmcnt(0)
	v_mul_f64 v[11:12], v[1:2], v[9:10]
	v_mul_f64 v[9:10], v[3:4], v[9:10]
	v_fma_f64 v[3:4], v[3:4], v[7:8], -v[11:12]
	v_fma_f64 v[1:2], v[1:2], v[7:8], v[9:10]
	buffer_store_dword v4, off, s[0:3], 0 offset:388
	buffer_store_dword v3, off, s[0:3], 0 offset:384
	;; [unrolled: 1-line block ×4, first 2 shown]
.LBB41_107:
	s_or_b32 exec_lo, exec_lo, s4
	v_mov_b32_e32 v4, s39
	s_waitcnt_vscnt null, 0x0
	s_barrier
	buffer_gl0_inv
	s_mov_b32 s4, exec_lo
	s_clause 0x3
	buffer_load_dword v1, v4, s[0:3], 0 offen
	buffer_load_dword v2, v4, s[0:3], 0 offen offset:4
	buffer_load_dword v3, v4, s[0:3], 0 offen offset:8
	;; [unrolled: 1-line block ×3, first 2 shown]
	s_waitcnt vmcnt(0)
	ds_write_b128 v5, v[1:4]
	s_waitcnt lgkmcnt(0)
	s_barrier
	buffer_gl0_inv
	v_cmpx_gt_u32_e32 24, v0
	s_cbranch_execz .LBB41_111
; %bb.108:
	v_mov_b32_e32 v1, 0
	v_mov_b32_e32 v3, 0
	v_add_nc_u32_e32 v7, -1, v0
	v_add_nc_u32_e32 v8, 0x2a0, v145
	v_mov_b32_e32 v2, 0
	v_mov_b32_e32 v4, 0
	v_add_nc_u32_e32 v9, 16, v145
	s_mov_b32 s5, 0
	.p2align	6
.LBB41_109:                             ; =>This Inner Loop Header: Depth=1
	s_clause 0x3
	buffer_load_dword v14, v9, s[0:3], 0 offen offset:8
	buffer_load_dword v15, v9, s[0:3], 0 offen offset:12
	buffer_load_dword v16, v9, s[0:3], 0 offen
	buffer_load_dword v17, v9, s[0:3], 0 offen offset:4
	ds_read_b128 v[10:13], v8
	v_add_nc_u32_e32 v7, 1, v7
	v_add_nc_u32_e32 v8, 16, v8
	;; [unrolled: 1-line block ×3, first 2 shown]
	v_cmp_lt_u32_e32 vcc_lo, 22, v7
	s_or_b32 s5, vcc_lo, s5
	s_waitcnt vmcnt(2) lgkmcnt(0)
	v_mul_f64 v[18:19], v[12:13], v[14:15]
	v_mul_f64 v[14:15], v[10:11], v[14:15]
	s_waitcnt vmcnt(0)
	v_fma_f64 v[10:11], v[10:11], v[16:17], -v[18:19]
	v_fma_f64 v[12:13], v[12:13], v[16:17], v[14:15]
	v_add_f64 v[3:4], v[3:4], v[10:11]
	v_add_f64 v[1:2], v[1:2], v[12:13]
	s_andn2_b32 exec_lo, exec_lo, s5
	s_cbranch_execnz .LBB41_109
; %bb.110:
	s_or_b32 exec_lo, exec_lo, s5
	v_mov_b32_e32 v7, 0
	ds_read_b128 v[7:10], v7 offset:384
	s_waitcnt lgkmcnt(0)
	v_mul_f64 v[11:12], v[1:2], v[9:10]
	v_mul_f64 v[9:10], v[3:4], v[9:10]
	v_fma_f64 v[3:4], v[3:4], v[7:8], -v[11:12]
	v_fma_f64 v[1:2], v[1:2], v[7:8], v[9:10]
	buffer_store_dword v4, off, s[0:3], 0 offset:404
	buffer_store_dword v3, off, s[0:3], 0 offset:400
	;; [unrolled: 1-line block ×4, first 2 shown]
.LBB41_111:
	s_or_b32 exec_lo, exec_lo, s4
	v_mov_b32_e32 v4, s37
	s_waitcnt_vscnt null, 0x0
	s_barrier
	buffer_gl0_inv
	s_mov_b32 s4, exec_lo
	s_clause 0x3
	buffer_load_dword v1, v4, s[0:3], 0 offen
	buffer_load_dword v2, v4, s[0:3], 0 offen offset:4
	buffer_load_dword v3, v4, s[0:3], 0 offen offset:8
	;; [unrolled: 1-line block ×3, first 2 shown]
	s_waitcnt vmcnt(0)
	ds_write_b128 v5, v[1:4]
	s_waitcnt lgkmcnt(0)
	s_barrier
	buffer_gl0_inv
	v_cmpx_gt_u32_e32 25, v0
	s_cbranch_execz .LBB41_115
; %bb.112:
	v_mov_b32_e32 v1, 0
	v_mov_b32_e32 v3, 0
	v_add_nc_u32_e32 v7, -1, v0
	v_add_nc_u32_e32 v8, 0x2a0, v145
	v_mov_b32_e32 v2, 0
	v_mov_b32_e32 v4, 0
	v_add_nc_u32_e32 v9, 16, v145
	s_mov_b32 s5, 0
	.p2align	6
.LBB41_113:                             ; =>This Inner Loop Header: Depth=1
	s_clause 0x3
	buffer_load_dword v14, v9, s[0:3], 0 offen offset:8
	buffer_load_dword v15, v9, s[0:3], 0 offen offset:12
	buffer_load_dword v16, v9, s[0:3], 0 offen
	buffer_load_dword v17, v9, s[0:3], 0 offen offset:4
	ds_read_b128 v[10:13], v8
	v_add_nc_u32_e32 v7, 1, v7
	v_add_nc_u32_e32 v8, 16, v8
	;; [unrolled: 1-line block ×3, first 2 shown]
	v_cmp_lt_u32_e32 vcc_lo, 23, v7
	s_or_b32 s5, vcc_lo, s5
	s_waitcnt vmcnt(2) lgkmcnt(0)
	v_mul_f64 v[18:19], v[12:13], v[14:15]
	v_mul_f64 v[14:15], v[10:11], v[14:15]
	s_waitcnt vmcnt(0)
	v_fma_f64 v[10:11], v[10:11], v[16:17], -v[18:19]
	v_fma_f64 v[12:13], v[12:13], v[16:17], v[14:15]
	v_add_f64 v[3:4], v[3:4], v[10:11]
	v_add_f64 v[1:2], v[1:2], v[12:13]
	s_andn2_b32 exec_lo, exec_lo, s5
	s_cbranch_execnz .LBB41_113
; %bb.114:
	s_or_b32 exec_lo, exec_lo, s5
	v_mov_b32_e32 v7, 0
	ds_read_b128 v[7:10], v7 offset:400
	s_waitcnt lgkmcnt(0)
	v_mul_f64 v[11:12], v[1:2], v[9:10]
	v_mul_f64 v[9:10], v[3:4], v[9:10]
	v_fma_f64 v[3:4], v[3:4], v[7:8], -v[11:12]
	v_fma_f64 v[1:2], v[1:2], v[7:8], v[9:10]
	buffer_store_dword v4, off, s[0:3], 0 offset:420
	buffer_store_dword v3, off, s[0:3], 0 offset:416
	;; [unrolled: 1-line block ×4, first 2 shown]
.LBB41_115:
	s_or_b32 exec_lo, exec_lo, s4
	v_mov_b32_e32 v4, s35
	s_waitcnt_vscnt null, 0x0
	s_barrier
	buffer_gl0_inv
	s_mov_b32 s4, exec_lo
	s_clause 0x3
	buffer_load_dword v1, v4, s[0:3], 0 offen
	buffer_load_dword v2, v4, s[0:3], 0 offen offset:4
	buffer_load_dword v3, v4, s[0:3], 0 offen offset:8
	;; [unrolled: 1-line block ×3, first 2 shown]
	s_waitcnt vmcnt(0)
	ds_write_b128 v5, v[1:4]
	s_waitcnt lgkmcnt(0)
	s_barrier
	buffer_gl0_inv
	v_cmpx_gt_u32_e32 26, v0
	s_cbranch_execz .LBB41_119
; %bb.116:
	v_mov_b32_e32 v1, 0
	v_mov_b32_e32 v3, 0
	v_add_nc_u32_e32 v7, -1, v0
	v_add_nc_u32_e32 v8, 0x2a0, v145
	v_mov_b32_e32 v2, 0
	v_mov_b32_e32 v4, 0
	v_add_nc_u32_e32 v9, 16, v145
	s_mov_b32 s5, 0
	.p2align	6
.LBB41_117:                             ; =>This Inner Loop Header: Depth=1
	s_clause 0x3
	buffer_load_dword v14, v9, s[0:3], 0 offen offset:8
	buffer_load_dword v15, v9, s[0:3], 0 offen offset:12
	buffer_load_dword v16, v9, s[0:3], 0 offen
	buffer_load_dword v17, v9, s[0:3], 0 offen offset:4
	ds_read_b128 v[10:13], v8
	v_add_nc_u32_e32 v7, 1, v7
	v_add_nc_u32_e32 v8, 16, v8
	v_add_nc_u32_e32 v9, 16, v9
	v_cmp_lt_u32_e32 vcc_lo, 24, v7
	s_or_b32 s5, vcc_lo, s5
	s_waitcnt vmcnt(2) lgkmcnt(0)
	v_mul_f64 v[18:19], v[12:13], v[14:15]
	v_mul_f64 v[14:15], v[10:11], v[14:15]
	s_waitcnt vmcnt(0)
	v_fma_f64 v[10:11], v[10:11], v[16:17], -v[18:19]
	v_fma_f64 v[12:13], v[12:13], v[16:17], v[14:15]
	v_add_f64 v[3:4], v[3:4], v[10:11]
	v_add_f64 v[1:2], v[1:2], v[12:13]
	s_andn2_b32 exec_lo, exec_lo, s5
	s_cbranch_execnz .LBB41_117
; %bb.118:
	s_or_b32 exec_lo, exec_lo, s5
	v_mov_b32_e32 v7, 0
	ds_read_b128 v[7:10], v7 offset:416
	s_waitcnt lgkmcnt(0)
	v_mul_f64 v[11:12], v[1:2], v[9:10]
	v_mul_f64 v[9:10], v[3:4], v[9:10]
	v_fma_f64 v[3:4], v[3:4], v[7:8], -v[11:12]
	v_fma_f64 v[1:2], v[1:2], v[7:8], v[9:10]
	buffer_store_dword v4, off, s[0:3], 0 offset:436
	buffer_store_dword v3, off, s[0:3], 0 offset:432
	;; [unrolled: 1-line block ×4, first 2 shown]
.LBB41_119:
	s_or_b32 exec_lo, exec_lo, s4
	v_mov_b32_e32 v4, s33
	s_waitcnt_vscnt null, 0x0
	s_barrier
	buffer_gl0_inv
	s_mov_b32 s4, exec_lo
	s_clause 0x3
	buffer_load_dword v1, v4, s[0:3], 0 offen
	buffer_load_dword v2, v4, s[0:3], 0 offen offset:4
	buffer_load_dword v3, v4, s[0:3], 0 offen offset:8
	;; [unrolled: 1-line block ×3, first 2 shown]
	s_waitcnt vmcnt(0)
	ds_write_b128 v5, v[1:4]
	s_waitcnt lgkmcnt(0)
	s_barrier
	buffer_gl0_inv
	v_cmpx_gt_u32_e32 27, v0
	s_cbranch_execz .LBB41_123
; %bb.120:
	v_mov_b32_e32 v1, 0
	v_mov_b32_e32 v3, 0
	v_add_nc_u32_e32 v7, -1, v0
	v_add_nc_u32_e32 v8, 0x2a0, v145
	v_mov_b32_e32 v2, 0
	v_mov_b32_e32 v4, 0
	v_add_nc_u32_e32 v9, 16, v145
	s_mov_b32 s5, 0
	.p2align	6
.LBB41_121:                             ; =>This Inner Loop Header: Depth=1
	s_clause 0x3
	buffer_load_dword v14, v9, s[0:3], 0 offen offset:8
	buffer_load_dword v15, v9, s[0:3], 0 offen offset:12
	buffer_load_dword v16, v9, s[0:3], 0 offen
	buffer_load_dword v17, v9, s[0:3], 0 offen offset:4
	ds_read_b128 v[10:13], v8
	v_add_nc_u32_e32 v7, 1, v7
	v_add_nc_u32_e32 v8, 16, v8
	v_add_nc_u32_e32 v9, 16, v9
	v_cmp_lt_u32_e32 vcc_lo, 25, v7
	s_or_b32 s5, vcc_lo, s5
	s_waitcnt vmcnt(2) lgkmcnt(0)
	v_mul_f64 v[18:19], v[12:13], v[14:15]
	v_mul_f64 v[14:15], v[10:11], v[14:15]
	s_waitcnt vmcnt(0)
	v_fma_f64 v[10:11], v[10:11], v[16:17], -v[18:19]
	v_fma_f64 v[12:13], v[12:13], v[16:17], v[14:15]
	v_add_f64 v[3:4], v[3:4], v[10:11]
	v_add_f64 v[1:2], v[1:2], v[12:13]
	s_andn2_b32 exec_lo, exec_lo, s5
	s_cbranch_execnz .LBB41_121
; %bb.122:
	s_or_b32 exec_lo, exec_lo, s5
	v_mov_b32_e32 v7, 0
	ds_read_b128 v[7:10], v7 offset:432
	s_waitcnt lgkmcnt(0)
	v_mul_f64 v[11:12], v[1:2], v[9:10]
	v_mul_f64 v[9:10], v[3:4], v[9:10]
	v_fma_f64 v[3:4], v[3:4], v[7:8], -v[11:12]
	v_fma_f64 v[1:2], v[1:2], v[7:8], v[9:10]
	buffer_store_dword v4, off, s[0:3], 0 offset:452
	buffer_store_dword v3, off, s[0:3], 0 offset:448
	;; [unrolled: 1-line block ×4, first 2 shown]
.LBB41_123:
	s_or_b32 exec_lo, exec_lo, s4
	v_mov_b32_e32 v4, s30
	s_waitcnt_vscnt null, 0x0
	s_barrier
	buffer_gl0_inv
	s_mov_b32 s4, exec_lo
	s_clause 0x3
	buffer_load_dword v1, v4, s[0:3], 0 offen
	buffer_load_dword v2, v4, s[0:3], 0 offen offset:4
	buffer_load_dword v3, v4, s[0:3], 0 offen offset:8
	;; [unrolled: 1-line block ×3, first 2 shown]
	s_waitcnt vmcnt(0)
	ds_write_b128 v5, v[1:4]
	s_waitcnt lgkmcnt(0)
	s_barrier
	buffer_gl0_inv
	v_cmpx_gt_u32_e32 28, v0
	s_cbranch_execz .LBB41_127
; %bb.124:
	v_mov_b32_e32 v1, 0
	v_mov_b32_e32 v3, 0
	v_add_nc_u32_e32 v7, -1, v0
	v_add_nc_u32_e32 v8, 0x2a0, v145
	v_mov_b32_e32 v2, 0
	v_mov_b32_e32 v4, 0
	v_add_nc_u32_e32 v9, 16, v145
	s_mov_b32 s5, 0
	.p2align	6
.LBB41_125:                             ; =>This Inner Loop Header: Depth=1
	s_clause 0x3
	buffer_load_dword v14, v9, s[0:3], 0 offen offset:8
	buffer_load_dword v15, v9, s[0:3], 0 offen offset:12
	buffer_load_dword v16, v9, s[0:3], 0 offen
	buffer_load_dword v17, v9, s[0:3], 0 offen offset:4
	ds_read_b128 v[10:13], v8
	v_add_nc_u32_e32 v7, 1, v7
	v_add_nc_u32_e32 v8, 16, v8
	v_add_nc_u32_e32 v9, 16, v9
	v_cmp_lt_u32_e32 vcc_lo, 26, v7
	s_or_b32 s5, vcc_lo, s5
	s_waitcnt vmcnt(2) lgkmcnt(0)
	v_mul_f64 v[18:19], v[12:13], v[14:15]
	v_mul_f64 v[14:15], v[10:11], v[14:15]
	s_waitcnt vmcnt(0)
	v_fma_f64 v[10:11], v[10:11], v[16:17], -v[18:19]
	v_fma_f64 v[12:13], v[12:13], v[16:17], v[14:15]
	v_add_f64 v[3:4], v[3:4], v[10:11]
	v_add_f64 v[1:2], v[1:2], v[12:13]
	s_andn2_b32 exec_lo, exec_lo, s5
	s_cbranch_execnz .LBB41_125
; %bb.126:
	s_or_b32 exec_lo, exec_lo, s5
	v_mov_b32_e32 v7, 0
	ds_read_b128 v[7:10], v7 offset:448
	s_waitcnt lgkmcnt(0)
	v_mul_f64 v[11:12], v[1:2], v[9:10]
	v_mul_f64 v[9:10], v[3:4], v[9:10]
	v_fma_f64 v[3:4], v[3:4], v[7:8], -v[11:12]
	v_fma_f64 v[1:2], v[1:2], v[7:8], v[9:10]
	buffer_store_dword v4, off, s[0:3], 0 offset:468
	buffer_store_dword v3, off, s[0:3], 0 offset:464
	;; [unrolled: 1-line block ×4, first 2 shown]
.LBB41_127:
	s_or_b32 exec_lo, exec_lo, s4
	v_mov_b32_e32 v4, s28
	s_waitcnt_vscnt null, 0x0
	s_barrier
	buffer_gl0_inv
	s_mov_b32 s4, exec_lo
	s_clause 0x3
	buffer_load_dword v1, v4, s[0:3], 0 offen
	buffer_load_dword v2, v4, s[0:3], 0 offen offset:4
	buffer_load_dword v3, v4, s[0:3], 0 offen offset:8
	;; [unrolled: 1-line block ×3, first 2 shown]
	s_waitcnt vmcnt(0)
	ds_write_b128 v5, v[1:4]
	s_waitcnt lgkmcnt(0)
	s_barrier
	buffer_gl0_inv
	v_cmpx_gt_u32_e32 29, v0
	s_cbranch_execz .LBB41_131
; %bb.128:
	v_mov_b32_e32 v1, 0
	v_mov_b32_e32 v3, 0
	v_add_nc_u32_e32 v7, -1, v0
	v_add_nc_u32_e32 v8, 0x2a0, v145
	v_mov_b32_e32 v2, 0
	v_mov_b32_e32 v4, 0
	v_add_nc_u32_e32 v9, 16, v145
	s_mov_b32 s5, 0
	.p2align	6
.LBB41_129:                             ; =>This Inner Loop Header: Depth=1
	s_clause 0x3
	buffer_load_dword v14, v9, s[0:3], 0 offen offset:8
	buffer_load_dword v15, v9, s[0:3], 0 offen offset:12
	buffer_load_dword v16, v9, s[0:3], 0 offen
	buffer_load_dword v17, v9, s[0:3], 0 offen offset:4
	ds_read_b128 v[10:13], v8
	v_add_nc_u32_e32 v7, 1, v7
	v_add_nc_u32_e32 v8, 16, v8
	;; [unrolled: 1-line block ×3, first 2 shown]
	v_cmp_lt_u32_e32 vcc_lo, 27, v7
	s_or_b32 s5, vcc_lo, s5
	s_waitcnt vmcnt(2) lgkmcnt(0)
	v_mul_f64 v[18:19], v[12:13], v[14:15]
	v_mul_f64 v[14:15], v[10:11], v[14:15]
	s_waitcnt vmcnt(0)
	v_fma_f64 v[10:11], v[10:11], v[16:17], -v[18:19]
	v_fma_f64 v[12:13], v[12:13], v[16:17], v[14:15]
	v_add_f64 v[3:4], v[3:4], v[10:11]
	v_add_f64 v[1:2], v[1:2], v[12:13]
	s_andn2_b32 exec_lo, exec_lo, s5
	s_cbranch_execnz .LBB41_129
; %bb.130:
	s_or_b32 exec_lo, exec_lo, s5
	v_mov_b32_e32 v7, 0
	ds_read_b128 v[7:10], v7 offset:464
	s_waitcnt lgkmcnt(0)
	v_mul_f64 v[11:12], v[1:2], v[9:10]
	v_mul_f64 v[9:10], v[3:4], v[9:10]
	v_fma_f64 v[3:4], v[3:4], v[7:8], -v[11:12]
	v_fma_f64 v[1:2], v[1:2], v[7:8], v[9:10]
	buffer_store_dword v4, off, s[0:3], 0 offset:484
	buffer_store_dword v3, off, s[0:3], 0 offset:480
	;; [unrolled: 1-line block ×4, first 2 shown]
.LBB41_131:
	s_or_b32 exec_lo, exec_lo, s4
	v_mov_b32_e32 v4, s26
	s_waitcnt_vscnt null, 0x0
	s_barrier
	buffer_gl0_inv
	s_mov_b32 s4, exec_lo
	s_clause 0x3
	buffer_load_dword v1, v4, s[0:3], 0 offen
	buffer_load_dword v2, v4, s[0:3], 0 offen offset:4
	buffer_load_dword v3, v4, s[0:3], 0 offen offset:8
	;; [unrolled: 1-line block ×3, first 2 shown]
	s_waitcnt vmcnt(0)
	ds_write_b128 v5, v[1:4]
	s_waitcnt lgkmcnt(0)
	s_barrier
	buffer_gl0_inv
	v_cmpx_gt_u32_e32 30, v0
	s_cbranch_execz .LBB41_135
; %bb.132:
	v_mov_b32_e32 v1, 0
	v_mov_b32_e32 v3, 0
	v_add_nc_u32_e32 v7, -1, v0
	v_add_nc_u32_e32 v8, 0x2a0, v145
	v_mov_b32_e32 v2, 0
	v_mov_b32_e32 v4, 0
	v_add_nc_u32_e32 v9, 16, v145
	s_mov_b32 s5, 0
	.p2align	6
.LBB41_133:                             ; =>This Inner Loop Header: Depth=1
	s_clause 0x3
	buffer_load_dword v14, v9, s[0:3], 0 offen offset:8
	buffer_load_dword v15, v9, s[0:3], 0 offen offset:12
	buffer_load_dword v16, v9, s[0:3], 0 offen
	buffer_load_dword v17, v9, s[0:3], 0 offen offset:4
	ds_read_b128 v[10:13], v8
	v_add_nc_u32_e32 v7, 1, v7
	v_add_nc_u32_e32 v8, 16, v8
	;; [unrolled: 1-line block ×3, first 2 shown]
	v_cmp_lt_u32_e32 vcc_lo, 28, v7
	s_or_b32 s5, vcc_lo, s5
	s_waitcnt vmcnt(2) lgkmcnt(0)
	v_mul_f64 v[18:19], v[12:13], v[14:15]
	v_mul_f64 v[14:15], v[10:11], v[14:15]
	s_waitcnt vmcnt(0)
	v_fma_f64 v[10:11], v[10:11], v[16:17], -v[18:19]
	v_fma_f64 v[12:13], v[12:13], v[16:17], v[14:15]
	v_add_f64 v[3:4], v[3:4], v[10:11]
	v_add_f64 v[1:2], v[1:2], v[12:13]
	s_andn2_b32 exec_lo, exec_lo, s5
	s_cbranch_execnz .LBB41_133
; %bb.134:
	s_or_b32 exec_lo, exec_lo, s5
	v_mov_b32_e32 v7, 0
	ds_read_b128 v[7:10], v7 offset:480
	s_waitcnt lgkmcnt(0)
	v_mul_f64 v[11:12], v[1:2], v[9:10]
	v_mul_f64 v[9:10], v[3:4], v[9:10]
	v_fma_f64 v[3:4], v[3:4], v[7:8], -v[11:12]
	v_fma_f64 v[1:2], v[1:2], v[7:8], v[9:10]
	buffer_store_dword v4, off, s[0:3], 0 offset:500
	buffer_store_dword v3, off, s[0:3], 0 offset:496
	;; [unrolled: 1-line block ×4, first 2 shown]
.LBB41_135:
	s_or_b32 exec_lo, exec_lo, s4
	v_mov_b32_e32 v4, s24
	s_waitcnt_vscnt null, 0x0
	s_barrier
	buffer_gl0_inv
	s_mov_b32 s4, exec_lo
	s_clause 0x3
	buffer_load_dword v1, v4, s[0:3], 0 offen
	buffer_load_dword v2, v4, s[0:3], 0 offen offset:4
	buffer_load_dword v3, v4, s[0:3], 0 offen offset:8
	;; [unrolled: 1-line block ×3, first 2 shown]
	s_waitcnt vmcnt(0)
	ds_write_b128 v5, v[1:4]
	s_waitcnt lgkmcnt(0)
	s_barrier
	buffer_gl0_inv
	v_cmpx_gt_u32_e32 31, v0
	s_cbranch_execz .LBB41_139
; %bb.136:
	v_mov_b32_e32 v1, 0
	v_mov_b32_e32 v3, 0
	v_add_nc_u32_e32 v7, -1, v0
	v_add_nc_u32_e32 v8, 0x2a0, v145
	v_mov_b32_e32 v2, 0
	v_mov_b32_e32 v4, 0
	v_add_nc_u32_e32 v9, 16, v145
	s_mov_b32 s5, 0
	.p2align	6
.LBB41_137:                             ; =>This Inner Loop Header: Depth=1
	s_clause 0x3
	buffer_load_dword v14, v9, s[0:3], 0 offen offset:8
	buffer_load_dword v15, v9, s[0:3], 0 offen offset:12
	buffer_load_dword v16, v9, s[0:3], 0 offen
	buffer_load_dword v17, v9, s[0:3], 0 offen offset:4
	ds_read_b128 v[10:13], v8
	v_add_nc_u32_e32 v7, 1, v7
	v_add_nc_u32_e32 v8, 16, v8
	;; [unrolled: 1-line block ×3, first 2 shown]
	v_cmp_lt_u32_e32 vcc_lo, 29, v7
	s_or_b32 s5, vcc_lo, s5
	s_waitcnt vmcnt(2) lgkmcnt(0)
	v_mul_f64 v[18:19], v[12:13], v[14:15]
	v_mul_f64 v[14:15], v[10:11], v[14:15]
	s_waitcnt vmcnt(0)
	v_fma_f64 v[10:11], v[10:11], v[16:17], -v[18:19]
	v_fma_f64 v[12:13], v[12:13], v[16:17], v[14:15]
	v_add_f64 v[3:4], v[3:4], v[10:11]
	v_add_f64 v[1:2], v[1:2], v[12:13]
	s_andn2_b32 exec_lo, exec_lo, s5
	s_cbranch_execnz .LBB41_137
; %bb.138:
	s_or_b32 exec_lo, exec_lo, s5
	v_mov_b32_e32 v7, 0
	ds_read_b128 v[7:10], v7 offset:496
	s_waitcnt lgkmcnt(0)
	v_mul_f64 v[11:12], v[1:2], v[9:10]
	v_mul_f64 v[9:10], v[3:4], v[9:10]
	v_fma_f64 v[3:4], v[3:4], v[7:8], -v[11:12]
	v_fma_f64 v[1:2], v[1:2], v[7:8], v[9:10]
	buffer_store_dword v4, off, s[0:3], 0 offset:516
	buffer_store_dword v3, off, s[0:3], 0 offset:512
	;; [unrolled: 1-line block ×4, first 2 shown]
.LBB41_139:
	s_or_b32 exec_lo, exec_lo, s4
	v_mov_b32_e32 v4, s23
	s_waitcnt_vscnt null, 0x0
	s_barrier
	buffer_gl0_inv
	s_mov_b32 s4, exec_lo
	s_clause 0x3
	buffer_load_dword v1, v4, s[0:3], 0 offen
	buffer_load_dword v2, v4, s[0:3], 0 offen offset:4
	buffer_load_dword v3, v4, s[0:3], 0 offen offset:8
	;; [unrolled: 1-line block ×3, first 2 shown]
	s_waitcnt vmcnt(0)
	ds_write_b128 v5, v[1:4]
	s_waitcnt lgkmcnt(0)
	s_barrier
	buffer_gl0_inv
	v_cmpx_gt_u32_e32 32, v0
	s_cbranch_execz .LBB41_143
; %bb.140:
	v_mov_b32_e32 v1, 0
	v_mov_b32_e32 v3, 0
	v_add_nc_u32_e32 v7, -1, v0
	v_add_nc_u32_e32 v8, 0x2a0, v145
	v_mov_b32_e32 v2, 0
	v_mov_b32_e32 v4, 0
	v_add_nc_u32_e32 v9, 16, v145
	s_mov_b32 s5, 0
	.p2align	6
.LBB41_141:                             ; =>This Inner Loop Header: Depth=1
	s_clause 0x3
	buffer_load_dword v14, v9, s[0:3], 0 offen offset:8
	buffer_load_dword v15, v9, s[0:3], 0 offen offset:12
	buffer_load_dword v16, v9, s[0:3], 0 offen
	buffer_load_dword v17, v9, s[0:3], 0 offen offset:4
	ds_read_b128 v[10:13], v8
	v_add_nc_u32_e32 v7, 1, v7
	v_add_nc_u32_e32 v8, 16, v8
	;; [unrolled: 1-line block ×3, first 2 shown]
	v_cmp_lt_u32_e32 vcc_lo, 30, v7
	s_or_b32 s5, vcc_lo, s5
	s_waitcnt vmcnt(2) lgkmcnt(0)
	v_mul_f64 v[18:19], v[12:13], v[14:15]
	v_mul_f64 v[14:15], v[10:11], v[14:15]
	s_waitcnt vmcnt(0)
	v_fma_f64 v[10:11], v[10:11], v[16:17], -v[18:19]
	v_fma_f64 v[12:13], v[12:13], v[16:17], v[14:15]
	v_add_f64 v[3:4], v[3:4], v[10:11]
	v_add_f64 v[1:2], v[1:2], v[12:13]
	s_andn2_b32 exec_lo, exec_lo, s5
	s_cbranch_execnz .LBB41_141
; %bb.142:
	s_or_b32 exec_lo, exec_lo, s5
	v_mov_b32_e32 v7, 0
	ds_read_b128 v[7:10], v7 offset:512
	s_waitcnt lgkmcnt(0)
	v_mul_f64 v[11:12], v[1:2], v[9:10]
	v_mul_f64 v[9:10], v[3:4], v[9:10]
	v_fma_f64 v[3:4], v[3:4], v[7:8], -v[11:12]
	v_fma_f64 v[1:2], v[1:2], v[7:8], v[9:10]
	buffer_store_dword v4, off, s[0:3], 0 offset:532
	buffer_store_dword v3, off, s[0:3], 0 offset:528
	;; [unrolled: 1-line block ×4, first 2 shown]
.LBB41_143:
	s_or_b32 exec_lo, exec_lo, s4
	v_mov_b32_e32 v4, s19
	s_waitcnt_vscnt null, 0x0
	s_barrier
	buffer_gl0_inv
	s_mov_b32 s4, exec_lo
	s_clause 0x3
	buffer_load_dword v1, v4, s[0:3], 0 offen
	buffer_load_dword v2, v4, s[0:3], 0 offen offset:4
	buffer_load_dword v3, v4, s[0:3], 0 offen offset:8
	;; [unrolled: 1-line block ×3, first 2 shown]
	s_waitcnt vmcnt(0)
	ds_write_b128 v5, v[1:4]
	s_waitcnt lgkmcnt(0)
	s_barrier
	buffer_gl0_inv
	v_cmpx_gt_u32_e32 33, v0
	s_cbranch_execz .LBB41_147
; %bb.144:
	v_mov_b32_e32 v1, 0
	v_mov_b32_e32 v3, 0
	v_add_nc_u32_e32 v7, -1, v0
	v_add_nc_u32_e32 v8, 0x2a0, v145
	v_mov_b32_e32 v2, 0
	v_mov_b32_e32 v4, 0
	v_add_nc_u32_e32 v9, 16, v145
	s_mov_b32 s5, 0
	.p2align	6
.LBB41_145:                             ; =>This Inner Loop Header: Depth=1
	s_clause 0x3
	buffer_load_dword v14, v9, s[0:3], 0 offen offset:8
	buffer_load_dword v15, v9, s[0:3], 0 offen offset:12
	buffer_load_dword v16, v9, s[0:3], 0 offen
	buffer_load_dword v17, v9, s[0:3], 0 offen offset:4
	ds_read_b128 v[10:13], v8
	v_add_nc_u32_e32 v7, 1, v7
	v_add_nc_u32_e32 v8, 16, v8
	;; [unrolled: 1-line block ×3, first 2 shown]
	v_cmp_lt_u32_e32 vcc_lo, 31, v7
	s_or_b32 s5, vcc_lo, s5
	s_waitcnt vmcnt(2) lgkmcnt(0)
	v_mul_f64 v[18:19], v[12:13], v[14:15]
	v_mul_f64 v[14:15], v[10:11], v[14:15]
	s_waitcnt vmcnt(0)
	v_fma_f64 v[10:11], v[10:11], v[16:17], -v[18:19]
	v_fma_f64 v[12:13], v[12:13], v[16:17], v[14:15]
	v_add_f64 v[3:4], v[3:4], v[10:11]
	v_add_f64 v[1:2], v[1:2], v[12:13]
	s_andn2_b32 exec_lo, exec_lo, s5
	s_cbranch_execnz .LBB41_145
; %bb.146:
	s_or_b32 exec_lo, exec_lo, s5
	v_mov_b32_e32 v7, 0
	ds_read_b128 v[7:10], v7 offset:528
	s_waitcnt lgkmcnt(0)
	v_mul_f64 v[11:12], v[1:2], v[9:10]
	v_mul_f64 v[9:10], v[3:4], v[9:10]
	v_fma_f64 v[3:4], v[3:4], v[7:8], -v[11:12]
	v_fma_f64 v[1:2], v[1:2], v[7:8], v[9:10]
	buffer_store_dword v4, off, s[0:3], 0 offset:548
	buffer_store_dword v3, off, s[0:3], 0 offset:544
	;; [unrolled: 1-line block ×4, first 2 shown]
.LBB41_147:
	s_or_b32 exec_lo, exec_lo, s4
	v_mov_b32_e32 v4, s17
	s_waitcnt_vscnt null, 0x0
	s_barrier
	buffer_gl0_inv
	s_mov_b32 s4, exec_lo
	s_clause 0x3
	buffer_load_dword v1, v4, s[0:3], 0 offen
	buffer_load_dword v2, v4, s[0:3], 0 offen offset:4
	buffer_load_dword v3, v4, s[0:3], 0 offen offset:8
	;; [unrolled: 1-line block ×3, first 2 shown]
	s_waitcnt vmcnt(0)
	ds_write_b128 v5, v[1:4]
	s_waitcnt lgkmcnt(0)
	s_barrier
	buffer_gl0_inv
	v_cmpx_gt_u32_e32 34, v0
	s_cbranch_execz .LBB41_151
; %bb.148:
	v_mov_b32_e32 v1, 0
	v_mov_b32_e32 v3, 0
	v_add_nc_u32_e32 v7, -1, v0
	v_add_nc_u32_e32 v8, 0x2a0, v145
	v_mov_b32_e32 v2, 0
	v_mov_b32_e32 v4, 0
	v_add_nc_u32_e32 v9, 16, v145
	s_mov_b32 s5, 0
	.p2align	6
.LBB41_149:                             ; =>This Inner Loop Header: Depth=1
	s_clause 0x3
	buffer_load_dword v14, v9, s[0:3], 0 offen offset:8
	buffer_load_dword v15, v9, s[0:3], 0 offen offset:12
	buffer_load_dword v16, v9, s[0:3], 0 offen
	buffer_load_dword v17, v9, s[0:3], 0 offen offset:4
	ds_read_b128 v[10:13], v8
	v_add_nc_u32_e32 v7, 1, v7
	v_add_nc_u32_e32 v8, 16, v8
	;; [unrolled: 1-line block ×3, first 2 shown]
	v_cmp_lt_u32_e32 vcc_lo, 32, v7
	s_or_b32 s5, vcc_lo, s5
	s_waitcnt vmcnt(2) lgkmcnt(0)
	v_mul_f64 v[18:19], v[12:13], v[14:15]
	v_mul_f64 v[14:15], v[10:11], v[14:15]
	s_waitcnt vmcnt(0)
	v_fma_f64 v[10:11], v[10:11], v[16:17], -v[18:19]
	v_fma_f64 v[12:13], v[12:13], v[16:17], v[14:15]
	v_add_f64 v[3:4], v[3:4], v[10:11]
	v_add_f64 v[1:2], v[1:2], v[12:13]
	s_andn2_b32 exec_lo, exec_lo, s5
	s_cbranch_execnz .LBB41_149
; %bb.150:
	s_or_b32 exec_lo, exec_lo, s5
	v_mov_b32_e32 v7, 0
	ds_read_b128 v[7:10], v7 offset:544
	s_waitcnt lgkmcnt(0)
	v_mul_f64 v[11:12], v[1:2], v[9:10]
	v_mul_f64 v[9:10], v[3:4], v[9:10]
	v_fma_f64 v[3:4], v[3:4], v[7:8], -v[11:12]
	v_fma_f64 v[1:2], v[1:2], v[7:8], v[9:10]
	buffer_store_dword v4, off, s[0:3], 0 offset:564
	buffer_store_dword v3, off, s[0:3], 0 offset:560
	;; [unrolled: 1-line block ×4, first 2 shown]
.LBB41_151:
	s_or_b32 exec_lo, exec_lo, s4
	v_mov_b32_e32 v4, s16
	s_waitcnt_vscnt null, 0x0
	s_barrier
	buffer_gl0_inv
	s_mov_b32 s4, exec_lo
	s_clause 0x3
	buffer_load_dword v1, v4, s[0:3], 0 offen
	buffer_load_dword v2, v4, s[0:3], 0 offen offset:4
	buffer_load_dword v3, v4, s[0:3], 0 offen offset:8
	;; [unrolled: 1-line block ×3, first 2 shown]
	s_waitcnt vmcnt(0)
	ds_write_b128 v5, v[1:4]
	s_waitcnt lgkmcnt(0)
	s_barrier
	buffer_gl0_inv
	v_cmpx_gt_u32_e32 35, v0
	s_cbranch_execz .LBB41_155
; %bb.152:
	v_mov_b32_e32 v1, 0
	v_mov_b32_e32 v3, 0
	v_add_nc_u32_e32 v7, -1, v0
	v_add_nc_u32_e32 v8, 0x2a0, v145
	v_mov_b32_e32 v2, 0
	v_mov_b32_e32 v4, 0
	v_add_nc_u32_e32 v9, 16, v145
	s_mov_b32 s5, 0
	.p2align	6
.LBB41_153:                             ; =>This Inner Loop Header: Depth=1
	s_clause 0x3
	buffer_load_dword v14, v9, s[0:3], 0 offen offset:8
	buffer_load_dword v15, v9, s[0:3], 0 offen offset:12
	buffer_load_dword v16, v9, s[0:3], 0 offen
	buffer_load_dword v17, v9, s[0:3], 0 offen offset:4
	ds_read_b128 v[10:13], v8
	v_add_nc_u32_e32 v7, 1, v7
	v_add_nc_u32_e32 v8, 16, v8
	;; [unrolled: 1-line block ×3, first 2 shown]
	v_cmp_lt_u32_e32 vcc_lo, 33, v7
	s_or_b32 s5, vcc_lo, s5
	s_waitcnt vmcnt(2) lgkmcnt(0)
	v_mul_f64 v[18:19], v[12:13], v[14:15]
	v_mul_f64 v[14:15], v[10:11], v[14:15]
	s_waitcnt vmcnt(0)
	v_fma_f64 v[10:11], v[10:11], v[16:17], -v[18:19]
	v_fma_f64 v[12:13], v[12:13], v[16:17], v[14:15]
	v_add_f64 v[3:4], v[3:4], v[10:11]
	v_add_f64 v[1:2], v[1:2], v[12:13]
	s_andn2_b32 exec_lo, exec_lo, s5
	s_cbranch_execnz .LBB41_153
; %bb.154:
	s_or_b32 exec_lo, exec_lo, s5
	v_mov_b32_e32 v7, 0
	ds_read_b128 v[7:10], v7 offset:560
	s_waitcnt lgkmcnt(0)
	v_mul_f64 v[11:12], v[1:2], v[9:10]
	v_mul_f64 v[9:10], v[3:4], v[9:10]
	v_fma_f64 v[3:4], v[3:4], v[7:8], -v[11:12]
	v_fma_f64 v[1:2], v[1:2], v[7:8], v[9:10]
	buffer_store_dword v4, off, s[0:3], 0 offset:580
	buffer_store_dword v3, off, s[0:3], 0 offset:576
	;; [unrolled: 1-line block ×4, first 2 shown]
.LBB41_155:
	s_or_b32 exec_lo, exec_lo, s4
	v_mov_b32_e32 v4, s15
	s_waitcnt_vscnt null, 0x0
	s_barrier
	buffer_gl0_inv
	s_mov_b32 s4, exec_lo
	s_clause 0x3
	buffer_load_dword v1, v4, s[0:3], 0 offen
	buffer_load_dword v2, v4, s[0:3], 0 offen offset:4
	buffer_load_dword v3, v4, s[0:3], 0 offen offset:8
	buffer_load_dword v4, v4, s[0:3], 0 offen offset:12
	s_waitcnt vmcnt(0)
	ds_write_b128 v5, v[1:4]
	s_waitcnt lgkmcnt(0)
	s_barrier
	buffer_gl0_inv
	v_cmpx_gt_u32_e32 36, v0
	s_cbranch_execz .LBB41_159
; %bb.156:
	v_mov_b32_e32 v1, 0
	v_mov_b32_e32 v3, 0
	v_add_nc_u32_e32 v7, -1, v0
	v_add_nc_u32_e32 v8, 0x2a0, v145
	v_mov_b32_e32 v2, 0
	v_mov_b32_e32 v4, 0
	v_add_nc_u32_e32 v9, 16, v145
	s_mov_b32 s5, 0
	.p2align	6
.LBB41_157:                             ; =>This Inner Loop Header: Depth=1
	s_clause 0x3
	buffer_load_dword v14, v9, s[0:3], 0 offen offset:8
	buffer_load_dword v15, v9, s[0:3], 0 offen offset:12
	buffer_load_dword v16, v9, s[0:3], 0 offen
	buffer_load_dword v17, v9, s[0:3], 0 offen offset:4
	ds_read_b128 v[10:13], v8
	v_add_nc_u32_e32 v7, 1, v7
	v_add_nc_u32_e32 v8, 16, v8
	;; [unrolled: 1-line block ×3, first 2 shown]
	v_cmp_lt_u32_e32 vcc_lo, 34, v7
	s_or_b32 s5, vcc_lo, s5
	s_waitcnt vmcnt(2) lgkmcnt(0)
	v_mul_f64 v[18:19], v[12:13], v[14:15]
	v_mul_f64 v[14:15], v[10:11], v[14:15]
	s_waitcnt vmcnt(0)
	v_fma_f64 v[10:11], v[10:11], v[16:17], -v[18:19]
	v_fma_f64 v[12:13], v[12:13], v[16:17], v[14:15]
	v_add_f64 v[3:4], v[3:4], v[10:11]
	v_add_f64 v[1:2], v[1:2], v[12:13]
	s_andn2_b32 exec_lo, exec_lo, s5
	s_cbranch_execnz .LBB41_157
; %bb.158:
	s_or_b32 exec_lo, exec_lo, s5
	v_mov_b32_e32 v7, 0
	ds_read_b128 v[7:10], v7 offset:576
	s_waitcnt lgkmcnt(0)
	v_mul_f64 v[11:12], v[1:2], v[9:10]
	v_mul_f64 v[9:10], v[3:4], v[9:10]
	v_fma_f64 v[3:4], v[3:4], v[7:8], -v[11:12]
	v_fma_f64 v[1:2], v[1:2], v[7:8], v[9:10]
	buffer_store_dword v4, off, s[0:3], 0 offset:596
	buffer_store_dword v3, off, s[0:3], 0 offset:592
	;; [unrolled: 1-line block ×4, first 2 shown]
.LBB41_159:
	s_or_b32 exec_lo, exec_lo, s4
	v_mov_b32_e32 v4, s14
	s_waitcnt_vscnt null, 0x0
	s_barrier
	buffer_gl0_inv
	s_mov_b32 s4, exec_lo
	s_clause 0x3
	buffer_load_dword v1, v4, s[0:3], 0 offen
	buffer_load_dword v2, v4, s[0:3], 0 offen offset:4
	buffer_load_dword v3, v4, s[0:3], 0 offen offset:8
	;; [unrolled: 1-line block ×3, first 2 shown]
	s_waitcnt vmcnt(0)
	ds_write_b128 v5, v[1:4]
	s_waitcnt lgkmcnt(0)
	s_barrier
	buffer_gl0_inv
	v_cmpx_gt_u32_e32 37, v0
	s_cbranch_execz .LBB41_163
; %bb.160:
	v_mov_b32_e32 v1, 0
	v_mov_b32_e32 v3, 0
	v_add_nc_u32_e32 v7, -1, v0
	v_add_nc_u32_e32 v8, 0x2a0, v145
	v_mov_b32_e32 v2, 0
	v_mov_b32_e32 v4, 0
	v_add_nc_u32_e32 v9, 16, v145
	s_mov_b32 s5, 0
	.p2align	6
.LBB41_161:                             ; =>This Inner Loop Header: Depth=1
	s_clause 0x3
	buffer_load_dword v14, v9, s[0:3], 0 offen offset:8
	buffer_load_dword v15, v9, s[0:3], 0 offen offset:12
	buffer_load_dword v16, v9, s[0:3], 0 offen
	buffer_load_dword v17, v9, s[0:3], 0 offen offset:4
	ds_read_b128 v[10:13], v8
	v_add_nc_u32_e32 v7, 1, v7
	v_add_nc_u32_e32 v8, 16, v8
	;; [unrolled: 1-line block ×3, first 2 shown]
	v_cmp_lt_u32_e32 vcc_lo, 35, v7
	s_or_b32 s5, vcc_lo, s5
	s_waitcnt vmcnt(2) lgkmcnt(0)
	v_mul_f64 v[18:19], v[12:13], v[14:15]
	v_mul_f64 v[14:15], v[10:11], v[14:15]
	s_waitcnt vmcnt(0)
	v_fma_f64 v[10:11], v[10:11], v[16:17], -v[18:19]
	v_fma_f64 v[12:13], v[12:13], v[16:17], v[14:15]
	v_add_f64 v[3:4], v[3:4], v[10:11]
	v_add_f64 v[1:2], v[1:2], v[12:13]
	s_andn2_b32 exec_lo, exec_lo, s5
	s_cbranch_execnz .LBB41_161
; %bb.162:
	s_or_b32 exec_lo, exec_lo, s5
	v_mov_b32_e32 v7, 0
	ds_read_b128 v[7:10], v7 offset:592
	s_waitcnt lgkmcnt(0)
	v_mul_f64 v[11:12], v[1:2], v[9:10]
	v_mul_f64 v[9:10], v[3:4], v[9:10]
	v_fma_f64 v[3:4], v[3:4], v[7:8], -v[11:12]
	v_fma_f64 v[1:2], v[1:2], v[7:8], v[9:10]
	buffer_store_dword v4, off, s[0:3], 0 offset:612
	buffer_store_dword v3, off, s[0:3], 0 offset:608
	;; [unrolled: 1-line block ×4, first 2 shown]
.LBB41_163:
	s_or_b32 exec_lo, exec_lo, s4
	v_mov_b32_e32 v4, s13
	s_waitcnt_vscnt null, 0x0
	s_barrier
	buffer_gl0_inv
	s_mov_b32 s4, exec_lo
	s_clause 0x3
	buffer_load_dword v1, v4, s[0:3], 0 offen
	buffer_load_dword v2, v4, s[0:3], 0 offen offset:4
	buffer_load_dword v3, v4, s[0:3], 0 offen offset:8
	;; [unrolled: 1-line block ×3, first 2 shown]
	s_waitcnt vmcnt(0)
	ds_write_b128 v5, v[1:4]
	s_waitcnt lgkmcnt(0)
	s_barrier
	buffer_gl0_inv
	v_cmpx_gt_u32_e32 38, v0
	s_cbranch_execz .LBB41_167
; %bb.164:
	v_mov_b32_e32 v1, 0
	v_mov_b32_e32 v3, 0
	v_add_nc_u32_e32 v7, -1, v0
	v_add_nc_u32_e32 v8, 0x2a0, v145
	v_mov_b32_e32 v2, 0
	v_mov_b32_e32 v4, 0
	v_add_nc_u32_e32 v9, 16, v145
	s_mov_b32 s5, 0
	.p2align	6
.LBB41_165:                             ; =>This Inner Loop Header: Depth=1
	s_clause 0x3
	buffer_load_dword v14, v9, s[0:3], 0 offen offset:8
	buffer_load_dword v15, v9, s[0:3], 0 offen offset:12
	buffer_load_dword v16, v9, s[0:3], 0 offen
	buffer_load_dword v17, v9, s[0:3], 0 offen offset:4
	ds_read_b128 v[10:13], v8
	v_add_nc_u32_e32 v7, 1, v7
	v_add_nc_u32_e32 v8, 16, v8
	;; [unrolled: 1-line block ×3, first 2 shown]
	v_cmp_lt_u32_e32 vcc_lo, 36, v7
	s_or_b32 s5, vcc_lo, s5
	s_waitcnt vmcnt(2) lgkmcnt(0)
	v_mul_f64 v[18:19], v[12:13], v[14:15]
	v_mul_f64 v[14:15], v[10:11], v[14:15]
	s_waitcnt vmcnt(0)
	v_fma_f64 v[10:11], v[10:11], v[16:17], -v[18:19]
	v_fma_f64 v[12:13], v[12:13], v[16:17], v[14:15]
	v_add_f64 v[3:4], v[3:4], v[10:11]
	v_add_f64 v[1:2], v[1:2], v[12:13]
	s_andn2_b32 exec_lo, exec_lo, s5
	s_cbranch_execnz .LBB41_165
; %bb.166:
	s_or_b32 exec_lo, exec_lo, s5
	v_mov_b32_e32 v7, 0
	ds_read_b128 v[7:10], v7 offset:608
	s_waitcnt lgkmcnt(0)
	v_mul_f64 v[11:12], v[1:2], v[9:10]
	v_mul_f64 v[9:10], v[3:4], v[9:10]
	v_fma_f64 v[3:4], v[3:4], v[7:8], -v[11:12]
	v_fma_f64 v[1:2], v[1:2], v[7:8], v[9:10]
	buffer_store_dword v4, off, s[0:3], 0 offset:628
	buffer_store_dword v3, off, s[0:3], 0 offset:624
	;; [unrolled: 1-line block ×4, first 2 shown]
.LBB41_167:
	s_or_b32 exec_lo, exec_lo, s4
	v_mov_b32_e32 v4, s12
	s_waitcnt_vscnt null, 0x0
	s_barrier
	buffer_gl0_inv
	s_mov_b32 s4, exec_lo
	s_clause 0x3
	buffer_load_dword v1, v4, s[0:3], 0 offen
	buffer_load_dword v2, v4, s[0:3], 0 offen offset:4
	buffer_load_dword v3, v4, s[0:3], 0 offen offset:8
	;; [unrolled: 1-line block ×3, first 2 shown]
	s_waitcnt vmcnt(0)
	ds_write_b128 v5, v[1:4]
	s_waitcnt lgkmcnt(0)
	s_barrier
	buffer_gl0_inv
	v_cmpx_gt_u32_e32 39, v0
	s_cbranch_execz .LBB41_171
; %bb.168:
	v_mov_b32_e32 v1, 0
	v_mov_b32_e32 v3, 0
	v_add_nc_u32_e32 v7, -1, v0
	v_add_nc_u32_e32 v8, 0x2a0, v145
	v_mov_b32_e32 v2, 0
	v_mov_b32_e32 v4, 0
	v_add_nc_u32_e32 v9, 16, v145
	s_mov_b32 s5, 0
	.p2align	6
.LBB41_169:                             ; =>This Inner Loop Header: Depth=1
	s_clause 0x3
	buffer_load_dword v14, v9, s[0:3], 0 offen offset:8
	buffer_load_dword v15, v9, s[0:3], 0 offen offset:12
	buffer_load_dword v16, v9, s[0:3], 0 offen
	buffer_load_dword v17, v9, s[0:3], 0 offen offset:4
	ds_read_b128 v[10:13], v8
	v_add_nc_u32_e32 v7, 1, v7
	v_add_nc_u32_e32 v8, 16, v8
	;; [unrolled: 1-line block ×3, first 2 shown]
	v_cmp_lt_u32_e32 vcc_lo, 37, v7
	s_or_b32 s5, vcc_lo, s5
	s_waitcnt vmcnt(2) lgkmcnt(0)
	v_mul_f64 v[18:19], v[12:13], v[14:15]
	v_mul_f64 v[14:15], v[10:11], v[14:15]
	s_waitcnt vmcnt(0)
	v_fma_f64 v[10:11], v[10:11], v[16:17], -v[18:19]
	v_fma_f64 v[12:13], v[12:13], v[16:17], v[14:15]
	v_add_f64 v[3:4], v[3:4], v[10:11]
	v_add_f64 v[1:2], v[1:2], v[12:13]
	s_andn2_b32 exec_lo, exec_lo, s5
	s_cbranch_execnz .LBB41_169
; %bb.170:
	s_or_b32 exec_lo, exec_lo, s5
	v_mov_b32_e32 v7, 0
	ds_read_b128 v[7:10], v7 offset:624
	s_waitcnt lgkmcnt(0)
	v_mul_f64 v[11:12], v[1:2], v[9:10]
	v_mul_f64 v[9:10], v[3:4], v[9:10]
	v_fma_f64 v[3:4], v[3:4], v[7:8], -v[11:12]
	v_fma_f64 v[1:2], v[1:2], v[7:8], v[9:10]
	buffer_store_dword v4, off, s[0:3], 0 offset:644
	buffer_store_dword v3, off, s[0:3], 0 offset:640
	;; [unrolled: 1-line block ×4, first 2 shown]
.LBB41_171:
	s_or_b32 exec_lo, exec_lo, s4
	v_mov_b32_e32 v4, s9
	s_waitcnt_vscnt null, 0x0
	s_barrier
	buffer_gl0_inv
	s_mov_b32 s4, exec_lo
	s_clause 0x3
	buffer_load_dword v1, v4, s[0:3], 0 offen
	buffer_load_dword v2, v4, s[0:3], 0 offen offset:4
	buffer_load_dword v3, v4, s[0:3], 0 offen offset:8
	;; [unrolled: 1-line block ×3, first 2 shown]
	s_waitcnt vmcnt(0)
	ds_write_b128 v5, v[1:4]
	s_waitcnt lgkmcnt(0)
	s_barrier
	buffer_gl0_inv
	v_cmpx_gt_u32_e32 40, v0
	s_cbranch_execz .LBB41_175
; %bb.172:
	v_mov_b32_e32 v1, 0
	v_mov_b32_e32 v3, 0
	v_add_nc_u32_e32 v7, -1, v0
	v_add_nc_u32_e32 v8, 0x2a0, v145
	v_mov_b32_e32 v2, 0
	v_mov_b32_e32 v4, 0
	v_add_nc_u32_e32 v9, 16, v145
	s_mov_b32 s5, 0
	.p2align	6
.LBB41_173:                             ; =>This Inner Loop Header: Depth=1
	s_clause 0x3
	buffer_load_dword v14, v9, s[0:3], 0 offen offset:8
	buffer_load_dword v15, v9, s[0:3], 0 offen offset:12
	buffer_load_dword v16, v9, s[0:3], 0 offen
	buffer_load_dword v17, v9, s[0:3], 0 offen offset:4
	ds_read_b128 v[10:13], v8
	v_add_nc_u32_e32 v7, 1, v7
	v_add_nc_u32_e32 v8, 16, v8
	;; [unrolled: 1-line block ×3, first 2 shown]
	v_cmp_lt_u32_e32 vcc_lo, 38, v7
	s_or_b32 s5, vcc_lo, s5
	s_waitcnt vmcnt(2) lgkmcnt(0)
	v_mul_f64 v[18:19], v[12:13], v[14:15]
	v_mul_f64 v[14:15], v[10:11], v[14:15]
	s_waitcnt vmcnt(0)
	v_fma_f64 v[10:11], v[10:11], v[16:17], -v[18:19]
	v_fma_f64 v[12:13], v[12:13], v[16:17], v[14:15]
	v_add_f64 v[3:4], v[3:4], v[10:11]
	v_add_f64 v[1:2], v[1:2], v[12:13]
	s_andn2_b32 exec_lo, exec_lo, s5
	s_cbranch_execnz .LBB41_173
; %bb.174:
	s_or_b32 exec_lo, exec_lo, s5
	v_mov_b32_e32 v7, 0
	ds_read_b128 v[7:10], v7 offset:640
	s_waitcnt lgkmcnt(0)
	v_mul_f64 v[11:12], v[1:2], v[9:10]
	v_mul_f64 v[9:10], v[3:4], v[9:10]
	v_fma_f64 v[3:4], v[3:4], v[7:8], -v[11:12]
	v_fma_f64 v[1:2], v[1:2], v[7:8], v[9:10]
	buffer_store_dword v4, off, s[0:3], 0 offset:660
	buffer_store_dword v3, off, s[0:3], 0 offset:656
	;; [unrolled: 1-line block ×4, first 2 shown]
.LBB41_175:
	s_or_b32 exec_lo, exec_lo, s4
	v_mov_b32_e32 v4, s8
	s_waitcnt_vscnt null, 0x0
	s_barrier
	buffer_gl0_inv
	s_mov_b32 s4, exec_lo
	s_clause 0x3
	buffer_load_dword v1, v4, s[0:3], 0 offen
	buffer_load_dword v2, v4, s[0:3], 0 offen offset:4
	buffer_load_dword v3, v4, s[0:3], 0 offen offset:8
	;; [unrolled: 1-line block ×3, first 2 shown]
	s_waitcnt vmcnt(0)
	ds_write_b128 v5, v[1:4]
	s_waitcnt lgkmcnt(0)
	s_barrier
	buffer_gl0_inv
	v_cmpx_ne_u32_e32 41, v0
	s_cbranch_execz .LBB41_179
; %bb.176:
	v_mov_b32_e32 v1, 0
	v_mov_b32_e32 v3, 0
	;; [unrolled: 1-line block ×4, first 2 shown]
	v_add_nc_u32_e32 v7, 16, v145
	s_mov_b32 s5, 0
	.p2align	6
.LBB41_177:                             ; =>This Inner Loop Header: Depth=1
	s_clause 0x3
	buffer_load_dword v12, v7, s[0:3], 0 offen offset:8
	buffer_load_dword v13, v7, s[0:3], 0 offen offset:12
	buffer_load_dword v14, v7, s[0:3], 0 offen
	buffer_load_dword v15, v7, s[0:3], 0 offen offset:4
	ds_read_b128 v[8:11], v5
	v_add_nc_u32_e32 v6, 1, v6
	v_add_nc_u32_e32 v5, 16, v5
	;; [unrolled: 1-line block ×3, first 2 shown]
	v_cmp_lt_u32_e32 vcc_lo, 39, v6
	s_or_b32 s5, vcc_lo, s5
	s_waitcnt vmcnt(2) lgkmcnt(0)
	v_mul_f64 v[16:17], v[10:11], v[12:13]
	v_mul_f64 v[12:13], v[8:9], v[12:13]
	s_waitcnt vmcnt(0)
	v_fma_f64 v[8:9], v[8:9], v[14:15], -v[16:17]
	v_fma_f64 v[10:11], v[10:11], v[14:15], v[12:13]
	v_add_f64 v[3:4], v[3:4], v[8:9]
	v_add_f64 v[1:2], v[1:2], v[10:11]
	s_andn2_b32 exec_lo, exec_lo, s5
	s_cbranch_execnz .LBB41_177
; %bb.178:
	s_or_b32 exec_lo, exec_lo, s5
	v_mov_b32_e32 v5, 0
	ds_read_b128 v[5:8], v5 offset:656
	s_waitcnt lgkmcnt(0)
	v_mul_f64 v[9:10], v[1:2], v[7:8]
	v_mul_f64 v[7:8], v[3:4], v[7:8]
	v_fma_f64 v[3:4], v[3:4], v[5:6], -v[9:10]
	v_fma_f64 v[1:2], v[1:2], v[5:6], v[7:8]
	buffer_store_dword v4, off, s[0:3], 0 offset:676
	buffer_store_dword v3, off, s[0:3], 0 offset:672
	;; [unrolled: 1-line block ×4, first 2 shown]
.LBB41_179:
	s_or_b32 exec_lo, exec_lo, s4
	s_mov_b32 s5, -1
	s_waitcnt_vscnt null, 0x0
	s_barrier
	buffer_gl0_inv
.LBB41_180:
	s_and_b32 vcc_lo, exec_lo, s5
	s_cbranch_vccz .LBB41_182
; %bb.181:
	s_lshl_b64 s[4:5], s[6:7], 2
	v_mov_b32_e32 v1, 0
	s_add_u32 s4, s10, s4
	s_addc_u32 s5, s11, s5
	global_load_dword v1, v1, s[4:5]
	s_waitcnt vmcnt(0)
	v_cmp_ne_u32_e32 vcc_lo, 0, v1
	s_cbranch_vccz .LBB41_183
.LBB41_182:
	s_endpgm
.LBB41_183:
	v_lshl_add_u32 v145, v0, 4, 0x2a0
	s_mov_b32 s4, exec_lo
	v_cmpx_eq_u32_e32 41, v0
	s_cbranch_execz .LBB41_185
; %bb.184:
	v_mov_b32_e32 v4, s9
	v_mov_b32_e32 v5, 0
	s_clause 0x3
	buffer_load_dword v1, v4, s[0:3], 0 offen
	buffer_load_dword v2, v4, s[0:3], 0 offen offset:4
	buffer_load_dword v3, v4, s[0:3], 0 offen offset:8
	;; [unrolled: 1-line block ×3, first 2 shown]
	buffer_store_dword v5, off, s[0:3], 0 offset:656
	buffer_store_dword v5, off, s[0:3], 0 offset:660
	;; [unrolled: 1-line block ×4, first 2 shown]
	s_waitcnt vmcnt(0)
	ds_write_b128 v145, v[1:4]
.LBB41_185:
	s_or_b32 exec_lo, exec_lo, s4
	s_waitcnt lgkmcnt(0)
	s_waitcnt_vscnt null, 0x0
	s_barrier
	buffer_gl0_inv
	s_clause 0x7
	buffer_load_dword v6, off, s[0:3], 0 offset:680
	buffer_load_dword v7, off, s[0:3], 0 offset:684
	;; [unrolled: 1-line block ×8, first 2 shown]
	v_mov_b32_e32 v1, 0
	s_mov_b32 s4, exec_lo
	ds_read_b128 v[2:5], v1 offset:1328
	s_waitcnt vmcnt(6) lgkmcnt(0)
	v_mul_f64 v[14:15], v[4:5], v[6:7]
	v_mul_f64 v[6:7], v[2:3], v[6:7]
	s_waitcnt vmcnt(4)
	v_fma_f64 v[2:3], v[2:3], v[8:9], -v[14:15]
	v_fma_f64 v[4:5], v[4:5], v[8:9], v[6:7]
	v_add_f64 v[2:3], v[2:3], 0
	v_add_f64 v[4:5], v[4:5], 0
	s_waitcnt vmcnt(2)
	v_add_f64 v[2:3], v[10:11], -v[2:3]
	s_waitcnt vmcnt(0)
	v_add_f64 v[4:5], v[12:13], -v[4:5]
	buffer_store_dword v2, off, s[0:3], 0 offset:656
	buffer_store_dword v3, off, s[0:3], 0 offset:660
	;; [unrolled: 1-line block ×4, first 2 shown]
	v_cmpx_lt_u32_e32 39, v0
	s_cbranch_execz .LBB41_187
; %bb.186:
	v_mov_b32_e32 v5, s12
	s_clause 0x3
	buffer_load_dword v2, v5, s[0:3], 0 offen
	buffer_load_dword v3, v5, s[0:3], 0 offen offset:4
	buffer_load_dword v4, v5, s[0:3], 0 offen offset:8
	;; [unrolled: 1-line block ×3, first 2 shown]
	buffer_store_dword v1, off, s[0:3], 0 offset:640
	buffer_store_dword v1, off, s[0:3], 0 offset:644
	;; [unrolled: 1-line block ×4, first 2 shown]
	s_waitcnt vmcnt(0)
	ds_write_b128 v145, v[2:5]
.LBB41_187:
	s_or_b32 exec_lo, exec_lo, s4
	s_waitcnt lgkmcnt(0)
	s_waitcnt_vscnt null, 0x0
	s_barrier
	buffer_gl0_inv
	s_clause 0xb
	buffer_load_dword v10, off, s[0:3], 0 offset:664
	buffer_load_dword v11, off, s[0:3], 0 offset:668
	;; [unrolled: 1-line block ×12, first 2 shown]
	ds_read_b128 v[2:5], v1 offset:1312
	ds_read_b128 v[6:9], v1 offset:1328
	s_mov_b32 s4, exec_lo
	s_waitcnt vmcnt(10) lgkmcnt(1)
	v_mul_f64 v[29:30], v[4:5], v[10:11]
	v_mul_f64 v[10:11], v[2:3], v[10:11]
	s_waitcnt vmcnt(8) lgkmcnt(0)
	v_mul_f64 v[31:32], v[8:9], v[12:13]
	v_mul_f64 v[12:13], v[6:7], v[12:13]
	s_waitcnt vmcnt(6)
	v_fma_f64 v[1:2], v[2:3], v[14:15], -v[29:30]
	v_fma_f64 v[3:4], v[4:5], v[14:15], v[10:11]
	s_waitcnt vmcnt(4)
	v_fma_f64 v[5:6], v[6:7], v[16:17], -v[31:32]
	v_fma_f64 v[7:8], v[8:9], v[16:17], v[12:13]
	v_add_f64 v[1:2], v[1:2], 0
	v_add_f64 v[3:4], v[3:4], 0
	v_add_f64 v[1:2], v[1:2], v[5:6]
	v_add_f64 v[3:4], v[3:4], v[7:8]
	s_waitcnt vmcnt(2)
	v_add_f64 v[1:2], v[18:19], -v[1:2]
	s_waitcnt vmcnt(0)
	v_add_f64 v[3:4], v[27:28], -v[3:4]
	buffer_store_dword v1, off, s[0:3], 0 offset:640
	buffer_store_dword v2, off, s[0:3], 0 offset:644
	;; [unrolled: 1-line block ×4, first 2 shown]
	v_cmpx_lt_u32_e32 38, v0
	s_cbranch_execz .LBB41_189
; %bb.188:
	v_mov_b32_e32 v4, s13
	v_mov_b32_e32 v5, 0
	s_clause 0x3
	buffer_load_dword v1, v4, s[0:3], 0 offen
	buffer_load_dword v2, v4, s[0:3], 0 offen offset:4
	buffer_load_dword v3, v4, s[0:3], 0 offen offset:8
	buffer_load_dword v4, v4, s[0:3], 0 offen offset:12
	buffer_store_dword v5, off, s[0:3], 0 offset:624
	buffer_store_dword v5, off, s[0:3], 0 offset:628
	;; [unrolled: 1-line block ×4, first 2 shown]
	s_waitcnt vmcnt(0)
	ds_write_b128 v145, v[1:4]
.LBB41_189:
	s_or_b32 exec_lo, exec_lo, s4
	s_waitcnt lgkmcnt(0)
	s_waitcnt_vscnt null, 0x0
	s_barrier
	buffer_gl0_inv
	s_clause 0xf
	buffer_load_dword v10, off, s[0:3], 0 offset:648
	buffer_load_dword v11, off, s[0:3], 0 offset:652
	;; [unrolled: 1-line block ×16, first 2 shown]
	v_mov_b32_e32 v1, 0
	ds_read_b128 v[2:5], v1 offset:1296
	ds_read_b128 v[6:9], v1 offset:1312
	s_mov_b32 s4, exec_lo
	s_waitcnt vmcnt(14) lgkmcnt(1)
	v_mul_f64 v[35:36], v[4:5], v[10:11]
	v_mul_f64 v[37:38], v[2:3], v[10:11]
	s_waitcnt vmcnt(12) lgkmcnt(0)
	v_mul_f64 v[39:40], v[8:9], v[14:15]
	ds_read_b128 v[10:13], v1 offset:1328
	v_mul_f64 v[14:15], v[6:7], v[14:15]
	s_waitcnt vmcnt(10)
	v_fma_f64 v[2:3], v[2:3], v[16:17], -v[35:36]
	v_fma_f64 v[4:5], v[4:5], v[16:17], v[37:38]
	s_waitcnt vmcnt(8) lgkmcnt(0)
	v_mul_f64 v[16:17], v[10:11], v[18:19]
	v_mul_f64 v[18:19], v[12:13], v[18:19]
	s_waitcnt vmcnt(6)
	v_fma_f64 v[6:7], v[6:7], v[27:28], -v[39:40]
	v_fma_f64 v[8:9], v[8:9], v[27:28], v[14:15]
	v_add_f64 v[2:3], v[2:3], 0
	v_add_f64 v[4:5], v[4:5], 0
	s_waitcnt vmcnt(4)
	v_fma_f64 v[10:11], v[10:11], v[29:30], -v[18:19]
	v_add_f64 v[2:3], v[2:3], v[6:7]
	v_fma_f64 v[6:7], v[12:13], v[29:30], v[16:17]
	v_add_f64 v[4:5], v[4:5], v[8:9]
	v_add_f64 v[2:3], v[2:3], v[10:11]
	;; [unrolled: 1-line block ×3, first 2 shown]
	s_waitcnt vmcnt(2)
	v_add_f64 v[2:3], v[31:32], -v[2:3]
	s_waitcnt vmcnt(0)
	v_add_f64 v[4:5], v[33:34], -v[4:5]
	buffer_store_dword v2, off, s[0:3], 0 offset:624
	buffer_store_dword v3, off, s[0:3], 0 offset:628
	;; [unrolled: 1-line block ×4, first 2 shown]
	v_cmpx_lt_u32_e32 37, v0
	s_cbranch_execz .LBB41_191
; %bb.190:
	v_mov_b32_e32 v5, s14
	s_clause 0x3
	buffer_load_dword v2, v5, s[0:3], 0 offen
	buffer_load_dword v3, v5, s[0:3], 0 offen offset:4
	buffer_load_dword v4, v5, s[0:3], 0 offen offset:8
	;; [unrolled: 1-line block ×3, first 2 shown]
	buffer_store_dword v1, off, s[0:3], 0 offset:608
	buffer_store_dword v1, off, s[0:3], 0 offset:612
	;; [unrolled: 1-line block ×4, first 2 shown]
	s_waitcnt vmcnt(0)
	ds_write_b128 v145, v[2:5]
.LBB41_191:
	s_or_b32 exec_lo, exec_lo, s4
	s_waitcnt lgkmcnt(0)
	s_waitcnt_vscnt null, 0x0
	s_barrier
	buffer_gl0_inv
	s_clause 0x13
	buffer_load_dword v10, off, s[0:3], 0 offset:632
	buffer_load_dword v11, off, s[0:3], 0 offset:636
	;; [unrolled: 1-line block ×20, first 2 shown]
	ds_read_b128 v[2:5], v1 offset:1280
	ds_read_b128 v[6:9], v1 offset:1296
	s_mov_b32 s4, exec_lo
	s_waitcnt vmcnt(18) lgkmcnt(1)
	v_mul_f64 v[39:40], v[4:5], v[10:11]
	v_mul_f64 v[43:44], v[2:3], v[10:11]
	s_waitcnt vmcnt(16) lgkmcnt(0)
	v_mul_f64 v[45:46], v[8:9], v[14:15]
	ds_read_b128 v[10:13], v1 offset:1312
	v_mul_f64 v[14:15], v[6:7], v[14:15]
	s_waitcnt vmcnt(14)
	v_fma_f64 v[39:40], v[2:3], v[16:17], -v[39:40]
	v_fma_f64 v[16:17], v[4:5], v[16:17], v[43:44]
	s_waitcnt vmcnt(12) lgkmcnt(0)
	v_mul_f64 v[43:44], v[10:11], v[18:19]
	v_mul_f64 v[18:19], v[12:13], v[18:19]
	s_waitcnt vmcnt(10)
	v_fma_f64 v[5:6], v[6:7], v[27:28], -v[45:46]
	ds_read_b128 v[1:4], v1 offset:1328
	v_fma_f64 v[7:8], v[8:9], v[27:28], v[14:15]
	v_add_f64 v[39:40], v[39:40], 0
	v_add_f64 v[14:15], v[16:17], 0
	s_waitcnt vmcnt(8) lgkmcnt(0)
	v_mul_f64 v[27:28], v[3:4], v[29:30]
	s_waitcnt vmcnt(6)
	v_fma_f64 v[9:10], v[10:11], v[31:32], -v[18:19]
	v_mul_f64 v[16:17], v[1:2], v[29:30]
	v_fma_f64 v[11:12], v[12:13], v[31:32], v[43:44]
	v_add_f64 v[5:6], v[39:40], v[5:6]
	v_add_f64 v[7:8], v[14:15], v[7:8]
	s_waitcnt vmcnt(4)
	v_fma_f64 v[1:2], v[1:2], v[33:34], -v[27:28]
	v_fma_f64 v[3:4], v[3:4], v[33:34], v[16:17]
	v_add_f64 v[5:6], v[5:6], v[9:10]
	v_add_f64 v[7:8], v[7:8], v[11:12]
	;; [unrolled: 1-line block ×4, first 2 shown]
	s_waitcnt vmcnt(2)
	v_add_f64 v[1:2], v[35:36], -v[1:2]
	s_waitcnt vmcnt(0)
	v_add_f64 v[3:4], v[37:38], -v[3:4]
	buffer_store_dword v1, off, s[0:3], 0 offset:608
	buffer_store_dword v2, off, s[0:3], 0 offset:612
	;; [unrolled: 1-line block ×4, first 2 shown]
	v_cmpx_lt_u32_e32 36, v0
	s_cbranch_execz .LBB41_193
; %bb.192:
	v_mov_b32_e32 v4, s15
	v_mov_b32_e32 v5, 0
	s_clause 0x3
	buffer_load_dword v1, v4, s[0:3], 0 offen
	buffer_load_dword v2, v4, s[0:3], 0 offen offset:4
	buffer_load_dword v3, v4, s[0:3], 0 offen offset:8
	;; [unrolled: 1-line block ×3, first 2 shown]
	buffer_store_dword v5, off, s[0:3], 0 offset:592
	buffer_store_dword v5, off, s[0:3], 0 offset:596
	;; [unrolled: 1-line block ×4, first 2 shown]
	s_waitcnt vmcnt(0)
	ds_write_b128 v145, v[1:4]
.LBB41_193:
	s_or_b32 exec_lo, exec_lo, s4
	s_waitcnt lgkmcnt(0)
	s_waitcnt_vscnt null, 0x0
	s_barrier
	buffer_gl0_inv
	s_clause 0x17
	buffer_load_dword v10, off, s[0:3], 0 offset:616
	buffer_load_dword v11, off, s[0:3], 0 offset:620
	;; [unrolled: 1-line block ×24, first 2 shown]
	v_mov_b32_e32 v1, 0
	ds_read_b128 v[2:5], v1 offset:1264
	ds_read_b128 v[6:9], v1 offset:1280
	s_mov_b32 s4, exec_lo
	s_waitcnt vmcnt(22) lgkmcnt(1)
	v_mul_f64 v[45:46], v[4:5], v[10:11]
	v_mul_f64 v[47:48], v[2:3], v[10:11]
	s_waitcnt vmcnt(20) lgkmcnt(0)
	v_mul_f64 v[49:50], v[8:9], v[14:15]
	ds_read_b128 v[10:13], v1 offset:1296
	v_mul_f64 v[14:15], v[6:7], v[14:15]
	s_waitcnt vmcnt(18)
	v_fma_f64 v[45:46], v[2:3], v[16:17], -v[45:46]
	v_fma_f64 v[16:17], v[4:5], v[16:17], v[47:48]
	ds_read_b128 v[2:5], v1 offset:1312
	s_waitcnt vmcnt(16) lgkmcnt(1)
	v_mul_f64 v[47:48], v[10:11], v[18:19]
	v_mul_f64 v[18:19], v[12:13], v[18:19]
	s_waitcnt vmcnt(14)
	v_fma_f64 v[49:50], v[6:7], v[27:28], -v[49:50]
	v_fma_f64 v[14:15], v[8:9], v[27:28], v[14:15]
	ds_read_b128 v[6:9], v1 offset:1328
	s_waitcnt vmcnt(10) lgkmcnt(1)
	v_mul_f64 v[27:28], v[2:3], v[29:30]
	v_add_f64 v[45:46], v[45:46], 0
	v_add_f64 v[16:17], v[16:17], 0
	v_mul_f64 v[29:30], v[4:5], v[29:30]
	s_waitcnt vmcnt(8)
	v_fma_f64 v[10:11], v[10:11], v[35:36], -v[18:19]
	v_fma_f64 v[12:13], v[12:13], v[35:36], v[47:48]
	s_waitcnt vmcnt(5)
	v_fma_f64 v[4:5], v[4:5], v[37:38], v[27:28]
	v_add_f64 v[18:19], v[45:46], v[49:50]
	v_add_f64 v[14:15], v[16:17], v[14:15]
	s_waitcnt lgkmcnt(0)
	v_mul_f64 v[16:17], v[6:7], v[31:32]
	v_mul_f64 v[31:32], v[8:9], v[31:32]
	v_fma_f64 v[2:3], v[2:3], v[37:38], -v[29:30]
	v_add_f64 v[10:11], v[18:19], v[10:11]
	v_add_f64 v[12:13], v[14:15], v[12:13]
	s_waitcnt vmcnt(4)
	v_fma_f64 v[8:9], v[8:9], v[33:34], v[16:17]
	v_fma_f64 v[6:7], v[6:7], v[33:34], -v[31:32]
	v_add_f64 v[2:3], v[10:11], v[2:3]
	v_add_f64 v[4:5], v[12:13], v[4:5]
	;; [unrolled: 1-line block ×4, first 2 shown]
	s_waitcnt vmcnt(2)
	v_add_f64 v[2:3], v[39:40], -v[2:3]
	s_waitcnt vmcnt(0)
	v_add_f64 v[4:5], v[43:44], -v[4:5]
	buffer_store_dword v3, off, s[0:3], 0 offset:596
	buffer_store_dword v2, off, s[0:3], 0 offset:592
	;; [unrolled: 1-line block ×4, first 2 shown]
	v_cmpx_lt_u32_e32 35, v0
	s_cbranch_execz .LBB41_195
; %bb.194:
	v_mov_b32_e32 v5, s16
	s_clause 0x3
	buffer_load_dword v2, v5, s[0:3], 0 offen
	buffer_load_dword v3, v5, s[0:3], 0 offen offset:4
	buffer_load_dword v4, v5, s[0:3], 0 offen offset:8
	;; [unrolled: 1-line block ×3, first 2 shown]
	buffer_store_dword v1, off, s[0:3], 0 offset:576
	buffer_store_dword v1, off, s[0:3], 0 offset:580
	;; [unrolled: 1-line block ×4, first 2 shown]
	s_waitcnt vmcnt(0)
	ds_write_b128 v145, v[2:5]
.LBB41_195:
	s_or_b32 exec_lo, exec_lo, s4
	s_waitcnt lgkmcnt(0)
	s_waitcnt_vscnt null, 0x0
	s_barrier
	buffer_gl0_inv
	s_clause 0x1b
	buffer_load_dword v10, off, s[0:3], 0 offset:600
	buffer_load_dword v11, off, s[0:3], 0 offset:604
	;; [unrolled: 1-line block ×28, first 2 shown]
	ds_read_b128 v[2:5], v1 offset:1248
	ds_read_b128 v[6:9], v1 offset:1264
	s_mov_b32 s4, exec_lo
	s_waitcnt vmcnt(26) lgkmcnt(1)
	v_mul_f64 v[49:50], v[4:5], v[10:11]
	v_mul_f64 v[51:52], v[2:3], v[10:11]
	s_waitcnt vmcnt(24) lgkmcnt(0)
	v_mul_f64 v[53:54], v[8:9], v[14:15]
	ds_read_b128 v[10:13], v1 offset:1280
	v_mul_f64 v[14:15], v[6:7], v[14:15]
	s_waitcnt vmcnt(22)
	v_fma_f64 v[49:50], v[2:3], v[16:17], -v[49:50]
	v_fma_f64 v[16:17], v[4:5], v[16:17], v[51:52]
	ds_read_b128 v[2:5], v1 offset:1296
	s_waitcnt vmcnt(20) lgkmcnt(1)
	v_mul_f64 v[51:52], v[10:11], v[18:19]
	v_mul_f64 v[18:19], v[12:13], v[18:19]
	s_waitcnt vmcnt(18)
	v_fma_f64 v[53:54], v[6:7], v[27:28], -v[53:54]
	v_fma_f64 v[14:15], v[8:9], v[27:28], v[14:15]
	ds_read_b128 v[6:9], v1 offset:1312
	s_waitcnt vmcnt(14) lgkmcnt(1)
	v_mul_f64 v[27:28], v[2:3], v[29:30]
	v_add_f64 v[49:50], v[49:50], 0
	v_add_f64 v[16:17], v[16:17], 0
	v_mul_f64 v[29:30], v[4:5], v[29:30]
	s_waitcnt vmcnt(12)
	v_fma_f64 v[18:19], v[10:11], v[35:36], -v[18:19]
	v_fma_f64 v[35:36], v[12:13], v[35:36], v[51:52]
	ds_read_b128 v[10:13], v1 offset:1328
	v_add_f64 v[49:50], v[49:50], v[53:54]
	v_add_f64 v[14:15], v[16:17], v[14:15]
	s_waitcnt vmcnt(11) lgkmcnt(1)
	v_mul_f64 v[16:17], v[6:7], v[31:32]
	v_mul_f64 v[31:32], v[8:9], v[31:32]
	s_waitcnt vmcnt(9)
	v_fma_f64 v[1:2], v[2:3], v[37:38], -v[29:30]
	v_fma_f64 v[3:4], v[4:5], v[37:38], v[27:28]
	s_waitcnt vmcnt(7) lgkmcnt(0)
	v_mul_f64 v[29:30], v[12:13], v[39:40]
	v_mul_f64 v[27:28], v[10:11], v[39:40]
	v_add_f64 v[18:19], v[49:50], v[18:19]
	v_add_f64 v[14:15], v[14:15], v[35:36]
	s_waitcnt vmcnt(6)
	v_fma_f64 v[5:6], v[6:7], v[33:34], -v[31:32]
	v_fma_f64 v[7:8], v[8:9], v[33:34], v[16:17]
	s_waitcnt vmcnt(4)
	v_fma_f64 v[9:10], v[10:11], v[43:44], -v[29:30]
	v_add_f64 v[1:2], v[18:19], v[1:2]
	v_add_f64 v[3:4], v[14:15], v[3:4]
	;; [unrolled: 1-line block ×3, first 2 shown]
	v_fma_f64 v[5:6], v[12:13], v[43:44], v[27:28]
	v_add_f64 v[3:4], v[3:4], v[7:8]
	v_add_f64 v[1:2], v[1:2], v[9:10]
	v_add_f64 v[3:4], v[3:4], v[5:6]
	s_waitcnt vmcnt(2)
	v_add_f64 v[1:2], v[45:46], -v[1:2]
	s_waitcnt vmcnt(0)
	v_add_f64 v[3:4], v[47:48], -v[3:4]
	buffer_store_dword v2, off, s[0:3], 0 offset:580
	buffer_store_dword v1, off, s[0:3], 0 offset:576
	;; [unrolled: 1-line block ×4, first 2 shown]
	v_cmpx_lt_u32_e32 34, v0
	s_cbranch_execz .LBB41_197
; %bb.196:
	v_mov_b32_e32 v4, s17
	v_mov_b32_e32 v5, 0
	s_clause 0x3
	buffer_load_dword v1, v4, s[0:3], 0 offen
	buffer_load_dword v2, v4, s[0:3], 0 offen offset:4
	buffer_load_dword v3, v4, s[0:3], 0 offen offset:8
	;; [unrolled: 1-line block ×3, first 2 shown]
	buffer_store_dword v5, off, s[0:3], 0 offset:560
	buffer_store_dword v5, off, s[0:3], 0 offset:564
	;; [unrolled: 1-line block ×4, first 2 shown]
	s_waitcnt vmcnt(0)
	ds_write_b128 v145, v[1:4]
.LBB41_197:
	s_or_b32 exec_lo, exec_lo, s4
	s_waitcnt lgkmcnt(0)
	s_waitcnt_vscnt null, 0x0
	s_barrier
	buffer_gl0_inv
	s_clause 0x1f
	buffer_load_dword v10, off, s[0:3], 0 offset:584
	buffer_load_dword v11, off, s[0:3], 0 offset:588
	;; [unrolled: 1-line block ×32, first 2 shown]
	v_mov_b32_e32 v1, 0
	ds_read_b128 v[2:5], v1 offset:1232
	ds_read_b128 v[6:9], v1 offset:1248
	s_mov_b32 s4, exec_lo
	s_waitcnt vmcnt(30) lgkmcnt(1)
	v_mul_f64 v[53:54], v[4:5], v[10:11]
	v_mul_f64 v[55:56], v[2:3], v[10:11]
	s_waitcnt vmcnt(28) lgkmcnt(0)
	v_mul_f64 v[57:58], v[8:9], v[14:15]
	ds_read_b128 v[10:13], v1 offset:1264
	v_mul_f64 v[14:15], v[6:7], v[14:15]
	s_waitcnt vmcnt(26)
	v_fma_f64 v[53:54], v[2:3], v[16:17], -v[53:54]
	v_fma_f64 v[16:17], v[4:5], v[16:17], v[55:56]
	ds_read_b128 v[2:5], v1 offset:1280
	s_waitcnt vmcnt(24) lgkmcnt(1)
	v_mul_f64 v[55:56], v[10:11], v[18:19]
	v_mul_f64 v[18:19], v[12:13], v[18:19]
	s_waitcnt vmcnt(22)
	v_fma_f64 v[57:58], v[6:7], v[27:28], -v[57:58]
	v_fma_f64 v[14:15], v[8:9], v[27:28], v[14:15]
	ds_read_b128 v[6:9], v1 offset:1296
	s_waitcnt vmcnt(18) lgkmcnt(1)
	v_mul_f64 v[27:28], v[2:3], v[29:30]
	v_add_f64 v[53:54], v[53:54], 0
	v_add_f64 v[16:17], v[16:17], 0
	v_mul_f64 v[29:30], v[4:5], v[29:30]
	s_waitcnt vmcnt(16)
	v_fma_f64 v[18:19], v[10:11], v[35:36], -v[18:19]
	v_fma_f64 v[35:36], v[12:13], v[35:36], v[55:56]
	ds_read_b128 v[10:13], v1 offset:1312
	s_waitcnt vmcnt(13)
	v_fma_f64 v[27:28], v[4:5], v[37:38], v[27:28]
	v_add_f64 v[53:54], v[53:54], v[57:58]
	v_add_f64 v[14:15], v[16:17], v[14:15]
	s_waitcnt lgkmcnt(1)
	v_mul_f64 v[16:17], v[6:7], v[31:32]
	v_mul_f64 v[31:32], v[8:9], v[31:32]
	v_fma_f64 v[29:30], v[2:3], v[37:38], -v[29:30]
	s_waitcnt vmcnt(9) lgkmcnt(0)
	v_mul_f64 v[37:38], v[12:13], v[39:40]
	ds_read_b128 v[2:5], v1 offset:1328
	v_add_f64 v[18:19], v[53:54], v[18:19]
	v_add_f64 v[14:15], v[14:15], v[35:36]
	v_mul_f64 v[35:36], v[10:11], v[39:40]
	s_waitcnt vmcnt(8)
	v_fma_f64 v[6:7], v[6:7], v[33:34], -v[31:32]
	v_fma_f64 v[8:9], v[8:9], v[33:34], v[16:17]
	s_waitcnt vmcnt(5)
	v_fma_f64 v[10:11], v[10:11], v[47:48], -v[37:38]
	s_waitcnt lgkmcnt(0)
	v_mul_f64 v[16:17], v[2:3], v[43:44]
	v_add_f64 v[18:19], v[18:19], v[29:30]
	v_add_f64 v[14:15], v[14:15], v[27:28]
	v_mul_f64 v[27:28], v[4:5], v[43:44]
	v_fma_f64 v[12:13], v[12:13], v[47:48], v[35:36]
	s_waitcnt vmcnt(4)
	v_fma_f64 v[4:5], v[4:5], v[45:46], v[16:17]
	v_add_f64 v[6:7], v[18:19], v[6:7]
	v_add_f64 v[8:9], v[14:15], v[8:9]
	v_fma_f64 v[2:3], v[2:3], v[45:46], -v[27:28]
	v_add_f64 v[6:7], v[6:7], v[10:11]
	v_add_f64 v[8:9], v[8:9], v[12:13]
	;; [unrolled: 1-line block ×4, first 2 shown]
	s_waitcnt vmcnt(2)
	v_add_f64 v[2:3], v[49:50], -v[2:3]
	s_waitcnt vmcnt(0)
	v_add_f64 v[4:5], v[51:52], -v[4:5]
	buffer_store_dword v3, off, s[0:3], 0 offset:564
	buffer_store_dword v2, off, s[0:3], 0 offset:560
	;; [unrolled: 1-line block ×4, first 2 shown]
	v_cmpx_lt_u32_e32 33, v0
	s_cbranch_execz .LBB41_199
; %bb.198:
	v_mov_b32_e32 v5, s19
	s_clause 0x3
	buffer_load_dword v2, v5, s[0:3], 0 offen
	buffer_load_dword v3, v5, s[0:3], 0 offen offset:4
	buffer_load_dword v4, v5, s[0:3], 0 offen offset:8
	;; [unrolled: 1-line block ×3, first 2 shown]
	buffer_store_dword v1, off, s[0:3], 0 offset:544
	buffer_store_dword v1, off, s[0:3], 0 offset:548
	;; [unrolled: 1-line block ×4, first 2 shown]
	s_waitcnt vmcnt(0)
	ds_write_b128 v145, v[2:5]
.LBB41_199:
	s_or_b32 exec_lo, exec_lo, s4
	s_waitcnt lgkmcnt(0)
	s_waitcnt_vscnt null, 0x0
	s_barrier
	buffer_gl0_inv
	s_clause 0x23
	buffer_load_dword v10, off, s[0:3], 0 offset:568
	buffer_load_dword v11, off, s[0:3], 0 offset:572
	;; [unrolled: 1-line block ×36, first 2 shown]
	ds_read_b128 v[2:5], v1 offset:1216
	ds_read_b128 v[6:9], v1 offset:1232
	s_mov_b32 s4, exec_lo
	s_waitcnt vmcnt(34) lgkmcnt(1)
	v_mul_f64 v[57:58], v[4:5], v[10:11]
	v_mul_f64 v[59:60], v[2:3], v[10:11]
	s_waitcnt vmcnt(32) lgkmcnt(0)
	v_mul_f64 v[65:66], v[8:9], v[14:15]
	ds_read_b128 v[10:13], v1 offset:1248
	v_mul_f64 v[14:15], v[6:7], v[14:15]
	s_waitcnt vmcnt(30)
	v_fma_f64 v[57:58], v[2:3], v[16:17], -v[57:58]
	v_fma_f64 v[16:17], v[4:5], v[16:17], v[59:60]
	ds_read_b128 v[2:5], v1 offset:1264
	s_waitcnt vmcnt(28) lgkmcnt(1)
	v_mul_f64 v[59:60], v[10:11], v[18:19]
	v_mul_f64 v[18:19], v[12:13], v[18:19]
	s_waitcnt vmcnt(26)
	v_fma_f64 v[65:66], v[6:7], v[27:28], -v[65:66]
	v_fma_f64 v[14:15], v[8:9], v[27:28], v[14:15]
	ds_read_b128 v[6:9], v1 offset:1280
	s_waitcnt vmcnt(22) lgkmcnt(1)
	v_mul_f64 v[27:28], v[2:3], v[29:30]
	v_add_f64 v[57:58], v[57:58], 0
	v_add_f64 v[16:17], v[16:17], 0
	v_mul_f64 v[29:30], v[4:5], v[29:30]
	s_waitcnt vmcnt(20)
	v_fma_f64 v[18:19], v[10:11], v[35:36], -v[18:19]
	v_fma_f64 v[35:36], v[12:13], v[35:36], v[59:60]
	ds_read_b128 v[10:13], v1 offset:1296
	s_waitcnt vmcnt(17)
	v_fma_f64 v[27:28], v[4:5], v[37:38], v[27:28]
	v_add_f64 v[57:58], v[57:58], v[65:66]
	v_add_f64 v[14:15], v[16:17], v[14:15]
	s_waitcnt lgkmcnt(1)
	v_mul_f64 v[16:17], v[6:7], v[31:32]
	v_mul_f64 v[31:32], v[8:9], v[31:32]
	v_fma_f64 v[29:30], v[2:3], v[37:38], -v[29:30]
	s_waitcnt vmcnt(13) lgkmcnt(0)
	v_mul_f64 v[37:38], v[12:13], v[39:40]
	ds_read_b128 v[2:5], v1 offset:1312
	v_add_f64 v[18:19], v[57:58], v[18:19]
	v_add_f64 v[14:15], v[14:15], v[35:36]
	v_mul_f64 v[35:36], v[10:11], v[39:40]
	s_waitcnt vmcnt(12)
	v_fma_f64 v[31:32], v[6:7], v[33:34], -v[31:32]
	v_fma_f64 v[16:17], v[8:9], v[33:34], v[16:17]
	ds_read_b128 v[6:9], v1 offset:1328
	s_waitcnt vmcnt(9)
	v_fma_f64 v[10:11], v[10:11], v[47:48], -v[37:38]
	v_add_f64 v[18:19], v[18:19], v[29:30]
	v_add_f64 v[14:15], v[14:15], v[27:28]
	s_waitcnt lgkmcnt(1)
	v_mul_f64 v[29:30], v[4:5], v[43:44]
	v_mul_f64 v[27:28], v[2:3], v[43:44]
	v_fma_f64 v[12:13], v[12:13], v[47:48], v[35:36]
	v_add_f64 v[18:19], v[18:19], v[31:32]
	v_add_f64 v[14:15], v[14:15], v[16:17]
	s_waitcnt vmcnt(7) lgkmcnt(0)
	v_mul_f64 v[31:32], v[8:9], v[49:50]
	s_waitcnt vmcnt(6)
	v_fma_f64 v[1:2], v[2:3], v[45:46], -v[29:30]
	v_mul_f64 v[16:17], v[6:7], v[49:50]
	v_fma_f64 v[3:4], v[4:5], v[45:46], v[27:28]
	v_add_f64 v[10:11], v[18:19], v[10:11]
	v_add_f64 v[12:13], v[14:15], v[12:13]
	s_waitcnt vmcnt(4)
	v_fma_f64 v[5:6], v[6:7], v[51:52], -v[31:32]
	v_fma_f64 v[7:8], v[8:9], v[51:52], v[16:17]
	v_add_f64 v[1:2], v[10:11], v[1:2]
	v_add_f64 v[3:4], v[12:13], v[3:4]
	;; [unrolled: 1-line block ×4, first 2 shown]
	s_waitcnt vmcnt(2)
	v_add_f64 v[1:2], v[53:54], -v[1:2]
	s_waitcnt vmcnt(0)
	v_add_f64 v[3:4], v[55:56], -v[3:4]
	buffer_store_dword v2, off, s[0:3], 0 offset:548
	buffer_store_dword v1, off, s[0:3], 0 offset:544
	;; [unrolled: 1-line block ×4, first 2 shown]
	v_cmpx_lt_u32_e32 32, v0
	s_cbranch_execz .LBB41_201
; %bb.200:
	v_mov_b32_e32 v4, s23
	v_mov_b32_e32 v5, 0
	s_clause 0x3
	buffer_load_dword v1, v4, s[0:3], 0 offen
	buffer_load_dword v2, v4, s[0:3], 0 offen offset:4
	buffer_load_dword v3, v4, s[0:3], 0 offen offset:8
	;; [unrolled: 1-line block ×3, first 2 shown]
	buffer_store_dword v5, off, s[0:3], 0 offset:528
	buffer_store_dword v5, off, s[0:3], 0 offset:532
	;; [unrolled: 1-line block ×4, first 2 shown]
	s_waitcnt vmcnt(0)
	ds_write_b128 v145, v[1:4]
.LBB41_201:
	s_or_b32 exec_lo, exec_lo, s4
	s_waitcnt lgkmcnt(0)
	s_waitcnt_vscnt null, 0x0
	s_barrier
	buffer_gl0_inv
	s_clause 0x27
	buffer_load_dword v10, off, s[0:3], 0 offset:552
	buffer_load_dword v11, off, s[0:3], 0 offset:556
	;; [unrolled: 1-line block ×40, first 2 shown]
	v_mov_b32_e32 v1, 0
	ds_read_b128 v[2:5], v1 offset:1200
	ds_read_b128 v[6:9], v1 offset:1216
	s_mov_b32 s4, exec_lo
	s_waitcnt vmcnt(38) lgkmcnt(1)
	v_mul_f64 v[65:66], v[4:5], v[10:11]
	v_mul_f64 v[67:68], v[2:3], v[10:11]
	s_waitcnt vmcnt(36) lgkmcnt(0)
	v_mul_f64 v[69:70], v[8:9], v[14:15]
	ds_read_b128 v[10:13], v1 offset:1232
	v_mul_f64 v[14:15], v[6:7], v[14:15]
	s_waitcnt vmcnt(34)
	v_fma_f64 v[65:66], v[2:3], v[16:17], -v[65:66]
	v_fma_f64 v[16:17], v[4:5], v[16:17], v[67:68]
	ds_read_b128 v[2:5], v1 offset:1248
	s_waitcnt vmcnt(32) lgkmcnt(1)
	v_mul_f64 v[67:68], v[10:11], v[18:19]
	v_mul_f64 v[18:19], v[12:13], v[18:19]
	s_waitcnt vmcnt(30)
	v_fma_f64 v[69:70], v[6:7], v[27:28], -v[69:70]
	v_fma_f64 v[14:15], v[8:9], v[27:28], v[14:15]
	ds_read_b128 v[6:9], v1 offset:1264
	s_waitcnt vmcnt(26) lgkmcnt(1)
	v_mul_f64 v[27:28], v[2:3], v[29:30]
	v_add_f64 v[65:66], v[65:66], 0
	v_add_f64 v[16:17], v[16:17], 0
	v_mul_f64 v[29:30], v[4:5], v[29:30]
	s_waitcnt vmcnt(24)
	v_fma_f64 v[18:19], v[10:11], v[35:36], -v[18:19]
	v_fma_f64 v[35:36], v[12:13], v[35:36], v[67:68]
	ds_read_b128 v[10:13], v1 offset:1280
	s_waitcnt vmcnt(21)
	v_fma_f64 v[27:28], v[4:5], v[37:38], v[27:28]
	v_add_f64 v[65:66], v[65:66], v[69:70]
	v_add_f64 v[14:15], v[16:17], v[14:15]
	s_waitcnt lgkmcnt(1)
	v_mul_f64 v[16:17], v[6:7], v[31:32]
	v_mul_f64 v[31:32], v[8:9], v[31:32]
	v_fma_f64 v[29:30], v[2:3], v[37:38], -v[29:30]
	s_waitcnt vmcnt(17) lgkmcnt(0)
	v_mul_f64 v[37:38], v[12:13], v[39:40]
	ds_read_b128 v[2:5], v1 offset:1296
	v_add_f64 v[18:19], v[65:66], v[18:19]
	v_add_f64 v[14:15], v[14:15], v[35:36]
	v_mul_f64 v[35:36], v[10:11], v[39:40]
	s_waitcnt vmcnt(16)
	v_fma_f64 v[31:32], v[6:7], v[33:34], -v[31:32]
	v_fma_f64 v[16:17], v[8:9], v[33:34], v[16:17]
	ds_read_b128 v[6:9], v1 offset:1312
	s_waitcnt vmcnt(13)
	v_fma_f64 v[33:34], v[10:11], v[47:48], -v[37:38]
	v_add_f64 v[18:19], v[18:19], v[29:30]
	v_add_f64 v[14:15], v[14:15], v[27:28]
	s_waitcnt lgkmcnt(1)
	v_mul_f64 v[29:30], v[4:5], v[43:44]
	v_mul_f64 v[27:28], v[2:3], v[43:44]
	v_add_f64 v[18:19], v[18:19], v[31:32]
	v_fma_f64 v[31:32], v[12:13], v[47:48], v[35:36]
	v_add_f64 v[14:15], v[14:15], v[16:17]
	s_waitcnt vmcnt(9) lgkmcnt(0)
	v_mul_f64 v[35:36], v[8:9], v[49:50]
	s_waitcnt vmcnt(8)
	v_fma_f64 v[2:3], v[2:3], v[45:46], -v[29:30]
	ds_read_b128 v[10:13], v1 offset:1328
	v_mul_f64 v[16:17], v[6:7], v[49:50]
	v_fma_f64 v[4:5], v[4:5], v[45:46], v[27:28]
	v_add_f64 v[18:19], v[18:19], v[33:34]
	v_add_f64 v[14:15], v[14:15], v[31:32]
	s_waitcnt vmcnt(7) lgkmcnt(0)
	v_mul_f64 v[29:30], v[12:13], v[51:52]
	s_waitcnt vmcnt(5)
	v_fma_f64 v[6:7], v[6:7], v[55:56], -v[35:36]
	v_mul_f64 v[27:28], v[10:11], v[51:52]
	v_fma_f64 v[8:9], v[8:9], v[55:56], v[16:17]
	v_add_f64 v[2:3], v[18:19], v[2:3]
	v_add_f64 v[4:5], v[14:15], v[4:5]
	s_waitcnt vmcnt(4)
	v_fma_f64 v[10:11], v[10:11], v[53:54], -v[29:30]
	v_add_f64 v[2:3], v[2:3], v[6:7]
	v_fma_f64 v[6:7], v[12:13], v[53:54], v[27:28]
	v_add_f64 v[4:5], v[4:5], v[8:9]
	v_add_f64 v[2:3], v[2:3], v[10:11]
	;; [unrolled: 1-line block ×3, first 2 shown]
	s_waitcnt vmcnt(2)
	v_add_f64 v[2:3], v[57:58], -v[2:3]
	s_waitcnt vmcnt(0)
	v_add_f64 v[4:5], v[59:60], -v[4:5]
	buffer_store_dword v3, off, s[0:3], 0 offset:532
	buffer_store_dword v2, off, s[0:3], 0 offset:528
	buffer_store_dword v5, off, s[0:3], 0 offset:540
	buffer_store_dword v4, off, s[0:3], 0 offset:536
	v_cmpx_lt_u32_e32 31, v0
	s_cbranch_execz .LBB41_203
; %bb.202:
	v_mov_b32_e32 v5, s24
	s_clause 0x3
	buffer_load_dword v2, v5, s[0:3], 0 offen
	buffer_load_dword v3, v5, s[0:3], 0 offen offset:4
	buffer_load_dword v4, v5, s[0:3], 0 offen offset:8
	;; [unrolled: 1-line block ×3, first 2 shown]
	buffer_store_dword v1, off, s[0:3], 0 offset:512
	buffer_store_dword v1, off, s[0:3], 0 offset:516
	;; [unrolled: 1-line block ×4, first 2 shown]
	s_waitcnt vmcnt(0)
	ds_write_b128 v145, v[2:5]
.LBB41_203:
	s_or_b32 exec_lo, exec_lo, s4
	s_waitcnt lgkmcnt(0)
	s_waitcnt_vscnt null, 0x0
	s_barrier
	buffer_gl0_inv
	s_clause 0x2b
	buffer_load_dword v10, off, s[0:3], 0 offset:536
	buffer_load_dword v11, off, s[0:3], 0 offset:540
	;; [unrolled: 1-line block ×44, first 2 shown]
	ds_read_b128 v[2:5], v1 offset:1184
	ds_read_b128 v[6:9], v1 offset:1200
	s_mov_b32 s4, exec_lo
	s_waitcnt vmcnt(42) lgkmcnt(1)
	v_mul_f64 v[69:70], v[4:5], v[10:11]
	v_mul_f64 v[71:72], v[2:3], v[10:11]
	s_waitcnt vmcnt(40) lgkmcnt(0)
	v_mul_f64 v[146:147], v[8:9], v[14:15]
	ds_read_b128 v[10:13], v1 offset:1216
	v_mul_f64 v[14:15], v[6:7], v[14:15]
	s_waitcnt vmcnt(38)
	v_fma_f64 v[69:70], v[2:3], v[16:17], -v[69:70]
	v_fma_f64 v[16:17], v[4:5], v[16:17], v[71:72]
	ds_read_b128 v[2:5], v1 offset:1232
	s_waitcnt vmcnt(36) lgkmcnt(1)
	v_mul_f64 v[71:72], v[10:11], v[18:19]
	v_mul_f64 v[18:19], v[12:13], v[18:19]
	s_waitcnt vmcnt(34)
	v_fma_f64 v[146:147], v[6:7], v[27:28], -v[146:147]
	v_fma_f64 v[14:15], v[8:9], v[27:28], v[14:15]
	ds_read_b128 v[6:9], v1 offset:1248
	s_waitcnt vmcnt(30) lgkmcnt(1)
	v_mul_f64 v[27:28], v[2:3], v[29:30]
	v_add_f64 v[69:70], v[69:70], 0
	v_add_f64 v[16:17], v[16:17], 0
	v_mul_f64 v[29:30], v[4:5], v[29:30]
	s_waitcnt vmcnt(28)
	v_fma_f64 v[18:19], v[10:11], v[35:36], -v[18:19]
	v_fma_f64 v[35:36], v[12:13], v[35:36], v[71:72]
	ds_read_b128 v[10:13], v1 offset:1264
	s_waitcnt vmcnt(25)
	v_fma_f64 v[27:28], v[4:5], v[37:38], v[27:28]
	v_add_f64 v[69:70], v[69:70], v[146:147]
	v_add_f64 v[14:15], v[16:17], v[14:15]
	s_waitcnt lgkmcnt(1)
	v_mul_f64 v[16:17], v[6:7], v[31:32]
	v_mul_f64 v[31:32], v[8:9], v[31:32]
	v_fma_f64 v[29:30], v[2:3], v[37:38], -v[29:30]
	s_waitcnt vmcnt(21) lgkmcnt(0)
	v_mul_f64 v[37:38], v[12:13], v[39:40]
	ds_read_b128 v[2:5], v1 offset:1280
	v_add_f64 v[18:19], v[69:70], v[18:19]
	v_add_f64 v[14:15], v[14:15], v[35:36]
	v_mul_f64 v[35:36], v[10:11], v[39:40]
	s_waitcnt vmcnt(20)
	v_fma_f64 v[31:32], v[6:7], v[33:34], -v[31:32]
	v_fma_f64 v[16:17], v[8:9], v[33:34], v[16:17]
	ds_read_b128 v[6:9], v1 offset:1296
	s_waitcnt vmcnt(17)
	v_fma_f64 v[33:34], v[10:11], v[47:48], -v[37:38]
	v_add_f64 v[18:19], v[18:19], v[29:30]
	v_add_f64 v[14:15], v[14:15], v[27:28]
	s_waitcnt lgkmcnt(1)
	v_mul_f64 v[29:30], v[4:5], v[43:44]
	v_mul_f64 v[27:28], v[2:3], v[43:44]
	v_add_f64 v[18:19], v[18:19], v[31:32]
	v_fma_f64 v[31:32], v[12:13], v[47:48], v[35:36]
	v_add_f64 v[14:15], v[14:15], v[16:17]
	s_waitcnt vmcnt(13) lgkmcnt(0)
	v_mul_f64 v[35:36], v[8:9], v[49:50]
	s_waitcnt vmcnt(12)
	v_fma_f64 v[29:30], v[2:3], v[45:46], -v[29:30]
	ds_read_b128 v[10:13], v1 offset:1312
	v_mul_f64 v[16:17], v[6:7], v[49:50]
	v_fma_f64 v[27:28], v[4:5], v[45:46], v[27:28]
	ds_read_b128 v[1:4], v1 offset:1328
	v_add_f64 v[18:19], v[18:19], v[33:34]
	v_add_f64 v[14:15], v[14:15], v[31:32]
	s_waitcnt vmcnt(11) lgkmcnt(1)
	v_mul_f64 v[33:34], v[12:13], v[51:52]
	s_waitcnt vmcnt(9)
	v_fma_f64 v[5:6], v[6:7], v[55:56], -v[35:36]
	v_mul_f64 v[31:32], v[10:11], v[51:52]
	v_fma_f64 v[7:8], v[8:9], v[55:56], v[16:17]
	s_waitcnt vmcnt(7) lgkmcnt(0)
	v_mul_f64 v[16:17], v[1:2], v[57:58]
	v_add_f64 v[18:19], v[18:19], v[29:30]
	v_add_f64 v[14:15], v[14:15], v[27:28]
	v_mul_f64 v[27:28], v[3:4], v[57:58]
	s_waitcnt vmcnt(6)
	v_fma_f64 v[9:10], v[10:11], v[53:54], -v[33:34]
	v_fma_f64 v[11:12], v[12:13], v[53:54], v[31:32]
	s_waitcnt vmcnt(4)
	v_fma_f64 v[3:4], v[3:4], v[59:60], v[16:17]
	v_add_f64 v[5:6], v[18:19], v[5:6]
	v_add_f64 v[7:8], v[14:15], v[7:8]
	v_fma_f64 v[1:2], v[1:2], v[59:60], -v[27:28]
	v_add_f64 v[5:6], v[5:6], v[9:10]
	v_add_f64 v[7:8], v[7:8], v[11:12]
	;; [unrolled: 1-line block ×4, first 2 shown]
	s_waitcnt vmcnt(2)
	v_add_f64 v[1:2], v[65:66], -v[1:2]
	s_waitcnt vmcnt(0)
	v_add_f64 v[3:4], v[67:68], -v[3:4]
	buffer_store_dword v2, off, s[0:3], 0 offset:516
	buffer_store_dword v1, off, s[0:3], 0 offset:512
	;; [unrolled: 1-line block ×4, first 2 shown]
	v_cmpx_lt_u32_e32 30, v0
	s_cbranch_execz .LBB41_205
; %bb.204:
	v_mov_b32_e32 v4, s26
	v_mov_b32_e32 v5, 0
	s_clause 0x3
	buffer_load_dword v1, v4, s[0:3], 0 offen
	buffer_load_dword v2, v4, s[0:3], 0 offen offset:4
	buffer_load_dword v3, v4, s[0:3], 0 offen offset:8
	;; [unrolled: 1-line block ×3, first 2 shown]
	buffer_store_dword v5, off, s[0:3], 0 offset:496
	buffer_store_dword v5, off, s[0:3], 0 offset:500
	;; [unrolled: 1-line block ×4, first 2 shown]
	s_waitcnt vmcnt(0)
	ds_write_b128 v145, v[1:4]
.LBB41_205:
	s_or_b32 exec_lo, exec_lo, s4
	s_waitcnt lgkmcnt(0)
	s_waitcnt_vscnt null, 0x0
	s_barrier
	buffer_gl0_inv
	s_clause 0x2f
	buffer_load_dword v10, off, s[0:3], 0 offset:520
	buffer_load_dword v11, off, s[0:3], 0 offset:524
	;; [unrolled: 1-line block ×48, first 2 shown]
	v_mov_b32_e32 v1, 0
	ds_read_b128 v[2:5], v1 offset:1168
	ds_read_b128 v[6:9], v1 offset:1184
	s_mov_b32 s4, exec_lo
	s_waitcnt vmcnt(46) lgkmcnt(1)
	v_mul_f64 v[146:147], v[4:5], v[10:11]
	v_mul_f64 v[148:149], v[2:3], v[10:11]
	s_waitcnt vmcnt(44) lgkmcnt(0)
	v_mul_f64 v[150:151], v[8:9], v[14:15]
	ds_read_b128 v[10:13], v1 offset:1200
	v_mul_f64 v[14:15], v[6:7], v[14:15]
	s_waitcnt vmcnt(42)
	v_fma_f64 v[146:147], v[2:3], v[16:17], -v[146:147]
	v_fma_f64 v[16:17], v[4:5], v[16:17], v[148:149]
	ds_read_b128 v[2:5], v1 offset:1216
	s_waitcnt vmcnt(40) lgkmcnt(1)
	v_mul_f64 v[148:149], v[10:11], v[18:19]
	v_mul_f64 v[18:19], v[12:13], v[18:19]
	s_waitcnt vmcnt(38)
	v_fma_f64 v[150:151], v[6:7], v[27:28], -v[150:151]
	v_fma_f64 v[14:15], v[8:9], v[27:28], v[14:15]
	ds_read_b128 v[6:9], v1 offset:1232
	s_waitcnt vmcnt(34) lgkmcnt(1)
	v_mul_f64 v[27:28], v[2:3], v[29:30]
	v_add_f64 v[146:147], v[146:147], 0
	v_add_f64 v[16:17], v[16:17], 0
	v_mul_f64 v[29:30], v[4:5], v[29:30]
	s_waitcnt vmcnt(32)
	v_fma_f64 v[18:19], v[10:11], v[35:36], -v[18:19]
	v_fma_f64 v[35:36], v[12:13], v[35:36], v[148:149]
	ds_read_b128 v[10:13], v1 offset:1248
	s_waitcnt vmcnt(29)
	v_fma_f64 v[27:28], v[4:5], v[37:38], v[27:28]
	v_add_f64 v[146:147], v[146:147], v[150:151]
	v_add_f64 v[14:15], v[16:17], v[14:15]
	s_waitcnt lgkmcnt(1)
	v_mul_f64 v[16:17], v[6:7], v[31:32]
	v_mul_f64 v[31:32], v[8:9], v[31:32]
	v_fma_f64 v[29:30], v[2:3], v[37:38], -v[29:30]
	s_waitcnt vmcnt(25) lgkmcnt(0)
	v_mul_f64 v[37:38], v[12:13], v[39:40]
	ds_read_b128 v[2:5], v1 offset:1264
	v_add_f64 v[18:19], v[146:147], v[18:19]
	v_add_f64 v[14:15], v[14:15], v[35:36]
	v_mul_f64 v[35:36], v[10:11], v[39:40]
	s_waitcnt vmcnt(24)
	v_fma_f64 v[31:32], v[6:7], v[33:34], -v[31:32]
	v_fma_f64 v[16:17], v[8:9], v[33:34], v[16:17]
	ds_read_b128 v[6:9], v1 offset:1280
	s_waitcnt vmcnt(21)
	v_fma_f64 v[33:34], v[10:11], v[47:48], -v[37:38]
	v_add_f64 v[18:19], v[18:19], v[29:30]
	v_add_f64 v[14:15], v[14:15], v[27:28]
	s_waitcnt lgkmcnt(1)
	v_mul_f64 v[29:30], v[4:5], v[43:44]
	v_mul_f64 v[27:28], v[2:3], v[43:44]
	v_add_f64 v[18:19], v[18:19], v[31:32]
	v_fma_f64 v[31:32], v[12:13], v[47:48], v[35:36]
	v_add_f64 v[14:15], v[14:15], v[16:17]
	s_waitcnt vmcnt(17) lgkmcnt(0)
	v_mul_f64 v[35:36], v[8:9], v[49:50]
	s_waitcnt vmcnt(16)
	v_fma_f64 v[29:30], v[2:3], v[45:46], -v[29:30]
	ds_read_b128 v[10:13], v1 offset:1296
	v_mul_f64 v[16:17], v[6:7], v[49:50]
	v_fma_f64 v[27:28], v[4:5], v[45:46], v[27:28]
	ds_read_b128 v[2:5], v1 offset:1312
	v_add_f64 v[18:19], v[18:19], v[33:34]
	v_add_f64 v[14:15], v[14:15], v[31:32]
	s_waitcnt vmcnt(15) lgkmcnt(1)
	v_mul_f64 v[33:34], v[12:13], v[51:52]
	s_waitcnt vmcnt(13)
	v_fma_f64 v[35:36], v[6:7], v[55:56], -v[35:36]
	v_mul_f64 v[31:32], v[10:11], v[51:52]
	v_fma_f64 v[16:17], v[8:9], v[55:56], v[16:17]
	ds_read_b128 v[6:9], v1 offset:1328
	v_add_f64 v[18:19], v[18:19], v[29:30]
	s_waitcnt vmcnt(9) lgkmcnt(1)
	v_mul_f64 v[29:30], v[4:5], v[57:58]
	v_add_f64 v[14:15], v[14:15], v[27:28]
	s_waitcnt vmcnt(8)
	v_fma_f64 v[10:11], v[10:11], v[53:54], -v[33:34]
	v_mul_f64 v[27:28], v[2:3], v[57:58]
	v_fma_f64 v[12:13], v[12:13], v[53:54], v[31:32]
	s_waitcnt vmcnt(7) lgkmcnt(0)
	v_mul_f64 v[31:32], v[8:9], v[59:60]
	v_add_f64 v[18:19], v[18:19], v[35:36]
	s_waitcnt vmcnt(5)
	v_fma_f64 v[2:3], v[2:3], v[67:68], -v[29:30]
	v_add_f64 v[14:15], v[14:15], v[16:17]
	v_mul_f64 v[16:17], v[6:7], v[59:60]
	v_fma_f64 v[4:5], v[4:5], v[67:68], v[27:28]
	s_waitcnt vmcnt(4)
	v_fma_f64 v[6:7], v[6:7], v[65:66], -v[31:32]
	v_add_f64 v[10:11], v[18:19], v[10:11]
	v_add_f64 v[12:13], v[14:15], v[12:13]
	v_fma_f64 v[8:9], v[8:9], v[65:66], v[16:17]
	v_add_f64 v[2:3], v[10:11], v[2:3]
	v_add_f64 v[4:5], v[12:13], v[4:5]
	;; [unrolled: 1-line block ×4, first 2 shown]
	s_waitcnt vmcnt(2)
	v_add_f64 v[2:3], v[69:70], -v[2:3]
	s_waitcnt vmcnt(0)
	v_add_f64 v[4:5], v[71:72], -v[4:5]
	buffer_store_dword v3, off, s[0:3], 0 offset:500
	buffer_store_dword v2, off, s[0:3], 0 offset:496
	;; [unrolled: 1-line block ×4, first 2 shown]
	v_cmpx_lt_u32_e32 29, v0
	s_cbranch_execz .LBB41_207
; %bb.206:
	v_mov_b32_e32 v5, s28
	s_clause 0x3
	buffer_load_dword v2, v5, s[0:3], 0 offen
	buffer_load_dword v3, v5, s[0:3], 0 offen offset:4
	buffer_load_dword v4, v5, s[0:3], 0 offen offset:8
	;; [unrolled: 1-line block ×3, first 2 shown]
	buffer_store_dword v1, off, s[0:3], 0 offset:480
	buffer_store_dword v1, off, s[0:3], 0 offset:484
	;; [unrolled: 1-line block ×4, first 2 shown]
	s_waitcnt vmcnt(0)
	ds_write_b128 v145, v[2:5]
.LBB41_207:
	s_or_b32 exec_lo, exec_lo, s4
	s_waitcnt lgkmcnt(0)
	s_waitcnt_vscnt null, 0x0
	s_barrier
	buffer_gl0_inv
	s_clause 0x2f
	buffer_load_dword v10, off, s[0:3], 0 offset:504
	buffer_load_dword v11, off, s[0:3], 0 offset:508
	buffer_load_dword v14, off, s[0:3], 0 offset:520
	buffer_load_dword v15, off, s[0:3], 0 offset:524
	buffer_load_dword v16, off, s[0:3], 0 offset:496
	buffer_load_dword v17, off, s[0:3], 0 offset:500
	buffer_load_dword v18, off, s[0:3], 0 offset:536
	buffer_load_dword v19, off, s[0:3], 0 offset:540
	buffer_load_dword v27, off, s[0:3], 0 offset:512
	buffer_load_dword v28, off, s[0:3], 0 offset:516
	buffer_load_dword v30, off, s[0:3], 0 offset:556
	buffer_load_dword v31, off, s[0:3], 0 offset:568
	buffer_load_dword v33, off, s[0:3], 0 offset:560
	buffer_load_dword v29, off, s[0:3], 0 offset:552
	buffer_load_dword v35, off, s[0:3], 0 offset:528
	buffer_load_dword v36, off, s[0:3], 0 offset:532
	buffer_load_dword v32, off, s[0:3], 0 offset:572
	buffer_load_dword v38, off, s[0:3], 0 offset:548
	buffer_load_dword v37, off, s[0:3], 0 offset:544
	buffer_load_dword v40, off, s[0:3], 0 offset:588
	buffer_load_dword v43, off, s[0:3], 0 offset:600
	buffer_load_dword v45, off, s[0:3], 0 offset:592
	buffer_load_dword v39, off, s[0:3], 0 offset:584
	buffer_load_dword v34, off, s[0:3], 0 offset:564
	buffer_load_dword v44, off, s[0:3], 0 offset:604
	buffer_load_dword v48, off, s[0:3], 0 offset:580
	buffer_load_dword v47, off, s[0:3], 0 offset:576
	buffer_load_dword v50, off, s[0:3], 0 offset:620
	buffer_load_dword v51, off, s[0:3], 0 offset:632
	buffer_load_dword v53, off, s[0:3], 0 offset:624
	buffer_load_dword v49, off, s[0:3], 0 offset:616
	buffer_load_dword v46, off, s[0:3], 0 offset:596
	buffer_load_dword v52, off, s[0:3], 0 offset:636
	buffer_load_dword v56, off, s[0:3], 0 offset:612
	buffer_load_dword v55, off, s[0:3], 0 offset:608
	buffer_load_dword v58, off, s[0:3], 0 offset:652
	buffer_load_dword v59, off, s[0:3], 0 offset:664
	buffer_load_dword v65, off, s[0:3], 0 offset:656
	buffer_load_dword v57, off, s[0:3], 0 offset:648
	buffer_load_dword v54, off, s[0:3], 0 offset:628
	buffer_load_dword v60, off, s[0:3], 0 offset:668
	buffer_load_dword v68, off, s[0:3], 0 offset:644
	buffer_load_dword v67, off, s[0:3], 0 offset:640
	buffer_load_dword v70, off, s[0:3], 0 offset:684
	buffer_load_dword v69, off, s[0:3], 0 offset:680
	buffer_load_dword v66, off, s[0:3], 0 offset:660
	buffer_load_dword v72, off, s[0:3], 0 offset:676
	buffer_load_dword v71, off, s[0:3], 0 offset:672
	ds_read_b128 v[2:5], v1 offset:1152
	s_clause 0x3
	buffer_load_dword v146, off, s[0:3], 0 offset:480
	buffer_load_dword v147, off, s[0:3], 0 offset:484
	;; [unrolled: 1-line block ×4, first 2 shown]
	ds_read_b128 v[6:9], v1 offset:1168
	s_mov_b32 s4, exec_lo
	s_waitcnt vmcnt(50) lgkmcnt(1)
	v_mul_f64 v[150:151], v[4:5], v[10:11]
	v_mul_f64 v[152:153], v[2:3], v[10:11]
	ds_read_b128 v[10:13], v1 offset:1184
	s_waitcnt vmcnt(48) lgkmcnt(1)
	v_mul_f64 v[154:155], v[8:9], v[14:15]
	v_mul_f64 v[14:15], v[6:7], v[14:15]
	s_waitcnt vmcnt(46)
	v_fma_f64 v[150:151], v[2:3], v[16:17], -v[150:151]
	v_fma_f64 v[16:17], v[4:5], v[16:17], v[152:153]
	s_waitcnt vmcnt(44) lgkmcnt(0)
	v_mul_f64 v[152:153], v[10:11], v[18:19]
	v_mul_f64 v[18:19], v[12:13], v[18:19]
	s_waitcnt vmcnt(42)
	v_fma_f64 v[154:155], v[6:7], v[27:28], -v[154:155]
	ds_read_b128 v[2:5], v1 offset:1200
	v_fma_f64 v[14:15], v[8:9], v[27:28], v[14:15]
	ds_read_b128 v[6:9], v1 offset:1216
	v_add_f64 v[150:151], v[150:151], 0
	v_add_f64 v[16:17], v[16:17], 0
	s_waitcnt vmcnt(38) lgkmcnt(1)
	v_mul_f64 v[27:28], v[2:3], v[29:30]
	v_mul_f64 v[29:30], v[4:5], v[29:30]
	s_waitcnt vmcnt(36)
	v_fma_f64 v[18:19], v[10:11], v[35:36], -v[18:19]
	v_fma_f64 v[35:36], v[12:13], v[35:36], v[152:153]
	ds_read_b128 v[10:13], v1 offset:1232
	v_add_f64 v[150:151], v[150:151], v[154:155]
	v_add_f64 v[14:15], v[16:17], v[14:15]
	s_waitcnt vmcnt(35) lgkmcnt(1)
	v_mul_f64 v[16:17], v[6:7], v[31:32]
	v_mul_f64 v[31:32], v[8:9], v[31:32]
	s_waitcnt vmcnt(33)
	v_fma_f64 v[29:30], v[2:3], v[37:38], -v[29:30]
	v_fma_f64 v[27:28], v[4:5], v[37:38], v[27:28]
	ds_read_b128 v[2:5], v1 offset:1248
	s_waitcnt vmcnt(29) lgkmcnt(1)
	v_mul_f64 v[37:38], v[12:13], v[39:40]
	v_add_f64 v[18:19], v[150:151], v[18:19]
	v_add_f64 v[14:15], v[14:15], v[35:36]
	v_mul_f64 v[35:36], v[10:11], v[39:40]
	s_waitcnt vmcnt(28)
	v_fma_f64 v[31:32], v[6:7], v[33:34], -v[31:32]
	v_fma_f64 v[16:17], v[8:9], v[33:34], v[16:17]
	ds_read_b128 v[6:9], v1 offset:1264
	s_waitcnt vmcnt(25)
	v_fma_f64 v[33:34], v[10:11], v[47:48], -v[37:38]
	v_add_f64 v[18:19], v[18:19], v[29:30]
	v_add_f64 v[14:15], v[14:15], v[27:28]
	s_waitcnt lgkmcnt(1)
	v_mul_f64 v[29:30], v[4:5], v[43:44]
	v_mul_f64 v[27:28], v[2:3], v[43:44]
	v_add_f64 v[18:19], v[18:19], v[31:32]
	v_fma_f64 v[31:32], v[12:13], v[47:48], v[35:36]
	v_add_f64 v[14:15], v[14:15], v[16:17]
	ds_read_b128 v[10:13], v1 offset:1280
	s_waitcnt vmcnt(21) lgkmcnt(1)
	v_mul_f64 v[35:36], v[8:9], v[49:50]
	s_waitcnt vmcnt(20)
	v_fma_f64 v[29:30], v[2:3], v[45:46], -v[29:30]
	v_mul_f64 v[16:17], v[6:7], v[49:50]
	v_fma_f64 v[27:28], v[4:5], v[45:46], v[27:28]
	ds_read_b128 v[2:5], v1 offset:1296
	v_add_f64 v[18:19], v[18:19], v[33:34]
	s_waitcnt vmcnt(19) lgkmcnt(1)
	v_mul_f64 v[33:34], v[12:13], v[51:52]
	v_add_f64 v[14:15], v[14:15], v[31:32]
	v_mul_f64 v[31:32], v[10:11], v[51:52]
	s_waitcnt vmcnt(17)
	v_fma_f64 v[35:36], v[6:7], v[55:56], -v[35:36]
	v_fma_f64 v[16:17], v[8:9], v[55:56], v[16:17]
	ds_read_b128 v[6:9], v1 offset:1312
	v_add_f64 v[18:19], v[18:19], v[29:30]
	s_waitcnt vmcnt(13) lgkmcnt(1)
	v_mul_f64 v[29:30], v[4:5], v[57:58]
	v_add_f64 v[14:15], v[14:15], v[27:28]
	s_waitcnt vmcnt(12)
	v_fma_f64 v[33:34], v[10:11], v[53:54], -v[33:34]
	v_mul_f64 v[27:28], v[2:3], v[57:58]
	v_fma_f64 v[31:32], v[12:13], v[53:54], v[31:32]
	ds_read_b128 v[10:13], v1 offset:1328
	v_add_f64 v[18:19], v[18:19], v[35:36]
	s_waitcnt vmcnt(11) lgkmcnt(1)
	v_mul_f64 v[35:36], v[8:9], v[59:60]
	v_add_f64 v[14:15], v[14:15], v[16:17]
	s_waitcnt vmcnt(9)
	v_fma_f64 v[1:2], v[2:3], v[67:68], -v[29:30]
	v_mul_f64 v[16:17], v[6:7], v[59:60]
	v_fma_f64 v[3:4], v[4:5], v[67:68], v[27:28]
	s_waitcnt vmcnt(7) lgkmcnt(0)
	v_mul_f64 v[29:30], v[12:13], v[69:70]
	v_mul_f64 v[27:28], v[10:11], v[69:70]
	v_add_f64 v[18:19], v[18:19], v[33:34]
	s_waitcnt vmcnt(6)
	v_fma_f64 v[5:6], v[6:7], v[65:66], -v[35:36]
	v_add_f64 v[14:15], v[14:15], v[31:32]
	v_fma_f64 v[7:8], v[8:9], v[65:66], v[16:17]
	s_waitcnt vmcnt(4)
	v_fma_f64 v[9:10], v[10:11], v[71:72], -v[29:30]
	v_add_f64 v[1:2], v[18:19], v[1:2]
	v_add_f64 v[3:4], v[14:15], v[3:4]
	;; [unrolled: 1-line block ×3, first 2 shown]
	v_fma_f64 v[5:6], v[12:13], v[71:72], v[27:28]
	v_add_f64 v[3:4], v[3:4], v[7:8]
	v_add_f64 v[1:2], v[1:2], v[9:10]
	;; [unrolled: 1-line block ×3, first 2 shown]
	s_waitcnt vmcnt(2)
	v_add_f64 v[1:2], v[146:147], -v[1:2]
	s_waitcnt vmcnt(0)
	v_add_f64 v[3:4], v[148:149], -v[3:4]
	buffer_store_dword v2, off, s[0:3], 0 offset:484
	buffer_store_dword v1, off, s[0:3], 0 offset:480
	;; [unrolled: 1-line block ×4, first 2 shown]
	v_cmpx_lt_u32_e32 28, v0
	s_cbranch_execz .LBB41_209
; %bb.208:
	v_mov_b32_e32 v4, s30
	v_mov_b32_e32 v5, 0
	s_clause 0x3
	buffer_load_dword v1, v4, s[0:3], 0 offen
	buffer_load_dword v2, v4, s[0:3], 0 offen offset:4
	buffer_load_dword v3, v4, s[0:3], 0 offen offset:8
	;; [unrolled: 1-line block ×3, first 2 shown]
	buffer_store_dword v5, off, s[0:3], 0 offset:464
	buffer_store_dword v5, off, s[0:3], 0 offset:468
	;; [unrolled: 1-line block ×4, first 2 shown]
	s_waitcnt vmcnt(0)
	ds_write_b128 v145, v[1:4]
.LBB41_209:
	s_or_b32 exec_lo, exec_lo, s4
	s_waitcnt lgkmcnt(0)
	s_waitcnt_vscnt null, 0x0
	s_barrier
	buffer_gl0_inv
	s_clause 0x33
	buffer_load_dword v10, off, s[0:3], 0 offset:488
	buffer_load_dword v11, off, s[0:3], 0 offset:492
	;; [unrolled: 1-line block ×52, first 2 shown]
	v_mov_b32_e32 v1, 0
	s_mov_b32 s4, exec_lo
	ds_read_b128 v[2:5], v1 offset:1136
	ds_read_b128 v[6:9], v1 offset:1152
	s_clause 0x3
	buffer_load_dword v154, off, s[0:3], 0 offset:464
	buffer_load_dword v155, off, s[0:3], 0 offset:468
	buffer_load_dword v156, off, s[0:3], 0 offset:472
	buffer_load_dword v157, off, s[0:3], 0 offset:476
	s_waitcnt vmcnt(54) lgkmcnt(1)
	v_mul_f64 v[150:151], v[4:5], v[10:11]
	v_mul_f64 v[152:153], v[2:3], v[10:11]
	s_waitcnt vmcnt(52) lgkmcnt(0)
	v_mul_f64 v[158:159], v[8:9], v[14:15]
	ds_read_b128 v[10:13], v1 offset:1168
	v_mul_f64 v[14:15], v[6:7], v[14:15]
	s_waitcnt vmcnt(50)
	v_fma_f64 v[150:151], v[2:3], v[16:17], -v[150:151]
	v_fma_f64 v[16:17], v[4:5], v[16:17], v[152:153]
	ds_read_b128 v[2:5], v1 offset:1184
	s_waitcnt vmcnt(48) lgkmcnt(1)
	v_mul_f64 v[152:153], v[10:11], v[18:19]
	v_mul_f64 v[18:19], v[12:13], v[18:19]
	s_waitcnt vmcnt(46)
	v_fma_f64 v[158:159], v[6:7], v[27:28], -v[158:159]
	v_fma_f64 v[14:15], v[8:9], v[27:28], v[14:15]
	ds_read_b128 v[6:9], v1 offset:1200
	s_waitcnt vmcnt(44) lgkmcnt(1)
	v_mul_f64 v[27:28], v[2:3], v[29:30]
	v_add_f64 v[150:151], v[150:151], 0
	v_add_f64 v[16:17], v[16:17], 0
	v_mul_f64 v[29:30], v[4:5], v[29:30]
	s_waitcnt vmcnt(42)
	v_fma_f64 v[18:19], v[10:11], v[31:32], -v[18:19]
	v_fma_f64 v[31:32], v[12:13], v[31:32], v[152:153]
	ds_read_b128 v[10:13], v1 offset:1216
	s_waitcnt vmcnt(38)
	v_fma_f64 v[27:28], v[4:5], v[35:36], v[27:28]
	v_add_f64 v[150:151], v[150:151], v[158:159]
	v_add_f64 v[14:15], v[16:17], v[14:15]
	s_waitcnt lgkmcnt(1)
	v_mul_f64 v[16:17], v[6:7], v[33:34]
	v_mul_f64 v[33:34], v[8:9], v[33:34]
	v_fma_f64 v[29:30], v[2:3], v[35:36], -v[29:30]
	s_waitcnt vmcnt(36) lgkmcnt(0)
	v_mul_f64 v[35:36], v[12:13], v[37:38]
	ds_read_b128 v[2:5], v1 offset:1232
	v_add_f64 v[18:19], v[150:151], v[18:19]
	v_add_f64 v[14:15], v[14:15], v[31:32]
	v_mul_f64 v[31:32], v[10:11], v[37:38]
	s_waitcnt vmcnt(34)
	v_fma_f64 v[33:34], v[6:7], v[39:40], -v[33:34]
	v_fma_f64 v[16:17], v[8:9], v[39:40], v[16:17]
	ds_read_b128 v[6:9], v1 offset:1248
	s_waitcnt vmcnt(30)
	v_fma_f64 v[35:36], v[10:11], v[45:46], -v[35:36]
	v_add_f64 v[18:19], v[18:19], v[29:30]
	v_add_f64 v[14:15], v[14:15], v[27:28]
	s_waitcnt lgkmcnt(1)
	v_mul_f64 v[29:30], v[4:5], v[43:44]
	v_mul_f64 v[27:28], v[2:3], v[43:44]
	v_fma_f64 v[31:32], v[12:13], v[45:46], v[31:32]
	ds_read_b128 v[10:13], v1 offset:1264
	v_add_f64 v[18:19], v[18:19], v[33:34]
	v_add_f64 v[14:15], v[14:15], v[16:17]
	s_waitcnt vmcnt(28) lgkmcnt(1)
	v_mul_f64 v[33:34], v[8:9], v[47:48]
	s_waitcnt vmcnt(26)
	v_fma_f64 v[29:30], v[2:3], v[49:50], -v[29:30]
	v_mul_f64 v[16:17], v[6:7], v[47:48]
	v_fma_f64 v[27:28], v[4:5], v[49:50], v[27:28]
	ds_read_b128 v[2:5], v1 offset:1280
	v_add_f64 v[18:19], v[18:19], v[35:36]
	v_add_f64 v[14:15], v[14:15], v[31:32]
	s_waitcnt vmcnt(24) lgkmcnt(1)
	v_mul_f64 v[35:36], v[12:13], v[51:52]
	s_waitcnt vmcnt(22)
	v_fma_f64 v[33:34], v[6:7], v[53:54], -v[33:34]
	;; [unrolled: 9-line block ×5, first 2 shown]
	v_mul_f64 v[31:32], v[10:11], v[67:68]
	v_fma_f64 v[8:9], v[8:9], v[69:70], v[16:17]
	s_waitcnt vmcnt(8) lgkmcnt(0)
	v_mul_f64 v[16:17], v[2:3], v[71:72]
	v_add_f64 v[18:19], v[18:19], v[29:30]
	v_add_f64 v[14:15], v[14:15], v[27:28]
	v_mul_f64 v[27:28], v[4:5], v[71:72]
	s_waitcnt vmcnt(6)
	v_fma_f64 v[10:11], v[10:11], v[146:147], -v[35:36]
	v_fma_f64 v[12:13], v[12:13], v[146:147], v[31:32]
	s_waitcnt vmcnt(4)
	v_fma_f64 v[4:5], v[4:5], v[148:149], v[16:17]
	v_add_f64 v[6:7], v[18:19], v[6:7]
	v_add_f64 v[8:9], v[14:15], v[8:9]
	v_fma_f64 v[2:3], v[2:3], v[148:149], -v[27:28]
	v_add_f64 v[6:7], v[6:7], v[10:11]
	v_add_f64 v[8:9], v[8:9], v[12:13]
	v_add_f64 v[2:3], v[6:7], v[2:3]
	v_add_f64 v[4:5], v[8:9], v[4:5]
	s_waitcnt vmcnt(2)
	v_add_f64 v[2:3], v[154:155], -v[2:3]
	s_waitcnt vmcnt(0)
	v_add_f64 v[4:5], v[156:157], -v[4:5]
	buffer_store_dword v3, off, s[0:3], 0 offset:468
	buffer_store_dword v2, off, s[0:3], 0 offset:464
	;; [unrolled: 1-line block ×4, first 2 shown]
	v_cmpx_lt_u32_e32 27, v0
	s_cbranch_execz .LBB41_211
; %bb.210:
	v_mov_b32_e32 v5, s33
	s_clause 0x3
	buffer_load_dword v2, v5, s[0:3], 0 offen
	buffer_load_dword v3, v5, s[0:3], 0 offen offset:4
	buffer_load_dword v4, v5, s[0:3], 0 offen offset:8
	;; [unrolled: 1-line block ×3, first 2 shown]
	buffer_store_dword v1, off, s[0:3], 0 offset:448
	buffer_store_dword v1, off, s[0:3], 0 offset:452
	;; [unrolled: 1-line block ×4, first 2 shown]
	s_waitcnt vmcnt(0)
	ds_write_b128 v145, v[2:5]
.LBB41_211:
	s_or_b32 exec_lo, exec_lo, s4
	s_waitcnt lgkmcnt(0)
	s_waitcnt_vscnt null, 0x0
	s_barrier
	buffer_gl0_inv
	s_clause 0x35
	buffer_load_dword v10, off, s[0:3], 0 offset:472
	buffer_load_dword v11, off, s[0:3], 0 offset:476
	;; [unrolled: 1-line block ×54, first 2 shown]
	ds_read_b128 v[2:5], v1 offset:1120
	s_clause 0x1
	buffer_load_dword v153, off, s[0:3], 0 offset:676
	buffer_load_dword v152, off, s[0:3], 0 offset:672
	ds_read_b128 v[6:9], v1 offset:1136
	s_mov_b32 s4, exec_lo
	s_waitcnt vmcnt(54) lgkmcnt(1)
	v_mul_f64 v[154:155], v[4:5], v[10:11]
	v_mul_f64 v[156:157], v[2:3], v[10:11]
	ds_read_b128 v[10:13], v1 offset:1152
	s_waitcnt vmcnt(52) lgkmcnt(1)
	v_mul_f64 v[158:159], v[8:9], v[14:15]
	v_mul_f64 v[14:15], v[6:7], v[14:15]
	s_waitcnt vmcnt(48) lgkmcnt(0)
	v_mul_f64 v[162:163], v[10:11], v[18:19]
	v_fma_f64 v[154:155], v[2:3], v[16:17], -v[154:155]
	v_fma_f64 v[16:17], v[4:5], v[16:17], v[156:157]
	s_clause 0x3
	buffer_load_dword v156, off, s[0:3], 0 offset:448
	buffer_load_dword v157, off, s[0:3], 0 offset:452
	;; [unrolled: 1-line block ×4, first 2 shown]
	v_mul_f64 v[18:19], v[12:13], v[18:19]
	s_waitcnt vmcnt(50)
	v_fma_f64 v[158:159], v[6:7], v[27:28], -v[158:159]
	ds_read_b128 v[2:5], v1 offset:1168
	v_fma_f64 v[14:15], v[8:9], v[27:28], v[14:15]
	ds_read_b128 v[6:9], v1 offset:1184
	v_add_f64 v[154:155], v[154:155], 0
	v_add_f64 v[16:17], v[16:17], 0
	s_waitcnt vmcnt(46) lgkmcnt(1)
	v_mul_f64 v[27:28], v[2:3], v[29:30]
	v_mul_f64 v[29:30], v[4:5], v[29:30]
	s_waitcnt vmcnt(44)
	v_fma_f64 v[18:19], v[10:11], v[35:36], -v[18:19]
	v_fma_f64 v[35:36], v[12:13], v[35:36], v[162:163]
	ds_read_b128 v[10:13], v1 offset:1200
	v_add_f64 v[154:155], v[154:155], v[158:159]
	v_add_f64 v[14:15], v[16:17], v[14:15]
	s_waitcnt vmcnt(43) lgkmcnt(1)
	v_mul_f64 v[16:17], v[6:7], v[31:32]
	v_mul_f64 v[31:32], v[8:9], v[31:32]
	s_waitcnt vmcnt(41)
	v_fma_f64 v[29:30], v[2:3], v[37:38], -v[29:30]
	v_fma_f64 v[27:28], v[4:5], v[37:38], v[27:28]
	ds_read_b128 v[2:5], v1 offset:1216
	s_waitcnt vmcnt(37) lgkmcnt(1)
	v_mul_f64 v[37:38], v[12:13], v[39:40]
	v_add_f64 v[18:19], v[154:155], v[18:19]
	v_add_f64 v[14:15], v[14:15], v[35:36]
	v_mul_f64 v[35:36], v[10:11], v[39:40]
	s_waitcnt vmcnt(36)
	v_fma_f64 v[31:32], v[6:7], v[33:34], -v[31:32]
	v_fma_f64 v[16:17], v[8:9], v[33:34], v[16:17]
	ds_read_b128 v[6:9], v1 offset:1232
	s_waitcnt vmcnt(33)
	v_fma_f64 v[33:34], v[10:11], v[47:48], -v[37:38]
	v_add_f64 v[18:19], v[18:19], v[29:30]
	v_add_f64 v[14:15], v[14:15], v[27:28]
	s_waitcnt lgkmcnt(1)
	v_mul_f64 v[29:30], v[4:5], v[43:44]
	v_mul_f64 v[27:28], v[2:3], v[43:44]
	v_add_f64 v[18:19], v[18:19], v[31:32]
	v_fma_f64 v[31:32], v[12:13], v[47:48], v[35:36]
	v_add_f64 v[14:15], v[14:15], v[16:17]
	ds_read_b128 v[10:13], v1 offset:1248
	s_waitcnt vmcnt(29) lgkmcnt(1)
	v_mul_f64 v[35:36], v[8:9], v[49:50]
	s_waitcnt vmcnt(28)
	v_fma_f64 v[29:30], v[2:3], v[45:46], -v[29:30]
	v_mul_f64 v[16:17], v[6:7], v[49:50]
	v_fma_f64 v[27:28], v[4:5], v[45:46], v[27:28]
	ds_read_b128 v[2:5], v1 offset:1264
	v_add_f64 v[18:19], v[18:19], v[33:34]
	s_waitcnt vmcnt(27) lgkmcnt(1)
	v_mul_f64 v[33:34], v[12:13], v[51:52]
	v_add_f64 v[14:15], v[14:15], v[31:32]
	v_mul_f64 v[31:32], v[10:11], v[51:52]
	s_waitcnt vmcnt(25)
	v_fma_f64 v[35:36], v[6:7], v[55:56], -v[35:36]
	v_fma_f64 v[16:17], v[8:9], v[55:56], v[16:17]
	ds_read_b128 v[6:9], v1 offset:1280
	v_add_f64 v[18:19], v[18:19], v[29:30]
	s_waitcnt vmcnt(21) lgkmcnt(1)
	v_mul_f64 v[29:30], v[4:5], v[57:58]
	v_add_f64 v[14:15], v[14:15], v[27:28]
	s_waitcnt vmcnt(20)
	v_fma_f64 v[33:34], v[10:11], v[53:54], -v[33:34]
	v_mul_f64 v[27:28], v[2:3], v[57:58]
	v_fma_f64 v[31:32], v[12:13], v[53:54], v[31:32]
	ds_read_b128 v[10:13], v1 offset:1296
	v_add_f64 v[18:19], v[18:19], v[35:36]
	s_waitcnt vmcnt(19) lgkmcnt(1)
	v_mul_f64 v[35:36], v[8:9], v[59:60]
	v_add_f64 v[14:15], v[14:15], v[16:17]
	s_waitcnt vmcnt(17)
	v_fma_f64 v[29:30], v[2:3], v[67:68], -v[29:30]
	v_mul_f64 v[16:17], v[6:7], v[59:60]
	;; [unrolled: 9-line block ×4, first 2 shown]
	v_fma_f64 v[12:13], v[12:13], v[148:149], v[31:32]
	s_waitcnt vmcnt(7) lgkmcnt(0)
	v_mul_f64 v[31:32], v[8:9], v[150:151]
	v_add_f64 v[18:19], v[18:19], v[35:36]
	s_waitcnt vmcnt(6)
	v_fma_f64 v[1:2], v[2:3], v[146:147], -v[29:30]
	v_add_f64 v[14:15], v[14:15], v[16:17]
	v_mul_f64 v[16:17], v[6:7], v[150:151]
	v_fma_f64 v[3:4], v[4:5], v[146:147], v[27:28]
	s_waitcnt vmcnt(4)
	v_fma_f64 v[5:6], v[6:7], v[152:153], -v[31:32]
	v_add_f64 v[10:11], v[18:19], v[10:11]
	v_add_f64 v[12:13], v[14:15], v[12:13]
	v_fma_f64 v[7:8], v[8:9], v[152:153], v[16:17]
	v_add_f64 v[1:2], v[10:11], v[1:2]
	v_add_f64 v[3:4], v[12:13], v[3:4]
	;; [unrolled: 1-line block ×4, first 2 shown]
	s_waitcnt vmcnt(2)
	v_add_f64 v[1:2], v[156:157], -v[1:2]
	s_waitcnt vmcnt(0)
	v_add_f64 v[3:4], v[160:161], -v[3:4]
	buffer_store_dword v2, off, s[0:3], 0 offset:452
	buffer_store_dword v1, off, s[0:3], 0 offset:448
	buffer_store_dword v4, off, s[0:3], 0 offset:460
	buffer_store_dword v3, off, s[0:3], 0 offset:456
	v_cmpx_lt_u32_e32 26, v0
	s_cbranch_execz .LBB41_213
; %bb.212:
	v_mov_b32_e32 v4, s35
	v_mov_b32_e32 v5, 0
	s_clause 0x3
	buffer_load_dword v1, v4, s[0:3], 0 offen
	buffer_load_dword v2, v4, s[0:3], 0 offen offset:4
	buffer_load_dword v3, v4, s[0:3], 0 offen offset:8
	buffer_load_dword v4, v4, s[0:3], 0 offen offset:12
	buffer_store_dword v5, off, s[0:3], 0 offset:432
	buffer_store_dword v5, off, s[0:3], 0 offset:436
	;; [unrolled: 1-line block ×4, first 2 shown]
	s_waitcnt vmcnt(0)
	ds_write_b128 v145, v[1:4]
.LBB41_213:
	s_or_b32 exec_lo, exec_lo, s4
	s_waitcnt lgkmcnt(0)
	s_waitcnt_vscnt null, 0x0
	s_barrier
	buffer_gl0_inv
	s_clause 0x37
	buffer_load_dword v10, off, s[0:3], 0 offset:456
	buffer_load_dword v11, off, s[0:3], 0 offset:460
	;; [unrolled: 1-line block ×56, first 2 shown]
	v_mov_b32_e32 v1, 0
	s_mov_b32 s4, exec_lo
	ds_read_b128 v[2:5], v1 offset:1104
	s_clause 0x2
	buffer_load_dword v153, off, s[0:3], 0 offset:684
	buffer_load_dword v157, off, s[0:3], 0 offset:660
	;; [unrolled: 1-line block ×3, first 2 shown]
	ds_read_b128 v[6:9], v1 offset:1120
	buffer_load_dword v155, off, s[0:3], 0 offset:676
	s_waitcnt vmcnt(58) lgkmcnt(1)
	v_mul_f64 v[158:159], v[4:5], v[10:11]
	v_mul_f64 v[160:161], v[2:3], v[10:11]
	ds_read_b128 v[10:13], v1 offset:1136
	s_waitcnt vmcnt(56) lgkmcnt(1)
	v_mul_f64 v[162:163], v[8:9], v[14:15]
	v_mul_f64 v[14:15], v[6:7], v[14:15]
	s_waitcnt vmcnt(54)
	v_fma_f64 v[158:159], v[2:3], v[16:17], -v[158:159]
	v_fma_f64 v[16:17], v[4:5], v[16:17], v[160:161]
	s_waitcnt vmcnt(52) lgkmcnt(0)
	v_mul_f64 v[160:161], v[10:11], v[18:19]
	v_mul_f64 v[18:19], v[12:13], v[18:19]
	s_waitcnt vmcnt(50)
	v_fma_f64 v[162:163], v[6:7], v[27:28], -v[162:163]
	ds_read_b128 v[2:5], v1 offset:1152
	v_fma_f64 v[14:15], v[8:9], v[27:28], v[14:15]
	s_clause 0x3
	buffer_load_dword v27, off, s[0:3], 0 offset:432
	buffer_load_dword v28, off, s[0:3], 0 offset:436
	;; [unrolled: 1-line block ×4, first 2 shown]
	ds_read_b128 v[6:9], v1 offset:1168
	v_add_f64 v[158:159], v[158:159], 0
	v_add_f64 v[16:17], v[16:17], 0
	s_waitcnt vmcnt(50) lgkmcnt(1)
	v_mul_f64 v[166:167], v[2:3], v[29:30]
	v_mul_f64 v[29:30], v[4:5], v[29:30]
	s_waitcnt vmcnt(48)
	v_fma_f64 v[18:19], v[10:11], v[35:36], -v[18:19]
	v_fma_f64 v[35:36], v[12:13], v[35:36], v[160:161]
	ds_read_b128 v[10:13], v1 offset:1184
	v_add_f64 v[158:159], v[158:159], v[162:163]
	v_add_f64 v[14:15], v[16:17], v[14:15]
	s_waitcnt vmcnt(47) lgkmcnt(1)
	v_mul_f64 v[16:17], v[6:7], v[31:32]
	v_mul_f64 v[31:32], v[8:9], v[31:32]
	s_waitcnt vmcnt(45)
	v_fma_f64 v[29:30], v[2:3], v[37:38], -v[29:30]
	v_fma_f64 v[37:38], v[4:5], v[37:38], v[166:167]
	;; [unrolled: 9-line block ×3, first 2 shown]
	ds_read_b128 v[6:9], v1 offset:1216
	s_waitcnt vmcnt(39) lgkmcnt(1)
	v_mul_f64 v[33:34], v[4:5], v[43:44]
	v_add_f64 v[18:19], v[18:19], v[29:30]
	v_add_f64 v[14:15], v[14:15], v[37:38]
	v_mul_f64 v[29:30], v[2:3], v[43:44]
	s_waitcnt vmcnt(37)
	v_fma_f64 v[37:38], v[10:11], v[47:48], -v[39:40]
	s_waitcnt vmcnt(32)
	v_fma_f64 v[33:34], v[2:3], v[45:46], -v[33:34]
	v_add_f64 v[18:19], v[18:19], v[31:32]
	v_fma_f64 v[31:32], v[12:13], v[47:48], v[35:36]
	v_add_f64 v[14:15], v[14:15], v[16:17]
	s_waitcnt lgkmcnt(0)
	v_mul_f64 v[35:36], v[8:9], v[49:50]
	ds_read_b128 v[10:13], v1 offset:1232
	v_mul_f64 v[16:17], v[6:7], v[49:50]
	v_fma_f64 v[29:30], v[4:5], v[45:46], v[29:30]
	ds_read_b128 v[2:5], v1 offset:1248
	v_add_f64 v[18:19], v[18:19], v[37:38]
	v_add_f64 v[14:15], v[14:15], v[31:32]
	s_waitcnt vmcnt(31) lgkmcnt(1)
	v_mul_f64 v[37:38], v[12:13], v[51:52]
	s_waitcnt vmcnt(29)
	v_fma_f64 v[35:36], v[6:7], v[55:56], -v[35:36]
	v_mul_f64 v[31:32], v[10:11], v[51:52]
	v_fma_f64 v[16:17], v[8:9], v[55:56], v[16:17]
	ds_read_b128 v[6:9], v1 offset:1264
	v_add_f64 v[18:19], v[18:19], v[33:34]
	s_waitcnt vmcnt(25) lgkmcnt(1)
	v_mul_f64 v[33:34], v[4:5], v[57:58]
	v_add_f64 v[14:15], v[14:15], v[29:30]
	s_waitcnt vmcnt(24)
	v_fma_f64 v[37:38], v[10:11], v[53:54], -v[37:38]
	v_mul_f64 v[29:30], v[2:3], v[57:58]
	v_fma_f64 v[31:32], v[12:13], v[53:54], v[31:32]
	ds_read_b128 v[10:13], v1 offset:1280
	v_add_f64 v[18:19], v[18:19], v[35:36]
	s_waitcnt vmcnt(23) lgkmcnt(1)
	v_mul_f64 v[35:36], v[8:9], v[59:60]
	v_add_f64 v[14:15], v[14:15], v[16:17]
	;; [unrolled: 9-line block ×5, first 2 shown]
	s_waitcnt vmcnt(8)
	v_fma_f64 v[2:3], v[2:3], v[146:147], -v[33:34]
	v_mul_f64 v[16:17], v[6:7], v[150:151]
	v_fma_f64 v[4:5], v[4:5], v[146:147], v[29:30]
	s_waitcnt vmcnt(7) lgkmcnt(0)
	v_mul_f64 v[29:30], v[10:11], v[152:153]
	v_add_f64 v[18:19], v[18:19], v[37:38]
	s_waitcnt vmcnt(5)
	v_fma_f64 v[6:7], v[6:7], v[156:157], -v[35:36]
	v_add_f64 v[14:15], v[14:15], v[31:32]
	v_mul_f64 v[31:32], v[12:13], v[152:153]
	v_fma_f64 v[8:9], v[8:9], v[156:157], v[16:17]
	v_add_f64 v[2:3], v[18:19], v[2:3]
	v_add_f64 v[4:5], v[14:15], v[4:5]
	s_waitcnt vmcnt(4)
	v_fma_f64 v[10:11], v[10:11], v[154:155], -v[31:32]
	v_add_f64 v[2:3], v[2:3], v[6:7]
	v_fma_f64 v[6:7], v[12:13], v[154:155], v[29:30]
	v_add_f64 v[4:5], v[4:5], v[8:9]
	v_add_f64 v[2:3], v[2:3], v[10:11]
	;; [unrolled: 1-line block ×3, first 2 shown]
	s_waitcnt vmcnt(2)
	v_add_f64 v[2:3], v[27:28], -v[2:3]
	s_waitcnt vmcnt(0)
	v_add_f64 v[4:5], v[164:165], -v[4:5]
	buffer_store_dword v3, off, s[0:3], 0 offset:436
	buffer_store_dword v2, off, s[0:3], 0 offset:432
	;; [unrolled: 1-line block ×4, first 2 shown]
	v_cmpx_lt_u32_e32 25, v0
	s_cbranch_execz .LBB41_215
; %bb.214:
	v_mov_b32_e32 v5, s37
	s_clause 0x3
	buffer_load_dword v2, v5, s[0:3], 0 offen
	buffer_load_dword v3, v5, s[0:3], 0 offen offset:4
	buffer_load_dword v4, v5, s[0:3], 0 offen offset:8
	;; [unrolled: 1-line block ×3, first 2 shown]
	buffer_store_dword v1, off, s[0:3], 0 offset:416
	buffer_store_dword v1, off, s[0:3], 0 offset:420
	;; [unrolled: 1-line block ×4, first 2 shown]
	s_waitcnt vmcnt(0)
	ds_write_b128 v145, v[2:5]
.LBB41_215:
	s_or_b32 exec_lo, exec_lo, s4
	s_waitcnt lgkmcnt(0)
	s_waitcnt_vscnt null, 0x0
	s_barrier
	buffer_gl0_inv
	s_clause 0x37
	buffer_load_dword v10, off, s[0:3], 0 offset:440
	buffer_load_dword v11, off, s[0:3], 0 offset:444
	;; [unrolled: 1-line block ×56, first 2 shown]
	ds_read_b128 v[2:5], v1 offset:1088
	s_clause 0x2
	buffer_load_dword v153, off, s[0:3], 0 offset:668
	buffer_load_dword v157, off, s[0:3], 0 offset:644
	;; [unrolled: 1-line block ×3, first 2 shown]
	ds_read_b128 v[6:9], v1 offset:1104
	s_clause 0x2
	buffer_load_dword v163, off, s[0:3], 0 offset:684
	buffer_load_dword v162, off, s[0:3], 0 offset:680
	;; [unrolled: 1-line block ×3, first 2 shown]
	s_mov_b32 s4, exec_lo
	s_waitcnt vmcnt(60) lgkmcnt(1)
	v_mul_f64 v[158:159], v[4:5], v[10:11]
	v_mul_f64 v[160:161], v[2:3], v[10:11]
	s_waitcnt vmcnt(58) lgkmcnt(0)
	v_mul_f64 v[164:165], v[8:9], v[14:15]
	ds_read_b128 v[10:13], v1 offset:1120
	v_mul_f64 v[14:15], v[6:7], v[14:15]
	s_waitcnt vmcnt(56)
	v_fma_f64 v[158:159], v[2:3], v[16:17], -v[158:159]
	v_fma_f64 v[16:17], v[4:5], v[16:17], v[160:161]
	s_clause 0x1
	buffer_load_dword v161, off, s[0:3], 0 offset:676
	buffer_load_dword v160, off, s[0:3], 0 offset:672
	s_waitcnt vmcnt(56) lgkmcnt(0)
	v_mul_f64 v[166:167], v[10:11], v[18:19]
	v_mul_f64 v[18:19], v[12:13], v[18:19]
	s_waitcnt vmcnt(54)
	v_fma_f64 v[164:165], v[6:7], v[27:28], -v[164:165]
	ds_read_b128 v[2:5], v1 offset:1136
	v_fma_f64 v[14:15], v[8:9], v[27:28], v[14:15]
	ds_read_b128 v[6:9], v1 offset:1152
	v_add_f64 v[158:159], v[158:159], 0
	v_add_f64 v[16:17], v[16:17], 0
	s_waitcnt vmcnt(50) lgkmcnt(1)
	v_mul_f64 v[27:28], v[2:3], v[29:30]
	v_mul_f64 v[29:30], v[4:5], v[29:30]
	s_waitcnt vmcnt(48)
	v_fma_f64 v[18:19], v[10:11], v[35:36], -v[18:19]
	v_fma_f64 v[35:36], v[12:13], v[35:36], v[166:167]
	s_waitcnt vmcnt(47) lgkmcnt(0)
	v_mul_f64 v[166:167], v[6:7], v[31:32]
	v_mul_f64 v[31:32], v[8:9], v[31:32]
	v_add_f64 v[158:159], v[158:159], v[164:165]
	v_add_f64 v[14:15], v[16:17], v[14:15]
	s_clause 0x3
	buffer_load_dword v16, off, s[0:3], 0 offset:416
	buffer_load_dword v17, off, s[0:3], 0 offset:420
	buffer_load_dword v164, off, s[0:3], 0 offset:424
	buffer_load_dword v165, off, s[0:3], 0 offset:428
	ds_read_b128 v[10:13], v1 offset:1168
	s_waitcnt vmcnt(49)
	v_fma_f64 v[27:28], v[4:5], v[37:38], v[27:28]
	v_fma_f64 v[29:30], v[2:3], v[37:38], -v[29:30]
	ds_read_b128 v[2:5], v1 offset:1184
	s_waitcnt vmcnt(44)
	v_fma_f64 v[31:32], v[6:7], v[33:34], -v[31:32]
	v_add_f64 v[18:19], v[158:159], v[18:19]
	v_add_f64 v[14:15], v[14:15], v[35:36]
	s_waitcnt lgkmcnt(1)
	v_mul_f64 v[37:38], v[12:13], v[39:40]
	v_mul_f64 v[35:36], v[10:11], v[39:40]
	v_add_f64 v[18:19], v[18:19], v[29:30]
	v_fma_f64 v[29:30], v[8:9], v[33:34], v[166:167]
	v_add_f64 v[14:15], v[14:15], v[27:28]
	s_waitcnt vmcnt(43) lgkmcnt(0)
	v_mul_f64 v[33:34], v[4:5], v[43:44]
	s_waitcnt vmcnt(41)
	v_fma_f64 v[37:38], v[10:11], v[47:48], -v[37:38]
	ds_read_b128 v[6:9], v1 offset:1200
	v_mul_f64 v[27:28], v[2:3], v[43:44]
	v_add_f64 v[18:19], v[18:19], v[31:32]
	v_fma_f64 v[31:32], v[12:13], v[47:48], v[35:36]
	v_add_f64 v[14:15], v[14:15], v[29:30]
	ds_read_b128 v[10:13], v1 offset:1216
	s_waitcnt vmcnt(37) lgkmcnt(1)
	v_mul_f64 v[35:36], v[8:9], v[49:50]
	s_waitcnt vmcnt(36)
	v_fma_f64 v[33:34], v[2:3], v[45:46], -v[33:34]
	v_mul_f64 v[29:30], v[6:7], v[49:50]
	v_fma_f64 v[27:28], v[4:5], v[45:46], v[27:28]
	ds_read_b128 v[2:5], v1 offset:1232
	v_add_f64 v[18:19], v[18:19], v[37:38]
	s_waitcnt vmcnt(35) lgkmcnt(1)
	v_mul_f64 v[37:38], v[12:13], v[51:52]
	v_add_f64 v[14:15], v[14:15], v[31:32]
	v_mul_f64 v[31:32], v[10:11], v[51:52]
	s_waitcnt vmcnt(33)
	v_fma_f64 v[35:36], v[6:7], v[55:56], -v[35:36]
	v_fma_f64 v[29:30], v[8:9], v[55:56], v[29:30]
	ds_read_b128 v[6:9], v1 offset:1248
	v_add_f64 v[18:19], v[18:19], v[33:34]
	s_waitcnt vmcnt(29) lgkmcnt(1)
	v_mul_f64 v[33:34], v[4:5], v[57:58]
	v_add_f64 v[14:15], v[14:15], v[27:28]
	s_waitcnt vmcnt(28)
	v_fma_f64 v[37:38], v[10:11], v[53:54], -v[37:38]
	v_mul_f64 v[27:28], v[2:3], v[57:58]
	v_fma_f64 v[31:32], v[12:13], v[53:54], v[31:32]
	ds_read_b128 v[10:13], v1 offset:1264
	v_add_f64 v[18:19], v[18:19], v[35:36]
	s_waitcnt vmcnt(27) lgkmcnt(1)
	v_mul_f64 v[35:36], v[8:9], v[59:60]
	v_add_f64 v[14:15], v[14:15], v[29:30]
	s_waitcnt vmcnt(25)
	v_fma_f64 v[33:34], v[2:3], v[67:68], -v[33:34]
	v_mul_f64 v[29:30], v[6:7], v[59:60]
	v_fma_f64 v[27:28], v[4:5], v[67:68], v[27:28]
	ds_read_b128 v[2:5], v1 offset:1280
	v_add_f64 v[18:19], v[18:19], v[37:38]
	s_waitcnt vmcnt(21) lgkmcnt(1)
	v_mul_f64 v[37:38], v[12:13], v[69:70]
	v_add_f64 v[14:15], v[14:15], v[31:32]
	s_waitcnt vmcnt(20)
	v_fma_f64 v[35:36], v[6:7], v[65:66], -v[35:36]
	v_mul_f64 v[31:32], v[10:11], v[69:70]
	v_fma_f64 v[29:30], v[8:9], v[65:66], v[29:30]
	ds_read_b128 v[6:9], v1 offset:1296
	v_add_f64 v[18:19], v[18:19], v[33:34]
	s_waitcnt vmcnt(19) lgkmcnt(1)
	v_mul_f64 v[33:34], v[4:5], v[71:72]
	v_add_f64 v[14:15], v[14:15], v[27:28]
	s_waitcnt vmcnt(17)
	v_fma_f64 v[37:38], v[10:11], v[148:149], -v[37:38]
	v_mul_f64 v[27:28], v[2:3], v[71:72]
	v_fma_f64 v[31:32], v[12:13], v[148:149], v[31:32]
	ds_read_b128 v[10:13], v1 offset:1312
	v_add_f64 v[18:19], v[18:19], v[35:36]
	s_waitcnt vmcnt(13) lgkmcnt(1)
	v_mul_f64 v[35:36], v[8:9], v[150:151]
	v_add_f64 v[14:15], v[14:15], v[29:30]
	s_waitcnt vmcnt(12)
	v_fma_f64 v[33:34], v[2:3], v[146:147], -v[33:34]
	v_mul_f64 v[29:30], v[6:7], v[150:151]
	v_fma_f64 v[27:28], v[4:5], v[146:147], v[27:28]
	ds_read_b128 v[1:4], v1 offset:1328
	v_add_f64 v[18:19], v[18:19], v[37:38]
	s_waitcnt vmcnt(11) lgkmcnt(1)
	v_mul_f64 v[37:38], v[12:13], v[152:153]
	v_add_f64 v[14:15], v[14:15], v[31:32]
	s_waitcnt vmcnt(9)
	v_fma_f64 v[5:6], v[6:7], v[156:157], -v[35:36]
	v_mul_f64 v[31:32], v[10:11], v[152:153]
	v_fma_f64 v[7:8], v[8:9], v[156:157], v[29:30]
	s_waitcnt vmcnt(7) lgkmcnt(0)
	v_mul_f64 v[29:30], v[3:4], v[162:163]
	v_add_f64 v[18:19], v[18:19], v[33:34]
	s_waitcnt vmcnt(6)
	v_fma_f64 v[9:10], v[10:11], v[154:155], -v[37:38]
	v_add_f64 v[14:15], v[14:15], v[27:28]
	v_mul_f64 v[27:28], v[1:2], v[162:163]
	v_fma_f64 v[11:12], v[12:13], v[154:155], v[31:32]
	v_add_f64 v[5:6], v[18:19], v[5:6]
	v_add_f64 v[7:8], v[14:15], v[7:8]
	s_waitcnt vmcnt(4)
	v_fma_f64 v[1:2], v[1:2], v[160:161], -v[29:30]
	v_fma_f64 v[3:4], v[3:4], v[160:161], v[27:28]
	v_add_f64 v[5:6], v[5:6], v[9:10]
	v_add_f64 v[7:8], v[7:8], v[11:12]
	v_add_f64 v[1:2], v[5:6], v[1:2]
	v_add_f64 v[3:4], v[7:8], v[3:4]
	s_waitcnt vmcnt(2)
	v_add_f64 v[1:2], v[16:17], -v[1:2]
	s_waitcnt vmcnt(0)
	v_add_f64 v[3:4], v[164:165], -v[3:4]
	buffer_store_dword v2, off, s[0:3], 0 offset:420
	buffer_store_dword v1, off, s[0:3], 0 offset:416
	;; [unrolled: 1-line block ×4, first 2 shown]
	v_cmpx_lt_u32_e32 24, v0
	s_cbranch_execz .LBB41_217
; %bb.216:
	v_mov_b32_e32 v4, s39
	v_mov_b32_e32 v5, 0
	s_clause 0x3
	buffer_load_dword v1, v4, s[0:3], 0 offen
	buffer_load_dword v2, v4, s[0:3], 0 offen offset:4
	buffer_load_dword v3, v4, s[0:3], 0 offen offset:8
	;; [unrolled: 1-line block ×3, first 2 shown]
	buffer_store_dword v5, off, s[0:3], 0 offset:400
	buffer_store_dword v5, off, s[0:3], 0 offset:404
	;; [unrolled: 1-line block ×4, first 2 shown]
	s_waitcnt vmcnt(0)
	ds_write_b128 v145, v[1:4]
.LBB41_217:
	s_or_b32 exec_lo, exec_lo, s4
	s_waitcnt lgkmcnt(0)
	s_waitcnt_vscnt null, 0x0
	s_barrier
	buffer_gl0_inv
	s_clause 0x37
	buffer_load_dword v10, off, s[0:3], 0 offset:424
	buffer_load_dword v11, off, s[0:3], 0 offset:428
	;; [unrolled: 1-line block ×56, first 2 shown]
	v_mov_b32_e32 v1, 0
	s_mov_b32 s4, exec_lo
	ds_read_b128 v[2:5], v1 offset:1072
	s_clause 0x2
	buffer_load_dword v153, off, s[0:3], 0 offset:652
	buffer_load_dword v157, off, s[0:3], 0 offset:628
	buffer_load_dword v156, off, s[0:3], 0 offset:624
	ds_read_b128 v[6:9], v1 offset:1088
	s_clause 0x4
	buffer_load_dword v163, off, s[0:3], 0 offset:668
	buffer_load_dword v164, off, s[0:3], 0 offset:680
	;; [unrolled: 1-line block ×5, first 2 shown]
	s_waitcnt vmcnt(62) lgkmcnt(1)
	v_mul_f64 v[158:159], v[4:5], v[10:11]
	v_mul_f64 v[160:161], v[2:3], v[10:11]
	s_waitcnt vmcnt(60) lgkmcnt(0)
	v_mul_f64 v[167:168], v[8:9], v[14:15]
	ds_read_b128 v[10:13], v1 offset:1104
	v_mul_f64 v[14:15], v[6:7], v[14:15]
	s_waitcnt vmcnt(58)
	v_fma_f64 v[158:159], v[2:3], v[16:17], -v[158:159]
	v_fma_f64 v[16:17], v[4:5], v[16:17], v[160:161]
	s_clause 0x2
	buffer_load_dword v165, off, s[0:3], 0 offset:684
	buffer_load_dword v161, off, s[0:3], 0 offset:660
	buffer_load_dword v160, off, s[0:3], 0 offset:656
	s_waitcnt vmcnt(59) lgkmcnt(0)
	v_mul_f64 v[169:170], v[10:11], v[18:19]
	v_mul_f64 v[18:19], v[12:13], v[18:19]
	s_waitcnt vmcnt(57)
	v_fma_f64 v[171:172], v[6:7], v[27:28], -v[167:168]
	ds_read_b128 v[2:5], v1 offset:1120
	v_fma_f64 v[14:15], v[8:9], v[27:28], v[14:15]
	buffer_load_dword v167, off, s[0:3], 0 offset:676
	ds_read_b128 v[6:9], v1 offset:1136
	v_add_f64 v[158:159], v[158:159], 0
	v_add_f64 v[16:17], v[16:17], 0
	s_waitcnt vmcnt(54) lgkmcnt(1)
	v_mul_f64 v[27:28], v[2:3], v[29:30]
	v_mul_f64 v[29:30], v[4:5], v[29:30]
	s_waitcnt vmcnt(52)
	v_fma_f64 v[18:19], v[10:11], v[35:36], -v[18:19]
	v_fma_f64 v[35:36], v[12:13], v[35:36], v[169:170]
	ds_read_b128 v[10:13], v1 offset:1152
	v_add_f64 v[158:159], v[158:159], v[171:172]
	v_add_f64 v[14:15], v[16:17], v[14:15]
	s_waitcnt vmcnt(51) lgkmcnt(1)
	v_mul_f64 v[16:17], v[6:7], v[31:32]
	v_mul_f64 v[31:32], v[8:9], v[31:32]
	s_waitcnt vmcnt(49)
	v_fma_f64 v[27:28], v[4:5], v[37:38], v[27:28]
	v_fma_f64 v[29:30], v[2:3], v[37:38], -v[29:30]
	v_add_f64 v[18:19], v[158:159], v[18:19]
	v_add_f64 v[14:15], v[14:15], v[35:36]
	s_clause 0x3
	buffer_load_dword v35, off, s[0:3], 0 offset:400
	buffer_load_dword v36, off, s[0:3], 0 offset:404
	;; [unrolled: 1-line block ×4, first 2 shown]
	s_waitcnt vmcnt(49) lgkmcnt(0)
	v_mul_f64 v[158:159], v[10:11], v[39:40]
	v_mul_f64 v[39:40], v[12:13], v[39:40]
	s_waitcnt vmcnt(48)
	v_fma_f64 v[31:32], v[6:7], v[33:34], -v[31:32]
	ds_read_b128 v[2:5], v1 offset:1168
	v_fma_f64 v[16:17], v[8:9], v[33:34], v[16:17]
	ds_read_b128 v[6:9], v1 offset:1184
	v_add_f64 v[18:19], v[18:19], v[29:30]
	v_add_f64 v[14:15], v[14:15], v[27:28]
	s_waitcnt vmcnt(47) lgkmcnt(1)
	v_mul_f64 v[29:30], v[4:5], v[43:44]
	s_waitcnt vmcnt(45)
	v_fma_f64 v[33:34], v[10:11], v[47:48], -v[39:40]
	v_mul_f64 v[27:28], v[2:3], v[43:44]
	s_waitcnt vmcnt(41) lgkmcnt(0)
	v_mul_f64 v[39:40], v[8:9], v[49:50]
	v_add_f64 v[18:19], v[18:19], v[31:32]
	v_fma_f64 v[31:32], v[12:13], v[47:48], v[158:159]
	v_add_f64 v[14:15], v[14:15], v[16:17]
	ds_read_b128 v[10:13], v1 offset:1200
	s_waitcnt vmcnt(40)
	v_fma_f64 v[29:30], v[2:3], v[45:46], -v[29:30]
	v_mul_f64 v[16:17], v[6:7], v[49:50]
	v_fma_f64 v[27:28], v[4:5], v[45:46], v[27:28]
	ds_read_b128 v[2:5], v1 offset:1216
	s_waitcnt vmcnt(37)
	v_fma_f64 v[39:40], v[6:7], v[55:56], -v[39:40]
	v_add_f64 v[18:19], v[18:19], v[33:34]
	s_waitcnt lgkmcnt(1)
	v_mul_f64 v[33:34], v[12:13], v[51:52]
	v_add_f64 v[14:15], v[14:15], v[31:32]
	v_mul_f64 v[31:32], v[10:11], v[51:52]
	v_fma_f64 v[16:17], v[8:9], v[55:56], v[16:17]
	ds_read_b128 v[6:9], v1 offset:1232
	v_add_f64 v[18:19], v[18:19], v[29:30]
	s_waitcnt vmcnt(33) lgkmcnt(1)
	v_mul_f64 v[29:30], v[4:5], v[57:58]
	v_add_f64 v[14:15], v[14:15], v[27:28]
	s_waitcnt vmcnt(32)
	v_fma_f64 v[33:34], v[10:11], v[53:54], -v[33:34]
	v_mul_f64 v[27:28], v[2:3], v[57:58]
	v_fma_f64 v[31:32], v[12:13], v[53:54], v[31:32]
	ds_read_b128 v[10:13], v1 offset:1248
	v_add_f64 v[18:19], v[18:19], v[39:40]
	s_waitcnt vmcnt(31) lgkmcnt(1)
	v_mul_f64 v[39:40], v[8:9], v[59:60]
	v_add_f64 v[14:15], v[14:15], v[16:17]
	s_waitcnt vmcnt(29)
	v_fma_f64 v[29:30], v[2:3], v[67:68], -v[29:30]
	;; [unrolled: 9-line block ×7, first 2 shown]
	v_mul_f64 v[27:28], v[2:3], v[162:163]
	v_fma_f64 v[12:13], v[12:13], v[154:155], v[31:32]
	v_add_f64 v[18:19], v[18:19], v[39:40]
	v_add_f64 v[14:15], v[14:15], v[16:17]
	s_waitcnt vmcnt(7) lgkmcnt(0)
	v_mul_f64 v[31:32], v[8:9], v[164:165]
	v_mul_f64 v[16:17], v[6:7], v[164:165]
	s_waitcnt vmcnt(5)
	v_fma_f64 v[2:3], v[2:3], v[160:161], -v[29:30]
	v_fma_f64 v[4:5], v[4:5], v[160:161], v[27:28]
	v_add_f64 v[10:11], v[18:19], v[10:11]
	v_add_f64 v[12:13], v[14:15], v[12:13]
	s_waitcnt vmcnt(4)
	v_fma_f64 v[6:7], v[6:7], v[166:167], -v[31:32]
	v_fma_f64 v[8:9], v[8:9], v[166:167], v[16:17]
	v_add_f64 v[2:3], v[10:11], v[2:3]
	v_add_f64 v[4:5], v[12:13], v[4:5]
	;; [unrolled: 1-line block ×4, first 2 shown]
	s_waitcnt vmcnt(2)
	v_add_f64 v[2:3], v[35:36], -v[2:3]
	s_waitcnt vmcnt(0)
	v_add_f64 v[4:5], v[37:38], -v[4:5]
	buffer_store_dword v3, off, s[0:3], 0 offset:404
	buffer_store_dword v2, off, s[0:3], 0 offset:400
	;; [unrolled: 1-line block ×4, first 2 shown]
	v_cmpx_lt_u32_e32 23, v0
	s_cbranch_execz .LBB41_219
; %bb.218:
	v_mov_b32_e32 v5, s41
	s_clause 0x3
	buffer_load_dword v2, v5, s[0:3], 0 offen
	buffer_load_dword v3, v5, s[0:3], 0 offen offset:4
	buffer_load_dword v4, v5, s[0:3], 0 offen offset:8
	;; [unrolled: 1-line block ×3, first 2 shown]
	buffer_store_dword v1, off, s[0:3], 0 offset:384
	buffer_store_dword v1, off, s[0:3], 0 offset:388
	;; [unrolled: 1-line block ×4, first 2 shown]
	s_waitcnt vmcnt(0)
	ds_write_b128 v145, v[2:5]
.LBB41_219:
	s_or_b32 exec_lo, exec_lo, s4
	s_waitcnt lgkmcnt(0)
	s_waitcnt_vscnt null, 0x0
	s_barrier
	buffer_gl0_inv
	s_clause 0x37
	buffer_load_dword v10, off, s[0:3], 0 offset:408
	buffer_load_dword v11, off, s[0:3], 0 offset:412
	;; [unrolled: 1-line block ×56, first 2 shown]
	ds_read_b128 v[2:5], v1 offset:1056
	s_clause 0x2
	buffer_load_dword v153, off, s[0:3], 0 offset:636
	buffer_load_dword v157, off, s[0:3], 0 offset:612
	;; [unrolled: 1-line block ×3, first 2 shown]
	ds_read_b128 v[6:9], v1 offset:1072
	s_clause 0x4
	buffer_load_dword v163, off, s[0:3], 0 offset:652
	buffer_load_dword v164, off, s[0:3], 0 offset:664
	;; [unrolled: 1-line block ×5, first 2 shown]
	s_mov_b32 s4, exec_lo
	s_waitcnt vmcnt(62) lgkmcnt(1)
	v_mul_f64 v[158:159], v[4:5], v[10:11]
	v_mul_f64 v[160:161], v[2:3], v[10:11]
	s_waitcnt vmcnt(60) lgkmcnt(0)
	v_mul_f64 v[167:168], v[8:9], v[14:15]
	ds_read_b128 v[10:13], v1 offset:1088
	v_mul_f64 v[14:15], v[6:7], v[14:15]
	s_waitcnt vmcnt(58)
	v_fma_f64 v[158:159], v[2:3], v[16:17], -v[158:159]
	v_fma_f64 v[16:17], v[4:5], v[16:17], v[160:161]
	s_clause 0x2
	buffer_load_dword v165, off, s[0:3], 0 offset:668
	buffer_load_dword v161, off, s[0:3], 0 offset:644
	;; [unrolled: 1-line block ×3, first 2 shown]
	s_waitcnt vmcnt(59) lgkmcnt(0)
	v_mul_f64 v[169:170], v[10:11], v[18:19]
	v_mul_f64 v[18:19], v[12:13], v[18:19]
	s_waitcnt vmcnt(57)
	v_fma_f64 v[171:172], v[6:7], v[27:28], -v[167:168]
	ds_read_b128 v[2:5], v1 offset:1104
	v_fma_f64 v[14:15], v[8:9], v[27:28], v[14:15]
	s_clause 0x2
	buffer_load_dword v28, off, s[0:3], 0 offset:684
	buffer_load_dword v27, off, s[0:3], 0 offset:680
	;; [unrolled: 1-line block ×3, first 2 shown]
	ds_read_b128 v[6:9], v1 offset:1120
	v_add_f64 v[158:159], v[158:159], 0
	v_add_f64 v[16:17], v[16:17], 0
	s_waitcnt vmcnt(56) lgkmcnt(1)
	v_mul_f64 v[173:174], v[2:3], v[29:30]
	v_mul_f64 v[29:30], v[4:5], v[29:30]
	s_waitcnt vmcnt(54)
	v_fma_f64 v[18:19], v[10:11], v[35:36], -v[18:19]
	v_fma_f64 v[35:36], v[12:13], v[35:36], v[169:170]
	s_waitcnt vmcnt(53) lgkmcnt(0)
	v_mul_f64 v[168:169], v[6:7], v[31:32]
	v_mul_f64 v[31:32], v[8:9], v[31:32]
	v_add_f64 v[158:159], v[158:159], v[171:172]
	v_add_f64 v[14:15], v[16:17], v[14:15]
	s_clause 0x1
	buffer_load_dword v17, off, s[0:3], 0 offset:676
	buffer_load_dword v16, off, s[0:3], 0 offset:672
	ds_read_b128 v[10:13], v1 offset:1136
	s_waitcnt vmcnt(53)
	v_fma_f64 v[29:30], v[2:3], v[37:38], -v[29:30]
	v_fma_f64 v[37:38], v[4:5], v[37:38], v[173:174]
	ds_read_b128 v[2:5], v1 offset:1152
	s_waitcnt vmcnt(48)
	v_fma_f64 v[31:32], v[6:7], v[33:34], -v[31:32]
	v_add_f64 v[18:19], v[158:159], v[18:19]
	v_add_f64 v[14:15], v[14:15], v[35:36]
	s_waitcnt lgkmcnt(1)
	v_mul_f64 v[35:36], v[10:11], v[39:40]
	v_mul_f64 v[39:40], v[12:13], v[39:40]
	s_waitcnt vmcnt(47) lgkmcnt(0)
	v_mul_f64 v[158:159], v[2:3], v[43:44]
	v_mul_f64 v[43:44], v[4:5], v[43:44]
	v_add_f64 v[18:19], v[18:19], v[29:30]
	v_fma_f64 v[29:30], v[8:9], v[33:34], v[168:169]
	v_add_f64 v[14:15], v[14:15], v[37:38]
	s_clause 0x3
	buffer_load_dword v33, off, s[0:3], 0 offset:384
	buffer_load_dword v34, off, s[0:3], 0 offset:388
	;; [unrolled: 1-line block ×4, first 2 shown]
	s_waitcnt vmcnt(49)
	v_fma_f64 v[39:40], v[10:11], v[47:48], -v[39:40]
	ds_read_b128 v[6:9], v1 offset:1168
	s_waitcnt vmcnt(44)
	v_fma_f64 v[43:44], v[2:3], v[45:46], -v[43:44]
	v_add_f64 v[18:19], v[18:19], v[31:32]
	v_fma_f64 v[31:32], v[12:13], v[47:48], v[35:36]
	v_add_f64 v[14:15], v[14:15], v[29:30]
	ds_read_b128 v[10:13], v1 offset:1184
	s_waitcnt lgkmcnt(1)
	v_mul_f64 v[35:36], v[8:9], v[49:50]
	v_mul_f64 v[29:30], v[6:7], v[49:50]
	v_add_f64 v[18:19], v[18:19], v[39:40]
	v_fma_f64 v[39:40], v[4:5], v[45:46], v[158:159]
	v_add_f64 v[14:15], v[14:15], v[31:32]
	s_waitcnt vmcnt(43) lgkmcnt(0)
	v_mul_f64 v[45:46], v[12:13], v[51:52]
	s_waitcnt vmcnt(41)
	v_fma_f64 v[35:36], v[6:7], v[55:56], -v[35:36]
	ds_read_b128 v[2:5], v1 offset:1200
	v_mul_f64 v[31:32], v[10:11], v[51:52]
	v_fma_f64 v[29:30], v[8:9], v[55:56], v[29:30]
	ds_read_b128 v[6:9], v1 offset:1216
	v_add_f64 v[18:19], v[18:19], v[43:44]
	v_add_f64 v[14:15], v[14:15], v[39:40]
	s_waitcnt vmcnt(37) lgkmcnt(1)
	v_mul_f64 v[43:44], v[4:5], v[57:58]
	s_waitcnt vmcnt(36)
	v_fma_f64 v[45:46], v[10:11], v[53:54], -v[45:46]
	v_mul_f64 v[39:40], v[2:3], v[57:58]
	v_fma_f64 v[31:32], v[12:13], v[53:54], v[31:32]
	ds_read_b128 v[10:13], v1 offset:1232
	v_add_f64 v[18:19], v[18:19], v[35:36]
	s_waitcnt vmcnt(35) lgkmcnt(1)
	v_mul_f64 v[35:36], v[8:9], v[59:60]
	v_add_f64 v[14:15], v[14:15], v[29:30]
	s_waitcnt vmcnt(33)
	v_fma_f64 v[43:44], v[2:3], v[67:68], -v[43:44]
	v_mul_f64 v[29:30], v[6:7], v[59:60]
	v_fma_f64 v[39:40], v[4:5], v[67:68], v[39:40]
	ds_read_b128 v[2:5], v1 offset:1248
	v_add_f64 v[18:19], v[18:19], v[45:46]
	s_waitcnt vmcnt(29) lgkmcnt(1)
	v_mul_f64 v[45:46], v[12:13], v[69:70]
	v_add_f64 v[14:15], v[14:15], v[31:32]
	;; [unrolled: 9-line block ×6, first 2 shown]
	s_waitcnt vmcnt(12)
	v_fma_f64 v[45:46], v[10:11], v[154:155], -v[45:46]
	v_mul_f64 v[39:40], v[2:3], v[162:163]
	v_fma_f64 v[31:32], v[12:13], v[154:155], v[31:32]
	ds_read_b128 v[10:13], v1 offset:1328
	v_add_f64 v[18:19], v[18:19], v[35:36]
	v_add_f64 v[14:15], v[14:15], v[29:30]
	s_waitcnt vmcnt(11) lgkmcnt(1)
	v_mul_f64 v[35:36], v[8:9], v[164:165]
	v_mul_f64 v[29:30], v[6:7], v[164:165]
	s_waitcnt vmcnt(9)
	v_fma_f64 v[1:2], v[2:3], v[160:161], -v[43:44]
	v_fma_f64 v[3:4], v[4:5], v[160:161], v[39:40]
	v_add_f64 v[18:19], v[18:19], v[45:46]
	v_add_f64 v[14:15], v[14:15], v[31:32]
	s_waitcnt vmcnt(7) lgkmcnt(0)
	v_mul_f64 v[31:32], v[10:11], v[27:28]
	v_mul_f64 v[27:28], v[12:13], v[27:28]
	s_waitcnt vmcnt(6)
	v_fma_f64 v[5:6], v[6:7], v[166:167], -v[35:36]
	v_fma_f64 v[7:8], v[8:9], v[166:167], v[29:30]
	v_add_f64 v[1:2], v[18:19], v[1:2]
	v_add_f64 v[3:4], v[14:15], v[3:4]
	s_waitcnt vmcnt(4)
	v_fma_f64 v[9:10], v[10:11], v[16:17], -v[27:28]
	v_add_f64 v[1:2], v[1:2], v[5:6]
	v_fma_f64 v[5:6], v[12:13], v[16:17], v[31:32]
	v_add_f64 v[3:4], v[3:4], v[7:8]
	v_add_f64 v[1:2], v[1:2], v[9:10]
	v_add_f64 v[3:4], v[3:4], v[5:6]
	s_waitcnt vmcnt(2)
	v_add_f64 v[1:2], v[33:34], -v[1:2]
	s_waitcnt vmcnt(0)
	v_add_f64 v[3:4], v[37:38], -v[3:4]
	buffer_store_dword v2, off, s[0:3], 0 offset:388
	buffer_store_dword v1, off, s[0:3], 0 offset:384
	;; [unrolled: 1-line block ×4, first 2 shown]
	v_cmpx_lt_u32_e32 22, v0
	s_cbranch_execz .LBB41_221
; %bb.220:
	v_mov_b32_e32 v4, s43
	v_mov_b32_e32 v5, 0
	s_clause 0x3
	buffer_load_dword v1, v4, s[0:3], 0 offen
	buffer_load_dword v2, v4, s[0:3], 0 offen offset:4
	buffer_load_dword v3, v4, s[0:3], 0 offen offset:8
	;; [unrolled: 1-line block ×3, first 2 shown]
	buffer_store_dword v5, off, s[0:3], 0 offset:368
	buffer_store_dword v5, off, s[0:3], 0 offset:372
	;; [unrolled: 1-line block ×4, first 2 shown]
	s_waitcnt vmcnt(0)
	ds_write_b128 v145, v[1:4]
.LBB41_221:
	s_or_b32 exec_lo, exec_lo, s4
	s_waitcnt lgkmcnt(0)
	s_waitcnt_vscnt null, 0x0
	s_barrier
	buffer_gl0_inv
	s_clause 0x37
	buffer_load_dword v10, off, s[0:3], 0 offset:392
	buffer_load_dword v11, off, s[0:3], 0 offset:396
	;; [unrolled: 1-line block ×56, first 2 shown]
	v_mov_b32_e32 v1, 0
	s_mov_b32 s4, exec_lo
	ds_read_b128 v[2:5], v1 offset:1040
	s_clause 0x2
	buffer_load_dword v153, off, s[0:3], 0 offset:620
	buffer_load_dword v157, off, s[0:3], 0 offset:596
	;; [unrolled: 1-line block ×3, first 2 shown]
	ds_read_b128 v[6:9], v1 offset:1056
	s_clause 0x4
	buffer_load_dword v163, off, s[0:3], 0 offset:636
	buffer_load_dword v164, off, s[0:3], 0 offset:648
	;; [unrolled: 1-line block ×5, first 2 shown]
	s_waitcnt vmcnt(62) lgkmcnt(1)
	v_mul_f64 v[158:159], v[4:5], v[10:11]
	v_mul_f64 v[160:161], v[2:3], v[10:11]
	s_waitcnt vmcnt(60) lgkmcnt(0)
	v_mul_f64 v[167:168], v[8:9], v[14:15]
	ds_read_b128 v[10:13], v1 offset:1072
	v_mul_f64 v[14:15], v[6:7], v[14:15]
	s_waitcnt vmcnt(58)
	v_fma_f64 v[158:159], v[2:3], v[16:17], -v[158:159]
	v_fma_f64 v[16:17], v[4:5], v[16:17], v[160:161]
	s_clause 0x2
	buffer_load_dword v165, off, s[0:3], 0 offset:652
	buffer_load_dword v161, off, s[0:3], 0 offset:628
	;; [unrolled: 1-line block ×3, first 2 shown]
	s_waitcnt vmcnt(59) lgkmcnt(0)
	v_mul_f64 v[169:170], v[10:11], v[18:19]
	v_mul_f64 v[18:19], v[12:13], v[18:19]
	s_waitcnt vmcnt(57)
	v_fma_f64 v[171:172], v[6:7], v[27:28], -v[167:168]
	ds_read_b128 v[2:5], v1 offset:1088
	v_fma_f64 v[14:15], v[8:9], v[27:28], v[14:15]
	s_clause 0x4
	buffer_load_dword v28, off, s[0:3], 0 offset:668
	buffer_load_dword v168, off, s[0:3], 0 offset:680
	;; [unrolled: 1-line block ×5, first 2 shown]
	ds_read_b128 v[6:9], v1 offset:1104
	v_add_f64 v[158:159], v[158:159], 0
	v_add_f64 v[16:17], v[16:17], 0
	s_waitcnt vmcnt(58) lgkmcnt(1)
	v_mul_f64 v[174:175], v[2:3], v[29:30]
	v_mul_f64 v[29:30], v[4:5], v[29:30]
	s_waitcnt vmcnt(56)
	v_fma_f64 v[18:19], v[10:11], v[35:36], -v[18:19]
	v_fma_f64 v[35:36], v[12:13], v[35:36], v[169:170]
	v_add_f64 v[158:159], v[158:159], v[171:172]
	v_add_f64 v[14:15], v[16:17], v[14:15]
	s_clause 0x2
	buffer_load_dword v169, off, s[0:3], 0 offset:684
	buffer_load_dword v17, off, s[0:3], 0 offset:660
	;; [unrolled: 1-line block ×3, first 2 shown]
	s_waitcnt vmcnt(58) lgkmcnt(0)
	v_mul_f64 v[170:171], v[6:7], v[31:32]
	v_mul_f64 v[31:32], v[8:9], v[31:32]
	s_waitcnt vmcnt(56)
	v_fma_f64 v[29:30], v[2:3], v[37:38], -v[29:30]
	ds_read_b128 v[10:13], v1 offset:1120
	v_fma_f64 v[37:38], v[4:5], v[37:38], v[174:175]
	buffer_load_dword v174, off, s[0:3], 0 offset:676
	ds_read_b128 v[2:5], v1 offset:1136
	v_add_f64 v[18:19], v[158:159], v[18:19]
	v_add_f64 v[14:15], v[14:15], v[35:36]
	s_waitcnt vmcnt(53) lgkmcnt(1)
	v_mul_f64 v[35:36], v[10:11], v[39:40]
	v_mul_f64 v[39:40], v[12:13], v[39:40]
	s_waitcnt vmcnt(52)
	v_fma_f64 v[31:32], v[6:7], v[33:34], -v[31:32]
	v_add_f64 v[18:19], v[18:19], v[29:30]
	v_fma_f64 v[29:30], v[8:9], v[33:34], v[170:171]
	v_add_f64 v[14:15], v[14:15], v[37:38]
	s_waitcnt vmcnt(51) lgkmcnt(0)
	v_mul_f64 v[37:38], v[4:5], v[43:44]
	ds_read_b128 v[6:9], v1 offset:1152
	s_waitcnt vmcnt(49)
	v_fma_f64 v[39:40], v[10:11], v[47:48], -v[39:40]
	v_mul_f64 v[33:34], v[2:3], v[43:44]
	v_add_f64 v[18:19], v[18:19], v[31:32]
	v_fma_f64 v[31:32], v[12:13], v[47:48], v[35:36]
	v_add_f64 v[14:15], v[14:15], v[29:30]
	s_clause 0x3
	buffer_load_dword v29, off, s[0:3], 0 offset:368
	buffer_load_dword v30, off, s[0:3], 0 offset:372
	buffer_load_dword v35, off, s[0:3], 0 offset:376
	buffer_load_dword v36, off, s[0:3], 0 offset:380
	s_waitcnt vmcnt(49) lgkmcnt(0)
	v_mul_f64 v[47:48], v[8:9], v[49:50]
	s_waitcnt vmcnt(48)
	v_fma_f64 v[37:38], v[2:3], v[45:46], -v[37:38]
	ds_read_b128 v[10:13], v1 offset:1168
	v_mul_f64 v[43:44], v[6:7], v[49:50]
	v_fma_f64 v[33:34], v[4:5], v[45:46], v[33:34]
	ds_read_b128 v[2:5], v1 offset:1184
	v_add_f64 v[18:19], v[18:19], v[39:40]
	v_add_f64 v[14:15], v[14:15], v[31:32]
	s_waitcnt vmcnt(47) lgkmcnt(1)
	v_mul_f64 v[39:40], v[12:13], v[51:52]
	s_waitcnt vmcnt(45)
	v_fma_f64 v[45:46], v[6:7], v[55:56], -v[47:48]
	v_mul_f64 v[31:32], v[10:11], v[51:52]
	v_add_f64 v[18:19], v[18:19], v[37:38]
	v_fma_f64 v[37:38], v[8:9], v[55:56], v[43:44]
	v_add_f64 v[14:15], v[14:15], v[33:34]
	s_waitcnt vmcnt(41) lgkmcnt(0)
	v_mul_f64 v[43:44], v[4:5], v[57:58]
	s_waitcnt vmcnt(40)
	v_fma_f64 v[39:40], v[10:11], v[53:54], -v[39:40]
	ds_read_b128 v[6:9], v1 offset:1200
	v_mul_f64 v[33:34], v[2:3], v[57:58]
	v_fma_f64 v[31:32], v[12:13], v[53:54], v[31:32]
	ds_read_b128 v[10:13], v1 offset:1216
	v_add_f64 v[18:19], v[18:19], v[45:46]
	v_add_f64 v[14:15], v[14:15], v[37:38]
	s_waitcnt vmcnt(39) lgkmcnt(1)
	v_mul_f64 v[45:46], v[8:9], v[59:60]
	s_waitcnt vmcnt(37)
	v_fma_f64 v[43:44], v[2:3], v[67:68], -v[43:44]
	v_mul_f64 v[37:38], v[6:7], v[59:60]
	v_fma_f64 v[33:34], v[4:5], v[67:68], v[33:34]
	ds_read_b128 v[2:5], v1 offset:1232
	v_add_f64 v[18:19], v[18:19], v[39:40]
	s_waitcnt vmcnt(33) lgkmcnt(1)
	v_mul_f64 v[39:40], v[12:13], v[69:70]
	v_add_f64 v[14:15], v[14:15], v[31:32]
	s_waitcnt vmcnt(32)
	v_fma_f64 v[45:46], v[6:7], v[65:66], -v[45:46]
	v_mul_f64 v[31:32], v[10:11], v[69:70]
	v_fma_f64 v[37:38], v[8:9], v[65:66], v[37:38]
	ds_read_b128 v[6:9], v1 offset:1248
	v_add_f64 v[18:19], v[18:19], v[43:44]
	s_waitcnt vmcnt(31) lgkmcnt(1)
	v_mul_f64 v[43:44], v[4:5], v[71:72]
	v_add_f64 v[14:15], v[14:15], v[33:34]
	;; [unrolled: 9-line block ×5, first 2 shown]
	s_waitcnt vmcnt(16)
	v_fma_f64 v[39:40], v[10:11], v[154:155], -v[39:40]
	v_mul_f64 v[33:34], v[2:3], v[162:163]
	v_fma_f64 v[31:32], v[12:13], v[154:155], v[31:32]
	ds_read_b128 v[10:13], v1 offset:1312
	v_add_f64 v[18:19], v[18:19], v[45:46]
	v_add_f64 v[14:15], v[14:15], v[37:38]
	s_waitcnt vmcnt(15) lgkmcnt(1)
	v_mul_f64 v[45:46], v[8:9], v[164:165]
	v_mul_f64 v[37:38], v[6:7], v[164:165]
	s_waitcnt vmcnt(13)
	v_fma_f64 v[43:44], v[2:3], v[160:161], -v[43:44]
	v_fma_f64 v[33:34], v[4:5], v[160:161], v[33:34]
	ds_read_b128 v[2:5], v1 offset:1328
	v_add_f64 v[18:19], v[18:19], v[39:40]
	v_add_f64 v[14:15], v[14:15], v[31:32]
	s_waitcnt vmcnt(9) lgkmcnt(1)
	v_mul_f64 v[31:32], v[10:11], v[27:28]
	v_mul_f64 v[27:28], v[12:13], v[27:28]
	s_waitcnt vmcnt(8)
	v_fma_f64 v[6:7], v[6:7], v[166:167], -v[45:46]
	v_fma_f64 v[8:9], v[8:9], v[166:167], v[37:38]
	v_add_f64 v[18:19], v[18:19], v[43:44]
	v_add_f64 v[14:15], v[14:15], v[33:34]
	s_waitcnt vmcnt(7) lgkmcnt(0)
	v_mul_f64 v[37:38], v[4:5], v[168:169]
	v_mul_f64 v[33:34], v[2:3], v[168:169]
	s_waitcnt vmcnt(5)
	v_fma_f64 v[10:11], v[10:11], v[16:17], -v[27:28]
	v_fma_f64 v[12:13], v[12:13], v[16:17], v[31:32]
	v_add_f64 v[6:7], v[18:19], v[6:7]
	v_add_f64 v[8:9], v[14:15], v[8:9]
	s_waitcnt vmcnt(4)
	v_fma_f64 v[2:3], v[2:3], v[173:174], -v[37:38]
	v_fma_f64 v[4:5], v[4:5], v[173:174], v[33:34]
	v_add_f64 v[6:7], v[6:7], v[10:11]
	v_add_f64 v[8:9], v[8:9], v[12:13]
	;; [unrolled: 1-line block ×4, first 2 shown]
	s_waitcnt vmcnt(2)
	v_add_f64 v[2:3], v[29:30], -v[2:3]
	s_waitcnt vmcnt(0)
	v_add_f64 v[4:5], v[35:36], -v[4:5]
	buffer_store_dword v3, off, s[0:3], 0 offset:372
	buffer_store_dword v2, off, s[0:3], 0 offset:368
	;; [unrolled: 1-line block ×4, first 2 shown]
	v_cmpx_lt_u32_e32 21, v0
	s_cbranch_execz .LBB41_223
; %bb.222:
	v_mov_b32_e32 v5, s18
	s_clause 0x3
	buffer_load_dword v2, v5, s[0:3], 0 offen
	buffer_load_dword v3, v5, s[0:3], 0 offen offset:4
	buffer_load_dword v4, v5, s[0:3], 0 offen offset:8
	;; [unrolled: 1-line block ×3, first 2 shown]
	buffer_store_dword v1, off, s[0:3], 0 offset:352
	buffer_store_dword v1, off, s[0:3], 0 offset:356
	;; [unrolled: 1-line block ×4, first 2 shown]
	s_waitcnt vmcnt(0)
	ds_write_b128 v145, v[2:5]
.LBB41_223:
	s_or_b32 exec_lo, exec_lo, s4
	s_waitcnt lgkmcnt(0)
	s_waitcnt_vscnt null, 0x0
	s_barrier
	buffer_gl0_inv
	s_clause 0x37
	buffer_load_dword v10, off, s[0:3], 0 offset:376
	buffer_load_dword v11, off, s[0:3], 0 offset:380
	;; [unrolled: 1-line block ×56, first 2 shown]
	ds_read_b128 v[2:5], v1 offset:1024
	s_clause 0x2
	buffer_load_dword v153, off, s[0:3], 0 offset:604
	buffer_load_dword v157, off, s[0:3], 0 offset:580
	;; [unrolled: 1-line block ×3, first 2 shown]
	ds_read_b128 v[6:9], v1 offset:1040
	s_clause 0x4
	buffer_load_dword v163, off, s[0:3], 0 offset:620
	buffer_load_dword v164, off, s[0:3], 0 offset:632
	;; [unrolled: 1-line block ×5, first 2 shown]
	s_mov_b32 s4, exec_lo
	s_waitcnt vmcnt(62) lgkmcnt(1)
	v_mul_f64 v[158:159], v[4:5], v[10:11]
	v_mul_f64 v[160:161], v[2:3], v[10:11]
	s_waitcnt vmcnt(60) lgkmcnt(0)
	v_mul_f64 v[167:168], v[8:9], v[14:15]
	ds_read_b128 v[10:13], v1 offset:1056
	v_mul_f64 v[14:15], v[6:7], v[14:15]
	s_waitcnt vmcnt(58)
	v_fma_f64 v[158:159], v[2:3], v[16:17], -v[158:159]
	v_fma_f64 v[16:17], v[4:5], v[16:17], v[160:161]
	s_clause 0x2
	buffer_load_dword v165, off, s[0:3], 0 offset:636
	buffer_load_dword v161, off, s[0:3], 0 offset:612
	;; [unrolled: 1-line block ×3, first 2 shown]
	s_waitcnt vmcnt(59) lgkmcnt(0)
	v_mul_f64 v[169:170], v[10:11], v[18:19]
	v_mul_f64 v[18:19], v[12:13], v[18:19]
	s_waitcnt vmcnt(57)
	v_fma_f64 v[171:172], v[6:7], v[27:28], -v[167:168]
	ds_read_b128 v[2:5], v1 offset:1072
	v_fma_f64 v[14:15], v[8:9], v[27:28], v[14:15]
	s_clause 0x4
	buffer_load_dword v28, off, s[0:3], 0 offset:652
	buffer_load_dword v168, off, s[0:3], 0 offset:664
	;; [unrolled: 1-line block ×5, first 2 shown]
	ds_read_b128 v[6:9], v1 offset:1088
	v_add_f64 v[158:159], v[158:159], 0
	v_add_f64 v[16:17], v[16:17], 0
	s_waitcnt vmcnt(58) lgkmcnt(1)
	v_mul_f64 v[174:175], v[2:3], v[29:30]
	v_mul_f64 v[29:30], v[4:5], v[29:30]
	s_waitcnt vmcnt(56)
	v_fma_f64 v[18:19], v[10:11], v[35:36], -v[18:19]
	v_fma_f64 v[35:36], v[12:13], v[35:36], v[169:170]
	v_add_f64 v[158:159], v[158:159], v[171:172]
	v_add_f64 v[14:15], v[16:17], v[14:15]
	s_clause 0x2
	buffer_load_dword v169, off, s[0:3], 0 offset:668
	buffer_load_dword v17, off, s[0:3], 0 offset:644
	;; [unrolled: 1-line block ×3, first 2 shown]
	s_waitcnt vmcnt(58) lgkmcnt(0)
	v_mul_f64 v[170:171], v[6:7], v[31:32]
	v_mul_f64 v[31:32], v[8:9], v[31:32]
	s_waitcnt vmcnt(56)
	v_fma_f64 v[29:30], v[2:3], v[37:38], -v[29:30]
	ds_read_b128 v[10:13], v1 offset:1104
	v_fma_f64 v[37:38], v[4:5], v[37:38], v[174:175]
	v_add_f64 v[18:19], v[158:159], v[18:19]
	v_add_f64 v[14:15], v[14:15], v[35:36]
	s_clause 0x2
	buffer_load_dword v36, off, s[0:3], 0 offset:684
	buffer_load_dword v35, off, s[0:3], 0 offset:680
	;; [unrolled: 1-line block ×3, first 2 shown]
	ds_read_b128 v[2:5], v1 offset:1120
	s_waitcnt vmcnt(55) lgkmcnt(1)
	v_mul_f64 v[158:159], v[10:11], v[39:40]
	v_mul_f64 v[39:40], v[12:13], v[39:40]
	s_waitcnt vmcnt(54)
	v_fma_f64 v[31:32], v[6:7], v[33:34], -v[31:32]
	v_add_f64 v[18:19], v[18:19], v[29:30]
	v_fma_f64 v[29:30], v[8:9], v[33:34], v[170:171]
	v_add_f64 v[14:15], v[14:15], v[37:38]
	s_clause 0x1
	buffer_load_dword v34, off, s[0:3], 0 offset:676
	buffer_load_dword v33, off, s[0:3], 0 offset:672
	s_waitcnt vmcnt(55) lgkmcnt(0)
	v_mul_f64 v[37:38], v[2:3], v[43:44]
	v_mul_f64 v[43:44], v[4:5], v[43:44]
	s_waitcnt vmcnt(53)
	v_fma_f64 v[39:40], v[10:11], v[47:48], -v[39:40]
	ds_read_b128 v[6:9], v1 offset:1136
	v_add_f64 v[18:19], v[18:19], v[31:32]
	v_fma_f64 v[31:32], v[12:13], v[47:48], v[158:159]
	v_add_f64 v[14:15], v[14:15], v[29:30]
	ds_read_b128 v[10:13], v1 offset:1152
	s_waitcnt vmcnt(48)
	v_fma_f64 v[37:38], v[4:5], v[45:46], v[37:38]
	s_waitcnt lgkmcnt(1)
	v_mul_f64 v[47:48], v[8:9], v[49:50]
	v_fma_f64 v[43:44], v[2:3], v[45:46], -v[43:44]
	v_mul_f64 v[29:30], v[6:7], v[49:50]
	v_add_f64 v[18:19], v[18:19], v[39:40]
	s_waitcnt vmcnt(47) lgkmcnt(0)
	v_mul_f64 v[49:50], v[12:13], v[51:52]
	v_add_f64 v[14:15], v[14:15], v[31:32]
	s_clause 0x3
	buffer_load_dword v31, off, s[0:3], 0 offset:352
	buffer_load_dword v32, off, s[0:3], 0 offset:356
	;; [unrolled: 1-line block ×4, first 2 shown]
	ds_read_b128 v[2:5], v1 offset:1168
	s_waitcnt vmcnt(49)
	v_fma_f64 v[47:48], v[6:7], v[55:56], -v[47:48]
	v_mul_f64 v[45:46], v[10:11], v[51:52]
	v_fma_f64 v[29:30], v[8:9], v[55:56], v[29:30]
	ds_read_b128 v[6:9], v1 offset:1184
	v_add_f64 v[18:19], v[18:19], v[43:44]
	s_waitcnt vmcnt(44)
	v_fma_f64 v[49:50], v[10:11], v[53:54], -v[49:50]
	v_add_f64 v[14:15], v[14:15], v[37:38]
	s_waitcnt lgkmcnt(1)
	v_mul_f64 v[43:44], v[4:5], v[57:58]
	v_mul_f64 v[37:38], v[2:3], v[57:58]
	v_fma_f64 v[45:46], v[12:13], v[53:54], v[45:46]
	ds_read_b128 v[10:13], v1 offset:1200
	v_add_f64 v[18:19], v[18:19], v[47:48]
	s_waitcnt vmcnt(43) lgkmcnt(1)
	v_mul_f64 v[47:48], v[8:9], v[59:60]
	v_add_f64 v[14:15], v[14:15], v[29:30]
	s_waitcnt vmcnt(41)
	v_fma_f64 v[43:44], v[2:3], v[67:68], -v[43:44]
	v_mul_f64 v[29:30], v[6:7], v[59:60]
	v_fma_f64 v[37:38], v[4:5], v[67:68], v[37:38]
	ds_read_b128 v[2:5], v1 offset:1216
	v_add_f64 v[18:19], v[18:19], v[49:50]
	s_waitcnt vmcnt(37) lgkmcnt(1)
	v_mul_f64 v[49:50], v[12:13], v[69:70]
	v_add_f64 v[14:15], v[14:15], v[45:46]
	s_waitcnt vmcnt(36)
	v_fma_f64 v[47:48], v[6:7], v[65:66], -v[47:48]
	;; [unrolled: 9-line block ×6, first 2 shown]
	v_mul_f64 v[37:38], v[2:3], v[162:163]
	v_fma_f64 v[45:46], v[12:13], v[154:155], v[45:46]
	ds_read_b128 v[10:13], v1 offset:1296
	v_add_f64 v[18:19], v[18:19], v[47:48]
	v_add_f64 v[14:15], v[14:15], v[29:30]
	s_waitcnt vmcnt(19) lgkmcnt(1)
	v_mul_f64 v[47:48], v[8:9], v[164:165]
	v_mul_f64 v[29:30], v[6:7], v[164:165]
	s_waitcnt vmcnt(17)
	v_fma_f64 v[43:44], v[2:3], v[160:161], -v[43:44]
	v_fma_f64 v[37:38], v[4:5], v[160:161], v[37:38]
	ds_read_b128 v[2:5], v1 offset:1312
	v_add_f64 v[18:19], v[18:19], v[49:50]
	v_add_f64 v[14:15], v[14:15], v[45:46]
	s_waitcnt vmcnt(13) lgkmcnt(1)
	v_mul_f64 v[45:46], v[10:11], v[27:28]
	v_mul_f64 v[27:28], v[12:13], v[27:28]
	s_waitcnt vmcnt(12)
	v_fma_f64 v[47:48], v[6:7], v[166:167], -v[47:48]
	;; [unrolled: 9-line block ×3, first 2 shown]
	v_fma_f64 v[12:13], v[12:13], v[16:17], v[45:46]
	v_add_f64 v[18:19], v[18:19], v[47:48]
	v_add_f64 v[14:15], v[14:15], v[29:30]
	s_waitcnt vmcnt(7) lgkmcnt(0)
	v_mul_f64 v[27:28], v[8:9], v[35:36]
	s_waitcnt vmcnt(6)
	v_fma_f64 v[1:2], v[2:3], v[173:174], -v[43:44]
	v_mul_f64 v[16:17], v[6:7], v[35:36]
	v_fma_f64 v[3:4], v[4:5], v[173:174], v[37:38]
	v_add_f64 v[10:11], v[18:19], v[10:11]
	v_add_f64 v[12:13], v[14:15], v[12:13]
	s_waitcnt vmcnt(4)
	v_fma_f64 v[5:6], v[6:7], v[33:34], -v[27:28]
	v_fma_f64 v[7:8], v[8:9], v[33:34], v[16:17]
	v_add_f64 v[1:2], v[10:11], v[1:2]
	v_add_f64 v[3:4], v[12:13], v[3:4]
	;; [unrolled: 1-line block ×4, first 2 shown]
	s_waitcnt vmcnt(2)
	v_add_f64 v[1:2], v[31:32], -v[1:2]
	s_waitcnt vmcnt(0)
	v_add_f64 v[3:4], v[39:40], -v[3:4]
	buffer_store_dword v2, off, s[0:3], 0 offset:356
	buffer_store_dword v1, off, s[0:3], 0 offset:352
	;; [unrolled: 1-line block ×4, first 2 shown]
	v_cmpx_lt_u32_e32 20, v0
	s_cbranch_execz .LBB41_225
; %bb.224:
	v_mov_b32_e32 v4, s22
	v_mov_b32_e32 v5, 0
	s_clause 0x3
	buffer_load_dword v1, v4, s[0:3], 0 offen
	buffer_load_dword v2, v4, s[0:3], 0 offen offset:4
	buffer_load_dword v3, v4, s[0:3], 0 offen offset:8
	;; [unrolled: 1-line block ×3, first 2 shown]
	buffer_store_dword v5, off, s[0:3], 0 offset:336
	buffer_store_dword v5, off, s[0:3], 0 offset:340
	;; [unrolled: 1-line block ×4, first 2 shown]
	s_waitcnt vmcnt(0)
	ds_write_b128 v145, v[1:4]
.LBB41_225:
	s_or_b32 exec_lo, exec_lo, s4
	s_waitcnt lgkmcnt(0)
	s_waitcnt_vscnt null, 0x0
	s_barrier
	buffer_gl0_inv
	s_clause 0x37
	buffer_load_dword v10, off, s[0:3], 0 offset:360
	buffer_load_dword v11, off, s[0:3], 0 offset:364
	;; [unrolled: 1-line block ×56, first 2 shown]
	v_mov_b32_e32 v1, 0
	s_mov_b32 s4, exec_lo
	ds_read_b128 v[2:5], v1 offset:1008
	s_clause 0x2
	buffer_load_dword v153, off, s[0:3], 0 offset:588
	buffer_load_dword v157, off, s[0:3], 0 offset:564
	;; [unrolled: 1-line block ×3, first 2 shown]
	ds_read_b128 v[6:9], v1 offset:1024
	s_clause 0x4
	buffer_load_dword v163, off, s[0:3], 0 offset:604
	buffer_load_dword v164, off, s[0:3], 0 offset:616
	;; [unrolled: 1-line block ×5, first 2 shown]
	s_waitcnt vmcnt(62) lgkmcnt(1)
	v_mul_f64 v[158:159], v[4:5], v[10:11]
	v_mul_f64 v[160:161], v[2:3], v[10:11]
	s_waitcnt vmcnt(60) lgkmcnt(0)
	v_mul_f64 v[167:168], v[8:9], v[14:15]
	ds_read_b128 v[10:13], v1 offset:1040
	v_mul_f64 v[14:15], v[6:7], v[14:15]
	s_waitcnt vmcnt(58)
	v_fma_f64 v[158:159], v[2:3], v[16:17], -v[158:159]
	v_fma_f64 v[16:17], v[4:5], v[16:17], v[160:161]
	s_clause 0x2
	buffer_load_dword v165, off, s[0:3], 0 offset:620
	buffer_load_dword v161, off, s[0:3], 0 offset:596
	;; [unrolled: 1-line block ×3, first 2 shown]
	s_waitcnt vmcnt(59) lgkmcnt(0)
	v_mul_f64 v[169:170], v[10:11], v[18:19]
	v_mul_f64 v[18:19], v[12:13], v[18:19]
	s_waitcnt vmcnt(57)
	v_fma_f64 v[171:172], v[6:7], v[27:28], -v[167:168]
	ds_read_b128 v[2:5], v1 offset:1056
	v_fma_f64 v[14:15], v[8:9], v[27:28], v[14:15]
	s_clause 0x4
	buffer_load_dword v28, off, s[0:3], 0 offset:636
	buffer_load_dword v168, off, s[0:3], 0 offset:648
	;; [unrolled: 1-line block ×5, first 2 shown]
	ds_read_b128 v[6:9], v1 offset:1072
	v_add_f64 v[158:159], v[158:159], 0
	v_add_f64 v[16:17], v[16:17], 0
	s_waitcnt vmcnt(58) lgkmcnt(1)
	v_mul_f64 v[174:175], v[2:3], v[29:30]
	v_mul_f64 v[29:30], v[4:5], v[29:30]
	s_waitcnt vmcnt(56)
	v_fma_f64 v[18:19], v[10:11], v[35:36], -v[18:19]
	v_fma_f64 v[35:36], v[12:13], v[35:36], v[169:170]
	v_add_f64 v[158:159], v[158:159], v[171:172]
	v_add_f64 v[14:15], v[16:17], v[14:15]
	s_clause 0x2
	buffer_load_dword v169, off, s[0:3], 0 offset:652
	buffer_load_dword v17, off, s[0:3], 0 offset:628
	;; [unrolled: 1-line block ×3, first 2 shown]
	s_waitcnt vmcnt(58) lgkmcnt(0)
	v_mul_f64 v[170:171], v[6:7], v[31:32]
	v_mul_f64 v[31:32], v[8:9], v[31:32]
	s_waitcnt vmcnt(56)
	v_fma_f64 v[29:30], v[2:3], v[37:38], -v[29:30]
	ds_read_b128 v[10:13], v1 offset:1088
	v_fma_f64 v[37:38], v[4:5], v[37:38], v[174:175]
	v_add_f64 v[18:19], v[158:159], v[18:19]
	v_add_f64 v[14:15], v[14:15], v[35:36]
	s_clause 0x4
	buffer_load_dword v36, off, s[0:3], 0 offset:668
	buffer_load_dword v158, off, s[0:3], 0 offset:680
	;; [unrolled: 1-line block ×5, first 2 shown]
	ds_read_b128 v[2:5], v1 offset:1104
	s_waitcnt vmcnt(57) lgkmcnt(1)
	v_mul_f64 v[176:177], v[10:11], v[39:40]
	v_mul_f64 v[39:40], v[12:13], v[39:40]
	s_waitcnt vmcnt(56)
	v_fma_f64 v[31:32], v[6:7], v[33:34], -v[31:32]
	v_add_f64 v[18:19], v[18:19], v[29:30]
	v_fma_f64 v[29:30], v[8:9], v[33:34], v[170:171]
	v_add_f64 v[14:15], v[14:15], v[37:38]
	s_clause 0x2
	buffer_load_dword v159, off, s[0:3], 0 offset:684
	buffer_load_dword v34, off, s[0:3], 0 offset:660
	;; [unrolled: 1-line block ×3, first 2 shown]
	s_waitcnt vmcnt(58) lgkmcnt(0)
	v_mul_f64 v[37:38], v[2:3], v[43:44]
	v_mul_f64 v[43:44], v[4:5], v[43:44]
	s_waitcnt vmcnt(56)
	v_fma_f64 v[39:40], v[10:11], v[47:48], -v[39:40]
	ds_read_b128 v[6:9], v1 offset:1120
	v_add_f64 v[18:19], v[18:19], v[31:32]
	v_fma_f64 v[31:32], v[12:13], v[47:48], v[176:177]
	v_add_f64 v[14:15], v[14:15], v[29:30]
	buffer_load_dword v176, off, s[0:3], 0 offset:676
	ds_read_b128 v[10:13], v1 offset:1136
	s_waitcnt vmcnt(53) lgkmcnt(1)
	v_mul_f64 v[47:48], v[8:9], v[49:50]
	s_waitcnt vmcnt(52)
	v_fma_f64 v[43:44], v[2:3], v[45:46], -v[43:44]
	v_mul_f64 v[29:30], v[6:7], v[49:50]
	v_fma_f64 v[37:38], v[4:5], v[45:46], v[37:38]
	ds_read_b128 v[2:5], v1 offset:1152
	v_add_f64 v[18:19], v[18:19], v[39:40]
	v_add_f64 v[14:15], v[14:15], v[31:32]
	s_waitcnt vmcnt(51) lgkmcnt(1)
	v_mul_f64 v[39:40], v[12:13], v[51:52]
	v_mul_f64 v[31:32], v[10:11], v[51:52]
	s_waitcnt vmcnt(49)
	v_fma_f64 v[45:46], v[6:7], v[55:56], -v[47:48]
	v_fma_f64 v[29:30], v[8:9], v[55:56], v[29:30]
	s_waitcnt vmcnt(45) lgkmcnt(0)
	v_mul_f64 v[49:50], v[4:5], v[57:58]
	v_mul_f64 v[47:48], v[2:3], v[57:58]
	v_add_f64 v[18:19], v[18:19], v[43:44]
	v_add_f64 v[14:15], v[14:15], v[37:38]
	s_clause 0x3
	buffer_load_dword v37, off, s[0:3], 0 offset:336
	buffer_load_dword v38, off, s[0:3], 0 offset:340
	buffer_load_dword v43, off, s[0:3], 0 offset:344
	buffer_load_dword v44, off, s[0:3], 0 offset:348
	s_waitcnt vmcnt(48)
	v_fma_f64 v[39:40], v[10:11], v[53:54], -v[39:40]
	ds_read_b128 v[6:9], v1 offset:1168
	v_fma_f64 v[31:32], v[12:13], v[53:54], v[31:32]
	ds_read_b128 v[10:13], v1 offset:1184
	s_waitcnt vmcnt(45)
	v_fma_f64 v[49:50], v[2:3], v[67:68], -v[49:50]
	v_add_f64 v[18:19], v[18:19], v[45:46]
	v_add_f64 v[14:15], v[14:15], v[29:30]
	s_waitcnt lgkmcnt(1)
	v_mul_f64 v[45:46], v[8:9], v[59:60]
	v_mul_f64 v[29:30], v[6:7], v[59:60]
	v_add_f64 v[18:19], v[18:19], v[39:40]
	v_fma_f64 v[39:40], v[4:5], v[67:68], v[47:48]
	v_add_f64 v[14:15], v[14:15], v[31:32]
	s_waitcnt vmcnt(41) lgkmcnt(0)
	v_mul_f64 v[47:48], v[12:13], v[69:70]
	s_waitcnt vmcnt(40)
	v_fma_f64 v[45:46], v[6:7], v[65:66], -v[45:46]
	ds_read_b128 v[2:5], v1 offset:1200
	v_mul_f64 v[31:32], v[10:11], v[69:70]
	v_fma_f64 v[29:30], v[8:9], v[65:66], v[29:30]
	ds_read_b128 v[6:9], v1 offset:1216
	v_add_f64 v[18:19], v[18:19], v[49:50]
	v_add_f64 v[14:15], v[14:15], v[39:40]
	s_waitcnt vmcnt(39) lgkmcnt(1)
	v_mul_f64 v[49:50], v[4:5], v[71:72]
	s_waitcnt vmcnt(37)
	v_fma_f64 v[47:48], v[10:11], v[148:149], -v[47:48]
	v_mul_f64 v[39:40], v[2:3], v[71:72]
	v_fma_f64 v[31:32], v[12:13], v[148:149], v[31:32]
	ds_read_b128 v[10:13], v1 offset:1232
	v_add_f64 v[18:19], v[18:19], v[45:46]
	s_waitcnt vmcnt(33) lgkmcnt(1)
	v_mul_f64 v[45:46], v[8:9], v[150:151]
	v_add_f64 v[14:15], v[14:15], v[29:30]
	s_waitcnt vmcnt(32)
	v_fma_f64 v[49:50], v[2:3], v[146:147], -v[49:50]
	v_mul_f64 v[29:30], v[6:7], v[150:151]
	v_fma_f64 v[39:40], v[4:5], v[146:147], v[39:40]
	ds_read_b128 v[2:5], v1 offset:1248
	v_add_f64 v[18:19], v[18:19], v[47:48]
	s_waitcnt vmcnt(31) lgkmcnt(1)
	v_mul_f64 v[47:48], v[12:13], v[152:153]
	v_add_f64 v[14:15], v[14:15], v[31:32]
	;; [unrolled: 9-line block ×3, first 2 shown]
	s_waitcnt vmcnt(24)
	v_fma_f64 v[47:48], v[10:11], v[154:155], -v[47:48]
	v_mul_f64 v[39:40], v[2:3], v[162:163]
	v_fma_f64 v[31:32], v[12:13], v[154:155], v[31:32]
	ds_read_b128 v[10:13], v1 offset:1280
	v_add_f64 v[18:19], v[18:19], v[45:46]
	v_add_f64 v[14:15], v[14:15], v[29:30]
	s_waitcnt vmcnt(23) lgkmcnt(1)
	v_mul_f64 v[45:46], v[8:9], v[164:165]
	v_mul_f64 v[29:30], v[6:7], v[164:165]
	s_waitcnt vmcnt(21)
	v_fma_f64 v[49:50], v[2:3], v[160:161], -v[49:50]
	v_fma_f64 v[39:40], v[4:5], v[160:161], v[39:40]
	ds_read_b128 v[2:5], v1 offset:1296
	v_add_f64 v[18:19], v[18:19], v[47:48]
	v_add_f64 v[14:15], v[14:15], v[31:32]
	s_waitcnt vmcnt(17) lgkmcnt(1)
	v_mul_f64 v[31:32], v[10:11], v[27:28]
	v_mul_f64 v[27:28], v[12:13], v[27:28]
	s_waitcnt vmcnt(16)
	v_fma_f64 v[45:46], v[6:7], v[166:167], -v[45:46]
	;; [unrolled: 9-line block ×3, first 2 shown]
	v_fma_f64 v[16:17], v[12:13], v[16:17], v[31:32]
	ds_read_b128 v[10:13], v1 offset:1328
	v_add_f64 v[18:19], v[18:19], v[45:46]
	v_add_f64 v[14:15], v[14:15], v[29:30]
	s_waitcnt vmcnt(9) lgkmcnt(1)
	v_mul_f64 v[31:32], v[8:9], v[35:36]
	s_waitcnt vmcnt(8)
	v_fma_f64 v[2:3], v[2:3], v[173:174], -v[47:48]
	v_mul_f64 v[29:30], v[6:7], v[35:36]
	v_fma_f64 v[4:5], v[4:5], v[173:174], v[39:40]
	v_add_f64 v[18:19], v[18:19], v[27:28]
	v_add_f64 v[14:15], v[14:15], v[16:17]
	s_waitcnt vmcnt(7) lgkmcnt(0)
	v_mul_f64 v[27:28], v[12:13], v[158:159]
	v_mul_f64 v[16:17], v[10:11], v[158:159]
	s_waitcnt vmcnt(5)
	v_fma_f64 v[6:7], v[6:7], v[33:34], -v[31:32]
	v_fma_f64 v[8:9], v[8:9], v[33:34], v[29:30]
	v_add_f64 v[2:3], v[18:19], v[2:3]
	v_add_f64 v[4:5], v[14:15], v[4:5]
	s_waitcnt vmcnt(4)
	v_fma_f64 v[10:11], v[10:11], v[175:176], -v[27:28]
	v_add_f64 v[2:3], v[2:3], v[6:7]
	v_fma_f64 v[6:7], v[12:13], v[175:176], v[16:17]
	v_add_f64 v[4:5], v[4:5], v[8:9]
	v_add_f64 v[2:3], v[2:3], v[10:11]
	;; [unrolled: 1-line block ×3, first 2 shown]
	s_waitcnt vmcnt(2)
	v_add_f64 v[2:3], v[37:38], -v[2:3]
	s_waitcnt vmcnt(0)
	v_add_f64 v[4:5], v[43:44], -v[4:5]
	buffer_store_dword v3, off, s[0:3], 0 offset:340
	buffer_store_dword v2, off, s[0:3], 0 offset:336
	;; [unrolled: 1-line block ×4, first 2 shown]
	v_cmpx_lt_u32_e32 19, v0
	s_cbranch_execz .LBB41_227
; %bb.226:
	v_mov_b32_e32 v5, s25
	s_clause 0x3
	buffer_load_dword v2, v5, s[0:3], 0 offen
	buffer_load_dword v3, v5, s[0:3], 0 offen offset:4
	buffer_load_dword v4, v5, s[0:3], 0 offen offset:8
	;; [unrolled: 1-line block ×3, first 2 shown]
	buffer_store_dword v1, off, s[0:3], 0 offset:320
	buffer_store_dword v1, off, s[0:3], 0 offset:324
	;; [unrolled: 1-line block ×4, first 2 shown]
	s_waitcnt vmcnt(0)
	ds_write_b128 v145, v[2:5]
.LBB41_227:
	s_or_b32 exec_lo, exec_lo, s4
	s_waitcnt lgkmcnt(0)
	s_waitcnt_vscnt null, 0x0
	s_barrier
	buffer_gl0_inv
	s_clause 0x37
	buffer_load_dword v10, off, s[0:3], 0 offset:344
	buffer_load_dword v11, off, s[0:3], 0 offset:348
	;; [unrolled: 1-line block ×56, first 2 shown]
	ds_read_b128 v[2:5], v1 offset:992
	s_clause 0x2
	buffer_load_dword v153, off, s[0:3], 0 offset:572
	buffer_load_dword v157, off, s[0:3], 0 offset:548
	;; [unrolled: 1-line block ×3, first 2 shown]
	ds_read_b128 v[6:9], v1 offset:1008
	s_clause 0x4
	buffer_load_dword v163, off, s[0:3], 0 offset:588
	buffer_load_dword v164, off, s[0:3], 0 offset:600
	;; [unrolled: 1-line block ×5, first 2 shown]
	s_mov_b32 s4, exec_lo
	s_waitcnt vmcnt(62) lgkmcnt(1)
	v_mul_f64 v[158:159], v[4:5], v[10:11]
	v_mul_f64 v[160:161], v[2:3], v[10:11]
	s_waitcnt vmcnt(60) lgkmcnt(0)
	v_mul_f64 v[167:168], v[8:9], v[14:15]
	ds_read_b128 v[10:13], v1 offset:1024
	v_mul_f64 v[14:15], v[6:7], v[14:15]
	s_waitcnt vmcnt(58)
	v_fma_f64 v[158:159], v[2:3], v[16:17], -v[158:159]
	v_fma_f64 v[16:17], v[4:5], v[16:17], v[160:161]
	s_clause 0x2
	buffer_load_dword v165, off, s[0:3], 0 offset:604
	buffer_load_dword v161, off, s[0:3], 0 offset:580
	;; [unrolled: 1-line block ×3, first 2 shown]
	s_waitcnt vmcnt(59) lgkmcnt(0)
	v_mul_f64 v[169:170], v[10:11], v[18:19]
	v_mul_f64 v[18:19], v[12:13], v[18:19]
	s_waitcnt vmcnt(57)
	v_fma_f64 v[171:172], v[6:7], v[27:28], -v[167:168]
	ds_read_b128 v[2:5], v1 offset:1040
	v_fma_f64 v[14:15], v[8:9], v[27:28], v[14:15]
	s_clause 0x4
	buffer_load_dword v28, off, s[0:3], 0 offset:620
	buffer_load_dword v168, off, s[0:3], 0 offset:632
	;; [unrolled: 1-line block ×5, first 2 shown]
	ds_read_b128 v[6:9], v1 offset:1056
	v_add_f64 v[158:159], v[158:159], 0
	v_add_f64 v[16:17], v[16:17], 0
	s_waitcnt vmcnt(58) lgkmcnt(1)
	v_mul_f64 v[174:175], v[2:3], v[29:30]
	v_mul_f64 v[29:30], v[4:5], v[29:30]
	s_waitcnt vmcnt(56)
	v_fma_f64 v[18:19], v[10:11], v[35:36], -v[18:19]
	v_fma_f64 v[35:36], v[12:13], v[35:36], v[169:170]
	v_add_f64 v[158:159], v[158:159], v[171:172]
	v_add_f64 v[14:15], v[16:17], v[14:15]
	s_clause 0x2
	buffer_load_dword v169, off, s[0:3], 0 offset:636
	buffer_load_dword v17, off, s[0:3], 0 offset:612
	;; [unrolled: 1-line block ×3, first 2 shown]
	s_waitcnt vmcnt(58) lgkmcnt(0)
	v_mul_f64 v[170:171], v[6:7], v[31:32]
	v_mul_f64 v[31:32], v[8:9], v[31:32]
	s_waitcnt vmcnt(56)
	v_fma_f64 v[29:30], v[2:3], v[37:38], -v[29:30]
	ds_read_b128 v[10:13], v1 offset:1072
	v_fma_f64 v[37:38], v[4:5], v[37:38], v[174:175]
	v_add_f64 v[18:19], v[158:159], v[18:19]
	v_add_f64 v[14:15], v[14:15], v[35:36]
	s_clause 0x4
	buffer_load_dword v36, off, s[0:3], 0 offset:652
	buffer_load_dword v158, off, s[0:3], 0 offset:664
	;; [unrolled: 1-line block ×5, first 2 shown]
	ds_read_b128 v[2:5], v1 offset:1088
	s_waitcnt vmcnt(57) lgkmcnt(1)
	v_mul_f64 v[176:177], v[10:11], v[39:40]
	v_mul_f64 v[39:40], v[12:13], v[39:40]
	s_waitcnt vmcnt(56)
	v_fma_f64 v[31:32], v[6:7], v[33:34], -v[31:32]
	v_add_f64 v[18:19], v[18:19], v[29:30]
	v_fma_f64 v[29:30], v[8:9], v[33:34], v[170:171]
	v_add_f64 v[14:15], v[14:15], v[37:38]
	s_clause 0x2
	buffer_load_dword v159, off, s[0:3], 0 offset:668
	buffer_load_dword v34, off, s[0:3], 0 offset:644
	;; [unrolled: 1-line block ×3, first 2 shown]
	s_waitcnt vmcnt(58) lgkmcnt(0)
	v_mul_f64 v[37:38], v[2:3], v[43:44]
	v_mul_f64 v[43:44], v[4:5], v[43:44]
	s_waitcnt vmcnt(56)
	v_fma_f64 v[39:40], v[10:11], v[47:48], -v[39:40]
	ds_read_b128 v[6:9], v1 offset:1104
	v_add_f64 v[18:19], v[18:19], v[31:32]
	v_fma_f64 v[31:32], v[12:13], v[47:48], v[176:177]
	v_add_f64 v[14:15], v[14:15], v[29:30]
	s_clause 0x2
	buffer_load_dword v30, off, s[0:3], 0 offset:684
	buffer_load_dword v29, off, s[0:3], 0 offset:680
	;; [unrolled: 1-line block ×3, first 2 shown]
	ds_read_b128 v[10:13], v1 offset:1120
	s_waitcnt vmcnt(55) lgkmcnt(1)
	v_mul_f64 v[47:48], v[6:7], v[49:50]
	v_mul_f64 v[49:50], v[8:9], v[49:50]
	s_waitcnt vmcnt(54)
	v_fma_f64 v[43:44], v[2:3], v[45:46], -v[43:44]
	v_fma_f64 v[37:38], v[4:5], v[45:46], v[37:38]
	v_add_f64 v[18:19], v[18:19], v[39:40]
	v_add_f64 v[14:15], v[14:15], v[31:32]
	s_clause 0x1
	buffer_load_dword v32, off, s[0:3], 0 offset:676
	buffer_load_dword v31, off, s[0:3], 0 offset:672
	s_waitcnt vmcnt(55) lgkmcnt(0)
	v_mul_f64 v[45:46], v[12:13], v[51:52]
	ds_read_b128 v[2:5], v1 offset:1136
	s_waitcnt vmcnt(53)
	v_fma_f64 v[49:50], v[6:7], v[55:56], -v[49:50]
	v_mul_f64 v[39:40], v[10:11], v[51:52]
	v_add_f64 v[18:19], v[18:19], v[43:44]
	v_fma_f64 v[43:44], v[8:9], v[55:56], v[47:48]
	v_add_f64 v[14:15], v[14:15], v[37:38]
	ds_read_b128 v[6:9], v1 offset:1152
	s_waitcnt vmcnt(49) lgkmcnt(1)
	v_mul_f64 v[47:48], v[4:5], v[57:58]
	s_waitcnt vmcnt(48)
	v_fma_f64 v[45:46], v[10:11], v[53:54], -v[45:46]
	v_mul_f64 v[37:38], v[2:3], v[57:58]
	v_fma_f64 v[39:40], v[12:13], v[53:54], v[39:40]
	v_add_f64 v[18:19], v[18:19], v[49:50]
	s_waitcnt vmcnt(47) lgkmcnt(0)
	v_mul_f64 v[53:54], v[8:9], v[59:60]
	v_add_f64 v[14:15], v[14:15], v[43:44]
	s_clause 0x3
	buffer_load_dword v43, off, s[0:3], 0 offset:320
	buffer_load_dword v44, off, s[0:3], 0 offset:324
	;; [unrolled: 1-line block ×4, first 2 shown]
	s_waitcnt vmcnt(49)
	v_fma_f64 v[47:48], v[2:3], v[67:68], -v[47:48]
	ds_read_b128 v[10:13], v1 offset:1168
	v_mul_f64 v[51:52], v[6:7], v[59:60]
	v_fma_f64 v[37:38], v[4:5], v[67:68], v[37:38]
	ds_read_b128 v[2:5], v1 offset:1184
	v_add_f64 v[18:19], v[18:19], v[45:46]
	s_waitcnt vmcnt(44)
	v_fma_f64 v[53:54], v[6:7], v[65:66], -v[53:54]
	v_add_f64 v[14:15], v[14:15], v[39:40]
	s_waitcnt lgkmcnt(1)
	v_mul_f64 v[45:46], v[12:13], v[69:70]
	v_mul_f64 v[39:40], v[10:11], v[69:70]
	v_add_f64 v[18:19], v[18:19], v[47:48]
	v_fma_f64 v[47:48], v[8:9], v[65:66], v[51:52]
	v_add_f64 v[14:15], v[14:15], v[37:38]
	s_waitcnt vmcnt(43) lgkmcnt(0)
	v_mul_f64 v[51:52], v[4:5], v[71:72]
	s_waitcnt vmcnt(41)
	v_fma_f64 v[45:46], v[10:11], v[148:149], -v[45:46]
	ds_read_b128 v[6:9], v1 offset:1200
	v_mul_f64 v[37:38], v[2:3], v[71:72]
	v_fma_f64 v[39:40], v[12:13], v[148:149], v[39:40]
	ds_read_b128 v[10:13], v1 offset:1216
	v_add_f64 v[18:19], v[18:19], v[53:54]
	v_add_f64 v[14:15], v[14:15], v[47:48]
	s_waitcnt vmcnt(37) lgkmcnt(1)
	v_mul_f64 v[53:54], v[8:9], v[150:151]
	s_waitcnt vmcnt(36)
	v_fma_f64 v[51:52], v[2:3], v[146:147], -v[51:52]
	v_mul_f64 v[47:48], v[6:7], v[150:151]
	v_fma_f64 v[37:38], v[4:5], v[146:147], v[37:38]
	ds_read_b128 v[2:5], v1 offset:1232
	v_add_f64 v[18:19], v[18:19], v[45:46]
	s_waitcnt vmcnt(35) lgkmcnt(1)
	v_mul_f64 v[45:46], v[12:13], v[152:153]
	v_add_f64 v[14:15], v[14:15], v[39:40]
	s_waitcnt vmcnt(33)
	v_fma_f64 v[53:54], v[6:7], v[156:157], -v[53:54]
	v_mul_f64 v[39:40], v[10:11], v[152:153]
	v_fma_f64 v[47:48], v[8:9], v[156:157], v[47:48]
	ds_read_b128 v[6:9], v1 offset:1248
	v_add_f64 v[18:19], v[18:19], v[51:52]
	s_waitcnt vmcnt(29) lgkmcnt(1)
	v_mul_f64 v[51:52], v[4:5], v[162:163]
	v_add_f64 v[14:15], v[14:15], v[37:38]
	s_waitcnt vmcnt(28)
	v_fma_f64 v[45:46], v[10:11], v[154:155], -v[45:46]
	v_mul_f64 v[37:38], v[2:3], v[162:163]
	v_fma_f64 v[39:40], v[12:13], v[154:155], v[39:40]
	ds_read_b128 v[10:13], v1 offset:1264
	v_add_f64 v[18:19], v[18:19], v[53:54]
	v_add_f64 v[14:15], v[14:15], v[47:48]
	s_waitcnt vmcnt(27) lgkmcnt(1)
	v_mul_f64 v[53:54], v[8:9], v[164:165]
	v_mul_f64 v[47:48], v[6:7], v[164:165]
	s_waitcnt vmcnt(25)
	v_fma_f64 v[51:52], v[2:3], v[160:161], -v[51:52]
	v_fma_f64 v[37:38], v[4:5], v[160:161], v[37:38]
	ds_read_b128 v[2:5], v1 offset:1280
	v_add_f64 v[18:19], v[18:19], v[45:46]
	v_add_f64 v[14:15], v[14:15], v[39:40]
	s_waitcnt vmcnt(21) lgkmcnt(1)
	v_mul_f64 v[39:40], v[10:11], v[27:28]
	v_mul_f64 v[27:28], v[12:13], v[27:28]
	s_waitcnt vmcnt(20)
	v_fma_f64 v[45:46], v[6:7], v[166:167], -v[53:54]
	;; [unrolled: 9-line block ×4, first 2 shown]
	v_add_f64 v[18:19], v[18:19], v[27:28]
	v_fma_f64 v[27:28], v[4:5], v[173:174], v[37:38]
	v_add_f64 v[14:15], v[14:15], v[16:17]
	ds_read_b128 v[1:4], v1 offset:1328
	s_waitcnt vmcnt(11) lgkmcnt(1)
	v_mul_f64 v[37:38], v[12:13], v[158:159]
	v_mul_f64 v[16:17], v[10:11], v[158:159]
	s_waitcnt vmcnt(9)
	v_fma_f64 v[5:6], v[6:7], v[33:34], -v[35:36]
	v_fma_f64 v[7:8], v[8:9], v[33:34], v[39:40]
	v_add_f64 v[18:19], v[18:19], v[45:46]
	v_add_f64 v[14:15], v[14:15], v[27:28]
	s_waitcnt vmcnt(7) lgkmcnt(0)
	v_mul_f64 v[27:28], v[1:2], v[29:30]
	v_mul_f64 v[29:30], v[3:4], v[29:30]
	s_waitcnt vmcnt(6)
	v_fma_f64 v[9:10], v[10:11], v[175:176], -v[37:38]
	v_fma_f64 v[11:12], v[12:13], v[175:176], v[16:17]
	v_add_f64 v[5:6], v[18:19], v[5:6]
	v_add_f64 v[7:8], v[14:15], v[7:8]
	s_waitcnt vmcnt(4)
	v_fma_f64 v[1:2], v[1:2], v[31:32], -v[29:30]
	v_fma_f64 v[3:4], v[3:4], v[31:32], v[27:28]
	v_add_f64 v[5:6], v[5:6], v[9:10]
	v_add_f64 v[7:8], v[7:8], v[11:12]
	;; [unrolled: 1-line block ×4, first 2 shown]
	s_waitcnt vmcnt(2)
	v_add_f64 v[1:2], v[43:44], -v[1:2]
	s_waitcnt vmcnt(0)
	v_add_f64 v[3:4], v[49:50], -v[3:4]
	buffer_store_dword v2, off, s[0:3], 0 offset:324
	buffer_store_dword v1, off, s[0:3], 0 offset:320
	;; [unrolled: 1-line block ×4, first 2 shown]
	v_cmpx_lt_u32_e32 18, v0
	s_cbranch_execz .LBB41_229
; %bb.228:
	v_mov_b32_e32 v4, s27
	v_mov_b32_e32 v5, 0
	s_clause 0x3
	buffer_load_dword v1, v4, s[0:3], 0 offen
	buffer_load_dword v2, v4, s[0:3], 0 offen offset:4
	buffer_load_dword v3, v4, s[0:3], 0 offen offset:8
	;; [unrolled: 1-line block ×3, first 2 shown]
	buffer_store_dword v5, off, s[0:3], 0 offset:304
	buffer_store_dword v5, off, s[0:3], 0 offset:308
	;; [unrolled: 1-line block ×4, first 2 shown]
	s_waitcnt vmcnt(0)
	ds_write_b128 v145, v[1:4]
.LBB41_229:
	s_or_b32 exec_lo, exec_lo, s4
	s_waitcnt lgkmcnt(0)
	s_waitcnt_vscnt null, 0x0
	s_barrier
	buffer_gl0_inv
	s_clause 0x37
	buffer_load_dword v10, off, s[0:3], 0 offset:328
	buffer_load_dword v11, off, s[0:3], 0 offset:332
	;; [unrolled: 1-line block ×56, first 2 shown]
	v_mov_b32_e32 v1, 0
	s_mov_b32 s4, exec_lo
	ds_read_b128 v[2:5], v1 offset:976
	s_clause 0x2
	buffer_load_dword v153, off, s[0:3], 0 offset:556
	buffer_load_dword v157, off, s[0:3], 0 offset:532
	;; [unrolled: 1-line block ×3, first 2 shown]
	ds_read_b128 v[6:9], v1 offset:992
	s_clause 0x4
	buffer_load_dword v163, off, s[0:3], 0 offset:572
	buffer_load_dword v164, off, s[0:3], 0 offset:584
	;; [unrolled: 1-line block ×5, first 2 shown]
	s_waitcnt vmcnt(62) lgkmcnt(1)
	v_mul_f64 v[158:159], v[4:5], v[10:11]
	v_mul_f64 v[160:161], v[2:3], v[10:11]
	s_waitcnt vmcnt(60) lgkmcnt(0)
	v_mul_f64 v[167:168], v[8:9], v[14:15]
	ds_read_b128 v[10:13], v1 offset:1008
	v_mul_f64 v[14:15], v[6:7], v[14:15]
	s_waitcnt vmcnt(58)
	v_fma_f64 v[158:159], v[2:3], v[16:17], -v[158:159]
	v_fma_f64 v[16:17], v[4:5], v[16:17], v[160:161]
	s_clause 0x2
	buffer_load_dword v165, off, s[0:3], 0 offset:588
	buffer_load_dword v161, off, s[0:3], 0 offset:564
	buffer_load_dword v160, off, s[0:3], 0 offset:560
	s_waitcnt vmcnt(59) lgkmcnt(0)
	v_mul_f64 v[169:170], v[10:11], v[18:19]
	v_mul_f64 v[18:19], v[12:13], v[18:19]
	s_waitcnt vmcnt(57)
	v_fma_f64 v[171:172], v[6:7], v[27:28], -v[167:168]
	ds_read_b128 v[2:5], v1 offset:1024
	v_fma_f64 v[14:15], v[8:9], v[27:28], v[14:15]
	s_clause 0x4
	buffer_load_dword v28, off, s[0:3], 0 offset:604
	buffer_load_dword v168, off, s[0:3], 0 offset:616
	;; [unrolled: 1-line block ×5, first 2 shown]
	ds_read_b128 v[6:9], v1 offset:1040
	v_add_f64 v[158:159], v[158:159], 0
	v_add_f64 v[16:17], v[16:17], 0
	s_waitcnt vmcnt(58) lgkmcnt(1)
	v_mul_f64 v[174:175], v[2:3], v[29:30]
	v_mul_f64 v[29:30], v[4:5], v[29:30]
	s_waitcnt vmcnt(56)
	v_fma_f64 v[18:19], v[10:11], v[35:36], -v[18:19]
	v_fma_f64 v[35:36], v[12:13], v[35:36], v[169:170]
	v_add_f64 v[158:159], v[158:159], v[171:172]
	v_add_f64 v[14:15], v[16:17], v[14:15]
	s_clause 0x2
	buffer_load_dword v169, off, s[0:3], 0 offset:620
	buffer_load_dword v17, off, s[0:3], 0 offset:596
	;; [unrolled: 1-line block ×3, first 2 shown]
	s_waitcnt vmcnt(58) lgkmcnt(0)
	v_mul_f64 v[170:171], v[6:7], v[31:32]
	v_mul_f64 v[31:32], v[8:9], v[31:32]
	s_waitcnt vmcnt(56)
	v_fma_f64 v[29:30], v[2:3], v[37:38], -v[29:30]
	ds_read_b128 v[10:13], v1 offset:1056
	v_fma_f64 v[37:38], v[4:5], v[37:38], v[174:175]
	v_add_f64 v[18:19], v[158:159], v[18:19]
	v_add_f64 v[14:15], v[14:15], v[35:36]
	s_clause 0x4
	buffer_load_dword v36, off, s[0:3], 0 offset:636
	buffer_load_dword v158, off, s[0:3], 0 offset:648
	;; [unrolled: 1-line block ×5, first 2 shown]
	ds_read_b128 v[2:5], v1 offset:1072
	s_waitcnt vmcnt(57) lgkmcnt(1)
	v_mul_f64 v[176:177], v[10:11], v[39:40]
	v_mul_f64 v[39:40], v[12:13], v[39:40]
	s_waitcnt vmcnt(56)
	v_fma_f64 v[31:32], v[6:7], v[33:34], -v[31:32]
	v_add_f64 v[18:19], v[18:19], v[29:30]
	v_fma_f64 v[29:30], v[8:9], v[33:34], v[170:171]
	v_add_f64 v[14:15], v[14:15], v[37:38]
	s_clause 0x2
	buffer_load_dword v159, off, s[0:3], 0 offset:652
	buffer_load_dword v34, off, s[0:3], 0 offset:628
	;; [unrolled: 1-line block ×3, first 2 shown]
	s_waitcnt vmcnt(58) lgkmcnt(0)
	v_mul_f64 v[37:38], v[2:3], v[43:44]
	v_mul_f64 v[43:44], v[4:5], v[43:44]
	s_waitcnt vmcnt(56)
	v_fma_f64 v[39:40], v[10:11], v[47:48], -v[39:40]
	ds_read_b128 v[6:9], v1 offset:1088
	v_add_f64 v[18:19], v[18:19], v[31:32]
	v_fma_f64 v[31:32], v[12:13], v[47:48], v[176:177]
	v_add_f64 v[14:15], v[14:15], v[29:30]
	s_clause 0x4
	buffer_load_dword v30, off, s[0:3], 0 offset:668
	buffer_load_dword v47, off, s[0:3], 0 offset:680
	;; [unrolled: 1-line block ×5, first 2 shown]
	ds_read_b128 v[10:13], v1 offset:1104
	s_waitcnt vmcnt(57) lgkmcnt(1)
	v_mul_f64 v[171:172], v[6:7], v[49:50]
	v_mul_f64 v[49:50], v[8:9], v[49:50]
	s_waitcnt vmcnt(56)
	v_fma_f64 v[43:44], v[2:3], v[45:46], -v[43:44]
	v_fma_f64 v[37:38], v[4:5], v[45:46], v[37:38]
	v_add_f64 v[18:19], v[18:19], v[39:40]
	v_add_f64 v[14:15], v[14:15], v[31:32]
	s_clause 0x2
	buffer_load_dword v48, off, s[0:3], 0 offset:684
	buffer_load_dword v32, off, s[0:3], 0 offset:660
	;; [unrolled: 1-line block ×3, first 2 shown]
	s_waitcnt vmcnt(58) lgkmcnt(0)
	v_mul_f64 v[45:46], v[12:13], v[51:52]
	ds_read_b128 v[2:5], v1 offset:1120
	s_waitcnt vmcnt(56)
	v_fma_f64 v[49:50], v[6:7], v[55:56], -v[49:50]
	v_mul_f64 v[39:40], v[10:11], v[51:52]
	v_add_f64 v[18:19], v[18:19], v[43:44]
	v_fma_f64 v[43:44], v[8:9], v[55:56], v[171:172]
	v_add_f64 v[14:15], v[14:15], v[37:38]
	buffer_load_dword v171, off, s[0:3], 0 offset:676
	ds_read_b128 v[6:9], v1 offset:1136
	s_waitcnt vmcnt(53) lgkmcnt(1)
	v_mul_f64 v[51:52], v[4:5], v[57:58]
	s_waitcnt vmcnt(52)
	v_fma_f64 v[45:46], v[10:11], v[53:54], -v[45:46]
	v_mul_f64 v[37:38], v[2:3], v[57:58]
	v_fma_f64 v[39:40], v[12:13], v[53:54], v[39:40]
	ds_read_b128 v[10:13], v1 offset:1152
	v_add_f64 v[18:19], v[18:19], v[49:50]
	v_add_f64 v[14:15], v[14:15], v[43:44]
	s_waitcnt vmcnt(51) lgkmcnt(1)
	v_mul_f64 v[49:50], v[8:9], v[59:60]
	v_mul_f64 v[43:44], v[6:7], v[59:60]
	s_waitcnt vmcnt(49)
	v_fma_f64 v[51:52], v[2:3], v[67:68], -v[51:52]
	v_fma_f64 v[37:38], v[4:5], v[67:68], v[37:38]
	s_waitcnt vmcnt(45) lgkmcnt(0)
	v_mul_f64 v[55:56], v[12:13], v[69:70]
	v_mul_f64 v[53:54], v[10:11], v[69:70]
	v_add_f64 v[18:19], v[18:19], v[45:46]
	v_add_f64 v[14:15], v[14:15], v[39:40]
	s_clause 0x3
	buffer_load_dword v39, off, s[0:3], 0 offset:304
	buffer_load_dword v40, off, s[0:3], 0 offset:308
	;; [unrolled: 1-line block ×4, first 2 shown]
	s_waitcnt vmcnt(48)
	v_fma_f64 v[49:50], v[6:7], v[65:66], -v[49:50]
	ds_read_b128 v[2:5], v1 offset:1168
	v_fma_f64 v[43:44], v[8:9], v[65:66], v[43:44]
	ds_read_b128 v[6:9], v1 offset:1184
	s_waitcnt vmcnt(45)
	v_fma_f64 v[55:56], v[10:11], v[148:149], -v[55:56]
	v_add_f64 v[18:19], v[18:19], v[51:52]
	v_add_f64 v[14:15], v[14:15], v[37:38]
	s_waitcnt lgkmcnt(1)
	v_mul_f64 v[51:52], v[4:5], v[71:72]
	v_mul_f64 v[37:38], v[2:3], v[71:72]
	v_add_f64 v[18:19], v[18:19], v[49:50]
	v_fma_f64 v[49:50], v[12:13], v[148:149], v[53:54]
	v_add_f64 v[14:15], v[14:15], v[43:44]
	s_waitcnt vmcnt(41) lgkmcnt(0)
	v_mul_f64 v[53:54], v[8:9], v[150:151]
	s_waitcnt vmcnt(40)
	v_fma_f64 v[51:52], v[2:3], v[146:147], -v[51:52]
	ds_read_b128 v[10:13], v1 offset:1200
	v_mul_f64 v[43:44], v[6:7], v[150:151]
	v_fma_f64 v[37:38], v[4:5], v[146:147], v[37:38]
	ds_read_b128 v[2:5], v1 offset:1216
	v_add_f64 v[18:19], v[18:19], v[55:56]
	v_add_f64 v[14:15], v[14:15], v[49:50]
	s_waitcnt vmcnt(39) lgkmcnt(1)
	v_mul_f64 v[55:56], v[12:13], v[152:153]
	s_waitcnt vmcnt(37)
	v_fma_f64 v[53:54], v[6:7], v[156:157], -v[53:54]
	v_mul_f64 v[49:50], v[10:11], v[152:153]
	v_fma_f64 v[43:44], v[8:9], v[156:157], v[43:44]
	ds_read_b128 v[6:9], v1 offset:1232
	v_add_f64 v[18:19], v[18:19], v[51:52]
	s_waitcnt vmcnt(33) lgkmcnt(1)
	v_mul_f64 v[51:52], v[4:5], v[162:163]
	v_add_f64 v[14:15], v[14:15], v[37:38]
	s_waitcnt vmcnt(32)
	v_fma_f64 v[55:56], v[10:11], v[154:155], -v[55:56]
	v_mul_f64 v[37:38], v[2:3], v[162:163]
	v_fma_f64 v[49:50], v[12:13], v[154:155], v[49:50]
	ds_read_b128 v[10:13], v1 offset:1248
	v_add_f64 v[18:19], v[18:19], v[53:54]
	v_add_f64 v[14:15], v[14:15], v[43:44]
	s_waitcnt vmcnt(31) lgkmcnt(1)
	v_mul_f64 v[53:54], v[8:9], v[164:165]
	v_mul_f64 v[43:44], v[6:7], v[164:165]
	s_waitcnt vmcnt(29)
	v_fma_f64 v[51:52], v[2:3], v[160:161], -v[51:52]
	v_fma_f64 v[37:38], v[4:5], v[160:161], v[37:38]
	ds_read_b128 v[2:5], v1 offset:1264
	v_add_f64 v[18:19], v[18:19], v[55:56]
	v_add_f64 v[14:15], v[14:15], v[49:50]
	s_waitcnt vmcnt(25) lgkmcnt(1)
	v_mul_f64 v[49:50], v[10:11], v[27:28]
	v_mul_f64 v[27:28], v[12:13], v[27:28]
	s_waitcnt vmcnt(24)
	v_fma_f64 v[53:54], v[6:7], v[166:167], -v[53:54]
	;; [unrolled: 9-line block ×4, first 2 shown]
	v_add_f64 v[18:19], v[18:19], v[27:28]
	v_fma_f64 v[27:28], v[4:5], v[173:174], v[37:38]
	v_add_f64 v[14:15], v[14:15], v[16:17]
	ds_read_b128 v[2:5], v1 offset:1312
	s_waitcnt vmcnt(15) lgkmcnt(1)
	v_mul_f64 v[37:38], v[12:13], v[158:159]
	v_mul_f64 v[16:17], v[10:11], v[158:159]
	s_waitcnt vmcnt(13)
	v_fma_f64 v[35:36], v[6:7], v[33:34], -v[35:36]
	v_fma_f64 v[33:34], v[8:9], v[33:34], v[43:44]
	ds_read_b128 v[6:9], v1 offset:1328
	v_add_f64 v[18:19], v[18:19], v[49:50]
	v_add_f64 v[14:15], v[14:15], v[27:28]
	s_waitcnt vmcnt(9) lgkmcnt(1)
	v_mul_f64 v[27:28], v[2:3], v[29:30]
	v_mul_f64 v[29:30], v[4:5], v[29:30]
	s_waitcnt vmcnt(8)
	v_fma_f64 v[10:11], v[10:11], v[175:176], -v[37:38]
	v_fma_f64 v[12:13], v[12:13], v[175:176], v[16:17]
	v_add_f64 v[18:19], v[18:19], v[35:36]
	v_add_f64 v[14:15], v[14:15], v[33:34]
	s_waitcnt vmcnt(7) lgkmcnt(0)
	v_mul_f64 v[33:34], v[8:9], v[47:48]
	v_mul_f64 v[16:17], v[6:7], v[47:48]
	s_waitcnt vmcnt(5)
	v_fma_f64 v[2:3], v[2:3], v[31:32], -v[29:30]
	v_fma_f64 v[4:5], v[4:5], v[31:32], v[27:28]
	v_add_f64 v[10:11], v[18:19], v[10:11]
	v_add_f64 v[12:13], v[14:15], v[12:13]
	s_waitcnt vmcnt(4)
	v_fma_f64 v[6:7], v[6:7], v[170:171], -v[33:34]
	v_fma_f64 v[8:9], v[8:9], v[170:171], v[16:17]
	v_add_f64 v[2:3], v[10:11], v[2:3]
	v_add_f64 v[4:5], v[12:13], v[4:5]
	;; [unrolled: 1-line block ×4, first 2 shown]
	s_waitcnt vmcnt(2)
	v_add_f64 v[2:3], v[39:40], -v[2:3]
	s_waitcnt vmcnt(0)
	v_add_f64 v[4:5], v[45:46], -v[4:5]
	buffer_store_dword v3, off, s[0:3], 0 offset:308
	buffer_store_dword v2, off, s[0:3], 0 offset:304
	;; [unrolled: 1-line block ×4, first 2 shown]
	v_cmpx_lt_u32_e32 17, v0
	s_cbranch_execz .LBB41_231
; %bb.230:
	v_mov_b32_e32 v5, s29
	s_clause 0x3
	buffer_load_dword v2, v5, s[0:3], 0 offen
	buffer_load_dword v3, v5, s[0:3], 0 offen offset:4
	buffer_load_dword v4, v5, s[0:3], 0 offen offset:8
	;; [unrolled: 1-line block ×3, first 2 shown]
	buffer_store_dword v1, off, s[0:3], 0 offset:288
	buffer_store_dword v1, off, s[0:3], 0 offset:292
	;; [unrolled: 1-line block ×4, first 2 shown]
	s_waitcnt vmcnt(0)
	ds_write_b128 v145, v[2:5]
.LBB41_231:
	s_or_b32 exec_lo, exec_lo, s4
	s_waitcnt lgkmcnt(0)
	s_waitcnt_vscnt null, 0x0
	s_barrier
	buffer_gl0_inv
	s_clause 0x37
	buffer_load_dword v10, off, s[0:3], 0 offset:312
	buffer_load_dword v11, off, s[0:3], 0 offset:316
	;; [unrolled: 1-line block ×56, first 2 shown]
	ds_read_b128 v[2:5], v1 offset:960
	s_clause 0x2
	buffer_load_dword v153, off, s[0:3], 0 offset:540
	buffer_load_dword v157, off, s[0:3], 0 offset:516
	buffer_load_dword v156, off, s[0:3], 0 offset:512
	ds_read_b128 v[6:9], v1 offset:976
	s_clause 0x4
	buffer_load_dword v163, off, s[0:3], 0 offset:556
	buffer_load_dword v164, off, s[0:3], 0 offset:568
	;; [unrolled: 1-line block ×5, first 2 shown]
	s_mov_b32 s4, exec_lo
	s_waitcnt vmcnt(62) lgkmcnt(1)
	v_mul_f64 v[158:159], v[4:5], v[10:11]
	v_mul_f64 v[160:161], v[2:3], v[10:11]
	s_waitcnt vmcnt(60) lgkmcnt(0)
	v_mul_f64 v[167:168], v[8:9], v[14:15]
	ds_read_b128 v[10:13], v1 offset:992
	v_mul_f64 v[14:15], v[6:7], v[14:15]
	s_waitcnt vmcnt(58)
	v_fma_f64 v[158:159], v[2:3], v[16:17], -v[158:159]
	v_fma_f64 v[16:17], v[4:5], v[16:17], v[160:161]
	s_clause 0x2
	buffer_load_dword v165, off, s[0:3], 0 offset:572
	buffer_load_dword v161, off, s[0:3], 0 offset:548
	buffer_load_dword v160, off, s[0:3], 0 offset:544
	s_waitcnt vmcnt(59) lgkmcnt(0)
	v_mul_f64 v[169:170], v[10:11], v[18:19]
	v_mul_f64 v[18:19], v[12:13], v[18:19]
	s_waitcnt vmcnt(57)
	v_fma_f64 v[171:172], v[6:7], v[27:28], -v[167:168]
	ds_read_b128 v[2:5], v1 offset:1008
	v_fma_f64 v[14:15], v[8:9], v[27:28], v[14:15]
	s_clause 0x4
	buffer_load_dword v28, off, s[0:3], 0 offset:588
	buffer_load_dword v168, off, s[0:3], 0 offset:600
	;; [unrolled: 1-line block ×5, first 2 shown]
	ds_read_b128 v[6:9], v1 offset:1024
	v_add_f64 v[158:159], v[158:159], 0
	v_add_f64 v[16:17], v[16:17], 0
	s_waitcnt vmcnt(58) lgkmcnt(1)
	v_mul_f64 v[174:175], v[2:3], v[29:30]
	v_mul_f64 v[29:30], v[4:5], v[29:30]
	s_waitcnt vmcnt(56)
	v_fma_f64 v[18:19], v[10:11], v[35:36], -v[18:19]
	v_fma_f64 v[35:36], v[12:13], v[35:36], v[169:170]
	v_add_f64 v[158:159], v[158:159], v[171:172]
	v_add_f64 v[14:15], v[16:17], v[14:15]
	s_clause 0x2
	buffer_load_dword v169, off, s[0:3], 0 offset:604
	buffer_load_dword v17, off, s[0:3], 0 offset:580
	;; [unrolled: 1-line block ×3, first 2 shown]
	s_waitcnt vmcnt(58) lgkmcnt(0)
	v_mul_f64 v[170:171], v[6:7], v[31:32]
	v_mul_f64 v[31:32], v[8:9], v[31:32]
	s_waitcnt vmcnt(56)
	v_fma_f64 v[29:30], v[2:3], v[37:38], -v[29:30]
	ds_read_b128 v[10:13], v1 offset:1040
	v_fma_f64 v[37:38], v[4:5], v[37:38], v[174:175]
	v_add_f64 v[18:19], v[158:159], v[18:19]
	v_add_f64 v[14:15], v[14:15], v[35:36]
	s_clause 0x4
	buffer_load_dword v36, off, s[0:3], 0 offset:620
	buffer_load_dword v158, off, s[0:3], 0 offset:632
	;; [unrolled: 1-line block ×5, first 2 shown]
	ds_read_b128 v[2:5], v1 offset:1056
	s_waitcnt vmcnt(57) lgkmcnt(1)
	v_mul_f64 v[176:177], v[10:11], v[39:40]
	v_mul_f64 v[39:40], v[12:13], v[39:40]
	s_waitcnt vmcnt(56)
	v_fma_f64 v[31:32], v[6:7], v[33:34], -v[31:32]
	v_add_f64 v[18:19], v[18:19], v[29:30]
	v_fma_f64 v[29:30], v[8:9], v[33:34], v[170:171]
	v_add_f64 v[14:15], v[14:15], v[37:38]
	s_clause 0x2
	buffer_load_dword v159, off, s[0:3], 0 offset:636
	buffer_load_dword v34, off, s[0:3], 0 offset:612
	;; [unrolled: 1-line block ×3, first 2 shown]
	s_waitcnt vmcnt(58) lgkmcnt(0)
	v_mul_f64 v[37:38], v[2:3], v[43:44]
	v_mul_f64 v[43:44], v[4:5], v[43:44]
	s_waitcnt vmcnt(56)
	v_fma_f64 v[39:40], v[10:11], v[47:48], -v[39:40]
	ds_read_b128 v[6:9], v1 offset:1072
	v_add_f64 v[18:19], v[18:19], v[31:32]
	v_fma_f64 v[31:32], v[12:13], v[47:48], v[176:177]
	v_add_f64 v[14:15], v[14:15], v[29:30]
	s_clause 0x4
	buffer_load_dword v30, off, s[0:3], 0 offset:652
	buffer_load_dword v47, off, s[0:3], 0 offset:664
	;; [unrolled: 1-line block ×5, first 2 shown]
	ds_read_b128 v[10:13], v1 offset:1088
	s_waitcnt vmcnt(57) lgkmcnt(1)
	v_mul_f64 v[171:172], v[6:7], v[49:50]
	v_mul_f64 v[49:50], v[8:9], v[49:50]
	s_waitcnt vmcnt(56)
	v_fma_f64 v[43:44], v[2:3], v[45:46], -v[43:44]
	v_fma_f64 v[37:38], v[4:5], v[45:46], v[37:38]
	v_add_f64 v[18:19], v[18:19], v[39:40]
	v_add_f64 v[14:15], v[14:15], v[31:32]
	s_clause 0x2
	buffer_load_dword v48, off, s[0:3], 0 offset:668
	buffer_load_dword v32, off, s[0:3], 0 offset:644
	;; [unrolled: 1-line block ×3, first 2 shown]
	s_waitcnt vmcnt(58) lgkmcnt(0)
	v_mul_f64 v[45:46], v[12:13], v[51:52]
	ds_read_b128 v[2:5], v1 offset:1104
	s_waitcnt vmcnt(56)
	v_fma_f64 v[49:50], v[6:7], v[55:56], -v[49:50]
	v_mul_f64 v[39:40], v[10:11], v[51:52]
	v_add_f64 v[18:19], v[18:19], v[43:44]
	v_fma_f64 v[43:44], v[8:9], v[55:56], v[171:172]
	v_add_f64 v[14:15], v[14:15], v[37:38]
	s_clause 0x2
	buffer_load_dword v38, off, s[0:3], 0 offset:684
	buffer_load_dword v37, off, s[0:3], 0 offset:680
	;; [unrolled: 1-line block ×3, first 2 shown]
	s_waitcnt vmcnt(55) lgkmcnt(0)
	v_mul_f64 v[55:56], v[4:5], v[57:58]
	s_waitcnt vmcnt(54)
	v_fma_f64 v[45:46], v[10:11], v[53:54], -v[45:46]
	ds_read_b128 v[6:9], v1 offset:1120
	v_mul_f64 v[51:52], v[2:3], v[57:58]
	v_fma_f64 v[39:40], v[12:13], v[53:54], v[39:40]
	v_add_f64 v[18:19], v[18:19], v[49:50]
	v_add_f64 v[14:15], v[14:15], v[43:44]
	s_clause 0x1
	buffer_load_dword v44, off, s[0:3], 0 offset:676
	buffer_load_dword v43, off, s[0:3], 0 offset:672
	s_waitcnt vmcnt(55) lgkmcnt(0)
	v_mul_f64 v[53:54], v[8:9], v[59:60]
	s_waitcnt vmcnt(53)
	v_fma_f64 v[55:56], v[2:3], v[67:68], -v[55:56]
	ds_read_b128 v[10:13], v1 offset:1136
	v_mul_f64 v[49:50], v[6:7], v[59:60]
	v_add_f64 v[18:19], v[18:19], v[45:46]
	v_fma_f64 v[45:46], v[4:5], v[67:68], v[51:52]
	v_add_f64 v[14:15], v[14:15], v[39:40]
	ds_read_b128 v[2:5], v1 offset:1152
	s_waitcnt vmcnt(49) lgkmcnt(1)
	v_mul_f64 v[51:52], v[12:13], v[69:70]
	s_waitcnt vmcnt(48)
	v_fma_f64 v[53:54], v[6:7], v[65:66], -v[53:54]
	v_mul_f64 v[39:40], v[10:11], v[69:70]
	v_fma_f64 v[49:50], v[8:9], v[65:66], v[49:50]
	v_add_f64 v[18:19], v[18:19], v[55:56]
	s_waitcnt vmcnt(47) lgkmcnt(0)
	v_mul_f64 v[59:60], v[4:5], v[71:72]
	v_add_f64 v[14:15], v[14:15], v[45:46]
	s_clause 0x3
	buffer_load_dword v45, off, s[0:3], 0 offset:288
	buffer_load_dword v46, off, s[0:3], 0 offset:292
	buffer_load_dword v55, off, s[0:3], 0 offset:296
	buffer_load_dword v56, off, s[0:3], 0 offset:300
	s_waitcnt vmcnt(49)
	v_fma_f64 v[51:52], v[10:11], v[148:149], -v[51:52]
	ds_read_b128 v[6:9], v1 offset:1168
	v_mul_f64 v[57:58], v[2:3], v[71:72]
	v_fma_f64 v[39:40], v[12:13], v[148:149], v[39:40]
	ds_read_b128 v[10:13], v1 offset:1184
	v_add_f64 v[18:19], v[18:19], v[53:54]
	s_waitcnt vmcnt(44)
	v_fma_f64 v[59:60], v[2:3], v[146:147], -v[59:60]
	v_add_f64 v[14:15], v[14:15], v[49:50]
	s_waitcnt lgkmcnt(1)
	v_mul_f64 v[53:54], v[8:9], v[150:151]
	v_mul_f64 v[49:50], v[6:7], v[150:151]
	v_add_f64 v[18:19], v[18:19], v[51:52]
	v_fma_f64 v[51:52], v[4:5], v[146:147], v[57:58]
	v_add_f64 v[14:15], v[14:15], v[39:40]
	s_waitcnt vmcnt(43) lgkmcnt(0)
	v_mul_f64 v[57:58], v[12:13], v[152:153]
	s_waitcnt vmcnt(41)
	v_fma_f64 v[53:54], v[6:7], v[156:157], -v[53:54]
	ds_read_b128 v[2:5], v1 offset:1200
	v_mul_f64 v[39:40], v[10:11], v[152:153]
	v_fma_f64 v[49:50], v[8:9], v[156:157], v[49:50]
	ds_read_b128 v[6:9], v1 offset:1216
	v_add_f64 v[18:19], v[18:19], v[59:60]
	v_add_f64 v[14:15], v[14:15], v[51:52]
	s_waitcnt vmcnt(37) lgkmcnt(1)
	v_mul_f64 v[59:60], v[4:5], v[162:163]
	s_waitcnt vmcnt(36)
	v_fma_f64 v[57:58], v[10:11], v[154:155], -v[57:58]
	v_mul_f64 v[51:52], v[2:3], v[162:163]
	v_fma_f64 v[39:40], v[12:13], v[154:155], v[39:40]
	ds_read_b128 v[10:13], v1 offset:1232
	v_add_f64 v[18:19], v[18:19], v[53:54]
	v_add_f64 v[14:15], v[14:15], v[49:50]
	s_waitcnt vmcnt(35) lgkmcnt(1)
	v_mul_f64 v[53:54], v[8:9], v[164:165]
	v_mul_f64 v[49:50], v[6:7], v[164:165]
	s_waitcnt vmcnt(33)
	v_fma_f64 v[59:60], v[2:3], v[160:161], -v[59:60]
	v_fma_f64 v[51:52], v[4:5], v[160:161], v[51:52]
	ds_read_b128 v[2:5], v1 offset:1248
	v_add_f64 v[18:19], v[18:19], v[57:58]
	v_add_f64 v[14:15], v[14:15], v[39:40]
	s_waitcnt vmcnt(29) lgkmcnt(1)
	v_mul_f64 v[39:40], v[10:11], v[27:28]
	v_mul_f64 v[27:28], v[12:13], v[27:28]
	s_waitcnt vmcnt(28)
	v_fma_f64 v[53:54], v[6:7], v[166:167], -v[53:54]
	;; [unrolled: 9-line block ×4, first 2 shown]
	v_add_f64 v[18:19], v[18:19], v[27:28]
	v_fma_f64 v[27:28], v[4:5], v[173:174], v[51:52]
	v_add_f64 v[14:15], v[14:15], v[16:17]
	ds_read_b128 v[2:5], v1 offset:1296
	s_waitcnt vmcnt(19) lgkmcnt(1)
	v_mul_f64 v[51:52], v[12:13], v[158:159]
	v_mul_f64 v[16:17], v[10:11], v[158:159]
	s_waitcnt vmcnt(17)
	v_fma_f64 v[35:36], v[6:7], v[33:34], -v[35:36]
	v_fma_f64 v[33:34], v[8:9], v[33:34], v[39:40]
	ds_read_b128 v[6:9], v1 offset:1312
	v_add_f64 v[18:19], v[18:19], v[49:50]
	v_add_f64 v[14:15], v[14:15], v[27:28]
	s_waitcnt vmcnt(13) lgkmcnt(1)
	v_mul_f64 v[27:28], v[2:3], v[29:30]
	v_mul_f64 v[29:30], v[4:5], v[29:30]
	s_waitcnt vmcnt(12)
	v_fma_f64 v[39:40], v[10:11], v[175:176], -v[51:52]
	v_fma_f64 v[16:17], v[12:13], v[175:176], v[16:17]
	ds_read_b128 v[10:13], v1 offset:1328
	v_add_f64 v[18:19], v[18:19], v[35:36]
	v_add_f64 v[14:15], v[14:15], v[33:34]
	s_waitcnt vmcnt(11) lgkmcnt(1)
	v_mul_f64 v[35:36], v[8:9], v[47:48]
	v_mul_f64 v[33:34], v[6:7], v[47:48]
	s_waitcnt vmcnt(9)
	v_fma_f64 v[1:2], v[2:3], v[31:32], -v[29:30]
	v_fma_f64 v[3:4], v[4:5], v[31:32], v[27:28]
	v_add_f64 v[18:19], v[18:19], v[39:40]
	v_add_f64 v[14:15], v[14:15], v[16:17]
	s_waitcnt vmcnt(7) lgkmcnt(0)
	v_mul_f64 v[27:28], v[12:13], v[37:38]
	s_waitcnt vmcnt(6)
	v_fma_f64 v[5:6], v[6:7], v[170:171], -v[35:36]
	v_mul_f64 v[16:17], v[10:11], v[37:38]
	v_fma_f64 v[7:8], v[8:9], v[170:171], v[33:34]
	v_add_f64 v[1:2], v[18:19], v[1:2]
	v_add_f64 v[3:4], v[14:15], v[3:4]
	s_waitcnt vmcnt(4)
	v_fma_f64 v[9:10], v[10:11], v[43:44], -v[27:28]
	v_add_f64 v[1:2], v[1:2], v[5:6]
	v_fma_f64 v[5:6], v[12:13], v[43:44], v[16:17]
	v_add_f64 v[3:4], v[3:4], v[7:8]
	v_add_f64 v[1:2], v[1:2], v[9:10]
	;; [unrolled: 1-line block ×3, first 2 shown]
	s_waitcnt vmcnt(2)
	v_add_f64 v[1:2], v[45:46], -v[1:2]
	s_waitcnt vmcnt(0)
	v_add_f64 v[3:4], v[55:56], -v[3:4]
	buffer_store_dword v2, off, s[0:3], 0 offset:292
	buffer_store_dword v1, off, s[0:3], 0 offset:288
	;; [unrolled: 1-line block ×4, first 2 shown]
	v_cmpx_lt_u32_e32 16, v0
	s_cbranch_execz .LBB41_233
; %bb.232:
	v_mov_b32_e32 v4, s31
	v_mov_b32_e32 v5, 0
	s_clause 0x3
	buffer_load_dword v1, v4, s[0:3], 0 offen
	buffer_load_dword v2, v4, s[0:3], 0 offen offset:4
	buffer_load_dword v3, v4, s[0:3], 0 offen offset:8
	;; [unrolled: 1-line block ×3, first 2 shown]
	buffer_store_dword v5, off, s[0:3], 0 offset:272
	buffer_store_dword v5, off, s[0:3], 0 offset:276
	;; [unrolled: 1-line block ×4, first 2 shown]
	s_waitcnt vmcnt(0)
	ds_write_b128 v145, v[1:4]
.LBB41_233:
	s_or_b32 exec_lo, exec_lo, s4
	s_waitcnt lgkmcnt(0)
	s_waitcnt_vscnt null, 0x0
	s_barrier
	buffer_gl0_inv
	s_clause 0x37
	buffer_load_dword v10, off, s[0:3], 0 offset:296
	buffer_load_dword v11, off, s[0:3], 0 offset:300
	;; [unrolled: 1-line block ×56, first 2 shown]
	v_mov_b32_e32 v1, 0
	s_mov_b32 s4, exec_lo
	ds_read_b128 v[2:5], v1 offset:944
	s_clause 0x2
	buffer_load_dword v153, off, s[0:3], 0 offset:524
	buffer_load_dword v157, off, s[0:3], 0 offset:500
	;; [unrolled: 1-line block ×3, first 2 shown]
	ds_read_b128 v[6:9], v1 offset:960
	s_clause 0x4
	buffer_load_dword v163, off, s[0:3], 0 offset:540
	buffer_load_dword v164, off, s[0:3], 0 offset:552
	;; [unrolled: 1-line block ×5, first 2 shown]
	s_waitcnt vmcnt(62) lgkmcnt(1)
	v_mul_f64 v[158:159], v[4:5], v[10:11]
	v_mul_f64 v[160:161], v[2:3], v[10:11]
	s_waitcnt vmcnt(60) lgkmcnt(0)
	v_mul_f64 v[167:168], v[8:9], v[14:15]
	ds_read_b128 v[10:13], v1 offset:976
	v_mul_f64 v[14:15], v[6:7], v[14:15]
	s_waitcnt vmcnt(58)
	v_fma_f64 v[158:159], v[2:3], v[16:17], -v[158:159]
	v_fma_f64 v[16:17], v[4:5], v[16:17], v[160:161]
	s_clause 0x2
	buffer_load_dword v165, off, s[0:3], 0 offset:556
	buffer_load_dword v161, off, s[0:3], 0 offset:532
	;; [unrolled: 1-line block ×3, first 2 shown]
	s_waitcnt vmcnt(59) lgkmcnt(0)
	v_mul_f64 v[169:170], v[10:11], v[18:19]
	v_mul_f64 v[18:19], v[12:13], v[18:19]
	s_waitcnt vmcnt(57)
	v_fma_f64 v[171:172], v[6:7], v[27:28], -v[167:168]
	ds_read_b128 v[2:5], v1 offset:992
	v_fma_f64 v[14:15], v[8:9], v[27:28], v[14:15]
	s_clause 0x4
	buffer_load_dword v28, off, s[0:3], 0 offset:572
	buffer_load_dword v168, off, s[0:3], 0 offset:584
	;; [unrolled: 1-line block ×5, first 2 shown]
	ds_read_b128 v[6:9], v1 offset:1008
	v_add_f64 v[158:159], v[158:159], 0
	v_add_f64 v[16:17], v[16:17], 0
	s_waitcnt vmcnt(58) lgkmcnt(1)
	v_mul_f64 v[174:175], v[2:3], v[29:30]
	v_mul_f64 v[29:30], v[4:5], v[29:30]
	s_waitcnt vmcnt(56)
	v_fma_f64 v[18:19], v[10:11], v[35:36], -v[18:19]
	v_fma_f64 v[35:36], v[12:13], v[35:36], v[169:170]
	v_add_f64 v[158:159], v[158:159], v[171:172]
	v_add_f64 v[14:15], v[16:17], v[14:15]
	s_clause 0x2
	buffer_load_dword v169, off, s[0:3], 0 offset:588
	buffer_load_dword v17, off, s[0:3], 0 offset:564
	;; [unrolled: 1-line block ×3, first 2 shown]
	s_waitcnt vmcnt(58) lgkmcnt(0)
	v_mul_f64 v[170:171], v[6:7], v[31:32]
	v_mul_f64 v[31:32], v[8:9], v[31:32]
	s_waitcnt vmcnt(56)
	v_fma_f64 v[29:30], v[2:3], v[37:38], -v[29:30]
	ds_read_b128 v[10:13], v1 offset:1024
	v_fma_f64 v[37:38], v[4:5], v[37:38], v[174:175]
	v_add_f64 v[18:19], v[158:159], v[18:19]
	v_add_f64 v[14:15], v[14:15], v[35:36]
	s_clause 0x4
	buffer_load_dword v36, off, s[0:3], 0 offset:604
	buffer_load_dword v158, off, s[0:3], 0 offset:616
	;; [unrolled: 1-line block ×5, first 2 shown]
	ds_read_b128 v[2:5], v1 offset:1040
	s_waitcnt vmcnt(57) lgkmcnt(1)
	v_mul_f64 v[176:177], v[10:11], v[39:40]
	v_mul_f64 v[39:40], v[12:13], v[39:40]
	s_waitcnt vmcnt(56)
	v_fma_f64 v[31:32], v[6:7], v[33:34], -v[31:32]
	v_add_f64 v[18:19], v[18:19], v[29:30]
	v_fma_f64 v[29:30], v[8:9], v[33:34], v[170:171]
	v_add_f64 v[14:15], v[14:15], v[37:38]
	s_clause 0x2
	buffer_load_dword v159, off, s[0:3], 0 offset:620
	buffer_load_dword v34, off, s[0:3], 0 offset:596
	;; [unrolled: 1-line block ×3, first 2 shown]
	s_waitcnt vmcnt(58) lgkmcnt(0)
	v_mul_f64 v[37:38], v[2:3], v[43:44]
	v_mul_f64 v[43:44], v[4:5], v[43:44]
	s_waitcnt vmcnt(56)
	v_fma_f64 v[39:40], v[10:11], v[47:48], -v[39:40]
	ds_read_b128 v[6:9], v1 offset:1056
	v_add_f64 v[18:19], v[18:19], v[31:32]
	v_fma_f64 v[31:32], v[12:13], v[47:48], v[176:177]
	v_add_f64 v[14:15], v[14:15], v[29:30]
	s_clause 0x4
	buffer_load_dword v30, off, s[0:3], 0 offset:636
	buffer_load_dword v47, off, s[0:3], 0 offset:648
	;; [unrolled: 1-line block ×5, first 2 shown]
	ds_read_b128 v[10:13], v1 offset:1072
	s_waitcnt vmcnt(57) lgkmcnt(1)
	v_mul_f64 v[171:172], v[6:7], v[49:50]
	v_mul_f64 v[49:50], v[8:9], v[49:50]
	s_waitcnt vmcnt(56)
	v_fma_f64 v[43:44], v[2:3], v[45:46], -v[43:44]
	v_fma_f64 v[37:38], v[4:5], v[45:46], v[37:38]
	v_add_f64 v[18:19], v[18:19], v[39:40]
	v_add_f64 v[14:15], v[14:15], v[31:32]
	s_clause 0x2
	buffer_load_dword v48, off, s[0:3], 0 offset:652
	buffer_load_dword v32, off, s[0:3], 0 offset:628
	;; [unrolled: 1-line block ×3, first 2 shown]
	s_waitcnt vmcnt(58) lgkmcnt(0)
	v_mul_f64 v[45:46], v[12:13], v[51:52]
	ds_read_b128 v[2:5], v1 offset:1088
	s_waitcnt vmcnt(56)
	v_fma_f64 v[49:50], v[6:7], v[55:56], -v[49:50]
	v_mul_f64 v[39:40], v[10:11], v[51:52]
	v_add_f64 v[18:19], v[18:19], v[43:44]
	v_fma_f64 v[43:44], v[8:9], v[55:56], v[171:172]
	v_add_f64 v[14:15], v[14:15], v[37:38]
	s_clause 0x4
	buffer_load_dword v38, off, s[0:3], 0 offset:668
	buffer_load_dword v51, off, s[0:3], 0 offset:680
	;; [unrolled: 1-line block ×5, first 2 shown]
	s_waitcnt vmcnt(57) lgkmcnt(0)
	v_mul_f64 v[177:178], v[2:3], v[57:58]
	v_mul_f64 v[56:57], v[4:5], v[57:58]
	s_waitcnt vmcnt(56)
	v_fma_f64 v[45:46], v[10:11], v[53:54], -v[45:46]
	ds_read_b128 v[6:9], v1 offset:1104
	v_fma_f64 v[39:40], v[12:13], v[53:54], v[39:40]
	v_add_f64 v[18:19], v[18:19], v[49:50]
	v_add_f64 v[14:15], v[14:15], v[43:44]
	s_clause 0x2
	buffer_load_dword v52, off, s[0:3], 0 offset:684
	buffer_load_dword v44, off, s[0:3], 0 offset:660
	;; [unrolled: 1-line block ×3, first 2 shown]
	ds_read_b128 v[10:13], v1 offset:1120
	s_waitcnt vmcnt(58) lgkmcnt(1)
	v_mul_f64 v[53:54], v[8:9], v[59:60]
	s_waitcnt vmcnt(56)
	v_fma_f64 v[57:58], v[2:3], v[67:68], -v[56:57]
	v_mul_f64 v[49:50], v[6:7], v[59:60]
	buffer_load_dword v56, off, s[0:3], 0 offset:676
	v_add_f64 v[18:19], v[18:19], v[45:46]
	v_fma_f64 v[45:46], v[4:5], v[67:68], v[177:178]
	v_add_f64 v[14:15], v[14:15], v[39:40]
	ds_read_b128 v[2:5], v1 offset:1136
	s_waitcnt vmcnt(53) lgkmcnt(1)
	v_mul_f64 v[59:60], v[12:13], v[69:70]
	s_waitcnt vmcnt(52)
	v_fma_f64 v[53:54], v[6:7], v[65:66], -v[53:54]
	v_mul_f64 v[39:40], v[10:11], v[69:70]
	v_fma_f64 v[49:50], v[8:9], v[65:66], v[49:50]
	ds_read_b128 v[6:9], v1 offset:1152
	v_add_f64 v[18:19], v[18:19], v[57:58]
	s_waitcnt vmcnt(51) lgkmcnt(1)
	v_mul_f64 v[57:58], v[4:5], v[71:72]
	v_add_f64 v[14:15], v[14:15], v[45:46]
	v_mul_f64 v[45:46], v[2:3], v[71:72]
	s_waitcnt vmcnt(49)
	v_fma_f64 v[59:60], v[10:11], v[148:149], -v[59:60]
	v_fma_f64 v[39:40], v[12:13], v[148:149], v[39:40]
	s_waitcnt vmcnt(45) lgkmcnt(0)
	v_mul_f64 v[67:68], v[8:9], v[150:151]
	v_mul_f64 v[65:66], v[6:7], v[150:151]
	v_add_f64 v[18:19], v[18:19], v[53:54]
	s_waitcnt vmcnt(44)
	v_fma_f64 v[57:58], v[2:3], v[146:147], -v[57:58]
	v_add_f64 v[14:15], v[14:15], v[49:50]
	s_clause 0x3
	buffer_load_dword v49, off, s[0:3], 0 offset:272
	buffer_load_dword v50, off, s[0:3], 0 offset:276
	;; [unrolled: 1-line block ×4, first 2 shown]
	ds_read_b128 v[10:13], v1 offset:1168
	v_fma_f64 v[45:46], v[4:5], v[146:147], v[45:46]
	ds_read_b128 v[2:5], v1 offset:1184
	s_waitcnt vmcnt(45)
	v_fma_f64 v[67:68], v[6:7], v[156:157], -v[67:68]
	v_add_f64 v[18:19], v[18:19], v[59:60]
	v_add_f64 v[14:15], v[14:15], v[39:40]
	s_waitcnt lgkmcnt(1)
	v_mul_f64 v[59:60], v[12:13], v[152:153]
	v_mul_f64 v[39:40], v[10:11], v[152:153]
	v_add_f64 v[18:19], v[18:19], v[57:58]
	v_fma_f64 v[57:58], v[8:9], v[156:157], v[65:66]
	v_add_f64 v[14:15], v[14:15], v[45:46]
	s_waitcnt vmcnt(41) lgkmcnt(0)
	v_mul_f64 v[65:66], v[4:5], v[162:163]
	s_waitcnt vmcnt(40)
	v_fma_f64 v[59:60], v[10:11], v[154:155], -v[59:60]
	ds_read_b128 v[6:9], v1 offset:1200
	v_mul_f64 v[45:46], v[2:3], v[162:163]
	v_fma_f64 v[39:40], v[12:13], v[154:155], v[39:40]
	ds_read_b128 v[10:13], v1 offset:1216
	v_add_f64 v[18:19], v[18:19], v[67:68]
	v_add_f64 v[14:15], v[14:15], v[57:58]
	s_waitcnt vmcnt(39) lgkmcnt(1)
	v_mul_f64 v[67:68], v[8:9], v[164:165]
	v_mul_f64 v[57:58], v[6:7], v[164:165]
	s_waitcnt vmcnt(37)
	v_fma_f64 v[65:66], v[2:3], v[160:161], -v[65:66]
	v_fma_f64 v[45:46], v[4:5], v[160:161], v[45:46]
	ds_read_b128 v[2:5], v1 offset:1232
	v_add_f64 v[18:19], v[18:19], v[59:60]
	v_add_f64 v[14:15], v[14:15], v[39:40]
	s_waitcnt vmcnt(33) lgkmcnt(1)
	v_mul_f64 v[39:40], v[10:11], v[27:28]
	v_mul_f64 v[27:28], v[12:13], v[27:28]
	s_waitcnt vmcnt(32)
	v_fma_f64 v[59:60], v[6:7], v[166:167], -v[67:68]
	;; [unrolled: 9-line block ×4, first 2 shown]
	v_add_f64 v[18:19], v[18:19], v[27:28]
	v_fma_f64 v[27:28], v[4:5], v[173:174], v[45:46]
	v_add_f64 v[14:15], v[14:15], v[16:17]
	ds_read_b128 v[2:5], v1 offset:1280
	s_waitcnt vmcnt(23) lgkmcnt(1)
	v_mul_f64 v[45:46], v[12:13], v[158:159]
	v_mul_f64 v[16:17], v[10:11], v[158:159]
	s_waitcnt vmcnt(21)
	v_fma_f64 v[35:36], v[6:7], v[33:34], -v[35:36]
	v_fma_f64 v[33:34], v[8:9], v[33:34], v[39:40]
	ds_read_b128 v[6:9], v1 offset:1296
	v_add_f64 v[18:19], v[18:19], v[57:58]
	v_add_f64 v[14:15], v[14:15], v[27:28]
	s_waitcnt vmcnt(17) lgkmcnt(1)
	v_mul_f64 v[27:28], v[2:3], v[29:30]
	v_mul_f64 v[29:30], v[4:5], v[29:30]
	s_waitcnt vmcnt(16)
	v_fma_f64 v[39:40], v[10:11], v[175:176], -v[45:46]
	v_fma_f64 v[16:17], v[12:13], v[175:176], v[16:17]
	ds_read_b128 v[10:13], v1 offset:1312
	v_add_f64 v[18:19], v[18:19], v[35:36]
	v_add_f64 v[14:15], v[14:15], v[33:34]
	;; [unrolled: 9-line block ×3, first 2 shown]
	s_waitcnt vmcnt(9) lgkmcnt(1)
	v_mul_f64 v[31:32], v[12:13], v[37:38]
	s_waitcnt vmcnt(8)
	v_fma_f64 v[6:7], v[6:7], v[170:171], -v[35:36]
	v_mul_f64 v[16:17], v[10:11], v[37:38]
	v_fma_f64 v[8:9], v[8:9], v[170:171], v[33:34]
	v_add_f64 v[18:19], v[18:19], v[29:30]
	v_add_f64 v[14:15], v[14:15], v[27:28]
	s_waitcnt vmcnt(7) lgkmcnt(0)
	v_mul_f64 v[29:30], v[4:5], v[51:52]
	v_mul_f64 v[27:28], v[2:3], v[51:52]
	s_waitcnt vmcnt(5)
	v_fma_f64 v[10:11], v[10:11], v[43:44], -v[31:32]
	v_fma_f64 v[12:13], v[12:13], v[43:44], v[16:17]
	v_add_f64 v[6:7], v[18:19], v[6:7]
	v_add_f64 v[8:9], v[14:15], v[8:9]
	s_waitcnt vmcnt(4)
	v_fma_f64 v[2:3], v[2:3], v[55:56], -v[29:30]
	v_fma_f64 v[4:5], v[4:5], v[55:56], v[27:28]
	v_add_f64 v[6:7], v[6:7], v[10:11]
	v_add_f64 v[8:9], v[8:9], v[12:13]
	;; [unrolled: 1-line block ×4, first 2 shown]
	s_waitcnt vmcnt(2)
	v_add_f64 v[2:3], v[49:50], -v[2:3]
	s_waitcnt vmcnt(0)
	v_add_f64 v[4:5], v[53:54], -v[4:5]
	buffer_store_dword v3, off, s[0:3], 0 offset:276
	buffer_store_dword v2, off, s[0:3], 0 offset:272
	;; [unrolled: 1-line block ×4, first 2 shown]
	v_cmpx_lt_u32_e32 15, v0
	s_cbranch_execz .LBB41_235
; %bb.234:
	v_mov_b32_e32 v5, s34
	s_clause 0x3
	buffer_load_dword v2, v5, s[0:3], 0 offen
	buffer_load_dword v3, v5, s[0:3], 0 offen offset:4
	buffer_load_dword v4, v5, s[0:3], 0 offen offset:8
	;; [unrolled: 1-line block ×3, first 2 shown]
	buffer_store_dword v1, off, s[0:3], 0 offset:256
	buffer_store_dword v1, off, s[0:3], 0 offset:260
	;; [unrolled: 1-line block ×4, first 2 shown]
	s_waitcnt vmcnt(0)
	ds_write_b128 v145, v[2:5]
.LBB41_235:
	s_or_b32 exec_lo, exec_lo, s4
	s_waitcnt lgkmcnt(0)
	s_waitcnt_vscnt null, 0x0
	s_barrier
	buffer_gl0_inv
	s_clause 0x37
	buffer_load_dword v10, off, s[0:3], 0 offset:280
	buffer_load_dword v11, off, s[0:3], 0 offset:284
	buffer_load_dword v14, off, s[0:3], 0 offset:296
	buffer_load_dword v15, off, s[0:3], 0 offset:300
	buffer_load_dword v16, off, s[0:3], 0 offset:272
	buffer_load_dword v17, off, s[0:3], 0 offset:276
	buffer_load_dword v18, off, s[0:3], 0 offset:312
	buffer_load_dword v19, off, s[0:3], 0 offset:316
	buffer_load_dword v27, off, s[0:3], 0 offset:288
	buffer_load_dword v28, off, s[0:3], 0 offset:292
	buffer_load_dword v30, off, s[0:3], 0 offset:332
	buffer_load_dword v31, off, s[0:3], 0 offset:344
	buffer_load_dword v33, off, s[0:3], 0 offset:336
	buffer_load_dword v29, off, s[0:3], 0 offset:328
	buffer_load_dword v35, off, s[0:3], 0 offset:304
	buffer_load_dword v36, off, s[0:3], 0 offset:308
	buffer_load_dword v32, off, s[0:3], 0 offset:348
	buffer_load_dword v38, off, s[0:3], 0 offset:324
	buffer_load_dword v37, off, s[0:3], 0 offset:320
	buffer_load_dword v40, off, s[0:3], 0 offset:364
	buffer_load_dword v43, off, s[0:3], 0 offset:376
	buffer_load_dword v45, off, s[0:3], 0 offset:368
	buffer_load_dword v39, off, s[0:3], 0 offset:360
	buffer_load_dword v34, off, s[0:3], 0 offset:340
	buffer_load_dword v44, off, s[0:3], 0 offset:380
	buffer_load_dword v48, off, s[0:3], 0 offset:356
	buffer_load_dword v47, off, s[0:3], 0 offset:352
	buffer_load_dword v50, off, s[0:3], 0 offset:396
	buffer_load_dword v51, off, s[0:3], 0 offset:408
	buffer_load_dword v53, off, s[0:3], 0 offset:400
	buffer_load_dword v49, off, s[0:3], 0 offset:392
	buffer_load_dword v46, off, s[0:3], 0 offset:372
	buffer_load_dword v52, off, s[0:3], 0 offset:412
	buffer_load_dword v56, off, s[0:3], 0 offset:388
	buffer_load_dword v55, off, s[0:3], 0 offset:384
	buffer_load_dword v58, off, s[0:3], 0 offset:428
	buffer_load_dword v59, off, s[0:3], 0 offset:440
	buffer_load_dword v65, off, s[0:3], 0 offset:432
	buffer_load_dword v57, off, s[0:3], 0 offset:424
	buffer_load_dword v54, off, s[0:3], 0 offset:404
	buffer_load_dword v60, off, s[0:3], 0 offset:444
	buffer_load_dword v68, off, s[0:3], 0 offset:420
	buffer_load_dword v67, off, s[0:3], 0 offset:416
	buffer_load_dword v70, off, s[0:3], 0 offset:460
	buffer_load_dword v71, off, s[0:3], 0 offset:472
	buffer_load_dword v146, off, s[0:3], 0 offset:464
	buffer_load_dword v69, off, s[0:3], 0 offset:456
	buffer_load_dword v66, off, s[0:3], 0 offset:436
	buffer_load_dword v72, off, s[0:3], 0 offset:476
	buffer_load_dword v149, off, s[0:3], 0 offset:452
	buffer_load_dword v148, off, s[0:3], 0 offset:448
	buffer_load_dword v151, off, s[0:3], 0 offset:492
	buffer_load_dword v152, off, s[0:3], 0 offset:504
	buffer_load_dword v154, off, s[0:3], 0 offset:496
	buffer_load_dword v150, off, s[0:3], 0 offset:488
	buffer_load_dword v147, off, s[0:3], 0 offset:468
	ds_read_b128 v[2:5], v1 offset:928
	s_clause 0x2
	buffer_load_dword v153, off, s[0:3], 0 offset:508
	buffer_load_dword v157, off, s[0:3], 0 offset:484
	;; [unrolled: 1-line block ×3, first 2 shown]
	ds_read_b128 v[6:9], v1 offset:944
	s_clause 0x4
	buffer_load_dword v163, off, s[0:3], 0 offset:524
	buffer_load_dword v164, off, s[0:3], 0 offset:536
	;; [unrolled: 1-line block ×5, first 2 shown]
	s_mov_b32 s4, exec_lo
	s_waitcnt vmcnt(62) lgkmcnt(1)
	v_mul_f64 v[158:159], v[4:5], v[10:11]
	v_mul_f64 v[160:161], v[2:3], v[10:11]
	s_waitcnt vmcnt(60) lgkmcnt(0)
	v_mul_f64 v[167:168], v[8:9], v[14:15]
	ds_read_b128 v[10:13], v1 offset:960
	v_mul_f64 v[14:15], v[6:7], v[14:15]
	s_waitcnt vmcnt(58)
	v_fma_f64 v[158:159], v[2:3], v[16:17], -v[158:159]
	v_fma_f64 v[16:17], v[4:5], v[16:17], v[160:161]
	s_clause 0x2
	buffer_load_dword v165, off, s[0:3], 0 offset:540
	buffer_load_dword v161, off, s[0:3], 0 offset:516
	;; [unrolled: 1-line block ×3, first 2 shown]
	s_waitcnt vmcnt(59) lgkmcnt(0)
	v_mul_f64 v[169:170], v[10:11], v[18:19]
	v_mul_f64 v[18:19], v[12:13], v[18:19]
	s_waitcnt vmcnt(57)
	v_fma_f64 v[171:172], v[6:7], v[27:28], -v[167:168]
	ds_read_b128 v[2:5], v1 offset:976
	v_fma_f64 v[14:15], v[8:9], v[27:28], v[14:15]
	s_clause 0x4
	buffer_load_dword v28, off, s[0:3], 0 offset:556
	buffer_load_dword v168, off, s[0:3], 0 offset:568
	;; [unrolled: 1-line block ×5, first 2 shown]
	ds_read_b128 v[6:9], v1 offset:992
	v_add_f64 v[158:159], v[158:159], 0
	v_add_f64 v[16:17], v[16:17], 0
	s_waitcnt vmcnt(58) lgkmcnt(1)
	v_mul_f64 v[174:175], v[2:3], v[29:30]
	v_mul_f64 v[29:30], v[4:5], v[29:30]
	s_waitcnt vmcnt(56)
	v_fma_f64 v[18:19], v[10:11], v[35:36], -v[18:19]
	v_fma_f64 v[35:36], v[12:13], v[35:36], v[169:170]
	v_add_f64 v[158:159], v[158:159], v[171:172]
	v_add_f64 v[14:15], v[16:17], v[14:15]
	s_clause 0x2
	buffer_load_dword v169, off, s[0:3], 0 offset:572
	buffer_load_dword v17, off, s[0:3], 0 offset:548
	;; [unrolled: 1-line block ×3, first 2 shown]
	s_waitcnt vmcnt(58) lgkmcnt(0)
	v_mul_f64 v[170:171], v[6:7], v[31:32]
	v_mul_f64 v[31:32], v[8:9], v[31:32]
	s_waitcnt vmcnt(56)
	v_fma_f64 v[29:30], v[2:3], v[37:38], -v[29:30]
	ds_read_b128 v[10:13], v1 offset:1008
	v_fma_f64 v[37:38], v[4:5], v[37:38], v[174:175]
	v_add_f64 v[18:19], v[158:159], v[18:19]
	v_add_f64 v[14:15], v[14:15], v[35:36]
	s_clause 0x4
	buffer_load_dword v36, off, s[0:3], 0 offset:588
	buffer_load_dword v158, off, s[0:3], 0 offset:600
	;; [unrolled: 1-line block ×5, first 2 shown]
	ds_read_b128 v[2:5], v1 offset:1024
	s_waitcnt vmcnt(57) lgkmcnt(1)
	v_mul_f64 v[176:177], v[10:11], v[39:40]
	v_mul_f64 v[39:40], v[12:13], v[39:40]
	s_waitcnt vmcnt(56)
	v_fma_f64 v[31:32], v[6:7], v[33:34], -v[31:32]
	v_add_f64 v[18:19], v[18:19], v[29:30]
	v_fma_f64 v[29:30], v[8:9], v[33:34], v[170:171]
	v_add_f64 v[14:15], v[14:15], v[37:38]
	s_clause 0x2
	buffer_load_dword v159, off, s[0:3], 0 offset:604
	buffer_load_dword v34, off, s[0:3], 0 offset:580
	;; [unrolled: 1-line block ×3, first 2 shown]
	s_waitcnt vmcnt(58) lgkmcnt(0)
	v_mul_f64 v[37:38], v[2:3], v[43:44]
	v_mul_f64 v[43:44], v[4:5], v[43:44]
	s_waitcnt vmcnt(56)
	v_fma_f64 v[39:40], v[10:11], v[47:48], -v[39:40]
	ds_read_b128 v[6:9], v1 offset:1040
	v_add_f64 v[18:19], v[18:19], v[31:32]
	v_fma_f64 v[31:32], v[12:13], v[47:48], v[176:177]
	v_add_f64 v[14:15], v[14:15], v[29:30]
	s_clause 0x4
	buffer_load_dword v30, off, s[0:3], 0 offset:620
	buffer_load_dword v47, off, s[0:3], 0 offset:632
	;; [unrolled: 1-line block ×5, first 2 shown]
	ds_read_b128 v[10:13], v1 offset:1056
	s_waitcnt vmcnt(57) lgkmcnt(1)
	v_mul_f64 v[171:172], v[6:7], v[49:50]
	v_mul_f64 v[49:50], v[8:9], v[49:50]
	s_waitcnt vmcnt(56)
	v_fma_f64 v[43:44], v[2:3], v[45:46], -v[43:44]
	v_fma_f64 v[37:38], v[4:5], v[45:46], v[37:38]
	v_add_f64 v[18:19], v[18:19], v[39:40]
	v_add_f64 v[14:15], v[14:15], v[31:32]
	s_clause 0x2
	buffer_load_dword v48, off, s[0:3], 0 offset:636
	buffer_load_dword v32, off, s[0:3], 0 offset:612
	buffer_load_dword v31, off, s[0:3], 0 offset:608
	s_waitcnt vmcnt(58) lgkmcnt(0)
	v_mul_f64 v[45:46], v[12:13], v[51:52]
	ds_read_b128 v[2:5], v1 offset:1072
	s_waitcnt vmcnt(56)
	v_fma_f64 v[49:50], v[6:7], v[55:56], -v[49:50]
	v_mul_f64 v[39:40], v[10:11], v[51:52]
	v_add_f64 v[18:19], v[18:19], v[43:44]
	v_fma_f64 v[43:44], v[8:9], v[55:56], v[171:172]
	v_add_f64 v[14:15], v[14:15], v[37:38]
	s_clause 0x4
	buffer_load_dword v38, off, s[0:3], 0 offset:652
	buffer_load_dword v51, off, s[0:3], 0 offset:664
	;; [unrolled: 1-line block ×5, first 2 shown]
	s_waitcnt vmcnt(57) lgkmcnt(0)
	v_mul_f64 v[177:178], v[2:3], v[57:58]
	v_mul_f64 v[56:57], v[4:5], v[57:58]
	s_waitcnt vmcnt(56)
	v_fma_f64 v[45:46], v[10:11], v[53:54], -v[45:46]
	ds_read_b128 v[6:9], v1 offset:1088
	v_fma_f64 v[39:40], v[12:13], v[53:54], v[39:40]
	v_add_f64 v[18:19], v[18:19], v[49:50]
	v_add_f64 v[14:15], v[14:15], v[43:44]
	s_clause 0x2
	buffer_load_dword v52, off, s[0:3], 0 offset:668
	buffer_load_dword v44, off, s[0:3], 0 offset:644
	;; [unrolled: 1-line block ×3, first 2 shown]
	ds_read_b128 v[10:13], v1 offset:1104
	s_waitcnt vmcnt(58) lgkmcnt(1)
	v_mul_f64 v[53:54], v[8:9], v[59:60]
	s_waitcnt vmcnt(56)
	v_fma_f64 v[57:58], v[2:3], v[67:68], -v[56:57]
	v_mul_f64 v[49:50], v[6:7], v[59:60]
	v_add_f64 v[18:19], v[18:19], v[45:46]
	v_fma_f64 v[45:46], v[4:5], v[67:68], v[177:178]
	v_add_f64 v[14:15], v[14:15], v[39:40]
	s_clause 0x2
	buffer_load_dword v40, off, s[0:3], 0 offset:684
	buffer_load_dword v39, off, s[0:3], 0 offset:680
	;; [unrolled: 1-line block ×3, first 2 shown]
	s_waitcnt vmcnt(55) lgkmcnt(0)
	v_mul_f64 v[67:68], v[12:13], v[69:70]
	s_waitcnt vmcnt(54)
	v_fma_f64 v[53:54], v[6:7], v[65:66], -v[53:54]
	ds_read_b128 v[2:5], v1 offset:1120
	v_mul_f64 v[59:60], v[10:11], v[69:70]
	v_fma_f64 v[49:50], v[8:9], v[65:66], v[49:50]
	v_add_f64 v[18:19], v[18:19], v[57:58]
	v_add_f64 v[14:15], v[14:15], v[45:46]
	s_clause 0x1
	buffer_load_dword v46, off, s[0:3], 0 offset:676
	buffer_load_dword v45, off, s[0:3], 0 offset:672
	s_waitcnt vmcnt(55) lgkmcnt(0)
	v_mul_f64 v[65:66], v[4:5], v[71:72]
	s_waitcnt vmcnt(53)
	v_fma_f64 v[67:68], v[10:11], v[148:149], -v[67:68]
	ds_read_b128 v[6:9], v1 offset:1136
	v_mul_f64 v[57:58], v[2:3], v[71:72]
	v_add_f64 v[18:19], v[18:19], v[53:54]
	v_fma_f64 v[53:54], v[12:13], v[148:149], v[59:60]
	v_add_f64 v[14:15], v[14:15], v[49:50]
	ds_read_b128 v[10:13], v1 offset:1152
	s_waitcnt vmcnt(49) lgkmcnt(1)
	v_mul_f64 v[59:60], v[8:9], v[150:151]
	s_waitcnt vmcnt(48)
	v_fma_f64 v[65:66], v[2:3], v[146:147], -v[65:66]
	v_mul_f64 v[49:50], v[6:7], v[150:151]
	v_fma_f64 v[57:58], v[4:5], v[146:147], v[57:58]
	v_add_f64 v[18:19], v[18:19], v[67:68]
	s_waitcnt vmcnt(47) lgkmcnt(0)
	v_mul_f64 v[71:72], v[12:13], v[152:153]
	v_add_f64 v[14:15], v[14:15], v[53:54]
	s_clause 0x3
	buffer_load_dword v53, off, s[0:3], 0 offset:256
	buffer_load_dword v54, off, s[0:3], 0 offset:260
	;; [unrolled: 1-line block ×4, first 2 shown]
	s_waitcnt vmcnt(49)
	v_fma_f64 v[59:60], v[6:7], v[156:157], -v[59:60]
	ds_read_b128 v[2:5], v1 offset:1168
	v_mul_f64 v[69:70], v[10:11], v[152:153]
	v_fma_f64 v[49:50], v[8:9], v[156:157], v[49:50]
	ds_read_b128 v[6:9], v1 offset:1184
	v_add_f64 v[18:19], v[18:19], v[65:66]
	s_waitcnt vmcnt(44)
	v_fma_f64 v[71:72], v[10:11], v[154:155], -v[71:72]
	v_add_f64 v[14:15], v[14:15], v[57:58]
	s_waitcnt lgkmcnt(1)
	v_mul_f64 v[65:66], v[4:5], v[162:163]
	v_mul_f64 v[57:58], v[2:3], v[162:163]
	v_add_f64 v[18:19], v[18:19], v[59:60]
	v_fma_f64 v[59:60], v[12:13], v[154:155], v[69:70]
	v_add_f64 v[14:15], v[14:15], v[49:50]
	ds_read_b128 v[10:13], v1 offset:1200
	s_waitcnt vmcnt(43) lgkmcnt(1)
	v_mul_f64 v[69:70], v[8:9], v[164:165]
	v_mul_f64 v[49:50], v[6:7], v[164:165]
	s_waitcnt vmcnt(41)
	v_fma_f64 v[65:66], v[2:3], v[160:161], -v[65:66]
	v_fma_f64 v[57:58], v[4:5], v[160:161], v[57:58]
	ds_read_b128 v[2:5], v1 offset:1216
	v_add_f64 v[18:19], v[18:19], v[71:72]
	v_add_f64 v[14:15], v[14:15], v[59:60]
	s_waitcnt vmcnt(37) lgkmcnt(1)
	v_mul_f64 v[59:60], v[10:11], v[27:28]
	v_mul_f64 v[27:28], v[12:13], v[27:28]
	s_waitcnt vmcnt(36)
	v_fma_f64 v[69:70], v[6:7], v[166:167], -v[69:70]
	v_fma_f64 v[49:50], v[8:9], v[166:167], v[49:50]
	ds_read_b128 v[6:9], v1 offset:1232
	v_add_f64 v[18:19], v[18:19], v[65:66]
	v_add_f64 v[14:15], v[14:15], v[57:58]
	;; [unrolled: 9-line block ×3, first 2 shown]
	s_waitcnt vmcnt(29) lgkmcnt(1)
	v_mul_f64 v[49:50], v[6:7], v[35:36]
	v_mul_f64 v[35:36], v[8:9], v[35:36]
	s_waitcnt vmcnt(28)
	v_fma_f64 v[59:60], v[2:3], v[173:174], -v[65:66]
	v_add_f64 v[18:19], v[18:19], v[27:28]
	v_fma_f64 v[27:28], v[4:5], v[173:174], v[57:58]
	v_add_f64 v[14:15], v[14:15], v[16:17]
	ds_read_b128 v[2:5], v1 offset:1264
	s_waitcnt vmcnt(27) lgkmcnt(1)
	v_mul_f64 v[57:58], v[12:13], v[158:159]
	v_mul_f64 v[16:17], v[10:11], v[158:159]
	s_waitcnt vmcnt(25)
	v_fma_f64 v[35:36], v[6:7], v[33:34], -v[35:36]
	v_fma_f64 v[33:34], v[8:9], v[33:34], v[49:50]
	ds_read_b128 v[6:9], v1 offset:1280
	v_add_f64 v[18:19], v[18:19], v[59:60]
	v_add_f64 v[14:15], v[14:15], v[27:28]
	s_waitcnt vmcnt(21) lgkmcnt(1)
	v_mul_f64 v[27:28], v[2:3], v[29:30]
	v_mul_f64 v[29:30], v[4:5], v[29:30]
	s_waitcnt vmcnt(20)
	v_fma_f64 v[49:50], v[10:11], v[175:176], -v[57:58]
	v_fma_f64 v[16:17], v[12:13], v[175:176], v[16:17]
	ds_read_b128 v[10:13], v1 offset:1296
	v_add_f64 v[18:19], v[18:19], v[35:36]
	v_add_f64 v[14:15], v[14:15], v[33:34]
	;; [unrolled: 9-line block ×3, first 2 shown]
	s_waitcnt vmcnt(13) lgkmcnt(1)
	v_mul_f64 v[31:32], v[12:13], v[37:38]
	s_waitcnt vmcnt(12)
	v_fma_f64 v[35:36], v[6:7], v[170:171], -v[35:36]
	v_mul_f64 v[16:17], v[10:11], v[37:38]
	v_add_f64 v[18:19], v[18:19], v[29:30]
	v_fma_f64 v[29:30], v[8:9], v[170:171], v[33:34]
	v_add_f64 v[14:15], v[14:15], v[27:28]
	ds_read_b128 v[6:9], v1 offset:1328
	s_waitcnt vmcnt(11) lgkmcnt(1)
	v_mul_f64 v[33:34], v[4:5], v[51:52]
	v_mul_f64 v[27:28], v[2:3], v[51:52]
	s_waitcnt vmcnt(9)
	v_fma_f64 v[10:11], v[10:11], v[43:44], -v[31:32]
	v_fma_f64 v[12:13], v[12:13], v[43:44], v[16:17]
	v_add_f64 v[18:19], v[18:19], v[35:36]
	v_add_f64 v[14:15], v[14:15], v[29:30]
	s_waitcnt vmcnt(7) lgkmcnt(0)
	v_mul_f64 v[29:30], v[8:9], v[39:40]
	s_waitcnt vmcnt(6)
	v_fma_f64 v[1:2], v[2:3], v[55:56], -v[33:34]
	v_mul_f64 v[16:17], v[6:7], v[39:40]
	v_fma_f64 v[3:4], v[4:5], v[55:56], v[27:28]
	v_add_f64 v[10:11], v[18:19], v[10:11]
	v_add_f64 v[12:13], v[14:15], v[12:13]
	s_waitcnt vmcnt(4)
	v_fma_f64 v[5:6], v[6:7], v[45:46], -v[29:30]
	v_fma_f64 v[7:8], v[8:9], v[45:46], v[16:17]
	v_add_f64 v[1:2], v[10:11], v[1:2]
	v_add_f64 v[3:4], v[12:13], v[3:4]
	;; [unrolled: 1-line block ×4, first 2 shown]
	s_waitcnt vmcnt(2)
	v_add_f64 v[1:2], v[53:54], -v[1:2]
	s_waitcnt vmcnt(0)
	v_add_f64 v[3:4], v[67:68], -v[3:4]
	buffer_store_dword v2, off, s[0:3], 0 offset:260
	buffer_store_dword v1, off, s[0:3], 0 offset:256
	buffer_store_dword v4, off, s[0:3], 0 offset:268
	buffer_store_dword v3, off, s[0:3], 0 offset:264
	v_cmpx_lt_u32_e32 14, v0
	s_cbranch_execz .LBB41_237
; %bb.236:
	v_mov_b32_e32 v4, s36
	v_mov_b32_e32 v5, 0
	s_clause 0x3
	buffer_load_dword v1, v4, s[0:3], 0 offen
	buffer_load_dword v2, v4, s[0:3], 0 offen offset:4
	buffer_load_dword v3, v4, s[0:3], 0 offen offset:8
	;; [unrolled: 1-line block ×3, first 2 shown]
	buffer_store_dword v5, off, s[0:3], 0 offset:240
	buffer_store_dword v5, off, s[0:3], 0 offset:244
	buffer_store_dword v5, off, s[0:3], 0 offset:248
	buffer_store_dword v5, off, s[0:3], 0 offset:252
	s_waitcnt vmcnt(0)
	ds_write_b128 v145, v[1:4]
.LBB41_237:
	s_or_b32 exec_lo, exec_lo, s4
	s_waitcnt lgkmcnt(0)
	s_waitcnt_vscnt null, 0x0
	s_barrier
	buffer_gl0_inv
	s_clause 0x37
	buffer_load_dword v10, off, s[0:3], 0 offset:264
	buffer_load_dword v11, off, s[0:3], 0 offset:268
	;; [unrolled: 1-line block ×56, first 2 shown]
	v_mov_b32_e32 v1, 0
	s_mov_b32 s4, exec_lo
	ds_read_b128 v[2:5], v1 offset:912
	s_clause 0x2
	buffer_load_dword v153, off, s[0:3], 0 offset:492
	buffer_load_dword v157, off, s[0:3], 0 offset:468
	;; [unrolled: 1-line block ×3, first 2 shown]
	ds_read_b128 v[6:9], v1 offset:928
	s_clause 0x4
	buffer_load_dword v163, off, s[0:3], 0 offset:508
	buffer_load_dword v164, off, s[0:3], 0 offset:520
	;; [unrolled: 1-line block ×5, first 2 shown]
	s_waitcnt vmcnt(62) lgkmcnt(1)
	v_mul_f64 v[158:159], v[4:5], v[10:11]
	v_mul_f64 v[160:161], v[2:3], v[10:11]
	s_waitcnt vmcnt(60) lgkmcnt(0)
	v_mul_f64 v[167:168], v[8:9], v[14:15]
	ds_read_b128 v[10:13], v1 offset:944
	v_mul_f64 v[14:15], v[6:7], v[14:15]
	s_waitcnt vmcnt(58)
	v_fma_f64 v[158:159], v[2:3], v[16:17], -v[158:159]
	v_fma_f64 v[16:17], v[4:5], v[16:17], v[160:161]
	s_clause 0x2
	buffer_load_dword v165, off, s[0:3], 0 offset:524
	buffer_load_dword v161, off, s[0:3], 0 offset:500
	;; [unrolled: 1-line block ×3, first 2 shown]
	s_waitcnt vmcnt(59) lgkmcnt(0)
	v_mul_f64 v[169:170], v[10:11], v[18:19]
	v_mul_f64 v[18:19], v[12:13], v[18:19]
	s_waitcnt vmcnt(57)
	v_fma_f64 v[171:172], v[6:7], v[27:28], -v[167:168]
	ds_read_b128 v[2:5], v1 offset:960
	v_fma_f64 v[14:15], v[8:9], v[27:28], v[14:15]
	s_clause 0x4
	buffer_load_dword v28, off, s[0:3], 0 offset:540
	buffer_load_dword v168, off, s[0:3], 0 offset:552
	;; [unrolled: 1-line block ×5, first 2 shown]
	ds_read_b128 v[6:9], v1 offset:976
	v_add_f64 v[158:159], v[158:159], 0
	v_add_f64 v[16:17], v[16:17], 0
	s_waitcnt vmcnt(58) lgkmcnt(1)
	v_mul_f64 v[174:175], v[2:3], v[29:30]
	v_mul_f64 v[29:30], v[4:5], v[29:30]
	s_waitcnt vmcnt(56)
	v_fma_f64 v[18:19], v[10:11], v[35:36], -v[18:19]
	v_fma_f64 v[35:36], v[12:13], v[35:36], v[169:170]
	v_add_f64 v[158:159], v[158:159], v[171:172]
	v_add_f64 v[14:15], v[16:17], v[14:15]
	s_clause 0x2
	buffer_load_dword v169, off, s[0:3], 0 offset:556
	buffer_load_dword v17, off, s[0:3], 0 offset:532
	;; [unrolled: 1-line block ×3, first 2 shown]
	s_waitcnt vmcnt(58) lgkmcnt(0)
	v_mul_f64 v[170:171], v[6:7], v[31:32]
	v_mul_f64 v[31:32], v[8:9], v[31:32]
	s_waitcnt vmcnt(56)
	v_fma_f64 v[29:30], v[2:3], v[37:38], -v[29:30]
	ds_read_b128 v[10:13], v1 offset:992
	v_fma_f64 v[37:38], v[4:5], v[37:38], v[174:175]
	v_add_f64 v[18:19], v[158:159], v[18:19]
	v_add_f64 v[14:15], v[14:15], v[35:36]
	s_clause 0x4
	buffer_load_dword v36, off, s[0:3], 0 offset:572
	buffer_load_dword v158, off, s[0:3], 0 offset:584
	;; [unrolled: 1-line block ×5, first 2 shown]
	ds_read_b128 v[2:5], v1 offset:1008
	s_waitcnt vmcnt(57) lgkmcnt(1)
	v_mul_f64 v[176:177], v[10:11], v[39:40]
	v_mul_f64 v[39:40], v[12:13], v[39:40]
	s_waitcnt vmcnt(56)
	v_fma_f64 v[31:32], v[6:7], v[33:34], -v[31:32]
	v_add_f64 v[18:19], v[18:19], v[29:30]
	v_fma_f64 v[29:30], v[8:9], v[33:34], v[170:171]
	v_add_f64 v[14:15], v[14:15], v[37:38]
	s_clause 0x2
	buffer_load_dword v159, off, s[0:3], 0 offset:588
	buffer_load_dword v34, off, s[0:3], 0 offset:564
	;; [unrolled: 1-line block ×3, first 2 shown]
	s_waitcnt vmcnt(58) lgkmcnt(0)
	v_mul_f64 v[37:38], v[2:3], v[43:44]
	v_mul_f64 v[43:44], v[4:5], v[43:44]
	s_waitcnt vmcnt(56)
	v_fma_f64 v[39:40], v[10:11], v[47:48], -v[39:40]
	ds_read_b128 v[6:9], v1 offset:1024
	v_add_f64 v[18:19], v[18:19], v[31:32]
	v_fma_f64 v[31:32], v[12:13], v[47:48], v[176:177]
	v_add_f64 v[14:15], v[14:15], v[29:30]
	s_clause 0x4
	buffer_load_dword v30, off, s[0:3], 0 offset:604
	buffer_load_dword v47, off, s[0:3], 0 offset:616
	;; [unrolled: 1-line block ×5, first 2 shown]
	ds_read_b128 v[10:13], v1 offset:1040
	s_waitcnt vmcnt(57) lgkmcnt(1)
	v_mul_f64 v[171:172], v[6:7], v[49:50]
	v_mul_f64 v[49:50], v[8:9], v[49:50]
	s_waitcnt vmcnt(56)
	v_fma_f64 v[43:44], v[2:3], v[45:46], -v[43:44]
	v_fma_f64 v[37:38], v[4:5], v[45:46], v[37:38]
	v_add_f64 v[18:19], v[18:19], v[39:40]
	v_add_f64 v[14:15], v[14:15], v[31:32]
	s_clause 0x2
	buffer_load_dword v48, off, s[0:3], 0 offset:620
	buffer_load_dword v32, off, s[0:3], 0 offset:596
	;; [unrolled: 1-line block ×3, first 2 shown]
	s_waitcnt vmcnt(58) lgkmcnt(0)
	v_mul_f64 v[45:46], v[12:13], v[51:52]
	ds_read_b128 v[2:5], v1 offset:1056
	s_waitcnt vmcnt(56)
	v_fma_f64 v[49:50], v[6:7], v[55:56], -v[49:50]
	v_mul_f64 v[39:40], v[10:11], v[51:52]
	v_add_f64 v[18:19], v[18:19], v[43:44]
	v_fma_f64 v[43:44], v[8:9], v[55:56], v[171:172]
	v_add_f64 v[14:15], v[14:15], v[37:38]
	s_clause 0x4
	buffer_load_dword v38, off, s[0:3], 0 offset:636
	buffer_load_dword v51, off, s[0:3], 0 offset:648
	;; [unrolled: 1-line block ×5, first 2 shown]
	s_waitcnt vmcnt(57) lgkmcnt(0)
	v_mul_f64 v[177:178], v[2:3], v[57:58]
	v_mul_f64 v[56:57], v[4:5], v[57:58]
	s_waitcnt vmcnt(56)
	v_fma_f64 v[45:46], v[10:11], v[53:54], -v[45:46]
	ds_read_b128 v[6:9], v1 offset:1072
	v_fma_f64 v[39:40], v[12:13], v[53:54], v[39:40]
	v_add_f64 v[18:19], v[18:19], v[49:50]
	v_add_f64 v[14:15], v[14:15], v[43:44]
	s_clause 0x2
	buffer_load_dword v52, off, s[0:3], 0 offset:652
	buffer_load_dword v44, off, s[0:3], 0 offset:628
	;; [unrolled: 1-line block ×3, first 2 shown]
	ds_read_b128 v[10:13], v1 offset:1088
	s_waitcnt vmcnt(58) lgkmcnt(1)
	v_mul_f64 v[53:54], v[8:9], v[59:60]
	s_waitcnt vmcnt(56)
	v_fma_f64 v[57:58], v[2:3], v[67:68], -v[56:57]
	v_mul_f64 v[49:50], v[6:7], v[59:60]
	v_add_f64 v[18:19], v[18:19], v[45:46]
	v_fma_f64 v[45:46], v[4:5], v[67:68], v[177:178]
	v_add_f64 v[14:15], v[14:15], v[39:40]
	s_clause 0x4
	buffer_load_dword v40, off, s[0:3], 0 offset:668
	buffer_load_dword v59, off, s[0:3], 0 offset:680
	;; [unrolled: 1-line block ×5, first 2 shown]
	s_waitcnt vmcnt(57) lgkmcnt(0)
	v_mul_f64 v[177:178], v[10:11], v[69:70]
	v_mul_f64 v[68:69], v[12:13], v[69:70]
	s_waitcnt vmcnt(56)
	v_fma_f64 v[53:54], v[6:7], v[65:66], -v[53:54]
	ds_read_b128 v[2:5], v1 offset:1104
	v_fma_f64 v[49:50], v[8:9], v[65:66], v[49:50]
	v_add_f64 v[18:19], v[18:19], v[57:58]
	v_add_f64 v[14:15], v[14:15], v[45:46]
	s_clause 0x2
	buffer_load_dword v60, off, s[0:3], 0 offset:684
	buffer_load_dword v46, off, s[0:3], 0 offset:660
	;; [unrolled: 1-line block ×3, first 2 shown]
	ds_read_b128 v[6:9], v1 offset:1120
	s_waitcnt vmcnt(58) lgkmcnt(1)
	v_mul_f64 v[65:66], v[4:5], v[71:72]
	s_waitcnt vmcnt(56)
	v_fma_f64 v[69:70], v[10:11], v[148:149], -v[68:69]
	v_mul_f64 v[57:58], v[2:3], v[71:72]
	buffer_load_dword v68, off, s[0:3], 0 offset:676
	v_add_f64 v[18:19], v[18:19], v[53:54]
	v_fma_f64 v[53:54], v[12:13], v[148:149], v[177:178]
	v_add_f64 v[14:15], v[14:15], v[49:50]
	ds_read_b128 v[10:13], v1 offset:1136
	s_waitcnt vmcnt(53) lgkmcnt(1)
	v_mul_f64 v[71:72], v[8:9], v[150:151]
	s_waitcnt vmcnt(52)
	v_fma_f64 v[65:66], v[2:3], v[146:147], -v[65:66]
	v_mul_f64 v[49:50], v[6:7], v[150:151]
	v_fma_f64 v[57:58], v[4:5], v[146:147], v[57:58]
	ds_read_b128 v[2:5], v1 offset:1152
	v_add_f64 v[18:19], v[18:19], v[69:70]
	s_waitcnt vmcnt(51) lgkmcnt(1)
	v_mul_f64 v[69:70], v[12:13], v[152:153]
	v_add_f64 v[14:15], v[14:15], v[53:54]
	v_mul_f64 v[53:54], v[10:11], v[152:153]
	s_waitcnt vmcnt(49)
	v_fma_f64 v[71:72], v[6:7], v[156:157], -v[71:72]
	v_fma_f64 v[49:50], v[8:9], v[156:157], v[49:50]
	s_waitcnt vmcnt(45) lgkmcnt(0)
	v_mul_f64 v[148:149], v[4:5], v[162:163]
	v_mul_f64 v[146:147], v[2:3], v[162:163]
	v_add_f64 v[18:19], v[18:19], v[65:66]
	s_waitcnt vmcnt(44)
	v_fma_f64 v[69:70], v[10:11], v[154:155], -v[69:70]
	v_add_f64 v[14:15], v[14:15], v[57:58]
	s_clause 0x3
	buffer_load_dword v57, off, s[0:3], 0 offset:240
	buffer_load_dword v58, off, s[0:3], 0 offset:244
	;; [unrolled: 1-line block ×4, first 2 shown]
	ds_read_b128 v[6:9], v1 offset:1168
	v_fma_f64 v[53:54], v[12:13], v[154:155], v[53:54]
	ds_read_b128 v[10:13], v1 offset:1184
	v_add_f64 v[18:19], v[18:19], v[71:72]
	v_add_f64 v[14:15], v[14:15], v[49:50]
	s_waitcnt vmcnt(47) lgkmcnt(1)
	v_mul_f64 v[71:72], v[8:9], v[164:165]
	v_mul_f64 v[49:50], v[6:7], v[164:165]
	s_waitcnt vmcnt(45)
	v_fma_f64 v[148:149], v[2:3], v[160:161], -v[148:149]
	v_add_f64 v[18:19], v[18:19], v[69:70]
	v_fma_f64 v[69:70], v[4:5], v[160:161], v[146:147]
	v_add_f64 v[14:15], v[14:15], v[53:54]
	s_waitcnt vmcnt(41) lgkmcnt(0)
	v_mul_f64 v[53:54], v[10:11], v[27:28]
	v_mul_f64 v[27:28], v[12:13], v[27:28]
	ds_read_b128 v[2:5], v1 offset:1200
	s_waitcnt vmcnt(40)
	v_fma_f64 v[71:72], v[6:7], v[166:167], -v[71:72]
	v_fma_f64 v[49:50], v[8:9], v[166:167], v[49:50]
	ds_read_b128 v[6:9], v1 offset:1216
	v_add_f64 v[18:19], v[18:19], v[148:149]
	v_add_f64 v[14:15], v[14:15], v[69:70]
	s_waitcnt vmcnt(39) lgkmcnt(1)
	v_mul_f64 v[146:147], v[4:5], v[168:169]
	v_mul_f64 v[69:70], v[2:3], v[168:169]
	s_waitcnt vmcnt(37)
	v_fma_f64 v[27:28], v[10:11], v[16:17], -v[27:28]
	v_fma_f64 v[16:17], v[12:13], v[16:17], v[53:54]
	ds_read_b128 v[10:13], v1 offset:1232
	v_add_f64 v[18:19], v[18:19], v[71:72]
	v_add_f64 v[14:15], v[14:15], v[49:50]
	s_waitcnt vmcnt(33) lgkmcnt(1)
	v_mul_f64 v[49:50], v[6:7], v[35:36]
	v_mul_f64 v[35:36], v[8:9], v[35:36]
	s_waitcnt vmcnt(32)
	v_fma_f64 v[53:54], v[2:3], v[173:174], -v[146:147]
	v_add_f64 v[18:19], v[18:19], v[27:28]
	v_fma_f64 v[27:28], v[4:5], v[173:174], v[69:70]
	v_add_f64 v[14:15], v[14:15], v[16:17]
	ds_read_b128 v[2:5], v1 offset:1248
	s_waitcnt vmcnt(31) lgkmcnt(1)
	v_mul_f64 v[69:70], v[12:13], v[158:159]
	v_mul_f64 v[16:17], v[10:11], v[158:159]
	s_waitcnt vmcnt(29)
	v_fma_f64 v[35:36], v[6:7], v[33:34], -v[35:36]
	v_fma_f64 v[33:34], v[8:9], v[33:34], v[49:50]
	ds_read_b128 v[6:9], v1 offset:1264
	v_add_f64 v[18:19], v[18:19], v[53:54]
	v_add_f64 v[14:15], v[14:15], v[27:28]
	s_waitcnt vmcnt(25) lgkmcnt(1)
	v_mul_f64 v[27:28], v[2:3], v[29:30]
	v_mul_f64 v[29:30], v[4:5], v[29:30]
	s_waitcnt vmcnt(24)
	v_fma_f64 v[49:50], v[10:11], v[175:176], -v[69:70]
	v_fma_f64 v[16:17], v[12:13], v[175:176], v[16:17]
	ds_read_b128 v[10:13], v1 offset:1280
	v_add_f64 v[18:19], v[18:19], v[35:36]
	v_add_f64 v[14:15], v[14:15], v[33:34]
	;; [unrolled: 9-line block ×3, first 2 shown]
	s_waitcnt vmcnt(17) lgkmcnt(1)
	v_mul_f64 v[31:32], v[12:13], v[37:38]
	s_waitcnt vmcnt(16)
	v_fma_f64 v[35:36], v[6:7], v[170:171], -v[35:36]
	v_mul_f64 v[16:17], v[10:11], v[37:38]
	v_add_f64 v[18:19], v[18:19], v[29:30]
	v_fma_f64 v[29:30], v[8:9], v[170:171], v[33:34]
	v_add_f64 v[14:15], v[14:15], v[27:28]
	ds_read_b128 v[6:9], v1 offset:1312
	s_waitcnt vmcnt(15) lgkmcnt(1)
	v_mul_f64 v[33:34], v[4:5], v[51:52]
	v_mul_f64 v[27:28], v[2:3], v[51:52]
	s_waitcnt vmcnt(13)
	v_fma_f64 v[31:32], v[10:11], v[43:44], -v[31:32]
	v_fma_f64 v[16:17], v[12:13], v[43:44], v[16:17]
	ds_read_b128 v[10:13], v1 offset:1328
	v_add_f64 v[18:19], v[18:19], v[35:36]
	v_add_f64 v[14:15], v[14:15], v[29:30]
	s_waitcnt vmcnt(9) lgkmcnt(1)
	v_mul_f64 v[35:36], v[8:9], v[39:40]
	s_waitcnt vmcnt(8)
	v_fma_f64 v[2:3], v[2:3], v[55:56], -v[33:34]
	v_mul_f64 v[29:30], v[6:7], v[39:40]
	v_fma_f64 v[4:5], v[4:5], v[55:56], v[27:28]
	v_add_f64 v[18:19], v[18:19], v[31:32]
	v_add_f64 v[14:15], v[14:15], v[16:17]
	s_waitcnt vmcnt(7) lgkmcnt(0)
	v_mul_f64 v[27:28], v[12:13], v[59:60]
	v_mul_f64 v[16:17], v[10:11], v[59:60]
	s_waitcnt vmcnt(5)
	v_fma_f64 v[6:7], v[6:7], v[45:46], -v[35:36]
	v_fma_f64 v[8:9], v[8:9], v[45:46], v[29:30]
	v_add_f64 v[2:3], v[18:19], v[2:3]
	v_add_f64 v[4:5], v[14:15], v[4:5]
	s_waitcnt vmcnt(4)
	v_fma_f64 v[10:11], v[10:11], v[67:68], -v[27:28]
	v_add_f64 v[2:3], v[2:3], v[6:7]
	v_fma_f64 v[6:7], v[12:13], v[67:68], v[16:17]
	v_add_f64 v[4:5], v[4:5], v[8:9]
	v_add_f64 v[2:3], v[2:3], v[10:11]
	;; [unrolled: 1-line block ×3, first 2 shown]
	s_waitcnt vmcnt(2)
	v_add_f64 v[2:3], v[57:58], -v[2:3]
	s_waitcnt vmcnt(0)
	v_add_f64 v[4:5], v[65:66], -v[4:5]
	buffer_store_dword v3, off, s[0:3], 0 offset:244
	buffer_store_dword v2, off, s[0:3], 0 offset:240
	;; [unrolled: 1-line block ×4, first 2 shown]
	v_cmpx_lt_u32_e32 13, v0
	s_cbranch_execz .LBB41_239
; %bb.238:
	v_mov_b32_e32 v5, s38
	s_clause 0x3
	buffer_load_dword v2, v5, s[0:3], 0 offen
	buffer_load_dword v3, v5, s[0:3], 0 offen offset:4
	buffer_load_dword v4, v5, s[0:3], 0 offen offset:8
	;; [unrolled: 1-line block ×3, first 2 shown]
	buffer_store_dword v1, off, s[0:3], 0 offset:224
	buffer_store_dword v1, off, s[0:3], 0 offset:228
	;; [unrolled: 1-line block ×4, first 2 shown]
	s_waitcnt vmcnt(0)
	ds_write_b128 v145, v[2:5]
.LBB41_239:
	s_or_b32 exec_lo, exec_lo, s4
	s_waitcnt lgkmcnt(0)
	s_waitcnt_vscnt null, 0x0
	s_barrier
	buffer_gl0_inv
	s_clause 0x37
	buffer_load_dword v10, off, s[0:3], 0 offset:248
	buffer_load_dword v11, off, s[0:3], 0 offset:252
	;; [unrolled: 1-line block ×56, first 2 shown]
	ds_read_b128 v[2:5], v1 offset:896
	s_clause 0x2
	buffer_load_dword v153, off, s[0:3], 0 offset:476
	buffer_load_dword v157, off, s[0:3], 0 offset:452
	;; [unrolled: 1-line block ×3, first 2 shown]
	ds_read_b128 v[6:9], v1 offset:912
	s_clause 0x4
	buffer_load_dword v163, off, s[0:3], 0 offset:492
	buffer_load_dword v164, off, s[0:3], 0 offset:504
	;; [unrolled: 1-line block ×5, first 2 shown]
	s_mov_b32 s4, exec_lo
	s_waitcnt vmcnt(62) lgkmcnt(1)
	v_mul_f64 v[158:159], v[4:5], v[10:11]
	v_mul_f64 v[160:161], v[2:3], v[10:11]
	s_waitcnt vmcnt(60) lgkmcnt(0)
	v_mul_f64 v[167:168], v[8:9], v[14:15]
	ds_read_b128 v[10:13], v1 offset:928
	v_mul_f64 v[14:15], v[6:7], v[14:15]
	s_waitcnt vmcnt(58)
	v_fma_f64 v[158:159], v[2:3], v[16:17], -v[158:159]
	v_fma_f64 v[16:17], v[4:5], v[16:17], v[160:161]
	s_clause 0x2
	buffer_load_dword v165, off, s[0:3], 0 offset:508
	buffer_load_dword v161, off, s[0:3], 0 offset:484
	;; [unrolled: 1-line block ×3, first 2 shown]
	s_waitcnt vmcnt(59) lgkmcnt(0)
	v_mul_f64 v[169:170], v[10:11], v[18:19]
	v_mul_f64 v[18:19], v[12:13], v[18:19]
	s_waitcnt vmcnt(57)
	v_fma_f64 v[171:172], v[6:7], v[27:28], -v[167:168]
	ds_read_b128 v[2:5], v1 offset:944
	v_fma_f64 v[14:15], v[8:9], v[27:28], v[14:15]
	s_clause 0x4
	buffer_load_dword v28, off, s[0:3], 0 offset:524
	buffer_load_dword v168, off, s[0:3], 0 offset:536
	;; [unrolled: 1-line block ×5, first 2 shown]
	ds_read_b128 v[6:9], v1 offset:960
	v_add_f64 v[158:159], v[158:159], 0
	v_add_f64 v[16:17], v[16:17], 0
	s_waitcnt vmcnt(58) lgkmcnt(1)
	v_mul_f64 v[174:175], v[2:3], v[29:30]
	v_mul_f64 v[29:30], v[4:5], v[29:30]
	s_waitcnt vmcnt(56)
	v_fma_f64 v[18:19], v[10:11], v[35:36], -v[18:19]
	v_fma_f64 v[35:36], v[12:13], v[35:36], v[169:170]
	v_add_f64 v[158:159], v[158:159], v[171:172]
	v_add_f64 v[14:15], v[16:17], v[14:15]
	s_clause 0x2
	buffer_load_dword v169, off, s[0:3], 0 offset:540
	buffer_load_dword v17, off, s[0:3], 0 offset:516
	;; [unrolled: 1-line block ×3, first 2 shown]
	s_waitcnt vmcnt(58) lgkmcnt(0)
	v_mul_f64 v[170:171], v[6:7], v[31:32]
	v_mul_f64 v[31:32], v[8:9], v[31:32]
	s_waitcnt vmcnt(56)
	v_fma_f64 v[29:30], v[2:3], v[37:38], -v[29:30]
	ds_read_b128 v[10:13], v1 offset:976
	v_fma_f64 v[37:38], v[4:5], v[37:38], v[174:175]
	v_add_f64 v[18:19], v[158:159], v[18:19]
	v_add_f64 v[14:15], v[14:15], v[35:36]
	s_clause 0x4
	buffer_load_dword v36, off, s[0:3], 0 offset:556
	buffer_load_dword v158, off, s[0:3], 0 offset:568
	;; [unrolled: 1-line block ×5, first 2 shown]
	ds_read_b128 v[2:5], v1 offset:992
	s_waitcnt vmcnt(57) lgkmcnt(1)
	v_mul_f64 v[176:177], v[10:11], v[39:40]
	v_mul_f64 v[39:40], v[12:13], v[39:40]
	s_waitcnt vmcnt(56)
	v_fma_f64 v[31:32], v[6:7], v[33:34], -v[31:32]
	v_add_f64 v[18:19], v[18:19], v[29:30]
	v_fma_f64 v[29:30], v[8:9], v[33:34], v[170:171]
	v_add_f64 v[14:15], v[14:15], v[37:38]
	s_clause 0x2
	buffer_load_dword v159, off, s[0:3], 0 offset:572
	buffer_load_dword v34, off, s[0:3], 0 offset:548
	;; [unrolled: 1-line block ×3, first 2 shown]
	s_waitcnt vmcnt(58) lgkmcnt(0)
	v_mul_f64 v[37:38], v[2:3], v[43:44]
	v_mul_f64 v[43:44], v[4:5], v[43:44]
	s_waitcnt vmcnt(56)
	v_fma_f64 v[39:40], v[10:11], v[47:48], -v[39:40]
	ds_read_b128 v[6:9], v1 offset:1008
	v_add_f64 v[18:19], v[18:19], v[31:32]
	v_fma_f64 v[31:32], v[12:13], v[47:48], v[176:177]
	v_add_f64 v[14:15], v[14:15], v[29:30]
	s_clause 0x4
	buffer_load_dword v30, off, s[0:3], 0 offset:588
	buffer_load_dword v47, off, s[0:3], 0 offset:600
	;; [unrolled: 1-line block ×5, first 2 shown]
	ds_read_b128 v[10:13], v1 offset:1024
	s_waitcnt vmcnt(57) lgkmcnt(1)
	v_mul_f64 v[171:172], v[6:7], v[49:50]
	v_mul_f64 v[49:50], v[8:9], v[49:50]
	s_waitcnt vmcnt(56)
	v_fma_f64 v[43:44], v[2:3], v[45:46], -v[43:44]
	v_fma_f64 v[37:38], v[4:5], v[45:46], v[37:38]
	v_add_f64 v[18:19], v[18:19], v[39:40]
	v_add_f64 v[14:15], v[14:15], v[31:32]
	s_clause 0x2
	buffer_load_dword v48, off, s[0:3], 0 offset:604
	buffer_load_dword v32, off, s[0:3], 0 offset:580
	;; [unrolled: 1-line block ×3, first 2 shown]
	s_waitcnt vmcnt(58) lgkmcnt(0)
	v_mul_f64 v[45:46], v[12:13], v[51:52]
	ds_read_b128 v[2:5], v1 offset:1040
	s_waitcnt vmcnt(56)
	v_fma_f64 v[49:50], v[6:7], v[55:56], -v[49:50]
	v_mul_f64 v[39:40], v[10:11], v[51:52]
	v_add_f64 v[18:19], v[18:19], v[43:44]
	v_fma_f64 v[43:44], v[8:9], v[55:56], v[171:172]
	v_add_f64 v[14:15], v[14:15], v[37:38]
	s_clause 0x4
	buffer_load_dword v38, off, s[0:3], 0 offset:620
	buffer_load_dword v51, off, s[0:3], 0 offset:632
	;; [unrolled: 1-line block ×5, first 2 shown]
	s_waitcnt vmcnt(57) lgkmcnt(0)
	v_mul_f64 v[177:178], v[2:3], v[57:58]
	v_mul_f64 v[56:57], v[4:5], v[57:58]
	s_waitcnt vmcnt(56)
	v_fma_f64 v[45:46], v[10:11], v[53:54], -v[45:46]
	ds_read_b128 v[6:9], v1 offset:1056
	v_fma_f64 v[39:40], v[12:13], v[53:54], v[39:40]
	v_add_f64 v[18:19], v[18:19], v[49:50]
	v_add_f64 v[14:15], v[14:15], v[43:44]
	s_clause 0x2
	buffer_load_dword v52, off, s[0:3], 0 offset:636
	buffer_load_dword v44, off, s[0:3], 0 offset:612
	;; [unrolled: 1-line block ×3, first 2 shown]
	ds_read_b128 v[10:13], v1 offset:1072
	s_waitcnt vmcnt(58) lgkmcnt(1)
	v_mul_f64 v[53:54], v[8:9], v[59:60]
	s_waitcnt vmcnt(56)
	v_fma_f64 v[57:58], v[2:3], v[67:68], -v[56:57]
	v_mul_f64 v[49:50], v[6:7], v[59:60]
	v_add_f64 v[18:19], v[18:19], v[45:46]
	v_fma_f64 v[45:46], v[4:5], v[67:68], v[177:178]
	v_add_f64 v[14:15], v[14:15], v[39:40]
	s_clause 0x4
	buffer_load_dword v40, off, s[0:3], 0 offset:652
	buffer_load_dword v59, off, s[0:3], 0 offset:664
	;; [unrolled: 1-line block ×5, first 2 shown]
	s_waitcnt vmcnt(57) lgkmcnt(0)
	v_mul_f64 v[177:178], v[10:11], v[69:70]
	v_mul_f64 v[68:69], v[12:13], v[69:70]
	s_waitcnt vmcnt(56)
	v_fma_f64 v[53:54], v[6:7], v[65:66], -v[53:54]
	ds_read_b128 v[2:5], v1 offset:1088
	v_fma_f64 v[49:50], v[8:9], v[65:66], v[49:50]
	v_add_f64 v[18:19], v[18:19], v[57:58]
	v_add_f64 v[14:15], v[14:15], v[45:46]
	s_clause 0x2
	buffer_load_dword v60, off, s[0:3], 0 offset:668
	buffer_load_dword v46, off, s[0:3], 0 offset:644
	;; [unrolled: 1-line block ×3, first 2 shown]
	ds_read_b128 v[6:9], v1 offset:1104
	s_waitcnt vmcnt(58) lgkmcnt(1)
	v_mul_f64 v[65:66], v[4:5], v[71:72]
	s_waitcnt vmcnt(56)
	v_fma_f64 v[69:70], v[10:11], v[148:149], -v[68:69]
	v_mul_f64 v[57:58], v[2:3], v[71:72]
	v_add_f64 v[18:19], v[18:19], v[53:54]
	v_fma_f64 v[53:54], v[12:13], v[148:149], v[177:178]
	v_add_f64 v[14:15], v[14:15], v[49:50]
	s_clause 0x2
	buffer_load_dword v50, off, s[0:3], 0 offset:684
	buffer_load_dword v49, off, s[0:3], 0 offset:680
	;; [unrolled: 1-line block ×3, first 2 shown]
	s_waitcnt vmcnt(55) lgkmcnt(0)
	v_mul_f64 v[148:149], v[8:9], v[150:151]
	s_waitcnt vmcnt(54)
	v_fma_f64 v[65:66], v[2:3], v[146:147], -v[65:66]
	ds_read_b128 v[10:13], v1 offset:1120
	v_mul_f64 v[71:72], v[6:7], v[150:151]
	v_fma_f64 v[57:58], v[4:5], v[146:147], v[57:58]
	v_add_f64 v[18:19], v[18:19], v[69:70]
	v_add_f64 v[14:15], v[14:15], v[53:54]
	s_clause 0x1
	buffer_load_dword v54, off, s[0:3], 0 offset:676
	buffer_load_dword v53, off, s[0:3], 0 offset:672
	s_waitcnt vmcnt(55) lgkmcnt(0)
	v_mul_f64 v[146:147], v[12:13], v[152:153]
	s_waitcnt vmcnt(53)
	v_fma_f64 v[148:149], v[6:7], v[156:157], -v[148:149]
	ds_read_b128 v[2:5], v1 offset:1136
	v_mul_f64 v[69:70], v[10:11], v[152:153]
	v_add_f64 v[18:19], v[18:19], v[65:66]
	v_fma_f64 v[65:66], v[8:9], v[156:157], v[71:72]
	v_add_f64 v[14:15], v[14:15], v[57:58]
	ds_read_b128 v[6:9], v1 offset:1152
	s_waitcnt vmcnt(49) lgkmcnt(1)
	v_mul_f64 v[71:72], v[4:5], v[162:163]
	s_waitcnt vmcnt(48)
	v_fma_f64 v[146:147], v[10:11], v[154:155], -v[146:147]
	v_mul_f64 v[57:58], v[2:3], v[162:163]
	v_fma_f64 v[69:70], v[12:13], v[154:155], v[69:70]
	v_add_f64 v[18:19], v[18:19], v[148:149]
	v_add_f64 v[14:15], v[14:15], v[65:66]
	s_clause 0x3
	buffer_load_dword v65, off, s[0:3], 0 offset:224
	buffer_load_dword v66, off, s[0:3], 0 offset:228
	;; [unrolled: 1-line block ×4, first 2 shown]
	ds_read_b128 v[10:13], v1 offset:1168
	s_waitcnt vmcnt(51) lgkmcnt(1)
	v_mul_f64 v[152:153], v[8:9], v[164:165]
	v_mul_f64 v[150:151], v[6:7], v[164:165]
	s_waitcnt vmcnt(49)
	v_fma_f64 v[71:72], v[2:3], v[160:161], -v[71:72]
	v_fma_f64 v[57:58], v[4:5], v[160:161], v[57:58]
	ds_read_b128 v[2:5], v1 offset:1184
	v_add_f64 v[18:19], v[18:19], v[146:147]
	v_add_f64 v[14:15], v[14:15], v[69:70]
	s_waitcnt vmcnt(45) lgkmcnt(1)
	v_mul_f64 v[69:70], v[10:11], v[27:28]
	v_mul_f64 v[27:28], v[12:13], v[27:28]
	s_waitcnt vmcnt(44)
	v_fma_f64 v[146:147], v[6:7], v[166:167], -v[152:153]
	v_add_f64 v[18:19], v[18:19], v[71:72]
	v_fma_f64 v[71:72], v[8:9], v[166:167], v[150:151]
	v_add_f64 v[14:15], v[14:15], v[57:58]
	ds_read_b128 v[6:9], v1 offset:1200
	s_waitcnt vmcnt(43) lgkmcnt(1)
	v_mul_f64 v[150:151], v[4:5], v[168:169]
	v_mul_f64 v[57:58], v[2:3], v[168:169]
	s_waitcnt vmcnt(41)
	v_fma_f64 v[27:28], v[10:11], v[16:17], -v[27:28]
	v_fma_f64 v[16:17], v[12:13], v[16:17], v[69:70]
	ds_read_b128 v[10:13], v1 offset:1216
	v_add_f64 v[18:19], v[18:19], v[146:147]
	v_add_f64 v[14:15], v[14:15], v[71:72]
	s_waitcnt vmcnt(37) lgkmcnt(1)
	v_mul_f64 v[69:70], v[6:7], v[35:36]
	v_mul_f64 v[35:36], v[8:9], v[35:36]
	s_waitcnt vmcnt(36)
	v_fma_f64 v[71:72], v[2:3], v[173:174], -v[150:151]
	v_add_f64 v[18:19], v[18:19], v[27:28]
	v_fma_f64 v[27:28], v[4:5], v[173:174], v[57:58]
	v_add_f64 v[14:15], v[14:15], v[16:17]
	ds_read_b128 v[2:5], v1 offset:1232
	s_waitcnt vmcnt(35) lgkmcnt(1)
	v_mul_f64 v[57:58], v[12:13], v[158:159]
	v_mul_f64 v[16:17], v[10:11], v[158:159]
	s_waitcnt vmcnt(33)
	v_fma_f64 v[35:36], v[6:7], v[33:34], -v[35:36]
	v_fma_f64 v[33:34], v[8:9], v[33:34], v[69:70]
	ds_read_b128 v[6:9], v1 offset:1248
	v_add_f64 v[18:19], v[18:19], v[71:72]
	v_add_f64 v[14:15], v[14:15], v[27:28]
	s_waitcnt vmcnt(29) lgkmcnt(1)
	v_mul_f64 v[27:28], v[2:3], v[29:30]
	v_mul_f64 v[29:30], v[4:5], v[29:30]
	s_waitcnt vmcnt(28)
	v_fma_f64 v[57:58], v[10:11], v[175:176], -v[57:58]
	v_fma_f64 v[16:17], v[12:13], v[175:176], v[16:17]
	ds_read_b128 v[10:13], v1 offset:1264
	v_add_f64 v[18:19], v[18:19], v[35:36]
	v_add_f64 v[14:15], v[14:15], v[33:34]
	;; [unrolled: 9-line block ×3, first 2 shown]
	s_waitcnt vmcnt(21) lgkmcnt(1)
	v_mul_f64 v[31:32], v[12:13], v[37:38]
	s_waitcnt vmcnt(20)
	v_fma_f64 v[35:36], v[6:7], v[170:171], -v[35:36]
	v_mul_f64 v[16:17], v[10:11], v[37:38]
	v_add_f64 v[18:19], v[18:19], v[29:30]
	v_fma_f64 v[29:30], v[8:9], v[170:171], v[33:34]
	v_add_f64 v[14:15], v[14:15], v[27:28]
	ds_read_b128 v[6:9], v1 offset:1296
	s_waitcnt vmcnt(19) lgkmcnt(1)
	v_mul_f64 v[33:34], v[4:5], v[51:52]
	v_mul_f64 v[27:28], v[2:3], v[51:52]
	s_waitcnt vmcnt(17)
	v_fma_f64 v[31:32], v[10:11], v[43:44], -v[31:32]
	v_fma_f64 v[16:17], v[12:13], v[43:44], v[16:17]
	ds_read_b128 v[10:13], v1 offset:1312
	v_add_f64 v[18:19], v[18:19], v[35:36]
	v_add_f64 v[14:15], v[14:15], v[29:30]
	s_waitcnt vmcnt(13) lgkmcnt(1)
	v_mul_f64 v[35:36], v[8:9], v[39:40]
	s_waitcnt vmcnt(12)
	v_fma_f64 v[33:34], v[2:3], v[55:56], -v[33:34]
	v_mul_f64 v[29:30], v[6:7], v[39:40]
	v_fma_f64 v[27:28], v[4:5], v[55:56], v[27:28]
	ds_read_b128 v[1:4], v1 offset:1328
	v_add_f64 v[18:19], v[18:19], v[31:32]
	v_add_f64 v[14:15], v[14:15], v[16:17]
	s_waitcnt vmcnt(11) lgkmcnt(1)
	v_mul_f64 v[31:32], v[12:13], v[59:60]
	v_mul_f64 v[16:17], v[10:11], v[59:60]
	s_waitcnt vmcnt(9)
	v_fma_f64 v[5:6], v[6:7], v[45:46], -v[35:36]
	v_fma_f64 v[7:8], v[8:9], v[45:46], v[29:30]
	v_add_f64 v[18:19], v[18:19], v[33:34]
	v_add_f64 v[14:15], v[14:15], v[27:28]
	s_waitcnt vmcnt(7) lgkmcnt(0)
	v_mul_f64 v[29:30], v[3:4], v[49:50]
	s_waitcnt vmcnt(6)
	v_fma_f64 v[9:10], v[10:11], v[67:68], -v[31:32]
	v_mul_f64 v[27:28], v[1:2], v[49:50]
	v_fma_f64 v[11:12], v[12:13], v[67:68], v[16:17]
	v_add_f64 v[5:6], v[18:19], v[5:6]
	v_add_f64 v[7:8], v[14:15], v[7:8]
	s_waitcnt vmcnt(4)
	v_fma_f64 v[1:2], v[1:2], v[53:54], -v[29:30]
	v_fma_f64 v[3:4], v[3:4], v[53:54], v[27:28]
	v_add_f64 v[5:6], v[5:6], v[9:10]
	v_add_f64 v[7:8], v[7:8], v[11:12]
	;; [unrolled: 1-line block ×4, first 2 shown]
	s_waitcnt vmcnt(2)
	v_add_f64 v[1:2], v[65:66], -v[1:2]
	s_waitcnt vmcnt(0)
	v_add_f64 v[3:4], v[148:149], -v[3:4]
	buffer_store_dword v2, off, s[0:3], 0 offset:228
	buffer_store_dword v1, off, s[0:3], 0 offset:224
	;; [unrolled: 1-line block ×4, first 2 shown]
	v_cmpx_lt_u32_e32 12, v0
	s_cbranch_execz .LBB41_241
; %bb.240:
	v_mov_b32_e32 v4, s40
	v_mov_b32_e32 v5, 0
	s_clause 0x3
	buffer_load_dword v1, v4, s[0:3], 0 offen
	buffer_load_dword v2, v4, s[0:3], 0 offen offset:4
	buffer_load_dword v3, v4, s[0:3], 0 offen offset:8
	;; [unrolled: 1-line block ×3, first 2 shown]
	buffer_store_dword v5, off, s[0:3], 0 offset:208
	buffer_store_dword v5, off, s[0:3], 0 offset:212
	;; [unrolled: 1-line block ×4, first 2 shown]
	s_waitcnt vmcnt(0)
	ds_write_b128 v145, v[1:4]
.LBB41_241:
	s_or_b32 exec_lo, exec_lo, s4
	s_waitcnt lgkmcnt(0)
	s_waitcnt_vscnt null, 0x0
	s_barrier
	buffer_gl0_inv
	s_clause 0x37
	buffer_load_dword v9, off, s[0:3], 0 offset:232
	buffer_load_dword v10, off, s[0:3], 0 offset:236
	;; [unrolled: 1-line block ×56, first 2 shown]
	v_mov_b32_e32 v11, 0
	s_mov_b32 s4, exec_lo
	ds_read_b128 v[5:8], v11 offset:880
	s_clause 0x2
	buffer_load_dword v155, off, s[0:3], 0 offset:460
	buffer_load_dword v159, off, s[0:3], 0 offset:436
	;; [unrolled: 1-line block ×3, first 2 shown]
	ds_read_b128 v[12:15], v11 offset:896
	s_clause 0x4
	buffer_load_dword v163, off, s[0:3], 0 offset:476
	buffer_load_dword v164, off, s[0:3], 0 offset:488
	;; [unrolled: 1-line block ×5, first 2 shown]
	ds_read_b128 v[16:19], v11 offset:912
	s_waitcnt vmcnt(62) lgkmcnt(2)
	v_mul_f64 v[160:161], v[7:8], v[9:10]
	v_mul_f64 v[9:10], v[5:6], v[9:10]
	s_waitcnt vmcnt(60) lgkmcnt(1)
	v_mul_f64 v[167:168], v[14:15], v[27:28]
	v_mul_f64 v[27:28], v[12:13], v[27:28]
	;; [unrolled: 3-line block ×3, first 2 shown]
	v_fma_f64 v[160:161], v[5:6], v[29:30], -v[160:161]
	v_fma_f64 v[9:10], v[7:8], v[29:30], v[9:10]
	s_clause 0x2
	buffer_load_dword v165, off, s[0:3], 0 offset:492
	buffer_load_dword v30, off, s[0:3], 0 offset:468
	buffer_load_dword v29, off, s[0:3], 0 offset:464
	s_waitcnt vmcnt(57)
	v_fma_f64 v[12:13], v[12:13], v[1:2], -v[167:168]
	ds_read_b128 v[5:8], v11 offset:928
	v_fma_f64 v[14:15], v[14:15], v[1:2], v[27:28]
	s_clause 0x4
	buffer_load_dword v28, off, s[0:3], 0 offset:508
	buffer_load_dword v168, off, s[0:3], 0 offset:520
	;; [unrolled: 1-line block ×5, first 2 shown]
	s_waitcnt vmcnt(56)
	v_fma_f64 v[16:17], v[16:17], v[37:38], -v[171:172]
	ds_read_b128 v[1:4], v11 offset:944
	v_fma_f64 v[18:19], v[18:19], v[37:38], v[169:170]
	s_clause 0x2
	buffer_load_dword v169, off, s[0:3], 0 offset:524
	buffer_load_dword v38, off, s[0:3], 0 offset:500
	;; [unrolled: 1-line block ×3, first 2 shown]
	v_add_f64 v[160:161], v[160:161], 0
	v_add_f64 v[9:10], v[9:10], 0
	s_waitcnt lgkmcnt(1)
	v_mul_f64 v[174:175], v[5:6], v[31:32]
	v_mul_f64 v[31:32], v[7:8], v[31:32]
	s_waitcnt vmcnt(58) lgkmcnt(0)
	v_mul_f64 v[170:171], v[1:2], v[33:34]
	v_mul_f64 v[33:34], v[3:4], v[33:34]
	v_add_f64 v[160:161], v[160:161], v[12:13]
	v_add_f64 v[9:10], v[9:10], v[14:15]
	ds_read_b128 v[12:15], v11 offset:960
	s_waitcnt vmcnt(56)
	v_fma_f64 v[31:32], v[5:6], v[39:40], -v[31:32]
	v_fma_f64 v[39:40], v[7:8], v[39:40], v[174:175]
	s_waitcnt vmcnt(51)
	v_fma_f64 v[33:34], v[1:2], v[35:36], -v[33:34]
	s_waitcnt lgkmcnt(0)
	v_mul_f64 v[176:177], v[12:13], v[43:44]
	v_add_f64 v[16:17], v[160:161], v[16:17]
	v_add_f64 v[9:10], v[9:10], v[18:19]
	s_clause 0x4
	buffer_load_dword v19, off, s[0:3], 0 offset:540
	buffer_load_dword v160, off, s[0:3], 0 offset:552
	;; [unrolled: 1-line block ×5, first 2 shown]
	v_mul_f64 v[43:44], v[14:15], v[43:44]
	ds_read_b128 v[5:8], v11 offset:976
	v_add_f64 v[16:17], v[16:17], v[31:32]
	v_fma_f64 v[31:32], v[3:4], v[35:36], v[170:171]
	v_add_f64 v[9:10], v[9:10], v[39:40]
	s_clause 0x2
	buffer_load_dword v161, off, s[0:3], 0 offset:556
	buffer_load_dword v36, off, s[0:3], 0 offset:532
	;; [unrolled: 1-line block ×3, first 2 shown]
	s_waitcnt vmcnt(58) lgkmcnt(0)
	v_mul_f64 v[39:40], v[5:6], v[45:46]
	v_mul_f64 v[45:46], v[7:8], v[45:46]
	s_waitcnt vmcnt(56)
	v_fma_f64 v[43:44], v[12:13], v[49:50], -v[43:44]
	ds_read_b128 v[1:4], v11 offset:992
	v_add_f64 v[16:17], v[16:17], v[33:34]
	v_fma_f64 v[33:34], v[14:15], v[49:50], v[176:177]
	v_add_f64 v[9:10], v[9:10], v[31:32]
	s_clause 0x4
	buffer_load_dword v32, off, s[0:3], 0 offset:572
	buffer_load_dword v49, off, s[0:3], 0 offset:584
	;; [unrolled: 1-line block ×5, first 2 shown]
	ds_read_b128 v[12:15], v11 offset:1008
	s_waitcnt vmcnt(57) lgkmcnt(1)
	v_mul_f64 v[171:172], v[1:2], v[51:52]
	v_mul_f64 v[51:52], v[3:4], v[51:52]
	s_waitcnt vmcnt(56)
	v_fma_f64 v[45:46], v[5:6], v[47:48], -v[45:46]
	v_fma_f64 v[39:40], v[7:8], v[47:48], v[39:40]
	v_add_f64 v[16:17], v[16:17], v[43:44]
	v_add_f64 v[9:10], v[9:10], v[33:34]
	s_clause 0x2
	buffer_load_dword v50, off, s[0:3], 0 offset:588
	buffer_load_dword v34, off, s[0:3], 0 offset:564
	;; [unrolled: 1-line block ×3, first 2 shown]
	s_waitcnt vmcnt(58) lgkmcnt(0)
	v_mul_f64 v[47:48], v[14:15], v[53:54]
	ds_read_b128 v[5:8], v11 offset:1024
	s_waitcnt vmcnt(56)
	v_fma_f64 v[51:52], v[1:2], v[57:58], -v[51:52]
	v_mul_f64 v[43:44], v[12:13], v[53:54]
	v_add_f64 v[16:17], v[16:17], v[45:46]
	v_fma_f64 v[45:46], v[3:4], v[57:58], v[171:172]
	v_add_f64 v[9:10], v[9:10], v[39:40]
	s_clause 0x4
	buffer_load_dword v40, off, s[0:3], 0 offset:604
	buffer_load_dword v53, off, s[0:3], 0 offset:616
	buffer_load_dword v57, off, s[0:3], 0 offset:608
	buffer_load_dword v39, off, s[0:3], 0 offset:600
	buffer_load_dword v171, off, s[0:3], 0 offset:580
	s_waitcnt vmcnt(57) lgkmcnt(0)
	v_mul_f64 v[177:178], v[5:6], v[59:60]
	v_mul_f64 v[58:59], v[7:8], v[59:60]
	s_waitcnt vmcnt(56)
	v_fma_f64 v[47:48], v[12:13], v[55:56], -v[47:48]
	ds_read_b128 v[1:4], v11 offset:1040
	v_fma_f64 v[43:44], v[14:15], v[55:56], v[43:44]
	v_add_f64 v[16:17], v[16:17], v[51:52]
	v_add_f64 v[9:10], v[9:10], v[45:46]
	s_clause 0x2
	buffer_load_dword v54, off, s[0:3], 0 offset:620
	buffer_load_dword v46, off, s[0:3], 0 offset:596
	buffer_load_dword v45, off, s[0:3], 0 offset:592
	ds_read_b128 v[12:15], v11 offset:1056
	s_waitcnt vmcnt(58) lgkmcnt(1)
	v_mul_f64 v[55:56], v[3:4], v[65:66]
	s_waitcnt vmcnt(56)
	v_fma_f64 v[59:60], v[5:6], v[69:70], -v[58:59]
	v_mul_f64 v[51:52], v[1:2], v[65:66]
	v_add_f64 v[16:17], v[16:17], v[47:48]
	v_fma_f64 v[47:48], v[7:8], v[69:70], v[177:178]
	v_add_f64 v[9:10], v[9:10], v[43:44]
	s_clause 0x4
	buffer_load_dword v44, off, s[0:3], 0 offset:636
	buffer_load_dword v65, off, s[0:3], 0 offset:648
	buffer_load_dword v69, off, s[0:3], 0 offset:640
	buffer_load_dword v43, off, s[0:3], 0 offset:632
	buffer_load_dword v58, off, s[0:3], 0 offset:612
	s_waitcnt vmcnt(57) lgkmcnt(0)
	v_mul_f64 v[177:178], v[12:13], v[71:72]
	v_mul_f64 v[70:71], v[14:15], v[71:72]
	s_waitcnt vmcnt(56)
	v_fma_f64 v[55:56], v[1:2], v[67:68], -v[55:56]
	ds_read_b128 v[5:8], v11 offset:1072
	v_fma_f64 v[51:52], v[3:4], v[67:68], v[51:52]
	v_add_f64 v[16:17], v[16:17], v[59:60]
	v_add_f64 v[9:10], v[9:10], v[47:48]
	s_clause 0x2
	buffer_load_dword v66, off, s[0:3], 0 offset:652
	buffer_load_dword v48, off, s[0:3], 0 offset:628
	buffer_load_dword v47, off, s[0:3], 0 offset:624
	ds_read_b128 v[1:4], v11 offset:1088
	s_waitcnt vmcnt(58) lgkmcnt(1)
	v_mul_f64 v[67:68], v[7:8], v[146:147]
	;; [unrolled: 28-line block ×3, first 2 shown]
	s_waitcnt vmcnt(56)
	v_fma_f64 v[152:153], v[1:2], v[158:159], -v[151:152]
	v_mul_f64 v[71:72], v[12:13], v[154:155]
	buffer_load_dword v151, off, s[0:3], 0 offset:676
	v_add_f64 v[16:17], v[16:17], v[67:68]
	v_fma_f64 v[67:68], v[3:4], v[158:159], v[177:178]
	v_add_f64 v[9:10], v[9:10], v[59:60]
	ds_read_b128 v[1:4], v11 offset:1136
	s_waitcnt vmcnt(53) lgkmcnt(1)
	v_mul_f64 v[154:155], v[7:8], v[162:163]
	s_waitcnt vmcnt(52)
	v_fma_f64 v[148:149], v[12:13], v[156:157], -v[148:149]
	v_mul_f64 v[59:60], v[5:6], v[162:163]
	v_fma_f64 v[71:72], v[14:15], v[156:157], v[71:72]
	ds_read_b128 v[12:15], v11 offset:1152
	v_add_f64 v[16:17], v[16:17], v[152:153]
	v_add_f64 v[9:10], v[9:10], v[67:68]
	s_waitcnt vmcnt(51) lgkmcnt(1)
	v_mul_f64 v[152:153], v[3:4], v[164:165]
	v_mul_f64 v[67:68], v[1:2], v[164:165]
	s_waitcnt vmcnt(49)
	v_fma_f64 v[154:155], v[5:6], v[29:30], -v[154:155]
	v_fma_f64 v[29:30], v[7:8], v[29:30], v[59:60]
	v_add_f64 v[16:17], v[16:17], v[148:149]
	s_waitcnt vmcnt(45) lgkmcnt(0)
	v_mul_f64 v[148:149], v[12:13], v[27:28]
	v_add_f64 v[9:10], v[9:10], v[71:72]
	s_clause 0x3
	buffer_load_dword v59, off, s[0:3], 0 offset:208
	buffer_load_dword v60, off, s[0:3], 0 offset:212
	;; [unrolled: 1-line block ×4, first 2 shown]
	v_mul_f64 v[27:28], v[14:15], v[27:28]
	ds_read_b128 v[5:8], v11 offset:1168
	s_waitcnt vmcnt(48)
	v_fma_f64 v[152:153], v[1:2], v[166:167], -v[152:153]
	v_fma_f64 v[67:68], v[3:4], v[166:167], v[67:68]
	ds_read_b128 v[1:4], v11 offset:1184
	v_add_f64 v[16:17], v[16:17], v[154:155]
	v_add_f64 v[9:10], v[9:10], v[29:30]
	s_waitcnt vmcnt(47) lgkmcnt(1)
	v_mul_f64 v[154:155], v[7:8], v[168:169]
	s_waitcnt vmcnt(45)
	v_fma_f64 v[27:28], v[12:13], v[37:38], -v[27:28]
	v_mul_f64 v[29:30], v[5:6], v[168:169]
	v_fma_f64 v[37:38], v[14:15], v[37:38], v[148:149]
	ds_read_b128 v[12:15], v11 offset:1200
	v_add_f64 v[16:17], v[16:17], v[152:153]
	v_add_f64 v[9:10], v[9:10], v[67:68]
	s_waitcnt vmcnt(41) lgkmcnt(1)
	v_mul_f64 v[67:68], v[1:2], v[18:19]
	v_mul_f64 v[18:19], v[3:4], v[18:19]
	s_waitcnt vmcnt(40)
	v_fma_f64 v[148:149], v[5:6], v[173:174], -v[154:155]
	v_add_f64 v[16:17], v[16:17], v[27:28]
	v_fma_f64 v[27:28], v[7:8], v[173:174], v[29:30]
	v_add_f64 v[9:10], v[9:10], v[37:38]
	ds_read_b128 v[5:8], v11 offset:1216
	s_waitcnt vmcnt(39) lgkmcnt(1)
	v_mul_f64 v[37:38], v[14:15], v[160:161]
	v_mul_f64 v[29:30], v[12:13], v[160:161]
	s_waitcnt vmcnt(37)
	v_fma_f64 v[18:19], v[1:2], v[35:36], -v[18:19]
	v_fma_f64 v[35:36], v[3:4], v[35:36], v[67:68]
	ds_read_b128 v[1:4], v11 offset:1232
	v_add_f64 v[16:17], v[16:17], v[148:149]
	v_add_f64 v[9:10], v[9:10], v[27:28]
	s_waitcnt vmcnt(33) lgkmcnt(1)
	v_mul_f64 v[27:28], v[5:6], v[31:32]
	v_mul_f64 v[31:32], v[7:8], v[31:32]
	s_waitcnt vmcnt(32)
	v_fma_f64 v[37:38], v[12:13], v[175:176], -v[37:38]
	v_add_f64 v[16:17], v[16:17], v[18:19]
	v_fma_f64 v[18:19], v[14:15], v[175:176], v[29:30]
	v_add_f64 v[9:10], v[9:10], v[35:36]
	ds_read_b128 v[12:15], v11 offset:1248
	s_waitcnt vmcnt(31) lgkmcnt(1)
	v_mul_f64 v[35:36], v[3:4], v[49:50]
	v_mul_f64 v[29:30], v[1:2], v[49:50]
	s_waitcnt vmcnt(29)
	v_fma_f64 v[31:32], v[5:6], v[33:34], -v[31:32]
	v_fma_f64 v[27:28], v[7:8], v[33:34], v[27:28]
	ds_read_b128 v[5:8], v11 offset:1264
	v_add_f64 v[16:17], v[16:17], v[37:38]
	v_add_f64 v[9:10], v[9:10], v[18:19]
	s_waitcnt vmcnt(25) lgkmcnt(1)
	v_mul_f64 v[33:34], v[14:15], v[39:40]
	s_waitcnt vmcnt(24)
	v_fma_f64 v[35:36], v[1:2], v[170:171], -v[35:36]
	v_mul_f64 v[18:19], v[12:13], v[39:40]
	v_fma_f64 v[29:30], v[3:4], v[170:171], v[29:30]
	ds_read_b128 v[1:4], v11 offset:1280
	v_add_f64 v[16:17], v[16:17], v[31:32]
	v_add_f64 v[9:10], v[9:10], v[27:28]
	s_waitcnt vmcnt(23) lgkmcnt(1)
	v_mul_f64 v[31:32], v[7:8], v[53:54]
	v_mul_f64 v[27:28], v[5:6], v[53:54]
	s_waitcnt vmcnt(21)
	v_fma_f64 v[33:34], v[12:13], v[45:46], -v[33:34]
	v_fma_f64 v[18:19], v[14:15], v[45:46], v[18:19]
	ds_read_b128 v[12:15], v11 offset:1296
	v_add_f64 v[16:17], v[16:17], v[35:36]
	v_add_f64 v[9:10], v[9:10], v[29:30]
	s_waitcnt vmcnt(17) lgkmcnt(1)
	v_mul_f64 v[35:36], v[3:4], v[43:44]
	s_waitcnt vmcnt(16)
	v_fma_f64 v[31:32], v[5:6], v[57:58], -v[31:32]
	v_mul_f64 v[29:30], v[1:2], v[43:44]
	v_fma_f64 v[27:28], v[7:8], v[57:58], v[27:28]
	ds_read_b128 v[5:8], v11 offset:1312
	v_add_f64 v[16:17], v[16:17], v[33:34]
	v_add_f64 v[9:10], v[9:10], v[18:19]
	s_waitcnt vmcnt(15) lgkmcnt(1)
	v_mul_f64 v[33:34], v[14:15], v[65:66]
	v_mul_f64 v[18:19], v[12:13], v[65:66]
	s_waitcnt vmcnt(13)
	v_fma_f64 v[35:36], v[1:2], v[47:48], -v[35:36]
	v_fma_f64 v[29:30], v[3:4], v[47:48], v[29:30]
	ds_read_b128 v[1:4], v11 offset:1328
	v_add_f64 v[16:17], v[16:17], v[31:32]
	v_add_f64 v[9:10], v[9:10], v[27:28]
	s_waitcnt vmcnt(9) lgkmcnt(1)
	v_mul_f64 v[31:32], v[7:8], v[51:52]
	s_waitcnt vmcnt(8)
	v_fma_f64 v[12:13], v[12:13], v[69:70], -v[33:34]
	v_mul_f64 v[27:28], v[5:6], v[51:52]
	v_fma_f64 v[14:15], v[14:15], v[69:70], v[18:19]
	v_add_f64 v[16:17], v[16:17], v[35:36]
	v_add_f64 v[9:10], v[9:10], v[29:30]
	s_waitcnt vmcnt(7) lgkmcnt(0)
	v_mul_f64 v[29:30], v[3:4], v[146:147]
	v_mul_f64 v[18:19], v[1:2], v[146:147]
	s_waitcnt vmcnt(5)
	v_fma_f64 v[5:6], v[5:6], v[55:56], -v[31:32]
	v_fma_f64 v[7:8], v[7:8], v[55:56], v[27:28]
	v_add_f64 v[12:13], v[16:17], v[12:13]
	v_add_f64 v[9:10], v[9:10], v[14:15]
	s_waitcnt vmcnt(4)
	v_fma_f64 v[1:2], v[1:2], v[150:151], -v[29:30]
	v_fma_f64 v[3:4], v[3:4], v[150:151], v[18:19]
	v_add_f64 v[5:6], v[12:13], v[5:6]
	v_add_f64 v[7:8], v[9:10], v[7:8]
	;; [unrolled: 1-line block ×4, first 2 shown]
	s_waitcnt vmcnt(2)
	v_add_f64 v[1:2], v[59:60], -v[1:2]
	s_waitcnt vmcnt(0)
	v_add_f64 v[3:4], v[71:72], -v[3:4]
	buffer_store_dword v2, off, s[0:3], 0 offset:212
	buffer_store_dword v1, off, s[0:3], 0 offset:208
	;; [unrolled: 1-line block ×4, first 2 shown]
	v_cmpx_lt_u32_e32 11, v0
	s_cbranch_execz .LBB41_243
; %bb.242:
	v_mov_b32_e32 v4, s42
	s_clause 0x3
	buffer_load_dword v1, v4, s[0:3], 0 offen
	buffer_load_dword v2, v4, s[0:3], 0 offen offset:4
	buffer_load_dword v3, v4, s[0:3], 0 offen offset:8
	;; [unrolled: 1-line block ×3, first 2 shown]
	buffer_store_dword v11, off, s[0:3], 0 offset:192
	buffer_store_dword v11, off, s[0:3], 0 offset:196
	buffer_store_dword v11, off, s[0:3], 0 offset:200
	buffer_store_dword v11, off, s[0:3], 0 offset:204
	s_waitcnt vmcnt(0)
	ds_write_b128 v145, v[1:4]
.LBB41_243:
	s_or_b32 exec_lo, exec_lo, s4
	s_waitcnt lgkmcnt(0)
	s_waitcnt_vscnt null, 0x0
	s_barrier
	buffer_gl0_inv
	s_clause 0x37
	buffer_load_dword v9, off, s[0:3], 0 offset:216
	buffer_load_dword v10, off, s[0:3], 0 offset:220
	;; [unrolled: 1-line block ×56, first 2 shown]
	ds_read_b128 v[12:15], v11 offset:864
	s_clause 0x2
	buffer_load_dword v155, off, s[0:3], 0 offset:444
	buffer_load_dword v159, off, s[0:3], 0 offset:420
	;; [unrolled: 1-line block ×3, first 2 shown]
	ds_read_b128 v[16:19], v11 offset:880
	s_clause 0x4
	buffer_load_dword v163, off, s[0:3], 0 offset:460
	buffer_load_dword v164, off, s[0:3], 0 offset:472
	;; [unrolled: 1-line block ×5, first 2 shown]
	ds_read_b128 v[27:30], v11 offset:896
	s_clause 0x2
	buffer_load_dword v165, off, s[0:3], 0 offset:476
	buffer_load_dword v170, off, s[0:3], 0 offset:452
	;; [unrolled: 1-line block ×3, first 2 shown]
	s_mov_b32 s4, exec_lo
	s_waitcnt vmcnt(62) lgkmcnt(2)
	v_mul_f64 v[160:161], v[14:15], v[9:10]
	v_mul_f64 v[9:10], v[12:13], v[9:10]
	s_waitcnt lgkmcnt(1)
	v_mul_f64 v[167:168], v[18:19], v[5:6]
	s_waitcnt vmcnt(59) lgkmcnt(0)
	v_mul_f64 v[171:172], v[29:30], v[3:4]
	v_fma_f64 v[12:13], v[12:13], v[7:8], -v[160:161]
	v_mul_f64 v[160:161], v[16:17], v[5:6]
	v_fma_f64 v[9:10], v[14:15], v[7:8], v[9:10]
	s_waitcnt vmcnt(57)
	v_fma_f64 v[16:17], v[16:17], v[1:2], -v[167:168]
	ds_read_b128 v[5:8], v11 offset:912
	v_mul_f64 v[14:15], v[27:28], v[3:4]
	s_waitcnt vmcnt(51)
	v_fma_f64 v[27:28], v[27:28], v[37:38], -v[171:172]
	v_add_f64 v[12:13], v[12:13], 0
	v_fma_f64 v[18:19], v[18:19], v[1:2], v[160:161]
	v_add_f64 v[9:10], v[9:10], 0
	s_clause 0x4
	buffer_load_dword v161, off, s[0:3], 0 offset:492
	buffer_load_dword v173, off, s[0:3], 0 offset:504
	;; [unrolled: 1-line block ×5, first 2 shown]
	s_waitcnt lgkmcnt(0)
	v_mul_f64 v[176:177], v[5:6], v[31:32]
	v_mul_f64 v[31:32], v[7:8], v[31:32]
	ds_read_b128 v[1:4], v11 offset:928
	v_fma_f64 v[29:30], v[29:30], v[37:38], v[14:15]
	v_add_f64 v[16:17], v[12:13], v[16:17]
	v_add_f64 v[9:10], v[9:10], v[18:19]
	s_clause 0x2
	buffer_load_dword v174, off, s[0:3], 0 offset:508
	buffer_load_dword v19, off, s[0:3], 0 offset:484
	;; [unrolled: 1-line block ×3, first 2 shown]
	s_waitcnt vmcnt(58) lgkmcnt(0)
	v_mul_f64 v[37:38], v[1:2], v[33:34]
	v_mul_f64 v[33:34], v[3:4], v[33:34]
	s_waitcnt vmcnt(56)
	v_fma_f64 v[31:32], v[5:6], v[39:40], -v[31:32]
	ds_read_b128 v[12:15], v11 offset:944
	v_add_f64 v[16:17], v[16:17], v[27:28]
	v_fma_f64 v[27:28], v[7:8], v[39:40], v[176:177]
	v_add_f64 v[9:10], v[9:10], v[29:30]
	s_clause 0x4
	buffer_load_dword v30, off, s[0:3], 0 offset:524
	buffer_load_dword v39, off, s[0:3], 0 offset:536
	;; [unrolled: 1-line block ×5, first 2 shown]
	ds_read_b128 v[5:8], v11 offset:960
	s_waitcnt vmcnt(57) lgkmcnt(1)
	v_mul_f64 v[177:178], v[12:13], v[43:44]
	v_mul_f64 v[43:44], v[14:15], v[43:44]
	s_waitcnt vmcnt(56)
	v_fma_f64 v[33:34], v[1:2], v[35:36], -v[33:34]
	v_add_f64 v[16:17], v[16:17], v[31:32]
	v_fma_f64 v[31:32], v[3:4], v[35:36], v[37:38]
	v_add_f64 v[9:10], v[9:10], v[27:28]
	s_clause 0x2
	buffer_load_dword v40, off, s[0:3], 0 offset:540
	buffer_load_dword v28, off, s[0:3], 0 offset:516
	;; [unrolled: 1-line block ×3, first 2 shown]
	s_waitcnt vmcnt(58) lgkmcnt(0)
	v_mul_f64 v[37:38], v[7:8], v[45:46]
	ds_read_b128 v[1:4], v11 offset:976
	s_waitcnt vmcnt(56)
	v_fma_f64 v[43:44], v[12:13], v[49:50], -v[43:44]
	v_mul_f64 v[35:36], v[5:6], v[45:46]
	v_add_f64 v[16:17], v[16:17], v[33:34]
	v_fma_f64 v[33:34], v[14:15], v[49:50], v[177:178]
	v_add_f64 v[9:10], v[9:10], v[31:32]
	s_clause 0x4
	buffer_load_dword v32, off, s[0:3], 0 offset:556
	buffer_load_dword v45, off, s[0:3], 0 offset:568
	buffer_load_dword v49, off, s[0:3], 0 offset:560
	buffer_load_dword v31, off, s[0:3], 0 offset:552
	buffer_load_dword v172, off, s[0:3], 0 offset:532
	s_waitcnt vmcnt(57) lgkmcnt(0)
	v_mul_f64 v[177:178], v[1:2], v[51:52]
	v_mul_f64 v[50:51], v[3:4], v[51:52]
	s_waitcnt vmcnt(56)
	v_fma_f64 v[37:38], v[5:6], v[47:48], -v[37:38]
	ds_read_b128 v[12:15], v11 offset:992
	v_fma_f64 v[35:36], v[7:8], v[47:48], v[35:36]
	v_add_f64 v[16:17], v[16:17], v[43:44]
	v_add_f64 v[9:10], v[9:10], v[33:34]
	s_clause 0x2
	buffer_load_dword v46, off, s[0:3], 0 offset:572
	buffer_load_dword v34, off, s[0:3], 0 offset:548
	buffer_load_dword v33, off, s[0:3], 0 offset:544
	ds_read_b128 v[5:8], v11 offset:1008
	s_waitcnt vmcnt(58) lgkmcnt(1)
	v_mul_f64 v[47:48], v[14:15], v[53:54]
	s_waitcnt vmcnt(56)
	v_fma_f64 v[51:52], v[1:2], v[57:58], -v[50:51]
	v_mul_f64 v[43:44], v[12:13], v[53:54]
	v_add_f64 v[16:17], v[16:17], v[37:38]
	v_fma_f64 v[37:38], v[3:4], v[57:58], v[177:178]
	v_add_f64 v[9:10], v[9:10], v[35:36]
	s_clause 0x4
	buffer_load_dword v36, off, s[0:3], 0 offset:588
	buffer_load_dword v53, off, s[0:3], 0 offset:600
	buffer_load_dword v57, off, s[0:3], 0 offset:592
	buffer_load_dword v35, off, s[0:3], 0 offset:584
	buffer_load_dword v50, off, s[0:3], 0 offset:564
	s_waitcnt vmcnt(57) lgkmcnt(0)
	v_mul_f64 v[177:178], v[5:6], v[59:60]
	v_mul_f64 v[58:59], v[7:8], v[59:60]
	s_waitcnt vmcnt(56)
	v_fma_f64 v[47:48], v[12:13], v[55:56], -v[47:48]
	ds_read_b128 v[1:4], v11 offset:1024
	v_fma_f64 v[43:44], v[14:15], v[55:56], v[43:44]
	v_add_f64 v[16:17], v[16:17], v[51:52]
	v_add_f64 v[9:10], v[9:10], v[37:38]
	s_clause 0x2
	buffer_load_dword v54, off, s[0:3], 0 offset:604
	buffer_load_dword v38, off, s[0:3], 0 offset:580
	buffer_load_dword v37, off, s[0:3], 0 offset:576
	ds_read_b128 v[12:15], v11 offset:1040
	s_waitcnt vmcnt(58) lgkmcnt(1)
	v_mul_f64 v[55:56], v[3:4], v[65:66]
	;; [unrolled: 28-line block ×4, first 2 shown]
	s_waitcnt vmcnt(56)
	v_fma_f64 v[152:153], v[1:2], v[158:159], -v[151:152]
	v_mul_f64 v[71:72], v[12:13], v[154:155]
	v_add_f64 v[16:17], v[16:17], v[67:68]
	v_fma_f64 v[67:68], v[3:4], v[158:159], v[177:178]
	v_add_f64 v[9:10], v[9:10], v[59:60]
	s_clause 0x2
	buffer_load_dword v60, off, s[0:3], 0 offset:684
	buffer_load_dword v59, off, s[0:3], 0 offset:680
	;; [unrolled: 1-line block ×3, first 2 shown]
	s_waitcnt vmcnt(55) lgkmcnt(0)
	v_mul_f64 v[158:159], v[7:8], v[162:163]
	s_waitcnt vmcnt(54)
	v_fma_f64 v[148:149], v[12:13], v[156:157], -v[148:149]
	ds_read_b128 v[1:4], v11 offset:1120
	v_mul_f64 v[154:155], v[5:6], v[162:163]
	v_fma_f64 v[71:72], v[14:15], v[156:157], v[71:72]
	v_add_f64 v[16:17], v[16:17], v[152:153]
	v_add_f64 v[9:10], v[9:10], v[67:68]
	s_clause 0x1
	buffer_load_dword v68, off, s[0:3], 0 offset:676
	buffer_load_dword v67, off, s[0:3], 0 offset:672
	s_waitcnt vmcnt(55) lgkmcnt(0)
	v_mul_f64 v[156:157], v[3:4], v[164:165]
	s_waitcnt vmcnt(53)
	v_fma_f64 v[158:159], v[5:6], v[169:170], -v[158:159]
	ds_read_b128 v[12:15], v11 offset:1136
	v_mul_f64 v[152:153], v[1:2], v[164:165]
	v_add_f64 v[16:17], v[16:17], v[148:149]
	v_fma_f64 v[148:149], v[7:8], v[169:170], v[154:155]
	v_add_f64 v[9:10], v[9:10], v[71:72]
	ds_read_b128 v[5:8], v11 offset:1152
	s_waitcnt vmcnt(49) lgkmcnt(1)
	v_mul_f64 v[154:155], v[14:15], v[160:161]
	s_waitcnt vmcnt(48)
	v_fma_f64 v[156:157], v[1:2], v[166:167], -v[156:157]
	v_mul_f64 v[71:72], v[12:13], v[160:161]
	v_fma_f64 v[152:153], v[3:4], v[166:167], v[152:153]
	v_add_f64 v[16:17], v[16:17], v[158:159]
	v_add_f64 v[9:10], v[9:10], v[148:149]
	s_clause 0x3
	buffer_load_dword v148, off, s[0:3], 0 offset:192
	buffer_load_dword v149, off, s[0:3], 0 offset:196
	;; [unrolled: 1-line block ×4, first 2 shown]
	ds_read_b128 v[1:4], v11 offset:1168
	s_waitcnt vmcnt(51) lgkmcnt(1)
	v_mul_f64 v[162:163], v[7:8], v[173:174]
	v_mul_f64 v[160:161], v[5:6], v[173:174]
	s_waitcnt vmcnt(49)
	v_fma_f64 v[154:155], v[12:13], v[18:19], -v[154:155]
	v_fma_f64 v[18:19], v[14:15], v[18:19], v[71:72]
	ds_read_b128 v[12:15], v11 offset:1184
	v_add_f64 v[16:17], v[16:17], v[156:157]
	v_add_f64 v[9:10], v[9:10], v[152:153]
	s_waitcnt vmcnt(45) lgkmcnt(1)
	v_mul_f64 v[71:72], v[1:2], v[29:30]
	v_mul_f64 v[29:30], v[3:4], v[29:30]
	s_waitcnt vmcnt(44)
	v_fma_f64 v[152:153], v[5:6], v[175:176], -v[162:163]
	v_add_f64 v[16:17], v[16:17], v[154:155]
	v_fma_f64 v[154:155], v[7:8], v[175:176], v[160:161]
	v_add_f64 v[9:10], v[9:10], v[18:19]
	ds_read_b128 v[5:8], v11 offset:1200
	s_waitcnt vmcnt(43) lgkmcnt(1)
	v_mul_f64 v[18:19], v[12:13], v[39:40]
	v_mul_f64 v[39:40], v[14:15], v[39:40]
	s_waitcnt vmcnt(41)
	v_fma_f64 v[29:30], v[1:2], v[27:28], -v[29:30]
	v_fma_f64 v[27:28], v[3:4], v[27:28], v[71:72]
	ds_read_b128 v[1:4], v11 offset:1216
	v_add_f64 v[16:17], v[16:17], v[152:153]
	v_add_f64 v[9:10], v[9:10], v[154:155]
	s_waitcnt vmcnt(37) lgkmcnt(1)
	v_mul_f64 v[71:72], v[5:6], v[31:32]
	v_mul_f64 v[31:32], v[7:8], v[31:32]
	s_waitcnt vmcnt(36)
	v_fma_f64 v[39:40], v[12:13], v[171:172], -v[39:40]
	v_fma_f64 v[18:19], v[14:15], v[171:172], v[18:19]
	ds_read_b128 v[12:15], v11 offset:1232
	v_add_f64 v[16:17], v[16:17], v[29:30]
	v_add_f64 v[9:10], v[9:10], v[27:28]
	;; [unrolled: 9-line block ×5, first 2 shown]
	s_waitcnt vmcnt(21) lgkmcnt(1)
	v_mul_f64 v[29:30], v[3:4], v[43:44]
	s_waitcnt vmcnt(20)
	v_fma_f64 v[33:34], v[5:6], v[57:58], -v[33:34]
	v_mul_f64 v[27:28], v[1:2], v[43:44]
	v_fma_f64 v[31:32], v[7:8], v[57:58], v[31:32]
	ds_read_b128 v[5:8], v11 offset:1296
	v_add_f64 v[16:17], v[16:17], v[35:36]
	v_add_f64 v[9:10], v[9:10], v[18:19]
	s_waitcnt vmcnt(19) lgkmcnt(1)
	v_mul_f64 v[35:36], v[14:15], v[65:66]
	v_mul_f64 v[18:19], v[12:13], v[65:66]
	s_waitcnt vmcnt(17)
	v_fma_f64 v[29:30], v[1:2], v[47:48], -v[29:30]
	v_fma_f64 v[27:28], v[3:4], v[47:48], v[27:28]
	ds_read_b128 v[1:4], v11 offset:1312
	v_add_f64 v[16:17], v[16:17], v[33:34]
	v_add_f64 v[9:10], v[9:10], v[31:32]
	s_waitcnt vmcnt(13) lgkmcnt(1)
	v_mul_f64 v[33:34], v[7:8], v[51:52]
	s_waitcnt vmcnt(12)
	v_fma_f64 v[35:36], v[12:13], v[69:70], -v[35:36]
	v_mul_f64 v[31:32], v[5:6], v[51:52]
	v_fma_f64 v[13:14], v[14:15], v[69:70], v[18:19]
	v_add_f64 v[16:17], v[16:17], v[29:30]
	v_add_f64 v[18:19], v[9:10], v[27:28]
	ds_read_b128 v[9:12], v11 offset:1328
	s_waitcnt vmcnt(11) lgkmcnt(1)
	v_mul_f64 v[29:30], v[3:4], v[146:147]
	v_mul_f64 v[27:28], v[1:2], v[146:147]
	s_waitcnt vmcnt(9)
	v_fma_f64 v[5:6], v[5:6], v[55:56], -v[33:34]
	v_fma_f64 v[7:8], v[7:8], v[55:56], v[31:32]
	v_add_f64 v[15:16], v[16:17], v[35:36]
	v_add_f64 v[13:14], v[18:19], v[13:14]
	s_waitcnt vmcnt(7) lgkmcnt(0)
	v_mul_f64 v[19:20], v[11:12], v[59:60]
	s_waitcnt vmcnt(6)
	v_fma_f64 v[1:2], v[1:2], v[150:151], -v[29:30]
	v_mul_f64 v[17:18], v[9:10], v[59:60]
	v_fma_f64 v[3:4], v[3:4], v[150:151], v[27:28]
	v_add_f64 v[5:6], v[15:16], v[5:6]
	v_add_f64 v[7:8], v[13:14], v[7:8]
	s_waitcnt vmcnt(4)
	v_fma_f64 v[9:10], v[9:10], v[67:68], -v[19:20]
	v_add_f64 v[1:2], v[5:6], v[1:2]
	v_fma_f64 v[5:6], v[11:12], v[67:68], v[17:18]
	v_add_f64 v[3:4], v[7:8], v[3:4]
	v_add_f64 v[1:2], v[1:2], v[9:10]
	;; [unrolled: 1-line block ×3, first 2 shown]
	s_waitcnt vmcnt(2)
	v_add_f64 v[1:2], v[148:149], -v[1:2]
	s_waitcnt vmcnt(0)
	v_add_f64 v[3:4], v[158:159], -v[3:4]
	buffer_store_dword v2, off, s[0:3], 0 offset:196
	buffer_store_dword v1, off, s[0:3], 0 offset:192
	;; [unrolled: 1-line block ×4, first 2 shown]
	v_cmpx_lt_u32_e32 10, v0
	s_cbranch_execz .LBB41_245
; %bb.244:
	v_mov_b32_e32 v4, s44
	v_mov_b32_e32 v5, 0
	s_clause 0x3
	buffer_load_dword v1, v4, s[0:3], 0 offen
	buffer_load_dword v2, v4, s[0:3], 0 offen offset:4
	buffer_load_dword v3, v4, s[0:3], 0 offen offset:8
	;; [unrolled: 1-line block ×3, first 2 shown]
	buffer_store_dword v5, off, s[0:3], 0 offset:176
	buffer_store_dword v5, off, s[0:3], 0 offset:180
	;; [unrolled: 1-line block ×4, first 2 shown]
	s_waitcnt vmcnt(0)
	ds_write_b128 v145, v[1:4]
.LBB41_245:
	s_or_b32 exec_lo, exec_lo, s4
	s_waitcnt lgkmcnt(0)
	s_waitcnt_vscnt null, 0x0
	s_barrier
	buffer_gl0_inv
	s_clause 0x37
	buffer_load_dword v9, off, s[0:3], 0 offset:200
	buffer_load_dword v10, off, s[0:3], 0 offset:204
	;; [unrolled: 1-line block ×56, first 2 shown]
	v_mov_b32_e32 v35, 0
	s_mov_b32 s4, exec_lo
	ds_read_b128 v[17:20], v35 offset:848
	s_clause 0x2
	buffer_load_dword v155, off, s[0:3], 0 offset:428
	buffer_load_dword v159, off, s[0:3], 0 offset:404
	;; [unrolled: 1-line block ×3, first 2 shown]
	ds_read_b128 v[27:30], v35 offset:864
	s_clause 0x4
	buffer_load_dword v163, off, s[0:3], 0 offset:444
	buffer_load_dword v164, off, s[0:3], 0 offset:456
	;; [unrolled: 1-line block ×5, first 2 shown]
	ds_read_b128 v[31:34], v35 offset:880
	s_clause 0x2
	buffer_load_dword v165, off, s[0:3], 0 offset:460
	buffer_load_dword v170, off, s[0:3], 0 offset:436
	;; [unrolled: 1-line block ×3, first 2 shown]
	s_waitcnt vmcnt(62) lgkmcnt(2)
	v_mul_f64 v[160:161], v[19:20], v[9:10]
	v_mul_f64 v[9:10], v[17:18], v[9:10]
	s_waitcnt lgkmcnt(1)
	v_mul_f64 v[167:168], v[29:30], v[5:6]
	s_waitcnt vmcnt(59) lgkmcnt(0)
	v_mul_f64 v[171:172], v[33:34], v[3:4]
	v_fma_f64 v[17:18], v[17:18], v[7:8], -v[160:161]
	v_mul_f64 v[160:161], v[27:28], v[5:6]
	v_fma_f64 v[9:10], v[19:20], v[7:8], v[9:10]
	s_waitcnt vmcnt(57)
	v_fma_f64 v[27:28], v[27:28], v[1:2], -v[167:168]
	ds_read_b128 v[5:8], v35 offset:896
	v_mul_f64 v[19:20], v[31:32], v[3:4]
	s_waitcnt vmcnt(51)
	v_fma_f64 v[31:32], v[31:32], v[38:39], -v[171:172]
	v_add_f64 v[17:18], v[17:18], 0
	v_fma_f64 v[29:30], v[29:30], v[1:2], v[160:161]
	v_add_f64 v[9:10], v[9:10], 0
	s_clause 0x4
	buffer_load_dword v161, off, s[0:3], 0 offset:476
	buffer_load_dword v173, off, s[0:3], 0 offset:488
	;; [unrolled: 1-line block ×5, first 2 shown]
	s_waitcnt lgkmcnt(0)
	v_mul_f64 v[176:177], v[5:6], v[13:14]
	v_mul_f64 v[13:14], v[7:8], v[13:14]
	ds_read_b128 v[1:4], v35 offset:912
	v_fma_f64 v[33:34], v[33:34], v[38:39], v[19:20]
	v_add_f64 v[27:28], v[17:18], v[27:28]
	v_add_f64 v[9:10], v[9:10], v[29:30]
	s_clause 0x2
	buffer_load_dword v174, off, s[0:3], 0 offset:492
	buffer_load_dword v30, off, s[0:3], 0 offset:468
	;; [unrolled: 1-line block ×3, first 2 shown]
	s_waitcnt vmcnt(58) lgkmcnt(0)
	v_mul_f64 v[38:39], v[1:2], v[36:37]
	v_mul_f64 v[36:37], v[3:4], v[36:37]
	s_waitcnt vmcnt(56)
	v_fma_f64 v[13:14], v[5:6], v[43:44], -v[13:14]
	ds_read_b128 v[17:20], v35 offset:928
	v_add_f64 v[27:28], v[27:28], v[31:32]
	v_fma_f64 v[31:32], v[7:8], v[43:44], v[176:177]
	v_add_f64 v[9:10], v[9:10], v[33:34]
	s_clause 0x4
	buffer_load_dword v34, off, s[0:3], 0 offset:508
	buffer_load_dword v43, off, s[0:3], 0 offset:520
	;; [unrolled: 1-line block ×5, first 2 shown]
	ds_read_b128 v[5:8], v35 offset:944
	s_waitcnt vmcnt(57) lgkmcnt(1)
	v_mul_f64 v[177:178], v[17:18], v[45:46]
	v_mul_f64 v[45:46], v[19:20], v[45:46]
	s_waitcnt vmcnt(56)
	v_fma_f64 v[36:37], v[1:2], v[11:12], -v[36:37]
	v_fma_f64 v[11:12], v[3:4], v[11:12], v[38:39]
	v_add_f64 v[13:14], v[27:28], v[13:14]
	s_clause 0x2
	buffer_load_dword v44, off, s[0:3], 0 offset:524
	buffer_load_dword v28, off, s[0:3], 0 offset:500
	buffer_load_dword v27, off, s[0:3], 0 offset:496
	v_add_f64 v[9:10], v[9:10], v[31:32]
	s_waitcnt vmcnt(58) lgkmcnt(0)
	v_mul_f64 v[38:39], v[7:8], v[47:48]
	ds_read_b128 v[1:4], v35 offset:960
	v_mul_f64 v[31:32], v[5:6], v[47:48]
	s_waitcnt vmcnt(56)
	v_fma_f64 v[17:18], v[17:18], v[49:50], -v[45:46]
	v_fma_f64 v[19:20], v[19:20], v[49:50], v[177:178]
	s_clause 0x4
	buffer_load_dword v46, off, s[0:3], 0 offset:540
	buffer_load_dword v47, off, s[0:3], 0 offset:552
	;; [unrolled: 1-line block ×5, first 2 shown]
	v_add_f64 v[13:14], v[13:14], v[36:37]
	v_add_f64 v[36:37], v[9:10], v[11:12]
	s_waitcnt vmcnt(57) lgkmcnt(0)
	v_mul_f64 v[177:178], v[1:2], v[51:52]
	v_mul_f64 v[50:51], v[3:4], v[51:52]
	s_waitcnt vmcnt(56)
	v_fma_f64 v[38:39], v[5:6], v[15:16], -v[38:39]
	ds_read_b128 v[9:12], v35 offset:976
	v_fma_f64 v[15:16], v[7:8], v[15:16], v[31:32]
	v_add_f64 v[13:14], v[13:14], v[17:18]
	v_add_f64 v[17:18], v[36:37], v[19:20]
	s_clause 0x2
	buffer_load_dword v48, off, s[0:3], 0 offset:556
	buffer_load_dword v20, off, s[0:3], 0 offset:532
	;; [unrolled: 1-line block ×3, first 2 shown]
	s_waitcnt vmcnt(58) lgkmcnt(0)
	v_mul_f64 v[36:37], v[11:12], v[53:54]
	s_waitcnt vmcnt(56)
	v_fma_f64 v[51:52], v[1:2], v[57:58], -v[50:51]
	ds_read_b128 v[5:8], v35 offset:992
	v_mul_f64 v[31:32], v[9:10], v[53:54]
	v_add_f64 v[13:14], v[13:14], v[38:39]
	v_fma_f64 v[38:39], v[3:4], v[57:58], v[177:178]
	v_add_f64 v[15:16], v[17:18], v[15:16]
	s_clause 0x4
	buffer_load_dword v18, off, s[0:3], 0 offset:572
	buffer_load_dword v53, off, s[0:3], 0 offset:584
	buffer_load_dword v57, off, s[0:3], 0 offset:576
	buffer_load_dword v17, off, s[0:3], 0 offset:568
	buffer_load_dword v50, off, s[0:3], 0 offset:548
	s_waitcnt vmcnt(57) lgkmcnt(0)
	v_mul_f64 v[177:178], v[5:6], v[59:60]
	v_mul_f64 v[58:59], v[7:8], v[59:60]
	s_waitcnt vmcnt(56)
	v_fma_f64 v[36:37], v[9:10], v[55:56], -v[36:37]
	ds_read_b128 v[1:4], v35 offset:1008
	v_fma_f64 v[31:32], v[11:12], v[55:56], v[31:32]
	v_add_f64 v[13:14], v[13:14], v[51:52]
	v_add_f64 v[15:16], v[15:16], v[38:39]
	s_clause 0x2
	buffer_load_dword v54, off, s[0:3], 0 offset:588
	buffer_load_dword v39, off, s[0:3], 0 offset:564
	buffer_load_dword v38, off, s[0:3], 0 offset:560
	ds_read_b128 v[9:12], v35 offset:1024
	s_waitcnt vmcnt(58) lgkmcnt(1)
	v_mul_f64 v[55:56], v[3:4], v[65:66]
	s_waitcnt vmcnt(56)
	v_fma_f64 v[59:60], v[5:6], v[69:70], -v[58:59]
	v_mul_f64 v[51:52], v[1:2], v[65:66]
	v_add_f64 v[13:14], v[13:14], v[36:37]
	v_fma_f64 v[36:37], v[7:8], v[69:70], v[177:178]
	v_add_f64 v[15:16], v[15:16], v[31:32]
	s_clause 0x4
	buffer_load_dword v32, off, s[0:3], 0 offset:604
	buffer_load_dword v65, off, s[0:3], 0 offset:616
	buffer_load_dword v69, off, s[0:3], 0 offset:608
	buffer_load_dword v31, off, s[0:3], 0 offset:600
	buffer_load_dword v58, off, s[0:3], 0 offset:580
	s_waitcnt vmcnt(57) lgkmcnt(0)
	v_mul_f64 v[177:178], v[9:10], v[71:72]
	v_mul_f64 v[70:71], v[11:12], v[71:72]
	s_waitcnt vmcnt(56)
	v_fma_f64 v[55:56], v[1:2], v[67:68], -v[55:56]
	ds_read_b128 v[5:8], v35 offset:1040
	v_fma_f64 v[51:52], v[3:4], v[67:68], v[51:52]
	v_add_f64 v[13:14], v[13:14], v[59:60]
	v_add_f64 v[15:16], v[15:16], v[36:37]
	s_clause 0x2
	buffer_load_dword v66, off, s[0:3], 0 offset:620
	buffer_load_dword v37, off, s[0:3], 0 offset:596
	buffer_load_dword v36, off, s[0:3], 0 offset:592
	ds_read_b128 v[1:4], v35 offset:1056
	s_waitcnt vmcnt(58) lgkmcnt(1)
	v_mul_f64 v[67:68], v[7:8], v[146:147]
	s_waitcnt vmcnt(56)
	v_fma_f64 v[71:72], v[9:10], v[150:151], -v[70:71]
	;; [unrolled: 28-line block ×4, first 2 shown]
	v_mul_f64 v[152:153], v[1:2], v[164:165]
	buffer_load_dword v159, off, s[0:3], 0 offset:676
	v_add_f64 v[13:14], v[13:14], v[148:149]
	v_fma_f64 v[148:149], v[7:8], v[169:170], v[177:178]
	v_add_f64 v[15:16], v[15:16], v[71:72]
	ds_read_b128 v[5:8], v35 offset:1136
	s_waitcnt vmcnt(53) lgkmcnt(1)
	v_mul_f64 v[71:72], v[9:10], v[160:161]
	v_mul_f64 v[160:161], v[11:12], v[160:161]
	s_waitcnt vmcnt(52)
	v_fma_f64 v[156:157], v[1:2], v[166:167], -v[156:157]
	v_fma_f64 v[152:153], v[3:4], v[166:167], v[152:153]
	ds_read_b128 v[1:4], v35 offset:1152
	v_add_f64 v[13:14], v[13:14], v[162:163]
	v_add_f64 v[15:16], v[15:16], v[148:149]
	s_waitcnt vmcnt(51) lgkmcnt(1)
	v_mul_f64 v[162:163], v[7:8], v[173:174]
	v_mul_f64 v[148:149], v[5:6], v[173:174]
	s_waitcnt vmcnt(49)
	v_fma_f64 v[160:161], v[9:10], v[29:30], -v[160:161]
	v_fma_f64 v[29:30], v[11:12], v[29:30], v[71:72]
	v_add_f64 v[13:14], v[13:14], v[156:157]
	v_add_f64 v[15:16], v[15:16], v[152:153]
	s_clause 0x3
	buffer_load_dword v71, off, s[0:3], 0 offset:176
	buffer_load_dword v72, off, s[0:3], 0 offset:180
	;; [unrolled: 1-line block ×4, first 2 shown]
	ds_read_b128 v[9:12], v35 offset:1168
	s_waitcnt vmcnt(49) lgkmcnt(1)
	v_mul_f64 v[156:157], v[1:2], v[33:34]
	v_mul_f64 v[33:34], v[3:4], v[33:34]
	s_waitcnt vmcnt(48)
	v_fma_f64 v[162:163], v[5:6], v[175:176], -v[162:163]
	v_fma_f64 v[148:149], v[7:8], v[175:176], v[148:149]
	ds_read_b128 v[5:8], v35 offset:1184
	v_add_f64 v[13:14], v[13:14], v[160:161]
	v_add_f64 v[15:16], v[15:16], v[29:30]
	s_waitcnt vmcnt(47) lgkmcnt(1)
	v_mul_f64 v[29:30], v[9:10], v[43:44]
	v_mul_f64 v[43:44], v[11:12], v[43:44]
	s_waitcnt vmcnt(45)
	v_fma_f64 v[33:34], v[1:2], v[27:28], -v[33:34]
	v_fma_f64 v[27:28], v[3:4], v[27:28], v[156:157]
	ds_read_b128 v[1:4], v35 offset:1200
	v_add_f64 v[13:14], v[13:14], v[162:163]
	v_add_f64 v[15:16], v[15:16], v[148:149]
	s_waitcnt vmcnt(41) lgkmcnt(1)
	v_mul_f64 v[148:149], v[5:6], v[45:46]
	v_mul_f64 v[45:46], v[7:8], v[45:46]
	s_waitcnt vmcnt(40)
	v_fma_f64 v[29:30], v[11:12], v[171:172], v[29:30]
	v_fma_f64 v[43:44], v[9:10], v[171:172], -v[43:44]
	ds_read_b128 v[9:12], v35 offset:1216
	v_add_f64 v[13:14], v[13:14], v[33:34]
	v_add_f64 v[15:16], v[15:16], v[27:28]
	s_waitcnt vmcnt(39) lgkmcnt(1)
	v_mul_f64 v[33:34], v[3:4], v[47:48]
	v_mul_f64 v[27:28], v[1:2], v[47:48]
	s_waitcnt vmcnt(37)
	v_fma_f64 v[45:46], v[5:6], v[19:20], -v[45:46]
	v_fma_f64 v[19:20], v[7:8], v[19:20], v[148:149]
	ds_read_b128 v[5:8], v35 offset:1232
	v_add_f64 v[13:14], v[13:14], v[43:44]
	v_add_f64 v[15:16], v[15:16], v[29:30]
	s_waitcnt vmcnt(33) lgkmcnt(1)
	v_mul_f64 v[29:30], v[9:10], v[17:18]
	v_mul_f64 v[17:18], v[11:12], v[17:18]
	s_waitcnt vmcnt(32)
	v_fma_f64 v[33:34], v[1:2], v[49:50], -v[33:34]
	v_fma_f64 v[27:28], v[3:4], v[49:50], v[27:28]
	;; [unrolled: 9-line block ×3, first 2 shown]
	ds_read_b128 v[9:12], v35 offset:1264
	v_add_f64 v[13:14], v[13:14], v[33:34]
	v_add_f64 v[15:16], v[15:16], v[27:28]
	s_waitcnt vmcnt(25) lgkmcnt(1)
	v_mul_f64 v[27:28], v[1:2], v[31:32]
	v_mul_f64 v[31:32], v[3:4], v[31:32]
	s_waitcnt vmcnt(24)
	v_fma_f64 v[33:34], v[5:6], v[57:58], -v[43:44]
	v_add_f64 v[13:14], v[13:14], v[17:18]
	v_fma_f64 v[17:18], v[7:8], v[57:58], v[19:20]
	v_add_f64 v[15:16], v[15:16], v[29:30]
	ds_read_b128 v[5:8], v35 offset:1280
	s_waitcnt vmcnt(23) lgkmcnt(1)
	v_mul_f64 v[29:30], v[11:12], v[65:66]
	v_mul_f64 v[19:20], v[9:10], v[65:66]
	s_waitcnt vmcnt(21)
	v_fma_f64 v[31:32], v[1:2], v[36:37], -v[31:32]
	v_fma_f64 v[27:28], v[3:4], v[36:37], v[27:28]
	ds_read_b128 v[1:4], v35 offset:1296
	v_add_f64 v[13:14], v[13:14], v[33:34]
	v_add_f64 v[15:16], v[15:16], v[17:18]
	s_waitcnt vmcnt(17) lgkmcnt(1)
	v_mul_f64 v[33:34], v[7:8], v[51:52]
	s_waitcnt vmcnt(16)
	v_fma_f64 v[29:30], v[9:10], v[69:70], -v[29:30]
	v_mul_f64 v[17:18], v[5:6], v[51:52]
	v_fma_f64 v[19:20], v[11:12], v[69:70], v[19:20]
	ds_read_b128 v[9:12], v35 offset:1312
	v_add_f64 v[13:14], v[13:14], v[31:32]
	v_add_f64 v[15:16], v[15:16], v[27:28]
	s_waitcnt vmcnt(15) lgkmcnt(1)
	v_mul_f64 v[31:32], v[3:4], v[146:147]
	v_mul_f64 v[27:28], v[1:2], v[146:147]
	s_waitcnt vmcnt(13)
	v_fma_f64 v[33:34], v[5:6], v[55:56], -v[33:34]
	v_fma_f64 v[17:18], v[7:8], v[55:56], v[17:18]
	ds_read_b128 v[5:8], v35 offset:1328
	v_add_f64 v[13:14], v[13:14], v[29:30]
	v_add_f64 v[15:16], v[15:16], v[19:20]
	s_waitcnt vmcnt(9) lgkmcnt(1)
	v_mul_f64 v[29:30], v[11:12], v[59:60]
	s_waitcnt vmcnt(8)
	v_fma_f64 v[1:2], v[1:2], v[150:151], -v[31:32]
	v_mul_f64 v[19:20], v[9:10], v[59:60]
	v_fma_f64 v[3:4], v[3:4], v[150:151], v[27:28]
	v_add_f64 v[13:14], v[13:14], v[33:34]
	v_add_f64 v[15:16], v[15:16], v[17:18]
	s_waitcnt vmcnt(7) lgkmcnt(0)
	v_mul_f64 v[27:28], v[7:8], v[154:155]
	v_mul_f64 v[17:18], v[5:6], v[154:155]
	s_waitcnt vmcnt(5)
	v_fma_f64 v[9:10], v[9:10], v[67:68], -v[29:30]
	v_fma_f64 v[11:12], v[11:12], v[67:68], v[19:20]
	v_add_f64 v[1:2], v[13:14], v[1:2]
	v_add_f64 v[3:4], v[15:16], v[3:4]
	s_waitcnt vmcnt(4)
	v_fma_f64 v[5:6], v[5:6], v[158:159], -v[27:28]
	v_fma_f64 v[7:8], v[7:8], v[158:159], v[17:18]
	v_add_f64 v[1:2], v[1:2], v[9:10]
	v_add_f64 v[3:4], v[3:4], v[11:12]
	v_add_f64 v[1:2], v[1:2], v[5:6]
	v_add_f64 v[3:4], v[3:4], v[7:8]
	s_waitcnt vmcnt(2)
	v_add_f64 v[1:2], v[71:72], -v[1:2]
	s_waitcnt vmcnt(0)
	v_add_f64 v[3:4], v[152:153], -v[3:4]
	buffer_store_dword v2, off, s[0:3], 0 offset:180
	buffer_store_dword v1, off, s[0:3], 0 offset:176
	;; [unrolled: 1-line block ×4, first 2 shown]
	v_cmpx_lt_u32_e32 9, v0
	s_cbranch_execz .LBB41_247
; %bb.246:
	v_mov_b32_e32 v4, s45
	s_clause 0x3
	buffer_load_dword v1, v4, s[0:3], 0 offen
	buffer_load_dword v2, v4, s[0:3], 0 offen offset:4
	buffer_load_dword v3, v4, s[0:3], 0 offen offset:8
	;; [unrolled: 1-line block ×3, first 2 shown]
	buffer_store_dword v35, off, s[0:3], 0 offset:160
	buffer_store_dword v35, off, s[0:3], 0 offset:164
	buffer_store_dword v35, off, s[0:3], 0 offset:168
	buffer_store_dword v35, off, s[0:3], 0 offset:172
	s_waitcnt vmcnt(0)
	ds_write_b128 v145, v[1:4]
.LBB41_247:
	s_or_b32 exec_lo, exec_lo, s4
	s_waitcnt lgkmcnt(0)
	s_waitcnt_vscnt null, 0x0
	s_barrier
	buffer_gl0_inv
	s_clause 0x37
	buffer_load_dword v9, off, s[0:3], 0 offset:184
	buffer_load_dword v10, off, s[0:3], 0 offset:188
	;; [unrolled: 1-line block ×56, first 2 shown]
	ds_read_b128 v[36:39], v35 offset:832
	s_clause 0x2
	buffer_load_dword v155, off, s[0:3], 0 offset:412
	buffer_load_dword v159, off, s[0:3], 0 offset:388
	;; [unrolled: 1-line block ×3, first 2 shown]
	ds_read_b128 v[43:46], v35 offset:848
	s_clause 0x4
	buffer_load_dword v163, off, s[0:3], 0 offset:428
	buffer_load_dword v164, off, s[0:3], 0 offset:440
	;; [unrolled: 1-line block ×5, first 2 shown]
	ds_read_b128 v[47:50], v35 offset:864
	s_clause 0x2
	buffer_load_dword v165, off, s[0:3], 0 offset:444
	buffer_load_dword v170, off, s[0:3], 0 offset:420
	;; [unrolled: 1-line block ×3, first 2 shown]
	s_mov_b32 s4, exec_lo
	s_waitcnt vmcnt(62) lgkmcnt(2)
	v_mul_f64 v[160:161], v[38:39], v[9:10]
	v_mul_f64 v[9:10], v[36:37], v[9:10]
	s_waitcnt lgkmcnt(1)
	v_mul_f64 v[167:168], v[45:46], v[5:6]
	s_waitcnt vmcnt(59) lgkmcnt(0)
	v_mul_f64 v[171:172], v[49:50], v[3:4]
	v_fma_f64 v[36:37], v[36:37], v[7:8], -v[160:161]
	v_mul_f64 v[160:161], v[43:44], v[5:6]
	v_fma_f64 v[9:10], v[38:39], v[7:8], v[9:10]
	s_waitcnt vmcnt(57)
	v_fma_f64 v[43:44], v[43:44], v[1:2], -v[167:168]
	ds_read_b128 v[5:8], v35 offset:880
	v_mul_f64 v[38:39], v[47:48], v[3:4]
	s_waitcnt vmcnt(51)
	v_fma_f64 v[47:48], v[47:48], v[31:32], -v[171:172]
	v_add_f64 v[36:37], v[36:37], 0
	v_fma_f64 v[45:46], v[45:46], v[1:2], v[160:161]
	v_add_f64 v[9:10], v[9:10], 0
	s_clause 0x4
	buffer_load_dword v161, off, s[0:3], 0 offset:460
	buffer_load_dword v173, off, s[0:3], 0 offset:472
	;; [unrolled: 1-line block ×5, first 2 shown]
	s_waitcnt lgkmcnt(0)
	v_mul_f64 v[176:177], v[5:6], v[13:14]
	v_mul_f64 v[13:14], v[7:8], v[13:14]
	ds_read_b128 v[1:4], v35 offset:896
	v_fma_f64 v[31:32], v[49:50], v[31:32], v[38:39]
	v_add_f64 v[43:44], v[36:37], v[43:44]
	v_add_f64 v[9:10], v[9:10], v[45:46]
	s_clause 0x2
	buffer_load_dword v174, off, s[0:3], 0 offset:476
	buffer_load_dword v46, off, s[0:3], 0 offset:452
	;; [unrolled: 1-line block ×3, first 2 shown]
	s_waitcnt vmcnt(58) lgkmcnt(0)
	v_mul_f64 v[49:50], v[1:2], v[17:18]
	v_mul_f64 v[17:18], v[3:4], v[17:18]
	s_waitcnt vmcnt(56)
	v_fma_f64 v[13:14], v[5:6], v[19:20], -v[13:14]
	ds_read_b128 v[36:39], v35 offset:912
	v_fma_f64 v[19:20], v[7:8], v[19:20], v[176:177]
	v_add_f64 v[43:44], v[43:44], v[47:48]
	v_add_f64 v[9:10], v[9:10], v[31:32]
	s_clause 0x4
	buffer_load_dword v32, off, s[0:3], 0 offset:492
	buffer_load_dword v47, off, s[0:3], 0 offset:504
	;; [unrolled: 1-line block ×5, first 2 shown]
	ds_read_b128 v[5:8], v35 offset:928
	s_waitcnt vmcnt(57) lgkmcnt(1)
	v_mul_f64 v[177:178], v[36:37], v[27:28]
	v_mul_f64 v[27:28], v[38:39], v[27:28]
	s_waitcnt vmcnt(56)
	v_fma_f64 v[17:18], v[1:2], v[11:12], -v[17:18]
	v_fma_f64 v[11:12], v[3:4], v[11:12], v[49:50]
	v_add_f64 v[13:14], v[43:44], v[13:14]
	v_add_f64 v[9:10], v[9:10], v[19:20]
	s_clause 0x2
	buffer_load_dword v48, off, s[0:3], 0 offset:508
	buffer_load_dword v20, off, s[0:3], 0 offset:484
	;; [unrolled: 1-line block ×3, first 2 shown]
	s_waitcnt vmcnt(58) lgkmcnt(0)
	v_mul_f64 v[43:44], v[5:6], v[33:34]
	v_mul_f64 v[33:34], v[7:8], v[33:34]
	s_waitcnt vmcnt(56)
	v_fma_f64 v[27:28], v[36:37], v[51:52], -v[27:28]
	ds_read_b128 v[1:4], v35 offset:944
	v_add_f64 v[13:14], v[13:14], v[17:18]
	v_fma_f64 v[17:18], v[38:39], v[51:52], v[177:178]
	v_add_f64 v[36:37], v[9:10], v[11:12]
	s_clause 0x4
	buffer_load_dword v39, off, s[0:3], 0 offset:524
	buffer_load_dword v49, off, s[0:3], 0 offset:536
	;; [unrolled: 1-line block ×5, first 2 shown]
	ds_read_b128 v[9:12], v35 offset:960
	s_waitcnt vmcnt(57) lgkmcnt(1)
	v_mul_f64 v[177:178], v[1:2], v[53:54]
	v_mul_f64 v[52:53], v[3:4], v[53:54]
	s_waitcnt vmcnt(56)
	v_fma_f64 v[33:34], v[5:6], v[15:16], -v[33:34]
	v_fma_f64 v[15:16], v[7:8], v[15:16], v[43:44]
	v_add_f64 v[13:14], v[13:14], v[27:28]
	s_clause 0x2
	buffer_load_dword v50, off, s[0:3], 0 offset:540
	buffer_load_dword v28, off, s[0:3], 0 offset:516
	;; [unrolled: 1-line block ×3, first 2 shown]
	v_add_f64 v[17:18], v[36:37], v[17:18]
	s_waitcnt vmcnt(58) lgkmcnt(0)
	v_mul_f64 v[43:44], v[11:12], v[55:56]
	ds_read_b128 v[5:8], v35 offset:976
	v_mul_f64 v[36:37], v[9:10], v[55:56]
	s_waitcnt vmcnt(56)
	v_fma_f64 v[53:54], v[1:2], v[57:58], -v[52:53]
	v_add_f64 v[13:14], v[13:14], v[33:34]
	v_fma_f64 v[33:34], v[3:4], v[57:58], v[177:178]
	v_add_f64 v[15:16], v[17:18], v[15:16]
	s_clause 0x4
	buffer_load_dword v18, off, s[0:3], 0 offset:556
	buffer_load_dword v55, off, s[0:3], 0 offset:568
	buffer_load_dword v57, off, s[0:3], 0 offset:560
	buffer_load_dword v17, off, s[0:3], 0 offset:552
	buffer_load_dword v52, off, s[0:3], 0 offset:532
	s_waitcnt vmcnt(57) lgkmcnt(0)
	v_mul_f64 v[177:178], v[5:6], v[59:60]
	v_mul_f64 v[58:59], v[7:8], v[59:60]
	s_waitcnt vmcnt(56)
	v_fma_f64 v[43:44], v[9:10], v[29:30], -v[43:44]
	ds_read_b128 v[1:4], v35 offset:992
	v_fma_f64 v[29:30], v[11:12], v[29:30], v[36:37]
	v_add_f64 v[13:14], v[13:14], v[53:54]
	v_add_f64 v[15:16], v[15:16], v[33:34]
	s_clause 0x2
	buffer_load_dword v56, off, s[0:3], 0 offset:572
	buffer_load_dword v34, off, s[0:3], 0 offset:548
	buffer_load_dword v33, off, s[0:3], 0 offset:544
	ds_read_b128 v[9:12], v35 offset:1008
	s_waitcnt vmcnt(58) lgkmcnt(1)
	v_mul_f64 v[53:54], v[3:4], v[65:66]
	s_waitcnt vmcnt(56)
	v_fma_f64 v[59:60], v[5:6], v[69:70], -v[58:59]
	v_mul_f64 v[36:37], v[1:2], v[65:66]
	v_add_f64 v[13:14], v[13:14], v[43:44]
	v_fma_f64 v[43:44], v[7:8], v[69:70], v[177:178]
	v_add_f64 v[15:16], v[15:16], v[29:30]
	s_clause 0x4
	buffer_load_dword v30, off, s[0:3], 0 offset:588
	buffer_load_dword v65, off, s[0:3], 0 offset:600
	buffer_load_dword v69, off, s[0:3], 0 offset:592
	buffer_load_dword v29, off, s[0:3], 0 offset:584
	buffer_load_dword v58, off, s[0:3], 0 offset:564
	s_waitcnt vmcnt(57) lgkmcnt(0)
	v_mul_f64 v[177:178], v[9:10], v[71:72]
	v_mul_f64 v[70:71], v[11:12], v[71:72]
	s_waitcnt vmcnt(56)
	v_fma_f64 v[53:54], v[1:2], v[67:68], -v[53:54]
	ds_read_b128 v[5:8], v35 offset:1024
	v_fma_f64 v[36:37], v[3:4], v[67:68], v[36:37]
	v_add_f64 v[13:14], v[13:14], v[59:60]
	v_add_f64 v[15:16], v[15:16], v[43:44]
	s_clause 0x2
	buffer_load_dword v66, off, s[0:3], 0 offset:604
	buffer_load_dword v44, off, s[0:3], 0 offset:580
	buffer_load_dword v43, off, s[0:3], 0 offset:576
	ds_read_b128 v[1:4], v35 offset:1040
	s_waitcnt vmcnt(58) lgkmcnt(1)
	v_mul_f64 v[67:68], v[7:8], v[146:147]
	s_waitcnt vmcnt(56)
	v_fma_f64 v[71:72], v[9:10], v[150:151], -v[70:71]
	v_mul_f64 v[59:60], v[5:6], v[146:147]
	;; [unrolled: 28-line block ×4, first 2 shown]
	v_add_f64 v[13:14], v[13:14], v[148:149]
	v_fma_f64 v[148:149], v[7:8], v[169:170], v[177:178]
	v_add_f64 v[15:16], v[15:16], v[71:72]
	s_clause 0x2
	buffer_load_dword v72, off, s[0:3], 0 offset:684
	buffer_load_dword v71, off, s[0:3], 0 offset:680
	;; [unrolled: 1-line block ×3, first 2 shown]
	ds_read_b128 v[5:8], v35 offset:1120
	s_waitcnt vmcnt(55) lgkmcnt(1)
	v_mul_f64 v[164:165], v[9:10], v[160:161]
	v_mul_f64 v[160:161], v[11:12], v[160:161]
	s_waitcnt vmcnt(54)
	v_fma_f64 v[156:157], v[1:2], v[166:167], -v[156:157]
	v_fma_f64 v[152:153], v[3:4], v[166:167], v[152:153]
	v_add_f64 v[13:14], v[13:14], v[162:163]
	v_add_f64 v[15:16], v[15:16], v[148:149]
	s_clause 0x1
	buffer_load_dword v149, off, s[0:3], 0 offset:676
	buffer_load_dword v148, off, s[0:3], 0 offset:672
	ds_read_b128 v[1:4], v35 offset:1136
	s_waitcnt vmcnt(55) lgkmcnt(1)
	v_mul_f64 v[166:167], v[7:8], v[173:174]
	v_mul_f64 v[162:163], v[5:6], v[173:174]
	s_waitcnt vmcnt(53)
	v_fma_f64 v[160:161], v[9:10], v[45:46], -v[160:161]
	v_fma_f64 v[45:46], v[11:12], v[45:46], v[164:165]
	ds_read_b128 v[9:12], v35 offset:1152
	v_add_f64 v[13:14], v[13:14], v[156:157]
	v_add_f64 v[15:16], v[15:16], v[152:153]
	s_waitcnt vmcnt(49) lgkmcnt(1)
	v_mul_f64 v[152:153], v[1:2], v[31:32]
	v_mul_f64 v[31:32], v[3:4], v[31:32]
	s_waitcnt vmcnt(48)
	v_fma_f64 v[156:157], v[5:6], v[175:176], -v[166:167]
	v_add_f64 v[13:14], v[13:14], v[160:161]
	v_fma_f64 v[160:161], v[7:8], v[175:176], v[162:163]
	v_add_f64 v[15:16], v[15:16], v[45:46]
	s_clause 0x3
	buffer_load_dword v45, off, s[0:3], 0 offset:160
	buffer_load_dword v46, off, s[0:3], 0 offset:164
	;; [unrolled: 1-line block ×4, first 2 shown]
	ds_read_b128 v[5:8], v35 offset:1168
	s_waitcnt vmcnt(51) lgkmcnt(1)
	v_mul_f64 v[164:165], v[9:10], v[47:48]
	v_mul_f64 v[47:48], v[11:12], v[47:48]
	s_waitcnt vmcnt(49)
	v_fma_f64 v[31:32], v[1:2], v[19:20], -v[31:32]
	v_fma_f64 v[19:20], v[3:4], v[19:20], v[152:153]
	ds_read_b128 v[1:4], v35 offset:1184
	v_add_f64 v[13:14], v[13:14], v[156:157]
	v_add_f64 v[15:16], v[15:16], v[160:161]
	s_waitcnt vmcnt(45) lgkmcnt(1)
	v_mul_f64 v[152:153], v[5:6], v[38:39]
	v_mul_f64 v[38:39], v[7:8], v[38:39]
	s_waitcnt vmcnt(44)
	v_fma_f64 v[47:48], v[9:10], v[171:172], -v[47:48]
	v_add_f64 v[13:14], v[13:14], v[31:32]
	v_fma_f64 v[31:32], v[11:12], v[171:172], v[164:165]
	v_add_f64 v[15:16], v[15:16], v[19:20]
	ds_read_b128 v[9:12], v35 offset:1200
	s_waitcnt vmcnt(43) lgkmcnt(1)
	v_mul_f64 v[19:20], v[1:2], v[49:50]
	v_mul_f64 v[49:50], v[3:4], v[49:50]
	s_waitcnt vmcnt(41)
	v_fma_f64 v[38:39], v[5:6], v[27:28], -v[38:39]
	v_fma_f64 v[27:28], v[7:8], v[27:28], v[152:153]
	ds_read_b128 v[5:8], v35 offset:1216
	v_add_f64 v[13:14], v[13:14], v[47:48]
	v_add_f64 v[15:16], v[15:16], v[31:32]
	s_waitcnt vmcnt(37) lgkmcnt(1)
	v_mul_f64 v[31:32], v[9:10], v[17:18]
	v_mul_f64 v[17:18], v[11:12], v[17:18]
	s_waitcnt vmcnt(36)
	v_fma_f64 v[47:48], v[1:2], v[51:52], -v[49:50]
	v_fma_f64 v[19:20], v[3:4], v[51:52], v[19:20]
	ds_read_b128 v[1:4], v35 offset:1232
	v_add_f64 v[13:14], v[13:14], v[38:39]
	v_add_f64 v[15:16], v[15:16], v[27:28]
	;; [unrolled: 9-line block ×3, first 2 shown]
	s_waitcnt vmcnt(29) lgkmcnt(1)
	v_mul_f64 v[19:20], v[1:2], v[29:30]
	v_mul_f64 v[29:30], v[3:4], v[29:30]
	s_waitcnt vmcnt(28)
	v_fma_f64 v[33:34], v[5:6], v[57:58], -v[38:39]
	v_add_f64 v[13:14], v[13:14], v[17:18]
	v_fma_f64 v[17:18], v[7:8], v[57:58], v[27:28]
	v_add_f64 v[15:16], v[15:16], v[31:32]
	ds_read_b128 v[5:8], v35 offset:1264
	s_waitcnt vmcnt(27) lgkmcnt(1)
	v_mul_f64 v[31:32], v[11:12], v[65:66]
	v_mul_f64 v[27:28], v[9:10], v[65:66]
	s_waitcnt vmcnt(25)
	v_fma_f64 v[29:30], v[1:2], v[43:44], -v[29:30]
	v_fma_f64 v[19:20], v[3:4], v[43:44], v[19:20]
	ds_read_b128 v[1:4], v35 offset:1280
	v_add_f64 v[13:14], v[13:14], v[33:34]
	v_add_f64 v[15:16], v[15:16], v[17:18]
	s_waitcnt vmcnt(21) lgkmcnt(1)
	v_mul_f64 v[33:34], v[7:8], v[36:37]
	s_waitcnt vmcnt(20)
	v_fma_f64 v[31:32], v[9:10], v[69:70], -v[31:32]
	v_mul_f64 v[17:18], v[5:6], v[36:37]
	v_fma_f64 v[27:28], v[11:12], v[69:70], v[27:28]
	ds_read_b128 v[9:12], v35 offset:1296
	v_add_f64 v[13:14], v[13:14], v[29:30]
	v_add_f64 v[15:16], v[15:16], v[19:20]
	s_waitcnt vmcnt(19) lgkmcnt(1)
	v_mul_f64 v[29:30], v[3:4], v[146:147]
	v_mul_f64 v[19:20], v[1:2], v[146:147]
	s_waitcnt vmcnt(17)
	v_fma_f64 v[33:34], v[5:6], v[53:54], -v[33:34]
	v_fma_f64 v[17:18], v[7:8], v[53:54], v[17:18]
	ds_read_b128 v[5:8], v35 offset:1312
	v_add_f64 v[13:14], v[13:14], v[31:32]
	v_add_f64 v[15:16], v[15:16], v[27:28]
	s_waitcnt vmcnt(13) lgkmcnt(1)
	v_mul_f64 v[31:32], v[11:12], v[59:60]
	s_waitcnt vmcnt(12)
	v_fma_f64 v[29:30], v[1:2], v[150:151], -v[29:30]
	v_mul_f64 v[27:28], v[9:10], v[59:60]
	v_fma_f64 v[19:20], v[3:4], v[150:151], v[19:20]
	ds_read_b128 v[1:4], v35 offset:1328
	v_add_f64 v[13:14], v[13:14], v[33:34]
	v_add_f64 v[15:16], v[15:16], v[17:18]
	s_waitcnt vmcnt(11) lgkmcnt(1)
	v_mul_f64 v[33:34], v[7:8], v[154:155]
	v_mul_f64 v[17:18], v[5:6], v[154:155]
	s_waitcnt vmcnt(9)
	v_fma_f64 v[9:10], v[9:10], v[67:68], -v[31:32]
	v_fma_f64 v[11:12], v[11:12], v[67:68], v[27:28]
	v_add_f64 v[13:14], v[13:14], v[29:30]
	v_add_f64 v[15:16], v[15:16], v[19:20]
	s_waitcnt vmcnt(7) lgkmcnt(0)
	v_mul_f64 v[27:28], v[3:4], v[71:72]
	s_waitcnt vmcnt(6)
	v_fma_f64 v[5:6], v[5:6], v[158:159], -v[33:34]
	v_mul_f64 v[19:20], v[1:2], v[71:72]
	v_fma_f64 v[7:8], v[7:8], v[158:159], v[17:18]
	v_add_f64 v[9:10], v[13:14], v[9:10]
	v_add_f64 v[11:12], v[15:16], v[11:12]
	s_waitcnt vmcnt(4)
	v_fma_f64 v[1:2], v[1:2], v[148:149], -v[27:28]
	v_fma_f64 v[3:4], v[3:4], v[148:149], v[19:20]
	v_add_f64 v[5:6], v[9:10], v[5:6]
	v_add_f64 v[7:8], v[11:12], v[7:8]
	;; [unrolled: 1-line block ×4, first 2 shown]
	s_waitcnt vmcnt(2)
	v_add_f64 v[1:2], v[45:46], -v[1:2]
	s_waitcnt vmcnt(0)
	v_add_f64 v[3:4], v[162:163], -v[3:4]
	buffer_store_dword v2, off, s[0:3], 0 offset:164
	buffer_store_dword v1, off, s[0:3], 0 offset:160
	;; [unrolled: 1-line block ×4, first 2 shown]
	v_cmpx_lt_u32_e32 8, v0
	s_cbranch_execz .LBB41_249
; %bb.248:
	v_mov_b32_e32 v4, s46
	v_mov_b32_e32 v5, 0
	s_clause 0x3
	buffer_load_dword v1, v4, s[0:3], 0 offen
	buffer_load_dword v2, v4, s[0:3], 0 offen offset:4
	buffer_load_dword v3, v4, s[0:3], 0 offen offset:8
	buffer_load_dword v4, v4, s[0:3], 0 offen offset:12
	buffer_store_dword v5, off, s[0:3], 0 offset:144
	buffer_store_dword v5, off, s[0:3], 0 offset:148
	;; [unrolled: 1-line block ×4, first 2 shown]
	s_waitcnt vmcnt(0)
	ds_write_b128 v145, v[1:4]
.LBB41_249:
	s_or_b32 exec_lo, exec_lo, s4
	s_waitcnt lgkmcnt(0)
	s_waitcnt_vscnt null, 0x0
	s_barrier
	buffer_gl0_inv
	s_clause 0x37
	buffer_load_dword v9, off, s[0:3], 0 offset:168
	buffer_load_dword v10, off, s[0:3], 0 offset:172
	;; [unrolled: 1-line block ×56, first 2 shown]
	v_mov_b32_e32 v59, 0
	s_mov_b32 s4, exec_lo
	ds_read_b128 v[47:50], v59 offset:816
	s_clause 0x2
	buffer_load_dword v155, off, s[0:3], 0 offset:396
	buffer_load_dword v159, off, s[0:3], 0 offset:372
	;; [unrolled: 1-line block ×3, first 2 shown]
	ds_read_b128 v[51:54], v59 offset:832
	s_clause 0x4
	buffer_load_dword v163, off, s[0:3], 0 offset:412
	buffer_load_dword v164, off, s[0:3], 0 offset:424
	;; [unrolled: 1-line block ×5, first 2 shown]
	ds_read_b128 v[55:58], v59 offset:848
	s_clause 0x2
	buffer_load_dword v165, off, s[0:3], 0 offset:428
	buffer_load_dword v170, off, s[0:3], 0 offset:404
	;; [unrolled: 1-line block ×3, first 2 shown]
	s_waitcnt vmcnt(62) lgkmcnt(2)
	v_mul_f64 v[160:161], v[49:50], v[9:10]
	v_mul_f64 v[9:10], v[47:48], v[9:10]
	s_waitcnt lgkmcnt(1)
	v_mul_f64 v[167:168], v[53:54], v[5:6]
	s_waitcnt vmcnt(59) lgkmcnt(0)
	v_mul_f64 v[171:172], v[57:58], v[3:4]
	v_fma_f64 v[47:48], v[47:48], v[7:8], -v[160:161]
	v_mul_f64 v[160:161], v[51:52], v[5:6]
	v_fma_f64 v[9:10], v[49:50], v[7:8], v[9:10]
	s_waitcnt vmcnt(57)
	v_fma_f64 v[51:52], v[51:52], v[1:2], -v[167:168]
	ds_read_b128 v[5:8], v59 offset:864
	v_mul_f64 v[49:50], v[55:56], v[3:4]
	s_waitcnt vmcnt(51)
	v_fma_f64 v[55:56], v[55:56], v[31:32], -v[171:172]
	v_add_f64 v[47:48], v[47:48], 0
	v_fma_f64 v[53:54], v[53:54], v[1:2], v[160:161]
	v_add_f64 v[9:10], v[9:10], 0
	s_clause 0x4
	buffer_load_dword v161, off, s[0:3], 0 offset:444
	buffer_load_dword v173, off, s[0:3], 0 offset:456
	;; [unrolled: 1-line block ×5, first 2 shown]
	s_waitcnt lgkmcnt(0)
	v_mul_f64 v[176:177], v[5:6], v[13:14]
	v_mul_f64 v[13:14], v[7:8], v[13:14]
	ds_read_b128 v[1:4], v59 offset:880
	v_fma_f64 v[31:32], v[57:58], v[31:32], v[49:50]
	v_add_f64 v[51:52], v[47:48], v[51:52]
	v_add_f64 v[9:10], v[9:10], v[53:54]
	s_clause 0x2
	buffer_load_dword v174, off, s[0:3], 0 offset:460
	buffer_load_dword v54, off, s[0:3], 0 offset:436
	buffer_load_dword v53, off, s[0:3], 0 offset:432
	s_waitcnt vmcnt(58) lgkmcnt(0)
	v_mul_f64 v[57:58], v[1:2], v[17:18]
	v_mul_f64 v[17:18], v[3:4], v[17:18]
	s_waitcnt vmcnt(56)
	v_fma_f64 v[13:14], v[5:6], v[19:20], -v[13:14]
	ds_read_b128 v[47:50], v59 offset:896
	v_fma_f64 v[19:20], v[7:8], v[19:20], v[176:177]
	v_add_f64 v[51:52], v[51:52], v[55:56]
	v_add_f64 v[9:10], v[9:10], v[31:32]
	s_clause 0x4
	buffer_load_dword v32, off, s[0:3], 0 offset:476
	buffer_load_dword v55, off, s[0:3], 0 offset:488
	;; [unrolled: 1-line block ×5, first 2 shown]
	ds_read_b128 v[5:8], v59 offset:912
	s_waitcnt vmcnt(57) lgkmcnt(1)
	v_mul_f64 v[177:178], v[47:48], v[27:28]
	v_mul_f64 v[27:28], v[49:50], v[27:28]
	s_waitcnt vmcnt(56)
	v_fma_f64 v[17:18], v[1:2], v[11:12], -v[17:18]
	v_fma_f64 v[11:12], v[3:4], v[11:12], v[57:58]
	v_add_f64 v[13:14], v[51:52], v[13:14]
	v_add_f64 v[9:10], v[9:10], v[19:20]
	s_clause 0x2
	buffer_load_dword v56, off, s[0:3], 0 offset:492
	buffer_load_dword v20, off, s[0:3], 0 offset:468
	;; [unrolled: 1-line block ×3, first 2 shown]
	s_waitcnt vmcnt(58) lgkmcnt(0)
	v_mul_f64 v[51:52], v[5:6], v[33:34]
	v_mul_f64 v[33:34], v[7:8], v[33:34]
	s_waitcnt vmcnt(56)
	v_fma_f64 v[27:28], v[47:48], v[35:36], -v[27:28]
	ds_read_b128 v[1:4], v59 offset:928
	v_add_f64 v[13:14], v[13:14], v[17:18]
	v_fma_f64 v[17:18], v[49:50], v[35:36], v[177:178]
	v_add_f64 v[35:36], v[9:10], v[11:12]
	s_clause 0x4
	buffer_load_dword v48, off, s[0:3], 0 offset:508
	buffer_load_dword v49, off, s[0:3], 0 offset:520
	;; [unrolled: 1-line block ×5, first 2 shown]
	ds_read_b128 v[9:12], v59 offset:944
	s_waitcnt vmcnt(57) lgkmcnt(1)
	v_mul_f64 v[177:178], v[1:2], v[37:38]
	v_mul_f64 v[37:38], v[3:4], v[37:38]
	s_waitcnt vmcnt(56)
	v_fma_f64 v[33:34], v[5:6], v[15:16], -v[33:34]
	v_fma_f64 v[15:16], v[7:8], v[15:16], v[51:52]
	v_add_f64 v[13:14], v[13:14], v[27:28]
	s_clause 0x2
	buffer_load_dword v50, off, s[0:3], 0 offset:524
	buffer_load_dword v28, off, s[0:3], 0 offset:500
	;; [unrolled: 1-line block ×3, first 2 shown]
	v_add_f64 v[17:18], v[35:36], v[17:18]
	s_waitcnt vmcnt(58) lgkmcnt(0)
	v_mul_f64 v[35:36], v[9:10], v[43:44]
	v_mul_f64 v[43:44], v[11:12], v[43:44]
	ds_read_b128 v[5:8], v59 offset:960
	s_waitcnt vmcnt(56)
	v_fma_f64 v[37:38], v[1:2], v[45:46], -v[37:38]
	v_add_f64 v[13:14], v[13:14], v[33:34]
	v_fma_f64 v[33:34], v[3:4], v[45:46], v[177:178]
	v_add_f64 v[15:16], v[17:18], v[15:16]
	s_clause 0x4
	buffer_load_dword v18, off, s[0:3], 0 offset:540
	buffer_load_dword v45, off, s[0:3], 0 offset:552
	;; [unrolled: 1-line block ×5, first 2 shown]
	s_waitcnt vmcnt(57) lgkmcnt(0)
	v_mul_f64 v[177:178], v[5:6], v[65:66]
	v_mul_f64 v[65:66], v[7:8], v[65:66]
	s_waitcnt vmcnt(56)
	v_fma_f64 v[43:44], v[9:10], v[29:30], -v[43:44]
	ds_read_b128 v[1:4], v59 offset:976
	v_fma_f64 v[29:30], v[11:12], v[29:30], v[35:36]
	v_add_f64 v[13:14], v[13:14], v[37:38]
	v_add_f64 v[15:16], v[15:16], v[33:34]
	s_clause 0x2
	buffer_load_dword v46, off, s[0:3], 0 offset:556
	buffer_load_dword v34, off, s[0:3], 0 offset:532
	;; [unrolled: 1-line block ×3, first 2 shown]
	ds_read_b128 v[9:12], v59 offset:992
	s_waitcnt vmcnt(58) lgkmcnt(1)
	v_mul_f64 v[37:38], v[3:4], v[67:68]
	s_waitcnt vmcnt(56)
	v_fma_f64 v[65:66], v[5:6], v[69:70], -v[65:66]
	v_mul_f64 v[35:36], v[1:2], v[67:68]
	v_add_f64 v[13:14], v[13:14], v[43:44]
	v_fma_f64 v[43:44], v[7:8], v[69:70], v[177:178]
	v_add_f64 v[15:16], v[15:16], v[29:30]
	s_clause 0x4
	buffer_load_dword v30, off, s[0:3], 0 offset:572
	buffer_load_dword v67, off, s[0:3], 0 offset:584
	;; [unrolled: 1-line block ×5, first 2 shown]
	s_waitcnt vmcnt(57) lgkmcnt(0)
	v_mul_f64 v[177:178], v[9:10], v[71:72]
	v_mul_f64 v[70:71], v[11:12], v[71:72]
	s_waitcnt vmcnt(56)
	v_fma_f64 v[37:38], v[1:2], v[39:40], -v[37:38]
	ds_read_b128 v[5:8], v59 offset:1008
	v_fma_f64 v[35:36], v[3:4], v[39:40], v[35:36]
	s_clause 0x2
	buffer_load_dword v68, off, s[0:3], 0 offset:588
	buffer_load_dword v40, off, s[0:3], 0 offset:564
	;; [unrolled: 1-line block ×3, first 2 shown]
	ds_read_b128 v[1:4], v59 offset:1024
	v_add_f64 v[13:14], v[13:14], v[65:66]
	v_add_f64 v[15:16], v[15:16], v[43:44]
	s_waitcnt vmcnt(58) lgkmcnt(1)
	v_mul_f64 v[65:66], v[7:8], v[146:147]
	s_waitcnt vmcnt(56)
	v_fma_f64 v[71:72], v[9:10], v[150:151], -v[70:71]
	v_mul_f64 v[43:44], v[5:6], v[146:147]
	v_add_f64 v[13:14], v[13:14], v[37:38]
	v_fma_f64 v[37:38], v[11:12], v[150:151], v[177:178]
	v_add_f64 v[15:16], v[15:16], v[35:36]
	s_clause 0x4
	buffer_load_dword v36, off, s[0:3], 0 offset:604
	buffer_load_dword v146, off, s[0:3], 0 offset:616
	;; [unrolled: 1-line block ×5, first 2 shown]
	s_waitcnt vmcnt(57) lgkmcnt(0)
	v_mul_f64 v[177:178], v[1:2], v[152:153]
	v_mul_f64 v[151:152], v[3:4], v[152:153]
	s_waitcnt vmcnt(56)
	v_fma_f64 v[65:66], v[5:6], v[148:149], -v[65:66]
	ds_read_b128 v[9:12], v59 offset:1040
	v_fma_f64 v[43:44], v[7:8], v[148:149], v[43:44]
	v_add_f64 v[13:14], v[13:14], v[71:72]
	v_add_f64 v[15:16], v[15:16], v[37:38]
	s_clause 0x2
	buffer_load_dword v147, off, s[0:3], 0 offset:620
	buffer_load_dword v38, off, s[0:3], 0 offset:596
	buffer_load_dword v37, off, s[0:3], 0 offset:592
	ds_read_b128 v[5:8], v59 offset:1056
	s_waitcnt vmcnt(58) lgkmcnt(1)
	v_mul_f64 v[148:149], v[11:12], v[154:155]
	s_waitcnt vmcnt(56)
	v_fma_f64 v[152:153], v[1:2], v[158:159], -v[151:152]
	v_mul_f64 v[71:72], v[9:10], v[154:155]
	v_add_f64 v[13:14], v[13:14], v[65:66]
	v_fma_f64 v[65:66], v[3:4], v[158:159], v[177:178]
	v_add_f64 v[15:16], v[15:16], v[43:44]
	s_clause 0x4
	buffer_load_dword v44, off, s[0:3], 0 offset:636
	buffer_load_dword v154, off, s[0:3], 0 offset:648
	buffer_load_dword v158, off, s[0:3], 0 offset:640
	buffer_load_dword v43, off, s[0:3], 0 offset:632
	buffer_load_dword v151, off, s[0:3], 0 offset:612
	s_waitcnt vmcnt(57) lgkmcnt(0)
	v_mul_f64 v[177:178], v[5:6], v[162:163]
	v_mul_f64 v[162:163], v[7:8], v[162:163]
	s_waitcnt vmcnt(56)
	v_fma_f64 v[148:149], v[9:10], v[156:157], -v[148:149]
	ds_read_b128 v[1:4], v59 offset:1072
	v_fma_f64 v[71:72], v[11:12], v[156:157], v[71:72]
	v_add_f64 v[13:14], v[13:14], v[152:153]
	v_add_f64 v[15:16], v[15:16], v[65:66]
	s_clause 0x2
	buffer_load_dword v155, off, s[0:3], 0 offset:652
	buffer_load_dword v66, off, s[0:3], 0 offset:628
	;; [unrolled: 1-line block ×3, first 2 shown]
	ds_read_b128 v[9:12], v59 offset:1088
	s_waitcnt vmcnt(58) lgkmcnt(1)
	v_mul_f64 v[156:157], v[3:4], v[164:165]
	s_waitcnt vmcnt(56)
	v_fma_f64 v[162:163], v[5:6], v[169:170], -v[162:163]
	v_mul_f64 v[152:153], v[1:2], v[164:165]
	v_add_f64 v[13:14], v[13:14], v[148:149]
	v_fma_f64 v[148:149], v[7:8], v[169:170], v[177:178]
	v_add_f64 v[15:16], v[15:16], v[71:72]
	s_clause 0x4
	buffer_load_dword v72, off, s[0:3], 0 offset:668
	buffer_load_dword v164, off, s[0:3], 0 offset:680
	;; [unrolled: 1-line block ×5, first 2 shown]
	ds_read_b128 v[5:8], v59 offset:1104
	s_waitcnt vmcnt(57) lgkmcnt(1)
	v_mul_f64 v[169:170], v[9:10], v[160:161]
	v_mul_f64 v[160:161], v[11:12], v[160:161]
	s_waitcnt vmcnt(56)
	v_fma_f64 v[156:157], v[1:2], v[166:167], -v[156:157]
	v_fma_f64 v[152:153], v[3:4], v[166:167], v[152:153]
	v_add_f64 v[13:14], v[13:14], v[162:163]
	v_add_f64 v[15:16], v[15:16], v[148:149]
	s_clause 0x2
	buffer_load_dword v165, off, s[0:3], 0 offset:684
	buffer_load_dword v149, off, s[0:3], 0 offset:660
	buffer_load_dword v148, off, s[0:3], 0 offset:656
	ds_read_b128 v[1:4], v59 offset:1120
	s_waitcnt vmcnt(58) lgkmcnt(1)
	v_mul_f64 v[166:167], v[7:8], v[173:174]
	v_mul_f64 v[162:163], v[5:6], v[173:174]
	s_waitcnt vmcnt(56)
	v_fma_f64 v[160:161], v[9:10], v[53:54], -v[160:161]
	v_fma_f64 v[53:54], v[11:12], v[53:54], v[169:170]
	buffer_load_dword v169, off, s[0:3], 0 offset:676
	ds_read_b128 v[9:12], v59 offset:1136
	v_add_f64 v[13:14], v[13:14], v[156:157]
	v_add_f64 v[15:16], v[15:16], v[152:153]
	s_waitcnt vmcnt(53) lgkmcnt(1)
	v_mul_f64 v[152:153], v[1:2], v[31:32]
	v_mul_f64 v[31:32], v[3:4], v[31:32]
	s_waitcnt vmcnt(52)
	v_fma_f64 v[156:157], v[5:6], v[175:176], -v[166:167]
	v_add_f64 v[13:14], v[13:14], v[160:161]
	v_fma_f64 v[160:161], v[7:8], v[175:176], v[162:163]
	v_add_f64 v[15:16], v[15:16], v[53:54]
	ds_read_b128 v[5:8], v59 offset:1152
	s_waitcnt vmcnt(51) lgkmcnt(1)
	v_mul_f64 v[53:54], v[9:10], v[55:56]
	v_mul_f64 v[55:56], v[11:12], v[55:56]
	s_waitcnt vmcnt(49)
	v_fma_f64 v[31:32], v[1:2], v[19:20], -v[31:32]
	v_fma_f64 v[19:20], v[3:4], v[19:20], v[152:153]
	v_add_f64 v[13:14], v[13:14], v[156:157]
	s_clause 0x3
	buffer_load_dword v152, off, s[0:3], 0 offset:144
	buffer_load_dword v153, off, s[0:3], 0 offset:148
	;; [unrolled: 1-line block ×4, first 2 shown]
	v_add_f64 v[15:16], v[15:16], v[160:161]
	ds_read_b128 v[1:4], v59 offset:1168
	s_waitcnt vmcnt(49) lgkmcnt(1)
	v_mul_f64 v[160:161], v[5:6], v[47:48]
	v_mul_f64 v[47:48], v[7:8], v[47:48]
	s_waitcnt vmcnt(48)
	v_fma_f64 v[55:56], v[9:10], v[171:172], -v[55:56]
	v_add_f64 v[13:14], v[13:14], v[31:32]
	v_fma_f64 v[31:32], v[11:12], v[171:172], v[53:54]
	v_add_f64 v[15:16], v[15:16], v[19:20]
	ds_read_b128 v[9:12], v59 offset:1184
	s_waitcnt vmcnt(47) lgkmcnt(1)
	v_mul_f64 v[19:20], v[1:2], v[49:50]
	v_mul_f64 v[49:50], v[3:4], v[49:50]
	s_waitcnt vmcnt(45)
	v_fma_f64 v[47:48], v[5:6], v[27:28], -v[47:48]
	v_fma_f64 v[27:28], v[7:8], v[27:28], v[160:161]
	ds_read_b128 v[5:8], v59 offset:1200
	v_add_f64 v[13:14], v[13:14], v[55:56]
	v_add_f64 v[15:16], v[15:16], v[31:32]
	s_waitcnt vmcnt(41) lgkmcnt(1)
	v_mul_f64 v[31:32], v[9:10], v[17:18]
	v_mul_f64 v[17:18], v[11:12], v[17:18]
	s_waitcnt vmcnt(40)
	v_fma_f64 v[49:50], v[1:2], v[57:58], -v[49:50]
	v_fma_f64 v[19:20], v[3:4], v[57:58], v[19:20]
	ds_read_b128 v[1:4], v59 offset:1216
	v_add_f64 v[13:14], v[13:14], v[47:48]
	v_add_f64 v[15:16], v[15:16], v[27:28]
	;; [unrolled: 9-line block ×3, first 2 shown]
	s_waitcnt vmcnt(33) lgkmcnt(1)
	v_mul_f64 v[19:20], v[1:2], v[29:30]
	v_mul_f64 v[29:30], v[3:4], v[29:30]
	s_waitcnt vmcnt(32)
	v_fma_f64 v[33:34], v[5:6], v[51:52], -v[45:46]
	v_add_f64 v[13:14], v[13:14], v[17:18]
	v_fma_f64 v[17:18], v[7:8], v[51:52], v[27:28]
	v_add_f64 v[15:16], v[15:16], v[31:32]
	ds_read_b128 v[5:8], v59 offset:1248
	s_waitcnt vmcnt(31) lgkmcnt(1)
	v_mul_f64 v[31:32], v[11:12], v[67:68]
	v_mul_f64 v[27:28], v[9:10], v[67:68]
	s_waitcnt vmcnt(29)
	v_fma_f64 v[19:20], v[3:4], v[39:40], v[19:20]
	v_fma_f64 v[29:30], v[1:2], v[39:40], -v[29:30]
	ds_read_b128 v[1:4], v59 offset:1264
	v_add_f64 v[13:14], v[13:14], v[33:34]
	v_add_f64 v[15:16], v[15:16], v[17:18]
	s_waitcnt vmcnt(25) lgkmcnt(1)
	v_mul_f64 v[33:34], v[7:8], v[35:36]
	s_waitcnt vmcnt(24)
	v_fma_f64 v[31:32], v[9:10], v[69:70], -v[31:32]
	v_mul_f64 v[17:18], v[5:6], v[35:36]
	v_fma_f64 v[27:28], v[11:12], v[69:70], v[27:28]
	ds_read_b128 v[9:12], v59 offset:1280
	v_add_f64 v[13:14], v[13:14], v[29:30]
	v_add_f64 v[15:16], v[15:16], v[19:20]
	s_waitcnt vmcnt(23) lgkmcnt(1)
	v_mul_f64 v[29:30], v[3:4], v[146:147]
	v_mul_f64 v[19:20], v[1:2], v[146:147]
	s_waitcnt vmcnt(21)
	v_fma_f64 v[33:34], v[5:6], v[37:38], -v[33:34]
	v_fma_f64 v[17:18], v[7:8], v[37:38], v[17:18]
	ds_read_b128 v[5:8], v59 offset:1296
	v_add_f64 v[13:14], v[13:14], v[31:32]
	v_add_f64 v[15:16], v[15:16], v[27:28]
	s_waitcnt vmcnt(17) lgkmcnt(1)
	v_mul_f64 v[31:32], v[11:12], v[43:44]
	s_waitcnt vmcnt(16)
	v_fma_f64 v[29:30], v[1:2], v[150:151], -v[29:30]
	v_mul_f64 v[27:28], v[9:10], v[43:44]
	v_fma_f64 v[19:20], v[3:4], v[150:151], v[19:20]
	ds_read_b128 v[1:4], v59 offset:1312
	v_add_f64 v[13:14], v[13:14], v[33:34]
	v_add_f64 v[15:16], v[15:16], v[17:18]
	s_waitcnt vmcnt(15) lgkmcnt(1)
	v_mul_f64 v[33:34], v[7:8], v[154:155]
	v_mul_f64 v[17:18], v[5:6], v[154:155]
	s_waitcnt vmcnt(13)
	v_fma_f64 v[31:32], v[9:10], v[65:66], -v[31:32]
	v_fma_f64 v[27:28], v[11:12], v[65:66], v[27:28]
	ds_read_b128 v[9:12], v59 offset:1328
	v_add_f64 v[13:14], v[13:14], v[29:30]
	v_add_f64 v[15:16], v[15:16], v[19:20]
	s_waitcnt vmcnt(9) lgkmcnt(1)
	v_mul_f64 v[29:30], v[3:4], v[71:72]
	s_waitcnt vmcnt(8)
	v_fma_f64 v[5:6], v[5:6], v[158:159], -v[33:34]
	v_mul_f64 v[19:20], v[1:2], v[71:72]
	v_fma_f64 v[7:8], v[7:8], v[158:159], v[17:18]
	v_add_f64 v[13:14], v[13:14], v[31:32]
	v_add_f64 v[15:16], v[15:16], v[27:28]
	s_waitcnt vmcnt(7) lgkmcnt(0)
	v_mul_f64 v[27:28], v[11:12], v[164:165]
	v_mul_f64 v[17:18], v[9:10], v[164:165]
	s_waitcnt vmcnt(5)
	v_fma_f64 v[1:2], v[1:2], v[148:149], -v[29:30]
	v_fma_f64 v[3:4], v[3:4], v[148:149], v[19:20]
	v_add_f64 v[5:6], v[13:14], v[5:6]
	v_add_f64 v[7:8], v[15:16], v[7:8]
	s_waitcnt vmcnt(4)
	v_fma_f64 v[9:10], v[9:10], v[168:169], -v[27:28]
	v_add_f64 v[1:2], v[5:6], v[1:2]
	v_fma_f64 v[5:6], v[11:12], v[168:169], v[17:18]
	v_add_f64 v[3:4], v[7:8], v[3:4]
	v_add_f64 v[1:2], v[1:2], v[9:10]
	;; [unrolled: 1-line block ×3, first 2 shown]
	s_waitcnt vmcnt(2)
	v_add_f64 v[1:2], v[152:153], -v[1:2]
	s_waitcnt vmcnt(0)
	v_add_f64 v[3:4], v[156:157], -v[3:4]
	buffer_store_dword v2, off, s[0:3], 0 offset:148
	buffer_store_dword v1, off, s[0:3], 0 offset:144
	;; [unrolled: 1-line block ×4, first 2 shown]
	v_cmpx_lt_u32_e32 7, v0
	s_cbranch_execz .LBB41_251
; %bb.250:
	v_mov_b32_e32 v4, s47
	s_clause 0x3
	buffer_load_dword v1, v4, s[0:3], 0 offen
	buffer_load_dword v2, v4, s[0:3], 0 offen offset:4
	buffer_load_dword v3, v4, s[0:3], 0 offen offset:8
	;; [unrolled: 1-line block ×3, first 2 shown]
	buffer_store_dword v59, off, s[0:3], 0 offset:128
	buffer_store_dword v59, off, s[0:3], 0 offset:132
	;; [unrolled: 1-line block ×4, first 2 shown]
	s_waitcnt vmcnt(0)
	ds_write_b128 v145, v[1:4]
.LBB41_251:
	s_or_b32 exec_lo, exec_lo, s4
	s_waitcnt lgkmcnt(0)
	s_waitcnt_vscnt null, 0x0
	s_barrier
	buffer_gl0_inv
	s_clause 0x37
	buffer_load_dword v9, off, s[0:3], 0 offset:152
	buffer_load_dword v10, off, s[0:3], 0 offset:156
	;; [unrolled: 1-line block ×56, first 2 shown]
	ds_read_b128 v[65:68], v59 offset:800
	s_clause 0x2
	buffer_load_dword v157, off, s[0:3], 0 offset:380
	buffer_load_dword v159, off, s[0:3], 0 offset:356
	;; [unrolled: 1-line block ×3, first 2 shown]
	ds_read_b128 v[69:72], v59 offset:816
	s_clause 0x4
	buffer_load_dword v163, off, s[0:3], 0 offset:396
	buffer_load_dword v164, off, s[0:3], 0 offset:408
	;; [unrolled: 1-line block ×5, first 2 shown]
	ds_read_b128 v[146:149], v59 offset:832
	s_clause 0x2
	buffer_load_dword v165, off, s[0:3], 0 offset:412
	buffer_load_dword v170, off, s[0:3], 0 offset:388
	;; [unrolled: 1-line block ×3, first 2 shown]
	s_mov_b32 s4, exec_lo
	s_waitcnt vmcnt(62) lgkmcnt(2)
	v_mul_f64 v[160:161], v[67:68], v[9:10]
	v_mul_f64 v[9:10], v[65:66], v[9:10]
	s_waitcnt lgkmcnt(1)
	v_mul_f64 v[167:168], v[71:72], v[5:6]
	s_waitcnt vmcnt(59) lgkmcnt(0)
	v_mul_f64 v[171:172], v[148:149], v[3:4]
	v_fma_f64 v[65:66], v[65:66], v[7:8], -v[160:161]
	v_mul_f64 v[160:161], v[69:70], v[5:6]
	v_fma_f64 v[9:10], v[67:68], v[7:8], v[9:10]
	s_waitcnt vmcnt(57)
	v_fma_f64 v[69:70], v[69:70], v[1:2], -v[167:168]
	ds_read_b128 v[5:8], v59 offset:848
	v_mul_f64 v[67:68], v[146:147], v[3:4]
	s_waitcnt vmcnt(51)
	v_fma_f64 v[146:147], v[146:147], v[31:32], -v[171:172]
	v_add_f64 v[65:66], v[65:66], 0
	v_fma_f64 v[71:72], v[71:72], v[1:2], v[160:161]
	v_add_f64 v[9:10], v[9:10], 0
	s_clause 0x4
	buffer_load_dword v161, off, s[0:3], 0 offset:428
	buffer_load_dword v173, off, s[0:3], 0 offset:440
	;; [unrolled: 1-line block ×5, first 2 shown]
	s_waitcnt lgkmcnt(0)
	v_mul_f64 v[176:177], v[5:6], v[13:14]
	v_mul_f64 v[13:14], v[7:8], v[13:14]
	ds_read_b128 v[1:4], v59 offset:864
	v_fma_f64 v[31:32], v[148:149], v[31:32], v[67:68]
	v_add_f64 v[69:70], v[65:66], v[69:70]
	v_add_f64 v[9:10], v[9:10], v[71:72]
	s_clause 0x2
	buffer_load_dword v174, off, s[0:3], 0 offset:444
	buffer_load_dword v72, off, s[0:3], 0 offset:420
	;; [unrolled: 1-line block ×3, first 2 shown]
	s_waitcnt vmcnt(58) lgkmcnt(0)
	v_mul_f64 v[148:149], v[1:2], v[17:18]
	v_mul_f64 v[17:18], v[3:4], v[17:18]
	s_waitcnt vmcnt(56)
	v_fma_f64 v[13:14], v[5:6], v[19:20], -v[13:14]
	ds_read_b128 v[65:68], v59 offset:880
	v_fma_f64 v[19:20], v[7:8], v[19:20], v[176:177]
	v_add_f64 v[69:70], v[69:70], v[146:147]
	v_add_f64 v[9:10], v[9:10], v[31:32]
	s_clause 0x4
	buffer_load_dword v32, off, s[0:3], 0 offset:460
	buffer_load_dword v146, off, s[0:3], 0 offset:472
	;; [unrolled: 1-line block ×5, first 2 shown]
	ds_read_b128 v[5:8], v59 offset:896
	s_waitcnt vmcnt(57) lgkmcnt(1)
	v_mul_f64 v[177:178], v[65:66], v[27:28]
	v_mul_f64 v[27:28], v[67:68], v[27:28]
	s_waitcnt vmcnt(56)
	v_fma_f64 v[17:18], v[1:2], v[11:12], -v[17:18]
	v_fma_f64 v[11:12], v[3:4], v[11:12], v[148:149]
	v_add_f64 v[13:14], v[69:70], v[13:14]
	v_add_f64 v[9:10], v[9:10], v[19:20]
	s_clause 0x2
	buffer_load_dword v147, off, s[0:3], 0 offset:476
	buffer_load_dword v20, off, s[0:3], 0 offset:452
	;; [unrolled: 1-line block ×3, first 2 shown]
	s_waitcnt vmcnt(58) lgkmcnt(0)
	v_mul_f64 v[69:70], v[5:6], v[33:34]
	v_mul_f64 v[33:34], v[7:8], v[33:34]
	s_waitcnt vmcnt(56)
	v_fma_f64 v[27:28], v[65:66], v[35:36], -v[27:28]
	ds_read_b128 v[1:4], v59 offset:912
	v_add_f64 v[13:14], v[13:14], v[17:18]
	v_fma_f64 v[17:18], v[67:68], v[35:36], v[177:178]
	v_add_f64 v[35:36], v[9:10], v[11:12]
	s_clause 0x4
	buffer_load_dword v66, off, s[0:3], 0 offset:492
	buffer_load_dword v67, off, s[0:3], 0 offset:504
	;; [unrolled: 1-line block ×5, first 2 shown]
	ds_read_b128 v[9:12], v59 offset:928
	s_waitcnt vmcnt(57) lgkmcnt(1)
	v_mul_f64 v[177:178], v[1:2], v[37:38]
	v_mul_f64 v[37:38], v[3:4], v[37:38]
	s_waitcnt vmcnt(56)
	v_fma_f64 v[33:34], v[5:6], v[15:16], -v[33:34]
	v_fma_f64 v[15:16], v[7:8], v[15:16], v[69:70]
	v_add_f64 v[13:14], v[13:14], v[27:28]
	s_clause 0x2
	buffer_load_dword v68, off, s[0:3], 0 offset:508
	buffer_load_dword v28, off, s[0:3], 0 offset:484
	;; [unrolled: 1-line block ×3, first 2 shown]
	v_add_f64 v[17:18], v[35:36], v[17:18]
	s_waitcnt vmcnt(58) lgkmcnt(0)
	v_mul_f64 v[35:36], v[9:10], v[43:44]
	v_mul_f64 v[43:44], v[11:12], v[43:44]
	ds_read_b128 v[5:8], v59 offset:944
	s_waitcnt vmcnt(56)
	v_fma_f64 v[37:38], v[1:2], v[45:46], -v[37:38]
	v_add_f64 v[13:14], v[13:14], v[33:34]
	v_fma_f64 v[33:34], v[3:4], v[45:46], v[177:178]
	v_add_f64 v[15:16], v[17:18], v[15:16]
	s_clause 0x4
	buffer_load_dword v18, off, s[0:3], 0 offset:524
	buffer_load_dword v45, off, s[0:3], 0 offset:536
	buffer_load_dword v69, off, s[0:3], 0 offset:528
	buffer_load_dword v17, off, s[0:3], 0 offset:520
	buffer_load_dword v149, off, s[0:3], 0 offset:500
	s_waitcnt vmcnt(57) lgkmcnt(0)
	v_mul_f64 v[177:178], v[5:6], v[47:48]
	v_mul_f64 v[47:48], v[7:8], v[47:48]
	s_waitcnt vmcnt(56)
	v_fma_f64 v[43:44], v[9:10], v[29:30], -v[43:44]
	ds_read_b128 v[1:4], v59 offset:960
	v_fma_f64 v[29:30], v[11:12], v[29:30], v[35:36]
	v_add_f64 v[13:14], v[13:14], v[37:38]
	v_add_f64 v[15:16], v[15:16], v[33:34]
	s_clause 0x2
	buffer_load_dword v46, off, s[0:3], 0 offset:540
	buffer_load_dword v34, off, s[0:3], 0 offset:516
	;; [unrolled: 1-line block ×3, first 2 shown]
	ds_read_b128 v[9:12], v59 offset:976
	s_waitcnt vmcnt(58) lgkmcnt(1)
	v_mul_f64 v[37:38], v[3:4], v[51:52]
	s_waitcnt vmcnt(56)
	v_fma_f64 v[47:48], v[5:6], v[53:54], -v[47:48]
	v_mul_f64 v[35:36], v[1:2], v[51:52]
	v_add_f64 v[13:14], v[13:14], v[43:44]
	v_fma_f64 v[43:44], v[7:8], v[53:54], v[177:178]
	v_add_f64 v[15:16], v[15:16], v[29:30]
	s_clause 0x4
	buffer_load_dword v30, off, s[0:3], 0 offset:556
	buffer_load_dword v51, off, s[0:3], 0 offset:568
	;; [unrolled: 1-line block ×5, first 2 shown]
	s_waitcnt vmcnt(57) lgkmcnt(0)
	v_mul_f64 v[177:178], v[9:10], v[55:56]
	v_mul_f64 v[54:55], v[11:12], v[55:56]
	s_waitcnt vmcnt(56)
	v_fma_f64 v[37:38], v[1:2], v[39:40], -v[37:38]
	ds_read_b128 v[5:8], v59 offset:992
	v_fma_f64 v[35:36], v[3:4], v[39:40], v[35:36]
	s_clause 0x2
	buffer_load_dword v52, off, s[0:3], 0 offset:572
	buffer_load_dword v40, off, s[0:3], 0 offset:548
	;; [unrolled: 1-line block ×3, first 2 shown]
	ds_read_b128 v[1:4], v59 offset:1008
	v_add_f64 v[13:14], v[13:14], v[47:48]
	v_add_f64 v[15:16], v[15:16], v[43:44]
	s_waitcnt vmcnt(58) lgkmcnt(1)
	v_mul_f64 v[47:48], v[7:8], v[150:151]
	s_waitcnt vmcnt(56)
	v_fma_f64 v[55:56], v[9:10], v[152:153], -v[54:55]
	v_mul_f64 v[43:44], v[5:6], v[150:151]
	v_add_f64 v[13:14], v[13:14], v[37:38]
	v_fma_f64 v[37:38], v[11:12], v[152:153], v[177:178]
	v_add_f64 v[15:16], v[15:16], v[35:36]
	s_clause 0x4
	buffer_load_dword v36, off, s[0:3], 0 offset:588
	buffer_load_dword v150, off, s[0:3], 0 offset:600
	;; [unrolled: 1-line block ×5, first 2 shown]
	s_waitcnt vmcnt(57) lgkmcnt(0)
	v_mul_f64 v[177:178], v[1:2], v[154:155]
	v_mul_f64 v[153:154], v[3:4], v[154:155]
	s_waitcnt vmcnt(56)
	v_fma_f64 v[47:48], v[5:6], v[49:50], -v[47:48]
	ds_read_b128 v[9:12], v59 offset:1024
	v_fma_f64 v[43:44], v[7:8], v[49:50], v[43:44]
	v_add_f64 v[13:14], v[13:14], v[55:56]
	v_add_f64 v[15:16], v[15:16], v[37:38]
	s_clause 0x2
	buffer_load_dword v151, off, s[0:3], 0 offset:604
	buffer_load_dword v38, off, s[0:3], 0 offset:580
	;; [unrolled: 1-line block ×3, first 2 shown]
	ds_read_b128 v[5:8], v59 offset:1040
	s_waitcnt vmcnt(58) lgkmcnt(1)
	v_mul_f64 v[55:56], v[11:12], v[156:157]
	s_waitcnt vmcnt(56)
	v_fma_f64 v[154:155], v[1:2], v[158:159], -v[153:154]
	v_mul_f64 v[49:50], v[9:10], v[156:157]
	v_add_f64 v[13:14], v[13:14], v[47:48]
	v_fma_f64 v[47:48], v[3:4], v[158:159], v[177:178]
	v_add_f64 v[15:16], v[15:16], v[43:44]
	s_clause 0x4
	buffer_load_dword v44, off, s[0:3], 0 offset:620
	buffer_load_dword v156, off, s[0:3], 0 offset:632
	;; [unrolled: 1-line block ×5, first 2 shown]
	s_waitcnt vmcnt(57) lgkmcnt(0)
	v_mul_f64 v[177:178], v[5:6], v[162:163]
	v_mul_f64 v[162:163], v[7:8], v[162:163]
	s_waitcnt vmcnt(56)
	v_fma_f64 v[55:56], v[9:10], v[57:58], -v[55:56]
	ds_read_b128 v[1:4], v59 offset:1056
	v_fma_f64 v[49:50], v[11:12], v[57:58], v[49:50]
	v_add_f64 v[13:14], v[13:14], v[154:155]
	v_add_f64 v[15:16], v[15:16], v[47:48]
	s_clause 0x2
	buffer_load_dword v157, off, s[0:3], 0 offset:636
	buffer_load_dword v48, off, s[0:3], 0 offset:612
	;; [unrolled: 1-line block ×3, first 2 shown]
	ds_read_b128 v[9:12], v59 offset:1072
	s_waitcnt vmcnt(58) lgkmcnt(1)
	v_mul_f64 v[154:155], v[3:4], v[164:165]
	s_waitcnt vmcnt(56)
	v_fma_f64 v[162:163], v[5:6], v[169:170], -v[162:163]
	v_mul_f64 v[57:58], v[1:2], v[164:165]
	v_add_f64 v[13:14], v[13:14], v[55:56]
	v_fma_f64 v[55:56], v[7:8], v[169:170], v[177:178]
	v_add_f64 v[15:16], v[15:16], v[49:50]
	s_clause 0x4
	buffer_load_dword v50, off, s[0:3], 0 offset:652
	buffer_load_dword v164, off, s[0:3], 0 offset:664
	;; [unrolled: 1-line block ×5, first 2 shown]
	ds_read_b128 v[5:8], v59 offset:1088
	s_waitcnt vmcnt(57) lgkmcnt(1)
	v_mul_f64 v[169:170], v[9:10], v[160:161]
	v_mul_f64 v[160:161], v[11:12], v[160:161]
	s_waitcnt vmcnt(56)
	v_fma_f64 v[154:155], v[1:2], v[166:167], -v[154:155]
	v_fma_f64 v[57:58], v[3:4], v[166:167], v[57:58]
	v_add_f64 v[13:14], v[13:14], v[162:163]
	v_add_f64 v[15:16], v[15:16], v[55:56]
	s_clause 0x2
	buffer_load_dword v165, off, s[0:3], 0 offset:668
	buffer_load_dword v56, off, s[0:3], 0 offset:644
	buffer_load_dword v55, off, s[0:3], 0 offset:640
	ds_read_b128 v[1:4], v59 offset:1104
	s_waitcnt vmcnt(58) lgkmcnt(1)
	v_mul_f64 v[166:167], v[7:8], v[173:174]
	v_mul_f64 v[162:163], v[5:6], v[173:174]
	s_waitcnt vmcnt(56)
	v_fma_f64 v[160:161], v[9:10], v[71:72], -v[160:161]
	v_fma_f64 v[71:72], v[11:12], v[71:72], v[169:170]
	v_add_f64 v[13:14], v[13:14], v[154:155]
	v_add_f64 v[15:16], v[15:16], v[57:58]
	s_clause 0x2
	buffer_load_dword v58, off, s[0:3], 0 offset:684
	buffer_load_dword v57, off, s[0:3], 0 offset:680
	;; [unrolled: 1-line block ×3, first 2 shown]
	ds_read_b128 v[9:12], v59 offset:1120
	s_waitcnt vmcnt(55) lgkmcnt(1)
	v_mul_f64 v[154:155], v[1:2], v[31:32]
	v_mul_f64 v[31:32], v[3:4], v[31:32]
	s_waitcnt vmcnt(54)
	v_fma_f64 v[166:167], v[5:6], v[175:176], -v[166:167]
	v_add_f64 v[13:14], v[13:14], v[160:161]
	v_fma_f64 v[160:161], v[7:8], v[175:176], v[162:163]
	v_add_f64 v[15:16], v[15:16], v[71:72]
	s_clause 0x1
	buffer_load_dword v72, off, s[0:3], 0 offset:676
	buffer_load_dword v71, off, s[0:3], 0 offset:672
	ds_read_b128 v[5:8], v59 offset:1136
	s_waitcnt vmcnt(55) lgkmcnt(1)
	v_mul_f64 v[162:163], v[9:10], v[146:147]
	v_mul_f64 v[146:147], v[11:12], v[146:147]
	s_waitcnt vmcnt(53)
	v_fma_f64 v[31:32], v[1:2], v[19:20], -v[31:32]
	v_fma_f64 v[19:20], v[3:4], v[19:20], v[154:155]
	ds_read_b128 v[1:4], v59 offset:1152
	v_add_f64 v[13:14], v[13:14], v[166:167]
	v_add_f64 v[15:16], v[15:16], v[160:161]
	s_waitcnt vmcnt(49) lgkmcnt(1)
	v_mul_f64 v[154:155], v[5:6], v[65:66]
	v_mul_f64 v[65:66], v[7:8], v[65:66]
	s_waitcnt vmcnt(48)
	v_fma_f64 v[146:147], v[9:10], v[171:172], -v[146:147]
	v_add_f64 v[13:14], v[13:14], v[31:32]
	v_fma_f64 v[31:32], v[11:12], v[171:172], v[162:163]
	v_add_f64 v[15:16], v[15:16], v[19:20]
	s_clause 0x3
	buffer_load_dword v19, off, s[0:3], 0 offset:128
	buffer_load_dword v20, off, s[0:3], 0 offset:132
	;; [unrolled: 1-line block ×4, first 2 shown]
	ds_read_b128 v[9:12], v59 offset:1168
	s_waitcnt vmcnt(51) lgkmcnt(1)
	v_mul_f64 v[162:163], v[1:2], v[67:68]
	v_mul_f64 v[67:68], v[3:4], v[67:68]
	s_waitcnt vmcnt(49)
	v_fma_f64 v[65:66], v[5:6], v[27:28], -v[65:66]
	v_fma_f64 v[27:28], v[7:8], v[27:28], v[154:155]
	ds_read_b128 v[5:8], v59 offset:1184
	v_add_f64 v[13:14], v[13:14], v[146:147]
	v_add_f64 v[15:16], v[15:16], v[31:32]
	s_waitcnt vmcnt(45) lgkmcnt(1)
	v_mul_f64 v[31:32], v[9:10], v[17:18]
	v_mul_f64 v[17:18], v[11:12], v[17:18]
	s_waitcnt vmcnt(44)
	v_fma_f64 v[67:68], v[1:2], v[148:149], -v[67:68]
	v_add_f64 v[13:14], v[13:14], v[65:66]
	v_fma_f64 v[65:66], v[3:4], v[148:149], v[162:163]
	v_add_f64 v[15:16], v[15:16], v[27:28]
	ds_read_b128 v[1:4], v59 offset:1200
	s_waitcnt vmcnt(43) lgkmcnt(1)
	v_mul_f64 v[27:28], v[5:6], v[45:46]
	v_mul_f64 v[45:46], v[7:8], v[45:46]
	s_waitcnt vmcnt(41)
	v_fma_f64 v[17:18], v[9:10], v[33:34], -v[17:18]
	v_fma_f64 v[31:32], v[11:12], v[33:34], v[31:32]
	ds_read_b128 v[9:12], v59 offset:1216
	v_add_f64 v[13:14], v[13:14], v[67:68]
	v_add_f64 v[15:16], v[15:16], v[65:66]
	s_waitcnt vmcnt(37) lgkmcnt(1)
	v_mul_f64 v[33:34], v[1:2], v[29:30]
	v_mul_f64 v[29:30], v[3:4], v[29:30]
	s_waitcnt vmcnt(36)
	v_fma_f64 v[45:46], v[5:6], v[69:70], -v[45:46]
	v_add_f64 v[13:14], v[13:14], v[17:18]
	v_fma_f64 v[17:18], v[7:8], v[69:70], v[27:28]
	v_add_f64 v[15:16], v[15:16], v[31:32]
	s_waitcnt vmcnt(35) lgkmcnt(0)
	v_mul_f64 v[31:32], v[11:12], v[51:52]
	ds_read_b128 v[5:8], v59 offset:1232
	v_mul_f64 v[27:28], v[9:10], v[51:52]
	s_waitcnt vmcnt(33)
	v_fma_f64 v[33:34], v[3:4], v[39:40], v[33:34]
	v_fma_f64 v[29:30], v[1:2], v[39:40], -v[29:30]
	ds_read_b128 v[1:4], v59 offset:1248
	v_add_f64 v[13:14], v[13:14], v[45:46]
	v_add_f64 v[15:16], v[15:16], v[17:18]
	s_waitcnt vmcnt(29) lgkmcnt(1)
	v_mul_f64 v[17:18], v[5:6], v[35:36]
	v_mul_f64 v[35:36], v[7:8], v[35:36]
	s_waitcnt vmcnt(28)
	v_fma_f64 v[31:32], v[9:10], v[53:54], -v[31:32]
	v_fma_f64 v[27:28], v[11:12], v[53:54], v[27:28]
	ds_read_b128 v[9:12], v59 offset:1264
	v_add_f64 v[13:14], v[13:14], v[29:30]
	v_add_f64 v[15:16], v[15:16], v[33:34]
	s_waitcnt vmcnt(27) lgkmcnt(1)
	v_mul_f64 v[33:34], v[3:4], v[150:151]
	v_mul_f64 v[29:30], v[1:2], v[150:151]
	s_waitcnt vmcnt(25)
	v_fma_f64 v[35:36], v[5:6], v[37:38], -v[35:36]
	v_fma_f64 v[17:18], v[7:8], v[37:38], v[17:18]
	ds_read_b128 v[5:8], v59 offset:1280
	v_add_f64 v[13:14], v[13:14], v[31:32]
	v_add_f64 v[15:16], v[15:16], v[27:28]
	s_waitcnt vmcnt(21) lgkmcnt(1)
	v_mul_f64 v[31:32], v[11:12], v[43:44]
	s_waitcnt vmcnt(20)
	v_fma_f64 v[33:34], v[1:2], v[152:153], -v[33:34]
	v_mul_f64 v[27:28], v[9:10], v[43:44]
	v_fma_f64 v[29:30], v[3:4], v[152:153], v[29:30]
	ds_read_b128 v[1:4], v59 offset:1296
	v_add_f64 v[13:14], v[13:14], v[35:36]
	v_add_f64 v[15:16], v[15:16], v[17:18]
	s_waitcnt vmcnt(19) lgkmcnt(1)
	v_mul_f64 v[35:36], v[7:8], v[156:157]
	v_mul_f64 v[17:18], v[5:6], v[156:157]
	s_waitcnt vmcnt(17)
	v_fma_f64 v[31:32], v[9:10], v[47:48], -v[31:32]
	v_fma_f64 v[27:28], v[11:12], v[47:48], v[27:28]
	ds_read_b128 v[9:12], v59 offset:1312
	v_add_f64 v[13:14], v[13:14], v[33:34]
	v_add_f64 v[15:16], v[15:16], v[29:30]
	s_waitcnt vmcnt(13) lgkmcnt(1)
	v_mul_f64 v[33:34], v[3:4], v[49:50]
	s_waitcnt vmcnt(12)
	v_fma_f64 v[35:36], v[5:6], v[158:159], -v[35:36]
	v_mul_f64 v[29:30], v[1:2], v[49:50]
	v_fma_f64 v[17:18], v[7:8], v[158:159], v[17:18]
	ds_read_b128 v[5:8], v59 offset:1328
	v_add_f64 v[13:14], v[13:14], v[31:32]
	v_add_f64 v[15:16], v[15:16], v[27:28]
	s_waitcnt vmcnt(11) lgkmcnt(1)
	v_mul_f64 v[31:32], v[11:12], v[164:165]
	v_mul_f64 v[27:28], v[9:10], v[164:165]
	s_waitcnt vmcnt(9)
	v_fma_f64 v[1:2], v[1:2], v[55:56], -v[33:34]
	v_fma_f64 v[3:4], v[3:4], v[55:56], v[29:30]
	v_add_f64 v[13:14], v[13:14], v[35:36]
	v_add_f64 v[15:16], v[15:16], v[17:18]
	s_waitcnt vmcnt(7) lgkmcnt(0)
	v_mul_f64 v[29:30], v[7:8], v[57:58]
	s_waitcnt vmcnt(6)
	v_fma_f64 v[9:10], v[9:10], v[168:169], -v[31:32]
	v_mul_f64 v[17:18], v[5:6], v[57:58]
	v_fma_f64 v[11:12], v[11:12], v[168:169], v[27:28]
	v_add_f64 v[1:2], v[13:14], v[1:2]
	v_add_f64 v[3:4], v[15:16], v[3:4]
	s_waitcnt vmcnt(4)
	v_fma_f64 v[5:6], v[5:6], v[71:72], -v[29:30]
	v_fma_f64 v[7:8], v[7:8], v[71:72], v[17:18]
	v_add_f64 v[1:2], v[1:2], v[9:10]
	v_add_f64 v[3:4], v[3:4], v[11:12]
	;; [unrolled: 1-line block ×4, first 2 shown]
	s_waitcnt vmcnt(2)
	v_add_f64 v[1:2], v[19:20], -v[1:2]
	s_waitcnt vmcnt(0)
	v_add_f64 v[3:4], v[160:161], -v[3:4]
	buffer_store_dword v2, off, s[0:3], 0 offset:132
	buffer_store_dword v1, off, s[0:3], 0 offset:128
	;; [unrolled: 1-line block ×4, first 2 shown]
	v_cmpx_lt_u32_e32 6, v0
	s_cbranch_execz .LBB41_253
; %bb.252:
	v_mov_b32_e32 v4, s48
	v_mov_b32_e32 v5, 0
	s_clause 0x3
	buffer_load_dword v1, v4, s[0:3], 0 offen
	buffer_load_dword v2, v4, s[0:3], 0 offen offset:4
	buffer_load_dword v3, v4, s[0:3], 0 offen offset:8
	buffer_load_dword v4, v4, s[0:3], 0 offen offset:12
	buffer_store_dword v5, off, s[0:3], 0 offset:112
	buffer_store_dword v5, off, s[0:3], 0 offset:116
	;; [unrolled: 1-line block ×4, first 2 shown]
	s_waitcnt vmcnt(0)
	ds_write_b128 v145, v[1:4]
.LBB41_253:
	s_or_b32 exec_lo, exec_lo, s4
	s_waitcnt lgkmcnt(0)
	s_waitcnt_vscnt null, 0x0
	s_barrier
	buffer_gl0_inv
	s_clause 0x37
	buffer_load_dword v9, off, s[0:3], 0 offset:136
	buffer_load_dword v10, off, s[0:3], 0 offset:140
	;; [unrolled: 1-line block ×56, first 2 shown]
	v_mov_b32_e32 v146, 0
	s_mov_b32 s4, exec_lo
	ds_read_b128 v[147:150], v146 offset:784
	s_clause 0x2
	buffer_load_dword v70, off, s[0:3], 0 offset:364
	buffer_load_dword v72, off, s[0:3], 0 offset:340
	;; [unrolled: 1-line block ×3, first 2 shown]
	ds_read_b128 v[151:154], v146 offset:800
	s_clause 0x4
	buffer_load_dword v162, off, s[0:3], 0 offset:380
	buffer_load_dword v163, off, s[0:3], 0 offset:392
	;; [unrolled: 1-line block ×5, first 2 shown]
	ds_read_b128 v[155:158], v146 offset:816
	s_clause 0x2
	buffer_load_dword v164, off, s[0:3], 0 offset:396
	buffer_load_dword v169, off, s[0:3], 0 offset:372
	buffer_load_dword v168, off, s[0:3], 0 offset:368
	s_waitcnt vmcnt(62) lgkmcnt(2)
	v_mul_f64 v[159:160], v[149:150], v[9:10]
	v_mul_f64 v[9:10], v[147:148], v[9:10]
	s_waitcnt lgkmcnt(1)
	v_mul_f64 v[166:167], v[153:154], v[5:6]
	s_waitcnt vmcnt(59) lgkmcnt(0)
	v_mul_f64 v[170:171], v[157:158], v[3:4]
	v_fma_f64 v[147:148], v[147:148], v[7:8], -v[159:160]
	v_mul_f64 v[159:160], v[151:152], v[5:6]
	v_fma_f64 v[9:10], v[149:150], v[7:8], v[9:10]
	s_waitcnt vmcnt(57)
	v_fma_f64 v[151:152], v[151:152], v[1:2], -v[166:167]
	ds_read_b128 v[5:8], v146 offset:832
	v_mul_f64 v[149:150], v[155:156], v[3:4]
	s_waitcnt vmcnt(51)
	v_fma_f64 v[155:156], v[155:156], v[31:32], -v[170:171]
	v_add_f64 v[147:148], v[147:148], 0
	v_fma_f64 v[153:154], v[153:154], v[1:2], v[159:160]
	v_add_f64 v[9:10], v[9:10], 0
	s_clause 0x4
	buffer_load_dword v160, off, s[0:3], 0 offset:412
	buffer_load_dword v172, off, s[0:3], 0 offset:424
	;; [unrolled: 1-line block ×5, first 2 shown]
	s_waitcnt lgkmcnt(0)
	v_mul_f64 v[175:176], v[5:6], v[13:14]
	v_mul_f64 v[13:14], v[7:8], v[13:14]
	ds_read_b128 v[1:4], v146 offset:848
	v_fma_f64 v[31:32], v[157:158], v[31:32], v[149:150]
	v_add_f64 v[151:152], v[147:148], v[151:152]
	v_add_f64 v[9:10], v[9:10], v[153:154]
	s_clause 0x2
	buffer_load_dword v173, off, s[0:3], 0 offset:428
	buffer_load_dword v154, off, s[0:3], 0 offset:404
	;; [unrolled: 1-line block ×3, first 2 shown]
	s_waitcnt vmcnt(58) lgkmcnt(0)
	v_mul_f64 v[157:158], v[1:2], v[17:18]
	v_mul_f64 v[17:18], v[3:4], v[17:18]
	s_waitcnt vmcnt(56)
	v_fma_f64 v[13:14], v[5:6], v[19:20], -v[13:14]
	ds_read_b128 v[147:150], v146 offset:864
	v_fma_f64 v[19:20], v[7:8], v[19:20], v[175:176]
	v_add_f64 v[151:152], v[151:152], v[155:156]
	v_add_f64 v[9:10], v[9:10], v[31:32]
	s_clause 0x4
	buffer_load_dword v32, off, s[0:3], 0 offset:444
	buffer_load_dword v155, off, s[0:3], 0 offset:456
	buffer_load_dword v170, off, s[0:3], 0 offset:448
	buffer_load_dword v31, off, s[0:3], 0 offset:440
	buffer_load_dword v175, off, s[0:3], 0 offset:420
	ds_read_b128 v[5:8], v146 offset:880
	s_waitcnt vmcnt(57) lgkmcnt(1)
	v_mul_f64 v[176:177], v[147:148], v[27:28]
	v_mul_f64 v[27:28], v[149:150], v[27:28]
	s_waitcnt vmcnt(56)
	v_fma_f64 v[17:18], v[1:2], v[11:12], -v[17:18]
	v_fma_f64 v[11:12], v[3:4], v[11:12], v[157:158]
	v_add_f64 v[13:14], v[151:152], v[13:14]
	v_add_f64 v[9:10], v[9:10], v[19:20]
	s_clause 0x2
	buffer_load_dword v156, off, s[0:3], 0 offset:460
	buffer_load_dword v20, off, s[0:3], 0 offset:436
	;; [unrolled: 1-line block ×3, first 2 shown]
	s_waitcnt vmcnt(58) lgkmcnt(0)
	v_mul_f64 v[151:152], v[5:6], v[33:34]
	v_mul_f64 v[33:34], v[7:8], v[33:34]
	s_waitcnt vmcnt(56)
	v_fma_f64 v[27:28], v[147:148], v[35:36], -v[27:28]
	ds_read_b128 v[1:4], v146 offset:896
	v_add_f64 v[13:14], v[13:14], v[17:18]
	v_fma_f64 v[17:18], v[149:150], v[35:36], v[176:177]
	v_add_f64 v[35:36], v[9:10], v[11:12]
	s_clause 0x4
	buffer_load_dword v148, off, s[0:3], 0 offset:476
	buffer_load_dword v149, off, s[0:3], 0 offset:488
	;; [unrolled: 1-line block ×5, first 2 shown]
	ds_read_b128 v[9:12], v146 offset:912
	s_waitcnt vmcnt(57) lgkmcnt(1)
	v_mul_f64 v[176:177], v[1:2], v[37:38]
	v_mul_f64 v[37:38], v[3:4], v[37:38]
	s_waitcnt vmcnt(56)
	v_fma_f64 v[33:34], v[5:6], v[15:16], -v[33:34]
	v_fma_f64 v[15:16], v[7:8], v[15:16], v[151:152]
	v_add_f64 v[13:14], v[13:14], v[27:28]
	s_clause 0x2
	buffer_load_dword v150, off, s[0:3], 0 offset:492
	buffer_load_dword v28, off, s[0:3], 0 offset:468
	;; [unrolled: 1-line block ×3, first 2 shown]
	v_add_f64 v[17:18], v[35:36], v[17:18]
	s_waitcnt vmcnt(58) lgkmcnt(0)
	v_mul_f64 v[35:36], v[9:10], v[43:44]
	v_mul_f64 v[43:44], v[11:12], v[43:44]
	ds_read_b128 v[5:8], v146 offset:928
	s_waitcnt vmcnt(56)
	v_fma_f64 v[37:38], v[1:2], v[45:46], -v[37:38]
	v_add_f64 v[13:14], v[13:14], v[33:34]
	v_fma_f64 v[33:34], v[3:4], v[45:46], v[176:177]
	v_add_f64 v[15:16], v[17:18], v[15:16]
	s_clause 0x4
	buffer_load_dword v18, off, s[0:3], 0 offset:508
	buffer_load_dword v45, off, s[0:3], 0 offset:520
	;; [unrolled: 1-line block ×5, first 2 shown]
	s_waitcnt vmcnt(57) lgkmcnt(0)
	v_mul_f64 v[176:177], v[5:6], v[47:48]
	v_mul_f64 v[47:48], v[7:8], v[47:48]
	s_waitcnt vmcnt(56)
	v_fma_f64 v[43:44], v[9:10], v[29:30], -v[43:44]
	ds_read_b128 v[1:4], v146 offset:944
	v_fma_f64 v[29:30], v[11:12], v[29:30], v[35:36]
	v_add_f64 v[13:14], v[13:14], v[37:38]
	v_add_f64 v[15:16], v[15:16], v[33:34]
	s_clause 0x2
	buffer_load_dword v46, off, s[0:3], 0 offset:524
	buffer_load_dword v34, off, s[0:3], 0 offset:500
	;; [unrolled: 1-line block ×3, first 2 shown]
	ds_read_b128 v[9:12], v146 offset:960
	s_waitcnt vmcnt(58) lgkmcnt(1)
	v_mul_f64 v[37:38], v[3:4], v[51:52]
	s_waitcnt vmcnt(56)
	v_fma_f64 v[47:48], v[5:6], v[53:54], -v[47:48]
	v_mul_f64 v[35:36], v[1:2], v[51:52]
	v_add_f64 v[13:14], v[13:14], v[43:44]
	v_fma_f64 v[43:44], v[7:8], v[53:54], v[176:177]
	v_add_f64 v[15:16], v[15:16], v[29:30]
	s_clause 0x4
	buffer_load_dword v30, off, s[0:3], 0 offset:540
	buffer_load_dword v51, off, s[0:3], 0 offset:552
	;; [unrolled: 1-line block ×5, first 2 shown]
	s_waitcnt vmcnt(57) lgkmcnt(0)
	v_mul_f64 v[176:177], v[9:10], v[55:56]
	v_mul_f64 v[54:55], v[11:12], v[55:56]
	s_waitcnt vmcnt(56)
	v_fma_f64 v[37:38], v[1:2], v[39:40], -v[37:38]
	ds_read_b128 v[5:8], v146 offset:976
	v_fma_f64 v[35:36], v[3:4], v[39:40], v[35:36]
	s_clause 0x2
	buffer_load_dword v52, off, s[0:3], 0 offset:556
	buffer_load_dword v40, off, s[0:3], 0 offset:532
	;; [unrolled: 1-line block ×3, first 2 shown]
	ds_read_b128 v[1:4], v146 offset:992
	v_add_f64 v[13:14], v[13:14], v[47:48]
	v_add_f64 v[15:16], v[15:16], v[43:44]
	s_waitcnt vmcnt(58) lgkmcnt(1)
	v_mul_f64 v[47:48], v[7:8], v[59:60]
	s_waitcnt vmcnt(56)
	v_fma_f64 v[55:56], v[9:10], v[65:66], -v[54:55]
	v_mul_f64 v[43:44], v[5:6], v[59:60]
	v_add_f64 v[13:14], v[13:14], v[37:38]
	v_fma_f64 v[37:38], v[11:12], v[65:66], v[176:177]
	v_add_f64 v[15:16], v[15:16], v[35:36]
	s_clause 0x4
	buffer_load_dword v36, off, s[0:3], 0 offset:572
	buffer_load_dword v59, off, s[0:3], 0 offset:584
	;; [unrolled: 1-line block ×5, first 2 shown]
	s_waitcnt vmcnt(57) lgkmcnt(0)
	v_mul_f64 v[176:177], v[1:2], v[67:68]
	v_mul_f64 v[66:67], v[3:4], v[67:68]
	s_waitcnt vmcnt(56)
	v_fma_f64 v[47:48], v[5:6], v[49:50], -v[47:48]
	ds_read_b128 v[9:12], v146 offset:1008
	v_fma_f64 v[43:44], v[7:8], v[49:50], v[43:44]
	v_add_f64 v[13:14], v[13:14], v[55:56]
	v_add_f64 v[15:16], v[15:16], v[37:38]
	s_clause 0x2
	buffer_load_dword v60, off, s[0:3], 0 offset:588
	buffer_load_dword v38, off, s[0:3], 0 offset:564
	;; [unrolled: 1-line block ×3, first 2 shown]
	ds_read_b128 v[5:8], v146 offset:1024
	s_waitcnt vmcnt(58) lgkmcnt(1)
	v_mul_f64 v[55:56], v[11:12], v[69:70]
	s_waitcnt vmcnt(56)
	v_fma_f64 v[67:68], v[1:2], v[71:72], -v[66:67]
	v_mul_f64 v[49:50], v[9:10], v[69:70]
	v_add_f64 v[13:14], v[13:14], v[47:48]
	v_fma_f64 v[47:48], v[3:4], v[71:72], v[176:177]
	v_add_f64 v[15:16], v[15:16], v[43:44]
	s_clause 0x4
	buffer_load_dword v44, off, s[0:3], 0 offset:604
	buffer_load_dword v69, off, s[0:3], 0 offset:616
	buffer_load_dword v71, off, s[0:3], 0 offset:608
	buffer_load_dword v43, off, s[0:3], 0 offset:600
	buffer_load_dword v66, off, s[0:3], 0 offset:580
	s_waitcnt vmcnt(57) lgkmcnt(0)
	v_mul_f64 v[176:177], v[5:6], v[161:162]
	v_mul_f64 v[161:162], v[7:8], v[161:162]
	s_waitcnt vmcnt(56)
	v_fma_f64 v[55:56], v[9:10], v[57:58], -v[55:56]
	ds_read_b128 v[1:4], v146 offset:1040
	v_fma_f64 v[49:50], v[11:12], v[57:58], v[49:50]
	v_add_f64 v[13:14], v[13:14], v[67:68]
	v_add_f64 v[15:16], v[15:16], v[47:48]
	s_clause 0x2
	buffer_load_dword v70, off, s[0:3], 0 offset:620
	buffer_load_dword v48, off, s[0:3], 0 offset:596
	;; [unrolled: 1-line block ×3, first 2 shown]
	ds_read_b128 v[9:12], v146 offset:1056
	s_waitcnt vmcnt(58) lgkmcnt(1)
	v_mul_f64 v[67:68], v[3:4], v[163:164]
	s_waitcnt vmcnt(56)
	v_fma_f64 v[161:162], v[5:6], v[168:169], -v[161:162]
	v_mul_f64 v[57:58], v[1:2], v[163:164]
	v_add_f64 v[13:14], v[13:14], v[55:56]
	v_fma_f64 v[55:56], v[7:8], v[168:169], v[176:177]
	v_add_f64 v[15:16], v[15:16], v[49:50]
	s_clause 0x4
	buffer_load_dword v50, off, s[0:3], 0 offset:636
	buffer_load_dword v163, off, s[0:3], 0 offset:648
	;; [unrolled: 1-line block ×5, first 2 shown]
	ds_read_b128 v[5:8], v146 offset:1072
	s_waitcnt vmcnt(57) lgkmcnt(1)
	v_mul_f64 v[168:169], v[9:10], v[159:160]
	v_mul_f64 v[159:160], v[11:12], v[159:160]
	s_waitcnt vmcnt(56)
	v_fma_f64 v[67:68], v[1:2], v[165:166], -v[67:68]
	v_fma_f64 v[57:58], v[3:4], v[165:166], v[57:58]
	v_add_f64 v[13:14], v[13:14], v[161:162]
	v_add_f64 v[15:16], v[15:16], v[55:56]
	s_clause 0x2
	buffer_load_dword v164, off, s[0:3], 0 offset:652
	buffer_load_dword v56, off, s[0:3], 0 offset:628
	;; [unrolled: 1-line block ×3, first 2 shown]
	ds_read_b128 v[1:4], v146 offset:1088
	s_waitcnt vmcnt(58) lgkmcnt(1)
	v_mul_f64 v[165:166], v[7:8], v[172:173]
	v_mul_f64 v[161:162], v[5:6], v[172:173]
	s_waitcnt vmcnt(56)
	v_fma_f64 v[159:160], v[9:10], v[153:154], -v[159:160]
	v_add_f64 v[13:14], v[13:14], v[67:68]
	v_fma_f64 v[67:68], v[11:12], v[153:154], v[168:169]
	v_add_f64 v[15:16], v[15:16], v[57:58]
	s_clause 0x4
	buffer_load_dword v58, off, s[0:3], 0 offset:668
	buffer_load_dword v153, off, s[0:3], 0 offset:680
	;; [unrolled: 1-line block ×5, first 2 shown]
	ds_read_b128 v[9:12], v146 offset:1104
	s_waitcnt vmcnt(57) lgkmcnt(1)
	v_mul_f64 v[176:177], v[1:2], v[31:32]
	v_mul_f64 v[31:32], v[3:4], v[31:32]
	s_waitcnt vmcnt(56)
	v_fma_f64 v[165:166], v[5:6], v[174:175], -v[165:166]
	v_add_f64 v[13:14], v[13:14], v[159:160]
	v_fma_f64 v[159:160], v[7:8], v[174:175], v[161:162]
	v_add_f64 v[15:16], v[15:16], v[67:68]
	s_clause 0x2
	buffer_load_dword v154, off, s[0:3], 0 offset:684
	buffer_load_dword v68, off, s[0:3], 0 offset:660
	;; [unrolled: 1-line block ×3, first 2 shown]
	ds_read_b128 v[5:8], v146 offset:1120
	buffer_load_dword v173, off, s[0:3], 0 offset:676
	s_waitcnt vmcnt(59) lgkmcnt(1)
	v_mul_f64 v[161:162], v[9:10], v[155:156]
	v_mul_f64 v[155:156], v[11:12], v[155:156]
	s_waitcnt vmcnt(57)
	v_fma_f64 v[31:32], v[1:2], v[19:20], -v[31:32]
	v_fma_f64 v[19:20], v[3:4], v[19:20], v[176:177]
	ds_read_b128 v[1:4], v146 offset:1136
	v_add_f64 v[13:14], v[13:14], v[165:166]
	v_add_f64 v[15:16], v[15:16], v[159:160]
	s_waitcnt vmcnt(53) lgkmcnt(1)
	v_mul_f64 v[159:160], v[5:6], v[147:148]
	v_mul_f64 v[147:148], v[7:8], v[147:148]
	s_waitcnt vmcnt(52)
	v_fma_f64 v[155:156], v[9:10], v[170:171], -v[155:156]
	v_add_f64 v[13:14], v[13:14], v[31:32]
	v_fma_f64 v[31:32], v[11:12], v[170:171], v[161:162]
	v_add_f64 v[15:16], v[15:16], v[19:20]
	ds_read_b128 v[9:12], v146 offset:1152
	s_waitcnt vmcnt(51) lgkmcnt(1)
	v_mul_f64 v[19:20], v[1:2], v[149:150]
	v_mul_f64 v[149:150], v[3:4], v[149:150]
	s_waitcnt vmcnt(49)
	v_fma_f64 v[147:148], v[5:6], v[27:28], -v[147:148]
	v_fma_f64 v[27:28], v[7:8], v[27:28], v[159:160]
	v_add_f64 v[13:14], v[13:14], v[155:156]
	v_add_f64 v[15:16], v[15:16], v[31:32]
	s_clause 0x3
	buffer_load_dword v31, off, s[0:3], 0 offset:112
	buffer_load_dword v32, off, s[0:3], 0 offset:116
	;; [unrolled: 1-line block ×4, first 2 shown]
	ds_read_b128 v[5:8], v146 offset:1168
	s_waitcnt vmcnt(49) lgkmcnt(1)
	v_mul_f64 v[159:160], v[9:10], v[17:18]
	v_mul_f64 v[17:18], v[11:12], v[17:18]
	s_waitcnt vmcnt(48)
	v_fma_f64 v[149:150], v[1:2], v[157:158], -v[149:150]
	v_fma_f64 v[19:20], v[3:4], v[157:158], v[19:20]
	ds_read_b128 v[1:4], v146 offset:1184
	v_add_f64 v[13:14], v[13:14], v[147:148]
	v_add_f64 v[15:16], v[15:16], v[27:28]
	s_waitcnt vmcnt(47) lgkmcnt(1)
	v_mul_f64 v[27:28], v[5:6], v[45:46]
	v_mul_f64 v[45:46], v[7:8], v[45:46]
	s_waitcnt vmcnt(45)
	v_fma_f64 v[17:18], v[9:10], v[33:34], -v[17:18]
	v_fma_f64 v[33:34], v[11:12], v[33:34], v[159:160]
	ds_read_b128 v[9:12], v146 offset:1200
	v_add_f64 v[13:14], v[13:14], v[149:150]
	v_add_f64 v[15:16], v[15:16], v[19:20]
	s_waitcnt vmcnt(41) lgkmcnt(1)
	v_mul_f64 v[19:20], v[1:2], v[29:30]
	v_mul_f64 v[29:30], v[3:4], v[29:30]
	s_waitcnt vmcnt(40)
	v_fma_f64 v[45:46], v[5:6], v[151:152], -v[45:46]
	v_add_f64 v[13:14], v[13:14], v[17:18]
	v_fma_f64 v[17:18], v[7:8], v[151:152], v[27:28]
	v_add_f64 v[15:16], v[15:16], v[33:34]
	ds_read_b128 v[5:8], v146 offset:1216
	s_waitcnt vmcnt(39) lgkmcnt(1)
	v_mul_f64 v[33:34], v[11:12], v[51:52]
	v_mul_f64 v[27:28], v[9:10], v[51:52]
	s_waitcnt vmcnt(37)
	v_fma_f64 v[19:20], v[3:4], v[39:40], v[19:20]
	v_fma_f64 v[29:30], v[1:2], v[39:40], -v[29:30]
	ds_read_b128 v[1:4], v146 offset:1232
	v_add_f64 v[13:14], v[13:14], v[45:46]
	v_add_f64 v[15:16], v[15:16], v[17:18]
	s_waitcnt vmcnt(33) lgkmcnt(1)
	v_mul_f64 v[17:18], v[5:6], v[35:36]
	v_mul_f64 v[35:36], v[7:8], v[35:36]
	s_waitcnt vmcnt(32)
	v_fma_f64 v[33:34], v[9:10], v[53:54], -v[33:34]
	v_fma_f64 v[27:28], v[11:12], v[53:54], v[27:28]
	ds_read_b128 v[9:12], v146 offset:1248
	v_add_f64 v[13:14], v[13:14], v[29:30]
	v_add_f64 v[15:16], v[15:16], v[19:20]
	s_waitcnt vmcnt(31) lgkmcnt(1)
	v_mul_f64 v[29:30], v[3:4], v[59:60]
	v_mul_f64 v[19:20], v[1:2], v[59:60]
	s_waitcnt vmcnt(29)
	v_fma_f64 v[35:36], v[5:6], v[37:38], -v[35:36]
	v_fma_f64 v[17:18], v[7:8], v[37:38], v[17:18]
	ds_read_b128 v[5:8], v146 offset:1264
	v_add_f64 v[13:14], v[13:14], v[33:34]
	v_add_f64 v[15:16], v[15:16], v[27:28]
	s_waitcnt vmcnt(25) lgkmcnt(1)
	v_mul_f64 v[33:34], v[11:12], v[43:44]
	s_waitcnt vmcnt(24)
	v_fma_f64 v[29:30], v[1:2], v[65:66], -v[29:30]
	v_mul_f64 v[27:28], v[9:10], v[43:44]
	v_fma_f64 v[19:20], v[3:4], v[65:66], v[19:20]
	ds_read_b128 v[1:4], v146 offset:1280
	v_add_f64 v[13:14], v[13:14], v[35:36]
	v_add_f64 v[15:16], v[15:16], v[17:18]
	s_waitcnt vmcnt(23) lgkmcnt(1)
	v_mul_f64 v[35:36], v[7:8], v[69:70]
	v_mul_f64 v[17:18], v[5:6], v[69:70]
	s_waitcnt vmcnt(21)
	v_fma_f64 v[33:34], v[9:10], v[47:48], -v[33:34]
	v_fma_f64 v[27:28], v[11:12], v[47:48], v[27:28]
	ds_read_b128 v[9:12], v146 offset:1296
	v_add_f64 v[13:14], v[13:14], v[29:30]
	v_add_f64 v[15:16], v[15:16], v[19:20]
	s_waitcnt vmcnt(17) lgkmcnt(1)
	v_mul_f64 v[29:30], v[3:4], v[49:50]
	s_waitcnt vmcnt(16)
	v_fma_f64 v[35:36], v[5:6], v[71:72], -v[35:36]
	v_mul_f64 v[19:20], v[1:2], v[49:50]
	;; [unrolled: 18-line block ×3, first 2 shown]
	v_fma_f64 v[11:12], v[11:12], v[167:168], v[27:28]
	v_add_f64 v[13:14], v[13:14], v[29:30]
	v_add_f64 v[15:16], v[15:16], v[19:20]
	s_waitcnt vmcnt(7) lgkmcnt(0)
	v_mul_f64 v[27:28], v[3:4], v[153:154]
	v_mul_f64 v[19:20], v[1:2], v[153:154]
	s_waitcnt vmcnt(5)
	v_fma_f64 v[5:6], v[5:6], v[67:68], -v[35:36]
	v_fma_f64 v[7:8], v[7:8], v[67:68], v[17:18]
	v_add_f64 v[9:10], v[13:14], v[9:10]
	v_add_f64 v[11:12], v[15:16], v[11:12]
	s_waitcnt vmcnt(4)
	v_fma_f64 v[1:2], v[1:2], v[172:173], -v[27:28]
	v_fma_f64 v[3:4], v[3:4], v[172:173], v[19:20]
	v_add_f64 v[5:6], v[9:10], v[5:6]
	v_add_f64 v[7:8], v[11:12], v[7:8]
	v_add_f64 v[1:2], v[5:6], v[1:2]
	v_add_f64 v[3:4], v[7:8], v[3:4]
	s_waitcnt vmcnt(2)
	v_add_f64 v[1:2], v[31:32], -v[1:2]
	s_waitcnt vmcnt(0)
	v_add_f64 v[3:4], v[155:156], -v[3:4]
	buffer_store_dword v2, off, s[0:3], 0 offset:116
	buffer_store_dword v1, off, s[0:3], 0 offset:112
	;; [unrolled: 1-line block ×4, first 2 shown]
	v_cmpx_lt_u32_e32 5, v0
	s_cbranch_execz .LBB41_255
; %bb.254:
	v_mov_b32_e32 v4, s49
	s_clause 0x3
	buffer_load_dword v1, v4, s[0:3], 0 offen
	buffer_load_dword v2, v4, s[0:3], 0 offen offset:4
	buffer_load_dword v3, v4, s[0:3], 0 offen offset:8
	;; [unrolled: 1-line block ×3, first 2 shown]
	buffer_store_dword v146, off, s[0:3], 0 offset:96
	buffer_store_dword v146, off, s[0:3], 0 offset:100
	;; [unrolled: 1-line block ×4, first 2 shown]
	s_waitcnt vmcnt(0)
	ds_write_b128 v145, v[1:4]
.LBB41_255:
	s_or_b32 exec_lo, exec_lo, s4
	s_waitcnt lgkmcnt(0)
	s_waitcnt_vscnt null, 0x0
	s_barrier
	buffer_gl0_inv
	s_clause 0x37
	buffer_load_dword v9, off, s[0:3], 0 offset:120
	buffer_load_dword v10, off, s[0:3], 0 offset:124
	;; [unrolled: 1-line block ×56, first 2 shown]
	ds_read_b128 v[147:150], v146 offset:768
	s_clause 0x2
	buffer_load_dword v70, off, s[0:3], 0 offset:348
	buffer_load_dword v72, off, s[0:3], 0 offset:324
	;; [unrolled: 1-line block ×3, first 2 shown]
	ds_read_b128 v[151:154], v146 offset:784
	s_clause 0x4
	buffer_load_dword v162, off, s[0:3], 0 offset:364
	buffer_load_dword v163, off, s[0:3], 0 offset:376
	;; [unrolled: 1-line block ×5, first 2 shown]
	ds_read_b128 v[155:158], v146 offset:800
	s_clause 0x2
	buffer_load_dword v164, off, s[0:3], 0 offset:380
	buffer_load_dword v169, off, s[0:3], 0 offset:356
	;; [unrolled: 1-line block ×3, first 2 shown]
	s_mov_b32 s4, exec_lo
	s_waitcnt vmcnt(62) lgkmcnt(2)
	v_mul_f64 v[159:160], v[149:150], v[9:10]
	v_mul_f64 v[9:10], v[147:148], v[9:10]
	s_waitcnt lgkmcnt(1)
	v_mul_f64 v[166:167], v[153:154], v[5:6]
	s_waitcnt vmcnt(59) lgkmcnt(0)
	v_mul_f64 v[170:171], v[157:158], v[3:4]
	v_fma_f64 v[147:148], v[147:148], v[7:8], -v[159:160]
	v_mul_f64 v[159:160], v[151:152], v[5:6]
	v_fma_f64 v[9:10], v[149:150], v[7:8], v[9:10]
	s_waitcnt vmcnt(57)
	v_fma_f64 v[151:152], v[151:152], v[1:2], -v[166:167]
	ds_read_b128 v[5:8], v146 offset:816
	v_mul_f64 v[149:150], v[155:156], v[3:4]
	s_waitcnt vmcnt(51)
	v_fma_f64 v[155:156], v[155:156], v[31:32], -v[170:171]
	v_add_f64 v[147:148], v[147:148], 0
	v_fma_f64 v[153:154], v[153:154], v[1:2], v[159:160]
	v_add_f64 v[9:10], v[9:10], 0
	s_clause 0x4
	buffer_load_dword v160, off, s[0:3], 0 offset:396
	buffer_load_dword v172, off, s[0:3], 0 offset:408
	;; [unrolled: 1-line block ×5, first 2 shown]
	s_waitcnt lgkmcnt(0)
	v_mul_f64 v[175:176], v[5:6], v[13:14]
	v_mul_f64 v[13:14], v[7:8], v[13:14]
	ds_read_b128 v[1:4], v146 offset:832
	v_fma_f64 v[31:32], v[157:158], v[31:32], v[149:150]
	v_add_f64 v[151:152], v[147:148], v[151:152]
	v_add_f64 v[9:10], v[9:10], v[153:154]
	s_clause 0x2
	buffer_load_dword v173, off, s[0:3], 0 offset:412
	buffer_load_dword v154, off, s[0:3], 0 offset:388
	buffer_load_dword v153, off, s[0:3], 0 offset:384
	s_waitcnt vmcnt(58) lgkmcnt(0)
	v_mul_f64 v[157:158], v[1:2], v[17:18]
	v_mul_f64 v[17:18], v[3:4], v[17:18]
	s_waitcnt vmcnt(56)
	v_fma_f64 v[13:14], v[5:6], v[19:20], -v[13:14]
	ds_read_b128 v[147:150], v146 offset:848
	v_fma_f64 v[19:20], v[7:8], v[19:20], v[175:176]
	v_add_f64 v[151:152], v[151:152], v[155:156]
	v_add_f64 v[9:10], v[9:10], v[31:32]
	s_clause 0x4
	buffer_load_dword v32, off, s[0:3], 0 offset:428
	buffer_load_dword v155, off, s[0:3], 0 offset:440
	;; [unrolled: 1-line block ×5, first 2 shown]
	ds_read_b128 v[5:8], v146 offset:864
	s_waitcnt vmcnt(57) lgkmcnt(1)
	v_mul_f64 v[176:177], v[147:148], v[27:28]
	v_mul_f64 v[27:28], v[149:150], v[27:28]
	s_waitcnt vmcnt(56)
	v_fma_f64 v[17:18], v[1:2], v[11:12], -v[17:18]
	v_fma_f64 v[11:12], v[3:4], v[11:12], v[157:158]
	v_add_f64 v[13:14], v[151:152], v[13:14]
	v_add_f64 v[9:10], v[9:10], v[19:20]
	s_clause 0x2
	buffer_load_dword v156, off, s[0:3], 0 offset:444
	buffer_load_dword v20, off, s[0:3], 0 offset:420
	;; [unrolled: 1-line block ×3, first 2 shown]
	s_waitcnt vmcnt(58) lgkmcnt(0)
	v_mul_f64 v[151:152], v[5:6], v[33:34]
	v_mul_f64 v[33:34], v[7:8], v[33:34]
	s_waitcnt vmcnt(56)
	v_fma_f64 v[27:28], v[147:148], v[35:36], -v[27:28]
	ds_read_b128 v[1:4], v146 offset:880
	v_add_f64 v[13:14], v[13:14], v[17:18]
	v_fma_f64 v[17:18], v[149:150], v[35:36], v[176:177]
	v_add_f64 v[35:36], v[9:10], v[11:12]
	s_clause 0x4
	buffer_load_dword v148, off, s[0:3], 0 offset:460
	buffer_load_dword v149, off, s[0:3], 0 offset:472
	;; [unrolled: 1-line block ×5, first 2 shown]
	ds_read_b128 v[9:12], v146 offset:896
	s_waitcnt vmcnt(57) lgkmcnt(1)
	v_mul_f64 v[176:177], v[1:2], v[37:38]
	v_mul_f64 v[37:38], v[3:4], v[37:38]
	s_waitcnt vmcnt(56)
	v_fma_f64 v[33:34], v[5:6], v[15:16], -v[33:34]
	v_fma_f64 v[15:16], v[7:8], v[15:16], v[151:152]
	v_add_f64 v[13:14], v[13:14], v[27:28]
	s_clause 0x2
	buffer_load_dword v150, off, s[0:3], 0 offset:476
	buffer_load_dword v28, off, s[0:3], 0 offset:452
	;; [unrolled: 1-line block ×3, first 2 shown]
	v_add_f64 v[17:18], v[35:36], v[17:18]
	s_waitcnt vmcnt(58) lgkmcnt(0)
	v_mul_f64 v[35:36], v[9:10], v[43:44]
	v_mul_f64 v[43:44], v[11:12], v[43:44]
	ds_read_b128 v[5:8], v146 offset:912
	s_waitcnt vmcnt(56)
	v_fma_f64 v[37:38], v[1:2], v[45:46], -v[37:38]
	v_add_f64 v[13:14], v[13:14], v[33:34]
	v_fma_f64 v[33:34], v[3:4], v[45:46], v[176:177]
	v_add_f64 v[15:16], v[17:18], v[15:16]
	s_clause 0x4
	buffer_load_dword v18, off, s[0:3], 0 offset:492
	buffer_load_dword v45, off, s[0:3], 0 offset:504
	;; [unrolled: 1-line block ×5, first 2 shown]
	s_waitcnt vmcnt(57) lgkmcnt(0)
	v_mul_f64 v[176:177], v[5:6], v[47:48]
	v_mul_f64 v[47:48], v[7:8], v[47:48]
	s_waitcnt vmcnt(56)
	v_fma_f64 v[43:44], v[9:10], v[29:30], -v[43:44]
	ds_read_b128 v[1:4], v146 offset:928
	v_fma_f64 v[29:30], v[11:12], v[29:30], v[35:36]
	v_add_f64 v[13:14], v[13:14], v[37:38]
	v_add_f64 v[15:16], v[15:16], v[33:34]
	s_clause 0x2
	buffer_load_dword v46, off, s[0:3], 0 offset:508
	buffer_load_dword v34, off, s[0:3], 0 offset:484
	;; [unrolled: 1-line block ×3, first 2 shown]
	ds_read_b128 v[9:12], v146 offset:944
	s_waitcnt vmcnt(58) lgkmcnt(1)
	v_mul_f64 v[37:38], v[3:4], v[51:52]
	s_waitcnt vmcnt(56)
	v_fma_f64 v[47:48], v[5:6], v[53:54], -v[47:48]
	v_mul_f64 v[35:36], v[1:2], v[51:52]
	v_add_f64 v[13:14], v[13:14], v[43:44]
	v_fma_f64 v[43:44], v[7:8], v[53:54], v[176:177]
	v_add_f64 v[15:16], v[15:16], v[29:30]
	s_clause 0x4
	buffer_load_dword v30, off, s[0:3], 0 offset:524
	buffer_load_dword v51, off, s[0:3], 0 offset:536
	;; [unrolled: 1-line block ×5, first 2 shown]
	s_waitcnt vmcnt(57) lgkmcnt(0)
	v_mul_f64 v[176:177], v[9:10], v[55:56]
	v_mul_f64 v[54:55], v[11:12], v[55:56]
	s_waitcnt vmcnt(56)
	v_fma_f64 v[37:38], v[1:2], v[39:40], -v[37:38]
	ds_read_b128 v[5:8], v146 offset:960
	v_fma_f64 v[35:36], v[3:4], v[39:40], v[35:36]
	s_clause 0x2
	buffer_load_dword v52, off, s[0:3], 0 offset:540
	buffer_load_dword v40, off, s[0:3], 0 offset:516
	;; [unrolled: 1-line block ×3, first 2 shown]
	ds_read_b128 v[1:4], v146 offset:976
	v_add_f64 v[13:14], v[13:14], v[47:48]
	v_add_f64 v[15:16], v[15:16], v[43:44]
	s_waitcnt vmcnt(58) lgkmcnt(1)
	v_mul_f64 v[47:48], v[7:8], v[59:60]
	s_waitcnt vmcnt(56)
	v_fma_f64 v[55:56], v[9:10], v[65:66], -v[54:55]
	v_mul_f64 v[43:44], v[5:6], v[59:60]
	v_add_f64 v[13:14], v[13:14], v[37:38]
	v_fma_f64 v[37:38], v[11:12], v[65:66], v[176:177]
	v_add_f64 v[15:16], v[15:16], v[35:36]
	s_clause 0x4
	buffer_load_dword v36, off, s[0:3], 0 offset:556
	buffer_load_dword v59, off, s[0:3], 0 offset:568
	;; [unrolled: 1-line block ×5, first 2 shown]
	s_waitcnt vmcnt(57) lgkmcnt(0)
	v_mul_f64 v[176:177], v[1:2], v[67:68]
	v_mul_f64 v[66:67], v[3:4], v[67:68]
	s_waitcnt vmcnt(56)
	v_fma_f64 v[47:48], v[5:6], v[49:50], -v[47:48]
	ds_read_b128 v[9:12], v146 offset:992
	v_fma_f64 v[43:44], v[7:8], v[49:50], v[43:44]
	v_add_f64 v[13:14], v[13:14], v[55:56]
	v_add_f64 v[15:16], v[15:16], v[37:38]
	s_clause 0x2
	buffer_load_dword v60, off, s[0:3], 0 offset:572
	buffer_load_dword v38, off, s[0:3], 0 offset:548
	;; [unrolled: 1-line block ×3, first 2 shown]
	ds_read_b128 v[5:8], v146 offset:1008
	s_waitcnt vmcnt(58) lgkmcnt(1)
	v_mul_f64 v[55:56], v[11:12], v[69:70]
	s_waitcnt vmcnt(56)
	v_fma_f64 v[67:68], v[1:2], v[71:72], -v[66:67]
	v_mul_f64 v[49:50], v[9:10], v[69:70]
	v_add_f64 v[13:14], v[13:14], v[47:48]
	v_fma_f64 v[47:48], v[3:4], v[71:72], v[176:177]
	v_add_f64 v[15:16], v[15:16], v[43:44]
	s_clause 0x4
	buffer_load_dword v44, off, s[0:3], 0 offset:588
	buffer_load_dword v69, off, s[0:3], 0 offset:600
	;; [unrolled: 1-line block ×5, first 2 shown]
	s_waitcnt vmcnt(57) lgkmcnt(0)
	v_mul_f64 v[176:177], v[5:6], v[161:162]
	v_mul_f64 v[161:162], v[7:8], v[161:162]
	s_waitcnt vmcnt(56)
	v_fma_f64 v[55:56], v[9:10], v[57:58], -v[55:56]
	ds_read_b128 v[1:4], v146 offset:1024
	v_fma_f64 v[49:50], v[11:12], v[57:58], v[49:50]
	v_add_f64 v[13:14], v[13:14], v[67:68]
	v_add_f64 v[15:16], v[15:16], v[47:48]
	s_clause 0x2
	buffer_load_dword v70, off, s[0:3], 0 offset:604
	buffer_load_dword v48, off, s[0:3], 0 offset:580
	;; [unrolled: 1-line block ×3, first 2 shown]
	ds_read_b128 v[9:12], v146 offset:1040
	s_waitcnt vmcnt(58) lgkmcnt(1)
	v_mul_f64 v[67:68], v[3:4], v[163:164]
	s_waitcnt vmcnt(56)
	v_fma_f64 v[161:162], v[5:6], v[168:169], -v[161:162]
	v_mul_f64 v[57:58], v[1:2], v[163:164]
	v_add_f64 v[13:14], v[13:14], v[55:56]
	v_fma_f64 v[55:56], v[7:8], v[168:169], v[176:177]
	v_add_f64 v[15:16], v[15:16], v[49:50]
	s_clause 0x4
	buffer_load_dword v50, off, s[0:3], 0 offset:620
	buffer_load_dword v163, off, s[0:3], 0 offset:632
	;; [unrolled: 1-line block ×5, first 2 shown]
	ds_read_b128 v[5:8], v146 offset:1056
	s_waitcnt vmcnt(57) lgkmcnt(1)
	v_mul_f64 v[168:169], v[9:10], v[159:160]
	v_mul_f64 v[159:160], v[11:12], v[159:160]
	s_waitcnt vmcnt(56)
	v_fma_f64 v[67:68], v[1:2], v[165:166], -v[67:68]
	v_fma_f64 v[57:58], v[3:4], v[165:166], v[57:58]
	v_add_f64 v[13:14], v[13:14], v[161:162]
	v_add_f64 v[15:16], v[15:16], v[55:56]
	s_clause 0x2
	buffer_load_dword v164, off, s[0:3], 0 offset:636
	buffer_load_dword v56, off, s[0:3], 0 offset:612
	;; [unrolled: 1-line block ×3, first 2 shown]
	ds_read_b128 v[1:4], v146 offset:1072
	s_waitcnt vmcnt(58) lgkmcnt(1)
	v_mul_f64 v[165:166], v[7:8], v[172:173]
	v_mul_f64 v[161:162], v[5:6], v[172:173]
	s_waitcnt vmcnt(56)
	v_fma_f64 v[159:160], v[9:10], v[153:154], -v[159:160]
	v_add_f64 v[13:14], v[13:14], v[67:68]
	v_fma_f64 v[67:68], v[11:12], v[153:154], v[168:169]
	v_add_f64 v[15:16], v[15:16], v[57:58]
	s_clause 0x4
	buffer_load_dword v58, off, s[0:3], 0 offset:652
	buffer_load_dword v153, off, s[0:3], 0 offset:664
	;; [unrolled: 1-line block ×5, first 2 shown]
	ds_read_b128 v[9:12], v146 offset:1088
	s_waitcnt vmcnt(57) lgkmcnt(1)
	v_mul_f64 v[176:177], v[1:2], v[31:32]
	v_mul_f64 v[31:32], v[3:4], v[31:32]
	s_waitcnt vmcnt(56)
	v_fma_f64 v[165:166], v[5:6], v[174:175], -v[165:166]
	v_add_f64 v[13:14], v[13:14], v[159:160]
	v_fma_f64 v[159:160], v[7:8], v[174:175], v[161:162]
	v_add_f64 v[15:16], v[15:16], v[67:68]
	s_clause 0x2
	buffer_load_dword v154, off, s[0:3], 0 offset:668
	buffer_load_dword v68, off, s[0:3], 0 offset:644
	;; [unrolled: 1-line block ×3, first 2 shown]
	ds_read_b128 v[5:8], v146 offset:1104
	s_waitcnt vmcnt(58) lgkmcnt(1)
	v_mul_f64 v[161:162], v[9:10], v[155:156]
	v_mul_f64 v[155:156], v[11:12], v[155:156]
	s_waitcnt vmcnt(56)
	v_fma_f64 v[31:32], v[1:2], v[19:20], -v[31:32]
	v_fma_f64 v[19:20], v[3:4], v[19:20], v[176:177]
	v_add_f64 v[13:14], v[13:14], v[165:166]
	v_add_f64 v[15:16], v[15:16], v[159:160]
	s_clause 0x2
	buffer_load_dword v160, off, s[0:3], 0 offset:684
	buffer_load_dword v159, off, s[0:3], 0 offset:680
	;; [unrolled: 1-line block ×3, first 2 shown]
	ds_read_b128 v[1:4], v146 offset:1120
	s_waitcnt vmcnt(55) lgkmcnt(1)
	v_mul_f64 v[165:166], v[5:6], v[147:148]
	v_mul_f64 v[147:148], v[7:8], v[147:148]
	s_waitcnt vmcnt(54)
	v_fma_f64 v[155:156], v[9:10], v[170:171], -v[155:156]
	v_add_f64 v[13:14], v[13:14], v[31:32]
	v_fma_f64 v[31:32], v[11:12], v[170:171], v[161:162]
	v_add_f64 v[15:16], v[15:16], v[19:20]
	s_clause 0x1
	buffer_load_dword v20, off, s[0:3], 0 offset:676
	buffer_load_dword v19, off, s[0:3], 0 offset:672
	ds_read_b128 v[9:12], v146 offset:1136
	s_waitcnt vmcnt(55) lgkmcnt(1)
	v_mul_f64 v[161:162], v[1:2], v[149:150]
	v_mul_f64 v[149:150], v[3:4], v[149:150]
	s_waitcnt vmcnt(53)
	v_fma_f64 v[147:148], v[5:6], v[27:28], -v[147:148]
	v_fma_f64 v[27:28], v[7:8], v[27:28], v[165:166]
	ds_read_b128 v[5:8], v146 offset:1152
	v_add_f64 v[13:14], v[13:14], v[155:156]
	v_add_f64 v[15:16], v[15:16], v[31:32]
	s_waitcnt vmcnt(49) lgkmcnt(1)
	v_mul_f64 v[31:32], v[9:10], v[17:18]
	v_mul_f64 v[17:18], v[11:12], v[17:18]
	s_waitcnt vmcnt(48)
	v_fma_f64 v[149:150], v[1:2], v[157:158], -v[149:150]
	v_add_f64 v[13:14], v[13:14], v[147:148]
	v_fma_f64 v[147:148], v[3:4], v[157:158], v[161:162]
	v_add_f64 v[15:16], v[15:16], v[27:28]
	s_clause 0x3
	buffer_load_dword v27, off, s[0:3], 0 offset:96
	buffer_load_dword v28, off, s[0:3], 0 offset:100
	;; [unrolled: 1-line block ×4, first 2 shown]
	ds_read_b128 v[1:4], v146 offset:1168
	s_waitcnt vmcnt(51) lgkmcnt(1)
	v_mul_f64 v[157:158], v[5:6], v[45:46]
	v_mul_f64 v[45:46], v[7:8], v[45:46]
	s_waitcnt vmcnt(49)
	v_fma_f64 v[17:18], v[9:10], v[33:34], -v[17:18]
	v_fma_f64 v[31:32], v[11:12], v[33:34], v[31:32]
	ds_read_b128 v[9:12], v146 offset:1184
	v_add_f64 v[13:14], v[13:14], v[149:150]
	v_add_f64 v[15:16], v[15:16], v[147:148]
	s_waitcnt vmcnt(45) lgkmcnt(1)
	v_mul_f64 v[33:34], v[1:2], v[29:30]
	v_mul_f64 v[29:30], v[3:4], v[29:30]
	s_waitcnt vmcnt(44)
	v_fma_f64 v[45:46], v[5:6], v[151:152], -v[45:46]
	v_add_f64 v[13:14], v[13:14], v[17:18]
	v_fma_f64 v[17:18], v[7:8], v[151:152], v[157:158]
	v_add_f64 v[15:16], v[15:16], v[31:32]
	s_waitcnt vmcnt(43) lgkmcnt(0)
	v_mul_f64 v[31:32], v[9:10], v[51:52]
	v_mul_f64 v[51:52], v[11:12], v[51:52]
	ds_read_b128 v[5:8], v146 offset:1200
	s_waitcnt vmcnt(41)
	v_fma_f64 v[33:34], v[3:4], v[39:40], v[33:34]
	v_fma_f64 v[29:30], v[1:2], v[39:40], -v[29:30]
	ds_read_b128 v[1:4], v146 offset:1216
	v_add_f64 v[13:14], v[13:14], v[45:46]
	v_add_f64 v[15:16], v[15:16], v[17:18]
	s_waitcnt vmcnt(37) lgkmcnt(1)
	v_mul_f64 v[17:18], v[5:6], v[35:36]
	v_mul_f64 v[35:36], v[7:8], v[35:36]
	s_waitcnt vmcnt(36)
	v_fma_f64 v[39:40], v[9:10], v[53:54], -v[51:52]
	v_add_f64 v[13:14], v[13:14], v[29:30]
	v_fma_f64 v[29:30], v[11:12], v[53:54], v[31:32]
	v_add_f64 v[15:16], v[15:16], v[33:34]
	ds_read_b128 v[9:12], v146 offset:1232
	s_waitcnt vmcnt(35) lgkmcnt(1)
	v_mul_f64 v[33:34], v[3:4], v[59:60]
	v_mul_f64 v[31:32], v[1:2], v[59:60]
	s_waitcnt vmcnt(33)
	v_fma_f64 v[35:36], v[5:6], v[37:38], -v[35:36]
	v_fma_f64 v[17:18], v[7:8], v[37:38], v[17:18]
	ds_read_b128 v[5:8], v146 offset:1248
	v_add_f64 v[13:14], v[13:14], v[39:40]
	v_add_f64 v[15:16], v[15:16], v[29:30]
	s_waitcnt vmcnt(29) lgkmcnt(1)
	v_mul_f64 v[37:38], v[11:12], v[43:44]
	s_waitcnt vmcnt(28)
	v_fma_f64 v[33:34], v[1:2], v[65:66], -v[33:34]
	v_mul_f64 v[29:30], v[9:10], v[43:44]
	v_fma_f64 v[31:32], v[3:4], v[65:66], v[31:32]
	ds_read_b128 v[1:4], v146 offset:1264
	v_add_f64 v[13:14], v[13:14], v[35:36]
	v_add_f64 v[15:16], v[15:16], v[17:18]
	s_waitcnt vmcnt(27) lgkmcnt(1)
	v_mul_f64 v[35:36], v[7:8], v[69:70]
	v_mul_f64 v[17:18], v[5:6], v[69:70]
	s_waitcnt vmcnt(25)
	v_fma_f64 v[37:38], v[9:10], v[47:48], -v[37:38]
	v_fma_f64 v[29:30], v[11:12], v[47:48], v[29:30]
	ds_read_b128 v[9:12], v146 offset:1280
	v_add_f64 v[13:14], v[13:14], v[33:34]
	v_add_f64 v[15:16], v[15:16], v[31:32]
	s_waitcnt vmcnt(21) lgkmcnt(1)
	v_mul_f64 v[33:34], v[3:4], v[49:50]
	s_waitcnt vmcnt(20)
	v_fma_f64 v[35:36], v[5:6], v[71:72], -v[35:36]
	v_mul_f64 v[31:32], v[1:2], v[49:50]
	v_fma_f64 v[17:18], v[7:8], v[71:72], v[17:18]
	ds_read_b128 v[5:8], v146 offset:1296
	v_add_f64 v[13:14], v[13:14], v[37:38]
	v_add_f64 v[15:16], v[15:16], v[29:30]
	;; [unrolled: 18-line block ×3, first 2 shown]
	s_waitcnt vmcnt(11) lgkmcnt(1)
	v_mul_f64 v[33:34], v[3:4], v[153:154]
	v_mul_f64 v[31:32], v[1:2], v[153:154]
	s_waitcnt vmcnt(9)
	v_fma_f64 v[5:6], v[5:6], v[67:68], -v[35:36]
	v_fma_f64 v[7:8], v[7:8], v[67:68], v[17:18]
	v_add_f64 v[13:14], v[13:14], v[37:38]
	v_add_f64 v[15:16], v[15:16], v[29:30]
	s_waitcnt vmcnt(7) lgkmcnt(0)
	v_mul_f64 v[29:30], v[11:12], v[159:160]
	s_waitcnt vmcnt(6)
	v_fma_f64 v[1:2], v[1:2], v[172:173], -v[33:34]
	v_mul_f64 v[17:18], v[9:10], v[159:160]
	v_fma_f64 v[3:4], v[3:4], v[172:173], v[31:32]
	v_add_f64 v[5:6], v[13:14], v[5:6]
	v_add_f64 v[7:8], v[15:16], v[7:8]
	s_waitcnt vmcnt(4)
	v_fma_f64 v[9:10], v[9:10], v[19:20], -v[29:30]
	v_add_f64 v[1:2], v[5:6], v[1:2]
	v_fma_f64 v[5:6], v[11:12], v[19:20], v[17:18]
	v_add_f64 v[3:4], v[7:8], v[3:4]
	v_add_f64 v[1:2], v[1:2], v[9:10]
	;; [unrolled: 1-line block ×3, first 2 shown]
	s_waitcnt vmcnt(2)
	v_add_f64 v[1:2], v[27:28], -v[1:2]
	s_waitcnt vmcnt(0)
	v_add_f64 v[3:4], v[155:156], -v[3:4]
	buffer_store_dword v2, off, s[0:3], 0 offset:100
	buffer_store_dword v1, off, s[0:3], 0 offset:96
	;; [unrolled: 1-line block ×4, first 2 shown]
	v_cmpx_lt_u32_e32 4, v0
	s_cbranch_execz .LBB41_257
; %bb.256:
	v_mov_b32_e32 v4, s50
	v_mov_b32_e32 v5, 0
	s_clause 0x3
	buffer_load_dword v1, v4, s[0:3], 0 offen
	buffer_load_dword v2, v4, s[0:3], 0 offen offset:4
	buffer_load_dword v3, v4, s[0:3], 0 offen offset:8
	;; [unrolled: 1-line block ×3, first 2 shown]
	buffer_store_dword v5, off, s[0:3], 0 offset:80
	buffer_store_dword v5, off, s[0:3], 0 offset:84
	buffer_store_dword v5, off, s[0:3], 0 offset:88
	buffer_store_dword v5, off, s[0:3], 0 offset:92
	s_waitcnt vmcnt(0)
	ds_write_b128 v145, v[1:4]
.LBB41_257:
	s_or_b32 exec_lo, exec_lo, s4
	s_waitcnt lgkmcnt(0)
	s_waitcnt_vscnt null, 0x0
	s_barrier
	buffer_gl0_inv
	s_clause 0x37
	buffer_load_dword v9, off, s[0:3], 0 offset:104
	buffer_load_dword v10, off, s[0:3], 0 offset:108
	;; [unrolled: 1-line block ×56, first 2 shown]
	v_mov_b32_e32 v146, 0
	s_mov_b32 s4, exec_lo
	ds_read_b128 v[147:150], v146 offset:752
	s_clause 0x2
	buffer_load_dword v70, off, s[0:3], 0 offset:332
	buffer_load_dword v72, off, s[0:3], 0 offset:308
	;; [unrolled: 1-line block ×3, first 2 shown]
	ds_read_b128 v[151:154], v146 offset:768
	s_clause 0x4
	buffer_load_dword v162, off, s[0:3], 0 offset:348
	buffer_load_dword v163, off, s[0:3], 0 offset:360
	;; [unrolled: 1-line block ×5, first 2 shown]
	ds_read_b128 v[155:158], v146 offset:784
	s_clause 0x2
	buffer_load_dword v164, off, s[0:3], 0 offset:364
	buffer_load_dword v169, off, s[0:3], 0 offset:340
	;; [unrolled: 1-line block ×3, first 2 shown]
	s_waitcnt vmcnt(62) lgkmcnt(2)
	v_mul_f64 v[159:160], v[149:150], v[9:10]
	v_mul_f64 v[9:10], v[147:148], v[9:10]
	s_waitcnt lgkmcnt(1)
	v_mul_f64 v[166:167], v[153:154], v[5:6]
	s_waitcnt vmcnt(59) lgkmcnt(0)
	v_mul_f64 v[170:171], v[157:158], v[3:4]
	v_fma_f64 v[147:148], v[147:148], v[7:8], -v[159:160]
	v_mul_f64 v[159:160], v[151:152], v[5:6]
	v_fma_f64 v[9:10], v[149:150], v[7:8], v[9:10]
	s_waitcnt vmcnt(57)
	v_fma_f64 v[151:152], v[151:152], v[1:2], -v[166:167]
	ds_read_b128 v[5:8], v146 offset:800
	v_mul_f64 v[149:150], v[155:156], v[3:4]
	s_waitcnt vmcnt(51)
	v_fma_f64 v[155:156], v[155:156], v[31:32], -v[170:171]
	v_add_f64 v[147:148], v[147:148], 0
	v_fma_f64 v[153:154], v[153:154], v[1:2], v[159:160]
	v_add_f64 v[9:10], v[9:10], 0
	s_clause 0x4
	buffer_load_dword v160, off, s[0:3], 0 offset:380
	buffer_load_dword v172, off, s[0:3], 0 offset:392
	;; [unrolled: 1-line block ×5, first 2 shown]
	s_waitcnt lgkmcnt(0)
	v_mul_f64 v[175:176], v[5:6], v[13:14]
	v_mul_f64 v[13:14], v[7:8], v[13:14]
	ds_read_b128 v[1:4], v146 offset:816
	v_fma_f64 v[31:32], v[157:158], v[31:32], v[149:150]
	v_add_f64 v[151:152], v[147:148], v[151:152]
	v_add_f64 v[9:10], v[9:10], v[153:154]
	s_clause 0x2
	buffer_load_dword v173, off, s[0:3], 0 offset:396
	buffer_load_dword v154, off, s[0:3], 0 offset:372
	;; [unrolled: 1-line block ×3, first 2 shown]
	s_waitcnt vmcnt(58) lgkmcnt(0)
	v_mul_f64 v[157:158], v[1:2], v[17:18]
	v_mul_f64 v[17:18], v[3:4], v[17:18]
	s_waitcnt vmcnt(56)
	v_fma_f64 v[13:14], v[5:6], v[19:20], -v[13:14]
	ds_read_b128 v[147:150], v146 offset:832
	v_fma_f64 v[19:20], v[7:8], v[19:20], v[175:176]
	v_add_f64 v[151:152], v[151:152], v[155:156]
	v_add_f64 v[9:10], v[9:10], v[31:32]
	s_clause 0x4
	buffer_load_dword v32, off, s[0:3], 0 offset:412
	buffer_load_dword v155, off, s[0:3], 0 offset:424
	;; [unrolled: 1-line block ×5, first 2 shown]
	ds_read_b128 v[5:8], v146 offset:848
	s_waitcnt vmcnt(57) lgkmcnt(1)
	v_mul_f64 v[176:177], v[147:148], v[27:28]
	v_mul_f64 v[27:28], v[149:150], v[27:28]
	s_waitcnt vmcnt(56)
	v_fma_f64 v[17:18], v[1:2], v[11:12], -v[17:18]
	v_fma_f64 v[11:12], v[3:4], v[11:12], v[157:158]
	v_add_f64 v[13:14], v[151:152], v[13:14]
	v_add_f64 v[9:10], v[9:10], v[19:20]
	s_clause 0x2
	buffer_load_dword v156, off, s[0:3], 0 offset:428
	buffer_load_dword v20, off, s[0:3], 0 offset:404
	;; [unrolled: 1-line block ×3, first 2 shown]
	s_waitcnt vmcnt(58) lgkmcnt(0)
	v_mul_f64 v[151:152], v[5:6], v[33:34]
	v_mul_f64 v[33:34], v[7:8], v[33:34]
	s_waitcnt vmcnt(56)
	v_fma_f64 v[27:28], v[147:148], v[35:36], -v[27:28]
	ds_read_b128 v[1:4], v146 offset:864
	v_add_f64 v[13:14], v[13:14], v[17:18]
	v_fma_f64 v[17:18], v[149:150], v[35:36], v[176:177]
	v_add_f64 v[35:36], v[9:10], v[11:12]
	s_clause 0x4
	buffer_load_dword v148, off, s[0:3], 0 offset:444
	buffer_load_dword v149, off, s[0:3], 0 offset:456
	buffer_load_dword v157, off, s[0:3], 0 offset:448
	buffer_load_dword v147, off, s[0:3], 0 offset:440
	buffer_load_dword v171, off, s[0:3], 0 offset:420
	ds_read_b128 v[9:12], v146 offset:880
	s_waitcnt vmcnt(57) lgkmcnt(1)
	v_mul_f64 v[176:177], v[1:2], v[37:38]
	v_mul_f64 v[37:38], v[3:4], v[37:38]
	s_waitcnt vmcnt(56)
	v_fma_f64 v[33:34], v[5:6], v[15:16], -v[33:34]
	v_fma_f64 v[15:16], v[7:8], v[15:16], v[151:152]
	v_add_f64 v[13:14], v[13:14], v[27:28]
	s_clause 0x2
	buffer_load_dword v150, off, s[0:3], 0 offset:460
	buffer_load_dword v28, off, s[0:3], 0 offset:436
	;; [unrolled: 1-line block ×3, first 2 shown]
	v_add_f64 v[17:18], v[35:36], v[17:18]
	s_waitcnt vmcnt(58) lgkmcnt(0)
	v_mul_f64 v[35:36], v[9:10], v[43:44]
	v_mul_f64 v[43:44], v[11:12], v[43:44]
	ds_read_b128 v[5:8], v146 offset:896
	s_waitcnt vmcnt(56)
	v_fma_f64 v[37:38], v[1:2], v[45:46], -v[37:38]
	v_add_f64 v[13:14], v[13:14], v[33:34]
	v_fma_f64 v[33:34], v[3:4], v[45:46], v[176:177]
	v_add_f64 v[15:16], v[17:18], v[15:16]
	s_clause 0x4
	buffer_load_dword v18, off, s[0:3], 0 offset:476
	buffer_load_dword v45, off, s[0:3], 0 offset:488
	;; [unrolled: 1-line block ×5, first 2 shown]
	s_waitcnt vmcnt(57) lgkmcnt(0)
	v_mul_f64 v[176:177], v[5:6], v[47:48]
	v_mul_f64 v[47:48], v[7:8], v[47:48]
	s_waitcnt vmcnt(56)
	v_fma_f64 v[43:44], v[9:10], v[29:30], -v[43:44]
	ds_read_b128 v[1:4], v146 offset:912
	v_fma_f64 v[29:30], v[11:12], v[29:30], v[35:36]
	v_add_f64 v[13:14], v[13:14], v[37:38]
	v_add_f64 v[15:16], v[15:16], v[33:34]
	s_clause 0x2
	buffer_load_dword v46, off, s[0:3], 0 offset:492
	buffer_load_dword v34, off, s[0:3], 0 offset:468
	;; [unrolled: 1-line block ×3, first 2 shown]
	ds_read_b128 v[9:12], v146 offset:928
	s_waitcnt vmcnt(58) lgkmcnt(1)
	v_mul_f64 v[37:38], v[3:4], v[51:52]
	s_waitcnt vmcnt(56)
	v_fma_f64 v[47:48], v[5:6], v[53:54], -v[47:48]
	v_mul_f64 v[35:36], v[1:2], v[51:52]
	v_add_f64 v[13:14], v[13:14], v[43:44]
	v_fma_f64 v[43:44], v[7:8], v[53:54], v[176:177]
	v_add_f64 v[15:16], v[15:16], v[29:30]
	s_clause 0x4
	buffer_load_dword v30, off, s[0:3], 0 offset:508
	buffer_load_dword v51, off, s[0:3], 0 offset:520
	;; [unrolled: 1-line block ×5, first 2 shown]
	s_waitcnt vmcnt(57) lgkmcnt(0)
	v_mul_f64 v[176:177], v[9:10], v[55:56]
	v_mul_f64 v[54:55], v[11:12], v[55:56]
	s_waitcnt vmcnt(56)
	v_fma_f64 v[37:38], v[1:2], v[39:40], -v[37:38]
	ds_read_b128 v[5:8], v146 offset:944
	v_fma_f64 v[35:36], v[3:4], v[39:40], v[35:36]
	s_clause 0x2
	buffer_load_dword v52, off, s[0:3], 0 offset:524
	buffer_load_dword v40, off, s[0:3], 0 offset:500
	;; [unrolled: 1-line block ×3, first 2 shown]
	ds_read_b128 v[1:4], v146 offset:960
	v_add_f64 v[13:14], v[13:14], v[47:48]
	v_add_f64 v[15:16], v[15:16], v[43:44]
	s_waitcnt vmcnt(58) lgkmcnt(1)
	v_mul_f64 v[47:48], v[7:8], v[59:60]
	s_waitcnt vmcnt(56)
	v_fma_f64 v[55:56], v[9:10], v[65:66], -v[54:55]
	v_mul_f64 v[43:44], v[5:6], v[59:60]
	v_add_f64 v[13:14], v[13:14], v[37:38]
	v_fma_f64 v[37:38], v[11:12], v[65:66], v[176:177]
	v_add_f64 v[15:16], v[15:16], v[35:36]
	s_clause 0x4
	buffer_load_dword v36, off, s[0:3], 0 offset:540
	buffer_load_dword v59, off, s[0:3], 0 offset:552
	;; [unrolled: 1-line block ×5, first 2 shown]
	s_waitcnt vmcnt(57) lgkmcnt(0)
	v_mul_f64 v[176:177], v[1:2], v[67:68]
	v_mul_f64 v[66:67], v[3:4], v[67:68]
	s_waitcnt vmcnt(56)
	v_fma_f64 v[47:48], v[5:6], v[49:50], -v[47:48]
	ds_read_b128 v[9:12], v146 offset:976
	v_fma_f64 v[43:44], v[7:8], v[49:50], v[43:44]
	v_add_f64 v[13:14], v[13:14], v[55:56]
	v_add_f64 v[15:16], v[15:16], v[37:38]
	s_clause 0x2
	buffer_load_dword v60, off, s[0:3], 0 offset:556
	buffer_load_dword v38, off, s[0:3], 0 offset:532
	;; [unrolled: 1-line block ×3, first 2 shown]
	ds_read_b128 v[5:8], v146 offset:992
	s_waitcnt vmcnt(58) lgkmcnt(1)
	v_mul_f64 v[55:56], v[11:12], v[69:70]
	s_waitcnt vmcnt(56)
	v_fma_f64 v[67:68], v[1:2], v[71:72], -v[66:67]
	v_mul_f64 v[49:50], v[9:10], v[69:70]
	v_add_f64 v[13:14], v[13:14], v[47:48]
	v_fma_f64 v[47:48], v[3:4], v[71:72], v[176:177]
	v_add_f64 v[15:16], v[15:16], v[43:44]
	s_clause 0x4
	buffer_load_dword v44, off, s[0:3], 0 offset:572
	buffer_load_dword v69, off, s[0:3], 0 offset:584
	;; [unrolled: 1-line block ×5, first 2 shown]
	s_waitcnt vmcnt(57) lgkmcnt(0)
	v_mul_f64 v[176:177], v[5:6], v[161:162]
	v_mul_f64 v[161:162], v[7:8], v[161:162]
	s_waitcnt vmcnt(56)
	v_fma_f64 v[55:56], v[9:10], v[57:58], -v[55:56]
	ds_read_b128 v[1:4], v146 offset:1008
	v_fma_f64 v[49:50], v[11:12], v[57:58], v[49:50]
	v_add_f64 v[13:14], v[13:14], v[67:68]
	v_add_f64 v[15:16], v[15:16], v[47:48]
	s_clause 0x2
	buffer_load_dword v70, off, s[0:3], 0 offset:588
	buffer_load_dword v48, off, s[0:3], 0 offset:564
	;; [unrolled: 1-line block ×3, first 2 shown]
	ds_read_b128 v[9:12], v146 offset:1024
	s_waitcnt vmcnt(58) lgkmcnt(1)
	v_mul_f64 v[67:68], v[3:4], v[163:164]
	s_waitcnt vmcnt(56)
	v_fma_f64 v[161:162], v[5:6], v[168:169], -v[161:162]
	v_mul_f64 v[57:58], v[1:2], v[163:164]
	v_add_f64 v[13:14], v[13:14], v[55:56]
	v_fma_f64 v[55:56], v[7:8], v[168:169], v[176:177]
	v_add_f64 v[15:16], v[15:16], v[49:50]
	s_clause 0x4
	buffer_load_dword v50, off, s[0:3], 0 offset:604
	buffer_load_dword v163, off, s[0:3], 0 offset:616
	;; [unrolled: 1-line block ×5, first 2 shown]
	ds_read_b128 v[5:8], v146 offset:1040
	s_waitcnt vmcnt(57) lgkmcnt(1)
	v_mul_f64 v[168:169], v[9:10], v[159:160]
	v_mul_f64 v[159:160], v[11:12], v[159:160]
	s_waitcnt vmcnt(56)
	v_fma_f64 v[67:68], v[1:2], v[165:166], -v[67:68]
	v_fma_f64 v[57:58], v[3:4], v[165:166], v[57:58]
	v_add_f64 v[13:14], v[13:14], v[161:162]
	v_add_f64 v[15:16], v[15:16], v[55:56]
	s_clause 0x2
	buffer_load_dword v164, off, s[0:3], 0 offset:620
	buffer_load_dword v56, off, s[0:3], 0 offset:596
	;; [unrolled: 1-line block ×3, first 2 shown]
	ds_read_b128 v[1:4], v146 offset:1056
	s_waitcnt vmcnt(58) lgkmcnt(1)
	v_mul_f64 v[165:166], v[7:8], v[172:173]
	v_mul_f64 v[161:162], v[5:6], v[172:173]
	s_waitcnt vmcnt(56)
	v_fma_f64 v[159:160], v[9:10], v[153:154], -v[159:160]
	v_add_f64 v[13:14], v[13:14], v[67:68]
	v_fma_f64 v[67:68], v[11:12], v[153:154], v[168:169]
	v_add_f64 v[15:16], v[15:16], v[57:58]
	s_clause 0x4
	buffer_load_dword v58, off, s[0:3], 0 offset:636
	buffer_load_dword v153, off, s[0:3], 0 offset:648
	;; [unrolled: 1-line block ×5, first 2 shown]
	ds_read_b128 v[9:12], v146 offset:1072
	s_waitcnt vmcnt(57) lgkmcnt(1)
	v_mul_f64 v[176:177], v[1:2], v[31:32]
	v_mul_f64 v[31:32], v[3:4], v[31:32]
	s_waitcnt vmcnt(56)
	v_fma_f64 v[165:166], v[5:6], v[174:175], -v[165:166]
	v_add_f64 v[13:14], v[13:14], v[159:160]
	v_fma_f64 v[159:160], v[7:8], v[174:175], v[161:162]
	v_add_f64 v[15:16], v[15:16], v[67:68]
	s_clause 0x2
	buffer_load_dword v154, off, s[0:3], 0 offset:652
	buffer_load_dword v68, off, s[0:3], 0 offset:628
	;; [unrolled: 1-line block ×3, first 2 shown]
	ds_read_b128 v[5:8], v146 offset:1088
	s_waitcnt vmcnt(58) lgkmcnt(1)
	v_mul_f64 v[161:162], v[9:10], v[155:156]
	v_mul_f64 v[155:156], v[11:12], v[155:156]
	s_waitcnt vmcnt(56)
	v_fma_f64 v[31:32], v[1:2], v[19:20], -v[31:32]
	v_fma_f64 v[19:20], v[3:4], v[19:20], v[176:177]
	v_add_f64 v[13:14], v[13:14], v[165:166]
	v_add_f64 v[15:16], v[15:16], v[159:160]
	s_clause 0x4
	buffer_load_dword v160, off, s[0:3], 0 offset:668
	buffer_load_dword v165, off, s[0:3], 0 offset:680
	;; [unrolled: 1-line block ×5, first 2 shown]
	ds_read_b128 v[1:4], v146 offset:1104
	s_waitcnt vmcnt(57) lgkmcnt(1)
	v_mul_f64 v[174:175], v[5:6], v[147:148]
	v_mul_f64 v[147:148], v[7:8], v[147:148]
	s_waitcnt vmcnt(56)
	v_fma_f64 v[155:156], v[9:10], v[170:171], -v[155:156]
	v_add_f64 v[13:14], v[13:14], v[31:32]
	v_fma_f64 v[31:32], v[11:12], v[170:171], v[161:162]
	v_add_f64 v[15:16], v[15:16], v[19:20]
	s_clause 0x2
	buffer_load_dword v166, off, s[0:3], 0 offset:684
	buffer_load_dword v20, off, s[0:3], 0 offset:660
	;; [unrolled: 1-line block ×3, first 2 shown]
	ds_read_b128 v[9:12], v146 offset:1120
	buffer_load_dword v170, off, s[0:3], 0 offset:676
	s_waitcnt vmcnt(59) lgkmcnt(1)
	v_mul_f64 v[161:162], v[1:2], v[149:150]
	v_mul_f64 v[149:150], v[3:4], v[149:150]
	s_waitcnt vmcnt(57)
	v_fma_f64 v[147:148], v[5:6], v[27:28], -v[147:148]
	v_fma_f64 v[27:28], v[7:8], v[27:28], v[174:175]
	ds_read_b128 v[5:8], v146 offset:1136
	v_add_f64 v[13:14], v[13:14], v[155:156]
	v_add_f64 v[15:16], v[15:16], v[31:32]
	s_waitcnt vmcnt(53) lgkmcnt(1)
	v_mul_f64 v[31:32], v[9:10], v[17:18]
	v_mul_f64 v[17:18], v[11:12], v[17:18]
	s_waitcnt vmcnt(52)
	v_fma_f64 v[149:150], v[1:2], v[157:158], -v[149:150]
	v_add_f64 v[13:14], v[13:14], v[147:148]
	v_fma_f64 v[147:148], v[3:4], v[157:158], v[161:162]
	v_add_f64 v[15:16], v[15:16], v[27:28]
	ds_read_b128 v[1:4], v146 offset:1152
	s_waitcnt vmcnt(51) lgkmcnt(1)
	v_mul_f64 v[27:28], v[5:6], v[45:46]
	v_mul_f64 v[45:46], v[7:8], v[45:46]
	s_waitcnt vmcnt(49)
	v_fma_f64 v[17:18], v[9:10], v[33:34], -v[17:18]
	v_fma_f64 v[31:32], v[11:12], v[33:34], v[31:32]
	v_add_f64 v[13:14], v[13:14], v[149:150]
	v_add_f64 v[15:16], v[15:16], v[147:148]
	s_clause 0x3
	buffer_load_dword v33, off, s[0:3], 0 offset:80
	buffer_load_dword v34, off, s[0:3], 0 offset:84
	;; [unrolled: 1-line block ×4, first 2 shown]
	ds_read_b128 v[9:12], v146 offset:1168
	s_waitcnt vmcnt(49) lgkmcnt(1)
	v_mul_f64 v[149:150], v[1:2], v[29:30]
	v_mul_f64 v[29:30], v[3:4], v[29:30]
	s_waitcnt vmcnt(48)
	v_fma_f64 v[45:46], v[5:6], v[151:152], -v[45:46]
	v_add_f64 v[13:14], v[13:14], v[17:18]
	v_fma_f64 v[17:18], v[7:8], v[151:152], v[27:28]
	v_add_f64 v[15:16], v[15:16], v[31:32]
	ds_read_b128 v[5:8], v146 offset:1184
	s_waitcnt vmcnt(47) lgkmcnt(1)
	v_mul_f64 v[31:32], v[11:12], v[51:52]
	v_mul_f64 v[27:28], v[9:10], v[51:52]
	s_waitcnt vmcnt(45)
	v_fma_f64 v[29:30], v[1:2], v[39:40], -v[29:30]
	v_fma_f64 v[39:40], v[3:4], v[39:40], v[149:150]
	ds_read_b128 v[1:4], v146 offset:1200
	v_add_f64 v[13:14], v[13:14], v[45:46]
	v_add_f64 v[15:16], v[15:16], v[17:18]
	s_waitcnt vmcnt(41) lgkmcnt(1)
	v_mul_f64 v[17:18], v[5:6], v[35:36]
	v_mul_f64 v[35:36], v[7:8], v[35:36]
	s_waitcnt vmcnt(40)
	v_fma_f64 v[31:32], v[9:10], v[53:54], -v[31:32]
	v_fma_f64 v[27:28], v[11:12], v[53:54], v[27:28]
	ds_read_b128 v[9:12], v146 offset:1216
	v_add_f64 v[13:14], v[13:14], v[29:30]
	v_add_f64 v[15:16], v[15:16], v[39:40]
	;; [unrolled: 9-line block ×3, first 2 shown]
	s_waitcnt vmcnt(33) lgkmcnt(1)
	v_mul_f64 v[31:32], v[11:12], v[43:44]
	s_waitcnt vmcnt(32)
	v_fma_f64 v[37:38], v[1:2], v[65:66], -v[39:40]
	v_mul_f64 v[27:28], v[9:10], v[43:44]
	v_fma_f64 v[29:30], v[3:4], v[65:66], v[29:30]
	ds_read_b128 v[1:4], v146 offset:1248
	v_add_f64 v[13:14], v[13:14], v[35:36]
	v_add_f64 v[15:16], v[15:16], v[17:18]
	s_waitcnt vmcnt(31) lgkmcnt(1)
	v_mul_f64 v[35:36], v[7:8], v[69:70]
	v_mul_f64 v[17:18], v[5:6], v[69:70]
	s_waitcnt vmcnt(29)
	v_fma_f64 v[31:32], v[9:10], v[47:48], -v[31:32]
	v_fma_f64 v[27:28], v[11:12], v[47:48], v[27:28]
	ds_read_b128 v[9:12], v146 offset:1264
	v_add_f64 v[13:14], v[13:14], v[37:38]
	v_add_f64 v[15:16], v[15:16], v[29:30]
	s_waitcnt vmcnt(25) lgkmcnt(1)
	v_mul_f64 v[37:38], v[3:4], v[49:50]
	s_waitcnt vmcnt(24)
	v_fma_f64 v[35:36], v[5:6], v[71:72], -v[35:36]
	v_mul_f64 v[29:30], v[1:2], v[49:50]
	v_fma_f64 v[17:18], v[7:8], v[71:72], v[17:18]
	ds_read_b128 v[5:8], v146 offset:1280
	v_add_f64 v[13:14], v[13:14], v[31:32]
	v_add_f64 v[15:16], v[15:16], v[27:28]
	s_waitcnt vmcnt(23) lgkmcnt(1)
	v_mul_f64 v[31:32], v[11:12], v[163:164]
	v_mul_f64 v[27:28], v[9:10], v[163:164]
	s_waitcnt vmcnt(21)
	v_fma_f64 v[37:38], v[1:2], v[55:56], -v[37:38]
	v_fma_f64 v[29:30], v[3:4], v[55:56], v[29:30]
	ds_read_b128 v[1:4], v146 offset:1296
	v_add_f64 v[13:14], v[13:14], v[35:36]
	v_add_f64 v[15:16], v[15:16], v[17:18]
	s_waitcnt vmcnt(17) lgkmcnt(1)
	v_mul_f64 v[35:36], v[7:8], v[57:58]
	s_waitcnt vmcnt(16)
	v_fma_f64 v[31:32], v[9:10], v[167:168], -v[31:32]
	v_mul_f64 v[17:18], v[5:6], v[57:58]
	v_fma_f64 v[27:28], v[11:12], v[167:168], v[27:28]
	ds_read_b128 v[9:12], v146 offset:1312
	v_add_f64 v[13:14], v[13:14], v[37:38]
	v_add_f64 v[15:16], v[15:16], v[29:30]
	s_waitcnt vmcnt(15) lgkmcnt(1)
	v_mul_f64 v[37:38], v[3:4], v[153:154]
	v_mul_f64 v[29:30], v[1:2], v[153:154]
	s_waitcnt vmcnt(13)
	v_fma_f64 v[35:36], v[5:6], v[67:68], -v[35:36]
	v_fma_f64 v[17:18], v[7:8], v[67:68], v[17:18]
	ds_read_b128 v[5:8], v146 offset:1328
	v_add_f64 v[13:14], v[13:14], v[31:32]
	v_add_f64 v[15:16], v[15:16], v[27:28]
	s_waitcnt vmcnt(9) lgkmcnt(1)
	v_mul_f64 v[31:32], v[11:12], v[159:160]
	s_waitcnt vmcnt(8)
	v_fma_f64 v[1:2], v[1:2], v[172:173], -v[37:38]
	v_mul_f64 v[27:28], v[9:10], v[159:160]
	v_fma_f64 v[3:4], v[3:4], v[172:173], v[29:30]
	v_add_f64 v[13:14], v[13:14], v[35:36]
	v_add_f64 v[15:16], v[15:16], v[17:18]
	s_waitcnt vmcnt(7) lgkmcnt(0)
	v_mul_f64 v[29:30], v[7:8], v[165:166]
	v_mul_f64 v[17:18], v[5:6], v[165:166]
	s_waitcnt vmcnt(5)
	v_fma_f64 v[9:10], v[9:10], v[19:20], -v[31:32]
	v_fma_f64 v[11:12], v[11:12], v[19:20], v[27:28]
	v_add_f64 v[1:2], v[13:14], v[1:2]
	v_add_f64 v[3:4], v[15:16], v[3:4]
	s_waitcnt vmcnt(4)
	v_fma_f64 v[5:6], v[5:6], v[169:170], -v[29:30]
	v_fma_f64 v[7:8], v[7:8], v[169:170], v[17:18]
	v_add_f64 v[1:2], v[1:2], v[9:10]
	v_add_f64 v[3:4], v[3:4], v[11:12]
	;; [unrolled: 1-line block ×4, first 2 shown]
	s_waitcnt vmcnt(2)
	v_add_f64 v[1:2], v[33:34], -v[1:2]
	s_waitcnt vmcnt(0)
	v_add_f64 v[3:4], v[147:148], -v[3:4]
	buffer_store_dword v2, off, s[0:3], 0 offset:84
	buffer_store_dword v1, off, s[0:3], 0 offset:80
	;; [unrolled: 1-line block ×4, first 2 shown]
	v_cmpx_lt_u32_e32 3, v0
	s_cbranch_execz .LBB41_259
; %bb.258:
	v_mov_b32_e32 v4, s51
	s_clause 0x3
	buffer_load_dword v1, v4, s[0:3], 0 offen
	buffer_load_dword v2, v4, s[0:3], 0 offen offset:4
	buffer_load_dword v3, v4, s[0:3], 0 offen offset:8
	;; [unrolled: 1-line block ×3, first 2 shown]
	buffer_store_dword v146, off, s[0:3], 0 offset:64
	buffer_store_dword v146, off, s[0:3], 0 offset:68
	buffer_store_dword v146, off, s[0:3], 0 offset:72
	buffer_store_dword v146, off, s[0:3], 0 offset:76
	s_waitcnt vmcnt(0)
	ds_write_b128 v145, v[1:4]
.LBB41_259:
	s_or_b32 exec_lo, exec_lo, s4
	s_waitcnt lgkmcnt(0)
	s_waitcnt_vscnt null, 0x0
	s_barrier
	buffer_gl0_inv
	s_clause 0x37
	buffer_load_dword v9, off, s[0:3], 0 offset:88
	buffer_load_dword v10, off, s[0:3], 0 offset:92
	;; [unrolled: 1-line block ×56, first 2 shown]
	ds_read_b128 v[147:150], v146 offset:736
	s_clause 0x2
	buffer_load_dword v70, off, s[0:3], 0 offset:316
	buffer_load_dword v72, off, s[0:3], 0 offset:292
	;; [unrolled: 1-line block ×3, first 2 shown]
	ds_read_b128 v[151:154], v146 offset:752
	s_clause 0x4
	buffer_load_dword v162, off, s[0:3], 0 offset:332
	buffer_load_dword v163, off, s[0:3], 0 offset:344
	;; [unrolled: 1-line block ×5, first 2 shown]
	ds_read_b128 v[155:158], v146 offset:768
	s_clause 0x2
	buffer_load_dword v164, off, s[0:3], 0 offset:348
	buffer_load_dword v169, off, s[0:3], 0 offset:324
	;; [unrolled: 1-line block ×3, first 2 shown]
	s_mov_b32 s4, exec_lo
	s_waitcnt vmcnt(62) lgkmcnt(2)
	v_mul_f64 v[159:160], v[149:150], v[9:10]
	v_mul_f64 v[9:10], v[147:148], v[9:10]
	s_waitcnt lgkmcnt(1)
	v_mul_f64 v[166:167], v[153:154], v[5:6]
	s_waitcnt vmcnt(59) lgkmcnt(0)
	v_mul_f64 v[170:171], v[157:158], v[3:4]
	v_fma_f64 v[147:148], v[147:148], v[7:8], -v[159:160]
	v_mul_f64 v[159:160], v[151:152], v[5:6]
	v_fma_f64 v[9:10], v[149:150], v[7:8], v[9:10]
	s_waitcnt vmcnt(57)
	v_fma_f64 v[151:152], v[151:152], v[1:2], -v[166:167]
	ds_read_b128 v[5:8], v146 offset:784
	v_mul_f64 v[149:150], v[155:156], v[3:4]
	s_waitcnt vmcnt(51)
	v_fma_f64 v[155:156], v[155:156], v[31:32], -v[170:171]
	v_add_f64 v[147:148], v[147:148], 0
	v_fma_f64 v[153:154], v[153:154], v[1:2], v[159:160]
	v_add_f64 v[9:10], v[9:10], 0
	s_clause 0x4
	buffer_load_dword v160, off, s[0:3], 0 offset:364
	buffer_load_dword v172, off, s[0:3], 0 offset:376
	;; [unrolled: 1-line block ×5, first 2 shown]
	s_waitcnt lgkmcnt(0)
	v_mul_f64 v[175:176], v[5:6], v[13:14]
	v_mul_f64 v[13:14], v[7:8], v[13:14]
	ds_read_b128 v[1:4], v146 offset:800
	v_fma_f64 v[31:32], v[157:158], v[31:32], v[149:150]
	v_add_f64 v[151:152], v[147:148], v[151:152]
	v_add_f64 v[9:10], v[9:10], v[153:154]
	s_clause 0x2
	buffer_load_dword v173, off, s[0:3], 0 offset:380
	buffer_load_dword v154, off, s[0:3], 0 offset:356
	;; [unrolled: 1-line block ×3, first 2 shown]
	s_waitcnt vmcnt(58) lgkmcnt(0)
	v_mul_f64 v[157:158], v[1:2], v[17:18]
	v_mul_f64 v[17:18], v[3:4], v[17:18]
	s_waitcnt vmcnt(56)
	v_fma_f64 v[13:14], v[5:6], v[19:20], -v[13:14]
	ds_read_b128 v[147:150], v146 offset:816
	v_fma_f64 v[19:20], v[7:8], v[19:20], v[175:176]
	v_add_f64 v[151:152], v[151:152], v[155:156]
	v_add_f64 v[9:10], v[9:10], v[31:32]
	s_clause 0x4
	buffer_load_dword v32, off, s[0:3], 0 offset:396
	buffer_load_dword v155, off, s[0:3], 0 offset:408
	;; [unrolled: 1-line block ×5, first 2 shown]
	ds_read_b128 v[5:8], v146 offset:832
	s_waitcnt vmcnt(57) lgkmcnt(1)
	v_mul_f64 v[176:177], v[147:148], v[27:28]
	v_mul_f64 v[27:28], v[149:150], v[27:28]
	s_waitcnt vmcnt(56)
	v_fma_f64 v[17:18], v[1:2], v[11:12], -v[17:18]
	v_fma_f64 v[11:12], v[3:4], v[11:12], v[157:158]
	v_add_f64 v[13:14], v[151:152], v[13:14]
	v_add_f64 v[9:10], v[9:10], v[19:20]
	s_clause 0x2
	buffer_load_dword v156, off, s[0:3], 0 offset:412
	buffer_load_dword v20, off, s[0:3], 0 offset:388
	;; [unrolled: 1-line block ×3, first 2 shown]
	s_waitcnt vmcnt(58) lgkmcnt(0)
	v_mul_f64 v[151:152], v[5:6], v[33:34]
	v_mul_f64 v[33:34], v[7:8], v[33:34]
	s_waitcnt vmcnt(56)
	v_fma_f64 v[27:28], v[147:148], v[35:36], -v[27:28]
	ds_read_b128 v[1:4], v146 offset:848
	v_add_f64 v[13:14], v[13:14], v[17:18]
	v_fma_f64 v[17:18], v[149:150], v[35:36], v[176:177]
	v_add_f64 v[35:36], v[9:10], v[11:12]
	s_clause 0x4
	buffer_load_dword v148, off, s[0:3], 0 offset:428
	buffer_load_dword v149, off, s[0:3], 0 offset:440
	;; [unrolled: 1-line block ×5, first 2 shown]
	ds_read_b128 v[9:12], v146 offset:864
	s_waitcnt vmcnt(57) lgkmcnt(1)
	v_mul_f64 v[176:177], v[1:2], v[37:38]
	v_mul_f64 v[37:38], v[3:4], v[37:38]
	s_waitcnt vmcnt(56)
	v_fma_f64 v[33:34], v[5:6], v[15:16], -v[33:34]
	v_fma_f64 v[15:16], v[7:8], v[15:16], v[151:152]
	v_add_f64 v[13:14], v[13:14], v[27:28]
	s_clause 0x2
	buffer_load_dword v150, off, s[0:3], 0 offset:444
	buffer_load_dword v28, off, s[0:3], 0 offset:420
	;; [unrolled: 1-line block ×3, first 2 shown]
	v_add_f64 v[17:18], v[35:36], v[17:18]
	s_waitcnt vmcnt(58) lgkmcnt(0)
	v_mul_f64 v[35:36], v[9:10], v[43:44]
	v_mul_f64 v[43:44], v[11:12], v[43:44]
	ds_read_b128 v[5:8], v146 offset:880
	s_waitcnt vmcnt(56)
	v_fma_f64 v[37:38], v[1:2], v[45:46], -v[37:38]
	v_add_f64 v[13:14], v[13:14], v[33:34]
	v_fma_f64 v[33:34], v[3:4], v[45:46], v[176:177]
	v_add_f64 v[15:16], v[17:18], v[15:16]
	s_clause 0x4
	buffer_load_dword v18, off, s[0:3], 0 offset:460
	buffer_load_dword v45, off, s[0:3], 0 offset:472
	;; [unrolled: 1-line block ×5, first 2 shown]
	s_waitcnt vmcnt(57) lgkmcnt(0)
	v_mul_f64 v[176:177], v[5:6], v[47:48]
	v_mul_f64 v[47:48], v[7:8], v[47:48]
	s_waitcnt vmcnt(56)
	v_fma_f64 v[43:44], v[9:10], v[29:30], -v[43:44]
	ds_read_b128 v[1:4], v146 offset:896
	v_fma_f64 v[29:30], v[11:12], v[29:30], v[35:36]
	v_add_f64 v[13:14], v[13:14], v[37:38]
	v_add_f64 v[15:16], v[15:16], v[33:34]
	s_clause 0x2
	buffer_load_dword v46, off, s[0:3], 0 offset:476
	buffer_load_dword v34, off, s[0:3], 0 offset:452
	;; [unrolled: 1-line block ×3, first 2 shown]
	ds_read_b128 v[9:12], v146 offset:912
	s_waitcnt vmcnt(58) lgkmcnt(1)
	v_mul_f64 v[37:38], v[3:4], v[51:52]
	s_waitcnt vmcnt(56)
	v_fma_f64 v[47:48], v[5:6], v[53:54], -v[47:48]
	v_mul_f64 v[35:36], v[1:2], v[51:52]
	v_add_f64 v[13:14], v[13:14], v[43:44]
	v_fma_f64 v[43:44], v[7:8], v[53:54], v[176:177]
	v_add_f64 v[15:16], v[15:16], v[29:30]
	s_clause 0x4
	buffer_load_dword v30, off, s[0:3], 0 offset:492
	buffer_load_dword v51, off, s[0:3], 0 offset:504
	;; [unrolled: 1-line block ×5, first 2 shown]
	s_waitcnt vmcnt(57) lgkmcnt(0)
	v_mul_f64 v[176:177], v[9:10], v[55:56]
	v_mul_f64 v[54:55], v[11:12], v[55:56]
	s_waitcnt vmcnt(56)
	v_fma_f64 v[37:38], v[1:2], v[39:40], -v[37:38]
	ds_read_b128 v[5:8], v146 offset:928
	v_fma_f64 v[35:36], v[3:4], v[39:40], v[35:36]
	s_clause 0x2
	buffer_load_dword v52, off, s[0:3], 0 offset:508
	buffer_load_dword v40, off, s[0:3], 0 offset:484
	;; [unrolled: 1-line block ×3, first 2 shown]
	ds_read_b128 v[1:4], v146 offset:944
	v_add_f64 v[13:14], v[13:14], v[47:48]
	v_add_f64 v[15:16], v[15:16], v[43:44]
	s_waitcnt vmcnt(58) lgkmcnt(1)
	v_mul_f64 v[47:48], v[7:8], v[59:60]
	s_waitcnt vmcnt(56)
	v_fma_f64 v[55:56], v[9:10], v[65:66], -v[54:55]
	v_mul_f64 v[43:44], v[5:6], v[59:60]
	v_add_f64 v[13:14], v[13:14], v[37:38]
	v_fma_f64 v[37:38], v[11:12], v[65:66], v[176:177]
	v_add_f64 v[15:16], v[15:16], v[35:36]
	s_clause 0x4
	buffer_load_dword v36, off, s[0:3], 0 offset:524
	buffer_load_dword v59, off, s[0:3], 0 offset:536
	;; [unrolled: 1-line block ×5, first 2 shown]
	s_waitcnt vmcnt(57) lgkmcnt(0)
	v_mul_f64 v[176:177], v[1:2], v[67:68]
	v_mul_f64 v[66:67], v[3:4], v[67:68]
	s_waitcnt vmcnt(56)
	v_fma_f64 v[47:48], v[5:6], v[49:50], -v[47:48]
	ds_read_b128 v[9:12], v146 offset:960
	v_fma_f64 v[43:44], v[7:8], v[49:50], v[43:44]
	v_add_f64 v[13:14], v[13:14], v[55:56]
	v_add_f64 v[15:16], v[15:16], v[37:38]
	s_clause 0x2
	buffer_load_dword v60, off, s[0:3], 0 offset:540
	buffer_load_dword v38, off, s[0:3], 0 offset:516
	;; [unrolled: 1-line block ×3, first 2 shown]
	ds_read_b128 v[5:8], v146 offset:976
	s_waitcnt vmcnt(58) lgkmcnt(1)
	v_mul_f64 v[55:56], v[11:12], v[69:70]
	s_waitcnt vmcnt(56)
	v_fma_f64 v[67:68], v[1:2], v[71:72], -v[66:67]
	v_mul_f64 v[49:50], v[9:10], v[69:70]
	v_add_f64 v[13:14], v[13:14], v[47:48]
	v_fma_f64 v[47:48], v[3:4], v[71:72], v[176:177]
	v_add_f64 v[15:16], v[15:16], v[43:44]
	s_clause 0x4
	buffer_load_dword v44, off, s[0:3], 0 offset:556
	buffer_load_dword v69, off, s[0:3], 0 offset:568
	;; [unrolled: 1-line block ×5, first 2 shown]
	s_waitcnt vmcnt(57) lgkmcnt(0)
	v_mul_f64 v[176:177], v[5:6], v[161:162]
	v_mul_f64 v[161:162], v[7:8], v[161:162]
	s_waitcnt vmcnt(56)
	v_fma_f64 v[55:56], v[9:10], v[57:58], -v[55:56]
	ds_read_b128 v[1:4], v146 offset:992
	v_fma_f64 v[49:50], v[11:12], v[57:58], v[49:50]
	v_add_f64 v[13:14], v[13:14], v[67:68]
	v_add_f64 v[15:16], v[15:16], v[47:48]
	s_clause 0x2
	buffer_load_dword v70, off, s[0:3], 0 offset:572
	buffer_load_dword v48, off, s[0:3], 0 offset:548
	;; [unrolled: 1-line block ×3, first 2 shown]
	ds_read_b128 v[9:12], v146 offset:1008
	s_waitcnt vmcnt(58) lgkmcnt(1)
	v_mul_f64 v[67:68], v[3:4], v[163:164]
	s_waitcnt vmcnt(56)
	v_fma_f64 v[161:162], v[5:6], v[168:169], -v[161:162]
	v_mul_f64 v[57:58], v[1:2], v[163:164]
	v_add_f64 v[13:14], v[13:14], v[55:56]
	v_fma_f64 v[55:56], v[7:8], v[168:169], v[176:177]
	v_add_f64 v[15:16], v[15:16], v[49:50]
	s_clause 0x4
	buffer_load_dword v50, off, s[0:3], 0 offset:588
	buffer_load_dword v163, off, s[0:3], 0 offset:600
	;; [unrolled: 1-line block ×5, first 2 shown]
	ds_read_b128 v[5:8], v146 offset:1024
	s_waitcnt vmcnt(57) lgkmcnt(1)
	v_mul_f64 v[168:169], v[9:10], v[159:160]
	v_mul_f64 v[159:160], v[11:12], v[159:160]
	s_waitcnt vmcnt(56)
	v_fma_f64 v[67:68], v[1:2], v[165:166], -v[67:68]
	v_fma_f64 v[57:58], v[3:4], v[165:166], v[57:58]
	v_add_f64 v[13:14], v[13:14], v[161:162]
	v_add_f64 v[15:16], v[15:16], v[55:56]
	s_clause 0x2
	buffer_load_dword v164, off, s[0:3], 0 offset:604
	buffer_load_dword v56, off, s[0:3], 0 offset:580
	;; [unrolled: 1-line block ×3, first 2 shown]
	ds_read_b128 v[1:4], v146 offset:1040
	s_waitcnt vmcnt(58) lgkmcnt(1)
	v_mul_f64 v[165:166], v[7:8], v[172:173]
	v_mul_f64 v[161:162], v[5:6], v[172:173]
	s_waitcnt vmcnt(56)
	v_fma_f64 v[159:160], v[9:10], v[153:154], -v[159:160]
	v_add_f64 v[13:14], v[13:14], v[67:68]
	v_fma_f64 v[67:68], v[11:12], v[153:154], v[168:169]
	v_add_f64 v[15:16], v[15:16], v[57:58]
	s_clause 0x4
	buffer_load_dword v58, off, s[0:3], 0 offset:620
	buffer_load_dword v153, off, s[0:3], 0 offset:632
	;; [unrolled: 1-line block ×5, first 2 shown]
	ds_read_b128 v[9:12], v146 offset:1056
	s_waitcnt vmcnt(57) lgkmcnt(1)
	v_mul_f64 v[176:177], v[1:2], v[31:32]
	v_mul_f64 v[31:32], v[3:4], v[31:32]
	s_waitcnt vmcnt(56)
	v_fma_f64 v[165:166], v[5:6], v[174:175], -v[165:166]
	v_add_f64 v[13:14], v[13:14], v[159:160]
	v_fma_f64 v[159:160], v[7:8], v[174:175], v[161:162]
	v_add_f64 v[15:16], v[15:16], v[67:68]
	s_clause 0x2
	buffer_load_dword v154, off, s[0:3], 0 offset:636
	buffer_load_dword v68, off, s[0:3], 0 offset:612
	;; [unrolled: 1-line block ×3, first 2 shown]
	ds_read_b128 v[5:8], v146 offset:1072
	s_waitcnt vmcnt(58) lgkmcnt(1)
	v_mul_f64 v[161:162], v[9:10], v[155:156]
	v_mul_f64 v[155:156], v[11:12], v[155:156]
	s_waitcnt vmcnt(56)
	v_fma_f64 v[31:32], v[1:2], v[19:20], -v[31:32]
	v_fma_f64 v[19:20], v[3:4], v[19:20], v[176:177]
	v_add_f64 v[13:14], v[13:14], v[165:166]
	v_add_f64 v[15:16], v[15:16], v[159:160]
	s_clause 0x4
	buffer_load_dword v160, off, s[0:3], 0 offset:652
	buffer_load_dword v165, off, s[0:3], 0 offset:664
	buffer_load_dword v169, off, s[0:3], 0 offset:656
	buffer_load_dword v159, off, s[0:3], 0 offset:648
	buffer_load_dword v173, off, s[0:3], 0 offset:628
	ds_read_b128 v[1:4], v146 offset:1088
	s_waitcnt vmcnt(57) lgkmcnt(1)
	v_mul_f64 v[174:175], v[5:6], v[147:148]
	v_mul_f64 v[147:148], v[7:8], v[147:148]
	s_waitcnt vmcnt(56)
	v_fma_f64 v[155:156], v[9:10], v[170:171], -v[155:156]
	v_add_f64 v[13:14], v[13:14], v[31:32]
	v_fma_f64 v[31:32], v[11:12], v[170:171], v[161:162]
	v_add_f64 v[15:16], v[15:16], v[19:20]
	s_clause 0x2
	buffer_load_dword v166, off, s[0:3], 0 offset:668
	buffer_load_dword v20, off, s[0:3], 0 offset:644
	;; [unrolled: 1-line block ×3, first 2 shown]
	ds_read_b128 v[9:12], v146 offset:1104
	s_waitcnt vmcnt(58) lgkmcnt(1)
	v_mul_f64 v[161:162], v[1:2], v[149:150]
	v_mul_f64 v[149:150], v[3:4], v[149:150]
	s_waitcnt vmcnt(56)
	v_fma_f64 v[147:148], v[5:6], v[27:28], -v[147:148]
	v_fma_f64 v[27:28], v[7:8], v[27:28], v[174:175]
	v_add_f64 v[13:14], v[13:14], v[155:156]
	v_add_f64 v[15:16], v[15:16], v[31:32]
	s_clause 0x2
	buffer_load_dword v32, off, s[0:3], 0 offset:684
	buffer_load_dword v31, off, s[0:3], 0 offset:680
	;; [unrolled: 1-line block ×3, first 2 shown]
	ds_read_b128 v[5:8], v146 offset:1120
	s_waitcnt vmcnt(55) lgkmcnt(1)
	v_mul_f64 v[155:156], v[9:10], v[17:18]
	v_mul_f64 v[17:18], v[11:12], v[17:18]
	s_waitcnt vmcnt(54)
	v_fma_f64 v[149:150], v[1:2], v[157:158], -v[149:150]
	v_add_f64 v[13:14], v[13:14], v[147:148]
	v_fma_f64 v[147:148], v[3:4], v[157:158], v[161:162]
	v_add_f64 v[15:16], v[15:16], v[27:28]
	s_clause 0x1
	buffer_load_dword v28, off, s[0:3], 0 offset:676
	buffer_load_dword v27, off, s[0:3], 0 offset:672
	ds_read_b128 v[1:4], v146 offset:1136
	s_waitcnt vmcnt(55) lgkmcnt(1)
	v_mul_f64 v[157:158], v[5:6], v[45:46]
	v_mul_f64 v[45:46], v[7:8], v[45:46]
	s_waitcnt vmcnt(53)
	v_fma_f64 v[17:18], v[9:10], v[33:34], -v[17:18]
	v_fma_f64 v[33:34], v[11:12], v[33:34], v[155:156]
	ds_read_b128 v[9:12], v146 offset:1152
	v_add_f64 v[13:14], v[13:14], v[149:150]
	v_add_f64 v[15:16], v[15:16], v[147:148]
	s_waitcnt vmcnt(49) lgkmcnt(1)
	v_mul_f64 v[147:148], v[1:2], v[29:30]
	v_mul_f64 v[29:30], v[3:4], v[29:30]
	s_waitcnt vmcnt(48)
	v_fma_f64 v[45:46], v[5:6], v[151:152], -v[45:46]
	v_add_f64 v[13:14], v[13:14], v[17:18]
	v_fma_f64 v[17:18], v[7:8], v[151:152], v[157:158]
	v_add_f64 v[15:16], v[15:16], v[33:34]
	s_clause 0x3
	buffer_load_dword v33, off, s[0:3], 0 offset:64
	buffer_load_dword v34, off, s[0:3], 0 offset:68
	buffer_load_dword v149, off, s[0:3], 0 offset:72
	buffer_load_dword v150, off, s[0:3], 0 offset:76
	s_waitcnt vmcnt(51) lgkmcnt(0)
	v_mul_f64 v[151:152], v[9:10], v[51:52]
	v_mul_f64 v[51:52], v[11:12], v[51:52]
	ds_read_b128 v[5:8], v146 offset:1168
	s_waitcnt vmcnt(49)
	v_fma_f64 v[29:30], v[1:2], v[39:40], -v[29:30]
	v_fma_f64 v[39:40], v[3:4], v[39:40], v[147:148]
	ds_read_b128 v[1:4], v146 offset:1184
	v_add_f64 v[13:14], v[13:14], v[45:46]
	v_add_f64 v[15:16], v[15:16], v[17:18]
	s_waitcnt vmcnt(45) lgkmcnt(1)
	v_mul_f64 v[17:18], v[5:6], v[35:36]
	v_mul_f64 v[35:36], v[7:8], v[35:36]
	s_waitcnt vmcnt(44)
	v_fma_f64 v[45:46], v[9:10], v[53:54], -v[51:52]
	v_add_f64 v[13:14], v[13:14], v[29:30]
	v_fma_f64 v[29:30], v[11:12], v[53:54], v[151:152]
	v_add_f64 v[15:16], v[15:16], v[39:40]
	ds_read_b128 v[9:12], v146 offset:1200
	s_waitcnt vmcnt(43) lgkmcnt(1)
	v_mul_f64 v[51:52], v[3:4], v[59:60]
	v_mul_f64 v[39:40], v[1:2], v[59:60]
	s_waitcnt vmcnt(41)
	v_fma_f64 v[35:36], v[5:6], v[37:38], -v[35:36]
	v_fma_f64 v[17:18], v[7:8], v[37:38], v[17:18]
	ds_read_b128 v[5:8], v146 offset:1216
	v_add_f64 v[13:14], v[13:14], v[45:46]
	v_add_f64 v[15:16], v[15:16], v[29:30]
	s_waitcnt vmcnt(37) lgkmcnt(1)
	v_mul_f64 v[29:30], v[9:10], v[43:44]
	v_mul_f64 v[37:38], v[11:12], v[43:44]
	s_waitcnt vmcnt(36)
	v_fma_f64 v[43:44], v[1:2], v[65:66], -v[51:52]
	v_add_f64 v[13:14], v[13:14], v[35:36]
	v_fma_f64 v[35:36], v[3:4], v[65:66], v[39:40]
	v_add_f64 v[15:16], v[15:16], v[17:18]
	ds_read_b128 v[1:4], v146 offset:1232
	s_waitcnt vmcnt(35) lgkmcnt(1)
	v_mul_f64 v[39:40], v[7:8], v[69:70]
	v_mul_f64 v[17:18], v[5:6], v[69:70]
	s_waitcnt vmcnt(33)
	v_fma_f64 v[37:38], v[9:10], v[47:48], -v[37:38]
	v_fma_f64 v[29:30], v[11:12], v[47:48], v[29:30]
	ds_read_b128 v[9:12], v146 offset:1248
	v_add_f64 v[13:14], v[13:14], v[43:44]
	v_add_f64 v[15:16], v[15:16], v[35:36]
	s_waitcnt vmcnt(29) lgkmcnt(1)
	v_mul_f64 v[43:44], v[3:4], v[49:50]
	s_waitcnt vmcnt(28)
	v_fma_f64 v[39:40], v[5:6], v[71:72], -v[39:40]
	v_mul_f64 v[35:36], v[1:2], v[49:50]
	v_fma_f64 v[17:18], v[7:8], v[71:72], v[17:18]
	ds_read_b128 v[5:8], v146 offset:1264
	v_add_f64 v[13:14], v[13:14], v[37:38]
	v_add_f64 v[15:16], v[15:16], v[29:30]
	s_waitcnt vmcnt(27) lgkmcnt(1)
	v_mul_f64 v[37:38], v[11:12], v[163:164]
	v_mul_f64 v[29:30], v[9:10], v[163:164]
	s_waitcnt vmcnt(25)
	v_fma_f64 v[43:44], v[1:2], v[55:56], -v[43:44]
	v_fma_f64 v[35:36], v[3:4], v[55:56], v[35:36]
	ds_read_b128 v[1:4], v146 offset:1280
	v_add_f64 v[13:14], v[13:14], v[39:40]
	v_add_f64 v[15:16], v[15:16], v[17:18]
	s_waitcnt vmcnt(21) lgkmcnt(1)
	v_mul_f64 v[39:40], v[7:8], v[57:58]
	s_waitcnt vmcnt(20)
	v_fma_f64 v[37:38], v[9:10], v[167:168], -v[37:38]
	v_mul_f64 v[17:18], v[5:6], v[57:58]
	v_fma_f64 v[29:30], v[11:12], v[167:168], v[29:30]
	ds_read_b128 v[9:12], v146 offset:1296
	v_add_f64 v[13:14], v[13:14], v[43:44]
	v_add_f64 v[15:16], v[15:16], v[35:36]
	;; [unrolled: 18-line block ×3, first 2 shown]
	s_waitcnt vmcnt(11) lgkmcnt(1)
	v_mul_f64 v[39:40], v[7:8], v[165:166]
	v_mul_f64 v[17:18], v[5:6], v[165:166]
	s_waitcnt vmcnt(9)
	v_fma_f64 v[9:10], v[9:10], v[19:20], -v[37:38]
	v_fma_f64 v[11:12], v[11:12], v[19:20], v[29:30]
	v_add_f64 v[13:14], v[13:14], v[43:44]
	v_add_f64 v[15:16], v[15:16], v[35:36]
	s_waitcnt vmcnt(7) lgkmcnt(0)
	v_mul_f64 v[29:30], v[3:4], v[31:32]
	s_waitcnt vmcnt(6)
	v_fma_f64 v[5:6], v[5:6], v[169:170], -v[39:40]
	v_mul_f64 v[19:20], v[1:2], v[31:32]
	v_fma_f64 v[7:8], v[7:8], v[169:170], v[17:18]
	v_add_f64 v[9:10], v[13:14], v[9:10]
	v_add_f64 v[11:12], v[15:16], v[11:12]
	s_waitcnt vmcnt(4)
	v_fma_f64 v[1:2], v[1:2], v[27:28], -v[29:30]
	v_fma_f64 v[3:4], v[3:4], v[27:28], v[19:20]
	v_add_f64 v[5:6], v[9:10], v[5:6]
	v_add_f64 v[7:8], v[11:12], v[7:8]
	;; [unrolled: 1-line block ×4, first 2 shown]
	s_waitcnt vmcnt(2)
	v_add_f64 v[1:2], v[33:34], -v[1:2]
	s_waitcnt vmcnt(0)
	v_add_f64 v[3:4], v[149:150], -v[3:4]
	buffer_store_dword v2, off, s[0:3], 0 offset:68
	buffer_store_dword v1, off, s[0:3], 0 offset:64
	;; [unrolled: 1-line block ×4, first 2 shown]
	v_cmpx_lt_u32_e32 2, v0
	s_cbranch_execz .LBB41_261
; %bb.260:
	v_mov_b32_e32 v4, s52
	v_mov_b32_e32 v5, 0
	s_clause 0x3
	buffer_load_dword v1, v4, s[0:3], 0 offen
	buffer_load_dword v2, v4, s[0:3], 0 offen offset:4
	buffer_load_dword v3, v4, s[0:3], 0 offen offset:8
	;; [unrolled: 1-line block ×3, first 2 shown]
	buffer_store_dword v5, off, s[0:3], 0 offset:48
	buffer_store_dword v5, off, s[0:3], 0 offset:52
	;; [unrolled: 1-line block ×4, first 2 shown]
	s_waitcnt vmcnt(0)
	ds_write_b128 v145, v[1:4]
.LBB41_261:
	s_or_b32 exec_lo, exec_lo, s4
	s_waitcnt lgkmcnt(0)
	s_waitcnt_vscnt null, 0x0
	s_barrier
	buffer_gl0_inv
	s_clause 0x37
	buffer_load_dword v9, off, s[0:3], 0 offset:72
	buffer_load_dword v10, off, s[0:3], 0 offset:76
	;; [unrolled: 1-line block ×56, first 2 shown]
	v_mov_b32_e32 v146, 0
	s_mov_b32 s4, exec_lo
	ds_read_b128 v[147:150], v146 offset:720
	s_clause 0x2
	buffer_load_dword v70, off, s[0:3], 0 offset:300
	buffer_load_dword v72, off, s[0:3], 0 offset:276
	;; [unrolled: 1-line block ×3, first 2 shown]
	ds_read_b128 v[151:154], v146 offset:736
	s_clause 0x4
	buffer_load_dword v162, off, s[0:3], 0 offset:316
	buffer_load_dword v163, off, s[0:3], 0 offset:328
	;; [unrolled: 1-line block ×5, first 2 shown]
	ds_read_b128 v[155:158], v146 offset:752
	s_clause 0x2
	buffer_load_dword v164, off, s[0:3], 0 offset:332
	buffer_load_dword v169, off, s[0:3], 0 offset:308
	;; [unrolled: 1-line block ×3, first 2 shown]
	s_waitcnt vmcnt(62) lgkmcnt(2)
	v_mul_f64 v[159:160], v[149:150], v[9:10]
	v_mul_f64 v[9:10], v[147:148], v[9:10]
	s_waitcnt lgkmcnt(1)
	v_mul_f64 v[166:167], v[153:154], v[5:6]
	s_waitcnt vmcnt(59) lgkmcnt(0)
	v_mul_f64 v[170:171], v[157:158], v[3:4]
	v_fma_f64 v[147:148], v[147:148], v[7:8], -v[159:160]
	v_mul_f64 v[159:160], v[151:152], v[5:6]
	v_fma_f64 v[9:10], v[149:150], v[7:8], v[9:10]
	s_waitcnt vmcnt(57)
	v_fma_f64 v[151:152], v[151:152], v[1:2], -v[166:167]
	ds_read_b128 v[5:8], v146 offset:768
	v_mul_f64 v[149:150], v[155:156], v[3:4]
	s_waitcnt vmcnt(51)
	v_fma_f64 v[155:156], v[155:156], v[31:32], -v[170:171]
	v_add_f64 v[147:148], v[147:148], 0
	v_fma_f64 v[153:154], v[153:154], v[1:2], v[159:160]
	v_add_f64 v[9:10], v[9:10], 0
	s_clause 0x4
	buffer_load_dword v160, off, s[0:3], 0 offset:348
	buffer_load_dword v172, off, s[0:3], 0 offset:360
	;; [unrolled: 1-line block ×5, first 2 shown]
	s_waitcnt lgkmcnt(0)
	v_mul_f64 v[175:176], v[5:6], v[13:14]
	v_mul_f64 v[13:14], v[7:8], v[13:14]
	ds_read_b128 v[1:4], v146 offset:784
	v_fma_f64 v[31:32], v[157:158], v[31:32], v[149:150]
	v_add_f64 v[151:152], v[147:148], v[151:152]
	v_add_f64 v[9:10], v[9:10], v[153:154]
	s_clause 0x2
	buffer_load_dword v173, off, s[0:3], 0 offset:364
	buffer_load_dword v154, off, s[0:3], 0 offset:340
	;; [unrolled: 1-line block ×3, first 2 shown]
	s_waitcnt vmcnt(58) lgkmcnt(0)
	v_mul_f64 v[157:158], v[1:2], v[17:18]
	v_mul_f64 v[17:18], v[3:4], v[17:18]
	s_waitcnt vmcnt(56)
	v_fma_f64 v[13:14], v[5:6], v[19:20], -v[13:14]
	ds_read_b128 v[147:150], v146 offset:800
	v_fma_f64 v[19:20], v[7:8], v[19:20], v[175:176]
	v_add_f64 v[151:152], v[151:152], v[155:156]
	v_add_f64 v[9:10], v[9:10], v[31:32]
	s_clause 0x4
	buffer_load_dword v32, off, s[0:3], 0 offset:380
	buffer_load_dword v155, off, s[0:3], 0 offset:392
	;; [unrolled: 1-line block ×5, first 2 shown]
	ds_read_b128 v[5:8], v146 offset:816
	s_waitcnt vmcnt(57) lgkmcnt(1)
	v_mul_f64 v[176:177], v[147:148], v[27:28]
	v_mul_f64 v[27:28], v[149:150], v[27:28]
	s_waitcnt vmcnt(56)
	v_fma_f64 v[17:18], v[1:2], v[11:12], -v[17:18]
	v_fma_f64 v[11:12], v[3:4], v[11:12], v[157:158]
	v_add_f64 v[13:14], v[151:152], v[13:14]
	v_add_f64 v[9:10], v[9:10], v[19:20]
	s_clause 0x2
	buffer_load_dword v156, off, s[0:3], 0 offset:396
	buffer_load_dword v20, off, s[0:3], 0 offset:372
	buffer_load_dword v19, off, s[0:3], 0 offset:368
	s_waitcnt vmcnt(58) lgkmcnt(0)
	v_mul_f64 v[151:152], v[5:6], v[33:34]
	v_mul_f64 v[33:34], v[7:8], v[33:34]
	s_waitcnt vmcnt(56)
	v_fma_f64 v[27:28], v[147:148], v[35:36], -v[27:28]
	ds_read_b128 v[1:4], v146 offset:832
	v_add_f64 v[13:14], v[13:14], v[17:18]
	v_fma_f64 v[17:18], v[149:150], v[35:36], v[176:177]
	v_add_f64 v[35:36], v[9:10], v[11:12]
	s_clause 0x4
	buffer_load_dword v148, off, s[0:3], 0 offset:412
	buffer_load_dword v149, off, s[0:3], 0 offset:424
	;; [unrolled: 1-line block ×5, first 2 shown]
	ds_read_b128 v[9:12], v146 offset:848
	s_waitcnt vmcnt(57) lgkmcnt(1)
	v_mul_f64 v[176:177], v[1:2], v[37:38]
	v_mul_f64 v[37:38], v[3:4], v[37:38]
	s_waitcnt vmcnt(56)
	v_fma_f64 v[33:34], v[5:6], v[15:16], -v[33:34]
	v_fma_f64 v[15:16], v[7:8], v[15:16], v[151:152]
	v_add_f64 v[13:14], v[13:14], v[27:28]
	s_clause 0x2
	buffer_load_dword v150, off, s[0:3], 0 offset:428
	buffer_load_dword v28, off, s[0:3], 0 offset:404
	;; [unrolled: 1-line block ×3, first 2 shown]
	v_add_f64 v[17:18], v[35:36], v[17:18]
	s_waitcnt vmcnt(58) lgkmcnt(0)
	v_mul_f64 v[35:36], v[9:10], v[43:44]
	v_mul_f64 v[43:44], v[11:12], v[43:44]
	ds_read_b128 v[5:8], v146 offset:864
	s_waitcnt vmcnt(56)
	v_fma_f64 v[37:38], v[1:2], v[45:46], -v[37:38]
	v_add_f64 v[13:14], v[13:14], v[33:34]
	v_fma_f64 v[33:34], v[3:4], v[45:46], v[176:177]
	v_add_f64 v[15:16], v[17:18], v[15:16]
	s_clause 0x4
	buffer_load_dword v18, off, s[0:3], 0 offset:444
	buffer_load_dword v45, off, s[0:3], 0 offset:456
	;; [unrolled: 1-line block ×5, first 2 shown]
	s_waitcnt vmcnt(57) lgkmcnt(0)
	v_mul_f64 v[176:177], v[5:6], v[47:48]
	v_mul_f64 v[47:48], v[7:8], v[47:48]
	s_waitcnt vmcnt(56)
	v_fma_f64 v[43:44], v[9:10], v[29:30], -v[43:44]
	ds_read_b128 v[1:4], v146 offset:880
	v_fma_f64 v[29:30], v[11:12], v[29:30], v[35:36]
	v_add_f64 v[13:14], v[13:14], v[37:38]
	v_add_f64 v[15:16], v[15:16], v[33:34]
	s_clause 0x2
	buffer_load_dword v46, off, s[0:3], 0 offset:460
	buffer_load_dword v34, off, s[0:3], 0 offset:436
	;; [unrolled: 1-line block ×3, first 2 shown]
	ds_read_b128 v[9:12], v146 offset:896
	s_waitcnt vmcnt(58) lgkmcnt(1)
	v_mul_f64 v[37:38], v[3:4], v[51:52]
	s_waitcnt vmcnt(56)
	v_fma_f64 v[47:48], v[5:6], v[53:54], -v[47:48]
	v_mul_f64 v[35:36], v[1:2], v[51:52]
	v_add_f64 v[13:14], v[13:14], v[43:44]
	v_fma_f64 v[43:44], v[7:8], v[53:54], v[176:177]
	v_add_f64 v[15:16], v[15:16], v[29:30]
	s_clause 0x4
	buffer_load_dword v30, off, s[0:3], 0 offset:476
	buffer_load_dword v51, off, s[0:3], 0 offset:488
	buffer_load_dword v53, off, s[0:3], 0 offset:480
	buffer_load_dword v29, off, s[0:3], 0 offset:472
	buffer_load_dword v152, off, s[0:3], 0 offset:452
	s_waitcnt vmcnt(57) lgkmcnt(0)
	v_mul_f64 v[176:177], v[9:10], v[55:56]
	v_mul_f64 v[54:55], v[11:12], v[55:56]
	s_waitcnt vmcnt(56)
	v_fma_f64 v[37:38], v[1:2], v[39:40], -v[37:38]
	ds_read_b128 v[5:8], v146 offset:912
	v_fma_f64 v[35:36], v[3:4], v[39:40], v[35:36]
	s_clause 0x2
	buffer_load_dword v52, off, s[0:3], 0 offset:492
	buffer_load_dword v40, off, s[0:3], 0 offset:468
	;; [unrolled: 1-line block ×3, first 2 shown]
	ds_read_b128 v[1:4], v146 offset:928
	v_add_f64 v[13:14], v[13:14], v[47:48]
	v_add_f64 v[15:16], v[15:16], v[43:44]
	s_waitcnt vmcnt(58) lgkmcnt(1)
	v_mul_f64 v[47:48], v[7:8], v[59:60]
	s_waitcnt vmcnt(56)
	v_fma_f64 v[55:56], v[9:10], v[65:66], -v[54:55]
	v_mul_f64 v[43:44], v[5:6], v[59:60]
	v_add_f64 v[13:14], v[13:14], v[37:38]
	v_fma_f64 v[37:38], v[11:12], v[65:66], v[176:177]
	v_add_f64 v[15:16], v[15:16], v[35:36]
	s_clause 0x4
	buffer_load_dword v36, off, s[0:3], 0 offset:508
	buffer_load_dword v59, off, s[0:3], 0 offset:520
	;; [unrolled: 1-line block ×5, first 2 shown]
	s_waitcnt vmcnt(57) lgkmcnt(0)
	v_mul_f64 v[176:177], v[1:2], v[67:68]
	v_mul_f64 v[66:67], v[3:4], v[67:68]
	s_waitcnt vmcnt(56)
	v_fma_f64 v[47:48], v[5:6], v[49:50], -v[47:48]
	ds_read_b128 v[9:12], v146 offset:944
	v_fma_f64 v[43:44], v[7:8], v[49:50], v[43:44]
	v_add_f64 v[13:14], v[13:14], v[55:56]
	v_add_f64 v[15:16], v[15:16], v[37:38]
	s_clause 0x2
	buffer_load_dword v60, off, s[0:3], 0 offset:524
	buffer_load_dword v38, off, s[0:3], 0 offset:500
	;; [unrolled: 1-line block ×3, first 2 shown]
	ds_read_b128 v[5:8], v146 offset:960
	s_waitcnt vmcnt(58) lgkmcnt(1)
	v_mul_f64 v[55:56], v[11:12], v[69:70]
	s_waitcnt vmcnt(56)
	v_fma_f64 v[67:68], v[1:2], v[71:72], -v[66:67]
	v_mul_f64 v[49:50], v[9:10], v[69:70]
	v_add_f64 v[13:14], v[13:14], v[47:48]
	v_fma_f64 v[47:48], v[3:4], v[71:72], v[176:177]
	v_add_f64 v[15:16], v[15:16], v[43:44]
	s_clause 0x4
	buffer_load_dword v44, off, s[0:3], 0 offset:540
	buffer_load_dword v69, off, s[0:3], 0 offset:552
	;; [unrolled: 1-line block ×5, first 2 shown]
	s_waitcnt vmcnt(57) lgkmcnt(0)
	v_mul_f64 v[176:177], v[5:6], v[161:162]
	v_mul_f64 v[161:162], v[7:8], v[161:162]
	s_waitcnt vmcnt(56)
	v_fma_f64 v[55:56], v[9:10], v[57:58], -v[55:56]
	ds_read_b128 v[1:4], v146 offset:976
	v_fma_f64 v[49:50], v[11:12], v[57:58], v[49:50]
	v_add_f64 v[13:14], v[13:14], v[67:68]
	v_add_f64 v[15:16], v[15:16], v[47:48]
	s_clause 0x2
	buffer_load_dword v70, off, s[0:3], 0 offset:556
	buffer_load_dword v48, off, s[0:3], 0 offset:532
	buffer_load_dword v47, off, s[0:3], 0 offset:528
	ds_read_b128 v[9:12], v146 offset:992
	s_waitcnt vmcnt(58) lgkmcnt(1)
	v_mul_f64 v[67:68], v[3:4], v[163:164]
	s_waitcnt vmcnt(56)
	v_fma_f64 v[161:162], v[5:6], v[168:169], -v[161:162]
	v_mul_f64 v[57:58], v[1:2], v[163:164]
	v_add_f64 v[13:14], v[13:14], v[55:56]
	v_fma_f64 v[55:56], v[7:8], v[168:169], v[176:177]
	v_add_f64 v[15:16], v[15:16], v[49:50]
	s_clause 0x4
	buffer_load_dword v50, off, s[0:3], 0 offset:572
	buffer_load_dword v163, off, s[0:3], 0 offset:584
	;; [unrolled: 1-line block ×5, first 2 shown]
	ds_read_b128 v[5:8], v146 offset:1008
	s_waitcnt vmcnt(57) lgkmcnt(1)
	v_mul_f64 v[168:169], v[9:10], v[159:160]
	v_mul_f64 v[159:160], v[11:12], v[159:160]
	s_waitcnt vmcnt(56)
	v_fma_f64 v[67:68], v[1:2], v[165:166], -v[67:68]
	v_fma_f64 v[57:58], v[3:4], v[165:166], v[57:58]
	v_add_f64 v[13:14], v[13:14], v[161:162]
	v_add_f64 v[15:16], v[15:16], v[55:56]
	s_clause 0x2
	buffer_load_dword v164, off, s[0:3], 0 offset:588
	buffer_load_dword v56, off, s[0:3], 0 offset:564
	;; [unrolled: 1-line block ×3, first 2 shown]
	ds_read_b128 v[1:4], v146 offset:1024
	s_waitcnt vmcnt(58) lgkmcnt(1)
	v_mul_f64 v[165:166], v[7:8], v[172:173]
	v_mul_f64 v[161:162], v[5:6], v[172:173]
	s_waitcnt vmcnt(56)
	v_fma_f64 v[159:160], v[9:10], v[153:154], -v[159:160]
	v_add_f64 v[13:14], v[13:14], v[67:68]
	v_fma_f64 v[67:68], v[11:12], v[153:154], v[168:169]
	v_add_f64 v[15:16], v[15:16], v[57:58]
	s_clause 0x4
	buffer_load_dword v58, off, s[0:3], 0 offset:604
	buffer_load_dword v153, off, s[0:3], 0 offset:616
	;; [unrolled: 1-line block ×5, first 2 shown]
	ds_read_b128 v[9:12], v146 offset:1040
	s_waitcnt vmcnt(57) lgkmcnt(1)
	v_mul_f64 v[176:177], v[1:2], v[31:32]
	v_mul_f64 v[31:32], v[3:4], v[31:32]
	s_waitcnt vmcnt(56)
	v_fma_f64 v[165:166], v[5:6], v[174:175], -v[165:166]
	v_add_f64 v[13:14], v[13:14], v[159:160]
	v_fma_f64 v[159:160], v[7:8], v[174:175], v[161:162]
	v_add_f64 v[15:16], v[15:16], v[67:68]
	s_clause 0x2
	buffer_load_dword v154, off, s[0:3], 0 offset:620
	buffer_load_dword v68, off, s[0:3], 0 offset:596
	;; [unrolled: 1-line block ×3, first 2 shown]
	ds_read_b128 v[5:8], v146 offset:1056
	s_waitcnt vmcnt(58) lgkmcnt(1)
	v_mul_f64 v[161:162], v[9:10], v[155:156]
	v_mul_f64 v[155:156], v[11:12], v[155:156]
	s_waitcnt vmcnt(56)
	v_fma_f64 v[31:32], v[1:2], v[19:20], -v[31:32]
	v_fma_f64 v[19:20], v[3:4], v[19:20], v[176:177]
	v_add_f64 v[13:14], v[13:14], v[165:166]
	v_add_f64 v[15:16], v[15:16], v[159:160]
	s_clause 0x4
	buffer_load_dword v160, off, s[0:3], 0 offset:636
	buffer_load_dword v165, off, s[0:3], 0 offset:648
	buffer_load_dword v169, off, s[0:3], 0 offset:640
	buffer_load_dword v159, off, s[0:3], 0 offset:632
	buffer_load_dword v173, off, s[0:3], 0 offset:612
	ds_read_b128 v[1:4], v146 offset:1072
	s_waitcnt vmcnt(57) lgkmcnt(1)
	v_mul_f64 v[174:175], v[5:6], v[147:148]
	v_mul_f64 v[147:148], v[7:8], v[147:148]
	s_waitcnt vmcnt(56)
	v_fma_f64 v[155:156], v[9:10], v[170:171], -v[155:156]
	v_add_f64 v[13:14], v[13:14], v[31:32]
	v_fma_f64 v[31:32], v[11:12], v[170:171], v[161:162]
	v_add_f64 v[15:16], v[15:16], v[19:20]
	s_clause 0x2
	buffer_load_dword v166, off, s[0:3], 0 offset:652
	buffer_load_dword v20, off, s[0:3], 0 offset:628
	;; [unrolled: 1-line block ×3, first 2 shown]
	ds_read_b128 v[9:12], v146 offset:1088
	s_waitcnt vmcnt(58) lgkmcnt(1)
	v_mul_f64 v[161:162], v[1:2], v[149:150]
	v_mul_f64 v[149:150], v[3:4], v[149:150]
	s_waitcnt vmcnt(56)
	v_fma_f64 v[147:148], v[5:6], v[27:28], -v[147:148]
	v_fma_f64 v[27:28], v[7:8], v[27:28], v[174:175]
	v_add_f64 v[13:14], v[13:14], v[155:156]
	v_add_f64 v[15:16], v[15:16], v[31:32]
	s_clause 0x4
	buffer_load_dword v32, off, s[0:3], 0 offset:668
	buffer_load_dword v155, off, s[0:3], 0 offset:680
	;; [unrolled: 1-line block ×5, first 2 shown]
	ds_read_b128 v[5:8], v146 offset:1104
	s_waitcnt vmcnt(57) lgkmcnt(1)
	v_mul_f64 v[175:176], v[9:10], v[17:18]
	v_mul_f64 v[17:18], v[11:12], v[17:18]
	s_waitcnt vmcnt(56)
	v_fma_f64 v[149:150], v[1:2], v[157:158], -v[149:150]
	v_add_f64 v[13:14], v[13:14], v[147:148]
	v_fma_f64 v[147:148], v[3:4], v[157:158], v[161:162]
	v_add_f64 v[15:16], v[15:16], v[27:28]
	s_clause 0x2
	buffer_load_dword v156, off, s[0:3], 0 offset:684
	buffer_load_dword v28, off, s[0:3], 0 offset:660
	;; [unrolled: 1-line block ×3, first 2 shown]
	ds_read_b128 v[1:4], v146 offset:1120
	s_waitcnt vmcnt(58) lgkmcnt(1)
	v_mul_f64 v[157:158], v[5:6], v[45:46]
	v_mul_f64 v[45:46], v[7:8], v[45:46]
	s_waitcnt vmcnt(56)
	v_fma_f64 v[17:18], v[9:10], v[33:34], -v[17:18]
	v_fma_f64 v[33:34], v[11:12], v[33:34], v[175:176]
	buffer_load_dword v175, off, s[0:3], 0 offset:676
	ds_read_b128 v[9:12], v146 offset:1136
	v_add_f64 v[13:14], v[13:14], v[149:150]
	v_add_f64 v[15:16], v[15:16], v[147:148]
	s_waitcnt vmcnt(53) lgkmcnt(1)
	v_mul_f64 v[147:148], v[1:2], v[29:30]
	v_mul_f64 v[29:30], v[3:4], v[29:30]
	s_waitcnt vmcnt(52)
	v_fma_f64 v[45:46], v[5:6], v[151:152], -v[45:46]
	v_add_f64 v[13:14], v[13:14], v[17:18]
	v_fma_f64 v[17:18], v[7:8], v[151:152], v[157:158]
	v_add_f64 v[15:16], v[15:16], v[33:34]
	s_waitcnt vmcnt(51) lgkmcnt(0)
	v_mul_f64 v[33:34], v[9:10], v[51:52]
	v_mul_f64 v[51:52], v[11:12], v[51:52]
	ds_read_b128 v[5:8], v146 offset:1152
	s_waitcnt vmcnt(49)
	v_fma_f64 v[29:30], v[1:2], v[39:40], -v[29:30]
	v_fma_f64 v[39:40], v[3:4], v[39:40], v[147:148]
	v_add_f64 v[13:14], v[13:14], v[45:46]
	v_add_f64 v[15:16], v[15:16], v[17:18]
	s_clause 0x3
	buffer_load_dword v17, off, s[0:3], 0 offset:48
	buffer_load_dword v18, off, s[0:3], 0 offset:52
	;; [unrolled: 1-line block ×4, first 2 shown]
	ds_read_b128 v[1:4], v146 offset:1168
	s_waitcnt vmcnt(49) lgkmcnt(1)
	v_mul_f64 v[147:148], v[5:6], v[35:36]
	v_mul_f64 v[35:36], v[7:8], v[35:36]
	s_waitcnt vmcnt(48)
	v_fma_f64 v[51:52], v[9:10], v[53:54], -v[51:52]
	v_add_f64 v[13:14], v[13:14], v[29:30]
	v_fma_f64 v[29:30], v[11:12], v[53:54], v[33:34]
	v_add_f64 v[15:16], v[15:16], v[39:40]
	ds_read_b128 v[9:12], v146 offset:1184
	s_waitcnt vmcnt(47) lgkmcnt(1)
	v_mul_f64 v[39:40], v[3:4], v[59:60]
	v_mul_f64 v[33:34], v[1:2], v[59:60]
	s_waitcnt vmcnt(45)
	v_fma_f64 v[35:36], v[5:6], v[37:38], -v[35:36]
	v_fma_f64 v[37:38], v[7:8], v[37:38], v[147:148]
	ds_read_b128 v[5:8], v146 offset:1200
	v_add_f64 v[13:14], v[13:14], v[51:52]
	v_add_f64 v[15:16], v[15:16], v[29:30]
	s_waitcnt vmcnt(41) lgkmcnt(1)
	v_mul_f64 v[29:30], v[9:10], v[43:44]
	v_mul_f64 v[43:44], v[11:12], v[43:44]
	s_waitcnt vmcnt(40)
	v_fma_f64 v[39:40], v[1:2], v[65:66], -v[39:40]
	v_fma_f64 v[33:34], v[3:4], v[65:66], v[33:34]
	ds_read_b128 v[1:4], v146 offset:1216
	v_add_f64 v[13:14], v[13:14], v[35:36]
	v_add_f64 v[15:16], v[15:16], v[37:38]
	;; [unrolled: 9-line block ×3, first 2 shown]
	s_waitcnt vmcnt(33) lgkmcnt(1)
	v_mul_f64 v[39:40], v[3:4], v[49:50]
	s_waitcnt vmcnt(32)
	v_fma_f64 v[37:38], v[5:6], v[71:72], -v[37:38]
	v_mul_f64 v[33:34], v[1:2], v[49:50]
	v_fma_f64 v[35:36], v[7:8], v[71:72], v[35:36]
	ds_read_b128 v[5:8], v146 offset:1248
	v_add_f64 v[13:14], v[13:14], v[43:44]
	v_add_f64 v[15:16], v[15:16], v[29:30]
	s_waitcnt vmcnt(31) lgkmcnt(1)
	v_mul_f64 v[43:44], v[11:12], v[163:164]
	v_mul_f64 v[29:30], v[9:10], v[163:164]
	s_waitcnt vmcnt(29)
	v_fma_f64 v[39:40], v[1:2], v[55:56], -v[39:40]
	v_fma_f64 v[33:34], v[3:4], v[55:56], v[33:34]
	ds_read_b128 v[1:4], v146 offset:1264
	v_add_f64 v[13:14], v[13:14], v[37:38]
	v_add_f64 v[15:16], v[15:16], v[35:36]
	s_waitcnt vmcnt(25) lgkmcnt(1)
	v_mul_f64 v[37:38], v[7:8], v[57:58]
	s_waitcnt vmcnt(24)
	v_fma_f64 v[43:44], v[9:10], v[167:168], -v[43:44]
	v_mul_f64 v[35:36], v[5:6], v[57:58]
	v_fma_f64 v[29:30], v[11:12], v[167:168], v[29:30]
	ds_read_b128 v[9:12], v146 offset:1280
	v_add_f64 v[13:14], v[13:14], v[39:40]
	v_add_f64 v[15:16], v[15:16], v[33:34]
	s_waitcnt vmcnt(23) lgkmcnt(1)
	v_mul_f64 v[39:40], v[3:4], v[153:154]
	v_mul_f64 v[33:34], v[1:2], v[153:154]
	s_waitcnt vmcnt(21)
	v_fma_f64 v[37:38], v[5:6], v[67:68], -v[37:38]
	v_fma_f64 v[35:36], v[7:8], v[67:68], v[35:36]
	ds_read_b128 v[5:8], v146 offset:1296
	v_add_f64 v[13:14], v[13:14], v[43:44]
	v_add_f64 v[15:16], v[15:16], v[29:30]
	;; [unrolled: 18-line block ×3, first 2 shown]
	s_waitcnt vmcnt(9) lgkmcnt(1)
	v_mul_f64 v[29:30], v[1:2], v[31:32]
	v_mul_f64 v[31:32], v[3:4], v[31:32]
	s_waitcnt vmcnt(8)
	v_fma_f64 v[5:6], v[5:6], v[169:170], -v[37:38]
	v_fma_f64 v[7:8], v[7:8], v[169:170], v[35:36]
	v_add_f64 v[13:14], v[13:14], v[43:44]
	v_add_f64 v[15:16], v[15:16], v[19:20]
	s_waitcnt vmcnt(7) lgkmcnt(0)
	v_mul_f64 v[33:34], v[11:12], v[155:156]
	v_mul_f64 v[19:20], v[9:10], v[155:156]
	s_waitcnt vmcnt(5)
	v_fma_f64 v[1:2], v[1:2], v[27:28], -v[31:32]
	v_fma_f64 v[3:4], v[3:4], v[27:28], v[29:30]
	v_add_f64 v[5:6], v[13:14], v[5:6]
	v_add_f64 v[7:8], v[15:16], v[7:8]
	s_waitcnt vmcnt(4)
	v_fma_f64 v[9:10], v[9:10], v[174:175], -v[33:34]
	v_add_f64 v[1:2], v[5:6], v[1:2]
	v_fma_f64 v[5:6], v[11:12], v[174:175], v[19:20]
	v_add_f64 v[3:4], v[7:8], v[3:4]
	v_add_f64 v[1:2], v[1:2], v[9:10]
	v_add_f64 v[3:4], v[3:4], v[5:6]
	s_waitcnt vmcnt(2)
	v_add_f64 v[1:2], v[17:18], -v[1:2]
	s_waitcnt vmcnt(0)
	v_add_f64 v[3:4], v[45:46], -v[3:4]
	buffer_store_dword v2, off, s[0:3], 0 offset:52
	buffer_store_dword v1, off, s[0:3], 0 offset:48
	;; [unrolled: 1-line block ×4, first 2 shown]
	v_cmpx_lt_u32_e32 1, v0
	s_cbranch_execz .LBB41_263
; %bb.262:
	v_mov_b32_e32 v4, s53
	s_clause 0x3
	buffer_load_dword v1, v4, s[0:3], 0 offen
	buffer_load_dword v2, v4, s[0:3], 0 offen offset:4
	buffer_load_dword v3, v4, s[0:3], 0 offen offset:8
	;; [unrolled: 1-line block ×3, first 2 shown]
	buffer_store_dword v146, off, s[0:3], 0 offset:32
	buffer_store_dword v146, off, s[0:3], 0 offset:36
	;; [unrolled: 1-line block ×4, first 2 shown]
	s_waitcnt vmcnt(0)
	ds_write_b128 v145, v[1:4]
.LBB41_263:
	s_or_b32 exec_lo, exec_lo, s4
	s_waitcnt lgkmcnt(0)
	s_waitcnt_vscnt null, 0x0
	s_barrier
	buffer_gl0_inv
	s_clause 0x37
	buffer_load_dword v9, off, s[0:3], 0 offset:56
	buffer_load_dword v10, off, s[0:3], 0 offset:60
	;; [unrolled: 1-line block ×56, first 2 shown]
	ds_read_b128 v[147:150], v146 offset:704
	s_clause 0x2
	buffer_load_dword v70, off, s[0:3], 0 offset:284
	buffer_load_dword v72, off, s[0:3], 0 offset:260
	;; [unrolled: 1-line block ×3, first 2 shown]
	ds_read_b128 v[151:154], v146 offset:720
	s_clause 0x4
	buffer_load_dword v162, off, s[0:3], 0 offset:300
	buffer_load_dword v163, off, s[0:3], 0 offset:312
	;; [unrolled: 1-line block ×5, first 2 shown]
	ds_read_b128 v[155:158], v146 offset:736
	s_clause 0x2
	buffer_load_dword v164, off, s[0:3], 0 offset:316
	buffer_load_dword v169, off, s[0:3], 0 offset:292
	;; [unrolled: 1-line block ×3, first 2 shown]
	s_mov_b32 s4, exec_lo
	s_waitcnt vmcnt(62) lgkmcnt(2)
	v_mul_f64 v[159:160], v[149:150], v[9:10]
	v_mul_f64 v[9:10], v[147:148], v[9:10]
	s_waitcnt lgkmcnt(1)
	v_mul_f64 v[166:167], v[153:154], v[5:6]
	s_waitcnt vmcnt(59) lgkmcnt(0)
	v_mul_f64 v[170:171], v[157:158], v[3:4]
	v_fma_f64 v[147:148], v[147:148], v[7:8], -v[159:160]
	v_mul_f64 v[159:160], v[151:152], v[5:6]
	v_fma_f64 v[9:10], v[149:150], v[7:8], v[9:10]
	s_waitcnt vmcnt(57)
	v_fma_f64 v[151:152], v[151:152], v[1:2], -v[166:167]
	ds_read_b128 v[5:8], v146 offset:752
	v_mul_f64 v[149:150], v[155:156], v[3:4]
	s_waitcnt vmcnt(51)
	v_fma_f64 v[155:156], v[155:156], v[31:32], -v[170:171]
	v_add_f64 v[147:148], v[147:148], 0
	v_fma_f64 v[153:154], v[153:154], v[1:2], v[159:160]
	v_add_f64 v[9:10], v[9:10], 0
	s_clause 0x4
	buffer_load_dword v160, off, s[0:3], 0 offset:332
	buffer_load_dword v172, off, s[0:3], 0 offset:344
	;; [unrolled: 1-line block ×5, first 2 shown]
	s_waitcnt lgkmcnt(0)
	v_mul_f64 v[175:176], v[5:6], v[13:14]
	v_mul_f64 v[13:14], v[7:8], v[13:14]
	ds_read_b128 v[1:4], v146 offset:768
	v_fma_f64 v[31:32], v[157:158], v[31:32], v[149:150]
	v_add_f64 v[151:152], v[147:148], v[151:152]
	v_add_f64 v[9:10], v[9:10], v[153:154]
	s_clause 0x2
	buffer_load_dword v173, off, s[0:3], 0 offset:348
	buffer_load_dword v154, off, s[0:3], 0 offset:324
	;; [unrolled: 1-line block ×3, first 2 shown]
	s_waitcnt vmcnt(58) lgkmcnt(0)
	v_mul_f64 v[157:158], v[1:2], v[17:18]
	v_mul_f64 v[17:18], v[3:4], v[17:18]
	s_waitcnt vmcnt(56)
	v_fma_f64 v[13:14], v[5:6], v[19:20], -v[13:14]
	ds_read_b128 v[147:150], v146 offset:784
	v_fma_f64 v[19:20], v[7:8], v[19:20], v[175:176]
	v_add_f64 v[151:152], v[151:152], v[155:156]
	v_add_f64 v[9:10], v[9:10], v[31:32]
	s_clause 0x4
	buffer_load_dword v32, off, s[0:3], 0 offset:364
	buffer_load_dword v155, off, s[0:3], 0 offset:376
	;; [unrolled: 1-line block ×5, first 2 shown]
	ds_read_b128 v[5:8], v146 offset:800
	s_waitcnt vmcnt(57) lgkmcnt(1)
	v_mul_f64 v[176:177], v[147:148], v[27:28]
	v_mul_f64 v[27:28], v[149:150], v[27:28]
	s_waitcnt vmcnt(56)
	v_fma_f64 v[17:18], v[1:2], v[11:12], -v[17:18]
	v_fma_f64 v[11:12], v[3:4], v[11:12], v[157:158]
	v_add_f64 v[13:14], v[151:152], v[13:14]
	v_add_f64 v[9:10], v[9:10], v[19:20]
	s_clause 0x2
	buffer_load_dword v156, off, s[0:3], 0 offset:380
	buffer_load_dword v20, off, s[0:3], 0 offset:356
	;; [unrolled: 1-line block ×3, first 2 shown]
	s_waitcnt vmcnt(58) lgkmcnt(0)
	v_mul_f64 v[151:152], v[5:6], v[33:34]
	v_mul_f64 v[33:34], v[7:8], v[33:34]
	s_waitcnt vmcnt(56)
	v_fma_f64 v[27:28], v[147:148], v[35:36], -v[27:28]
	ds_read_b128 v[1:4], v146 offset:816
	v_add_f64 v[13:14], v[13:14], v[17:18]
	v_fma_f64 v[17:18], v[149:150], v[35:36], v[176:177]
	v_add_f64 v[35:36], v[9:10], v[11:12]
	s_clause 0x4
	buffer_load_dword v148, off, s[0:3], 0 offset:396
	buffer_load_dword v149, off, s[0:3], 0 offset:408
	;; [unrolled: 1-line block ×5, first 2 shown]
	ds_read_b128 v[9:12], v146 offset:832
	s_waitcnt vmcnt(57) lgkmcnt(1)
	v_mul_f64 v[176:177], v[1:2], v[37:38]
	v_mul_f64 v[37:38], v[3:4], v[37:38]
	s_waitcnt vmcnt(56)
	v_fma_f64 v[33:34], v[5:6], v[15:16], -v[33:34]
	v_fma_f64 v[15:16], v[7:8], v[15:16], v[151:152]
	v_add_f64 v[13:14], v[13:14], v[27:28]
	s_clause 0x2
	buffer_load_dword v150, off, s[0:3], 0 offset:412
	buffer_load_dword v28, off, s[0:3], 0 offset:388
	;; [unrolled: 1-line block ×3, first 2 shown]
	v_add_f64 v[17:18], v[35:36], v[17:18]
	s_waitcnt vmcnt(58) lgkmcnt(0)
	v_mul_f64 v[35:36], v[9:10], v[43:44]
	v_mul_f64 v[43:44], v[11:12], v[43:44]
	ds_read_b128 v[5:8], v146 offset:848
	s_waitcnt vmcnt(56)
	v_fma_f64 v[37:38], v[1:2], v[45:46], -v[37:38]
	v_add_f64 v[13:14], v[13:14], v[33:34]
	v_fma_f64 v[33:34], v[3:4], v[45:46], v[176:177]
	v_add_f64 v[15:16], v[17:18], v[15:16]
	s_clause 0x4
	buffer_load_dword v18, off, s[0:3], 0 offset:428
	buffer_load_dword v45, off, s[0:3], 0 offset:440
	;; [unrolled: 1-line block ×5, first 2 shown]
	s_waitcnt vmcnt(57) lgkmcnt(0)
	v_mul_f64 v[176:177], v[5:6], v[47:48]
	v_mul_f64 v[47:48], v[7:8], v[47:48]
	s_waitcnt vmcnt(56)
	v_fma_f64 v[43:44], v[9:10], v[29:30], -v[43:44]
	ds_read_b128 v[1:4], v146 offset:864
	v_fma_f64 v[29:30], v[11:12], v[29:30], v[35:36]
	v_add_f64 v[13:14], v[13:14], v[37:38]
	v_add_f64 v[15:16], v[15:16], v[33:34]
	s_clause 0x2
	buffer_load_dword v46, off, s[0:3], 0 offset:444
	buffer_load_dword v34, off, s[0:3], 0 offset:420
	;; [unrolled: 1-line block ×3, first 2 shown]
	ds_read_b128 v[9:12], v146 offset:880
	s_waitcnt vmcnt(58) lgkmcnt(1)
	v_mul_f64 v[37:38], v[3:4], v[51:52]
	s_waitcnt vmcnt(56)
	v_fma_f64 v[47:48], v[5:6], v[53:54], -v[47:48]
	v_mul_f64 v[35:36], v[1:2], v[51:52]
	v_add_f64 v[13:14], v[13:14], v[43:44]
	v_fma_f64 v[43:44], v[7:8], v[53:54], v[176:177]
	v_add_f64 v[15:16], v[15:16], v[29:30]
	s_clause 0x4
	buffer_load_dword v30, off, s[0:3], 0 offset:460
	buffer_load_dword v51, off, s[0:3], 0 offset:472
	;; [unrolled: 1-line block ×5, first 2 shown]
	s_waitcnt vmcnt(57) lgkmcnt(0)
	v_mul_f64 v[176:177], v[9:10], v[55:56]
	v_mul_f64 v[54:55], v[11:12], v[55:56]
	s_waitcnt vmcnt(56)
	v_fma_f64 v[37:38], v[1:2], v[39:40], -v[37:38]
	ds_read_b128 v[5:8], v146 offset:896
	v_fma_f64 v[35:36], v[3:4], v[39:40], v[35:36]
	s_clause 0x2
	buffer_load_dword v52, off, s[0:3], 0 offset:476
	buffer_load_dword v40, off, s[0:3], 0 offset:452
	buffer_load_dword v39, off, s[0:3], 0 offset:448
	ds_read_b128 v[1:4], v146 offset:912
	v_add_f64 v[13:14], v[13:14], v[47:48]
	v_add_f64 v[15:16], v[15:16], v[43:44]
	s_waitcnt vmcnt(58) lgkmcnt(1)
	v_mul_f64 v[47:48], v[7:8], v[59:60]
	s_waitcnt vmcnt(56)
	v_fma_f64 v[55:56], v[9:10], v[65:66], -v[54:55]
	v_mul_f64 v[43:44], v[5:6], v[59:60]
	v_add_f64 v[13:14], v[13:14], v[37:38]
	v_fma_f64 v[37:38], v[11:12], v[65:66], v[176:177]
	v_add_f64 v[15:16], v[15:16], v[35:36]
	s_clause 0x4
	buffer_load_dword v36, off, s[0:3], 0 offset:492
	buffer_load_dword v59, off, s[0:3], 0 offset:504
	;; [unrolled: 1-line block ×5, first 2 shown]
	s_waitcnt vmcnt(57) lgkmcnt(0)
	v_mul_f64 v[176:177], v[1:2], v[67:68]
	v_mul_f64 v[66:67], v[3:4], v[67:68]
	s_waitcnt vmcnt(56)
	v_fma_f64 v[47:48], v[5:6], v[49:50], -v[47:48]
	ds_read_b128 v[9:12], v146 offset:928
	v_fma_f64 v[43:44], v[7:8], v[49:50], v[43:44]
	v_add_f64 v[13:14], v[13:14], v[55:56]
	v_add_f64 v[15:16], v[15:16], v[37:38]
	s_clause 0x2
	buffer_load_dword v60, off, s[0:3], 0 offset:508
	buffer_load_dword v38, off, s[0:3], 0 offset:484
	;; [unrolled: 1-line block ×3, first 2 shown]
	ds_read_b128 v[5:8], v146 offset:944
	s_waitcnt vmcnt(58) lgkmcnt(1)
	v_mul_f64 v[55:56], v[11:12], v[69:70]
	s_waitcnt vmcnt(56)
	v_fma_f64 v[67:68], v[1:2], v[71:72], -v[66:67]
	v_mul_f64 v[49:50], v[9:10], v[69:70]
	v_add_f64 v[13:14], v[13:14], v[47:48]
	v_fma_f64 v[47:48], v[3:4], v[71:72], v[176:177]
	v_add_f64 v[15:16], v[15:16], v[43:44]
	s_clause 0x4
	buffer_load_dword v44, off, s[0:3], 0 offset:524
	buffer_load_dword v69, off, s[0:3], 0 offset:536
	;; [unrolled: 1-line block ×5, first 2 shown]
	s_waitcnt vmcnt(57) lgkmcnt(0)
	v_mul_f64 v[176:177], v[5:6], v[161:162]
	v_mul_f64 v[161:162], v[7:8], v[161:162]
	s_waitcnt vmcnt(56)
	v_fma_f64 v[55:56], v[9:10], v[57:58], -v[55:56]
	ds_read_b128 v[1:4], v146 offset:960
	v_fma_f64 v[49:50], v[11:12], v[57:58], v[49:50]
	v_add_f64 v[13:14], v[13:14], v[67:68]
	v_add_f64 v[15:16], v[15:16], v[47:48]
	s_clause 0x2
	buffer_load_dword v70, off, s[0:3], 0 offset:540
	buffer_load_dword v48, off, s[0:3], 0 offset:516
	;; [unrolled: 1-line block ×3, first 2 shown]
	ds_read_b128 v[9:12], v146 offset:976
	s_waitcnt vmcnt(58) lgkmcnt(1)
	v_mul_f64 v[67:68], v[3:4], v[163:164]
	s_waitcnt vmcnt(56)
	v_fma_f64 v[161:162], v[5:6], v[168:169], -v[161:162]
	v_mul_f64 v[57:58], v[1:2], v[163:164]
	v_add_f64 v[13:14], v[13:14], v[55:56]
	v_fma_f64 v[55:56], v[7:8], v[168:169], v[176:177]
	v_add_f64 v[15:16], v[15:16], v[49:50]
	s_clause 0x4
	buffer_load_dword v50, off, s[0:3], 0 offset:556
	buffer_load_dword v163, off, s[0:3], 0 offset:568
	;; [unrolled: 1-line block ×5, first 2 shown]
	ds_read_b128 v[5:8], v146 offset:992
	s_waitcnt vmcnt(57) lgkmcnt(1)
	v_mul_f64 v[168:169], v[9:10], v[159:160]
	v_mul_f64 v[159:160], v[11:12], v[159:160]
	s_waitcnt vmcnt(56)
	v_fma_f64 v[67:68], v[1:2], v[165:166], -v[67:68]
	v_fma_f64 v[57:58], v[3:4], v[165:166], v[57:58]
	v_add_f64 v[13:14], v[13:14], v[161:162]
	v_add_f64 v[15:16], v[15:16], v[55:56]
	s_clause 0x2
	buffer_load_dword v164, off, s[0:3], 0 offset:572
	buffer_load_dword v56, off, s[0:3], 0 offset:548
	;; [unrolled: 1-line block ×3, first 2 shown]
	ds_read_b128 v[1:4], v146 offset:1008
	s_waitcnt vmcnt(58) lgkmcnt(1)
	v_mul_f64 v[165:166], v[7:8], v[172:173]
	v_mul_f64 v[161:162], v[5:6], v[172:173]
	s_waitcnt vmcnt(56)
	v_fma_f64 v[159:160], v[9:10], v[153:154], -v[159:160]
	v_add_f64 v[13:14], v[13:14], v[67:68]
	v_fma_f64 v[67:68], v[11:12], v[153:154], v[168:169]
	v_add_f64 v[15:16], v[15:16], v[57:58]
	s_clause 0x4
	buffer_load_dword v58, off, s[0:3], 0 offset:588
	buffer_load_dword v153, off, s[0:3], 0 offset:600
	buffer_load_dword v172, off, s[0:3], 0 offset:592
	buffer_load_dword v57, off, s[0:3], 0 offset:584
	buffer_load_dword v168, off, s[0:3], 0 offset:564
	ds_read_b128 v[9:12], v146 offset:1024
	s_waitcnt vmcnt(57) lgkmcnt(1)
	v_mul_f64 v[176:177], v[1:2], v[31:32]
	v_mul_f64 v[31:32], v[3:4], v[31:32]
	s_waitcnt vmcnt(56)
	v_fma_f64 v[165:166], v[5:6], v[174:175], -v[165:166]
	v_add_f64 v[13:14], v[13:14], v[159:160]
	v_fma_f64 v[159:160], v[7:8], v[174:175], v[161:162]
	v_add_f64 v[15:16], v[15:16], v[67:68]
	s_clause 0x2
	buffer_load_dword v154, off, s[0:3], 0 offset:604
	buffer_load_dword v68, off, s[0:3], 0 offset:580
	buffer_load_dword v67, off, s[0:3], 0 offset:576
	ds_read_b128 v[5:8], v146 offset:1040
	s_waitcnt vmcnt(58) lgkmcnt(1)
	v_mul_f64 v[161:162], v[9:10], v[155:156]
	v_mul_f64 v[155:156], v[11:12], v[155:156]
	s_waitcnt vmcnt(56)
	v_fma_f64 v[31:32], v[1:2], v[19:20], -v[31:32]
	v_fma_f64 v[19:20], v[3:4], v[19:20], v[176:177]
	v_add_f64 v[13:14], v[13:14], v[165:166]
	v_add_f64 v[15:16], v[15:16], v[159:160]
	s_clause 0x4
	buffer_load_dword v160, off, s[0:3], 0 offset:620
	buffer_load_dword v165, off, s[0:3], 0 offset:632
	buffer_load_dword v169, off, s[0:3], 0 offset:624
	buffer_load_dword v159, off, s[0:3], 0 offset:616
	buffer_load_dword v173, off, s[0:3], 0 offset:596
	ds_read_b128 v[1:4], v146 offset:1056
	s_waitcnt vmcnt(57) lgkmcnt(1)
	v_mul_f64 v[174:175], v[5:6], v[147:148]
	v_mul_f64 v[147:148], v[7:8], v[147:148]
	s_waitcnt vmcnt(56)
	v_fma_f64 v[155:156], v[9:10], v[170:171], -v[155:156]
	v_add_f64 v[13:14], v[13:14], v[31:32]
	v_fma_f64 v[31:32], v[11:12], v[170:171], v[161:162]
	v_add_f64 v[15:16], v[15:16], v[19:20]
	s_clause 0x2
	buffer_load_dword v166, off, s[0:3], 0 offset:636
	buffer_load_dword v20, off, s[0:3], 0 offset:612
	buffer_load_dword v19, off, s[0:3], 0 offset:608
	ds_read_b128 v[9:12], v146 offset:1072
	s_waitcnt vmcnt(58) lgkmcnt(1)
	v_mul_f64 v[161:162], v[1:2], v[149:150]
	v_mul_f64 v[149:150], v[3:4], v[149:150]
	s_waitcnt vmcnt(56)
	v_fma_f64 v[147:148], v[5:6], v[27:28], -v[147:148]
	v_fma_f64 v[27:28], v[7:8], v[27:28], v[174:175]
	v_add_f64 v[13:14], v[13:14], v[155:156]
	;; [unrolled: 28-line block ×3, first 2 shown]
	v_add_f64 v[15:16], v[15:16], v[147:148]
	s_clause 0x2
	buffer_load_dword v148, off, s[0:3], 0 offset:684
	buffer_load_dword v147, off, s[0:3], 0 offset:680
	;; [unrolled: 1-line block ×3, first 2 shown]
	ds_read_b128 v[9:12], v146 offset:1120
	s_waitcnt vmcnt(55) lgkmcnt(1)
	v_mul_f64 v[149:150], v[1:2], v[29:30]
	v_mul_f64 v[29:30], v[3:4], v[29:30]
	s_waitcnt vmcnt(54)
	v_fma_f64 v[45:46], v[5:6], v[151:152], -v[45:46]
	v_add_f64 v[13:14], v[13:14], v[17:18]
	v_fma_f64 v[17:18], v[7:8], v[151:152], v[157:158]
	v_add_f64 v[15:16], v[15:16], v[33:34]
	s_clause 0x1
	buffer_load_dword v34, off, s[0:3], 0 offset:676
	buffer_load_dword v33, off, s[0:3], 0 offset:672
	s_waitcnt vmcnt(55) lgkmcnt(0)
	v_mul_f64 v[151:152], v[9:10], v[51:52]
	v_mul_f64 v[51:52], v[11:12], v[51:52]
	ds_read_b128 v[5:8], v146 offset:1136
	s_waitcnt vmcnt(53)
	v_fma_f64 v[29:30], v[1:2], v[39:40], -v[29:30]
	v_fma_f64 v[39:40], v[3:4], v[39:40], v[149:150]
	ds_read_b128 v[1:4], v146 offset:1152
	v_add_f64 v[13:14], v[13:14], v[45:46]
	v_add_f64 v[15:16], v[15:16], v[17:18]
	s_waitcnt vmcnt(49) lgkmcnt(1)
	v_mul_f64 v[17:18], v[5:6], v[35:36]
	v_mul_f64 v[35:36], v[7:8], v[35:36]
	s_waitcnt vmcnt(48)
	v_fma_f64 v[45:46], v[9:10], v[53:54], -v[51:52]
	v_add_f64 v[13:14], v[13:14], v[29:30]
	v_fma_f64 v[29:30], v[11:12], v[53:54], v[151:152]
	v_add_f64 v[15:16], v[15:16], v[39:40]
	s_clause 0x3
	buffer_load_dword v39, off, s[0:3], 0 offset:32
	buffer_load_dword v40, off, s[0:3], 0 offset:36
	;; [unrolled: 1-line block ×4, first 2 shown]
	ds_read_b128 v[9:12], v146 offset:1168
	s_waitcnt vmcnt(51) lgkmcnt(1)
	v_mul_f64 v[53:54], v[1:2], v[59:60]
	v_mul_f64 v[59:60], v[3:4], v[59:60]
	s_waitcnt vmcnt(49)
	v_fma_f64 v[35:36], v[5:6], v[37:38], -v[35:36]
	v_fma_f64 v[17:18], v[7:8], v[37:38], v[17:18]
	ds_read_b128 v[5:8], v146 offset:1184
	v_add_f64 v[13:14], v[13:14], v[45:46]
	v_add_f64 v[15:16], v[15:16], v[29:30]
	s_waitcnt vmcnt(45) lgkmcnt(1)
	v_mul_f64 v[29:30], v[9:10], v[43:44]
	v_mul_f64 v[37:38], v[11:12], v[43:44]
	s_waitcnt vmcnt(44)
	v_fma_f64 v[43:44], v[1:2], v[65:66], -v[59:60]
	v_add_f64 v[13:14], v[13:14], v[35:36]
	v_fma_f64 v[35:36], v[3:4], v[65:66], v[53:54]
	v_add_f64 v[15:16], v[15:16], v[17:18]
	ds_read_b128 v[1:4], v146 offset:1200
	s_waitcnt vmcnt(43) lgkmcnt(1)
	v_mul_f64 v[45:46], v[7:8], v[69:70]
	v_mul_f64 v[17:18], v[5:6], v[69:70]
	s_waitcnt vmcnt(41)
	v_fma_f64 v[37:38], v[9:10], v[47:48], -v[37:38]
	v_fma_f64 v[29:30], v[11:12], v[47:48], v[29:30]
	ds_read_b128 v[9:12], v146 offset:1216
	v_add_f64 v[13:14], v[13:14], v[43:44]
	v_add_f64 v[15:16], v[15:16], v[35:36]
	s_waitcnt vmcnt(37) lgkmcnt(1)
	v_mul_f64 v[43:44], v[3:4], v[49:50]
	s_waitcnt vmcnt(36)
	v_fma_f64 v[45:46], v[5:6], v[71:72], -v[45:46]
	v_mul_f64 v[35:36], v[1:2], v[49:50]
	v_fma_f64 v[17:18], v[7:8], v[71:72], v[17:18]
	ds_read_b128 v[5:8], v146 offset:1232
	v_add_f64 v[13:14], v[13:14], v[37:38]
	v_add_f64 v[15:16], v[15:16], v[29:30]
	s_waitcnt vmcnt(35) lgkmcnt(1)
	v_mul_f64 v[37:38], v[11:12], v[163:164]
	v_mul_f64 v[29:30], v[9:10], v[163:164]
	s_waitcnt vmcnt(33)
	v_fma_f64 v[43:44], v[1:2], v[55:56], -v[43:44]
	v_fma_f64 v[35:36], v[3:4], v[55:56], v[35:36]
	ds_read_b128 v[1:4], v146 offset:1248
	v_add_f64 v[13:14], v[13:14], v[45:46]
	v_add_f64 v[15:16], v[15:16], v[17:18]
	s_waitcnt vmcnt(29) lgkmcnt(1)
	v_mul_f64 v[45:46], v[7:8], v[57:58]
	s_waitcnt vmcnt(28)
	v_fma_f64 v[37:38], v[9:10], v[167:168], -v[37:38]
	v_mul_f64 v[17:18], v[5:6], v[57:58]
	v_fma_f64 v[29:30], v[11:12], v[167:168], v[29:30]
	ds_read_b128 v[9:12], v146 offset:1264
	v_add_f64 v[13:14], v[13:14], v[43:44]
	v_add_f64 v[15:16], v[15:16], v[35:36]
	;; [unrolled: 18-line block ×3, first 2 shown]
	s_waitcnt vmcnt(19) lgkmcnt(1)
	v_mul_f64 v[45:46], v[7:8], v[165:166]
	v_mul_f64 v[17:18], v[5:6], v[165:166]
	s_waitcnt vmcnt(17)
	v_fma_f64 v[37:38], v[9:10], v[19:20], -v[37:38]
	v_fma_f64 v[19:20], v[11:12], v[19:20], v[29:30]
	ds_read_b128 v[9:12], v146 offset:1312
	v_add_f64 v[13:14], v[13:14], v[43:44]
	v_add_f64 v[15:16], v[15:16], v[35:36]
	s_waitcnt vmcnt(13) lgkmcnt(1)
	v_mul_f64 v[29:30], v[1:2], v[31:32]
	v_mul_f64 v[31:32], v[3:4], v[31:32]
	s_waitcnt vmcnt(12)
	v_fma_f64 v[35:36], v[5:6], v[169:170], -v[45:46]
	v_fma_f64 v[17:18], v[7:8], v[169:170], v[17:18]
	ds_read_b128 v[5:8], v146 offset:1328
	v_add_f64 v[13:14], v[13:14], v[37:38]
	v_add_f64 v[15:16], v[15:16], v[19:20]
	s_waitcnt vmcnt(11) lgkmcnt(1)
	v_mul_f64 v[37:38], v[11:12], v[155:156]
	v_mul_f64 v[19:20], v[9:10], v[155:156]
	s_waitcnt vmcnt(9)
	v_fma_f64 v[1:2], v[1:2], v[27:28], -v[31:32]
	v_fma_f64 v[3:4], v[3:4], v[27:28], v[29:30]
	v_add_f64 v[13:14], v[13:14], v[35:36]
	v_add_f64 v[15:16], v[15:16], v[17:18]
	s_waitcnt vmcnt(7) lgkmcnt(0)
	v_mul_f64 v[27:28], v[7:8], v[147:148]
	s_waitcnt vmcnt(6)
	v_fma_f64 v[9:10], v[9:10], v[174:175], -v[37:38]
	v_mul_f64 v[17:18], v[5:6], v[147:148]
	v_fma_f64 v[11:12], v[11:12], v[174:175], v[19:20]
	v_add_f64 v[1:2], v[13:14], v[1:2]
	v_add_f64 v[3:4], v[15:16], v[3:4]
	s_waitcnt vmcnt(4)
	v_fma_f64 v[5:6], v[5:6], v[33:34], -v[27:28]
	v_fma_f64 v[7:8], v[7:8], v[33:34], v[17:18]
	v_add_f64 v[1:2], v[1:2], v[9:10]
	v_add_f64 v[3:4], v[3:4], v[11:12]
	;; [unrolled: 1-line block ×4, first 2 shown]
	s_waitcnt vmcnt(2)
	v_add_f64 v[1:2], v[39:40], -v[1:2]
	s_waitcnt vmcnt(0)
	v_add_f64 v[3:4], v[51:52], -v[3:4]
	buffer_store_dword v2, off, s[0:3], 0 offset:36
	buffer_store_dword v1, off, s[0:3], 0 offset:32
	;; [unrolled: 1-line block ×4, first 2 shown]
	v_cmpx_ne_u32_e32 0, v0
	s_cbranch_execz .LBB41_265
; %bb.264:
	s_clause 0x3
	buffer_load_dword v0, off, s[0:3], 0 offset:16
	buffer_load_dword v1, off, s[0:3], 0 offset:20
	;; [unrolled: 1-line block ×4, first 2 shown]
	v_mov_b32_e32 v4, 0
	buffer_store_dword v4, off, s[0:3], 0 offset:16
	buffer_store_dword v4, off, s[0:3], 0 offset:20
	;; [unrolled: 1-line block ×4, first 2 shown]
	s_waitcnt vmcnt(0)
	ds_write_b128 v145, v[0:3]
.LBB41_265:
	s_or_b32 exec_lo, exec_lo, s4
	s_waitcnt lgkmcnt(0)
	s_waitcnt_vscnt null, 0x0
	s_barrier
	buffer_gl0_inv
	s_clause 0x37
	buffer_load_dword v8, off, s[0:3], 0 offset:40
	buffer_load_dword v9, off, s[0:3], 0 offset:44
	buffer_load_dword v4, off, s[0:3], 0 offset:56
	buffer_load_dword v5, off, s[0:3], 0 offset:60
	buffer_load_dword v6, off, s[0:3], 0 offset:32
	buffer_load_dword v7, off, s[0:3], 0 offset:36
	buffer_load_dword v2, off, s[0:3], 0 offset:72
	buffer_load_dword v3, off, s[0:3], 0 offset:76
	buffer_load_dword v0, off, s[0:3], 0 offset:48
	buffer_load_dword v1, off, s[0:3], 0 offset:52
	buffer_load_dword v13, off, s[0:3], 0 offset:92
	buffer_load_dword v16, off, s[0:3], 0 offset:104
	buffer_load_dword v10, off, s[0:3], 0 offset:96
	buffer_load_dword v12, off, s[0:3], 0 offset:88
	buffer_load_dword v31, off, s[0:3], 0 offset:64
	buffer_load_dword v32, off, s[0:3], 0 offset:68
	buffer_load_dword v17, off, s[0:3], 0 offset:108
	buffer_load_dword v19, off, s[0:3], 0 offset:84
	buffer_load_dword v18, off, s[0:3], 0 offset:80
	buffer_load_dword v28, off, s[0:3], 0 offset:124
	buffer_load_dword v33, off, s[0:3], 0 offset:136
	buffer_load_dword v14, off, s[0:3], 0 offset:128
	buffer_load_dword v27, off, s[0:3], 0 offset:120
	buffer_load_dword v11, off, s[0:3], 0 offset:100
	buffer_load_dword v34, off, s[0:3], 0 offset:140
	buffer_load_dword v36, off, s[0:3], 0 offset:116
	buffer_load_dword v35, off, s[0:3], 0 offset:112
	buffer_load_dword v38, off, s[0:3], 0 offset:156
	buffer_load_dword v43, off, s[0:3], 0 offset:168
	buffer_load_dword v29, off, s[0:3], 0 offset:160
	buffer_load_dword v37, off, s[0:3], 0 offset:152
	buffer_load_dword v15, off, s[0:3], 0 offset:132
	buffer_load_dword v44, off, s[0:3], 0 offset:172
	buffer_load_dword v46, off, s[0:3], 0 offset:148
	buffer_load_dword v45, off, s[0:3], 0 offset:144
	buffer_load_dword v48, off, s[0:3], 0 offset:188
	buffer_load_dword v51, off, s[0:3], 0 offset:200
	buffer_load_dword v39, off, s[0:3], 0 offset:192
	buffer_load_dword v47, off, s[0:3], 0 offset:184
	buffer_load_dword v30, off, s[0:3], 0 offset:164
	buffer_load_dword v52, off, s[0:3], 0 offset:204
	buffer_load_dword v54, off, s[0:3], 0 offset:180
	buffer_load_dword v53, off, s[0:3], 0 offset:176
	buffer_load_dword v56, off, s[0:3], 0 offset:220
	buffer_load_dword v59, off, s[0:3], 0 offset:232
	buffer_load_dword v49, off, s[0:3], 0 offset:224
	buffer_load_dword v55, off, s[0:3], 0 offset:216
	buffer_load_dword v40, off, s[0:3], 0 offset:196
	buffer_load_dword v60, off, s[0:3], 0 offset:236
	buffer_load_dword v66, off, s[0:3], 0 offset:212
	buffer_load_dword v65, off, s[0:3], 0 offset:208
	buffer_load_dword v68, off, s[0:3], 0 offset:252
	buffer_load_dword v69, off, s[0:3], 0 offset:264
	buffer_load_dword v57, off, s[0:3], 0 offset:256
	buffer_load_dword v67, off, s[0:3], 0 offset:248
	buffer_load_dword v50, off, s[0:3], 0 offset:228
	v_mov_b32_e32 v20, 0
	s_and_b32 vcc_lo, exec_lo, s54
	ds_read_b128 v[145:148], v20 offset:688
	s_clause 0x2
	buffer_load_dword v70, off, s[0:3], 0 offset:268
	buffer_load_dword v72, off, s[0:3], 0 offset:244
	;; [unrolled: 1-line block ×3, first 2 shown]
	ds_read_b128 v[149:152], v20 offset:704
	s_clause 0x4
	buffer_load_dword v160, off, s[0:3], 0 offset:284
	buffer_load_dword v161, off, s[0:3], 0 offset:296
	;; [unrolled: 1-line block ×5, first 2 shown]
	ds_read_b128 v[153:156], v20 offset:720
	s_clause 0x2
	buffer_load_dword v162, off, s[0:3], 0 offset:300
	buffer_load_dword v167, off, s[0:3], 0 offset:276
	;; [unrolled: 1-line block ×3, first 2 shown]
	s_waitcnt vmcnt(62) lgkmcnt(2)
	v_mul_f64 v[157:158], v[147:148], v[8:9]
	v_mul_f64 v[8:9], v[145:146], v[8:9]
	s_waitcnt lgkmcnt(1)
	v_mul_f64 v[164:165], v[151:152], v[4:5]
	s_waitcnt vmcnt(59) lgkmcnt(0)
	v_mul_f64 v[168:169], v[155:156], v[2:3]
	v_fma_f64 v[145:146], v[145:146], v[6:7], -v[157:158]
	v_mul_f64 v[157:158], v[149:150], v[4:5]
	v_fma_f64 v[8:9], v[147:148], v[6:7], v[8:9]
	s_waitcnt vmcnt(57)
	v_fma_f64 v[149:150], v[149:150], v[0:1], -v[164:165]
	ds_read_b128 v[4:7], v20 offset:736
	v_mul_f64 v[147:148], v[153:154], v[2:3]
	s_waitcnt vmcnt(51)
	v_fma_f64 v[153:154], v[153:154], v[31:32], -v[168:169]
	v_add_f64 v[145:146], v[145:146], 0
	v_fma_f64 v[151:152], v[151:152], v[0:1], v[157:158]
	v_add_f64 v[8:9], v[8:9], 0
	s_clause 0x4
	buffer_load_dword v158, off, s[0:3], 0 offset:316
	buffer_load_dword v170, off, s[0:3], 0 offset:328
	;; [unrolled: 1-line block ×5, first 2 shown]
	s_waitcnt lgkmcnt(0)
	v_mul_f64 v[173:174], v[4:5], v[12:13]
	v_mul_f64 v[12:13], v[6:7], v[12:13]
	ds_read_b128 v[0:3], v20 offset:752
	v_fma_f64 v[31:32], v[155:156], v[31:32], v[147:148]
	v_add_f64 v[149:150], v[145:146], v[149:150]
	v_add_f64 v[8:9], v[8:9], v[151:152]
	s_clause 0x2
	buffer_load_dword v171, off, s[0:3], 0 offset:332
	buffer_load_dword v152, off, s[0:3], 0 offset:308
	;; [unrolled: 1-line block ×3, first 2 shown]
	s_waitcnt vmcnt(58) lgkmcnt(0)
	v_mul_f64 v[155:156], v[0:1], v[16:17]
	v_mul_f64 v[16:17], v[2:3], v[16:17]
	s_waitcnt vmcnt(56)
	v_fma_f64 v[12:13], v[4:5], v[18:19], -v[12:13]
	ds_read_b128 v[145:148], v20 offset:768
	v_fma_f64 v[18:19], v[6:7], v[18:19], v[173:174]
	v_add_f64 v[149:150], v[149:150], v[153:154]
	v_add_f64 v[8:9], v[8:9], v[31:32]
	s_clause 0x4
	buffer_load_dword v32, off, s[0:3], 0 offset:348
	buffer_load_dword v153, off, s[0:3], 0 offset:360
	;; [unrolled: 1-line block ×5, first 2 shown]
	ds_read_b128 v[4:7], v20 offset:784
	s_waitcnt vmcnt(57) lgkmcnt(1)
	v_mul_f64 v[174:175], v[145:146], v[27:28]
	v_mul_f64 v[27:28], v[147:148], v[27:28]
	s_waitcnt vmcnt(56)
	v_fma_f64 v[16:17], v[0:1], v[10:11], -v[16:17]
	v_fma_f64 v[10:11], v[2:3], v[10:11], v[155:156]
	v_add_f64 v[12:13], v[149:150], v[12:13]
	v_add_f64 v[8:9], v[8:9], v[18:19]
	s_clause 0x2
	buffer_load_dword v154, off, s[0:3], 0 offset:364
	buffer_load_dword v19, off, s[0:3], 0 offset:340
	;; [unrolled: 1-line block ×3, first 2 shown]
	s_waitcnt vmcnt(58) lgkmcnt(0)
	v_mul_f64 v[149:150], v[4:5], v[33:34]
	v_mul_f64 v[33:34], v[6:7], v[33:34]
	s_waitcnt vmcnt(56)
	v_fma_f64 v[27:28], v[145:146], v[35:36], -v[27:28]
	ds_read_b128 v[0:3], v20 offset:800
	v_add_f64 v[12:13], v[12:13], v[16:17]
	v_fma_f64 v[16:17], v[147:148], v[35:36], v[174:175]
	v_add_f64 v[35:36], v[8:9], v[10:11]
	s_clause 0x4
	buffer_load_dword v146, off, s[0:3], 0 offset:380
	buffer_load_dword v147, off, s[0:3], 0 offset:392
	;; [unrolled: 1-line block ×5, first 2 shown]
	ds_read_b128 v[8:11], v20 offset:816
	s_waitcnt vmcnt(57) lgkmcnt(1)
	v_mul_f64 v[174:175], v[0:1], v[37:38]
	v_mul_f64 v[37:38], v[2:3], v[37:38]
	s_waitcnt vmcnt(56)
	v_fma_f64 v[33:34], v[4:5], v[14:15], -v[33:34]
	v_fma_f64 v[14:15], v[6:7], v[14:15], v[149:150]
	v_add_f64 v[12:13], v[12:13], v[27:28]
	s_clause 0x2
	buffer_load_dword v148, off, s[0:3], 0 offset:396
	buffer_load_dword v28, off, s[0:3], 0 offset:372
	;; [unrolled: 1-line block ×3, first 2 shown]
	v_add_f64 v[16:17], v[35:36], v[16:17]
	s_waitcnt vmcnt(58) lgkmcnt(0)
	v_mul_f64 v[35:36], v[8:9], v[43:44]
	v_mul_f64 v[43:44], v[10:11], v[43:44]
	ds_read_b128 v[4:7], v20 offset:832
	s_waitcnt vmcnt(56)
	v_fma_f64 v[37:38], v[0:1], v[45:46], -v[37:38]
	v_add_f64 v[12:13], v[12:13], v[33:34]
	v_fma_f64 v[33:34], v[2:3], v[45:46], v[174:175]
	v_add_f64 v[14:15], v[16:17], v[14:15]
	s_clause 0x4
	buffer_load_dword v17, off, s[0:3], 0 offset:412
	buffer_load_dword v45, off, s[0:3], 0 offset:424
	;; [unrolled: 1-line block ×5, first 2 shown]
	s_waitcnt vmcnt(57) lgkmcnt(0)
	v_mul_f64 v[174:175], v[4:5], v[47:48]
	v_mul_f64 v[47:48], v[6:7], v[47:48]
	s_waitcnt vmcnt(56)
	v_fma_f64 v[43:44], v[8:9], v[29:30], -v[43:44]
	ds_read_b128 v[0:3], v20 offset:848
	v_fma_f64 v[29:30], v[10:11], v[29:30], v[35:36]
	v_add_f64 v[12:13], v[12:13], v[37:38]
	v_add_f64 v[14:15], v[14:15], v[33:34]
	s_clause 0x2
	buffer_load_dword v46, off, s[0:3], 0 offset:428
	buffer_load_dword v34, off, s[0:3], 0 offset:404
	;; [unrolled: 1-line block ×3, first 2 shown]
	ds_read_b128 v[8:11], v20 offset:864
	s_waitcnt vmcnt(58) lgkmcnt(1)
	v_mul_f64 v[37:38], v[2:3], v[51:52]
	s_waitcnt vmcnt(56)
	v_fma_f64 v[47:48], v[4:5], v[53:54], -v[47:48]
	v_mul_f64 v[35:36], v[0:1], v[51:52]
	v_add_f64 v[12:13], v[12:13], v[43:44]
	v_fma_f64 v[43:44], v[6:7], v[53:54], v[174:175]
	v_add_f64 v[14:15], v[14:15], v[29:30]
	s_clause 0x4
	buffer_load_dword v30, off, s[0:3], 0 offset:444
	buffer_load_dword v51, off, s[0:3], 0 offset:456
	;; [unrolled: 1-line block ×5, first 2 shown]
	s_waitcnt vmcnt(57) lgkmcnt(0)
	v_mul_f64 v[174:175], v[8:9], v[55:56]
	v_mul_f64 v[54:55], v[10:11], v[55:56]
	s_waitcnt vmcnt(56)
	v_fma_f64 v[37:38], v[0:1], v[39:40], -v[37:38]
	ds_read_b128 v[4:7], v20 offset:880
	v_fma_f64 v[35:36], v[2:3], v[39:40], v[35:36]
	s_clause 0x2
	buffer_load_dword v52, off, s[0:3], 0 offset:460
	buffer_load_dword v40, off, s[0:3], 0 offset:436
	;; [unrolled: 1-line block ×3, first 2 shown]
	ds_read_b128 v[0:3], v20 offset:896
	v_add_f64 v[12:13], v[12:13], v[47:48]
	v_add_f64 v[14:15], v[14:15], v[43:44]
	s_waitcnt vmcnt(58) lgkmcnt(1)
	v_mul_f64 v[47:48], v[6:7], v[59:60]
	s_waitcnt vmcnt(56)
	v_fma_f64 v[55:56], v[8:9], v[65:66], -v[54:55]
	v_mul_f64 v[43:44], v[4:5], v[59:60]
	v_add_f64 v[12:13], v[12:13], v[37:38]
	v_fma_f64 v[37:38], v[10:11], v[65:66], v[174:175]
	v_add_f64 v[14:15], v[14:15], v[35:36]
	s_clause 0x4
	buffer_load_dword v36, off, s[0:3], 0 offset:476
	buffer_load_dword v59, off, s[0:3], 0 offset:488
	;; [unrolled: 1-line block ×5, first 2 shown]
	s_waitcnt vmcnt(57) lgkmcnt(0)
	v_mul_f64 v[174:175], v[0:1], v[67:68]
	v_mul_f64 v[66:67], v[2:3], v[67:68]
	s_waitcnt vmcnt(56)
	v_fma_f64 v[47:48], v[4:5], v[49:50], -v[47:48]
	ds_read_b128 v[8:11], v20 offset:912
	v_fma_f64 v[43:44], v[6:7], v[49:50], v[43:44]
	v_add_f64 v[12:13], v[12:13], v[55:56]
	v_add_f64 v[14:15], v[14:15], v[37:38]
	s_clause 0x2
	buffer_load_dword v60, off, s[0:3], 0 offset:492
	buffer_load_dword v38, off, s[0:3], 0 offset:468
	buffer_load_dword v37, off, s[0:3], 0 offset:464
	ds_read_b128 v[4:7], v20 offset:928
	s_waitcnt vmcnt(58) lgkmcnt(1)
	v_mul_f64 v[55:56], v[10:11], v[69:70]
	s_waitcnt vmcnt(56)
	v_fma_f64 v[67:68], v[0:1], v[71:72], -v[66:67]
	v_mul_f64 v[49:50], v[8:9], v[69:70]
	v_add_f64 v[12:13], v[12:13], v[47:48]
	v_fma_f64 v[47:48], v[2:3], v[71:72], v[174:175]
	v_add_f64 v[14:15], v[14:15], v[43:44]
	s_clause 0x4
	buffer_load_dword v44, off, s[0:3], 0 offset:508
	buffer_load_dword v69, off, s[0:3], 0 offset:520
	;; [unrolled: 1-line block ×5, first 2 shown]
	s_waitcnt vmcnt(57) lgkmcnt(0)
	v_mul_f64 v[174:175], v[4:5], v[159:160]
	v_mul_f64 v[159:160], v[6:7], v[159:160]
	s_waitcnt vmcnt(56)
	v_fma_f64 v[55:56], v[8:9], v[57:58], -v[55:56]
	ds_read_b128 v[0:3], v20 offset:944
	v_fma_f64 v[49:50], v[10:11], v[57:58], v[49:50]
	v_add_f64 v[12:13], v[12:13], v[67:68]
	v_add_f64 v[14:15], v[14:15], v[47:48]
	s_clause 0x2
	buffer_load_dword v70, off, s[0:3], 0 offset:524
	buffer_load_dword v48, off, s[0:3], 0 offset:500
	;; [unrolled: 1-line block ×3, first 2 shown]
	ds_read_b128 v[8:11], v20 offset:960
	s_waitcnt vmcnt(58) lgkmcnt(1)
	v_mul_f64 v[67:68], v[2:3], v[161:162]
	s_waitcnt vmcnt(56)
	v_fma_f64 v[159:160], v[4:5], v[166:167], -v[159:160]
	v_mul_f64 v[57:58], v[0:1], v[161:162]
	v_add_f64 v[12:13], v[12:13], v[55:56]
	v_fma_f64 v[55:56], v[6:7], v[166:167], v[174:175]
	v_add_f64 v[14:15], v[14:15], v[49:50]
	s_clause 0x4
	buffer_load_dword v50, off, s[0:3], 0 offset:540
	buffer_load_dword v161, off, s[0:3], 0 offset:552
	;; [unrolled: 1-line block ×5, first 2 shown]
	ds_read_b128 v[4:7], v20 offset:976
	s_waitcnt vmcnt(57) lgkmcnt(1)
	v_mul_f64 v[166:167], v[8:9], v[157:158]
	v_mul_f64 v[157:158], v[10:11], v[157:158]
	s_waitcnt vmcnt(56)
	v_fma_f64 v[67:68], v[0:1], v[163:164], -v[67:68]
	v_fma_f64 v[57:58], v[2:3], v[163:164], v[57:58]
	v_add_f64 v[12:13], v[12:13], v[159:160]
	v_add_f64 v[14:15], v[14:15], v[55:56]
	s_clause 0x2
	buffer_load_dword v162, off, s[0:3], 0 offset:556
	buffer_load_dword v56, off, s[0:3], 0 offset:532
	;; [unrolled: 1-line block ×3, first 2 shown]
	ds_read_b128 v[0:3], v20 offset:992
	s_waitcnt vmcnt(58) lgkmcnt(1)
	v_mul_f64 v[163:164], v[6:7], v[170:171]
	v_mul_f64 v[159:160], v[4:5], v[170:171]
	s_waitcnt vmcnt(56)
	v_fma_f64 v[157:158], v[8:9], v[151:152], -v[157:158]
	v_add_f64 v[12:13], v[12:13], v[67:68]
	v_fma_f64 v[67:68], v[10:11], v[151:152], v[166:167]
	v_add_f64 v[14:15], v[14:15], v[57:58]
	s_clause 0x4
	buffer_load_dword v58, off, s[0:3], 0 offset:572
	buffer_load_dword v151, off, s[0:3], 0 offset:584
	buffer_load_dword v170, off, s[0:3], 0 offset:576
	buffer_load_dword v57, off, s[0:3], 0 offset:568
	buffer_load_dword v166, off, s[0:3], 0 offset:548
	ds_read_b128 v[8:11], v20 offset:1008
	s_waitcnt vmcnt(57) lgkmcnt(1)
	v_mul_f64 v[174:175], v[0:1], v[31:32]
	v_mul_f64 v[31:32], v[2:3], v[31:32]
	s_waitcnt vmcnt(56)
	v_fma_f64 v[163:164], v[4:5], v[172:173], -v[163:164]
	v_add_f64 v[12:13], v[12:13], v[157:158]
	v_fma_f64 v[157:158], v[6:7], v[172:173], v[159:160]
	v_add_f64 v[14:15], v[14:15], v[67:68]
	s_clause 0x2
	buffer_load_dword v152, off, s[0:3], 0 offset:588
	buffer_load_dword v68, off, s[0:3], 0 offset:564
	buffer_load_dword v67, off, s[0:3], 0 offset:560
	ds_read_b128 v[4:7], v20 offset:1024
	s_waitcnt vmcnt(58) lgkmcnt(1)
	v_mul_f64 v[159:160], v[8:9], v[153:154]
	v_mul_f64 v[153:154], v[10:11], v[153:154]
	s_waitcnt vmcnt(56)
	v_fma_f64 v[31:32], v[0:1], v[18:19], -v[31:32]
	v_fma_f64 v[18:19], v[2:3], v[18:19], v[174:175]
	v_add_f64 v[12:13], v[12:13], v[163:164]
	v_add_f64 v[14:15], v[14:15], v[157:158]
	s_clause 0x4
	buffer_load_dword v158, off, s[0:3], 0 offset:604
	buffer_load_dword v163, off, s[0:3], 0 offset:616
	buffer_load_dword v167, off, s[0:3], 0 offset:608
	buffer_load_dword v157, off, s[0:3], 0 offset:600
	buffer_load_dword v171, off, s[0:3], 0 offset:580
	ds_read_b128 v[0:3], v20 offset:1040
	s_waitcnt vmcnt(57) lgkmcnt(1)
	v_mul_f64 v[172:173], v[4:5], v[145:146]
	v_mul_f64 v[145:146], v[6:7], v[145:146]
	s_waitcnt vmcnt(56)
	v_fma_f64 v[153:154], v[8:9], v[168:169], -v[153:154]
	v_add_f64 v[12:13], v[12:13], v[31:32]
	v_fma_f64 v[31:32], v[10:11], v[168:169], v[159:160]
	v_add_f64 v[14:15], v[14:15], v[18:19]
	s_clause 0x2
	buffer_load_dword v164, off, s[0:3], 0 offset:620
	buffer_load_dword v19, off, s[0:3], 0 offset:596
	buffer_load_dword v18, off, s[0:3], 0 offset:592
	ds_read_b128 v[8:11], v20 offset:1056
	s_waitcnt vmcnt(58) lgkmcnt(1)
	v_mul_f64 v[159:160], v[0:1], v[147:148]
	v_mul_f64 v[147:148], v[2:3], v[147:148]
	s_waitcnt vmcnt(56)
	v_fma_f64 v[145:146], v[4:5], v[27:28], -v[145:146]
	v_fma_f64 v[27:28], v[6:7], v[27:28], v[172:173]
	v_add_f64 v[12:13], v[12:13], v[153:154]
	;; [unrolled: 28-line block ×3, first 2 shown]
	v_add_f64 v[14:15], v[14:15], v[145:146]
	s_clause 0x4
	buffer_load_dword v146, off, s[0:3], 0 offset:668
	buffer_load_dword v147, off, s[0:3], 0 offset:680
	;; [unrolled: 1-line block ×5, first 2 shown]
	ds_read_b128 v[8:11], v20 offset:1104
	s_waitcnt vmcnt(57) lgkmcnt(1)
	v_mul_f64 v[174:175], v[0:1], v[29:30]
	v_mul_f64 v[29:30], v[2:3], v[29:30]
	s_waitcnt vmcnt(56)
	v_fma_f64 v[45:46], v[4:5], v[149:150], -v[45:46]
	v_add_f64 v[12:13], v[12:13], v[16:17]
	v_fma_f64 v[16:17], v[6:7], v[149:150], v[155:156]
	v_add_f64 v[14:15], v[14:15], v[33:34]
	s_clause 0x2
	buffer_load_dword v148, off, s[0:3], 0 offset:684
	buffer_load_dword v34, off, s[0:3], 0 offset:660
	;; [unrolled: 1-line block ×3, first 2 shown]
	s_waitcnt vmcnt(58) lgkmcnt(0)
	v_mul_f64 v[149:150], v[8:9], v[51:52]
	v_mul_f64 v[51:52], v[10:11], v[51:52]
	ds_read_b128 v[4:7], v20 offset:1120
	buffer_load_dword v160, off, s[0:3], 0 offset:676
	s_waitcnt vmcnt(57)
	v_fma_f64 v[29:30], v[0:1], v[39:40], -v[29:30]
	v_fma_f64 v[39:40], v[2:3], v[39:40], v[174:175]
	ds_read_b128 v[0:3], v20 offset:1136
	v_add_f64 v[12:13], v[12:13], v[45:46]
	v_add_f64 v[14:15], v[14:15], v[16:17]
	s_waitcnt vmcnt(53) lgkmcnt(1)
	v_mul_f64 v[16:17], v[4:5], v[35:36]
	v_mul_f64 v[35:36], v[6:7], v[35:36]
	s_waitcnt vmcnt(52)
	v_fma_f64 v[45:46], v[8:9], v[53:54], -v[51:52]
	v_add_f64 v[12:13], v[12:13], v[29:30]
	v_fma_f64 v[29:30], v[10:11], v[53:54], v[149:150]
	v_add_f64 v[14:15], v[14:15], v[39:40]
	ds_read_b128 v[8:11], v20 offset:1152
	s_waitcnt vmcnt(51) lgkmcnt(1)
	v_mul_f64 v[51:52], v[2:3], v[59:60]
	v_mul_f64 v[39:40], v[0:1], v[59:60]
	s_waitcnt vmcnt(49)
	v_fma_f64 v[35:36], v[4:5], v[37:38], -v[35:36]
	v_fma_f64 v[16:17], v[6:7], v[37:38], v[16:17]
	v_add_f64 v[12:13], v[12:13], v[45:46]
	v_add_f64 v[14:15], v[14:15], v[29:30]
	s_clause 0x3
	buffer_load_dword v29, off, s[0:3], 0 offset:16
	buffer_load_dword v30, off, s[0:3], 0 offset:20
	;; [unrolled: 1-line block ×4, first 2 shown]
	ds_read_b128 v[4:7], v20 offset:1168
	s_waitcnt vmcnt(49) lgkmcnt(1)
	v_mul_f64 v[45:46], v[8:9], v[43:44]
	v_mul_f64 v[43:44], v[10:11], v[43:44]
	s_waitcnt vmcnt(48)
	v_fma_f64 v[51:52], v[0:1], v[65:66], -v[51:52]
	v_add_f64 v[12:13], v[12:13], v[35:36]
	v_fma_f64 v[35:36], v[2:3], v[65:66], v[39:40]
	v_add_f64 v[14:15], v[14:15], v[16:17]
	ds_read_b128 v[0:3], v20 offset:1184
	s_waitcnt vmcnt(47) lgkmcnt(1)
	v_mul_f64 v[39:40], v[6:7], v[69:70]
	v_mul_f64 v[16:17], v[4:5], v[69:70]
	s_waitcnt vmcnt(45)
	v_fma_f64 v[43:44], v[8:9], v[47:48], -v[43:44]
	v_fma_f64 v[45:46], v[10:11], v[47:48], v[45:46]
	ds_read_b128 v[8:11], v20 offset:1200
	v_add_f64 v[12:13], v[12:13], v[51:52]
	v_add_f64 v[14:15], v[14:15], v[35:36]
	s_waitcnt vmcnt(41) lgkmcnt(1)
	v_mul_f64 v[47:48], v[2:3], v[49:50]
	s_waitcnt vmcnt(40)
	v_fma_f64 v[39:40], v[4:5], v[71:72], -v[39:40]
	v_mul_f64 v[35:36], v[0:1], v[49:50]
	v_fma_f64 v[16:17], v[6:7], v[71:72], v[16:17]
	ds_read_b128 v[4:7], v20 offset:1216
	v_add_f64 v[12:13], v[12:13], v[43:44]
	v_add_f64 v[14:15], v[14:15], v[45:46]
	s_waitcnt vmcnt(39) lgkmcnt(1)
	v_mul_f64 v[45:46], v[10:11], v[161:162]
	v_mul_f64 v[43:44], v[8:9], v[161:162]
	s_waitcnt vmcnt(37)
	v_fma_f64 v[47:48], v[0:1], v[55:56], -v[47:48]
	v_fma_f64 v[35:36], v[2:3], v[55:56], v[35:36]
	ds_read_b128 v[0:3], v20 offset:1232
	v_add_f64 v[12:13], v[12:13], v[39:40]
	v_add_f64 v[14:15], v[14:15], v[16:17]
	s_waitcnt vmcnt(33) lgkmcnt(1)
	v_mul_f64 v[39:40], v[6:7], v[57:58]
	s_waitcnt vmcnt(32)
	v_fma_f64 v[45:46], v[8:9], v[165:166], -v[45:46]
	v_mul_f64 v[16:17], v[4:5], v[57:58]
	v_fma_f64 v[43:44], v[10:11], v[165:166], v[43:44]
	ds_read_b128 v[8:11], v20 offset:1248
	v_add_f64 v[12:13], v[12:13], v[47:48]
	v_add_f64 v[14:15], v[14:15], v[35:36]
	;; [unrolled: 18-line block ×3, first 2 shown]
	s_waitcnt vmcnt(23) lgkmcnt(1)
	v_mul_f64 v[39:40], v[6:7], v[163:164]
	v_mul_f64 v[16:17], v[4:5], v[163:164]
	s_waitcnt vmcnt(21)
	v_fma_f64 v[45:46], v[8:9], v[18:19], -v[45:46]
	v_fma_f64 v[18:19], v[10:11], v[18:19], v[43:44]
	ds_read_b128 v[8:11], v20 offset:1296
	v_add_f64 v[12:13], v[12:13], v[47:48]
	v_add_f64 v[14:15], v[14:15], v[35:36]
	s_waitcnt vmcnt(17) lgkmcnt(1)
	v_mul_f64 v[35:36], v[0:1], v[31:32]
	v_mul_f64 v[31:32], v[2:3], v[31:32]
	s_waitcnt vmcnt(16)
	v_fma_f64 v[39:40], v[4:5], v[167:168], -v[39:40]
	v_fma_f64 v[16:17], v[6:7], v[167:168], v[16:17]
	ds_read_b128 v[4:7], v20 offset:1312
	v_add_f64 v[12:13], v[12:13], v[45:46]
	v_add_f64 v[14:15], v[14:15], v[18:19]
	s_waitcnt vmcnt(15) lgkmcnt(1)
	v_mul_f64 v[43:44], v[10:11], v[153:154]
	v_mul_f64 v[18:19], v[8:9], v[153:154]
	s_waitcnt vmcnt(13)
	v_fma_f64 v[31:32], v[0:1], v[27:28], -v[31:32]
	v_fma_f64 v[27:28], v[2:3], v[27:28], v[35:36]
	ds_read_b128 v[0:3], v20 offset:1328
	v_add_f64 v[12:13], v[12:13], v[39:40]
	v_add_f64 v[14:15], v[14:15], v[16:17]
	s_waitcnt vmcnt(9) lgkmcnt(1)
	v_mul_f64 v[35:36], v[6:7], v[145:146]
	s_waitcnt vmcnt(8)
	v_fma_f64 v[8:9], v[8:9], v[172:173], -v[43:44]
	v_mul_f64 v[16:17], v[4:5], v[145:146]
	v_fma_f64 v[10:11], v[10:11], v[172:173], v[18:19]
	v_add_f64 v[12:13], v[12:13], v[31:32]
	v_add_f64 v[14:15], v[14:15], v[27:28]
	s_waitcnt vmcnt(7) lgkmcnt(0)
	v_mul_f64 v[27:28], v[2:3], v[147:148]
	v_mul_f64 v[18:19], v[0:1], v[147:148]
	s_waitcnt vmcnt(5)
	v_fma_f64 v[4:5], v[4:5], v[33:34], -v[35:36]
	v_fma_f64 v[6:7], v[6:7], v[33:34], v[16:17]
	v_add_f64 v[8:9], v[12:13], v[8:9]
	v_add_f64 v[10:11], v[14:15], v[10:11]
	s_waitcnt vmcnt(4)
	v_fma_f64 v[0:1], v[0:1], v[159:160], -v[27:28]
	v_fma_f64 v[2:3], v[2:3], v[159:160], v[18:19]
	v_add_f64 v[4:5], v[8:9], v[4:5]
	v_add_f64 v[6:7], v[10:11], v[6:7]
	;; [unrolled: 1-line block ×4, first 2 shown]
	s_waitcnt vmcnt(2)
	v_add_f64 v[0:1], v[29:30], -v[0:1]
	s_waitcnt vmcnt(0)
	v_add_f64 v[2:3], v[37:38], -v[2:3]
	buffer_store_dword v1, off, s[0:3], 0 offset:20
	buffer_store_dword v0, off, s[0:3], 0 offset:16
	;; [unrolled: 1-line block ×4, first 2 shown]
	s_cbranch_vccz .LBB41_348
; %bb.266:
	global_load_dword v0, v20, s[20:21] offset:160
	s_waitcnt vmcnt(0)
	v_add_nc_u32_e32 v0, -1, v0
	v_cmp_ne_u32_e32 vcc_lo, 40, v0
	s_cbranch_vccz .LBB41_268
; %bb.267:
	v_lshlrev_b32_e32 v0, 4, v0
	v_mov_b32_e32 v1, s9
	v_add_nc_u32_e32 v0, 16, v0
	s_clause 0x7
	buffer_load_dword v2, v0, s[0:3], 0 offen
	buffer_load_dword v3, v0, s[0:3], 0 offen offset:4
	buffer_load_dword v4, v0, s[0:3], 0 offen offset:8
	;; [unrolled: 1-line block ×6, first 2 shown]
	buffer_load_dword v9, v1, s[0:3], 0 offen
	s_waitcnt vmcnt(7)
	buffer_store_dword v2, v1, s[0:3], 0 offen
	s_waitcnt vmcnt(6)
	buffer_store_dword v3, v1, s[0:3], 0 offen offset:4
	s_waitcnt vmcnt(5)
	buffer_store_dword v4, v1, s[0:3], 0 offen offset:8
	;; [unrolled: 2-line block ×6, first 2 shown]
	s_waitcnt vmcnt(0)
	buffer_store_dword v9, v0, s[0:3], 0 offen
.LBB41_268:
	v_mov_b32_e32 v0, 0
	global_load_dword v1, v0, s[20:21] offset:156
	s_waitcnt vmcnt(0)
	v_add_nc_u32_e32 v1, -1, v1
	v_cmp_eq_u32_e32 vcc_lo, 39, v1
	s_cbranch_vccnz .LBB41_270
; %bb.269:
	v_lshlrev_b32_e32 v1, 4, v1
	v_mov_b32_e32 v2, s12
	v_add_nc_u32_e32 v1, 16, v1
	s_clause 0x7
	buffer_load_dword v3, v1, s[0:3], 0 offen
	buffer_load_dword v4, v1, s[0:3], 0 offen offset:4
	buffer_load_dword v5, v1, s[0:3], 0 offen offset:8
	;; [unrolled: 1-line block ×6, first 2 shown]
	buffer_load_dword v10, v2, s[0:3], 0 offen
	s_waitcnt vmcnt(7)
	buffer_store_dword v3, v2, s[0:3], 0 offen
	s_waitcnt vmcnt(6)
	buffer_store_dword v4, v2, s[0:3], 0 offen offset:4
	s_waitcnt vmcnt(5)
	buffer_store_dword v5, v2, s[0:3], 0 offen offset:8
	;; [unrolled: 2-line block ×6, first 2 shown]
	s_waitcnt vmcnt(0)
	buffer_store_dword v10, v1, s[0:3], 0 offen
.LBB41_270:
	global_load_dword v0, v0, s[20:21] offset:152
	s_waitcnt vmcnt(0)
	v_add_nc_u32_e32 v0, -1, v0
	v_cmp_eq_u32_e32 vcc_lo, 38, v0
	s_cbranch_vccnz .LBB41_272
; %bb.271:
	v_lshlrev_b32_e32 v0, 4, v0
	v_mov_b32_e32 v1, s13
	v_add_nc_u32_e32 v0, 16, v0
	s_clause 0x7
	buffer_load_dword v2, v0, s[0:3], 0 offen
	buffer_load_dword v3, v0, s[0:3], 0 offen offset:4
	buffer_load_dword v4, v0, s[0:3], 0 offen offset:8
	;; [unrolled: 1-line block ×6, first 2 shown]
	buffer_load_dword v9, v1, s[0:3], 0 offen
	s_waitcnt vmcnt(7)
	buffer_store_dword v2, v1, s[0:3], 0 offen
	s_waitcnt vmcnt(6)
	buffer_store_dword v3, v1, s[0:3], 0 offen offset:4
	s_waitcnt vmcnt(5)
	buffer_store_dword v4, v1, s[0:3], 0 offen offset:8
	;; [unrolled: 2-line block ×6, first 2 shown]
	s_waitcnt vmcnt(0)
	buffer_store_dword v9, v0, s[0:3], 0 offen
.LBB41_272:
	v_mov_b32_e32 v0, 0
	global_load_dword v1, v0, s[20:21] offset:148
	s_waitcnt vmcnt(0)
	v_add_nc_u32_e32 v1, -1, v1
	v_cmp_eq_u32_e32 vcc_lo, 37, v1
	s_cbranch_vccnz .LBB41_274
; %bb.273:
	v_lshlrev_b32_e32 v1, 4, v1
	v_mov_b32_e32 v2, s14
	v_add_nc_u32_e32 v1, 16, v1
	s_clause 0x7
	buffer_load_dword v3, v1, s[0:3], 0 offen
	buffer_load_dword v4, v1, s[0:3], 0 offen offset:4
	buffer_load_dword v5, v1, s[0:3], 0 offen offset:8
	;; [unrolled: 1-line block ×6, first 2 shown]
	buffer_load_dword v10, v2, s[0:3], 0 offen
	s_waitcnt vmcnt(7)
	buffer_store_dword v3, v2, s[0:3], 0 offen
	s_waitcnt vmcnt(6)
	buffer_store_dword v4, v2, s[0:3], 0 offen offset:4
	s_waitcnt vmcnt(5)
	buffer_store_dword v5, v2, s[0:3], 0 offen offset:8
	;; [unrolled: 2-line block ×6, first 2 shown]
	s_waitcnt vmcnt(0)
	buffer_store_dword v10, v1, s[0:3], 0 offen
.LBB41_274:
	global_load_dword v0, v0, s[20:21] offset:144
	s_waitcnt vmcnt(0)
	v_add_nc_u32_e32 v0, -1, v0
	v_cmp_eq_u32_e32 vcc_lo, 36, v0
	s_cbranch_vccnz .LBB41_276
; %bb.275:
	v_lshlrev_b32_e32 v0, 4, v0
	v_mov_b32_e32 v1, s15
	v_add_nc_u32_e32 v0, 16, v0
	s_clause 0x7
	buffer_load_dword v2, v0, s[0:3], 0 offen
	buffer_load_dword v3, v0, s[0:3], 0 offen offset:4
	buffer_load_dword v4, v0, s[0:3], 0 offen offset:8
	;; [unrolled: 1-line block ×6, first 2 shown]
	buffer_load_dword v9, v1, s[0:3], 0 offen
	s_waitcnt vmcnt(7)
	buffer_store_dword v2, v1, s[0:3], 0 offen
	s_waitcnt vmcnt(6)
	buffer_store_dword v3, v1, s[0:3], 0 offen offset:4
	s_waitcnt vmcnt(5)
	buffer_store_dword v4, v1, s[0:3], 0 offen offset:8
	;; [unrolled: 2-line block ×6, first 2 shown]
	s_waitcnt vmcnt(0)
	buffer_store_dword v9, v0, s[0:3], 0 offen
.LBB41_276:
	v_mov_b32_e32 v0, 0
	global_load_dword v1, v0, s[20:21] offset:140
	s_waitcnt vmcnt(0)
	v_add_nc_u32_e32 v1, -1, v1
	v_cmp_eq_u32_e32 vcc_lo, 35, v1
	s_cbranch_vccnz .LBB41_278
; %bb.277:
	v_lshlrev_b32_e32 v1, 4, v1
	v_mov_b32_e32 v2, s16
	v_add_nc_u32_e32 v1, 16, v1
	s_clause 0x7
	buffer_load_dword v3, v1, s[0:3], 0 offen
	buffer_load_dword v4, v1, s[0:3], 0 offen offset:4
	buffer_load_dword v5, v1, s[0:3], 0 offen offset:8
	;; [unrolled: 1-line block ×6, first 2 shown]
	buffer_load_dword v10, v2, s[0:3], 0 offen
	s_waitcnt vmcnt(7)
	buffer_store_dword v3, v2, s[0:3], 0 offen
	s_waitcnt vmcnt(6)
	buffer_store_dword v4, v2, s[0:3], 0 offen offset:4
	s_waitcnt vmcnt(5)
	buffer_store_dword v5, v2, s[0:3], 0 offen offset:8
	s_waitcnt vmcnt(4)
	buffer_store_dword v6, v2, s[0:3], 0 offen offset:12
	s_waitcnt vmcnt(3)
	buffer_store_dword v7, v1, s[0:3], 0 offen offset:12
	s_waitcnt vmcnt(2)
	buffer_store_dword v8, v1, s[0:3], 0 offen offset:8
	s_waitcnt vmcnt(1)
	buffer_store_dword v9, v1, s[0:3], 0 offen offset:4
	s_waitcnt vmcnt(0)
	buffer_store_dword v10, v1, s[0:3], 0 offen
.LBB41_278:
	global_load_dword v0, v0, s[20:21] offset:136
	s_waitcnt vmcnt(0)
	v_add_nc_u32_e32 v0, -1, v0
	v_cmp_eq_u32_e32 vcc_lo, 34, v0
	s_cbranch_vccnz .LBB41_280
; %bb.279:
	v_lshlrev_b32_e32 v0, 4, v0
	v_mov_b32_e32 v1, s17
	v_add_nc_u32_e32 v0, 16, v0
	s_clause 0x7
	buffer_load_dword v2, v0, s[0:3], 0 offen
	buffer_load_dword v3, v0, s[0:3], 0 offen offset:4
	buffer_load_dword v4, v0, s[0:3], 0 offen offset:8
	;; [unrolled: 1-line block ×6, first 2 shown]
	buffer_load_dword v9, v1, s[0:3], 0 offen
	s_waitcnt vmcnt(7)
	buffer_store_dword v2, v1, s[0:3], 0 offen
	s_waitcnt vmcnt(6)
	buffer_store_dword v3, v1, s[0:3], 0 offen offset:4
	s_waitcnt vmcnt(5)
	buffer_store_dword v4, v1, s[0:3], 0 offen offset:8
	;; [unrolled: 2-line block ×6, first 2 shown]
	s_waitcnt vmcnt(0)
	buffer_store_dword v9, v0, s[0:3], 0 offen
.LBB41_280:
	v_mov_b32_e32 v0, 0
	global_load_dword v1, v0, s[20:21] offset:132
	s_waitcnt vmcnt(0)
	v_add_nc_u32_e32 v1, -1, v1
	v_cmp_eq_u32_e32 vcc_lo, 33, v1
	s_cbranch_vccnz .LBB41_282
; %bb.281:
	v_lshlrev_b32_e32 v1, 4, v1
	v_mov_b32_e32 v2, s19
	v_add_nc_u32_e32 v1, 16, v1
	s_clause 0x7
	buffer_load_dword v3, v1, s[0:3], 0 offen
	buffer_load_dword v4, v1, s[0:3], 0 offen offset:4
	buffer_load_dword v5, v1, s[0:3], 0 offen offset:8
	;; [unrolled: 1-line block ×6, first 2 shown]
	buffer_load_dword v10, v2, s[0:3], 0 offen
	s_waitcnt vmcnt(7)
	buffer_store_dword v3, v2, s[0:3], 0 offen
	s_waitcnt vmcnt(6)
	buffer_store_dword v4, v2, s[0:3], 0 offen offset:4
	s_waitcnt vmcnt(5)
	buffer_store_dword v5, v2, s[0:3], 0 offen offset:8
	;; [unrolled: 2-line block ×6, first 2 shown]
	s_waitcnt vmcnt(0)
	buffer_store_dword v10, v1, s[0:3], 0 offen
.LBB41_282:
	global_load_dword v0, v0, s[20:21] offset:128
	s_waitcnt vmcnt(0)
	v_add_nc_u32_e32 v0, -1, v0
	v_cmp_eq_u32_e32 vcc_lo, 32, v0
	s_cbranch_vccnz .LBB41_284
; %bb.283:
	v_lshlrev_b32_e32 v0, 4, v0
	v_mov_b32_e32 v1, s23
	v_add_nc_u32_e32 v0, 16, v0
	s_clause 0x7
	buffer_load_dword v2, v0, s[0:3], 0 offen
	buffer_load_dword v3, v0, s[0:3], 0 offen offset:4
	buffer_load_dword v4, v0, s[0:3], 0 offen offset:8
	;; [unrolled: 1-line block ×6, first 2 shown]
	buffer_load_dword v9, v1, s[0:3], 0 offen
	s_waitcnt vmcnt(7)
	buffer_store_dword v2, v1, s[0:3], 0 offen
	s_waitcnt vmcnt(6)
	buffer_store_dword v3, v1, s[0:3], 0 offen offset:4
	s_waitcnt vmcnt(5)
	buffer_store_dword v4, v1, s[0:3], 0 offen offset:8
	;; [unrolled: 2-line block ×6, first 2 shown]
	s_waitcnt vmcnt(0)
	buffer_store_dword v9, v0, s[0:3], 0 offen
.LBB41_284:
	v_mov_b32_e32 v0, 0
	global_load_dword v1, v0, s[20:21] offset:124
	s_waitcnt vmcnt(0)
	v_add_nc_u32_e32 v1, -1, v1
	v_cmp_eq_u32_e32 vcc_lo, 31, v1
	s_cbranch_vccnz .LBB41_286
; %bb.285:
	v_lshlrev_b32_e32 v1, 4, v1
	v_mov_b32_e32 v2, s24
	v_add_nc_u32_e32 v1, 16, v1
	s_clause 0x7
	buffer_load_dword v3, v1, s[0:3], 0 offen
	buffer_load_dword v4, v1, s[0:3], 0 offen offset:4
	buffer_load_dword v5, v1, s[0:3], 0 offen offset:8
	;; [unrolled: 1-line block ×6, first 2 shown]
	buffer_load_dword v10, v2, s[0:3], 0 offen
	s_waitcnt vmcnt(7)
	buffer_store_dword v3, v2, s[0:3], 0 offen
	s_waitcnt vmcnt(6)
	buffer_store_dword v4, v2, s[0:3], 0 offen offset:4
	s_waitcnt vmcnt(5)
	buffer_store_dword v5, v2, s[0:3], 0 offen offset:8
	;; [unrolled: 2-line block ×6, first 2 shown]
	s_waitcnt vmcnt(0)
	buffer_store_dword v10, v1, s[0:3], 0 offen
.LBB41_286:
	global_load_dword v0, v0, s[20:21] offset:120
	s_waitcnt vmcnt(0)
	v_add_nc_u32_e32 v0, -1, v0
	v_cmp_eq_u32_e32 vcc_lo, 30, v0
	s_cbranch_vccnz .LBB41_288
; %bb.287:
	v_lshlrev_b32_e32 v0, 4, v0
	v_mov_b32_e32 v1, s26
	v_add_nc_u32_e32 v0, 16, v0
	s_clause 0x7
	buffer_load_dword v2, v0, s[0:3], 0 offen
	buffer_load_dword v3, v0, s[0:3], 0 offen offset:4
	buffer_load_dword v4, v0, s[0:3], 0 offen offset:8
	;; [unrolled: 1-line block ×6, first 2 shown]
	buffer_load_dword v9, v1, s[0:3], 0 offen
	s_waitcnt vmcnt(7)
	buffer_store_dword v2, v1, s[0:3], 0 offen
	s_waitcnt vmcnt(6)
	buffer_store_dword v3, v1, s[0:3], 0 offen offset:4
	s_waitcnt vmcnt(5)
	buffer_store_dword v4, v1, s[0:3], 0 offen offset:8
	;; [unrolled: 2-line block ×6, first 2 shown]
	s_waitcnt vmcnt(0)
	buffer_store_dword v9, v0, s[0:3], 0 offen
.LBB41_288:
	v_mov_b32_e32 v0, 0
	global_load_dword v1, v0, s[20:21] offset:116
	s_waitcnt vmcnt(0)
	v_add_nc_u32_e32 v1, -1, v1
	v_cmp_eq_u32_e32 vcc_lo, 29, v1
	s_cbranch_vccnz .LBB41_290
; %bb.289:
	v_lshlrev_b32_e32 v1, 4, v1
	v_mov_b32_e32 v2, s28
	v_add_nc_u32_e32 v1, 16, v1
	s_clause 0x7
	buffer_load_dword v3, v1, s[0:3], 0 offen
	buffer_load_dword v4, v1, s[0:3], 0 offen offset:4
	buffer_load_dword v5, v1, s[0:3], 0 offen offset:8
	;; [unrolled: 1-line block ×6, first 2 shown]
	buffer_load_dword v10, v2, s[0:3], 0 offen
	s_waitcnt vmcnt(7)
	buffer_store_dword v3, v2, s[0:3], 0 offen
	s_waitcnt vmcnt(6)
	buffer_store_dword v4, v2, s[0:3], 0 offen offset:4
	s_waitcnt vmcnt(5)
	buffer_store_dword v5, v2, s[0:3], 0 offen offset:8
	;; [unrolled: 2-line block ×6, first 2 shown]
	s_waitcnt vmcnt(0)
	buffer_store_dword v10, v1, s[0:3], 0 offen
.LBB41_290:
	global_load_dword v0, v0, s[20:21] offset:112
	s_waitcnt vmcnt(0)
	v_add_nc_u32_e32 v0, -1, v0
	v_cmp_eq_u32_e32 vcc_lo, 28, v0
	s_cbranch_vccnz .LBB41_292
; %bb.291:
	v_lshlrev_b32_e32 v0, 4, v0
	v_mov_b32_e32 v1, s30
	v_add_nc_u32_e32 v0, 16, v0
	s_clause 0x7
	buffer_load_dword v2, v0, s[0:3], 0 offen
	buffer_load_dword v3, v0, s[0:3], 0 offen offset:4
	buffer_load_dword v4, v0, s[0:3], 0 offen offset:8
	;; [unrolled: 1-line block ×6, first 2 shown]
	buffer_load_dword v9, v1, s[0:3], 0 offen
	s_waitcnt vmcnt(7)
	buffer_store_dword v2, v1, s[0:3], 0 offen
	s_waitcnt vmcnt(6)
	buffer_store_dword v3, v1, s[0:3], 0 offen offset:4
	s_waitcnt vmcnt(5)
	buffer_store_dword v4, v1, s[0:3], 0 offen offset:8
	;; [unrolled: 2-line block ×6, first 2 shown]
	s_waitcnt vmcnt(0)
	buffer_store_dword v9, v0, s[0:3], 0 offen
.LBB41_292:
	v_mov_b32_e32 v0, 0
	global_load_dword v1, v0, s[20:21] offset:108
	s_waitcnt vmcnt(0)
	v_add_nc_u32_e32 v1, -1, v1
	v_cmp_eq_u32_e32 vcc_lo, 27, v1
	s_cbranch_vccnz .LBB41_294
; %bb.293:
	v_lshlrev_b32_e32 v1, 4, v1
	v_mov_b32_e32 v2, s33
	v_add_nc_u32_e32 v1, 16, v1
	s_clause 0x7
	buffer_load_dword v3, v1, s[0:3], 0 offen
	buffer_load_dword v4, v1, s[0:3], 0 offen offset:4
	buffer_load_dword v5, v1, s[0:3], 0 offen offset:8
	buffer_load_dword v6, v1, s[0:3], 0 offen offset:12
	buffer_load_dword v7, v2, s[0:3], 0 offen offset:12
	buffer_load_dword v8, v2, s[0:3], 0 offen offset:8
	buffer_load_dword v9, v2, s[0:3], 0 offen offset:4
	buffer_load_dword v10, v2, s[0:3], 0 offen
	s_waitcnt vmcnt(7)
	buffer_store_dword v3, v2, s[0:3], 0 offen
	s_waitcnt vmcnt(6)
	buffer_store_dword v4, v2, s[0:3], 0 offen offset:4
	s_waitcnt vmcnt(5)
	buffer_store_dword v5, v2, s[0:3], 0 offen offset:8
	;; [unrolled: 2-line block ×6, first 2 shown]
	s_waitcnt vmcnt(0)
	buffer_store_dword v10, v1, s[0:3], 0 offen
.LBB41_294:
	global_load_dword v0, v0, s[20:21] offset:104
	s_waitcnt vmcnt(0)
	v_add_nc_u32_e32 v0, -1, v0
	v_cmp_eq_u32_e32 vcc_lo, 26, v0
	s_cbranch_vccnz .LBB41_296
; %bb.295:
	v_lshlrev_b32_e32 v0, 4, v0
	v_mov_b32_e32 v1, s35
	v_add_nc_u32_e32 v0, 16, v0
	s_clause 0x7
	buffer_load_dword v2, v0, s[0:3], 0 offen
	buffer_load_dword v3, v0, s[0:3], 0 offen offset:4
	buffer_load_dword v4, v0, s[0:3], 0 offen offset:8
	;; [unrolled: 1-line block ×6, first 2 shown]
	buffer_load_dword v9, v1, s[0:3], 0 offen
	s_waitcnt vmcnt(7)
	buffer_store_dword v2, v1, s[0:3], 0 offen
	s_waitcnt vmcnt(6)
	buffer_store_dword v3, v1, s[0:3], 0 offen offset:4
	s_waitcnt vmcnt(5)
	buffer_store_dword v4, v1, s[0:3], 0 offen offset:8
	;; [unrolled: 2-line block ×6, first 2 shown]
	s_waitcnt vmcnt(0)
	buffer_store_dword v9, v0, s[0:3], 0 offen
.LBB41_296:
	v_mov_b32_e32 v0, 0
	global_load_dword v1, v0, s[20:21] offset:100
	s_waitcnt vmcnt(0)
	v_add_nc_u32_e32 v1, -1, v1
	v_cmp_eq_u32_e32 vcc_lo, 25, v1
	s_cbranch_vccnz .LBB41_298
; %bb.297:
	v_lshlrev_b32_e32 v1, 4, v1
	v_mov_b32_e32 v2, s37
	v_add_nc_u32_e32 v1, 16, v1
	s_clause 0x7
	buffer_load_dword v3, v1, s[0:3], 0 offen
	buffer_load_dword v4, v1, s[0:3], 0 offen offset:4
	buffer_load_dword v5, v1, s[0:3], 0 offen offset:8
	;; [unrolled: 1-line block ×6, first 2 shown]
	buffer_load_dword v10, v2, s[0:3], 0 offen
	s_waitcnt vmcnt(7)
	buffer_store_dword v3, v2, s[0:3], 0 offen
	s_waitcnt vmcnt(6)
	buffer_store_dword v4, v2, s[0:3], 0 offen offset:4
	s_waitcnt vmcnt(5)
	buffer_store_dword v5, v2, s[0:3], 0 offen offset:8
	;; [unrolled: 2-line block ×6, first 2 shown]
	s_waitcnt vmcnt(0)
	buffer_store_dword v10, v1, s[0:3], 0 offen
.LBB41_298:
	global_load_dword v0, v0, s[20:21] offset:96
	s_waitcnt vmcnt(0)
	v_add_nc_u32_e32 v0, -1, v0
	v_cmp_eq_u32_e32 vcc_lo, 24, v0
	s_cbranch_vccnz .LBB41_300
; %bb.299:
	v_lshlrev_b32_e32 v0, 4, v0
	v_mov_b32_e32 v1, s39
	v_add_nc_u32_e32 v0, 16, v0
	s_clause 0x7
	buffer_load_dword v2, v0, s[0:3], 0 offen
	buffer_load_dword v3, v0, s[0:3], 0 offen offset:4
	buffer_load_dword v4, v0, s[0:3], 0 offen offset:8
	;; [unrolled: 1-line block ×6, first 2 shown]
	buffer_load_dword v9, v1, s[0:3], 0 offen
	s_waitcnt vmcnt(7)
	buffer_store_dword v2, v1, s[0:3], 0 offen
	s_waitcnt vmcnt(6)
	buffer_store_dword v3, v1, s[0:3], 0 offen offset:4
	s_waitcnt vmcnt(5)
	buffer_store_dword v4, v1, s[0:3], 0 offen offset:8
	;; [unrolled: 2-line block ×6, first 2 shown]
	s_waitcnt vmcnt(0)
	buffer_store_dword v9, v0, s[0:3], 0 offen
.LBB41_300:
	v_mov_b32_e32 v0, 0
	global_load_dword v1, v0, s[20:21] offset:92
	s_waitcnt vmcnt(0)
	v_add_nc_u32_e32 v1, -1, v1
	v_cmp_eq_u32_e32 vcc_lo, 23, v1
	s_cbranch_vccnz .LBB41_302
; %bb.301:
	v_lshlrev_b32_e32 v1, 4, v1
	v_mov_b32_e32 v2, s41
	v_add_nc_u32_e32 v1, 16, v1
	s_clause 0x7
	buffer_load_dword v3, v1, s[0:3], 0 offen
	buffer_load_dword v4, v1, s[0:3], 0 offen offset:4
	buffer_load_dword v5, v1, s[0:3], 0 offen offset:8
	;; [unrolled: 1-line block ×6, first 2 shown]
	buffer_load_dword v10, v2, s[0:3], 0 offen
	s_waitcnt vmcnt(7)
	buffer_store_dword v3, v2, s[0:3], 0 offen
	s_waitcnt vmcnt(6)
	buffer_store_dword v4, v2, s[0:3], 0 offen offset:4
	s_waitcnt vmcnt(5)
	buffer_store_dword v5, v2, s[0:3], 0 offen offset:8
	;; [unrolled: 2-line block ×6, first 2 shown]
	s_waitcnt vmcnt(0)
	buffer_store_dword v10, v1, s[0:3], 0 offen
.LBB41_302:
	global_load_dword v0, v0, s[20:21] offset:88
	s_waitcnt vmcnt(0)
	v_add_nc_u32_e32 v0, -1, v0
	v_cmp_eq_u32_e32 vcc_lo, 22, v0
	s_cbranch_vccnz .LBB41_304
; %bb.303:
	v_lshlrev_b32_e32 v0, 4, v0
	v_mov_b32_e32 v1, s43
	v_add_nc_u32_e32 v0, 16, v0
	s_clause 0x7
	buffer_load_dword v2, v0, s[0:3], 0 offen
	buffer_load_dword v3, v0, s[0:3], 0 offen offset:4
	buffer_load_dword v4, v0, s[0:3], 0 offen offset:8
	;; [unrolled: 1-line block ×6, first 2 shown]
	buffer_load_dword v9, v1, s[0:3], 0 offen
	s_waitcnt vmcnt(7)
	buffer_store_dword v2, v1, s[0:3], 0 offen
	s_waitcnt vmcnt(6)
	buffer_store_dword v3, v1, s[0:3], 0 offen offset:4
	s_waitcnt vmcnt(5)
	buffer_store_dword v4, v1, s[0:3], 0 offen offset:8
	;; [unrolled: 2-line block ×6, first 2 shown]
	s_waitcnt vmcnt(0)
	buffer_store_dword v9, v0, s[0:3], 0 offen
.LBB41_304:
	v_mov_b32_e32 v0, 0
	global_load_dword v1, v0, s[20:21] offset:84
	s_waitcnt vmcnt(0)
	v_add_nc_u32_e32 v1, -1, v1
	v_cmp_eq_u32_e32 vcc_lo, 21, v1
	s_cbranch_vccnz .LBB41_306
; %bb.305:
	v_lshlrev_b32_e32 v1, 4, v1
	v_mov_b32_e32 v2, s18
	v_add_nc_u32_e32 v1, 16, v1
	s_clause 0x7
	buffer_load_dword v3, v1, s[0:3], 0 offen
	buffer_load_dword v4, v1, s[0:3], 0 offen offset:4
	buffer_load_dword v5, v1, s[0:3], 0 offen offset:8
	;; [unrolled: 1-line block ×6, first 2 shown]
	buffer_load_dword v10, v2, s[0:3], 0 offen
	s_waitcnt vmcnt(7)
	buffer_store_dword v3, v2, s[0:3], 0 offen
	s_waitcnt vmcnt(6)
	buffer_store_dword v4, v2, s[0:3], 0 offen offset:4
	s_waitcnt vmcnt(5)
	buffer_store_dword v5, v2, s[0:3], 0 offen offset:8
	;; [unrolled: 2-line block ×6, first 2 shown]
	s_waitcnt vmcnt(0)
	buffer_store_dword v10, v1, s[0:3], 0 offen
.LBB41_306:
	global_load_dword v0, v0, s[20:21] offset:80
	s_waitcnt vmcnt(0)
	v_add_nc_u32_e32 v0, -1, v0
	v_cmp_eq_u32_e32 vcc_lo, 20, v0
	s_cbranch_vccnz .LBB41_308
; %bb.307:
	v_lshlrev_b32_e32 v0, 4, v0
	v_mov_b32_e32 v1, s22
	v_add_nc_u32_e32 v0, 16, v0
	s_clause 0x7
	buffer_load_dword v2, v0, s[0:3], 0 offen
	buffer_load_dword v3, v0, s[0:3], 0 offen offset:4
	buffer_load_dword v4, v0, s[0:3], 0 offen offset:8
	buffer_load_dword v5, v0, s[0:3], 0 offen offset:12
	buffer_load_dword v6, v1, s[0:3], 0 offen offset:12
	buffer_load_dword v7, v1, s[0:3], 0 offen offset:8
	buffer_load_dword v8, v1, s[0:3], 0 offen offset:4
	buffer_load_dword v9, v1, s[0:3], 0 offen
	s_waitcnt vmcnt(7)
	buffer_store_dword v2, v1, s[0:3], 0 offen
	s_waitcnt vmcnt(6)
	buffer_store_dword v3, v1, s[0:3], 0 offen offset:4
	s_waitcnt vmcnt(5)
	buffer_store_dword v4, v1, s[0:3], 0 offen offset:8
	;; [unrolled: 2-line block ×6, first 2 shown]
	s_waitcnt vmcnt(0)
	buffer_store_dword v9, v0, s[0:3], 0 offen
.LBB41_308:
	v_mov_b32_e32 v0, 0
	global_load_dword v1, v0, s[20:21] offset:76
	s_waitcnt vmcnt(0)
	v_add_nc_u32_e32 v1, -1, v1
	v_cmp_eq_u32_e32 vcc_lo, 19, v1
	s_cbranch_vccnz .LBB41_310
; %bb.309:
	v_lshlrev_b32_e32 v1, 4, v1
	v_mov_b32_e32 v2, s25
	v_add_nc_u32_e32 v1, 16, v1
	s_clause 0x7
	buffer_load_dword v3, v1, s[0:3], 0 offen
	buffer_load_dword v4, v1, s[0:3], 0 offen offset:4
	buffer_load_dword v5, v1, s[0:3], 0 offen offset:8
	;; [unrolled: 1-line block ×6, first 2 shown]
	buffer_load_dword v10, v2, s[0:3], 0 offen
	s_waitcnt vmcnt(7)
	buffer_store_dword v3, v2, s[0:3], 0 offen
	s_waitcnt vmcnt(6)
	buffer_store_dword v4, v2, s[0:3], 0 offen offset:4
	s_waitcnt vmcnt(5)
	buffer_store_dword v5, v2, s[0:3], 0 offen offset:8
	;; [unrolled: 2-line block ×6, first 2 shown]
	s_waitcnt vmcnt(0)
	buffer_store_dword v10, v1, s[0:3], 0 offen
.LBB41_310:
	global_load_dword v0, v0, s[20:21] offset:72
	s_waitcnt vmcnt(0)
	v_add_nc_u32_e32 v0, -1, v0
	v_cmp_eq_u32_e32 vcc_lo, 18, v0
	s_cbranch_vccnz .LBB41_312
; %bb.311:
	v_lshlrev_b32_e32 v0, 4, v0
	v_mov_b32_e32 v1, s27
	v_add_nc_u32_e32 v0, 16, v0
	s_clause 0x7
	buffer_load_dword v2, v0, s[0:3], 0 offen
	buffer_load_dword v3, v0, s[0:3], 0 offen offset:4
	buffer_load_dword v4, v0, s[0:3], 0 offen offset:8
	;; [unrolled: 1-line block ×6, first 2 shown]
	buffer_load_dword v9, v1, s[0:3], 0 offen
	s_waitcnt vmcnt(7)
	buffer_store_dword v2, v1, s[0:3], 0 offen
	s_waitcnt vmcnt(6)
	buffer_store_dword v3, v1, s[0:3], 0 offen offset:4
	s_waitcnt vmcnt(5)
	buffer_store_dword v4, v1, s[0:3], 0 offen offset:8
	;; [unrolled: 2-line block ×6, first 2 shown]
	s_waitcnt vmcnt(0)
	buffer_store_dword v9, v0, s[0:3], 0 offen
.LBB41_312:
	v_mov_b32_e32 v0, 0
	global_load_dword v1, v0, s[20:21] offset:68
	s_waitcnt vmcnt(0)
	v_add_nc_u32_e32 v1, -1, v1
	v_cmp_eq_u32_e32 vcc_lo, 17, v1
	s_cbranch_vccnz .LBB41_314
; %bb.313:
	v_lshlrev_b32_e32 v1, 4, v1
	v_mov_b32_e32 v2, s29
	v_add_nc_u32_e32 v1, 16, v1
	s_clause 0x7
	buffer_load_dword v3, v1, s[0:3], 0 offen
	buffer_load_dword v4, v1, s[0:3], 0 offen offset:4
	buffer_load_dword v5, v1, s[0:3], 0 offen offset:8
	;; [unrolled: 1-line block ×6, first 2 shown]
	buffer_load_dword v10, v2, s[0:3], 0 offen
	s_waitcnt vmcnt(7)
	buffer_store_dword v3, v2, s[0:3], 0 offen
	s_waitcnt vmcnt(6)
	buffer_store_dword v4, v2, s[0:3], 0 offen offset:4
	s_waitcnt vmcnt(5)
	buffer_store_dword v5, v2, s[0:3], 0 offen offset:8
	s_waitcnt vmcnt(4)
	buffer_store_dword v6, v2, s[0:3], 0 offen offset:12
	s_waitcnt vmcnt(3)
	buffer_store_dword v7, v1, s[0:3], 0 offen offset:12
	s_waitcnt vmcnt(2)
	buffer_store_dword v8, v1, s[0:3], 0 offen offset:8
	s_waitcnt vmcnt(1)
	buffer_store_dword v9, v1, s[0:3], 0 offen offset:4
	s_waitcnt vmcnt(0)
	buffer_store_dword v10, v1, s[0:3], 0 offen
.LBB41_314:
	global_load_dword v0, v0, s[20:21] offset:64
	s_waitcnt vmcnt(0)
	v_add_nc_u32_e32 v0, -1, v0
	v_cmp_eq_u32_e32 vcc_lo, 16, v0
	s_cbranch_vccnz .LBB41_316
; %bb.315:
	v_lshlrev_b32_e32 v0, 4, v0
	v_mov_b32_e32 v1, s31
	v_add_nc_u32_e32 v0, 16, v0
	s_clause 0x7
	buffer_load_dword v2, v0, s[0:3], 0 offen
	buffer_load_dword v3, v0, s[0:3], 0 offen offset:4
	buffer_load_dword v4, v0, s[0:3], 0 offen offset:8
	;; [unrolled: 1-line block ×6, first 2 shown]
	buffer_load_dword v9, v1, s[0:3], 0 offen
	s_waitcnt vmcnt(7)
	buffer_store_dword v2, v1, s[0:3], 0 offen
	s_waitcnt vmcnt(6)
	buffer_store_dword v3, v1, s[0:3], 0 offen offset:4
	s_waitcnt vmcnt(5)
	buffer_store_dword v4, v1, s[0:3], 0 offen offset:8
	;; [unrolled: 2-line block ×6, first 2 shown]
	s_waitcnt vmcnt(0)
	buffer_store_dword v9, v0, s[0:3], 0 offen
.LBB41_316:
	v_mov_b32_e32 v0, 0
	global_load_dword v1, v0, s[20:21] offset:60
	s_waitcnt vmcnt(0)
	v_add_nc_u32_e32 v1, -1, v1
	v_cmp_eq_u32_e32 vcc_lo, 15, v1
	s_cbranch_vccnz .LBB41_318
; %bb.317:
	v_lshlrev_b32_e32 v1, 4, v1
	v_mov_b32_e32 v2, s34
	v_add_nc_u32_e32 v1, 16, v1
	s_clause 0x7
	buffer_load_dword v3, v1, s[0:3], 0 offen
	buffer_load_dword v4, v1, s[0:3], 0 offen offset:4
	buffer_load_dword v5, v1, s[0:3], 0 offen offset:8
	;; [unrolled: 1-line block ×6, first 2 shown]
	buffer_load_dword v10, v2, s[0:3], 0 offen
	s_waitcnt vmcnt(7)
	buffer_store_dword v3, v2, s[0:3], 0 offen
	s_waitcnt vmcnt(6)
	buffer_store_dword v4, v2, s[0:3], 0 offen offset:4
	s_waitcnt vmcnt(5)
	buffer_store_dword v5, v2, s[0:3], 0 offen offset:8
	;; [unrolled: 2-line block ×6, first 2 shown]
	s_waitcnt vmcnt(0)
	buffer_store_dword v10, v1, s[0:3], 0 offen
.LBB41_318:
	global_load_dword v0, v0, s[20:21] offset:56
	s_waitcnt vmcnt(0)
	v_add_nc_u32_e32 v0, -1, v0
	v_cmp_eq_u32_e32 vcc_lo, 14, v0
	s_cbranch_vccnz .LBB41_320
; %bb.319:
	v_lshlrev_b32_e32 v0, 4, v0
	v_mov_b32_e32 v1, s36
	v_add_nc_u32_e32 v0, 16, v0
	s_clause 0x7
	buffer_load_dword v2, v0, s[0:3], 0 offen
	buffer_load_dword v3, v0, s[0:3], 0 offen offset:4
	buffer_load_dword v4, v0, s[0:3], 0 offen offset:8
	;; [unrolled: 1-line block ×6, first 2 shown]
	buffer_load_dword v9, v1, s[0:3], 0 offen
	s_waitcnt vmcnt(7)
	buffer_store_dword v2, v1, s[0:3], 0 offen
	s_waitcnt vmcnt(6)
	buffer_store_dword v3, v1, s[0:3], 0 offen offset:4
	s_waitcnt vmcnt(5)
	buffer_store_dword v4, v1, s[0:3], 0 offen offset:8
	;; [unrolled: 2-line block ×6, first 2 shown]
	s_waitcnt vmcnt(0)
	buffer_store_dword v9, v0, s[0:3], 0 offen
.LBB41_320:
	v_mov_b32_e32 v0, 0
	global_load_dword v1, v0, s[20:21] offset:52
	s_waitcnt vmcnt(0)
	v_add_nc_u32_e32 v1, -1, v1
	v_cmp_eq_u32_e32 vcc_lo, 13, v1
	s_cbranch_vccnz .LBB41_322
; %bb.321:
	v_lshlrev_b32_e32 v1, 4, v1
	v_mov_b32_e32 v2, s38
	v_add_nc_u32_e32 v1, 16, v1
	s_clause 0x7
	buffer_load_dword v3, v1, s[0:3], 0 offen
	buffer_load_dword v4, v1, s[0:3], 0 offen offset:4
	buffer_load_dword v5, v1, s[0:3], 0 offen offset:8
	buffer_load_dword v6, v1, s[0:3], 0 offen offset:12
	buffer_load_dword v7, v2, s[0:3], 0 offen offset:12
	buffer_load_dword v8, v2, s[0:3], 0 offen offset:8
	buffer_load_dword v9, v2, s[0:3], 0 offen offset:4
	buffer_load_dword v10, v2, s[0:3], 0 offen
	s_waitcnt vmcnt(7)
	buffer_store_dword v3, v2, s[0:3], 0 offen
	s_waitcnt vmcnt(6)
	buffer_store_dword v4, v2, s[0:3], 0 offen offset:4
	s_waitcnt vmcnt(5)
	buffer_store_dword v5, v2, s[0:3], 0 offen offset:8
	;; [unrolled: 2-line block ×6, first 2 shown]
	s_waitcnt vmcnt(0)
	buffer_store_dword v10, v1, s[0:3], 0 offen
.LBB41_322:
	global_load_dword v0, v0, s[20:21] offset:48
	s_waitcnt vmcnt(0)
	v_add_nc_u32_e32 v0, -1, v0
	v_cmp_eq_u32_e32 vcc_lo, 12, v0
	s_cbranch_vccnz .LBB41_324
; %bb.323:
	v_lshlrev_b32_e32 v0, 4, v0
	v_mov_b32_e32 v1, s40
	v_add_nc_u32_e32 v0, 16, v0
	s_clause 0x7
	buffer_load_dword v2, v0, s[0:3], 0 offen
	buffer_load_dword v3, v0, s[0:3], 0 offen offset:4
	buffer_load_dword v4, v0, s[0:3], 0 offen offset:8
	;; [unrolled: 1-line block ×6, first 2 shown]
	buffer_load_dword v9, v1, s[0:3], 0 offen
	s_waitcnt vmcnt(7)
	buffer_store_dword v2, v1, s[0:3], 0 offen
	s_waitcnt vmcnt(6)
	buffer_store_dword v3, v1, s[0:3], 0 offen offset:4
	s_waitcnt vmcnt(5)
	buffer_store_dword v4, v1, s[0:3], 0 offen offset:8
	;; [unrolled: 2-line block ×6, first 2 shown]
	s_waitcnt vmcnt(0)
	buffer_store_dword v9, v0, s[0:3], 0 offen
.LBB41_324:
	v_mov_b32_e32 v0, 0
	global_load_dword v1, v0, s[20:21] offset:44
	s_waitcnt vmcnt(0)
	v_add_nc_u32_e32 v1, -1, v1
	v_cmp_eq_u32_e32 vcc_lo, 11, v1
	s_cbranch_vccnz .LBB41_326
; %bb.325:
	v_lshlrev_b32_e32 v1, 4, v1
	v_mov_b32_e32 v2, s42
	v_add_nc_u32_e32 v1, 16, v1
	s_clause 0x7
	buffer_load_dword v3, v1, s[0:3], 0 offen
	buffer_load_dword v4, v1, s[0:3], 0 offen offset:4
	buffer_load_dword v5, v1, s[0:3], 0 offen offset:8
	;; [unrolled: 1-line block ×6, first 2 shown]
	buffer_load_dword v10, v2, s[0:3], 0 offen
	s_waitcnt vmcnt(7)
	buffer_store_dword v3, v2, s[0:3], 0 offen
	s_waitcnt vmcnt(6)
	buffer_store_dword v4, v2, s[0:3], 0 offen offset:4
	s_waitcnt vmcnt(5)
	buffer_store_dword v5, v2, s[0:3], 0 offen offset:8
	;; [unrolled: 2-line block ×6, first 2 shown]
	s_waitcnt vmcnt(0)
	buffer_store_dword v10, v1, s[0:3], 0 offen
.LBB41_326:
	global_load_dword v0, v0, s[20:21] offset:40
	s_waitcnt vmcnt(0)
	v_add_nc_u32_e32 v0, -1, v0
	v_cmp_eq_u32_e32 vcc_lo, 10, v0
	s_cbranch_vccnz .LBB41_328
; %bb.327:
	v_lshlrev_b32_e32 v0, 4, v0
	v_mov_b32_e32 v1, s44
	v_add_nc_u32_e32 v0, 16, v0
	s_clause 0x7
	buffer_load_dword v2, v0, s[0:3], 0 offen
	buffer_load_dword v3, v0, s[0:3], 0 offen offset:4
	buffer_load_dword v4, v0, s[0:3], 0 offen offset:8
	buffer_load_dword v5, v0, s[0:3], 0 offen offset:12
	buffer_load_dword v6, v1, s[0:3], 0 offen offset:12
	buffer_load_dword v7, v1, s[0:3], 0 offen offset:8
	buffer_load_dword v8, v1, s[0:3], 0 offen offset:4
	buffer_load_dword v9, v1, s[0:3], 0 offen
	s_waitcnt vmcnt(7)
	buffer_store_dword v2, v1, s[0:3], 0 offen
	s_waitcnt vmcnt(6)
	buffer_store_dword v3, v1, s[0:3], 0 offen offset:4
	s_waitcnt vmcnt(5)
	buffer_store_dword v4, v1, s[0:3], 0 offen offset:8
	;; [unrolled: 2-line block ×6, first 2 shown]
	s_waitcnt vmcnt(0)
	buffer_store_dword v9, v0, s[0:3], 0 offen
.LBB41_328:
	v_mov_b32_e32 v0, 0
	global_load_dword v1, v0, s[20:21] offset:36
	s_waitcnt vmcnt(0)
	v_add_nc_u32_e32 v1, -1, v1
	v_cmp_eq_u32_e32 vcc_lo, 9, v1
	s_cbranch_vccnz .LBB41_330
; %bb.329:
	v_lshlrev_b32_e32 v1, 4, v1
	v_mov_b32_e32 v2, s45
	v_add_nc_u32_e32 v1, 16, v1
	s_clause 0x7
	buffer_load_dword v3, v1, s[0:3], 0 offen
	buffer_load_dword v4, v1, s[0:3], 0 offen offset:4
	buffer_load_dword v5, v1, s[0:3], 0 offen offset:8
	;; [unrolled: 1-line block ×6, first 2 shown]
	buffer_load_dword v10, v2, s[0:3], 0 offen
	s_waitcnt vmcnt(7)
	buffer_store_dword v3, v2, s[0:3], 0 offen
	s_waitcnt vmcnt(6)
	buffer_store_dword v4, v2, s[0:3], 0 offen offset:4
	s_waitcnt vmcnt(5)
	buffer_store_dword v5, v2, s[0:3], 0 offen offset:8
	;; [unrolled: 2-line block ×6, first 2 shown]
	s_waitcnt vmcnt(0)
	buffer_store_dword v10, v1, s[0:3], 0 offen
.LBB41_330:
	global_load_dword v0, v0, s[20:21] offset:32
	s_waitcnt vmcnt(0)
	v_add_nc_u32_e32 v0, -1, v0
	v_cmp_eq_u32_e32 vcc_lo, 8, v0
	s_cbranch_vccnz .LBB41_332
; %bb.331:
	v_lshlrev_b32_e32 v0, 4, v0
	v_mov_b32_e32 v1, s46
	v_add_nc_u32_e32 v0, 16, v0
	s_clause 0x7
	buffer_load_dword v2, v0, s[0:3], 0 offen
	buffer_load_dword v3, v0, s[0:3], 0 offen offset:4
	buffer_load_dword v4, v0, s[0:3], 0 offen offset:8
	;; [unrolled: 1-line block ×6, first 2 shown]
	buffer_load_dword v9, v1, s[0:3], 0 offen
	s_waitcnt vmcnt(7)
	buffer_store_dword v2, v1, s[0:3], 0 offen
	s_waitcnt vmcnt(6)
	buffer_store_dword v3, v1, s[0:3], 0 offen offset:4
	s_waitcnt vmcnt(5)
	buffer_store_dword v4, v1, s[0:3], 0 offen offset:8
	;; [unrolled: 2-line block ×6, first 2 shown]
	s_waitcnt vmcnt(0)
	buffer_store_dword v9, v0, s[0:3], 0 offen
.LBB41_332:
	v_mov_b32_e32 v0, 0
	global_load_dword v1, v0, s[20:21] offset:28
	s_waitcnt vmcnt(0)
	v_add_nc_u32_e32 v1, -1, v1
	v_cmp_eq_u32_e32 vcc_lo, 7, v1
	s_cbranch_vccnz .LBB41_334
; %bb.333:
	v_lshlrev_b32_e32 v1, 4, v1
	v_mov_b32_e32 v2, s47
	v_add_nc_u32_e32 v1, 16, v1
	s_clause 0x7
	buffer_load_dword v3, v1, s[0:3], 0 offen
	buffer_load_dword v4, v1, s[0:3], 0 offen offset:4
	buffer_load_dword v5, v1, s[0:3], 0 offen offset:8
	;; [unrolled: 1-line block ×6, first 2 shown]
	buffer_load_dword v10, v2, s[0:3], 0 offen
	s_waitcnt vmcnt(7)
	buffer_store_dword v3, v2, s[0:3], 0 offen
	s_waitcnt vmcnt(6)
	buffer_store_dword v4, v2, s[0:3], 0 offen offset:4
	s_waitcnt vmcnt(5)
	buffer_store_dword v5, v2, s[0:3], 0 offen offset:8
	;; [unrolled: 2-line block ×6, first 2 shown]
	s_waitcnt vmcnt(0)
	buffer_store_dword v10, v1, s[0:3], 0 offen
.LBB41_334:
	global_load_dword v0, v0, s[20:21] offset:24
	s_waitcnt vmcnt(0)
	v_add_nc_u32_e32 v0, -1, v0
	v_cmp_eq_u32_e32 vcc_lo, 6, v0
	s_cbranch_vccnz .LBB41_336
; %bb.335:
	v_lshlrev_b32_e32 v0, 4, v0
	v_mov_b32_e32 v1, s48
	v_add_nc_u32_e32 v0, 16, v0
	s_clause 0x7
	buffer_load_dword v2, v0, s[0:3], 0 offen
	buffer_load_dword v3, v0, s[0:3], 0 offen offset:4
	buffer_load_dword v4, v0, s[0:3], 0 offen offset:8
	;; [unrolled: 1-line block ×6, first 2 shown]
	buffer_load_dword v9, v1, s[0:3], 0 offen
	s_waitcnt vmcnt(7)
	buffer_store_dword v2, v1, s[0:3], 0 offen
	s_waitcnt vmcnt(6)
	buffer_store_dword v3, v1, s[0:3], 0 offen offset:4
	s_waitcnt vmcnt(5)
	buffer_store_dword v4, v1, s[0:3], 0 offen offset:8
	;; [unrolled: 2-line block ×6, first 2 shown]
	s_waitcnt vmcnt(0)
	buffer_store_dword v9, v0, s[0:3], 0 offen
.LBB41_336:
	v_mov_b32_e32 v0, 0
	global_load_dword v1, v0, s[20:21] offset:20
	s_waitcnt vmcnt(0)
	v_add_nc_u32_e32 v1, -1, v1
	v_cmp_eq_u32_e32 vcc_lo, 5, v1
	s_cbranch_vccnz .LBB41_338
; %bb.337:
	v_lshlrev_b32_e32 v1, 4, v1
	v_mov_b32_e32 v2, s49
	v_add_nc_u32_e32 v1, 16, v1
	s_clause 0x7
	buffer_load_dword v3, v1, s[0:3], 0 offen
	buffer_load_dword v4, v1, s[0:3], 0 offen offset:4
	buffer_load_dword v5, v1, s[0:3], 0 offen offset:8
	;; [unrolled: 1-line block ×6, first 2 shown]
	buffer_load_dword v10, v2, s[0:3], 0 offen
	s_waitcnt vmcnt(7)
	buffer_store_dword v3, v2, s[0:3], 0 offen
	s_waitcnt vmcnt(6)
	buffer_store_dword v4, v2, s[0:3], 0 offen offset:4
	s_waitcnt vmcnt(5)
	buffer_store_dword v5, v2, s[0:3], 0 offen offset:8
	;; [unrolled: 2-line block ×6, first 2 shown]
	s_waitcnt vmcnt(0)
	buffer_store_dword v10, v1, s[0:3], 0 offen
.LBB41_338:
	global_load_dword v0, v0, s[20:21] offset:16
	s_waitcnt vmcnt(0)
	v_add_nc_u32_e32 v0, -1, v0
	v_cmp_eq_u32_e32 vcc_lo, 4, v0
	s_cbranch_vccnz .LBB41_340
; %bb.339:
	v_lshlrev_b32_e32 v0, 4, v0
	v_mov_b32_e32 v1, s50
	v_add_nc_u32_e32 v0, 16, v0
	s_clause 0x7
	buffer_load_dword v2, v0, s[0:3], 0 offen
	buffer_load_dword v3, v0, s[0:3], 0 offen offset:4
	buffer_load_dword v4, v0, s[0:3], 0 offen offset:8
	;; [unrolled: 1-line block ×6, first 2 shown]
	buffer_load_dword v9, v1, s[0:3], 0 offen
	s_waitcnt vmcnt(7)
	buffer_store_dword v2, v1, s[0:3], 0 offen
	s_waitcnt vmcnt(6)
	buffer_store_dword v3, v1, s[0:3], 0 offen offset:4
	s_waitcnt vmcnt(5)
	buffer_store_dword v4, v1, s[0:3], 0 offen offset:8
	;; [unrolled: 2-line block ×6, first 2 shown]
	s_waitcnt vmcnt(0)
	buffer_store_dword v9, v0, s[0:3], 0 offen
.LBB41_340:
	v_mov_b32_e32 v0, 0
	global_load_dword v1, v0, s[20:21] offset:12
	s_waitcnt vmcnt(0)
	v_add_nc_u32_e32 v1, -1, v1
	v_cmp_eq_u32_e32 vcc_lo, 3, v1
	s_cbranch_vccnz .LBB41_342
; %bb.341:
	v_lshlrev_b32_e32 v1, 4, v1
	v_mov_b32_e32 v2, s51
	v_add_nc_u32_e32 v1, 16, v1
	s_clause 0x7
	buffer_load_dword v3, v1, s[0:3], 0 offen
	buffer_load_dword v4, v1, s[0:3], 0 offen offset:4
	buffer_load_dword v5, v1, s[0:3], 0 offen offset:8
	;; [unrolled: 1-line block ×6, first 2 shown]
	buffer_load_dword v10, v2, s[0:3], 0 offen
	s_waitcnt vmcnt(7)
	buffer_store_dword v3, v2, s[0:3], 0 offen
	s_waitcnt vmcnt(6)
	buffer_store_dword v4, v2, s[0:3], 0 offen offset:4
	s_waitcnt vmcnt(5)
	buffer_store_dword v5, v2, s[0:3], 0 offen offset:8
	;; [unrolled: 2-line block ×6, first 2 shown]
	s_waitcnt vmcnt(0)
	buffer_store_dword v10, v1, s[0:3], 0 offen
.LBB41_342:
	global_load_dword v0, v0, s[20:21] offset:8
	s_waitcnt vmcnt(0)
	v_add_nc_u32_e32 v0, -1, v0
	v_cmp_eq_u32_e32 vcc_lo, 2, v0
	s_cbranch_vccnz .LBB41_344
; %bb.343:
	v_lshlrev_b32_e32 v0, 4, v0
	v_mov_b32_e32 v1, s52
	v_add_nc_u32_e32 v0, 16, v0
	s_clause 0x7
	buffer_load_dword v2, v0, s[0:3], 0 offen
	buffer_load_dword v3, v0, s[0:3], 0 offen offset:4
	buffer_load_dword v4, v0, s[0:3], 0 offen offset:8
	;; [unrolled: 1-line block ×6, first 2 shown]
	buffer_load_dword v9, v1, s[0:3], 0 offen
	s_waitcnt vmcnt(7)
	buffer_store_dword v2, v1, s[0:3], 0 offen
	s_waitcnt vmcnt(6)
	buffer_store_dword v3, v1, s[0:3], 0 offen offset:4
	s_waitcnt vmcnt(5)
	buffer_store_dword v4, v1, s[0:3], 0 offen offset:8
	;; [unrolled: 2-line block ×6, first 2 shown]
	s_waitcnt vmcnt(0)
	buffer_store_dword v9, v0, s[0:3], 0 offen
.LBB41_344:
	v_mov_b32_e32 v0, 0
	global_load_dword v1, v0, s[20:21] offset:4
	s_waitcnt vmcnt(0)
	v_add_nc_u32_e32 v1, -1, v1
	v_cmp_eq_u32_e32 vcc_lo, 1, v1
	s_cbranch_vccnz .LBB41_346
; %bb.345:
	v_lshlrev_b32_e32 v1, 4, v1
	v_mov_b32_e32 v2, s53
	v_add_nc_u32_e32 v1, 16, v1
	s_clause 0x7
	buffer_load_dword v3, v1, s[0:3], 0 offen
	buffer_load_dword v4, v1, s[0:3], 0 offen offset:4
	buffer_load_dword v5, v1, s[0:3], 0 offen offset:8
	;; [unrolled: 1-line block ×6, first 2 shown]
	buffer_load_dword v10, v2, s[0:3], 0 offen
	s_waitcnt vmcnt(7)
	buffer_store_dword v3, v2, s[0:3], 0 offen
	s_waitcnt vmcnt(6)
	buffer_store_dword v4, v2, s[0:3], 0 offen offset:4
	s_waitcnt vmcnt(5)
	buffer_store_dword v5, v2, s[0:3], 0 offen offset:8
	;; [unrolled: 2-line block ×6, first 2 shown]
	s_waitcnt vmcnt(0)
	buffer_store_dword v10, v1, s[0:3], 0 offen
.LBB41_346:
	global_load_dword v0, v0, s[20:21]
	s_waitcnt vmcnt(0)
	v_add_nc_u32_e32 v0, -1, v0
	v_cmp_eq_u32_e32 vcc_lo, 0, v0
	s_cbranch_vccnz .LBB41_348
; %bb.347:
	v_lshlrev_b32_e32 v0, 4, v0
	v_add_nc_u32_e32 v0, 16, v0
	s_clause 0x7
	buffer_load_dword v1, v0, s[0:3], 0 offen
	buffer_load_dword v2, v0, s[0:3], 0 offen offset:4
	buffer_load_dword v3, v0, s[0:3], 0 offen offset:8
	;; [unrolled: 1-line block ×3, first 2 shown]
	buffer_load_dword v5, off, s[0:3], 0 offset:28
	buffer_load_dword v6, off, s[0:3], 0 offset:24
	;; [unrolled: 1-line block ×4, first 2 shown]
	s_waitcnt vmcnt(7)
	buffer_store_dword v1, off, s[0:3], 0 offset:16
	s_waitcnt vmcnt(6)
	buffer_store_dword v2, off, s[0:3], 0 offset:20
	;; [unrolled: 2-line block ×4, first 2 shown]
	s_waitcnt vmcnt(3)
	buffer_store_dword v5, v0, s[0:3], 0 offen offset:12
	s_waitcnt vmcnt(2)
	buffer_store_dword v6, v0, s[0:3], 0 offen offset:8
	;; [unrolled: 2-line block ×3, first 2 shown]
	s_waitcnt vmcnt(0)
	buffer_store_dword v8, v0, s[0:3], 0 offen
.LBB41_348:
	v_mov_b32_e32 v7, s53
	v_mov_b32_e32 v11, s52
	;; [unrolled: 1-line block ×5, first 2 shown]
	s_clause 0x17
	buffer_load_dword v0, off, s[0:3], 0 offset:16
	buffer_load_dword v1, off, s[0:3], 0 offset:20
	;; [unrolled: 1-line block ×4, first 2 shown]
	buffer_load_dword v4, v7, s[0:3], 0 offen
	buffer_load_dword v5, v7, s[0:3], 0 offen offset:4
	buffer_load_dword v6, v7, s[0:3], 0 offen offset:8
	buffer_load_dword v7, v7, s[0:3], 0 offen offset:12
	buffer_load_dword v8, v11, s[0:3], 0 offen
	buffer_load_dword v9, v11, s[0:3], 0 offen offset:4
	buffer_load_dword v10, v11, s[0:3], 0 offen offset:8
	buffer_load_dword v11, v11, s[0:3], 0 offen offset:12
	;; [unrolled: 4-line block ×5, first 2 shown]
	v_mov_b32_e32 v20, s48
	s_clause 0x3
	buffer_load_dword v31, v20, s[0:3], 0 offen
	buffer_load_dword v32, v20, s[0:3], 0 offen offset:4
	buffer_load_dword v33, v20, s[0:3], 0 offen offset:8
	buffer_load_dword v34, v20, s[0:3], 0 offen offset:12
	v_mov_b32_e32 v20, s47
	s_clause 0x3
	buffer_load_dword v35, v20, s[0:3], 0 offen
	buffer_load_dword v36, v20, s[0:3], 0 offen offset:4
	buffer_load_dword v37, v20, s[0:3], 0 offen offset:8
	buffer_load_dword v38, v20, s[0:3], 0 offen offset:12
	;; [unrolled: 6-line block ×5, first 2 shown]
	v_mov_b32_e32 v20, s42
	v_mov_b32_e32 v169, s22
	;; [unrolled: 1-line block ×15, first 2 shown]
	s_clause 0x23
	buffer_load_dword v55, v20, s[0:3], 0 offen
	buffer_load_dword v56, v20, s[0:3], 0 offen offset:4
	buffer_load_dword v57, v20, s[0:3], 0 offen offset:8
	buffer_load_dword v58, v20, s[0:3], 0 offen offset:12
	buffer_load_dword v65, v39, s[0:3], 0 offen
	buffer_load_dword v66, v39, s[0:3], 0 offen offset:4
	buffer_load_dword v67, v39, s[0:3], 0 offen offset:8
	buffer_load_dword v68, v39, s[0:3], 0 offen offset:12
	;; [unrolled: 4-line block ×9, first 2 shown]
	v_mov_b32_e32 v174, s41
	v_mov_b32_e32 v183, s26
	;; [unrolled: 1-line block ×16, first 2 shown]
	s_waitcnt vmcnt(62)
	global_store_dwordx4 v[73:74], v[0:3], off
	s_clause 0x7
	buffer_load_dword v0, v169, s[0:3], 0 offen
	buffer_load_dword v1, v169, s[0:3], 0 offen offset:4
	buffer_load_dword v2, v169, s[0:3], 0 offen offset:8
	buffer_load_dword v3, v169, s[0:3], 0 offen offset:12
	buffer_load_dword v169, v172, s[0:3], 0 offen
	buffer_load_dword v170, v172, s[0:3], 0 offen offset:4
	buffer_load_dword v171, v172, s[0:3], 0 offen offset:8
	buffer_load_dword v172, v172, s[0:3], 0 offen offset:12
	global_store_dwordx4 v[75:76], v[4:7], off
	s_clause 0x7
	buffer_load_dword v4, v173, s[0:3], 0 offen
	buffer_load_dword v5, v173, s[0:3], 0 offen offset:4
	buffer_load_dword v6, v173, s[0:3], 0 offen offset:8
	buffer_load_dword v7, v173, s[0:3], 0 offen offset:12
	buffer_load_dword v73, v174, s[0:3], 0 offen
	buffer_load_dword v74, v174, s[0:3], 0 offen offset:4
	buffer_load_dword v75, v174, s[0:3], 0 offen offset:8
	buffer_load_dword v76, v174, s[0:3], 0 offen offset:12
	;; [unrolled: 10-line block ×4, first 2 shown]
	s_waitcnt vmcnt(62)
	global_store_dwordx4 v[77:78], v[16:19], off
	s_clause 0x7
	buffer_load_dword v16, v181, s[0:3], 0 offen
	buffer_load_dword v17, v181, s[0:3], 0 offen offset:4
	buffer_load_dword v18, v181, s[0:3], 0 offen offset:8
	buffer_load_dword v19, v181, s[0:3], 0 offen offset:12
	buffer_load_dword v77, v182, s[0:3], 0 offen
	buffer_load_dword v78, v182, s[0:3], 0 offen offset:4
	buffer_load_dword v79, v182, s[0:3], 0 offen offset:8
	buffer_load_dword v80, v182, s[0:3], 0 offen offset:12
	global_store_dwordx4 v[83:84], v[27:30], off
	s_clause 0x7
	buffer_load_dword v27, v183, s[0:3], 0 offen
	buffer_load_dword v28, v183, s[0:3], 0 offen offset:4
	buffer_load_dword v29, v183, s[0:3], 0 offen offset:8
	buffer_load_dword v30, v183, s[0:3], 0 offen offset:12
	buffer_load_dword v181, v184, s[0:3], 0 offen
	buffer_load_dword v182, v184, s[0:3], 0 offen offset:4
	buffer_load_dword v183, v184, s[0:3], 0 offen offset:8
	buffer_load_dword v184, v184, s[0:3], 0 offen offset:12
	;; [unrolled: 10-line block ×7, first 2 shown]
	global_store_dwordx4 v[93:94], v[55:58], off
	s_waitcnt vmcnt(62)
	global_store_dwordx4 v[97:98], v[65:68], off
	global_store_dwordx4 v[99:100], v[69:72], off
	;; [unrolled: 1-line block ×14, first 2 shown]
	s_waitcnt vmcnt(60)
	global_store_dwordx4 v[125:126], v[12:15], off
	s_waitcnt vmcnt(56)
	global_store_dwordx4 v[127:128], v[177:180], off
	;; [unrolled: 2-line block ×16, first 2 shown]
	s_endpgm
	.section	.rodata,"a",@progbits
	.p2align	6, 0x0
	.amdhsa_kernel _ZN9rocsolver6v33100L18getri_kernel_smallILi42E19rocblas_complex_numIdEPS3_EEvT1_iilPiilS6_bb
		.amdhsa_group_segment_fixed_size 1352
		.amdhsa_private_segment_fixed_size 704
		.amdhsa_kernarg_size 60
		.amdhsa_user_sgpr_count 6
		.amdhsa_user_sgpr_private_segment_buffer 1
		.amdhsa_user_sgpr_dispatch_ptr 0
		.amdhsa_user_sgpr_queue_ptr 0
		.amdhsa_user_sgpr_kernarg_segment_ptr 1
		.amdhsa_user_sgpr_dispatch_id 0
		.amdhsa_user_sgpr_flat_scratch_init 0
		.amdhsa_user_sgpr_private_segment_size 0
		.amdhsa_wavefront_size32 1
		.amdhsa_uses_dynamic_stack 0
		.amdhsa_system_sgpr_private_segment_wavefront_offset 1
		.amdhsa_system_sgpr_workgroup_id_x 1
		.amdhsa_system_sgpr_workgroup_id_y 0
		.amdhsa_system_sgpr_workgroup_id_z 0
		.amdhsa_system_sgpr_workgroup_info 0
		.amdhsa_system_vgpr_workitem_id 0
		.amdhsa_next_free_vgpr 197
		.amdhsa_next_free_sgpr 58
		.amdhsa_reserve_vcc 1
		.amdhsa_reserve_flat_scratch 0
		.amdhsa_float_round_mode_32 0
		.amdhsa_float_round_mode_16_64 0
		.amdhsa_float_denorm_mode_32 3
		.amdhsa_float_denorm_mode_16_64 3
		.amdhsa_dx10_clamp 1
		.amdhsa_ieee_mode 1
		.amdhsa_fp16_overflow 0
		.amdhsa_workgroup_processor_mode 1
		.amdhsa_memory_ordered 1
		.amdhsa_forward_progress 1
		.amdhsa_shared_vgpr_count 0
		.amdhsa_exception_fp_ieee_invalid_op 0
		.amdhsa_exception_fp_denorm_src 0
		.amdhsa_exception_fp_ieee_div_zero 0
		.amdhsa_exception_fp_ieee_overflow 0
		.amdhsa_exception_fp_ieee_underflow 0
		.amdhsa_exception_fp_ieee_inexact 0
		.amdhsa_exception_int_div_zero 0
	.end_amdhsa_kernel
	.section	.text._ZN9rocsolver6v33100L18getri_kernel_smallILi42E19rocblas_complex_numIdEPS3_EEvT1_iilPiilS6_bb,"axG",@progbits,_ZN9rocsolver6v33100L18getri_kernel_smallILi42E19rocblas_complex_numIdEPS3_EEvT1_iilPiilS6_bb,comdat
.Lfunc_end41:
	.size	_ZN9rocsolver6v33100L18getri_kernel_smallILi42E19rocblas_complex_numIdEPS3_EEvT1_iilPiilS6_bb, .Lfunc_end41-_ZN9rocsolver6v33100L18getri_kernel_smallILi42E19rocblas_complex_numIdEPS3_EEvT1_iilPiilS6_bb
                                        ; -- End function
	.set _ZN9rocsolver6v33100L18getri_kernel_smallILi42E19rocblas_complex_numIdEPS3_EEvT1_iilPiilS6_bb.num_vgpr, 197
	.set _ZN9rocsolver6v33100L18getri_kernel_smallILi42E19rocblas_complex_numIdEPS3_EEvT1_iilPiilS6_bb.num_agpr, 0
	.set _ZN9rocsolver6v33100L18getri_kernel_smallILi42E19rocblas_complex_numIdEPS3_EEvT1_iilPiilS6_bb.numbered_sgpr, 58
	.set _ZN9rocsolver6v33100L18getri_kernel_smallILi42E19rocblas_complex_numIdEPS3_EEvT1_iilPiilS6_bb.num_named_barrier, 0
	.set _ZN9rocsolver6v33100L18getri_kernel_smallILi42E19rocblas_complex_numIdEPS3_EEvT1_iilPiilS6_bb.private_seg_size, 704
	.set _ZN9rocsolver6v33100L18getri_kernel_smallILi42E19rocblas_complex_numIdEPS3_EEvT1_iilPiilS6_bb.uses_vcc, 1
	.set _ZN9rocsolver6v33100L18getri_kernel_smallILi42E19rocblas_complex_numIdEPS3_EEvT1_iilPiilS6_bb.uses_flat_scratch, 0
	.set _ZN9rocsolver6v33100L18getri_kernel_smallILi42E19rocblas_complex_numIdEPS3_EEvT1_iilPiilS6_bb.has_dyn_sized_stack, 0
	.set _ZN9rocsolver6v33100L18getri_kernel_smallILi42E19rocblas_complex_numIdEPS3_EEvT1_iilPiilS6_bb.has_recursion, 0
	.set _ZN9rocsolver6v33100L18getri_kernel_smallILi42E19rocblas_complex_numIdEPS3_EEvT1_iilPiilS6_bb.has_indirect_call, 0
	.section	.AMDGPU.csdata,"",@progbits
; Kernel info:
; codeLenInByte = 123752
; TotalNumSgprs: 60
; NumVgprs: 197
; ScratchSize: 704
; MemoryBound: 0
; FloatMode: 240
; IeeeMode: 1
; LDSByteSize: 1352 bytes/workgroup (compile time only)
; SGPRBlocks: 0
; VGPRBlocks: 24
; NumSGPRsForWavesPerEU: 60
; NumVGPRsForWavesPerEU: 197
; Occupancy: 4
; WaveLimiterHint : 1
; COMPUTE_PGM_RSRC2:SCRATCH_EN: 1
; COMPUTE_PGM_RSRC2:USER_SGPR: 6
; COMPUTE_PGM_RSRC2:TRAP_HANDLER: 0
; COMPUTE_PGM_RSRC2:TGID_X_EN: 1
; COMPUTE_PGM_RSRC2:TGID_Y_EN: 0
; COMPUTE_PGM_RSRC2:TGID_Z_EN: 0
; COMPUTE_PGM_RSRC2:TIDIG_COMP_CNT: 0
	.section	.text._ZN9rocsolver6v33100L18getri_kernel_smallILi43E19rocblas_complex_numIdEPS3_EEvT1_iilPiilS6_bb,"axG",@progbits,_ZN9rocsolver6v33100L18getri_kernel_smallILi43E19rocblas_complex_numIdEPS3_EEvT1_iilPiilS6_bb,comdat
	.globl	_ZN9rocsolver6v33100L18getri_kernel_smallILi43E19rocblas_complex_numIdEPS3_EEvT1_iilPiilS6_bb ; -- Begin function _ZN9rocsolver6v33100L18getri_kernel_smallILi43E19rocblas_complex_numIdEPS3_EEvT1_iilPiilS6_bb
	.p2align	8
	.type	_ZN9rocsolver6v33100L18getri_kernel_smallILi43E19rocblas_complex_numIdEPS3_EEvT1_iilPiilS6_bb,@function
_ZN9rocsolver6v33100L18getri_kernel_smallILi43E19rocblas_complex_numIdEPS3_EEvT1_iilPiilS6_bb: ; @_ZN9rocsolver6v33100L18getri_kernel_smallILi43E19rocblas_complex_numIdEPS3_EEvT1_iilPiilS6_bb
; %bb.0:
	s_add_u32 s0, s0, s7
	s_addc_u32 s1, s1, 0
	s_mov_b32 s7, exec_lo
	v_cmpx_gt_u32_e32 43, v0
	s_cbranch_execz .LBB42_186
; %bb.1:
	s_clause 0x2
	s_load_dword s7, s[4:5], 0x38
	s_load_dwordx4 s[16:19], s[4:5], 0x10
	s_load_dwordx4 s[8:11], s[4:5], 0x28
                                        ; implicit-def: $sgpr20_sgpr21
	s_waitcnt lgkmcnt(0)
	s_bitcmp1_b32 s7, 8
	s_cselect_b32 s55, -1, 0
	s_bfe_u32 s12, s7, 0x10008
	s_ashr_i32 s7, s6, 31
	s_cmp_eq_u32 s12, 0
	s_cbranch_scc1 .LBB42_3
; %bb.2:
	s_load_dword s12, s[4:5], 0x20
	s_mul_i32 s13, s8, s7
	s_mul_hi_u32 s14, s8, s6
	s_mul_i32 s9, s9, s6
	s_add_i32 s13, s14, s13
	s_mul_i32 s8, s8, s6
	s_add_i32 s9, s13, s9
	s_lshl_b64 s[8:9], s[8:9], 2
	s_waitcnt lgkmcnt(0)
	s_ashr_i32 s13, s12, 31
	s_add_u32 s14, s18, s8
	s_addc_u32 s15, s19, s9
	s_lshl_b64 s[8:9], s[12:13], 2
	s_add_u32 s20, s14, s8
	s_addc_u32 s21, s15, s9
.LBB42_3:
	s_clause 0x1
	s_load_dwordx4 s[12:15], s[4:5], 0x0
	s_load_dword s56, s[4:5], 0x38
	s_mul_i32 s4, s16, s7
	s_mul_hi_u32 s5, s16, s6
	s_mul_i32 s8, s17, s6
	s_add_i32 s5, s5, s4
	s_mul_i32 s4, s16, s6
	s_add_i32 s5, s5, s8
	v_lshlrev_b32_e32 v179, 4, v0
	s_lshl_b64 s[4:5], s[4:5], 4
	s_movk_i32 s25, 0x130
	s_movk_i32 s22, 0x110
	;; [unrolled: 1-line block ×7, first 2 shown]
	s_mov_b32 s54, 32
	s_mov_b32 s53, 48
	;; [unrolled: 1-line block ×3, first 2 shown]
	s_waitcnt lgkmcnt(0)
	v_add3_u32 v5, s15, s15, v0
	s_ashr_i32 s9, s14, 31
	s_mov_b32 s8, s14
	s_add_u32 s12, s12, s4
	s_addc_u32 s13, s13, s5
	v_add_nc_u32_e32 v7, s15, v5
	s_lshl_b64 s[4:5], s[8:9], 4
	v_ashrrev_i32_e32 v6, 31, v5
	s_add_u32 s4, s12, s4
	s_addc_u32 s5, s13, s5
	v_add_nc_u32_e32 v9, s15, v7
	v_add_co_u32 v93, s12, s4, v179
	s_mov_b32 s8, s15
	s_ashr_i32 s9, s15, 31
	v_lshlrev_b64 v[5:6], 4, v[5:6]
	v_ashrrev_i32_e32 v8, 31, v7
	v_add_co_ci_u32_e64 v94, null, s5, 0, s12
	s_lshl_b64 s[8:9], s[8:9], 4
	v_ashrrev_i32_e32 v10, 31, v9
	v_add_nc_u32_e32 v11, s15, v9
	v_add_co_u32 v95, vcc_lo, v93, s8
	v_lshlrev_b64 v[7:8], 4, v[7:8]
	v_add_co_ci_u32_e64 v96, null, s9, v94, vcc_lo
	v_add_co_u32 v97, vcc_lo, s4, v5
	v_add_co_ci_u32_e64 v98, null, s5, v6, vcc_lo
	v_lshlrev_b64 v[5:6], 4, v[9:10]
	v_ashrrev_i32_e32 v12, 31, v11
	v_add_nc_u32_e32 v9, s15, v11
	v_add_co_u32 v99, vcc_lo, s4, v7
	v_add_co_ci_u32_e64 v100, null, s5, v8, vcc_lo
	v_lshlrev_b64 v[7:8], 4, v[11:12]
	v_ashrrev_i32_e32 v10, 31, v9
	v_add_nc_u32_e32 v11, s15, v9
	;; [unrolled: 5-line block ×3, first 2 shown]
	v_add_co_u32 v103, vcc_lo, s4, v7
	v_add_co_ci_u32_e64 v104, null, s5, v8, vcc_lo
	v_lshlrev_b64 v[7:8], 4, v[11:12]
	v_add_nc_u32_e32 v11, s15, v9
	v_ashrrev_i32_e32 v10, 31, v9
	v_add_co_u32 v105, vcc_lo, s4, v5
	v_add_co_ci_u32_e64 v106, null, s5, v6, vcc_lo
	v_add_nc_u32_e32 v13, s15, v11
	v_ashrrev_i32_e32 v12, 31, v11
	v_lshlrev_b64 v[5:6], 4, v[9:10]
	v_add_co_u32 v107, vcc_lo, s4, v7
	v_add_nc_u32_e32 v21, s15, v13
	v_add_co_ci_u32_e64 v108, null, s5, v8, vcc_lo
	v_lshlrev_b64 v[7:8], 4, v[11:12]
	v_ashrrev_i32_e32 v14, 31, v13
	v_add_nc_u32_e32 v29, s15, v21
	v_ashrrev_i32_e32 v22, 31, v21
	v_add_co_u32 v109, vcc_lo, s4, v5
	v_add_co_ci_u32_e64 v110, null, s5, v6, vcc_lo
	v_add_nc_u32_e32 v37, s15, v29
	v_lshlrev_b64 v[5:6], 4, v[13:14]
	v_add_co_u32 v111, vcc_lo, s4, v7
	v_add_co_ci_u32_e64 v112, null, s5, v8, vcc_lo
	v_lshlrev_b64 v[7:8], 4, v[21:22]
	v_ashrrev_i32_e32 v30, 31, v29
	v_add_nc_u32_e32 v45, s15, v37
	v_ashrrev_i32_e32 v38, 31, v37
	v_add_co_u32 v113, vcc_lo, s4, v5
	v_add_co_ci_u32_e64 v114, null, s5, v6, vcc_lo
	v_lshlrev_b64 v[5:6], 4, v[29:30]
	v_add_co_u32 v117, vcc_lo, s4, v7
	v_add_nc_u32_e32 v49, s15, v45
	v_add_co_ci_u32_e64 v118, null, s5, v8, vcc_lo
	v_lshlrev_b64 v[7:8], 4, v[37:38]
	v_ashrrev_i32_e32 v46, 31, v45
	v_ashrrev_i32_e32 v50, 31, v49
	v_add_nc_u32_e32 v51, s15, v49
	v_add_co_u32 v115, vcc_lo, s4, v5
	v_add_co_ci_u32_e64 v116, null, s5, v6, vcc_lo
	v_add_co_u32 v119, vcc_lo, s4, v7
	v_lshlrev_b64 v[5:6], 4, v[45:46]
	v_add_co_ci_u32_e64 v120, null, s5, v8, vcc_lo
	v_lshlrev_b64 v[7:8], 4, v[49:50]
	v_add_nc_u32_e32 v49, s15, v51
	v_ashrrev_i32_e32 v52, 31, v51
	v_add_co_u32 v121, vcc_lo, s4, v5
	v_add_co_ci_u32_e64 v122, null, s5, v6, vcc_lo
	v_ashrrev_i32_e32 v50, 31, v49
	v_lshlrev_b64 v[5:6], 4, v[51:52]
	v_add_co_u32 v123, vcc_lo, s4, v7
	v_add_co_ci_u32_e64 v124, null, s5, v8, vcc_lo
	v_lshlrev_b64 v[7:8], 4, v[49:50]
	s_clause 0x5
	global_load_dwordx4 v[1:4], v179, s[4:5]
	global_load_dwordx4 v[9:12], v[95:96], off
	global_load_dwordx4 v[13:16], v[97:98], off
	;; [unrolled: 1-line block ×5, first 2 shown]
	v_add_co_u32 v125, vcc_lo, s4, v5
	s_clause 0x3
	global_load_dwordx4 v[29:32], v[105:106], off
	global_load_dwordx4 v[33:36], v[107:108], off
	;; [unrolled: 1-line block ×4, first 2 shown]
	v_add_co_ci_u32_e64 v126, null, s5, v6, vcc_lo
	v_add_co_u32 v127, vcc_lo, s4, v7
	s_clause 0x1
	global_load_dwordx4 v[45:48], v[113:114], off
	global_load_dwordx4 v[57:60], v[115:116], off
	v_add_co_ci_u32_e64 v128, null, s5, v8, vcc_lo
	s_clause 0x5
	global_load_dwordx4 v[69:72], v[121:122], off
	global_load_dwordx4 v[73:76], v[123:124], off
	;; [unrolled: 1-line block ×6, first 2 shown]
	v_add_nc_u32_e32 v5, s15, v49
	s_add_i32 s47, s25, 16
	s_add_i32 s26, s22, 16
	;; [unrolled: 1-line block ×4, first 2 shown]
	v_add_nc_u32_e32 v7, s15, v5
	v_ashrrev_i32_e32 v6, 31, v5
	s_add_i32 s28, s19, 16
	s_movk_i32 s14, 0xb0
	s_add_i32 s36, s16, 16
	v_add_nc_u32_e32 v49, s15, v7
	v_ashrrev_i32_e32 v8, 31, v7
	v_lshlrev_b64 v[5:6], 4, v[5:6]
	s_add_i32 s34, s17, 16
	s_movk_i32 s12, 0x90
	v_add_nc_u32_e32 v51, s15, v49
	v_ashrrev_i32_e32 v50, 31, v49
	v_lshlrev_b64 v[7:8], 4, v[7:8]
	v_add_co_u32 v129, vcc_lo, s4, v5
	v_add_nc_u32_e32 v61, s15, v51
	v_ashrrev_i32_e32 v52, 31, v51
	v_lshlrev_b64 v[49:50], 4, v[49:50]
	v_add_co_ci_u32_e64 v130, null, s5, v6, vcc_lo
	v_add_nc_u32_e32 v85, s15, v61
	v_ashrrev_i32_e32 v62, 31, v61
	v_lshlrev_b64 v[51:52], 4, v[51:52]
	v_add_co_u32 v131, vcc_lo, s4, v7
	v_add_nc_u32_e32 v89, s15, v85
	v_ashrrev_i32_e32 v86, 31, v85
	v_lshlrev_b64 v[87:88], 4, v[61:62]
	v_add_co_ci_u32_e64 v132, null, s5, v8, vcc_lo
	v_add_nc_u32_e32 v141, s15, v89
	v_ashrrev_i32_e32 v90, 31, v89
	v_add_co_u32 v133, vcc_lo, s4, v49
	v_lshlrev_b64 v[85:86], 4, v[85:86]
	v_add_nc_u32_e32 v145, s15, v141
	v_ashrrev_i32_e32 v142, 31, v141
	v_add_co_ci_u32_e64 v134, null, s5, v50, vcc_lo
	v_add_co_u32 v135, vcc_lo, s4, v51
	v_lshlrev_b64 v[143:144], 4, v[89:90]
	v_add_nc_u32_e32 v149, s15, v145
	v_add_co_ci_u32_e64 v136, null, s5, v52, vcc_lo
	v_add_co_u32 v137, vcc_lo, s4, v87
	v_lshlrev_b64 v[147:148], 4, v[141:142]
	v_add_co_ci_u32_e64 v138, null, s5, v88, vcc_lo
	v_add_co_u32 v139, vcc_lo, s4, v85
	v_ashrrev_i32_e32 v150, 31, v149
	v_add_nc_u32_e32 v151, s15, v149
	v_add_co_ci_u32_e64 v140, null, s5, v86, vcc_lo
	v_add_co_u32 v141, vcc_lo, s4, v143
	v_add_co_ci_u32_e64 v142, null, s5, v144, vcc_lo
	v_add_co_u32 v143, vcc_lo, s4, v147
	v_add_co_ci_u32_e64 v144, null, s5, v148, vcc_lo
	v_lshlrev_b64 v[147:148], 4, v[149:150]
	v_add_nc_u32_e32 v149, s15, v151
	v_ashrrev_i32_e32 v146, 31, v145
	v_ashrrev_i32_e32 v152, 31, v151
	s_clause 0x2
	global_load_dwordx4 v[5:8], v[129:130], off
	global_load_dwordx4 v[61:64], v[131:132], off
	;; [unrolled: 1-line block ×3, first 2 shown]
	v_add_nc_u32_e32 v153, s15, v149
	v_lshlrev_b64 v[145:146], 4, v[145:146]
	v_ashrrev_i32_e32 v150, 31, v149
	v_lshlrev_b64 v[151:152], 4, v[151:152]
	s_clause 0x1
	global_load_dwordx4 v[89:92], v[135:136], off
	global_load_dwordx4 v[85:88], v[137:138], off
	v_add_nc_u32_e32 v157, s15, v153
	v_ashrrev_i32_e32 v154, 31, v153
	v_add_co_u32 v145, vcc_lo, s4, v145
	v_lshlrev_b64 v[155:156], 4, v[149:150]
	v_add_co_ci_u32_e64 v146, null, s5, v146, vcc_lo
	v_add_co_u32 v147, vcc_lo, s4, v147
	v_ashrrev_i32_e32 v158, 31, v157
	v_add_nc_u32_e32 v159, s15, v157
	v_add_co_ci_u32_e64 v148, null, s5, v148, vcc_lo
	v_add_co_u32 v149, vcc_lo, s4, v151
	v_add_co_ci_u32_e64 v150, null, s5, v152, vcc_lo
	v_add_co_u32 v151, vcc_lo, s4, v155
	v_add_co_ci_u32_e64 v152, null, s5, v156, vcc_lo
	v_lshlrev_b64 v[155:156], 4, v[157:158]
	v_add_nc_u32_e32 v157, s15, v159
	v_ashrrev_i32_e32 v160, 31, v159
	v_lshlrev_b64 v[153:154], 4, v[153:154]
	s_movk_i32 s13, 0xa0
	s_add_i32 s40, s14, 16
	v_add_nc_u32_e32 v161, s15, v157
	v_ashrrev_i32_e32 v158, 31, v157
	v_lshlrev_b64 v[159:160], 4, v[159:160]
	v_add_co_u32 v153, vcc_lo, s4, v153
	v_add_nc_u32_e32 v165, s15, v161
	v_lshlrev_b64 v[163:164], 4, v[157:158]
	v_add_co_ci_u32_e64 v154, null, s5, v154, vcc_lo
	v_add_co_u32 v155, vcc_lo, s4, v155
	v_ashrrev_i32_e32 v166, 31, v165
	v_add_nc_u32_e32 v167, s15, v165
	v_add_co_ci_u32_e64 v156, null, s5, v156, vcc_lo
	v_add_co_u32 v157, vcc_lo, s4, v159
	v_add_co_ci_u32_e64 v158, null, s5, v160, vcc_lo
	v_add_co_u32 v159, vcc_lo, s4, v163
	v_add_co_ci_u32_e64 v160, null, s5, v164, vcc_lo
	v_lshlrev_b64 v[163:164], 4, v[165:166]
	v_add_nc_u32_e32 v165, s15, v167
	v_ashrrev_i32_e32 v162, 31, v161
	v_ashrrev_i32_e32 v168, 31, v167
	s_movk_i32 s8, 0x70
	s_movk_i32 s9, 0x80
	v_add_nc_u32_e32 v169, s15, v165
	v_lshlrev_b64 v[161:162], 4, v[161:162]
	v_ashrrev_i32_e32 v166, 31, v165
	v_lshlrev_b64 v[167:168], 4, v[167:168]
	s_add_i32 s44, s12, 16
	v_add_nc_u32_e32 v173, s15, v169
	v_ashrrev_i32_e32 v170, 31, v169
	v_add_co_u32 v161, vcc_lo, s4, v161
	v_lshlrev_b64 v[171:172], 4, v[165:166]
	v_add_co_ci_u32_e64 v162, null, s5, v162, vcc_lo
	v_add_co_u32 v163, vcc_lo, s4, v163
	v_ashrrev_i32_e32 v174, 31, v173
	v_add_nc_u32_e32 v175, s15, v173
	v_add_co_ci_u32_e64 v164, null, s5, v164, vcc_lo
	v_add_co_u32 v165, vcc_lo, s4, v167
	v_add_co_ci_u32_e64 v166, null, s5, v168, vcc_lo
	v_add_co_u32 v167, vcc_lo, s4, v171
	v_add_co_ci_u32_e64 v168, null, s5, v172, vcc_lo
	v_lshlrev_b64 v[171:172], 4, v[173:174]
	v_add_nc_u32_e32 v173, s15, v175
	v_ashrrev_i32_e32 v176, 31, v175
	v_lshlrev_b64 v[169:170], 4, v[169:170]
	s_add_i32 s42, s13, 16
	s_add_i32 s48, s8, 16
	v_ashrrev_i32_e32 v174, 31, v173
	v_add_nc_u32_e32 v177, s15, v173
	v_lshlrev_b64 v[175:176], 4, v[175:176]
	v_add_co_u32 v169, vcc_lo, s4, v169
	v_lshlrev_b64 v[180:181], 4, v[173:174]
	v_ashrrev_i32_e32 v178, 31, v177
	v_add_co_ci_u32_e64 v170, null, s5, v170, vcc_lo
	v_add_co_u32 v171, vcc_lo, s4, v171
	v_add_co_ci_u32_e64 v172, null, s5, v172, vcc_lo
	v_add_co_u32 v173, vcc_lo, s4, v175
	v_add_co_ci_u32_e64 v174, null, s5, v176, vcc_lo
	v_lshlrev_b64 v[175:176], 4, v[177:178]
	v_add_co_u32 v177, vcc_lo, s4, v180
	v_add_co_ci_u32_e64 v178, null, s5, v181, vcc_lo
	s_clause 0x1
	global_load_dwordx4 v[180:183], v[139:140], off
	global_load_dwordx4 v[184:187], v[141:142], off
	v_add_co_u32 v175, vcc_lo, s4, v175
	v_add_co_ci_u32_e64 v176, null, s5, v176, vcc_lo
	s_movk_i32 s4, 0x50
	s_movk_i32 s5, 0x60
	s_add_i32 s50, s4, 16
	s_movk_i32 s4, 0x140
	s_add_i32 s49, s5, 16
	s_add_i32 s45, s4, 16
	s_movk_i32 s4, 0x150
	s_movk_i32 s5, 0x160
	s_add_i32 s43, s4, 16
	s_add_i32 s41, s5, 16
	s_movk_i32 s4, 0x170
	;; [unrolled: 4-line block ×4, first 2 shown]
	s_movk_i32 s5, 0x1c0
	s_waitcnt vmcnt(24)
	buffer_store_dword v4, off, s[0:3], 0 offset:28
	buffer_store_dword v3, off, s[0:3], 0 offset:24
	buffer_store_dword v2, off, s[0:3], 0 offset:20
	buffer_store_dword v1, off, s[0:3], 0 offset:16
	s_waitcnt vmcnt(23)
	buffer_store_dword v12, off, s[0:3], 0 offset:44
	buffer_store_dword v11, off, s[0:3], 0 offset:40
	buffer_store_dword v10, off, s[0:3], 0 offset:36
	buffer_store_dword v9, off, s[0:3], 0 offset:32
	s_clause 0x1
	global_load_dwordx4 v[1:4], v[143:144], off
	global_load_dwordx4 v[9:12], v[145:146], off
	s_waitcnt vmcnt(24)
	buffer_store_dword v16, off, s[0:3], 0 offset:60
	buffer_store_dword v15, off, s[0:3], 0 offset:56
	buffer_store_dword v14, off, s[0:3], 0 offset:52
	buffer_store_dword v13, off, s[0:3], 0 offset:48
	s_waitcnt vmcnt(23)
	buffer_store_dword v20, off, s[0:3], 0 offset:76
	buffer_store_dword v19, off, s[0:3], 0 offset:72
	buffer_store_dword v18, off, s[0:3], 0 offset:68
	buffer_store_dword v17, off, s[0:3], 0 offset:64
	s_clause 0x1
	global_load_dwordx4 v[13:16], v[147:148], off
	global_load_dwordx4 v[17:20], v[149:150], off
	;; [unrolled: 13-line block ×6, first 2 shown]
	buffer_store_dword v60, off, s[0:3], 0 offset:220
	buffer_store_dword v59, off, s[0:3], 0 offset:216
	;; [unrolled: 1-line block ×4, first 2 shown]
	s_waitcnt vmcnt(21)
	buffer_store_dword v68, off, s[0:3], 0 offset:236
	buffer_store_dword v67, off, s[0:3], 0 offset:232
	buffer_store_dword v66, off, s[0:3], 0 offset:228
	buffer_store_dword v65, off, s[0:3], 0 offset:224
	s_clause 0x1
	global_load_dwordx4 v[57:60], v[167:168], off
	global_load_dwordx4 v[65:68], v[169:170], off
	buffer_store_dword v72, off, s[0:3], 0 offset:252
	buffer_store_dword v71, off, s[0:3], 0 offset:248
	;; [unrolled: 1-line block ×4, first 2 shown]
	global_load_dwordx4 v[69:72], v[171:172], off
	buffer_store_dword v76, off, s[0:3], 0 offset:268
	buffer_store_dword v75, off, s[0:3], 0 offset:264
	buffer_store_dword v74, off, s[0:3], 0 offset:260
	buffer_store_dword v73, off, s[0:3], 0 offset:256
	global_load_dwordx4 v[73:76], v[173:174], off
	s_waitcnt vmcnt(24)
	buffer_store_dword v80, off, s[0:3], 0 offset:284
	buffer_store_dword v79, off, s[0:3], 0 offset:280
	;; [unrolled: 1-line block ×4, first 2 shown]
	global_load_dwordx4 v[77:80], v[177:178], off
	s_waitcnt vmcnt(24)
	buffer_store_dword v84, off, s[0:3], 0 offset:300
	buffer_store_dword v83, off, s[0:3], 0 offset:296
	;; [unrolled: 1-line block ×4, first 2 shown]
	global_load_dwordx4 v[81:84], v[175:176], off
	s_add_i32 s31, s4, 16
	s_add_i32 s29, s5, 16
	s_movk_i32 s4, 0x1d0
	s_movk_i32 s5, 0x1e0
	s_add_i32 s27, s4, 16
	s_add_i32 s25, s5, 16
	s_movk_i32 s4, 0x1f0
	s_movk_i32 s5, 0x200
	;; [unrolled: 4-line block ×4, first 2 shown]
	s_movk_i32 s15, 0xc0
	s_add_i32 s17, s4, 16
	s_add_i32 s16, s5, 16
	s_movk_i32 s4, 0x250
	s_movk_i32 s5, 0x260
	s_add_i32 s38, s15, 16
	s_add_i32 s15, s4, 16
	;; [unrolled: 1-line block ×3, first 2 shown]
	s_movk_i32 s4, 0x270
	s_movk_i32 s5, 0x280
	s_add_i32 s13, s4, 16
	s_add_i32 s12, s5, 16
	s_movk_i32 s4, 0x290
	s_movk_i32 s5, 0x2a0
	s_add_i32 s46, s9, 16
	s_add_i32 s9, s4, 16
	;; [unrolled: 1-line block ×3, first 2 shown]
	s_movk_i32 s51, 0x50
	s_bitcmp0_b32 s56, 0
	s_mov_b32 s5, -1
	s_waitcnt vmcnt(24)
	buffer_store_dword v8, off, s[0:3], 0 offset:316
	buffer_store_dword v7, off, s[0:3], 0 offset:312
	buffer_store_dword v6, off, s[0:3], 0 offset:308
	buffer_store_dword v5, off, s[0:3], 0 offset:304
	s_waitcnt vmcnt(23)
	buffer_store_dword v64, off, s[0:3], 0 offset:332
	buffer_store_dword v63, off, s[0:3], 0 offset:328
	buffer_store_dword v62, off, s[0:3], 0 offset:324
	buffer_store_dword v61, off, s[0:3], 0 offset:320
	;; [unrolled: 5-line block ×25, first 2 shown]
	s_cbranch_scc1 .LBB42_184
; %bb.4:
	v_cmp_eq_u32_e64 s4, 0, v0
	s_and_saveexec_b32 s5, s4
; %bb.5:
	v_mov_b32_e32 v1, 0
	ds_write_b32 v1, v1 offset:1376
; %bb.6:
	s_or_b32 exec_lo, exec_lo, s5
	v_lshl_add_u32 v11, v0, 4, 16
	s_waitcnt lgkmcnt(0)
	s_waitcnt_vscnt null, 0x0
	s_barrier
	buffer_gl0_inv
	s_clause 0x3
	buffer_load_dword v1, v11, s[0:3], 0 offen
	buffer_load_dword v2, v11, s[0:3], 0 offen offset:4
	buffer_load_dword v3, v11, s[0:3], 0 offen offset:8
	;; [unrolled: 1-line block ×3, first 2 shown]
	s_waitcnt vmcnt(2)
	v_cmp_eq_f64_e32 vcc_lo, 0, v[1:2]
	s_waitcnt vmcnt(0)
	v_cmp_eq_f64_e64 s5, 0, v[3:4]
	s_and_b32 s5, vcc_lo, s5
	s_and_saveexec_b32 s56, s5
	s_cbranch_execz .LBB42_10
; %bb.7:
	v_mov_b32_e32 v1, 0
	s_mov_b32 s57, 0
	ds_read_b32 v2, v1 offset:1376
	s_waitcnt lgkmcnt(0)
	v_readfirstlane_b32 s5, v2
	v_add_nc_u32_e32 v2, 1, v0
	s_cmp_eq_u32 s5, 0
	v_cmp_gt_i32_e32 vcc_lo, s5, v2
	s_cselect_b32 s58, -1, 0
	s_or_b32 s58, s58, vcc_lo
	s_and_b32 exec_lo, exec_lo, s58
	s_cbranch_execz .LBB42_10
; %bb.8:
	v_mov_b32_e32 v3, s5
.LBB42_9:                               ; =>This Inner Loop Header: Depth=1
	ds_cmpst_rtn_b32 v3, v1, v3, v2 offset:1376
	s_waitcnt lgkmcnt(0)
	v_cmp_ne_u32_e32 vcc_lo, 0, v3
	v_cmp_le_i32_e64 s5, v3, v2
	s_and_b32 s5, vcc_lo, s5
	s_and_b32 s5, exec_lo, s5
	s_or_b32 s57, s5, s57
	s_andn2_b32 exec_lo, exec_lo, s57
	s_cbranch_execnz .LBB42_9
.LBB42_10:
	s_or_b32 exec_lo, exec_lo, s56
	v_mov_b32_e32 v1, 0
	s_barrier
	buffer_gl0_inv
	ds_read_b32 v2, v1 offset:1376
	s_and_saveexec_b32 s5, s4
	s_cbranch_execz .LBB42_12
; %bb.11:
	s_lshl_b64 s[56:57], s[6:7], 2
	s_add_u32 s56, s10, s56
	s_addc_u32 s57, s11, s57
	s_waitcnt lgkmcnt(0)
	global_store_dword v1, v2, s[56:57]
.LBB42_12:
	s_or_b32 exec_lo, exec_lo, s5
	s_waitcnt lgkmcnt(0)
	v_cmp_ne_u32_e32 vcc_lo, 0, v2
	s_mov_b32 s5, 0
	s_cbranch_vccnz .LBB42_184
; %bb.13:
	s_clause 0x3
	buffer_load_dword v7, v11, s[0:3], 0 offen
	buffer_load_dword v8, v11, s[0:3], 0 offen offset:4
	buffer_load_dword v9, v11, s[0:3], 0 offen offset:8
	;; [unrolled: 1-line block ×3, first 2 shown]
                                        ; implicit-def: $vgpr5_vgpr6
                                        ; implicit-def: $vgpr3_vgpr4
	s_waitcnt vmcnt(0)
	v_cmp_ngt_f64_e64 s5, |v[7:8]|, |v[9:10]|
	s_and_saveexec_b32 s56, s5
	s_xor_b32 s5, exec_lo, s56
	s_cbranch_execz .LBB42_15
; %bb.14:
	v_div_scale_f64 v[1:2], null, v[9:10], v[9:10], v[7:8]
	v_div_scale_f64 v[12:13], vcc_lo, v[7:8], v[9:10], v[7:8]
	v_rcp_f64_e32 v[3:4], v[1:2]
	v_fma_f64 v[5:6], -v[1:2], v[3:4], 1.0
	v_fma_f64 v[3:4], v[3:4], v[5:6], v[3:4]
	v_fma_f64 v[5:6], -v[1:2], v[3:4], 1.0
	v_fma_f64 v[3:4], v[3:4], v[5:6], v[3:4]
	v_mul_f64 v[5:6], v[12:13], v[3:4]
	v_fma_f64 v[1:2], -v[1:2], v[5:6], v[12:13]
	v_div_fmas_f64 v[1:2], v[1:2], v[3:4], v[5:6]
	v_div_fixup_f64 v[1:2], v[1:2], v[9:10], v[7:8]
	v_fma_f64 v[3:4], v[7:8], v[1:2], v[9:10]
	v_div_scale_f64 v[5:6], null, v[3:4], v[3:4], 1.0
	v_div_scale_f64 v[12:13], vcc_lo, 1.0, v[3:4], 1.0
	v_rcp_f64_e32 v[7:8], v[5:6]
	v_fma_f64 v[9:10], -v[5:6], v[7:8], 1.0
	v_fma_f64 v[7:8], v[7:8], v[9:10], v[7:8]
	v_fma_f64 v[9:10], -v[5:6], v[7:8], 1.0
	v_fma_f64 v[7:8], v[7:8], v[9:10], v[7:8]
	v_mul_f64 v[9:10], v[12:13], v[7:8]
	v_fma_f64 v[5:6], -v[5:6], v[9:10], v[12:13]
	v_div_fmas_f64 v[5:6], v[5:6], v[7:8], v[9:10]
                                        ; implicit-def: $vgpr7_vgpr8
                                        ; implicit-def: $vgpr9_vgpr10
	v_div_fixup_f64 v[3:4], v[5:6], v[3:4], 1.0
	v_mul_f64 v[5:6], v[1:2], v[3:4]
	v_xor_b32_e32 v4, 0x80000000, v4
	v_xor_b32_e32 v2, 0x80000000, v6
	v_mov_b32_e32 v1, v5
.LBB42_15:
	s_andn2_saveexec_b32 s5, s5
	s_cbranch_execz .LBB42_17
; %bb.16:
	v_div_scale_f64 v[1:2], null, v[7:8], v[7:8], v[9:10]
	v_div_scale_f64 v[12:13], vcc_lo, v[9:10], v[7:8], v[9:10]
	v_rcp_f64_e32 v[3:4], v[1:2]
	v_fma_f64 v[5:6], -v[1:2], v[3:4], 1.0
	v_fma_f64 v[3:4], v[3:4], v[5:6], v[3:4]
	v_fma_f64 v[5:6], -v[1:2], v[3:4], 1.0
	v_fma_f64 v[3:4], v[3:4], v[5:6], v[3:4]
	v_mul_f64 v[5:6], v[12:13], v[3:4]
	v_fma_f64 v[1:2], -v[1:2], v[5:6], v[12:13]
	v_div_fmas_f64 v[1:2], v[1:2], v[3:4], v[5:6]
	v_div_fixup_f64 v[1:2], v[1:2], v[7:8], v[9:10]
	v_fma_f64 v[3:4], v[9:10], v[1:2], v[7:8]
	v_div_scale_f64 v[5:6], null, v[3:4], v[3:4], 1.0
	v_rcp_f64_e32 v[7:8], v[5:6]
	v_fma_f64 v[9:10], -v[5:6], v[7:8], 1.0
	v_fma_f64 v[7:8], v[7:8], v[9:10], v[7:8]
	v_fma_f64 v[9:10], -v[5:6], v[7:8], 1.0
	v_fma_f64 v[7:8], v[7:8], v[9:10], v[7:8]
	v_div_scale_f64 v[9:10], vcc_lo, 1.0, v[3:4], 1.0
	v_mul_f64 v[12:13], v[9:10], v[7:8]
	v_fma_f64 v[5:6], -v[5:6], v[12:13], v[9:10]
	v_div_fmas_f64 v[5:6], v[5:6], v[7:8], v[12:13]
	v_div_fixup_f64 v[5:6], v[5:6], v[3:4], 1.0
	v_mul_f64 v[3:4], v[1:2], -v[5:6]
	v_xor_b32_e32 v2, 0x80000000, v6
	v_mov_b32_e32 v1, v5
.LBB42_17:
	s_or_b32 exec_lo, exec_lo, s5
	v_mov_b32_e32 v10, s54
	buffer_store_dword v6, v11, s[0:3], 0 offen offset:4
	buffer_store_dword v5, v11, s[0:3], 0 offen
	buffer_store_dword v4, v11, s[0:3], 0 offen offset:12
	buffer_store_dword v3, v11, s[0:3], 0 offen offset:8
	v_xor_b32_e32 v4, 0x80000000, v4
	v_add_nc_u32_e32 v5, 0x2b0, v179
	s_clause 0x3
	buffer_load_dword v9, v10, s[0:3], 0 offen offset:12
	buffer_load_dword v8, v10, s[0:3], 0 offen offset:8
	;; [unrolled: 1-line block ×3, first 2 shown]
	buffer_load_dword v6, v10, s[0:3], 0 offen
	ds_write_b128 v179, v[1:4]
	s_waitcnt vmcnt(0)
	ds_write_b128 v179, v[6:9] offset:688
	s_waitcnt lgkmcnt(0)
	s_waitcnt_vscnt null, 0x0
	s_barrier
	buffer_gl0_inv
	s_and_saveexec_b32 s5, s4
	s_cbranch_execz .LBB42_19
; %bb.18:
	s_clause 0x3
	buffer_load_dword v12, v11, s[0:3], 0 offen offset:8
	buffer_load_dword v13, v11, s[0:3], 0 offen offset:12
	buffer_load_dword v14, v11, s[0:3], 0 offen
	buffer_load_dword v15, v11, s[0:3], 0 offen offset:4
	ds_read_b128 v[1:4], v5
	v_mov_b32_e32 v6, 0
	ds_read_b128 v[6:9], v6 offset:16
	s_waitcnt vmcnt(2) lgkmcnt(1)
	v_mul_f64 v[16:17], v[1:2], v[12:13]
	v_mul_f64 v[12:13], v[3:4], v[12:13]
	s_waitcnt vmcnt(0)
	v_fma_f64 v[3:4], v[3:4], v[14:15], v[16:17]
	v_fma_f64 v[1:2], v[1:2], v[14:15], -v[12:13]
	v_add_f64 v[3:4], v[3:4], 0
	v_add_f64 v[1:2], v[1:2], 0
	s_waitcnt lgkmcnt(0)
	v_mul_f64 v[12:13], v[3:4], v[8:9]
	v_mul_f64 v[8:9], v[1:2], v[8:9]
	v_fma_f64 v[1:2], v[1:2], v[6:7], -v[12:13]
	v_fma_f64 v[3:4], v[3:4], v[6:7], v[8:9]
	buffer_store_dword v1, off, s[0:3], 0 offset:32
	buffer_store_dword v2, off, s[0:3], 0 offset:36
	;; [unrolled: 1-line block ×4, first 2 shown]
.LBB42_19:
	s_or_b32 exec_lo, exec_lo, s5
	v_mov_b32_e32 v4, s53
	s_waitcnt_vscnt null, 0x0
	s_barrier
	buffer_gl0_inv
	s_mov_b32 s5, exec_lo
	s_clause 0x3
	buffer_load_dword v1, v4, s[0:3], 0 offen
	buffer_load_dword v2, v4, s[0:3], 0 offen offset:4
	buffer_load_dword v3, v4, s[0:3], 0 offen offset:8
	;; [unrolled: 1-line block ×3, first 2 shown]
	s_waitcnt vmcnt(0)
	ds_write_b128 v5, v[1:4]
	s_waitcnt lgkmcnt(0)
	s_barrier
	buffer_gl0_inv
	v_cmpx_gt_u32_e32 2, v0
	s_cbranch_execz .LBB42_23
; %bb.20:
	s_clause 0x3
	buffer_load_dword v6, v11, s[0:3], 0 offen offset:8
	buffer_load_dword v7, v11, s[0:3], 0 offen offset:12
	buffer_load_dword v8, v11, s[0:3], 0 offen
	buffer_load_dword v9, v11, s[0:3], 0 offen offset:4
	ds_read_b128 v[1:4], v5
	s_waitcnt vmcnt(2) lgkmcnt(0)
	v_mul_f64 v[10:11], v[3:4], v[6:7]
	v_mul_f64 v[6:7], v[1:2], v[6:7]
	s_waitcnt vmcnt(0)
	v_fma_f64 v[1:2], v[1:2], v[8:9], -v[10:11]
	v_fma_f64 v[3:4], v[3:4], v[8:9], v[6:7]
	v_add_f64 v[1:2], v[1:2], 0
	v_add_f64 v[3:4], v[3:4], 0
	s_and_saveexec_b32 s56, s4
	s_cbranch_execz .LBB42_22
; %bb.21:
	s_clause 0x3
	buffer_load_dword v10, off, s[0:3], 0 offset:40
	buffer_load_dword v11, off, s[0:3], 0 offset:44
	;; [unrolled: 1-line block ×4, first 2 shown]
	v_mov_b32_e32 v6, 0
	ds_read_b128 v[6:9], v6 offset:704
	s_waitcnt vmcnt(2) lgkmcnt(0)
	v_mul_f64 v[14:15], v[6:7], v[10:11]
	v_mul_f64 v[10:11], v[8:9], v[10:11]
	s_waitcnt vmcnt(0)
	v_fma_f64 v[8:9], v[8:9], v[12:13], v[14:15]
	v_fma_f64 v[6:7], v[6:7], v[12:13], -v[10:11]
	v_add_f64 v[3:4], v[3:4], v[8:9]
	v_add_f64 v[1:2], v[1:2], v[6:7]
.LBB42_22:
	s_or_b32 exec_lo, exec_lo, s56
	v_mov_b32_e32 v6, 0
	ds_read_b128 v[6:9], v6 offset:32
	s_waitcnt lgkmcnt(0)
	v_mul_f64 v[10:11], v[3:4], v[8:9]
	v_mul_f64 v[8:9], v[1:2], v[8:9]
	v_fma_f64 v[1:2], v[1:2], v[6:7], -v[10:11]
	v_fma_f64 v[3:4], v[3:4], v[6:7], v[8:9]
	buffer_store_dword v2, off, s[0:3], 0 offset:52
	buffer_store_dword v1, off, s[0:3], 0 offset:48
	;; [unrolled: 1-line block ×4, first 2 shown]
.LBB42_23:
	s_or_b32 exec_lo, exec_lo, s5
	v_mov_b32_e32 v4, s52
	s_waitcnt_vscnt null, 0x0
	s_barrier
	buffer_gl0_inv
	v_add_nc_u32_e32 v6, -1, v0
	s_clause 0x3
	buffer_load_dword v1, v4, s[0:3], 0 offen
	buffer_load_dword v2, v4, s[0:3], 0 offen offset:4
	buffer_load_dword v3, v4, s[0:3], 0 offen offset:8
	buffer_load_dword v4, v4, s[0:3], 0 offen offset:12
	s_mov_b32 s4, exec_lo
	s_waitcnt vmcnt(0)
	ds_write_b128 v5, v[1:4]
	s_waitcnt lgkmcnt(0)
	s_barrier
	buffer_gl0_inv
	v_cmpx_gt_u32_e32 3, v0
	s_cbranch_execz .LBB42_27
; %bb.24:
	v_mov_b32_e32 v1, 0
	v_mov_b32_e32 v3, 0
	v_add_nc_u32_e32 v7, -1, v0
	v_add_nc_u32_e32 v8, 0x2b0, v179
	v_mov_b32_e32 v2, 0
	v_mov_b32_e32 v4, 0
	v_add_nc_u32_e32 v9, 16, v179
	s_mov_b32 s5, 0
	.p2align	6
.LBB42_25:                              ; =>This Inner Loop Header: Depth=1
	s_clause 0x3
	buffer_load_dword v14, v9, s[0:3], 0 offen offset:8
	buffer_load_dword v15, v9, s[0:3], 0 offen offset:12
	buffer_load_dword v16, v9, s[0:3], 0 offen
	buffer_load_dword v17, v9, s[0:3], 0 offen offset:4
	ds_read_b128 v[10:13], v8
	v_add_nc_u32_e32 v7, 1, v7
	v_add_nc_u32_e32 v8, 16, v8
	;; [unrolled: 1-line block ×3, first 2 shown]
	v_cmp_lt_u32_e32 vcc_lo, 1, v7
	s_or_b32 s5, vcc_lo, s5
	s_waitcnt vmcnt(2) lgkmcnt(0)
	v_mul_f64 v[18:19], v[12:13], v[14:15]
	v_mul_f64 v[14:15], v[10:11], v[14:15]
	s_waitcnt vmcnt(0)
	v_fma_f64 v[10:11], v[10:11], v[16:17], -v[18:19]
	v_fma_f64 v[12:13], v[12:13], v[16:17], v[14:15]
	v_add_f64 v[3:4], v[3:4], v[10:11]
	v_add_f64 v[1:2], v[1:2], v[12:13]
	s_andn2_b32 exec_lo, exec_lo, s5
	s_cbranch_execnz .LBB42_25
; %bb.26:
	s_or_b32 exec_lo, exec_lo, s5
	v_mov_b32_e32 v7, 0
	ds_read_b128 v[7:10], v7 offset:48
	s_waitcnt lgkmcnt(0)
	v_mul_f64 v[11:12], v[1:2], v[9:10]
	v_mul_f64 v[9:10], v[3:4], v[9:10]
	v_fma_f64 v[3:4], v[3:4], v[7:8], -v[11:12]
	v_fma_f64 v[1:2], v[1:2], v[7:8], v[9:10]
	buffer_store_dword v4, off, s[0:3], 0 offset:68
	buffer_store_dword v3, off, s[0:3], 0 offset:64
	;; [unrolled: 1-line block ×4, first 2 shown]
.LBB42_27:
	s_or_b32 exec_lo, exec_lo, s4
	v_mov_b32_e32 v4, s51
	s_waitcnt_vscnt null, 0x0
	s_barrier
	buffer_gl0_inv
	s_mov_b32 s4, exec_lo
	s_clause 0x3
	buffer_load_dword v1, v4, s[0:3], 0 offen
	buffer_load_dword v2, v4, s[0:3], 0 offen offset:4
	buffer_load_dword v3, v4, s[0:3], 0 offen offset:8
	;; [unrolled: 1-line block ×3, first 2 shown]
	s_waitcnt vmcnt(0)
	ds_write_b128 v5, v[1:4]
	s_waitcnt lgkmcnt(0)
	s_barrier
	buffer_gl0_inv
	v_cmpx_gt_u32_e32 4, v0
	s_cbranch_execz .LBB42_31
; %bb.28:
	v_mov_b32_e32 v1, 0
	v_mov_b32_e32 v3, 0
	v_add_nc_u32_e32 v7, -1, v0
	v_add_nc_u32_e32 v8, 0x2b0, v179
	v_mov_b32_e32 v2, 0
	v_mov_b32_e32 v4, 0
	v_add_nc_u32_e32 v9, 16, v179
	s_mov_b32 s5, 0
	.p2align	6
.LBB42_29:                              ; =>This Inner Loop Header: Depth=1
	s_clause 0x3
	buffer_load_dword v14, v9, s[0:3], 0 offen offset:8
	buffer_load_dword v15, v9, s[0:3], 0 offen offset:12
	buffer_load_dword v16, v9, s[0:3], 0 offen
	buffer_load_dword v17, v9, s[0:3], 0 offen offset:4
	ds_read_b128 v[10:13], v8
	v_add_nc_u32_e32 v7, 1, v7
	v_add_nc_u32_e32 v8, 16, v8
	;; [unrolled: 1-line block ×3, first 2 shown]
	v_cmp_lt_u32_e32 vcc_lo, 2, v7
	s_or_b32 s5, vcc_lo, s5
	s_waitcnt vmcnt(2) lgkmcnt(0)
	v_mul_f64 v[18:19], v[12:13], v[14:15]
	v_mul_f64 v[14:15], v[10:11], v[14:15]
	s_waitcnt vmcnt(0)
	v_fma_f64 v[10:11], v[10:11], v[16:17], -v[18:19]
	v_fma_f64 v[12:13], v[12:13], v[16:17], v[14:15]
	v_add_f64 v[3:4], v[3:4], v[10:11]
	v_add_f64 v[1:2], v[1:2], v[12:13]
	s_andn2_b32 exec_lo, exec_lo, s5
	s_cbranch_execnz .LBB42_29
; %bb.30:
	s_or_b32 exec_lo, exec_lo, s5
	v_mov_b32_e32 v7, 0
	ds_read_b128 v[7:10], v7 offset:64
	s_waitcnt lgkmcnt(0)
	v_mul_f64 v[11:12], v[1:2], v[9:10]
	v_mul_f64 v[9:10], v[3:4], v[9:10]
	v_fma_f64 v[3:4], v[3:4], v[7:8], -v[11:12]
	v_fma_f64 v[1:2], v[1:2], v[7:8], v[9:10]
	buffer_store_dword v4, off, s[0:3], 0 offset:84
	buffer_store_dword v3, off, s[0:3], 0 offset:80
	;; [unrolled: 1-line block ×4, first 2 shown]
.LBB42_31:
	s_or_b32 exec_lo, exec_lo, s4
	v_mov_b32_e32 v4, s50
	s_waitcnt_vscnt null, 0x0
	s_barrier
	buffer_gl0_inv
	s_mov_b32 s4, exec_lo
	s_clause 0x3
	buffer_load_dword v1, v4, s[0:3], 0 offen
	buffer_load_dword v2, v4, s[0:3], 0 offen offset:4
	buffer_load_dword v3, v4, s[0:3], 0 offen offset:8
	buffer_load_dword v4, v4, s[0:3], 0 offen offset:12
	s_waitcnt vmcnt(0)
	ds_write_b128 v5, v[1:4]
	s_waitcnt lgkmcnt(0)
	s_barrier
	buffer_gl0_inv
	v_cmpx_gt_u32_e32 5, v0
	s_cbranch_execz .LBB42_35
; %bb.32:
	v_mov_b32_e32 v1, 0
	v_mov_b32_e32 v3, 0
	v_add_nc_u32_e32 v7, -1, v0
	v_add_nc_u32_e32 v8, 0x2b0, v179
	v_mov_b32_e32 v2, 0
	v_mov_b32_e32 v4, 0
	v_add_nc_u32_e32 v9, 16, v179
	s_mov_b32 s5, 0
	.p2align	6
.LBB42_33:                              ; =>This Inner Loop Header: Depth=1
	s_clause 0x3
	buffer_load_dword v14, v9, s[0:3], 0 offen offset:8
	buffer_load_dword v15, v9, s[0:3], 0 offen offset:12
	buffer_load_dword v16, v9, s[0:3], 0 offen
	buffer_load_dword v17, v9, s[0:3], 0 offen offset:4
	ds_read_b128 v[10:13], v8
	v_add_nc_u32_e32 v7, 1, v7
	v_add_nc_u32_e32 v8, 16, v8
	;; [unrolled: 1-line block ×3, first 2 shown]
	v_cmp_lt_u32_e32 vcc_lo, 3, v7
	s_or_b32 s5, vcc_lo, s5
	s_waitcnt vmcnt(2) lgkmcnt(0)
	v_mul_f64 v[18:19], v[12:13], v[14:15]
	v_mul_f64 v[14:15], v[10:11], v[14:15]
	s_waitcnt vmcnt(0)
	v_fma_f64 v[10:11], v[10:11], v[16:17], -v[18:19]
	v_fma_f64 v[12:13], v[12:13], v[16:17], v[14:15]
	v_add_f64 v[3:4], v[3:4], v[10:11]
	v_add_f64 v[1:2], v[1:2], v[12:13]
	s_andn2_b32 exec_lo, exec_lo, s5
	s_cbranch_execnz .LBB42_33
; %bb.34:
	s_or_b32 exec_lo, exec_lo, s5
	v_mov_b32_e32 v7, 0
	ds_read_b128 v[7:10], v7 offset:80
	s_waitcnt lgkmcnt(0)
	v_mul_f64 v[11:12], v[1:2], v[9:10]
	v_mul_f64 v[9:10], v[3:4], v[9:10]
	v_fma_f64 v[3:4], v[3:4], v[7:8], -v[11:12]
	v_fma_f64 v[1:2], v[1:2], v[7:8], v[9:10]
	buffer_store_dword v4, off, s[0:3], 0 offset:100
	buffer_store_dword v3, off, s[0:3], 0 offset:96
	buffer_store_dword v2, off, s[0:3], 0 offset:108
	buffer_store_dword v1, off, s[0:3], 0 offset:104
.LBB42_35:
	s_or_b32 exec_lo, exec_lo, s4
	v_mov_b32_e32 v4, s49
	s_waitcnt_vscnt null, 0x0
	s_barrier
	buffer_gl0_inv
	s_mov_b32 s4, exec_lo
	s_clause 0x3
	buffer_load_dword v1, v4, s[0:3], 0 offen
	buffer_load_dword v2, v4, s[0:3], 0 offen offset:4
	buffer_load_dword v3, v4, s[0:3], 0 offen offset:8
	;; [unrolled: 1-line block ×3, first 2 shown]
	s_waitcnt vmcnt(0)
	ds_write_b128 v5, v[1:4]
	s_waitcnt lgkmcnt(0)
	s_barrier
	buffer_gl0_inv
	v_cmpx_gt_u32_e32 6, v0
	s_cbranch_execz .LBB42_39
; %bb.36:
	v_mov_b32_e32 v1, 0
	v_mov_b32_e32 v3, 0
	v_add_nc_u32_e32 v7, -1, v0
	v_add_nc_u32_e32 v8, 0x2b0, v179
	v_mov_b32_e32 v2, 0
	v_mov_b32_e32 v4, 0
	v_add_nc_u32_e32 v9, 16, v179
	s_mov_b32 s5, 0
	.p2align	6
.LBB42_37:                              ; =>This Inner Loop Header: Depth=1
	s_clause 0x3
	buffer_load_dword v14, v9, s[0:3], 0 offen offset:8
	buffer_load_dword v15, v9, s[0:3], 0 offen offset:12
	buffer_load_dword v16, v9, s[0:3], 0 offen
	buffer_load_dword v17, v9, s[0:3], 0 offen offset:4
	ds_read_b128 v[10:13], v8
	v_add_nc_u32_e32 v7, 1, v7
	v_add_nc_u32_e32 v8, 16, v8
	;; [unrolled: 1-line block ×3, first 2 shown]
	v_cmp_lt_u32_e32 vcc_lo, 4, v7
	s_or_b32 s5, vcc_lo, s5
	s_waitcnt vmcnt(2) lgkmcnt(0)
	v_mul_f64 v[18:19], v[12:13], v[14:15]
	v_mul_f64 v[14:15], v[10:11], v[14:15]
	s_waitcnt vmcnt(0)
	v_fma_f64 v[10:11], v[10:11], v[16:17], -v[18:19]
	v_fma_f64 v[12:13], v[12:13], v[16:17], v[14:15]
	v_add_f64 v[3:4], v[3:4], v[10:11]
	v_add_f64 v[1:2], v[1:2], v[12:13]
	s_andn2_b32 exec_lo, exec_lo, s5
	s_cbranch_execnz .LBB42_37
; %bb.38:
	s_or_b32 exec_lo, exec_lo, s5
	v_mov_b32_e32 v7, 0
	ds_read_b128 v[7:10], v7 offset:96
	s_waitcnt lgkmcnt(0)
	v_mul_f64 v[11:12], v[1:2], v[9:10]
	v_mul_f64 v[9:10], v[3:4], v[9:10]
	v_fma_f64 v[3:4], v[3:4], v[7:8], -v[11:12]
	v_fma_f64 v[1:2], v[1:2], v[7:8], v[9:10]
	buffer_store_dword v4, off, s[0:3], 0 offset:116
	buffer_store_dword v3, off, s[0:3], 0 offset:112
	;; [unrolled: 1-line block ×4, first 2 shown]
.LBB42_39:
	s_or_b32 exec_lo, exec_lo, s4
	v_mov_b32_e32 v4, s48
	s_waitcnt_vscnt null, 0x0
	s_barrier
	buffer_gl0_inv
	s_mov_b32 s4, exec_lo
	s_clause 0x3
	buffer_load_dword v1, v4, s[0:3], 0 offen
	buffer_load_dword v2, v4, s[0:3], 0 offen offset:4
	buffer_load_dword v3, v4, s[0:3], 0 offen offset:8
	;; [unrolled: 1-line block ×3, first 2 shown]
	s_waitcnt vmcnt(0)
	ds_write_b128 v5, v[1:4]
	s_waitcnt lgkmcnt(0)
	s_barrier
	buffer_gl0_inv
	v_cmpx_gt_u32_e32 7, v0
	s_cbranch_execz .LBB42_43
; %bb.40:
	v_mov_b32_e32 v1, 0
	v_mov_b32_e32 v3, 0
	v_add_nc_u32_e32 v7, -1, v0
	v_add_nc_u32_e32 v8, 0x2b0, v179
	v_mov_b32_e32 v2, 0
	v_mov_b32_e32 v4, 0
	v_add_nc_u32_e32 v9, 16, v179
	s_mov_b32 s5, 0
	.p2align	6
.LBB42_41:                              ; =>This Inner Loop Header: Depth=1
	s_clause 0x3
	buffer_load_dword v14, v9, s[0:3], 0 offen offset:8
	buffer_load_dword v15, v9, s[0:3], 0 offen offset:12
	buffer_load_dword v16, v9, s[0:3], 0 offen
	buffer_load_dword v17, v9, s[0:3], 0 offen offset:4
	ds_read_b128 v[10:13], v8
	v_add_nc_u32_e32 v7, 1, v7
	v_add_nc_u32_e32 v8, 16, v8
	;; [unrolled: 1-line block ×3, first 2 shown]
	v_cmp_lt_u32_e32 vcc_lo, 5, v7
	s_or_b32 s5, vcc_lo, s5
	s_waitcnt vmcnt(2) lgkmcnt(0)
	v_mul_f64 v[18:19], v[12:13], v[14:15]
	v_mul_f64 v[14:15], v[10:11], v[14:15]
	s_waitcnt vmcnt(0)
	v_fma_f64 v[10:11], v[10:11], v[16:17], -v[18:19]
	v_fma_f64 v[12:13], v[12:13], v[16:17], v[14:15]
	v_add_f64 v[3:4], v[3:4], v[10:11]
	v_add_f64 v[1:2], v[1:2], v[12:13]
	s_andn2_b32 exec_lo, exec_lo, s5
	s_cbranch_execnz .LBB42_41
; %bb.42:
	s_or_b32 exec_lo, exec_lo, s5
	v_mov_b32_e32 v7, 0
	ds_read_b128 v[7:10], v7 offset:112
	s_waitcnt lgkmcnt(0)
	v_mul_f64 v[11:12], v[1:2], v[9:10]
	v_mul_f64 v[9:10], v[3:4], v[9:10]
	v_fma_f64 v[3:4], v[3:4], v[7:8], -v[11:12]
	v_fma_f64 v[1:2], v[1:2], v[7:8], v[9:10]
	buffer_store_dword v4, off, s[0:3], 0 offset:132
	buffer_store_dword v3, off, s[0:3], 0 offset:128
	;; [unrolled: 1-line block ×4, first 2 shown]
.LBB42_43:
	s_or_b32 exec_lo, exec_lo, s4
	v_mov_b32_e32 v4, s46
	s_waitcnt_vscnt null, 0x0
	s_barrier
	buffer_gl0_inv
	s_mov_b32 s4, exec_lo
	s_clause 0x3
	buffer_load_dword v1, v4, s[0:3], 0 offen
	buffer_load_dword v2, v4, s[0:3], 0 offen offset:4
	buffer_load_dword v3, v4, s[0:3], 0 offen offset:8
	buffer_load_dword v4, v4, s[0:3], 0 offen offset:12
	s_waitcnt vmcnt(0)
	ds_write_b128 v5, v[1:4]
	s_waitcnt lgkmcnt(0)
	s_barrier
	buffer_gl0_inv
	v_cmpx_gt_u32_e32 8, v0
	s_cbranch_execz .LBB42_47
; %bb.44:
	v_mov_b32_e32 v1, 0
	v_mov_b32_e32 v3, 0
	v_add_nc_u32_e32 v7, -1, v0
	v_add_nc_u32_e32 v8, 0x2b0, v179
	v_mov_b32_e32 v2, 0
	v_mov_b32_e32 v4, 0
	v_add_nc_u32_e32 v9, 16, v179
	s_mov_b32 s5, 0
	.p2align	6
.LBB42_45:                              ; =>This Inner Loop Header: Depth=1
	s_clause 0x3
	buffer_load_dword v14, v9, s[0:3], 0 offen offset:8
	buffer_load_dword v15, v9, s[0:3], 0 offen offset:12
	buffer_load_dword v16, v9, s[0:3], 0 offen
	buffer_load_dword v17, v9, s[0:3], 0 offen offset:4
	ds_read_b128 v[10:13], v8
	v_add_nc_u32_e32 v7, 1, v7
	v_add_nc_u32_e32 v8, 16, v8
	;; [unrolled: 1-line block ×3, first 2 shown]
	v_cmp_lt_u32_e32 vcc_lo, 6, v7
	s_or_b32 s5, vcc_lo, s5
	s_waitcnt vmcnt(2) lgkmcnt(0)
	v_mul_f64 v[18:19], v[12:13], v[14:15]
	v_mul_f64 v[14:15], v[10:11], v[14:15]
	s_waitcnt vmcnt(0)
	v_fma_f64 v[10:11], v[10:11], v[16:17], -v[18:19]
	v_fma_f64 v[12:13], v[12:13], v[16:17], v[14:15]
	v_add_f64 v[3:4], v[3:4], v[10:11]
	v_add_f64 v[1:2], v[1:2], v[12:13]
	s_andn2_b32 exec_lo, exec_lo, s5
	s_cbranch_execnz .LBB42_45
; %bb.46:
	s_or_b32 exec_lo, exec_lo, s5
	v_mov_b32_e32 v7, 0
	ds_read_b128 v[7:10], v7 offset:128
	s_waitcnt lgkmcnt(0)
	v_mul_f64 v[11:12], v[1:2], v[9:10]
	v_mul_f64 v[9:10], v[3:4], v[9:10]
	v_fma_f64 v[3:4], v[3:4], v[7:8], -v[11:12]
	v_fma_f64 v[1:2], v[1:2], v[7:8], v[9:10]
	buffer_store_dword v4, off, s[0:3], 0 offset:148
	buffer_store_dword v3, off, s[0:3], 0 offset:144
	;; [unrolled: 1-line block ×4, first 2 shown]
.LBB42_47:
	s_or_b32 exec_lo, exec_lo, s4
	v_mov_b32_e32 v4, s44
	s_waitcnt_vscnt null, 0x0
	s_barrier
	buffer_gl0_inv
	s_mov_b32 s4, exec_lo
	s_clause 0x3
	buffer_load_dword v1, v4, s[0:3], 0 offen
	buffer_load_dword v2, v4, s[0:3], 0 offen offset:4
	buffer_load_dword v3, v4, s[0:3], 0 offen offset:8
	;; [unrolled: 1-line block ×3, first 2 shown]
	s_waitcnt vmcnt(0)
	ds_write_b128 v5, v[1:4]
	s_waitcnt lgkmcnt(0)
	s_barrier
	buffer_gl0_inv
	v_cmpx_gt_u32_e32 9, v0
	s_cbranch_execz .LBB42_51
; %bb.48:
	v_mov_b32_e32 v1, 0
	v_mov_b32_e32 v3, 0
	v_add_nc_u32_e32 v7, -1, v0
	v_add_nc_u32_e32 v8, 0x2b0, v179
	v_mov_b32_e32 v2, 0
	v_mov_b32_e32 v4, 0
	v_add_nc_u32_e32 v9, 16, v179
	s_mov_b32 s5, 0
	.p2align	6
.LBB42_49:                              ; =>This Inner Loop Header: Depth=1
	s_clause 0x3
	buffer_load_dword v14, v9, s[0:3], 0 offen offset:8
	buffer_load_dword v15, v9, s[0:3], 0 offen offset:12
	buffer_load_dword v16, v9, s[0:3], 0 offen
	buffer_load_dword v17, v9, s[0:3], 0 offen offset:4
	ds_read_b128 v[10:13], v8
	v_add_nc_u32_e32 v7, 1, v7
	v_add_nc_u32_e32 v8, 16, v8
	;; [unrolled: 1-line block ×3, first 2 shown]
	v_cmp_lt_u32_e32 vcc_lo, 7, v7
	s_or_b32 s5, vcc_lo, s5
	s_waitcnt vmcnt(2) lgkmcnt(0)
	v_mul_f64 v[18:19], v[12:13], v[14:15]
	v_mul_f64 v[14:15], v[10:11], v[14:15]
	s_waitcnt vmcnt(0)
	v_fma_f64 v[10:11], v[10:11], v[16:17], -v[18:19]
	v_fma_f64 v[12:13], v[12:13], v[16:17], v[14:15]
	v_add_f64 v[3:4], v[3:4], v[10:11]
	v_add_f64 v[1:2], v[1:2], v[12:13]
	s_andn2_b32 exec_lo, exec_lo, s5
	s_cbranch_execnz .LBB42_49
; %bb.50:
	s_or_b32 exec_lo, exec_lo, s5
	v_mov_b32_e32 v7, 0
	ds_read_b128 v[7:10], v7 offset:144
	s_waitcnt lgkmcnt(0)
	v_mul_f64 v[11:12], v[1:2], v[9:10]
	v_mul_f64 v[9:10], v[3:4], v[9:10]
	v_fma_f64 v[3:4], v[3:4], v[7:8], -v[11:12]
	v_fma_f64 v[1:2], v[1:2], v[7:8], v[9:10]
	buffer_store_dword v4, off, s[0:3], 0 offset:164
	buffer_store_dword v3, off, s[0:3], 0 offset:160
	;; [unrolled: 1-line block ×4, first 2 shown]
.LBB42_51:
	s_or_b32 exec_lo, exec_lo, s4
	v_mov_b32_e32 v4, s42
	s_waitcnt_vscnt null, 0x0
	s_barrier
	buffer_gl0_inv
	s_mov_b32 s4, exec_lo
	s_clause 0x3
	buffer_load_dword v1, v4, s[0:3], 0 offen
	buffer_load_dword v2, v4, s[0:3], 0 offen offset:4
	buffer_load_dword v3, v4, s[0:3], 0 offen offset:8
	;; [unrolled: 1-line block ×3, first 2 shown]
	s_waitcnt vmcnt(0)
	ds_write_b128 v5, v[1:4]
	s_waitcnt lgkmcnt(0)
	s_barrier
	buffer_gl0_inv
	v_cmpx_gt_u32_e32 10, v0
	s_cbranch_execz .LBB42_55
; %bb.52:
	v_mov_b32_e32 v1, 0
	v_mov_b32_e32 v3, 0
	v_add_nc_u32_e32 v7, -1, v0
	v_add_nc_u32_e32 v8, 0x2b0, v179
	v_mov_b32_e32 v2, 0
	v_mov_b32_e32 v4, 0
	v_add_nc_u32_e32 v9, 16, v179
	s_mov_b32 s5, 0
	.p2align	6
.LBB42_53:                              ; =>This Inner Loop Header: Depth=1
	s_clause 0x3
	buffer_load_dword v14, v9, s[0:3], 0 offen offset:8
	buffer_load_dword v15, v9, s[0:3], 0 offen offset:12
	buffer_load_dword v16, v9, s[0:3], 0 offen
	buffer_load_dword v17, v9, s[0:3], 0 offen offset:4
	ds_read_b128 v[10:13], v8
	v_add_nc_u32_e32 v7, 1, v7
	v_add_nc_u32_e32 v8, 16, v8
	;; [unrolled: 1-line block ×3, first 2 shown]
	v_cmp_lt_u32_e32 vcc_lo, 8, v7
	s_or_b32 s5, vcc_lo, s5
	s_waitcnt vmcnt(2) lgkmcnt(0)
	v_mul_f64 v[18:19], v[12:13], v[14:15]
	v_mul_f64 v[14:15], v[10:11], v[14:15]
	s_waitcnt vmcnt(0)
	v_fma_f64 v[10:11], v[10:11], v[16:17], -v[18:19]
	v_fma_f64 v[12:13], v[12:13], v[16:17], v[14:15]
	v_add_f64 v[3:4], v[3:4], v[10:11]
	v_add_f64 v[1:2], v[1:2], v[12:13]
	s_andn2_b32 exec_lo, exec_lo, s5
	s_cbranch_execnz .LBB42_53
; %bb.54:
	s_or_b32 exec_lo, exec_lo, s5
	v_mov_b32_e32 v7, 0
	ds_read_b128 v[7:10], v7 offset:160
	s_waitcnt lgkmcnt(0)
	v_mul_f64 v[11:12], v[1:2], v[9:10]
	v_mul_f64 v[9:10], v[3:4], v[9:10]
	v_fma_f64 v[3:4], v[3:4], v[7:8], -v[11:12]
	v_fma_f64 v[1:2], v[1:2], v[7:8], v[9:10]
	buffer_store_dword v4, off, s[0:3], 0 offset:180
	buffer_store_dword v3, off, s[0:3], 0 offset:176
	;; [unrolled: 1-line block ×4, first 2 shown]
.LBB42_55:
	s_or_b32 exec_lo, exec_lo, s4
	v_mov_b32_e32 v4, s40
	s_waitcnt_vscnt null, 0x0
	s_barrier
	buffer_gl0_inv
	s_mov_b32 s4, exec_lo
	s_clause 0x3
	buffer_load_dword v1, v4, s[0:3], 0 offen
	buffer_load_dword v2, v4, s[0:3], 0 offen offset:4
	buffer_load_dword v3, v4, s[0:3], 0 offen offset:8
	;; [unrolled: 1-line block ×3, first 2 shown]
	s_waitcnt vmcnt(0)
	ds_write_b128 v5, v[1:4]
	s_waitcnt lgkmcnt(0)
	s_barrier
	buffer_gl0_inv
	v_cmpx_gt_u32_e32 11, v0
	s_cbranch_execz .LBB42_59
; %bb.56:
	v_mov_b32_e32 v1, 0
	v_mov_b32_e32 v3, 0
	v_add_nc_u32_e32 v7, -1, v0
	v_add_nc_u32_e32 v8, 0x2b0, v179
	v_mov_b32_e32 v2, 0
	v_mov_b32_e32 v4, 0
	v_add_nc_u32_e32 v9, 16, v179
	s_mov_b32 s5, 0
	.p2align	6
.LBB42_57:                              ; =>This Inner Loop Header: Depth=1
	s_clause 0x3
	buffer_load_dword v14, v9, s[0:3], 0 offen offset:8
	buffer_load_dword v15, v9, s[0:3], 0 offen offset:12
	buffer_load_dword v16, v9, s[0:3], 0 offen
	buffer_load_dword v17, v9, s[0:3], 0 offen offset:4
	ds_read_b128 v[10:13], v8
	v_add_nc_u32_e32 v7, 1, v7
	v_add_nc_u32_e32 v8, 16, v8
	v_add_nc_u32_e32 v9, 16, v9
	v_cmp_lt_u32_e32 vcc_lo, 9, v7
	s_or_b32 s5, vcc_lo, s5
	s_waitcnt vmcnt(2) lgkmcnt(0)
	v_mul_f64 v[18:19], v[12:13], v[14:15]
	v_mul_f64 v[14:15], v[10:11], v[14:15]
	s_waitcnt vmcnt(0)
	v_fma_f64 v[10:11], v[10:11], v[16:17], -v[18:19]
	v_fma_f64 v[12:13], v[12:13], v[16:17], v[14:15]
	v_add_f64 v[3:4], v[3:4], v[10:11]
	v_add_f64 v[1:2], v[1:2], v[12:13]
	s_andn2_b32 exec_lo, exec_lo, s5
	s_cbranch_execnz .LBB42_57
; %bb.58:
	s_or_b32 exec_lo, exec_lo, s5
	v_mov_b32_e32 v7, 0
	ds_read_b128 v[7:10], v7 offset:176
	s_waitcnt lgkmcnt(0)
	v_mul_f64 v[11:12], v[1:2], v[9:10]
	v_mul_f64 v[9:10], v[3:4], v[9:10]
	v_fma_f64 v[3:4], v[3:4], v[7:8], -v[11:12]
	v_fma_f64 v[1:2], v[1:2], v[7:8], v[9:10]
	buffer_store_dword v4, off, s[0:3], 0 offset:196
	buffer_store_dword v3, off, s[0:3], 0 offset:192
	;; [unrolled: 1-line block ×4, first 2 shown]
.LBB42_59:
	s_or_b32 exec_lo, exec_lo, s4
	v_mov_b32_e32 v4, s38
	s_waitcnt_vscnt null, 0x0
	s_barrier
	buffer_gl0_inv
	s_mov_b32 s4, exec_lo
	s_clause 0x3
	buffer_load_dword v1, v4, s[0:3], 0 offen
	buffer_load_dword v2, v4, s[0:3], 0 offen offset:4
	buffer_load_dword v3, v4, s[0:3], 0 offen offset:8
	;; [unrolled: 1-line block ×3, first 2 shown]
	s_waitcnt vmcnt(0)
	ds_write_b128 v5, v[1:4]
	s_waitcnt lgkmcnt(0)
	s_barrier
	buffer_gl0_inv
	v_cmpx_gt_u32_e32 12, v0
	s_cbranch_execz .LBB42_63
; %bb.60:
	v_mov_b32_e32 v1, 0
	v_mov_b32_e32 v3, 0
	v_add_nc_u32_e32 v7, -1, v0
	v_add_nc_u32_e32 v8, 0x2b0, v179
	v_mov_b32_e32 v2, 0
	v_mov_b32_e32 v4, 0
	v_add_nc_u32_e32 v9, 16, v179
	s_mov_b32 s5, 0
	.p2align	6
.LBB42_61:                              ; =>This Inner Loop Header: Depth=1
	s_clause 0x3
	buffer_load_dword v14, v9, s[0:3], 0 offen offset:8
	buffer_load_dword v15, v9, s[0:3], 0 offen offset:12
	buffer_load_dword v16, v9, s[0:3], 0 offen
	buffer_load_dword v17, v9, s[0:3], 0 offen offset:4
	ds_read_b128 v[10:13], v8
	v_add_nc_u32_e32 v7, 1, v7
	v_add_nc_u32_e32 v8, 16, v8
	;; [unrolled: 1-line block ×3, first 2 shown]
	v_cmp_lt_u32_e32 vcc_lo, 10, v7
	s_or_b32 s5, vcc_lo, s5
	s_waitcnt vmcnt(2) lgkmcnt(0)
	v_mul_f64 v[18:19], v[12:13], v[14:15]
	v_mul_f64 v[14:15], v[10:11], v[14:15]
	s_waitcnt vmcnt(0)
	v_fma_f64 v[10:11], v[10:11], v[16:17], -v[18:19]
	v_fma_f64 v[12:13], v[12:13], v[16:17], v[14:15]
	v_add_f64 v[3:4], v[3:4], v[10:11]
	v_add_f64 v[1:2], v[1:2], v[12:13]
	s_andn2_b32 exec_lo, exec_lo, s5
	s_cbranch_execnz .LBB42_61
; %bb.62:
	s_or_b32 exec_lo, exec_lo, s5
	v_mov_b32_e32 v7, 0
	ds_read_b128 v[7:10], v7 offset:192
	s_waitcnt lgkmcnt(0)
	v_mul_f64 v[11:12], v[1:2], v[9:10]
	v_mul_f64 v[9:10], v[3:4], v[9:10]
	v_fma_f64 v[3:4], v[3:4], v[7:8], -v[11:12]
	v_fma_f64 v[1:2], v[1:2], v[7:8], v[9:10]
	buffer_store_dword v4, off, s[0:3], 0 offset:212
	buffer_store_dword v3, off, s[0:3], 0 offset:208
	;; [unrolled: 1-line block ×4, first 2 shown]
.LBB42_63:
	s_or_b32 exec_lo, exec_lo, s4
	v_mov_b32_e32 v4, s36
	s_waitcnt_vscnt null, 0x0
	s_barrier
	buffer_gl0_inv
	s_mov_b32 s4, exec_lo
	s_clause 0x3
	buffer_load_dword v1, v4, s[0:3], 0 offen
	buffer_load_dword v2, v4, s[0:3], 0 offen offset:4
	buffer_load_dword v3, v4, s[0:3], 0 offen offset:8
	;; [unrolled: 1-line block ×3, first 2 shown]
	s_waitcnt vmcnt(0)
	ds_write_b128 v5, v[1:4]
	s_waitcnt lgkmcnt(0)
	s_barrier
	buffer_gl0_inv
	v_cmpx_gt_u32_e32 13, v0
	s_cbranch_execz .LBB42_67
; %bb.64:
	v_mov_b32_e32 v1, 0
	v_mov_b32_e32 v3, 0
	v_add_nc_u32_e32 v7, -1, v0
	v_add_nc_u32_e32 v8, 0x2b0, v179
	v_mov_b32_e32 v2, 0
	v_mov_b32_e32 v4, 0
	v_add_nc_u32_e32 v9, 16, v179
	s_mov_b32 s5, 0
	.p2align	6
.LBB42_65:                              ; =>This Inner Loop Header: Depth=1
	s_clause 0x3
	buffer_load_dword v14, v9, s[0:3], 0 offen offset:8
	buffer_load_dword v15, v9, s[0:3], 0 offen offset:12
	buffer_load_dword v16, v9, s[0:3], 0 offen
	buffer_load_dword v17, v9, s[0:3], 0 offen offset:4
	ds_read_b128 v[10:13], v8
	v_add_nc_u32_e32 v7, 1, v7
	v_add_nc_u32_e32 v8, 16, v8
	v_add_nc_u32_e32 v9, 16, v9
	v_cmp_lt_u32_e32 vcc_lo, 11, v7
	s_or_b32 s5, vcc_lo, s5
	s_waitcnt vmcnt(2) lgkmcnt(0)
	v_mul_f64 v[18:19], v[12:13], v[14:15]
	v_mul_f64 v[14:15], v[10:11], v[14:15]
	s_waitcnt vmcnt(0)
	v_fma_f64 v[10:11], v[10:11], v[16:17], -v[18:19]
	v_fma_f64 v[12:13], v[12:13], v[16:17], v[14:15]
	v_add_f64 v[3:4], v[3:4], v[10:11]
	v_add_f64 v[1:2], v[1:2], v[12:13]
	s_andn2_b32 exec_lo, exec_lo, s5
	s_cbranch_execnz .LBB42_65
; %bb.66:
	s_or_b32 exec_lo, exec_lo, s5
	v_mov_b32_e32 v7, 0
	ds_read_b128 v[7:10], v7 offset:208
	s_waitcnt lgkmcnt(0)
	v_mul_f64 v[11:12], v[1:2], v[9:10]
	v_mul_f64 v[9:10], v[3:4], v[9:10]
	v_fma_f64 v[3:4], v[3:4], v[7:8], -v[11:12]
	v_fma_f64 v[1:2], v[1:2], v[7:8], v[9:10]
	buffer_store_dword v4, off, s[0:3], 0 offset:228
	buffer_store_dword v3, off, s[0:3], 0 offset:224
	;; [unrolled: 1-line block ×4, first 2 shown]
.LBB42_67:
	s_or_b32 exec_lo, exec_lo, s4
	v_mov_b32_e32 v4, s34
	s_waitcnt_vscnt null, 0x0
	s_barrier
	buffer_gl0_inv
	s_mov_b32 s4, exec_lo
	s_clause 0x3
	buffer_load_dword v1, v4, s[0:3], 0 offen
	buffer_load_dword v2, v4, s[0:3], 0 offen offset:4
	buffer_load_dword v3, v4, s[0:3], 0 offen offset:8
	buffer_load_dword v4, v4, s[0:3], 0 offen offset:12
	s_waitcnt vmcnt(0)
	ds_write_b128 v5, v[1:4]
	s_waitcnt lgkmcnt(0)
	s_barrier
	buffer_gl0_inv
	v_cmpx_gt_u32_e32 14, v0
	s_cbranch_execz .LBB42_71
; %bb.68:
	v_mov_b32_e32 v1, 0
	v_mov_b32_e32 v3, 0
	v_add_nc_u32_e32 v7, -1, v0
	v_add_nc_u32_e32 v8, 0x2b0, v179
	v_mov_b32_e32 v2, 0
	v_mov_b32_e32 v4, 0
	v_add_nc_u32_e32 v9, 16, v179
	s_mov_b32 s5, 0
	.p2align	6
.LBB42_69:                              ; =>This Inner Loop Header: Depth=1
	s_clause 0x3
	buffer_load_dword v14, v9, s[0:3], 0 offen offset:8
	buffer_load_dword v15, v9, s[0:3], 0 offen offset:12
	buffer_load_dword v16, v9, s[0:3], 0 offen
	buffer_load_dword v17, v9, s[0:3], 0 offen offset:4
	ds_read_b128 v[10:13], v8
	v_add_nc_u32_e32 v7, 1, v7
	v_add_nc_u32_e32 v8, 16, v8
	;; [unrolled: 1-line block ×3, first 2 shown]
	v_cmp_lt_u32_e32 vcc_lo, 12, v7
	s_or_b32 s5, vcc_lo, s5
	s_waitcnt vmcnt(2) lgkmcnt(0)
	v_mul_f64 v[18:19], v[12:13], v[14:15]
	v_mul_f64 v[14:15], v[10:11], v[14:15]
	s_waitcnt vmcnt(0)
	v_fma_f64 v[10:11], v[10:11], v[16:17], -v[18:19]
	v_fma_f64 v[12:13], v[12:13], v[16:17], v[14:15]
	v_add_f64 v[3:4], v[3:4], v[10:11]
	v_add_f64 v[1:2], v[1:2], v[12:13]
	s_andn2_b32 exec_lo, exec_lo, s5
	s_cbranch_execnz .LBB42_69
; %bb.70:
	s_or_b32 exec_lo, exec_lo, s5
	v_mov_b32_e32 v7, 0
	ds_read_b128 v[7:10], v7 offset:224
	s_waitcnt lgkmcnt(0)
	v_mul_f64 v[11:12], v[1:2], v[9:10]
	v_mul_f64 v[9:10], v[3:4], v[9:10]
	v_fma_f64 v[3:4], v[3:4], v[7:8], -v[11:12]
	v_fma_f64 v[1:2], v[1:2], v[7:8], v[9:10]
	buffer_store_dword v4, off, s[0:3], 0 offset:244
	buffer_store_dword v3, off, s[0:3], 0 offset:240
	;; [unrolled: 1-line block ×4, first 2 shown]
.LBB42_71:
	s_or_b32 exec_lo, exec_lo, s4
	v_mov_b32_e32 v4, s30
	s_waitcnt_vscnt null, 0x0
	s_barrier
	buffer_gl0_inv
	s_mov_b32 s4, exec_lo
	s_clause 0x3
	buffer_load_dword v1, v4, s[0:3], 0 offen
	buffer_load_dword v2, v4, s[0:3], 0 offen offset:4
	buffer_load_dword v3, v4, s[0:3], 0 offen offset:8
	;; [unrolled: 1-line block ×3, first 2 shown]
	s_waitcnt vmcnt(0)
	ds_write_b128 v5, v[1:4]
	s_waitcnt lgkmcnt(0)
	s_barrier
	buffer_gl0_inv
	v_cmpx_gt_u32_e32 15, v0
	s_cbranch_execz .LBB42_75
; %bb.72:
	v_mov_b32_e32 v1, 0
	v_mov_b32_e32 v3, 0
	v_add_nc_u32_e32 v7, -1, v0
	v_add_nc_u32_e32 v8, 0x2b0, v179
	v_mov_b32_e32 v2, 0
	v_mov_b32_e32 v4, 0
	v_add_nc_u32_e32 v9, 16, v179
	s_mov_b32 s5, 0
	.p2align	6
.LBB42_73:                              ; =>This Inner Loop Header: Depth=1
	s_clause 0x3
	buffer_load_dword v14, v9, s[0:3], 0 offen offset:8
	buffer_load_dword v15, v9, s[0:3], 0 offen offset:12
	buffer_load_dword v16, v9, s[0:3], 0 offen
	buffer_load_dword v17, v9, s[0:3], 0 offen offset:4
	ds_read_b128 v[10:13], v8
	v_add_nc_u32_e32 v7, 1, v7
	v_add_nc_u32_e32 v8, 16, v8
	;; [unrolled: 1-line block ×3, first 2 shown]
	v_cmp_lt_u32_e32 vcc_lo, 13, v7
	s_or_b32 s5, vcc_lo, s5
	s_waitcnt vmcnt(2) lgkmcnt(0)
	v_mul_f64 v[18:19], v[12:13], v[14:15]
	v_mul_f64 v[14:15], v[10:11], v[14:15]
	s_waitcnt vmcnt(0)
	v_fma_f64 v[10:11], v[10:11], v[16:17], -v[18:19]
	v_fma_f64 v[12:13], v[12:13], v[16:17], v[14:15]
	v_add_f64 v[3:4], v[3:4], v[10:11]
	v_add_f64 v[1:2], v[1:2], v[12:13]
	s_andn2_b32 exec_lo, exec_lo, s5
	s_cbranch_execnz .LBB42_73
; %bb.74:
	s_or_b32 exec_lo, exec_lo, s5
	v_mov_b32_e32 v7, 0
	ds_read_b128 v[7:10], v7 offset:240
	s_waitcnt lgkmcnt(0)
	v_mul_f64 v[11:12], v[1:2], v[9:10]
	v_mul_f64 v[9:10], v[3:4], v[9:10]
	v_fma_f64 v[3:4], v[3:4], v[7:8], -v[11:12]
	v_fma_f64 v[1:2], v[1:2], v[7:8], v[9:10]
	buffer_store_dword v4, off, s[0:3], 0 offset:260
	buffer_store_dword v3, off, s[0:3], 0 offset:256
	;; [unrolled: 1-line block ×4, first 2 shown]
.LBB42_75:
	s_or_b32 exec_lo, exec_lo, s4
	v_mov_b32_e32 v4, s28
	s_waitcnt_vscnt null, 0x0
	s_barrier
	buffer_gl0_inv
	s_mov_b32 s4, exec_lo
	s_clause 0x3
	buffer_load_dword v1, v4, s[0:3], 0 offen
	buffer_load_dword v2, v4, s[0:3], 0 offen offset:4
	buffer_load_dword v3, v4, s[0:3], 0 offen offset:8
	;; [unrolled: 1-line block ×3, first 2 shown]
	s_waitcnt vmcnt(0)
	ds_write_b128 v5, v[1:4]
	s_waitcnt lgkmcnt(0)
	s_barrier
	buffer_gl0_inv
	v_cmpx_gt_u32_e32 16, v0
	s_cbranch_execz .LBB42_79
; %bb.76:
	v_mov_b32_e32 v1, 0
	v_mov_b32_e32 v3, 0
	v_add_nc_u32_e32 v7, -1, v0
	v_add_nc_u32_e32 v8, 0x2b0, v179
	v_mov_b32_e32 v2, 0
	v_mov_b32_e32 v4, 0
	v_add_nc_u32_e32 v9, 16, v179
	s_mov_b32 s5, 0
	.p2align	6
.LBB42_77:                              ; =>This Inner Loop Header: Depth=1
	s_clause 0x3
	buffer_load_dword v14, v9, s[0:3], 0 offen offset:8
	buffer_load_dword v15, v9, s[0:3], 0 offen offset:12
	buffer_load_dword v16, v9, s[0:3], 0 offen
	buffer_load_dword v17, v9, s[0:3], 0 offen offset:4
	ds_read_b128 v[10:13], v8
	v_add_nc_u32_e32 v7, 1, v7
	v_add_nc_u32_e32 v8, 16, v8
	;; [unrolled: 1-line block ×3, first 2 shown]
	v_cmp_lt_u32_e32 vcc_lo, 14, v7
	s_or_b32 s5, vcc_lo, s5
	s_waitcnt vmcnt(2) lgkmcnt(0)
	v_mul_f64 v[18:19], v[12:13], v[14:15]
	v_mul_f64 v[14:15], v[10:11], v[14:15]
	s_waitcnt vmcnt(0)
	v_fma_f64 v[10:11], v[10:11], v[16:17], -v[18:19]
	v_fma_f64 v[12:13], v[12:13], v[16:17], v[14:15]
	v_add_f64 v[3:4], v[3:4], v[10:11]
	v_add_f64 v[1:2], v[1:2], v[12:13]
	s_andn2_b32 exec_lo, exec_lo, s5
	s_cbranch_execnz .LBB42_77
; %bb.78:
	s_or_b32 exec_lo, exec_lo, s5
	v_mov_b32_e32 v7, 0
	ds_read_b128 v[7:10], v7 offset:256
	s_waitcnt lgkmcnt(0)
	v_mul_f64 v[11:12], v[1:2], v[9:10]
	v_mul_f64 v[9:10], v[3:4], v[9:10]
	v_fma_f64 v[3:4], v[3:4], v[7:8], -v[11:12]
	v_fma_f64 v[1:2], v[1:2], v[7:8], v[9:10]
	buffer_store_dword v4, off, s[0:3], 0 offset:276
	buffer_store_dword v3, off, s[0:3], 0 offset:272
	;; [unrolled: 1-line block ×4, first 2 shown]
.LBB42_79:
	s_or_b32 exec_lo, exec_lo, s4
	v_mov_b32_e32 v4, s26
	s_waitcnt_vscnt null, 0x0
	s_barrier
	buffer_gl0_inv
	s_mov_b32 s4, exec_lo
	s_clause 0x3
	buffer_load_dword v1, v4, s[0:3], 0 offen
	buffer_load_dword v2, v4, s[0:3], 0 offen offset:4
	buffer_load_dword v3, v4, s[0:3], 0 offen offset:8
	;; [unrolled: 1-line block ×3, first 2 shown]
	s_waitcnt vmcnt(0)
	ds_write_b128 v5, v[1:4]
	s_waitcnt lgkmcnt(0)
	s_barrier
	buffer_gl0_inv
	v_cmpx_gt_u32_e32 17, v0
	s_cbranch_execz .LBB42_83
; %bb.80:
	v_mov_b32_e32 v1, 0
	v_mov_b32_e32 v3, 0
	v_add_nc_u32_e32 v7, -1, v0
	v_add_nc_u32_e32 v8, 0x2b0, v179
	v_mov_b32_e32 v2, 0
	v_mov_b32_e32 v4, 0
	v_add_nc_u32_e32 v9, 16, v179
	s_mov_b32 s5, 0
	.p2align	6
.LBB42_81:                              ; =>This Inner Loop Header: Depth=1
	s_clause 0x3
	buffer_load_dword v14, v9, s[0:3], 0 offen offset:8
	buffer_load_dword v15, v9, s[0:3], 0 offen offset:12
	buffer_load_dword v16, v9, s[0:3], 0 offen
	buffer_load_dword v17, v9, s[0:3], 0 offen offset:4
	ds_read_b128 v[10:13], v8
	v_add_nc_u32_e32 v7, 1, v7
	v_add_nc_u32_e32 v8, 16, v8
	;; [unrolled: 1-line block ×3, first 2 shown]
	v_cmp_lt_u32_e32 vcc_lo, 15, v7
	s_or_b32 s5, vcc_lo, s5
	s_waitcnt vmcnt(2) lgkmcnt(0)
	v_mul_f64 v[18:19], v[12:13], v[14:15]
	v_mul_f64 v[14:15], v[10:11], v[14:15]
	s_waitcnt vmcnt(0)
	v_fma_f64 v[10:11], v[10:11], v[16:17], -v[18:19]
	v_fma_f64 v[12:13], v[12:13], v[16:17], v[14:15]
	v_add_f64 v[3:4], v[3:4], v[10:11]
	v_add_f64 v[1:2], v[1:2], v[12:13]
	s_andn2_b32 exec_lo, exec_lo, s5
	s_cbranch_execnz .LBB42_81
; %bb.82:
	s_or_b32 exec_lo, exec_lo, s5
	v_mov_b32_e32 v7, 0
	ds_read_b128 v[7:10], v7 offset:272
	s_waitcnt lgkmcnt(0)
	v_mul_f64 v[11:12], v[1:2], v[9:10]
	v_mul_f64 v[9:10], v[3:4], v[9:10]
	v_fma_f64 v[3:4], v[3:4], v[7:8], -v[11:12]
	v_fma_f64 v[1:2], v[1:2], v[7:8], v[9:10]
	buffer_store_dword v4, off, s[0:3], 0 offset:292
	buffer_store_dword v3, off, s[0:3], 0 offset:288
	;; [unrolled: 1-line block ×4, first 2 shown]
.LBB42_83:
	s_or_b32 exec_lo, exec_lo, s4
	v_mov_b32_e32 v4, s24
	s_waitcnt_vscnt null, 0x0
	s_barrier
	buffer_gl0_inv
	s_mov_b32 s4, exec_lo
	s_clause 0x3
	buffer_load_dword v1, v4, s[0:3], 0 offen
	buffer_load_dword v2, v4, s[0:3], 0 offen offset:4
	buffer_load_dword v3, v4, s[0:3], 0 offen offset:8
	;; [unrolled: 1-line block ×3, first 2 shown]
	s_waitcnt vmcnt(0)
	ds_write_b128 v5, v[1:4]
	s_waitcnt lgkmcnt(0)
	s_barrier
	buffer_gl0_inv
	v_cmpx_gt_u32_e32 18, v0
	s_cbranch_execz .LBB42_87
; %bb.84:
	v_mov_b32_e32 v1, 0
	v_mov_b32_e32 v3, 0
	v_add_nc_u32_e32 v7, -1, v0
	v_add_nc_u32_e32 v8, 0x2b0, v179
	v_mov_b32_e32 v2, 0
	v_mov_b32_e32 v4, 0
	v_add_nc_u32_e32 v9, 16, v179
	s_mov_b32 s5, 0
	.p2align	6
.LBB42_85:                              ; =>This Inner Loop Header: Depth=1
	s_clause 0x3
	buffer_load_dword v14, v9, s[0:3], 0 offen offset:8
	buffer_load_dword v15, v9, s[0:3], 0 offen offset:12
	buffer_load_dword v16, v9, s[0:3], 0 offen
	buffer_load_dword v17, v9, s[0:3], 0 offen offset:4
	ds_read_b128 v[10:13], v8
	v_add_nc_u32_e32 v7, 1, v7
	v_add_nc_u32_e32 v8, 16, v8
	;; [unrolled: 1-line block ×3, first 2 shown]
	v_cmp_lt_u32_e32 vcc_lo, 16, v7
	s_or_b32 s5, vcc_lo, s5
	s_waitcnt vmcnt(2) lgkmcnt(0)
	v_mul_f64 v[18:19], v[12:13], v[14:15]
	v_mul_f64 v[14:15], v[10:11], v[14:15]
	s_waitcnt vmcnt(0)
	v_fma_f64 v[10:11], v[10:11], v[16:17], -v[18:19]
	v_fma_f64 v[12:13], v[12:13], v[16:17], v[14:15]
	v_add_f64 v[3:4], v[3:4], v[10:11]
	v_add_f64 v[1:2], v[1:2], v[12:13]
	s_andn2_b32 exec_lo, exec_lo, s5
	s_cbranch_execnz .LBB42_85
; %bb.86:
	s_or_b32 exec_lo, exec_lo, s5
	v_mov_b32_e32 v7, 0
	ds_read_b128 v[7:10], v7 offset:288
	s_waitcnt lgkmcnt(0)
	v_mul_f64 v[11:12], v[1:2], v[9:10]
	v_mul_f64 v[9:10], v[3:4], v[9:10]
	v_fma_f64 v[3:4], v[3:4], v[7:8], -v[11:12]
	v_fma_f64 v[1:2], v[1:2], v[7:8], v[9:10]
	buffer_store_dword v4, off, s[0:3], 0 offset:308
	buffer_store_dword v3, off, s[0:3], 0 offset:304
	;; [unrolled: 1-line block ×4, first 2 shown]
.LBB42_87:
	s_or_b32 exec_lo, exec_lo, s4
	v_mov_b32_e32 v4, s47
	s_waitcnt_vscnt null, 0x0
	s_barrier
	buffer_gl0_inv
	s_mov_b32 s4, exec_lo
	s_clause 0x3
	buffer_load_dword v1, v4, s[0:3], 0 offen
	buffer_load_dword v2, v4, s[0:3], 0 offen offset:4
	buffer_load_dword v3, v4, s[0:3], 0 offen offset:8
	;; [unrolled: 1-line block ×3, first 2 shown]
	s_waitcnt vmcnt(0)
	ds_write_b128 v5, v[1:4]
	s_waitcnt lgkmcnt(0)
	s_barrier
	buffer_gl0_inv
	v_cmpx_gt_u32_e32 19, v0
	s_cbranch_execz .LBB42_91
; %bb.88:
	v_mov_b32_e32 v1, 0
	v_mov_b32_e32 v3, 0
	v_add_nc_u32_e32 v7, -1, v0
	v_add_nc_u32_e32 v8, 0x2b0, v179
	v_mov_b32_e32 v2, 0
	v_mov_b32_e32 v4, 0
	v_add_nc_u32_e32 v9, 16, v179
	s_mov_b32 s5, 0
	.p2align	6
.LBB42_89:                              ; =>This Inner Loop Header: Depth=1
	s_clause 0x3
	buffer_load_dword v14, v9, s[0:3], 0 offen offset:8
	buffer_load_dword v15, v9, s[0:3], 0 offen offset:12
	buffer_load_dword v16, v9, s[0:3], 0 offen
	buffer_load_dword v17, v9, s[0:3], 0 offen offset:4
	ds_read_b128 v[10:13], v8
	v_add_nc_u32_e32 v7, 1, v7
	v_add_nc_u32_e32 v8, 16, v8
	;; [unrolled: 1-line block ×3, first 2 shown]
	v_cmp_lt_u32_e32 vcc_lo, 17, v7
	s_or_b32 s5, vcc_lo, s5
	s_waitcnt vmcnt(2) lgkmcnt(0)
	v_mul_f64 v[18:19], v[12:13], v[14:15]
	v_mul_f64 v[14:15], v[10:11], v[14:15]
	s_waitcnt vmcnt(0)
	v_fma_f64 v[10:11], v[10:11], v[16:17], -v[18:19]
	v_fma_f64 v[12:13], v[12:13], v[16:17], v[14:15]
	v_add_f64 v[3:4], v[3:4], v[10:11]
	v_add_f64 v[1:2], v[1:2], v[12:13]
	s_andn2_b32 exec_lo, exec_lo, s5
	s_cbranch_execnz .LBB42_89
; %bb.90:
	s_or_b32 exec_lo, exec_lo, s5
	v_mov_b32_e32 v7, 0
	ds_read_b128 v[7:10], v7 offset:304
	s_waitcnt lgkmcnt(0)
	v_mul_f64 v[11:12], v[1:2], v[9:10]
	v_mul_f64 v[9:10], v[3:4], v[9:10]
	v_fma_f64 v[3:4], v[3:4], v[7:8], -v[11:12]
	v_fma_f64 v[1:2], v[1:2], v[7:8], v[9:10]
	buffer_store_dword v4, off, s[0:3], 0 offset:324
	buffer_store_dword v3, off, s[0:3], 0 offset:320
	;; [unrolled: 1-line block ×4, first 2 shown]
.LBB42_91:
	s_or_b32 exec_lo, exec_lo, s4
	v_mov_b32_e32 v4, s45
	s_waitcnt_vscnt null, 0x0
	s_barrier
	buffer_gl0_inv
	s_mov_b32 s4, exec_lo
	s_clause 0x3
	buffer_load_dword v1, v4, s[0:3], 0 offen
	buffer_load_dword v2, v4, s[0:3], 0 offen offset:4
	buffer_load_dword v3, v4, s[0:3], 0 offen offset:8
	;; [unrolled: 1-line block ×3, first 2 shown]
	s_waitcnt vmcnt(0)
	ds_write_b128 v5, v[1:4]
	s_waitcnt lgkmcnt(0)
	s_barrier
	buffer_gl0_inv
	v_cmpx_gt_u32_e32 20, v0
	s_cbranch_execz .LBB42_95
; %bb.92:
	v_mov_b32_e32 v1, 0
	v_mov_b32_e32 v3, 0
	v_add_nc_u32_e32 v7, -1, v0
	v_add_nc_u32_e32 v8, 0x2b0, v179
	v_mov_b32_e32 v2, 0
	v_mov_b32_e32 v4, 0
	v_add_nc_u32_e32 v9, 16, v179
	s_mov_b32 s5, 0
	.p2align	6
.LBB42_93:                              ; =>This Inner Loop Header: Depth=1
	s_clause 0x3
	buffer_load_dword v14, v9, s[0:3], 0 offen offset:8
	buffer_load_dword v15, v9, s[0:3], 0 offen offset:12
	buffer_load_dword v16, v9, s[0:3], 0 offen
	buffer_load_dword v17, v9, s[0:3], 0 offen offset:4
	ds_read_b128 v[10:13], v8
	v_add_nc_u32_e32 v7, 1, v7
	v_add_nc_u32_e32 v8, 16, v8
	;; [unrolled: 1-line block ×3, first 2 shown]
	v_cmp_lt_u32_e32 vcc_lo, 18, v7
	s_or_b32 s5, vcc_lo, s5
	s_waitcnt vmcnt(2) lgkmcnt(0)
	v_mul_f64 v[18:19], v[12:13], v[14:15]
	v_mul_f64 v[14:15], v[10:11], v[14:15]
	s_waitcnt vmcnt(0)
	v_fma_f64 v[10:11], v[10:11], v[16:17], -v[18:19]
	v_fma_f64 v[12:13], v[12:13], v[16:17], v[14:15]
	v_add_f64 v[3:4], v[3:4], v[10:11]
	v_add_f64 v[1:2], v[1:2], v[12:13]
	s_andn2_b32 exec_lo, exec_lo, s5
	s_cbranch_execnz .LBB42_93
; %bb.94:
	s_or_b32 exec_lo, exec_lo, s5
	v_mov_b32_e32 v7, 0
	ds_read_b128 v[7:10], v7 offset:320
	s_waitcnt lgkmcnt(0)
	v_mul_f64 v[11:12], v[1:2], v[9:10]
	v_mul_f64 v[9:10], v[3:4], v[9:10]
	v_fma_f64 v[3:4], v[3:4], v[7:8], -v[11:12]
	v_fma_f64 v[1:2], v[1:2], v[7:8], v[9:10]
	buffer_store_dword v4, off, s[0:3], 0 offset:340
	buffer_store_dword v3, off, s[0:3], 0 offset:336
	buffer_store_dword v2, off, s[0:3], 0 offset:348
	buffer_store_dword v1, off, s[0:3], 0 offset:344
.LBB42_95:
	s_or_b32 exec_lo, exec_lo, s4
	v_mov_b32_e32 v4, s43
	s_waitcnt_vscnt null, 0x0
	s_barrier
	buffer_gl0_inv
	s_mov_b32 s4, exec_lo
	s_clause 0x3
	buffer_load_dword v1, v4, s[0:3], 0 offen
	buffer_load_dword v2, v4, s[0:3], 0 offen offset:4
	buffer_load_dword v3, v4, s[0:3], 0 offen offset:8
	;; [unrolled: 1-line block ×3, first 2 shown]
	s_waitcnt vmcnt(0)
	ds_write_b128 v5, v[1:4]
	s_waitcnt lgkmcnt(0)
	s_barrier
	buffer_gl0_inv
	v_cmpx_gt_u32_e32 21, v0
	s_cbranch_execz .LBB42_99
; %bb.96:
	v_mov_b32_e32 v1, 0
	v_mov_b32_e32 v3, 0
	v_add_nc_u32_e32 v7, -1, v0
	v_add_nc_u32_e32 v8, 0x2b0, v179
	v_mov_b32_e32 v2, 0
	v_mov_b32_e32 v4, 0
	v_add_nc_u32_e32 v9, 16, v179
	s_mov_b32 s5, 0
	.p2align	6
.LBB42_97:                              ; =>This Inner Loop Header: Depth=1
	s_clause 0x3
	buffer_load_dword v14, v9, s[0:3], 0 offen offset:8
	buffer_load_dword v15, v9, s[0:3], 0 offen offset:12
	buffer_load_dword v16, v9, s[0:3], 0 offen
	buffer_load_dword v17, v9, s[0:3], 0 offen offset:4
	ds_read_b128 v[10:13], v8
	v_add_nc_u32_e32 v7, 1, v7
	v_add_nc_u32_e32 v8, 16, v8
	;; [unrolled: 1-line block ×3, first 2 shown]
	v_cmp_lt_u32_e32 vcc_lo, 19, v7
	s_or_b32 s5, vcc_lo, s5
	s_waitcnt vmcnt(2) lgkmcnt(0)
	v_mul_f64 v[18:19], v[12:13], v[14:15]
	v_mul_f64 v[14:15], v[10:11], v[14:15]
	s_waitcnt vmcnt(0)
	v_fma_f64 v[10:11], v[10:11], v[16:17], -v[18:19]
	v_fma_f64 v[12:13], v[12:13], v[16:17], v[14:15]
	v_add_f64 v[3:4], v[3:4], v[10:11]
	v_add_f64 v[1:2], v[1:2], v[12:13]
	s_andn2_b32 exec_lo, exec_lo, s5
	s_cbranch_execnz .LBB42_97
; %bb.98:
	s_or_b32 exec_lo, exec_lo, s5
	v_mov_b32_e32 v7, 0
	ds_read_b128 v[7:10], v7 offset:336
	s_waitcnt lgkmcnt(0)
	v_mul_f64 v[11:12], v[1:2], v[9:10]
	v_mul_f64 v[9:10], v[3:4], v[9:10]
	v_fma_f64 v[3:4], v[3:4], v[7:8], -v[11:12]
	v_fma_f64 v[1:2], v[1:2], v[7:8], v[9:10]
	buffer_store_dword v4, off, s[0:3], 0 offset:356
	buffer_store_dword v3, off, s[0:3], 0 offset:352
	;; [unrolled: 1-line block ×4, first 2 shown]
.LBB42_99:
	s_or_b32 exec_lo, exec_lo, s4
	v_mov_b32_e32 v4, s41
	s_waitcnt_vscnt null, 0x0
	s_barrier
	buffer_gl0_inv
	s_mov_b32 s4, exec_lo
	s_clause 0x3
	buffer_load_dword v1, v4, s[0:3], 0 offen
	buffer_load_dword v2, v4, s[0:3], 0 offen offset:4
	buffer_load_dword v3, v4, s[0:3], 0 offen offset:8
	buffer_load_dword v4, v4, s[0:3], 0 offen offset:12
	s_waitcnt vmcnt(0)
	ds_write_b128 v5, v[1:4]
	s_waitcnt lgkmcnt(0)
	s_barrier
	buffer_gl0_inv
	v_cmpx_gt_u32_e32 22, v0
	s_cbranch_execz .LBB42_103
; %bb.100:
	v_mov_b32_e32 v1, 0
	v_mov_b32_e32 v3, 0
	v_add_nc_u32_e32 v7, -1, v0
	v_add_nc_u32_e32 v8, 0x2b0, v179
	v_mov_b32_e32 v2, 0
	v_mov_b32_e32 v4, 0
	v_add_nc_u32_e32 v9, 16, v179
	s_mov_b32 s5, 0
	.p2align	6
.LBB42_101:                             ; =>This Inner Loop Header: Depth=1
	s_clause 0x3
	buffer_load_dword v14, v9, s[0:3], 0 offen offset:8
	buffer_load_dword v15, v9, s[0:3], 0 offen offset:12
	buffer_load_dword v16, v9, s[0:3], 0 offen
	buffer_load_dword v17, v9, s[0:3], 0 offen offset:4
	ds_read_b128 v[10:13], v8
	v_add_nc_u32_e32 v7, 1, v7
	v_add_nc_u32_e32 v8, 16, v8
	;; [unrolled: 1-line block ×3, first 2 shown]
	v_cmp_lt_u32_e32 vcc_lo, 20, v7
	s_or_b32 s5, vcc_lo, s5
	s_waitcnt vmcnt(2) lgkmcnt(0)
	v_mul_f64 v[18:19], v[12:13], v[14:15]
	v_mul_f64 v[14:15], v[10:11], v[14:15]
	s_waitcnt vmcnt(0)
	v_fma_f64 v[10:11], v[10:11], v[16:17], -v[18:19]
	v_fma_f64 v[12:13], v[12:13], v[16:17], v[14:15]
	v_add_f64 v[3:4], v[3:4], v[10:11]
	v_add_f64 v[1:2], v[1:2], v[12:13]
	s_andn2_b32 exec_lo, exec_lo, s5
	s_cbranch_execnz .LBB42_101
; %bb.102:
	s_or_b32 exec_lo, exec_lo, s5
	v_mov_b32_e32 v7, 0
	ds_read_b128 v[7:10], v7 offset:352
	s_waitcnt lgkmcnt(0)
	v_mul_f64 v[11:12], v[1:2], v[9:10]
	v_mul_f64 v[9:10], v[3:4], v[9:10]
	v_fma_f64 v[3:4], v[3:4], v[7:8], -v[11:12]
	v_fma_f64 v[1:2], v[1:2], v[7:8], v[9:10]
	buffer_store_dword v4, off, s[0:3], 0 offset:372
	buffer_store_dword v3, off, s[0:3], 0 offset:368
	buffer_store_dword v2, off, s[0:3], 0 offset:380
	buffer_store_dword v1, off, s[0:3], 0 offset:376
.LBB42_103:
	s_or_b32 exec_lo, exec_lo, s4
	v_mov_b32_e32 v4, s39
	s_waitcnt_vscnt null, 0x0
	s_barrier
	buffer_gl0_inv
	s_mov_b32 s4, exec_lo
	s_clause 0x3
	buffer_load_dword v1, v4, s[0:3], 0 offen
	buffer_load_dword v2, v4, s[0:3], 0 offen offset:4
	buffer_load_dword v3, v4, s[0:3], 0 offen offset:8
	;; [unrolled: 1-line block ×3, first 2 shown]
	s_waitcnt vmcnt(0)
	ds_write_b128 v5, v[1:4]
	s_waitcnt lgkmcnt(0)
	s_barrier
	buffer_gl0_inv
	v_cmpx_gt_u32_e32 23, v0
	s_cbranch_execz .LBB42_107
; %bb.104:
	v_mov_b32_e32 v1, 0
	v_mov_b32_e32 v3, 0
	v_add_nc_u32_e32 v7, -1, v0
	v_add_nc_u32_e32 v8, 0x2b0, v179
	v_mov_b32_e32 v2, 0
	v_mov_b32_e32 v4, 0
	v_add_nc_u32_e32 v9, 16, v179
	s_mov_b32 s5, 0
	.p2align	6
.LBB42_105:                             ; =>This Inner Loop Header: Depth=1
	s_clause 0x3
	buffer_load_dword v14, v9, s[0:3], 0 offen offset:8
	buffer_load_dword v15, v9, s[0:3], 0 offen offset:12
	buffer_load_dword v16, v9, s[0:3], 0 offen
	buffer_load_dword v17, v9, s[0:3], 0 offen offset:4
	ds_read_b128 v[10:13], v8
	v_add_nc_u32_e32 v7, 1, v7
	v_add_nc_u32_e32 v8, 16, v8
	;; [unrolled: 1-line block ×3, first 2 shown]
	v_cmp_lt_u32_e32 vcc_lo, 21, v7
	s_or_b32 s5, vcc_lo, s5
	s_waitcnt vmcnt(2) lgkmcnt(0)
	v_mul_f64 v[18:19], v[12:13], v[14:15]
	v_mul_f64 v[14:15], v[10:11], v[14:15]
	s_waitcnt vmcnt(0)
	v_fma_f64 v[10:11], v[10:11], v[16:17], -v[18:19]
	v_fma_f64 v[12:13], v[12:13], v[16:17], v[14:15]
	v_add_f64 v[3:4], v[3:4], v[10:11]
	v_add_f64 v[1:2], v[1:2], v[12:13]
	s_andn2_b32 exec_lo, exec_lo, s5
	s_cbranch_execnz .LBB42_105
; %bb.106:
	s_or_b32 exec_lo, exec_lo, s5
	v_mov_b32_e32 v7, 0
	ds_read_b128 v[7:10], v7 offset:368
	s_waitcnt lgkmcnt(0)
	v_mul_f64 v[11:12], v[1:2], v[9:10]
	v_mul_f64 v[9:10], v[3:4], v[9:10]
	v_fma_f64 v[3:4], v[3:4], v[7:8], -v[11:12]
	v_fma_f64 v[1:2], v[1:2], v[7:8], v[9:10]
	buffer_store_dword v4, off, s[0:3], 0 offset:388
	buffer_store_dword v3, off, s[0:3], 0 offset:384
	;; [unrolled: 1-line block ×4, first 2 shown]
.LBB42_107:
	s_or_b32 exec_lo, exec_lo, s4
	v_mov_b32_e32 v4, s37
	s_waitcnt_vscnt null, 0x0
	s_barrier
	buffer_gl0_inv
	s_mov_b32 s4, exec_lo
	s_clause 0x3
	buffer_load_dword v1, v4, s[0:3], 0 offen
	buffer_load_dword v2, v4, s[0:3], 0 offen offset:4
	buffer_load_dword v3, v4, s[0:3], 0 offen offset:8
	;; [unrolled: 1-line block ×3, first 2 shown]
	s_waitcnt vmcnt(0)
	ds_write_b128 v5, v[1:4]
	s_waitcnt lgkmcnt(0)
	s_barrier
	buffer_gl0_inv
	v_cmpx_gt_u32_e32 24, v0
	s_cbranch_execz .LBB42_111
; %bb.108:
	v_mov_b32_e32 v1, 0
	v_mov_b32_e32 v3, 0
	v_add_nc_u32_e32 v7, -1, v0
	v_add_nc_u32_e32 v8, 0x2b0, v179
	v_mov_b32_e32 v2, 0
	v_mov_b32_e32 v4, 0
	v_add_nc_u32_e32 v9, 16, v179
	s_mov_b32 s5, 0
	.p2align	6
.LBB42_109:                             ; =>This Inner Loop Header: Depth=1
	s_clause 0x3
	buffer_load_dword v14, v9, s[0:3], 0 offen offset:8
	buffer_load_dword v15, v9, s[0:3], 0 offen offset:12
	buffer_load_dword v16, v9, s[0:3], 0 offen
	buffer_load_dword v17, v9, s[0:3], 0 offen offset:4
	ds_read_b128 v[10:13], v8
	v_add_nc_u32_e32 v7, 1, v7
	v_add_nc_u32_e32 v8, 16, v8
	;; [unrolled: 1-line block ×3, first 2 shown]
	v_cmp_lt_u32_e32 vcc_lo, 22, v7
	s_or_b32 s5, vcc_lo, s5
	s_waitcnt vmcnt(2) lgkmcnt(0)
	v_mul_f64 v[18:19], v[12:13], v[14:15]
	v_mul_f64 v[14:15], v[10:11], v[14:15]
	s_waitcnt vmcnt(0)
	v_fma_f64 v[10:11], v[10:11], v[16:17], -v[18:19]
	v_fma_f64 v[12:13], v[12:13], v[16:17], v[14:15]
	v_add_f64 v[3:4], v[3:4], v[10:11]
	v_add_f64 v[1:2], v[1:2], v[12:13]
	s_andn2_b32 exec_lo, exec_lo, s5
	s_cbranch_execnz .LBB42_109
; %bb.110:
	s_or_b32 exec_lo, exec_lo, s5
	v_mov_b32_e32 v7, 0
	ds_read_b128 v[7:10], v7 offset:384
	s_waitcnt lgkmcnt(0)
	v_mul_f64 v[11:12], v[1:2], v[9:10]
	v_mul_f64 v[9:10], v[3:4], v[9:10]
	v_fma_f64 v[3:4], v[3:4], v[7:8], -v[11:12]
	v_fma_f64 v[1:2], v[1:2], v[7:8], v[9:10]
	buffer_store_dword v4, off, s[0:3], 0 offset:404
	buffer_store_dword v3, off, s[0:3], 0 offset:400
	;; [unrolled: 1-line block ×4, first 2 shown]
.LBB42_111:
	s_or_b32 exec_lo, exec_lo, s4
	v_mov_b32_e32 v4, s35
	s_waitcnt_vscnt null, 0x0
	s_barrier
	buffer_gl0_inv
	s_mov_b32 s4, exec_lo
	s_clause 0x3
	buffer_load_dword v1, v4, s[0:3], 0 offen
	buffer_load_dword v2, v4, s[0:3], 0 offen offset:4
	buffer_load_dword v3, v4, s[0:3], 0 offen offset:8
	buffer_load_dword v4, v4, s[0:3], 0 offen offset:12
	s_waitcnt vmcnt(0)
	ds_write_b128 v5, v[1:4]
	s_waitcnt lgkmcnt(0)
	s_barrier
	buffer_gl0_inv
	v_cmpx_gt_u32_e32 25, v0
	s_cbranch_execz .LBB42_115
; %bb.112:
	v_mov_b32_e32 v1, 0
	v_mov_b32_e32 v3, 0
	v_add_nc_u32_e32 v7, -1, v0
	v_add_nc_u32_e32 v8, 0x2b0, v179
	v_mov_b32_e32 v2, 0
	v_mov_b32_e32 v4, 0
	v_add_nc_u32_e32 v9, 16, v179
	s_mov_b32 s5, 0
	.p2align	6
.LBB42_113:                             ; =>This Inner Loop Header: Depth=1
	s_clause 0x3
	buffer_load_dword v14, v9, s[0:3], 0 offen offset:8
	buffer_load_dword v15, v9, s[0:3], 0 offen offset:12
	buffer_load_dword v16, v9, s[0:3], 0 offen
	buffer_load_dword v17, v9, s[0:3], 0 offen offset:4
	ds_read_b128 v[10:13], v8
	v_add_nc_u32_e32 v7, 1, v7
	v_add_nc_u32_e32 v8, 16, v8
	;; [unrolled: 1-line block ×3, first 2 shown]
	v_cmp_lt_u32_e32 vcc_lo, 23, v7
	s_or_b32 s5, vcc_lo, s5
	s_waitcnt vmcnt(2) lgkmcnt(0)
	v_mul_f64 v[18:19], v[12:13], v[14:15]
	v_mul_f64 v[14:15], v[10:11], v[14:15]
	s_waitcnt vmcnt(0)
	v_fma_f64 v[10:11], v[10:11], v[16:17], -v[18:19]
	v_fma_f64 v[12:13], v[12:13], v[16:17], v[14:15]
	v_add_f64 v[3:4], v[3:4], v[10:11]
	v_add_f64 v[1:2], v[1:2], v[12:13]
	s_andn2_b32 exec_lo, exec_lo, s5
	s_cbranch_execnz .LBB42_113
; %bb.114:
	s_or_b32 exec_lo, exec_lo, s5
	v_mov_b32_e32 v7, 0
	ds_read_b128 v[7:10], v7 offset:400
	s_waitcnt lgkmcnt(0)
	v_mul_f64 v[11:12], v[1:2], v[9:10]
	v_mul_f64 v[9:10], v[3:4], v[9:10]
	v_fma_f64 v[3:4], v[3:4], v[7:8], -v[11:12]
	v_fma_f64 v[1:2], v[1:2], v[7:8], v[9:10]
	buffer_store_dword v4, off, s[0:3], 0 offset:420
	buffer_store_dword v3, off, s[0:3], 0 offset:416
	;; [unrolled: 1-line block ×4, first 2 shown]
.LBB42_115:
	s_or_b32 exec_lo, exec_lo, s4
	v_mov_b32_e32 v4, s33
	s_waitcnt_vscnt null, 0x0
	s_barrier
	buffer_gl0_inv
	s_mov_b32 s4, exec_lo
	s_clause 0x3
	buffer_load_dword v1, v4, s[0:3], 0 offen
	buffer_load_dword v2, v4, s[0:3], 0 offen offset:4
	buffer_load_dword v3, v4, s[0:3], 0 offen offset:8
	;; [unrolled: 1-line block ×3, first 2 shown]
	s_waitcnt vmcnt(0)
	ds_write_b128 v5, v[1:4]
	s_waitcnt lgkmcnt(0)
	s_barrier
	buffer_gl0_inv
	v_cmpx_gt_u32_e32 26, v0
	s_cbranch_execz .LBB42_119
; %bb.116:
	v_mov_b32_e32 v1, 0
	v_mov_b32_e32 v3, 0
	v_add_nc_u32_e32 v7, -1, v0
	v_add_nc_u32_e32 v8, 0x2b0, v179
	v_mov_b32_e32 v2, 0
	v_mov_b32_e32 v4, 0
	v_add_nc_u32_e32 v9, 16, v179
	s_mov_b32 s5, 0
	.p2align	6
.LBB42_117:                             ; =>This Inner Loop Header: Depth=1
	s_clause 0x3
	buffer_load_dword v14, v9, s[0:3], 0 offen offset:8
	buffer_load_dword v15, v9, s[0:3], 0 offen offset:12
	buffer_load_dword v16, v9, s[0:3], 0 offen
	buffer_load_dword v17, v9, s[0:3], 0 offen offset:4
	ds_read_b128 v[10:13], v8
	v_add_nc_u32_e32 v7, 1, v7
	v_add_nc_u32_e32 v8, 16, v8
	;; [unrolled: 1-line block ×3, first 2 shown]
	v_cmp_lt_u32_e32 vcc_lo, 24, v7
	s_or_b32 s5, vcc_lo, s5
	s_waitcnt vmcnt(2) lgkmcnt(0)
	v_mul_f64 v[18:19], v[12:13], v[14:15]
	v_mul_f64 v[14:15], v[10:11], v[14:15]
	s_waitcnt vmcnt(0)
	v_fma_f64 v[10:11], v[10:11], v[16:17], -v[18:19]
	v_fma_f64 v[12:13], v[12:13], v[16:17], v[14:15]
	v_add_f64 v[3:4], v[3:4], v[10:11]
	v_add_f64 v[1:2], v[1:2], v[12:13]
	s_andn2_b32 exec_lo, exec_lo, s5
	s_cbranch_execnz .LBB42_117
; %bb.118:
	s_or_b32 exec_lo, exec_lo, s5
	v_mov_b32_e32 v7, 0
	ds_read_b128 v[7:10], v7 offset:416
	s_waitcnt lgkmcnt(0)
	v_mul_f64 v[11:12], v[1:2], v[9:10]
	v_mul_f64 v[9:10], v[3:4], v[9:10]
	v_fma_f64 v[3:4], v[3:4], v[7:8], -v[11:12]
	v_fma_f64 v[1:2], v[1:2], v[7:8], v[9:10]
	buffer_store_dword v4, off, s[0:3], 0 offset:436
	buffer_store_dword v3, off, s[0:3], 0 offset:432
	;; [unrolled: 1-line block ×4, first 2 shown]
.LBB42_119:
	s_or_b32 exec_lo, exec_lo, s4
	v_mov_b32_e32 v4, s31
	s_waitcnt_vscnt null, 0x0
	s_barrier
	buffer_gl0_inv
	s_mov_b32 s4, exec_lo
	s_clause 0x3
	buffer_load_dword v1, v4, s[0:3], 0 offen
	buffer_load_dword v2, v4, s[0:3], 0 offen offset:4
	buffer_load_dword v3, v4, s[0:3], 0 offen offset:8
	;; [unrolled: 1-line block ×3, first 2 shown]
	s_waitcnt vmcnt(0)
	ds_write_b128 v5, v[1:4]
	s_waitcnt lgkmcnt(0)
	s_barrier
	buffer_gl0_inv
	v_cmpx_gt_u32_e32 27, v0
	s_cbranch_execz .LBB42_123
; %bb.120:
	v_mov_b32_e32 v1, 0
	v_mov_b32_e32 v3, 0
	v_add_nc_u32_e32 v7, -1, v0
	v_add_nc_u32_e32 v8, 0x2b0, v179
	v_mov_b32_e32 v2, 0
	v_mov_b32_e32 v4, 0
	v_add_nc_u32_e32 v9, 16, v179
	s_mov_b32 s5, 0
	.p2align	6
.LBB42_121:                             ; =>This Inner Loop Header: Depth=1
	s_clause 0x3
	buffer_load_dword v14, v9, s[0:3], 0 offen offset:8
	buffer_load_dword v15, v9, s[0:3], 0 offen offset:12
	buffer_load_dword v16, v9, s[0:3], 0 offen
	buffer_load_dword v17, v9, s[0:3], 0 offen offset:4
	ds_read_b128 v[10:13], v8
	v_add_nc_u32_e32 v7, 1, v7
	v_add_nc_u32_e32 v8, 16, v8
	;; [unrolled: 1-line block ×3, first 2 shown]
	v_cmp_lt_u32_e32 vcc_lo, 25, v7
	s_or_b32 s5, vcc_lo, s5
	s_waitcnt vmcnt(2) lgkmcnt(0)
	v_mul_f64 v[18:19], v[12:13], v[14:15]
	v_mul_f64 v[14:15], v[10:11], v[14:15]
	s_waitcnt vmcnt(0)
	v_fma_f64 v[10:11], v[10:11], v[16:17], -v[18:19]
	v_fma_f64 v[12:13], v[12:13], v[16:17], v[14:15]
	v_add_f64 v[3:4], v[3:4], v[10:11]
	v_add_f64 v[1:2], v[1:2], v[12:13]
	s_andn2_b32 exec_lo, exec_lo, s5
	s_cbranch_execnz .LBB42_121
; %bb.122:
	s_or_b32 exec_lo, exec_lo, s5
	v_mov_b32_e32 v7, 0
	ds_read_b128 v[7:10], v7 offset:432
	s_waitcnt lgkmcnt(0)
	v_mul_f64 v[11:12], v[1:2], v[9:10]
	v_mul_f64 v[9:10], v[3:4], v[9:10]
	v_fma_f64 v[3:4], v[3:4], v[7:8], -v[11:12]
	v_fma_f64 v[1:2], v[1:2], v[7:8], v[9:10]
	buffer_store_dword v4, off, s[0:3], 0 offset:452
	buffer_store_dword v3, off, s[0:3], 0 offset:448
	;; [unrolled: 1-line block ×4, first 2 shown]
.LBB42_123:
	s_or_b32 exec_lo, exec_lo, s4
	v_mov_b32_e32 v4, s29
	s_waitcnt_vscnt null, 0x0
	s_barrier
	buffer_gl0_inv
	s_mov_b32 s4, exec_lo
	s_clause 0x3
	buffer_load_dword v1, v4, s[0:3], 0 offen
	buffer_load_dword v2, v4, s[0:3], 0 offen offset:4
	buffer_load_dword v3, v4, s[0:3], 0 offen offset:8
	;; [unrolled: 1-line block ×3, first 2 shown]
	s_waitcnt vmcnt(0)
	ds_write_b128 v5, v[1:4]
	s_waitcnt lgkmcnt(0)
	s_barrier
	buffer_gl0_inv
	v_cmpx_gt_u32_e32 28, v0
	s_cbranch_execz .LBB42_127
; %bb.124:
	v_mov_b32_e32 v1, 0
	v_mov_b32_e32 v3, 0
	v_add_nc_u32_e32 v7, -1, v0
	v_add_nc_u32_e32 v8, 0x2b0, v179
	v_mov_b32_e32 v2, 0
	v_mov_b32_e32 v4, 0
	v_add_nc_u32_e32 v9, 16, v179
	s_mov_b32 s5, 0
	.p2align	6
.LBB42_125:                             ; =>This Inner Loop Header: Depth=1
	s_clause 0x3
	buffer_load_dword v14, v9, s[0:3], 0 offen offset:8
	buffer_load_dword v15, v9, s[0:3], 0 offen offset:12
	buffer_load_dword v16, v9, s[0:3], 0 offen
	buffer_load_dword v17, v9, s[0:3], 0 offen offset:4
	ds_read_b128 v[10:13], v8
	v_add_nc_u32_e32 v7, 1, v7
	v_add_nc_u32_e32 v8, 16, v8
	;; [unrolled: 1-line block ×3, first 2 shown]
	v_cmp_lt_u32_e32 vcc_lo, 26, v7
	s_or_b32 s5, vcc_lo, s5
	s_waitcnt vmcnt(2) lgkmcnt(0)
	v_mul_f64 v[18:19], v[12:13], v[14:15]
	v_mul_f64 v[14:15], v[10:11], v[14:15]
	s_waitcnt vmcnt(0)
	v_fma_f64 v[10:11], v[10:11], v[16:17], -v[18:19]
	v_fma_f64 v[12:13], v[12:13], v[16:17], v[14:15]
	v_add_f64 v[3:4], v[3:4], v[10:11]
	v_add_f64 v[1:2], v[1:2], v[12:13]
	s_andn2_b32 exec_lo, exec_lo, s5
	s_cbranch_execnz .LBB42_125
; %bb.126:
	s_or_b32 exec_lo, exec_lo, s5
	v_mov_b32_e32 v7, 0
	ds_read_b128 v[7:10], v7 offset:448
	s_waitcnt lgkmcnt(0)
	v_mul_f64 v[11:12], v[1:2], v[9:10]
	v_mul_f64 v[9:10], v[3:4], v[9:10]
	v_fma_f64 v[3:4], v[3:4], v[7:8], -v[11:12]
	v_fma_f64 v[1:2], v[1:2], v[7:8], v[9:10]
	buffer_store_dword v4, off, s[0:3], 0 offset:468
	buffer_store_dword v3, off, s[0:3], 0 offset:464
	;; [unrolled: 1-line block ×4, first 2 shown]
.LBB42_127:
	s_or_b32 exec_lo, exec_lo, s4
	v_mov_b32_e32 v4, s27
	s_waitcnt_vscnt null, 0x0
	s_barrier
	buffer_gl0_inv
	s_mov_b32 s4, exec_lo
	s_clause 0x3
	buffer_load_dword v1, v4, s[0:3], 0 offen
	buffer_load_dword v2, v4, s[0:3], 0 offen offset:4
	buffer_load_dword v3, v4, s[0:3], 0 offen offset:8
	;; [unrolled: 1-line block ×3, first 2 shown]
	s_waitcnt vmcnt(0)
	ds_write_b128 v5, v[1:4]
	s_waitcnt lgkmcnt(0)
	s_barrier
	buffer_gl0_inv
	v_cmpx_gt_u32_e32 29, v0
	s_cbranch_execz .LBB42_131
; %bb.128:
	v_mov_b32_e32 v1, 0
	v_mov_b32_e32 v3, 0
	v_add_nc_u32_e32 v7, -1, v0
	v_add_nc_u32_e32 v8, 0x2b0, v179
	v_mov_b32_e32 v2, 0
	v_mov_b32_e32 v4, 0
	v_add_nc_u32_e32 v9, 16, v179
	s_mov_b32 s5, 0
	.p2align	6
.LBB42_129:                             ; =>This Inner Loop Header: Depth=1
	s_clause 0x3
	buffer_load_dword v14, v9, s[0:3], 0 offen offset:8
	buffer_load_dword v15, v9, s[0:3], 0 offen offset:12
	buffer_load_dword v16, v9, s[0:3], 0 offen
	buffer_load_dword v17, v9, s[0:3], 0 offen offset:4
	ds_read_b128 v[10:13], v8
	v_add_nc_u32_e32 v7, 1, v7
	v_add_nc_u32_e32 v8, 16, v8
	;; [unrolled: 1-line block ×3, first 2 shown]
	v_cmp_lt_u32_e32 vcc_lo, 27, v7
	s_or_b32 s5, vcc_lo, s5
	s_waitcnt vmcnt(2) lgkmcnt(0)
	v_mul_f64 v[18:19], v[12:13], v[14:15]
	v_mul_f64 v[14:15], v[10:11], v[14:15]
	s_waitcnt vmcnt(0)
	v_fma_f64 v[10:11], v[10:11], v[16:17], -v[18:19]
	v_fma_f64 v[12:13], v[12:13], v[16:17], v[14:15]
	v_add_f64 v[3:4], v[3:4], v[10:11]
	v_add_f64 v[1:2], v[1:2], v[12:13]
	s_andn2_b32 exec_lo, exec_lo, s5
	s_cbranch_execnz .LBB42_129
; %bb.130:
	s_or_b32 exec_lo, exec_lo, s5
	v_mov_b32_e32 v7, 0
	ds_read_b128 v[7:10], v7 offset:464
	s_waitcnt lgkmcnt(0)
	v_mul_f64 v[11:12], v[1:2], v[9:10]
	v_mul_f64 v[9:10], v[3:4], v[9:10]
	v_fma_f64 v[3:4], v[3:4], v[7:8], -v[11:12]
	v_fma_f64 v[1:2], v[1:2], v[7:8], v[9:10]
	buffer_store_dword v4, off, s[0:3], 0 offset:484
	buffer_store_dword v3, off, s[0:3], 0 offset:480
	;; [unrolled: 1-line block ×4, first 2 shown]
.LBB42_131:
	s_or_b32 exec_lo, exec_lo, s4
	v_mov_b32_e32 v4, s25
	s_waitcnt_vscnt null, 0x0
	s_barrier
	buffer_gl0_inv
	s_mov_b32 s4, exec_lo
	s_clause 0x3
	buffer_load_dword v1, v4, s[0:3], 0 offen
	buffer_load_dword v2, v4, s[0:3], 0 offen offset:4
	buffer_load_dword v3, v4, s[0:3], 0 offen offset:8
	;; [unrolled: 1-line block ×3, first 2 shown]
	s_waitcnt vmcnt(0)
	ds_write_b128 v5, v[1:4]
	s_waitcnt lgkmcnt(0)
	s_barrier
	buffer_gl0_inv
	v_cmpx_gt_u32_e32 30, v0
	s_cbranch_execz .LBB42_135
; %bb.132:
	v_mov_b32_e32 v1, 0
	v_mov_b32_e32 v3, 0
	v_add_nc_u32_e32 v7, -1, v0
	v_add_nc_u32_e32 v8, 0x2b0, v179
	v_mov_b32_e32 v2, 0
	v_mov_b32_e32 v4, 0
	v_add_nc_u32_e32 v9, 16, v179
	s_mov_b32 s5, 0
	.p2align	6
.LBB42_133:                             ; =>This Inner Loop Header: Depth=1
	s_clause 0x3
	buffer_load_dword v14, v9, s[0:3], 0 offen offset:8
	buffer_load_dword v15, v9, s[0:3], 0 offen offset:12
	buffer_load_dword v16, v9, s[0:3], 0 offen
	buffer_load_dword v17, v9, s[0:3], 0 offen offset:4
	ds_read_b128 v[10:13], v8
	v_add_nc_u32_e32 v7, 1, v7
	v_add_nc_u32_e32 v8, 16, v8
	;; [unrolled: 1-line block ×3, first 2 shown]
	v_cmp_lt_u32_e32 vcc_lo, 28, v7
	s_or_b32 s5, vcc_lo, s5
	s_waitcnt vmcnt(2) lgkmcnt(0)
	v_mul_f64 v[18:19], v[12:13], v[14:15]
	v_mul_f64 v[14:15], v[10:11], v[14:15]
	s_waitcnt vmcnt(0)
	v_fma_f64 v[10:11], v[10:11], v[16:17], -v[18:19]
	v_fma_f64 v[12:13], v[12:13], v[16:17], v[14:15]
	v_add_f64 v[3:4], v[3:4], v[10:11]
	v_add_f64 v[1:2], v[1:2], v[12:13]
	s_andn2_b32 exec_lo, exec_lo, s5
	s_cbranch_execnz .LBB42_133
; %bb.134:
	s_or_b32 exec_lo, exec_lo, s5
	v_mov_b32_e32 v7, 0
	ds_read_b128 v[7:10], v7 offset:480
	s_waitcnt lgkmcnt(0)
	v_mul_f64 v[11:12], v[1:2], v[9:10]
	v_mul_f64 v[9:10], v[3:4], v[9:10]
	v_fma_f64 v[3:4], v[3:4], v[7:8], -v[11:12]
	v_fma_f64 v[1:2], v[1:2], v[7:8], v[9:10]
	buffer_store_dword v4, off, s[0:3], 0 offset:500
	buffer_store_dword v3, off, s[0:3], 0 offset:496
	;; [unrolled: 1-line block ×4, first 2 shown]
.LBB42_135:
	s_or_b32 exec_lo, exec_lo, s4
	v_mov_b32_e32 v4, s23
	s_waitcnt_vscnt null, 0x0
	s_barrier
	buffer_gl0_inv
	s_mov_b32 s4, exec_lo
	s_clause 0x3
	buffer_load_dword v1, v4, s[0:3], 0 offen
	buffer_load_dword v2, v4, s[0:3], 0 offen offset:4
	buffer_load_dword v3, v4, s[0:3], 0 offen offset:8
	;; [unrolled: 1-line block ×3, first 2 shown]
	s_waitcnt vmcnt(0)
	ds_write_b128 v5, v[1:4]
	s_waitcnt lgkmcnt(0)
	s_barrier
	buffer_gl0_inv
	v_cmpx_gt_u32_e32 31, v0
	s_cbranch_execz .LBB42_139
; %bb.136:
	v_mov_b32_e32 v1, 0
	v_mov_b32_e32 v3, 0
	v_add_nc_u32_e32 v7, -1, v0
	v_add_nc_u32_e32 v8, 0x2b0, v179
	v_mov_b32_e32 v2, 0
	v_mov_b32_e32 v4, 0
	v_add_nc_u32_e32 v9, 16, v179
	s_mov_b32 s5, 0
	.p2align	6
.LBB42_137:                             ; =>This Inner Loop Header: Depth=1
	s_clause 0x3
	buffer_load_dword v14, v9, s[0:3], 0 offen offset:8
	buffer_load_dword v15, v9, s[0:3], 0 offen offset:12
	buffer_load_dword v16, v9, s[0:3], 0 offen
	buffer_load_dword v17, v9, s[0:3], 0 offen offset:4
	ds_read_b128 v[10:13], v8
	v_add_nc_u32_e32 v7, 1, v7
	v_add_nc_u32_e32 v8, 16, v8
	;; [unrolled: 1-line block ×3, first 2 shown]
	v_cmp_lt_u32_e32 vcc_lo, 29, v7
	s_or_b32 s5, vcc_lo, s5
	s_waitcnt vmcnt(2) lgkmcnt(0)
	v_mul_f64 v[18:19], v[12:13], v[14:15]
	v_mul_f64 v[14:15], v[10:11], v[14:15]
	s_waitcnt vmcnt(0)
	v_fma_f64 v[10:11], v[10:11], v[16:17], -v[18:19]
	v_fma_f64 v[12:13], v[12:13], v[16:17], v[14:15]
	v_add_f64 v[3:4], v[3:4], v[10:11]
	v_add_f64 v[1:2], v[1:2], v[12:13]
	s_andn2_b32 exec_lo, exec_lo, s5
	s_cbranch_execnz .LBB42_137
; %bb.138:
	s_or_b32 exec_lo, exec_lo, s5
	v_mov_b32_e32 v7, 0
	ds_read_b128 v[7:10], v7 offset:496
	s_waitcnt lgkmcnt(0)
	v_mul_f64 v[11:12], v[1:2], v[9:10]
	v_mul_f64 v[9:10], v[3:4], v[9:10]
	v_fma_f64 v[3:4], v[3:4], v[7:8], -v[11:12]
	v_fma_f64 v[1:2], v[1:2], v[7:8], v[9:10]
	buffer_store_dword v4, off, s[0:3], 0 offset:516
	buffer_store_dword v3, off, s[0:3], 0 offset:512
	;; [unrolled: 1-line block ×4, first 2 shown]
.LBB42_139:
	s_or_b32 exec_lo, exec_lo, s4
	v_mov_b32_e32 v4, s22
	s_waitcnt_vscnt null, 0x0
	s_barrier
	buffer_gl0_inv
	s_mov_b32 s4, exec_lo
	s_clause 0x3
	buffer_load_dword v1, v4, s[0:3], 0 offen
	buffer_load_dword v2, v4, s[0:3], 0 offen offset:4
	buffer_load_dword v3, v4, s[0:3], 0 offen offset:8
	;; [unrolled: 1-line block ×3, first 2 shown]
	s_waitcnt vmcnt(0)
	ds_write_b128 v5, v[1:4]
	s_waitcnt lgkmcnt(0)
	s_barrier
	buffer_gl0_inv
	v_cmpx_gt_u32_e32 32, v0
	s_cbranch_execz .LBB42_143
; %bb.140:
	v_mov_b32_e32 v1, 0
	v_mov_b32_e32 v3, 0
	v_add_nc_u32_e32 v7, -1, v0
	v_add_nc_u32_e32 v8, 0x2b0, v179
	v_mov_b32_e32 v2, 0
	v_mov_b32_e32 v4, 0
	v_add_nc_u32_e32 v9, 16, v179
	s_mov_b32 s5, 0
	.p2align	6
.LBB42_141:                             ; =>This Inner Loop Header: Depth=1
	s_clause 0x3
	buffer_load_dword v14, v9, s[0:3], 0 offen offset:8
	buffer_load_dword v15, v9, s[0:3], 0 offen offset:12
	buffer_load_dword v16, v9, s[0:3], 0 offen
	buffer_load_dword v17, v9, s[0:3], 0 offen offset:4
	ds_read_b128 v[10:13], v8
	v_add_nc_u32_e32 v7, 1, v7
	v_add_nc_u32_e32 v8, 16, v8
	;; [unrolled: 1-line block ×3, first 2 shown]
	v_cmp_lt_u32_e32 vcc_lo, 30, v7
	s_or_b32 s5, vcc_lo, s5
	s_waitcnt vmcnt(2) lgkmcnt(0)
	v_mul_f64 v[18:19], v[12:13], v[14:15]
	v_mul_f64 v[14:15], v[10:11], v[14:15]
	s_waitcnt vmcnt(0)
	v_fma_f64 v[10:11], v[10:11], v[16:17], -v[18:19]
	v_fma_f64 v[12:13], v[12:13], v[16:17], v[14:15]
	v_add_f64 v[3:4], v[3:4], v[10:11]
	v_add_f64 v[1:2], v[1:2], v[12:13]
	s_andn2_b32 exec_lo, exec_lo, s5
	s_cbranch_execnz .LBB42_141
; %bb.142:
	s_or_b32 exec_lo, exec_lo, s5
	v_mov_b32_e32 v7, 0
	ds_read_b128 v[7:10], v7 offset:512
	s_waitcnt lgkmcnt(0)
	v_mul_f64 v[11:12], v[1:2], v[9:10]
	v_mul_f64 v[9:10], v[3:4], v[9:10]
	v_fma_f64 v[3:4], v[3:4], v[7:8], -v[11:12]
	v_fma_f64 v[1:2], v[1:2], v[7:8], v[9:10]
	buffer_store_dword v4, off, s[0:3], 0 offset:532
	buffer_store_dword v3, off, s[0:3], 0 offset:528
	;; [unrolled: 1-line block ×4, first 2 shown]
.LBB42_143:
	s_or_b32 exec_lo, exec_lo, s4
	v_mov_b32_e32 v4, s19
	s_waitcnt_vscnt null, 0x0
	s_barrier
	buffer_gl0_inv
	s_mov_b32 s4, exec_lo
	s_clause 0x3
	buffer_load_dword v1, v4, s[0:3], 0 offen
	buffer_load_dword v2, v4, s[0:3], 0 offen offset:4
	buffer_load_dword v3, v4, s[0:3], 0 offen offset:8
	;; [unrolled: 1-line block ×3, first 2 shown]
	s_waitcnt vmcnt(0)
	ds_write_b128 v5, v[1:4]
	s_waitcnt lgkmcnt(0)
	s_barrier
	buffer_gl0_inv
	v_cmpx_gt_u32_e32 33, v0
	s_cbranch_execz .LBB42_147
; %bb.144:
	v_mov_b32_e32 v1, 0
	v_mov_b32_e32 v3, 0
	v_add_nc_u32_e32 v7, -1, v0
	v_add_nc_u32_e32 v8, 0x2b0, v179
	v_mov_b32_e32 v2, 0
	v_mov_b32_e32 v4, 0
	v_add_nc_u32_e32 v9, 16, v179
	s_mov_b32 s5, 0
	.p2align	6
.LBB42_145:                             ; =>This Inner Loop Header: Depth=1
	s_clause 0x3
	buffer_load_dword v14, v9, s[0:3], 0 offen offset:8
	buffer_load_dword v15, v9, s[0:3], 0 offen offset:12
	buffer_load_dword v16, v9, s[0:3], 0 offen
	buffer_load_dword v17, v9, s[0:3], 0 offen offset:4
	ds_read_b128 v[10:13], v8
	v_add_nc_u32_e32 v7, 1, v7
	v_add_nc_u32_e32 v8, 16, v8
	;; [unrolled: 1-line block ×3, first 2 shown]
	v_cmp_lt_u32_e32 vcc_lo, 31, v7
	s_or_b32 s5, vcc_lo, s5
	s_waitcnt vmcnt(2) lgkmcnt(0)
	v_mul_f64 v[18:19], v[12:13], v[14:15]
	v_mul_f64 v[14:15], v[10:11], v[14:15]
	s_waitcnt vmcnt(0)
	v_fma_f64 v[10:11], v[10:11], v[16:17], -v[18:19]
	v_fma_f64 v[12:13], v[12:13], v[16:17], v[14:15]
	v_add_f64 v[3:4], v[3:4], v[10:11]
	v_add_f64 v[1:2], v[1:2], v[12:13]
	s_andn2_b32 exec_lo, exec_lo, s5
	s_cbranch_execnz .LBB42_145
; %bb.146:
	s_or_b32 exec_lo, exec_lo, s5
	v_mov_b32_e32 v7, 0
	ds_read_b128 v[7:10], v7 offset:528
	s_waitcnt lgkmcnt(0)
	v_mul_f64 v[11:12], v[1:2], v[9:10]
	v_mul_f64 v[9:10], v[3:4], v[9:10]
	v_fma_f64 v[3:4], v[3:4], v[7:8], -v[11:12]
	v_fma_f64 v[1:2], v[1:2], v[7:8], v[9:10]
	buffer_store_dword v4, off, s[0:3], 0 offset:548
	buffer_store_dword v3, off, s[0:3], 0 offset:544
	;; [unrolled: 1-line block ×4, first 2 shown]
.LBB42_147:
	s_or_b32 exec_lo, exec_lo, s4
	v_mov_b32_e32 v4, s18
	s_waitcnt_vscnt null, 0x0
	s_barrier
	buffer_gl0_inv
	s_mov_b32 s4, exec_lo
	s_clause 0x3
	buffer_load_dword v1, v4, s[0:3], 0 offen
	buffer_load_dword v2, v4, s[0:3], 0 offen offset:4
	buffer_load_dword v3, v4, s[0:3], 0 offen offset:8
	;; [unrolled: 1-line block ×3, first 2 shown]
	s_waitcnt vmcnt(0)
	ds_write_b128 v5, v[1:4]
	s_waitcnt lgkmcnt(0)
	s_barrier
	buffer_gl0_inv
	v_cmpx_gt_u32_e32 34, v0
	s_cbranch_execz .LBB42_151
; %bb.148:
	v_mov_b32_e32 v1, 0
	v_mov_b32_e32 v3, 0
	v_add_nc_u32_e32 v7, -1, v0
	v_add_nc_u32_e32 v8, 0x2b0, v179
	v_mov_b32_e32 v2, 0
	v_mov_b32_e32 v4, 0
	v_add_nc_u32_e32 v9, 16, v179
	s_mov_b32 s5, 0
	.p2align	6
.LBB42_149:                             ; =>This Inner Loop Header: Depth=1
	s_clause 0x3
	buffer_load_dword v14, v9, s[0:3], 0 offen offset:8
	buffer_load_dword v15, v9, s[0:3], 0 offen offset:12
	buffer_load_dword v16, v9, s[0:3], 0 offen
	buffer_load_dword v17, v9, s[0:3], 0 offen offset:4
	ds_read_b128 v[10:13], v8
	v_add_nc_u32_e32 v7, 1, v7
	v_add_nc_u32_e32 v8, 16, v8
	;; [unrolled: 1-line block ×3, first 2 shown]
	v_cmp_lt_u32_e32 vcc_lo, 32, v7
	s_or_b32 s5, vcc_lo, s5
	s_waitcnt vmcnt(2) lgkmcnt(0)
	v_mul_f64 v[18:19], v[12:13], v[14:15]
	v_mul_f64 v[14:15], v[10:11], v[14:15]
	s_waitcnt vmcnt(0)
	v_fma_f64 v[10:11], v[10:11], v[16:17], -v[18:19]
	v_fma_f64 v[12:13], v[12:13], v[16:17], v[14:15]
	v_add_f64 v[3:4], v[3:4], v[10:11]
	v_add_f64 v[1:2], v[1:2], v[12:13]
	s_andn2_b32 exec_lo, exec_lo, s5
	s_cbranch_execnz .LBB42_149
; %bb.150:
	s_or_b32 exec_lo, exec_lo, s5
	v_mov_b32_e32 v7, 0
	ds_read_b128 v[7:10], v7 offset:544
	s_waitcnt lgkmcnt(0)
	v_mul_f64 v[11:12], v[1:2], v[9:10]
	v_mul_f64 v[9:10], v[3:4], v[9:10]
	v_fma_f64 v[3:4], v[3:4], v[7:8], -v[11:12]
	v_fma_f64 v[1:2], v[1:2], v[7:8], v[9:10]
	buffer_store_dword v4, off, s[0:3], 0 offset:564
	buffer_store_dword v3, off, s[0:3], 0 offset:560
	;; [unrolled: 1-line block ×4, first 2 shown]
.LBB42_151:
	s_or_b32 exec_lo, exec_lo, s4
	v_mov_b32_e32 v4, s17
	s_waitcnt_vscnt null, 0x0
	s_barrier
	buffer_gl0_inv
	s_mov_b32 s4, exec_lo
	s_clause 0x3
	buffer_load_dword v1, v4, s[0:3], 0 offen
	buffer_load_dword v2, v4, s[0:3], 0 offen offset:4
	buffer_load_dword v3, v4, s[0:3], 0 offen offset:8
	;; [unrolled: 1-line block ×3, first 2 shown]
	s_waitcnt vmcnt(0)
	ds_write_b128 v5, v[1:4]
	s_waitcnt lgkmcnt(0)
	s_barrier
	buffer_gl0_inv
	v_cmpx_gt_u32_e32 35, v0
	s_cbranch_execz .LBB42_155
; %bb.152:
	v_mov_b32_e32 v1, 0
	v_mov_b32_e32 v3, 0
	v_add_nc_u32_e32 v7, -1, v0
	v_add_nc_u32_e32 v8, 0x2b0, v179
	v_mov_b32_e32 v2, 0
	v_mov_b32_e32 v4, 0
	v_add_nc_u32_e32 v9, 16, v179
	s_mov_b32 s5, 0
	.p2align	6
.LBB42_153:                             ; =>This Inner Loop Header: Depth=1
	s_clause 0x3
	buffer_load_dword v14, v9, s[0:3], 0 offen offset:8
	buffer_load_dword v15, v9, s[0:3], 0 offen offset:12
	buffer_load_dword v16, v9, s[0:3], 0 offen
	buffer_load_dword v17, v9, s[0:3], 0 offen offset:4
	ds_read_b128 v[10:13], v8
	v_add_nc_u32_e32 v7, 1, v7
	v_add_nc_u32_e32 v8, 16, v8
	;; [unrolled: 1-line block ×3, first 2 shown]
	v_cmp_lt_u32_e32 vcc_lo, 33, v7
	s_or_b32 s5, vcc_lo, s5
	s_waitcnt vmcnt(2) lgkmcnt(0)
	v_mul_f64 v[18:19], v[12:13], v[14:15]
	v_mul_f64 v[14:15], v[10:11], v[14:15]
	s_waitcnt vmcnt(0)
	v_fma_f64 v[10:11], v[10:11], v[16:17], -v[18:19]
	v_fma_f64 v[12:13], v[12:13], v[16:17], v[14:15]
	v_add_f64 v[3:4], v[3:4], v[10:11]
	v_add_f64 v[1:2], v[1:2], v[12:13]
	s_andn2_b32 exec_lo, exec_lo, s5
	s_cbranch_execnz .LBB42_153
; %bb.154:
	s_or_b32 exec_lo, exec_lo, s5
	v_mov_b32_e32 v7, 0
	ds_read_b128 v[7:10], v7 offset:560
	s_waitcnt lgkmcnt(0)
	v_mul_f64 v[11:12], v[1:2], v[9:10]
	v_mul_f64 v[9:10], v[3:4], v[9:10]
	v_fma_f64 v[3:4], v[3:4], v[7:8], -v[11:12]
	v_fma_f64 v[1:2], v[1:2], v[7:8], v[9:10]
	buffer_store_dword v4, off, s[0:3], 0 offset:580
	buffer_store_dword v3, off, s[0:3], 0 offset:576
	;; [unrolled: 1-line block ×4, first 2 shown]
.LBB42_155:
	s_or_b32 exec_lo, exec_lo, s4
	v_mov_b32_e32 v4, s16
	s_waitcnt_vscnt null, 0x0
	s_barrier
	buffer_gl0_inv
	s_mov_b32 s4, exec_lo
	s_clause 0x3
	buffer_load_dword v1, v4, s[0:3], 0 offen
	buffer_load_dword v2, v4, s[0:3], 0 offen offset:4
	buffer_load_dword v3, v4, s[0:3], 0 offen offset:8
	buffer_load_dword v4, v4, s[0:3], 0 offen offset:12
	s_waitcnt vmcnt(0)
	ds_write_b128 v5, v[1:4]
	s_waitcnt lgkmcnt(0)
	s_barrier
	buffer_gl0_inv
	v_cmpx_gt_u32_e32 36, v0
	s_cbranch_execz .LBB42_159
; %bb.156:
	v_mov_b32_e32 v1, 0
	v_mov_b32_e32 v3, 0
	v_add_nc_u32_e32 v7, -1, v0
	v_add_nc_u32_e32 v8, 0x2b0, v179
	v_mov_b32_e32 v2, 0
	v_mov_b32_e32 v4, 0
	v_add_nc_u32_e32 v9, 16, v179
	s_mov_b32 s5, 0
	.p2align	6
.LBB42_157:                             ; =>This Inner Loop Header: Depth=1
	s_clause 0x3
	buffer_load_dword v14, v9, s[0:3], 0 offen offset:8
	buffer_load_dword v15, v9, s[0:3], 0 offen offset:12
	buffer_load_dword v16, v9, s[0:3], 0 offen
	buffer_load_dword v17, v9, s[0:3], 0 offen offset:4
	ds_read_b128 v[10:13], v8
	v_add_nc_u32_e32 v7, 1, v7
	v_add_nc_u32_e32 v8, 16, v8
	v_add_nc_u32_e32 v9, 16, v9
	v_cmp_lt_u32_e32 vcc_lo, 34, v7
	s_or_b32 s5, vcc_lo, s5
	s_waitcnt vmcnt(2) lgkmcnt(0)
	v_mul_f64 v[18:19], v[12:13], v[14:15]
	v_mul_f64 v[14:15], v[10:11], v[14:15]
	s_waitcnt vmcnt(0)
	v_fma_f64 v[10:11], v[10:11], v[16:17], -v[18:19]
	v_fma_f64 v[12:13], v[12:13], v[16:17], v[14:15]
	v_add_f64 v[3:4], v[3:4], v[10:11]
	v_add_f64 v[1:2], v[1:2], v[12:13]
	s_andn2_b32 exec_lo, exec_lo, s5
	s_cbranch_execnz .LBB42_157
; %bb.158:
	s_or_b32 exec_lo, exec_lo, s5
	v_mov_b32_e32 v7, 0
	ds_read_b128 v[7:10], v7 offset:576
	s_waitcnt lgkmcnt(0)
	v_mul_f64 v[11:12], v[1:2], v[9:10]
	v_mul_f64 v[9:10], v[3:4], v[9:10]
	v_fma_f64 v[3:4], v[3:4], v[7:8], -v[11:12]
	v_fma_f64 v[1:2], v[1:2], v[7:8], v[9:10]
	buffer_store_dword v4, off, s[0:3], 0 offset:596
	buffer_store_dword v3, off, s[0:3], 0 offset:592
	;; [unrolled: 1-line block ×4, first 2 shown]
.LBB42_159:
	s_or_b32 exec_lo, exec_lo, s4
	v_mov_b32_e32 v4, s15
	s_waitcnt_vscnt null, 0x0
	s_barrier
	buffer_gl0_inv
	s_mov_b32 s4, exec_lo
	s_clause 0x3
	buffer_load_dword v1, v4, s[0:3], 0 offen
	buffer_load_dword v2, v4, s[0:3], 0 offen offset:4
	buffer_load_dword v3, v4, s[0:3], 0 offen offset:8
	;; [unrolled: 1-line block ×3, first 2 shown]
	s_waitcnt vmcnt(0)
	ds_write_b128 v5, v[1:4]
	s_waitcnt lgkmcnt(0)
	s_barrier
	buffer_gl0_inv
	v_cmpx_gt_u32_e32 37, v0
	s_cbranch_execz .LBB42_163
; %bb.160:
	v_mov_b32_e32 v1, 0
	v_mov_b32_e32 v3, 0
	v_add_nc_u32_e32 v7, -1, v0
	v_add_nc_u32_e32 v8, 0x2b0, v179
	v_mov_b32_e32 v2, 0
	v_mov_b32_e32 v4, 0
	v_add_nc_u32_e32 v9, 16, v179
	s_mov_b32 s5, 0
	.p2align	6
.LBB42_161:                             ; =>This Inner Loop Header: Depth=1
	s_clause 0x3
	buffer_load_dword v14, v9, s[0:3], 0 offen offset:8
	buffer_load_dword v15, v9, s[0:3], 0 offen offset:12
	buffer_load_dword v16, v9, s[0:3], 0 offen
	buffer_load_dword v17, v9, s[0:3], 0 offen offset:4
	ds_read_b128 v[10:13], v8
	v_add_nc_u32_e32 v7, 1, v7
	v_add_nc_u32_e32 v8, 16, v8
	;; [unrolled: 1-line block ×3, first 2 shown]
	v_cmp_lt_u32_e32 vcc_lo, 35, v7
	s_or_b32 s5, vcc_lo, s5
	s_waitcnt vmcnt(2) lgkmcnt(0)
	v_mul_f64 v[18:19], v[12:13], v[14:15]
	v_mul_f64 v[14:15], v[10:11], v[14:15]
	s_waitcnt vmcnt(0)
	v_fma_f64 v[10:11], v[10:11], v[16:17], -v[18:19]
	v_fma_f64 v[12:13], v[12:13], v[16:17], v[14:15]
	v_add_f64 v[3:4], v[3:4], v[10:11]
	v_add_f64 v[1:2], v[1:2], v[12:13]
	s_andn2_b32 exec_lo, exec_lo, s5
	s_cbranch_execnz .LBB42_161
; %bb.162:
	s_or_b32 exec_lo, exec_lo, s5
	v_mov_b32_e32 v7, 0
	ds_read_b128 v[7:10], v7 offset:592
	s_waitcnt lgkmcnt(0)
	v_mul_f64 v[11:12], v[1:2], v[9:10]
	v_mul_f64 v[9:10], v[3:4], v[9:10]
	v_fma_f64 v[3:4], v[3:4], v[7:8], -v[11:12]
	v_fma_f64 v[1:2], v[1:2], v[7:8], v[9:10]
	buffer_store_dword v4, off, s[0:3], 0 offset:612
	buffer_store_dword v3, off, s[0:3], 0 offset:608
	;; [unrolled: 1-line block ×4, first 2 shown]
.LBB42_163:
	s_or_b32 exec_lo, exec_lo, s4
	v_mov_b32_e32 v4, s14
	s_waitcnt_vscnt null, 0x0
	s_barrier
	buffer_gl0_inv
	s_mov_b32 s4, exec_lo
	s_clause 0x3
	buffer_load_dword v1, v4, s[0:3], 0 offen
	buffer_load_dword v2, v4, s[0:3], 0 offen offset:4
	buffer_load_dword v3, v4, s[0:3], 0 offen offset:8
	buffer_load_dword v4, v4, s[0:3], 0 offen offset:12
	s_waitcnt vmcnt(0)
	ds_write_b128 v5, v[1:4]
	s_waitcnt lgkmcnt(0)
	s_barrier
	buffer_gl0_inv
	v_cmpx_gt_u32_e32 38, v0
	s_cbranch_execz .LBB42_167
; %bb.164:
	v_mov_b32_e32 v1, 0
	v_mov_b32_e32 v3, 0
	v_add_nc_u32_e32 v7, -1, v0
	v_add_nc_u32_e32 v8, 0x2b0, v179
	v_mov_b32_e32 v2, 0
	v_mov_b32_e32 v4, 0
	v_add_nc_u32_e32 v9, 16, v179
	s_mov_b32 s5, 0
	.p2align	6
.LBB42_165:                             ; =>This Inner Loop Header: Depth=1
	s_clause 0x3
	buffer_load_dword v14, v9, s[0:3], 0 offen offset:8
	buffer_load_dword v15, v9, s[0:3], 0 offen offset:12
	buffer_load_dword v16, v9, s[0:3], 0 offen
	buffer_load_dword v17, v9, s[0:3], 0 offen offset:4
	ds_read_b128 v[10:13], v8
	v_add_nc_u32_e32 v7, 1, v7
	v_add_nc_u32_e32 v8, 16, v8
	;; [unrolled: 1-line block ×3, first 2 shown]
	v_cmp_lt_u32_e32 vcc_lo, 36, v7
	s_or_b32 s5, vcc_lo, s5
	s_waitcnt vmcnt(2) lgkmcnt(0)
	v_mul_f64 v[18:19], v[12:13], v[14:15]
	v_mul_f64 v[14:15], v[10:11], v[14:15]
	s_waitcnt vmcnt(0)
	v_fma_f64 v[10:11], v[10:11], v[16:17], -v[18:19]
	v_fma_f64 v[12:13], v[12:13], v[16:17], v[14:15]
	v_add_f64 v[3:4], v[3:4], v[10:11]
	v_add_f64 v[1:2], v[1:2], v[12:13]
	s_andn2_b32 exec_lo, exec_lo, s5
	s_cbranch_execnz .LBB42_165
; %bb.166:
	s_or_b32 exec_lo, exec_lo, s5
	v_mov_b32_e32 v7, 0
	ds_read_b128 v[7:10], v7 offset:608
	s_waitcnt lgkmcnt(0)
	v_mul_f64 v[11:12], v[1:2], v[9:10]
	v_mul_f64 v[9:10], v[3:4], v[9:10]
	v_fma_f64 v[3:4], v[3:4], v[7:8], -v[11:12]
	v_fma_f64 v[1:2], v[1:2], v[7:8], v[9:10]
	buffer_store_dword v4, off, s[0:3], 0 offset:628
	buffer_store_dword v3, off, s[0:3], 0 offset:624
	;; [unrolled: 1-line block ×4, first 2 shown]
.LBB42_167:
	s_or_b32 exec_lo, exec_lo, s4
	v_mov_b32_e32 v4, s13
	s_waitcnt_vscnt null, 0x0
	s_barrier
	buffer_gl0_inv
	s_mov_b32 s4, exec_lo
	s_clause 0x3
	buffer_load_dword v1, v4, s[0:3], 0 offen
	buffer_load_dword v2, v4, s[0:3], 0 offen offset:4
	buffer_load_dword v3, v4, s[0:3], 0 offen offset:8
	;; [unrolled: 1-line block ×3, first 2 shown]
	s_waitcnt vmcnt(0)
	ds_write_b128 v5, v[1:4]
	s_waitcnt lgkmcnt(0)
	s_barrier
	buffer_gl0_inv
	v_cmpx_gt_u32_e32 39, v0
	s_cbranch_execz .LBB42_171
; %bb.168:
	v_mov_b32_e32 v1, 0
	v_mov_b32_e32 v3, 0
	v_add_nc_u32_e32 v7, -1, v0
	v_add_nc_u32_e32 v8, 0x2b0, v179
	v_mov_b32_e32 v2, 0
	v_mov_b32_e32 v4, 0
	v_add_nc_u32_e32 v9, 16, v179
	s_mov_b32 s5, 0
	.p2align	6
.LBB42_169:                             ; =>This Inner Loop Header: Depth=1
	s_clause 0x3
	buffer_load_dword v14, v9, s[0:3], 0 offen offset:8
	buffer_load_dword v15, v9, s[0:3], 0 offen offset:12
	buffer_load_dword v16, v9, s[0:3], 0 offen
	buffer_load_dword v17, v9, s[0:3], 0 offen offset:4
	ds_read_b128 v[10:13], v8
	v_add_nc_u32_e32 v7, 1, v7
	v_add_nc_u32_e32 v8, 16, v8
	;; [unrolled: 1-line block ×3, first 2 shown]
	v_cmp_lt_u32_e32 vcc_lo, 37, v7
	s_or_b32 s5, vcc_lo, s5
	s_waitcnt vmcnt(2) lgkmcnt(0)
	v_mul_f64 v[18:19], v[12:13], v[14:15]
	v_mul_f64 v[14:15], v[10:11], v[14:15]
	s_waitcnt vmcnt(0)
	v_fma_f64 v[10:11], v[10:11], v[16:17], -v[18:19]
	v_fma_f64 v[12:13], v[12:13], v[16:17], v[14:15]
	v_add_f64 v[3:4], v[3:4], v[10:11]
	v_add_f64 v[1:2], v[1:2], v[12:13]
	s_andn2_b32 exec_lo, exec_lo, s5
	s_cbranch_execnz .LBB42_169
; %bb.170:
	s_or_b32 exec_lo, exec_lo, s5
	v_mov_b32_e32 v7, 0
	ds_read_b128 v[7:10], v7 offset:624
	s_waitcnt lgkmcnt(0)
	v_mul_f64 v[11:12], v[1:2], v[9:10]
	v_mul_f64 v[9:10], v[3:4], v[9:10]
	v_fma_f64 v[3:4], v[3:4], v[7:8], -v[11:12]
	v_fma_f64 v[1:2], v[1:2], v[7:8], v[9:10]
	buffer_store_dword v4, off, s[0:3], 0 offset:644
	buffer_store_dword v3, off, s[0:3], 0 offset:640
	;; [unrolled: 1-line block ×4, first 2 shown]
.LBB42_171:
	s_or_b32 exec_lo, exec_lo, s4
	v_mov_b32_e32 v4, s12
	s_waitcnt_vscnt null, 0x0
	s_barrier
	buffer_gl0_inv
	s_mov_b32 s4, exec_lo
	s_clause 0x3
	buffer_load_dword v1, v4, s[0:3], 0 offen
	buffer_load_dword v2, v4, s[0:3], 0 offen offset:4
	buffer_load_dword v3, v4, s[0:3], 0 offen offset:8
	;; [unrolled: 1-line block ×3, first 2 shown]
	s_waitcnt vmcnt(0)
	ds_write_b128 v5, v[1:4]
	s_waitcnt lgkmcnt(0)
	s_barrier
	buffer_gl0_inv
	v_cmpx_gt_u32_e32 40, v0
	s_cbranch_execz .LBB42_175
; %bb.172:
	v_mov_b32_e32 v1, 0
	v_mov_b32_e32 v3, 0
	v_add_nc_u32_e32 v7, -1, v0
	v_add_nc_u32_e32 v8, 0x2b0, v179
	v_mov_b32_e32 v2, 0
	v_mov_b32_e32 v4, 0
	v_add_nc_u32_e32 v9, 16, v179
	s_mov_b32 s5, 0
	.p2align	6
.LBB42_173:                             ; =>This Inner Loop Header: Depth=1
	s_clause 0x3
	buffer_load_dword v14, v9, s[0:3], 0 offen offset:8
	buffer_load_dword v15, v9, s[0:3], 0 offen offset:12
	buffer_load_dword v16, v9, s[0:3], 0 offen
	buffer_load_dword v17, v9, s[0:3], 0 offen offset:4
	ds_read_b128 v[10:13], v8
	v_add_nc_u32_e32 v7, 1, v7
	v_add_nc_u32_e32 v8, 16, v8
	;; [unrolled: 1-line block ×3, first 2 shown]
	v_cmp_lt_u32_e32 vcc_lo, 38, v7
	s_or_b32 s5, vcc_lo, s5
	s_waitcnt vmcnt(2) lgkmcnt(0)
	v_mul_f64 v[18:19], v[12:13], v[14:15]
	v_mul_f64 v[14:15], v[10:11], v[14:15]
	s_waitcnt vmcnt(0)
	v_fma_f64 v[10:11], v[10:11], v[16:17], -v[18:19]
	v_fma_f64 v[12:13], v[12:13], v[16:17], v[14:15]
	v_add_f64 v[3:4], v[3:4], v[10:11]
	v_add_f64 v[1:2], v[1:2], v[12:13]
	s_andn2_b32 exec_lo, exec_lo, s5
	s_cbranch_execnz .LBB42_173
; %bb.174:
	s_or_b32 exec_lo, exec_lo, s5
	v_mov_b32_e32 v7, 0
	ds_read_b128 v[7:10], v7 offset:640
	s_waitcnt lgkmcnt(0)
	v_mul_f64 v[11:12], v[1:2], v[9:10]
	v_mul_f64 v[9:10], v[3:4], v[9:10]
	v_fma_f64 v[3:4], v[3:4], v[7:8], -v[11:12]
	v_fma_f64 v[1:2], v[1:2], v[7:8], v[9:10]
	buffer_store_dword v4, off, s[0:3], 0 offset:660
	buffer_store_dword v3, off, s[0:3], 0 offset:656
	;; [unrolled: 1-line block ×4, first 2 shown]
.LBB42_175:
	s_or_b32 exec_lo, exec_lo, s4
	v_mov_b32_e32 v4, s9
	s_waitcnt_vscnt null, 0x0
	s_barrier
	buffer_gl0_inv
	s_mov_b32 s4, exec_lo
	s_clause 0x3
	buffer_load_dword v1, v4, s[0:3], 0 offen
	buffer_load_dword v2, v4, s[0:3], 0 offen offset:4
	buffer_load_dword v3, v4, s[0:3], 0 offen offset:8
	;; [unrolled: 1-line block ×3, first 2 shown]
	s_waitcnt vmcnt(0)
	ds_write_b128 v5, v[1:4]
	s_waitcnt lgkmcnt(0)
	s_barrier
	buffer_gl0_inv
	v_cmpx_gt_u32_e32 41, v0
	s_cbranch_execz .LBB42_179
; %bb.176:
	v_mov_b32_e32 v1, 0
	v_mov_b32_e32 v3, 0
	v_add_nc_u32_e32 v7, -1, v0
	v_add_nc_u32_e32 v8, 0x2b0, v179
	v_mov_b32_e32 v2, 0
	v_mov_b32_e32 v4, 0
	v_add_nc_u32_e32 v9, 16, v179
	s_mov_b32 s5, 0
	.p2align	6
.LBB42_177:                             ; =>This Inner Loop Header: Depth=1
	s_clause 0x3
	buffer_load_dword v14, v9, s[0:3], 0 offen offset:8
	buffer_load_dword v15, v9, s[0:3], 0 offen offset:12
	buffer_load_dword v16, v9, s[0:3], 0 offen
	buffer_load_dword v17, v9, s[0:3], 0 offen offset:4
	ds_read_b128 v[10:13], v8
	v_add_nc_u32_e32 v7, 1, v7
	v_add_nc_u32_e32 v8, 16, v8
	;; [unrolled: 1-line block ×3, first 2 shown]
	v_cmp_lt_u32_e32 vcc_lo, 39, v7
	s_or_b32 s5, vcc_lo, s5
	s_waitcnt vmcnt(2) lgkmcnt(0)
	v_mul_f64 v[18:19], v[12:13], v[14:15]
	v_mul_f64 v[14:15], v[10:11], v[14:15]
	s_waitcnt vmcnt(0)
	v_fma_f64 v[10:11], v[10:11], v[16:17], -v[18:19]
	v_fma_f64 v[12:13], v[12:13], v[16:17], v[14:15]
	v_add_f64 v[3:4], v[3:4], v[10:11]
	v_add_f64 v[1:2], v[1:2], v[12:13]
	s_andn2_b32 exec_lo, exec_lo, s5
	s_cbranch_execnz .LBB42_177
; %bb.178:
	s_or_b32 exec_lo, exec_lo, s5
	v_mov_b32_e32 v7, 0
	ds_read_b128 v[7:10], v7 offset:656
	s_waitcnt lgkmcnt(0)
	v_mul_f64 v[11:12], v[1:2], v[9:10]
	v_mul_f64 v[9:10], v[3:4], v[9:10]
	v_fma_f64 v[3:4], v[3:4], v[7:8], -v[11:12]
	v_fma_f64 v[1:2], v[1:2], v[7:8], v[9:10]
	buffer_store_dword v4, off, s[0:3], 0 offset:676
	buffer_store_dword v3, off, s[0:3], 0 offset:672
	;; [unrolled: 1-line block ×4, first 2 shown]
.LBB42_179:
	s_or_b32 exec_lo, exec_lo, s4
	v_mov_b32_e32 v4, s8
	s_waitcnt_vscnt null, 0x0
	s_barrier
	buffer_gl0_inv
	s_mov_b32 s4, exec_lo
	s_clause 0x3
	buffer_load_dword v1, v4, s[0:3], 0 offen
	buffer_load_dword v2, v4, s[0:3], 0 offen offset:4
	buffer_load_dword v3, v4, s[0:3], 0 offen offset:8
	;; [unrolled: 1-line block ×3, first 2 shown]
	s_waitcnt vmcnt(0)
	ds_write_b128 v5, v[1:4]
	s_waitcnt lgkmcnt(0)
	s_barrier
	buffer_gl0_inv
	v_cmpx_ne_u32_e32 42, v0
	s_cbranch_execz .LBB42_183
; %bb.180:
	v_mov_b32_e32 v1, 0
	v_mov_b32_e32 v3, 0
	;; [unrolled: 1-line block ×4, first 2 shown]
	v_add_nc_u32_e32 v7, 16, v179
	s_mov_b32 s5, 0
	.p2align	6
.LBB42_181:                             ; =>This Inner Loop Header: Depth=1
	s_clause 0x3
	buffer_load_dword v12, v7, s[0:3], 0 offen offset:8
	buffer_load_dword v13, v7, s[0:3], 0 offen offset:12
	buffer_load_dword v14, v7, s[0:3], 0 offen
	buffer_load_dword v15, v7, s[0:3], 0 offen offset:4
	ds_read_b128 v[8:11], v5
	v_add_nc_u32_e32 v6, 1, v6
	v_add_nc_u32_e32 v5, 16, v5
	;; [unrolled: 1-line block ×3, first 2 shown]
	v_cmp_lt_u32_e32 vcc_lo, 40, v6
	s_or_b32 s5, vcc_lo, s5
	s_waitcnt vmcnt(2) lgkmcnt(0)
	v_mul_f64 v[16:17], v[10:11], v[12:13]
	v_mul_f64 v[12:13], v[8:9], v[12:13]
	s_waitcnt vmcnt(0)
	v_fma_f64 v[8:9], v[8:9], v[14:15], -v[16:17]
	v_fma_f64 v[10:11], v[10:11], v[14:15], v[12:13]
	v_add_f64 v[3:4], v[3:4], v[8:9]
	v_add_f64 v[1:2], v[1:2], v[10:11]
	s_andn2_b32 exec_lo, exec_lo, s5
	s_cbranch_execnz .LBB42_181
; %bb.182:
	s_or_b32 exec_lo, exec_lo, s5
	v_mov_b32_e32 v5, 0
	ds_read_b128 v[5:8], v5 offset:672
	s_waitcnt lgkmcnt(0)
	v_mul_f64 v[9:10], v[1:2], v[7:8]
	v_mul_f64 v[7:8], v[3:4], v[7:8]
	v_fma_f64 v[3:4], v[3:4], v[5:6], -v[9:10]
	v_fma_f64 v[1:2], v[1:2], v[5:6], v[7:8]
	buffer_store_dword v4, off, s[0:3], 0 offset:692
	buffer_store_dword v3, off, s[0:3], 0 offset:688
	;; [unrolled: 1-line block ×4, first 2 shown]
.LBB42_183:
	s_or_b32 exec_lo, exec_lo, s4
	s_mov_b32 s5, -1
	s_waitcnt_vscnt null, 0x0
	s_barrier
	buffer_gl0_inv
.LBB42_184:
	s_and_b32 vcc_lo, exec_lo, s5
	s_cbranch_vccz .LBB42_186
; %bb.185:
	s_lshl_b64 s[4:5], s[6:7], 2
	v_mov_b32_e32 v1, 0
	s_add_u32 s4, s10, s4
	s_addc_u32 s5, s11, s5
	global_load_dword v1, v1, s[4:5]
	s_waitcnt vmcnt(0)
	v_cmp_ne_u32_e32 vcc_lo, 0, v1
	s_cbranch_vccz .LBB42_187
.LBB42_186:
	s_endpgm
.LBB42_187:
	v_lshl_add_u32 v61, v0, 4, 0x2b0
	s_mov_b32 s4, exec_lo
	v_cmpx_eq_u32_e32 42, v0
	s_cbranch_execz .LBB42_189
; %bb.188:
	v_mov_b32_e32 v4, s9
	v_mov_b32_e32 v5, 0
	s_clause 0x3
	buffer_load_dword v1, v4, s[0:3], 0 offen
	buffer_load_dword v2, v4, s[0:3], 0 offen offset:4
	buffer_load_dword v3, v4, s[0:3], 0 offen offset:8
	;; [unrolled: 1-line block ×3, first 2 shown]
	buffer_store_dword v5, off, s[0:3], 0 offset:672
	buffer_store_dword v5, off, s[0:3], 0 offset:676
	;; [unrolled: 1-line block ×4, first 2 shown]
	s_waitcnt vmcnt(0)
	ds_write_b128 v61, v[1:4]
.LBB42_189:
	s_or_b32 exec_lo, exec_lo, s4
	s_waitcnt lgkmcnt(0)
	s_waitcnt_vscnt null, 0x0
	s_barrier
	buffer_gl0_inv
	s_clause 0x7
	buffer_load_dword v6, off, s[0:3], 0 offset:696
	buffer_load_dword v7, off, s[0:3], 0 offset:700
	;; [unrolled: 1-line block ×8, first 2 shown]
	v_mov_b32_e32 v1, 0
	s_mov_b32 s4, exec_lo
	ds_read_b128 v[2:5], v1 offset:1360
	s_waitcnt vmcnt(6) lgkmcnt(0)
	v_mul_f64 v[14:15], v[4:5], v[6:7]
	v_mul_f64 v[6:7], v[2:3], v[6:7]
	s_waitcnt vmcnt(4)
	v_fma_f64 v[2:3], v[2:3], v[8:9], -v[14:15]
	v_fma_f64 v[4:5], v[4:5], v[8:9], v[6:7]
	v_add_f64 v[2:3], v[2:3], 0
	v_add_f64 v[4:5], v[4:5], 0
	s_waitcnt vmcnt(2)
	v_add_f64 v[2:3], v[10:11], -v[2:3]
	s_waitcnt vmcnt(0)
	v_add_f64 v[4:5], v[12:13], -v[4:5]
	buffer_store_dword v2, off, s[0:3], 0 offset:672
	buffer_store_dword v3, off, s[0:3], 0 offset:676
	;; [unrolled: 1-line block ×4, first 2 shown]
	v_cmpx_lt_u32_e32 40, v0
	s_cbranch_execz .LBB42_191
; %bb.190:
	v_mov_b32_e32 v5, s12
	s_clause 0x3
	buffer_load_dword v2, v5, s[0:3], 0 offen
	buffer_load_dword v3, v5, s[0:3], 0 offen offset:4
	buffer_load_dword v4, v5, s[0:3], 0 offen offset:8
	;; [unrolled: 1-line block ×3, first 2 shown]
	buffer_store_dword v1, off, s[0:3], 0 offset:656
	buffer_store_dword v1, off, s[0:3], 0 offset:660
	;; [unrolled: 1-line block ×4, first 2 shown]
	s_waitcnt vmcnt(0)
	ds_write_b128 v61, v[2:5]
.LBB42_191:
	s_or_b32 exec_lo, exec_lo, s4
	s_waitcnt lgkmcnt(0)
	s_waitcnt_vscnt null, 0x0
	s_barrier
	buffer_gl0_inv
	s_clause 0xb
	buffer_load_dword v10, off, s[0:3], 0 offset:680
	buffer_load_dword v11, off, s[0:3], 0 offset:684
	;; [unrolled: 1-line block ×12, first 2 shown]
	ds_read_b128 v[2:5], v1 offset:1344
	ds_read_b128 v[6:9], v1 offset:1360
	s_mov_b32 s4, exec_lo
	s_waitcnt vmcnt(10) lgkmcnt(1)
	v_mul_f64 v[22:23], v[4:5], v[10:11]
	v_mul_f64 v[10:11], v[2:3], v[10:11]
	s_waitcnt vmcnt(8) lgkmcnt(0)
	v_mul_f64 v[24:25], v[8:9], v[12:13]
	v_mul_f64 v[12:13], v[6:7], v[12:13]
	s_waitcnt vmcnt(6)
	v_fma_f64 v[1:2], v[2:3], v[14:15], -v[22:23]
	v_fma_f64 v[3:4], v[4:5], v[14:15], v[10:11]
	s_waitcnt vmcnt(4)
	v_fma_f64 v[5:6], v[6:7], v[16:17], -v[24:25]
	v_fma_f64 v[7:8], v[8:9], v[16:17], v[12:13]
	v_add_f64 v[1:2], v[1:2], 0
	v_add_f64 v[3:4], v[3:4], 0
	v_add_f64 v[1:2], v[1:2], v[5:6]
	v_add_f64 v[3:4], v[3:4], v[7:8]
	s_waitcnt vmcnt(2)
	v_add_f64 v[1:2], v[18:19], -v[1:2]
	s_waitcnt vmcnt(0)
	v_add_f64 v[3:4], v[20:21], -v[3:4]
	buffer_store_dword v1, off, s[0:3], 0 offset:656
	buffer_store_dword v2, off, s[0:3], 0 offset:660
	;; [unrolled: 1-line block ×4, first 2 shown]
	v_cmpx_lt_u32_e32 39, v0
	s_cbranch_execz .LBB42_193
; %bb.192:
	v_mov_b32_e32 v4, s13
	v_mov_b32_e32 v5, 0
	s_clause 0x3
	buffer_load_dword v1, v4, s[0:3], 0 offen
	buffer_load_dword v2, v4, s[0:3], 0 offen offset:4
	buffer_load_dword v3, v4, s[0:3], 0 offen offset:8
	;; [unrolled: 1-line block ×3, first 2 shown]
	buffer_store_dword v5, off, s[0:3], 0 offset:640
	buffer_store_dword v5, off, s[0:3], 0 offset:644
	;; [unrolled: 1-line block ×4, first 2 shown]
	s_waitcnt vmcnt(0)
	ds_write_b128 v61, v[1:4]
.LBB42_193:
	s_or_b32 exec_lo, exec_lo, s4
	s_waitcnt lgkmcnt(0)
	s_waitcnt_vscnt null, 0x0
	s_barrier
	buffer_gl0_inv
	s_clause 0xf
	buffer_load_dword v10, off, s[0:3], 0 offset:664
	buffer_load_dword v11, off, s[0:3], 0 offset:668
	;; [unrolled: 1-line block ×16, first 2 shown]
	v_mov_b32_e32 v1, 0
	ds_read_b128 v[2:5], v1 offset:1328
	ds_read_b128 v[6:9], v1 offset:1344
	s_mov_b32 s4, exec_lo
	s_waitcnt vmcnt(14) lgkmcnt(1)
	v_mul_f64 v[28:29], v[4:5], v[10:11]
	v_mul_f64 v[30:31], v[2:3], v[10:11]
	s_waitcnt vmcnt(12) lgkmcnt(0)
	v_mul_f64 v[32:33], v[8:9], v[14:15]
	ds_read_b128 v[10:13], v1 offset:1360
	v_mul_f64 v[14:15], v[6:7], v[14:15]
	s_waitcnt vmcnt(10)
	v_fma_f64 v[2:3], v[2:3], v[16:17], -v[28:29]
	v_fma_f64 v[4:5], v[4:5], v[16:17], v[30:31]
	s_waitcnt vmcnt(8) lgkmcnt(0)
	v_mul_f64 v[16:17], v[10:11], v[18:19]
	v_mul_f64 v[18:19], v[12:13], v[18:19]
	s_waitcnt vmcnt(6)
	v_fma_f64 v[6:7], v[6:7], v[20:21], -v[32:33]
	v_fma_f64 v[8:9], v[8:9], v[20:21], v[14:15]
	v_add_f64 v[2:3], v[2:3], 0
	v_add_f64 v[4:5], v[4:5], 0
	s_waitcnt vmcnt(4)
	v_fma_f64 v[10:11], v[10:11], v[22:23], -v[18:19]
	v_add_f64 v[2:3], v[2:3], v[6:7]
	v_fma_f64 v[6:7], v[12:13], v[22:23], v[16:17]
	v_add_f64 v[4:5], v[4:5], v[8:9]
	v_add_f64 v[2:3], v[2:3], v[10:11]
	;; [unrolled: 1-line block ×3, first 2 shown]
	s_waitcnt vmcnt(2)
	v_add_f64 v[2:3], v[24:25], -v[2:3]
	s_waitcnt vmcnt(0)
	v_add_f64 v[4:5], v[26:27], -v[4:5]
	buffer_store_dword v2, off, s[0:3], 0 offset:640
	buffer_store_dword v3, off, s[0:3], 0 offset:644
	;; [unrolled: 1-line block ×4, first 2 shown]
	v_cmpx_lt_u32_e32 38, v0
	s_cbranch_execz .LBB42_195
; %bb.194:
	v_mov_b32_e32 v5, s14
	s_clause 0x3
	buffer_load_dword v2, v5, s[0:3], 0 offen
	buffer_load_dword v3, v5, s[0:3], 0 offen offset:4
	buffer_load_dword v4, v5, s[0:3], 0 offen offset:8
	;; [unrolled: 1-line block ×3, first 2 shown]
	buffer_store_dword v1, off, s[0:3], 0 offset:624
	buffer_store_dword v1, off, s[0:3], 0 offset:628
	;; [unrolled: 1-line block ×4, first 2 shown]
	s_waitcnt vmcnt(0)
	ds_write_b128 v61, v[2:5]
.LBB42_195:
	s_or_b32 exec_lo, exec_lo, s4
	s_waitcnt lgkmcnt(0)
	s_waitcnt_vscnt null, 0x0
	s_barrier
	buffer_gl0_inv
	s_clause 0x13
	buffer_load_dword v10, off, s[0:3], 0 offset:648
	buffer_load_dword v11, off, s[0:3], 0 offset:652
	;; [unrolled: 1-line block ×20, first 2 shown]
	ds_read_b128 v[2:5], v1 offset:1312
	ds_read_b128 v[6:9], v1 offset:1328
	s_mov_b32 s4, exec_lo
	s_waitcnt vmcnt(18) lgkmcnt(1)
	v_mul_f64 v[32:33], v[4:5], v[10:11]
	v_mul_f64 v[34:35], v[2:3], v[10:11]
	s_waitcnt vmcnt(16) lgkmcnt(0)
	v_mul_f64 v[36:37], v[8:9], v[14:15]
	ds_read_b128 v[10:13], v1 offset:1344
	v_mul_f64 v[14:15], v[6:7], v[14:15]
	s_waitcnt vmcnt(14)
	v_fma_f64 v[32:33], v[2:3], v[16:17], -v[32:33]
	v_fma_f64 v[16:17], v[4:5], v[16:17], v[34:35]
	s_waitcnt vmcnt(12) lgkmcnt(0)
	v_mul_f64 v[34:35], v[10:11], v[18:19]
	v_mul_f64 v[18:19], v[12:13], v[18:19]
	s_waitcnt vmcnt(10)
	v_fma_f64 v[5:6], v[6:7], v[20:21], -v[36:37]
	ds_read_b128 v[1:4], v1 offset:1360
	v_fma_f64 v[7:8], v[8:9], v[20:21], v[14:15]
	v_add_f64 v[32:33], v[32:33], 0
	v_add_f64 v[14:15], v[16:17], 0
	s_waitcnt vmcnt(8) lgkmcnt(0)
	v_mul_f64 v[20:21], v[3:4], v[22:23]
	s_waitcnt vmcnt(6)
	v_fma_f64 v[9:10], v[10:11], v[24:25], -v[18:19]
	v_mul_f64 v[16:17], v[1:2], v[22:23]
	v_fma_f64 v[11:12], v[12:13], v[24:25], v[34:35]
	v_add_f64 v[5:6], v[32:33], v[5:6]
	v_add_f64 v[7:8], v[14:15], v[7:8]
	s_waitcnt vmcnt(4)
	v_fma_f64 v[1:2], v[1:2], v[26:27], -v[20:21]
	v_fma_f64 v[3:4], v[3:4], v[26:27], v[16:17]
	v_add_f64 v[5:6], v[5:6], v[9:10]
	v_add_f64 v[7:8], v[7:8], v[11:12]
	;; [unrolled: 1-line block ×4, first 2 shown]
	s_waitcnt vmcnt(2)
	v_add_f64 v[1:2], v[28:29], -v[1:2]
	s_waitcnt vmcnt(0)
	v_add_f64 v[3:4], v[30:31], -v[3:4]
	buffer_store_dword v1, off, s[0:3], 0 offset:624
	buffer_store_dword v2, off, s[0:3], 0 offset:628
	buffer_store_dword v3, off, s[0:3], 0 offset:632
	buffer_store_dword v4, off, s[0:3], 0 offset:636
	v_cmpx_lt_u32_e32 37, v0
	s_cbranch_execz .LBB42_197
; %bb.196:
	v_mov_b32_e32 v4, s15
	v_mov_b32_e32 v5, 0
	s_clause 0x3
	buffer_load_dword v1, v4, s[0:3], 0 offen
	buffer_load_dword v2, v4, s[0:3], 0 offen offset:4
	buffer_load_dword v3, v4, s[0:3], 0 offen offset:8
	;; [unrolled: 1-line block ×3, first 2 shown]
	buffer_store_dword v5, off, s[0:3], 0 offset:608
	buffer_store_dword v5, off, s[0:3], 0 offset:612
	;; [unrolled: 1-line block ×4, first 2 shown]
	s_waitcnt vmcnt(0)
	ds_write_b128 v61, v[1:4]
.LBB42_197:
	s_or_b32 exec_lo, exec_lo, s4
	s_waitcnt lgkmcnt(0)
	s_waitcnt_vscnt null, 0x0
	s_barrier
	buffer_gl0_inv
	s_clause 0x17
	buffer_load_dword v10, off, s[0:3], 0 offset:632
	buffer_load_dword v11, off, s[0:3], 0 offset:636
	;; [unrolled: 1-line block ×24, first 2 shown]
	v_mov_b32_e32 v1, 0
	ds_read_b128 v[2:5], v1 offset:1296
	ds_read_b128 v[6:9], v1 offset:1312
	s_mov_b32 s4, exec_lo
	s_waitcnt vmcnt(22) lgkmcnt(1)
	v_mul_f64 v[36:37], v[4:5], v[10:11]
	v_mul_f64 v[38:39], v[2:3], v[10:11]
	s_waitcnt vmcnt(20) lgkmcnt(0)
	v_mul_f64 v[40:41], v[8:9], v[14:15]
	ds_read_b128 v[10:13], v1 offset:1328
	v_mul_f64 v[14:15], v[6:7], v[14:15]
	s_waitcnt vmcnt(18)
	v_fma_f64 v[36:37], v[2:3], v[16:17], -v[36:37]
	v_fma_f64 v[16:17], v[4:5], v[16:17], v[38:39]
	ds_read_b128 v[2:5], v1 offset:1344
	s_waitcnt vmcnt(16) lgkmcnt(1)
	v_mul_f64 v[38:39], v[10:11], v[18:19]
	v_mul_f64 v[18:19], v[12:13], v[18:19]
	s_waitcnt vmcnt(14)
	v_fma_f64 v[40:41], v[6:7], v[20:21], -v[40:41]
	v_fma_f64 v[14:15], v[8:9], v[20:21], v[14:15]
	ds_read_b128 v[6:9], v1 offset:1360
	s_waitcnt vmcnt(10) lgkmcnt(1)
	v_mul_f64 v[20:21], v[2:3], v[22:23]
	v_add_f64 v[36:37], v[36:37], 0
	v_add_f64 v[16:17], v[16:17], 0
	v_mul_f64 v[22:23], v[4:5], v[22:23]
	s_waitcnt vmcnt(8)
	v_fma_f64 v[10:11], v[10:11], v[28:29], -v[18:19]
	v_fma_f64 v[12:13], v[12:13], v[28:29], v[38:39]
	s_waitcnt vmcnt(5)
	v_fma_f64 v[4:5], v[4:5], v[30:31], v[20:21]
	v_add_f64 v[18:19], v[36:37], v[40:41]
	v_add_f64 v[14:15], v[16:17], v[14:15]
	s_waitcnt lgkmcnt(0)
	v_mul_f64 v[16:17], v[6:7], v[24:25]
	v_mul_f64 v[24:25], v[8:9], v[24:25]
	v_fma_f64 v[2:3], v[2:3], v[30:31], -v[22:23]
	v_add_f64 v[10:11], v[18:19], v[10:11]
	v_add_f64 v[12:13], v[14:15], v[12:13]
	s_waitcnt vmcnt(4)
	v_fma_f64 v[8:9], v[8:9], v[26:27], v[16:17]
	v_fma_f64 v[6:7], v[6:7], v[26:27], -v[24:25]
	v_add_f64 v[2:3], v[10:11], v[2:3]
	v_add_f64 v[4:5], v[12:13], v[4:5]
	;; [unrolled: 1-line block ×4, first 2 shown]
	s_waitcnt vmcnt(2)
	v_add_f64 v[2:3], v[32:33], -v[2:3]
	s_waitcnt vmcnt(0)
	v_add_f64 v[4:5], v[34:35], -v[4:5]
	buffer_store_dword v3, off, s[0:3], 0 offset:612
	buffer_store_dword v2, off, s[0:3], 0 offset:608
	;; [unrolled: 1-line block ×4, first 2 shown]
	v_cmpx_lt_u32_e32 36, v0
	s_cbranch_execz .LBB42_199
; %bb.198:
	v_mov_b32_e32 v5, s16
	s_clause 0x3
	buffer_load_dword v2, v5, s[0:3], 0 offen
	buffer_load_dword v3, v5, s[0:3], 0 offen offset:4
	buffer_load_dword v4, v5, s[0:3], 0 offen offset:8
	;; [unrolled: 1-line block ×3, first 2 shown]
	buffer_store_dword v1, off, s[0:3], 0 offset:592
	buffer_store_dword v1, off, s[0:3], 0 offset:596
	;; [unrolled: 1-line block ×4, first 2 shown]
	s_waitcnt vmcnt(0)
	ds_write_b128 v61, v[2:5]
.LBB42_199:
	s_or_b32 exec_lo, exec_lo, s4
	s_waitcnt lgkmcnt(0)
	s_waitcnt_vscnt null, 0x0
	s_barrier
	buffer_gl0_inv
	s_clause 0x1b
	buffer_load_dword v10, off, s[0:3], 0 offset:616
	buffer_load_dword v11, off, s[0:3], 0 offset:620
	;; [unrolled: 1-line block ×28, first 2 shown]
	ds_read_b128 v[2:5], v1 offset:1280
	ds_read_b128 v[6:9], v1 offset:1296
	s_mov_b32 s4, exec_lo
	s_waitcnt vmcnt(26) lgkmcnt(1)
	v_mul_f64 v[40:41], v[4:5], v[10:11]
	v_mul_f64 v[42:43], v[2:3], v[10:11]
	s_waitcnt vmcnt(24) lgkmcnt(0)
	v_mul_f64 v[44:45], v[8:9], v[14:15]
	ds_read_b128 v[10:13], v1 offset:1312
	v_mul_f64 v[14:15], v[6:7], v[14:15]
	s_waitcnt vmcnt(22)
	v_fma_f64 v[40:41], v[2:3], v[16:17], -v[40:41]
	v_fma_f64 v[16:17], v[4:5], v[16:17], v[42:43]
	ds_read_b128 v[2:5], v1 offset:1328
	s_waitcnt vmcnt(20) lgkmcnt(1)
	v_mul_f64 v[42:43], v[10:11], v[18:19]
	v_mul_f64 v[18:19], v[12:13], v[18:19]
	s_waitcnt vmcnt(18)
	v_fma_f64 v[44:45], v[6:7], v[20:21], -v[44:45]
	v_fma_f64 v[14:15], v[8:9], v[20:21], v[14:15]
	ds_read_b128 v[6:9], v1 offset:1344
	s_waitcnt vmcnt(14) lgkmcnt(1)
	v_mul_f64 v[20:21], v[2:3], v[22:23]
	v_add_f64 v[40:41], v[40:41], 0
	v_add_f64 v[16:17], v[16:17], 0
	v_mul_f64 v[22:23], v[4:5], v[22:23]
	s_waitcnt vmcnt(12)
	v_fma_f64 v[18:19], v[10:11], v[28:29], -v[18:19]
	v_fma_f64 v[28:29], v[12:13], v[28:29], v[42:43]
	ds_read_b128 v[10:13], v1 offset:1360
	v_add_f64 v[40:41], v[40:41], v[44:45]
	v_add_f64 v[14:15], v[16:17], v[14:15]
	s_waitcnt vmcnt(11) lgkmcnt(1)
	v_mul_f64 v[16:17], v[6:7], v[24:25]
	v_mul_f64 v[24:25], v[8:9], v[24:25]
	s_waitcnt vmcnt(9)
	v_fma_f64 v[1:2], v[2:3], v[30:31], -v[22:23]
	v_fma_f64 v[3:4], v[4:5], v[30:31], v[20:21]
	s_waitcnt vmcnt(7) lgkmcnt(0)
	v_mul_f64 v[22:23], v[12:13], v[32:33]
	v_mul_f64 v[20:21], v[10:11], v[32:33]
	v_add_f64 v[18:19], v[40:41], v[18:19]
	v_add_f64 v[14:15], v[14:15], v[28:29]
	s_waitcnt vmcnt(6)
	v_fma_f64 v[5:6], v[6:7], v[26:27], -v[24:25]
	v_fma_f64 v[7:8], v[8:9], v[26:27], v[16:17]
	s_waitcnt vmcnt(4)
	v_fma_f64 v[9:10], v[10:11], v[34:35], -v[22:23]
	v_add_f64 v[1:2], v[18:19], v[1:2]
	v_add_f64 v[3:4], v[14:15], v[3:4]
	;; [unrolled: 1-line block ×3, first 2 shown]
	v_fma_f64 v[5:6], v[12:13], v[34:35], v[20:21]
	v_add_f64 v[3:4], v[3:4], v[7:8]
	v_add_f64 v[1:2], v[1:2], v[9:10]
	;; [unrolled: 1-line block ×3, first 2 shown]
	s_waitcnt vmcnt(2)
	v_add_f64 v[1:2], v[36:37], -v[1:2]
	s_waitcnt vmcnt(0)
	v_add_f64 v[3:4], v[38:39], -v[3:4]
	buffer_store_dword v2, off, s[0:3], 0 offset:596
	buffer_store_dword v1, off, s[0:3], 0 offset:592
	;; [unrolled: 1-line block ×4, first 2 shown]
	v_cmpx_lt_u32_e32 35, v0
	s_cbranch_execz .LBB42_201
; %bb.200:
	v_mov_b32_e32 v4, s17
	v_mov_b32_e32 v5, 0
	s_clause 0x3
	buffer_load_dword v1, v4, s[0:3], 0 offen
	buffer_load_dword v2, v4, s[0:3], 0 offen offset:4
	buffer_load_dword v3, v4, s[0:3], 0 offen offset:8
	;; [unrolled: 1-line block ×3, first 2 shown]
	buffer_store_dword v5, off, s[0:3], 0 offset:576
	buffer_store_dword v5, off, s[0:3], 0 offset:580
	;; [unrolled: 1-line block ×4, first 2 shown]
	s_waitcnt vmcnt(0)
	ds_write_b128 v61, v[1:4]
.LBB42_201:
	s_or_b32 exec_lo, exec_lo, s4
	s_waitcnt lgkmcnt(0)
	s_waitcnt_vscnt null, 0x0
	s_barrier
	buffer_gl0_inv
	s_clause 0x1f
	buffer_load_dword v10, off, s[0:3], 0 offset:600
	buffer_load_dword v11, off, s[0:3], 0 offset:604
	;; [unrolled: 1-line block ×32, first 2 shown]
	v_mov_b32_e32 v1, 0
	ds_read_b128 v[2:5], v1 offset:1264
	ds_read_b128 v[6:9], v1 offset:1280
	s_mov_b32 s4, exec_lo
	s_waitcnt vmcnt(30) lgkmcnt(1)
	v_mul_f64 v[44:45], v[4:5], v[10:11]
	v_mul_f64 v[46:47], v[2:3], v[10:11]
	s_waitcnt vmcnt(28) lgkmcnt(0)
	v_mul_f64 v[48:49], v[8:9], v[14:15]
	ds_read_b128 v[10:13], v1 offset:1296
	v_mul_f64 v[14:15], v[6:7], v[14:15]
	s_waitcnt vmcnt(26)
	v_fma_f64 v[44:45], v[2:3], v[16:17], -v[44:45]
	v_fma_f64 v[16:17], v[4:5], v[16:17], v[46:47]
	ds_read_b128 v[2:5], v1 offset:1312
	s_waitcnt vmcnt(24) lgkmcnt(1)
	v_mul_f64 v[46:47], v[10:11], v[18:19]
	v_mul_f64 v[18:19], v[12:13], v[18:19]
	s_waitcnt vmcnt(22)
	v_fma_f64 v[48:49], v[6:7], v[20:21], -v[48:49]
	v_fma_f64 v[14:15], v[8:9], v[20:21], v[14:15]
	ds_read_b128 v[6:9], v1 offset:1328
	s_waitcnt vmcnt(18) lgkmcnt(1)
	v_mul_f64 v[20:21], v[2:3], v[22:23]
	v_add_f64 v[44:45], v[44:45], 0
	v_add_f64 v[16:17], v[16:17], 0
	v_mul_f64 v[22:23], v[4:5], v[22:23]
	s_waitcnt vmcnt(16)
	v_fma_f64 v[18:19], v[10:11], v[28:29], -v[18:19]
	v_fma_f64 v[28:29], v[12:13], v[28:29], v[46:47]
	ds_read_b128 v[10:13], v1 offset:1344
	s_waitcnt vmcnt(13)
	v_fma_f64 v[20:21], v[4:5], v[30:31], v[20:21]
	v_add_f64 v[44:45], v[44:45], v[48:49]
	v_add_f64 v[14:15], v[16:17], v[14:15]
	s_waitcnt lgkmcnt(1)
	v_mul_f64 v[16:17], v[6:7], v[24:25]
	v_mul_f64 v[24:25], v[8:9], v[24:25]
	v_fma_f64 v[22:23], v[2:3], v[30:31], -v[22:23]
	s_waitcnt vmcnt(9) lgkmcnt(0)
	v_mul_f64 v[30:31], v[12:13], v[32:33]
	ds_read_b128 v[2:5], v1 offset:1360
	v_add_f64 v[18:19], v[44:45], v[18:19]
	v_add_f64 v[14:15], v[14:15], v[28:29]
	v_mul_f64 v[28:29], v[10:11], v[32:33]
	s_waitcnt vmcnt(8)
	v_fma_f64 v[6:7], v[6:7], v[26:27], -v[24:25]
	v_fma_f64 v[8:9], v[8:9], v[26:27], v[16:17]
	s_waitcnt vmcnt(5)
	v_fma_f64 v[10:11], v[10:11], v[38:39], -v[30:31]
	s_waitcnt lgkmcnt(0)
	v_mul_f64 v[16:17], v[2:3], v[34:35]
	v_add_f64 v[18:19], v[18:19], v[22:23]
	v_add_f64 v[14:15], v[14:15], v[20:21]
	v_mul_f64 v[20:21], v[4:5], v[34:35]
	v_fma_f64 v[12:13], v[12:13], v[38:39], v[28:29]
	s_waitcnt vmcnt(4)
	v_fma_f64 v[4:5], v[4:5], v[36:37], v[16:17]
	v_add_f64 v[6:7], v[18:19], v[6:7]
	v_add_f64 v[8:9], v[14:15], v[8:9]
	v_fma_f64 v[2:3], v[2:3], v[36:37], -v[20:21]
	v_add_f64 v[6:7], v[6:7], v[10:11]
	v_add_f64 v[8:9], v[8:9], v[12:13]
	;; [unrolled: 1-line block ×4, first 2 shown]
	s_waitcnt vmcnt(2)
	v_add_f64 v[2:3], v[40:41], -v[2:3]
	s_waitcnt vmcnt(0)
	v_add_f64 v[4:5], v[42:43], -v[4:5]
	buffer_store_dword v3, off, s[0:3], 0 offset:580
	buffer_store_dword v2, off, s[0:3], 0 offset:576
	;; [unrolled: 1-line block ×4, first 2 shown]
	v_cmpx_lt_u32_e32 34, v0
	s_cbranch_execz .LBB42_203
; %bb.202:
	v_mov_b32_e32 v5, s18
	s_clause 0x3
	buffer_load_dword v2, v5, s[0:3], 0 offen
	buffer_load_dword v3, v5, s[0:3], 0 offen offset:4
	buffer_load_dword v4, v5, s[0:3], 0 offen offset:8
	;; [unrolled: 1-line block ×3, first 2 shown]
	buffer_store_dword v1, off, s[0:3], 0 offset:560
	buffer_store_dword v1, off, s[0:3], 0 offset:564
	;; [unrolled: 1-line block ×4, first 2 shown]
	s_waitcnt vmcnt(0)
	ds_write_b128 v61, v[2:5]
.LBB42_203:
	s_or_b32 exec_lo, exec_lo, s4
	s_waitcnt lgkmcnt(0)
	s_waitcnt_vscnt null, 0x0
	s_barrier
	buffer_gl0_inv
	s_clause 0x23
	buffer_load_dword v10, off, s[0:3], 0 offset:584
	buffer_load_dword v11, off, s[0:3], 0 offset:588
	;; [unrolled: 1-line block ×36, first 2 shown]
	ds_read_b128 v[2:5], v1 offset:1248
	ds_read_b128 v[6:9], v1 offset:1264
	s_mov_b32 s4, exec_lo
	s_waitcnt vmcnt(34) lgkmcnt(1)
	v_mul_f64 v[48:49], v[4:5], v[10:11]
	v_mul_f64 v[50:51], v[2:3], v[10:11]
	s_waitcnt vmcnt(32) lgkmcnt(0)
	v_mul_f64 v[52:53], v[8:9], v[14:15]
	ds_read_b128 v[10:13], v1 offset:1280
	v_mul_f64 v[14:15], v[6:7], v[14:15]
	s_waitcnt vmcnt(30)
	v_fma_f64 v[48:49], v[2:3], v[16:17], -v[48:49]
	v_fma_f64 v[16:17], v[4:5], v[16:17], v[50:51]
	ds_read_b128 v[2:5], v1 offset:1296
	s_waitcnt vmcnt(28) lgkmcnt(1)
	v_mul_f64 v[50:51], v[10:11], v[18:19]
	v_mul_f64 v[18:19], v[12:13], v[18:19]
	s_waitcnt vmcnt(26)
	v_fma_f64 v[52:53], v[6:7], v[20:21], -v[52:53]
	v_fma_f64 v[14:15], v[8:9], v[20:21], v[14:15]
	ds_read_b128 v[6:9], v1 offset:1312
	s_waitcnt vmcnt(22) lgkmcnt(1)
	v_mul_f64 v[20:21], v[2:3], v[22:23]
	v_add_f64 v[48:49], v[48:49], 0
	v_add_f64 v[16:17], v[16:17], 0
	v_mul_f64 v[22:23], v[4:5], v[22:23]
	s_waitcnt vmcnt(20)
	v_fma_f64 v[18:19], v[10:11], v[28:29], -v[18:19]
	v_fma_f64 v[28:29], v[12:13], v[28:29], v[50:51]
	ds_read_b128 v[10:13], v1 offset:1328
	s_waitcnt vmcnt(17)
	v_fma_f64 v[20:21], v[4:5], v[30:31], v[20:21]
	v_add_f64 v[48:49], v[48:49], v[52:53]
	v_add_f64 v[14:15], v[16:17], v[14:15]
	s_waitcnt lgkmcnt(1)
	v_mul_f64 v[16:17], v[6:7], v[24:25]
	v_mul_f64 v[24:25], v[8:9], v[24:25]
	v_fma_f64 v[22:23], v[2:3], v[30:31], -v[22:23]
	s_waitcnt vmcnt(13) lgkmcnt(0)
	v_mul_f64 v[30:31], v[12:13], v[32:33]
	ds_read_b128 v[2:5], v1 offset:1344
	v_add_f64 v[18:19], v[48:49], v[18:19]
	v_add_f64 v[14:15], v[14:15], v[28:29]
	v_mul_f64 v[28:29], v[10:11], v[32:33]
	s_waitcnt vmcnt(12)
	v_fma_f64 v[24:25], v[6:7], v[26:27], -v[24:25]
	v_fma_f64 v[16:17], v[8:9], v[26:27], v[16:17]
	ds_read_b128 v[6:9], v1 offset:1360
	s_waitcnt vmcnt(9)
	v_fma_f64 v[10:11], v[10:11], v[38:39], -v[30:31]
	v_add_f64 v[18:19], v[18:19], v[22:23]
	v_add_f64 v[14:15], v[14:15], v[20:21]
	s_waitcnt lgkmcnt(1)
	v_mul_f64 v[22:23], v[4:5], v[34:35]
	v_mul_f64 v[20:21], v[2:3], v[34:35]
	v_fma_f64 v[12:13], v[12:13], v[38:39], v[28:29]
	v_add_f64 v[18:19], v[18:19], v[24:25]
	v_add_f64 v[14:15], v[14:15], v[16:17]
	s_waitcnt vmcnt(7) lgkmcnt(0)
	v_mul_f64 v[24:25], v[8:9], v[40:41]
	s_waitcnt vmcnt(6)
	v_fma_f64 v[1:2], v[2:3], v[36:37], -v[22:23]
	v_mul_f64 v[16:17], v[6:7], v[40:41]
	v_fma_f64 v[3:4], v[4:5], v[36:37], v[20:21]
	v_add_f64 v[10:11], v[18:19], v[10:11]
	v_add_f64 v[12:13], v[14:15], v[12:13]
	s_waitcnt vmcnt(4)
	v_fma_f64 v[5:6], v[6:7], v[42:43], -v[24:25]
	v_fma_f64 v[7:8], v[8:9], v[42:43], v[16:17]
	v_add_f64 v[1:2], v[10:11], v[1:2]
	v_add_f64 v[3:4], v[12:13], v[3:4]
	;; [unrolled: 1-line block ×4, first 2 shown]
	s_waitcnt vmcnt(2)
	v_add_f64 v[1:2], v[44:45], -v[1:2]
	s_waitcnt vmcnt(0)
	v_add_f64 v[3:4], v[46:47], -v[3:4]
	buffer_store_dword v2, off, s[0:3], 0 offset:564
	buffer_store_dword v1, off, s[0:3], 0 offset:560
	;; [unrolled: 1-line block ×4, first 2 shown]
	v_cmpx_lt_u32_e32 33, v0
	s_cbranch_execz .LBB42_205
; %bb.204:
	v_mov_b32_e32 v4, s19
	v_mov_b32_e32 v5, 0
	s_clause 0x3
	buffer_load_dword v1, v4, s[0:3], 0 offen
	buffer_load_dword v2, v4, s[0:3], 0 offen offset:4
	buffer_load_dword v3, v4, s[0:3], 0 offen offset:8
	;; [unrolled: 1-line block ×3, first 2 shown]
	buffer_store_dword v5, off, s[0:3], 0 offset:544
	buffer_store_dword v5, off, s[0:3], 0 offset:548
	buffer_store_dword v5, off, s[0:3], 0 offset:552
	buffer_store_dword v5, off, s[0:3], 0 offset:556
	s_waitcnt vmcnt(0)
	ds_write_b128 v61, v[1:4]
.LBB42_205:
	s_or_b32 exec_lo, exec_lo, s4
	s_waitcnt lgkmcnt(0)
	s_waitcnt_vscnt null, 0x0
	s_barrier
	buffer_gl0_inv
	s_clause 0x27
	buffer_load_dword v10, off, s[0:3], 0 offset:568
	buffer_load_dword v11, off, s[0:3], 0 offset:572
	buffer_load_dword v14, off, s[0:3], 0 offset:584
	buffer_load_dword v15, off, s[0:3], 0 offset:588
	buffer_load_dword v16, off, s[0:3], 0 offset:560
	buffer_load_dword v17, off, s[0:3], 0 offset:564
	buffer_load_dword v18, off, s[0:3], 0 offset:600
	buffer_load_dword v19, off, s[0:3], 0 offset:604
	buffer_load_dword v20, off, s[0:3], 0 offset:576
	buffer_load_dword v21, off, s[0:3], 0 offset:580
	buffer_load_dword v23, off, s[0:3], 0 offset:620
	buffer_load_dword v24, off, s[0:3], 0 offset:632
	buffer_load_dword v26, off, s[0:3], 0 offset:624
	buffer_load_dword v22, off, s[0:3], 0 offset:616
	buffer_load_dword v28, off, s[0:3], 0 offset:592
	buffer_load_dword v29, off, s[0:3], 0 offset:596
	buffer_load_dword v25, off, s[0:3], 0 offset:636
	buffer_load_dword v31, off, s[0:3], 0 offset:612
	buffer_load_dword v30, off, s[0:3], 0 offset:608
	buffer_load_dword v33, off, s[0:3], 0 offset:652
	buffer_load_dword v34, off, s[0:3], 0 offset:664
	buffer_load_dword v36, off, s[0:3], 0 offset:656
	buffer_load_dword v32, off, s[0:3], 0 offset:648
	buffer_load_dword v27, off, s[0:3], 0 offset:628
	buffer_load_dword v35, off, s[0:3], 0 offset:668
	buffer_load_dword v39, off, s[0:3], 0 offset:644
	buffer_load_dword v38, off, s[0:3], 0 offset:640
	buffer_load_dword v41, off, s[0:3], 0 offset:684
	buffer_load_dword v42, off, s[0:3], 0 offset:696
	buffer_load_dword v44, off, s[0:3], 0 offset:688
	buffer_load_dword v40, off, s[0:3], 0 offset:680
	buffer_load_dword v37, off, s[0:3], 0 offset:660
	buffer_load_dword v43, off, s[0:3], 0 offset:700
	buffer_load_dword v47, off, s[0:3], 0 offset:676
	buffer_load_dword v46, off, s[0:3], 0 offset:672
	buffer_load_dword v45, off, s[0:3], 0 offset:692
	buffer_load_dword v48, off, s[0:3], 0 offset:544
	buffer_load_dword v49, off, s[0:3], 0 offset:548
	buffer_load_dword v50, off, s[0:3], 0 offset:552
	buffer_load_dword v51, off, s[0:3], 0 offset:556
	v_mov_b32_e32 v1, 0
	ds_read_b128 v[2:5], v1 offset:1232
	ds_read_b128 v[6:9], v1 offset:1248
	s_mov_b32 s4, exec_lo
	s_waitcnt vmcnt(38) lgkmcnt(1)
	v_mul_f64 v[52:53], v[4:5], v[10:11]
	v_mul_f64 v[54:55], v[2:3], v[10:11]
	s_waitcnt vmcnt(36) lgkmcnt(0)
	v_mul_f64 v[56:57], v[8:9], v[14:15]
	ds_read_b128 v[10:13], v1 offset:1264
	v_mul_f64 v[14:15], v[6:7], v[14:15]
	s_waitcnt vmcnt(34)
	v_fma_f64 v[52:53], v[2:3], v[16:17], -v[52:53]
	v_fma_f64 v[16:17], v[4:5], v[16:17], v[54:55]
	ds_read_b128 v[2:5], v1 offset:1280
	s_waitcnt vmcnt(32) lgkmcnt(1)
	v_mul_f64 v[54:55], v[10:11], v[18:19]
	v_mul_f64 v[18:19], v[12:13], v[18:19]
	s_waitcnt vmcnt(30)
	v_fma_f64 v[56:57], v[6:7], v[20:21], -v[56:57]
	v_fma_f64 v[14:15], v[8:9], v[20:21], v[14:15]
	ds_read_b128 v[6:9], v1 offset:1296
	s_waitcnt vmcnt(26) lgkmcnt(1)
	v_mul_f64 v[20:21], v[2:3], v[22:23]
	v_add_f64 v[52:53], v[52:53], 0
	v_add_f64 v[16:17], v[16:17], 0
	v_mul_f64 v[22:23], v[4:5], v[22:23]
	s_waitcnt vmcnt(24)
	v_fma_f64 v[18:19], v[10:11], v[28:29], -v[18:19]
	v_fma_f64 v[28:29], v[12:13], v[28:29], v[54:55]
	ds_read_b128 v[10:13], v1 offset:1312
	s_waitcnt vmcnt(21)
	v_fma_f64 v[20:21], v[4:5], v[30:31], v[20:21]
	v_add_f64 v[52:53], v[52:53], v[56:57]
	v_add_f64 v[14:15], v[16:17], v[14:15]
	s_waitcnt lgkmcnt(1)
	v_mul_f64 v[16:17], v[6:7], v[24:25]
	v_mul_f64 v[24:25], v[8:9], v[24:25]
	v_fma_f64 v[22:23], v[2:3], v[30:31], -v[22:23]
	s_waitcnt vmcnt(17) lgkmcnt(0)
	v_mul_f64 v[30:31], v[12:13], v[32:33]
	ds_read_b128 v[2:5], v1 offset:1328
	v_add_f64 v[18:19], v[52:53], v[18:19]
	v_add_f64 v[14:15], v[14:15], v[28:29]
	v_mul_f64 v[28:29], v[10:11], v[32:33]
	s_waitcnt vmcnt(16)
	v_fma_f64 v[24:25], v[6:7], v[26:27], -v[24:25]
	v_fma_f64 v[16:17], v[8:9], v[26:27], v[16:17]
	ds_read_b128 v[6:9], v1 offset:1344
	s_waitcnt vmcnt(13)
	v_fma_f64 v[26:27], v[10:11], v[38:39], -v[30:31]
	v_add_f64 v[18:19], v[18:19], v[22:23]
	v_add_f64 v[14:15], v[14:15], v[20:21]
	s_waitcnt lgkmcnt(1)
	v_mul_f64 v[22:23], v[4:5], v[34:35]
	v_mul_f64 v[20:21], v[2:3], v[34:35]
	v_add_f64 v[18:19], v[18:19], v[24:25]
	v_fma_f64 v[24:25], v[12:13], v[38:39], v[28:29]
	v_add_f64 v[14:15], v[14:15], v[16:17]
	s_waitcnt vmcnt(9) lgkmcnt(0)
	v_mul_f64 v[28:29], v[8:9], v[40:41]
	s_waitcnt vmcnt(8)
	v_fma_f64 v[2:3], v[2:3], v[36:37], -v[22:23]
	ds_read_b128 v[10:13], v1 offset:1360
	v_mul_f64 v[16:17], v[6:7], v[40:41]
	v_fma_f64 v[4:5], v[4:5], v[36:37], v[20:21]
	v_add_f64 v[18:19], v[18:19], v[26:27]
	v_add_f64 v[14:15], v[14:15], v[24:25]
	s_waitcnt vmcnt(7) lgkmcnt(0)
	v_mul_f64 v[22:23], v[12:13], v[42:43]
	s_waitcnt vmcnt(5)
	v_fma_f64 v[6:7], v[6:7], v[46:47], -v[28:29]
	v_mul_f64 v[20:21], v[10:11], v[42:43]
	v_fma_f64 v[8:9], v[8:9], v[46:47], v[16:17]
	v_add_f64 v[2:3], v[18:19], v[2:3]
	v_add_f64 v[4:5], v[14:15], v[4:5]
	s_waitcnt vmcnt(4)
	v_fma_f64 v[10:11], v[10:11], v[44:45], -v[22:23]
	v_add_f64 v[2:3], v[2:3], v[6:7]
	v_fma_f64 v[6:7], v[12:13], v[44:45], v[20:21]
	v_add_f64 v[4:5], v[4:5], v[8:9]
	v_add_f64 v[2:3], v[2:3], v[10:11]
	;; [unrolled: 1-line block ×3, first 2 shown]
	s_waitcnt vmcnt(2)
	v_add_f64 v[2:3], v[48:49], -v[2:3]
	s_waitcnt vmcnt(0)
	v_add_f64 v[4:5], v[50:51], -v[4:5]
	buffer_store_dword v3, off, s[0:3], 0 offset:548
	buffer_store_dword v2, off, s[0:3], 0 offset:544
	;; [unrolled: 1-line block ×4, first 2 shown]
	v_cmpx_lt_u32_e32 32, v0
	s_cbranch_execz .LBB42_207
; %bb.206:
	v_mov_b32_e32 v5, s22
	s_clause 0x3
	buffer_load_dword v2, v5, s[0:3], 0 offen
	buffer_load_dword v3, v5, s[0:3], 0 offen offset:4
	buffer_load_dword v4, v5, s[0:3], 0 offen offset:8
	;; [unrolled: 1-line block ×3, first 2 shown]
	buffer_store_dword v1, off, s[0:3], 0 offset:528
	buffer_store_dword v1, off, s[0:3], 0 offset:532
	;; [unrolled: 1-line block ×4, first 2 shown]
	s_waitcnt vmcnt(0)
	ds_write_b128 v61, v[2:5]
.LBB42_207:
	s_or_b32 exec_lo, exec_lo, s4
	s_waitcnt lgkmcnt(0)
	s_waitcnt_vscnt null, 0x0
	s_barrier
	buffer_gl0_inv
	s_clause 0x2b
	buffer_load_dword v10, off, s[0:3], 0 offset:552
	buffer_load_dword v11, off, s[0:3], 0 offset:556
	;; [unrolled: 1-line block ×44, first 2 shown]
	ds_read_b128 v[2:5], v1 offset:1216
	ds_read_b128 v[6:9], v1 offset:1232
	s_mov_b32 s4, exec_lo
	s_waitcnt vmcnt(42) lgkmcnt(1)
	v_mul_f64 v[56:57], v[4:5], v[10:11]
	v_mul_f64 v[58:59], v[2:3], v[10:11]
	s_waitcnt vmcnt(40) lgkmcnt(0)
	v_mul_f64 v[62:63], v[8:9], v[14:15]
	ds_read_b128 v[10:13], v1 offset:1248
	v_mul_f64 v[14:15], v[6:7], v[14:15]
	s_waitcnt vmcnt(38)
	v_fma_f64 v[56:57], v[2:3], v[16:17], -v[56:57]
	v_fma_f64 v[16:17], v[4:5], v[16:17], v[58:59]
	ds_read_b128 v[2:5], v1 offset:1264
	s_waitcnt vmcnt(36) lgkmcnt(1)
	v_mul_f64 v[58:59], v[10:11], v[18:19]
	v_mul_f64 v[18:19], v[12:13], v[18:19]
	s_waitcnt vmcnt(34)
	v_fma_f64 v[62:63], v[6:7], v[20:21], -v[62:63]
	v_fma_f64 v[14:15], v[8:9], v[20:21], v[14:15]
	ds_read_b128 v[6:9], v1 offset:1280
	s_waitcnt vmcnt(30) lgkmcnt(1)
	v_mul_f64 v[20:21], v[2:3], v[22:23]
	v_add_f64 v[56:57], v[56:57], 0
	v_add_f64 v[16:17], v[16:17], 0
	v_mul_f64 v[22:23], v[4:5], v[22:23]
	s_waitcnt vmcnt(28)
	v_fma_f64 v[18:19], v[10:11], v[28:29], -v[18:19]
	v_fma_f64 v[28:29], v[12:13], v[28:29], v[58:59]
	ds_read_b128 v[10:13], v1 offset:1296
	s_waitcnt vmcnt(25)
	v_fma_f64 v[20:21], v[4:5], v[30:31], v[20:21]
	v_add_f64 v[56:57], v[56:57], v[62:63]
	v_add_f64 v[14:15], v[16:17], v[14:15]
	s_waitcnt lgkmcnt(1)
	v_mul_f64 v[16:17], v[6:7], v[24:25]
	v_mul_f64 v[24:25], v[8:9], v[24:25]
	v_fma_f64 v[22:23], v[2:3], v[30:31], -v[22:23]
	s_waitcnt vmcnt(21) lgkmcnt(0)
	v_mul_f64 v[30:31], v[12:13], v[32:33]
	ds_read_b128 v[2:5], v1 offset:1312
	v_add_f64 v[18:19], v[56:57], v[18:19]
	v_add_f64 v[14:15], v[14:15], v[28:29]
	v_mul_f64 v[28:29], v[10:11], v[32:33]
	s_waitcnt vmcnt(20)
	v_fma_f64 v[24:25], v[6:7], v[26:27], -v[24:25]
	v_fma_f64 v[16:17], v[8:9], v[26:27], v[16:17]
	ds_read_b128 v[6:9], v1 offset:1328
	s_waitcnt vmcnt(17)
	v_fma_f64 v[26:27], v[10:11], v[38:39], -v[30:31]
	v_add_f64 v[18:19], v[18:19], v[22:23]
	v_add_f64 v[14:15], v[14:15], v[20:21]
	s_waitcnt lgkmcnt(1)
	v_mul_f64 v[22:23], v[4:5], v[34:35]
	v_mul_f64 v[20:21], v[2:3], v[34:35]
	v_add_f64 v[18:19], v[18:19], v[24:25]
	v_fma_f64 v[24:25], v[12:13], v[38:39], v[28:29]
	v_add_f64 v[14:15], v[14:15], v[16:17]
	s_waitcnt vmcnt(13) lgkmcnt(0)
	v_mul_f64 v[28:29], v[8:9], v[40:41]
	s_waitcnt vmcnt(12)
	v_fma_f64 v[22:23], v[2:3], v[36:37], -v[22:23]
	ds_read_b128 v[10:13], v1 offset:1344
	v_mul_f64 v[16:17], v[6:7], v[40:41]
	v_fma_f64 v[20:21], v[4:5], v[36:37], v[20:21]
	ds_read_b128 v[1:4], v1 offset:1360
	v_add_f64 v[18:19], v[18:19], v[26:27]
	v_add_f64 v[14:15], v[14:15], v[24:25]
	s_waitcnt vmcnt(11) lgkmcnt(1)
	v_mul_f64 v[26:27], v[12:13], v[42:43]
	s_waitcnt vmcnt(9)
	v_fma_f64 v[5:6], v[6:7], v[46:47], -v[28:29]
	v_mul_f64 v[24:25], v[10:11], v[42:43]
	v_fma_f64 v[7:8], v[8:9], v[46:47], v[16:17]
	s_waitcnt vmcnt(7) lgkmcnt(0)
	v_mul_f64 v[16:17], v[1:2], v[48:49]
	v_add_f64 v[18:19], v[18:19], v[22:23]
	v_add_f64 v[14:15], v[14:15], v[20:21]
	v_mul_f64 v[20:21], v[3:4], v[48:49]
	s_waitcnt vmcnt(6)
	v_fma_f64 v[9:10], v[10:11], v[44:45], -v[26:27]
	v_fma_f64 v[11:12], v[12:13], v[44:45], v[24:25]
	s_waitcnt vmcnt(4)
	v_fma_f64 v[3:4], v[3:4], v[50:51], v[16:17]
	v_add_f64 v[5:6], v[18:19], v[5:6]
	v_add_f64 v[7:8], v[14:15], v[7:8]
	v_fma_f64 v[1:2], v[1:2], v[50:51], -v[20:21]
	v_add_f64 v[5:6], v[5:6], v[9:10]
	v_add_f64 v[7:8], v[7:8], v[11:12]
	v_add_f64 v[1:2], v[5:6], v[1:2]
	v_add_f64 v[3:4], v[7:8], v[3:4]
	s_waitcnt vmcnt(2)
	v_add_f64 v[1:2], v[52:53], -v[1:2]
	s_waitcnt vmcnt(0)
	v_add_f64 v[3:4], v[54:55], -v[3:4]
	buffer_store_dword v2, off, s[0:3], 0 offset:532
	buffer_store_dword v1, off, s[0:3], 0 offset:528
	;; [unrolled: 1-line block ×4, first 2 shown]
	v_cmpx_lt_u32_e32 31, v0
	s_cbranch_execz .LBB42_209
; %bb.208:
	v_mov_b32_e32 v4, s23
	v_mov_b32_e32 v5, 0
	s_clause 0x3
	buffer_load_dword v1, v4, s[0:3], 0 offen
	buffer_load_dword v2, v4, s[0:3], 0 offen offset:4
	buffer_load_dword v3, v4, s[0:3], 0 offen offset:8
	;; [unrolled: 1-line block ×3, first 2 shown]
	buffer_store_dword v5, off, s[0:3], 0 offset:512
	buffer_store_dword v5, off, s[0:3], 0 offset:516
	;; [unrolled: 1-line block ×4, first 2 shown]
	s_waitcnt vmcnt(0)
	ds_write_b128 v61, v[1:4]
.LBB42_209:
	s_or_b32 exec_lo, exec_lo, s4
	s_waitcnt lgkmcnt(0)
	s_waitcnt_vscnt null, 0x0
	s_barrier
	buffer_gl0_inv
	s_clause 0x2f
	buffer_load_dword v10, off, s[0:3], 0 offset:536
	buffer_load_dword v11, off, s[0:3], 0 offset:540
	buffer_load_dword v14, off, s[0:3], 0 offset:552
	buffer_load_dword v15, off, s[0:3], 0 offset:556
	buffer_load_dword v16, off, s[0:3], 0 offset:528
	buffer_load_dword v17, off, s[0:3], 0 offset:532
	buffer_load_dword v18, off, s[0:3], 0 offset:568
	buffer_load_dword v19, off, s[0:3], 0 offset:572
	buffer_load_dword v20, off, s[0:3], 0 offset:544
	buffer_load_dword v21, off, s[0:3], 0 offset:548
	buffer_load_dword v23, off, s[0:3], 0 offset:588
	buffer_load_dword v24, off, s[0:3], 0 offset:600
	buffer_load_dword v26, off, s[0:3], 0 offset:592
	buffer_load_dword v22, off, s[0:3], 0 offset:584
	buffer_load_dword v28, off, s[0:3], 0 offset:560
	buffer_load_dword v29, off, s[0:3], 0 offset:564
	buffer_load_dword v25, off, s[0:3], 0 offset:604
	buffer_load_dword v31, off, s[0:3], 0 offset:580
	buffer_load_dword v30, off, s[0:3], 0 offset:576
	buffer_load_dword v33, off, s[0:3], 0 offset:620
	buffer_load_dword v34, off, s[0:3], 0 offset:632
	buffer_load_dword v36, off, s[0:3], 0 offset:624
	buffer_load_dword v32, off, s[0:3], 0 offset:616
	buffer_load_dword v27, off, s[0:3], 0 offset:596
	buffer_load_dword v35, off, s[0:3], 0 offset:636
	buffer_load_dword v39, off, s[0:3], 0 offset:612
	buffer_load_dword v38, off, s[0:3], 0 offset:608
	buffer_load_dword v41, off, s[0:3], 0 offset:652
	buffer_load_dword v42, off, s[0:3], 0 offset:664
	buffer_load_dword v44, off, s[0:3], 0 offset:656
	buffer_load_dword v40, off, s[0:3], 0 offset:648
	buffer_load_dword v37, off, s[0:3], 0 offset:628
	buffer_load_dword v43, off, s[0:3], 0 offset:668
	buffer_load_dword v47, off, s[0:3], 0 offset:644
	buffer_load_dword v46, off, s[0:3], 0 offset:640
	buffer_load_dword v49, off, s[0:3], 0 offset:684
	buffer_load_dword v50, off, s[0:3], 0 offset:696
	buffer_load_dword v52, off, s[0:3], 0 offset:688
	buffer_load_dword v48, off, s[0:3], 0 offset:680
	buffer_load_dword v45, off, s[0:3], 0 offset:660
	buffer_load_dword v51, off, s[0:3], 0 offset:700
	buffer_load_dword v55, off, s[0:3], 0 offset:676
	buffer_load_dword v54, off, s[0:3], 0 offset:672
	buffer_load_dword v53, off, s[0:3], 0 offset:692
	buffer_load_dword v56, off, s[0:3], 0 offset:512
	buffer_load_dword v57, off, s[0:3], 0 offset:516
	buffer_load_dword v58, off, s[0:3], 0 offset:520
	buffer_load_dword v59, off, s[0:3], 0 offset:524
	v_mov_b32_e32 v1, 0
	ds_read_b128 v[2:5], v1 offset:1200
	ds_read_b128 v[6:9], v1 offset:1216
	s_mov_b32 s4, exec_lo
	s_waitcnt vmcnt(46) lgkmcnt(1)
	v_mul_f64 v[62:63], v[4:5], v[10:11]
	v_mul_f64 v[64:65], v[2:3], v[10:11]
	s_waitcnt vmcnt(44) lgkmcnt(0)
	v_mul_f64 v[66:67], v[8:9], v[14:15]
	ds_read_b128 v[10:13], v1 offset:1232
	v_mul_f64 v[14:15], v[6:7], v[14:15]
	s_waitcnt vmcnt(42)
	v_fma_f64 v[62:63], v[2:3], v[16:17], -v[62:63]
	v_fma_f64 v[16:17], v[4:5], v[16:17], v[64:65]
	ds_read_b128 v[2:5], v1 offset:1248
	s_waitcnt vmcnt(40) lgkmcnt(1)
	v_mul_f64 v[64:65], v[10:11], v[18:19]
	v_mul_f64 v[18:19], v[12:13], v[18:19]
	s_waitcnt vmcnt(38)
	v_fma_f64 v[66:67], v[6:7], v[20:21], -v[66:67]
	v_fma_f64 v[14:15], v[8:9], v[20:21], v[14:15]
	ds_read_b128 v[6:9], v1 offset:1264
	s_waitcnt vmcnt(34) lgkmcnt(1)
	v_mul_f64 v[20:21], v[2:3], v[22:23]
	v_add_f64 v[62:63], v[62:63], 0
	v_add_f64 v[16:17], v[16:17], 0
	v_mul_f64 v[22:23], v[4:5], v[22:23]
	s_waitcnt vmcnt(32)
	v_fma_f64 v[18:19], v[10:11], v[28:29], -v[18:19]
	v_fma_f64 v[28:29], v[12:13], v[28:29], v[64:65]
	ds_read_b128 v[10:13], v1 offset:1280
	s_waitcnt vmcnt(29)
	v_fma_f64 v[20:21], v[4:5], v[30:31], v[20:21]
	v_add_f64 v[62:63], v[62:63], v[66:67]
	v_add_f64 v[14:15], v[16:17], v[14:15]
	s_waitcnt lgkmcnt(1)
	v_mul_f64 v[16:17], v[6:7], v[24:25]
	v_mul_f64 v[24:25], v[8:9], v[24:25]
	v_fma_f64 v[22:23], v[2:3], v[30:31], -v[22:23]
	s_waitcnt vmcnt(25) lgkmcnt(0)
	v_mul_f64 v[30:31], v[12:13], v[32:33]
	ds_read_b128 v[2:5], v1 offset:1296
	v_add_f64 v[18:19], v[62:63], v[18:19]
	v_add_f64 v[14:15], v[14:15], v[28:29]
	v_mul_f64 v[28:29], v[10:11], v[32:33]
	s_waitcnt vmcnt(24)
	v_fma_f64 v[24:25], v[6:7], v[26:27], -v[24:25]
	v_fma_f64 v[16:17], v[8:9], v[26:27], v[16:17]
	ds_read_b128 v[6:9], v1 offset:1312
	s_waitcnt vmcnt(21)
	v_fma_f64 v[26:27], v[10:11], v[38:39], -v[30:31]
	v_add_f64 v[18:19], v[18:19], v[22:23]
	v_add_f64 v[14:15], v[14:15], v[20:21]
	s_waitcnt lgkmcnt(1)
	v_mul_f64 v[22:23], v[4:5], v[34:35]
	v_mul_f64 v[20:21], v[2:3], v[34:35]
	v_add_f64 v[18:19], v[18:19], v[24:25]
	v_fma_f64 v[24:25], v[12:13], v[38:39], v[28:29]
	v_add_f64 v[14:15], v[14:15], v[16:17]
	s_waitcnt vmcnt(17) lgkmcnt(0)
	v_mul_f64 v[28:29], v[8:9], v[40:41]
	s_waitcnt vmcnt(16)
	v_fma_f64 v[22:23], v[2:3], v[36:37], -v[22:23]
	ds_read_b128 v[10:13], v1 offset:1328
	v_mul_f64 v[16:17], v[6:7], v[40:41]
	v_fma_f64 v[20:21], v[4:5], v[36:37], v[20:21]
	ds_read_b128 v[2:5], v1 offset:1344
	v_add_f64 v[18:19], v[18:19], v[26:27]
	v_add_f64 v[14:15], v[14:15], v[24:25]
	s_waitcnt vmcnt(15) lgkmcnt(1)
	v_mul_f64 v[26:27], v[12:13], v[42:43]
	s_waitcnt vmcnt(13)
	v_fma_f64 v[28:29], v[6:7], v[46:47], -v[28:29]
	v_mul_f64 v[24:25], v[10:11], v[42:43]
	v_fma_f64 v[16:17], v[8:9], v[46:47], v[16:17]
	ds_read_b128 v[6:9], v1 offset:1360
	v_add_f64 v[18:19], v[18:19], v[22:23]
	s_waitcnt vmcnt(9) lgkmcnt(1)
	v_mul_f64 v[22:23], v[4:5], v[48:49]
	v_add_f64 v[14:15], v[14:15], v[20:21]
	s_waitcnt vmcnt(8)
	v_fma_f64 v[10:11], v[10:11], v[44:45], -v[26:27]
	v_mul_f64 v[20:21], v[2:3], v[48:49]
	v_fma_f64 v[12:13], v[12:13], v[44:45], v[24:25]
	s_waitcnt vmcnt(7) lgkmcnt(0)
	v_mul_f64 v[24:25], v[8:9], v[50:51]
	v_add_f64 v[18:19], v[18:19], v[28:29]
	s_waitcnt vmcnt(5)
	v_fma_f64 v[2:3], v[2:3], v[54:55], -v[22:23]
	v_add_f64 v[14:15], v[14:15], v[16:17]
	v_mul_f64 v[16:17], v[6:7], v[50:51]
	v_fma_f64 v[4:5], v[4:5], v[54:55], v[20:21]
	s_waitcnt vmcnt(4)
	v_fma_f64 v[6:7], v[6:7], v[52:53], -v[24:25]
	v_add_f64 v[10:11], v[18:19], v[10:11]
	v_add_f64 v[12:13], v[14:15], v[12:13]
	v_fma_f64 v[8:9], v[8:9], v[52:53], v[16:17]
	v_add_f64 v[2:3], v[10:11], v[2:3]
	v_add_f64 v[4:5], v[12:13], v[4:5]
	;; [unrolled: 1-line block ×4, first 2 shown]
	s_waitcnt vmcnt(2)
	v_add_f64 v[2:3], v[56:57], -v[2:3]
	s_waitcnt vmcnt(0)
	v_add_f64 v[4:5], v[58:59], -v[4:5]
	buffer_store_dword v3, off, s[0:3], 0 offset:516
	buffer_store_dword v2, off, s[0:3], 0 offset:512
	;; [unrolled: 1-line block ×4, first 2 shown]
	v_cmpx_lt_u32_e32 30, v0
	s_cbranch_execz .LBB42_211
; %bb.210:
	v_mov_b32_e32 v5, s25
	s_clause 0x3
	buffer_load_dword v2, v5, s[0:3], 0 offen
	buffer_load_dword v3, v5, s[0:3], 0 offen offset:4
	buffer_load_dword v4, v5, s[0:3], 0 offen offset:8
	;; [unrolled: 1-line block ×3, first 2 shown]
	buffer_store_dword v1, off, s[0:3], 0 offset:496
	buffer_store_dword v1, off, s[0:3], 0 offset:500
	;; [unrolled: 1-line block ×4, first 2 shown]
	s_waitcnt vmcnt(0)
	ds_write_b128 v61, v[2:5]
.LBB42_211:
	s_or_b32 exec_lo, exec_lo, s4
	s_waitcnt lgkmcnt(0)
	s_waitcnt_vscnt null, 0x0
	s_barrier
	buffer_gl0_inv
	s_clause 0x2f
	buffer_load_dword v10, off, s[0:3], 0 offset:520
	buffer_load_dword v11, off, s[0:3], 0 offset:524
	;; [unrolled: 1-line block ×48, first 2 shown]
	ds_read_b128 v[2:5], v1 offset:1184
	s_clause 0x3
	buffer_load_dword v62, off, s[0:3], 0 offset:496
	buffer_load_dword v63, off, s[0:3], 0 offset:500
	;; [unrolled: 1-line block ×4, first 2 shown]
	ds_read_b128 v[6:9], v1 offset:1200
	s_mov_b32 s4, exec_lo
	s_waitcnt vmcnt(50) lgkmcnt(1)
	v_mul_f64 v[66:67], v[4:5], v[10:11]
	v_mul_f64 v[68:69], v[2:3], v[10:11]
	ds_read_b128 v[10:13], v1 offset:1216
	s_waitcnt vmcnt(48) lgkmcnt(1)
	v_mul_f64 v[70:71], v[8:9], v[14:15]
	v_mul_f64 v[14:15], v[6:7], v[14:15]
	s_waitcnt vmcnt(46)
	v_fma_f64 v[66:67], v[2:3], v[16:17], -v[66:67]
	v_fma_f64 v[16:17], v[4:5], v[16:17], v[68:69]
	s_waitcnt vmcnt(44) lgkmcnt(0)
	v_mul_f64 v[68:69], v[10:11], v[18:19]
	v_mul_f64 v[18:19], v[12:13], v[18:19]
	s_waitcnt vmcnt(42)
	v_fma_f64 v[70:71], v[6:7], v[20:21], -v[70:71]
	ds_read_b128 v[2:5], v1 offset:1232
	v_fma_f64 v[14:15], v[8:9], v[20:21], v[14:15]
	ds_read_b128 v[6:9], v1 offset:1248
	v_add_f64 v[66:67], v[66:67], 0
	v_add_f64 v[16:17], v[16:17], 0
	s_waitcnt vmcnt(38) lgkmcnt(1)
	v_mul_f64 v[20:21], v[2:3], v[22:23]
	v_mul_f64 v[22:23], v[4:5], v[22:23]
	s_waitcnt vmcnt(36)
	v_fma_f64 v[18:19], v[10:11], v[28:29], -v[18:19]
	v_fma_f64 v[28:29], v[12:13], v[28:29], v[68:69]
	ds_read_b128 v[10:13], v1 offset:1264
	v_add_f64 v[66:67], v[66:67], v[70:71]
	v_add_f64 v[14:15], v[16:17], v[14:15]
	s_waitcnt vmcnt(35) lgkmcnt(1)
	v_mul_f64 v[16:17], v[6:7], v[24:25]
	v_mul_f64 v[24:25], v[8:9], v[24:25]
	s_waitcnt vmcnt(33)
	v_fma_f64 v[22:23], v[2:3], v[30:31], -v[22:23]
	v_fma_f64 v[20:21], v[4:5], v[30:31], v[20:21]
	ds_read_b128 v[2:5], v1 offset:1280
	s_waitcnt vmcnt(29) lgkmcnt(1)
	v_mul_f64 v[30:31], v[12:13], v[32:33]
	v_add_f64 v[18:19], v[66:67], v[18:19]
	v_add_f64 v[14:15], v[14:15], v[28:29]
	v_mul_f64 v[28:29], v[10:11], v[32:33]
	s_waitcnt vmcnt(28)
	v_fma_f64 v[24:25], v[6:7], v[26:27], -v[24:25]
	v_fma_f64 v[16:17], v[8:9], v[26:27], v[16:17]
	ds_read_b128 v[6:9], v1 offset:1296
	s_waitcnt vmcnt(25)
	v_fma_f64 v[26:27], v[10:11], v[38:39], -v[30:31]
	v_add_f64 v[18:19], v[18:19], v[22:23]
	v_add_f64 v[14:15], v[14:15], v[20:21]
	s_waitcnt lgkmcnt(1)
	v_mul_f64 v[22:23], v[4:5], v[34:35]
	v_mul_f64 v[20:21], v[2:3], v[34:35]
	v_add_f64 v[18:19], v[18:19], v[24:25]
	v_fma_f64 v[24:25], v[12:13], v[38:39], v[28:29]
	v_add_f64 v[14:15], v[14:15], v[16:17]
	ds_read_b128 v[10:13], v1 offset:1312
	s_waitcnt vmcnt(21) lgkmcnt(1)
	v_mul_f64 v[28:29], v[8:9], v[40:41]
	s_waitcnt vmcnt(20)
	v_fma_f64 v[22:23], v[2:3], v[36:37], -v[22:23]
	v_mul_f64 v[16:17], v[6:7], v[40:41]
	v_fma_f64 v[20:21], v[4:5], v[36:37], v[20:21]
	ds_read_b128 v[2:5], v1 offset:1328
	v_add_f64 v[18:19], v[18:19], v[26:27]
	s_waitcnt vmcnt(19) lgkmcnt(1)
	v_mul_f64 v[26:27], v[12:13], v[42:43]
	v_add_f64 v[14:15], v[14:15], v[24:25]
	v_mul_f64 v[24:25], v[10:11], v[42:43]
	s_waitcnt vmcnt(17)
	v_fma_f64 v[28:29], v[6:7], v[46:47], -v[28:29]
	v_fma_f64 v[16:17], v[8:9], v[46:47], v[16:17]
	ds_read_b128 v[6:9], v1 offset:1344
	v_add_f64 v[18:19], v[18:19], v[22:23]
	s_waitcnt vmcnt(13) lgkmcnt(1)
	v_mul_f64 v[22:23], v[4:5], v[48:49]
	v_add_f64 v[14:15], v[14:15], v[20:21]
	s_waitcnt vmcnt(12)
	v_fma_f64 v[26:27], v[10:11], v[44:45], -v[26:27]
	v_mul_f64 v[20:21], v[2:3], v[48:49]
	v_fma_f64 v[24:25], v[12:13], v[44:45], v[24:25]
	ds_read_b128 v[10:13], v1 offset:1360
	v_add_f64 v[18:19], v[18:19], v[28:29]
	s_waitcnt vmcnt(11) lgkmcnt(1)
	v_mul_f64 v[28:29], v[8:9], v[50:51]
	v_add_f64 v[14:15], v[14:15], v[16:17]
	s_waitcnt vmcnt(9)
	v_fma_f64 v[1:2], v[2:3], v[54:55], -v[22:23]
	v_mul_f64 v[16:17], v[6:7], v[50:51]
	v_fma_f64 v[3:4], v[4:5], v[54:55], v[20:21]
	s_waitcnt vmcnt(7) lgkmcnt(0)
	v_mul_f64 v[22:23], v[12:13], v[56:57]
	v_mul_f64 v[20:21], v[10:11], v[56:57]
	v_add_f64 v[18:19], v[18:19], v[26:27]
	s_waitcnt vmcnt(6)
	v_fma_f64 v[5:6], v[6:7], v[52:53], -v[28:29]
	v_add_f64 v[14:15], v[14:15], v[24:25]
	v_fma_f64 v[7:8], v[8:9], v[52:53], v[16:17]
	s_waitcnt vmcnt(4)
	v_fma_f64 v[9:10], v[10:11], v[58:59], -v[22:23]
	v_add_f64 v[1:2], v[18:19], v[1:2]
	v_add_f64 v[3:4], v[14:15], v[3:4]
	;; [unrolled: 1-line block ×3, first 2 shown]
	v_fma_f64 v[5:6], v[12:13], v[58:59], v[20:21]
	v_add_f64 v[3:4], v[3:4], v[7:8]
	v_add_f64 v[1:2], v[1:2], v[9:10]
	;; [unrolled: 1-line block ×3, first 2 shown]
	s_waitcnt vmcnt(2)
	v_add_f64 v[1:2], v[62:63], -v[1:2]
	s_waitcnt vmcnt(0)
	v_add_f64 v[3:4], v[64:65], -v[3:4]
	buffer_store_dword v2, off, s[0:3], 0 offset:500
	buffer_store_dword v1, off, s[0:3], 0 offset:496
	;; [unrolled: 1-line block ×4, first 2 shown]
	v_cmpx_lt_u32_e32 29, v0
	s_cbranch_execz .LBB42_213
; %bb.212:
	v_mov_b32_e32 v4, s27
	v_mov_b32_e32 v5, 0
	s_clause 0x3
	buffer_load_dword v1, v4, s[0:3], 0 offen
	buffer_load_dword v2, v4, s[0:3], 0 offen offset:4
	buffer_load_dword v3, v4, s[0:3], 0 offen offset:8
	buffer_load_dword v4, v4, s[0:3], 0 offen offset:12
	buffer_store_dword v5, off, s[0:3], 0 offset:480
	buffer_store_dword v5, off, s[0:3], 0 offset:484
	;; [unrolled: 1-line block ×4, first 2 shown]
	s_waitcnt vmcnt(0)
	ds_write_b128 v61, v[1:4]
.LBB42_213:
	s_or_b32 exec_lo, exec_lo, s4
	s_waitcnt lgkmcnt(0)
	s_waitcnt_vscnt null, 0x0
	s_barrier
	buffer_gl0_inv
	s_clause 0x33
	buffer_load_dword v10, off, s[0:3], 0 offset:504
	buffer_load_dword v11, off, s[0:3], 0 offset:508
	;; [unrolled: 1-line block ×52, first 2 shown]
	v_mov_b32_e32 v1, 0
	s_mov_b32 s4, exec_lo
	ds_read_b128 v[2:5], v1 offset:1168
	ds_read_b128 v[6:9], v1 offset:1184
	s_clause 0x3
	buffer_load_dword v70, off, s[0:3], 0 offset:480
	buffer_load_dword v71, off, s[0:3], 0 offset:484
	buffer_load_dword v72, off, s[0:3], 0 offset:488
	buffer_load_dword v73, off, s[0:3], 0 offset:492
	s_waitcnt vmcnt(54) lgkmcnt(1)
	v_mul_f64 v[66:67], v[4:5], v[10:11]
	v_mul_f64 v[68:69], v[2:3], v[10:11]
	s_waitcnt vmcnt(52) lgkmcnt(0)
	v_mul_f64 v[74:75], v[8:9], v[14:15]
	ds_read_b128 v[10:13], v1 offset:1200
	v_mul_f64 v[14:15], v[6:7], v[14:15]
	s_waitcnt vmcnt(50)
	v_fma_f64 v[66:67], v[2:3], v[16:17], -v[66:67]
	v_fma_f64 v[16:17], v[4:5], v[16:17], v[68:69]
	ds_read_b128 v[2:5], v1 offset:1216
	s_waitcnt vmcnt(48) lgkmcnt(1)
	v_mul_f64 v[68:69], v[10:11], v[18:19]
	v_mul_f64 v[18:19], v[12:13], v[18:19]
	s_waitcnt vmcnt(46)
	v_fma_f64 v[74:75], v[6:7], v[20:21], -v[74:75]
	v_fma_f64 v[14:15], v[8:9], v[20:21], v[14:15]
	ds_read_b128 v[6:9], v1 offset:1232
	s_waitcnt vmcnt(44) lgkmcnt(1)
	v_mul_f64 v[20:21], v[2:3], v[22:23]
	v_add_f64 v[66:67], v[66:67], 0
	v_add_f64 v[16:17], v[16:17], 0
	v_mul_f64 v[22:23], v[4:5], v[22:23]
	s_waitcnt vmcnt(42)
	v_fma_f64 v[18:19], v[10:11], v[24:25], -v[18:19]
	v_fma_f64 v[24:25], v[12:13], v[24:25], v[68:69]
	ds_read_b128 v[10:13], v1 offset:1248
	s_waitcnt vmcnt(38)
	v_fma_f64 v[20:21], v[4:5], v[28:29], v[20:21]
	v_add_f64 v[66:67], v[66:67], v[74:75]
	v_add_f64 v[14:15], v[16:17], v[14:15]
	s_waitcnt lgkmcnt(1)
	v_mul_f64 v[16:17], v[6:7], v[26:27]
	v_mul_f64 v[26:27], v[8:9], v[26:27]
	v_fma_f64 v[22:23], v[2:3], v[28:29], -v[22:23]
	s_waitcnt vmcnt(36) lgkmcnt(0)
	v_mul_f64 v[28:29], v[12:13], v[30:31]
	ds_read_b128 v[2:5], v1 offset:1264
	v_add_f64 v[18:19], v[66:67], v[18:19]
	v_add_f64 v[14:15], v[14:15], v[24:25]
	v_mul_f64 v[24:25], v[10:11], v[30:31]
	s_waitcnt vmcnt(34)
	v_fma_f64 v[26:27], v[6:7], v[32:33], -v[26:27]
	v_fma_f64 v[16:17], v[8:9], v[32:33], v[16:17]
	ds_read_b128 v[6:9], v1 offset:1280
	s_waitcnt vmcnt(30)
	v_fma_f64 v[28:29], v[10:11], v[36:37], -v[28:29]
	v_add_f64 v[18:19], v[18:19], v[22:23]
	v_add_f64 v[14:15], v[14:15], v[20:21]
	s_waitcnt lgkmcnt(1)
	v_mul_f64 v[22:23], v[4:5], v[34:35]
	v_mul_f64 v[20:21], v[2:3], v[34:35]
	v_fma_f64 v[24:25], v[12:13], v[36:37], v[24:25]
	ds_read_b128 v[10:13], v1 offset:1296
	v_add_f64 v[18:19], v[18:19], v[26:27]
	v_add_f64 v[14:15], v[14:15], v[16:17]
	s_waitcnt vmcnt(28) lgkmcnt(1)
	v_mul_f64 v[26:27], v[8:9], v[38:39]
	s_waitcnt vmcnt(26)
	v_fma_f64 v[22:23], v[2:3], v[40:41], -v[22:23]
	v_mul_f64 v[16:17], v[6:7], v[38:39]
	v_fma_f64 v[20:21], v[4:5], v[40:41], v[20:21]
	ds_read_b128 v[2:5], v1 offset:1312
	v_add_f64 v[18:19], v[18:19], v[28:29]
	v_add_f64 v[14:15], v[14:15], v[24:25]
	s_waitcnt vmcnt(24) lgkmcnt(1)
	v_mul_f64 v[28:29], v[12:13], v[42:43]
	s_waitcnt vmcnt(22)
	v_fma_f64 v[26:27], v[6:7], v[44:45], -v[26:27]
	;; [unrolled: 9-line block ×5, first 2 shown]
	v_mul_f64 v[24:25], v[10:11], v[54:55]
	v_fma_f64 v[8:9], v[8:9], v[56:57], v[16:17]
	s_waitcnt vmcnt(8) lgkmcnt(0)
	v_mul_f64 v[16:17], v[2:3], v[58:59]
	v_add_f64 v[18:19], v[18:19], v[22:23]
	v_add_f64 v[14:15], v[14:15], v[20:21]
	v_mul_f64 v[20:21], v[4:5], v[58:59]
	s_waitcnt vmcnt(6)
	v_fma_f64 v[10:11], v[10:11], v[62:63], -v[28:29]
	v_fma_f64 v[12:13], v[12:13], v[62:63], v[24:25]
	s_waitcnt vmcnt(4)
	v_fma_f64 v[4:5], v[4:5], v[64:65], v[16:17]
	v_add_f64 v[6:7], v[18:19], v[6:7]
	v_add_f64 v[8:9], v[14:15], v[8:9]
	v_fma_f64 v[2:3], v[2:3], v[64:65], -v[20:21]
	v_add_f64 v[6:7], v[6:7], v[10:11]
	v_add_f64 v[8:9], v[8:9], v[12:13]
	;; [unrolled: 1-line block ×4, first 2 shown]
	s_waitcnt vmcnt(2)
	v_add_f64 v[2:3], v[70:71], -v[2:3]
	s_waitcnt vmcnt(0)
	v_add_f64 v[4:5], v[72:73], -v[4:5]
	buffer_store_dword v3, off, s[0:3], 0 offset:484
	buffer_store_dword v2, off, s[0:3], 0 offset:480
	;; [unrolled: 1-line block ×4, first 2 shown]
	v_cmpx_lt_u32_e32 28, v0
	s_cbranch_execz .LBB42_215
; %bb.214:
	v_mov_b32_e32 v5, s29
	s_clause 0x3
	buffer_load_dword v2, v5, s[0:3], 0 offen
	buffer_load_dword v3, v5, s[0:3], 0 offen offset:4
	buffer_load_dword v4, v5, s[0:3], 0 offen offset:8
	;; [unrolled: 1-line block ×3, first 2 shown]
	buffer_store_dword v1, off, s[0:3], 0 offset:464
	buffer_store_dword v1, off, s[0:3], 0 offset:468
	;; [unrolled: 1-line block ×4, first 2 shown]
	s_waitcnt vmcnt(0)
	ds_write_b128 v61, v[2:5]
.LBB42_215:
	s_or_b32 exec_lo, exec_lo, s4
	s_waitcnt lgkmcnt(0)
	s_waitcnt_vscnt null, 0x0
	s_barrier
	buffer_gl0_inv
	s_clause 0x35
	buffer_load_dword v10, off, s[0:3], 0 offset:488
	buffer_load_dword v11, off, s[0:3], 0 offset:492
	buffer_load_dword v14, off, s[0:3], 0 offset:504
	buffer_load_dword v15, off, s[0:3], 0 offset:508
	buffer_load_dword v16, off, s[0:3], 0 offset:480
	buffer_load_dword v17, off, s[0:3], 0 offset:484
	buffer_load_dword v18, off, s[0:3], 0 offset:520
	buffer_load_dword v19, off, s[0:3], 0 offset:524
	buffer_load_dword v20, off, s[0:3], 0 offset:496
	buffer_load_dword v21, off, s[0:3], 0 offset:500
	buffer_load_dword v23, off, s[0:3], 0 offset:540
	buffer_load_dword v24, off, s[0:3], 0 offset:552
	buffer_load_dword v26, off, s[0:3], 0 offset:544
	buffer_load_dword v22, off, s[0:3], 0 offset:536
	buffer_load_dword v28, off, s[0:3], 0 offset:512
	buffer_load_dword v29, off, s[0:3], 0 offset:516
	buffer_load_dword v25, off, s[0:3], 0 offset:556
	buffer_load_dword v31, off, s[0:3], 0 offset:532
	buffer_load_dword v30, off, s[0:3], 0 offset:528
	buffer_load_dword v33, off, s[0:3], 0 offset:572
	buffer_load_dword v34, off, s[0:3], 0 offset:584
	buffer_load_dword v36, off, s[0:3], 0 offset:576
	buffer_load_dword v32, off, s[0:3], 0 offset:568
	buffer_load_dword v27, off, s[0:3], 0 offset:548
	buffer_load_dword v35, off, s[0:3], 0 offset:588
	buffer_load_dword v39, off, s[0:3], 0 offset:564
	buffer_load_dword v38, off, s[0:3], 0 offset:560
	buffer_load_dword v41, off, s[0:3], 0 offset:604
	buffer_load_dword v42, off, s[0:3], 0 offset:616
	buffer_load_dword v44, off, s[0:3], 0 offset:608
	buffer_load_dword v40, off, s[0:3], 0 offset:600
	buffer_load_dword v37, off, s[0:3], 0 offset:580
	buffer_load_dword v43, off, s[0:3], 0 offset:620
	buffer_load_dword v47, off, s[0:3], 0 offset:596
	buffer_load_dword v46, off, s[0:3], 0 offset:592
	buffer_load_dword v49, off, s[0:3], 0 offset:636
	buffer_load_dword v50, off, s[0:3], 0 offset:648
	buffer_load_dword v52, off, s[0:3], 0 offset:640
	buffer_load_dword v48, off, s[0:3], 0 offset:632
	buffer_load_dword v45, off, s[0:3], 0 offset:612
	buffer_load_dword v51, off, s[0:3], 0 offset:652
	buffer_load_dword v55, off, s[0:3], 0 offset:628
	buffer_load_dword v54, off, s[0:3], 0 offset:624
	buffer_load_dword v57, off, s[0:3], 0 offset:668
	buffer_load_dword v58, off, s[0:3], 0 offset:680
	buffer_load_dword v62, off, s[0:3], 0 offset:672
	buffer_load_dword v56, off, s[0:3], 0 offset:664
	buffer_load_dword v53, off, s[0:3], 0 offset:644
	buffer_load_dword v59, off, s[0:3], 0 offset:684
	buffer_load_dword v65, off, s[0:3], 0 offset:660
	buffer_load_dword v64, off, s[0:3], 0 offset:656
	buffer_load_dword v67, off, s[0:3], 0 offset:700
	buffer_load_dword v66, off, s[0:3], 0 offset:696
	buffer_load_dword v63, off, s[0:3], 0 offset:676
	ds_read_b128 v[2:5], v1 offset:1152
	s_clause 0x1
	buffer_load_dword v69, off, s[0:3], 0 offset:692
	buffer_load_dword v68, off, s[0:3], 0 offset:688
	ds_read_b128 v[6:9], v1 offset:1168
	s_mov_b32 s4, exec_lo
	s_waitcnt vmcnt(54) lgkmcnt(1)
	v_mul_f64 v[70:71], v[4:5], v[10:11]
	v_mul_f64 v[72:73], v[2:3], v[10:11]
	ds_read_b128 v[10:13], v1 offset:1184
	s_waitcnt vmcnt(52) lgkmcnt(1)
	v_mul_f64 v[74:75], v[8:9], v[14:15]
	v_mul_f64 v[14:15], v[6:7], v[14:15]
	s_waitcnt vmcnt(48) lgkmcnt(0)
	v_mul_f64 v[78:79], v[10:11], v[18:19]
	v_fma_f64 v[70:71], v[2:3], v[16:17], -v[70:71]
	v_fma_f64 v[16:17], v[4:5], v[16:17], v[72:73]
	s_clause 0x3
	buffer_load_dword v72, off, s[0:3], 0 offset:464
	buffer_load_dword v73, off, s[0:3], 0 offset:468
	;; [unrolled: 1-line block ×4, first 2 shown]
	v_mul_f64 v[18:19], v[12:13], v[18:19]
	s_waitcnt vmcnt(50)
	v_fma_f64 v[74:75], v[6:7], v[20:21], -v[74:75]
	ds_read_b128 v[2:5], v1 offset:1200
	v_fma_f64 v[14:15], v[8:9], v[20:21], v[14:15]
	ds_read_b128 v[6:9], v1 offset:1216
	v_add_f64 v[70:71], v[70:71], 0
	v_add_f64 v[16:17], v[16:17], 0
	s_waitcnt vmcnt(46) lgkmcnt(1)
	v_mul_f64 v[20:21], v[2:3], v[22:23]
	v_mul_f64 v[22:23], v[4:5], v[22:23]
	s_waitcnt vmcnt(44)
	v_fma_f64 v[18:19], v[10:11], v[28:29], -v[18:19]
	v_fma_f64 v[28:29], v[12:13], v[28:29], v[78:79]
	ds_read_b128 v[10:13], v1 offset:1232
	v_add_f64 v[70:71], v[70:71], v[74:75]
	v_add_f64 v[14:15], v[16:17], v[14:15]
	s_waitcnt vmcnt(43) lgkmcnt(1)
	v_mul_f64 v[16:17], v[6:7], v[24:25]
	v_mul_f64 v[24:25], v[8:9], v[24:25]
	s_waitcnt vmcnt(41)
	v_fma_f64 v[22:23], v[2:3], v[30:31], -v[22:23]
	v_fma_f64 v[20:21], v[4:5], v[30:31], v[20:21]
	ds_read_b128 v[2:5], v1 offset:1248
	s_waitcnt vmcnt(37) lgkmcnt(1)
	v_mul_f64 v[30:31], v[12:13], v[32:33]
	v_add_f64 v[18:19], v[70:71], v[18:19]
	v_add_f64 v[14:15], v[14:15], v[28:29]
	v_mul_f64 v[28:29], v[10:11], v[32:33]
	s_waitcnt vmcnt(36)
	v_fma_f64 v[24:25], v[6:7], v[26:27], -v[24:25]
	v_fma_f64 v[16:17], v[8:9], v[26:27], v[16:17]
	ds_read_b128 v[6:9], v1 offset:1264
	s_waitcnt vmcnt(33)
	v_fma_f64 v[26:27], v[10:11], v[38:39], -v[30:31]
	v_add_f64 v[18:19], v[18:19], v[22:23]
	v_add_f64 v[14:15], v[14:15], v[20:21]
	s_waitcnt lgkmcnt(1)
	v_mul_f64 v[22:23], v[4:5], v[34:35]
	v_mul_f64 v[20:21], v[2:3], v[34:35]
	v_add_f64 v[18:19], v[18:19], v[24:25]
	v_fma_f64 v[24:25], v[12:13], v[38:39], v[28:29]
	v_add_f64 v[14:15], v[14:15], v[16:17]
	ds_read_b128 v[10:13], v1 offset:1280
	s_waitcnt vmcnt(29) lgkmcnt(1)
	v_mul_f64 v[28:29], v[8:9], v[40:41]
	s_waitcnt vmcnt(28)
	v_fma_f64 v[22:23], v[2:3], v[36:37], -v[22:23]
	v_mul_f64 v[16:17], v[6:7], v[40:41]
	v_fma_f64 v[20:21], v[4:5], v[36:37], v[20:21]
	ds_read_b128 v[2:5], v1 offset:1296
	v_add_f64 v[18:19], v[18:19], v[26:27]
	s_waitcnt vmcnt(27) lgkmcnt(1)
	v_mul_f64 v[26:27], v[12:13], v[42:43]
	v_add_f64 v[14:15], v[14:15], v[24:25]
	v_mul_f64 v[24:25], v[10:11], v[42:43]
	s_waitcnt vmcnt(25)
	v_fma_f64 v[28:29], v[6:7], v[46:47], -v[28:29]
	v_fma_f64 v[16:17], v[8:9], v[46:47], v[16:17]
	ds_read_b128 v[6:9], v1 offset:1312
	v_add_f64 v[18:19], v[18:19], v[22:23]
	s_waitcnt vmcnt(21) lgkmcnt(1)
	v_mul_f64 v[22:23], v[4:5], v[48:49]
	v_add_f64 v[14:15], v[14:15], v[20:21]
	s_waitcnt vmcnt(20)
	v_fma_f64 v[26:27], v[10:11], v[44:45], -v[26:27]
	v_mul_f64 v[20:21], v[2:3], v[48:49]
	v_fma_f64 v[24:25], v[12:13], v[44:45], v[24:25]
	ds_read_b128 v[10:13], v1 offset:1328
	v_add_f64 v[18:19], v[18:19], v[28:29]
	s_waitcnt vmcnt(19) lgkmcnt(1)
	v_mul_f64 v[28:29], v[8:9], v[50:51]
	v_add_f64 v[14:15], v[14:15], v[16:17]
	s_waitcnt vmcnt(17)
	v_fma_f64 v[22:23], v[2:3], v[54:55], -v[22:23]
	v_mul_f64 v[16:17], v[6:7], v[50:51]
	;; [unrolled: 9-line block ×4, first 2 shown]
	v_fma_f64 v[12:13], v[12:13], v[64:65], v[24:25]
	s_waitcnt vmcnt(7) lgkmcnt(0)
	v_mul_f64 v[24:25], v[8:9], v[66:67]
	v_add_f64 v[18:19], v[18:19], v[28:29]
	s_waitcnt vmcnt(6)
	v_fma_f64 v[1:2], v[2:3], v[62:63], -v[22:23]
	v_add_f64 v[14:15], v[14:15], v[16:17]
	v_mul_f64 v[16:17], v[6:7], v[66:67]
	v_fma_f64 v[3:4], v[4:5], v[62:63], v[20:21]
	s_waitcnt vmcnt(4)
	v_fma_f64 v[5:6], v[6:7], v[68:69], -v[24:25]
	v_add_f64 v[10:11], v[18:19], v[10:11]
	v_add_f64 v[12:13], v[14:15], v[12:13]
	v_fma_f64 v[7:8], v[8:9], v[68:69], v[16:17]
	v_add_f64 v[1:2], v[10:11], v[1:2]
	v_add_f64 v[3:4], v[12:13], v[3:4]
	v_add_f64 v[1:2], v[1:2], v[5:6]
	v_add_f64 v[3:4], v[3:4], v[7:8]
	s_waitcnt vmcnt(2)
	v_add_f64 v[1:2], v[72:73], -v[1:2]
	s_waitcnt vmcnt(0)
	v_add_f64 v[3:4], v[76:77], -v[3:4]
	buffer_store_dword v2, off, s[0:3], 0 offset:468
	buffer_store_dword v1, off, s[0:3], 0 offset:464
	;; [unrolled: 1-line block ×4, first 2 shown]
	v_cmpx_lt_u32_e32 27, v0
	s_cbranch_execz .LBB42_217
; %bb.216:
	v_mov_b32_e32 v4, s31
	v_mov_b32_e32 v5, 0
	s_clause 0x3
	buffer_load_dword v1, v4, s[0:3], 0 offen
	buffer_load_dword v2, v4, s[0:3], 0 offen offset:4
	buffer_load_dword v3, v4, s[0:3], 0 offen offset:8
	;; [unrolled: 1-line block ×3, first 2 shown]
	buffer_store_dword v5, off, s[0:3], 0 offset:448
	buffer_store_dword v5, off, s[0:3], 0 offset:452
	;; [unrolled: 1-line block ×4, first 2 shown]
	s_waitcnt vmcnt(0)
	ds_write_b128 v61, v[1:4]
.LBB42_217:
	s_or_b32 exec_lo, exec_lo, s4
	s_waitcnt lgkmcnt(0)
	s_waitcnt_vscnt null, 0x0
	s_barrier
	buffer_gl0_inv
	s_clause 0x37
	buffer_load_dword v10, off, s[0:3], 0 offset:472
	buffer_load_dword v11, off, s[0:3], 0 offset:476
	;; [unrolled: 1-line block ×56, first 2 shown]
	v_mov_b32_e32 v1, 0
	s_mov_b32 s4, exec_lo
	ds_read_b128 v[2:5], v1 offset:1136
	s_clause 0x2
	buffer_load_dword v69, off, s[0:3], 0 offset:700
	buffer_load_dword v73, off, s[0:3], 0 offset:676
	buffer_load_dword v72, off, s[0:3], 0 offset:672
	ds_read_b128 v[6:9], v1 offset:1152
	buffer_load_dword v71, off, s[0:3], 0 offset:692
	s_waitcnt vmcnt(58) lgkmcnt(1)
	v_mul_f64 v[74:75], v[4:5], v[10:11]
	v_mul_f64 v[76:77], v[2:3], v[10:11]
	ds_read_b128 v[10:13], v1 offset:1168
	s_waitcnt vmcnt(56) lgkmcnt(1)
	v_mul_f64 v[78:79], v[8:9], v[14:15]
	v_mul_f64 v[14:15], v[6:7], v[14:15]
	s_waitcnt vmcnt(54)
	v_fma_f64 v[74:75], v[2:3], v[16:17], -v[74:75]
	v_fma_f64 v[16:17], v[4:5], v[16:17], v[76:77]
	s_waitcnt vmcnt(52) lgkmcnt(0)
	v_mul_f64 v[76:77], v[10:11], v[18:19]
	v_mul_f64 v[18:19], v[12:13], v[18:19]
	s_waitcnt vmcnt(50)
	v_fma_f64 v[78:79], v[6:7], v[20:21], -v[78:79]
	ds_read_b128 v[2:5], v1 offset:1184
	v_fma_f64 v[14:15], v[8:9], v[20:21], v[14:15]
	s_clause 0x3
	buffer_load_dword v20, off, s[0:3], 0 offset:448
	buffer_load_dword v21, off, s[0:3], 0 offset:452
	;; [unrolled: 1-line block ×4, first 2 shown]
	ds_read_b128 v[6:9], v1 offset:1200
	v_add_f64 v[74:75], v[74:75], 0
	v_add_f64 v[16:17], v[16:17], 0
	s_waitcnt vmcnt(50) lgkmcnt(1)
	v_mul_f64 v[82:83], v[2:3], v[22:23]
	v_mul_f64 v[22:23], v[4:5], v[22:23]
	s_waitcnt vmcnt(48)
	v_fma_f64 v[18:19], v[10:11], v[28:29], -v[18:19]
	v_fma_f64 v[28:29], v[12:13], v[28:29], v[76:77]
	ds_read_b128 v[10:13], v1 offset:1216
	v_add_f64 v[74:75], v[74:75], v[78:79]
	v_add_f64 v[14:15], v[16:17], v[14:15]
	s_waitcnt vmcnt(47) lgkmcnt(1)
	v_mul_f64 v[16:17], v[6:7], v[24:25]
	v_mul_f64 v[24:25], v[8:9], v[24:25]
	s_waitcnt vmcnt(45)
	v_fma_f64 v[22:23], v[2:3], v[30:31], -v[22:23]
	v_fma_f64 v[30:31], v[4:5], v[30:31], v[82:83]
	;; [unrolled: 9-line block ×3, first 2 shown]
	ds_read_b128 v[6:9], v1 offset:1248
	s_waitcnt vmcnt(39) lgkmcnt(1)
	v_mul_f64 v[26:27], v[4:5], v[34:35]
	v_add_f64 v[18:19], v[18:19], v[22:23]
	v_add_f64 v[14:15], v[14:15], v[30:31]
	v_mul_f64 v[22:23], v[2:3], v[34:35]
	s_waitcnt vmcnt(37)
	v_fma_f64 v[30:31], v[10:11], v[38:39], -v[32:33]
	s_waitcnt vmcnt(32)
	v_fma_f64 v[26:27], v[2:3], v[36:37], -v[26:27]
	v_add_f64 v[18:19], v[18:19], v[24:25]
	v_fma_f64 v[24:25], v[12:13], v[38:39], v[28:29]
	v_add_f64 v[14:15], v[14:15], v[16:17]
	s_waitcnt lgkmcnt(0)
	v_mul_f64 v[28:29], v[8:9], v[40:41]
	ds_read_b128 v[10:13], v1 offset:1264
	v_mul_f64 v[16:17], v[6:7], v[40:41]
	v_fma_f64 v[22:23], v[4:5], v[36:37], v[22:23]
	ds_read_b128 v[2:5], v1 offset:1280
	v_add_f64 v[18:19], v[18:19], v[30:31]
	v_add_f64 v[14:15], v[14:15], v[24:25]
	s_waitcnt vmcnt(31) lgkmcnt(1)
	v_mul_f64 v[30:31], v[12:13], v[42:43]
	s_waitcnt vmcnt(29)
	v_fma_f64 v[28:29], v[6:7], v[46:47], -v[28:29]
	v_mul_f64 v[24:25], v[10:11], v[42:43]
	v_fma_f64 v[16:17], v[8:9], v[46:47], v[16:17]
	ds_read_b128 v[6:9], v1 offset:1296
	v_add_f64 v[18:19], v[18:19], v[26:27]
	s_waitcnt vmcnt(25) lgkmcnt(1)
	v_mul_f64 v[26:27], v[4:5], v[48:49]
	v_add_f64 v[14:15], v[14:15], v[22:23]
	s_waitcnt vmcnt(24)
	v_fma_f64 v[30:31], v[10:11], v[44:45], -v[30:31]
	v_mul_f64 v[22:23], v[2:3], v[48:49]
	v_fma_f64 v[24:25], v[12:13], v[44:45], v[24:25]
	ds_read_b128 v[10:13], v1 offset:1312
	v_add_f64 v[18:19], v[18:19], v[28:29]
	s_waitcnt vmcnt(23) lgkmcnt(1)
	v_mul_f64 v[28:29], v[8:9], v[50:51]
	v_add_f64 v[14:15], v[14:15], v[16:17]
	;; [unrolled: 9-line block ×5, first 2 shown]
	s_waitcnt vmcnt(8)
	v_fma_f64 v[2:3], v[2:3], v[62:63], -v[26:27]
	v_mul_f64 v[16:17], v[6:7], v[66:67]
	v_fma_f64 v[4:5], v[4:5], v[62:63], v[22:23]
	s_waitcnt vmcnt(7) lgkmcnt(0)
	v_mul_f64 v[22:23], v[10:11], v[68:69]
	v_add_f64 v[18:19], v[18:19], v[30:31]
	s_waitcnt vmcnt(5)
	v_fma_f64 v[6:7], v[6:7], v[72:73], -v[28:29]
	v_add_f64 v[14:15], v[14:15], v[24:25]
	v_mul_f64 v[24:25], v[12:13], v[68:69]
	v_fma_f64 v[8:9], v[8:9], v[72:73], v[16:17]
	v_add_f64 v[2:3], v[18:19], v[2:3]
	v_add_f64 v[4:5], v[14:15], v[4:5]
	s_waitcnt vmcnt(4)
	v_fma_f64 v[10:11], v[10:11], v[70:71], -v[24:25]
	v_add_f64 v[2:3], v[2:3], v[6:7]
	v_fma_f64 v[6:7], v[12:13], v[70:71], v[22:23]
	v_add_f64 v[4:5], v[4:5], v[8:9]
	v_add_f64 v[2:3], v[2:3], v[10:11]
	;; [unrolled: 1-line block ×3, first 2 shown]
	s_waitcnt vmcnt(2)
	v_add_f64 v[2:3], v[20:21], -v[2:3]
	s_waitcnt vmcnt(0)
	v_add_f64 v[4:5], v[80:81], -v[4:5]
	buffer_store_dword v3, off, s[0:3], 0 offset:452
	buffer_store_dword v2, off, s[0:3], 0 offset:448
	;; [unrolled: 1-line block ×4, first 2 shown]
	v_cmpx_lt_u32_e32 26, v0
	s_cbranch_execz .LBB42_219
; %bb.218:
	v_mov_b32_e32 v5, s33
	s_clause 0x3
	buffer_load_dword v2, v5, s[0:3], 0 offen
	buffer_load_dword v3, v5, s[0:3], 0 offen offset:4
	buffer_load_dword v4, v5, s[0:3], 0 offen offset:8
	;; [unrolled: 1-line block ×3, first 2 shown]
	buffer_store_dword v1, off, s[0:3], 0 offset:432
	buffer_store_dword v1, off, s[0:3], 0 offset:436
	;; [unrolled: 1-line block ×4, first 2 shown]
	s_waitcnt vmcnt(0)
	ds_write_b128 v61, v[2:5]
.LBB42_219:
	s_or_b32 exec_lo, exec_lo, s4
	s_waitcnt lgkmcnt(0)
	s_waitcnt_vscnt null, 0x0
	s_barrier
	buffer_gl0_inv
	s_clause 0x37
	buffer_load_dword v10, off, s[0:3], 0 offset:456
	buffer_load_dword v11, off, s[0:3], 0 offset:460
	;; [unrolled: 1-line block ×56, first 2 shown]
	ds_read_b128 v[2:5], v1 offset:1120
	s_clause 0x2
	buffer_load_dword v69, off, s[0:3], 0 offset:684
	buffer_load_dword v73, off, s[0:3], 0 offset:660
	;; [unrolled: 1-line block ×3, first 2 shown]
	ds_read_b128 v[6:9], v1 offset:1136
	s_clause 0x2
	buffer_load_dword v79, off, s[0:3], 0 offset:700
	buffer_load_dword v78, off, s[0:3], 0 offset:696
	;; [unrolled: 1-line block ×3, first 2 shown]
	s_mov_b32 s4, exec_lo
	s_waitcnt vmcnt(60) lgkmcnt(1)
	v_mul_f64 v[74:75], v[4:5], v[10:11]
	v_mul_f64 v[76:77], v[2:3], v[10:11]
	s_waitcnt vmcnt(58) lgkmcnt(0)
	v_mul_f64 v[80:81], v[8:9], v[14:15]
	ds_read_b128 v[10:13], v1 offset:1152
	v_mul_f64 v[14:15], v[6:7], v[14:15]
	s_waitcnt vmcnt(56)
	v_fma_f64 v[74:75], v[2:3], v[16:17], -v[74:75]
	v_fma_f64 v[16:17], v[4:5], v[16:17], v[76:77]
	s_clause 0x1
	buffer_load_dword v77, off, s[0:3], 0 offset:692
	buffer_load_dword v76, off, s[0:3], 0 offset:688
	s_waitcnt vmcnt(56) lgkmcnt(0)
	v_mul_f64 v[82:83], v[10:11], v[18:19]
	v_mul_f64 v[18:19], v[12:13], v[18:19]
	s_waitcnt vmcnt(54)
	v_fma_f64 v[80:81], v[6:7], v[20:21], -v[80:81]
	ds_read_b128 v[2:5], v1 offset:1168
	v_fma_f64 v[14:15], v[8:9], v[20:21], v[14:15]
	ds_read_b128 v[6:9], v1 offset:1184
	v_add_f64 v[74:75], v[74:75], 0
	v_add_f64 v[16:17], v[16:17], 0
	s_waitcnt vmcnt(50) lgkmcnt(1)
	v_mul_f64 v[20:21], v[2:3], v[22:23]
	v_mul_f64 v[22:23], v[4:5], v[22:23]
	s_waitcnt vmcnt(48)
	v_fma_f64 v[18:19], v[10:11], v[28:29], -v[18:19]
	v_fma_f64 v[28:29], v[12:13], v[28:29], v[82:83]
	s_waitcnt vmcnt(47) lgkmcnt(0)
	v_mul_f64 v[82:83], v[6:7], v[24:25]
	v_mul_f64 v[24:25], v[8:9], v[24:25]
	v_add_f64 v[74:75], v[74:75], v[80:81]
	v_add_f64 v[14:15], v[16:17], v[14:15]
	s_clause 0x3
	buffer_load_dword v16, off, s[0:3], 0 offset:432
	buffer_load_dword v17, off, s[0:3], 0 offset:436
	buffer_load_dword v80, off, s[0:3], 0 offset:440
	buffer_load_dword v81, off, s[0:3], 0 offset:444
	ds_read_b128 v[10:13], v1 offset:1200
	s_waitcnt vmcnt(49)
	v_fma_f64 v[20:21], v[4:5], v[30:31], v[20:21]
	v_fma_f64 v[22:23], v[2:3], v[30:31], -v[22:23]
	ds_read_b128 v[2:5], v1 offset:1216
	s_waitcnt vmcnt(44)
	v_fma_f64 v[24:25], v[6:7], v[26:27], -v[24:25]
	v_add_f64 v[18:19], v[74:75], v[18:19]
	v_add_f64 v[14:15], v[14:15], v[28:29]
	s_waitcnt lgkmcnt(1)
	v_mul_f64 v[30:31], v[12:13], v[32:33]
	v_mul_f64 v[28:29], v[10:11], v[32:33]
	v_add_f64 v[18:19], v[18:19], v[22:23]
	v_fma_f64 v[22:23], v[8:9], v[26:27], v[82:83]
	v_add_f64 v[14:15], v[14:15], v[20:21]
	s_waitcnt vmcnt(43) lgkmcnt(0)
	v_mul_f64 v[26:27], v[4:5], v[34:35]
	s_waitcnt vmcnt(41)
	v_fma_f64 v[30:31], v[10:11], v[38:39], -v[30:31]
	ds_read_b128 v[6:9], v1 offset:1232
	v_mul_f64 v[20:21], v[2:3], v[34:35]
	v_add_f64 v[18:19], v[18:19], v[24:25]
	v_fma_f64 v[24:25], v[12:13], v[38:39], v[28:29]
	v_add_f64 v[14:15], v[14:15], v[22:23]
	ds_read_b128 v[10:13], v1 offset:1248
	s_waitcnt vmcnt(37) lgkmcnt(1)
	v_mul_f64 v[28:29], v[8:9], v[40:41]
	s_waitcnt vmcnt(36)
	v_fma_f64 v[26:27], v[2:3], v[36:37], -v[26:27]
	v_mul_f64 v[22:23], v[6:7], v[40:41]
	v_fma_f64 v[20:21], v[4:5], v[36:37], v[20:21]
	ds_read_b128 v[2:5], v1 offset:1264
	v_add_f64 v[18:19], v[18:19], v[30:31]
	s_waitcnt vmcnt(35) lgkmcnt(1)
	v_mul_f64 v[30:31], v[12:13], v[42:43]
	v_add_f64 v[14:15], v[14:15], v[24:25]
	v_mul_f64 v[24:25], v[10:11], v[42:43]
	s_waitcnt vmcnt(33)
	v_fma_f64 v[28:29], v[6:7], v[46:47], -v[28:29]
	v_fma_f64 v[22:23], v[8:9], v[46:47], v[22:23]
	ds_read_b128 v[6:9], v1 offset:1280
	v_add_f64 v[18:19], v[18:19], v[26:27]
	s_waitcnt vmcnt(29) lgkmcnt(1)
	v_mul_f64 v[26:27], v[4:5], v[48:49]
	v_add_f64 v[14:15], v[14:15], v[20:21]
	s_waitcnt vmcnt(28)
	v_fma_f64 v[30:31], v[10:11], v[44:45], -v[30:31]
	v_mul_f64 v[20:21], v[2:3], v[48:49]
	v_fma_f64 v[24:25], v[12:13], v[44:45], v[24:25]
	ds_read_b128 v[10:13], v1 offset:1296
	v_add_f64 v[18:19], v[18:19], v[28:29]
	s_waitcnt vmcnt(27) lgkmcnt(1)
	v_mul_f64 v[28:29], v[8:9], v[50:51]
	v_add_f64 v[14:15], v[14:15], v[22:23]
	s_waitcnt vmcnt(25)
	v_fma_f64 v[26:27], v[2:3], v[54:55], -v[26:27]
	v_mul_f64 v[22:23], v[6:7], v[50:51]
	;; [unrolled: 9-line block ×6, first 2 shown]
	v_fma_f64 v[7:8], v[8:9], v[72:73], v[22:23]
	s_waitcnt vmcnt(7) lgkmcnt(0)
	v_mul_f64 v[22:23], v[3:4], v[78:79]
	v_add_f64 v[18:19], v[18:19], v[26:27]
	s_waitcnt vmcnt(6)
	v_fma_f64 v[9:10], v[10:11], v[70:71], -v[30:31]
	v_add_f64 v[14:15], v[14:15], v[20:21]
	v_mul_f64 v[20:21], v[1:2], v[78:79]
	v_fma_f64 v[11:12], v[12:13], v[70:71], v[24:25]
	v_add_f64 v[5:6], v[18:19], v[5:6]
	v_add_f64 v[7:8], v[14:15], v[7:8]
	s_waitcnt vmcnt(4)
	v_fma_f64 v[1:2], v[1:2], v[76:77], -v[22:23]
	v_fma_f64 v[3:4], v[3:4], v[76:77], v[20:21]
	v_add_f64 v[5:6], v[5:6], v[9:10]
	v_add_f64 v[7:8], v[7:8], v[11:12]
	;; [unrolled: 1-line block ×4, first 2 shown]
	s_waitcnt vmcnt(2)
	v_add_f64 v[1:2], v[16:17], -v[1:2]
	s_waitcnt vmcnt(0)
	v_add_f64 v[3:4], v[80:81], -v[3:4]
	buffer_store_dword v2, off, s[0:3], 0 offset:436
	buffer_store_dword v1, off, s[0:3], 0 offset:432
	;; [unrolled: 1-line block ×4, first 2 shown]
	v_cmpx_lt_u32_e32 25, v0
	s_cbranch_execz .LBB42_221
; %bb.220:
	v_mov_b32_e32 v4, s35
	v_mov_b32_e32 v5, 0
	s_clause 0x3
	buffer_load_dword v1, v4, s[0:3], 0 offen
	buffer_load_dword v2, v4, s[0:3], 0 offen offset:4
	buffer_load_dword v3, v4, s[0:3], 0 offen offset:8
	;; [unrolled: 1-line block ×3, first 2 shown]
	buffer_store_dword v5, off, s[0:3], 0 offset:416
	buffer_store_dword v5, off, s[0:3], 0 offset:420
	;; [unrolled: 1-line block ×4, first 2 shown]
	s_waitcnt vmcnt(0)
	ds_write_b128 v61, v[1:4]
.LBB42_221:
	s_or_b32 exec_lo, exec_lo, s4
	s_waitcnt lgkmcnt(0)
	s_waitcnt_vscnt null, 0x0
	s_barrier
	buffer_gl0_inv
	s_clause 0x37
	buffer_load_dword v10, off, s[0:3], 0 offset:440
	buffer_load_dword v11, off, s[0:3], 0 offset:444
	;; [unrolled: 1-line block ×56, first 2 shown]
	v_mov_b32_e32 v1, 0
	s_mov_b32 s4, exec_lo
	ds_read_b128 v[2:5], v1 offset:1104
	s_clause 0x2
	buffer_load_dword v69, off, s[0:3], 0 offset:668
	buffer_load_dword v73, off, s[0:3], 0 offset:644
	;; [unrolled: 1-line block ×3, first 2 shown]
	ds_read_b128 v[6:9], v1 offset:1120
	s_clause 0x4
	buffer_load_dword v79, off, s[0:3], 0 offset:684
	buffer_load_dword v80, off, s[0:3], 0 offset:696
	;; [unrolled: 1-line block ×5, first 2 shown]
	s_waitcnt vmcnt(62) lgkmcnt(1)
	v_mul_f64 v[74:75], v[4:5], v[10:11]
	v_mul_f64 v[76:77], v[2:3], v[10:11]
	s_waitcnt vmcnt(60) lgkmcnt(0)
	v_mul_f64 v[83:84], v[8:9], v[14:15]
	ds_read_b128 v[10:13], v1 offset:1136
	v_mul_f64 v[14:15], v[6:7], v[14:15]
	s_waitcnt vmcnt(58)
	v_fma_f64 v[74:75], v[2:3], v[16:17], -v[74:75]
	v_fma_f64 v[16:17], v[4:5], v[16:17], v[76:77]
	s_clause 0x2
	buffer_load_dword v81, off, s[0:3], 0 offset:700
	buffer_load_dword v77, off, s[0:3], 0 offset:676
	;; [unrolled: 1-line block ×3, first 2 shown]
	s_waitcnt vmcnt(59) lgkmcnt(0)
	v_mul_f64 v[85:86], v[10:11], v[18:19]
	v_mul_f64 v[18:19], v[12:13], v[18:19]
	s_waitcnt vmcnt(57)
	v_fma_f64 v[87:88], v[6:7], v[20:21], -v[83:84]
	ds_read_b128 v[2:5], v1 offset:1152
	v_fma_f64 v[14:15], v[8:9], v[20:21], v[14:15]
	buffer_load_dword v83, off, s[0:3], 0 offset:692
	ds_read_b128 v[6:9], v1 offset:1168
	v_add_f64 v[74:75], v[74:75], 0
	v_add_f64 v[16:17], v[16:17], 0
	s_waitcnt vmcnt(54) lgkmcnt(1)
	v_mul_f64 v[20:21], v[2:3], v[22:23]
	v_mul_f64 v[22:23], v[4:5], v[22:23]
	s_waitcnt vmcnt(52)
	v_fma_f64 v[18:19], v[10:11], v[28:29], -v[18:19]
	v_fma_f64 v[28:29], v[12:13], v[28:29], v[85:86]
	ds_read_b128 v[10:13], v1 offset:1184
	v_add_f64 v[74:75], v[74:75], v[87:88]
	v_add_f64 v[14:15], v[16:17], v[14:15]
	s_waitcnt vmcnt(51) lgkmcnt(1)
	v_mul_f64 v[16:17], v[6:7], v[24:25]
	v_mul_f64 v[24:25], v[8:9], v[24:25]
	s_waitcnt vmcnt(49)
	v_fma_f64 v[20:21], v[4:5], v[30:31], v[20:21]
	v_fma_f64 v[22:23], v[2:3], v[30:31], -v[22:23]
	v_add_f64 v[18:19], v[74:75], v[18:19]
	v_add_f64 v[14:15], v[14:15], v[28:29]
	s_clause 0x3
	buffer_load_dword v28, off, s[0:3], 0 offset:416
	buffer_load_dword v29, off, s[0:3], 0 offset:420
	;; [unrolled: 1-line block ×4, first 2 shown]
	s_waitcnt vmcnt(49) lgkmcnt(0)
	v_mul_f64 v[74:75], v[10:11], v[32:33]
	v_mul_f64 v[32:33], v[12:13], v[32:33]
	s_waitcnt vmcnt(48)
	v_fma_f64 v[24:25], v[6:7], v[26:27], -v[24:25]
	ds_read_b128 v[2:5], v1 offset:1200
	v_fma_f64 v[16:17], v[8:9], v[26:27], v[16:17]
	ds_read_b128 v[6:9], v1 offset:1216
	v_add_f64 v[18:19], v[18:19], v[22:23]
	v_add_f64 v[14:15], v[14:15], v[20:21]
	s_waitcnt vmcnt(47) lgkmcnt(1)
	v_mul_f64 v[22:23], v[4:5], v[34:35]
	s_waitcnt vmcnt(45)
	v_fma_f64 v[26:27], v[10:11], v[38:39], -v[32:33]
	v_mul_f64 v[20:21], v[2:3], v[34:35]
	s_waitcnt vmcnt(41) lgkmcnt(0)
	v_mul_f64 v[32:33], v[8:9], v[40:41]
	v_add_f64 v[18:19], v[18:19], v[24:25]
	v_fma_f64 v[24:25], v[12:13], v[38:39], v[74:75]
	v_add_f64 v[14:15], v[14:15], v[16:17]
	ds_read_b128 v[10:13], v1 offset:1232
	s_waitcnt vmcnt(40)
	v_fma_f64 v[22:23], v[2:3], v[36:37], -v[22:23]
	v_mul_f64 v[16:17], v[6:7], v[40:41]
	v_fma_f64 v[20:21], v[4:5], v[36:37], v[20:21]
	ds_read_b128 v[2:5], v1 offset:1248
	s_waitcnt vmcnt(37)
	v_fma_f64 v[32:33], v[6:7], v[46:47], -v[32:33]
	v_add_f64 v[18:19], v[18:19], v[26:27]
	s_waitcnt lgkmcnt(1)
	v_mul_f64 v[26:27], v[12:13], v[42:43]
	v_add_f64 v[14:15], v[14:15], v[24:25]
	v_mul_f64 v[24:25], v[10:11], v[42:43]
	v_fma_f64 v[16:17], v[8:9], v[46:47], v[16:17]
	ds_read_b128 v[6:9], v1 offset:1264
	v_add_f64 v[18:19], v[18:19], v[22:23]
	s_waitcnt vmcnt(33) lgkmcnt(1)
	v_mul_f64 v[22:23], v[4:5], v[48:49]
	v_add_f64 v[14:15], v[14:15], v[20:21]
	s_waitcnt vmcnt(32)
	v_fma_f64 v[26:27], v[10:11], v[44:45], -v[26:27]
	v_mul_f64 v[20:21], v[2:3], v[48:49]
	v_fma_f64 v[24:25], v[12:13], v[44:45], v[24:25]
	ds_read_b128 v[10:13], v1 offset:1280
	v_add_f64 v[18:19], v[18:19], v[32:33]
	s_waitcnt vmcnt(31) lgkmcnt(1)
	v_mul_f64 v[32:33], v[8:9], v[50:51]
	v_add_f64 v[14:15], v[14:15], v[16:17]
	s_waitcnt vmcnt(29)
	v_fma_f64 v[22:23], v[2:3], v[54:55], -v[22:23]
	v_mul_f64 v[16:17], v[6:7], v[50:51]
	v_fma_f64 v[20:21], v[4:5], v[54:55], v[20:21]
	ds_read_b128 v[2:5], v1 offset:1296
	v_add_f64 v[18:19], v[18:19], v[26:27]
	s_waitcnt vmcnt(25) lgkmcnt(1)
	v_mul_f64 v[26:27], v[12:13], v[56:57]
	v_add_f64 v[14:15], v[14:15], v[24:25]
	s_waitcnt vmcnt(24)
	v_fma_f64 v[32:33], v[6:7], v[52:53], -v[32:33]
	v_mul_f64 v[24:25], v[10:11], v[56:57]
	v_fma_f64 v[16:17], v[8:9], v[52:53], v[16:17]
	ds_read_b128 v[6:9], v1 offset:1312
	v_add_f64 v[18:19], v[18:19], v[22:23]
	s_waitcnt vmcnt(23) lgkmcnt(1)
	v_mul_f64 v[22:23], v[4:5], v[58:59]
	v_add_f64 v[14:15], v[14:15], v[20:21]
	s_waitcnt vmcnt(21)
	v_fma_f64 v[26:27], v[10:11], v[64:65], -v[26:27]
	v_mul_f64 v[20:21], v[2:3], v[58:59]
	v_fma_f64 v[24:25], v[12:13], v[64:65], v[24:25]
	ds_read_b128 v[10:13], v1 offset:1328
	v_add_f64 v[18:19], v[18:19], v[32:33]
	s_waitcnt vmcnt(17) lgkmcnt(1)
	v_mul_f64 v[32:33], v[8:9], v[66:67]
	v_add_f64 v[14:15], v[14:15], v[16:17]
	s_waitcnt vmcnt(16)
	v_fma_f64 v[22:23], v[2:3], v[62:63], -v[22:23]
	v_mul_f64 v[16:17], v[6:7], v[66:67]
	v_fma_f64 v[20:21], v[4:5], v[62:63], v[20:21]
	ds_read_b128 v[2:5], v1 offset:1344
	v_add_f64 v[18:19], v[18:19], v[26:27]
	s_waitcnt vmcnt(15) lgkmcnt(1)
	v_mul_f64 v[26:27], v[12:13], v[68:69]
	v_add_f64 v[14:15], v[14:15], v[24:25]
	s_waitcnt vmcnt(13)
	v_fma_f64 v[32:33], v[6:7], v[72:73], -v[32:33]
	v_mul_f64 v[24:25], v[10:11], v[68:69]
	v_fma_f64 v[16:17], v[8:9], v[72:73], v[16:17]
	ds_read_b128 v[6:9], v1 offset:1360
	v_add_f64 v[18:19], v[18:19], v[22:23]
	s_waitcnt vmcnt(9) lgkmcnt(1)
	v_mul_f64 v[22:23], v[4:5], v[78:79]
	v_add_f64 v[14:15], v[14:15], v[20:21]
	s_waitcnt vmcnt(8)
	v_fma_f64 v[10:11], v[10:11], v[70:71], -v[26:27]
	v_mul_f64 v[20:21], v[2:3], v[78:79]
	v_fma_f64 v[12:13], v[12:13], v[70:71], v[24:25]
	v_add_f64 v[18:19], v[18:19], v[32:33]
	v_add_f64 v[14:15], v[14:15], v[16:17]
	s_waitcnt vmcnt(7) lgkmcnt(0)
	v_mul_f64 v[24:25], v[8:9], v[80:81]
	v_mul_f64 v[16:17], v[6:7], v[80:81]
	s_waitcnt vmcnt(5)
	v_fma_f64 v[2:3], v[2:3], v[76:77], -v[22:23]
	v_fma_f64 v[4:5], v[4:5], v[76:77], v[20:21]
	v_add_f64 v[10:11], v[18:19], v[10:11]
	v_add_f64 v[12:13], v[14:15], v[12:13]
	s_waitcnt vmcnt(4)
	v_fma_f64 v[6:7], v[6:7], v[82:83], -v[24:25]
	v_fma_f64 v[8:9], v[8:9], v[82:83], v[16:17]
	v_add_f64 v[2:3], v[10:11], v[2:3]
	v_add_f64 v[4:5], v[12:13], v[4:5]
	;; [unrolled: 1-line block ×4, first 2 shown]
	s_waitcnt vmcnt(2)
	v_add_f64 v[2:3], v[28:29], -v[2:3]
	s_waitcnt vmcnt(0)
	v_add_f64 v[4:5], v[30:31], -v[4:5]
	buffer_store_dword v3, off, s[0:3], 0 offset:420
	buffer_store_dword v2, off, s[0:3], 0 offset:416
	;; [unrolled: 1-line block ×4, first 2 shown]
	v_cmpx_lt_u32_e32 24, v0
	s_cbranch_execz .LBB42_223
; %bb.222:
	v_mov_b32_e32 v5, s37
	s_clause 0x3
	buffer_load_dword v2, v5, s[0:3], 0 offen
	buffer_load_dword v3, v5, s[0:3], 0 offen offset:4
	buffer_load_dword v4, v5, s[0:3], 0 offen offset:8
	;; [unrolled: 1-line block ×3, first 2 shown]
	buffer_store_dword v1, off, s[0:3], 0 offset:400
	buffer_store_dword v1, off, s[0:3], 0 offset:404
	;; [unrolled: 1-line block ×4, first 2 shown]
	s_waitcnt vmcnt(0)
	ds_write_b128 v61, v[2:5]
.LBB42_223:
	s_or_b32 exec_lo, exec_lo, s4
	s_waitcnt lgkmcnt(0)
	s_waitcnt_vscnt null, 0x0
	s_barrier
	buffer_gl0_inv
	s_clause 0x37
	buffer_load_dword v10, off, s[0:3], 0 offset:424
	buffer_load_dword v11, off, s[0:3], 0 offset:428
	;; [unrolled: 1-line block ×56, first 2 shown]
	ds_read_b128 v[2:5], v1 offset:1088
	s_clause 0x2
	buffer_load_dword v69, off, s[0:3], 0 offset:652
	buffer_load_dword v73, off, s[0:3], 0 offset:628
	;; [unrolled: 1-line block ×3, first 2 shown]
	ds_read_b128 v[6:9], v1 offset:1104
	s_clause 0x4
	buffer_load_dword v79, off, s[0:3], 0 offset:668
	buffer_load_dword v80, off, s[0:3], 0 offset:680
	;; [unrolled: 1-line block ×5, first 2 shown]
	s_mov_b32 s4, exec_lo
	s_waitcnt vmcnt(62) lgkmcnt(1)
	v_mul_f64 v[74:75], v[4:5], v[10:11]
	v_mul_f64 v[76:77], v[2:3], v[10:11]
	s_waitcnt vmcnt(60) lgkmcnt(0)
	v_mul_f64 v[83:84], v[8:9], v[14:15]
	ds_read_b128 v[10:13], v1 offset:1120
	v_mul_f64 v[14:15], v[6:7], v[14:15]
	s_waitcnt vmcnt(58)
	v_fma_f64 v[74:75], v[2:3], v[16:17], -v[74:75]
	v_fma_f64 v[16:17], v[4:5], v[16:17], v[76:77]
	s_clause 0x2
	buffer_load_dword v81, off, s[0:3], 0 offset:684
	buffer_load_dword v77, off, s[0:3], 0 offset:660
	;; [unrolled: 1-line block ×3, first 2 shown]
	s_waitcnt vmcnt(59) lgkmcnt(0)
	v_mul_f64 v[85:86], v[10:11], v[18:19]
	v_mul_f64 v[18:19], v[12:13], v[18:19]
	s_waitcnt vmcnt(57)
	v_fma_f64 v[87:88], v[6:7], v[20:21], -v[83:84]
	ds_read_b128 v[2:5], v1 offset:1136
	v_fma_f64 v[14:15], v[8:9], v[20:21], v[14:15]
	s_clause 0x2
	buffer_load_dword v21, off, s[0:3], 0 offset:700
	buffer_load_dword v20, off, s[0:3], 0 offset:696
	;; [unrolled: 1-line block ×3, first 2 shown]
	ds_read_b128 v[6:9], v1 offset:1152
	v_add_f64 v[74:75], v[74:75], 0
	v_add_f64 v[16:17], v[16:17], 0
	s_waitcnt vmcnt(56) lgkmcnt(1)
	v_mul_f64 v[89:90], v[2:3], v[22:23]
	v_mul_f64 v[22:23], v[4:5], v[22:23]
	s_waitcnt vmcnt(54)
	v_fma_f64 v[18:19], v[10:11], v[28:29], -v[18:19]
	v_fma_f64 v[28:29], v[12:13], v[28:29], v[85:86]
	s_waitcnt vmcnt(53) lgkmcnt(0)
	v_mul_f64 v[84:85], v[6:7], v[24:25]
	v_mul_f64 v[24:25], v[8:9], v[24:25]
	v_add_f64 v[74:75], v[74:75], v[87:88]
	v_add_f64 v[14:15], v[16:17], v[14:15]
	s_clause 0x1
	buffer_load_dword v17, off, s[0:3], 0 offset:692
	buffer_load_dword v16, off, s[0:3], 0 offset:688
	ds_read_b128 v[10:13], v1 offset:1168
	s_waitcnt vmcnt(53)
	v_fma_f64 v[22:23], v[2:3], v[30:31], -v[22:23]
	v_fma_f64 v[30:31], v[4:5], v[30:31], v[89:90]
	ds_read_b128 v[2:5], v1 offset:1184
	s_waitcnt vmcnt(48)
	v_fma_f64 v[24:25], v[6:7], v[26:27], -v[24:25]
	v_add_f64 v[18:19], v[74:75], v[18:19]
	v_add_f64 v[14:15], v[14:15], v[28:29]
	s_waitcnt lgkmcnt(1)
	v_mul_f64 v[28:29], v[10:11], v[32:33]
	v_mul_f64 v[32:33], v[12:13], v[32:33]
	s_waitcnt vmcnt(47) lgkmcnt(0)
	v_mul_f64 v[74:75], v[2:3], v[34:35]
	v_mul_f64 v[34:35], v[4:5], v[34:35]
	v_add_f64 v[18:19], v[18:19], v[22:23]
	v_fma_f64 v[22:23], v[8:9], v[26:27], v[84:85]
	v_add_f64 v[14:15], v[14:15], v[30:31]
	s_clause 0x3
	buffer_load_dword v26, off, s[0:3], 0 offset:400
	buffer_load_dword v27, off, s[0:3], 0 offset:404
	;; [unrolled: 1-line block ×4, first 2 shown]
	s_waitcnt vmcnt(49)
	v_fma_f64 v[32:33], v[10:11], v[38:39], -v[32:33]
	ds_read_b128 v[6:9], v1 offset:1200
	s_waitcnt vmcnt(44)
	v_fma_f64 v[34:35], v[2:3], v[36:37], -v[34:35]
	v_add_f64 v[18:19], v[18:19], v[24:25]
	v_fma_f64 v[24:25], v[12:13], v[38:39], v[28:29]
	v_add_f64 v[14:15], v[14:15], v[22:23]
	ds_read_b128 v[10:13], v1 offset:1216
	s_waitcnt lgkmcnt(1)
	v_mul_f64 v[28:29], v[8:9], v[40:41]
	v_mul_f64 v[22:23], v[6:7], v[40:41]
	v_add_f64 v[18:19], v[18:19], v[32:33]
	v_fma_f64 v[32:33], v[4:5], v[36:37], v[74:75]
	v_add_f64 v[14:15], v[14:15], v[24:25]
	s_waitcnt vmcnt(43) lgkmcnt(0)
	v_mul_f64 v[36:37], v[12:13], v[42:43]
	s_waitcnt vmcnt(41)
	v_fma_f64 v[28:29], v[6:7], v[46:47], -v[28:29]
	ds_read_b128 v[2:5], v1 offset:1232
	v_mul_f64 v[24:25], v[10:11], v[42:43]
	v_fma_f64 v[22:23], v[8:9], v[46:47], v[22:23]
	ds_read_b128 v[6:9], v1 offset:1248
	v_add_f64 v[18:19], v[18:19], v[34:35]
	v_add_f64 v[14:15], v[14:15], v[32:33]
	s_waitcnt vmcnt(37) lgkmcnt(1)
	v_mul_f64 v[34:35], v[4:5], v[48:49]
	s_waitcnt vmcnt(36)
	v_fma_f64 v[36:37], v[10:11], v[44:45], -v[36:37]
	v_mul_f64 v[32:33], v[2:3], v[48:49]
	v_fma_f64 v[24:25], v[12:13], v[44:45], v[24:25]
	ds_read_b128 v[10:13], v1 offset:1264
	v_add_f64 v[18:19], v[18:19], v[28:29]
	s_waitcnt vmcnt(35) lgkmcnt(1)
	v_mul_f64 v[28:29], v[8:9], v[50:51]
	v_add_f64 v[14:15], v[14:15], v[22:23]
	s_waitcnt vmcnt(33)
	v_fma_f64 v[34:35], v[2:3], v[54:55], -v[34:35]
	v_mul_f64 v[22:23], v[6:7], v[50:51]
	v_fma_f64 v[32:33], v[4:5], v[54:55], v[32:33]
	ds_read_b128 v[2:5], v1 offset:1280
	v_add_f64 v[18:19], v[18:19], v[36:37]
	s_waitcnt vmcnt(29) lgkmcnt(1)
	v_mul_f64 v[36:37], v[12:13], v[56:57]
	v_add_f64 v[14:15], v[14:15], v[24:25]
	;; [unrolled: 9-line block ×6, first 2 shown]
	s_waitcnt vmcnt(12)
	v_fma_f64 v[36:37], v[10:11], v[70:71], -v[36:37]
	v_mul_f64 v[32:33], v[2:3], v[78:79]
	v_fma_f64 v[24:25], v[12:13], v[70:71], v[24:25]
	ds_read_b128 v[10:13], v1 offset:1360
	v_add_f64 v[18:19], v[18:19], v[28:29]
	v_add_f64 v[14:15], v[14:15], v[22:23]
	s_waitcnt vmcnt(11) lgkmcnt(1)
	v_mul_f64 v[28:29], v[8:9], v[80:81]
	v_mul_f64 v[22:23], v[6:7], v[80:81]
	s_waitcnt vmcnt(9)
	v_fma_f64 v[1:2], v[2:3], v[76:77], -v[34:35]
	v_fma_f64 v[3:4], v[4:5], v[76:77], v[32:33]
	v_add_f64 v[18:19], v[18:19], v[36:37]
	v_add_f64 v[14:15], v[14:15], v[24:25]
	s_waitcnt vmcnt(7) lgkmcnt(0)
	v_mul_f64 v[24:25], v[10:11], v[20:21]
	v_mul_f64 v[20:21], v[12:13], v[20:21]
	s_waitcnt vmcnt(6)
	v_fma_f64 v[5:6], v[6:7], v[82:83], -v[28:29]
	v_fma_f64 v[7:8], v[8:9], v[82:83], v[22:23]
	v_add_f64 v[1:2], v[18:19], v[1:2]
	v_add_f64 v[3:4], v[14:15], v[3:4]
	s_waitcnt vmcnt(4)
	v_fma_f64 v[9:10], v[10:11], v[16:17], -v[20:21]
	v_add_f64 v[1:2], v[1:2], v[5:6]
	v_fma_f64 v[5:6], v[12:13], v[16:17], v[24:25]
	v_add_f64 v[3:4], v[3:4], v[7:8]
	v_add_f64 v[1:2], v[1:2], v[9:10]
	;; [unrolled: 1-line block ×3, first 2 shown]
	s_waitcnt vmcnt(2)
	v_add_f64 v[1:2], v[26:27], -v[1:2]
	s_waitcnt vmcnt(0)
	v_add_f64 v[3:4], v[30:31], -v[3:4]
	buffer_store_dword v2, off, s[0:3], 0 offset:404
	buffer_store_dword v1, off, s[0:3], 0 offset:400
	;; [unrolled: 1-line block ×4, first 2 shown]
	v_cmpx_lt_u32_e32 23, v0
	s_cbranch_execz .LBB42_225
; %bb.224:
	v_mov_b32_e32 v4, s39
	v_mov_b32_e32 v5, 0
	s_clause 0x3
	buffer_load_dword v1, v4, s[0:3], 0 offen
	buffer_load_dword v2, v4, s[0:3], 0 offen offset:4
	buffer_load_dword v3, v4, s[0:3], 0 offen offset:8
	;; [unrolled: 1-line block ×3, first 2 shown]
	buffer_store_dword v5, off, s[0:3], 0 offset:384
	buffer_store_dword v5, off, s[0:3], 0 offset:388
	;; [unrolled: 1-line block ×4, first 2 shown]
	s_waitcnt vmcnt(0)
	ds_write_b128 v61, v[1:4]
.LBB42_225:
	s_or_b32 exec_lo, exec_lo, s4
	s_waitcnt lgkmcnt(0)
	s_waitcnt_vscnt null, 0x0
	s_barrier
	buffer_gl0_inv
	s_clause 0x37
	buffer_load_dword v10, off, s[0:3], 0 offset:408
	buffer_load_dword v11, off, s[0:3], 0 offset:412
	;; [unrolled: 1-line block ×56, first 2 shown]
	v_mov_b32_e32 v1, 0
	s_mov_b32 s4, exec_lo
	ds_read_b128 v[2:5], v1 offset:1072
	s_clause 0x2
	buffer_load_dword v69, off, s[0:3], 0 offset:636
	buffer_load_dword v73, off, s[0:3], 0 offset:612
	;; [unrolled: 1-line block ×3, first 2 shown]
	ds_read_b128 v[6:9], v1 offset:1088
	s_clause 0x4
	buffer_load_dword v79, off, s[0:3], 0 offset:652
	buffer_load_dword v80, off, s[0:3], 0 offset:664
	;; [unrolled: 1-line block ×5, first 2 shown]
	s_waitcnt vmcnt(62) lgkmcnt(1)
	v_mul_f64 v[74:75], v[4:5], v[10:11]
	v_mul_f64 v[76:77], v[2:3], v[10:11]
	s_waitcnt vmcnt(60) lgkmcnt(0)
	v_mul_f64 v[83:84], v[8:9], v[14:15]
	ds_read_b128 v[10:13], v1 offset:1104
	v_mul_f64 v[14:15], v[6:7], v[14:15]
	s_waitcnt vmcnt(58)
	v_fma_f64 v[74:75], v[2:3], v[16:17], -v[74:75]
	v_fma_f64 v[16:17], v[4:5], v[16:17], v[76:77]
	s_clause 0x2
	buffer_load_dword v81, off, s[0:3], 0 offset:668
	buffer_load_dword v77, off, s[0:3], 0 offset:644
	;; [unrolled: 1-line block ×3, first 2 shown]
	s_waitcnt vmcnt(59) lgkmcnt(0)
	v_mul_f64 v[85:86], v[10:11], v[18:19]
	v_mul_f64 v[18:19], v[12:13], v[18:19]
	s_waitcnt vmcnt(57)
	v_fma_f64 v[87:88], v[6:7], v[20:21], -v[83:84]
	ds_read_b128 v[2:5], v1 offset:1120
	v_fma_f64 v[14:15], v[8:9], v[20:21], v[14:15]
	s_clause 0x4
	buffer_load_dword v21, off, s[0:3], 0 offset:684
	buffer_load_dword v84, off, s[0:3], 0 offset:696
	;; [unrolled: 1-line block ×5, first 2 shown]
	ds_read_b128 v[6:9], v1 offset:1136
	v_add_f64 v[74:75], v[74:75], 0
	v_add_f64 v[16:17], v[16:17], 0
	s_waitcnt vmcnt(58) lgkmcnt(1)
	v_mul_f64 v[90:91], v[2:3], v[22:23]
	v_mul_f64 v[22:23], v[4:5], v[22:23]
	s_waitcnt vmcnt(56)
	v_fma_f64 v[18:19], v[10:11], v[28:29], -v[18:19]
	v_fma_f64 v[28:29], v[12:13], v[28:29], v[85:86]
	v_add_f64 v[74:75], v[74:75], v[87:88]
	v_add_f64 v[14:15], v[16:17], v[14:15]
	s_clause 0x2
	buffer_load_dword v85, off, s[0:3], 0 offset:700
	buffer_load_dword v17, off, s[0:3], 0 offset:676
	;; [unrolled: 1-line block ×3, first 2 shown]
	s_waitcnt vmcnt(58) lgkmcnt(0)
	v_mul_f64 v[86:87], v[6:7], v[24:25]
	v_mul_f64 v[24:25], v[8:9], v[24:25]
	s_waitcnt vmcnt(56)
	v_fma_f64 v[22:23], v[2:3], v[30:31], -v[22:23]
	ds_read_b128 v[10:13], v1 offset:1152
	v_fma_f64 v[30:31], v[4:5], v[30:31], v[90:91]
	buffer_load_dword v90, off, s[0:3], 0 offset:692
	ds_read_b128 v[2:5], v1 offset:1168
	v_add_f64 v[18:19], v[74:75], v[18:19]
	v_add_f64 v[14:15], v[14:15], v[28:29]
	s_waitcnt vmcnt(53) lgkmcnt(1)
	v_mul_f64 v[28:29], v[10:11], v[32:33]
	v_mul_f64 v[32:33], v[12:13], v[32:33]
	s_waitcnt vmcnt(52)
	v_fma_f64 v[24:25], v[6:7], v[26:27], -v[24:25]
	v_add_f64 v[18:19], v[18:19], v[22:23]
	v_fma_f64 v[22:23], v[8:9], v[26:27], v[86:87]
	v_add_f64 v[14:15], v[14:15], v[30:31]
	s_waitcnt vmcnt(51) lgkmcnt(0)
	v_mul_f64 v[30:31], v[4:5], v[34:35]
	ds_read_b128 v[6:9], v1 offset:1184
	s_waitcnt vmcnt(49)
	v_fma_f64 v[32:33], v[10:11], v[38:39], -v[32:33]
	v_mul_f64 v[26:27], v[2:3], v[34:35]
	v_add_f64 v[18:19], v[18:19], v[24:25]
	v_fma_f64 v[24:25], v[12:13], v[38:39], v[28:29]
	v_add_f64 v[14:15], v[14:15], v[22:23]
	s_clause 0x3
	buffer_load_dword v22, off, s[0:3], 0 offset:384
	buffer_load_dword v23, off, s[0:3], 0 offset:388
	buffer_load_dword v28, off, s[0:3], 0 offset:392
	buffer_load_dword v29, off, s[0:3], 0 offset:396
	s_waitcnt vmcnt(49) lgkmcnt(0)
	v_mul_f64 v[38:39], v[8:9], v[40:41]
	s_waitcnt vmcnt(48)
	v_fma_f64 v[30:31], v[2:3], v[36:37], -v[30:31]
	ds_read_b128 v[10:13], v1 offset:1200
	v_mul_f64 v[34:35], v[6:7], v[40:41]
	v_fma_f64 v[26:27], v[4:5], v[36:37], v[26:27]
	ds_read_b128 v[2:5], v1 offset:1216
	v_add_f64 v[18:19], v[18:19], v[32:33]
	v_add_f64 v[14:15], v[14:15], v[24:25]
	s_waitcnt vmcnt(47) lgkmcnt(1)
	v_mul_f64 v[32:33], v[12:13], v[42:43]
	s_waitcnt vmcnt(45)
	v_fma_f64 v[36:37], v[6:7], v[46:47], -v[38:39]
	v_mul_f64 v[24:25], v[10:11], v[42:43]
	v_add_f64 v[18:19], v[18:19], v[30:31]
	v_fma_f64 v[30:31], v[8:9], v[46:47], v[34:35]
	v_add_f64 v[14:15], v[14:15], v[26:27]
	s_waitcnt vmcnt(41) lgkmcnt(0)
	v_mul_f64 v[34:35], v[4:5], v[48:49]
	s_waitcnt vmcnt(40)
	v_fma_f64 v[32:33], v[10:11], v[44:45], -v[32:33]
	ds_read_b128 v[6:9], v1 offset:1232
	v_mul_f64 v[26:27], v[2:3], v[48:49]
	v_fma_f64 v[24:25], v[12:13], v[44:45], v[24:25]
	ds_read_b128 v[10:13], v1 offset:1248
	v_add_f64 v[18:19], v[18:19], v[36:37]
	v_add_f64 v[14:15], v[14:15], v[30:31]
	s_waitcnt vmcnt(39) lgkmcnt(1)
	v_mul_f64 v[36:37], v[8:9], v[50:51]
	s_waitcnt vmcnt(37)
	v_fma_f64 v[34:35], v[2:3], v[54:55], -v[34:35]
	v_mul_f64 v[30:31], v[6:7], v[50:51]
	v_fma_f64 v[26:27], v[4:5], v[54:55], v[26:27]
	ds_read_b128 v[2:5], v1 offset:1264
	v_add_f64 v[18:19], v[18:19], v[32:33]
	s_waitcnt vmcnt(33) lgkmcnt(1)
	v_mul_f64 v[32:33], v[12:13], v[56:57]
	v_add_f64 v[14:15], v[14:15], v[24:25]
	s_waitcnt vmcnt(32)
	v_fma_f64 v[36:37], v[6:7], v[52:53], -v[36:37]
	v_mul_f64 v[24:25], v[10:11], v[56:57]
	v_fma_f64 v[30:31], v[8:9], v[52:53], v[30:31]
	ds_read_b128 v[6:9], v1 offset:1280
	v_add_f64 v[18:19], v[18:19], v[34:35]
	s_waitcnt vmcnt(31) lgkmcnt(1)
	v_mul_f64 v[34:35], v[4:5], v[58:59]
	v_add_f64 v[14:15], v[14:15], v[26:27]
	;; [unrolled: 9-line block ×5, first 2 shown]
	s_waitcnt vmcnt(16)
	v_fma_f64 v[32:33], v[10:11], v[70:71], -v[32:33]
	v_mul_f64 v[26:27], v[2:3], v[78:79]
	v_fma_f64 v[24:25], v[12:13], v[70:71], v[24:25]
	ds_read_b128 v[10:13], v1 offset:1344
	v_add_f64 v[18:19], v[18:19], v[36:37]
	v_add_f64 v[14:15], v[14:15], v[30:31]
	s_waitcnt vmcnt(15) lgkmcnt(1)
	v_mul_f64 v[36:37], v[8:9], v[80:81]
	v_mul_f64 v[30:31], v[6:7], v[80:81]
	s_waitcnt vmcnt(13)
	v_fma_f64 v[34:35], v[2:3], v[76:77], -v[34:35]
	v_fma_f64 v[26:27], v[4:5], v[76:77], v[26:27]
	ds_read_b128 v[2:5], v1 offset:1360
	v_add_f64 v[18:19], v[18:19], v[32:33]
	v_add_f64 v[14:15], v[14:15], v[24:25]
	s_waitcnt vmcnt(9) lgkmcnt(1)
	v_mul_f64 v[24:25], v[10:11], v[20:21]
	v_mul_f64 v[20:21], v[12:13], v[20:21]
	s_waitcnt vmcnt(8)
	v_fma_f64 v[6:7], v[6:7], v[82:83], -v[36:37]
	v_fma_f64 v[8:9], v[8:9], v[82:83], v[30:31]
	v_add_f64 v[18:19], v[18:19], v[34:35]
	v_add_f64 v[14:15], v[14:15], v[26:27]
	s_waitcnt vmcnt(7) lgkmcnt(0)
	v_mul_f64 v[30:31], v[4:5], v[84:85]
	v_mul_f64 v[26:27], v[2:3], v[84:85]
	s_waitcnt vmcnt(5)
	v_fma_f64 v[10:11], v[10:11], v[16:17], -v[20:21]
	v_fma_f64 v[12:13], v[12:13], v[16:17], v[24:25]
	v_add_f64 v[6:7], v[18:19], v[6:7]
	v_add_f64 v[8:9], v[14:15], v[8:9]
	s_waitcnt vmcnt(4)
	v_fma_f64 v[2:3], v[2:3], v[89:90], -v[30:31]
	v_fma_f64 v[4:5], v[4:5], v[89:90], v[26:27]
	v_add_f64 v[6:7], v[6:7], v[10:11]
	v_add_f64 v[8:9], v[8:9], v[12:13]
	v_add_f64 v[2:3], v[6:7], v[2:3]
	v_add_f64 v[4:5], v[8:9], v[4:5]
	s_waitcnt vmcnt(2)
	v_add_f64 v[2:3], v[22:23], -v[2:3]
	s_waitcnt vmcnt(0)
	v_add_f64 v[4:5], v[28:29], -v[4:5]
	buffer_store_dword v3, off, s[0:3], 0 offset:388
	buffer_store_dword v2, off, s[0:3], 0 offset:384
	;; [unrolled: 1-line block ×4, first 2 shown]
	v_cmpx_lt_u32_e32 22, v0
	s_cbranch_execz .LBB42_227
; %bb.226:
	v_mov_b32_e32 v5, s41
	s_clause 0x3
	buffer_load_dword v2, v5, s[0:3], 0 offen
	buffer_load_dword v3, v5, s[0:3], 0 offen offset:4
	buffer_load_dword v4, v5, s[0:3], 0 offen offset:8
	;; [unrolled: 1-line block ×3, first 2 shown]
	buffer_store_dword v1, off, s[0:3], 0 offset:368
	buffer_store_dword v1, off, s[0:3], 0 offset:372
	;; [unrolled: 1-line block ×4, first 2 shown]
	s_waitcnt vmcnt(0)
	ds_write_b128 v61, v[2:5]
.LBB42_227:
	s_or_b32 exec_lo, exec_lo, s4
	s_waitcnt lgkmcnt(0)
	s_waitcnt_vscnt null, 0x0
	s_barrier
	buffer_gl0_inv
	s_clause 0x37
	buffer_load_dword v10, off, s[0:3], 0 offset:392
	buffer_load_dword v11, off, s[0:3], 0 offset:396
	buffer_load_dword v14, off, s[0:3], 0 offset:408
	buffer_load_dword v15, off, s[0:3], 0 offset:412
	buffer_load_dword v16, off, s[0:3], 0 offset:384
	buffer_load_dword v17, off, s[0:3], 0 offset:388
	buffer_load_dword v18, off, s[0:3], 0 offset:424
	buffer_load_dword v19, off, s[0:3], 0 offset:428
	buffer_load_dword v20, off, s[0:3], 0 offset:400
	buffer_load_dword v21, off, s[0:3], 0 offset:404
	buffer_load_dword v23, off, s[0:3], 0 offset:444
	buffer_load_dword v24, off, s[0:3], 0 offset:456
	buffer_load_dword v26, off, s[0:3], 0 offset:448
	buffer_load_dword v22, off, s[0:3], 0 offset:440
	buffer_load_dword v28, off, s[0:3], 0 offset:416
	buffer_load_dword v29, off, s[0:3], 0 offset:420
	buffer_load_dword v25, off, s[0:3], 0 offset:460
	buffer_load_dword v31, off, s[0:3], 0 offset:436
	buffer_load_dword v30, off, s[0:3], 0 offset:432
	buffer_load_dword v33, off, s[0:3], 0 offset:476
	buffer_load_dword v34, off, s[0:3], 0 offset:488
	buffer_load_dword v36, off, s[0:3], 0 offset:480
	buffer_load_dword v32, off, s[0:3], 0 offset:472
	buffer_load_dword v27, off, s[0:3], 0 offset:452
	buffer_load_dword v35, off, s[0:3], 0 offset:492
	buffer_load_dword v39, off, s[0:3], 0 offset:468
	buffer_load_dword v38, off, s[0:3], 0 offset:464
	buffer_load_dword v41, off, s[0:3], 0 offset:508
	buffer_load_dword v42, off, s[0:3], 0 offset:520
	buffer_load_dword v44, off, s[0:3], 0 offset:512
	buffer_load_dword v40, off, s[0:3], 0 offset:504
	buffer_load_dword v37, off, s[0:3], 0 offset:484
	buffer_load_dword v43, off, s[0:3], 0 offset:524
	buffer_load_dword v47, off, s[0:3], 0 offset:500
	buffer_load_dword v46, off, s[0:3], 0 offset:496
	buffer_load_dword v49, off, s[0:3], 0 offset:540
	buffer_load_dword v50, off, s[0:3], 0 offset:552
	buffer_load_dword v52, off, s[0:3], 0 offset:544
	buffer_load_dword v48, off, s[0:3], 0 offset:536
	buffer_load_dword v45, off, s[0:3], 0 offset:516
	buffer_load_dword v51, off, s[0:3], 0 offset:556
	buffer_load_dword v55, off, s[0:3], 0 offset:532
	buffer_load_dword v54, off, s[0:3], 0 offset:528
	buffer_load_dword v57, off, s[0:3], 0 offset:572
	buffer_load_dword v58, off, s[0:3], 0 offset:584
	buffer_load_dword v62, off, s[0:3], 0 offset:576
	buffer_load_dword v56, off, s[0:3], 0 offset:568
	buffer_load_dword v53, off, s[0:3], 0 offset:548
	buffer_load_dword v59, off, s[0:3], 0 offset:588
	buffer_load_dword v65, off, s[0:3], 0 offset:564
	buffer_load_dword v64, off, s[0:3], 0 offset:560
	buffer_load_dword v67, off, s[0:3], 0 offset:604
	buffer_load_dword v68, off, s[0:3], 0 offset:616
	buffer_load_dword v70, off, s[0:3], 0 offset:608
	buffer_load_dword v66, off, s[0:3], 0 offset:600
	buffer_load_dword v63, off, s[0:3], 0 offset:580
	ds_read_b128 v[2:5], v1 offset:1056
	s_clause 0x2
	buffer_load_dword v69, off, s[0:3], 0 offset:620
	buffer_load_dword v73, off, s[0:3], 0 offset:596
	;; [unrolled: 1-line block ×3, first 2 shown]
	ds_read_b128 v[6:9], v1 offset:1072
	s_clause 0x4
	buffer_load_dword v79, off, s[0:3], 0 offset:636
	buffer_load_dword v80, off, s[0:3], 0 offset:648
	;; [unrolled: 1-line block ×5, first 2 shown]
	s_mov_b32 s4, exec_lo
	s_waitcnt vmcnt(62) lgkmcnt(1)
	v_mul_f64 v[74:75], v[4:5], v[10:11]
	v_mul_f64 v[76:77], v[2:3], v[10:11]
	s_waitcnt vmcnt(60) lgkmcnt(0)
	v_mul_f64 v[83:84], v[8:9], v[14:15]
	ds_read_b128 v[10:13], v1 offset:1088
	v_mul_f64 v[14:15], v[6:7], v[14:15]
	s_waitcnt vmcnt(58)
	v_fma_f64 v[74:75], v[2:3], v[16:17], -v[74:75]
	v_fma_f64 v[16:17], v[4:5], v[16:17], v[76:77]
	s_clause 0x2
	buffer_load_dword v81, off, s[0:3], 0 offset:652
	buffer_load_dword v77, off, s[0:3], 0 offset:628
	;; [unrolled: 1-line block ×3, first 2 shown]
	s_waitcnt vmcnt(59) lgkmcnt(0)
	v_mul_f64 v[85:86], v[10:11], v[18:19]
	v_mul_f64 v[18:19], v[12:13], v[18:19]
	s_waitcnt vmcnt(57)
	v_fma_f64 v[87:88], v[6:7], v[20:21], -v[83:84]
	ds_read_b128 v[2:5], v1 offset:1104
	v_fma_f64 v[14:15], v[8:9], v[20:21], v[14:15]
	s_clause 0x4
	buffer_load_dword v21, off, s[0:3], 0 offset:668
	buffer_load_dword v84, off, s[0:3], 0 offset:680
	;; [unrolled: 1-line block ×5, first 2 shown]
	ds_read_b128 v[6:9], v1 offset:1120
	v_add_f64 v[74:75], v[74:75], 0
	v_add_f64 v[16:17], v[16:17], 0
	s_waitcnt vmcnt(58) lgkmcnt(1)
	v_mul_f64 v[90:91], v[2:3], v[22:23]
	v_mul_f64 v[22:23], v[4:5], v[22:23]
	s_waitcnt vmcnt(56)
	v_fma_f64 v[18:19], v[10:11], v[28:29], -v[18:19]
	v_fma_f64 v[28:29], v[12:13], v[28:29], v[85:86]
	v_add_f64 v[74:75], v[74:75], v[87:88]
	v_add_f64 v[14:15], v[16:17], v[14:15]
	s_clause 0x2
	buffer_load_dword v85, off, s[0:3], 0 offset:684
	buffer_load_dword v17, off, s[0:3], 0 offset:660
	;; [unrolled: 1-line block ×3, first 2 shown]
	s_waitcnt vmcnt(58) lgkmcnt(0)
	v_mul_f64 v[86:87], v[6:7], v[24:25]
	v_mul_f64 v[24:25], v[8:9], v[24:25]
	s_waitcnt vmcnt(56)
	v_fma_f64 v[22:23], v[2:3], v[30:31], -v[22:23]
	ds_read_b128 v[10:13], v1 offset:1136
	v_fma_f64 v[30:31], v[4:5], v[30:31], v[90:91]
	v_add_f64 v[18:19], v[74:75], v[18:19]
	v_add_f64 v[14:15], v[14:15], v[28:29]
	s_clause 0x2
	buffer_load_dword v29, off, s[0:3], 0 offset:700
	buffer_load_dword v28, off, s[0:3], 0 offset:696
	;; [unrolled: 1-line block ×3, first 2 shown]
	ds_read_b128 v[2:5], v1 offset:1152
	s_waitcnt vmcnt(55) lgkmcnt(1)
	v_mul_f64 v[74:75], v[10:11], v[32:33]
	v_mul_f64 v[32:33], v[12:13], v[32:33]
	s_waitcnt vmcnt(54)
	v_fma_f64 v[24:25], v[6:7], v[26:27], -v[24:25]
	v_add_f64 v[18:19], v[18:19], v[22:23]
	v_fma_f64 v[22:23], v[8:9], v[26:27], v[86:87]
	v_add_f64 v[14:15], v[14:15], v[30:31]
	s_clause 0x1
	buffer_load_dword v27, off, s[0:3], 0 offset:692
	buffer_load_dword v26, off, s[0:3], 0 offset:688
	s_waitcnt vmcnt(55) lgkmcnt(0)
	v_mul_f64 v[30:31], v[2:3], v[34:35]
	v_mul_f64 v[34:35], v[4:5], v[34:35]
	s_waitcnt vmcnt(53)
	v_fma_f64 v[32:33], v[10:11], v[38:39], -v[32:33]
	ds_read_b128 v[6:9], v1 offset:1168
	v_add_f64 v[18:19], v[18:19], v[24:25]
	v_fma_f64 v[24:25], v[12:13], v[38:39], v[74:75]
	v_add_f64 v[14:15], v[14:15], v[22:23]
	ds_read_b128 v[10:13], v1 offset:1184
	s_waitcnt vmcnt(48)
	v_fma_f64 v[30:31], v[4:5], v[36:37], v[30:31]
	s_waitcnt lgkmcnt(1)
	v_mul_f64 v[38:39], v[8:9], v[40:41]
	v_fma_f64 v[34:35], v[2:3], v[36:37], -v[34:35]
	v_mul_f64 v[22:23], v[6:7], v[40:41]
	v_add_f64 v[18:19], v[18:19], v[32:33]
	s_waitcnt vmcnt(47) lgkmcnt(0)
	v_mul_f64 v[40:41], v[12:13], v[42:43]
	v_add_f64 v[14:15], v[14:15], v[24:25]
	s_clause 0x3
	buffer_load_dword v24, off, s[0:3], 0 offset:368
	buffer_load_dword v25, off, s[0:3], 0 offset:372
	;; [unrolled: 1-line block ×4, first 2 shown]
	ds_read_b128 v[2:5], v1 offset:1200
	s_waitcnt vmcnt(49)
	v_fma_f64 v[38:39], v[6:7], v[46:47], -v[38:39]
	v_mul_f64 v[36:37], v[10:11], v[42:43]
	v_fma_f64 v[22:23], v[8:9], v[46:47], v[22:23]
	ds_read_b128 v[6:9], v1 offset:1216
	v_add_f64 v[18:19], v[18:19], v[34:35]
	s_waitcnt vmcnt(44)
	v_fma_f64 v[40:41], v[10:11], v[44:45], -v[40:41]
	v_add_f64 v[14:15], v[14:15], v[30:31]
	s_waitcnt lgkmcnt(1)
	v_mul_f64 v[34:35], v[4:5], v[48:49]
	v_mul_f64 v[30:31], v[2:3], v[48:49]
	v_fma_f64 v[36:37], v[12:13], v[44:45], v[36:37]
	ds_read_b128 v[10:13], v1 offset:1232
	v_add_f64 v[18:19], v[18:19], v[38:39]
	s_waitcnt vmcnt(43) lgkmcnt(1)
	v_mul_f64 v[38:39], v[8:9], v[50:51]
	v_add_f64 v[14:15], v[14:15], v[22:23]
	s_waitcnt vmcnt(41)
	v_fma_f64 v[34:35], v[2:3], v[54:55], -v[34:35]
	v_mul_f64 v[22:23], v[6:7], v[50:51]
	v_fma_f64 v[30:31], v[4:5], v[54:55], v[30:31]
	ds_read_b128 v[2:5], v1 offset:1248
	v_add_f64 v[18:19], v[18:19], v[40:41]
	s_waitcnt vmcnt(37) lgkmcnt(1)
	v_mul_f64 v[40:41], v[12:13], v[56:57]
	v_add_f64 v[14:15], v[14:15], v[36:37]
	s_waitcnt vmcnt(36)
	v_fma_f64 v[38:39], v[6:7], v[52:53], -v[38:39]
	;; [unrolled: 9-line block ×6, first 2 shown]
	v_mul_f64 v[30:31], v[2:3], v[78:79]
	v_fma_f64 v[36:37], v[12:13], v[70:71], v[36:37]
	ds_read_b128 v[10:13], v1 offset:1328
	v_add_f64 v[18:19], v[18:19], v[38:39]
	v_add_f64 v[14:15], v[14:15], v[22:23]
	s_waitcnt vmcnt(19) lgkmcnt(1)
	v_mul_f64 v[38:39], v[8:9], v[80:81]
	v_mul_f64 v[22:23], v[6:7], v[80:81]
	s_waitcnt vmcnt(17)
	v_fma_f64 v[34:35], v[2:3], v[76:77], -v[34:35]
	v_fma_f64 v[30:31], v[4:5], v[76:77], v[30:31]
	ds_read_b128 v[2:5], v1 offset:1344
	v_add_f64 v[18:19], v[18:19], v[40:41]
	v_add_f64 v[14:15], v[14:15], v[36:37]
	s_waitcnt vmcnt(13) lgkmcnt(1)
	v_mul_f64 v[36:37], v[10:11], v[20:21]
	v_mul_f64 v[20:21], v[12:13], v[20:21]
	s_waitcnt vmcnt(12)
	v_fma_f64 v[38:39], v[6:7], v[82:83], -v[38:39]
	;; [unrolled: 9-line block ×3, first 2 shown]
	v_fma_f64 v[12:13], v[12:13], v[16:17], v[36:37]
	v_add_f64 v[18:19], v[18:19], v[38:39]
	v_add_f64 v[14:15], v[14:15], v[22:23]
	s_waitcnt vmcnt(7) lgkmcnt(0)
	v_mul_f64 v[20:21], v[8:9], v[28:29]
	s_waitcnt vmcnt(6)
	v_fma_f64 v[1:2], v[2:3], v[89:90], -v[34:35]
	v_mul_f64 v[16:17], v[6:7], v[28:29]
	v_fma_f64 v[3:4], v[4:5], v[89:90], v[30:31]
	v_add_f64 v[10:11], v[18:19], v[10:11]
	v_add_f64 v[12:13], v[14:15], v[12:13]
	s_waitcnt vmcnt(4)
	v_fma_f64 v[5:6], v[6:7], v[26:27], -v[20:21]
	v_fma_f64 v[7:8], v[8:9], v[26:27], v[16:17]
	v_add_f64 v[1:2], v[10:11], v[1:2]
	v_add_f64 v[3:4], v[12:13], v[3:4]
	;; [unrolled: 1-line block ×4, first 2 shown]
	s_waitcnt vmcnt(2)
	v_add_f64 v[1:2], v[24:25], -v[1:2]
	s_waitcnt vmcnt(0)
	v_add_f64 v[3:4], v[32:33], -v[3:4]
	buffer_store_dword v2, off, s[0:3], 0 offset:372
	buffer_store_dword v1, off, s[0:3], 0 offset:368
	;; [unrolled: 1-line block ×4, first 2 shown]
	v_cmpx_lt_u32_e32 21, v0
	s_cbranch_execz .LBB42_229
; %bb.228:
	v_mov_b32_e32 v4, s43
	v_mov_b32_e32 v5, 0
	s_clause 0x3
	buffer_load_dword v1, v4, s[0:3], 0 offen
	buffer_load_dword v2, v4, s[0:3], 0 offen offset:4
	buffer_load_dword v3, v4, s[0:3], 0 offen offset:8
	;; [unrolled: 1-line block ×3, first 2 shown]
	buffer_store_dword v5, off, s[0:3], 0 offset:352
	buffer_store_dword v5, off, s[0:3], 0 offset:356
	buffer_store_dword v5, off, s[0:3], 0 offset:360
	buffer_store_dword v5, off, s[0:3], 0 offset:364
	s_waitcnt vmcnt(0)
	ds_write_b128 v61, v[1:4]
.LBB42_229:
	s_or_b32 exec_lo, exec_lo, s4
	s_waitcnt lgkmcnt(0)
	s_waitcnt_vscnt null, 0x0
	s_barrier
	buffer_gl0_inv
	s_clause 0x37
	buffer_load_dword v10, off, s[0:3], 0 offset:376
	buffer_load_dword v11, off, s[0:3], 0 offset:380
	;; [unrolled: 1-line block ×56, first 2 shown]
	v_mov_b32_e32 v1, 0
	s_mov_b32 s4, exec_lo
	ds_read_b128 v[2:5], v1 offset:1040
	s_clause 0x2
	buffer_load_dword v69, off, s[0:3], 0 offset:604
	buffer_load_dword v73, off, s[0:3], 0 offset:580
	buffer_load_dword v72, off, s[0:3], 0 offset:576
	ds_read_b128 v[6:9], v1 offset:1056
	s_clause 0x4
	buffer_load_dword v79, off, s[0:3], 0 offset:620
	buffer_load_dword v80, off, s[0:3], 0 offset:632
	;; [unrolled: 1-line block ×5, first 2 shown]
	s_waitcnt vmcnt(62) lgkmcnt(1)
	v_mul_f64 v[74:75], v[4:5], v[10:11]
	v_mul_f64 v[76:77], v[2:3], v[10:11]
	s_waitcnt vmcnt(60) lgkmcnt(0)
	v_mul_f64 v[83:84], v[8:9], v[14:15]
	ds_read_b128 v[10:13], v1 offset:1072
	v_mul_f64 v[14:15], v[6:7], v[14:15]
	s_waitcnt vmcnt(58)
	v_fma_f64 v[74:75], v[2:3], v[16:17], -v[74:75]
	v_fma_f64 v[16:17], v[4:5], v[16:17], v[76:77]
	s_clause 0x2
	buffer_load_dword v81, off, s[0:3], 0 offset:636
	buffer_load_dword v77, off, s[0:3], 0 offset:612
	;; [unrolled: 1-line block ×3, first 2 shown]
	s_waitcnt vmcnt(59) lgkmcnt(0)
	v_mul_f64 v[85:86], v[10:11], v[18:19]
	v_mul_f64 v[18:19], v[12:13], v[18:19]
	s_waitcnt vmcnt(57)
	v_fma_f64 v[87:88], v[6:7], v[20:21], -v[83:84]
	ds_read_b128 v[2:5], v1 offset:1088
	v_fma_f64 v[14:15], v[8:9], v[20:21], v[14:15]
	s_clause 0x4
	buffer_load_dword v21, off, s[0:3], 0 offset:652
	buffer_load_dword v84, off, s[0:3], 0 offset:664
	;; [unrolled: 1-line block ×5, first 2 shown]
	ds_read_b128 v[6:9], v1 offset:1104
	v_add_f64 v[74:75], v[74:75], 0
	v_add_f64 v[16:17], v[16:17], 0
	s_waitcnt vmcnt(58) lgkmcnt(1)
	v_mul_f64 v[90:91], v[2:3], v[22:23]
	v_mul_f64 v[22:23], v[4:5], v[22:23]
	s_waitcnt vmcnt(56)
	v_fma_f64 v[18:19], v[10:11], v[28:29], -v[18:19]
	v_fma_f64 v[28:29], v[12:13], v[28:29], v[85:86]
	v_add_f64 v[74:75], v[74:75], v[87:88]
	v_add_f64 v[14:15], v[16:17], v[14:15]
	s_clause 0x2
	buffer_load_dword v85, off, s[0:3], 0 offset:668
	buffer_load_dword v17, off, s[0:3], 0 offset:644
	;; [unrolled: 1-line block ×3, first 2 shown]
	s_waitcnt vmcnt(58) lgkmcnt(0)
	v_mul_f64 v[86:87], v[6:7], v[24:25]
	v_mul_f64 v[24:25], v[8:9], v[24:25]
	s_waitcnt vmcnt(56)
	v_fma_f64 v[22:23], v[2:3], v[30:31], -v[22:23]
	ds_read_b128 v[10:13], v1 offset:1120
	v_fma_f64 v[30:31], v[4:5], v[30:31], v[90:91]
	v_add_f64 v[18:19], v[74:75], v[18:19]
	v_add_f64 v[14:15], v[14:15], v[28:29]
	s_clause 0x4
	buffer_load_dword v29, off, s[0:3], 0 offset:684
	buffer_load_dword v74, off, s[0:3], 0 offset:696
	;; [unrolled: 1-line block ×5, first 2 shown]
	ds_read_b128 v[2:5], v1 offset:1136
	s_waitcnt vmcnt(57) lgkmcnt(1)
	v_mul_f64 v[179:180], v[10:11], v[32:33]
	v_mul_f64 v[32:33], v[12:13], v[32:33]
	s_waitcnt vmcnt(56)
	v_fma_f64 v[24:25], v[6:7], v[26:27], -v[24:25]
	v_add_f64 v[18:19], v[18:19], v[22:23]
	v_fma_f64 v[22:23], v[8:9], v[26:27], v[86:87]
	v_add_f64 v[14:15], v[14:15], v[30:31]
	s_clause 0x2
	buffer_load_dword v75, off, s[0:3], 0 offset:700
	buffer_load_dword v27, off, s[0:3], 0 offset:676
	buffer_load_dword v26, off, s[0:3], 0 offset:672
	s_waitcnt vmcnt(58) lgkmcnt(0)
	v_mul_f64 v[30:31], v[2:3], v[34:35]
	v_mul_f64 v[34:35], v[4:5], v[34:35]
	s_waitcnt vmcnt(56)
	v_fma_f64 v[32:33], v[10:11], v[38:39], -v[32:33]
	ds_read_b128 v[6:9], v1 offset:1152
	buffer_load_dword v92, off, s[0:3], 0 offset:692
	v_add_f64 v[18:19], v[18:19], v[24:25]
	v_fma_f64 v[24:25], v[12:13], v[38:39], v[179:180]
	v_add_f64 v[14:15], v[14:15], v[22:23]
	ds_read_b128 v[10:13], v1 offset:1168
	s_waitcnt vmcnt(52)
	v_fma_f64 v[30:31], v[4:5], v[36:37], v[30:31]
	s_waitcnt lgkmcnt(1)
	v_mul_f64 v[38:39], v[8:9], v[40:41]
	v_fma_f64 v[34:35], v[2:3], v[36:37], -v[34:35]
	v_mul_f64 v[22:23], v[6:7], v[40:41]
	ds_read_b128 v[2:5], v1 offset:1184
	v_add_f64 v[18:19], v[18:19], v[32:33]
	s_waitcnt vmcnt(51) lgkmcnt(1)
	v_mul_f64 v[32:33], v[12:13], v[42:43]
	v_add_f64 v[14:15], v[14:15], v[24:25]
	v_mul_f64 v[24:25], v[10:11], v[42:43]
	s_waitcnt vmcnt(49)
	v_fma_f64 v[36:37], v[6:7], v[46:47], -v[38:39]
	s_waitcnt vmcnt(45) lgkmcnt(0)
	v_mul_f64 v[40:41], v[4:5], v[48:49]
	v_fma_f64 v[22:23], v[8:9], v[46:47], v[22:23]
	v_mul_f64 v[38:39], v[2:3], v[48:49]
	v_add_f64 v[18:19], v[18:19], v[34:35]
	s_waitcnt vmcnt(44)
	v_fma_f64 v[32:33], v[10:11], v[44:45], -v[32:33]
	v_add_f64 v[14:15], v[14:15], v[30:31]
	s_clause 0x3
	buffer_load_dword v30, off, s[0:3], 0 offset:352
	buffer_load_dword v31, off, s[0:3], 0 offset:356
	;; [unrolled: 1-line block ×4, first 2 shown]
	ds_read_b128 v[6:9], v1 offset:1200
	v_fma_f64 v[24:25], v[12:13], v[44:45], v[24:25]
	ds_read_b128 v[10:13], v1 offset:1216
	s_waitcnt vmcnt(45)
	v_fma_f64 v[40:41], v[2:3], v[54:55], -v[40:41]
	v_add_f64 v[18:19], v[18:19], v[36:37]
	v_add_f64 v[14:15], v[14:15], v[22:23]
	s_waitcnt lgkmcnt(1)
	v_mul_f64 v[36:37], v[8:9], v[50:51]
	v_mul_f64 v[22:23], v[6:7], v[50:51]
	v_add_f64 v[18:19], v[18:19], v[32:33]
	v_fma_f64 v[32:33], v[4:5], v[54:55], v[38:39]
	v_add_f64 v[14:15], v[14:15], v[24:25]
	s_waitcnt vmcnt(41) lgkmcnt(0)
	v_mul_f64 v[38:39], v[12:13], v[56:57]
	s_waitcnt vmcnt(40)
	v_fma_f64 v[36:37], v[6:7], v[52:53], -v[36:37]
	ds_read_b128 v[2:5], v1 offset:1232
	v_mul_f64 v[24:25], v[10:11], v[56:57]
	v_fma_f64 v[22:23], v[8:9], v[52:53], v[22:23]
	ds_read_b128 v[6:9], v1 offset:1248
	v_add_f64 v[18:19], v[18:19], v[40:41]
	v_add_f64 v[14:15], v[14:15], v[32:33]
	s_waitcnt vmcnt(39) lgkmcnt(1)
	v_mul_f64 v[40:41], v[4:5], v[58:59]
	s_waitcnt vmcnt(37)
	v_fma_f64 v[38:39], v[10:11], v[64:65], -v[38:39]
	v_mul_f64 v[32:33], v[2:3], v[58:59]
	v_fma_f64 v[24:25], v[12:13], v[64:65], v[24:25]
	ds_read_b128 v[10:13], v1 offset:1264
	v_add_f64 v[18:19], v[18:19], v[36:37]
	s_waitcnt vmcnt(33) lgkmcnt(1)
	v_mul_f64 v[36:37], v[8:9], v[66:67]
	v_add_f64 v[14:15], v[14:15], v[22:23]
	s_waitcnt vmcnt(32)
	v_fma_f64 v[40:41], v[2:3], v[62:63], -v[40:41]
	v_mul_f64 v[22:23], v[6:7], v[66:67]
	v_fma_f64 v[32:33], v[4:5], v[62:63], v[32:33]
	ds_read_b128 v[2:5], v1 offset:1280
	v_add_f64 v[18:19], v[18:19], v[38:39]
	s_waitcnt vmcnt(31) lgkmcnt(1)
	v_mul_f64 v[38:39], v[12:13], v[68:69]
	v_add_f64 v[14:15], v[14:15], v[24:25]
	;; [unrolled: 9-line block ×3, first 2 shown]
	s_waitcnt vmcnt(24)
	v_fma_f64 v[38:39], v[10:11], v[70:71], -v[38:39]
	v_mul_f64 v[32:33], v[2:3], v[78:79]
	v_fma_f64 v[24:25], v[12:13], v[70:71], v[24:25]
	ds_read_b128 v[10:13], v1 offset:1312
	v_add_f64 v[18:19], v[18:19], v[36:37]
	v_add_f64 v[14:15], v[14:15], v[22:23]
	s_waitcnt vmcnt(23) lgkmcnt(1)
	v_mul_f64 v[36:37], v[8:9], v[80:81]
	v_mul_f64 v[22:23], v[6:7], v[80:81]
	s_waitcnt vmcnt(21)
	v_fma_f64 v[40:41], v[2:3], v[76:77], -v[40:41]
	v_fma_f64 v[32:33], v[4:5], v[76:77], v[32:33]
	ds_read_b128 v[2:5], v1 offset:1328
	v_add_f64 v[18:19], v[18:19], v[38:39]
	v_add_f64 v[14:15], v[14:15], v[24:25]
	s_waitcnt vmcnt(17) lgkmcnt(1)
	v_mul_f64 v[24:25], v[10:11], v[20:21]
	v_mul_f64 v[20:21], v[12:13], v[20:21]
	s_waitcnt vmcnt(16)
	v_fma_f64 v[36:37], v[6:7], v[82:83], -v[36:37]
	;; [unrolled: 9-line block ×3, first 2 shown]
	v_fma_f64 v[16:17], v[12:13], v[16:17], v[24:25]
	ds_read_b128 v[10:13], v1 offset:1360
	v_add_f64 v[18:19], v[18:19], v[36:37]
	v_add_f64 v[14:15], v[14:15], v[22:23]
	s_waitcnt vmcnt(9) lgkmcnt(1)
	v_mul_f64 v[24:25], v[8:9], v[28:29]
	s_waitcnt vmcnt(8)
	v_fma_f64 v[2:3], v[2:3], v[89:90], -v[38:39]
	v_mul_f64 v[22:23], v[6:7], v[28:29]
	v_fma_f64 v[4:5], v[4:5], v[89:90], v[32:33]
	v_add_f64 v[18:19], v[18:19], v[20:21]
	v_add_f64 v[14:15], v[14:15], v[16:17]
	s_waitcnt vmcnt(7) lgkmcnt(0)
	v_mul_f64 v[20:21], v[12:13], v[74:75]
	v_mul_f64 v[16:17], v[10:11], v[74:75]
	s_waitcnt vmcnt(5)
	v_fma_f64 v[6:7], v[6:7], v[26:27], -v[24:25]
	v_fma_f64 v[8:9], v[8:9], v[26:27], v[22:23]
	v_add_f64 v[2:3], v[18:19], v[2:3]
	v_add_f64 v[4:5], v[14:15], v[4:5]
	s_waitcnt vmcnt(4)
	v_fma_f64 v[10:11], v[10:11], v[91:92], -v[20:21]
	v_add_f64 v[2:3], v[2:3], v[6:7]
	v_fma_f64 v[6:7], v[12:13], v[91:92], v[16:17]
	v_add_f64 v[4:5], v[4:5], v[8:9]
	v_add_f64 v[2:3], v[2:3], v[10:11]
	;; [unrolled: 1-line block ×3, first 2 shown]
	s_waitcnt vmcnt(2)
	v_add_f64 v[2:3], v[30:31], -v[2:3]
	s_waitcnt vmcnt(0)
	v_add_f64 v[4:5], v[34:35], -v[4:5]
	buffer_store_dword v3, off, s[0:3], 0 offset:356
	buffer_store_dword v2, off, s[0:3], 0 offset:352
	;; [unrolled: 1-line block ×4, first 2 shown]
	v_cmpx_lt_u32_e32 20, v0
	s_cbranch_execz .LBB42_231
; %bb.230:
	v_mov_b32_e32 v5, s45
	s_clause 0x3
	buffer_load_dword v2, v5, s[0:3], 0 offen
	buffer_load_dword v3, v5, s[0:3], 0 offen offset:4
	buffer_load_dword v4, v5, s[0:3], 0 offen offset:8
	buffer_load_dword v5, v5, s[0:3], 0 offen offset:12
	buffer_store_dword v1, off, s[0:3], 0 offset:336
	buffer_store_dword v1, off, s[0:3], 0 offset:340
	buffer_store_dword v1, off, s[0:3], 0 offset:344
	buffer_store_dword v1, off, s[0:3], 0 offset:348
	s_waitcnt vmcnt(0)
	ds_write_b128 v61, v[2:5]
.LBB42_231:
	s_or_b32 exec_lo, exec_lo, s4
	s_waitcnt lgkmcnt(0)
	s_waitcnt_vscnt null, 0x0
	s_barrier
	buffer_gl0_inv
	s_clause 0x37
	buffer_load_dword v10, off, s[0:3], 0 offset:360
	buffer_load_dword v11, off, s[0:3], 0 offset:364
	buffer_load_dword v14, off, s[0:3], 0 offset:376
	buffer_load_dword v15, off, s[0:3], 0 offset:380
	buffer_load_dword v16, off, s[0:3], 0 offset:352
	buffer_load_dword v17, off, s[0:3], 0 offset:356
	buffer_load_dword v18, off, s[0:3], 0 offset:392
	buffer_load_dword v19, off, s[0:3], 0 offset:396
	buffer_load_dword v20, off, s[0:3], 0 offset:368
	buffer_load_dword v21, off, s[0:3], 0 offset:372
	buffer_load_dword v23, off, s[0:3], 0 offset:412
	buffer_load_dword v24, off, s[0:3], 0 offset:424
	buffer_load_dword v26, off, s[0:3], 0 offset:416
	buffer_load_dword v22, off, s[0:3], 0 offset:408
	buffer_load_dword v28, off, s[0:3], 0 offset:384
	buffer_load_dword v29, off, s[0:3], 0 offset:388
	buffer_load_dword v25, off, s[0:3], 0 offset:428
	buffer_load_dword v31, off, s[0:3], 0 offset:404
	buffer_load_dword v30, off, s[0:3], 0 offset:400
	buffer_load_dword v33, off, s[0:3], 0 offset:444
	buffer_load_dword v34, off, s[0:3], 0 offset:456
	buffer_load_dword v36, off, s[0:3], 0 offset:448
	buffer_load_dword v32, off, s[0:3], 0 offset:440
	buffer_load_dword v27, off, s[0:3], 0 offset:420
	buffer_load_dword v35, off, s[0:3], 0 offset:460
	buffer_load_dword v39, off, s[0:3], 0 offset:436
	buffer_load_dword v38, off, s[0:3], 0 offset:432
	buffer_load_dword v41, off, s[0:3], 0 offset:476
	buffer_load_dword v42, off, s[0:3], 0 offset:488
	buffer_load_dword v44, off, s[0:3], 0 offset:480
	buffer_load_dword v40, off, s[0:3], 0 offset:472
	buffer_load_dword v37, off, s[0:3], 0 offset:452
	buffer_load_dword v43, off, s[0:3], 0 offset:492
	buffer_load_dword v47, off, s[0:3], 0 offset:468
	buffer_load_dword v46, off, s[0:3], 0 offset:464
	buffer_load_dword v49, off, s[0:3], 0 offset:508
	buffer_load_dword v50, off, s[0:3], 0 offset:520
	buffer_load_dword v52, off, s[0:3], 0 offset:512
	buffer_load_dword v48, off, s[0:3], 0 offset:504
	buffer_load_dword v45, off, s[0:3], 0 offset:484
	buffer_load_dword v51, off, s[0:3], 0 offset:524
	buffer_load_dword v55, off, s[0:3], 0 offset:500
	buffer_load_dword v54, off, s[0:3], 0 offset:496
	buffer_load_dword v57, off, s[0:3], 0 offset:540
	buffer_load_dword v58, off, s[0:3], 0 offset:552
	buffer_load_dword v62, off, s[0:3], 0 offset:544
	buffer_load_dword v56, off, s[0:3], 0 offset:536
	buffer_load_dword v53, off, s[0:3], 0 offset:516
	buffer_load_dword v59, off, s[0:3], 0 offset:556
	buffer_load_dword v65, off, s[0:3], 0 offset:532
	buffer_load_dword v64, off, s[0:3], 0 offset:528
	buffer_load_dword v67, off, s[0:3], 0 offset:572
	buffer_load_dword v68, off, s[0:3], 0 offset:584
	buffer_load_dword v70, off, s[0:3], 0 offset:576
	buffer_load_dword v66, off, s[0:3], 0 offset:568
	buffer_load_dword v63, off, s[0:3], 0 offset:548
	ds_read_b128 v[2:5], v1 offset:1024
	s_clause 0x2
	buffer_load_dword v69, off, s[0:3], 0 offset:588
	buffer_load_dword v73, off, s[0:3], 0 offset:564
	;; [unrolled: 1-line block ×3, first 2 shown]
	ds_read_b128 v[6:9], v1 offset:1040
	s_clause 0x4
	buffer_load_dword v79, off, s[0:3], 0 offset:604
	buffer_load_dword v80, off, s[0:3], 0 offset:616
	;; [unrolled: 1-line block ×5, first 2 shown]
	s_mov_b32 s4, exec_lo
	s_waitcnt vmcnt(62) lgkmcnt(1)
	v_mul_f64 v[74:75], v[4:5], v[10:11]
	v_mul_f64 v[76:77], v[2:3], v[10:11]
	s_waitcnt vmcnt(60) lgkmcnt(0)
	v_mul_f64 v[83:84], v[8:9], v[14:15]
	ds_read_b128 v[10:13], v1 offset:1056
	v_mul_f64 v[14:15], v[6:7], v[14:15]
	s_waitcnt vmcnt(58)
	v_fma_f64 v[74:75], v[2:3], v[16:17], -v[74:75]
	v_fma_f64 v[16:17], v[4:5], v[16:17], v[76:77]
	s_clause 0x2
	buffer_load_dword v81, off, s[0:3], 0 offset:620
	buffer_load_dword v77, off, s[0:3], 0 offset:596
	;; [unrolled: 1-line block ×3, first 2 shown]
	s_waitcnt vmcnt(59) lgkmcnt(0)
	v_mul_f64 v[85:86], v[10:11], v[18:19]
	v_mul_f64 v[18:19], v[12:13], v[18:19]
	s_waitcnt vmcnt(57)
	v_fma_f64 v[87:88], v[6:7], v[20:21], -v[83:84]
	ds_read_b128 v[2:5], v1 offset:1072
	v_fma_f64 v[14:15], v[8:9], v[20:21], v[14:15]
	s_clause 0x4
	buffer_load_dword v21, off, s[0:3], 0 offset:636
	buffer_load_dword v84, off, s[0:3], 0 offset:648
	;; [unrolled: 1-line block ×5, first 2 shown]
	ds_read_b128 v[6:9], v1 offset:1088
	v_add_f64 v[74:75], v[74:75], 0
	v_add_f64 v[16:17], v[16:17], 0
	s_waitcnt vmcnt(58) lgkmcnt(1)
	v_mul_f64 v[90:91], v[2:3], v[22:23]
	v_mul_f64 v[22:23], v[4:5], v[22:23]
	s_waitcnt vmcnt(56)
	v_fma_f64 v[18:19], v[10:11], v[28:29], -v[18:19]
	v_fma_f64 v[28:29], v[12:13], v[28:29], v[85:86]
	v_add_f64 v[74:75], v[74:75], v[87:88]
	v_add_f64 v[14:15], v[16:17], v[14:15]
	s_clause 0x2
	buffer_load_dword v85, off, s[0:3], 0 offset:652
	buffer_load_dword v17, off, s[0:3], 0 offset:628
	;; [unrolled: 1-line block ×3, first 2 shown]
	s_waitcnt vmcnt(58) lgkmcnt(0)
	v_mul_f64 v[86:87], v[6:7], v[24:25]
	v_mul_f64 v[24:25], v[8:9], v[24:25]
	s_waitcnt vmcnt(56)
	v_fma_f64 v[22:23], v[2:3], v[30:31], -v[22:23]
	ds_read_b128 v[10:13], v1 offset:1104
	v_fma_f64 v[30:31], v[4:5], v[30:31], v[90:91]
	v_add_f64 v[18:19], v[74:75], v[18:19]
	v_add_f64 v[14:15], v[14:15], v[28:29]
	s_clause 0x4
	buffer_load_dword v29, off, s[0:3], 0 offset:668
	buffer_load_dword v74, off, s[0:3], 0 offset:680
	;; [unrolled: 1-line block ×5, first 2 shown]
	ds_read_b128 v[2:5], v1 offset:1120
	s_waitcnt vmcnt(57) lgkmcnt(1)
	v_mul_f64 v[179:180], v[10:11], v[32:33]
	v_mul_f64 v[32:33], v[12:13], v[32:33]
	s_waitcnt vmcnt(56)
	v_fma_f64 v[24:25], v[6:7], v[26:27], -v[24:25]
	v_add_f64 v[18:19], v[18:19], v[22:23]
	v_fma_f64 v[22:23], v[8:9], v[26:27], v[86:87]
	v_add_f64 v[14:15], v[14:15], v[30:31]
	s_clause 0x2
	buffer_load_dword v75, off, s[0:3], 0 offset:684
	buffer_load_dword v27, off, s[0:3], 0 offset:660
	buffer_load_dword v26, off, s[0:3], 0 offset:656
	s_waitcnt vmcnt(58) lgkmcnt(0)
	v_mul_f64 v[30:31], v[2:3], v[34:35]
	v_mul_f64 v[34:35], v[4:5], v[34:35]
	s_waitcnt vmcnt(56)
	v_fma_f64 v[32:33], v[10:11], v[38:39], -v[32:33]
	ds_read_b128 v[6:9], v1 offset:1136
	v_add_f64 v[18:19], v[18:19], v[24:25]
	v_fma_f64 v[24:25], v[12:13], v[38:39], v[179:180]
	v_add_f64 v[14:15], v[14:15], v[22:23]
	s_clause 0x2
	buffer_load_dword v23, off, s[0:3], 0 offset:700
	buffer_load_dword v22, off, s[0:3], 0 offset:696
	;; [unrolled: 1-line block ×3, first 2 shown]
	ds_read_b128 v[10:13], v1 offset:1152
	s_waitcnt vmcnt(55) lgkmcnt(1)
	v_mul_f64 v[38:39], v[6:7], v[40:41]
	v_mul_f64 v[40:41], v[8:9], v[40:41]
	s_waitcnt vmcnt(54)
	v_fma_f64 v[34:35], v[2:3], v[36:37], -v[34:35]
	v_fma_f64 v[30:31], v[4:5], v[36:37], v[30:31]
	v_add_f64 v[18:19], v[18:19], v[32:33]
	v_add_f64 v[14:15], v[14:15], v[24:25]
	s_clause 0x1
	buffer_load_dword v25, off, s[0:3], 0 offset:692
	buffer_load_dword v24, off, s[0:3], 0 offset:688
	s_waitcnt vmcnt(55) lgkmcnt(0)
	v_mul_f64 v[36:37], v[12:13], v[42:43]
	ds_read_b128 v[2:5], v1 offset:1168
	s_waitcnt vmcnt(53)
	v_fma_f64 v[40:41], v[6:7], v[46:47], -v[40:41]
	v_mul_f64 v[32:33], v[10:11], v[42:43]
	v_add_f64 v[18:19], v[18:19], v[34:35]
	v_fma_f64 v[34:35], v[8:9], v[46:47], v[38:39]
	v_add_f64 v[14:15], v[14:15], v[30:31]
	ds_read_b128 v[6:9], v1 offset:1184
	s_waitcnt vmcnt(49) lgkmcnt(1)
	v_mul_f64 v[38:39], v[4:5], v[48:49]
	s_waitcnt vmcnt(48)
	v_fma_f64 v[36:37], v[10:11], v[44:45], -v[36:37]
	v_mul_f64 v[30:31], v[2:3], v[48:49]
	v_fma_f64 v[32:33], v[12:13], v[44:45], v[32:33]
	v_add_f64 v[18:19], v[18:19], v[40:41]
	s_waitcnt vmcnt(47) lgkmcnt(0)
	v_mul_f64 v[44:45], v[8:9], v[50:51]
	v_add_f64 v[14:15], v[14:15], v[34:35]
	s_clause 0x3
	buffer_load_dword v34, off, s[0:3], 0 offset:336
	buffer_load_dword v35, off, s[0:3], 0 offset:340
	;; [unrolled: 1-line block ×4, first 2 shown]
	s_waitcnt vmcnt(49)
	v_fma_f64 v[38:39], v[2:3], v[54:55], -v[38:39]
	ds_read_b128 v[10:13], v1 offset:1200
	v_mul_f64 v[42:43], v[6:7], v[50:51]
	v_fma_f64 v[30:31], v[4:5], v[54:55], v[30:31]
	ds_read_b128 v[2:5], v1 offset:1216
	v_add_f64 v[18:19], v[18:19], v[36:37]
	s_waitcnt vmcnt(44)
	v_fma_f64 v[44:45], v[6:7], v[52:53], -v[44:45]
	v_add_f64 v[14:15], v[14:15], v[32:33]
	s_waitcnt lgkmcnt(1)
	v_mul_f64 v[36:37], v[12:13], v[56:57]
	v_mul_f64 v[32:33], v[10:11], v[56:57]
	v_add_f64 v[18:19], v[18:19], v[38:39]
	v_fma_f64 v[38:39], v[8:9], v[52:53], v[42:43]
	v_add_f64 v[14:15], v[14:15], v[30:31]
	s_waitcnt vmcnt(43) lgkmcnt(0)
	v_mul_f64 v[42:43], v[4:5], v[58:59]
	s_waitcnt vmcnt(41)
	v_fma_f64 v[36:37], v[10:11], v[64:65], -v[36:37]
	ds_read_b128 v[6:9], v1 offset:1232
	v_mul_f64 v[30:31], v[2:3], v[58:59]
	v_fma_f64 v[32:33], v[12:13], v[64:65], v[32:33]
	ds_read_b128 v[10:13], v1 offset:1248
	v_add_f64 v[18:19], v[18:19], v[44:45]
	v_add_f64 v[14:15], v[14:15], v[38:39]
	s_waitcnt vmcnt(37) lgkmcnt(1)
	v_mul_f64 v[44:45], v[8:9], v[66:67]
	s_waitcnt vmcnt(36)
	v_fma_f64 v[42:43], v[2:3], v[62:63], -v[42:43]
	v_mul_f64 v[38:39], v[6:7], v[66:67]
	v_fma_f64 v[30:31], v[4:5], v[62:63], v[30:31]
	ds_read_b128 v[2:5], v1 offset:1264
	v_add_f64 v[18:19], v[18:19], v[36:37]
	s_waitcnt vmcnt(35) lgkmcnt(1)
	v_mul_f64 v[36:37], v[12:13], v[68:69]
	v_add_f64 v[14:15], v[14:15], v[32:33]
	s_waitcnt vmcnt(33)
	v_fma_f64 v[44:45], v[6:7], v[72:73], -v[44:45]
	v_mul_f64 v[32:33], v[10:11], v[68:69]
	v_fma_f64 v[38:39], v[8:9], v[72:73], v[38:39]
	ds_read_b128 v[6:9], v1 offset:1280
	v_add_f64 v[18:19], v[18:19], v[42:43]
	s_waitcnt vmcnt(29) lgkmcnt(1)
	v_mul_f64 v[42:43], v[4:5], v[78:79]
	v_add_f64 v[14:15], v[14:15], v[30:31]
	s_waitcnt vmcnt(28)
	v_fma_f64 v[36:37], v[10:11], v[70:71], -v[36:37]
	v_mul_f64 v[30:31], v[2:3], v[78:79]
	v_fma_f64 v[32:33], v[12:13], v[70:71], v[32:33]
	ds_read_b128 v[10:13], v1 offset:1296
	v_add_f64 v[18:19], v[18:19], v[44:45]
	v_add_f64 v[14:15], v[14:15], v[38:39]
	s_waitcnt vmcnt(27) lgkmcnt(1)
	v_mul_f64 v[44:45], v[8:9], v[80:81]
	v_mul_f64 v[38:39], v[6:7], v[80:81]
	s_waitcnt vmcnt(25)
	v_fma_f64 v[42:43], v[2:3], v[76:77], -v[42:43]
	v_fma_f64 v[30:31], v[4:5], v[76:77], v[30:31]
	ds_read_b128 v[2:5], v1 offset:1312
	v_add_f64 v[18:19], v[18:19], v[36:37]
	v_add_f64 v[14:15], v[14:15], v[32:33]
	s_waitcnt vmcnt(21) lgkmcnt(1)
	v_mul_f64 v[32:33], v[10:11], v[20:21]
	v_mul_f64 v[20:21], v[12:13], v[20:21]
	s_waitcnt vmcnt(20)
	v_fma_f64 v[36:37], v[6:7], v[82:83], -v[44:45]
	;; [unrolled: 9-line block ×4, first 2 shown]
	v_add_f64 v[18:19], v[18:19], v[20:21]
	v_fma_f64 v[20:21], v[4:5], v[89:90], v[30:31]
	v_add_f64 v[14:15], v[14:15], v[16:17]
	ds_read_b128 v[1:4], v1 offset:1360
	s_waitcnt vmcnt(11) lgkmcnt(1)
	v_mul_f64 v[30:31], v[12:13], v[74:75]
	v_mul_f64 v[16:17], v[10:11], v[74:75]
	s_waitcnt vmcnt(9)
	v_fma_f64 v[5:6], v[6:7], v[26:27], -v[28:29]
	v_fma_f64 v[7:8], v[8:9], v[26:27], v[32:33]
	v_add_f64 v[18:19], v[18:19], v[36:37]
	v_add_f64 v[14:15], v[14:15], v[20:21]
	s_waitcnt vmcnt(7) lgkmcnt(0)
	v_mul_f64 v[20:21], v[1:2], v[22:23]
	v_mul_f64 v[22:23], v[3:4], v[22:23]
	s_waitcnt vmcnt(6)
	v_fma_f64 v[9:10], v[10:11], v[91:92], -v[30:31]
	v_fma_f64 v[11:12], v[12:13], v[91:92], v[16:17]
	v_add_f64 v[5:6], v[18:19], v[5:6]
	v_add_f64 v[7:8], v[14:15], v[7:8]
	s_waitcnt vmcnt(4)
	v_fma_f64 v[1:2], v[1:2], v[24:25], -v[22:23]
	v_fma_f64 v[3:4], v[3:4], v[24:25], v[20:21]
	v_add_f64 v[5:6], v[5:6], v[9:10]
	v_add_f64 v[7:8], v[7:8], v[11:12]
	;; [unrolled: 1-line block ×4, first 2 shown]
	s_waitcnt vmcnt(2)
	v_add_f64 v[1:2], v[34:35], -v[1:2]
	s_waitcnt vmcnt(0)
	v_add_f64 v[3:4], v[40:41], -v[3:4]
	buffer_store_dword v2, off, s[0:3], 0 offset:340
	buffer_store_dword v1, off, s[0:3], 0 offset:336
	;; [unrolled: 1-line block ×4, first 2 shown]
	v_cmpx_lt_u32_e32 19, v0
	s_cbranch_execz .LBB42_233
; %bb.232:
	v_mov_b32_e32 v4, s47
	v_mov_b32_e32 v5, 0
	s_clause 0x3
	buffer_load_dword v1, v4, s[0:3], 0 offen
	buffer_load_dword v2, v4, s[0:3], 0 offen offset:4
	buffer_load_dword v3, v4, s[0:3], 0 offen offset:8
	;; [unrolled: 1-line block ×3, first 2 shown]
	buffer_store_dword v5, off, s[0:3], 0 offset:320
	buffer_store_dword v5, off, s[0:3], 0 offset:324
	buffer_store_dword v5, off, s[0:3], 0 offset:328
	buffer_store_dword v5, off, s[0:3], 0 offset:332
	s_waitcnt vmcnt(0)
	ds_write_b128 v61, v[1:4]
.LBB42_233:
	s_or_b32 exec_lo, exec_lo, s4
	s_waitcnt lgkmcnt(0)
	s_waitcnt_vscnt null, 0x0
	s_barrier
	buffer_gl0_inv
	s_clause 0x37
	buffer_load_dword v10, off, s[0:3], 0 offset:344
	buffer_load_dword v11, off, s[0:3], 0 offset:348
	;; [unrolled: 1-line block ×56, first 2 shown]
	v_mov_b32_e32 v1, 0
	s_mov_b32 s4, exec_lo
	ds_read_b128 v[2:5], v1 offset:1008
	s_clause 0x2
	buffer_load_dword v69, off, s[0:3], 0 offset:572
	buffer_load_dword v73, off, s[0:3], 0 offset:548
	;; [unrolled: 1-line block ×3, first 2 shown]
	ds_read_b128 v[6:9], v1 offset:1024
	s_clause 0x4
	buffer_load_dword v79, off, s[0:3], 0 offset:588
	buffer_load_dword v80, off, s[0:3], 0 offset:600
	;; [unrolled: 1-line block ×5, first 2 shown]
	s_waitcnt vmcnt(62) lgkmcnt(1)
	v_mul_f64 v[74:75], v[4:5], v[10:11]
	v_mul_f64 v[76:77], v[2:3], v[10:11]
	s_waitcnt vmcnt(60) lgkmcnt(0)
	v_mul_f64 v[83:84], v[8:9], v[14:15]
	ds_read_b128 v[10:13], v1 offset:1040
	v_mul_f64 v[14:15], v[6:7], v[14:15]
	s_waitcnt vmcnt(58)
	v_fma_f64 v[74:75], v[2:3], v[16:17], -v[74:75]
	v_fma_f64 v[16:17], v[4:5], v[16:17], v[76:77]
	s_clause 0x2
	buffer_load_dword v81, off, s[0:3], 0 offset:604
	buffer_load_dword v77, off, s[0:3], 0 offset:580
	;; [unrolled: 1-line block ×3, first 2 shown]
	s_waitcnt vmcnt(59) lgkmcnt(0)
	v_mul_f64 v[85:86], v[10:11], v[18:19]
	v_mul_f64 v[18:19], v[12:13], v[18:19]
	s_waitcnt vmcnt(57)
	v_fma_f64 v[87:88], v[6:7], v[20:21], -v[83:84]
	ds_read_b128 v[2:5], v1 offset:1056
	v_fma_f64 v[14:15], v[8:9], v[20:21], v[14:15]
	s_clause 0x4
	buffer_load_dword v21, off, s[0:3], 0 offset:620
	buffer_load_dword v84, off, s[0:3], 0 offset:632
	;; [unrolled: 1-line block ×5, first 2 shown]
	ds_read_b128 v[6:9], v1 offset:1072
	v_add_f64 v[74:75], v[74:75], 0
	v_add_f64 v[16:17], v[16:17], 0
	s_waitcnt vmcnt(58) lgkmcnt(1)
	v_mul_f64 v[90:91], v[2:3], v[22:23]
	v_mul_f64 v[22:23], v[4:5], v[22:23]
	s_waitcnt vmcnt(56)
	v_fma_f64 v[18:19], v[10:11], v[28:29], -v[18:19]
	v_fma_f64 v[28:29], v[12:13], v[28:29], v[85:86]
	v_add_f64 v[74:75], v[74:75], v[87:88]
	v_add_f64 v[14:15], v[16:17], v[14:15]
	s_clause 0x2
	buffer_load_dword v85, off, s[0:3], 0 offset:636
	buffer_load_dword v17, off, s[0:3], 0 offset:612
	;; [unrolled: 1-line block ×3, first 2 shown]
	s_waitcnt vmcnt(58) lgkmcnt(0)
	v_mul_f64 v[86:87], v[6:7], v[24:25]
	v_mul_f64 v[24:25], v[8:9], v[24:25]
	s_waitcnt vmcnt(56)
	v_fma_f64 v[22:23], v[2:3], v[30:31], -v[22:23]
	ds_read_b128 v[10:13], v1 offset:1088
	v_fma_f64 v[30:31], v[4:5], v[30:31], v[90:91]
	v_add_f64 v[18:19], v[74:75], v[18:19]
	v_add_f64 v[14:15], v[14:15], v[28:29]
	s_clause 0x4
	buffer_load_dword v29, off, s[0:3], 0 offset:652
	buffer_load_dword v74, off, s[0:3], 0 offset:664
	buffer_load_dword v91, off, s[0:3], 0 offset:656
	buffer_load_dword v28, off, s[0:3], 0 offset:648
	buffer_load_dword v90, off, s[0:3], 0 offset:628
	ds_read_b128 v[2:5], v1 offset:1104
	s_waitcnt vmcnt(57) lgkmcnt(1)
	v_mul_f64 v[179:180], v[10:11], v[32:33]
	v_mul_f64 v[32:33], v[12:13], v[32:33]
	s_waitcnt vmcnt(56)
	v_fma_f64 v[24:25], v[6:7], v[26:27], -v[24:25]
	v_add_f64 v[18:19], v[18:19], v[22:23]
	v_fma_f64 v[22:23], v[8:9], v[26:27], v[86:87]
	v_add_f64 v[14:15], v[14:15], v[30:31]
	s_clause 0x2
	buffer_load_dword v75, off, s[0:3], 0 offset:668
	buffer_load_dword v27, off, s[0:3], 0 offset:644
	;; [unrolled: 1-line block ×3, first 2 shown]
	s_waitcnt vmcnt(58) lgkmcnt(0)
	v_mul_f64 v[30:31], v[2:3], v[34:35]
	v_mul_f64 v[34:35], v[4:5], v[34:35]
	s_waitcnt vmcnt(56)
	v_fma_f64 v[32:33], v[10:11], v[38:39], -v[32:33]
	ds_read_b128 v[6:9], v1 offset:1120
	v_add_f64 v[18:19], v[18:19], v[24:25]
	v_fma_f64 v[24:25], v[12:13], v[38:39], v[179:180]
	v_add_f64 v[14:15], v[14:15], v[22:23]
	s_clause 0x4
	buffer_load_dword v23, off, s[0:3], 0 offset:684
	buffer_load_dword v38, off, s[0:3], 0 offset:696
	;; [unrolled: 1-line block ×5, first 2 shown]
	ds_read_b128 v[10:13], v1 offset:1136
	s_waitcnt vmcnt(57) lgkmcnt(1)
	v_mul_f64 v[87:88], v[6:7], v[40:41]
	v_mul_f64 v[40:41], v[8:9], v[40:41]
	s_waitcnt vmcnt(56)
	v_fma_f64 v[34:35], v[2:3], v[36:37], -v[34:35]
	v_fma_f64 v[30:31], v[4:5], v[36:37], v[30:31]
	v_add_f64 v[18:19], v[18:19], v[32:33]
	v_add_f64 v[14:15], v[14:15], v[24:25]
	s_clause 0x2
	buffer_load_dword v39, off, s[0:3], 0 offset:700
	buffer_load_dword v25, off, s[0:3], 0 offset:676
	;; [unrolled: 1-line block ×3, first 2 shown]
	s_waitcnt vmcnt(58) lgkmcnt(0)
	v_mul_f64 v[36:37], v[12:13], v[42:43]
	ds_read_b128 v[2:5], v1 offset:1152
	s_waitcnt vmcnt(56)
	v_fma_f64 v[40:41], v[6:7], v[46:47], -v[40:41]
	v_mul_f64 v[32:33], v[10:11], v[42:43]
	v_add_f64 v[18:19], v[18:19], v[34:35]
	v_fma_f64 v[34:35], v[8:9], v[46:47], v[87:88]
	v_add_f64 v[14:15], v[14:15], v[30:31]
	buffer_load_dword v87, off, s[0:3], 0 offset:692
	ds_read_b128 v[6:9], v1 offset:1168
	s_waitcnt vmcnt(53) lgkmcnt(1)
	v_mul_f64 v[42:43], v[4:5], v[48:49]
	s_waitcnt vmcnt(52)
	v_fma_f64 v[36:37], v[10:11], v[44:45], -v[36:37]
	v_mul_f64 v[30:31], v[2:3], v[48:49]
	v_fma_f64 v[32:33], v[12:13], v[44:45], v[32:33]
	ds_read_b128 v[10:13], v1 offset:1184
	v_add_f64 v[18:19], v[18:19], v[40:41]
	v_add_f64 v[14:15], v[14:15], v[34:35]
	s_waitcnt vmcnt(51) lgkmcnt(1)
	v_mul_f64 v[40:41], v[8:9], v[50:51]
	v_mul_f64 v[34:35], v[6:7], v[50:51]
	s_waitcnt vmcnt(49)
	v_fma_f64 v[42:43], v[2:3], v[54:55], -v[42:43]
	v_fma_f64 v[30:31], v[4:5], v[54:55], v[30:31]
	s_waitcnt vmcnt(45) lgkmcnt(0)
	v_mul_f64 v[46:47], v[12:13], v[56:57]
	v_mul_f64 v[44:45], v[10:11], v[56:57]
	v_add_f64 v[18:19], v[18:19], v[36:37]
	v_add_f64 v[14:15], v[14:15], v[32:33]
	s_clause 0x3
	buffer_load_dword v32, off, s[0:3], 0 offset:320
	buffer_load_dword v33, off, s[0:3], 0 offset:324
	;; [unrolled: 1-line block ×4, first 2 shown]
	s_waitcnt vmcnt(48)
	v_fma_f64 v[40:41], v[6:7], v[52:53], -v[40:41]
	ds_read_b128 v[2:5], v1 offset:1200
	v_fma_f64 v[34:35], v[8:9], v[52:53], v[34:35]
	ds_read_b128 v[6:9], v1 offset:1216
	s_waitcnt vmcnt(45)
	v_fma_f64 v[46:47], v[10:11], v[64:65], -v[46:47]
	v_add_f64 v[18:19], v[18:19], v[42:43]
	v_add_f64 v[14:15], v[14:15], v[30:31]
	s_waitcnt lgkmcnt(1)
	v_mul_f64 v[42:43], v[4:5], v[58:59]
	v_mul_f64 v[30:31], v[2:3], v[58:59]
	v_add_f64 v[18:19], v[18:19], v[40:41]
	v_fma_f64 v[40:41], v[12:13], v[64:65], v[44:45]
	v_add_f64 v[14:15], v[14:15], v[34:35]
	s_waitcnt vmcnt(41) lgkmcnt(0)
	v_mul_f64 v[44:45], v[8:9], v[66:67]
	s_waitcnt vmcnt(40)
	v_fma_f64 v[42:43], v[2:3], v[62:63], -v[42:43]
	ds_read_b128 v[10:13], v1 offset:1232
	v_mul_f64 v[34:35], v[6:7], v[66:67]
	v_fma_f64 v[30:31], v[4:5], v[62:63], v[30:31]
	ds_read_b128 v[2:5], v1 offset:1248
	v_add_f64 v[18:19], v[18:19], v[46:47]
	v_add_f64 v[14:15], v[14:15], v[40:41]
	s_waitcnt vmcnt(39) lgkmcnt(1)
	v_mul_f64 v[46:47], v[12:13], v[68:69]
	s_waitcnt vmcnt(37)
	v_fma_f64 v[44:45], v[6:7], v[72:73], -v[44:45]
	v_mul_f64 v[40:41], v[10:11], v[68:69]
	v_fma_f64 v[34:35], v[8:9], v[72:73], v[34:35]
	ds_read_b128 v[6:9], v1 offset:1264
	v_add_f64 v[18:19], v[18:19], v[42:43]
	s_waitcnt vmcnt(33) lgkmcnt(1)
	v_mul_f64 v[42:43], v[4:5], v[78:79]
	v_add_f64 v[14:15], v[14:15], v[30:31]
	s_waitcnt vmcnt(32)
	v_fma_f64 v[46:47], v[10:11], v[70:71], -v[46:47]
	v_mul_f64 v[30:31], v[2:3], v[78:79]
	v_fma_f64 v[40:41], v[12:13], v[70:71], v[40:41]
	ds_read_b128 v[10:13], v1 offset:1280
	v_add_f64 v[18:19], v[18:19], v[44:45]
	v_add_f64 v[14:15], v[14:15], v[34:35]
	s_waitcnt vmcnt(31) lgkmcnt(1)
	v_mul_f64 v[44:45], v[8:9], v[80:81]
	v_mul_f64 v[34:35], v[6:7], v[80:81]
	s_waitcnt vmcnt(29)
	v_fma_f64 v[42:43], v[2:3], v[76:77], -v[42:43]
	v_fma_f64 v[30:31], v[4:5], v[76:77], v[30:31]
	ds_read_b128 v[2:5], v1 offset:1296
	v_add_f64 v[18:19], v[18:19], v[46:47]
	v_add_f64 v[14:15], v[14:15], v[40:41]
	s_waitcnt vmcnt(25) lgkmcnt(1)
	v_mul_f64 v[40:41], v[10:11], v[20:21]
	v_mul_f64 v[20:21], v[12:13], v[20:21]
	s_waitcnt vmcnt(24)
	v_fma_f64 v[44:45], v[6:7], v[82:83], -v[44:45]
	;; [unrolled: 9-line block ×4, first 2 shown]
	v_add_f64 v[18:19], v[18:19], v[20:21]
	v_fma_f64 v[20:21], v[4:5], v[89:90], v[30:31]
	v_add_f64 v[14:15], v[14:15], v[16:17]
	ds_read_b128 v[2:5], v1 offset:1344
	s_waitcnt vmcnt(15) lgkmcnt(1)
	v_mul_f64 v[30:31], v[12:13], v[74:75]
	v_mul_f64 v[16:17], v[10:11], v[74:75]
	s_waitcnt vmcnt(13)
	v_fma_f64 v[28:29], v[6:7], v[26:27], -v[28:29]
	v_fma_f64 v[26:27], v[8:9], v[26:27], v[34:35]
	ds_read_b128 v[6:9], v1 offset:1360
	v_add_f64 v[18:19], v[18:19], v[40:41]
	v_add_f64 v[14:15], v[14:15], v[20:21]
	s_waitcnt vmcnt(9) lgkmcnt(1)
	v_mul_f64 v[20:21], v[2:3], v[22:23]
	v_mul_f64 v[22:23], v[4:5], v[22:23]
	s_waitcnt vmcnt(8)
	v_fma_f64 v[10:11], v[10:11], v[91:92], -v[30:31]
	v_fma_f64 v[12:13], v[12:13], v[91:92], v[16:17]
	v_add_f64 v[18:19], v[18:19], v[28:29]
	v_add_f64 v[14:15], v[14:15], v[26:27]
	s_waitcnt vmcnt(7) lgkmcnt(0)
	v_mul_f64 v[26:27], v[8:9], v[38:39]
	v_mul_f64 v[16:17], v[6:7], v[38:39]
	s_waitcnt vmcnt(5)
	v_fma_f64 v[2:3], v[2:3], v[24:25], -v[22:23]
	v_fma_f64 v[4:5], v[4:5], v[24:25], v[20:21]
	v_add_f64 v[10:11], v[18:19], v[10:11]
	v_add_f64 v[12:13], v[14:15], v[12:13]
	s_waitcnt vmcnt(4)
	v_fma_f64 v[6:7], v[6:7], v[86:87], -v[26:27]
	v_fma_f64 v[8:9], v[8:9], v[86:87], v[16:17]
	v_add_f64 v[2:3], v[10:11], v[2:3]
	v_add_f64 v[4:5], v[12:13], v[4:5]
	;; [unrolled: 1-line block ×4, first 2 shown]
	s_waitcnt vmcnt(2)
	v_add_f64 v[2:3], v[32:33], -v[2:3]
	s_waitcnt vmcnt(0)
	v_add_f64 v[4:5], v[36:37], -v[4:5]
	buffer_store_dword v3, off, s[0:3], 0 offset:324
	buffer_store_dword v2, off, s[0:3], 0 offset:320
	;; [unrolled: 1-line block ×4, first 2 shown]
	v_cmpx_lt_u32_e32 18, v0
	s_cbranch_execz .LBB42_235
; %bb.234:
	v_mov_b32_e32 v5, s24
	s_clause 0x3
	buffer_load_dword v2, v5, s[0:3], 0 offen
	buffer_load_dword v3, v5, s[0:3], 0 offen offset:4
	buffer_load_dword v4, v5, s[0:3], 0 offen offset:8
	;; [unrolled: 1-line block ×3, first 2 shown]
	buffer_store_dword v1, off, s[0:3], 0 offset:304
	buffer_store_dword v1, off, s[0:3], 0 offset:308
	;; [unrolled: 1-line block ×4, first 2 shown]
	s_waitcnt vmcnt(0)
	ds_write_b128 v61, v[2:5]
.LBB42_235:
	s_or_b32 exec_lo, exec_lo, s4
	s_waitcnt lgkmcnt(0)
	s_waitcnt_vscnt null, 0x0
	s_barrier
	buffer_gl0_inv
	s_clause 0x37
	buffer_load_dword v10, off, s[0:3], 0 offset:328
	buffer_load_dword v11, off, s[0:3], 0 offset:332
	buffer_load_dword v14, off, s[0:3], 0 offset:344
	buffer_load_dword v15, off, s[0:3], 0 offset:348
	buffer_load_dword v16, off, s[0:3], 0 offset:320
	buffer_load_dword v17, off, s[0:3], 0 offset:324
	buffer_load_dword v18, off, s[0:3], 0 offset:360
	buffer_load_dword v19, off, s[0:3], 0 offset:364
	buffer_load_dword v20, off, s[0:3], 0 offset:336
	buffer_load_dword v21, off, s[0:3], 0 offset:340
	buffer_load_dword v23, off, s[0:3], 0 offset:380
	buffer_load_dword v24, off, s[0:3], 0 offset:392
	buffer_load_dword v26, off, s[0:3], 0 offset:384
	buffer_load_dword v22, off, s[0:3], 0 offset:376
	buffer_load_dword v28, off, s[0:3], 0 offset:352
	buffer_load_dword v29, off, s[0:3], 0 offset:356
	buffer_load_dword v25, off, s[0:3], 0 offset:396
	buffer_load_dword v31, off, s[0:3], 0 offset:372
	buffer_load_dword v30, off, s[0:3], 0 offset:368
	buffer_load_dword v33, off, s[0:3], 0 offset:412
	buffer_load_dword v34, off, s[0:3], 0 offset:424
	buffer_load_dword v36, off, s[0:3], 0 offset:416
	buffer_load_dword v32, off, s[0:3], 0 offset:408
	buffer_load_dword v27, off, s[0:3], 0 offset:388
	buffer_load_dword v35, off, s[0:3], 0 offset:428
	buffer_load_dword v39, off, s[0:3], 0 offset:404
	buffer_load_dword v38, off, s[0:3], 0 offset:400
	buffer_load_dword v41, off, s[0:3], 0 offset:444
	buffer_load_dword v42, off, s[0:3], 0 offset:456
	buffer_load_dword v44, off, s[0:3], 0 offset:448
	buffer_load_dword v40, off, s[0:3], 0 offset:440
	buffer_load_dword v37, off, s[0:3], 0 offset:420
	buffer_load_dword v43, off, s[0:3], 0 offset:460
	buffer_load_dword v47, off, s[0:3], 0 offset:436
	buffer_load_dword v46, off, s[0:3], 0 offset:432
	buffer_load_dword v49, off, s[0:3], 0 offset:476
	buffer_load_dword v50, off, s[0:3], 0 offset:488
	buffer_load_dword v52, off, s[0:3], 0 offset:480
	buffer_load_dword v48, off, s[0:3], 0 offset:472
	buffer_load_dword v45, off, s[0:3], 0 offset:452
	buffer_load_dword v51, off, s[0:3], 0 offset:492
	buffer_load_dword v55, off, s[0:3], 0 offset:468
	buffer_load_dword v54, off, s[0:3], 0 offset:464
	buffer_load_dword v57, off, s[0:3], 0 offset:508
	buffer_load_dword v58, off, s[0:3], 0 offset:520
	buffer_load_dword v62, off, s[0:3], 0 offset:512
	buffer_load_dword v56, off, s[0:3], 0 offset:504
	buffer_load_dword v53, off, s[0:3], 0 offset:484
	buffer_load_dword v59, off, s[0:3], 0 offset:524
	buffer_load_dword v65, off, s[0:3], 0 offset:500
	buffer_load_dword v64, off, s[0:3], 0 offset:496
	buffer_load_dword v67, off, s[0:3], 0 offset:540
	buffer_load_dword v68, off, s[0:3], 0 offset:552
	buffer_load_dword v70, off, s[0:3], 0 offset:544
	buffer_load_dword v66, off, s[0:3], 0 offset:536
	buffer_load_dword v63, off, s[0:3], 0 offset:516
	ds_read_b128 v[2:5], v1 offset:992
	s_clause 0x2
	buffer_load_dword v69, off, s[0:3], 0 offset:556
	buffer_load_dword v73, off, s[0:3], 0 offset:532
	;; [unrolled: 1-line block ×3, first 2 shown]
	ds_read_b128 v[6:9], v1 offset:1008
	s_clause 0x4
	buffer_load_dword v79, off, s[0:3], 0 offset:572
	buffer_load_dword v80, off, s[0:3], 0 offset:584
	;; [unrolled: 1-line block ×5, first 2 shown]
	s_mov_b32 s4, exec_lo
	s_waitcnt vmcnt(62) lgkmcnt(1)
	v_mul_f64 v[74:75], v[4:5], v[10:11]
	v_mul_f64 v[76:77], v[2:3], v[10:11]
	s_waitcnt vmcnt(60) lgkmcnt(0)
	v_mul_f64 v[83:84], v[8:9], v[14:15]
	ds_read_b128 v[10:13], v1 offset:1024
	v_mul_f64 v[14:15], v[6:7], v[14:15]
	s_waitcnt vmcnt(58)
	v_fma_f64 v[74:75], v[2:3], v[16:17], -v[74:75]
	v_fma_f64 v[16:17], v[4:5], v[16:17], v[76:77]
	s_clause 0x2
	buffer_load_dword v81, off, s[0:3], 0 offset:588
	buffer_load_dword v77, off, s[0:3], 0 offset:564
	;; [unrolled: 1-line block ×3, first 2 shown]
	s_waitcnt vmcnt(59) lgkmcnt(0)
	v_mul_f64 v[85:86], v[10:11], v[18:19]
	v_mul_f64 v[18:19], v[12:13], v[18:19]
	s_waitcnt vmcnt(57)
	v_fma_f64 v[87:88], v[6:7], v[20:21], -v[83:84]
	ds_read_b128 v[2:5], v1 offset:1040
	v_fma_f64 v[14:15], v[8:9], v[20:21], v[14:15]
	s_clause 0x4
	buffer_load_dword v21, off, s[0:3], 0 offset:604
	buffer_load_dword v84, off, s[0:3], 0 offset:616
	;; [unrolled: 1-line block ×5, first 2 shown]
	ds_read_b128 v[6:9], v1 offset:1056
	v_add_f64 v[74:75], v[74:75], 0
	v_add_f64 v[16:17], v[16:17], 0
	s_waitcnt vmcnt(58) lgkmcnt(1)
	v_mul_f64 v[90:91], v[2:3], v[22:23]
	v_mul_f64 v[22:23], v[4:5], v[22:23]
	s_waitcnt vmcnt(56)
	v_fma_f64 v[18:19], v[10:11], v[28:29], -v[18:19]
	v_fma_f64 v[28:29], v[12:13], v[28:29], v[85:86]
	v_add_f64 v[74:75], v[74:75], v[87:88]
	v_add_f64 v[14:15], v[16:17], v[14:15]
	s_clause 0x2
	buffer_load_dword v85, off, s[0:3], 0 offset:620
	buffer_load_dword v17, off, s[0:3], 0 offset:596
	;; [unrolled: 1-line block ×3, first 2 shown]
	s_waitcnt vmcnt(58) lgkmcnt(0)
	v_mul_f64 v[86:87], v[6:7], v[24:25]
	v_mul_f64 v[24:25], v[8:9], v[24:25]
	s_waitcnt vmcnt(56)
	v_fma_f64 v[22:23], v[2:3], v[30:31], -v[22:23]
	ds_read_b128 v[10:13], v1 offset:1072
	v_fma_f64 v[30:31], v[4:5], v[30:31], v[90:91]
	v_add_f64 v[18:19], v[74:75], v[18:19]
	v_add_f64 v[14:15], v[14:15], v[28:29]
	s_clause 0x4
	buffer_load_dword v29, off, s[0:3], 0 offset:636
	buffer_load_dword v74, off, s[0:3], 0 offset:648
	;; [unrolled: 1-line block ×5, first 2 shown]
	ds_read_b128 v[2:5], v1 offset:1088
	s_waitcnt vmcnt(57) lgkmcnt(1)
	v_mul_f64 v[179:180], v[10:11], v[32:33]
	v_mul_f64 v[32:33], v[12:13], v[32:33]
	s_waitcnt vmcnt(56)
	v_fma_f64 v[24:25], v[6:7], v[26:27], -v[24:25]
	v_add_f64 v[18:19], v[18:19], v[22:23]
	v_fma_f64 v[22:23], v[8:9], v[26:27], v[86:87]
	v_add_f64 v[14:15], v[14:15], v[30:31]
	s_clause 0x2
	buffer_load_dword v75, off, s[0:3], 0 offset:652
	buffer_load_dword v27, off, s[0:3], 0 offset:628
	;; [unrolled: 1-line block ×3, first 2 shown]
	s_waitcnt vmcnt(58) lgkmcnt(0)
	v_mul_f64 v[30:31], v[2:3], v[34:35]
	v_mul_f64 v[34:35], v[4:5], v[34:35]
	s_waitcnt vmcnt(56)
	v_fma_f64 v[32:33], v[10:11], v[38:39], -v[32:33]
	ds_read_b128 v[6:9], v1 offset:1104
	v_add_f64 v[18:19], v[18:19], v[24:25]
	v_fma_f64 v[24:25], v[12:13], v[38:39], v[179:180]
	v_add_f64 v[14:15], v[14:15], v[22:23]
	s_clause 0x4
	buffer_load_dword v23, off, s[0:3], 0 offset:668
	buffer_load_dword v38, off, s[0:3], 0 offset:680
	;; [unrolled: 1-line block ×5, first 2 shown]
	ds_read_b128 v[10:13], v1 offset:1120
	s_waitcnt vmcnt(57) lgkmcnt(1)
	v_mul_f64 v[87:88], v[6:7], v[40:41]
	v_mul_f64 v[40:41], v[8:9], v[40:41]
	s_waitcnt vmcnt(56)
	v_fma_f64 v[34:35], v[2:3], v[36:37], -v[34:35]
	v_fma_f64 v[30:31], v[4:5], v[36:37], v[30:31]
	v_add_f64 v[18:19], v[18:19], v[32:33]
	v_add_f64 v[14:15], v[14:15], v[24:25]
	s_clause 0x2
	buffer_load_dword v39, off, s[0:3], 0 offset:684
	buffer_load_dword v25, off, s[0:3], 0 offset:660
	;; [unrolled: 1-line block ×3, first 2 shown]
	s_waitcnt vmcnt(58) lgkmcnt(0)
	v_mul_f64 v[36:37], v[12:13], v[42:43]
	ds_read_b128 v[2:5], v1 offset:1136
	s_waitcnt vmcnt(56)
	v_fma_f64 v[40:41], v[6:7], v[46:47], -v[40:41]
	v_mul_f64 v[32:33], v[10:11], v[42:43]
	v_add_f64 v[18:19], v[18:19], v[34:35]
	v_fma_f64 v[34:35], v[8:9], v[46:47], v[87:88]
	v_add_f64 v[14:15], v[14:15], v[30:31]
	s_clause 0x2
	buffer_load_dword v31, off, s[0:3], 0 offset:700
	buffer_load_dword v30, off, s[0:3], 0 offset:696
	;; [unrolled: 1-line block ×3, first 2 shown]
	s_waitcnt vmcnt(55) lgkmcnt(0)
	v_mul_f64 v[46:47], v[4:5], v[48:49]
	s_waitcnt vmcnt(54)
	v_fma_f64 v[36:37], v[10:11], v[44:45], -v[36:37]
	ds_read_b128 v[6:9], v1 offset:1152
	v_mul_f64 v[42:43], v[2:3], v[48:49]
	v_fma_f64 v[32:33], v[12:13], v[44:45], v[32:33]
	v_add_f64 v[18:19], v[18:19], v[40:41]
	v_add_f64 v[14:15], v[14:15], v[34:35]
	s_clause 0x1
	buffer_load_dword v35, off, s[0:3], 0 offset:692
	buffer_load_dword v34, off, s[0:3], 0 offset:688
	s_waitcnt vmcnt(55) lgkmcnt(0)
	v_mul_f64 v[44:45], v[8:9], v[50:51]
	s_waitcnt vmcnt(53)
	v_fma_f64 v[46:47], v[2:3], v[54:55], -v[46:47]
	ds_read_b128 v[10:13], v1 offset:1168
	v_mul_f64 v[40:41], v[6:7], v[50:51]
	v_add_f64 v[18:19], v[18:19], v[36:37]
	v_fma_f64 v[36:37], v[4:5], v[54:55], v[42:43]
	v_add_f64 v[14:15], v[14:15], v[32:33]
	ds_read_b128 v[2:5], v1 offset:1184
	s_waitcnt vmcnt(49) lgkmcnt(1)
	v_mul_f64 v[42:43], v[12:13], v[56:57]
	s_waitcnt vmcnt(48)
	v_fma_f64 v[44:45], v[6:7], v[52:53], -v[44:45]
	v_mul_f64 v[32:33], v[10:11], v[56:57]
	v_fma_f64 v[40:41], v[8:9], v[52:53], v[40:41]
	v_add_f64 v[18:19], v[18:19], v[46:47]
	s_waitcnt vmcnt(47) lgkmcnt(0)
	v_mul_f64 v[50:51], v[4:5], v[58:59]
	v_add_f64 v[14:15], v[14:15], v[36:37]
	s_clause 0x3
	buffer_load_dword v36, off, s[0:3], 0 offset:304
	buffer_load_dword v37, off, s[0:3], 0 offset:308
	;; [unrolled: 1-line block ×4, first 2 shown]
	s_waitcnt vmcnt(49)
	v_fma_f64 v[42:43], v[10:11], v[64:65], -v[42:43]
	ds_read_b128 v[6:9], v1 offset:1200
	v_mul_f64 v[48:49], v[2:3], v[58:59]
	v_fma_f64 v[32:33], v[12:13], v[64:65], v[32:33]
	ds_read_b128 v[10:13], v1 offset:1216
	v_add_f64 v[18:19], v[18:19], v[44:45]
	s_waitcnt vmcnt(44)
	v_fma_f64 v[50:51], v[2:3], v[62:63], -v[50:51]
	v_add_f64 v[14:15], v[14:15], v[40:41]
	s_waitcnt lgkmcnt(1)
	v_mul_f64 v[44:45], v[8:9], v[66:67]
	v_mul_f64 v[40:41], v[6:7], v[66:67]
	v_add_f64 v[18:19], v[18:19], v[42:43]
	v_fma_f64 v[42:43], v[4:5], v[62:63], v[48:49]
	v_add_f64 v[14:15], v[14:15], v[32:33]
	s_waitcnt vmcnt(43) lgkmcnt(0)
	v_mul_f64 v[48:49], v[12:13], v[68:69]
	s_waitcnt vmcnt(41)
	v_fma_f64 v[44:45], v[6:7], v[72:73], -v[44:45]
	ds_read_b128 v[2:5], v1 offset:1232
	v_mul_f64 v[32:33], v[10:11], v[68:69]
	v_fma_f64 v[40:41], v[8:9], v[72:73], v[40:41]
	ds_read_b128 v[6:9], v1 offset:1248
	v_add_f64 v[18:19], v[18:19], v[50:51]
	v_add_f64 v[14:15], v[14:15], v[42:43]
	s_waitcnt vmcnt(37) lgkmcnt(1)
	v_mul_f64 v[50:51], v[4:5], v[78:79]
	s_waitcnt vmcnt(36)
	v_fma_f64 v[48:49], v[10:11], v[70:71], -v[48:49]
	v_mul_f64 v[42:43], v[2:3], v[78:79]
	v_fma_f64 v[32:33], v[12:13], v[70:71], v[32:33]
	ds_read_b128 v[10:13], v1 offset:1264
	v_add_f64 v[18:19], v[18:19], v[44:45]
	v_add_f64 v[14:15], v[14:15], v[40:41]
	s_waitcnt vmcnt(35) lgkmcnt(1)
	v_mul_f64 v[44:45], v[8:9], v[80:81]
	v_mul_f64 v[40:41], v[6:7], v[80:81]
	s_waitcnt vmcnt(33)
	v_fma_f64 v[50:51], v[2:3], v[76:77], -v[50:51]
	v_fma_f64 v[42:43], v[4:5], v[76:77], v[42:43]
	ds_read_b128 v[2:5], v1 offset:1280
	v_add_f64 v[18:19], v[18:19], v[48:49]
	v_add_f64 v[14:15], v[14:15], v[32:33]
	s_waitcnt vmcnt(29) lgkmcnt(1)
	v_mul_f64 v[32:33], v[10:11], v[20:21]
	v_mul_f64 v[20:21], v[12:13], v[20:21]
	s_waitcnt vmcnt(28)
	v_fma_f64 v[44:45], v[6:7], v[82:83], -v[44:45]
	v_fma_f64 v[40:41], v[8:9], v[82:83], v[40:41]
	ds_read_b128 v[6:9], v1 offset:1296
	v_add_f64 v[18:19], v[18:19], v[50:51]
	v_add_f64 v[14:15], v[14:15], v[42:43]
	s_waitcnt vmcnt(27) lgkmcnt(1)
	v_mul_f64 v[48:49], v[4:5], v[84:85]
	v_mul_f64 v[42:43], v[2:3], v[84:85]
	s_waitcnt vmcnt(25)
	v_fma_f64 v[20:21], v[10:11], v[16:17], -v[20:21]
	v_fma_f64 v[16:17], v[12:13], v[16:17], v[32:33]
	ds_read_b128 v[10:13], v1 offset:1312
	v_add_f64 v[18:19], v[18:19], v[44:45]
	v_add_f64 v[14:15], v[14:15], v[40:41]
	s_waitcnt vmcnt(21) lgkmcnt(1)
	v_mul_f64 v[32:33], v[6:7], v[28:29]
	v_mul_f64 v[28:29], v[8:9], v[28:29]
	s_waitcnt vmcnt(20)
	v_fma_f64 v[40:41], v[2:3], v[89:90], -v[48:49]
	v_add_f64 v[18:19], v[18:19], v[20:21]
	v_fma_f64 v[20:21], v[4:5], v[89:90], v[42:43]
	v_add_f64 v[14:15], v[14:15], v[16:17]
	ds_read_b128 v[2:5], v1 offset:1328
	s_waitcnt vmcnt(19) lgkmcnt(1)
	v_mul_f64 v[42:43], v[12:13], v[74:75]
	v_mul_f64 v[16:17], v[10:11], v[74:75]
	s_waitcnt vmcnt(17)
	v_fma_f64 v[28:29], v[6:7], v[26:27], -v[28:29]
	v_fma_f64 v[26:27], v[8:9], v[26:27], v[32:33]
	ds_read_b128 v[6:9], v1 offset:1344
	v_add_f64 v[18:19], v[18:19], v[40:41]
	v_add_f64 v[14:15], v[14:15], v[20:21]
	s_waitcnt vmcnt(13) lgkmcnt(1)
	v_mul_f64 v[20:21], v[2:3], v[22:23]
	v_mul_f64 v[22:23], v[4:5], v[22:23]
	s_waitcnt vmcnt(12)
	v_fma_f64 v[32:33], v[10:11], v[91:92], -v[42:43]
	v_fma_f64 v[16:17], v[12:13], v[91:92], v[16:17]
	ds_read_b128 v[10:13], v1 offset:1360
	v_add_f64 v[18:19], v[18:19], v[28:29]
	v_add_f64 v[14:15], v[14:15], v[26:27]
	s_waitcnt vmcnt(11) lgkmcnt(1)
	v_mul_f64 v[28:29], v[8:9], v[38:39]
	v_mul_f64 v[26:27], v[6:7], v[38:39]
	s_waitcnt vmcnt(9)
	v_fma_f64 v[1:2], v[2:3], v[24:25], -v[22:23]
	v_fma_f64 v[3:4], v[4:5], v[24:25], v[20:21]
	v_add_f64 v[18:19], v[18:19], v[32:33]
	v_add_f64 v[14:15], v[14:15], v[16:17]
	s_waitcnt vmcnt(7) lgkmcnt(0)
	v_mul_f64 v[20:21], v[12:13], v[30:31]
	s_waitcnt vmcnt(6)
	v_fma_f64 v[5:6], v[6:7], v[86:87], -v[28:29]
	v_mul_f64 v[16:17], v[10:11], v[30:31]
	v_fma_f64 v[7:8], v[8:9], v[86:87], v[26:27]
	v_add_f64 v[1:2], v[18:19], v[1:2]
	v_add_f64 v[3:4], v[14:15], v[3:4]
	s_waitcnt vmcnt(4)
	v_fma_f64 v[9:10], v[10:11], v[34:35], -v[20:21]
	v_add_f64 v[1:2], v[1:2], v[5:6]
	v_fma_f64 v[5:6], v[12:13], v[34:35], v[16:17]
	v_add_f64 v[3:4], v[3:4], v[7:8]
	v_add_f64 v[1:2], v[1:2], v[9:10]
	;; [unrolled: 1-line block ×3, first 2 shown]
	s_waitcnt vmcnt(2)
	v_add_f64 v[1:2], v[36:37], -v[1:2]
	s_waitcnt vmcnt(0)
	v_add_f64 v[3:4], v[46:47], -v[3:4]
	buffer_store_dword v2, off, s[0:3], 0 offset:308
	buffer_store_dword v1, off, s[0:3], 0 offset:304
	;; [unrolled: 1-line block ×4, first 2 shown]
	v_cmpx_lt_u32_e32 17, v0
	s_cbranch_execz .LBB42_237
; %bb.236:
	v_mov_b32_e32 v4, s26
	v_mov_b32_e32 v5, 0
	s_clause 0x3
	buffer_load_dword v1, v4, s[0:3], 0 offen
	buffer_load_dword v2, v4, s[0:3], 0 offen offset:4
	buffer_load_dword v3, v4, s[0:3], 0 offen offset:8
	;; [unrolled: 1-line block ×3, first 2 shown]
	buffer_store_dword v5, off, s[0:3], 0 offset:288
	buffer_store_dword v5, off, s[0:3], 0 offset:292
	;; [unrolled: 1-line block ×4, first 2 shown]
	s_waitcnt vmcnt(0)
	ds_write_b128 v61, v[1:4]
.LBB42_237:
	s_or_b32 exec_lo, exec_lo, s4
	s_waitcnt lgkmcnt(0)
	s_waitcnt_vscnt null, 0x0
	s_barrier
	buffer_gl0_inv
	s_clause 0x37
	buffer_load_dword v10, off, s[0:3], 0 offset:312
	buffer_load_dword v11, off, s[0:3], 0 offset:316
	;; [unrolled: 1-line block ×56, first 2 shown]
	v_mov_b32_e32 v1, 0
	s_mov_b32 s4, exec_lo
	ds_read_b128 v[2:5], v1 offset:976
	s_clause 0x2
	buffer_load_dword v69, off, s[0:3], 0 offset:540
	buffer_load_dword v73, off, s[0:3], 0 offset:516
	;; [unrolled: 1-line block ×3, first 2 shown]
	ds_read_b128 v[6:9], v1 offset:992
	s_clause 0x4
	buffer_load_dword v79, off, s[0:3], 0 offset:556
	buffer_load_dword v80, off, s[0:3], 0 offset:568
	;; [unrolled: 1-line block ×5, first 2 shown]
	s_waitcnt vmcnt(62) lgkmcnt(1)
	v_mul_f64 v[74:75], v[4:5], v[10:11]
	v_mul_f64 v[76:77], v[2:3], v[10:11]
	s_waitcnt vmcnt(60) lgkmcnt(0)
	v_mul_f64 v[83:84], v[8:9], v[14:15]
	ds_read_b128 v[10:13], v1 offset:1008
	v_mul_f64 v[14:15], v[6:7], v[14:15]
	s_waitcnt vmcnt(58)
	v_fma_f64 v[74:75], v[2:3], v[16:17], -v[74:75]
	v_fma_f64 v[16:17], v[4:5], v[16:17], v[76:77]
	s_clause 0x2
	buffer_load_dword v81, off, s[0:3], 0 offset:572
	buffer_load_dword v77, off, s[0:3], 0 offset:548
	buffer_load_dword v76, off, s[0:3], 0 offset:544
	s_waitcnt vmcnt(59) lgkmcnt(0)
	v_mul_f64 v[85:86], v[10:11], v[18:19]
	v_mul_f64 v[18:19], v[12:13], v[18:19]
	s_waitcnt vmcnt(57)
	v_fma_f64 v[87:88], v[6:7], v[20:21], -v[83:84]
	ds_read_b128 v[2:5], v1 offset:1024
	v_fma_f64 v[14:15], v[8:9], v[20:21], v[14:15]
	s_clause 0x4
	buffer_load_dword v21, off, s[0:3], 0 offset:588
	buffer_load_dword v84, off, s[0:3], 0 offset:600
	buffer_load_dword v89, off, s[0:3], 0 offset:592
	buffer_load_dword v20, off, s[0:3], 0 offset:584
	buffer_load_dword v83, off, s[0:3], 0 offset:564
	ds_read_b128 v[6:9], v1 offset:1040
	v_add_f64 v[74:75], v[74:75], 0
	v_add_f64 v[16:17], v[16:17], 0
	s_waitcnt vmcnt(58) lgkmcnt(1)
	v_mul_f64 v[90:91], v[2:3], v[22:23]
	v_mul_f64 v[22:23], v[4:5], v[22:23]
	s_waitcnt vmcnt(56)
	v_fma_f64 v[18:19], v[10:11], v[28:29], -v[18:19]
	v_fma_f64 v[28:29], v[12:13], v[28:29], v[85:86]
	v_add_f64 v[74:75], v[74:75], v[87:88]
	v_add_f64 v[14:15], v[16:17], v[14:15]
	s_clause 0x2
	buffer_load_dword v85, off, s[0:3], 0 offset:604
	buffer_load_dword v17, off, s[0:3], 0 offset:580
	;; [unrolled: 1-line block ×3, first 2 shown]
	s_waitcnt vmcnt(58) lgkmcnt(0)
	v_mul_f64 v[86:87], v[6:7], v[24:25]
	v_mul_f64 v[24:25], v[8:9], v[24:25]
	s_waitcnt vmcnt(56)
	v_fma_f64 v[22:23], v[2:3], v[30:31], -v[22:23]
	ds_read_b128 v[10:13], v1 offset:1056
	v_fma_f64 v[30:31], v[4:5], v[30:31], v[90:91]
	v_add_f64 v[18:19], v[74:75], v[18:19]
	v_add_f64 v[14:15], v[14:15], v[28:29]
	s_clause 0x4
	buffer_load_dword v29, off, s[0:3], 0 offset:620
	buffer_load_dword v74, off, s[0:3], 0 offset:632
	;; [unrolled: 1-line block ×5, first 2 shown]
	ds_read_b128 v[2:5], v1 offset:1072
	s_waitcnt vmcnt(57) lgkmcnt(1)
	v_mul_f64 v[179:180], v[10:11], v[32:33]
	v_mul_f64 v[32:33], v[12:13], v[32:33]
	s_waitcnt vmcnt(56)
	v_fma_f64 v[24:25], v[6:7], v[26:27], -v[24:25]
	v_add_f64 v[18:19], v[18:19], v[22:23]
	v_fma_f64 v[22:23], v[8:9], v[26:27], v[86:87]
	v_add_f64 v[14:15], v[14:15], v[30:31]
	s_clause 0x2
	buffer_load_dword v75, off, s[0:3], 0 offset:636
	buffer_load_dword v27, off, s[0:3], 0 offset:612
	;; [unrolled: 1-line block ×3, first 2 shown]
	s_waitcnt vmcnt(58) lgkmcnt(0)
	v_mul_f64 v[30:31], v[2:3], v[34:35]
	v_mul_f64 v[34:35], v[4:5], v[34:35]
	s_waitcnt vmcnt(56)
	v_fma_f64 v[32:33], v[10:11], v[38:39], -v[32:33]
	ds_read_b128 v[6:9], v1 offset:1088
	v_add_f64 v[18:19], v[18:19], v[24:25]
	v_fma_f64 v[24:25], v[12:13], v[38:39], v[179:180]
	v_add_f64 v[14:15], v[14:15], v[22:23]
	s_clause 0x4
	buffer_load_dword v23, off, s[0:3], 0 offset:652
	buffer_load_dword v38, off, s[0:3], 0 offset:664
	;; [unrolled: 1-line block ×5, first 2 shown]
	ds_read_b128 v[10:13], v1 offset:1104
	s_waitcnt vmcnt(57) lgkmcnt(1)
	v_mul_f64 v[87:88], v[6:7], v[40:41]
	v_mul_f64 v[40:41], v[8:9], v[40:41]
	s_waitcnt vmcnt(56)
	v_fma_f64 v[34:35], v[2:3], v[36:37], -v[34:35]
	v_fma_f64 v[30:31], v[4:5], v[36:37], v[30:31]
	v_add_f64 v[18:19], v[18:19], v[32:33]
	v_add_f64 v[14:15], v[14:15], v[24:25]
	s_clause 0x2
	buffer_load_dword v39, off, s[0:3], 0 offset:668
	buffer_load_dword v25, off, s[0:3], 0 offset:644
	;; [unrolled: 1-line block ×3, first 2 shown]
	s_waitcnt vmcnt(58) lgkmcnt(0)
	v_mul_f64 v[36:37], v[12:13], v[42:43]
	ds_read_b128 v[2:5], v1 offset:1120
	s_waitcnt vmcnt(56)
	v_fma_f64 v[40:41], v[6:7], v[46:47], -v[40:41]
	v_mul_f64 v[32:33], v[10:11], v[42:43]
	v_add_f64 v[18:19], v[18:19], v[34:35]
	v_fma_f64 v[34:35], v[8:9], v[46:47], v[87:88]
	v_add_f64 v[14:15], v[14:15], v[30:31]
	s_clause 0x4
	buffer_load_dword v31, off, s[0:3], 0 offset:684
	buffer_load_dword v42, off, s[0:3], 0 offset:696
	;; [unrolled: 1-line block ×5, first 2 shown]
	s_waitcnt vmcnt(57) lgkmcnt(0)
	v_mul_f64 v[179:180], v[2:3], v[48:49]
	v_mul_f64 v[47:48], v[4:5], v[48:49]
	s_waitcnt vmcnt(56)
	v_fma_f64 v[36:37], v[10:11], v[44:45], -v[36:37]
	ds_read_b128 v[6:9], v1 offset:1136
	v_fma_f64 v[32:33], v[12:13], v[44:45], v[32:33]
	v_add_f64 v[18:19], v[18:19], v[40:41]
	v_add_f64 v[14:15], v[14:15], v[34:35]
	s_clause 0x2
	buffer_load_dword v43, off, s[0:3], 0 offset:700
	buffer_load_dword v35, off, s[0:3], 0 offset:676
	;; [unrolled: 1-line block ×3, first 2 shown]
	ds_read_b128 v[10:13], v1 offset:1152
	s_waitcnt vmcnt(58) lgkmcnt(1)
	v_mul_f64 v[44:45], v[8:9], v[50:51]
	s_waitcnt vmcnt(56)
	v_fma_f64 v[48:49], v[2:3], v[54:55], -v[47:48]
	v_mul_f64 v[40:41], v[6:7], v[50:51]
	buffer_load_dword v47, off, s[0:3], 0 offset:692
	v_add_f64 v[18:19], v[18:19], v[36:37]
	v_fma_f64 v[36:37], v[4:5], v[54:55], v[179:180]
	v_add_f64 v[14:15], v[14:15], v[32:33]
	ds_read_b128 v[2:5], v1 offset:1168
	s_waitcnt vmcnt(53) lgkmcnt(1)
	v_mul_f64 v[50:51], v[12:13], v[56:57]
	s_waitcnt vmcnt(52)
	v_fma_f64 v[44:45], v[6:7], v[52:53], -v[44:45]
	v_mul_f64 v[32:33], v[10:11], v[56:57]
	v_fma_f64 v[40:41], v[8:9], v[52:53], v[40:41]
	ds_read_b128 v[6:9], v1 offset:1184
	v_add_f64 v[18:19], v[18:19], v[48:49]
	s_waitcnt vmcnt(51) lgkmcnt(1)
	v_mul_f64 v[48:49], v[4:5], v[58:59]
	v_add_f64 v[14:15], v[14:15], v[36:37]
	v_mul_f64 v[36:37], v[2:3], v[58:59]
	s_waitcnt vmcnt(49)
	v_fma_f64 v[50:51], v[10:11], v[64:65], -v[50:51]
	v_fma_f64 v[32:33], v[12:13], v[64:65], v[32:33]
	s_waitcnt vmcnt(45) lgkmcnt(0)
	v_mul_f64 v[54:55], v[8:9], v[66:67]
	v_mul_f64 v[52:53], v[6:7], v[66:67]
	v_add_f64 v[18:19], v[18:19], v[44:45]
	s_waitcnt vmcnt(44)
	v_fma_f64 v[48:49], v[2:3], v[62:63], -v[48:49]
	v_add_f64 v[14:15], v[14:15], v[40:41]
	s_clause 0x3
	buffer_load_dword v40, off, s[0:3], 0 offset:288
	buffer_load_dword v41, off, s[0:3], 0 offset:292
	buffer_load_dword v44, off, s[0:3], 0 offset:296
	buffer_load_dword v45, off, s[0:3], 0 offset:300
	ds_read_b128 v[10:13], v1 offset:1200
	v_fma_f64 v[36:37], v[4:5], v[62:63], v[36:37]
	ds_read_b128 v[2:5], v1 offset:1216
	s_waitcnt vmcnt(45)
	v_fma_f64 v[54:55], v[6:7], v[72:73], -v[54:55]
	v_add_f64 v[18:19], v[18:19], v[50:51]
	v_add_f64 v[14:15], v[14:15], v[32:33]
	s_waitcnt lgkmcnt(1)
	v_mul_f64 v[50:51], v[12:13], v[68:69]
	v_mul_f64 v[32:33], v[10:11], v[68:69]
	v_add_f64 v[18:19], v[18:19], v[48:49]
	v_fma_f64 v[48:49], v[8:9], v[72:73], v[52:53]
	v_add_f64 v[14:15], v[14:15], v[36:37]
	s_waitcnt vmcnt(41) lgkmcnt(0)
	v_mul_f64 v[52:53], v[4:5], v[78:79]
	s_waitcnt vmcnt(40)
	v_fma_f64 v[50:51], v[10:11], v[70:71], -v[50:51]
	ds_read_b128 v[6:9], v1 offset:1232
	v_mul_f64 v[36:37], v[2:3], v[78:79]
	v_fma_f64 v[32:33], v[12:13], v[70:71], v[32:33]
	ds_read_b128 v[10:13], v1 offset:1248
	v_add_f64 v[18:19], v[18:19], v[54:55]
	v_add_f64 v[14:15], v[14:15], v[48:49]
	s_waitcnt vmcnt(39) lgkmcnt(1)
	v_mul_f64 v[54:55], v[8:9], v[80:81]
	v_mul_f64 v[48:49], v[6:7], v[80:81]
	s_waitcnt vmcnt(37)
	v_fma_f64 v[52:53], v[2:3], v[76:77], -v[52:53]
	v_fma_f64 v[36:37], v[4:5], v[76:77], v[36:37]
	ds_read_b128 v[2:5], v1 offset:1264
	v_add_f64 v[18:19], v[18:19], v[50:51]
	v_add_f64 v[14:15], v[14:15], v[32:33]
	s_waitcnt vmcnt(33) lgkmcnt(1)
	v_mul_f64 v[32:33], v[10:11], v[20:21]
	v_mul_f64 v[20:21], v[12:13], v[20:21]
	s_waitcnt vmcnt(32)
	v_fma_f64 v[50:51], v[6:7], v[82:83], -v[54:55]
	;; [unrolled: 9-line block ×4, first 2 shown]
	v_add_f64 v[18:19], v[18:19], v[20:21]
	v_fma_f64 v[20:21], v[4:5], v[89:90], v[36:37]
	v_add_f64 v[14:15], v[14:15], v[16:17]
	ds_read_b128 v[2:5], v1 offset:1312
	s_waitcnt vmcnt(23) lgkmcnt(1)
	v_mul_f64 v[36:37], v[12:13], v[74:75]
	v_mul_f64 v[16:17], v[10:11], v[74:75]
	s_waitcnt vmcnt(21)
	v_fma_f64 v[28:29], v[6:7], v[26:27], -v[28:29]
	v_fma_f64 v[26:27], v[8:9], v[26:27], v[32:33]
	ds_read_b128 v[6:9], v1 offset:1328
	v_add_f64 v[18:19], v[18:19], v[48:49]
	v_add_f64 v[14:15], v[14:15], v[20:21]
	s_waitcnt vmcnt(17) lgkmcnt(1)
	v_mul_f64 v[20:21], v[2:3], v[22:23]
	v_mul_f64 v[22:23], v[4:5], v[22:23]
	s_waitcnt vmcnt(16)
	v_fma_f64 v[32:33], v[10:11], v[91:92], -v[36:37]
	v_fma_f64 v[16:17], v[12:13], v[91:92], v[16:17]
	ds_read_b128 v[10:13], v1 offset:1344
	v_add_f64 v[18:19], v[18:19], v[28:29]
	v_add_f64 v[14:15], v[14:15], v[26:27]
	;; [unrolled: 9-line block ×3, first 2 shown]
	s_waitcnt vmcnt(9) lgkmcnt(1)
	v_mul_f64 v[24:25], v[12:13], v[30:31]
	s_waitcnt vmcnt(8)
	v_fma_f64 v[6:7], v[6:7], v[86:87], -v[28:29]
	v_mul_f64 v[16:17], v[10:11], v[30:31]
	v_fma_f64 v[8:9], v[8:9], v[86:87], v[26:27]
	v_add_f64 v[18:19], v[18:19], v[22:23]
	v_add_f64 v[14:15], v[14:15], v[20:21]
	s_waitcnt vmcnt(7) lgkmcnt(0)
	v_mul_f64 v[22:23], v[4:5], v[42:43]
	v_mul_f64 v[20:21], v[2:3], v[42:43]
	s_waitcnt vmcnt(5)
	v_fma_f64 v[10:11], v[10:11], v[34:35], -v[24:25]
	v_fma_f64 v[12:13], v[12:13], v[34:35], v[16:17]
	v_add_f64 v[6:7], v[18:19], v[6:7]
	v_add_f64 v[8:9], v[14:15], v[8:9]
	s_waitcnt vmcnt(4)
	v_fma_f64 v[2:3], v[2:3], v[46:47], -v[22:23]
	v_fma_f64 v[4:5], v[4:5], v[46:47], v[20:21]
	v_add_f64 v[6:7], v[6:7], v[10:11]
	v_add_f64 v[8:9], v[8:9], v[12:13]
	;; [unrolled: 1-line block ×4, first 2 shown]
	s_waitcnt vmcnt(2)
	v_add_f64 v[2:3], v[40:41], -v[2:3]
	s_waitcnt vmcnt(0)
	v_add_f64 v[4:5], v[44:45], -v[4:5]
	buffer_store_dword v3, off, s[0:3], 0 offset:292
	buffer_store_dword v2, off, s[0:3], 0 offset:288
	;; [unrolled: 1-line block ×4, first 2 shown]
	v_cmpx_lt_u32_e32 16, v0
	s_cbranch_execz .LBB42_239
; %bb.238:
	v_mov_b32_e32 v5, s28
	s_clause 0x3
	buffer_load_dword v2, v5, s[0:3], 0 offen
	buffer_load_dword v3, v5, s[0:3], 0 offen offset:4
	buffer_load_dword v4, v5, s[0:3], 0 offen offset:8
	buffer_load_dword v5, v5, s[0:3], 0 offen offset:12
	buffer_store_dword v1, off, s[0:3], 0 offset:272
	buffer_store_dword v1, off, s[0:3], 0 offset:276
	;; [unrolled: 1-line block ×4, first 2 shown]
	s_waitcnt vmcnt(0)
	ds_write_b128 v61, v[2:5]
.LBB42_239:
	s_or_b32 exec_lo, exec_lo, s4
	s_waitcnt lgkmcnt(0)
	s_waitcnt_vscnt null, 0x0
	s_barrier
	buffer_gl0_inv
	s_clause 0x37
	buffer_load_dword v10, off, s[0:3], 0 offset:296
	buffer_load_dword v11, off, s[0:3], 0 offset:300
	;; [unrolled: 1-line block ×56, first 2 shown]
	ds_read_b128 v[2:5], v1 offset:960
	s_clause 0x2
	buffer_load_dword v69, off, s[0:3], 0 offset:524
	buffer_load_dword v73, off, s[0:3], 0 offset:500
	;; [unrolled: 1-line block ×3, first 2 shown]
	ds_read_b128 v[6:9], v1 offset:976
	s_clause 0x4
	buffer_load_dword v79, off, s[0:3], 0 offset:540
	buffer_load_dword v80, off, s[0:3], 0 offset:552
	;; [unrolled: 1-line block ×5, first 2 shown]
	s_mov_b32 s4, exec_lo
	s_waitcnt vmcnt(62) lgkmcnt(1)
	v_mul_f64 v[74:75], v[4:5], v[10:11]
	v_mul_f64 v[76:77], v[2:3], v[10:11]
	s_waitcnt vmcnt(60) lgkmcnt(0)
	v_mul_f64 v[83:84], v[8:9], v[14:15]
	ds_read_b128 v[10:13], v1 offset:992
	v_mul_f64 v[14:15], v[6:7], v[14:15]
	s_waitcnt vmcnt(58)
	v_fma_f64 v[74:75], v[2:3], v[16:17], -v[74:75]
	v_fma_f64 v[16:17], v[4:5], v[16:17], v[76:77]
	s_clause 0x2
	buffer_load_dword v81, off, s[0:3], 0 offset:556
	buffer_load_dword v77, off, s[0:3], 0 offset:532
	buffer_load_dword v76, off, s[0:3], 0 offset:528
	s_waitcnt vmcnt(59) lgkmcnt(0)
	v_mul_f64 v[85:86], v[10:11], v[18:19]
	v_mul_f64 v[18:19], v[12:13], v[18:19]
	s_waitcnt vmcnt(57)
	v_fma_f64 v[87:88], v[6:7], v[20:21], -v[83:84]
	ds_read_b128 v[2:5], v1 offset:1008
	v_fma_f64 v[14:15], v[8:9], v[20:21], v[14:15]
	s_clause 0x4
	buffer_load_dword v21, off, s[0:3], 0 offset:572
	buffer_load_dword v84, off, s[0:3], 0 offset:584
	;; [unrolled: 1-line block ×5, first 2 shown]
	ds_read_b128 v[6:9], v1 offset:1024
	v_add_f64 v[74:75], v[74:75], 0
	v_add_f64 v[16:17], v[16:17], 0
	s_waitcnt vmcnt(58) lgkmcnt(1)
	v_mul_f64 v[90:91], v[2:3], v[22:23]
	v_mul_f64 v[22:23], v[4:5], v[22:23]
	s_waitcnt vmcnt(56)
	v_fma_f64 v[18:19], v[10:11], v[28:29], -v[18:19]
	v_fma_f64 v[28:29], v[12:13], v[28:29], v[85:86]
	v_add_f64 v[74:75], v[74:75], v[87:88]
	v_add_f64 v[14:15], v[16:17], v[14:15]
	s_clause 0x2
	buffer_load_dword v85, off, s[0:3], 0 offset:588
	buffer_load_dword v17, off, s[0:3], 0 offset:564
	;; [unrolled: 1-line block ×3, first 2 shown]
	s_waitcnt vmcnt(58) lgkmcnt(0)
	v_mul_f64 v[86:87], v[6:7], v[24:25]
	v_mul_f64 v[24:25], v[8:9], v[24:25]
	s_waitcnt vmcnt(56)
	v_fma_f64 v[22:23], v[2:3], v[30:31], -v[22:23]
	ds_read_b128 v[10:13], v1 offset:1040
	v_fma_f64 v[30:31], v[4:5], v[30:31], v[90:91]
	v_add_f64 v[18:19], v[74:75], v[18:19]
	v_add_f64 v[14:15], v[14:15], v[28:29]
	s_clause 0x4
	buffer_load_dword v29, off, s[0:3], 0 offset:604
	buffer_load_dword v74, off, s[0:3], 0 offset:616
	;; [unrolled: 1-line block ×5, first 2 shown]
	ds_read_b128 v[2:5], v1 offset:1056
	s_waitcnt vmcnt(57) lgkmcnt(1)
	v_mul_f64 v[179:180], v[10:11], v[32:33]
	v_mul_f64 v[32:33], v[12:13], v[32:33]
	s_waitcnt vmcnt(56)
	v_fma_f64 v[24:25], v[6:7], v[26:27], -v[24:25]
	v_add_f64 v[18:19], v[18:19], v[22:23]
	v_fma_f64 v[22:23], v[8:9], v[26:27], v[86:87]
	v_add_f64 v[14:15], v[14:15], v[30:31]
	s_clause 0x2
	buffer_load_dword v75, off, s[0:3], 0 offset:620
	buffer_load_dword v27, off, s[0:3], 0 offset:596
	;; [unrolled: 1-line block ×3, first 2 shown]
	s_waitcnt vmcnt(58) lgkmcnt(0)
	v_mul_f64 v[30:31], v[2:3], v[34:35]
	v_mul_f64 v[34:35], v[4:5], v[34:35]
	s_waitcnt vmcnt(56)
	v_fma_f64 v[32:33], v[10:11], v[38:39], -v[32:33]
	ds_read_b128 v[6:9], v1 offset:1072
	v_add_f64 v[18:19], v[18:19], v[24:25]
	v_fma_f64 v[24:25], v[12:13], v[38:39], v[179:180]
	v_add_f64 v[14:15], v[14:15], v[22:23]
	s_clause 0x4
	buffer_load_dword v23, off, s[0:3], 0 offset:636
	buffer_load_dword v38, off, s[0:3], 0 offset:648
	;; [unrolled: 1-line block ×5, first 2 shown]
	ds_read_b128 v[10:13], v1 offset:1088
	s_waitcnt vmcnt(57) lgkmcnt(1)
	v_mul_f64 v[87:88], v[6:7], v[40:41]
	v_mul_f64 v[40:41], v[8:9], v[40:41]
	s_waitcnt vmcnt(56)
	v_fma_f64 v[34:35], v[2:3], v[36:37], -v[34:35]
	v_fma_f64 v[30:31], v[4:5], v[36:37], v[30:31]
	v_add_f64 v[18:19], v[18:19], v[32:33]
	v_add_f64 v[14:15], v[14:15], v[24:25]
	s_clause 0x2
	buffer_load_dword v39, off, s[0:3], 0 offset:652
	buffer_load_dword v25, off, s[0:3], 0 offset:628
	buffer_load_dword v24, off, s[0:3], 0 offset:624
	s_waitcnt vmcnt(58) lgkmcnt(0)
	v_mul_f64 v[36:37], v[12:13], v[42:43]
	ds_read_b128 v[2:5], v1 offset:1104
	s_waitcnt vmcnt(56)
	v_fma_f64 v[40:41], v[6:7], v[46:47], -v[40:41]
	v_mul_f64 v[32:33], v[10:11], v[42:43]
	v_add_f64 v[18:19], v[18:19], v[34:35]
	v_fma_f64 v[34:35], v[8:9], v[46:47], v[87:88]
	v_add_f64 v[14:15], v[14:15], v[30:31]
	s_clause 0x4
	buffer_load_dword v31, off, s[0:3], 0 offset:668
	buffer_load_dword v42, off, s[0:3], 0 offset:680
	;; [unrolled: 1-line block ×5, first 2 shown]
	s_waitcnt vmcnt(57) lgkmcnt(0)
	v_mul_f64 v[179:180], v[2:3], v[48:49]
	v_mul_f64 v[47:48], v[4:5], v[48:49]
	s_waitcnt vmcnt(56)
	v_fma_f64 v[36:37], v[10:11], v[44:45], -v[36:37]
	ds_read_b128 v[6:9], v1 offset:1120
	v_fma_f64 v[32:33], v[12:13], v[44:45], v[32:33]
	v_add_f64 v[18:19], v[18:19], v[40:41]
	v_add_f64 v[14:15], v[14:15], v[34:35]
	s_clause 0x2
	buffer_load_dword v43, off, s[0:3], 0 offset:684
	buffer_load_dword v35, off, s[0:3], 0 offset:660
	;; [unrolled: 1-line block ×3, first 2 shown]
	ds_read_b128 v[10:13], v1 offset:1136
	s_waitcnt vmcnt(58) lgkmcnt(1)
	v_mul_f64 v[44:45], v[8:9], v[50:51]
	s_waitcnt vmcnt(56)
	v_fma_f64 v[48:49], v[2:3], v[54:55], -v[47:48]
	v_mul_f64 v[40:41], v[6:7], v[50:51]
	v_add_f64 v[18:19], v[18:19], v[36:37]
	v_fma_f64 v[36:37], v[4:5], v[54:55], v[179:180]
	v_add_f64 v[14:15], v[14:15], v[32:33]
	s_clause 0x2
	buffer_load_dword v33, off, s[0:3], 0 offset:700
	buffer_load_dword v32, off, s[0:3], 0 offset:696
	;; [unrolled: 1-line block ×3, first 2 shown]
	s_waitcnt vmcnt(55) lgkmcnt(0)
	v_mul_f64 v[54:55], v[12:13], v[56:57]
	s_waitcnt vmcnt(54)
	v_fma_f64 v[44:45], v[6:7], v[52:53], -v[44:45]
	ds_read_b128 v[2:5], v1 offset:1152
	v_mul_f64 v[50:51], v[10:11], v[56:57]
	v_fma_f64 v[40:41], v[8:9], v[52:53], v[40:41]
	v_add_f64 v[18:19], v[18:19], v[48:49]
	v_add_f64 v[14:15], v[14:15], v[36:37]
	s_clause 0x1
	buffer_load_dword v37, off, s[0:3], 0 offset:692
	buffer_load_dword v36, off, s[0:3], 0 offset:688
	s_waitcnt vmcnt(55) lgkmcnt(0)
	v_mul_f64 v[52:53], v[4:5], v[58:59]
	s_waitcnt vmcnt(53)
	v_fma_f64 v[54:55], v[10:11], v[64:65], -v[54:55]
	ds_read_b128 v[6:9], v1 offset:1168
	v_mul_f64 v[48:49], v[2:3], v[58:59]
	v_add_f64 v[18:19], v[18:19], v[44:45]
	v_fma_f64 v[44:45], v[12:13], v[64:65], v[50:51]
	v_add_f64 v[14:15], v[14:15], v[40:41]
	ds_read_b128 v[10:13], v1 offset:1184
	s_waitcnt vmcnt(49) lgkmcnt(1)
	v_mul_f64 v[50:51], v[8:9], v[66:67]
	s_waitcnt vmcnt(48)
	v_fma_f64 v[52:53], v[2:3], v[62:63], -v[52:53]
	v_mul_f64 v[40:41], v[6:7], v[66:67]
	v_fma_f64 v[48:49], v[4:5], v[62:63], v[48:49]
	v_add_f64 v[18:19], v[18:19], v[54:55]
	s_waitcnt vmcnt(47) lgkmcnt(0)
	v_mul_f64 v[58:59], v[12:13], v[68:69]
	v_add_f64 v[14:15], v[14:15], v[44:45]
	s_clause 0x3
	buffer_load_dword v44, off, s[0:3], 0 offset:272
	buffer_load_dword v45, off, s[0:3], 0 offset:276
	buffer_load_dword v54, off, s[0:3], 0 offset:280
	buffer_load_dword v55, off, s[0:3], 0 offset:284
	s_waitcnt vmcnt(49)
	v_fma_f64 v[50:51], v[6:7], v[72:73], -v[50:51]
	ds_read_b128 v[2:5], v1 offset:1200
	v_mul_f64 v[56:57], v[10:11], v[68:69]
	v_fma_f64 v[40:41], v[8:9], v[72:73], v[40:41]
	ds_read_b128 v[6:9], v1 offset:1216
	v_add_f64 v[18:19], v[18:19], v[52:53]
	s_waitcnt vmcnt(44)
	v_fma_f64 v[58:59], v[10:11], v[70:71], -v[58:59]
	v_add_f64 v[14:15], v[14:15], v[48:49]
	s_waitcnt lgkmcnt(1)
	v_mul_f64 v[52:53], v[4:5], v[78:79]
	v_mul_f64 v[48:49], v[2:3], v[78:79]
	v_add_f64 v[18:19], v[18:19], v[50:51]
	v_fma_f64 v[50:51], v[12:13], v[70:71], v[56:57]
	v_add_f64 v[14:15], v[14:15], v[40:41]
	ds_read_b128 v[10:13], v1 offset:1232
	s_waitcnt vmcnt(43) lgkmcnt(1)
	v_mul_f64 v[56:57], v[8:9], v[80:81]
	v_mul_f64 v[40:41], v[6:7], v[80:81]
	s_waitcnt vmcnt(41)
	v_fma_f64 v[52:53], v[2:3], v[76:77], -v[52:53]
	v_fma_f64 v[48:49], v[4:5], v[76:77], v[48:49]
	ds_read_b128 v[2:5], v1 offset:1248
	v_add_f64 v[18:19], v[18:19], v[58:59]
	v_add_f64 v[14:15], v[14:15], v[50:51]
	s_waitcnt vmcnt(37) lgkmcnt(1)
	v_mul_f64 v[50:51], v[10:11], v[20:21]
	v_mul_f64 v[20:21], v[12:13], v[20:21]
	s_waitcnt vmcnt(36)
	v_fma_f64 v[56:57], v[6:7], v[82:83], -v[56:57]
	v_fma_f64 v[40:41], v[8:9], v[82:83], v[40:41]
	ds_read_b128 v[6:9], v1 offset:1264
	v_add_f64 v[18:19], v[18:19], v[52:53]
	v_add_f64 v[14:15], v[14:15], v[48:49]
	;; [unrolled: 9-line block ×3, first 2 shown]
	s_waitcnt vmcnt(29) lgkmcnt(1)
	v_mul_f64 v[40:41], v[6:7], v[28:29]
	v_mul_f64 v[28:29], v[8:9], v[28:29]
	s_waitcnt vmcnt(28)
	v_fma_f64 v[50:51], v[2:3], v[89:90], -v[52:53]
	v_add_f64 v[18:19], v[18:19], v[20:21]
	v_fma_f64 v[20:21], v[4:5], v[89:90], v[48:49]
	v_add_f64 v[14:15], v[14:15], v[16:17]
	ds_read_b128 v[2:5], v1 offset:1296
	s_waitcnt vmcnt(27) lgkmcnt(1)
	v_mul_f64 v[48:49], v[12:13], v[74:75]
	v_mul_f64 v[16:17], v[10:11], v[74:75]
	s_waitcnt vmcnt(25)
	v_fma_f64 v[28:29], v[6:7], v[26:27], -v[28:29]
	v_fma_f64 v[26:27], v[8:9], v[26:27], v[40:41]
	ds_read_b128 v[6:9], v1 offset:1312
	v_add_f64 v[18:19], v[18:19], v[50:51]
	v_add_f64 v[14:15], v[14:15], v[20:21]
	s_waitcnt vmcnt(21) lgkmcnt(1)
	v_mul_f64 v[20:21], v[2:3], v[22:23]
	v_mul_f64 v[22:23], v[4:5], v[22:23]
	s_waitcnt vmcnt(20)
	v_fma_f64 v[40:41], v[10:11], v[91:92], -v[48:49]
	v_fma_f64 v[16:17], v[12:13], v[91:92], v[16:17]
	ds_read_b128 v[10:13], v1 offset:1328
	v_add_f64 v[18:19], v[18:19], v[28:29]
	v_add_f64 v[14:15], v[14:15], v[26:27]
	;; [unrolled: 9-line block ×3, first 2 shown]
	s_waitcnt vmcnt(13) lgkmcnt(1)
	v_mul_f64 v[24:25], v[12:13], v[30:31]
	s_waitcnt vmcnt(12)
	v_fma_f64 v[28:29], v[6:7], v[86:87], -v[28:29]
	v_mul_f64 v[16:17], v[10:11], v[30:31]
	v_add_f64 v[18:19], v[18:19], v[22:23]
	v_fma_f64 v[22:23], v[8:9], v[86:87], v[26:27]
	v_add_f64 v[14:15], v[14:15], v[20:21]
	ds_read_b128 v[6:9], v1 offset:1360
	s_waitcnt vmcnt(11) lgkmcnt(1)
	v_mul_f64 v[26:27], v[4:5], v[42:43]
	v_mul_f64 v[20:21], v[2:3], v[42:43]
	s_waitcnt vmcnt(9)
	v_fma_f64 v[10:11], v[10:11], v[34:35], -v[24:25]
	v_fma_f64 v[12:13], v[12:13], v[34:35], v[16:17]
	v_add_f64 v[18:19], v[18:19], v[28:29]
	v_add_f64 v[14:15], v[14:15], v[22:23]
	s_waitcnt vmcnt(7) lgkmcnt(0)
	v_mul_f64 v[22:23], v[8:9], v[32:33]
	s_waitcnt vmcnt(6)
	v_fma_f64 v[1:2], v[2:3], v[46:47], -v[26:27]
	v_mul_f64 v[16:17], v[6:7], v[32:33]
	v_fma_f64 v[3:4], v[4:5], v[46:47], v[20:21]
	v_add_f64 v[10:11], v[18:19], v[10:11]
	v_add_f64 v[12:13], v[14:15], v[12:13]
	s_waitcnt vmcnt(4)
	v_fma_f64 v[5:6], v[6:7], v[36:37], -v[22:23]
	v_fma_f64 v[7:8], v[8:9], v[36:37], v[16:17]
	v_add_f64 v[1:2], v[10:11], v[1:2]
	v_add_f64 v[3:4], v[12:13], v[3:4]
	;; [unrolled: 1-line block ×4, first 2 shown]
	s_waitcnt vmcnt(2)
	v_add_f64 v[1:2], v[44:45], -v[1:2]
	s_waitcnt vmcnt(0)
	v_add_f64 v[3:4], v[54:55], -v[3:4]
	buffer_store_dword v2, off, s[0:3], 0 offset:276
	buffer_store_dword v1, off, s[0:3], 0 offset:272
	;; [unrolled: 1-line block ×4, first 2 shown]
	v_cmpx_lt_u32_e32 15, v0
	s_cbranch_execz .LBB42_241
; %bb.240:
	v_mov_b32_e32 v4, s30
	v_mov_b32_e32 v5, 0
	s_clause 0x3
	buffer_load_dword v1, v4, s[0:3], 0 offen
	buffer_load_dword v2, v4, s[0:3], 0 offen offset:4
	buffer_load_dword v3, v4, s[0:3], 0 offen offset:8
	buffer_load_dword v4, v4, s[0:3], 0 offen offset:12
	buffer_store_dword v5, off, s[0:3], 0 offset:256
	buffer_store_dword v5, off, s[0:3], 0 offset:260
	;; [unrolled: 1-line block ×4, first 2 shown]
	s_waitcnt vmcnt(0)
	ds_write_b128 v61, v[1:4]
.LBB42_241:
	s_or_b32 exec_lo, exec_lo, s4
	s_waitcnt lgkmcnt(0)
	s_waitcnt_vscnt null, 0x0
	s_barrier
	buffer_gl0_inv
	s_clause 0x37
	buffer_load_dword v10, off, s[0:3], 0 offset:280
	buffer_load_dword v11, off, s[0:3], 0 offset:284
	;; [unrolled: 1-line block ×56, first 2 shown]
	v_mov_b32_e32 v1, 0
	s_mov_b32 s4, exec_lo
	ds_read_b128 v[2:5], v1 offset:944
	s_clause 0x2
	buffer_load_dword v69, off, s[0:3], 0 offset:508
	buffer_load_dword v73, off, s[0:3], 0 offset:484
	buffer_load_dword v72, off, s[0:3], 0 offset:480
	ds_read_b128 v[6:9], v1 offset:960
	s_clause 0x4
	buffer_load_dword v79, off, s[0:3], 0 offset:524
	buffer_load_dword v80, off, s[0:3], 0 offset:536
	;; [unrolled: 1-line block ×5, first 2 shown]
	s_waitcnt vmcnt(62) lgkmcnt(1)
	v_mul_f64 v[74:75], v[4:5], v[10:11]
	v_mul_f64 v[76:77], v[2:3], v[10:11]
	s_waitcnt vmcnt(60) lgkmcnt(0)
	v_mul_f64 v[83:84], v[8:9], v[14:15]
	ds_read_b128 v[10:13], v1 offset:976
	v_mul_f64 v[14:15], v[6:7], v[14:15]
	s_waitcnt vmcnt(58)
	v_fma_f64 v[74:75], v[2:3], v[16:17], -v[74:75]
	v_fma_f64 v[16:17], v[4:5], v[16:17], v[76:77]
	s_clause 0x2
	buffer_load_dword v81, off, s[0:3], 0 offset:540
	buffer_load_dword v77, off, s[0:3], 0 offset:516
	;; [unrolled: 1-line block ×3, first 2 shown]
	s_waitcnt vmcnt(59) lgkmcnt(0)
	v_mul_f64 v[85:86], v[10:11], v[18:19]
	v_mul_f64 v[18:19], v[12:13], v[18:19]
	s_waitcnt vmcnt(57)
	v_fma_f64 v[87:88], v[6:7], v[20:21], -v[83:84]
	ds_read_b128 v[2:5], v1 offset:992
	v_fma_f64 v[14:15], v[8:9], v[20:21], v[14:15]
	s_clause 0x4
	buffer_load_dword v21, off, s[0:3], 0 offset:556
	buffer_load_dword v84, off, s[0:3], 0 offset:568
	buffer_load_dword v89, off, s[0:3], 0 offset:560
	buffer_load_dword v20, off, s[0:3], 0 offset:552
	buffer_load_dword v83, off, s[0:3], 0 offset:532
	ds_read_b128 v[6:9], v1 offset:1008
	v_add_f64 v[74:75], v[74:75], 0
	v_add_f64 v[16:17], v[16:17], 0
	s_waitcnt vmcnt(58) lgkmcnt(1)
	v_mul_f64 v[90:91], v[2:3], v[22:23]
	v_mul_f64 v[22:23], v[4:5], v[22:23]
	s_waitcnt vmcnt(56)
	v_fma_f64 v[18:19], v[10:11], v[28:29], -v[18:19]
	v_fma_f64 v[28:29], v[12:13], v[28:29], v[85:86]
	v_add_f64 v[74:75], v[74:75], v[87:88]
	v_add_f64 v[14:15], v[16:17], v[14:15]
	s_clause 0x2
	buffer_load_dword v85, off, s[0:3], 0 offset:572
	buffer_load_dword v17, off, s[0:3], 0 offset:548
	;; [unrolled: 1-line block ×3, first 2 shown]
	s_waitcnt vmcnt(58) lgkmcnt(0)
	v_mul_f64 v[86:87], v[6:7], v[24:25]
	v_mul_f64 v[24:25], v[8:9], v[24:25]
	s_waitcnt vmcnt(56)
	v_fma_f64 v[22:23], v[2:3], v[30:31], -v[22:23]
	ds_read_b128 v[10:13], v1 offset:1024
	v_fma_f64 v[30:31], v[4:5], v[30:31], v[90:91]
	v_add_f64 v[18:19], v[74:75], v[18:19]
	v_add_f64 v[14:15], v[14:15], v[28:29]
	s_clause 0x4
	buffer_load_dword v29, off, s[0:3], 0 offset:588
	buffer_load_dword v74, off, s[0:3], 0 offset:600
	;; [unrolled: 1-line block ×5, first 2 shown]
	ds_read_b128 v[2:5], v1 offset:1040
	s_waitcnt vmcnt(57) lgkmcnt(1)
	v_mul_f64 v[179:180], v[10:11], v[32:33]
	v_mul_f64 v[32:33], v[12:13], v[32:33]
	s_waitcnt vmcnt(56)
	v_fma_f64 v[24:25], v[6:7], v[26:27], -v[24:25]
	v_add_f64 v[18:19], v[18:19], v[22:23]
	v_fma_f64 v[22:23], v[8:9], v[26:27], v[86:87]
	v_add_f64 v[14:15], v[14:15], v[30:31]
	s_clause 0x2
	buffer_load_dword v75, off, s[0:3], 0 offset:604
	buffer_load_dword v27, off, s[0:3], 0 offset:580
	;; [unrolled: 1-line block ×3, first 2 shown]
	s_waitcnt vmcnt(58) lgkmcnt(0)
	v_mul_f64 v[30:31], v[2:3], v[34:35]
	v_mul_f64 v[34:35], v[4:5], v[34:35]
	s_waitcnt vmcnt(56)
	v_fma_f64 v[32:33], v[10:11], v[38:39], -v[32:33]
	ds_read_b128 v[6:9], v1 offset:1056
	v_add_f64 v[18:19], v[18:19], v[24:25]
	v_fma_f64 v[24:25], v[12:13], v[38:39], v[179:180]
	v_add_f64 v[14:15], v[14:15], v[22:23]
	s_clause 0x4
	buffer_load_dword v23, off, s[0:3], 0 offset:620
	buffer_load_dword v38, off, s[0:3], 0 offset:632
	;; [unrolled: 1-line block ×5, first 2 shown]
	ds_read_b128 v[10:13], v1 offset:1072
	s_waitcnt vmcnt(57) lgkmcnt(1)
	v_mul_f64 v[87:88], v[6:7], v[40:41]
	v_mul_f64 v[40:41], v[8:9], v[40:41]
	s_waitcnt vmcnt(56)
	v_fma_f64 v[34:35], v[2:3], v[36:37], -v[34:35]
	v_fma_f64 v[30:31], v[4:5], v[36:37], v[30:31]
	v_add_f64 v[18:19], v[18:19], v[32:33]
	v_add_f64 v[14:15], v[14:15], v[24:25]
	s_clause 0x2
	buffer_load_dword v39, off, s[0:3], 0 offset:636
	buffer_load_dword v25, off, s[0:3], 0 offset:612
	buffer_load_dword v24, off, s[0:3], 0 offset:608
	s_waitcnt vmcnt(58) lgkmcnt(0)
	v_mul_f64 v[36:37], v[12:13], v[42:43]
	ds_read_b128 v[2:5], v1 offset:1088
	s_waitcnt vmcnt(56)
	v_fma_f64 v[40:41], v[6:7], v[46:47], -v[40:41]
	v_mul_f64 v[32:33], v[10:11], v[42:43]
	v_add_f64 v[18:19], v[18:19], v[34:35]
	v_fma_f64 v[34:35], v[8:9], v[46:47], v[87:88]
	v_add_f64 v[14:15], v[14:15], v[30:31]
	s_clause 0x4
	buffer_load_dword v31, off, s[0:3], 0 offset:652
	buffer_load_dword v42, off, s[0:3], 0 offset:664
	;; [unrolled: 1-line block ×5, first 2 shown]
	s_waitcnt vmcnt(57) lgkmcnt(0)
	v_mul_f64 v[179:180], v[2:3], v[48:49]
	v_mul_f64 v[47:48], v[4:5], v[48:49]
	s_waitcnt vmcnt(56)
	v_fma_f64 v[36:37], v[10:11], v[44:45], -v[36:37]
	ds_read_b128 v[6:9], v1 offset:1104
	v_fma_f64 v[32:33], v[12:13], v[44:45], v[32:33]
	v_add_f64 v[18:19], v[18:19], v[40:41]
	v_add_f64 v[14:15], v[14:15], v[34:35]
	s_clause 0x2
	buffer_load_dword v43, off, s[0:3], 0 offset:668
	buffer_load_dword v35, off, s[0:3], 0 offset:644
	;; [unrolled: 1-line block ×3, first 2 shown]
	ds_read_b128 v[10:13], v1 offset:1120
	s_waitcnt vmcnt(58) lgkmcnt(1)
	v_mul_f64 v[44:45], v[8:9], v[50:51]
	s_waitcnt vmcnt(56)
	v_fma_f64 v[48:49], v[2:3], v[54:55], -v[47:48]
	v_mul_f64 v[40:41], v[6:7], v[50:51]
	v_add_f64 v[18:19], v[18:19], v[36:37]
	v_fma_f64 v[36:37], v[4:5], v[54:55], v[179:180]
	v_add_f64 v[14:15], v[14:15], v[32:33]
	s_clause 0x4
	buffer_load_dword v33, off, s[0:3], 0 offset:684
	buffer_load_dword v50, off, s[0:3], 0 offset:696
	;; [unrolled: 1-line block ×5, first 2 shown]
	s_waitcnt vmcnt(57) lgkmcnt(0)
	v_mul_f64 v[179:180], v[10:11], v[56:57]
	v_mul_f64 v[55:56], v[12:13], v[56:57]
	s_waitcnt vmcnt(56)
	v_fma_f64 v[44:45], v[6:7], v[52:53], -v[44:45]
	ds_read_b128 v[2:5], v1 offset:1136
	v_fma_f64 v[40:41], v[8:9], v[52:53], v[40:41]
	v_add_f64 v[18:19], v[18:19], v[48:49]
	v_add_f64 v[14:15], v[14:15], v[36:37]
	s_clause 0x2
	buffer_load_dword v51, off, s[0:3], 0 offset:700
	buffer_load_dword v37, off, s[0:3], 0 offset:676
	;; [unrolled: 1-line block ×3, first 2 shown]
	ds_read_b128 v[6:9], v1 offset:1152
	s_waitcnt vmcnt(58) lgkmcnt(1)
	v_mul_f64 v[52:53], v[4:5], v[58:59]
	s_waitcnt vmcnt(56)
	v_fma_f64 v[56:57], v[10:11], v[64:65], -v[55:56]
	v_mul_f64 v[48:49], v[2:3], v[58:59]
	buffer_load_dword v55, off, s[0:3], 0 offset:692
	v_add_f64 v[18:19], v[18:19], v[44:45]
	v_fma_f64 v[44:45], v[12:13], v[64:65], v[179:180]
	v_add_f64 v[14:15], v[14:15], v[40:41]
	ds_read_b128 v[10:13], v1 offset:1168
	s_waitcnt vmcnt(53) lgkmcnt(1)
	v_mul_f64 v[58:59], v[8:9], v[66:67]
	s_waitcnt vmcnt(52)
	v_fma_f64 v[52:53], v[2:3], v[62:63], -v[52:53]
	v_mul_f64 v[40:41], v[6:7], v[66:67]
	v_fma_f64 v[48:49], v[4:5], v[62:63], v[48:49]
	ds_read_b128 v[2:5], v1 offset:1184
	v_add_f64 v[18:19], v[18:19], v[56:57]
	s_waitcnt vmcnt(51) lgkmcnt(1)
	v_mul_f64 v[56:57], v[12:13], v[68:69]
	v_add_f64 v[14:15], v[14:15], v[44:45]
	v_mul_f64 v[44:45], v[10:11], v[68:69]
	s_waitcnt vmcnt(49)
	v_fma_f64 v[58:59], v[6:7], v[72:73], -v[58:59]
	v_fma_f64 v[40:41], v[8:9], v[72:73], v[40:41]
	s_waitcnt vmcnt(45) lgkmcnt(0)
	v_mul_f64 v[64:65], v[4:5], v[78:79]
	v_mul_f64 v[62:63], v[2:3], v[78:79]
	v_add_f64 v[18:19], v[18:19], v[52:53]
	s_waitcnt vmcnt(44)
	v_fma_f64 v[56:57], v[10:11], v[70:71], -v[56:57]
	v_add_f64 v[14:15], v[14:15], v[48:49]
	s_clause 0x3
	buffer_load_dword v48, off, s[0:3], 0 offset:256
	buffer_load_dword v49, off, s[0:3], 0 offset:260
	;; [unrolled: 1-line block ×4, first 2 shown]
	ds_read_b128 v[6:9], v1 offset:1200
	v_fma_f64 v[44:45], v[12:13], v[70:71], v[44:45]
	ds_read_b128 v[10:13], v1 offset:1216
	v_add_f64 v[18:19], v[18:19], v[58:59]
	v_add_f64 v[14:15], v[14:15], v[40:41]
	s_waitcnt vmcnt(47) lgkmcnt(1)
	v_mul_f64 v[58:59], v[8:9], v[80:81]
	v_mul_f64 v[40:41], v[6:7], v[80:81]
	s_waitcnt vmcnt(45)
	v_fma_f64 v[64:65], v[2:3], v[76:77], -v[64:65]
	v_add_f64 v[18:19], v[18:19], v[56:57]
	v_fma_f64 v[56:57], v[4:5], v[76:77], v[62:63]
	v_add_f64 v[14:15], v[14:15], v[44:45]
	s_waitcnt vmcnt(41) lgkmcnt(0)
	v_mul_f64 v[44:45], v[10:11], v[20:21]
	v_mul_f64 v[20:21], v[12:13], v[20:21]
	ds_read_b128 v[2:5], v1 offset:1232
	s_waitcnt vmcnt(40)
	v_fma_f64 v[58:59], v[6:7], v[82:83], -v[58:59]
	v_fma_f64 v[40:41], v[8:9], v[82:83], v[40:41]
	ds_read_b128 v[6:9], v1 offset:1248
	v_add_f64 v[18:19], v[18:19], v[64:65]
	v_add_f64 v[14:15], v[14:15], v[56:57]
	s_waitcnt vmcnt(39) lgkmcnt(1)
	v_mul_f64 v[62:63], v[4:5], v[84:85]
	v_mul_f64 v[56:57], v[2:3], v[84:85]
	s_waitcnt vmcnt(37)
	v_fma_f64 v[20:21], v[10:11], v[16:17], -v[20:21]
	v_fma_f64 v[16:17], v[12:13], v[16:17], v[44:45]
	ds_read_b128 v[10:13], v1 offset:1264
	v_add_f64 v[18:19], v[18:19], v[58:59]
	v_add_f64 v[14:15], v[14:15], v[40:41]
	s_waitcnt vmcnt(33) lgkmcnt(1)
	v_mul_f64 v[40:41], v[6:7], v[28:29]
	v_mul_f64 v[28:29], v[8:9], v[28:29]
	s_waitcnt vmcnt(32)
	v_fma_f64 v[44:45], v[2:3], v[89:90], -v[62:63]
	v_add_f64 v[18:19], v[18:19], v[20:21]
	v_fma_f64 v[20:21], v[4:5], v[89:90], v[56:57]
	v_add_f64 v[14:15], v[14:15], v[16:17]
	ds_read_b128 v[2:5], v1 offset:1280
	s_waitcnt vmcnt(31) lgkmcnt(1)
	v_mul_f64 v[56:57], v[12:13], v[74:75]
	v_mul_f64 v[16:17], v[10:11], v[74:75]
	s_waitcnt vmcnt(29)
	v_fma_f64 v[28:29], v[6:7], v[26:27], -v[28:29]
	v_fma_f64 v[26:27], v[8:9], v[26:27], v[40:41]
	ds_read_b128 v[6:9], v1 offset:1296
	v_add_f64 v[18:19], v[18:19], v[44:45]
	v_add_f64 v[14:15], v[14:15], v[20:21]
	s_waitcnt vmcnt(25) lgkmcnt(1)
	v_mul_f64 v[20:21], v[2:3], v[22:23]
	v_mul_f64 v[22:23], v[4:5], v[22:23]
	s_waitcnt vmcnt(24)
	v_fma_f64 v[40:41], v[10:11], v[91:92], -v[56:57]
	v_fma_f64 v[16:17], v[12:13], v[91:92], v[16:17]
	ds_read_b128 v[10:13], v1 offset:1312
	v_add_f64 v[18:19], v[18:19], v[28:29]
	v_add_f64 v[14:15], v[14:15], v[26:27]
	;; [unrolled: 9-line block ×3, first 2 shown]
	s_waitcnt vmcnt(17) lgkmcnt(1)
	v_mul_f64 v[24:25], v[12:13], v[30:31]
	s_waitcnt vmcnt(16)
	v_fma_f64 v[28:29], v[6:7], v[86:87], -v[28:29]
	v_mul_f64 v[16:17], v[10:11], v[30:31]
	v_add_f64 v[18:19], v[18:19], v[22:23]
	v_fma_f64 v[22:23], v[8:9], v[86:87], v[26:27]
	v_add_f64 v[14:15], v[14:15], v[20:21]
	ds_read_b128 v[6:9], v1 offset:1344
	s_waitcnt vmcnt(15) lgkmcnt(1)
	v_mul_f64 v[26:27], v[4:5], v[42:43]
	v_mul_f64 v[20:21], v[2:3], v[42:43]
	s_waitcnt vmcnt(13)
	v_fma_f64 v[24:25], v[10:11], v[34:35], -v[24:25]
	v_fma_f64 v[16:17], v[12:13], v[34:35], v[16:17]
	ds_read_b128 v[10:13], v1 offset:1360
	v_add_f64 v[18:19], v[18:19], v[28:29]
	v_add_f64 v[14:15], v[14:15], v[22:23]
	s_waitcnt vmcnt(9) lgkmcnt(1)
	v_mul_f64 v[28:29], v[8:9], v[32:33]
	s_waitcnt vmcnt(8)
	v_fma_f64 v[2:3], v[2:3], v[46:47], -v[26:27]
	v_mul_f64 v[22:23], v[6:7], v[32:33]
	v_fma_f64 v[4:5], v[4:5], v[46:47], v[20:21]
	v_add_f64 v[18:19], v[18:19], v[24:25]
	v_add_f64 v[14:15], v[14:15], v[16:17]
	s_waitcnt vmcnt(7) lgkmcnt(0)
	v_mul_f64 v[20:21], v[12:13], v[50:51]
	v_mul_f64 v[16:17], v[10:11], v[50:51]
	s_waitcnt vmcnt(5)
	v_fma_f64 v[6:7], v[6:7], v[36:37], -v[28:29]
	v_fma_f64 v[8:9], v[8:9], v[36:37], v[22:23]
	v_add_f64 v[2:3], v[18:19], v[2:3]
	v_add_f64 v[4:5], v[14:15], v[4:5]
	s_waitcnt vmcnt(4)
	v_fma_f64 v[10:11], v[10:11], v[54:55], -v[20:21]
	v_add_f64 v[2:3], v[2:3], v[6:7]
	v_fma_f64 v[6:7], v[12:13], v[54:55], v[16:17]
	v_add_f64 v[4:5], v[4:5], v[8:9]
	v_add_f64 v[2:3], v[2:3], v[10:11]
	;; [unrolled: 1-line block ×3, first 2 shown]
	s_waitcnt vmcnt(2)
	v_add_f64 v[2:3], v[48:49], -v[2:3]
	s_waitcnt vmcnt(0)
	v_add_f64 v[4:5], v[52:53], -v[4:5]
	buffer_store_dword v3, off, s[0:3], 0 offset:260
	buffer_store_dword v2, off, s[0:3], 0 offset:256
	;; [unrolled: 1-line block ×4, first 2 shown]
	v_cmpx_lt_u32_e32 14, v0
	s_cbranch_execz .LBB42_243
; %bb.242:
	v_mov_b32_e32 v5, s34
	s_clause 0x3
	buffer_load_dword v2, v5, s[0:3], 0 offen
	buffer_load_dword v3, v5, s[0:3], 0 offen offset:4
	buffer_load_dword v4, v5, s[0:3], 0 offen offset:8
	;; [unrolled: 1-line block ×3, first 2 shown]
	buffer_store_dword v1, off, s[0:3], 0 offset:240
	buffer_store_dword v1, off, s[0:3], 0 offset:244
	;; [unrolled: 1-line block ×4, first 2 shown]
	s_waitcnt vmcnt(0)
	ds_write_b128 v61, v[2:5]
.LBB42_243:
	s_or_b32 exec_lo, exec_lo, s4
	s_waitcnt lgkmcnt(0)
	s_waitcnt_vscnt null, 0x0
	s_barrier
	buffer_gl0_inv
	s_clause 0x37
	buffer_load_dword v10, off, s[0:3], 0 offset:264
	buffer_load_dword v11, off, s[0:3], 0 offset:268
	;; [unrolled: 1-line block ×56, first 2 shown]
	ds_read_b128 v[2:5], v1 offset:928
	s_clause 0x2
	buffer_load_dword v69, off, s[0:3], 0 offset:492
	buffer_load_dword v73, off, s[0:3], 0 offset:468
	;; [unrolled: 1-line block ×3, first 2 shown]
	ds_read_b128 v[6:9], v1 offset:944
	s_clause 0x4
	buffer_load_dword v79, off, s[0:3], 0 offset:508
	buffer_load_dword v80, off, s[0:3], 0 offset:520
	;; [unrolled: 1-line block ×5, first 2 shown]
	s_mov_b32 s4, exec_lo
	s_waitcnt vmcnt(62) lgkmcnt(1)
	v_mul_f64 v[74:75], v[4:5], v[10:11]
	v_mul_f64 v[76:77], v[2:3], v[10:11]
	s_waitcnt vmcnt(60) lgkmcnt(0)
	v_mul_f64 v[83:84], v[8:9], v[14:15]
	ds_read_b128 v[10:13], v1 offset:960
	v_mul_f64 v[14:15], v[6:7], v[14:15]
	s_waitcnt vmcnt(58)
	v_fma_f64 v[74:75], v[2:3], v[16:17], -v[74:75]
	v_fma_f64 v[16:17], v[4:5], v[16:17], v[76:77]
	s_clause 0x2
	buffer_load_dword v81, off, s[0:3], 0 offset:524
	buffer_load_dword v77, off, s[0:3], 0 offset:500
	;; [unrolled: 1-line block ×3, first 2 shown]
	s_waitcnt vmcnt(59) lgkmcnt(0)
	v_mul_f64 v[85:86], v[10:11], v[18:19]
	v_mul_f64 v[18:19], v[12:13], v[18:19]
	s_waitcnt vmcnt(57)
	v_fma_f64 v[87:88], v[6:7], v[20:21], -v[83:84]
	ds_read_b128 v[2:5], v1 offset:976
	v_fma_f64 v[14:15], v[8:9], v[20:21], v[14:15]
	s_clause 0x4
	buffer_load_dword v21, off, s[0:3], 0 offset:540
	buffer_load_dword v84, off, s[0:3], 0 offset:552
	;; [unrolled: 1-line block ×5, first 2 shown]
	ds_read_b128 v[6:9], v1 offset:992
	v_add_f64 v[74:75], v[74:75], 0
	v_add_f64 v[16:17], v[16:17], 0
	s_waitcnt vmcnt(58) lgkmcnt(1)
	v_mul_f64 v[90:91], v[2:3], v[22:23]
	v_mul_f64 v[22:23], v[4:5], v[22:23]
	s_waitcnt vmcnt(56)
	v_fma_f64 v[18:19], v[10:11], v[28:29], -v[18:19]
	v_fma_f64 v[28:29], v[12:13], v[28:29], v[85:86]
	v_add_f64 v[74:75], v[74:75], v[87:88]
	v_add_f64 v[14:15], v[16:17], v[14:15]
	s_clause 0x2
	buffer_load_dword v85, off, s[0:3], 0 offset:556
	buffer_load_dword v17, off, s[0:3], 0 offset:532
	;; [unrolled: 1-line block ×3, first 2 shown]
	s_waitcnt vmcnt(58) lgkmcnt(0)
	v_mul_f64 v[86:87], v[6:7], v[24:25]
	v_mul_f64 v[24:25], v[8:9], v[24:25]
	s_waitcnt vmcnt(56)
	v_fma_f64 v[22:23], v[2:3], v[30:31], -v[22:23]
	ds_read_b128 v[10:13], v1 offset:1008
	v_fma_f64 v[30:31], v[4:5], v[30:31], v[90:91]
	v_add_f64 v[18:19], v[74:75], v[18:19]
	v_add_f64 v[14:15], v[14:15], v[28:29]
	s_clause 0x4
	buffer_load_dword v29, off, s[0:3], 0 offset:572
	buffer_load_dword v74, off, s[0:3], 0 offset:584
	;; [unrolled: 1-line block ×5, first 2 shown]
	ds_read_b128 v[2:5], v1 offset:1024
	s_waitcnt vmcnt(57) lgkmcnt(1)
	v_mul_f64 v[179:180], v[10:11], v[32:33]
	v_mul_f64 v[32:33], v[12:13], v[32:33]
	s_waitcnt vmcnt(56)
	v_fma_f64 v[24:25], v[6:7], v[26:27], -v[24:25]
	v_add_f64 v[18:19], v[18:19], v[22:23]
	v_fma_f64 v[22:23], v[8:9], v[26:27], v[86:87]
	v_add_f64 v[14:15], v[14:15], v[30:31]
	s_clause 0x2
	buffer_load_dword v75, off, s[0:3], 0 offset:588
	buffer_load_dword v27, off, s[0:3], 0 offset:564
	;; [unrolled: 1-line block ×3, first 2 shown]
	s_waitcnt vmcnt(58) lgkmcnt(0)
	v_mul_f64 v[30:31], v[2:3], v[34:35]
	v_mul_f64 v[34:35], v[4:5], v[34:35]
	s_waitcnt vmcnt(56)
	v_fma_f64 v[32:33], v[10:11], v[38:39], -v[32:33]
	ds_read_b128 v[6:9], v1 offset:1040
	v_add_f64 v[18:19], v[18:19], v[24:25]
	v_fma_f64 v[24:25], v[12:13], v[38:39], v[179:180]
	v_add_f64 v[14:15], v[14:15], v[22:23]
	s_clause 0x4
	buffer_load_dword v23, off, s[0:3], 0 offset:604
	buffer_load_dword v38, off, s[0:3], 0 offset:616
	;; [unrolled: 1-line block ×5, first 2 shown]
	ds_read_b128 v[10:13], v1 offset:1056
	s_waitcnt vmcnt(57) lgkmcnt(1)
	v_mul_f64 v[87:88], v[6:7], v[40:41]
	v_mul_f64 v[40:41], v[8:9], v[40:41]
	s_waitcnt vmcnt(56)
	v_fma_f64 v[34:35], v[2:3], v[36:37], -v[34:35]
	v_fma_f64 v[30:31], v[4:5], v[36:37], v[30:31]
	v_add_f64 v[18:19], v[18:19], v[32:33]
	v_add_f64 v[14:15], v[14:15], v[24:25]
	s_clause 0x2
	buffer_load_dword v39, off, s[0:3], 0 offset:620
	buffer_load_dword v25, off, s[0:3], 0 offset:596
	;; [unrolled: 1-line block ×3, first 2 shown]
	s_waitcnt vmcnt(58) lgkmcnt(0)
	v_mul_f64 v[36:37], v[12:13], v[42:43]
	ds_read_b128 v[2:5], v1 offset:1072
	s_waitcnt vmcnt(56)
	v_fma_f64 v[40:41], v[6:7], v[46:47], -v[40:41]
	v_mul_f64 v[32:33], v[10:11], v[42:43]
	v_add_f64 v[18:19], v[18:19], v[34:35]
	v_fma_f64 v[34:35], v[8:9], v[46:47], v[87:88]
	v_add_f64 v[14:15], v[14:15], v[30:31]
	s_clause 0x4
	buffer_load_dword v31, off, s[0:3], 0 offset:636
	buffer_load_dword v42, off, s[0:3], 0 offset:648
	;; [unrolled: 1-line block ×5, first 2 shown]
	s_waitcnt vmcnt(57) lgkmcnt(0)
	v_mul_f64 v[179:180], v[2:3], v[48:49]
	v_mul_f64 v[47:48], v[4:5], v[48:49]
	s_waitcnt vmcnt(56)
	v_fma_f64 v[36:37], v[10:11], v[44:45], -v[36:37]
	ds_read_b128 v[6:9], v1 offset:1088
	v_fma_f64 v[32:33], v[12:13], v[44:45], v[32:33]
	v_add_f64 v[18:19], v[18:19], v[40:41]
	v_add_f64 v[14:15], v[14:15], v[34:35]
	s_clause 0x2
	buffer_load_dword v43, off, s[0:3], 0 offset:652
	buffer_load_dword v35, off, s[0:3], 0 offset:628
	;; [unrolled: 1-line block ×3, first 2 shown]
	ds_read_b128 v[10:13], v1 offset:1104
	s_waitcnt vmcnt(58) lgkmcnt(1)
	v_mul_f64 v[44:45], v[8:9], v[50:51]
	s_waitcnt vmcnt(56)
	v_fma_f64 v[48:49], v[2:3], v[54:55], -v[47:48]
	v_mul_f64 v[40:41], v[6:7], v[50:51]
	v_add_f64 v[18:19], v[18:19], v[36:37]
	v_fma_f64 v[36:37], v[4:5], v[54:55], v[179:180]
	v_add_f64 v[14:15], v[14:15], v[32:33]
	s_clause 0x4
	buffer_load_dword v33, off, s[0:3], 0 offset:668
	buffer_load_dword v50, off, s[0:3], 0 offset:680
	;; [unrolled: 1-line block ×5, first 2 shown]
	s_waitcnt vmcnt(57) lgkmcnt(0)
	v_mul_f64 v[179:180], v[10:11], v[56:57]
	v_mul_f64 v[55:56], v[12:13], v[56:57]
	s_waitcnt vmcnt(56)
	v_fma_f64 v[44:45], v[6:7], v[52:53], -v[44:45]
	ds_read_b128 v[2:5], v1 offset:1120
	v_fma_f64 v[40:41], v[8:9], v[52:53], v[40:41]
	v_add_f64 v[18:19], v[18:19], v[48:49]
	v_add_f64 v[14:15], v[14:15], v[36:37]
	s_clause 0x2
	buffer_load_dword v51, off, s[0:3], 0 offset:684
	buffer_load_dword v37, off, s[0:3], 0 offset:660
	;; [unrolled: 1-line block ×3, first 2 shown]
	ds_read_b128 v[6:9], v1 offset:1136
	s_waitcnt vmcnt(58) lgkmcnt(1)
	v_mul_f64 v[52:53], v[4:5], v[58:59]
	s_waitcnt vmcnt(56)
	v_fma_f64 v[56:57], v[10:11], v[64:65], -v[55:56]
	v_mul_f64 v[48:49], v[2:3], v[58:59]
	v_add_f64 v[18:19], v[18:19], v[44:45]
	v_fma_f64 v[44:45], v[12:13], v[64:65], v[179:180]
	v_add_f64 v[14:15], v[14:15], v[40:41]
	s_clause 0x2
	buffer_load_dword v41, off, s[0:3], 0 offset:700
	buffer_load_dword v40, off, s[0:3], 0 offset:696
	;; [unrolled: 1-line block ×3, first 2 shown]
	s_waitcnt vmcnt(55) lgkmcnt(0)
	v_mul_f64 v[64:65], v[8:9], v[66:67]
	s_waitcnt vmcnt(54)
	v_fma_f64 v[52:53], v[2:3], v[62:63], -v[52:53]
	ds_read_b128 v[10:13], v1 offset:1152
	v_mul_f64 v[58:59], v[6:7], v[66:67]
	v_fma_f64 v[48:49], v[4:5], v[62:63], v[48:49]
	v_add_f64 v[18:19], v[18:19], v[56:57]
	v_add_f64 v[14:15], v[14:15], v[44:45]
	s_clause 0x1
	buffer_load_dword v45, off, s[0:3], 0 offset:692
	buffer_load_dword v44, off, s[0:3], 0 offset:688
	s_waitcnt vmcnt(55) lgkmcnt(0)
	v_mul_f64 v[62:63], v[12:13], v[68:69]
	s_waitcnt vmcnt(53)
	v_fma_f64 v[64:65], v[6:7], v[72:73], -v[64:65]
	ds_read_b128 v[2:5], v1 offset:1168
	v_mul_f64 v[56:57], v[10:11], v[68:69]
	v_add_f64 v[18:19], v[18:19], v[52:53]
	v_fma_f64 v[52:53], v[8:9], v[72:73], v[58:59]
	v_add_f64 v[14:15], v[14:15], v[48:49]
	ds_read_b128 v[6:9], v1 offset:1184
	s_waitcnt vmcnt(49) lgkmcnt(1)
	v_mul_f64 v[58:59], v[4:5], v[78:79]
	s_waitcnt vmcnt(48)
	v_fma_f64 v[62:63], v[10:11], v[70:71], -v[62:63]
	v_mul_f64 v[48:49], v[2:3], v[78:79]
	v_fma_f64 v[56:57], v[12:13], v[70:71], v[56:57]
	v_add_f64 v[18:19], v[18:19], v[64:65]
	v_add_f64 v[14:15], v[14:15], v[52:53]
	s_clause 0x3
	buffer_load_dword v52, off, s[0:3], 0 offset:240
	buffer_load_dword v53, off, s[0:3], 0 offset:244
	;; [unrolled: 1-line block ×4, first 2 shown]
	ds_read_b128 v[10:13], v1 offset:1200
	s_waitcnt vmcnt(51) lgkmcnt(1)
	v_mul_f64 v[68:69], v[8:9], v[80:81]
	v_mul_f64 v[66:67], v[6:7], v[80:81]
	s_waitcnt vmcnt(49)
	v_fma_f64 v[58:59], v[2:3], v[76:77], -v[58:59]
	v_fma_f64 v[48:49], v[4:5], v[76:77], v[48:49]
	ds_read_b128 v[2:5], v1 offset:1216
	v_add_f64 v[18:19], v[18:19], v[62:63]
	v_add_f64 v[14:15], v[14:15], v[56:57]
	s_waitcnt vmcnt(45) lgkmcnt(1)
	v_mul_f64 v[56:57], v[10:11], v[20:21]
	v_mul_f64 v[20:21], v[12:13], v[20:21]
	s_waitcnt vmcnt(44)
	v_fma_f64 v[62:63], v[6:7], v[82:83], -v[68:69]
	v_add_f64 v[18:19], v[18:19], v[58:59]
	v_fma_f64 v[58:59], v[8:9], v[82:83], v[66:67]
	v_add_f64 v[14:15], v[14:15], v[48:49]
	ds_read_b128 v[6:9], v1 offset:1232
	s_waitcnt vmcnt(43) lgkmcnt(1)
	v_mul_f64 v[66:67], v[4:5], v[84:85]
	v_mul_f64 v[48:49], v[2:3], v[84:85]
	s_waitcnt vmcnt(41)
	v_fma_f64 v[20:21], v[10:11], v[16:17], -v[20:21]
	v_fma_f64 v[16:17], v[12:13], v[16:17], v[56:57]
	ds_read_b128 v[10:13], v1 offset:1248
	v_add_f64 v[18:19], v[18:19], v[62:63]
	v_add_f64 v[14:15], v[14:15], v[58:59]
	s_waitcnt vmcnt(37) lgkmcnt(1)
	v_mul_f64 v[56:57], v[6:7], v[28:29]
	v_mul_f64 v[28:29], v[8:9], v[28:29]
	s_waitcnt vmcnt(36)
	v_fma_f64 v[58:59], v[2:3], v[89:90], -v[66:67]
	v_add_f64 v[18:19], v[18:19], v[20:21]
	v_fma_f64 v[20:21], v[4:5], v[89:90], v[48:49]
	v_add_f64 v[14:15], v[14:15], v[16:17]
	ds_read_b128 v[2:5], v1 offset:1264
	s_waitcnt vmcnt(35) lgkmcnt(1)
	v_mul_f64 v[48:49], v[12:13], v[74:75]
	v_mul_f64 v[16:17], v[10:11], v[74:75]
	s_waitcnt vmcnt(33)
	v_fma_f64 v[28:29], v[6:7], v[26:27], -v[28:29]
	v_fma_f64 v[26:27], v[8:9], v[26:27], v[56:57]
	ds_read_b128 v[6:9], v1 offset:1280
	v_add_f64 v[18:19], v[18:19], v[58:59]
	v_add_f64 v[14:15], v[14:15], v[20:21]
	s_waitcnt vmcnt(29) lgkmcnt(1)
	v_mul_f64 v[20:21], v[2:3], v[22:23]
	v_mul_f64 v[22:23], v[4:5], v[22:23]
	s_waitcnt vmcnt(28)
	v_fma_f64 v[48:49], v[10:11], v[91:92], -v[48:49]
	v_fma_f64 v[16:17], v[12:13], v[91:92], v[16:17]
	ds_read_b128 v[10:13], v1 offset:1296
	v_add_f64 v[18:19], v[18:19], v[28:29]
	v_add_f64 v[14:15], v[14:15], v[26:27]
	;; [unrolled: 9-line block ×3, first 2 shown]
	s_waitcnt vmcnt(21) lgkmcnt(1)
	v_mul_f64 v[24:25], v[12:13], v[30:31]
	s_waitcnt vmcnt(20)
	v_fma_f64 v[28:29], v[6:7], v[86:87], -v[28:29]
	v_mul_f64 v[16:17], v[10:11], v[30:31]
	v_add_f64 v[18:19], v[18:19], v[22:23]
	v_fma_f64 v[22:23], v[8:9], v[86:87], v[26:27]
	v_add_f64 v[14:15], v[14:15], v[20:21]
	ds_read_b128 v[6:9], v1 offset:1328
	s_waitcnt vmcnt(19) lgkmcnt(1)
	v_mul_f64 v[26:27], v[4:5], v[42:43]
	v_mul_f64 v[20:21], v[2:3], v[42:43]
	s_waitcnt vmcnt(17)
	v_fma_f64 v[24:25], v[10:11], v[34:35], -v[24:25]
	v_fma_f64 v[16:17], v[12:13], v[34:35], v[16:17]
	ds_read_b128 v[10:13], v1 offset:1344
	v_add_f64 v[18:19], v[18:19], v[28:29]
	v_add_f64 v[14:15], v[14:15], v[22:23]
	s_waitcnt vmcnt(13) lgkmcnt(1)
	v_mul_f64 v[28:29], v[8:9], v[32:33]
	s_waitcnt vmcnt(12)
	v_fma_f64 v[26:27], v[2:3], v[46:47], -v[26:27]
	v_mul_f64 v[22:23], v[6:7], v[32:33]
	v_fma_f64 v[20:21], v[4:5], v[46:47], v[20:21]
	ds_read_b128 v[1:4], v1 offset:1360
	v_add_f64 v[18:19], v[18:19], v[24:25]
	v_add_f64 v[14:15], v[14:15], v[16:17]
	s_waitcnt vmcnt(11) lgkmcnt(1)
	v_mul_f64 v[24:25], v[12:13], v[50:51]
	v_mul_f64 v[16:17], v[10:11], v[50:51]
	s_waitcnt vmcnt(9)
	v_fma_f64 v[5:6], v[6:7], v[36:37], -v[28:29]
	v_fma_f64 v[7:8], v[8:9], v[36:37], v[22:23]
	v_add_f64 v[18:19], v[18:19], v[26:27]
	v_add_f64 v[14:15], v[14:15], v[20:21]
	s_waitcnt vmcnt(7) lgkmcnt(0)
	v_mul_f64 v[22:23], v[3:4], v[40:41]
	s_waitcnt vmcnt(6)
	v_fma_f64 v[9:10], v[10:11], v[54:55], -v[24:25]
	v_mul_f64 v[20:21], v[1:2], v[40:41]
	v_fma_f64 v[11:12], v[12:13], v[54:55], v[16:17]
	v_add_f64 v[5:6], v[18:19], v[5:6]
	v_add_f64 v[7:8], v[14:15], v[7:8]
	s_waitcnt vmcnt(4)
	v_fma_f64 v[1:2], v[1:2], v[44:45], -v[22:23]
	v_fma_f64 v[3:4], v[3:4], v[44:45], v[20:21]
	v_add_f64 v[5:6], v[5:6], v[9:10]
	v_add_f64 v[7:8], v[7:8], v[11:12]
	;; [unrolled: 1-line block ×4, first 2 shown]
	s_waitcnt vmcnt(2)
	v_add_f64 v[1:2], v[52:53], -v[1:2]
	s_waitcnt vmcnt(0)
	v_add_f64 v[3:4], v[64:65], -v[3:4]
	buffer_store_dword v2, off, s[0:3], 0 offset:244
	buffer_store_dword v1, off, s[0:3], 0 offset:240
	;; [unrolled: 1-line block ×4, first 2 shown]
	v_cmpx_lt_u32_e32 13, v0
	s_cbranch_execz .LBB42_245
; %bb.244:
	v_mov_b32_e32 v4, s36
	v_mov_b32_e32 v5, 0
	s_clause 0x3
	buffer_load_dword v1, v4, s[0:3], 0 offen
	buffer_load_dword v2, v4, s[0:3], 0 offen offset:4
	buffer_load_dword v3, v4, s[0:3], 0 offen offset:8
	;; [unrolled: 1-line block ×3, first 2 shown]
	buffer_store_dword v5, off, s[0:3], 0 offset:224
	buffer_store_dword v5, off, s[0:3], 0 offset:228
	;; [unrolled: 1-line block ×4, first 2 shown]
	s_waitcnt vmcnt(0)
	ds_write_b128 v61, v[1:4]
.LBB42_245:
	s_or_b32 exec_lo, exec_lo, s4
	s_waitcnt lgkmcnt(0)
	s_waitcnt_vscnt null, 0x0
	s_barrier
	buffer_gl0_inv
	s_clause 0x37
	buffer_load_dword v9, off, s[0:3], 0 offset:248
	buffer_load_dword v10, off, s[0:3], 0 offset:252
	buffer_load_dword v20, off, s[0:3], 0 offset:264
	buffer_load_dword v21, off, s[0:3], 0 offset:268
	buffer_load_dword v22, off, s[0:3], 0 offset:240
	buffer_load_dword v23, off, s[0:3], 0 offset:244
	buffer_load_dword v3, off, s[0:3], 0 offset:280
	buffer_load_dword v4, off, s[0:3], 0 offset:284
	buffer_load_dword v1, off, s[0:3], 0 offset:256
	buffer_load_dword v2, off, s[0:3], 0 offset:260
	buffer_load_dword v25, off, s[0:3], 0 offset:300
	buffer_load_dword v26, off, s[0:3], 0 offset:312
	buffer_load_dword v28, off, s[0:3], 0 offset:304
	buffer_load_dword v24, off, s[0:3], 0 offset:296
	buffer_load_dword v30, off, s[0:3], 0 offset:272
	buffer_load_dword v31, off, s[0:3], 0 offset:276
	buffer_load_dword v27, off, s[0:3], 0 offset:316
	buffer_load_dword v33, off, s[0:3], 0 offset:292
	buffer_load_dword v32, off, s[0:3], 0 offset:288
	buffer_load_dword v35, off, s[0:3], 0 offset:332
	buffer_load_dword v36, off, s[0:3], 0 offset:344
	buffer_load_dword v38, off, s[0:3], 0 offset:336
	buffer_load_dword v34, off, s[0:3], 0 offset:328
	buffer_load_dword v29, off, s[0:3], 0 offset:308
	buffer_load_dword v37, off, s[0:3], 0 offset:348
	buffer_load_dword v41, off, s[0:3], 0 offset:324
	buffer_load_dword v40, off, s[0:3], 0 offset:320
	buffer_load_dword v43, off, s[0:3], 0 offset:364
	buffer_load_dword v44, off, s[0:3], 0 offset:376
	buffer_load_dword v46, off, s[0:3], 0 offset:368
	buffer_load_dword v42, off, s[0:3], 0 offset:360
	buffer_load_dword v39, off, s[0:3], 0 offset:340
	buffer_load_dword v45, off, s[0:3], 0 offset:380
	buffer_load_dword v49, off, s[0:3], 0 offset:356
	buffer_load_dword v48, off, s[0:3], 0 offset:352
	buffer_load_dword v51, off, s[0:3], 0 offset:396
	buffer_load_dword v52, off, s[0:3], 0 offset:408
	buffer_load_dword v54, off, s[0:3], 0 offset:400
	buffer_load_dword v50, off, s[0:3], 0 offset:392
	buffer_load_dword v47, off, s[0:3], 0 offset:372
	buffer_load_dword v53, off, s[0:3], 0 offset:412
	buffer_load_dword v57, off, s[0:3], 0 offset:388
	buffer_load_dword v56, off, s[0:3], 0 offset:384
	buffer_load_dword v59, off, s[0:3], 0 offset:428
	buffer_load_dword v62, off, s[0:3], 0 offset:440
	buffer_load_dword v64, off, s[0:3], 0 offset:432
	buffer_load_dword v58, off, s[0:3], 0 offset:424
	buffer_load_dword v55, off, s[0:3], 0 offset:404
	buffer_load_dword v63, off, s[0:3], 0 offset:444
	buffer_load_dword v67, off, s[0:3], 0 offset:420
	buffer_load_dword v66, off, s[0:3], 0 offset:416
	buffer_load_dword v69, off, s[0:3], 0 offset:460
	buffer_load_dword v70, off, s[0:3], 0 offset:472
	buffer_load_dword v72, off, s[0:3], 0 offset:464
	buffer_load_dword v68, off, s[0:3], 0 offset:456
	buffer_load_dword v65, off, s[0:3], 0 offset:436
	v_mov_b32_e32 v11, 0
	s_mov_b32 s4, exec_lo
	ds_read_b128 v[5:8], v11 offset:912
	s_clause 0x2
	buffer_load_dword v71, off, s[0:3], 0 offset:476
	buffer_load_dword v75, off, s[0:3], 0 offset:452
	;; [unrolled: 1-line block ×3, first 2 shown]
	ds_read_b128 v[12:15], v11 offset:928
	s_clause 0x4
	buffer_load_dword v79, off, s[0:3], 0 offset:492
	buffer_load_dword v80, off, s[0:3], 0 offset:504
	;; [unrolled: 1-line block ×5, first 2 shown]
	ds_read_b128 v[16:19], v11 offset:944
	s_waitcnt vmcnt(62) lgkmcnt(2)
	v_mul_f64 v[76:77], v[7:8], v[9:10]
	v_mul_f64 v[9:10], v[5:6], v[9:10]
	s_waitcnt vmcnt(60) lgkmcnt(1)
	v_mul_f64 v[83:84], v[14:15], v[20:21]
	v_mul_f64 v[20:21], v[12:13], v[20:21]
	;; [unrolled: 3-line block ×3, first 2 shown]
	v_fma_f64 v[76:77], v[5:6], v[22:23], -v[76:77]
	v_fma_f64 v[9:10], v[7:8], v[22:23], v[9:10]
	s_clause 0x2
	buffer_load_dword v81, off, s[0:3], 0 offset:508
	buffer_load_dword v23, off, s[0:3], 0 offset:484
	;; [unrolled: 1-line block ×3, first 2 shown]
	s_waitcnt vmcnt(57)
	v_fma_f64 v[12:13], v[12:13], v[1:2], -v[83:84]
	ds_read_b128 v[5:8], v11 offset:960
	v_fma_f64 v[14:15], v[14:15], v[1:2], v[20:21]
	s_clause 0x4
	buffer_load_dword v21, off, s[0:3], 0 offset:524
	buffer_load_dword v84, off, s[0:3], 0 offset:536
	;; [unrolled: 1-line block ×5, first 2 shown]
	s_waitcnt vmcnt(56)
	v_fma_f64 v[16:17], v[16:17], v[30:31], -v[87:88]
	ds_read_b128 v[1:4], v11 offset:976
	v_fma_f64 v[18:19], v[18:19], v[30:31], v[85:86]
	s_clause 0x2
	buffer_load_dword v85, off, s[0:3], 0 offset:540
	buffer_load_dword v31, off, s[0:3], 0 offset:516
	;; [unrolled: 1-line block ×3, first 2 shown]
	v_add_f64 v[76:77], v[76:77], 0
	v_add_f64 v[9:10], v[9:10], 0
	s_waitcnt lgkmcnt(1)
	v_mul_f64 v[90:91], v[5:6], v[24:25]
	v_mul_f64 v[24:25], v[7:8], v[24:25]
	s_waitcnt vmcnt(58) lgkmcnt(0)
	v_mul_f64 v[86:87], v[1:2], v[26:27]
	v_mul_f64 v[26:27], v[3:4], v[26:27]
	v_add_f64 v[76:77], v[76:77], v[12:13]
	v_add_f64 v[9:10], v[9:10], v[14:15]
	ds_read_b128 v[12:15], v11 offset:992
	s_waitcnt vmcnt(56)
	v_fma_f64 v[24:25], v[5:6], v[32:33], -v[24:25]
	v_fma_f64 v[32:33], v[7:8], v[32:33], v[90:91]
	s_waitcnt vmcnt(51)
	v_fma_f64 v[26:27], v[1:2], v[28:29], -v[26:27]
	s_waitcnt lgkmcnt(0)
	v_mul_f64 v[179:180], v[12:13], v[34:35]
	v_add_f64 v[16:17], v[76:77], v[16:17]
	v_add_f64 v[9:10], v[9:10], v[18:19]
	s_clause 0x4
	buffer_load_dword v19, off, s[0:3], 0 offset:556
	buffer_load_dword v76, off, s[0:3], 0 offset:568
	;; [unrolled: 1-line block ×5, first 2 shown]
	v_mul_f64 v[34:35], v[14:15], v[34:35]
	ds_read_b128 v[5:8], v11 offset:1008
	v_add_f64 v[16:17], v[16:17], v[24:25]
	v_fma_f64 v[24:25], v[3:4], v[28:29], v[86:87]
	v_add_f64 v[9:10], v[9:10], v[32:33]
	s_clause 0x2
	buffer_load_dword v77, off, s[0:3], 0 offset:572
	buffer_load_dword v29, off, s[0:3], 0 offset:548
	;; [unrolled: 1-line block ×3, first 2 shown]
	s_waitcnt vmcnt(58) lgkmcnt(0)
	v_mul_f64 v[32:33], v[5:6], v[36:37]
	v_mul_f64 v[36:37], v[7:8], v[36:37]
	s_waitcnt vmcnt(56)
	v_fma_f64 v[34:35], v[12:13], v[40:41], -v[34:35]
	ds_read_b128 v[1:4], v11 offset:1024
	v_add_f64 v[16:17], v[16:17], v[26:27]
	v_fma_f64 v[26:27], v[14:15], v[40:41], v[179:180]
	v_add_f64 v[9:10], v[9:10], v[24:25]
	s_clause 0x4
	buffer_load_dword v25, off, s[0:3], 0 offset:588
	buffer_load_dword v40, off, s[0:3], 0 offset:600
	;; [unrolled: 1-line block ×5, first 2 shown]
	ds_read_b128 v[12:15], v11 offset:1040
	s_waitcnt vmcnt(57) lgkmcnt(1)
	v_mul_f64 v[87:88], v[1:2], v[42:43]
	v_mul_f64 v[42:43], v[3:4], v[42:43]
	s_waitcnt vmcnt(56)
	v_fma_f64 v[36:37], v[5:6], v[38:39], -v[36:37]
	v_fma_f64 v[32:33], v[7:8], v[38:39], v[32:33]
	v_add_f64 v[16:17], v[16:17], v[34:35]
	v_add_f64 v[9:10], v[9:10], v[26:27]
	s_clause 0x2
	buffer_load_dword v41, off, s[0:3], 0 offset:604
	buffer_load_dword v27, off, s[0:3], 0 offset:580
	;; [unrolled: 1-line block ×3, first 2 shown]
	s_waitcnt vmcnt(58) lgkmcnt(0)
	v_mul_f64 v[38:39], v[14:15], v[44:45]
	ds_read_b128 v[5:8], v11 offset:1056
	s_waitcnt vmcnt(56)
	v_fma_f64 v[42:43], v[1:2], v[48:49], -v[42:43]
	v_mul_f64 v[34:35], v[12:13], v[44:45]
	v_add_f64 v[16:17], v[16:17], v[36:37]
	v_fma_f64 v[36:37], v[3:4], v[48:49], v[87:88]
	v_add_f64 v[9:10], v[9:10], v[32:33]
	s_clause 0x4
	buffer_load_dword v33, off, s[0:3], 0 offset:620
	buffer_load_dword v44, off, s[0:3], 0 offset:632
	buffer_load_dword v48, off, s[0:3], 0 offset:624
	buffer_load_dword v32, off, s[0:3], 0 offset:616
	buffer_load_dword v87, off, s[0:3], 0 offset:596
	s_waitcnt vmcnt(57) lgkmcnt(0)
	v_mul_f64 v[179:180], v[5:6], v[50:51]
	v_mul_f64 v[49:50], v[7:8], v[50:51]
	s_waitcnt vmcnt(56)
	v_fma_f64 v[38:39], v[12:13], v[46:47], -v[38:39]
	ds_read_b128 v[1:4], v11 offset:1072
	v_fma_f64 v[34:35], v[14:15], v[46:47], v[34:35]
	v_add_f64 v[16:17], v[16:17], v[42:43]
	v_add_f64 v[9:10], v[9:10], v[36:37]
	s_clause 0x2
	buffer_load_dword v45, off, s[0:3], 0 offset:636
	buffer_load_dword v37, off, s[0:3], 0 offset:612
	buffer_load_dword v36, off, s[0:3], 0 offset:608
	ds_read_b128 v[12:15], v11 offset:1088
	s_waitcnt vmcnt(58) lgkmcnt(1)
	v_mul_f64 v[46:47], v[3:4], v[52:53]
	s_waitcnt vmcnt(56)
	v_fma_f64 v[50:51], v[5:6], v[56:57], -v[49:50]
	v_mul_f64 v[42:43], v[1:2], v[52:53]
	v_add_f64 v[16:17], v[16:17], v[38:39]
	v_fma_f64 v[38:39], v[7:8], v[56:57], v[179:180]
	v_add_f64 v[9:10], v[9:10], v[34:35]
	s_clause 0x4
	buffer_load_dword v35, off, s[0:3], 0 offset:652
	buffer_load_dword v52, off, s[0:3], 0 offset:664
	buffer_load_dword v56, off, s[0:3], 0 offset:656
	buffer_load_dword v34, off, s[0:3], 0 offset:648
	buffer_load_dword v49, off, s[0:3], 0 offset:628
	s_waitcnt vmcnt(57) lgkmcnt(0)
	v_mul_f64 v[179:180], v[12:13], v[58:59]
	v_mul_f64 v[57:58], v[14:15], v[58:59]
	s_waitcnt vmcnt(56)
	v_fma_f64 v[46:47], v[1:2], v[54:55], -v[46:47]
	ds_read_b128 v[5:8], v11 offset:1104
	v_fma_f64 v[42:43], v[3:4], v[54:55], v[42:43]
	v_add_f64 v[16:17], v[16:17], v[50:51]
	v_add_f64 v[9:10], v[9:10], v[38:39]
	s_clause 0x2
	buffer_load_dword v53, off, s[0:3], 0 offset:668
	buffer_load_dword v39, off, s[0:3], 0 offset:644
	buffer_load_dword v38, off, s[0:3], 0 offset:640
	ds_read_b128 v[1:4], v11 offset:1120
	s_waitcnt vmcnt(58) lgkmcnt(1)
	v_mul_f64 v[54:55], v[7:8], v[62:63]
	;; [unrolled: 28-line block ×3, first 2 shown]
	s_waitcnt vmcnt(56)
	v_fma_f64 v[68:69], v[1:2], v[74:75], -v[67:68]
	v_mul_f64 v[58:59], v[12:13], v[70:71]
	buffer_load_dword v67, off, s[0:3], 0 offset:692
	v_add_f64 v[16:17], v[16:17], v[54:55]
	v_fma_f64 v[54:55], v[3:4], v[74:75], v[179:180]
	v_add_f64 v[9:10], v[9:10], v[50:51]
	ds_read_b128 v[1:4], v11 offset:1168
	s_waitcnt vmcnt(53) lgkmcnt(1)
	v_mul_f64 v[70:71], v[7:8], v[78:79]
	s_waitcnt vmcnt(52)
	v_fma_f64 v[64:65], v[12:13], v[72:73], -v[64:65]
	v_mul_f64 v[50:51], v[5:6], v[78:79]
	v_fma_f64 v[58:59], v[14:15], v[72:73], v[58:59]
	ds_read_b128 v[12:15], v11 offset:1184
	v_add_f64 v[16:17], v[16:17], v[68:69]
	v_add_f64 v[9:10], v[9:10], v[54:55]
	s_waitcnt vmcnt(51) lgkmcnt(1)
	v_mul_f64 v[68:69], v[3:4], v[80:81]
	v_mul_f64 v[54:55], v[1:2], v[80:81]
	s_waitcnt vmcnt(49)
	v_fma_f64 v[70:71], v[5:6], v[22:23], -v[70:71]
	v_fma_f64 v[22:23], v[7:8], v[22:23], v[50:51]
	v_add_f64 v[16:17], v[16:17], v[64:65]
	s_waitcnt vmcnt(45) lgkmcnt(0)
	v_mul_f64 v[64:65], v[12:13], v[20:21]
	v_add_f64 v[9:10], v[9:10], v[58:59]
	s_clause 0x3
	buffer_load_dword v50, off, s[0:3], 0 offset:224
	buffer_load_dword v51, off, s[0:3], 0 offset:228
	;; [unrolled: 1-line block ×4, first 2 shown]
	v_mul_f64 v[20:21], v[14:15], v[20:21]
	ds_read_b128 v[5:8], v11 offset:1200
	s_waitcnt vmcnt(48)
	v_fma_f64 v[68:69], v[1:2], v[82:83], -v[68:69]
	v_fma_f64 v[54:55], v[3:4], v[82:83], v[54:55]
	ds_read_b128 v[1:4], v11 offset:1216
	v_add_f64 v[16:17], v[16:17], v[70:71]
	v_add_f64 v[9:10], v[9:10], v[22:23]
	s_waitcnt vmcnt(47) lgkmcnt(1)
	v_mul_f64 v[70:71], v[7:8], v[84:85]
	s_waitcnt vmcnt(45)
	v_fma_f64 v[20:21], v[12:13], v[30:31], -v[20:21]
	v_mul_f64 v[22:23], v[5:6], v[84:85]
	v_fma_f64 v[30:31], v[14:15], v[30:31], v[64:65]
	ds_read_b128 v[12:15], v11 offset:1232
	v_add_f64 v[16:17], v[16:17], v[68:69]
	v_add_f64 v[9:10], v[9:10], v[54:55]
	s_waitcnt vmcnt(41) lgkmcnt(1)
	v_mul_f64 v[54:55], v[1:2], v[18:19]
	v_mul_f64 v[18:19], v[3:4], v[18:19]
	s_waitcnt vmcnt(40)
	v_fma_f64 v[64:65], v[5:6], v[89:90], -v[70:71]
	v_add_f64 v[16:17], v[16:17], v[20:21]
	v_fma_f64 v[20:21], v[7:8], v[89:90], v[22:23]
	v_add_f64 v[9:10], v[9:10], v[30:31]
	ds_read_b128 v[5:8], v11 offset:1248
	s_waitcnt vmcnt(39) lgkmcnt(1)
	v_mul_f64 v[30:31], v[14:15], v[76:77]
	v_mul_f64 v[22:23], v[12:13], v[76:77]
	s_waitcnt vmcnt(37)
	v_fma_f64 v[18:19], v[1:2], v[28:29], -v[18:19]
	v_fma_f64 v[28:29], v[3:4], v[28:29], v[54:55]
	ds_read_b128 v[1:4], v11 offset:1264
	v_add_f64 v[16:17], v[16:17], v[64:65]
	v_add_f64 v[9:10], v[9:10], v[20:21]
	s_waitcnt vmcnt(33) lgkmcnt(1)
	v_mul_f64 v[20:21], v[5:6], v[24:25]
	v_mul_f64 v[24:25], v[7:8], v[24:25]
	s_waitcnt vmcnt(32)
	v_fma_f64 v[30:31], v[12:13], v[91:92], -v[30:31]
	v_add_f64 v[16:17], v[16:17], v[18:19]
	v_fma_f64 v[18:19], v[14:15], v[91:92], v[22:23]
	v_add_f64 v[9:10], v[9:10], v[28:29]
	ds_read_b128 v[12:15], v11 offset:1280
	s_waitcnt vmcnt(31) lgkmcnt(1)
	v_mul_f64 v[28:29], v[3:4], v[40:41]
	v_mul_f64 v[22:23], v[1:2], v[40:41]
	s_waitcnt vmcnt(29)
	v_fma_f64 v[24:25], v[5:6], v[26:27], -v[24:25]
	v_fma_f64 v[20:21], v[7:8], v[26:27], v[20:21]
	ds_read_b128 v[5:8], v11 offset:1296
	v_add_f64 v[16:17], v[16:17], v[30:31]
	v_add_f64 v[9:10], v[9:10], v[18:19]
	s_waitcnt vmcnt(25) lgkmcnt(1)
	v_mul_f64 v[26:27], v[14:15], v[32:33]
	s_waitcnt vmcnt(24)
	v_fma_f64 v[28:29], v[1:2], v[86:87], -v[28:29]
	v_mul_f64 v[18:19], v[12:13], v[32:33]
	v_fma_f64 v[22:23], v[3:4], v[86:87], v[22:23]
	ds_read_b128 v[1:4], v11 offset:1312
	v_add_f64 v[16:17], v[16:17], v[24:25]
	v_add_f64 v[9:10], v[9:10], v[20:21]
	s_waitcnt vmcnt(23) lgkmcnt(1)
	v_mul_f64 v[24:25], v[7:8], v[44:45]
	v_mul_f64 v[20:21], v[5:6], v[44:45]
	s_waitcnt vmcnt(21)
	v_fma_f64 v[26:27], v[12:13], v[36:37], -v[26:27]
	v_fma_f64 v[18:19], v[14:15], v[36:37], v[18:19]
	ds_read_b128 v[12:15], v11 offset:1328
	v_add_f64 v[16:17], v[16:17], v[28:29]
	v_add_f64 v[9:10], v[9:10], v[22:23]
	s_waitcnt vmcnt(17) lgkmcnt(1)
	v_mul_f64 v[28:29], v[3:4], v[34:35]
	s_waitcnt vmcnt(16)
	v_fma_f64 v[24:25], v[5:6], v[48:49], -v[24:25]
	v_mul_f64 v[22:23], v[1:2], v[34:35]
	v_fma_f64 v[20:21], v[7:8], v[48:49], v[20:21]
	ds_read_b128 v[5:8], v11 offset:1344
	v_add_f64 v[16:17], v[16:17], v[26:27]
	v_add_f64 v[9:10], v[9:10], v[18:19]
	s_waitcnt vmcnt(15) lgkmcnt(1)
	v_mul_f64 v[26:27], v[14:15], v[52:53]
	v_mul_f64 v[18:19], v[12:13], v[52:53]
	s_waitcnt vmcnt(13)
	v_fma_f64 v[28:29], v[1:2], v[38:39], -v[28:29]
	v_fma_f64 v[22:23], v[3:4], v[38:39], v[22:23]
	ds_read_b128 v[1:4], v11 offset:1360
	v_add_f64 v[16:17], v[16:17], v[24:25]
	v_add_f64 v[9:10], v[9:10], v[20:21]
	s_waitcnt vmcnt(9) lgkmcnt(1)
	v_mul_f64 v[24:25], v[7:8], v[42:43]
	s_waitcnt vmcnt(8)
	v_fma_f64 v[12:13], v[12:13], v[56:57], -v[26:27]
	v_mul_f64 v[20:21], v[5:6], v[42:43]
	v_fma_f64 v[14:15], v[14:15], v[56:57], v[18:19]
	v_add_f64 v[16:17], v[16:17], v[28:29]
	v_add_f64 v[9:10], v[9:10], v[22:23]
	s_waitcnt vmcnt(7) lgkmcnt(0)
	v_mul_f64 v[22:23], v[3:4], v[62:63]
	v_mul_f64 v[18:19], v[1:2], v[62:63]
	s_waitcnt vmcnt(5)
	v_fma_f64 v[5:6], v[5:6], v[46:47], -v[24:25]
	v_fma_f64 v[7:8], v[7:8], v[46:47], v[20:21]
	v_add_f64 v[12:13], v[16:17], v[12:13]
	v_add_f64 v[9:10], v[9:10], v[14:15]
	s_waitcnt vmcnt(4)
	v_fma_f64 v[1:2], v[1:2], v[66:67], -v[22:23]
	v_fma_f64 v[3:4], v[3:4], v[66:67], v[18:19]
	v_add_f64 v[5:6], v[12:13], v[5:6]
	v_add_f64 v[7:8], v[9:10], v[7:8]
	;; [unrolled: 1-line block ×4, first 2 shown]
	s_waitcnt vmcnt(2)
	v_add_f64 v[1:2], v[50:51], -v[1:2]
	s_waitcnt vmcnt(0)
	v_add_f64 v[3:4], v[58:59], -v[3:4]
	buffer_store_dword v2, off, s[0:3], 0 offset:228
	buffer_store_dword v1, off, s[0:3], 0 offset:224
	;; [unrolled: 1-line block ×4, first 2 shown]
	v_cmpx_lt_u32_e32 12, v0
	s_cbranch_execz .LBB42_247
; %bb.246:
	v_mov_b32_e32 v4, s38
	s_clause 0x3
	buffer_load_dword v1, v4, s[0:3], 0 offen
	buffer_load_dword v2, v4, s[0:3], 0 offen offset:4
	buffer_load_dword v3, v4, s[0:3], 0 offen offset:8
	;; [unrolled: 1-line block ×3, first 2 shown]
	buffer_store_dword v11, off, s[0:3], 0 offset:208
	buffer_store_dword v11, off, s[0:3], 0 offset:212
	;; [unrolled: 1-line block ×4, first 2 shown]
	s_waitcnt vmcnt(0)
	ds_write_b128 v61, v[1:4]
.LBB42_247:
	s_or_b32 exec_lo, exec_lo, s4
	s_waitcnt lgkmcnt(0)
	s_waitcnt_vscnt null, 0x0
	s_barrier
	buffer_gl0_inv
	s_clause 0x37
	buffer_load_dword v9, off, s[0:3], 0 offset:232
	buffer_load_dword v10, off, s[0:3], 0 offset:236
	buffer_load_dword v5, off, s[0:3], 0 offset:248
	buffer_load_dword v6, off, s[0:3], 0 offset:252
	buffer_load_dword v7, off, s[0:3], 0 offset:224
	buffer_load_dword v8, off, s[0:3], 0 offset:228
	buffer_load_dword v3, off, s[0:3], 0 offset:264
	buffer_load_dword v4, off, s[0:3], 0 offset:268
	buffer_load_dword v1, off, s[0:3], 0 offset:240
	buffer_load_dword v2, off, s[0:3], 0 offset:244
	buffer_load_dword v25, off, s[0:3], 0 offset:284
	buffer_load_dword v26, off, s[0:3], 0 offset:296
	buffer_load_dword v28, off, s[0:3], 0 offset:288
	buffer_load_dword v24, off, s[0:3], 0 offset:280
	buffer_load_dword v30, off, s[0:3], 0 offset:256
	buffer_load_dword v31, off, s[0:3], 0 offset:260
	buffer_load_dword v27, off, s[0:3], 0 offset:300
	buffer_load_dword v33, off, s[0:3], 0 offset:276
	buffer_load_dword v32, off, s[0:3], 0 offset:272
	buffer_load_dword v35, off, s[0:3], 0 offset:316
	buffer_load_dword v36, off, s[0:3], 0 offset:328
	buffer_load_dword v38, off, s[0:3], 0 offset:320
	buffer_load_dword v34, off, s[0:3], 0 offset:312
	buffer_load_dword v29, off, s[0:3], 0 offset:292
	buffer_load_dword v37, off, s[0:3], 0 offset:332
	buffer_load_dword v41, off, s[0:3], 0 offset:308
	buffer_load_dword v40, off, s[0:3], 0 offset:304
	buffer_load_dword v43, off, s[0:3], 0 offset:348
	buffer_load_dword v44, off, s[0:3], 0 offset:360
	buffer_load_dword v46, off, s[0:3], 0 offset:352
	buffer_load_dword v42, off, s[0:3], 0 offset:344
	buffer_load_dword v39, off, s[0:3], 0 offset:324
	buffer_load_dword v45, off, s[0:3], 0 offset:364
	buffer_load_dword v49, off, s[0:3], 0 offset:340
	buffer_load_dword v48, off, s[0:3], 0 offset:336
	buffer_load_dword v51, off, s[0:3], 0 offset:380
	buffer_load_dword v52, off, s[0:3], 0 offset:392
	buffer_load_dword v54, off, s[0:3], 0 offset:384
	buffer_load_dword v50, off, s[0:3], 0 offset:376
	buffer_load_dword v47, off, s[0:3], 0 offset:356
	buffer_load_dword v53, off, s[0:3], 0 offset:396
	buffer_load_dword v57, off, s[0:3], 0 offset:372
	buffer_load_dword v56, off, s[0:3], 0 offset:368
	buffer_load_dword v59, off, s[0:3], 0 offset:412
	buffer_load_dword v62, off, s[0:3], 0 offset:424
	buffer_load_dword v64, off, s[0:3], 0 offset:416
	buffer_load_dword v58, off, s[0:3], 0 offset:408
	buffer_load_dword v55, off, s[0:3], 0 offset:388
	buffer_load_dword v63, off, s[0:3], 0 offset:428
	buffer_load_dword v67, off, s[0:3], 0 offset:404
	buffer_load_dword v66, off, s[0:3], 0 offset:400
	buffer_load_dword v69, off, s[0:3], 0 offset:444
	buffer_load_dword v70, off, s[0:3], 0 offset:456
	buffer_load_dword v72, off, s[0:3], 0 offset:448
	buffer_load_dword v68, off, s[0:3], 0 offset:440
	buffer_load_dword v65, off, s[0:3], 0 offset:420
	ds_read_b128 v[12:15], v11 offset:896
	s_clause 0x2
	buffer_load_dword v71, off, s[0:3], 0 offset:460
	buffer_load_dword v75, off, s[0:3], 0 offset:436
	;; [unrolled: 1-line block ×3, first 2 shown]
	ds_read_b128 v[16:19], v11 offset:912
	s_clause 0x4
	buffer_load_dword v79, off, s[0:3], 0 offset:476
	buffer_load_dword v80, off, s[0:3], 0 offset:488
	;; [unrolled: 1-line block ×5, first 2 shown]
	ds_read_b128 v[20:23], v11 offset:928
	s_clause 0x2
	buffer_load_dword v81, off, s[0:3], 0 offset:492
	buffer_load_dword v86, off, s[0:3], 0 offset:468
	;; [unrolled: 1-line block ×3, first 2 shown]
	s_mov_b32 s4, exec_lo
	s_waitcnt vmcnt(62) lgkmcnt(2)
	v_mul_f64 v[76:77], v[14:15], v[9:10]
	v_mul_f64 v[9:10], v[12:13], v[9:10]
	s_waitcnt lgkmcnt(1)
	v_mul_f64 v[83:84], v[18:19], v[5:6]
	s_waitcnt vmcnt(59) lgkmcnt(0)
	v_mul_f64 v[87:88], v[22:23], v[3:4]
	v_fma_f64 v[12:13], v[12:13], v[7:8], -v[76:77]
	v_mul_f64 v[76:77], v[16:17], v[5:6]
	v_fma_f64 v[9:10], v[14:15], v[7:8], v[9:10]
	s_waitcnt vmcnt(57)
	v_fma_f64 v[16:17], v[16:17], v[1:2], -v[83:84]
	ds_read_b128 v[5:8], v11 offset:944
	v_mul_f64 v[14:15], v[20:21], v[3:4]
	s_waitcnt vmcnt(51)
	v_fma_f64 v[20:21], v[20:21], v[30:31], -v[87:88]
	v_add_f64 v[12:13], v[12:13], 0
	v_fma_f64 v[18:19], v[18:19], v[1:2], v[76:77]
	v_add_f64 v[9:10], v[9:10], 0
	s_clause 0x4
	buffer_load_dword v77, off, s[0:3], 0 offset:508
	buffer_load_dword v89, off, s[0:3], 0 offset:520
	;; [unrolled: 1-line block ×5, first 2 shown]
	s_waitcnt lgkmcnt(0)
	v_mul_f64 v[179:180], v[5:6], v[24:25]
	v_mul_f64 v[24:25], v[7:8], v[24:25]
	ds_read_b128 v[1:4], v11 offset:960
	v_fma_f64 v[22:23], v[22:23], v[30:31], v[14:15]
	v_add_f64 v[16:17], v[12:13], v[16:17]
	v_add_f64 v[9:10], v[9:10], v[18:19]
	s_clause 0x2
	buffer_load_dword v90, off, s[0:3], 0 offset:524
	buffer_load_dword v19, off, s[0:3], 0 offset:500
	;; [unrolled: 1-line block ×3, first 2 shown]
	s_waitcnt vmcnt(58) lgkmcnt(0)
	v_mul_f64 v[30:31], v[1:2], v[26:27]
	v_mul_f64 v[26:27], v[3:4], v[26:27]
	s_waitcnt vmcnt(56)
	v_fma_f64 v[24:25], v[5:6], v[32:33], -v[24:25]
	ds_read_b128 v[12:15], v11 offset:976
	v_add_f64 v[16:17], v[16:17], v[20:21]
	v_fma_f64 v[20:21], v[7:8], v[32:33], v[179:180]
	v_add_f64 v[9:10], v[9:10], v[22:23]
	s_clause 0x4
	buffer_load_dword v23, off, s[0:3], 0 offset:540
	buffer_load_dword v32, off, s[0:3], 0 offset:552
	;; [unrolled: 1-line block ×5, first 2 shown]
	ds_read_b128 v[5:8], v11 offset:992
	s_waitcnt vmcnt(57) lgkmcnt(1)
	v_mul_f64 v[179:180], v[12:13], v[34:35]
	v_mul_f64 v[34:35], v[14:15], v[34:35]
	s_waitcnt vmcnt(56)
	v_fma_f64 v[26:27], v[1:2], v[28:29], -v[26:27]
	v_add_f64 v[16:17], v[16:17], v[24:25]
	v_fma_f64 v[24:25], v[3:4], v[28:29], v[30:31]
	v_add_f64 v[9:10], v[9:10], v[20:21]
	s_clause 0x2
	buffer_load_dword v33, off, s[0:3], 0 offset:556
	buffer_load_dword v21, off, s[0:3], 0 offset:532
	;; [unrolled: 1-line block ×3, first 2 shown]
	s_waitcnt vmcnt(58) lgkmcnt(0)
	v_mul_f64 v[30:31], v[7:8], v[36:37]
	ds_read_b128 v[1:4], v11 offset:1008
	s_waitcnt vmcnt(56)
	v_fma_f64 v[34:35], v[12:13], v[40:41], -v[34:35]
	v_mul_f64 v[28:29], v[5:6], v[36:37]
	v_add_f64 v[16:17], v[16:17], v[26:27]
	v_fma_f64 v[26:27], v[14:15], v[40:41], v[179:180]
	v_add_f64 v[9:10], v[9:10], v[24:25]
	s_clause 0x4
	buffer_load_dword v25, off, s[0:3], 0 offset:572
	buffer_load_dword v36, off, s[0:3], 0 offset:584
	buffer_load_dword v40, off, s[0:3], 0 offset:576
	buffer_load_dword v24, off, s[0:3], 0 offset:568
	buffer_load_dword v88, off, s[0:3], 0 offset:548
	s_waitcnt vmcnt(57) lgkmcnt(0)
	v_mul_f64 v[179:180], v[1:2], v[42:43]
	v_mul_f64 v[41:42], v[3:4], v[42:43]
	s_waitcnt vmcnt(56)
	v_fma_f64 v[30:31], v[5:6], v[38:39], -v[30:31]
	ds_read_b128 v[12:15], v11 offset:1024
	v_fma_f64 v[28:29], v[7:8], v[38:39], v[28:29]
	v_add_f64 v[16:17], v[16:17], v[34:35]
	v_add_f64 v[9:10], v[9:10], v[26:27]
	s_clause 0x2
	buffer_load_dword v37, off, s[0:3], 0 offset:588
	buffer_load_dword v27, off, s[0:3], 0 offset:564
	buffer_load_dword v26, off, s[0:3], 0 offset:560
	ds_read_b128 v[5:8], v11 offset:1040
	s_waitcnt vmcnt(58) lgkmcnt(1)
	v_mul_f64 v[38:39], v[14:15], v[44:45]
	s_waitcnt vmcnt(56)
	v_fma_f64 v[42:43], v[1:2], v[48:49], -v[41:42]
	v_mul_f64 v[34:35], v[12:13], v[44:45]
	v_add_f64 v[16:17], v[16:17], v[30:31]
	v_fma_f64 v[30:31], v[3:4], v[48:49], v[179:180]
	v_add_f64 v[9:10], v[9:10], v[28:29]
	s_clause 0x4
	buffer_load_dword v29, off, s[0:3], 0 offset:604
	buffer_load_dword v44, off, s[0:3], 0 offset:616
	buffer_load_dword v48, off, s[0:3], 0 offset:608
	buffer_load_dword v28, off, s[0:3], 0 offset:600
	buffer_load_dword v41, off, s[0:3], 0 offset:580
	s_waitcnt vmcnt(57) lgkmcnt(0)
	v_mul_f64 v[179:180], v[5:6], v[50:51]
	v_mul_f64 v[49:50], v[7:8], v[50:51]
	s_waitcnt vmcnt(56)
	v_fma_f64 v[38:39], v[12:13], v[46:47], -v[38:39]
	ds_read_b128 v[1:4], v11 offset:1056
	v_fma_f64 v[34:35], v[14:15], v[46:47], v[34:35]
	v_add_f64 v[16:17], v[16:17], v[42:43]
	v_add_f64 v[9:10], v[9:10], v[30:31]
	s_clause 0x2
	buffer_load_dword v45, off, s[0:3], 0 offset:620
	buffer_load_dword v31, off, s[0:3], 0 offset:596
	buffer_load_dword v30, off, s[0:3], 0 offset:592
	ds_read_b128 v[12:15], v11 offset:1072
	s_waitcnt vmcnt(58) lgkmcnt(1)
	v_mul_f64 v[46:47], v[3:4], v[52:53]
	;; [unrolled: 28-line block ×4, first 2 shown]
	s_waitcnt vmcnt(56)
	v_fma_f64 v[68:69], v[1:2], v[74:75], -v[67:68]
	v_mul_f64 v[58:59], v[12:13], v[70:71]
	v_add_f64 v[16:17], v[16:17], v[54:55]
	v_fma_f64 v[54:55], v[3:4], v[74:75], v[179:180]
	v_add_f64 v[9:10], v[9:10], v[50:51]
	s_clause 0x2
	buffer_load_dword v51, off, s[0:3], 0 offset:700
	buffer_load_dword v50, off, s[0:3], 0 offset:696
	;; [unrolled: 1-line block ×3, first 2 shown]
	s_waitcnt vmcnt(55) lgkmcnt(0)
	v_mul_f64 v[74:75], v[7:8], v[78:79]
	s_waitcnt vmcnt(54)
	v_fma_f64 v[64:65], v[12:13], v[72:73], -v[64:65]
	ds_read_b128 v[1:4], v11 offset:1152
	v_mul_f64 v[70:71], v[5:6], v[78:79]
	v_fma_f64 v[58:59], v[14:15], v[72:73], v[58:59]
	v_add_f64 v[16:17], v[16:17], v[68:69]
	v_add_f64 v[9:10], v[9:10], v[54:55]
	s_clause 0x1
	buffer_load_dword v55, off, s[0:3], 0 offset:692
	buffer_load_dword v54, off, s[0:3], 0 offset:688
	s_waitcnt vmcnt(55) lgkmcnt(0)
	v_mul_f64 v[72:73], v[3:4], v[80:81]
	s_waitcnt vmcnt(53)
	v_fma_f64 v[74:75], v[5:6], v[85:86], -v[74:75]
	ds_read_b128 v[12:15], v11 offset:1168
	v_mul_f64 v[68:69], v[1:2], v[80:81]
	v_add_f64 v[16:17], v[16:17], v[64:65]
	v_fma_f64 v[64:65], v[7:8], v[85:86], v[70:71]
	v_add_f64 v[9:10], v[9:10], v[58:59]
	ds_read_b128 v[5:8], v11 offset:1184
	s_waitcnt vmcnt(49) lgkmcnt(1)
	v_mul_f64 v[70:71], v[14:15], v[76:77]
	s_waitcnt vmcnt(48)
	v_fma_f64 v[72:73], v[1:2], v[82:83], -v[72:73]
	v_mul_f64 v[58:59], v[12:13], v[76:77]
	v_fma_f64 v[68:69], v[3:4], v[82:83], v[68:69]
	v_add_f64 v[16:17], v[16:17], v[74:75]
	v_add_f64 v[9:10], v[9:10], v[64:65]
	s_clause 0x3
	buffer_load_dword v64, off, s[0:3], 0 offset:208
	buffer_load_dword v65, off, s[0:3], 0 offset:212
	;; [unrolled: 1-line block ×4, first 2 shown]
	ds_read_b128 v[1:4], v11 offset:1200
	s_waitcnt vmcnt(51) lgkmcnt(1)
	v_mul_f64 v[78:79], v[7:8], v[89:90]
	v_mul_f64 v[76:77], v[5:6], v[89:90]
	s_waitcnt vmcnt(49)
	v_fma_f64 v[70:71], v[12:13], v[18:19], -v[70:71]
	v_fma_f64 v[18:19], v[14:15], v[18:19], v[58:59]
	ds_read_b128 v[12:15], v11 offset:1216
	v_add_f64 v[16:17], v[16:17], v[72:73]
	v_add_f64 v[9:10], v[9:10], v[68:69]
	s_waitcnt vmcnt(45) lgkmcnt(1)
	v_mul_f64 v[58:59], v[1:2], v[22:23]
	v_mul_f64 v[22:23], v[3:4], v[22:23]
	s_waitcnt vmcnt(44)
	v_fma_f64 v[68:69], v[5:6], v[91:92], -v[78:79]
	v_add_f64 v[16:17], v[16:17], v[70:71]
	v_fma_f64 v[70:71], v[7:8], v[91:92], v[76:77]
	v_add_f64 v[9:10], v[9:10], v[18:19]
	ds_read_b128 v[5:8], v11 offset:1232
	s_waitcnt vmcnt(43) lgkmcnt(1)
	v_mul_f64 v[18:19], v[12:13], v[32:33]
	v_mul_f64 v[32:33], v[14:15], v[32:33]
	s_waitcnt vmcnt(41)
	v_fma_f64 v[22:23], v[1:2], v[20:21], -v[22:23]
	v_fma_f64 v[20:21], v[3:4], v[20:21], v[58:59]
	ds_read_b128 v[1:4], v11 offset:1248
	v_add_f64 v[16:17], v[16:17], v[68:69]
	v_add_f64 v[9:10], v[9:10], v[70:71]
	s_waitcnt vmcnt(37) lgkmcnt(1)
	v_mul_f64 v[58:59], v[5:6], v[24:25]
	v_mul_f64 v[24:25], v[7:8], v[24:25]
	s_waitcnt vmcnt(36)
	v_fma_f64 v[32:33], v[12:13], v[87:88], -v[32:33]
	v_fma_f64 v[18:19], v[14:15], v[87:88], v[18:19]
	ds_read_b128 v[12:15], v11 offset:1264
	v_add_f64 v[16:17], v[16:17], v[22:23]
	v_add_f64 v[9:10], v[9:10], v[20:21]
	;; [unrolled: 9-line block ×5, first 2 shown]
	s_waitcnt vmcnt(21) lgkmcnt(1)
	v_mul_f64 v[22:23], v[3:4], v[34:35]
	s_waitcnt vmcnt(20)
	v_fma_f64 v[26:27], v[5:6], v[48:49], -v[26:27]
	v_mul_f64 v[20:21], v[1:2], v[34:35]
	v_fma_f64 v[24:25], v[7:8], v[48:49], v[24:25]
	ds_read_b128 v[5:8], v11 offset:1328
	v_add_f64 v[16:17], v[16:17], v[28:29]
	v_add_f64 v[9:10], v[9:10], v[18:19]
	s_waitcnt vmcnt(19) lgkmcnt(1)
	v_mul_f64 v[28:29], v[14:15], v[52:53]
	v_mul_f64 v[18:19], v[12:13], v[52:53]
	s_waitcnt vmcnt(17)
	v_fma_f64 v[22:23], v[1:2], v[38:39], -v[22:23]
	v_fma_f64 v[20:21], v[3:4], v[38:39], v[20:21]
	ds_read_b128 v[1:4], v11 offset:1344
	v_add_f64 v[16:17], v[16:17], v[26:27]
	v_add_f64 v[9:10], v[9:10], v[24:25]
	s_waitcnt vmcnt(13) lgkmcnt(1)
	v_mul_f64 v[26:27], v[7:8], v[42:43]
	s_waitcnt vmcnt(12)
	v_fma_f64 v[28:29], v[12:13], v[56:57], -v[28:29]
	v_mul_f64 v[24:25], v[5:6], v[42:43]
	v_fma_f64 v[13:14], v[14:15], v[56:57], v[18:19]
	v_add_f64 v[16:17], v[16:17], v[22:23]
	v_add_f64 v[18:19], v[9:10], v[20:21]
	ds_read_b128 v[9:12], v11 offset:1360
	s_waitcnt vmcnt(11) lgkmcnt(1)
	v_mul_f64 v[22:23], v[3:4], v[62:63]
	v_mul_f64 v[20:21], v[1:2], v[62:63]
	s_waitcnt vmcnt(9)
	v_fma_f64 v[5:6], v[5:6], v[46:47], -v[26:27]
	v_fma_f64 v[7:8], v[7:8], v[46:47], v[24:25]
	v_add_f64 v[15:16], v[16:17], v[28:29]
	v_add_f64 v[13:14], v[18:19], v[13:14]
	s_waitcnt vmcnt(7) lgkmcnt(0)
	v_mul_f64 v[24:25], v[11:12], v[50:51]
	s_waitcnt vmcnt(6)
	v_fma_f64 v[1:2], v[1:2], v[66:67], -v[22:23]
	v_mul_f64 v[17:18], v[9:10], v[50:51]
	v_fma_f64 v[3:4], v[3:4], v[66:67], v[20:21]
	v_add_f64 v[5:6], v[15:16], v[5:6]
	v_add_f64 v[7:8], v[13:14], v[7:8]
	s_waitcnt vmcnt(4)
	v_fma_f64 v[9:10], v[9:10], v[54:55], -v[24:25]
	v_add_f64 v[1:2], v[5:6], v[1:2]
	v_fma_f64 v[5:6], v[11:12], v[54:55], v[17:18]
	v_add_f64 v[3:4], v[7:8], v[3:4]
	v_add_f64 v[1:2], v[1:2], v[9:10]
	v_add_f64 v[3:4], v[3:4], v[5:6]
	s_waitcnt vmcnt(2)
	v_add_f64 v[1:2], v[64:65], -v[1:2]
	s_waitcnt vmcnt(0)
	v_add_f64 v[3:4], v[74:75], -v[3:4]
	buffer_store_dword v2, off, s[0:3], 0 offset:212
	buffer_store_dword v1, off, s[0:3], 0 offset:208
	;; [unrolled: 1-line block ×4, first 2 shown]
	v_cmpx_lt_u32_e32 11, v0
	s_cbranch_execz .LBB42_249
; %bb.248:
	v_mov_b32_e32 v4, s40
	v_mov_b32_e32 v5, 0
	s_clause 0x3
	buffer_load_dword v1, v4, s[0:3], 0 offen
	buffer_load_dword v2, v4, s[0:3], 0 offen offset:4
	buffer_load_dword v3, v4, s[0:3], 0 offen offset:8
	;; [unrolled: 1-line block ×3, first 2 shown]
	buffer_store_dword v5, off, s[0:3], 0 offset:192
	buffer_store_dword v5, off, s[0:3], 0 offset:196
	;; [unrolled: 1-line block ×4, first 2 shown]
	s_waitcnt vmcnt(0)
	ds_write_b128 v61, v[1:4]
.LBB42_249:
	s_or_b32 exec_lo, exec_lo, s4
	s_waitcnt lgkmcnt(0)
	s_waitcnt_vscnt null, 0x0
	s_barrier
	buffer_gl0_inv
	s_clause 0x37
	buffer_load_dword v9, off, s[0:3], 0 offset:216
	buffer_load_dword v10, off, s[0:3], 0 offset:220
	;; [unrolled: 1-line block ×56, first 2 shown]
	v_mov_b32_e32 v29, 0
	s_mov_b32 s4, exec_lo
	ds_read_b128 v[17:20], v29 offset:880
	s_clause 0x2
	buffer_load_dword v71, off, s[0:3], 0 offset:444
	buffer_load_dword v75, off, s[0:3], 0 offset:420
	;; [unrolled: 1-line block ×3, first 2 shown]
	ds_read_b128 v[21:24], v29 offset:896
	s_clause 0x4
	buffer_load_dword v79, off, s[0:3], 0 offset:460
	buffer_load_dword v80, off, s[0:3], 0 offset:472
	;; [unrolled: 1-line block ×5, first 2 shown]
	ds_read_b128 v[25:28], v29 offset:912
	s_clause 0x2
	buffer_load_dword v81, off, s[0:3], 0 offset:476
	buffer_load_dword v86, off, s[0:3], 0 offset:452
	;; [unrolled: 1-line block ×3, first 2 shown]
	s_waitcnt vmcnt(62) lgkmcnt(2)
	v_mul_f64 v[76:77], v[19:20], v[9:10]
	v_mul_f64 v[9:10], v[17:18], v[9:10]
	s_waitcnt lgkmcnt(1)
	v_mul_f64 v[83:84], v[23:24], v[5:6]
	s_waitcnt vmcnt(59) lgkmcnt(0)
	v_mul_f64 v[87:88], v[27:28], v[3:4]
	v_fma_f64 v[17:18], v[17:18], v[7:8], -v[76:77]
	v_mul_f64 v[76:77], v[21:22], v[5:6]
	v_fma_f64 v[9:10], v[19:20], v[7:8], v[9:10]
	s_waitcnt vmcnt(57)
	v_fma_f64 v[21:22], v[21:22], v[1:2], -v[83:84]
	ds_read_b128 v[5:8], v29 offset:928
	v_mul_f64 v[19:20], v[25:26], v[3:4]
	s_waitcnt vmcnt(51)
	v_fma_f64 v[25:26], v[25:26], v[32:33], -v[87:88]
	v_add_f64 v[17:18], v[17:18], 0
	v_fma_f64 v[23:24], v[23:24], v[1:2], v[76:77]
	v_add_f64 v[9:10], v[9:10], 0
	s_clause 0x4
	buffer_load_dword v77, off, s[0:3], 0 offset:492
	buffer_load_dword v89, off, s[0:3], 0 offset:504
	;; [unrolled: 1-line block ×5, first 2 shown]
	s_waitcnt lgkmcnt(0)
	v_mul_f64 v[179:180], v[5:6], v[13:14]
	v_mul_f64 v[13:14], v[7:8], v[13:14]
	ds_read_b128 v[1:4], v29 offset:944
	v_fma_f64 v[27:28], v[27:28], v[32:33], v[19:20]
	v_add_f64 v[21:22], v[17:18], v[21:22]
	v_add_f64 v[9:10], v[9:10], v[23:24]
	s_clause 0x2
	buffer_load_dword v90, off, s[0:3], 0 offset:508
	buffer_load_dword v24, off, s[0:3], 0 offset:484
	;; [unrolled: 1-line block ×3, first 2 shown]
	s_waitcnt vmcnt(58) lgkmcnt(0)
	v_mul_f64 v[32:33], v[1:2], v[30:31]
	v_mul_f64 v[30:31], v[3:4], v[30:31]
	s_waitcnt vmcnt(56)
	v_fma_f64 v[13:14], v[5:6], v[34:35], -v[13:14]
	ds_read_b128 v[17:20], v29 offset:960
	v_add_f64 v[21:22], v[21:22], v[25:26]
	v_fma_f64 v[25:26], v[7:8], v[34:35], v[179:180]
	v_add_f64 v[9:10], v[9:10], v[27:28]
	s_clause 0x4
	buffer_load_dword v28, off, s[0:3], 0 offset:524
	buffer_load_dword v34, off, s[0:3], 0 offset:536
	;; [unrolled: 1-line block ×5, first 2 shown]
	ds_read_b128 v[5:8], v29 offset:976
	s_waitcnt vmcnt(57) lgkmcnt(1)
	v_mul_f64 v[179:180], v[17:18], v[36:37]
	v_mul_f64 v[36:37], v[19:20], v[36:37]
	s_waitcnt vmcnt(56)
	v_fma_f64 v[30:31], v[1:2], v[11:12], -v[30:31]
	v_fma_f64 v[11:12], v[3:4], v[11:12], v[32:33]
	v_add_f64 v[13:14], v[21:22], v[13:14]
	s_clause 0x2
	buffer_load_dword v35, off, s[0:3], 0 offset:540
	buffer_load_dword v22, off, s[0:3], 0 offset:516
	;; [unrolled: 1-line block ×3, first 2 shown]
	v_add_f64 v[9:10], v[9:10], v[25:26]
	s_waitcnt vmcnt(58) lgkmcnt(0)
	v_mul_f64 v[32:33], v[7:8], v[38:39]
	ds_read_b128 v[1:4], v29 offset:992
	v_mul_f64 v[25:26], v[5:6], v[38:39]
	s_waitcnt vmcnt(56)
	v_fma_f64 v[17:18], v[17:18], v[40:41], -v[36:37]
	v_fma_f64 v[19:20], v[19:20], v[40:41], v[179:180]
	s_clause 0x4
	buffer_load_dword v37, off, s[0:3], 0 offset:556
	buffer_load_dword v38, off, s[0:3], 0 offset:568
	;; [unrolled: 1-line block ×5, first 2 shown]
	v_add_f64 v[13:14], v[13:14], v[30:31]
	v_add_f64 v[30:31], v[9:10], v[11:12]
	s_waitcnt vmcnt(57) lgkmcnt(0)
	v_mul_f64 v[179:180], v[1:2], v[42:43]
	v_mul_f64 v[41:42], v[3:4], v[42:43]
	s_waitcnt vmcnt(56)
	v_fma_f64 v[32:33], v[5:6], v[15:16], -v[32:33]
	ds_read_b128 v[9:12], v29 offset:1008
	v_fma_f64 v[15:16], v[7:8], v[15:16], v[25:26]
	v_add_f64 v[13:14], v[13:14], v[17:18]
	v_add_f64 v[17:18], v[30:31], v[19:20]
	s_clause 0x2
	buffer_load_dword v39, off, s[0:3], 0 offset:572
	buffer_load_dword v20, off, s[0:3], 0 offset:548
	;; [unrolled: 1-line block ×3, first 2 shown]
	s_waitcnt vmcnt(58) lgkmcnt(0)
	v_mul_f64 v[30:31], v[11:12], v[44:45]
	s_waitcnt vmcnt(56)
	v_fma_f64 v[42:43], v[1:2], v[48:49], -v[41:42]
	ds_read_b128 v[5:8], v29 offset:1024
	v_mul_f64 v[25:26], v[9:10], v[44:45]
	v_add_f64 v[13:14], v[13:14], v[32:33]
	v_fma_f64 v[32:33], v[3:4], v[48:49], v[179:180]
	v_add_f64 v[15:16], v[17:18], v[15:16]
	s_clause 0x4
	buffer_load_dword v18, off, s[0:3], 0 offset:588
	buffer_load_dword v44, off, s[0:3], 0 offset:600
	buffer_load_dword v48, off, s[0:3], 0 offset:592
	buffer_load_dword v17, off, s[0:3], 0 offset:584
	buffer_load_dword v41, off, s[0:3], 0 offset:564
	s_waitcnt vmcnt(57) lgkmcnt(0)
	v_mul_f64 v[179:180], v[5:6], v[50:51]
	v_mul_f64 v[49:50], v[7:8], v[50:51]
	s_waitcnt vmcnt(56)
	v_fma_f64 v[30:31], v[9:10], v[46:47], -v[30:31]
	ds_read_b128 v[1:4], v29 offset:1040
	v_fma_f64 v[25:26], v[11:12], v[46:47], v[25:26]
	v_add_f64 v[13:14], v[13:14], v[42:43]
	v_add_f64 v[15:16], v[15:16], v[32:33]
	s_clause 0x2
	buffer_load_dword v45, off, s[0:3], 0 offset:604
	buffer_load_dword v33, off, s[0:3], 0 offset:580
	buffer_load_dword v32, off, s[0:3], 0 offset:576
	ds_read_b128 v[9:12], v29 offset:1056
	s_waitcnt vmcnt(58) lgkmcnt(1)
	v_mul_f64 v[46:47], v[3:4], v[52:53]
	s_waitcnt vmcnt(56)
	v_fma_f64 v[50:51], v[5:6], v[56:57], -v[49:50]
	v_mul_f64 v[42:43], v[1:2], v[52:53]
	v_add_f64 v[13:14], v[13:14], v[30:31]
	v_fma_f64 v[30:31], v[7:8], v[56:57], v[179:180]
	v_add_f64 v[15:16], v[15:16], v[25:26]
	s_clause 0x4
	buffer_load_dword v26, off, s[0:3], 0 offset:620
	buffer_load_dword v52, off, s[0:3], 0 offset:632
	buffer_load_dword v56, off, s[0:3], 0 offset:624
	buffer_load_dword v25, off, s[0:3], 0 offset:616
	buffer_load_dword v49, off, s[0:3], 0 offset:596
	s_waitcnt vmcnt(57) lgkmcnt(0)
	v_mul_f64 v[179:180], v[9:10], v[58:59]
	v_mul_f64 v[57:58], v[11:12], v[58:59]
	s_waitcnt vmcnt(56)
	v_fma_f64 v[46:47], v[1:2], v[54:55], -v[46:47]
	ds_read_b128 v[5:8], v29 offset:1072
	v_fma_f64 v[42:43], v[3:4], v[54:55], v[42:43]
	v_add_f64 v[13:14], v[13:14], v[50:51]
	v_add_f64 v[15:16], v[15:16], v[30:31]
	s_clause 0x2
	buffer_load_dword v53, off, s[0:3], 0 offset:636
	buffer_load_dword v31, off, s[0:3], 0 offset:612
	buffer_load_dword v30, off, s[0:3], 0 offset:608
	ds_read_b128 v[1:4], v29 offset:1088
	s_waitcnt vmcnt(58) lgkmcnt(1)
	v_mul_f64 v[54:55], v[7:8], v[62:63]
	s_waitcnt vmcnt(56)
	v_fma_f64 v[58:59], v[9:10], v[66:67], -v[57:58]
	;; [unrolled: 28-line block ×4, first 2 shown]
	v_mul_f64 v[68:69], v[1:2], v[80:81]
	buffer_load_dword v75, off, s[0:3], 0 offset:692
	v_add_f64 v[13:14], v[13:14], v[64:65]
	v_fma_f64 v[64:65], v[7:8], v[85:86], v[179:180]
	v_add_f64 v[15:16], v[15:16], v[58:59]
	ds_read_b128 v[5:8], v29 offset:1168
	s_waitcnt vmcnt(53) lgkmcnt(1)
	v_mul_f64 v[58:59], v[9:10], v[76:77]
	v_mul_f64 v[76:77], v[11:12], v[76:77]
	s_waitcnt vmcnt(52)
	v_fma_f64 v[72:73], v[1:2], v[82:83], -v[72:73]
	v_fma_f64 v[68:69], v[3:4], v[82:83], v[68:69]
	ds_read_b128 v[1:4], v29 offset:1184
	v_add_f64 v[13:14], v[13:14], v[78:79]
	v_add_f64 v[15:16], v[15:16], v[64:65]
	s_waitcnt vmcnt(51) lgkmcnt(1)
	v_mul_f64 v[78:79], v[7:8], v[89:90]
	v_mul_f64 v[64:65], v[5:6], v[89:90]
	s_waitcnt vmcnt(49)
	v_fma_f64 v[76:77], v[9:10], v[23:24], -v[76:77]
	v_fma_f64 v[23:24], v[11:12], v[23:24], v[58:59]
	v_add_f64 v[13:14], v[13:14], v[72:73]
	v_add_f64 v[15:16], v[15:16], v[68:69]
	s_clause 0x3
	buffer_load_dword v58, off, s[0:3], 0 offset:192
	buffer_load_dword v59, off, s[0:3], 0 offset:196
	;; [unrolled: 1-line block ×4, first 2 shown]
	ds_read_b128 v[9:12], v29 offset:1200
	s_waitcnt vmcnt(49) lgkmcnt(1)
	v_mul_f64 v[72:73], v[1:2], v[27:28]
	v_mul_f64 v[27:28], v[3:4], v[27:28]
	s_waitcnt vmcnt(48)
	v_fma_f64 v[78:79], v[5:6], v[91:92], -v[78:79]
	v_fma_f64 v[64:65], v[7:8], v[91:92], v[64:65]
	ds_read_b128 v[5:8], v29 offset:1216
	v_add_f64 v[13:14], v[13:14], v[76:77]
	v_add_f64 v[15:16], v[15:16], v[23:24]
	s_waitcnt vmcnt(47) lgkmcnt(1)
	v_mul_f64 v[23:24], v[9:10], v[34:35]
	v_mul_f64 v[34:35], v[11:12], v[34:35]
	s_waitcnt vmcnt(45)
	v_fma_f64 v[27:28], v[1:2], v[21:22], -v[27:28]
	v_fma_f64 v[21:22], v[3:4], v[21:22], v[72:73]
	ds_read_b128 v[1:4], v29 offset:1232
	v_add_f64 v[13:14], v[13:14], v[78:79]
	v_add_f64 v[15:16], v[15:16], v[64:65]
	s_waitcnt vmcnt(41) lgkmcnt(1)
	v_mul_f64 v[64:65], v[5:6], v[36:37]
	v_mul_f64 v[36:37], v[7:8], v[36:37]
	s_waitcnt vmcnt(40)
	v_fma_f64 v[23:24], v[11:12], v[87:88], v[23:24]
	v_fma_f64 v[34:35], v[9:10], v[87:88], -v[34:35]
	ds_read_b128 v[9:12], v29 offset:1248
	v_add_f64 v[13:14], v[13:14], v[27:28]
	v_add_f64 v[15:16], v[15:16], v[21:22]
	s_waitcnt vmcnt(39) lgkmcnt(1)
	v_mul_f64 v[27:28], v[3:4], v[38:39]
	v_mul_f64 v[21:22], v[1:2], v[38:39]
	s_waitcnt vmcnt(37)
	v_fma_f64 v[36:37], v[5:6], v[19:20], -v[36:37]
	v_fma_f64 v[19:20], v[7:8], v[19:20], v[64:65]
	ds_read_b128 v[5:8], v29 offset:1264
	v_add_f64 v[13:14], v[13:14], v[34:35]
	v_add_f64 v[15:16], v[15:16], v[23:24]
	s_waitcnt vmcnt(33) lgkmcnt(1)
	v_mul_f64 v[23:24], v[9:10], v[17:18]
	v_mul_f64 v[17:18], v[11:12], v[17:18]
	s_waitcnt vmcnt(32)
	v_fma_f64 v[27:28], v[1:2], v[40:41], -v[27:28]
	v_fma_f64 v[21:22], v[3:4], v[40:41], v[21:22]
	;; [unrolled: 9-line block ×3, first 2 shown]
	ds_read_b128 v[9:12], v29 offset:1296
	v_add_f64 v[13:14], v[13:14], v[27:28]
	v_add_f64 v[15:16], v[15:16], v[21:22]
	s_waitcnt vmcnt(25) lgkmcnt(1)
	v_mul_f64 v[21:22], v[1:2], v[25:26]
	v_mul_f64 v[25:26], v[3:4], v[25:26]
	s_waitcnt vmcnt(24)
	v_fma_f64 v[27:28], v[5:6], v[48:49], -v[34:35]
	v_add_f64 v[13:14], v[13:14], v[17:18]
	v_fma_f64 v[17:18], v[7:8], v[48:49], v[19:20]
	v_add_f64 v[15:16], v[15:16], v[23:24]
	ds_read_b128 v[5:8], v29 offset:1312
	s_waitcnt vmcnt(23) lgkmcnt(1)
	v_mul_f64 v[23:24], v[11:12], v[52:53]
	v_mul_f64 v[19:20], v[9:10], v[52:53]
	s_waitcnt vmcnt(21)
	v_fma_f64 v[25:26], v[1:2], v[30:31], -v[25:26]
	v_fma_f64 v[21:22], v[3:4], v[30:31], v[21:22]
	ds_read_b128 v[1:4], v29 offset:1328
	v_add_f64 v[13:14], v[13:14], v[27:28]
	v_add_f64 v[15:16], v[15:16], v[17:18]
	s_waitcnt vmcnt(17) lgkmcnt(1)
	v_mul_f64 v[27:28], v[7:8], v[42:43]
	s_waitcnt vmcnt(16)
	v_fma_f64 v[23:24], v[9:10], v[56:57], -v[23:24]
	v_mul_f64 v[17:18], v[5:6], v[42:43]
	v_fma_f64 v[19:20], v[11:12], v[56:57], v[19:20]
	ds_read_b128 v[9:12], v29 offset:1344
	v_add_f64 v[13:14], v[13:14], v[25:26]
	v_add_f64 v[15:16], v[15:16], v[21:22]
	s_waitcnt vmcnt(15) lgkmcnt(1)
	v_mul_f64 v[25:26], v[3:4], v[62:63]
	v_mul_f64 v[21:22], v[1:2], v[62:63]
	s_waitcnt vmcnt(13)
	v_fma_f64 v[27:28], v[5:6], v[46:47], -v[27:28]
	v_fma_f64 v[17:18], v[7:8], v[46:47], v[17:18]
	ds_read_b128 v[5:8], v29 offset:1360
	v_add_f64 v[13:14], v[13:14], v[23:24]
	v_add_f64 v[15:16], v[15:16], v[19:20]
	s_waitcnt vmcnt(9) lgkmcnt(1)
	v_mul_f64 v[23:24], v[11:12], v[50:51]
	s_waitcnt vmcnt(8)
	v_fma_f64 v[1:2], v[1:2], v[66:67], -v[25:26]
	v_mul_f64 v[19:20], v[9:10], v[50:51]
	v_fma_f64 v[3:4], v[3:4], v[66:67], v[21:22]
	v_add_f64 v[13:14], v[13:14], v[27:28]
	v_add_f64 v[15:16], v[15:16], v[17:18]
	s_waitcnt vmcnt(7) lgkmcnt(0)
	v_mul_f64 v[21:22], v[7:8], v[70:71]
	v_mul_f64 v[17:18], v[5:6], v[70:71]
	s_waitcnt vmcnt(5)
	v_fma_f64 v[9:10], v[9:10], v[54:55], -v[23:24]
	v_fma_f64 v[11:12], v[11:12], v[54:55], v[19:20]
	v_add_f64 v[1:2], v[13:14], v[1:2]
	v_add_f64 v[3:4], v[15:16], v[3:4]
	s_waitcnt vmcnt(4)
	v_fma_f64 v[5:6], v[5:6], v[74:75], -v[21:22]
	v_fma_f64 v[7:8], v[7:8], v[74:75], v[17:18]
	v_add_f64 v[1:2], v[1:2], v[9:10]
	v_add_f64 v[3:4], v[3:4], v[11:12]
	v_add_f64 v[1:2], v[1:2], v[5:6]
	v_add_f64 v[3:4], v[3:4], v[7:8]
	s_waitcnt vmcnt(2)
	v_add_f64 v[1:2], v[58:59], -v[1:2]
	s_waitcnt vmcnt(0)
	v_add_f64 v[3:4], v[68:69], -v[3:4]
	buffer_store_dword v2, off, s[0:3], 0 offset:196
	buffer_store_dword v1, off, s[0:3], 0 offset:192
	;; [unrolled: 1-line block ×4, first 2 shown]
	v_cmpx_lt_u32_e32 10, v0
	s_cbranch_execz .LBB42_251
; %bb.250:
	v_mov_b32_e32 v4, s42
	s_clause 0x3
	buffer_load_dword v1, v4, s[0:3], 0 offen
	buffer_load_dword v2, v4, s[0:3], 0 offen offset:4
	buffer_load_dword v3, v4, s[0:3], 0 offen offset:8
	;; [unrolled: 1-line block ×3, first 2 shown]
	buffer_store_dword v29, off, s[0:3], 0 offset:176
	buffer_store_dword v29, off, s[0:3], 0 offset:180
	;; [unrolled: 1-line block ×4, first 2 shown]
	s_waitcnt vmcnt(0)
	ds_write_b128 v61, v[1:4]
.LBB42_251:
	s_or_b32 exec_lo, exec_lo, s4
	s_waitcnt lgkmcnt(0)
	s_waitcnt_vscnt null, 0x0
	s_barrier
	buffer_gl0_inv
	s_clause 0x37
	buffer_load_dword v9, off, s[0:3], 0 offset:200
	buffer_load_dword v10, off, s[0:3], 0 offset:204
	;; [unrolled: 1-line block ×56, first 2 shown]
	ds_read_b128 v[30:33], v29 offset:864
	s_clause 0x2
	buffer_load_dword v71, off, s[0:3], 0 offset:428
	buffer_load_dword v75, off, s[0:3], 0 offset:404
	;; [unrolled: 1-line block ×3, first 2 shown]
	ds_read_b128 v[34:37], v29 offset:880
	s_clause 0x4
	buffer_load_dword v79, off, s[0:3], 0 offset:444
	buffer_load_dword v80, off, s[0:3], 0 offset:456
	;; [unrolled: 1-line block ×5, first 2 shown]
	ds_read_b128 v[38:41], v29 offset:896
	s_clause 0x2
	buffer_load_dword v81, off, s[0:3], 0 offset:460
	buffer_load_dword v86, off, s[0:3], 0 offset:436
	;; [unrolled: 1-line block ×3, first 2 shown]
	s_mov_b32 s4, exec_lo
	s_waitcnt vmcnt(62) lgkmcnt(2)
	v_mul_f64 v[76:77], v[32:33], v[9:10]
	v_mul_f64 v[9:10], v[30:31], v[9:10]
	s_waitcnt lgkmcnt(1)
	v_mul_f64 v[83:84], v[36:37], v[5:6]
	s_waitcnt vmcnt(59) lgkmcnt(0)
	v_mul_f64 v[87:88], v[40:41], v[3:4]
	v_fma_f64 v[30:31], v[30:31], v[7:8], -v[76:77]
	v_mul_f64 v[76:77], v[34:35], v[5:6]
	v_fma_f64 v[9:10], v[32:33], v[7:8], v[9:10]
	s_waitcnt vmcnt(57)
	v_fma_f64 v[34:35], v[34:35], v[1:2], -v[83:84]
	ds_read_b128 v[5:8], v29 offset:912
	v_mul_f64 v[32:33], v[38:39], v[3:4]
	s_waitcnt vmcnt(51)
	v_fma_f64 v[38:39], v[38:39], v[25:26], -v[87:88]
	v_add_f64 v[30:31], v[30:31], 0
	v_fma_f64 v[36:37], v[36:37], v[1:2], v[76:77]
	v_add_f64 v[9:10], v[9:10], 0
	s_clause 0x4
	buffer_load_dword v77, off, s[0:3], 0 offset:476
	buffer_load_dword v89, off, s[0:3], 0 offset:488
	;; [unrolled: 1-line block ×5, first 2 shown]
	s_waitcnt lgkmcnt(0)
	v_mul_f64 v[179:180], v[5:6], v[13:14]
	v_mul_f64 v[13:14], v[7:8], v[13:14]
	ds_read_b128 v[1:4], v29 offset:928
	v_fma_f64 v[25:26], v[40:41], v[25:26], v[32:33]
	v_add_f64 v[34:35], v[30:31], v[34:35]
	v_add_f64 v[9:10], v[9:10], v[36:37]
	s_clause 0x2
	buffer_load_dword v90, off, s[0:3], 0 offset:492
	buffer_load_dword v37, off, s[0:3], 0 offset:468
	;; [unrolled: 1-line block ×3, first 2 shown]
	s_waitcnt vmcnt(58) lgkmcnt(0)
	v_mul_f64 v[40:41], v[1:2], v[17:18]
	v_mul_f64 v[17:18], v[3:4], v[17:18]
	s_waitcnt vmcnt(56)
	v_fma_f64 v[13:14], v[5:6], v[19:20], -v[13:14]
	ds_read_b128 v[30:33], v29 offset:944
	v_fma_f64 v[19:20], v[7:8], v[19:20], v[179:180]
	v_add_f64 v[34:35], v[34:35], v[38:39]
	v_add_f64 v[9:10], v[9:10], v[25:26]
	s_clause 0x4
	buffer_load_dword v26, off, s[0:3], 0 offset:508
	buffer_load_dword v38, off, s[0:3], 0 offset:520
	;; [unrolled: 1-line block ×5, first 2 shown]
	ds_read_b128 v[5:8], v29 offset:960
	s_waitcnt vmcnt(57) lgkmcnt(1)
	v_mul_f64 v[179:180], v[30:31], v[21:22]
	v_mul_f64 v[21:22], v[32:33], v[21:22]
	s_waitcnt vmcnt(56)
	v_fma_f64 v[17:18], v[1:2], v[11:12], -v[17:18]
	v_fma_f64 v[11:12], v[3:4], v[11:12], v[40:41]
	v_add_f64 v[13:14], v[34:35], v[13:14]
	v_add_f64 v[9:10], v[9:10], v[19:20]
	s_clause 0x2
	buffer_load_dword v39, off, s[0:3], 0 offset:524
	buffer_load_dword v20, off, s[0:3], 0 offset:500
	;; [unrolled: 1-line block ×3, first 2 shown]
	s_waitcnt vmcnt(58) lgkmcnt(0)
	v_mul_f64 v[34:35], v[5:6], v[27:28]
	v_mul_f64 v[27:28], v[7:8], v[27:28]
	s_waitcnt vmcnt(56)
	v_fma_f64 v[21:22], v[30:31], v[42:43], -v[21:22]
	ds_read_b128 v[1:4], v29 offset:976
	v_add_f64 v[13:14], v[13:14], v[17:18]
	v_fma_f64 v[17:18], v[32:33], v[42:43], v[179:180]
	v_add_f64 v[30:31], v[9:10], v[11:12]
	s_clause 0x4
	buffer_load_dword v33, off, s[0:3], 0 offset:540
	buffer_load_dword v40, off, s[0:3], 0 offset:552
	;; [unrolled: 1-line block ×5, first 2 shown]
	ds_read_b128 v[9:12], v29 offset:992
	s_waitcnt vmcnt(57) lgkmcnt(1)
	v_mul_f64 v[179:180], v[1:2], v[44:45]
	v_mul_f64 v[43:44], v[3:4], v[44:45]
	s_waitcnt vmcnt(56)
	v_fma_f64 v[27:28], v[5:6], v[15:16], -v[27:28]
	v_fma_f64 v[15:16], v[7:8], v[15:16], v[34:35]
	v_add_f64 v[13:14], v[13:14], v[21:22]
	s_clause 0x2
	buffer_load_dword v41, off, s[0:3], 0 offset:556
	buffer_load_dword v22, off, s[0:3], 0 offset:532
	;; [unrolled: 1-line block ×3, first 2 shown]
	v_add_f64 v[17:18], v[30:31], v[17:18]
	s_waitcnt vmcnt(58) lgkmcnt(0)
	v_mul_f64 v[34:35], v[11:12], v[46:47]
	ds_read_b128 v[5:8], v29 offset:1008
	v_mul_f64 v[30:31], v[9:10], v[46:47]
	s_waitcnt vmcnt(56)
	v_fma_f64 v[44:45], v[1:2], v[48:49], -v[43:44]
	v_add_f64 v[13:14], v[13:14], v[27:28]
	v_fma_f64 v[27:28], v[3:4], v[48:49], v[179:180]
	v_add_f64 v[15:16], v[17:18], v[15:16]
	s_clause 0x4
	buffer_load_dword v18, off, s[0:3], 0 offset:572
	buffer_load_dword v46, off, s[0:3], 0 offset:584
	buffer_load_dword v48, off, s[0:3], 0 offset:576
	buffer_load_dword v17, off, s[0:3], 0 offset:568
	buffer_load_dword v43, off, s[0:3], 0 offset:548
	s_waitcnt vmcnt(57) lgkmcnt(0)
	v_mul_f64 v[179:180], v[5:6], v[50:51]
	v_mul_f64 v[49:50], v[7:8], v[50:51]
	s_waitcnt vmcnt(56)
	v_fma_f64 v[34:35], v[9:10], v[23:24], -v[34:35]
	ds_read_b128 v[1:4], v29 offset:1024
	v_fma_f64 v[23:24], v[11:12], v[23:24], v[30:31]
	v_add_f64 v[13:14], v[13:14], v[44:45]
	v_add_f64 v[15:16], v[15:16], v[27:28]
	s_clause 0x2
	buffer_load_dword v47, off, s[0:3], 0 offset:588
	buffer_load_dword v28, off, s[0:3], 0 offset:564
	buffer_load_dword v27, off, s[0:3], 0 offset:560
	ds_read_b128 v[9:12], v29 offset:1040
	s_waitcnt vmcnt(58) lgkmcnt(1)
	v_mul_f64 v[44:45], v[3:4], v[52:53]
	s_waitcnt vmcnt(56)
	v_fma_f64 v[50:51], v[5:6], v[56:57], -v[49:50]
	v_mul_f64 v[30:31], v[1:2], v[52:53]
	v_add_f64 v[13:14], v[13:14], v[34:35]
	v_fma_f64 v[34:35], v[7:8], v[56:57], v[179:180]
	v_add_f64 v[15:16], v[15:16], v[23:24]
	s_clause 0x4
	buffer_load_dword v24, off, s[0:3], 0 offset:604
	buffer_load_dword v52, off, s[0:3], 0 offset:616
	buffer_load_dword v56, off, s[0:3], 0 offset:608
	buffer_load_dword v23, off, s[0:3], 0 offset:600
	buffer_load_dword v49, off, s[0:3], 0 offset:580
	s_waitcnt vmcnt(57) lgkmcnt(0)
	v_mul_f64 v[179:180], v[9:10], v[58:59]
	v_mul_f64 v[57:58], v[11:12], v[58:59]
	s_waitcnt vmcnt(56)
	v_fma_f64 v[44:45], v[1:2], v[54:55], -v[44:45]
	ds_read_b128 v[5:8], v29 offset:1056
	v_fma_f64 v[30:31], v[3:4], v[54:55], v[30:31]
	v_add_f64 v[13:14], v[13:14], v[50:51]
	v_add_f64 v[15:16], v[15:16], v[34:35]
	s_clause 0x2
	buffer_load_dword v53, off, s[0:3], 0 offset:620
	buffer_load_dword v35, off, s[0:3], 0 offset:596
	buffer_load_dword v34, off, s[0:3], 0 offset:592
	ds_read_b128 v[1:4], v29 offset:1072
	s_waitcnt vmcnt(58) lgkmcnt(1)
	v_mul_f64 v[54:55], v[7:8], v[62:63]
	s_waitcnt vmcnt(56)
	v_fma_f64 v[58:59], v[9:10], v[66:67], -v[57:58]
	v_mul_f64 v[50:51], v[5:6], v[62:63]
	;; [unrolled: 28-line block ×4, first 2 shown]
	v_add_f64 v[13:14], v[13:14], v[64:65]
	v_fma_f64 v[64:65], v[7:8], v[85:86], v[179:180]
	v_add_f64 v[15:16], v[15:16], v[58:59]
	s_clause 0x2
	buffer_load_dword v59, off, s[0:3], 0 offset:700
	buffer_load_dword v58, off, s[0:3], 0 offset:696
	;; [unrolled: 1-line block ×3, first 2 shown]
	ds_read_b128 v[5:8], v29 offset:1152
	s_waitcnt vmcnt(55) lgkmcnt(1)
	v_mul_f64 v[80:81], v[9:10], v[76:77]
	v_mul_f64 v[76:77], v[11:12], v[76:77]
	s_waitcnt vmcnt(54)
	v_fma_f64 v[72:73], v[1:2], v[82:83], -v[72:73]
	v_fma_f64 v[68:69], v[3:4], v[82:83], v[68:69]
	v_add_f64 v[13:14], v[13:14], v[78:79]
	v_add_f64 v[15:16], v[15:16], v[64:65]
	s_clause 0x1
	buffer_load_dword v65, off, s[0:3], 0 offset:692
	buffer_load_dword v64, off, s[0:3], 0 offset:688
	ds_read_b128 v[1:4], v29 offset:1168
	s_waitcnt vmcnt(55) lgkmcnt(1)
	v_mul_f64 v[82:83], v[7:8], v[89:90]
	v_mul_f64 v[78:79], v[5:6], v[89:90]
	s_waitcnt vmcnt(53)
	v_fma_f64 v[76:77], v[9:10], v[36:37], -v[76:77]
	v_fma_f64 v[36:37], v[11:12], v[36:37], v[80:81]
	ds_read_b128 v[9:12], v29 offset:1184
	v_add_f64 v[13:14], v[13:14], v[72:73]
	v_add_f64 v[15:16], v[15:16], v[68:69]
	s_waitcnt vmcnt(49) lgkmcnt(1)
	v_mul_f64 v[68:69], v[1:2], v[25:26]
	v_mul_f64 v[25:26], v[3:4], v[25:26]
	s_waitcnt vmcnt(48)
	v_fma_f64 v[72:73], v[5:6], v[91:92], -v[82:83]
	v_add_f64 v[13:14], v[13:14], v[76:77]
	v_fma_f64 v[76:77], v[7:8], v[91:92], v[78:79]
	v_add_f64 v[15:16], v[15:16], v[36:37]
	s_clause 0x3
	buffer_load_dword v36, off, s[0:3], 0 offset:176
	buffer_load_dword v37, off, s[0:3], 0 offset:180
	;; [unrolled: 1-line block ×4, first 2 shown]
	ds_read_b128 v[5:8], v29 offset:1200
	s_waitcnt vmcnt(51) lgkmcnt(1)
	v_mul_f64 v[80:81], v[9:10], v[38:39]
	v_mul_f64 v[38:39], v[11:12], v[38:39]
	s_waitcnt vmcnt(49)
	v_fma_f64 v[25:26], v[1:2], v[19:20], -v[25:26]
	v_fma_f64 v[19:20], v[3:4], v[19:20], v[68:69]
	ds_read_b128 v[1:4], v29 offset:1216
	v_add_f64 v[13:14], v[13:14], v[72:73]
	v_add_f64 v[15:16], v[15:16], v[76:77]
	s_waitcnt vmcnt(45) lgkmcnt(1)
	v_mul_f64 v[68:69], v[5:6], v[32:33]
	v_mul_f64 v[32:33], v[7:8], v[32:33]
	s_waitcnt vmcnt(44)
	v_fma_f64 v[38:39], v[9:10], v[87:88], -v[38:39]
	v_add_f64 v[13:14], v[13:14], v[25:26]
	v_fma_f64 v[25:26], v[11:12], v[87:88], v[80:81]
	v_add_f64 v[15:16], v[15:16], v[19:20]
	ds_read_b128 v[9:12], v29 offset:1232
	s_waitcnt vmcnt(43) lgkmcnt(1)
	v_mul_f64 v[19:20], v[1:2], v[40:41]
	v_mul_f64 v[40:41], v[3:4], v[40:41]
	s_waitcnt vmcnt(41)
	v_fma_f64 v[32:33], v[5:6], v[21:22], -v[32:33]
	v_fma_f64 v[21:22], v[7:8], v[21:22], v[68:69]
	ds_read_b128 v[5:8], v29 offset:1248
	v_add_f64 v[13:14], v[13:14], v[38:39]
	v_add_f64 v[15:16], v[15:16], v[25:26]
	s_waitcnt vmcnt(37) lgkmcnt(1)
	v_mul_f64 v[25:26], v[9:10], v[17:18]
	v_mul_f64 v[17:18], v[11:12], v[17:18]
	s_waitcnt vmcnt(36)
	v_fma_f64 v[38:39], v[1:2], v[42:43], -v[40:41]
	v_fma_f64 v[19:20], v[3:4], v[42:43], v[19:20]
	ds_read_b128 v[1:4], v29 offset:1264
	v_add_f64 v[13:14], v[13:14], v[32:33]
	v_add_f64 v[15:16], v[15:16], v[21:22]
	;; [unrolled: 9-line block ×3, first 2 shown]
	s_waitcnt vmcnt(29) lgkmcnt(1)
	v_mul_f64 v[19:20], v[1:2], v[23:24]
	v_mul_f64 v[23:24], v[3:4], v[23:24]
	s_waitcnt vmcnt(28)
	v_fma_f64 v[27:28], v[5:6], v[48:49], -v[32:33]
	v_add_f64 v[13:14], v[13:14], v[17:18]
	v_fma_f64 v[17:18], v[7:8], v[48:49], v[21:22]
	v_add_f64 v[15:16], v[15:16], v[25:26]
	ds_read_b128 v[5:8], v29 offset:1296
	s_waitcnt vmcnt(27) lgkmcnt(1)
	v_mul_f64 v[25:26], v[11:12], v[52:53]
	v_mul_f64 v[21:22], v[9:10], v[52:53]
	s_waitcnt vmcnt(25)
	v_fma_f64 v[23:24], v[1:2], v[34:35], -v[23:24]
	v_fma_f64 v[19:20], v[3:4], v[34:35], v[19:20]
	ds_read_b128 v[1:4], v29 offset:1312
	v_add_f64 v[13:14], v[13:14], v[27:28]
	v_add_f64 v[15:16], v[15:16], v[17:18]
	s_waitcnt vmcnt(21) lgkmcnt(1)
	v_mul_f64 v[27:28], v[7:8], v[30:31]
	s_waitcnt vmcnt(20)
	v_fma_f64 v[25:26], v[9:10], v[56:57], -v[25:26]
	v_mul_f64 v[17:18], v[5:6], v[30:31]
	v_fma_f64 v[21:22], v[11:12], v[56:57], v[21:22]
	ds_read_b128 v[9:12], v29 offset:1328
	v_add_f64 v[13:14], v[13:14], v[23:24]
	v_add_f64 v[15:16], v[15:16], v[19:20]
	s_waitcnt vmcnt(19) lgkmcnt(1)
	v_mul_f64 v[23:24], v[3:4], v[62:63]
	v_mul_f64 v[19:20], v[1:2], v[62:63]
	s_waitcnt vmcnt(17)
	v_fma_f64 v[27:28], v[5:6], v[44:45], -v[27:28]
	v_fma_f64 v[17:18], v[7:8], v[44:45], v[17:18]
	ds_read_b128 v[5:8], v29 offset:1344
	v_add_f64 v[13:14], v[13:14], v[25:26]
	v_add_f64 v[15:16], v[15:16], v[21:22]
	s_waitcnt vmcnt(13) lgkmcnt(1)
	v_mul_f64 v[25:26], v[11:12], v[50:51]
	s_waitcnt vmcnt(12)
	v_fma_f64 v[23:24], v[1:2], v[66:67], -v[23:24]
	v_mul_f64 v[21:22], v[9:10], v[50:51]
	v_fma_f64 v[19:20], v[3:4], v[66:67], v[19:20]
	ds_read_b128 v[1:4], v29 offset:1360
	v_add_f64 v[13:14], v[13:14], v[27:28]
	v_add_f64 v[15:16], v[15:16], v[17:18]
	s_waitcnt vmcnt(11) lgkmcnt(1)
	v_mul_f64 v[27:28], v[7:8], v[70:71]
	v_mul_f64 v[17:18], v[5:6], v[70:71]
	s_waitcnt vmcnt(9)
	v_fma_f64 v[9:10], v[9:10], v[54:55], -v[25:26]
	v_fma_f64 v[11:12], v[11:12], v[54:55], v[21:22]
	v_add_f64 v[13:14], v[13:14], v[23:24]
	v_add_f64 v[15:16], v[15:16], v[19:20]
	s_waitcnt vmcnt(7) lgkmcnt(0)
	v_mul_f64 v[21:22], v[3:4], v[58:59]
	s_waitcnt vmcnt(6)
	v_fma_f64 v[5:6], v[5:6], v[74:75], -v[27:28]
	v_mul_f64 v[19:20], v[1:2], v[58:59]
	v_fma_f64 v[7:8], v[7:8], v[74:75], v[17:18]
	v_add_f64 v[9:10], v[13:14], v[9:10]
	v_add_f64 v[11:12], v[15:16], v[11:12]
	s_waitcnt vmcnt(4)
	v_fma_f64 v[1:2], v[1:2], v[64:65], -v[21:22]
	v_fma_f64 v[3:4], v[3:4], v[64:65], v[19:20]
	v_add_f64 v[5:6], v[9:10], v[5:6]
	v_add_f64 v[7:8], v[11:12], v[7:8]
	;; [unrolled: 1-line block ×4, first 2 shown]
	s_waitcnt vmcnt(2)
	v_add_f64 v[1:2], v[36:37], -v[1:2]
	s_waitcnt vmcnt(0)
	v_add_f64 v[3:4], v[78:79], -v[3:4]
	buffer_store_dword v2, off, s[0:3], 0 offset:180
	buffer_store_dword v1, off, s[0:3], 0 offset:176
	;; [unrolled: 1-line block ×4, first 2 shown]
	v_cmpx_lt_u32_e32 9, v0
	s_cbranch_execz .LBB42_253
; %bb.252:
	v_mov_b32_e32 v4, s44
	v_mov_b32_e32 v5, 0
	s_clause 0x3
	buffer_load_dword v1, v4, s[0:3], 0 offen
	buffer_load_dword v2, v4, s[0:3], 0 offen offset:4
	buffer_load_dword v3, v4, s[0:3], 0 offen offset:8
	;; [unrolled: 1-line block ×3, first 2 shown]
	buffer_store_dword v5, off, s[0:3], 0 offset:160
	buffer_store_dword v5, off, s[0:3], 0 offset:164
	;; [unrolled: 1-line block ×4, first 2 shown]
	s_waitcnt vmcnt(0)
	ds_write_b128 v61, v[1:4]
.LBB42_253:
	s_or_b32 exec_lo, exec_lo, s4
	s_waitcnt lgkmcnt(0)
	s_waitcnt_vscnt null, 0x0
	s_barrier
	buffer_gl0_inv
	s_clause 0x37
	buffer_load_dword v9, off, s[0:3], 0 offset:184
	buffer_load_dword v10, off, s[0:3], 0 offset:188
	;; [unrolled: 1-line block ×56, first 2 shown]
	v_mov_b32_e32 v51, 0
	s_mov_b32 s4, exec_lo
	ds_read_b128 v[39:42], v51 offset:848
	s_clause 0x2
	buffer_load_dword v71, off, s[0:3], 0 offset:412
	buffer_load_dword v75, off, s[0:3], 0 offset:388
	;; [unrolled: 1-line block ×3, first 2 shown]
	ds_read_b128 v[43:46], v51 offset:864
	s_clause 0x4
	buffer_load_dword v79, off, s[0:3], 0 offset:428
	buffer_load_dword v80, off, s[0:3], 0 offset:440
	;; [unrolled: 1-line block ×5, first 2 shown]
	ds_read_b128 v[47:50], v51 offset:880
	s_clause 0x2
	buffer_load_dword v81, off, s[0:3], 0 offset:444
	buffer_load_dword v86, off, s[0:3], 0 offset:420
	;; [unrolled: 1-line block ×3, first 2 shown]
	s_waitcnt vmcnt(62) lgkmcnt(2)
	v_mul_f64 v[76:77], v[41:42], v[9:10]
	v_mul_f64 v[9:10], v[39:40], v[9:10]
	s_waitcnt lgkmcnt(1)
	v_mul_f64 v[83:84], v[45:46], v[5:6]
	s_waitcnt vmcnt(59) lgkmcnt(0)
	v_mul_f64 v[87:88], v[49:50], v[3:4]
	v_fma_f64 v[39:40], v[39:40], v[7:8], -v[76:77]
	v_mul_f64 v[76:77], v[43:44], v[5:6]
	v_fma_f64 v[9:10], v[41:42], v[7:8], v[9:10]
	s_waitcnt vmcnt(57)
	v_fma_f64 v[43:44], v[43:44], v[1:2], -v[83:84]
	ds_read_b128 v[5:8], v51 offset:896
	v_mul_f64 v[41:42], v[47:48], v[3:4]
	s_waitcnt vmcnt(51)
	v_fma_f64 v[47:48], v[47:48], v[25:26], -v[87:88]
	v_add_f64 v[39:40], v[39:40], 0
	v_fma_f64 v[45:46], v[45:46], v[1:2], v[76:77]
	v_add_f64 v[9:10], v[9:10], 0
	s_clause 0x4
	buffer_load_dword v77, off, s[0:3], 0 offset:460
	buffer_load_dword v89, off, s[0:3], 0 offset:472
	;; [unrolled: 1-line block ×5, first 2 shown]
	s_waitcnt lgkmcnt(0)
	v_mul_f64 v[179:180], v[5:6], v[13:14]
	v_mul_f64 v[13:14], v[7:8], v[13:14]
	ds_read_b128 v[1:4], v51 offset:912
	v_fma_f64 v[25:26], v[49:50], v[25:26], v[41:42]
	v_add_f64 v[43:44], v[39:40], v[43:44]
	v_add_f64 v[9:10], v[9:10], v[45:46]
	s_clause 0x2
	buffer_load_dword v90, off, s[0:3], 0 offset:476
	buffer_load_dword v46, off, s[0:3], 0 offset:452
	;; [unrolled: 1-line block ×3, first 2 shown]
	s_waitcnt vmcnt(58) lgkmcnt(0)
	v_mul_f64 v[49:50], v[1:2], v[17:18]
	v_mul_f64 v[17:18], v[3:4], v[17:18]
	s_waitcnt vmcnt(56)
	v_fma_f64 v[13:14], v[5:6], v[19:20], -v[13:14]
	ds_read_b128 v[39:42], v51 offset:928
	v_fma_f64 v[19:20], v[7:8], v[19:20], v[179:180]
	v_add_f64 v[43:44], v[43:44], v[47:48]
	v_add_f64 v[9:10], v[9:10], v[25:26]
	s_clause 0x4
	buffer_load_dword v26, off, s[0:3], 0 offset:492
	buffer_load_dword v47, off, s[0:3], 0 offset:504
	buffer_load_dword v87, off, s[0:3], 0 offset:496
	buffer_load_dword v25, off, s[0:3], 0 offset:488
	buffer_load_dword v92, off, s[0:3], 0 offset:468
	ds_read_b128 v[5:8], v51 offset:944
	s_waitcnt vmcnt(57) lgkmcnt(1)
	v_mul_f64 v[179:180], v[39:40], v[21:22]
	v_mul_f64 v[21:22], v[41:42], v[21:22]
	s_waitcnt vmcnt(56)
	v_fma_f64 v[17:18], v[1:2], v[11:12], -v[17:18]
	v_fma_f64 v[11:12], v[3:4], v[11:12], v[49:50]
	v_add_f64 v[13:14], v[43:44], v[13:14]
	v_add_f64 v[9:10], v[9:10], v[19:20]
	s_clause 0x2
	buffer_load_dword v48, off, s[0:3], 0 offset:508
	buffer_load_dword v20, off, s[0:3], 0 offset:484
	buffer_load_dword v19, off, s[0:3], 0 offset:480
	s_waitcnt vmcnt(58) lgkmcnt(0)
	v_mul_f64 v[43:44], v[5:6], v[27:28]
	v_mul_f64 v[27:28], v[7:8], v[27:28]
	s_waitcnt vmcnt(56)
	v_fma_f64 v[21:22], v[39:40], v[29:30], -v[21:22]
	ds_read_b128 v[1:4], v51 offset:960
	v_add_f64 v[13:14], v[13:14], v[17:18]
	v_fma_f64 v[17:18], v[41:42], v[29:30], v[179:180]
	v_add_f64 v[29:30], v[9:10], v[11:12]
	s_clause 0x4
	buffer_load_dword v40, off, s[0:3], 0 offset:524
	buffer_load_dword v41, off, s[0:3], 0 offset:536
	;; [unrolled: 1-line block ×5, first 2 shown]
	ds_read_b128 v[9:12], v51 offset:976
	s_waitcnt vmcnt(57) lgkmcnt(1)
	v_mul_f64 v[179:180], v[1:2], v[31:32]
	v_mul_f64 v[31:32], v[3:4], v[31:32]
	s_waitcnt vmcnt(56)
	v_fma_f64 v[27:28], v[5:6], v[15:16], -v[27:28]
	v_fma_f64 v[15:16], v[7:8], v[15:16], v[43:44]
	v_add_f64 v[13:14], v[13:14], v[21:22]
	s_clause 0x2
	buffer_load_dword v42, off, s[0:3], 0 offset:540
	buffer_load_dword v22, off, s[0:3], 0 offset:516
	;; [unrolled: 1-line block ×3, first 2 shown]
	v_add_f64 v[17:18], v[29:30], v[17:18]
	s_waitcnt vmcnt(58) lgkmcnt(0)
	v_mul_f64 v[29:30], v[9:10], v[35:36]
	v_mul_f64 v[35:36], v[11:12], v[35:36]
	ds_read_b128 v[5:8], v51 offset:992
	s_waitcnt vmcnt(56)
	v_fma_f64 v[31:32], v[1:2], v[37:38], -v[31:32]
	v_add_f64 v[13:14], v[13:14], v[27:28]
	v_fma_f64 v[27:28], v[3:4], v[37:38], v[179:180]
	v_add_f64 v[15:16], v[17:18], v[15:16]
	s_clause 0x4
	buffer_load_dword v18, off, s[0:3], 0 offset:556
	buffer_load_dword v37, off, s[0:3], 0 offset:568
	;; [unrolled: 1-line block ×5, first 2 shown]
	s_waitcnt vmcnt(57) lgkmcnt(0)
	v_mul_f64 v[179:180], v[5:6], v[52:53]
	v_mul_f64 v[52:53], v[7:8], v[52:53]
	s_waitcnt vmcnt(56)
	v_fma_f64 v[35:36], v[9:10], v[23:24], -v[35:36]
	ds_read_b128 v[1:4], v51 offset:1008
	v_fma_f64 v[23:24], v[11:12], v[23:24], v[29:30]
	v_add_f64 v[13:14], v[13:14], v[31:32]
	v_add_f64 v[15:16], v[15:16], v[27:28]
	s_clause 0x2
	buffer_load_dword v38, off, s[0:3], 0 offset:572
	buffer_load_dword v28, off, s[0:3], 0 offset:548
	;; [unrolled: 1-line block ×3, first 2 shown]
	ds_read_b128 v[9:12], v51 offset:1024
	s_waitcnt vmcnt(58) lgkmcnt(1)
	v_mul_f64 v[31:32], v[3:4], v[54:55]
	s_waitcnt vmcnt(56)
	v_fma_f64 v[52:53], v[5:6], v[56:57], -v[52:53]
	v_mul_f64 v[29:30], v[1:2], v[54:55]
	v_add_f64 v[13:14], v[13:14], v[35:36]
	v_fma_f64 v[35:36], v[7:8], v[56:57], v[179:180]
	v_add_f64 v[15:16], v[15:16], v[23:24]
	s_clause 0x4
	buffer_load_dword v24, off, s[0:3], 0 offset:588
	buffer_load_dword v54, off, s[0:3], 0 offset:600
	;; [unrolled: 1-line block ×5, first 2 shown]
	s_waitcnt vmcnt(57) lgkmcnt(0)
	v_mul_f64 v[179:180], v[9:10], v[58:59]
	v_mul_f64 v[57:58], v[11:12], v[58:59]
	s_waitcnt vmcnt(56)
	v_fma_f64 v[31:32], v[1:2], v[33:34], -v[31:32]
	ds_read_b128 v[5:8], v51 offset:1040
	v_fma_f64 v[29:30], v[3:4], v[33:34], v[29:30]
	s_clause 0x2
	buffer_load_dword v55, off, s[0:3], 0 offset:604
	buffer_load_dword v34, off, s[0:3], 0 offset:580
	;; [unrolled: 1-line block ×3, first 2 shown]
	ds_read_b128 v[1:4], v51 offset:1056
	v_add_f64 v[13:14], v[13:14], v[52:53]
	v_add_f64 v[15:16], v[15:16], v[35:36]
	s_waitcnt vmcnt(58) lgkmcnt(1)
	v_mul_f64 v[52:53], v[7:8], v[62:63]
	s_waitcnt vmcnt(56)
	v_fma_f64 v[58:59], v[9:10], v[66:67], -v[57:58]
	v_mul_f64 v[35:36], v[5:6], v[62:63]
	v_add_f64 v[13:14], v[13:14], v[31:32]
	v_fma_f64 v[31:32], v[11:12], v[66:67], v[179:180]
	v_add_f64 v[15:16], v[15:16], v[29:30]
	s_clause 0x4
	buffer_load_dword v30, off, s[0:3], 0 offset:620
	buffer_load_dword v62, off, s[0:3], 0 offset:632
	;; [unrolled: 1-line block ×5, first 2 shown]
	s_waitcnt vmcnt(57) lgkmcnt(0)
	v_mul_f64 v[179:180], v[1:2], v[68:69]
	v_mul_f64 v[67:68], v[3:4], v[68:69]
	s_waitcnt vmcnt(56)
	v_fma_f64 v[52:53], v[5:6], v[64:65], -v[52:53]
	ds_read_b128 v[9:12], v51 offset:1072
	v_fma_f64 v[35:36], v[7:8], v[64:65], v[35:36]
	v_add_f64 v[13:14], v[13:14], v[58:59]
	v_add_f64 v[15:16], v[15:16], v[31:32]
	s_clause 0x2
	buffer_load_dword v63, off, s[0:3], 0 offset:636
	buffer_load_dword v32, off, s[0:3], 0 offset:612
	;; [unrolled: 1-line block ×3, first 2 shown]
	ds_read_b128 v[5:8], v51 offset:1088
	s_waitcnt vmcnt(58) lgkmcnt(1)
	v_mul_f64 v[64:65], v[11:12], v[70:71]
	s_waitcnt vmcnt(56)
	v_fma_f64 v[68:69], v[1:2], v[74:75], -v[67:68]
	v_mul_f64 v[58:59], v[9:10], v[70:71]
	v_add_f64 v[13:14], v[13:14], v[52:53]
	v_fma_f64 v[52:53], v[3:4], v[74:75], v[179:180]
	v_add_f64 v[15:16], v[15:16], v[35:36]
	s_clause 0x4
	buffer_load_dword v36, off, s[0:3], 0 offset:652
	buffer_load_dword v70, off, s[0:3], 0 offset:664
	;; [unrolled: 1-line block ×5, first 2 shown]
	s_waitcnt vmcnt(57) lgkmcnt(0)
	v_mul_f64 v[179:180], v[5:6], v[78:79]
	v_mul_f64 v[78:79], v[7:8], v[78:79]
	s_waitcnt vmcnt(56)
	v_fma_f64 v[64:65], v[9:10], v[72:73], -v[64:65]
	ds_read_b128 v[1:4], v51 offset:1104
	v_fma_f64 v[58:59], v[11:12], v[72:73], v[58:59]
	v_add_f64 v[13:14], v[13:14], v[68:69]
	v_add_f64 v[15:16], v[15:16], v[52:53]
	s_clause 0x2
	buffer_load_dword v71, off, s[0:3], 0 offset:668
	buffer_load_dword v53, off, s[0:3], 0 offset:644
	;; [unrolled: 1-line block ×3, first 2 shown]
	ds_read_b128 v[9:12], v51 offset:1120
	s_waitcnt vmcnt(58) lgkmcnt(1)
	v_mul_f64 v[72:73], v[3:4], v[80:81]
	s_waitcnt vmcnt(56)
	v_fma_f64 v[78:79], v[5:6], v[85:86], -v[78:79]
	v_mul_f64 v[68:69], v[1:2], v[80:81]
	v_add_f64 v[13:14], v[13:14], v[64:65]
	v_fma_f64 v[64:65], v[7:8], v[85:86], v[179:180]
	v_add_f64 v[15:16], v[15:16], v[58:59]
	s_clause 0x4
	buffer_load_dword v59, off, s[0:3], 0 offset:684
	buffer_load_dword v80, off, s[0:3], 0 offset:696
	;; [unrolled: 1-line block ×5, first 2 shown]
	ds_read_b128 v[5:8], v51 offset:1136
	s_waitcnt vmcnt(57) lgkmcnt(1)
	v_mul_f64 v[85:86], v[9:10], v[76:77]
	v_mul_f64 v[76:77], v[11:12], v[76:77]
	s_waitcnt vmcnt(56)
	v_fma_f64 v[72:73], v[1:2], v[82:83], -v[72:73]
	v_fma_f64 v[68:69], v[3:4], v[82:83], v[68:69]
	v_add_f64 v[13:14], v[13:14], v[78:79]
	v_add_f64 v[15:16], v[15:16], v[64:65]
	s_clause 0x2
	buffer_load_dword v81, off, s[0:3], 0 offset:700
	buffer_load_dword v65, off, s[0:3], 0 offset:676
	;; [unrolled: 1-line block ×3, first 2 shown]
	ds_read_b128 v[1:4], v51 offset:1152
	s_waitcnt vmcnt(58) lgkmcnt(1)
	v_mul_f64 v[82:83], v[7:8], v[89:90]
	v_mul_f64 v[78:79], v[5:6], v[89:90]
	s_waitcnt vmcnt(56)
	v_fma_f64 v[76:77], v[9:10], v[45:46], -v[76:77]
	v_fma_f64 v[45:46], v[11:12], v[45:46], v[85:86]
	buffer_load_dword v85, off, s[0:3], 0 offset:692
	ds_read_b128 v[9:12], v51 offset:1168
	v_add_f64 v[13:14], v[13:14], v[72:73]
	v_add_f64 v[15:16], v[15:16], v[68:69]
	s_waitcnt vmcnt(53) lgkmcnt(1)
	v_mul_f64 v[68:69], v[1:2], v[25:26]
	v_mul_f64 v[25:26], v[3:4], v[25:26]
	s_waitcnt vmcnt(52)
	v_fma_f64 v[72:73], v[5:6], v[91:92], -v[82:83]
	v_add_f64 v[13:14], v[13:14], v[76:77]
	v_fma_f64 v[76:77], v[7:8], v[91:92], v[78:79]
	v_add_f64 v[15:16], v[15:16], v[45:46]
	ds_read_b128 v[5:8], v51 offset:1184
	s_waitcnt vmcnt(51) lgkmcnt(1)
	v_mul_f64 v[45:46], v[9:10], v[47:48]
	v_mul_f64 v[47:48], v[11:12], v[47:48]
	s_waitcnt vmcnt(49)
	v_fma_f64 v[25:26], v[1:2], v[19:20], -v[25:26]
	v_fma_f64 v[19:20], v[3:4], v[19:20], v[68:69]
	v_add_f64 v[13:14], v[13:14], v[72:73]
	s_clause 0x3
	buffer_load_dword v68, off, s[0:3], 0 offset:160
	buffer_load_dword v69, off, s[0:3], 0 offset:164
	;; [unrolled: 1-line block ×4, first 2 shown]
	v_add_f64 v[15:16], v[15:16], v[76:77]
	ds_read_b128 v[1:4], v51 offset:1200
	s_waitcnt vmcnt(49) lgkmcnt(1)
	v_mul_f64 v[76:77], v[5:6], v[39:40]
	v_mul_f64 v[39:40], v[7:8], v[39:40]
	s_waitcnt vmcnt(48)
	v_fma_f64 v[47:48], v[9:10], v[87:88], -v[47:48]
	v_add_f64 v[13:14], v[13:14], v[25:26]
	v_fma_f64 v[25:26], v[11:12], v[87:88], v[45:46]
	v_add_f64 v[15:16], v[15:16], v[19:20]
	ds_read_b128 v[9:12], v51 offset:1216
	s_waitcnt vmcnt(47) lgkmcnt(1)
	v_mul_f64 v[19:20], v[1:2], v[41:42]
	v_mul_f64 v[41:42], v[3:4], v[41:42]
	s_waitcnt vmcnt(45)
	v_fma_f64 v[39:40], v[5:6], v[21:22], -v[39:40]
	v_fma_f64 v[21:22], v[7:8], v[21:22], v[76:77]
	ds_read_b128 v[5:8], v51 offset:1232
	v_add_f64 v[13:14], v[13:14], v[47:48]
	v_add_f64 v[15:16], v[15:16], v[25:26]
	s_waitcnt vmcnt(41) lgkmcnt(1)
	v_mul_f64 v[25:26], v[9:10], v[17:18]
	v_mul_f64 v[17:18], v[11:12], v[17:18]
	s_waitcnt vmcnt(40)
	v_fma_f64 v[41:42], v[1:2], v[49:50], -v[41:42]
	v_fma_f64 v[19:20], v[3:4], v[49:50], v[19:20]
	ds_read_b128 v[1:4], v51 offset:1248
	v_add_f64 v[13:14], v[13:14], v[39:40]
	v_add_f64 v[15:16], v[15:16], v[21:22]
	;; [unrolled: 9-line block ×3, first 2 shown]
	s_waitcnt vmcnt(33) lgkmcnt(1)
	v_mul_f64 v[19:20], v[1:2], v[23:24]
	v_mul_f64 v[23:24], v[3:4], v[23:24]
	s_waitcnt vmcnt(32)
	v_fma_f64 v[27:28], v[5:6], v[43:44], -v[37:38]
	v_add_f64 v[13:14], v[13:14], v[17:18]
	v_fma_f64 v[17:18], v[7:8], v[43:44], v[21:22]
	v_add_f64 v[15:16], v[15:16], v[25:26]
	ds_read_b128 v[5:8], v51 offset:1280
	s_waitcnt vmcnt(31) lgkmcnt(1)
	v_mul_f64 v[25:26], v[11:12], v[54:55]
	v_mul_f64 v[21:22], v[9:10], v[54:55]
	s_waitcnt vmcnt(29)
	v_fma_f64 v[19:20], v[3:4], v[33:34], v[19:20]
	v_fma_f64 v[23:24], v[1:2], v[33:34], -v[23:24]
	ds_read_b128 v[1:4], v51 offset:1296
	v_add_f64 v[13:14], v[13:14], v[27:28]
	v_add_f64 v[15:16], v[15:16], v[17:18]
	s_waitcnt vmcnt(25) lgkmcnt(1)
	v_mul_f64 v[27:28], v[7:8], v[29:30]
	s_waitcnt vmcnt(24)
	v_fma_f64 v[25:26], v[9:10], v[56:57], -v[25:26]
	v_mul_f64 v[17:18], v[5:6], v[29:30]
	v_fma_f64 v[21:22], v[11:12], v[56:57], v[21:22]
	ds_read_b128 v[9:12], v51 offset:1312
	v_add_f64 v[13:14], v[13:14], v[23:24]
	v_add_f64 v[15:16], v[15:16], v[19:20]
	s_waitcnt vmcnt(23) lgkmcnt(1)
	v_mul_f64 v[23:24], v[3:4], v[62:63]
	v_mul_f64 v[19:20], v[1:2], v[62:63]
	s_waitcnt vmcnt(21)
	v_fma_f64 v[27:28], v[5:6], v[31:32], -v[27:28]
	v_fma_f64 v[17:18], v[7:8], v[31:32], v[17:18]
	ds_read_b128 v[5:8], v51 offset:1328
	v_add_f64 v[13:14], v[13:14], v[25:26]
	v_add_f64 v[15:16], v[15:16], v[21:22]
	s_waitcnt vmcnt(17) lgkmcnt(1)
	v_mul_f64 v[25:26], v[11:12], v[35:36]
	s_waitcnt vmcnt(16)
	v_fma_f64 v[23:24], v[1:2], v[66:67], -v[23:24]
	v_mul_f64 v[21:22], v[9:10], v[35:36]
	v_fma_f64 v[19:20], v[3:4], v[66:67], v[19:20]
	ds_read_b128 v[1:4], v51 offset:1344
	v_add_f64 v[13:14], v[13:14], v[27:28]
	v_add_f64 v[15:16], v[15:16], v[17:18]
	s_waitcnt vmcnt(15) lgkmcnt(1)
	v_mul_f64 v[27:28], v[7:8], v[70:71]
	v_mul_f64 v[17:18], v[5:6], v[70:71]
	s_waitcnt vmcnt(13)
	v_fma_f64 v[25:26], v[9:10], v[52:53], -v[25:26]
	v_fma_f64 v[21:22], v[11:12], v[52:53], v[21:22]
	ds_read_b128 v[9:12], v51 offset:1360
	v_add_f64 v[13:14], v[13:14], v[23:24]
	v_add_f64 v[15:16], v[15:16], v[19:20]
	s_waitcnt vmcnt(9) lgkmcnt(1)
	v_mul_f64 v[23:24], v[3:4], v[58:59]
	s_waitcnt vmcnt(8)
	v_fma_f64 v[5:6], v[5:6], v[74:75], -v[27:28]
	v_mul_f64 v[19:20], v[1:2], v[58:59]
	v_fma_f64 v[7:8], v[7:8], v[74:75], v[17:18]
	v_add_f64 v[13:14], v[13:14], v[25:26]
	v_add_f64 v[15:16], v[15:16], v[21:22]
	s_waitcnt vmcnt(7) lgkmcnt(0)
	v_mul_f64 v[21:22], v[11:12], v[80:81]
	v_mul_f64 v[17:18], v[9:10], v[80:81]
	s_waitcnt vmcnt(5)
	v_fma_f64 v[1:2], v[1:2], v[64:65], -v[23:24]
	v_fma_f64 v[3:4], v[3:4], v[64:65], v[19:20]
	v_add_f64 v[5:6], v[13:14], v[5:6]
	v_add_f64 v[7:8], v[15:16], v[7:8]
	s_waitcnt vmcnt(4)
	v_fma_f64 v[9:10], v[9:10], v[84:85], -v[21:22]
	v_add_f64 v[1:2], v[5:6], v[1:2]
	v_fma_f64 v[5:6], v[11:12], v[84:85], v[17:18]
	v_add_f64 v[3:4], v[7:8], v[3:4]
	v_add_f64 v[1:2], v[1:2], v[9:10]
	;; [unrolled: 1-line block ×3, first 2 shown]
	s_waitcnt vmcnt(2)
	v_add_f64 v[1:2], v[68:69], -v[1:2]
	s_waitcnt vmcnt(0)
	v_add_f64 v[3:4], v[72:73], -v[3:4]
	buffer_store_dword v2, off, s[0:3], 0 offset:164
	buffer_store_dword v1, off, s[0:3], 0 offset:160
	;; [unrolled: 1-line block ×4, first 2 shown]
	v_cmpx_lt_u32_e32 8, v0
	s_cbranch_execz .LBB42_255
; %bb.254:
	v_mov_b32_e32 v4, s46
	s_clause 0x3
	buffer_load_dword v1, v4, s[0:3], 0 offen
	buffer_load_dword v2, v4, s[0:3], 0 offen offset:4
	buffer_load_dword v3, v4, s[0:3], 0 offen offset:8
	;; [unrolled: 1-line block ×3, first 2 shown]
	buffer_store_dword v51, off, s[0:3], 0 offset:144
	buffer_store_dword v51, off, s[0:3], 0 offset:148
	;; [unrolled: 1-line block ×4, first 2 shown]
	s_waitcnt vmcnt(0)
	ds_write_b128 v61, v[1:4]
.LBB42_255:
	s_or_b32 exec_lo, exec_lo, s4
	s_waitcnt lgkmcnt(0)
	s_waitcnt_vscnt null, 0x0
	s_barrier
	buffer_gl0_inv
	s_clause 0x37
	buffer_load_dword v9, off, s[0:3], 0 offset:168
	buffer_load_dword v10, off, s[0:3], 0 offset:172
	;; [unrolled: 1-line block ×56, first 2 shown]
	ds_read_b128 v[52:55], v51 offset:832
	s_clause 0x2
	buffer_load_dword v73, off, s[0:3], 0 offset:396
	buffer_load_dword v75, off, s[0:3], 0 offset:372
	;; [unrolled: 1-line block ×3, first 2 shown]
	ds_read_b128 v[56:59], v51 offset:848
	s_clause 0x4
	buffer_load_dword v79, off, s[0:3], 0 offset:412
	buffer_load_dword v80, off, s[0:3], 0 offset:424
	;; [unrolled: 1-line block ×5, first 2 shown]
	ds_read_b128 v[62:65], v51 offset:864
	s_clause 0x2
	buffer_load_dword v81, off, s[0:3], 0 offset:428
	buffer_load_dword v86, off, s[0:3], 0 offset:404
	buffer_load_dword v85, off, s[0:3], 0 offset:400
	s_mov_b32 s4, exec_lo
	s_waitcnt vmcnt(62) lgkmcnt(2)
	v_mul_f64 v[76:77], v[54:55], v[9:10]
	v_mul_f64 v[9:10], v[52:53], v[9:10]
	s_waitcnt lgkmcnt(1)
	v_mul_f64 v[83:84], v[58:59], v[5:6]
	s_waitcnt vmcnt(59) lgkmcnt(0)
	v_mul_f64 v[87:88], v[64:65], v[3:4]
	v_fma_f64 v[52:53], v[52:53], v[7:8], -v[76:77]
	v_mul_f64 v[76:77], v[56:57], v[5:6]
	v_fma_f64 v[9:10], v[54:55], v[7:8], v[9:10]
	s_waitcnt vmcnt(57)
	v_fma_f64 v[56:57], v[56:57], v[1:2], -v[83:84]
	ds_read_b128 v[5:8], v51 offset:880
	v_mul_f64 v[54:55], v[62:63], v[3:4]
	s_waitcnt vmcnt(51)
	v_fma_f64 v[62:63], v[62:63], v[25:26], -v[87:88]
	v_add_f64 v[52:53], v[52:53], 0
	v_fma_f64 v[58:59], v[58:59], v[1:2], v[76:77]
	v_add_f64 v[9:10], v[9:10], 0
	s_clause 0x4
	buffer_load_dword v77, off, s[0:3], 0 offset:444
	buffer_load_dword v89, off, s[0:3], 0 offset:456
	buffer_load_dword v91, off, s[0:3], 0 offset:448
	buffer_load_dword v76, off, s[0:3], 0 offset:440
	buffer_load_dword v83, off, s[0:3], 0 offset:420
	s_waitcnt lgkmcnt(0)
	v_mul_f64 v[179:180], v[5:6], v[13:14]
	v_mul_f64 v[13:14], v[7:8], v[13:14]
	ds_read_b128 v[1:4], v51 offset:896
	v_fma_f64 v[25:26], v[64:65], v[25:26], v[54:55]
	v_add_f64 v[56:57], v[52:53], v[56:57]
	v_add_f64 v[9:10], v[9:10], v[58:59]
	s_clause 0x2
	buffer_load_dword v90, off, s[0:3], 0 offset:460
	buffer_load_dword v59, off, s[0:3], 0 offset:436
	;; [unrolled: 1-line block ×3, first 2 shown]
	s_waitcnt vmcnt(58) lgkmcnt(0)
	v_mul_f64 v[64:65], v[1:2], v[17:18]
	v_mul_f64 v[17:18], v[3:4], v[17:18]
	s_waitcnt vmcnt(56)
	v_fma_f64 v[13:14], v[5:6], v[19:20], -v[13:14]
	ds_read_b128 v[52:55], v51 offset:912
	v_fma_f64 v[19:20], v[7:8], v[19:20], v[179:180]
	v_add_f64 v[56:57], v[56:57], v[62:63]
	v_add_f64 v[9:10], v[9:10], v[25:26]
	s_clause 0x4
	buffer_load_dword v26, off, s[0:3], 0 offset:476
	buffer_load_dword v62, off, s[0:3], 0 offset:488
	;; [unrolled: 1-line block ×5, first 2 shown]
	ds_read_b128 v[5:8], v51 offset:928
	s_waitcnt vmcnt(57) lgkmcnt(1)
	v_mul_f64 v[179:180], v[52:53], v[21:22]
	v_mul_f64 v[21:22], v[54:55], v[21:22]
	s_waitcnt vmcnt(56)
	v_fma_f64 v[17:18], v[1:2], v[11:12], -v[17:18]
	v_fma_f64 v[11:12], v[3:4], v[11:12], v[64:65]
	v_add_f64 v[13:14], v[56:57], v[13:14]
	v_add_f64 v[9:10], v[9:10], v[19:20]
	s_clause 0x2
	buffer_load_dword v63, off, s[0:3], 0 offset:492
	buffer_load_dword v20, off, s[0:3], 0 offset:468
	;; [unrolled: 1-line block ×3, first 2 shown]
	s_waitcnt vmcnt(58) lgkmcnt(0)
	v_mul_f64 v[56:57], v[5:6], v[27:28]
	v_mul_f64 v[27:28], v[7:8], v[27:28]
	s_waitcnt vmcnt(56)
	v_fma_f64 v[21:22], v[52:53], v[29:30], -v[21:22]
	ds_read_b128 v[1:4], v51 offset:944
	v_add_f64 v[13:14], v[13:14], v[17:18]
	v_fma_f64 v[17:18], v[54:55], v[29:30], v[179:180]
	v_add_f64 v[29:30], v[9:10], v[11:12]
	s_clause 0x4
	buffer_load_dword v53, off, s[0:3], 0 offset:508
	buffer_load_dword v54, off, s[0:3], 0 offset:520
	buffer_load_dword v64, off, s[0:3], 0 offset:512
	buffer_load_dword v52, off, s[0:3], 0 offset:504
	buffer_load_dword v88, off, s[0:3], 0 offset:484
	ds_read_b128 v[9:12], v51 offset:960
	s_waitcnt vmcnt(57) lgkmcnt(1)
	v_mul_f64 v[179:180], v[1:2], v[31:32]
	v_mul_f64 v[31:32], v[3:4], v[31:32]
	s_waitcnt vmcnt(56)
	v_fma_f64 v[27:28], v[5:6], v[15:16], -v[27:28]
	v_fma_f64 v[15:16], v[7:8], v[15:16], v[56:57]
	v_add_f64 v[13:14], v[13:14], v[21:22]
	s_clause 0x2
	buffer_load_dword v55, off, s[0:3], 0 offset:524
	buffer_load_dword v22, off, s[0:3], 0 offset:500
	;; [unrolled: 1-line block ×3, first 2 shown]
	v_add_f64 v[17:18], v[29:30], v[17:18]
	s_waitcnt vmcnt(58) lgkmcnt(0)
	v_mul_f64 v[29:30], v[9:10], v[35:36]
	v_mul_f64 v[35:36], v[11:12], v[35:36]
	ds_read_b128 v[5:8], v51 offset:976
	s_waitcnt vmcnt(56)
	v_fma_f64 v[31:32], v[1:2], v[37:38], -v[31:32]
	v_add_f64 v[13:14], v[13:14], v[27:28]
	v_fma_f64 v[27:28], v[3:4], v[37:38], v[179:180]
	v_add_f64 v[15:16], v[17:18], v[15:16]
	s_clause 0x4
	buffer_load_dword v18, off, s[0:3], 0 offset:540
	buffer_load_dword v37, off, s[0:3], 0 offset:552
	;; [unrolled: 1-line block ×5, first 2 shown]
	s_waitcnt vmcnt(57) lgkmcnt(0)
	v_mul_f64 v[179:180], v[5:6], v[39:40]
	v_mul_f64 v[39:40], v[7:8], v[39:40]
	s_waitcnt vmcnt(56)
	v_fma_f64 v[35:36], v[9:10], v[23:24], -v[35:36]
	ds_read_b128 v[1:4], v51 offset:992
	v_fma_f64 v[23:24], v[11:12], v[23:24], v[29:30]
	v_add_f64 v[13:14], v[13:14], v[31:32]
	v_add_f64 v[15:16], v[15:16], v[27:28]
	s_clause 0x2
	buffer_load_dword v38, off, s[0:3], 0 offset:556
	buffer_load_dword v28, off, s[0:3], 0 offset:532
	;; [unrolled: 1-line block ×3, first 2 shown]
	ds_read_b128 v[9:12], v51 offset:1008
	s_waitcnt vmcnt(58) lgkmcnt(1)
	v_mul_f64 v[31:32], v[3:4], v[43:44]
	s_waitcnt vmcnt(56)
	v_fma_f64 v[39:40], v[5:6], v[45:46], -v[39:40]
	v_mul_f64 v[29:30], v[1:2], v[43:44]
	v_add_f64 v[13:14], v[13:14], v[35:36]
	v_fma_f64 v[35:36], v[7:8], v[45:46], v[179:180]
	v_add_f64 v[15:16], v[15:16], v[23:24]
	s_clause 0x4
	buffer_load_dword v24, off, s[0:3], 0 offset:572
	buffer_load_dword v43, off, s[0:3], 0 offset:584
	buffer_load_dword v45, off, s[0:3], 0 offset:576
	buffer_load_dword v23, off, s[0:3], 0 offset:568
	buffer_load_dword v57, off, s[0:3], 0 offset:548
	s_waitcnt vmcnt(57) lgkmcnt(0)
	v_mul_f64 v[179:180], v[9:10], v[47:48]
	v_mul_f64 v[46:47], v[11:12], v[47:48]
	s_waitcnt vmcnt(56)
	v_fma_f64 v[31:32], v[1:2], v[33:34], -v[31:32]
	ds_read_b128 v[5:8], v51 offset:1024
	v_fma_f64 v[29:30], v[3:4], v[33:34], v[29:30]
	s_clause 0x2
	buffer_load_dword v44, off, s[0:3], 0 offset:588
	buffer_load_dword v34, off, s[0:3], 0 offset:564
	;; [unrolled: 1-line block ×3, first 2 shown]
	ds_read_b128 v[1:4], v51 offset:1040
	v_add_f64 v[13:14], v[13:14], v[39:40]
	v_add_f64 v[15:16], v[15:16], v[35:36]
	s_waitcnt vmcnt(58) lgkmcnt(1)
	v_mul_f64 v[39:40], v[7:8], v[66:67]
	s_waitcnt vmcnt(56)
	v_fma_f64 v[47:48], v[9:10], v[68:69], -v[46:47]
	v_mul_f64 v[35:36], v[5:6], v[66:67]
	v_add_f64 v[13:14], v[13:14], v[31:32]
	v_fma_f64 v[31:32], v[11:12], v[68:69], v[179:180]
	v_add_f64 v[15:16], v[15:16], v[29:30]
	s_clause 0x4
	buffer_load_dword v30, off, s[0:3], 0 offset:604
	buffer_load_dword v66, off, s[0:3], 0 offset:616
	;; [unrolled: 1-line block ×5, first 2 shown]
	s_waitcnt vmcnt(57) lgkmcnt(0)
	v_mul_f64 v[179:180], v[1:2], v[70:71]
	v_mul_f64 v[69:70], v[3:4], v[70:71]
	s_waitcnt vmcnt(56)
	v_fma_f64 v[39:40], v[5:6], v[41:42], -v[39:40]
	ds_read_b128 v[9:12], v51 offset:1056
	v_fma_f64 v[35:36], v[7:8], v[41:42], v[35:36]
	v_add_f64 v[13:14], v[13:14], v[47:48]
	v_add_f64 v[15:16], v[15:16], v[31:32]
	s_clause 0x2
	buffer_load_dword v67, off, s[0:3], 0 offset:620
	buffer_load_dword v32, off, s[0:3], 0 offset:596
	;; [unrolled: 1-line block ×3, first 2 shown]
	ds_read_b128 v[5:8], v51 offset:1072
	s_waitcnt vmcnt(58) lgkmcnt(1)
	v_mul_f64 v[47:48], v[11:12], v[72:73]
	s_waitcnt vmcnt(56)
	v_fma_f64 v[70:71], v[1:2], v[74:75], -v[69:70]
	v_mul_f64 v[41:42], v[9:10], v[72:73]
	v_add_f64 v[13:14], v[13:14], v[39:40]
	v_fma_f64 v[39:40], v[3:4], v[74:75], v[179:180]
	v_add_f64 v[15:16], v[15:16], v[35:36]
	s_clause 0x4
	buffer_load_dword v36, off, s[0:3], 0 offset:636
	buffer_load_dword v72, off, s[0:3], 0 offset:648
	;; [unrolled: 1-line block ×5, first 2 shown]
	s_waitcnt vmcnt(57) lgkmcnt(0)
	v_mul_f64 v[179:180], v[5:6], v[78:79]
	v_mul_f64 v[78:79], v[7:8], v[78:79]
	s_waitcnt vmcnt(56)
	v_fma_f64 v[47:48], v[9:10], v[49:50], -v[47:48]
	ds_read_b128 v[1:4], v51 offset:1088
	v_fma_f64 v[41:42], v[11:12], v[49:50], v[41:42]
	v_add_f64 v[13:14], v[13:14], v[70:71]
	v_add_f64 v[15:16], v[15:16], v[39:40]
	s_clause 0x2
	buffer_load_dword v73, off, s[0:3], 0 offset:652
	buffer_load_dword v40, off, s[0:3], 0 offset:628
	;; [unrolled: 1-line block ×3, first 2 shown]
	ds_read_b128 v[9:12], v51 offset:1104
	s_waitcnt vmcnt(58) lgkmcnt(1)
	v_mul_f64 v[70:71], v[3:4], v[80:81]
	s_waitcnt vmcnt(56)
	v_fma_f64 v[78:79], v[5:6], v[85:86], -v[78:79]
	v_mul_f64 v[49:50], v[1:2], v[80:81]
	v_add_f64 v[13:14], v[13:14], v[47:48]
	v_fma_f64 v[47:48], v[7:8], v[85:86], v[179:180]
	v_add_f64 v[15:16], v[15:16], v[41:42]
	s_clause 0x4
	buffer_load_dword v42, off, s[0:3], 0 offset:668
	buffer_load_dword v80, off, s[0:3], 0 offset:680
	;; [unrolled: 1-line block ×5, first 2 shown]
	ds_read_b128 v[5:8], v51 offset:1120
	s_waitcnt vmcnt(57) lgkmcnt(1)
	v_mul_f64 v[85:86], v[9:10], v[76:77]
	v_mul_f64 v[76:77], v[11:12], v[76:77]
	s_waitcnt vmcnt(56)
	v_fma_f64 v[70:71], v[1:2], v[82:83], -v[70:71]
	v_fma_f64 v[49:50], v[3:4], v[82:83], v[49:50]
	v_add_f64 v[13:14], v[13:14], v[78:79]
	v_add_f64 v[15:16], v[15:16], v[47:48]
	s_clause 0x2
	buffer_load_dword v81, off, s[0:3], 0 offset:684
	buffer_load_dword v48, off, s[0:3], 0 offset:660
	;; [unrolled: 1-line block ×3, first 2 shown]
	ds_read_b128 v[1:4], v51 offset:1136
	s_waitcnt vmcnt(58) lgkmcnt(1)
	v_mul_f64 v[82:83], v[7:8], v[89:90]
	v_mul_f64 v[78:79], v[5:6], v[89:90]
	s_waitcnt vmcnt(56)
	v_fma_f64 v[76:77], v[9:10], v[58:59], -v[76:77]
	v_fma_f64 v[58:59], v[11:12], v[58:59], v[85:86]
	v_add_f64 v[13:14], v[13:14], v[70:71]
	v_add_f64 v[15:16], v[15:16], v[49:50]
	s_clause 0x2
	buffer_load_dword v50, off, s[0:3], 0 offset:700
	buffer_load_dword v49, off, s[0:3], 0 offset:696
	;; [unrolled: 1-line block ×3, first 2 shown]
	ds_read_b128 v[9:12], v51 offset:1152
	s_waitcnt vmcnt(55) lgkmcnt(1)
	v_mul_f64 v[70:71], v[1:2], v[25:26]
	v_mul_f64 v[25:26], v[3:4], v[25:26]
	s_waitcnt vmcnt(54)
	v_fma_f64 v[82:83], v[5:6], v[91:92], -v[82:83]
	v_add_f64 v[13:14], v[13:14], v[76:77]
	v_fma_f64 v[76:77], v[7:8], v[91:92], v[78:79]
	v_add_f64 v[15:16], v[15:16], v[58:59]
	s_clause 0x1
	buffer_load_dword v59, off, s[0:3], 0 offset:692
	buffer_load_dword v58, off, s[0:3], 0 offset:688
	ds_read_b128 v[5:8], v51 offset:1168
	s_waitcnt vmcnt(55) lgkmcnt(1)
	v_mul_f64 v[78:79], v[9:10], v[62:63]
	v_mul_f64 v[62:63], v[11:12], v[62:63]
	s_waitcnt vmcnt(53)
	v_fma_f64 v[25:26], v[1:2], v[19:20], -v[25:26]
	v_fma_f64 v[19:20], v[3:4], v[19:20], v[70:71]
	ds_read_b128 v[1:4], v51 offset:1184
	v_add_f64 v[13:14], v[13:14], v[82:83]
	v_add_f64 v[15:16], v[15:16], v[76:77]
	s_waitcnt vmcnt(49) lgkmcnt(1)
	v_mul_f64 v[70:71], v[5:6], v[52:53]
	v_mul_f64 v[52:53], v[7:8], v[52:53]
	s_waitcnt vmcnt(48)
	v_fma_f64 v[62:63], v[9:10], v[87:88], -v[62:63]
	v_add_f64 v[13:14], v[13:14], v[25:26]
	v_fma_f64 v[25:26], v[11:12], v[87:88], v[78:79]
	v_add_f64 v[15:16], v[15:16], v[19:20]
	s_clause 0x3
	buffer_load_dword v19, off, s[0:3], 0 offset:144
	buffer_load_dword v20, off, s[0:3], 0 offset:148
	;; [unrolled: 1-line block ×4, first 2 shown]
	ds_read_b128 v[9:12], v51 offset:1200
	s_waitcnt vmcnt(51) lgkmcnt(1)
	v_mul_f64 v[78:79], v[1:2], v[54:55]
	v_mul_f64 v[54:55], v[3:4], v[54:55]
	s_waitcnt vmcnt(49)
	v_fma_f64 v[52:53], v[5:6], v[21:22], -v[52:53]
	v_fma_f64 v[21:22], v[7:8], v[21:22], v[70:71]
	ds_read_b128 v[5:8], v51 offset:1216
	v_add_f64 v[13:14], v[13:14], v[62:63]
	v_add_f64 v[15:16], v[15:16], v[25:26]
	s_waitcnt vmcnt(45) lgkmcnt(1)
	v_mul_f64 v[25:26], v[9:10], v[17:18]
	v_mul_f64 v[17:18], v[11:12], v[17:18]
	s_waitcnt vmcnt(44)
	v_fma_f64 v[54:55], v[1:2], v[64:65], -v[54:55]
	v_add_f64 v[13:14], v[13:14], v[52:53]
	v_fma_f64 v[52:53], v[3:4], v[64:65], v[78:79]
	v_add_f64 v[15:16], v[15:16], v[21:22]
	ds_read_b128 v[1:4], v51 offset:1232
	s_waitcnt vmcnt(43) lgkmcnt(1)
	v_mul_f64 v[21:22], v[5:6], v[37:38]
	v_mul_f64 v[37:38], v[7:8], v[37:38]
	s_waitcnt vmcnt(41)
	v_fma_f64 v[17:18], v[9:10], v[27:28], -v[17:18]
	v_fma_f64 v[25:26], v[11:12], v[27:28], v[25:26]
	ds_read_b128 v[9:12], v51 offset:1248
	v_add_f64 v[13:14], v[13:14], v[54:55]
	v_add_f64 v[15:16], v[15:16], v[52:53]
	s_waitcnt vmcnt(37) lgkmcnt(1)
	v_mul_f64 v[27:28], v[1:2], v[23:24]
	v_mul_f64 v[23:24], v[3:4], v[23:24]
	s_waitcnt vmcnt(36)
	v_fma_f64 v[37:38], v[5:6], v[56:57], -v[37:38]
	v_add_f64 v[13:14], v[13:14], v[17:18]
	v_fma_f64 v[17:18], v[7:8], v[56:57], v[21:22]
	v_add_f64 v[15:16], v[15:16], v[25:26]
	s_waitcnt vmcnt(35) lgkmcnt(0)
	v_mul_f64 v[25:26], v[11:12], v[43:44]
	ds_read_b128 v[5:8], v51 offset:1264
	v_mul_f64 v[21:22], v[9:10], v[43:44]
	s_waitcnt vmcnt(33)
	v_fma_f64 v[27:28], v[3:4], v[33:34], v[27:28]
	v_fma_f64 v[23:24], v[1:2], v[33:34], -v[23:24]
	ds_read_b128 v[1:4], v51 offset:1280
	v_add_f64 v[13:14], v[13:14], v[37:38]
	v_add_f64 v[15:16], v[15:16], v[17:18]
	s_waitcnt vmcnt(29) lgkmcnt(1)
	v_mul_f64 v[17:18], v[5:6], v[29:30]
	v_mul_f64 v[29:30], v[7:8], v[29:30]
	s_waitcnt vmcnt(28)
	v_fma_f64 v[25:26], v[9:10], v[45:46], -v[25:26]
	v_fma_f64 v[21:22], v[11:12], v[45:46], v[21:22]
	ds_read_b128 v[9:12], v51 offset:1296
	v_add_f64 v[13:14], v[13:14], v[23:24]
	v_add_f64 v[15:16], v[15:16], v[27:28]
	s_waitcnt vmcnt(27) lgkmcnt(1)
	v_mul_f64 v[27:28], v[3:4], v[66:67]
	v_mul_f64 v[23:24], v[1:2], v[66:67]
	s_waitcnt vmcnt(25)
	v_fma_f64 v[29:30], v[5:6], v[31:32], -v[29:30]
	v_fma_f64 v[17:18], v[7:8], v[31:32], v[17:18]
	ds_read_b128 v[5:8], v51 offset:1312
	v_add_f64 v[13:14], v[13:14], v[25:26]
	v_add_f64 v[15:16], v[15:16], v[21:22]
	s_waitcnt vmcnt(21) lgkmcnt(1)
	v_mul_f64 v[25:26], v[11:12], v[35:36]
	s_waitcnt vmcnt(20)
	v_fma_f64 v[27:28], v[1:2], v[68:69], -v[27:28]
	v_mul_f64 v[21:22], v[9:10], v[35:36]
	v_fma_f64 v[23:24], v[3:4], v[68:69], v[23:24]
	ds_read_b128 v[1:4], v51 offset:1328
	v_add_f64 v[13:14], v[13:14], v[29:30]
	v_add_f64 v[15:16], v[15:16], v[17:18]
	s_waitcnt vmcnt(19) lgkmcnt(1)
	v_mul_f64 v[29:30], v[7:8], v[72:73]
	v_mul_f64 v[17:18], v[5:6], v[72:73]
	s_waitcnt vmcnt(17)
	v_fma_f64 v[25:26], v[9:10], v[39:40], -v[25:26]
	v_fma_f64 v[21:22], v[11:12], v[39:40], v[21:22]
	ds_read_b128 v[9:12], v51 offset:1344
	v_add_f64 v[13:14], v[13:14], v[27:28]
	v_add_f64 v[15:16], v[15:16], v[23:24]
	s_waitcnt vmcnt(13) lgkmcnt(1)
	v_mul_f64 v[27:28], v[3:4], v[41:42]
	s_waitcnt vmcnt(12)
	v_fma_f64 v[29:30], v[5:6], v[74:75], -v[29:30]
	v_mul_f64 v[23:24], v[1:2], v[41:42]
	v_fma_f64 v[17:18], v[7:8], v[74:75], v[17:18]
	ds_read_b128 v[5:8], v51 offset:1360
	v_add_f64 v[13:14], v[13:14], v[25:26]
	v_add_f64 v[15:16], v[15:16], v[21:22]
	s_waitcnt vmcnt(11) lgkmcnt(1)
	v_mul_f64 v[25:26], v[11:12], v[80:81]
	v_mul_f64 v[21:22], v[9:10], v[80:81]
	s_waitcnt vmcnt(9)
	v_fma_f64 v[1:2], v[1:2], v[47:48], -v[27:28]
	v_fma_f64 v[3:4], v[3:4], v[47:48], v[23:24]
	v_add_f64 v[13:14], v[13:14], v[29:30]
	v_add_f64 v[15:16], v[15:16], v[17:18]
	s_waitcnt vmcnt(7) lgkmcnt(0)
	v_mul_f64 v[23:24], v[7:8], v[49:50]
	s_waitcnt vmcnt(6)
	v_fma_f64 v[9:10], v[9:10], v[84:85], -v[25:26]
	v_mul_f64 v[17:18], v[5:6], v[49:50]
	v_fma_f64 v[11:12], v[11:12], v[84:85], v[21:22]
	v_add_f64 v[1:2], v[13:14], v[1:2]
	v_add_f64 v[3:4], v[15:16], v[3:4]
	s_waitcnt vmcnt(4)
	v_fma_f64 v[5:6], v[5:6], v[58:59], -v[23:24]
	v_fma_f64 v[7:8], v[7:8], v[58:59], v[17:18]
	v_add_f64 v[1:2], v[1:2], v[9:10]
	v_add_f64 v[3:4], v[3:4], v[11:12]
	;; [unrolled: 1-line block ×4, first 2 shown]
	s_waitcnt vmcnt(2)
	v_add_f64 v[1:2], v[19:20], -v[1:2]
	s_waitcnt vmcnt(0)
	v_add_f64 v[3:4], v[76:77], -v[3:4]
	buffer_store_dword v2, off, s[0:3], 0 offset:148
	buffer_store_dword v1, off, s[0:3], 0 offset:144
	;; [unrolled: 1-line block ×4, first 2 shown]
	v_cmpx_lt_u32_e32 7, v0
	s_cbranch_execz .LBB42_257
; %bb.256:
	v_mov_b32_e32 v4, s48
	v_mov_b32_e32 v5, 0
	s_clause 0x3
	buffer_load_dword v1, v4, s[0:3], 0 offen
	buffer_load_dword v2, v4, s[0:3], 0 offen offset:4
	buffer_load_dword v3, v4, s[0:3], 0 offen offset:8
	;; [unrolled: 1-line block ×3, first 2 shown]
	buffer_store_dword v5, off, s[0:3], 0 offset:128
	buffer_store_dword v5, off, s[0:3], 0 offset:132
	;; [unrolled: 1-line block ×4, first 2 shown]
	s_waitcnt vmcnt(0)
	ds_write_b128 v61, v[1:4]
.LBB42_257:
	s_or_b32 exec_lo, exec_lo, s4
	s_waitcnt lgkmcnt(0)
	s_waitcnt_vscnt null, 0x0
	s_barrier
	buffer_gl0_inv
	s_clause 0x37
	buffer_load_dword v9, off, s[0:3], 0 offset:152
	buffer_load_dword v10, off, s[0:3], 0 offset:156
	;; [unrolled: 1-line block ×56, first 2 shown]
	v_mov_b32_e32 v62, 0
	s_mov_b32 s4, exec_lo
	ds_read_b128 v[63:66], v62 offset:816
	s_clause 0x2
	buffer_load_dword v58, off, s[0:3], 0 offset:380
	buffer_load_dword v60, off, s[0:3], 0 offset:356
	;; [unrolled: 1-line block ×3, first 2 shown]
	ds_read_b128 v[67:70], v62 offset:832
	s_clause 0x4
	buffer_load_dword v78, off, s[0:3], 0 offset:396
	buffer_load_dword v79, off, s[0:3], 0 offset:408
	;; [unrolled: 1-line block ×5, first 2 shown]
	ds_read_b128 v[71:74], v62 offset:848
	s_clause 0x2
	buffer_load_dword v80, off, s[0:3], 0 offset:412
	buffer_load_dword v85, off, s[0:3], 0 offset:388
	;; [unrolled: 1-line block ×3, first 2 shown]
	s_waitcnt vmcnt(62) lgkmcnt(2)
	v_mul_f64 v[75:76], v[65:66], v[9:10]
	v_mul_f64 v[9:10], v[63:64], v[9:10]
	s_waitcnt lgkmcnt(1)
	v_mul_f64 v[82:83], v[69:70], v[5:6]
	s_waitcnt vmcnt(59) lgkmcnt(0)
	v_mul_f64 v[86:87], v[73:74], v[3:4]
	v_fma_f64 v[63:64], v[63:64], v[7:8], -v[75:76]
	v_mul_f64 v[75:76], v[67:68], v[5:6]
	v_fma_f64 v[9:10], v[65:66], v[7:8], v[9:10]
	s_waitcnt vmcnt(57)
	v_fma_f64 v[67:68], v[67:68], v[1:2], -v[82:83]
	ds_read_b128 v[5:8], v62 offset:864
	v_mul_f64 v[65:66], v[71:72], v[3:4]
	s_waitcnt vmcnt(51)
	v_fma_f64 v[71:72], v[71:72], v[25:26], -v[86:87]
	v_add_f64 v[63:64], v[63:64], 0
	v_fma_f64 v[69:70], v[69:70], v[1:2], v[75:76]
	v_add_f64 v[9:10], v[9:10], 0
	s_clause 0x4
	buffer_load_dword v76, off, s[0:3], 0 offset:428
	buffer_load_dword v88, off, s[0:3], 0 offset:440
	;; [unrolled: 1-line block ×5, first 2 shown]
	s_waitcnt lgkmcnt(0)
	v_mul_f64 v[91:92], v[5:6], v[13:14]
	v_mul_f64 v[13:14], v[7:8], v[13:14]
	ds_read_b128 v[1:4], v62 offset:880
	v_fma_f64 v[25:26], v[73:74], v[25:26], v[65:66]
	v_add_f64 v[67:68], v[63:64], v[67:68]
	v_add_f64 v[9:10], v[9:10], v[69:70]
	s_clause 0x2
	buffer_load_dword v89, off, s[0:3], 0 offset:444
	buffer_load_dword v70, off, s[0:3], 0 offset:420
	;; [unrolled: 1-line block ×3, first 2 shown]
	s_waitcnt vmcnt(58) lgkmcnt(0)
	v_mul_f64 v[73:74], v[1:2], v[17:18]
	v_mul_f64 v[17:18], v[3:4], v[17:18]
	s_waitcnt vmcnt(56)
	v_fma_f64 v[13:14], v[5:6], v[19:20], -v[13:14]
	ds_read_b128 v[63:66], v62 offset:896
	v_fma_f64 v[19:20], v[7:8], v[19:20], v[91:92]
	v_add_f64 v[67:68], v[67:68], v[71:72]
	v_add_f64 v[9:10], v[9:10], v[25:26]
	s_clause 0x4
	buffer_load_dword v26, off, s[0:3], 0 offset:460
	buffer_load_dword v71, off, s[0:3], 0 offset:472
	;; [unrolled: 1-line block ×5, first 2 shown]
	ds_read_b128 v[5:8], v62 offset:912
	s_waitcnt vmcnt(57) lgkmcnt(1)
	v_mul_f64 v[179:180], v[63:64], v[21:22]
	v_mul_f64 v[21:22], v[65:66], v[21:22]
	s_waitcnt vmcnt(56)
	v_fma_f64 v[17:18], v[1:2], v[11:12], -v[17:18]
	v_fma_f64 v[11:12], v[3:4], v[11:12], v[73:74]
	v_add_f64 v[13:14], v[67:68], v[13:14]
	v_add_f64 v[9:10], v[9:10], v[19:20]
	s_clause 0x2
	buffer_load_dword v72, off, s[0:3], 0 offset:476
	buffer_load_dword v20, off, s[0:3], 0 offset:452
	;; [unrolled: 1-line block ×3, first 2 shown]
	s_waitcnt vmcnt(58) lgkmcnt(0)
	v_mul_f64 v[67:68], v[5:6], v[27:28]
	v_mul_f64 v[27:28], v[7:8], v[27:28]
	s_waitcnt vmcnt(56)
	v_fma_f64 v[21:22], v[63:64], v[29:30], -v[21:22]
	ds_read_b128 v[1:4], v62 offset:928
	v_add_f64 v[13:14], v[13:14], v[17:18]
	v_fma_f64 v[17:18], v[65:66], v[29:30], v[179:180]
	v_add_f64 v[29:30], v[9:10], v[11:12]
	s_clause 0x4
	buffer_load_dword v64, off, s[0:3], 0 offset:492
	buffer_load_dword v65, off, s[0:3], 0 offset:504
	;; [unrolled: 1-line block ×5, first 2 shown]
	ds_read_b128 v[9:12], v62 offset:944
	s_waitcnt vmcnt(57) lgkmcnt(1)
	v_mul_f64 v[179:180], v[1:2], v[31:32]
	v_mul_f64 v[31:32], v[3:4], v[31:32]
	s_waitcnt vmcnt(56)
	v_fma_f64 v[27:28], v[5:6], v[15:16], -v[27:28]
	v_fma_f64 v[15:16], v[7:8], v[15:16], v[67:68]
	v_add_f64 v[13:14], v[13:14], v[21:22]
	s_clause 0x2
	buffer_load_dword v66, off, s[0:3], 0 offset:508
	buffer_load_dword v22, off, s[0:3], 0 offset:484
	;; [unrolled: 1-line block ×3, first 2 shown]
	v_add_f64 v[17:18], v[29:30], v[17:18]
	s_waitcnt vmcnt(58) lgkmcnt(0)
	v_mul_f64 v[29:30], v[9:10], v[35:36]
	v_mul_f64 v[35:36], v[11:12], v[35:36]
	ds_read_b128 v[5:8], v62 offset:960
	s_waitcnt vmcnt(56)
	v_fma_f64 v[31:32], v[1:2], v[37:38], -v[31:32]
	v_add_f64 v[13:14], v[13:14], v[27:28]
	v_fma_f64 v[27:28], v[3:4], v[37:38], v[179:180]
	v_add_f64 v[15:16], v[17:18], v[15:16]
	s_clause 0x4
	buffer_load_dword v18, off, s[0:3], 0 offset:524
	buffer_load_dword v37, off, s[0:3], 0 offset:536
	;; [unrolled: 1-line block ×5, first 2 shown]
	s_waitcnt vmcnt(57) lgkmcnt(0)
	v_mul_f64 v[179:180], v[5:6], v[39:40]
	v_mul_f64 v[39:40], v[7:8], v[39:40]
	s_waitcnt vmcnt(56)
	v_fma_f64 v[35:36], v[9:10], v[23:24], -v[35:36]
	ds_read_b128 v[1:4], v62 offset:976
	v_fma_f64 v[23:24], v[11:12], v[23:24], v[29:30]
	v_add_f64 v[13:14], v[13:14], v[31:32]
	v_add_f64 v[15:16], v[15:16], v[27:28]
	s_clause 0x2
	buffer_load_dword v38, off, s[0:3], 0 offset:540
	buffer_load_dword v28, off, s[0:3], 0 offset:516
	;; [unrolled: 1-line block ×3, first 2 shown]
	ds_read_b128 v[9:12], v62 offset:992
	s_waitcnt vmcnt(58) lgkmcnt(1)
	v_mul_f64 v[31:32], v[3:4], v[43:44]
	s_waitcnt vmcnt(56)
	v_fma_f64 v[39:40], v[5:6], v[45:46], -v[39:40]
	v_mul_f64 v[29:30], v[1:2], v[43:44]
	v_add_f64 v[13:14], v[13:14], v[35:36]
	v_fma_f64 v[35:36], v[7:8], v[45:46], v[179:180]
	v_add_f64 v[15:16], v[15:16], v[23:24]
	s_clause 0x4
	buffer_load_dword v24, off, s[0:3], 0 offset:556
	buffer_load_dword v43, off, s[0:3], 0 offset:568
	;; [unrolled: 1-line block ×5, first 2 shown]
	s_waitcnt vmcnt(57) lgkmcnt(0)
	v_mul_f64 v[179:180], v[9:10], v[47:48]
	v_mul_f64 v[46:47], v[11:12], v[47:48]
	s_waitcnt vmcnt(56)
	v_fma_f64 v[31:32], v[1:2], v[33:34], -v[31:32]
	ds_read_b128 v[5:8], v62 offset:1008
	v_fma_f64 v[29:30], v[3:4], v[33:34], v[29:30]
	s_clause 0x2
	buffer_load_dword v44, off, s[0:3], 0 offset:572
	buffer_load_dword v34, off, s[0:3], 0 offset:548
	buffer_load_dword v33, off, s[0:3], 0 offset:544
	ds_read_b128 v[1:4], v62 offset:1024
	v_add_f64 v[13:14], v[13:14], v[39:40]
	v_add_f64 v[15:16], v[15:16], v[35:36]
	s_waitcnt vmcnt(58) lgkmcnt(1)
	v_mul_f64 v[39:40], v[7:8], v[51:52]
	s_waitcnt vmcnt(56)
	v_fma_f64 v[47:48], v[9:10], v[53:54], -v[46:47]
	v_mul_f64 v[35:36], v[5:6], v[51:52]
	v_add_f64 v[13:14], v[13:14], v[31:32]
	v_fma_f64 v[31:32], v[11:12], v[53:54], v[179:180]
	v_add_f64 v[15:16], v[15:16], v[29:30]
	s_clause 0x4
	buffer_load_dword v30, off, s[0:3], 0 offset:588
	buffer_load_dword v51, off, s[0:3], 0 offset:600
	buffer_load_dword v53, off, s[0:3], 0 offset:592
	buffer_load_dword v29, off, s[0:3], 0 offset:584
	buffer_load_dword v46, off, s[0:3], 0 offset:564
	s_waitcnt vmcnt(57) lgkmcnt(0)
	v_mul_f64 v[179:180], v[1:2], v[55:56]
	v_mul_f64 v[54:55], v[3:4], v[55:56]
	s_waitcnt vmcnt(56)
	v_fma_f64 v[39:40], v[5:6], v[41:42], -v[39:40]
	ds_read_b128 v[9:12], v62 offset:1040
	v_fma_f64 v[35:36], v[7:8], v[41:42], v[35:36]
	v_add_f64 v[13:14], v[13:14], v[47:48]
	v_add_f64 v[15:16], v[15:16], v[31:32]
	s_clause 0x2
	buffer_load_dword v52, off, s[0:3], 0 offset:604
	buffer_load_dword v32, off, s[0:3], 0 offset:580
	;; [unrolled: 1-line block ×3, first 2 shown]
	ds_read_b128 v[5:8], v62 offset:1056
	s_waitcnt vmcnt(58) lgkmcnt(1)
	v_mul_f64 v[47:48], v[11:12], v[57:58]
	s_waitcnt vmcnt(56)
	v_fma_f64 v[55:56], v[1:2], v[59:60], -v[54:55]
	v_mul_f64 v[41:42], v[9:10], v[57:58]
	v_add_f64 v[13:14], v[13:14], v[39:40]
	v_fma_f64 v[39:40], v[3:4], v[59:60], v[179:180]
	v_add_f64 v[15:16], v[15:16], v[35:36]
	s_clause 0x4
	buffer_load_dword v36, off, s[0:3], 0 offset:620
	buffer_load_dword v57, off, s[0:3], 0 offset:632
	;; [unrolled: 1-line block ×5, first 2 shown]
	s_waitcnt vmcnt(57) lgkmcnt(0)
	v_mul_f64 v[179:180], v[5:6], v[77:78]
	v_mul_f64 v[77:78], v[7:8], v[77:78]
	s_waitcnt vmcnt(56)
	v_fma_f64 v[47:48], v[9:10], v[49:50], -v[47:48]
	ds_read_b128 v[1:4], v62 offset:1072
	v_fma_f64 v[41:42], v[11:12], v[49:50], v[41:42]
	v_add_f64 v[13:14], v[13:14], v[55:56]
	v_add_f64 v[15:16], v[15:16], v[39:40]
	s_clause 0x2
	buffer_load_dword v58, off, s[0:3], 0 offset:636
	buffer_load_dword v40, off, s[0:3], 0 offset:612
	;; [unrolled: 1-line block ×3, first 2 shown]
	ds_read_b128 v[9:12], v62 offset:1088
	s_waitcnt vmcnt(58) lgkmcnt(1)
	v_mul_f64 v[55:56], v[3:4], v[79:80]
	s_waitcnt vmcnt(56)
	v_fma_f64 v[77:78], v[5:6], v[84:85], -v[77:78]
	v_mul_f64 v[49:50], v[1:2], v[79:80]
	v_add_f64 v[13:14], v[13:14], v[47:48]
	v_fma_f64 v[47:48], v[7:8], v[84:85], v[179:180]
	v_add_f64 v[15:16], v[15:16], v[41:42]
	s_clause 0x4
	buffer_load_dword v42, off, s[0:3], 0 offset:652
	buffer_load_dword v79, off, s[0:3], 0 offset:664
	;; [unrolled: 1-line block ×5, first 2 shown]
	ds_read_b128 v[5:8], v62 offset:1104
	s_waitcnt vmcnt(57) lgkmcnt(1)
	v_mul_f64 v[84:85], v[9:10], v[75:76]
	v_mul_f64 v[75:76], v[11:12], v[75:76]
	s_waitcnt vmcnt(56)
	v_fma_f64 v[55:56], v[1:2], v[81:82], -v[55:56]
	v_fma_f64 v[49:50], v[3:4], v[81:82], v[49:50]
	v_add_f64 v[13:14], v[13:14], v[77:78]
	v_add_f64 v[15:16], v[15:16], v[47:48]
	s_clause 0x2
	buffer_load_dword v80, off, s[0:3], 0 offset:668
	buffer_load_dword v48, off, s[0:3], 0 offset:644
	;; [unrolled: 1-line block ×3, first 2 shown]
	ds_read_b128 v[1:4], v62 offset:1120
	s_waitcnt vmcnt(58) lgkmcnt(1)
	v_mul_f64 v[81:82], v[7:8], v[88:89]
	v_mul_f64 v[77:78], v[5:6], v[88:89]
	s_waitcnt vmcnt(56)
	v_fma_f64 v[75:76], v[9:10], v[69:70], -v[75:76]
	v_add_f64 v[13:14], v[13:14], v[55:56]
	v_fma_f64 v[55:56], v[11:12], v[69:70], v[84:85]
	v_add_f64 v[15:16], v[15:16], v[49:50]
	s_clause 0x4
	buffer_load_dword v50, off, s[0:3], 0 offset:684
	buffer_load_dword v69, off, s[0:3], 0 offset:696
	;; [unrolled: 1-line block ×5, first 2 shown]
	ds_read_b128 v[9:12], v62 offset:1136
	s_waitcnt vmcnt(57) lgkmcnt(1)
	v_mul_f64 v[179:180], v[1:2], v[25:26]
	v_mul_f64 v[25:26], v[3:4], v[25:26]
	s_waitcnt vmcnt(56)
	v_fma_f64 v[81:82], v[5:6], v[90:91], -v[81:82]
	v_add_f64 v[13:14], v[13:14], v[75:76]
	v_fma_f64 v[75:76], v[7:8], v[90:91], v[77:78]
	v_add_f64 v[15:16], v[15:16], v[55:56]
	s_clause 0x2
	buffer_load_dword v70, off, s[0:3], 0 offset:700
	buffer_load_dword v56, off, s[0:3], 0 offset:676
	;; [unrolled: 1-line block ×3, first 2 shown]
	ds_read_b128 v[5:8], v62 offset:1152
	buffer_load_dword v89, off, s[0:3], 0 offset:692
	s_waitcnt vmcnt(59) lgkmcnt(1)
	v_mul_f64 v[77:78], v[9:10], v[71:72]
	v_mul_f64 v[71:72], v[11:12], v[71:72]
	s_waitcnt vmcnt(57)
	v_fma_f64 v[25:26], v[1:2], v[19:20], -v[25:26]
	v_fma_f64 v[19:20], v[3:4], v[19:20], v[179:180]
	ds_read_b128 v[1:4], v62 offset:1168
	v_add_f64 v[13:14], v[13:14], v[81:82]
	v_add_f64 v[15:16], v[15:16], v[75:76]
	s_waitcnt vmcnt(53) lgkmcnt(1)
	v_mul_f64 v[75:76], v[5:6], v[63:64]
	v_mul_f64 v[63:64], v[7:8], v[63:64]
	s_waitcnt vmcnt(52)
	v_fma_f64 v[71:72], v[9:10], v[86:87], -v[71:72]
	v_add_f64 v[13:14], v[13:14], v[25:26]
	v_fma_f64 v[25:26], v[11:12], v[86:87], v[77:78]
	v_add_f64 v[15:16], v[15:16], v[19:20]
	ds_read_b128 v[9:12], v62 offset:1184
	s_waitcnt vmcnt(51) lgkmcnt(1)
	v_mul_f64 v[19:20], v[1:2], v[65:66]
	v_mul_f64 v[65:66], v[3:4], v[65:66]
	s_waitcnt vmcnt(49)
	v_fma_f64 v[63:64], v[5:6], v[21:22], -v[63:64]
	v_fma_f64 v[21:22], v[7:8], v[21:22], v[75:76]
	v_add_f64 v[13:14], v[13:14], v[71:72]
	v_add_f64 v[15:16], v[15:16], v[25:26]
	s_clause 0x3
	buffer_load_dword v25, off, s[0:3], 0 offset:128
	buffer_load_dword v26, off, s[0:3], 0 offset:132
	;; [unrolled: 1-line block ×4, first 2 shown]
	ds_read_b128 v[5:8], v62 offset:1200
	s_waitcnt vmcnt(49) lgkmcnt(1)
	v_mul_f64 v[75:76], v[9:10], v[17:18]
	v_mul_f64 v[17:18], v[11:12], v[17:18]
	s_waitcnt vmcnt(48)
	v_fma_f64 v[65:66], v[1:2], v[73:74], -v[65:66]
	v_fma_f64 v[19:20], v[3:4], v[73:74], v[19:20]
	ds_read_b128 v[1:4], v62 offset:1216
	v_add_f64 v[13:14], v[13:14], v[63:64]
	v_add_f64 v[15:16], v[15:16], v[21:22]
	s_waitcnt vmcnt(47) lgkmcnt(1)
	v_mul_f64 v[21:22], v[5:6], v[37:38]
	v_mul_f64 v[37:38], v[7:8], v[37:38]
	s_waitcnt vmcnt(45)
	v_fma_f64 v[17:18], v[9:10], v[27:28], -v[17:18]
	v_fma_f64 v[27:28], v[11:12], v[27:28], v[75:76]
	ds_read_b128 v[9:12], v62 offset:1232
	v_add_f64 v[13:14], v[13:14], v[65:66]
	v_add_f64 v[15:16], v[15:16], v[19:20]
	s_waitcnt vmcnt(41) lgkmcnt(1)
	v_mul_f64 v[19:20], v[1:2], v[23:24]
	v_mul_f64 v[23:24], v[3:4], v[23:24]
	s_waitcnt vmcnt(40)
	v_fma_f64 v[37:38], v[5:6], v[67:68], -v[37:38]
	v_add_f64 v[13:14], v[13:14], v[17:18]
	v_fma_f64 v[17:18], v[7:8], v[67:68], v[21:22]
	v_add_f64 v[15:16], v[15:16], v[27:28]
	ds_read_b128 v[5:8], v62 offset:1248
	s_waitcnt vmcnt(39) lgkmcnt(1)
	v_mul_f64 v[27:28], v[11:12], v[43:44]
	v_mul_f64 v[21:22], v[9:10], v[43:44]
	s_waitcnt vmcnt(37)
	v_fma_f64 v[19:20], v[3:4], v[33:34], v[19:20]
	v_fma_f64 v[23:24], v[1:2], v[33:34], -v[23:24]
	ds_read_b128 v[1:4], v62 offset:1264
	v_add_f64 v[13:14], v[13:14], v[37:38]
	v_add_f64 v[15:16], v[15:16], v[17:18]
	s_waitcnt vmcnt(33) lgkmcnt(1)
	v_mul_f64 v[17:18], v[5:6], v[29:30]
	v_mul_f64 v[29:30], v[7:8], v[29:30]
	s_waitcnt vmcnt(32)
	v_fma_f64 v[27:28], v[9:10], v[45:46], -v[27:28]
	v_fma_f64 v[21:22], v[11:12], v[45:46], v[21:22]
	ds_read_b128 v[9:12], v62 offset:1280
	v_add_f64 v[13:14], v[13:14], v[23:24]
	v_add_f64 v[15:16], v[15:16], v[19:20]
	s_waitcnt vmcnt(31) lgkmcnt(1)
	v_mul_f64 v[23:24], v[3:4], v[51:52]
	v_mul_f64 v[19:20], v[1:2], v[51:52]
	s_waitcnt vmcnt(29)
	v_fma_f64 v[29:30], v[5:6], v[31:32], -v[29:30]
	v_fma_f64 v[17:18], v[7:8], v[31:32], v[17:18]
	ds_read_b128 v[5:8], v62 offset:1296
	v_add_f64 v[13:14], v[13:14], v[27:28]
	v_add_f64 v[15:16], v[15:16], v[21:22]
	s_waitcnt vmcnt(25) lgkmcnt(1)
	v_mul_f64 v[27:28], v[11:12], v[35:36]
	s_waitcnt vmcnt(24)
	v_fma_f64 v[23:24], v[1:2], v[53:54], -v[23:24]
	v_mul_f64 v[21:22], v[9:10], v[35:36]
	v_fma_f64 v[19:20], v[3:4], v[53:54], v[19:20]
	ds_read_b128 v[1:4], v62 offset:1312
	v_add_f64 v[13:14], v[13:14], v[29:30]
	v_add_f64 v[15:16], v[15:16], v[17:18]
	s_waitcnt vmcnt(23) lgkmcnt(1)
	v_mul_f64 v[29:30], v[7:8], v[57:58]
	v_mul_f64 v[17:18], v[5:6], v[57:58]
	s_waitcnt vmcnt(21)
	v_fma_f64 v[27:28], v[9:10], v[39:40], -v[27:28]
	v_fma_f64 v[21:22], v[11:12], v[39:40], v[21:22]
	ds_read_b128 v[9:12], v62 offset:1328
	v_add_f64 v[13:14], v[13:14], v[23:24]
	v_add_f64 v[15:16], v[15:16], v[19:20]
	s_waitcnt vmcnt(17) lgkmcnt(1)
	v_mul_f64 v[23:24], v[3:4], v[41:42]
	s_waitcnt vmcnt(16)
	v_fma_f64 v[29:30], v[5:6], v[59:60], -v[29:30]
	v_mul_f64 v[19:20], v[1:2], v[41:42]
	;; [unrolled: 18-line block ×3, first 2 shown]
	v_fma_f64 v[11:12], v[11:12], v[83:84], v[21:22]
	v_add_f64 v[13:14], v[13:14], v[23:24]
	v_add_f64 v[15:16], v[15:16], v[19:20]
	s_waitcnt vmcnt(7) lgkmcnt(0)
	v_mul_f64 v[21:22], v[3:4], v[69:70]
	v_mul_f64 v[19:20], v[1:2], v[69:70]
	s_waitcnt vmcnt(5)
	v_fma_f64 v[5:6], v[5:6], v[55:56], -v[29:30]
	v_fma_f64 v[7:8], v[7:8], v[55:56], v[17:18]
	v_add_f64 v[9:10], v[13:14], v[9:10]
	v_add_f64 v[11:12], v[15:16], v[11:12]
	s_waitcnt vmcnt(4)
	v_fma_f64 v[1:2], v[1:2], v[88:89], -v[21:22]
	v_fma_f64 v[3:4], v[3:4], v[88:89], v[19:20]
	v_add_f64 v[5:6], v[9:10], v[5:6]
	v_add_f64 v[7:8], v[11:12], v[7:8]
	v_add_f64 v[1:2], v[5:6], v[1:2]
	v_add_f64 v[3:4], v[7:8], v[3:4]
	s_waitcnt vmcnt(2)
	v_add_f64 v[1:2], v[25:26], -v[1:2]
	s_waitcnt vmcnt(0)
	v_add_f64 v[3:4], v[71:72], -v[3:4]
	buffer_store_dword v2, off, s[0:3], 0 offset:132
	buffer_store_dword v1, off, s[0:3], 0 offset:128
	;; [unrolled: 1-line block ×4, first 2 shown]
	v_cmpx_lt_u32_e32 6, v0
	s_cbranch_execz .LBB42_259
; %bb.258:
	v_mov_b32_e32 v4, s49
	s_clause 0x3
	buffer_load_dword v1, v4, s[0:3], 0 offen
	buffer_load_dword v2, v4, s[0:3], 0 offen offset:4
	buffer_load_dword v3, v4, s[0:3], 0 offen offset:8
	;; [unrolled: 1-line block ×3, first 2 shown]
	buffer_store_dword v62, off, s[0:3], 0 offset:112
	buffer_store_dword v62, off, s[0:3], 0 offset:116
	;; [unrolled: 1-line block ×4, first 2 shown]
	s_waitcnt vmcnt(0)
	ds_write_b128 v61, v[1:4]
.LBB42_259:
	s_or_b32 exec_lo, exec_lo, s4
	s_waitcnt lgkmcnt(0)
	s_waitcnt_vscnt null, 0x0
	s_barrier
	buffer_gl0_inv
	s_clause 0x37
	buffer_load_dword v9, off, s[0:3], 0 offset:136
	buffer_load_dword v10, off, s[0:3], 0 offset:140
	;; [unrolled: 1-line block ×56, first 2 shown]
	ds_read_b128 v[63:66], v62 offset:800
	s_clause 0x2
	buffer_load_dword v58, off, s[0:3], 0 offset:364
	buffer_load_dword v60, off, s[0:3], 0 offset:340
	;; [unrolled: 1-line block ×3, first 2 shown]
	ds_read_b128 v[67:70], v62 offset:816
	s_clause 0x4
	buffer_load_dword v78, off, s[0:3], 0 offset:380
	buffer_load_dword v79, off, s[0:3], 0 offset:392
	;; [unrolled: 1-line block ×5, first 2 shown]
	ds_read_b128 v[71:74], v62 offset:832
	s_clause 0x2
	buffer_load_dword v80, off, s[0:3], 0 offset:396
	buffer_load_dword v85, off, s[0:3], 0 offset:372
	;; [unrolled: 1-line block ×3, first 2 shown]
	s_mov_b32 s4, exec_lo
	s_waitcnt vmcnt(62) lgkmcnt(2)
	v_mul_f64 v[75:76], v[65:66], v[9:10]
	v_mul_f64 v[9:10], v[63:64], v[9:10]
	s_waitcnt lgkmcnt(1)
	v_mul_f64 v[82:83], v[69:70], v[5:6]
	s_waitcnt vmcnt(59) lgkmcnt(0)
	v_mul_f64 v[86:87], v[73:74], v[3:4]
	v_fma_f64 v[63:64], v[63:64], v[7:8], -v[75:76]
	v_mul_f64 v[75:76], v[67:68], v[5:6]
	v_fma_f64 v[9:10], v[65:66], v[7:8], v[9:10]
	s_waitcnt vmcnt(57)
	v_fma_f64 v[67:68], v[67:68], v[1:2], -v[82:83]
	ds_read_b128 v[5:8], v62 offset:848
	v_mul_f64 v[65:66], v[71:72], v[3:4]
	s_waitcnt vmcnt(51)
	v_fma_f64 v[71:72], v[71:72], v[25:26], -v[86:87]
	v_add_f64 v[63:64], v[63:64], 0
	v_fma_f64 v[69:70], v[69:70], v[1:2], v[75:76]
	v_add_f64 v[9:10], v[9:10], 0
	s_clause 0x4
	buffer_load_dword v76, off, s[0:3], 0 offset:412
	buffer_load_dword v88, off, s[0:3], 0 offset:424
	;; [unrolled: 1-line block ×5, first 2 shown]
	s_waitcnt lgkmcnt(0)
	v_mul_f64 v[91:92], v[5:6], v[13:14]
	v_mul_f64 v[13:14], v[7:8], v[13:14]
	ds_read_b128 v[1:4], v62 offset:864
	v_fma_f64 v[25:26], v[73:74], v[25:26], v[65:66]
	v_add_f64 v[67:68], v[63:64], v[67:68]
	v_add_f64 v[9:10], v[9:10], v[69:70]
	s_clause 0x2
	buffer_load_dword v89, off, s[0:3], 0 offset:428
	buffer_load_dword v70, off, s[0:3], 0 offset:404
	;; [unrolled: 1-line block ×3, first 2 shown]
	s_waitcnt vmcnt(58) lgkmcnt(0)
	v_mul_f64 v[73:74], v[1:2], v[17:18]
	v_mul_f64 v[17:18], v[3:4], v[17:18]
	s_waitcnt vmcnt(56)
	v_fma_f64 v[13:14], v[5:6], v[19:20], -v[13:14]
	ds_read_b128 v[63:66], v62 offset:880
	v_fma_f64 v[19:20], v[7:8], v[19:20], v[91:92]
	v_add_f64 v[67:68], v[67:68], v[71:72]
	v_add_f64 v[9:10], v[9:10], v[25:26]
	s_clause 0x4
	buffer_load_dword v26, off, s[0:3], 0 offset:444
	buffer_load_dword v71, off, s[0:3], 0 offset:456
	;; [unrolled: 1-line block ×5, first 2 shown]
	ds_read_b128 v[5:8], v62 offset:896
	s_waitcnt vmcnt(57) lgkmcnt(1)
	v_mul_f64 v[179:180], v[63:64], v[21:22]
	v_mul_f64 v[21:22], v[65:66], v[21:22]
	s_waitcnt vmcnt(56)
	v_fma_f64 v[17:18], v[1:2], v[11:12], -v[17:18]
	v_fma_f64 v[11:12], v[3:4], v[11:12], v[73:74]
	v_add_f64 v[13:14], v[67:68], v[13:14]
	v_add_f64 v[9:10], v[9:10], v[19:20]
	s_clause 0x2
	buffer_load_dword v72, off, s[0:3], 0 offset:460
	buffer_load_dword v20, off, s[0:3], 0 offset:436
	;; [unrolled: 1-line block ×3, first 2 shown]
	s_waitcnt vmcnt(58) lgkmcnt(0)
	v_mul_f64 v[67:68], v[5:6], v[27:28]
	v_mul_f64 v[27:28], v[7:8], v[27:28]
	s_waitcnt vmcnt(56)
	v_fma_f64 v[21:22], v[63:64], v[29:30], -v[21:22]
	ds_read_b128 v[1:4], v62 offset:912
	v_add_f64 v[13:14], v[13:14], v[17:18]
	v_fma_f64 v[17:18], v[65:66], v[29:30], v[179:180]
	v_add_f64 v[29:30], v[9:10], v[11:12]
	s_clause 0x4
	buffer_load_dword v64, off, s[0:3], 0 offset:476
	buffer_load_dword v65, off, s[0:3], 0 offset:488
	;; [unrolled: 1-line block ×5, first 2 shown]
	ds_read_b128 v[9:12], v62 offset:928
	s_waitcnt vmcnt(57) lgkmcnt(1)
	v_mul_f64 v[179:180], v[1:2], v[31:32]
	v_mul_f64 v[31:32], v[3:4], v[31:32]
	s_waitcnt vmcnt(56)
	v_fma_f64 v[27:28], v[5:6], v[15:16], -v[27:28]
	v_fma_f64 v[15:16], v[7:8], v[15:16], v[67:68]
	v_add_f64 v[13:14], v[13:14], v[21:22]
	s_clause 0x2
	buffer_load_dword v66, off, s[0:3], 0 offset:492
	buffer_load_dword v22, off, s[0:3], 0 offset:468
	;; [unrolled: 1-line block ×3, first 2 shown]
	v_add_f64 v[17:18], v[29:30], v[17:18]
	s_waitcnt vmcnt(58) lgkmcnt(0)
	v_mul_f64 v[29:30], v[9:10], v[35:36]
	v_mul_f64 v[35:36], v[11:12], v[35:36]
	ds_read_b128 v[5:8], v62 offset:944
	s_waitcnt vmcnt(56)
	v_fma_f64 v[31:32], v[1:2], v[37:38], -v[31:32]
	v_add_f64 v[13:14], v[13:14], v[27:28]
	v_fma_f64 v[27:28], v[3:4], v[37:38], v[179:180]
	v_add_f64 v[15:16], v[17:18], v[15:16]
	s_clause 0x4
	buffer_load_dword v18, off, s[0:3], 0 offset:508
	buffer_load_dword v37, off, s[0:3], 0 offset:520
	;; [unrolled: 1-line block ×5, first 2 shown]
	s_waitcnt vmcnt(57) lgkmcnt(0)
	v_mul_f64 v[179:180], v[5:6], v[39:40]
	v_mul_f64 v[39:40], v[7:8], v[39:40]
	s_waitcnt vmcnt(56)
	v_fma_f64 v[35:36], v[9:10], v[23:24], -v[35:36]
	ds_read_b128 v[1:4], v62 offset:960
	v_fma_f64 v[23:24], v[11:12], v[23:24], v[29:30]
	v_add_f64 v[13:14], v[13:14], v[31:32]
	v_add_f64 v[15:16], v[15:16], v[27:28]
	s_clause 0x2
	buffer_load_dword v38, off, s[0:3], 0 offset:524
	buffer_load_dword v28, off, s[0:3], 0 offset:500
	;; [unrolled: 1-line block ×3, first 2 shown]
	ds_read_b128 v[9:12], v62 offset:976
	s_waitcnt vmcnt(58) lgkmcnt(1)
	v_mul_f64 v[31:32], v[3:4], v[43:44]
	s_waitcnt vmcnt(56)
	v_fma_f64 v[39:40], v[5:6], v[45:46], -v[39:40]
	v_mul_f64 v[29:30], v[1:2], v[43:44]
	v_add_f64 v[13:14], v[13:14], v[35:36]
	v_fma_f64 v[35:36], v[7:8], v[45:46], v[179:180]
	v_add_f64 v[15:16], v[15:16], v[23:24]
	s_clause 0x4
	buffer_load_dword v24, off, s[0:3], 0 offset:540
	buffer_load_dword v43, off, s[0:3], 0 offset:552
	;; [unrolled: 1-line block ×5, first 2 shown]
	s_waitcnt vmcnt(57) lgkmcnt(0)
	v_mul_f64 v[179:180], v[9:10], v[47:48]
	v_mul_f64 v[46:47], v[11:12], v[47:48]
	s_waitcnt vmcnt(56)
	v_fma_f64 v[31:32], v[1:2], v[33:34], -v[31:32]
	ds_read_b128 v[5:8], v62 offset:992
	v_fma_f64 v[29:30], v[3:4], v[33:34], v[29:30]
	s_clause 0x2
	buffer_load_dword v44, off, s[0:3], 0 offset:556
	buffer_load_dword v34, off, s[0:3], 0 offset:532
	;; [unrolled: 1-line block ×3, first 2 shown]
	ds_read_b128 v[1:4], v62 offset:1008
	v_add_f64 v[13:14], v[13:14], v[39:40]
	v_add_f64 v[15:16], v[15:16], v[35:36]
	s_waitcnt vmcnt(58) lgkmcnt(1)
	v_mul_f64 v[39:40], v[7:8], v[51:52]
	s_waitcnt vmcnt(56)
	v_fma_f64 v[47:48], v[9:10], v[53:54], -v[46:47]
	v_mul_f64 v[35:36], v[5:6], v[51:52]
	v_add_f64 v[13:14], v[13:14], v[31:32]
	v_fma_f64 v[31:32], v[11:12], v[53:54], v[179:180]
	v_add_f64 v[15:16], v[15:16], v[29:30]
	s_clause 0x4
	buffer_load_dword v30, off, s[0:3], 0 offset:572
	buffer_load_dword v51, off, s[0:3], 0 offset:584
	;; [unrolled: 1-line block ×5, first 2 shown]
	s_waitcnt vmcnt(57) lgkmcnt(0)
	v_mul_f64 v[179:180], v[1:2], v[55:56]
	v_mul_f64 v[54:55], v[3:4], v[55:56]
	s_waitcnt vmcnt(56)
	v_fma_f64 v[39:40], v[5:6], v[41:42], -v[39:40]
	ds_read_b128 v[9:12], v62 offset:1024
	v_fma_f64 v[35:36], v[7:8], v[41:42], v[35:36]
	v_add_f64 v[13:14], v[13:14], v[47:48]
	v_add_f64 v[15:16], v[15:16], v[31:32]
	s_clause 0x2
	buffer_load_dword v52, off, s[0:3], 0 offset:588
	buffer_load_dword v32, off, s[0:3], 0 offset:564
	;; [unrolled: 1-line block ×3, first 2 shown]
	ds_read_b128 v[5:8], v62 offset:1040
	s_waitcnt vmcnt(58) lgkmcnt(1)
	v_mul_f64 v[47:48], v[11:12], v[57:58]
	s_waitcnt vmcnt(56)
	v_fma_f64 v[55:56], v[1:2], v[59:60], -v[54:55]
	v_mul_f64 v[41:42], v[9:10], v[57:58]
	v_add_f64 v[13:14], v[13:14], v[39:40]
	v_fma_f64 v[39:40], v[3:4], v[59:60], v[179:180]
	v_add_f64 v[15:16], v[15:16], v[35:36]
	s_clause 0x4
	buffer_load_dword v36, off, s[0:3], 0 offset:604
	buffer_load_dword v57, off, s[0:3], 0 offset:616
	;; [unrolled: 1-line block ×5, first 2 shown]
	s_waitcnt vmcnt(57) lgkmcnt(0)
	v_mul_f64 v[179:180], v[5:6], v[77:78]
	v_mul_f64 v[77:78], v[7:8], v[77:78]
	s_waitcnt vmcnt(56)
	v_fma_f64 v[47:48], v[9:10], v[49:50], -v[47:48]
	ds_read_b128 v[1:4], v62 offset:1056
	v_fma_f64 v[41:42], v[11:12], v[49:50], v[41:42]
	v_add_f64 v[13:14], v[13:14], v[55:56]
	v_add_f64 v[15:16], v[15:16], v[39:40]
	s_clause 0x2
	buffer_load_dword v58, off, s[0:3], 0 offset:620
	buffer_load_dword v40, off, s[0:3], 0 offset:596
	;; [unrolled: 1-line block ×3, first 2 shown]
	ds_read_b128 v[9:12], v62 offset:1072
	s_waitcnt vmcnt(58) lgkmcnt(1)
	v_mul_f64 v[55:56], v[3:4], v[79:80]
	s_waitcnt vmcnt(56)
	v_fma_f64 v[77:78], v[5:6], v[84:85], -v[77:78]
	v_mul_f64 v[49:50], v[1:2], v[79:80]
	v_add_f64 v[13:14], v[13:14], v[47:48]
	v_fma_f64 v[47:48], v[7:8], v[84:85], v[179:180]
	v_add_f64 v[15:16], v[15:16], v[41:42]
	s_clause 0x4
	buffer_load_dword v42, off, s[0:3], 0 offset:636
	buffer_load_dword v79, off, s[0:3], 0 offset:648
	;; [unrolled: 1-line block ×5, first 2 shown]
	ds_read_b128 v[5:8], v62 offset:1088
	s_waitcnt vmcnt(57) lgkmcnt(1)
	v_mul_f64 v[84:85], v[9:10], v[75:76]
	v_mul_f64 v[75:76], v[11:12], v[75:76]
	s_waitcnt vmcnt(56)
	v_fma_f64 v[55:56], v[1:2], v[81:82], -v[55:56]
	v_fma_f64 v[49:50], v[3:4], v[81:82], v[49:50]
	v_add_f64 v[13:14], v[13:14], v[77:78]
	v_add_f64 v[15:16], v[15:16], v[47:48]
	s_clause 0x2
	buffer_load_dword v80, off, s[0:3], 0 offset:652
	buffer_load_dword v48, off, s[0:3], 0 offset:628
	;; [unrolled: 1-line block ×3, first 2 shown]
	ds_read_b128 v[1:4], v62 offset:1104
	s_waitcnt vmcnt(58) lgkmcnt(1)
	v_mul_f64 v[81:82], v[7:8], v[88:89]
	v_mul_f64 v[77:78], v[5:6], v[88:89]
	s_waitcnt vmcnt(56)
	v_fma_f64 v[75:76], v[9:10], v[69:70], -v[75:76]
	v_add_f64 v[13:14], v[13:14], v[55:56]
	v_fma_f64 v[55:56], v[11:12], v[69:70], v[84:85]
	v_add_f64 v[15:16], v[15:16], v[49:50]
	s_clause 0x4
	buffer_load_dword v50, off, s[0:3], 0 offset:668
	buffer_load_dword v69, off, s[0:3], 0 offset:680
	buffer_load_dword v88, off, s[0:3], 0 offset:672
	buffer_load_dword v49, off, s[0:3], 0 offset:664
	buffer_load_dword v84, off, s[0:3], 0 offset:644
	ds_read_b128 v[9:12], v62 offset:1120
	s_waitcnt vmcnt(57) lgkmcnt(1)
	v_mul_f64 v[179:180], v[1:2], v[25:26]
	v_mul_f64 v[25:26], v[3:4], v[25:26]
	s_waitcnt vmcnt(56)
	v_fma_f64 v[81:82], v[5:6], v[90:91], -v[81:82]
	v_add_f64 v[13:14], v[13:14], v[75:76]
	v_fma_f64 v[75:76], v[7:8], v[90:91], v[77:78]
	v_add_f64 v[15:16], v[15:16], v[55:56]
	s_clause 0x2
	buffer_load_dword v70, off, s[0:3], 0 offset:684
	buffer_load_dword v56, off, s[0:3], 0 offset:660
	;; [unrolled: 1-line block ×3, first 2 shown]
	ds_read_b128 v[5:8], v62 offset:1136
	s_waitcnt vmcnt(58) lgkmcnt(1)
	v_mul_f64 v[77:78], v[9:10], v[71:72]
	v_mul_f64 v[71:72], v[11:12], v[71:72]
	s_waitcnt vmcnt(56)
	v_fma_f64 v[25:26], v[1:2], v[19:20], -v[25:26]
	v_fma_f64 v[19:20], v[3:4], v[19:20], v[179:180]
	v_add_f64 v[13:14], v[13:14], v[81:82]
	v_add_f64 v[15:16], v[15:16], v[75:76]
	s_clause 0x2
	buffer_load_dword v76, off, s[0:3], 0 offset:700
	buffer_load_dword v75, off, s[0:3], 0 offset:696
	;; [unrolled: 1-line block ×3, first 2 shown]
	ds_read_b128 v[1:4], v62 offset:1152
	s_waitcnt vmcnt(55) lgkmcnt(1)
	v_mul_f64 v[81:82], v[5:6], v[63:64]
	v_mul_f64 v[63:64], v[7:8], v[63:64]
	s_waitcnt vmcnt(54)
	v_fma_f64 v[71:72], v[9:10], v[86:87], -v[71:72]
	v_add_f64 v[13:14], v[13:14], v[25:26]
	v_fma_f64 v[25:26], v[11:12], v[86:87], v[77:78]
	v_add_f64 v[15:16], v[15:16], v[19:20]
	s_clause 0x1
	buffer_load_dword v20, off, s[0:3], 0 offset:692
	buffer_load_dword v19, off, s[0:3], 0 offset:688
	ds_read_b128 v[9:12], v62 offset:1168
	s_waitcnt vmcnt(55) lgkmcnt(1)
	v_mul_f64 v[77:78], v[1:2], v[65:66]
	v_mul_f64 v[65:66], v[3:4], v[65:66]
	s_waitcnt vmcnt(53)
	v_fma_f64 v[63:64], v[5:6], v[21:22], -v[63:64]
	v_fma_f64 v[21:22], v[7:8], v[21:22], v[81:82]
	ds_read_b128 v[5:8], v62 offset:1184
	v_add_f64 v[13:14], v[13:14], v[71:72]
	v_add_f64 v[15:16], v[15:16], v[25:26]
	s_waitcnt vmcnt(49) lgkmcnt(1)
	v_mul_f64 v[25:26], v[9:10], v[17:18]
	v_mul_f64 v[17:18], v[11:12], v[17:18]
	s_waitcnt vmcnt(48)
	v_fma_f64 v[65:66], v[1:2], v[73:74], -v[65:66]
	v_add_f64 v[13:14], v[13:14], v[63:64]
	v_fma_f64 v[63:64], v[3:4], v[73:74], v[77:78]
	v_add_f64 v[15:16], v[15:16], v[21:22]
	s_clause 0x3
	buffer_load_dword v21, off, s[0:3], 0 offset:112
	buffer_load_dword v22, off, s[0:3], 0 offset:116
	;; [unrolled: 1-line block ×4, first 2 shown]
	ds_read_b128 v[1:4], v62 offset:1200
	s_waitcnt vmcnt(51) lgkmcnt(1)
	v_mul_f64 v[73:74], v[5:6], v[37:38]
	v_mul_f64 v[37:38], v[7:8], v[37:38]
	s_waitcnt vmcnt(49)
	v_fma_f64 v[17:18], v[9:10], v[27:28], -v[17:18]
	v_fma_f64 v[25:26], v[11:12], v[27:28], v[25:26]
	ds_read_b128 v[9:12], v62 offset:1216
	v_add_f64 v[13:14], v[13:14], v[65:66]
	v_add_f64 v[15:16], v[15:16], v[63:64]
	s_waitcnt vmcnt(45) lgkmcnt(1)
	v_mul_f64 v[27:28], v[1:2], v[23:24]
	v_mul_f64 v[23:24], v[3:4], v[23:24]
	s_waitcnt vmcnt(44)
	v_fma_f64 v[37:38], v[5:6], v[67:68], -v[37:38]
	v_add_f64 v[13:14], v[13:14], v[17:18]
	v_fma_f64 v[17:18], v[7:8], v[67:68], v[73:74]
	v_add_f64 v[15:16], v[15:16], v[25:26]
	s_waitcnt vmcnt(43) lgkmcnt(0)
	v_mul_f64 v[25:26], v[9:10], v[43:44]
	v_mul_f64 v[43:44], v[11:12], v[43:44]
	ds_read_b128 v[5:8], v62 offset:1232
	s_waitcnt vmcnt(41)
	v_fma_f64 v[27:28], v[3:4], v[33:34], v[27:28]
	v_fma_f64 v[23:24], v[1:2], v[33:34], -v[23:24]
	ds_read_b128 v[1:4], v62 offset:1248
	v_add_f64 v[13:14], v[13:14], v[37:38]
	v_add_f64 v[15:16], v[15:16], v[17:18]
	s_waitcnt vmcnt(37) lgkmcnt(1)
	v_mul_f64 v[17:18], v[5:6], v[29:30]
	v_mul_f64 v[29:30], v[7:8], v[29:30]
	s_waitcnt vmcnt(36)
	v_fma_f64 v[33:34], v[9:10], v[45:46], -v[43:44]
	v_add_f64 v[13:14], v[13:14], v[23:24]
	v_fma_f64 v[23:24], v[11:12], v[45:46], v[25:26]
	v_add_f64 v[15:16], v[15:16], v[27:28]
	ds_read_b128 v[9:12], v62 offset:1264
	s_waitcnt vmcnt(35) lgkmcnt(1)
	v_mul_f64 v[27:28], v[3:4], v[51:52]
	v_mul_f64 v[25:26], v[1:2], v[51:52]
	s_waitcnt vmcnt(33)
	v_fma_f64 v[29:30], v[5:6], v[31:32], -v[29:30]
	v_fma_f64 v[17:18], v[7:8], v[31:32], v[17:18]
	ds_read_b128 v[5:8], v62 offset:1280
	v_add_f64 v[13:14], v[13:14], v[33:34]
	v_add_f64 v[15:16], v[15:16], v[23:24]
	s_waitcnt vmcnt(29) lgkmcnt(1)
	v_mul_f64 v[31:32], v[11:12], v[35:36]
	s_waitcnt vmcnt(28)
	v_fma_f64 v[27:28], v[1:2], v[53:54], -v[27:28]
	v_mul_f64 v[23:24], v[9:10], v[35:36]
	v_fma_f64 v[25:26], v[3:4], v[53:54], v[25:26]
	ds_read_b128 v[1:4], v62 offset:1296
	v_add_f64 v[13:14], v[13:14], v[29:30]
	v_add_f64 v[15:16], v[15:16], v[17:18]
	s_waitcnt vmcnt(27) lgkmcnt(1)
	v_mul_f64 v[29:30], v[7:8], v[57:58]
	v_mul_f64 v[17:18], v[5:6], v[57:58]
	s_waitcnt vmcnt(25)
	v_fma_f64 v[31:32], v[9:10], v[39:40], -v[31:32]
	v_fma_f64 v[23:24], v[11:12], v[39:40], v[23:24]
	ds_read_b128 v[9:12], v62 offset:1312
	v_add_f64 v[13:14], v[13:14], v[27:28]
	v_add_f64 v[15:16], v[15:16], v[25:26]
	s_waitcnt vmcnt(21) lgkmcnt(1)
	v_mul_f64 v[27:28], v[3:4], v[41:42]
	s_waitcnt vmcnt(20)
	v_fma_f64 v[29:30], v[5:6], v[59:60], -v[29:30]
	v_mul_f64 v[25:26], v[1:2], v[41:42]
	v_fma_f64 v[17:18], v[7:8], v[59:60], v[17:18]
	ds_read_b128 v[5:8], v62 offset:1328
	v_add_f64 v[13:14], v[13:14], v[31:32]
	v_add_f64 v[15:16], v[15:16], v[23:24]
	;; [unrolled: 18-line block ×3, first 2 shown]
	s_waitcnt vmcnt(11) lgkmcnt(1)
	v_mul_f64 v[27:28], v[3:4], v[69:70]
	v_mul_f64 v[25:26], v[1:2], v[69:70]
	s_waitcnt vmcnt(9)
	v_fma_f64 v[5:6], v[5:6], v[55:56], -v[29:30]
	v_fma_f64 v[7:8], v[7:8], v[55:56], v[17:18]
	v_add_f64 v[13:14], v[13:14], v[31:32]
	v_add_f64 v[15:16], v[15:16], v[23:24]
	s_waitcnt vmcnt(7) lgkmcnt(0)
	v_mul_f64 v[23:24], v[11:12], v[75:76]
	s_waitcnt vmcnt(6)
	v_fma_f64 v[1:2], v[1:2], v[88:89], -v[27:28]
	v_mul_f64 v[17:18], v[9:10], v[75:76]
	v_fma_f64 v[3:4], v[3:4], v[88:89], v[25:26]
	v_add_f64 v[5:6], v[13:14], v[5:6]
	v_add_f64 v[7:8], v[15:16], v[7:8]
	s_waitcnt vmcnt(4)
	v_fma_f64 v[9:10], v[9:10], v[19:20], -v[23:24]
	v_add_f64 v[1:2], v[5:6], v[1:2]
	v_fma_f64 v[5:6], v[11:12], v[19:20], v[17:18]
	v_add_f64 v[3:4], v[7:8], v[3:4]
	v_add_f64 v[1:2], v[1:2], v[9:10]
	;; [unrolled: 1-line block ×3, first 2 shown]
	s_waitcnt vmcnt(2)
	v_add_f64 v[1:2], v[21:22], -v[1:2]
	s_waitcnt vmcnt(0)
	v_add_f64 v[3:4], v[71:72], -v[3:4]
	buffer_store_dword v2, off, s[0:3], 0 offset:116
	buffer_store_dword v1, off, s[0:3], 0 offset:112
	;; [unrolled: 1-line block ×4, first 2 shown]
	v_cmpx_lt_u32_e32 5, v0
	s_cbranch_execz .LBB42_261
; %bb.260:
	v_mov_b32_e32 v4, s50
	v_mov_b32_e32 v5, 0
	s_clause 0x3
	buffer_load_dword v1, v4, s[0:3], 0 offen
	buffer_load_dword v2, v4, s[0:3], 0 offen offset:4
	buffer_load_dword v3, v4, s[0:3], 0 offen offset:8
	;; [unrolled: 1-line block ×3, first 2 shown]
	buffer_store_dword v5, off, s[0:3], 0 offset:96
	buffer_store_dword v5, off, s[0:3], 0 offset:100
	;; [unrolled: 1-line block ×4, first 2 shown]
	s_waitcnt vmcnt(0)
	ds_write_b128 v61, v[1:4]
.LBB42_261:
	s_or_b32 exec_lo, exec_lo, s4
	s_waitcnt lgkmcnt(0)
	s_waitcnt_vscnt null, 0x0
	s_barrier
	buffer_gl0_inv
	s_clause 0x37
	buffer_load_dword v9, off, s[0:3], 0 offset:120
	buffer_load_dword v10, off, s[0:3], 0 offset:124
	;; [unrolled: 1-line block ×56, first 2 shown]
	v_mov_b32_e32 v62, 0
	s_mov_b32 s4, exec_lo
	ds_read_b128 v[63:66], v62 offset:784
	s_clause 0x2
	buffer_load_dword v58, off, s[0:3], 0 offset:348
	buffer_load_dword v60, off, s[0:3], 0 offset:324
	;; [unrolled: 1-line block ×3, first 2 shown]
	ds_read_b128 v[67:70], v62 offset:800
	s_clause 0x4
	buffer_load_dword v78, off, s[0:3], 0 offset:364
	buffer_load_dword v79, off, s[0:3], 0 offset:376
	;; [unrolled: 1-line block ×5, first 2 shown]
	ds_read_b128 v[71:74], v62 offset:816
	s_clause 0x2
	buffer_load_dword v80, off, s[0:3], 0 offset:380
	buffer_load_dword v85, off, s[0:3], 0 offset:356
	;; [unrolled: 1-line block ×3, first 2 shown]
	s_waitcnt vmcnt(62) lgkmcnt(2)
	v_mul_f64 v[75:76], v[65:66], v[9:10]
	v_mul_f64 v[9:10], v[63:64], v[9:10]
	s_waitcnt lgkmcnt(1)
	v_mul_f64 v[82:83], v[69:70], v[5:6]
	s_waitcnt vmcnt(59) lgkmcnt(0)
	v_mul_f64 v[86:87], v[73:74], v[3:4]
	v_fma_f64 v[63:64], v[63:64], v[7:8], -v[75:76]
	v_mul_f64 v[75:76], v[67:68], v[5:6]
	v_fma_f64 v[9:10], v[65:66], v[7:8], v[9:10]
	s_waitcnt vmcnt(57)
	v_fma_f64 v[67:68], v[67:68], v[1:2], -v[82:83]
	ds_read_b128 v[5:8], v62 offset:832
	v_mul_f64 v[65:66], v[71:72], v[3:4]
	s_waitcnt vmcnt(51)
	v_fma_f64 v[71:72], v[71:72], v[25:26], -v[86:87]
	v_add_f64 v[63:64], v[63:64], 0
	v_fma_f64 v[69:70], v[69:70], v[1:2], v[75:76]
	v_add_f64 v[9:10], v[9:10], 0
	s_clause 0x4
	buffer_load_dword v76, off, s[0:3], 0 offset:396
	buffer_load_dword v88, off, s[0:3], 0 offset:408
	;; [unrolled: 1-line block ×5, first 2 shown]
	s_waitcnt lgkmcnt(0)
	v_mul_f64 v[91:92], v[5:6], v[13:14]
	v_mul_f64 v[13:14], v[7:8], v[13:14]
	ds_read_b128 v[1:4], v62 offset:848
	v_fma_f64 v[25:26], v[73:74], v[25:26], v[65:66]
	v_add_f64 v[67:68], v[63:64], v[67:68]
	v_add_f64 v[9:10], v[9:10], v[69:70]
	s_clause 0x2
	buffer_load_dword v89, off, s[0:3], 0 offset:412
	buffer_load_dword v70, off, s[0:3], 0 offset:388
	;; [unrolled: 1-line block ×3, first 2 shown]
	s_waitcnt vmcnt(58) lgkmcnt(0)
	v_mul_f64 v[73:74], v[1:2], v[17:18]
	v_mul_f64 v[17:18], v[3:4], v[17:18]
	s_waitcnt vmcnt(56)
	v_fma_f64 v[13:14], v[5:6], v[19:20], -v[13:14]
	ds_read_b128 v[63:66], v62 offset:864
	v_fma_f64 v[19:20], v[7:8], v[19:20], v[91:92]
	v_add_f64 v[67:68], v[67:68], v[71:72]
	v_add_f64 v[9:10], v[9:10], v[25:26]
	s_clause 0x4
	buffer_load_dword v26, off, s[0:3], 0 offset:428
	buffer_load_dword v71, off, s[0:3], 0 offset:440
	;; [unrolled: 1-line block ×5, first 2 shown]
	ds_read_b128 v[5:8], v62 offset:880
	s_waitcnt vmcnt(57) lgkmcnt(1)
	v_mul_f64 v[179:180], v[63:64], v[21:22]
	v_mul_f64 v[21:22], v[65:66], v[21:22]
	s_waitcnt vmcnt(56)
	v_fma_f64 v[17:18], v[1:2], v[11:12], -v[17:18]
	v_fma_f64 v[11:12], v[3:4], v[11:12], v[73:74]
	v_add_f64 v[13:14], v[67:68], v[13:14]
	v_add_f64 v[9:10], v[9:10], v[19:20]
	s_clause 0x2
	buffer_load_dword v72, off, s[0:3], 0 offset:444
	buffer_load_dword v20, off, s[0:3], 0 offset:420
	;; [unrolled: 1-line block ×3, first 2 shown]
	s_waitcnt vmcnt(58) lgkmcnt(0)
	v_mul_f64 v[67:68], v[5:6], v[27:28]
	v_mul_f64 v[27:28], v[7:8], v[27:28]
	s_waitcnt vmcnt(56)
	v_fma_f64 v[21:22], v[63:64], v[29:30], -v[21:22]
	ds_read_b128 v[1:4], v62 offset:896
	v_add_f64 v[13:14], v[13:14], v[17:18]
	v_fma_f64 v[17:18], v[65:66], v[29:30], v[179:180]
	v_add_f64 v[29:30], v[9:10], v[11:12]
	s_clause 0x4
	buffer_load_dword v64, off, s[0:3], 0 offset:460
	buffer_load_dword v65, off, s[0:3], 0 offset:472
	;; [unrolled: 1-line block ×5, first 2 shown]
	ds_read_b128 v[9:12], v62 offset:912
	s_waitcnt vmcnt(57) lgkmcnt(1)
	v_mul_f64 v[179:180], v[1:2], v[31:32]
	v_mul_f64 v[31:32], v[3:4], v[31:32]
	s_waitcnt vmcnt(56)
	v_fma_f64 v[27:28], v[5:6], v[15:16], -v[27:28]
	v_fma_f64 v[15:16], v[7:8], v[15:16], v[67:68]
	v_add_f64 v[13:14], v[13:14], v[21:22]
	s_clause 0x2
	buffer_load_dword v66, off, s[0:3], 0 offset:476
	buffer_load_dword v22, off, s[0:3], 0 offset:452
	;; [unrolled: 1-line block ×3, first 2 shown]
	v_add_f64 v[17:18], v[29:30], v[17:18]
	s_waitcnt vmcnt(58) lgkmcnt(0)
	v_mul_f64 v[29:30], v[9:10], v[35:36]
	v_mul_f64 v[35:36], v[11:12], v[35:36]
	ds_read_b128 v[5:8], v62 offset:928
	s_waitcnt vmcnt(56)
	v_fma_f64 v[31:32], v[1:2], v[37:38], -v[31:32]
	v_add_f64 v[13:14], v[13:14], v[27:28]
	v_fma_f64 v[27:28], v[3:4], v[37:38], v[179:180]
	v_add_f64 v[15:16], v[17:18], v[15:16]
	s_clause 0x4
	buffer_load_dword v18, off, s[0:3], 0 offset:492
	buffer_load_dword v37, off, s[0:3], 0 offset:504
	;; [unrolled: 1-line block ×5, first 2 shown]
	s_waitcnt vmcnt(57) lgkmcnt(0)
	v_mul_f64 v[179:180], v[5:6], v[39:40]
	v_mul_f64 v[39:40], v[7:8], v[39:40]
	s_waitcnt vmcnt(56)
	v_fma_f64 v[35:36], v[9:10], v[23:24], -v[35:36]
	ds_read_b128 v[1:4], v62 offset:944
	v_fma_f64 v[23:24], v[11:12], v[23:24], v[29:30]
	v_add_f64 v[13:14], v[13:14], v[31:32]
	v_add_f64 v[15:16], v[15:16], v[27:28]
	s_clause 0x2
	buffer_load_dword v38, off, s[0:3], 0 offset:508
	buffer_load_dword v28, off, s[0:3], 0 offset:484
	;; [unrolled: 1-line block ×3, first 2 shown]
	ds_read_b128 v[9:12], v62 offset:960
	s_waitcnt vmcnt(58) lgkmcnt(1)
	v_mul_f64 v[31:32], v[3:4], v[43:44]
	s_waitcnt vmcnt(56)
	v_fma_f64 v[39:40], v[5:6], v[45:46], -v[39:40]
	v_mul_f64 v[29:30], v[1:2], v[43:44]
	v_add_f64 v[13:14], v[13:14], v[35:36]
	v_fma_f64 v[35:36], v[7:8], v[45:46], v[179:180]
	v_add_f64 v[15:16], v[15:16], v[23:24]
	s_clause 0x4
	buffer_load_dword v24, off, s[0:3], 0 offset:524
	buffer_load_dword v43, off, s[0:3], 0 offset:536
	;; [unrolled: 1-line block ×5, first 2 shown]
	s_waitcnt vmcnt(57) lgkmcnt(0)
	v_mul_f64 v[179:180], v[9:10], v[47:48]
	v_mul_f64 v[46:47], v[11:12], v[47:48]
	s_waitcnt vmcnt(56)
	v_fma_f64 v[31:32], v[1:2], v[33:34], -v[31:32]
	ds_read_b128 v[5:8], v62 offset:976
	v_fma_f64 v[29:30], v[3:4], v[33:34], v[29:30]
	s_clause 0x2
	buffer_load_dword v44, off, s[0:3], 0 offset:540
	buffer_load_dword v34, off, s[0:3], 0 offset:516
	;; [unrolled: 1-line block ×3, first 2 shown]
	ds_read_b128 v[1:4], v62 offset:992
	v_add_f64 v[13:14], v[13:14], v[39:40]
	v_add_f64 v[15:16], v[15:16], v[35:36]
	s_waitcnt vmcnt(58) lgkmcnt(1)
	v_mul_f64 v[39:40], v[7:8], v[51:52]
	s_waitcnt vmcnt(56)
	v_fma_f64 v[47:48], v[9:10], v[53:54], -v[46:47]
	v_mul_f64 v[35:36], v[5:6], v[51:52]
	v_add_f64 v[13:14], v[13:14], v[31:32]
	v_fma_f64 v[31:32], v[11:12], v[53:54], v[179:180]
	v_add_f64 v[15:16], v[15:16], v[29:30]
	s_clause 0x4
	buffer_load_dword v30, off, s[0:3], 0 offset:556
	buffer_load_dword v51, off, s[0:3], 0 offset:568
	;; [unrolled: 1-line block ×5, first 2 shown]
	s_waitcnt vmcnt(57) lgkmcnt(0)
	v_mul_f64 v[179:180], v[1:2], v[55:56]
	v_mul_f64 v[54:55], v[3:4], v[55:56]
	s_waitcnt vmcnt(56)
	v_fma_f64 v[39:40], v[5:6], v[41:42], -v[39:40]
	ds_read_b128 v[9:12], v62 offset:1008
	v_fma_f64 v[35:36], v[7:8], v[41:42], v[35:36]
	v_add_f64 v[13:14], v[13:14], v[47:48]
	v_add_f64 v[15:16], v[15:16], v[31:32]
	s_clause 0x2
	buffer_load_dword v52, off, s[0:3], 0 offset:572
	buffer_load_dword v32, off, s[0:3], 0 offset:548
	buffer_load_dword v31, off, s[0:3], 0 offset:544
	ds_read_b128 v[5:8], v62 offset:1024
	s_waitcnt vmcnt(58) lgkmcnt(1)
	v_mul_f64 v[47:48], v[11:12], v[57:58]
	s_waitcnt vmcnt(56)
	v_fma_f64 v[55:56], v[1:2], v[59:60], -v[54:55]
	v_mul_f64 v[41:42], v[9:10], v[57:58]
	v_add_f64 v[13:14], v[13:14], v[39:40]
	v_fma_f64 v[39:40], v[3:4], v[59:60], v[179:180]
	v_add_f64 v[15:16], v[15:16], v[35:36]
	s_clause 0x4
	buffer_load_dword v36, off, s[0:3], 0 offset:588
	buffer_load_dword v57, off, s[0:3], 0 offset:600
	;; [unrolled: 1-line block ×5, first 2 shown]
	s_waitcnt vmcnt(57) lgkmcnt(0)
	v_mul_f64 v[179:180], v[5:6], v[77:78]
	v_mul_f64 v[77:78], v[7:8], v[77:78]
	s_waitcnt vmcnt(56)
	v_fma_f64 v[47:48], v[9:10], v[49:50], -v[47:48]
	ds_read_b128 v[1:4], v62 offset:1040
	v_fma_f64 v[41:42], v[11:12], v[49:50], v[41:42]
	v_add_f64 v[13:14], v[13:14], v[55:56]
	v_add_f64 v[15:16], v[15:16], v[39:40]
	s_clause 0x2
	buffer_load_dword v58, off, s[0:3], 0 offset:604
	buffer_load_dword v40, off, s[0:3], 0 offset:580
	;; [unrolled: 1-line block ×3, first 2 shown]
	ds_read_b128 v[9:12], v62 offset:1056
	s_waitcnt vmcnt(58) lgkmcnt(1)
	v_mul_f64 v[55:56], v[3:4], v[79:80]
	s_waitcnt vmcnt(56)
	v_fma_f64 v[77:78], v[5:6], v[84:85], -v[77:78]
	v_mul_f64 v[49:50], v[1:2], v[79:80]
	v_add_f64 v[13:14], v[13:14], v[47:48]
	v_fma_f64 v[47:48], v[7:8], v[84:85], v[179:180]
	v_add_f64 v[15:16], v[15:16], v[41:42]
	s_clause 0x4
	buffer_load_dword v42, off, s[0:3], 0 offset:620
	buffer_load_dword v79, off, s[0:3], 0 offset:632
	;; [unrolled: 1-line block ×5, first 2 shown]
	ds_read_b128 v[5:8], v62 offset:1072
	s_waitcnt vmcnt(57) lgkmcnt(1)
	v_mul_f64 v[84:85], v[9:10], v[75:76]
	v_mul_f64 v[75:76], v[11:12], v[75:76]
	s_waitcnt vmcnt(56)
	v_fma_f64 v[55:56], v[1:2], v[81:82], -v[55:56]
	v_fma_f64 v[49:50], v[3:4], v[81:82], v[49:50]
	v_add_f64 v[13:14], v[13:14], v[77:78]
	v_add_f64 v[15:16], v[15:16], v[47:48]
	s_clause 0x2
	buffer_load_dword v80, off, s[0:3], 0 offset:636
	buffer_load_dword v48, off, s[0:3], 0 offset:612
	;; [unrolled: 1-line block ×3, first 2 shown]
	ds_read_b128 v[1:4], v62 offset:1088
	s_waitcnt vmcnt(58) lgkmcnt(1)
	v_mul_f64 v[81:82], v[7:8], v[88:89]
	v_mul_f64 v[77:78], v[5:6], v[88:89]
	s_waitcnt vmcnt(56)
	v_fma_f64 v[75:76], v[9:10], v[69:70], -v[75:76]
	v_add_f64 v[13:14], v[13:14], v[55:56]
	v_fma_f64 v[55:56], v[11:12], v[69:70], v[84:85]
	v_add_f64 v[15:16], v[15:16], v[49:50]
	s_clause 0x4
	buffer_load_dword v50, off, s[0:3], 0 offset:652
	buffer_load_dword v69, off, s[0:3], 0 offset:664
	;; [unrolled: 1-line block ×5, first 2 shown]
	ds_read_b128 v[9:12], v62 offset:1104
	s_waitcnt vmcnt(57) lgkmcnt(1)
	v_mul_f64 v[179:180], v[1:2], v[25:26]
	v_mul_f64 v[25:26], v[3:4], v[25:26]
	s_waitcnt vmcnt(56)
	v_fma_f64 v[81:82], v[5:6], v[90:91], -v[81:82]
	v_add_f64 v[13:14], v[13:14], v[75:76]
	v_fma_f64 v[75:76], v[7:8], v[90:91], v[77:78]
	v_add_f64 v[15:16], v[15:16], v[55:56]
	s_clause 0x2
	buffer_load_dword v70, off, s[0:3], 0 offset:668
	buffer_load_dword v56, off, s[0:3], 0 offset:644
	;; [unrolled: 1-line block ×3, first 2 shown]
	ds_read_b128 v[5:8], v62 offset:1120
	s_waitcnt vmcnt(58) lgkmcnt(1)
	v_mul_f64 v[77:78], v[9:10], v[71:72]
	v_mul_f64 v[71:72], v[11:12], v[71:72]
	s_waitcnt vmcnt(56)
	v_fma_f64 v[25:26], v[1:2], v[19:20], -v[25:26]
	v_fma_f64 v[19:20], v[3:4], v[19:20], v[179:180]
	v_add_f64 v[13:14], v[13:14], v[81:82]
	v_add_f64 v[15:16], v[15:16], v[75:76]
	s_clause 0x4
	buffer_load_dword v76, off, s[0:3], 0 offset:684
	buffer_load_dword v81, off, s[0:3], 0 offset:696
	;; [unrolled: 1-line block ×5, first 2 shown]
	ds_read_b128 v[1:4], v62 offset:1136
	s_waitcnt vmcnt(57) lgkmcnt(1)
	v_mul_f64 v[90:91], v[5:6], v[63:64]
	v_mul_f64 v[63:64], v[7:8], v[63:64]
	s_waitcnt vmcnt(56)
	v_fma_f64 v[71:72], v[9:10], v[86:87], -v[71:72]
	v_add_f64 v[13:14], v[13:14], v[25:26]
	v_fma_f64 v[25:26], v[11:12], v[86:87], v[77:78]
	v_add_f64 v[15:16], v[15:16], v[19:20]
	s_clause 0x2
	buffer_load_dword v82, off, s[0:3], 0 offset:700
	buffer_load_dword v20, off, s[0:3], 0 offset:676
	;; [unrolled: 1-line block ×3, first 2 shown]
	ds_read_b128 v[9:12], v62 offset:1152
	buffer_load_dword v86, off, s[0:3], 0 offset:692
	s_waitcnt vmcnt(59) lgkmcnt(1)
	v_mul_f64 v[77:78], v[1:2], v[65:66]
	v_mul_f64 v[65:66], v[3:4], v[65:66]
	s_waitcnt vmcnt(57)
	v_fma_f64 v[63:64], v[5:6], v[21:22], -v[63:64]
	v_fma_f64 v[21:22], v[7:8], v[21:22], v[90:91]
	ds_read_b128 v[5:8], v62 offset:1168
	v_add_f64 v[13:14], v[13:14], v[71:72]
	v_add_f64 v[15:16], v[15:16], v[25:26]
	s_waitcnt vmcnt(53) lgkmcnt(1)
	v_mul_f64 v[25:26], v[9:10], v[17:18]
	v_mul_f64 v[17:18], v[11:12], v[17:18]
	s_waitcnt vmcnt(52)
	v_fma_f64 v[65:66], v[1:2], v[73:74], -v[65:66]
	v_add_f64 v[13:14], v[13:14], v[63:64]
	v_fma_f64 v[63:64], v[3:4], v[73:74], v[77:78]
	v_add_f64 v[15:16], v[15:16], v[21:22]
	ds_read_b128 v[1:4], v62 offset:1184
	s_waitcnt vmcnt(51) lgkmcnt(1)
	v_mul_f64 v[21:22], v[5:6], v[37:38]
	v_mul_f64 v[37:38], v[7:8], v[37:38]
	s_waitcnt vmcnt(49)
	v_fma_f64 v[17:18], v[9:10], v[27:28], -v[17:18]
	v_fma_f64 v[25:26], v[11:12], v[27:28], v[25:26]
	v_add_f64 v[13:14], v[13:14], v[65:66]
	v_add_f64 v[15:16], v[15:16], v[63:64]
	s_clause 0x3
	buffer_load_dword v27, off, s[0:3], 0 offset:96
	buffer_load_dword v28, off, s[0:3], 0 offset:100
	;; [unrolled: 1-line block ×4, first 2 shown]
	ds_read_b128 v[9:12], v62 offset:1200
	s_waitcnt vmcnt(49) lgkmcnt(1)
	v_mul_f64 v[65:66], v[1:2], v[23:24]
	v_mul_f64 v[23:24], v[3:4], v[23:24]
	s_waitcnt vmcnt(48)
	v_fma_f64 v[37:38], v[5:6], v[67:68], -v[37:38]
	v_add_f64 v[13:14], v[13:14], v[17:18]
	v_fma_f64 v[17:18], v[7:8], v[67:68], v[21:22]
	v_add_f64 v[15:16], v[15:16], v[25:26]
	ds_read_b128 v[5:8], v62 offset:1216
	s_waitcnt vmcnt(47) lgkmcnt(1)
	v_mul_f64 v[25:26], v[11:12], v[43:44]
	v_mul_f64 v[21:22], v[9:10], v[43:44]
	s_waitcnt vmcnt(45)
	v_fma_f64 v[23:24], v[1:2], v[33:34], -v[23:24]
	v_fma_f64 v[33:34], v[3:4], v[33:34], v[65:66]
	ds_read_b128 v[1:4], v62 offset:1232
	v_add_f64 v[13:14], v[13:14], v[37:38]
	v_add_f64 v[15:16], v[15:16], v[17:18]
	s_waitcnt vmcnt(41) lgkmcnt(1)
	v_mul_f64 v[17:18], v[5:6], v[29:30]
	v_mul_f64 v[29:30], v[7:8], v[29:30]
	s_waitcnt vmcnt(40)
	v_fma_f64 v[25:26], v[9:10], v[45:46], -v[25:26]
	v_fma_f64 v[21:22], v[11:12], v[45:46], v[21:22]
	ds_read_b128 v[9:12], v62 offset:1248
	v_add_f64 v[13:14], v[13:14], v[23:24]
	v_add_f64 v[15:16], v[15:16], v[33:34]
	;; [unrolled: 9-line block ×3, first 2 shown]
	s_waitcnt vmcnt(33) lgkmcnt(1)
	v_mul_f64 v[25:26], v[11:12], v[35:36]
	s_waitcnt vmcnt(32)
	v_fma_f64 v[31:32], v[1:2], v[53:54], -v[33:34]
	v_mul_f64 v[21:22], v[9:10], v[35:36]
	v_fma_f64 v[23:24], v[3:4], v[53:54], v[23:24]
	ds_read_b128 v[1:4], v62 offset:1280
	v_add_f64 v[13:14], v[13:14], v[29:30]
	v_add_f64 v[15:16], v[15:16], v[17:18]
	s_waitcnt vmcnt(31) lgkmcnt(1)
	v_mul_f64 v[29:30], v[7:8], v[57:58]
	v_mul_f64 v[17:18], v[5:6], v[57:58]
	s_waitcnt vmcnt(29)
	v_fma_f64 v[25:26], v[9:10], v[39:40], -v[25:26]
	v_fma_f64 v[21:22], v[11:12], v[39:40], v[21:22]
	ds_read_b128 v[9:12], v62 offset:1296
	v_add_f64 v[13:14], v[13:14], v[31:32]
	v_add_f64 v[15:16], v[15:16], v[23:24]
	s_waitcnt vmcnt(25) lgkmcnt(1)
	v_mul_f64 v[31:32], v[3:4], v[41:42]
	s_waitcnt vmcnt(24)
	v_fma_f64 v[29:30], v[5:6], v[59:60], -v[29:30]
	v_mul_f64 v[23:24], v[1:2], v[41:42]
	v_fma_f64 v[17:18], v[7:8], v[59:60], v[17:18]
	ds_read_b128 v[5:8], v62 offset:1312
	v_add_f64 v[13:14], v[13:14], v[25:26]
	v_add_f64 v[15:16], v[15:16], v[21:22]
	s_waitcnt vmcnt(23) lgkmcnt(1)
	v_mul_f64 v[25:26], v[11:12], v[79:80]
	v_mul_f64 v[21:22], v[9:10], v[79:80]
	s_waitcnt vmcnt(21)
	v_fma_f64 v[31:32], v[1:2], v[47:48], -v[31:32]
	v_fma_f64 v[23:24], v[3:4], v[47:48], v[23:24]
	ds_read_b128 v[1:4], v62 offset:1328
	v_add_f64 v[13:14], v[13:14], v[29:30]
	v_add_f64 v[15:16], v[15:16], v[17:18]
	s_waitcnt vmcnt(17) lgkmcnt(1)
	v_mul_f64 v[29:30], v[7:8], v[49:50]
	s_waitcnt vmcnt(16)
	v_fma_f64 v[25:26], v[9:10], v[83:84], -v[25:26]
	v_mul_f64 v[17:18], v[5:6], v[49:50]
	v_fma_f64 v[21:22], v[11:12], v[83:84], v[21:22]
	ds_read_b128 v[9:12], v62 offset:1344
	v_add_f64 v[13:14], v[13:14], v[31:32]
	v_add_f64 v[15:16], v[15:16], v[23:24]
	s_waitcnt vmcnt(15) lgkmcnt(1)
	v_mul_f64 v[31:32], v[3:4], v[69:70]
	v_mul_f64 v[23:24], v[1:2], v[69:70]
	s_waitcnt vmcnt(13)
	v_fma_f64 v[29:30], v[5:6], v[55:56], -v[29:30]
	v_fma_f64 v[17:18], v[7:8], v[55:56], v[17:18]
	ds_read_b128 v[5:8], v62 offset:1360
	v_add_f64 v[13:14], v[13:14], v[25:26]
	v_add_f64 v[15:16], v[15:16], v[21:22]
	s_waitcnt vmcnt(9) lgkmcnt(1)
	v_mul_f64 v[25:26], v[11:12], v[75:76]
	s_waitcnt vmcnt(8)
	v_fma_f64 v[1:2], v[1:2], v[88:89], -v[31:32]
	v_mul_f64 v[21:22], v[9:10], v[75:76]
	v_fma_f64 v[3:4], v[3:4], v[88:89], v[23:24]
	v_add_f64 v[13:14], v[13:14], v[29:30]
	v_add_f64 v[15:16], v[15:16], v[17:18]
	s_waitcnt vmcnt(7) lgkmcnt(0)
	v_mul_f64 v[23:24], v[7:8], v[81:82]
	v_mul_f64 v[17:18], v[5:6], v[81:82]
	s_waitcnt vmcnt(5)
	v_fma_f64 v[9:10], v[9:10], v[19:20], -v[25:26]
	v_fma_f64 v[11:12], v[11:12], v[19:20], v[21:22]
	v_add_f64 v[1:2], v[13:14], v[1:2]
	v_add_f64 v[3:4], v[15:16], v[3:4]
	s_waitcnt vmcnt(4)
	v_fma_f64 v[5:6], v[5:6], v[85:86], -v[23:24]
	v_fma_f64 v[7:8], v[7:8], v[85:86], v[17:18]
	v_add_f64 v[1:2], v[1:2], v[9:10]
	v_add_f64 v[3:4], v[3:4], v[11:12]
	v_add_f64 v[1:2], v[1:2], v[5:6]
	v_add_f64 v[3:4], v[3:4], v[7:8]
	s_waitcnt vmcnt(2)
	v_add_f64 v[1:2], v[27:28], -v[1:2]
	s_waitcnt vmcnt(0)
	v_add_f64 v[3:4], v[63:64], -v[3:4]
	buffer_store_dword v2, off, s[0:3], 0 offset:100
	buffer_store_dword v1, off, s[0:3], 0 offset:96
	;; [unrolled: 1-line block ×4, first 2 shown]
	v_cmpx_lt_u32_e32 4, v0
	s_cbranch_execz .LBB42_263
; %bb.262:
	v_mov_b32_e32 v4, s51
	s_clause 0x3
	buffer_load_dword v1, v4, s[0:3], 0 offen
	buffer_load_dword v2, v4, s[0:3], 0 offen offset:4
	buffer_load_dword v3, v4, s[0:3], 0 offen offset:8
	;; [unrolled: 1-line block ×3, first 2 shown]
	buffer_store_dword v62, off, s[0:3], 0 offset:80
	buffer_store_dword v62, off, s[0:3], 0 offset:84
	;; [unrolled: 1-line block ×4, first 2 shown]
	s_waitcnt vmcnt(0)
	ds_write_b128 v61, v[1:4]
.LBB42_263:
	s_or_b32 exec_lo, exec_lo, s4
	s_waitcnt lgkmcnt(0)
	s_waitcnt_vscnt null, 0x0
	s_barrier
	buffer_gl0_inv
	s_clause 0x37
	buffer_load_dword v9, off, s[0:3], 0 offset:104
	buffer_load_dword v10, off, s[0:3], 0 offset:108
	;; [unrolled: 1-line block ×56, first 2 shown]
	ds_read_b128 v[63:66], v62 offset:768
	s_clause 0x2
	buffer_load_dword v58, off, s[0:3], 0 offset:332
	buffer_load_dword v60, off, s[0:3], 0 offset:308
	;; [unrolled: 1-line block ×3, first 2 shown]
	ds_read_b128 v[67:70], v62 offset:784
	s_clause 0x4
	buffer_load_dword v78, off, s[0:3], 0 offset:348
	buffer_load_dword v79, off, s[0:3], 0 offset:360
	;; [unrolled: 1-line block ×5, first 2 shown]
	ds_read_b128 v[71:74], v62 offset:800
	s_clause 0x2
	buffer_load_dword v80, off, s[0:3], 0 offset:364
	buffer_load_dword v85, off, s[0:3], 0 offset:340
	;; [unrolled: 1-line block ×3, first 2 shown]
	s_mov_b32 s4, exec_lo
	s_waitcnt vmcnt(62) lgkmcnt(2)
	v_mul_f64 v[75:76], v[65:66], v[9:10]
	v_mul_f64 v[9:10], v[63:64], v[9:10]
	s_waitcnt lgkmcnt(1)
	v_mul_f64 v[82:83], v[69:70], v[5:6]
	s_waitcnt vmcnt(59) lgkmcnt(0)
	v_mul_f64 v[86:87], v[73:74], v[3:4]
	v_fma_f64 v[63:64], v[63:64], v[7:8], -v[75:76]
	v_mul_f64 v[75:76], v[67:68], v[5:6]
	v_fma_f64 v[9:10], v[65:66], v[7:8], v[9:10]
	s_waitcnt vmcnt(57)
	v_fma_f64 v[67:68], v[67:68], v[1:2], -v[82:83]
	ds_read_b128 v[5:8], v62 offset:816
	v_mul_f64 v[65:66], v[71:72], v[3:4]
	s_waitcnt vmcnt(51)
	v_fma_f64 v[71:72], v[71:72], v[25:26], -v[86:87]
	v_add_f64 v[63:64], v[63:64], 0
	v_fma_f64 v[69:70], v[69:70], v[1:2], v[75:76]
	v_add_f64 v[9:10], v[9:10], 0
	s_clause 0x4
	buffer_load_dword v76, off, s[0:3], 0 offset:380
	buffer_load_dword v88, off, s[0:3], 0 offset:392
	;; [unrolled: 1-line block ×5, first 2 shown]
	s_waitcnt lgkmcnt(0)
	v_mul_f64 v[91:92], v[5:6], v[13:14]
	v_mul_f64 v[13:14], v[7:8], v[13:14]
	ds_read_b128 v[1:4], v62 offset:832
	v_fma_f64 v[25:26], v[73:74], v[25:26], v[65:66]
	v_add_f64 v[67:68], v[63:64], v[67:68]
	v_add_f64 v[9:10], v[9:10], v[69:70]
	s_clause 0x2
	buffer_load_dword v89, off, s[0:3], 0 offset:396
	buffer_load_dword v70, off, s[0:3], 0 offset:372
	;; [unrolled: 1-line block ×3, first 2 shown]
	s_waitcnt vmcnt(58) lgkmcnt(0)
	v_mul_f64 v[73:74], v[1:2], v[17:18]
	v_mul_f64 v[17:18], v[3:4], v[17:18]
	s_waitcnt vmcnt(56)
	v_fma_f64 v[13:14], v[5:6], v[19:20], -v[13:14]
	ds_read_b128 v[63:66], v62 offset:848
	v_fma_f64 v[19:20], v[7:8], v[19:20], v[91:92]
	v_add_f64 v[67:68], v[67:68], v[71:72]
	v_add_f64 v[9:10], v[9:10], v[25:26]
	s_clause 0x4
	buffer_load_dword v26, off, s[0:3], 0 offset:412
	buffer_load_dword v71, off, s[0:3], 0 offset:424
	;; [unrolled: 1-line block ×5, first 2 shown]
	ds_read_b128 v[5:8], v62 offset:864
	s_waitcnt vmcnt(57) lgkmcnt(1)
	v_mul_f64 v[179:180], v[63:64], v[21:22]
	v_mul_f64 v[21:22], v[65:66], v[21:22]
	s_waitcnt vmcnt(56)
	v_fma_f64 v[17:18], v[1:2], v[11:12], -v[17:18]
	v_fma_f64 v[11:12], v[3:4], v[11:12], v[73:74]
	v_add_f64 v[13:14], v[67:68], v[13:14]
	v_add_f64 v[9:10], v[9:10], v[19:20]
	s_clause 0x2
	buffer_load_dword v72, off, s[0:3], 0 offset:428
	buffer_load_dword v20, off, s[0:3], 0 offset:404
	;; [unrolled: 1-line block ×3, first 2 shown]
	s_waitcnt vmcnt(58) lgkmcnt(0)
	v_mul_f64 v[67:68], v[5:6], v[27:28]
	v_mul_f64 v[27:28], v[7:8], v[27:28]
	s_waitcnt vmcnt(56)
	v_fma_f64 v[21:22], v[63:64], v[29:30], -v[21:22]
	ds_read_b128 v[1:4], v62 offset:880
	v_add_f64 v[13:14], v[13:14], v[17:18]
	v_fma_f64 v[17:18], v[65:66], v[29:30], v[179:180]
	v_add_f64 v[29:30], v[9:10], v[11:12]
	s_clause 0x4
	buffer_load_dword v64, off, s[0:3], 0 offset:444
	buffer_load_dword v65, off, s[0:3], 0 offset:456
	;; [unrolled: 1-line block ×5, first 2 shown]
	ds_read_b128 v[9:12], v62 offset:896
	s_waitcnt vmcnt(57) lgkmcnt(1)
	v_mul_f64 v[179:180], v[1:2], v[31:32]
	v_mul_f64 v[31:32], v[3:4], v[31:32]
	s_waitcnt vmcnt(56)
	v_fma_f64 v[27:28], v[5:6], v[15:16], -v[27:28]
	v_fma_f64 v[15:16], v[7:8], v[15:16], v[67:68]
	v_add_f64 v[13:14], v[13:14], v[21:22]
	s_clause 0x2
	buffer_load_dword v66, off, s[0:3], 0 offset:460
	buffer_load_dword v22, off, s[0:3], 0 offset:436
	;; [unrolled: 1-line block ×3, first 2 shown]
	v_add_f64 v[17:18], v[29:30], v[17:18]
	s_waitcnt vmcnt(58) lgkmcnt(0)
	v_mul_f64 v[29:30], v[9:10], v[35:36]
	v_mul_f64 v[35:36], v[11:12], v[35:36]
	ds_read_b128 v[5:8], v62 offset:912
	s_waitcnt vmcnt(56)
	v_fma_f64 v[31:32], v[1:2], v[37:38], -v[31:32]
	v_add_f64 v[13:14], v[13:14], v[27:28]
	v_fma_f64 v[27:28], v[3:4], v[37:38], v[179:180]
	v_add_f64 v[15:16], v[17:18], v[15:16]
	s_clause 0x4
	buffer_load_dword v18, off, s[0:3], 0 offset:476
	buffer_load_dword v37, off, s[0:3], 0 offset:488
	;; [unrolled: 1-line block ×5, first 2 shown]
	s_waitcnt vmcnt(57) lgkmcnt(0)
	v_mul_f64 v[179:180], v[5:6], v[39:40]
	v_mul_f64 v[39:40], v[7:8], v[39:40]
	s_waitcnt vmcnt(56)
	v_fma_f64 v[35:36], v[9:10], v[23:24], -v[35:36]
	ds_read_b128 v[1:4], v62 offset:928
	v_fma_f64 v[23:24], v[11:12], v[23:24], v[29:30]
	v_add_f64 v[13:14], v[13:14], v[31:32]
	v_add_f64 v[15:16], v[15:16], v[27:28]
	s_clause 0x2
	buffer_load_dword v38, off, s[0:3], 0 offset:492
	buffer_load_dword v28, off, s[0:3], 0 offset:468
	;; [unrolled: 1-line block ×3, first 2 shown]
	ds_read_b128 v[9:12], v62 offset:944
	s_waitcnt vmcnt(58) lgkmcnt(1)
	v_mul_f64 v[31:32], v[3:4], v[43:44]
	s_waitcnt vmcnt(56)
	v_fma_f64 v[39:40], v[5:6], v[45:46], -v[39:40]
	v_mul_f64 v[29:30], v[1:2], v[43:44]
	v_add_f64 v[13:14], v[13:14], v[35:36]
	v_fma_f64 v[35:36], v[7:8], v[45:46], v[179:180]
	v_add_f64 v[15:16], v[15:16], v[23:24]
	s_clause 0x4
	buffer_load_dword v24, off, s[0:3], 0 offset:508
	buffer_load_dword v43, off, s[0:3], 0 offset:520
	;; [unrolled: 1-line block ×5, first 2 shown]
	s_waitcnt vmcnt(57) lgkmcnt(0)
	v_mul_f64 v[179:180], v[9:10], v[47:48]
	v_mul_f64 v[46:47], v[11:12], v[47:48]
	s_waitcnt vmcnt(56)
	v_fma_f64 v[31:32], v[1:2], v[33:34], -v[31:32]
	ds_read_b128 v[5:8], v62 offset:960
	v_fma_f64 v[29:30], v[3:4], v[33:34], v[29:30]
	s_clause 0x2
	buffer_load_dword v44, off, s[0:3], 0 offset:524
	buffer_load_dword v34, off, s[0:3], 0 offset:500
	;; [unrolled: 1-line block ×3, first 2 shown]
	ds_read_b128 v[1:4], v62 offset:976
	v_add_f64 v[13:14], v[13:14], v[39:40]
	v_add_f64 v[15:16], v[15:16], v[35:36]
	s_waitcnt vmcnt(58) lgkmcnt(1)
	v_mul_f64 v[39:40], v[7:8], v[51:52]
	s_waitcnt vmcnt(56)
	v_fma_f64 v[47:48], v[9:10], v[53:54], -v[46:47]
	v_mul_f64 v[35:36], v[5:6], v[51:52]
	v_add_f64 v[13:14], v[13:14], v[31:32]
	v_fma_f64 v[31:32], v[11:12], v[53:54], v[179:180]
	v_add_f64 v[15:16], v[15:16], v[29:30]
	s_clause 0x4
	buffer_load_dword v30, off, s[0:3], 0 offset:540
	buffer_load_dword v51, off, s[0:3], 0 offset:552
	;; [unrolled: 1-line block ×5, first 2 shown]
	s_waitcnt vmcnt(57) lgkmcnt(0)
	v_mul_f64 v[179:180], v[1:2], v[55:56]
	v_mul_f64 v[54:55], v[3:4], v[55:56]
	s_waitcnt vmcnt(56)
	v_fma_f64 v[39:40], v[5:6], v[41:42], -v[39:40]
	ds_read_b128 v[9:12], v62 offset:992
	v_fma_f64 v[35:36], v[7:8], v[41:42], v[35:36]
	v_add_f64 v[13:14], v[13:14], v[47:48]
	v_add_f64 v[15:16], v[15:16], v[31:32]
	s_clause 0x2
	buffer_load_dword v52, off, s[0:3], 0 offset:556
	buffer_load_dword v32, off, s[0:3], 0 offset:532
	;; [unrolled: 1-line block ×3, first 2 shown]
	ds_read_b128 v[5:8], v62 offset:1008
	s_waitcnt vmcnt(58) lgkmcnt(1)
	v_mul_f64 v[47:48], v[11:12], v[57:58]
	s_waitcnt vmcnt(56)
	v_fma_f64 v[55:56], v[1:2], v[59:60], -v[54:55]
	v_mul_f64 v[41:42], v[9:10], v[57:58]
	v_add_f64 v[13:14], v[13:14], v[39:40]
	v_fma_f64 v[39:40], v[3:4], v[59:60], v[179:180]
	v_add_f64 v[15:16], v[15:16], v[35:36]
	s_clause 0x4
	buffer_load_dword v36, off, s[0:3], 0 offset:572
	buffer_load_dword v57, off, s[0:3], 0 offset:584
	;; [unrolled: 1-line block ×5, first 2 shown]
	s_waitcnt vmcnt(57) lgkmcnt(0)
	v_mul_f64 v[179:180], v[5:6], v[77:78]
	v_mul_f64 v[77:78], v[7:8], v[77:78]
	s_waitcnt vmcnt(56)
	v_fma_f64 v[47:48], v[9:10], v[49:50], -v[47:48]
	ds_read_b128 v[1:4], v62 offset:1024
	v_fma_f64 v[41:42], v[11:12], v[49:50], v[41:42]
	v_add_f64 v[13:14], v[13:14], v[55:56]
	v_add_f64 v[15:16], v[15:16], v[39:40]
	s_clause 0x2
	buffer_load_dword v58, off, s[0:3], 0 offset:588
	buffer_load_dword v40, off, s[0:3], 0 offset:564
	;; [unrolled: 1-line block ×3, first 2 shown]
	ds_read_b128 v[9:12], v62 offset:1040
	s_waitcnt vmcnt(58) lgkmcnt(1)
	v_mul_f64 v[55:56], v[3:4], v[79:80]
	s_waitcnt vmcnt(56)
	v_fma_f64 v[77:78], v[5:6], v[84:85], -v[77:78]
	v_mul_f64 v[49:50], v[1:2], v[79:80]
	v_add_f64 v[13:14], v[13:14], v[47:48]
	v_fma_f64 v[47:48], v[7:8], v[84:85], v[179:180]
	v_add_f64 v[15:16], v[15:16], v[41:42]
	s_clause 0x4
	buffer_load_dword v42, off, s[0:3], 0 offset:604
	buffer_load_dword v79, off, s[0:3], 0 offset:616
	;; [unrolled: 1-line block ×5, first 2 shown]
	ds_read_b128 v[5:8], v62 offset:1056
	s_waitcnt vmcnt(57) lgkmcnt(1)
	v_mul_f64 v[84:85], v[9:10], v[75:76]
	v_mul_f64 v[75:76], v[11:12], v[75:76]
	s_waitcnt vmcnt(56)
	v_fma_f64 v[55:56], v[1:2], v[81:82], -v[55:56]
	v_fma_f64 v[49:50], v[3:4], v[81:82], v[49:50]
	v_add_f64 v[13:14], v[13:14], v[77:78]
	v_add_f64 v[15:16], v[15:16], v[47:48]
	s_clause 0x2
	buffer_load_dword v80, off, s[0:3], 0 offset:620
	buffer_load_dword v48, off, s[0:3], 0 offset:596
	buffer_load_dword v47, off, s[0:3], 0 offset:592
	ds_read_b128 v[1:4], v62 offset:1072
	s_waitcnt vmcnt(58) lgkmcnt(1)
	v_mul_f64 v[81:82], v[7:8], v[88:89]
	v_mul_f64 v[77:78], v[5:6], v[88:89]
	s_waitcnt vmcnt(56)
	v_fma_f64 v[75:76], v[9:10], v[69:70], -v[75:76]
	v_add_f64 v[13:14], v[13:14], v[55:56]
	v_fma_f64 v[55:56], v[11:12], v[69:70], v[84:85]
	v_add_f64 v[15:16], v[15:16], v[49:50]
	s_clause 0x4
	buffer_load_dword v50, off, s[0:3], 0 offset:636
	buffer_load_dword v69, off, s[0:3], 0 offset:648
	;; [unrolled: 1-line block ×5, first 2 shown]
	ds_read_b128 v[9:12], v62 offset:1088
	s_waitcnt vmcnt(57) lgkmcnt(1)
	v_mul_f64 v[179:180], v[1:2], v[25:26]
	v_mul_f64 v[25:26], v[3:4], v[25:26]
	s_waitcnt vmcnt(56)
	v_fma_f64 v[81:82], v[5:6], v[90:91], -v[81:82]
	v_add_f64 v[13:14], v[13:14], v[75:76]
	v_fma_f64 v[75:76], v[7:8], v[90:91], v[77:78]
	v_add_f64 v[15:16], v[15:16], v[55:56]
	s_clause 0x2
	buffer_load_dword v70, off, s[0:3], 0 offset:652
	buffer_load_dword v56, off, s[0:3], 0 offset:628
	buffer_load_dword v55, off, s[0:3], 0 offset:624
	ds_read_b128 v[5:8], v62 offset:1104
	s_waitcnt vmcnt(58) lgkmcnt(1)
	v_mul_f64 v[77:78], v[9:10], v[71:72]
	v_mul_f64 v[71:72], v[11:12], v[71:72]
	s_waitcnt vmcnt(56)
	v_fma_f64 v[25:26], v[1:2], v[19:20], -v[25:26]
	v_fma_f64 v[19:20], v[3:4], v[19:20], v[179:180]
	v_add_f64 v[13:14], v[13:14], v[81:82]
	v_add_f64 v[15:16], v[15:16], v[75:76]
	s_clause 0x4
	buffer_load_dword v76, off, s[0:3], 0 offset:668
	buffer_load_dword v81, off, s[0:3], 0 offset:680
	buffer_load_dword v85, off, s[0:3], 0 offset:672
	buffer_load_dword v75, off, s[0:3], 0 offset:664
	buffer_load_dword v89, off, s[0:3], 0 offset:644
	ds_read_b128 v[1:4], v62 offset:1120
	s_waitcnt vmcnt(57) lgkmcnt(1)
	v_mul_f64 v[90:91], v[5:6], v[63:64]
	v_mul_f64 v[63:64], v[7:8], v[63:64]
	s_waitcnt vmcnt(56)
	v_fma_f64 v[71:72], v[9:10], v[86:87], -v[71:72]
	v_add_f64 v[13:14], v[13:14], v[25:26]
	v_fma_f64 v[25:26], v[11:12], v[86:87], v[77:78]
	v_add_f64 v[15:16], v[15:16], v[19:20]
	s_clause 0x2
	buffer_load_dword v82, off, s[0:3], 0 offset:684
	buffer_load_dword v20, off, s[0:3], 0 offset:660
	;; [unrolled: 1-line block ×3, first 2 shown]
	ds_read_b128 v[9:12], v62 offset:1136
	s_waitcnt vmcnt(58) lgkmcnt(1)
	v_mul_f64 v[77:78], v[1:2], v[65:66]
	v_mul_f64 v[65:66], v[3:4], v[65:66]
	s_waitcnt vmcnt(56)
	v_fma_f64 v[63:64], v[5:6], v[21:22], -v[63:64]
	v_fma_f64 v[21:22], v[7:8], v[21:22], v[90:91]
	v_add_f64 v[13:14], v[13:14], v[71:72]
	v_add_f64 v[15:16], v[15:16], v[25:26]
	s_clause 0x2
	buffer_load_dword v26, off, s[0:3], 0 offset:700
	buffer_load_dword v25, off, s[0:3], 0 offset:696
	;; [unrolled: 1-line block ×3, first 2 shown]
	ds_read_b128 v[5:8], v62 offset:1152
	s_waitcnt vmcnt(55) lgkmcnt(1)
	v_mul_f64 v[71:72], v[9:10], v[17:18]
	v_mul_f64 v[17:18], v[11:12], v[17:18]
	s_waitcnt vmcnt(54)
	v_fma_f64 v[65:66], v[1:2], v[73:74], -v[65:66]
	v_add_f64 v[13:14], v[13:14], v[63:64]
	v_fma_f64 v[63:64], v[3:4], v[73:74], v[77:78]
	v_add_f64 v[15:16], v[15:16], v[21:22]
	s_clause 0x1
	buffer_load_dword v22, off, s[0:3], 0 offset:692
	buffer_load_dword v21, off, s[0:3], 0 offset:688
	ds_read_b128 v[1:4], v62 offset:1168
	s_waitcnt vmcnt(55) lgkmcnt(1)
	v_mul_f64 v[73:74], v[5:6], v[37:38]
	v_mul_f64 v[37:38], v[7:8], v[37:38]
	s_waitcnt vmcnt(53)
	v_fma_f64 v[17:18], v[9:10], v[27:28], -v[17:18]
	v_fma_f64 v[27:28], v[11:12], v[27:28], v[71:72]
	ds_read_b128 v[9:12], v62 offset:1184
	v_add_f64 v[13:14], v[13:14], v[65:66]
	v_add_f64 v[15:16], v[15:16], v[63:64]
	s_waitcnt vmcnt(49) lgkmcnt(1)
	v_mul_f64 v[63:64], v[1:2], v[23:24]
	v_mul_f64 v[23:24], v[3:4], v[23:24]
	s_waitcnt vmcnt(48)
	v_fma_f64 v[37:38], v[5:6], v[67:68], -v[37:38]
	v_add_f64 v[13:14], v[13:14], v[17:18]
	v_fma_f64 v[17:18], v[7:8], v[67:68], v[73:74]
	v_add_f64 v[15:16], v[15:16], v[27:28]
	s_clause 0x3
	buffer_load_dword v27, off, s[0:3], 0 offset:80
	buffer_load_dword v28, off, s[0:3], 0 offset:84
	;; [unrolled: 1-line block ×4, first 2 shown]
	s_waitcnt vmcnt(51) lgkmcnt(0)
	v_mul_f64 v[67:68], v[9:10], v[43:44]
	v_mul_f64 v[43:44], v[11:12], v[43:44]
	ds_read_b128 v[5:8], v62 offset:1200
	s_waitcnt vmcnt(49)
	v_fma_f64 v[23:24], v[1:2], v[33:34], -v[23:24]
	v_fma_f64 v[33:34], v[3:4], v[33:34], v[63:64]
	ds_read_b128 v[1:4], v62 offset:1216
	v_add_f64 v[13:14], v[13:14], v[37:38]
	v_add_f64 v[15:16], v[15:16], v[17:18]
	s_waitcnt vmcnt(45) lgkmcnt(1)
	v_mul_f64 v[17:18], v[5:6], v[29:30]
	v_mul_f64 v[29:30], v[7:8], v[29:30]
	s_waitcnt vmcnt(44)
	v_fma_f64 v[37:38], v[9:10], v[45:46], -v[43:44]
	v_add_f64 v[13:14], v[13:14], v[23:24]
	v_fma_f64 v[23:24], v[11:12], v[45:46], v[67:68]
	v_add_f64 v[15:16], v[15:16], v[33:34]
	ds_read_b128 v[9:12], v62 offset:1232
	s_waitcnt vmcnt(43) lgkmcnt(1)
	v_mul_f64 v[43:44], v[3:4], v[51:52]
	v_mul_f64 v[33:34], v[1:2], v[51:52]
	s_waitcnt vmcnt(41)
	v_fma_f64 v[29:30], v[5:6], v[31:32], -v[29:30]
	v_fma_f64 v[17:18], v[7:8], v[31:32], v[17:18]
	ds_read_b128 v[5:8], v62 offset:1248
	v_add_f64 v[13:14], v[13:14], v[37:38]
	v_add_f64 v[15:16], v[15:16], v[23:24]
	s_waitcnt vmcnt(37) lgkmcnt(1)
	v_mul_f64 v[23:24], v[9:10], v[35:36]
	v_mul_f64 v[31:32], v[11:12], v[35:36]
	s_waitcnt vmcnt(36)
	v_fma_f64 v[35:36], v[1:2], v[53:54], -v[43:44]
	v_add_f64 v[13:14], v[13:14], v[29:30]
	v_fma_f64 v[29:30], v[3:4], v[53:54], v[33:34]
	v_add_f64 v[15:16], v[15:16], v[17:18]
	ds_read_b128 v[1:4], v62 offset:1264
	s_waitcnt vmcnt(35) lgkmcnt(1)
	v_mul_f64 v[33:34], v[7:8], v[57:58]
	v_mul_f64 v[17:18], v[5:6], v[57:58]
	s_waitcnt vmcnt(33)
	v_fma_f64 v[31:32], v[9:10], v[39:40], -v[31:32]
	v_fma_f64 v[23:24], v[11:12], v[39:40], v[23:24]
	ds_read_b128 v[9:12], v62 offset:1280
	v_add_f64 v[13:14], v[13:14], v[35:36]
	v_add_f64 v[15:16], v[15:16], v[29:30]
	s_waitcnt vmcnt(29) lgkmcnt(1)
	v_mul_f64 v[35:36], v[3:4], v[41:42]
	s_waitcnt vmcnt(28)
	v_fma_f64 v[33:34], v[5:6], v[59:60], -v[33:34]
	v_mul_f64 v[29:30], v[1:2], v[41:42]
	v_fma_f64 v[17:18], v[7:8], v[59:60], v[17:18]
	ds_read_b128 v[5:8], v62 offset:1296
	v_add_f64 v[13:14], v[13:14], v[31:32]
	v_add_f64 v[15:16], v[15:16], v[23:24]
	s_waitcnt vmcnt(27) lgkmcnt(1)
	v_mul_f64 v[31:32], v[11:12], v[79:80]
	v_mul_f64 v[23:24], v[9:10], v[79:80]
	s_waitcnt vmcnt(25)
	v_fma_f64 v[35:36], v[1:2], v[47:48], -v[35:36]
	v_fma_f64 v[29:30], v[3:4], v[47:48], v[29:30]
	ds_read_b128 v[1:4], v62 offset:1312
	v_add_f64 v[13:14], v[13:14], v[33:34]
	v_add_f64 v[15:16], v[15:16], v[17:18]
	s_waitcnt vmcnt(21) lgkmcnt(1)
	v_mul_f64 v[33:34], v[7:8], v[49:50]
	s_waitcnt vmcnt(20)
	v_fma_f64 v[31:32], v[9:10], v[83:84], -v[31:32]
	v_mul_f64 v[17:18], v[5:6], v[49:50]
	v_fma_f64 v[23:24], v[11:12], v[83:84], v[23:24]
	ds_read_b128 v[9:12], v62 offset:1328
	v_add_f64 v[13:14], v[13:14], v[35:36]
	v_add_f64 v[15:16], v[15:16], v[29:30]
	;; [unrolled: 18-line block ×3, first 2 shown]
	s_waitcnt vmcnt(11) lgkmcnt(1)
	v_mul_f64 v[33:34], v[7:8], v[81:82]
	v_mul_f64 v[17:18], v[5:6], v[81:82]
	s_waitcnt vmcnt(9)
	v_fma_f64 v[9:10], v[9:10], v[19:20], -v[31:32]
	v_fma_f64 v[11:12], v[11:12], v[19:20], v[23:24]
	v_add_f64 v[13:14], v[13:14], v[35:36]
	v_add_f64 v[15:16], v[15:16], v[29:30]
	s_waitcnt vmcnt(7) lgkmcnt(0)
	v_mul_f64 v[23:24], v[3:4], v[25:26]
	s_waitcnt vmcnt(6)
	v_fma_f64 v[5:6], v[5:6], v[85:86], -v[33:34]
	v_mul_f64 v[19:20], v[1:2], v[25:26]
	v_fma_f64 v[7:8], v[7:8], v[85:86], v[17:18]
	v_add_f64 v[9:10], v[13:14], v[9:10]
	v_add_f64 v[11:12], v[15:16], v[11:12]
	s_waitcnt vmcnt(4)
	v_fma_f64 v[1:2], v[1:2], v[21:22], -v[23:24]
	v_fma_f64 v[3:4], v[3:4], v[21:22], v[19:20]
	v_add_f64 v[5:6], v[9:10], v[5:6]
	v_add_f64 v[7:8], v[11:12], v[7:8]
	;; [unrolled: 1-line block ×4, first 2 shown]
	s_waitcnt vmcnt(2)
	v_add_f64 v[1:2], v[27:28], -v[1:2]
	s_waitcnt vmcnt(0)
	v_add_f64 v[3:4], v[65:66], -v[3:4]
	buffer_store_dword v2, off, s[0:3], 0 offset:84
	buffer_store_dword v1, off, s[0:3], 0 offset:80
	;; [unrolled: 1-line block ×4, first 2 shown]
	v_cmpx_lt_u32_e32 3, v0
	s_cbranch_execz .LBB42_265
; %bb.264:
	v_mov_b32_e32 v4, s52
	v_mov_b32_e32 v5, 0
	s_clause 0x3
	buffer_load_dword v1, v4, s[0:3], 0 offen
	buffer_load_dword v2, v4, s[0:3], 0 offen offset:4
	buffer_load_dword v3, v4, s[0:3], 0 offen offset:8
	;; [unrolled: 1-line block ×3, first 2 shown]
	buffer_store_dword v5, off, s[0:3], 0 offset:64
	buffer_store_dword v5, off, s[0:3], 0 offset:68
	;; [unrolled: 1-line block ×4, first 2 shown]
	s_waitcnt vmcnt(0)
	ds_write_b128 v61, v[1:4]
.LBB42_265:
	s_or_b32 exec_lo, exec_lo, s4
	s_waitcnt lgkmcnt(0)
	s_waitcnt_vscnt null, 0x0
	s_barrier
	buffer_gl0_inv
	s_clause 0x37
	buffer_load_dword v9, off, s[0:3], 0 offset:88
	buffer_load_dword v10, off, s[0:3], 0 offset:92
	;; [unrolled: 1-line block ×56, first 2 shown]
	v_mov_b32_e32 v62, 0
	s_mov_b32 s4, exec_lo
	ds_read_b128 v[63:66], v62 offset:752
	s_clause 0x2
	buffer_load_dword v58, off, s[0:3], 0 offset:316
	buffer_load_dword v60, off, s[0:3], 0 offset:292
	;; [unrolled: 1-line block ×3, first 2 shown]
	ds_read_b128 v[67:70], v62 offset:768
	s_clause 0x4
	buffer_load_dword v78, off, s[0:3], 0 offset:332
	buffer_load_dword v79, off, s[0:3], 0 offset:344
	;; [unrolled: 1-line block ×5, first 2 shown]
	ds_read_b128 v[71:74], v62 offset:784
	s_clause 0x2
	buffer_load_dword v80, off, s[0:3], 0 offset:348
	buffer_load_dword v85, off, s[0:3], 0 offset:324
	;; [unrolled: 1-line block ×3, first 2 shown]
	s_waitcnt vmcnt(62) lgkmcnt(2)
	v_mul_f64 v[75:76], v[65:66], v[9:10]
	v_mul_f64 v[9:10], v[63:64], v[9:10]
	s_waitcnt lgkmcnt(1)
	v_mul_f64 v[82:83], v[69:70], v[5:6]
	s_waitcnt vmcnt(59) lgkmcnt(0)
	v_mul_f64 v[86:87], v[73:74], v[3:4]
	v_fma_f64 v[63:64], v[63:64], v[7:8], -v[75:76]
	v_mul_f64 v[75:76], v[67:68], v[5:6]
	v_fma_f64 v[9:10], v[65:66], v[7:8], v[9:10]
	s_waitcnt vmcnt(57)
	v_fma_f64 v[67:68], v[67:68], v[1:2], -v[82:83]
	ds_read_b128 v[5:8], v62 offset:800
	v_mul_f64 v[65:66], v[71:72], v[3:4]
	s_waitcnt vmcnt(51)
	v_fma_f64 v[71:72], v[71:72], v[25:26], -v[86:87]
	v_add_f64 v[63:64], v[63:64], 0
	v_fma_f64 v[69:70], v[69:70], v[1:2], v[75:76]
	v_add_f64 v[9:10], v[9:10], 0
	s_clause 0x4
	buffer_load_dword v76, off, s[0:3], 0 offset:364
	buffer_load_dword v88, off, s[0:3], 0 offset:376
	;; [unrolled: 1-line block ×5, first 2 shown]
	s_waitcnt lgkmcnt(0)
	v_mul_f64 v[91:92], v[5:6], v[13:14]
	v_mul_f64 v[13:14], v[7:8], v[13:14]
	ds_read_b128 v[1:4], v62 offset:816
	v_fma_f64 v[25:26], v[73:74], v[25:26], v[65:66]
	v_add_f64 v[67:68], v[63:64], v[67:68]
	v_add_f64 v[9:10], v[9:10], v[69:70]
	s_clause 0x2
	buffer_load_dword v89, off, s[0:3], 0 offset:380
	buffer_load_dword v70, off, s[0:3], 0 offset:356
	;; [unrolled: 1-line block ×3, first 2 shown]
	s_waitcnt vmcnt(58) lgkmcnt(0)
	v_mul_f64 v[73:74], v[1:2], v[17:18]
	v_mul_f64 v[17:18], v[3:4], v[17:18]
	s_waitcnt vmcnt(56)
	v_fma_f64 v[13:14], v[5:6], v[19:20], -v[13:14]
	ds_read_b128 v[63:66], v62 offset:832
	v_fma_f64 v[19:20], v[7:8], v[19:20], v[91:92]
	v_add_f64 v[67:68], v[67:68], v[71:72]
	v_add_f64 v[9:10], v[9:10], v[25:26]
	s_clause 0x4
	buffer_load_dword v26, off, s[0:3], 0 offset:396
	buffer_load_dword v71, off, s[0:3], 0 offset:408
	;; [unrolled: 1-line block ×5, first 2 shown]
	ds_read_b128 v[5:8], v62 offset:848
	s_waitcnt vmcnt(57) lgkmcnt(1)
	v_mul_f64 v[179:180], v[63:64], v[21:22]
	v_mul_f64 v[21:22], v[65:66], v[21:22]
	s_waitcnt vmcnt(56)
	v_fma_f64 v[17:18], v[1:2], v[11:12], -v[17:18]
	v_fma_f64 v[11:12], v[3:4], v[11:12], v[73:74]
	v_add_f64 v[13:14], v[67:68], v[13:14]
	v_add_f64 v[9:10], v[9:10], v[19:20]
	s_clause 0x2
	buffer_load_dword v72, off, s[0:3], 0 offset:412
	buffer_load_dword v20, off, s[0:3], 0 offset:388
	;; [unrolled: 1-line block ×3, first 2 shown]
	s_waitcnt vmcnt(58) lgkmcnt(0)
	v_mul_f64 v[67:68], v[5:6], v[27:28]
	v_mul_f64 v[27:28], v[7:8], v[27:28]
	s_waitcnt vmcnt(56)
	v_fma_f64 v[21:22], v[63:64], v[29:30], -v[21:22]
	ds_read_b128 v[1:4], v62 offset:864
	v_add_f64 v[13:14], v[13:14], v[17:18]
	v_fma_f64 v[17:18], v[65:66], v[29:30], v[179:180]
	v_add_f64 v[29:30], v[9:10], v[11:12]
	s_clause 0x4
	buffer_load_dword v64, off, s[0:3], 0 offset:428
	buffer_load_dword v65, off, s[0:3], 0 offset:440
	;; [unrolled: 1-line block ×5, first 2 shown]
	ds_read_b128 v[9:12], v62 offset:880
	s_waitcnt vmcnt(57) lgkmcnt(1)
	v_mul_f64 v[179:180], v[1:2], v[31:32]
	v_mul_f64 v[31:32], v[3:4], v[31:32]
	s_waitcnt vmcnt(56)
	v_fma_f64 v[27:28], v[5:6], v[15:16], -v[27:28]
	v_fma_f64 v[15:16], v[7:8], v[15:16], v[67:68]
	v_add_f64 v[13:14], v[13:14], v[21:22]
	s_clause 0x2
	buffer_load_dword v66, off, s[0:3], 0 offset:444
	buffer_load_dword v22, off, s[0:3], 0 offset:420
	;; [unrolled: 1-line block ×3, first 2 shown]
	v_add_f64 v[17:18], v[29:30], v[17:18]
	s_waitcnt vmcnt(58) lgkmcnt(0)
	v_mul_f64 v[29:30], v[9:10], v[35:36]
	v_mul_f64 v[35:36], v[11:12], v[35:36]
	ds_read_b128 v[5:8], v62 offset:896
	s_waitcnt vmcnt(56)
	v_fma_f64 v[31:32], v[1:2], v[37:38], -v[31:32]
	v_add_f64 v[13:14], v[13:14], v[27:28]
	v_fma_f64 v[27:28], v[3:4], v[37:38], v[179:180]
	v_add_f64 v[15:16], v[17:18], v[15:16]
	s_clause 0x4
	buffer_load_dword v18, off, s[0:3], 0 offset:460
	buffer_load_dword v37, off, s[0:3], 0 offset:472
	;; [unrolled: 1-line block ×5, first 2 shown]
	s_waitcnt vmcnt(57) lgkmcnt(0)
	v_mul_f64 v[179:180], v[5:6], v[39:40]
	v_mul_f64 v[39:40], v[7:8], v[39:40]
	s_waitcnt vmcnt(56)
	v_fma_f64 v[35:36], v[9:10], v[23:24], -v[35:36]
	ds_read_b128 v[1:4], v62 offset:912
	v_fma_f64 v[23:24], v[11:12], v[23:24], v[29:30]
	v_add_f64 v[13:14], v[13:14], v[31:32]
	v_add_f64 v[15:16], v[15:16], v[27:28]
	s_clause 0x2
	buffer_load_dword v38, off, s[0:3], 0 offset:476
	buffer_load_dword v28, off, s[0:3], 0 offset:452
	;; [unrolled: 1-line block ×3, first 2 shown]
	ds_read_b128 v[9:12], v62 offset:928
	s_waitcnt vmcnt(58) lgkmcnt(1)
	v_mul_f64 v[31:32], v[3:4], v[43:44]
	s_waitcnt vmcnt(56)
	v_fma_f64 v[39:40], v[5:6], v[45:46], -v[39:40]
	v_mul_f64 v[29:30], v[1:2], v[43:44]
	v_add_f64 v[13:14], v[13:14], v[35:36]
	v_fma_f64 v[35:36], v[7:8], v[45:46], v[179:180]
	v_add_f64 v[15:16], v[15:16], v[23:24]
	s_clause 0x4
	buffer_load_dword v24, off, s[0:3], 0 offset:492
	buffer_load_dword v43, off, s[0:3], 0 offset:504
	;; [unrolled: 1-line block ×5, first 2 shown]
	s_waitcnt vmcnt(57) lgkmcnt(0)
	v_mul_f64 v[179:180], v[9:10], v[47:48]
	v_mul_f64 v[46:47], v[11:12], v[47:48]
	s_waitcnt vmcnt(56)
	v_fma_f64 v[31:32], v[1:2], v[33:34], -v[31:32]
	ds_read_b128 v[5:8], v62 offset:944
	v_fma_f64 v[29:30], v[3:4], v[33:34], v[29:30]
	s_clause 0x2
	buffer_load_dword v44, off, s[0:3], 0 offset:508
	buffer_load_dword v34, off, s[0:3], 0 offset:484
	;; [unrolled: 1-line block ×3, first 2 shown]
	ds_read_b128 v[1:4], v62 offset:960
	v_add_f64 v[13:14], v[13:14], v[39:40]
	v_add_f64 v[15:16], v[15:16], v[35:36]
	s_waitcnt vmcnt(58) lgkmcnt(1)
	v_mul_f64 v[39:40], v[7:8], v[51:52]
	s_waitcnt vmcnt(56)
	v_fma_f64 v[47:48], v[9:10], v[53:54], -v[46:47]
	v_mul_f64 v[35:36], v[5:6], v[51:52]
	v_add_f64 v[13:14], v[13:14], v[31:32]
	v_fma_f64 v[31:32], v[11:12], v[53:54], v[179:180]
	v_add_f64 v[15:16], v[15:16], v[29:30]
	s_clause 0x4
	buffer_load_dword v30, off, s[0:3], 0 offset:524
	buffer_load_dword v51, off, s[0:3], 0 offset:536
	;; [unrolled: 1-line block ×5, first 2 shown]
	s_waitcnt vmcnt(57) lgkmcnt(0)
	v_mul_f64 v[179:180], v[1:2], v[55:56]
	v_mul_f64 v[54:55], v[3:4], v[55:56]
	s_waitcnt vmcnt(56)
	v_fma_f64 v[39:40], v[5:6], v[41:42], -v[39:40]
	ds_read_b128 v[9:12], v62 offset:976
	v_fma_f64 v[35:36], v[7:8], v[41:42], v[35:36]
	v_add_f64 v[13:14], v[13:14], v[47:48]
	v_add_f64 v[15:16], v[15:16], v[31:32]
	s_clause 0x2
	buffer_load_dword v52, off, s[0:3], 0 offset:540
	buffer_load_dword v32, off, s[0:3], 0 offset:516
	;; [unrolled: 1-line block ×3, first 2 shown]
	ds_read_b128 v[5:8], v62 offset:992
	s_waitcnt vmcnt(58) lgkmcnt(1)
	v_mul_f64 v[47:48], v[11:12], v[57:58]
	s_waitcnt vmcnt(56)
	v_fma_f64 v[55:56], v[1:2], v[59:60], -v[54:55]
	v_mul_f64 v[41:42], v[9:10], v[57:58]
	v_add_f64 v[13:14], v[13:14], v[39:40]
	v_fma_f64 v[39:40], v[3:4], v[59:60], v[179:180]
	v_add_f64 v[15:16], v[15:16], v[35:36]
	s_clause 0x4
	buffer_load_dword v36, off, s[0:3], 0 offset:556
	buffer_load_dword v57, off, s[0:3], 0 offset:568
	;; [unrolled: 1-line block ×5, first 2 shown]
	s_waitcnt vmcnt(57) lgkmcnt(0)
	v_mul_f64 v[179:180], v[5:6], v[77:78]
	v_mul_f64 v[77:78], v[7:8], v[77:78]
	s_waitcnt vmcnt(56)
	v_fma_f64 v[47:48], v[9:10], v[49:50], -v[47:48]
	ds_read_b128 v[1:4], v62 offset:1008
	v_fma_f64 v[41:42], v[11:12], v[49:50], v[41:42]
	v_add_f64 v[13:14], v[13:14], v[55:56]
	v_add_f64 v[15:16], v[15:16], v[39:40]
	s_clause 0x2
	buffer_load_dword v58, off, s[0:3], 0 offset:572
	buffer_load_dword v40, off, s[0:3], 0 offset:548
	;; [unrolled: 1-line block ×3, first 2 shown]
	ds_read_b128 v[9:12], v62 offset:1024
	s_waitcnt vmcnt(58) lgkmcnt(1)
	v_mul_f64 v[55:56], v[3:4], v[79:80]
	s_waitcnt vmcnt(56)
	v_fma_f64 v[77:78], v[5:6], v[84:85], -v[77:78]
	v_mul_f64 v[49:50], v[1:2], v[79:80]
	v_add_f64 v[13:14], v[13:14], v[47:48]
	v_fma_f64 v[47:48], v[7:8], v[84:85], v[179:180]
	v_add_f64 v[15:16], v[15:16], v[41:42]
	s_clause 0x4
	buffer_load_dword v42, off, s[0:3], 0 offset:588
	buffer_load_dword v79, off, s[0:3], 0 offset:600
	;; [unrolled: 1-line block ×5, first 2 shown]
	ds_read_b128 v[5:8], v62 offset:1040
	s_waitcnt vmcnt(57) lgkmcnt(1)
	v_mul_f64 v[84:85], v[9:10], v[75:76]
	v_mul_f64 v[75:76], v[11:12], v[75:76]
	s_waitcnt vmcnt(56)
	v_fma_f64 v[55:56], v[1:2], v[81:82], -v[55:56]
	v_fma_f64 v[49:50], v[3:4], v[81:82], v[49:50]
	v_add_f64 v[13:14], v[13:14], v[77:78]
	v_add_f64 v[15:16], v[15:16], v[47:48]
	s_clause 0x2
	buffer_load_dword v80, off, s[0:3], 0 offset:604
	buffer_load_dword v48, off, s[0:3], 0 offset:580
	;; [unrolled: 1-line block ×3, first 2 shown]
	ds_read_b128 v[1:4], v62 offset:1056
	s_waitcnt vmcnt(58) lgkmcnt(1)
	v_mul_f64 v[81:82], v[7:8], v[88:89]
	v_mul_f64 v[77:78], v[5:6], v[88:89]
	s_waitcnt vmcnt(56)
	v_fma_f64 v[75:76], v[9:10], v[69:70], -v[75:76]
	v_add_f64 v[13:14], v[13:14], v[55:56]
	v_fma_f64 v[55:56], v[11:12], v[69:70], v[84:85]
	v_add_f64 v[15:16], v[15:16], v[49:50]
	s_clause 0x4
	buffer_load_dword v50, off, s[0:3], 0 offset:620
	buffer_load_dword v69, off, s[0:3], 0 offset:632
	;; [unrolled: 1-line block ×5, first 2 shown]
	ds_read_b128 v[9:12], v62 offset:1072
	s_waitcnt vmcnt(57) lgkmcnt(1)
	v_mul_f64 v[179:180], v[1:2], v[25:26]
	v_mul_f64 v[25:26], v[3:4], v[25:26]
	s_waitcnt vmcnt(56)
	v_fma_f64 v[81:82], v[5:6], v[90:91], -v[81:82]
	v_add_f64 v[13:14], v[13:14], v[75:76]
	v_fma_f64 v[75:76], v[7:8], v[90:91], v[77:78]
	v_add_f64 v[15:16], v[15:16], v[55:56]
	s_clause 0x2
	buffer_load_dword v70, off, s[0:3], 0 offset:636
	buffer_load_dword v56, off, s[0:3], 0 offset:612
	;; [unrolled: 1-line block ×3, first 2 shown]
	ds_read_b128 v[5:8], v62 offset:1088
	s_waitcnt vmcnt(58) lgkmcnt(1)
	v_mul_f64 v[77:78], v[9:10], v[71:72]
	v_mul_f64 v[71:72], v[11:12], v[71:72]
	s_waitcnt vmcnt(56)
	v_fma_f64 v[25:26], v[1:2], v[19:20], -v[25:26]
	v_fma_f64 v[19:20], v[3:4], v[19:20], v[179:180]
	v_add_f64 v[13:14], v[13:14], v[81:82]
	v_add_f64 v[15:16], v[15:16], v[75:76]
	s_clause 0x4
	buffer_load_dword v76, off, s[0:3], 0 offset:652
	buffer_load_dword v81, off, s[0:3], 0 offset:664
	;; [unrolled: 1-line block ×5, first 2 shown]
	ds_read_b128 v[1:4], v62 offset:1104
	s_waitcnt vmcnt(57) lgkmcnt(1)
	v_mul_f64 v[90:91], v[5:6], v[63:64]
	v_mul_f64 v[63:64], v[7:8], v[63:64]
	s_waitcnt vmcnt(56)
	v_fma_f64 v[71:72], v[9:10], v[86:87], -v[71:72]
	v_add_f64 v[13:14], v[13:14], v[25:26]
	v_fma_f64 v[25:26], v[11:12], v[86:87], v[77:78]
	v_add_f64 v[15:16], v[15:16], v[19:20]
	s_clause 0x2
	buffer_load_dword v82, off, s[0:3], 0 offset:668
	buffer_load_dword v20, off, s[0:3], 0 offset:644
	;; [unrolled: 1-line block ×3, first 2 shown]
	ds_read_b128 v[9:12], v62 offset:1120
	s_waitcnt vmcnt(58) lgkmcnt(1)
	v_mul_f64 v[77:78], v[1:2], v[65:66]
	v_mul_f64 v[65:66], v[3:4], v[65:66]
	s_waitcnt vmcnt(56)
	v_fma_f64 v[63:64], v[5:6], v[21:22], -v[63:64]
	v_fma_f64 v[21:22], v[7:8], v[21:22], v[90:91]
	v_add_f64 v[13:14], v[13:14], v[71:72]
	v_add_f64 v[15:16], v[15:16], v[25:26]
	s_clause 0x4
	buffer_load_dword v26, off, s[0:3], 0 offset:684
	buffer_load_dword v71, off, s[0:3], 0 offset:696
	;; [unrolled: 1-line block ×5, first 2 shown]
	ds_read_b128 v[5:8], v62 offset:1136
	s_waitcnt vmcnt(57) lgkmcnt(1)
	v_mul_f64 v[91:92], v[9:10], v[17:18]
	v_mul_f64 v[17:18], v[11:12], v[17:18]
	s_waitcnt vmcnt(56)
	v_fma_f64 v[65:66], v[1:2], v[73:74], -v[65:66]
	v_add_f64 v[13:14], v[13:14], v[63:64]
	v_fma_f64 v[63:64], v[3:4], v[73:74], v[77:78]
	v_add_f64 v[15:16], v[15:16], v[21:22]
	s_clause 0x2
	buffer_load_dword v72, off, s[0:3], 0 offset:700
	buffer_load_dword v22, off, s[0:3], 0 offset:676
	;; [unrolled: 1-line block ×3, first 2 shown]
	ds_read_b128 v[1:4], v62 offset:1152
	s_waitcnt vmcnt(58) lgkmcnt(1)
	v_mul_f64 v[73:74], v[5:6], v[37:38]
	v_mul_f64 v[37:38], v[7:8], v[37:38]
	s_waitcnt vmcnt(56)
	v_fma_f64 v[17:18], v[9:10], v[27:28], -v[17:18]
	v_fma_f64 v[27:28], v[11:12], v[27:28], v[91:92]
	buffer_load_dword v91, off, s[0:3], 0 offset:692
	ds_read_b128 v[9:12], v62 offset:1168
	v_add_f64 v[13:14], v[13:14], v[65:66]
	v_add_f64 v[15:16], v[15:16], v[63:64]
	s_waitcnt vmcnt(53) lgkmcnt(1)
	v_mul_f64 v[63:64], v[1:2], v[23:24]
	v_mul_f64 v[23:24], v[3:4], v[23:24]
	s_waitcnt vmcnt(52)
	v_fma_f64 v[37:38], v[5:6], v[67:68], -v[37:38]
	v_add_f64 v[13:14], v[13:14], v[17:18]
	v_fma_f64 v[17:18], v[7:8], v[67:68], v[73:74]
	v_add_f64 v[15:16], v[15:16], v[27:28]
	s_waitcnt vmcnt(51) lgkmcnt(0)
	v_mul_f64 v[27:28], v[9:10], v[43:44]
	v_mul_f64 v[43:44], v[11:12], v[43:44]
	ds_read_b128 v[5:8], v62 offset:1184
	s_waitcnt vmcnt(49)
	v_fma_f64 v[23:24], v[1:2], v[33:34], -v[23:24]
	v_fma_f64 v[33:34], v[3:4], v[33:34], v[63:64]
	v_add_f64 v[13:14], v[13:14], v[37:38]
	v_add_f64 v[15:16], v[15:16], v[17:18]
	s_clause 0x3
	buffer_load_dword v17, off, s[0:3], 0 offset:64
	buffer_load_dword v18, off, s[0:3], 0 offset:68
	;; [unrolled: 1-line block ×4, first 2 shown]
	ds_read_b128 v[1:4], v62 offset:1200
	s_waitcnt vmcnt(49) lgkmcnt(1)
	v_mul_f64 v[63:64], v[5:6], v[29:30]
	v_mul_f64 v[29:30], v[7:8], v[29:30]
	s_waitcnt vmcnt(48)
	v_fma_f64 v[43:44], v[9:10], v[45:46], -v[43:44]
	v_add_f64 v[13:14], v[13:14], v[23:24]
	v_fma_f64 v[23:24], v[11:12], v[45:46], v[27:28]
	v_add_f64 v[15:16], v[15:16], v[33:34]
	ds_read_b128 v[9:12], v62 offset:1216
	s_waitcnt vmcnt(47) lgkmcnt(1)
	v_mul_f64 v[33:34], v[3:4], v[51:52]
	v_mul_f64 v[27:28], v[1:2], v[51:52]
	s_waitcnt vmcnt(45)
	v_fma_f64 v[29:30], v[5:6], v[31:32], -v[29:30]
	v_fma_f64 v[31:32], v[7:8], v[31:32], v[63:64]
	ds_read_b128 v[5:8], v62 offset:1232
	v_add_f64 v[13:14], v[13:14], v[43:44]
	v_add_f64 v[15:16], v[15:16], v[23:24]
	s_waitcnt vmcnt(41) lgkmcnt(1)
	v_mul_f64 v[23:24], v[9:10], v[35:36]
	v_mul_f64 v[35:36], v[11:12], v[35:36]
	s_waitcnt vmcnt(40)
	v_fma_f64 v[33:34], v[1:2], v[53:54], -v[33:34]
	v_fma_f64 v[27:28], v[3:4], v[53:54], v[27:28]
	ds_read_b128 v[1:4], v62 offset:1248
	v_add_f64 v[13:14], v[13:14], v[29:30]
	v_add_f64 v[15:16], v[15:16], v[31:32]
	;; [unrolled: 9-line block ×3, first 2 shown]
	s_waitcnt vmcnt(33) lgkmcnt(1)
	v_mul_f64 v[33:34], v[3:4], v[41:42]
	s_waitcnt vmcnt(32)
	v_fma_f64 v[31:32], v[5:6], v[59:60], -v[31:32]
	v_mul_f64 v[27:28], v[1:2], v[41:42]
	v_fma_f64 v[29:30], v[7:8], v[59:60], v[29:30]
	ds_read_b128 v[5:8], v62 offset:1280
	v_add_f64 v[13:14], v[13:14], v[35:36]
	v_add_f64 v[15:16], v[15:16], v[23:24]
	s_waitcnt vmcnt(31) lgkmcnt(1)
	v_mul_f64 v[35:36], v[11:12], v[79:80]
	v_mul_f64 v[23:24], v[9:10], v[79:80]
	s_waitcnt vmcnt(29)
	v_fma_f64 v[33:34], v[1:2], v[47:48], -v[33:34]
	v_fma_f64 v[27:28], v[3:4], v[47:48], v[27:28]
	ds_read_b128 v[1:4], v62 offset:1296
	v_add_f64 v[13:14], v[13:14], v[31:32]
	v_add_f64 v[15:16], v[15:16], v[29:30]
	s_waitcnt vmcnt(25) lgkmcnt(1)
	v_mul_f64 v[31:32], v[7:8], v[49:50]
	s_waitcnt vmcnt(24)
	v_fma_f64 v[35:36], v[9:10], v[83:84], -v[35:36]
	v_mul_f64 v[29:30], v[5:6], v[49:50]
	v_fma_f64 v[23:24], v[11:12], v[83:84], v[23:24]
	ds_read_b128 v[9:12], v62 offset:1312
	v_add_f64 v[13:14], v[13:14], v[33:34]
	v_add_f64 v[15:16], v[15:16], v[27:28]
	s_waitcnt vmcnt(23) lgkmcnt(1)
	v_mul_f64 v[33:34], v[3:4], v[69:70]
	v_mul_f64 v[27:28], v[1:2], v[69:70]
	s_waitcnt vmcnt(21)
	v_fma_f64 v[31:32], v[5:6], v[55:56], -v[31:32]
	v_fma_f64 v[29:30], v[7:8], v[55:56], v[29:30]
	ds_read_b128 v[5:8], v62 offset:1328
	v_add_f64 v[13:14], v[13:14], v[35:36]
	v_add_f64 v[15:16], v[15:16], v[23:24]
	;; [unrolled: 18-line block ×3, first 2 shown]
	s_waitcnt vmcnt(9) lgkmcnt(1)
	v_mul_f64 v[23:24], v[1:2], v[25:26]
	v_mul_f64 v[25:26], v[3:4], v[25:26]
	s_waitcnt vmcnt(8)
	v_fma_f64 v[5:6], v[5:6], v[85:86], -v[31:32]
	v_fma_f64 v[7:8], v[7:8], v[85:86], v[29:30]
	v_add_f64 v[13:14], v[13:14], v[35:36]
	v_add_f64 v[15:16], v[15:16], v[19:20]
	s_waitcnt vmcnt(7) lgkmcnt(0)
	v_mul_f64 v[27:28], v[11:12], v[71:72]
	v_mul_f64 v[19:20], v[9:10], v[71:72]
	s_waitcnt vmcnt(5)
	v_fma_f64 v[1:2], v[1:2], v[21:22], -v[25:26]
	v_fma_f64 v[3:4], v[3:4], v[21:22], v[23:24]
	v_add_f64 v[5:6], v[13:14], v[5:6]
	v_add_f64 v[7:8], v[15:16], v[7:8]
	s_waitcnt vmcnt(4)
	v_fma_f64 v[9:10], v[9:10], v[90:91], -v[27:28]
	v_add_f64 v[1:2], v[5:6], v[1:2]
	v_fma_f64 v[5:6], v[11:12], v[90:91], v[19:20]
	v_add_f64 v[3:4], v[7:8], v[3:4]
	v_add_f64 v[1:2], v[1:2], v[9:10]
	;; [unrolled: 1-line block ×3, first 2 shown]
	s_waitcnt vmcnt(2)
	v_add_f64 v[1:2], v[17:18], -v[1:2]
	s_waitcnt vmcnt(0)
	v_add_f64 v[3:4], v[37:38], -v[3:4]
	buffer_store_dword v2, off, s[0:3], 0 offset:68
	buffer_store_dword v1, off, s[0:3], 0 offset:64
	;; [unrolled: 1-line block ×4, first 2 shown]
	v_cmpx_lt_u32_e32 2, v0
	s_cbranch_execz .LBB42_267
; %bb.266:
	v_mov_b32_e32 v4, s53
	s_clause 0x3
	buffer_load_dword v1, v4, s[0:3], 0 offen
	buffer_load_dword v2, v4, s[0:3], 0 offen offset:4
	buffer_load_dword v3, v4, s[0:3], 0 offen offset:8
	;; [unrolled: 1-line block ×3, first 2 shown]
	buffer_store_dword v62, off, s[0:3], 0 offset:48
	buffer_store_dword v62, off, s[0:3], 0 offset:52
	;; [unrolled: 1-line block ×4, first 2 shown]
	s_waitcnt vmcnt(0)
	ds_write_b128 v61, v[1:4]
.LBB42_267:
	s_or_b32 exec_lo, exec_lo, s4
	s_waitcnt lgkmcnt(0)
	s_waitcnt_vscnt null, 0x0
	s_barrier
	buffer_gl0_inv
	s_clause 0x37
	buffer_load_dword v9, off, s[0:3], 0 offset:72
	buffer_load_dword v10, off, s[0:3], 0 offset:76
	;; [unrolled: 1-line block ×56, first 2 shown]
	ds_read_b128 v[63:66], v62 offset:736
	s_clause 0x2
	buffer_load_dword v58, off, s[0:3], 0 offset:300
	buffer_load_dword v60, off, s[0:3], 0 offset:276
	;; [unrolled: 1-line block ×3, first 2 shown]
	ds_read_b128 v[67:70], v62 offset:752
	s_clause 0x4
	buffer_load_dword v78, off, s[0:3], 0 offset:316
	buffer_load_dword v79, off, s[0:3], 0 offset:328
	;; [unrolled: 1-line block ×5, first 2 shown]
	ds_read_b128 v[71:74], v62 offset:768
	s_clause 0x2
	buffer_load_dword v80, off, s[0:3], 0 offset:332
	buffer_load_dword v85, off, s[0:3], 0 offset:308
	;; [unrolled: 1-line block ×3, first 2 shown]
	s_mov_b32 s4, exec_lo
	s_waitcnt vmcnt(62) lgkmcnt(2)
	v_mul_f64 v[75:76], v[65:66], v[9:10]
	v_mul_f64 v[9:10], v[63:64], v[9:10]
	s_waitcnt lgkmcnt(1)
	v_mul_f64 v[82:83], v[69:70], v[5:6]
	s_waitcnt vmcnt(59) lgkmcnt(0)
	v_mul_f64 v[86:87], v[73:74], v[3:4]
	v_fma_f64 v[63:64], v[63:64], v[7:8], -v[75:76]
	v_mul_f64 v[75:76], v[67:68], v[5:6]
	v_fma_f64 v[9:10], v[65:66], v[7:8], v[9:10]
	s_waitcnt vmcnt(57)
	v_fma_f64 v[67:68], v[67:68], v[1:2], -v[82:83]
	ds_read_b128 v[5:8], v62 offset:784
	v_mul_f64 v[65:66], v[71:72], v[3:4]
	s_waitcnt vmcnt(51)
	v_fma_f64 v[71:72], v[71:72], v[25:26], -v[86:87]
	v_add_f64 v[63:64], v[63:64], 0
	v_fma_f64 v[69:70], v[69:70], v[1:2], v[75:76]
	v_add_f64 v[9:10], v[9:10], 0
	s_clause 0x4
	buffer_load_dword v76, off, s[0:3], 0 offset:348
	buffer_load_dword v88, off, s[0:3], 0 offset:360
	buffer_load_dword v90, off, s[0:3], 0 offset:352
	buffer_load_dword v75, off, s[0:3], 0 offset:344
	buffer_load_dword v82, off, s[0:3], 0 offset:324
	s_waitcnt lgkmcnt(0)
	v_mul_f64 v[91:92], v[5:6], v[13:14]
	v_mul_f64 v[13:14], v[7:8], v[13:14]
	ds_read_b128 v[1:4], v62 offset:800
	v_fma_f64 v[25:26], v[73:74], v[25:26], v[65:66]
	v_add_f64 v[67:68], v[63:64], v[67:68]
	v_add_f64 v[9:10], v[9:10], v[69:70]
	s_clause 0x2
	buffer_load_dword v89, off, s[0:3], 0 offset:364
	buffer_load_dword v70, off, s[0:3], 0 offset:340
	;; [unrolled: 1-line block ×3, first 2 shown]
	s_waitcnt vmcnt(58) lgkmcnt(0)
	v_mul_f64 v[73:74], v[1:2], v[17:18]
	v_mul_f64 v[17:18], v[3:4], v[17:18]
	s_waitcnt vmcnt(56)
	v_fma_f64 v[13:14], v[5:6], v[19:20], -v[13:14]
	ds_read_b128 v[63:66], v62 offset:816
	v_fma_f64 v[19:20], v[7:8], v[19:20], v[91:92]
	v_add_f64 v[67:68], v[67:68], v[71:72]
	v_add_f64 v[9:10], v[9:10], v[25:26]
	s_clause 0x4
	buffer_load_dword v26, off, s[0:3], 0 offset:380
	buffer_load_dword v71, off, s[0:3], 0 offset:392
	;; [unrolled: 1-line block ×5, first 2 shown]
	ds_read_b128 v[5:8], v62 offset:832
	s_waitcnt vmcnt(57) lgkmcnt(1)
	v_mul_f64 v[179:180], v[63:64], v[21:22]
	v_mul_f64 v[21:22], v[65:66], v[21:22]
	s_waitcnt vmcnt(56)
	v_fma_f64 v[17:18], v[1:2], v[11:12], -v[17:18]
	v_fma_f64 v[11:12], v[3:4], v[11:12], v[73:74]
	v_add_f64 v[13:14], v[67:68], v[13:14]
	v_add_f64 v[9:10], v[9:10], v[19:20]
	s_clause 0x2
	buffer_load_dword v72, off, s[0:3], 0 offset:396
	buffer_load_dword v20, off, s[0:3], 0 offset:372
	;; [unrolled: 1-line block ×3, first 2 shown]
	s_waitcnt vmcnt(58) lgkmcnt(0)
	v_mul_f64 v[67:68], v[5:6], v[27:28]
	v_mul_f64 v[27:28], v[7:8], v[27:28]
	s_waitcnt vmcnt(56)
	v_fma_f64 v[21:22], v[63:64], v[29:30], -v[21:22]
	ds_read_b128 v[1:4], v62 offset:848
	v_add_f64 v[13:14], v[13:14], v[17:18]
	v_fma_f64 v[17:18], v[65:66], v[29:30], v[179:180]
	v_add_f64 v[29:30], v[9:10], v[11:12]
	s_clause 0x4
	buffer_load_dword v64, off, s[0:3], 0 offset:412
	buffer_load_dword v65, off, s[0:3], 0 offset:424
	;; [unrolled: 1-line block ×5, first 2 shown]
	ds_read_b128 v[9:12], v62 offset:864
	s_waitcnt vmcnt(57) lgkmcnt(1)
	v_mul_f64 v[179:180], v[1:2], v[31:32]
	v_mul_f64 v[31:32], v[3:4], v[31:32]
	s_waitcnt vmcnt(56)
	v_fma_f64 v[27:28], v[5:6], v[15:16], -v[27:28]
	v_fma_f64 v[15:16], v[7:8], v[15:16], v[67:68]
	v_add_f64 v[13:14], v[13:14], v[21:22]
	s_clause 0x2
	buffer_load_dword v66, off, s[0:3], 0 offset:428
	buffer_load_dword v22, off, s[0:3], 0 offset:404
	;; [unrolled: 1-line block ×3, first 2 shown]
	v_add_f64 v[17:18], v[29:30], v[17:18]
	s_waitcnt vmcnt(58) lgkmcnt(0)
	v_mul_f64 v[29:30], v[9:10], v[35:36]
	v_mul_f64 v[35:36], v[11:12], v[35:36]
	ds_read_b128 v[5:8], v62 offset:880
	s_waitcnt vmcnt(56)
	v_fma_f64 v[31:32], v[1:2], v[37:38], -v[31:32]
	v_add_f64 v[13:14], v[13:14], v[27:28]
	v_fma_f64 v[27:28], v[3:4], v[37:38], v[179:180]
	v_add_f64 v[15:16], v[17:18], v[15:16]
	s_clause 0x4
	buffer_load_dword v18, off, s[0:3], 0 offset:444
	buffer_load_dword v37, off, s[0:3], 0 offset:456
	;; [unrolled: 1-line block ×5, first 2 shown]
	s_waitcnt vmcnt(57) lgkmcnt(0)
	v_mul_f64 v[179:180], v[5:6], v[39:40]
	v_mul_f64 v[39:40], v[7:8], v[39:40]
	s_waitcnt vmcnt(56)
	v_fma_f64 v[35:36], v[9:10], v[23:24], -v[35:36]
	ds_read_b128 v[1:4], v62 offset:896
	v_fma_f64 v[23:24], v[11:12], v[23:24], v[29:30]
	v_add_f64 v[13:14], v[13:14], v[31:32]
	v_add_f64 v[15:16], v[15:16], v[27:28]
	s_clause 0x2
	buffer_load_dword v38, off, s[0:3], 0 offset:460
	buffer_load_dword v28, off, s[0:3], 0 offset:436
	;; [unrolled: 1-line block ×3, first 2 shown]
	ds_read_b128 v[9:12], v62 offset:912
	s_waitcnt vmcnt(58) lgkmcnt(1)
	v_mul_f64 v[31:32], v[3:4], v[43:44]
	s_waitcnt vmcnt(56)
	v_fma_f64 v[39:40], v[5:6], v[45:46], -v[39:40]
	v_mul_f64 v[29:30], v[1:2], v[43:44]
	v_add_f64 v[13:14], v[13:14], v[35:36]
	v_fma_f64 v[35:36], v[7:8], v[45:46], v[179:180]
	v_add_f64 v[15:16], v[15:16], v[23:24]
	s_clause 0x4
	buffer_load_dword v24, off, s[0:3], 0 offset:476
	buffer_load_dword v43, off, s[0:3], 0 offset:488
	;; [unrolled: 1-line block ×5, first 2 shown]
	s_waitcnt vmcnt(57) lgkmcnt(0)
	v_mul_f64 v[179:180], v[9:10], v[47:48]
	v_mul_f64 v[46:47], v[11:12], v[47:48]
	s_waitcnt vmcnt(56)
	v_fma_f64 v[31:32], v[1:2], v[33:34], -v[31:32]
	ds_read_b128 v[5:8], v62 offset:928
	v_fma_f64 v[29:30], v[3:4], v[33:34], v[29:30]
	s_clause 0x2
	buffer_load_dword v44, off, s[0:3], 0 offset:492
	buffer_load_dword v34, off, s[0:3], 0 offset:468
	;; [unrolled: 1-line block ×3, first 2 shown]
	ds_read_b128 v[1:4], v62 offset:944
	v_add_f64 v[13:14], v[13:14], v[39:40]
	v_add_f64 v[15:16], v[15:16], v[35:36]
	s_waitcnt vmcnt(58) lgkmcnt(1)
	v_mul_f64 v[39:40], v[7:8], v[51:52]
	s_waitcnt vmcnt(56)
	v_fma_f64 v[47:48], v[9:10], v[53:54], -v[46:47]
	v_mul_f64 v[35:36], v[5:6], v[51:52]
	v_add_f64 v[13:14], v[13:14], v[31:32]
	v_fma_f64 v[31:32], v[11:12], v[53:54], v[179:180]
	v_add_f64 v[15:16], v[15:16], v[29:30]
	s_clause 0x4
	buffer_load_dword v30, off, s[0:3], 0 offset:508
	buffer_load_dword v51, off, s[0:3], 0 offset:520
	;; [unrolled: 1-line block ×5, first 2 shown]
	s_waitcnt vmcnt(57) lgkmcnt(0)
	v_mul_f64 v[179:180], v[1:2], v[55:56]
	v_mul_f64 v[54:55], v[3:4], v[55:56]
	s_waitcnt vmcnt(56)
	v_fma_f64 v[39:40], v[5:6], v[41:42], -v[39:40]
	ds_read_b128 v[9:12], v62 offset:960
	v_fma_f64 v[35:36], v[7:8], v[41:42], v[35:36]
	v_add_f64 v[13:14], v[13:14], v[47:48]
	v_add_f64 v[15:16], v[15:16], v[31:32]
	s_clause 0x2
	buffer_load_dword v52, off, s[0:3], 0 offset:524
	buffer_load_dword v32, off, s[0:3], 0 offset:500
	;; [unrolled: 1-line block ×3, first 2 shown]
	ds_read_b128 v[5:8], v62 offset:976
	s_waitcnt vmcnt(58) lgkmcnt(1)
	v_mul_f64 v[47:48], v[11:12], v[57:58]
	s_waitcnt vmcnt(56)
	v_fma_f64 v[55:56], v[1:2], v[59:60], -v[54:55]
	v_mul_f64 v[41:42], v[9:10], v[57:58]
	v_add_f64 v[13:14], v[13:14], v[39:40]
	v_fma_f64 v[39:40], v[3:4], v[59:60], v[179:180]
	v_add_f64 v[15:16], v[15:16], v[35:36]
	s_clause 0x4
	buffer_load_dword v36, off, s[0:3], 0 offset:540
	buffer_load_dword v57, off, s[0:3], 0 offset:552
	;; [unrolled: 1-line block ×5, first 2 shown]
	s_waitcnt vmcnt(57) lgkmcnt(0)
	v_mul_f64 v[179:180], v[5:6], v[77:78]
	v_mul_f64 v[77:78], v[7:8], v[77:78]
	s_waitcnt vmcnt(56)
	v_fma_f64 v[47:48], v[9:10], v[49:50], -v[47:48]
	ds_read_b128 v[1:4], v62 offset:992
	v_fma_f64 v[41:42], v[11:12], v[49:50], v[41:42]
	v_add_f64 v[13:14], v[13:14], v[55:56]
	v_add_f64 v[15:16], v[15:16], v[39:40]
	s_clause 0x2
	buffer_load_dword v58, off, s[0:3], 0 offset:556
	buffer_load_dword v40, off, s[0:3], 0 offset:532
	;; [unrolled: 1-line block ×3, first 2 shown]
	ds_read_b128 v[9:12], v62 offset:1008
	s_waitcnt vmcnt(58) lgkmcnt(1)
	v_mul_f64 v[55:56], v[3:4], v[79:80]
	s_waitcnt vmcnt(56)
	v_fma_f64 v[77:78], v[5:6], v[84:85], -v[77:78]
	v_mul_f64 v[49:50], v[1:2], v[79:80]
	v_add_f64 v[13:14], v[13:14], v[47:48]
	v_fma_f64 v[47:48], v[7:8], v[84:85], v[179:180]
	v_add_f64 v[15:16], v[15:16], v[41:42]
	s_clause 0x4
	buffer_load_dword v42, off, s[0:3], 0 offset:572
	buffer_load_dword v79, off, s[0:3], 0 offset:584
	;; [unrolled: 1-line block ×5, first 2 shown]
	ds_read_b128 v[5:8], v62 offset:1024
	s_waitcnt vmcnt(57) lgkmcnt(1)
	v_mul_f64 v[84:85], v[9:10], v[75:76]
	v_mul_f64 v[75:76], v[11:12], v[75:76]
	s_waitcnt vmcnt(56)
	v_fma_f64 v[55:56], v[1:2], v[81:82], -v[55:56]
	v_fma_f64 v[49:50], v[3:4], v[81:82], v[49:50]
	v_add_f64 v[13:14], v[13:14], v[77:78]
	v_add_f64 v[15:16], v[15:16], v[47:48]
	s_clause 0x2
	buffer_load_dword v80, off, s[0:3], 0 offset:588
	buffer_load_dword v48, off, s[0:3], 0 offset:564
	;; [unrolled: 1-line block ×3, first 2 shown]
	ds_read_b128 v[1:4], v62 offset:1040
	s_waitcnt vmcnt(58) lgkmcnt(1)
	v_mul_f64 v[81:82], v[7:8], v[88:89]
	v_mul_f64 v[77:78], v[5:6], v[88:89]
	s_waitcnt vmcnt(56)
	v_fma_f64 v[75:76], v[9:10], v[69:70], -v[75:76]
	v_add_f64 v[13:14], v[13:14], v[55:56]
	v_fma_f64 v[55:56], v[11:12], v[69:70], v[84:85]
	v_add_f64 v[15:16], v[15:16], v[49:50]
	s_clause 0x4
	buffer_load_dword v50, off, s[0:3], 0 offset:604
	buffer_load_dword v69, off, s[0:3], 0 offset:616
	buffer_load_dword v88, off, s[0:3], 0 offset:608
	buffer_load_dword v49, off, s[0:3], 0 offset:600
	buffer_load_dword v84, off, s[0:3], 0 offset:580
	ds_read_b128 v[9:12], v62 offset:1056
	s_waitcnt vmcnt(57) lgkmcnt(1)
	v_mul_f64 v[179:180], v[1:2], v[25:26]
	v_mul_f64 v[25:26], v[3:4], v[25:26]
	s_waitcnt vmcnt(56)
	v_fma_f64 v[81:82], v[5:6], v[90:91], -v[81:82]
	v_add_f64 v[13:14], v[13:14], v[75:76]
	v_fma_f64 v[75:76], v[7:8], v[90:91], v[77:78]
	v_add_f64 v[15:16], v[15:16], v[55:56]
	s_clause 0x2
	buffer_load_dword v70, off, s[0:3], 0 offset:620
	buffer_load_dword v56, off, s[0:3], 0 offset:596
	buffer_load_dword v55, off, s[0:3], 0 offset:592
	ds_read_b128 v[5:8], v62 offset:1072
	s_waitcnt vmcnt(58) lgkmcnt(1)
	v_mul_f64 v[77:78], v[9:10], v[71:72]
	v_mul_f64 v[71:72], v[11:12], v[71:72]
	s_waitcnt vmcnt(56)
	v_fma_f64 v[25:26], v[1:2], v[19:20], -v[25:26]
	v_fma_f64 v[19:20], v[3:4], v[19:20], v[179:180]
	v_add_f64 v[13:14], v[13:14], v[81:82]
	v_add_f64 v[15:16], v[15:16], v[75:76]
	s_clause 0x4
	buffer_load_dword v76, off, s[0:3], 0 offset:636
	buffer_load_dword v81, off, s[0:3], 0 offset:648
	buffer_load_dword v85, off, s[0:3], 0 offset:640
	buffer_load_dword v75, off, s[0:3], 0 offset:632
	buffer_load_dword v89, off, s[0:3], 0 offset:612
	ds_read_b128 v[1:4], v62 offset:1088
	s_waitcnt vmcnt(57) lgkmcnt(1)
	v_mul_f64 v[90:91], v[5:6], v[63:64]
	v_mul_f64 v[63:64], v[7:8], v[63:64]
	s_waitcnt vmcnt(56)
	v_fma_f64 v[71:72], v[9:10], v[86:87], -v[71:72]
	v_add_f64 v[13:14], v[13:14], v[25:26]
	v_fma_f64 v[25:26], v[11:12], v[86:87], v[77:78]
	v_add_f64 v[15:16], v[15:16], v[19:20]
	s_clause 0x2
	buffer_load_dword v82, off, s[0:3], 0 offset:652
	buffer_load_dword v20, off, s[0:3], 0 offset:628
	buffer_load_dword v19, off, s[0:3], 0 offset:624
	ds_read_b128 v[9:12], v62 offset:1104
	s_waitcnt vmcnt(58) lgkmcnt(1)
	v_mul_f64 v[77:78], v[1:2], v[65:66]
	v_mul_f64 v[65:66], v[3:4], v[65:66]
	s_waitcnt vmcnt(56)
	v_fma_f64 v[63:64], v[5:6], v[21:22], -v[63:64]
	v_fma_f64 v[21:22], v[7:8], v[21:22], v[90:91]
	v_add_f64 v[13:14], v[13:14], v[71:72]
	;; [unrolled: 28-line block ×3, first 2 shown]
	v_add_f64 v[15:16], v[15:16], v[63:64]
	s_clause 0x2
	buffer_load_dword v64, off, s[0:3], 0 offset:700
	buffer_load_dword v63, off, s[0:3], 0 offset:696
	;; [unrolled: 1-line block ×3, first 2 shown]
	ds_read_b128 v[9:12], v62 offset:1152
	s_waitcnt vmcnt(55) lgkmcnt(1)
	v_mul_f64 v[65:66], v[1:2], v[23:24]
	v_mul_f64 v[23:24], v[3:4], v[23:24]
	s_waitcnt vmcnt(54)
	v_fma_f64 v[37:38], v[5:6], v[67:68], -v[37:38]
	v_add_f64 v[13:14], v[13:14], v[17:18]
	v_fma_f64 v[17:18], v[7:8], v[67:68], v[73:74]
	v_add_f64 v[15:16], v[15:16], v[27:28]
	s_clause 0x1
	buffer_load_dword v28, off, s[0:3], 0 offset:692
	buffer_load_dword v27, off, s[0:3], 0 offset:688
	s_waitcnt vmcnt(55) lgkmcnt(0)
	v_mul_f64 v[67:68], v[9:10], v[43:44]
	v_mul_f64 v[43:44], v[11:12], v[43:44]
	ds_read_b128 v[5:8], v62 offset:1168
	s_waitcnt vmcnt(53)
	v_fma_f64 v[23:24], v[1:2], v[33:34], -v[23:24]
	v_fma_f64 v[33:34], v[3:4], v[33:34], v[65:66]
	ds_read_b128 v[1:4], v62 offset:1184
	v_add_f64 v[13:14], v[13:14], v[37:38]
	v_add_f64 v[15:16], v[15:16], v[17:18]
	s_waitcnt vmcnt(49) lgkmcnt(1)
	v_mul_f64 v[17:18], v[5:6], v[29:30]
	v_mul_f64 v[29:30], v[7:8], v[29:30]
	s_waitcnt vmcnt(48)
	v_fma_f64 v[37:38], v[9:10], v[45:46], -v[43:44]
	v_add_f64 v[13:14], v[13:14], v[23:24]
	v_fma_f64 v[23:24], v[11:12], v[45:46], v[67:68]
	v_add_f64 v[15:16], v[15:16], v[33:34]
	s_clause 0x3
	buffer_load_dword v33, off, s[0:3], 0 offset:48
	buffer_load_dword v34, off, s[0:3], 0 offset:52
	;; [unrolled: 1-line block ×4, first 2 shown]
	ds_read_b128 v[9:12], v62 offset:1200
	s_waitcnt vmcnt(51) lgkmcnt(1)
	v_mul_f64 v[45:46], v[1:2], v[51:52]
	v_mul_f64 v[51:52], v[3:4], v[51:52]
	s_waitcnt vmcnt(49)
	v_fma_f64 v[29:30], v[5:6], v[31:32], -v[29:30]
	v_fma_f64 v[17:18], v[7:8], v[31:32], v[17:18]
	ds_read_b128 v[5:8], v62 offset:1216
	v_add_f64 v[13:14], v[13:14], v[37:38]
	v_add_f64 v[15:16], v[15:16], v[23:24]
	s_waitcnt vmcnt(45) lgkmcnt(1)
	v_mul_f64 v[23:24], v[9:10], v[35:36]
	v_mul_f64 v[31:32], v[11:12], v[35:36]
	s_waitcnt vmcnt(44)
	v_fma_f64 v[35:36], v[1:2], v[53:54], -v[51:52]
	v_add_f64 v[13:14], v[13:14], v[29:30]
	v_fma_f64 v[29:30], v[3:4], v[53:54], v[45:46]
	v_add_f64 v[15:16], v[15:16], v[17:18]
	ds_read_b128 v[1:4], v62 offset:1232
	s_waitcnt vmcnt(43) lgkmcnt(1)
	v_mul_f64 v[37:38], v[7:8], v[57:58]
	v_mul_f64 v[17:18], v[5:6], v[57:58]
	s_waitcnt vmcnt(41)
	v_fma_f64 v[31:32], v[9:10], v[39:40], -v[31:32]
	v_fma_f64 v[23:24], v[11:12], v[39:40], v[23:24]
	ds_read_b128 v[9:12], v62 offset:1248
	v_add_f64 v[13:14], v[13:14], v[35:36]
	v_add_f64 v[15:16], v[15:16], v[29:30]
	s_waitcnt vmcnt(37) lgkmcnt(1)
	v_mul_f64 v[35:36], v[3:4], v[41:42]
	s_waitcnt vmcnt(36)
	v_fma_f64 v[37:38], v[5:6], v[59:60], -v[37:38]
	v_mul_f64 v[29:30], v[1:2], v[41:42]
	v_fma_f64 v[17:18], v[7:8], v[59:60], v[17:18]
	ds_read_b128 v[5:8], v62 offset:1264
	v_add_f64 v[13:14], v[13:14], v[31:32]
	v_add_f64 v[15:16], v[15:16], v[23:24]
	s_waitcnt vmcnt(35) lgkmcnt(1)
	v_mul_f64 v[31:32], v[11:12], v[79:80]
	v_mul_f64 v[23:24], v[9:10], v[79:80]
	s_waitcnt vmcnt(33)
	v_fma_f64 v[35:36], v[1:2], v[47:48], -v[35:36]
	v_fma_f64 v[29:30], v[3:4], v[47:48], v[29:30]
	ds_read_b128 v[1:4], v62 offset:1280
	v_add_f64 v[13:14], v[13:14], v[37:38]
	v_add_f64 v[15:16], v[15:16], v[17:18]
	s_waitcnt vmcnt(29) lgkmcnt(1)
	v_mul_f64 v[37:38], v[7:8], v[49:50]
	s_waitcnt vmcnt(28)
	v_fma_f64 v[31:32], v[9:10], v[83:84], -v[31:32]
	v_mul_f64 v[17:18], v[5:6], v[49:50]
	v_fma_f64 v[23:24], v[11:12], v[83:84], v[23:24]
	ds_read_b128 v[9:12], v62 offset:1296
	v_add_f64 v[13:14], v[13:14], v[35:36]
	v_add_f64 v[15:16], v[15:16], v[29:30]
	;; [unrolled: 18-line block ×3, first 2 shown]
	s_waitcnt vmcnt(19) lgkmcnt(1)
	v_mul_f64 v[37:38], v[7:8], v[81:82]
	v_mul_f64 v[17:18], v[5:6], v[81:82]
	s_waitcnt vmcnt(17)
	v_fma_f64 v[31:32], v[9:10], v[19:20], -v[31:32]
	v_fma_f64 v[19:20], v[11:12], v[19:20], v[23:24]
	ds_read_b128 v[9:12], v62 offset:1344
	v_add_f64 v[13:14], v[13:14], v[35:36]
	v_add_f64 v[15:16], v[15:16], v[29:30]
	s_waitcnt vmcnt(13) lgkmcnt(1)
	v_mul_f64 v[23:24], v[1:2], v[25:26]
	v_mul_f64 v[25:26], v[3:4], v[25:26]
	s_waitcnt vmcnt(12)
	v_fma_f64 v[29:30], v[5:6], v[85:86], -v[37:38]
	v_fma_f64 v[17:18], v[7:8], v[85:86], v[17:18]
	ds_read_b128 v[5:8], v62 offset:1360
	v_add_f64 v[13:14], v[13:14], v[31:32]
	v_add_f64 v[15:16], v[15:16], v[19:20]
	s_waitcnt vmcnt(11) lgkmcnt(1)
	v_mul_f64 v[31:32], v[11:12], v[71:72]
	v_mul_f64 v[19:20], v[9:10], v[71:72]
	s_waitcnt vmcnt(9)
	v_fma_f64 v[1:2], v[1:2], v[21:22], -v[25:26]
	v_fma_f64 v[3:4], v[3:4], v[21:22], v[23:24]
	v_add_f64 v[13:14], v[13:14], v[29:30]
	v_add_f64 v[15:16], v[15:16], v[17:18]
	s_waitcnt vmcnt(7) lgkmcnt(0)
	v_mul_f64 v[21:22], v[7:8], v[63:64]
	s_waitcnt vmcnt(6)
	v_fma_f64 v[9:10], v[9:10], v[90:91], -v[31:32]
	v_mul_f64 v[17:18], v[5:6], v[63:64]
	v_fma_f64 v[11:12], v[11:12], v[90:91], v[19:20]
	v_add_f64 v[1:2], v[13:14], v[1:2]
	v_add_f64 v[3:4], v[15:16], v[3:4]
	s_waitcnt vmcnt(4)
	v_fma_f64 v[5:6], v[5:6], v[27:28], -v[21:22]
	v_fma_f64 v[7:8], v[7:8], v[27:28], v[17:18]
	v_add_f64 v[1:2], v[1:2], v[9:10]
	v_add_f64 v[3:4], v[3:4], v[11:12]
	;; [unrolled: 1-line block ×4, first 2 shown]
	s_waitcnt vmcnt(2)
	v_add_f64 v[1:2], v[33:34], -v[1:2]
	s_waitcnt vmcnt(0)
	v_add_f64 v[3:4], v[43:44], -v[3:4]
	buffer_store_dword v2, off, s[0:3], 0 offset:52
	buffer_store_dword v1, off, s[0:3], 0 offset:48
	;; [unrolled: 1-line block ×4, first 2 shown]
	v_cmpx_lt_u32_e32 1, v0
	s_cbranch_execz .LBB42_269
; %bb.268:
	v_mov_b32_e32 v4, s54
	v_mov_b32_e32 v5, 0
	s_clause 0x3
	buffer_load_dword v1, v4, s[0:3], 0 offen
	buffer_load_dword v2, v4, s[0:3], 0 offen offset:4
	buffer_load_dword v3, v4, s[0:3], 0 offen offset:8
	;; [unrolled: 1-line block ×3, first 2 shown]
	buffer_store_dword v5, off, s[0:3], 0 offset:32
	buffer_store_dword v5, off, s[0:3], 0 offset:36
	;; [unrolled: 1-line block ×4, first 2 shown]
	s_waitcnt vmcnt(0)
	ds_write_b128 v61, v[1:4]
.LBB42_269:
	s_or_b32 exec_lo, exec_lo, s4
	s_waitcnt lgkmcnt(0)
	s_waitcnt_vscnt null, 0x0
	s_barrier
	buffer_gl0_inv
	s_clause 0x37
	buffer_load_dword v9, off, s[0:3], 0 offset:56
	buffer_load_dword v10, off, s[0:3], 0 offset:60
	;; [unrolled: 1-line block ×56, first 2 shown]
	v_mov_b32_e32 v62, 0
	s_mov_b32 s4, exec_lo
	ds_read_b128 v[63:66], v62 offset:720
	s_clause 0x2
	buffer_load_dword v58, off, s[0:3], 0 offset:284
	buffer_load_dword v60, off, s[0:3], 0 offset:260
	;; [unrolled: 1-line block ×3, first 2 shown]
	ds_read_b128 v[67:70], v62 offset:736
	s_clause 0x4
	buffer_load_dword v78, off, s[0:3], 0 offset:300
	buffer_load_dword v79, off, s[0:3], 0 offset:312
	;; [unrolled: 1-line block ×5, first 2 shown]
	ds_read_b128 v[71:74], v62 offset:752
	s_clause 0x2
	buffer_load_dword v80, off, s[0:3], 0 offset:316
	buffer_load_dword v85, off, s[0:3], 0 offset:292
	;; [unrolled: 1-line block ×3, first 2 shown]
	s_waitcnt vmcnt(62) lgkmcnt(2)
	v_mul_f64 v[75:76], v[65:66], v[9:10]
	v_mul_f64 v[9:10], v[63:64], v[9:10]
	s_waitcnt lgkmcnt(1)
	v_mul_f64 v[82:83], v[69:70], v[5:6]
	s_waitcnt vmcnt(59) lgkmcnt(0)
	v_mul_f64 v[86:87], v[73:74], v[3:4]
	v_fma_f64 v[63:64], v[63:64], v[7:8], -v[75:76]
	v_mul_f64 v[75:76], v[67:68], v[5:6]
	v_fma_f64 v[9:10], v[65:66], v[7:8], v[9:10]
	s_waitcnt vmcnt(57)
	v_fma_f64 v[67:68], v[67:68], v[1:2], -v[82:83]
	ds_read_b128 v[5:8], v62 offset:768
	v_mul_f64 v[65:66], v[71:72], v[3:4]
	s_waitcnt vmcnt(51)
	v_fma_f64 v[71:72], v[71:72], v[25:26], -v[86:87]
	v_add_f64 v[63:64], v[63:64], 0
	v_fma_f64 v[69:70], v[69:70], v[1:2], v[75:76]
	v_add_f64 v[9:10], v[9:10], 0
	s_clause 0x4
	buffer_load_dword v76, off, s[0:3], 0 offset:332
	buffer_load_dword v88, off, s[0:3], 0 offset:344
	;; [unrolled: 1-line block ×5, first 2 shown]
	s_waitcnt lgkmcnt(0)
	v_mul_f64 v[91:92], v[5:6], v[13:14]
	v_mul_f64 v[13:14], v[7:8], v[13:14]
	ds_read_b128 v[1:4], v62 offset:784
	v_fma_f64 v[25:26], v[73:74], v[25:26], v[65:66]
	v_add_f64 v[67:68], v[63:64], v[67:68]
	v_add_f64 v[9:10], v[9:10], v[69:70]
	s_clause 0x2
	buffer_load_dword v89, off, s[0:3], 0 offset:348
	buffer_load_dword v70, off, s[0:3], 0 offset:324
	;; [unrolled: 1-line block ×3, first 2 shown]
	s_waitcnt vmcnt(58) lgkmcnt(0)
	v_mul_f64 v[73:74], v[1:2], v[17:18]
	v_mul_f64 v[17:18], v[3:4], v[17:18]
	s_waitcnt vmcnt(56)
	v_fma_f64 v[13:14], v[5:6], v[19:20], -v[13:14]
	ds_read_b128 v[63:66], v62 offset:800
	v_fma_f64 v[19:20], v[7:8], v[19:20], v[91:92]
	v_add_f64 v[67:68], v[67:68], v[71:72]
	v_add_f64 v[9:10], v[9:10], v[25:26]
	s_clause 0x4
	buffer_load_dword v26, off, s[0:3], 0 offset:364
	buffer_load_dword v71, off, s[0:3], 0 offset:376
	;; [unrolled: 1-line block ×5, first 2 shown]
	ds_read_b128 v[5:8], v62 offset:816
	s_waitcnt vmcnt(57) lgkmcnt(1)
	v_mul_f64 v[179:180], v[63:64], v[21:22]
	v_mul_f64 v[21:22], v[65:66], v[21:22]
	s_waitcnt vmcnt(56)
	v_fma_f64 v[17:18], v[1:2], v[11:12], -v[17:18]
	v_fma_f64 v[11:12], v[3:4], v[11:12], v[73:74]
	v_add_f64 v[13:14], v[67:68], v[13:14]
	v_add_f64 v[9:10], v[9:10], v[19:20]
	s_clause 0x2
	buffer_load_dword v72, off, s[0:3], 0 offset:380
	buffer_load_dword v20, off, s[0:3], 0 offset:356
	;; [unrolled: 1-line block ×3, first 2 shown]
	s_waitcnt vmcnt(58) lgkmcnt(0)
	v_mul_f64 v[67:68], v[5:6], v[27:28]
	v_mul_f64 v[27:28], v[7:8], v[27:28]
	s_waitcnt vmcnt(56)
	v_fma_f64 v[21:22], v[63:64], v[29:30], -v[21:22]
	ds_read_b128 v[1:4], v62 offset:832
	v_add_f64 v[13:14], v[13:14], v[17:18]
	v_fma_f64 v[17:18], v[65:66], v[29:30], v[179:180]
	v_add_f64 v[29:30], v[9:10], v[11:12]
	s_clause 0x4
	buffer_load_dword v64, off, s[0:3], 0 offset:396
	buffer_load_dword v65, off, s[0:3], 0 offset:408
	;; [unrolled: 1-line block ×5, first 2 shown]
	ds_read_b128 v[9:12], v62 offset:848
	s_waitcnt vmcnt(57) lgkmcnt(1)
	v_mul_f64 v[179:180], v[1:2], v[31:32]
	v_mul_f64 v[31:32], v[3:4], v[31:32]
	s_waitcnt vmcnt(56)
	v_fma_f64 v[27:28], v[5:6], v[15:16], -v[27:28]
	v_fma_f64 v[15:16], v[7:8], v[15:16], v[67:68]
	v_add_f64 v[13:14], v[13:14], v[21:22]
	s_clause 0x2
	buffer_load_dword v66, off, s[0:3], 0 offset:412
	buffer_load_dword v22, off, s[0:3], 0 offset:388
	;; [unrolled: 1-line block ×3, first 2 shown]
	v_add_f64 v[17:18], v[29:30], v[17:18]
	s_waitcnt vmcnt(58) lgkmcnt(0)
	v_mul_f64 v[29:30], v[9:10], v[35:36]
	v_mul_f64 v[35:36], v[11:12], v[35:36]
	ds_read_b128 v[5:8], v62 offset:864
	s_waitcnt vmcnt(56)
	v_fma_f64 v[31:32], v[1:2], v[37:38], -v[31:32]
	v_add_f64 v[13:14], v[13:14], v[27:28]
	v_fma_f64 v[27:28], v[3:4], v[37:38], v[179:180]
	v_add_f64 v[15:16], v[17:18], v[15:16]
	s_clause 0x4
	buffer_load_dword v18, off, s[0:3], 0 offset:428
	buffer_load_dword v37, off, s[0:3], 0 offset:440
	;; [unrolled: 1-line block ×5, first 2 shown]
	s_waitcnt vmcnt(57) lgkmcnt(0)
	v_mul_f64 v[179:180], v[5:6], v[39:40]
	v_mul_f64 v[39:40], v[7:8], v[39:40]
	s_waitcnt vmcnt(56)
	v_fma_f64 v[35:36], v[9:10], v[23:24], -v[35:36]
	ds_read_b128 v[1:4], v62 offset:880
	v_fma_f64 v[23:24], v[11:12], v[23:24], v[29:30]
	v_add_f64 v[13:14], v[13:14], v[31:32]
	v_add_f64 v[15:16], v[15:16], v[27:28]
	s_clause 0x2
	buffer_load_dword v38, off, s[0:3], 0 offset:444
	buffer_load_dword v28, off, s[0:3], 0 offset:420
	;; [unrolled: 1-line block ×3, first 2 shown]
	ds_read_b128 v[9:12], v62 offset:896
	s_waitcnt vmcnt(58) lgkmcnt(1)
	v_mul_f64 v[31:32], v[3:4], v[43:44]
	s_waitcnt vmcnt(56)
	v_fma_f64 v[39:40], v[5:6], v[45:46], -v[39:40]
	v_mul_f64 v[29:30], v[1:2], v[43:44]
	v_add_f64 v[13:14], v[13:14], v[35:36]
	v_fma_f64 v[35:36], v[7:8], v[45:46], v[179:180]
	v_add_f64 v[15:16], v[15:16], v[23:24]
	s_clause 0x4
	buffer_load_dword v24, off, s[0:3], 0 offset:460
	buffer_load_dword v43, off, s[0:3], 0 offset:472
	buffer_load_dword v45, off, s[0:3], 0 offset:464
	buffer_load_dword v23, off, s[0:3], 0 offset:456
	buffer_load_dword v68, off, s[0:3], 0 offset:436
	s_waitcnt vmcnt(57) lgkmcnt(0)
	v_mul_f64 v[179:180], v[9:10], v[47:48]
	v_mul_f64 v[46:47], v[11:12], v[47:48]
	s_waitcnt vmcnt(56)
	v_fma_f64 v[31:32], v[1:2], v[33:34], -v[31:32]
	ds_read_b128 v[5:8], v62 offset:912
	v_fma_f64 v[29:30], v[3:4], v[33:34], v[29:30]
	s_clause 0x2
	buffer_load_dword v44, off, s[0:3], 0 offset:476
	buffer_load_dword v34, off, s[0:3], 0 offset:452
	;; [unrolled: 1-line block ×3, first 2 shown]
	ds_read_b128 v[1:4], v62 offset:928
	v_add_f64 v[13:14], v[13:14], v[39:40]
	v_add_f64 v[15:16], v[15:16], v[35:36]
	s_waitcnt vmcnt(58) lgkmcnt(1)
	v_mul_f64 v[39:40], v[7:8], v[51:52]
	s_waitcnt vmcnt(56)
	v_fma_f64 v[47:48], v[9:10], v[53:54], -v[46:47]
	v_mul_f64 v[35:36], v[5:6], v[51:52]
	v_add_f64 v[13:14], v[13:14], v[31:32]
	v_fma_f64 v[31:32], v[11:12], v[53:54], v[179:180]
	v_add_f64 v[15:16], v[15:16], v[29:30]
	s_clause 0x4
	buffer_load_dword v30, off, s[0:3], 0 offset:492
	buffer_load_dword v51, off, s[0:3], 0 offset:504
	;; [unrolled: 1-line block ×5, first 2 shown]
	s_waitcnt vmcnt(57) lgkmcnt(0)
	v_mul_f64 v[179:180], v[1:2], v[55:56]
	v_mul_f64 v[54:55], v[3:4], v[55:56]
	s_waitcnt vmcnt(56)
	v_fma_f64 v[39:40], v[5:6], v[41:42], -v[39:40]
	ds_read_b128 v[9:12], v62 offset:944
	v_fma_f64 v[35:36], v[7:8], v[41:42], v[35:36]
	v_add_f64 v[13:14], v[13:14], v[47:48]
	v_add_f64 v[15:16], v[15:16], v[31:32]
	s_clause 0x2
	buffer_load_dword v52, off, s[0:3], 0 offset:508
	buffer_load_dword v32, off, s[0:3], 0 offset:484
	;; [unrolled: 1-line block ×3, first 2 shown]
	ds_read_b128 v[5:8], v62 offset:960
	s_waitcnt vmcnt(58) lgkmcnt(1)
	v_mul_f64 v[47:48], v[11:12], v[57:58]
	s_waitcnt vmcnt(56)
	v_fma_f64 v[55:56], v[1:2], v[59:60], -v[54:55]
	v_mul_f64 v[41:42], v[9:10], v[57:58]
	v_add_f64 v[13:14], v[13:14], v[39:40]
	v_fma_f64 v[39:40], v[3:4], v[59:60], v[179:180]
	v_add_f64 v[15:16], v[15:16], v[35:36]
	s_clause 0x4
	buffer_load_dword v36, off, s[0:3], 0 offset:524
	buffer_load_dword v57, off, s[0:3], 0 offset:536
	;; [unrolled: 1-line block ×5, first 2 shown]
	s_waitcnt vmcnt(57) lgkmcnt(0)
	v_mul_f64 v[179:180], v[5:6], v[77:78]
	v_mul_f64 v[77:78], v[7:8], v[77:78]
	s_waitcnt vmcnt(56)
	v_fma_f64 v[47:48], v[9:10], v[49:50], -v[47:48]
	ds_read_b128 v[1:4], v62 offset:976
	v_fma_f64 v[41:42], v[11:12], v[49:50], v[41:42]
	v_add_f64 v[13:14], v[13:14], v[55:56]
	v_add_f64 v[15:16], v[15:16], v[39:40]
	s_clause 0x2
	buffer_load_dword v58, off, s[0:3], 0 offset:540
	buffer_load_dword v40, off, s[0:3], 0 offset:516
	;; [unrolled: 1-line block ×3, first 2 shown]
	ds_read_b128 v[9:12], v62 offset:992
	s_waitcnt vmcnt(58) lgkmcnt(1)
	v_mul_f64 v[55:56], v[3:4], v[79:80]
	s_waitcnt vmcnt(56)
	v_fma_f64 v[77:78], v[5:6], v[84:85], -v[77:78]
	v_mul_f64 v[49:50], v[1:2], v[79:80]
	v_add_f64 v[13:14], v[13:14], v[47:48]
	v_fma_f64 v[47:48], v[7:8], v[84:85], v[179:180]
	v_add_f64 v[15:16], v[15:16], v[41:42]
	s_clause 0x4
	buffer_load_dword v42, off, s[0:3], 0 offset:556
	buffer_load_dword v79, off, s[0:3], 0 offset:568
	;; [unrolled: 1-line block ×5, first 2 shown]
	ds_read_b128 v[5:8], v62 offset:1008
	s_waitcnt vmcnt(57) lgkmcnt(1)
	v_mul_f64 v[84:85], v[9:10], v[75:76]
	v_mul_f64 v[75:76], v[11:12], v[75:76]
	s_waitcnt vmcnt(56)
	v_fma_f64 v[55:56], v[1:2], v[81:82], -v[55:56]
	v_fma_f64 v[49:50], v[3:4], v[81:82], v[49:50]
	v_add_f64 v[13:14], v[13:14], v[77:78]
	v_add_f64 v[15:16], v[15:16], v[47:48]
	s_clause 0x2
	buffer_load_dword v80, off, s[0:3], 0 offset:572
	buffer_load_dword v48, off, s[0:3], 0 offset:548
	buffer_load_dword v47, off, s[0:3], 0 offset:544
	ds_read_b128 v[1:4], v62 offset:1024
	s_waitcnt vmcnt(58) lgkmcnt(1)
	v_mul_f64 v[81:82], v[7:8], v[88:89]
	v_mul_f64 v[77:78], v[5:6], v[88:89]
	s_waitcnt vmcnt(56)
	v_fma_f64 v[75:76], v[9:10], v[69:70], -v[75:76]
	v_add_f64 v[13:14], v[13:14], v[55:56]
	v_fma_f64 v[55:56], v[11:12], v[69:70], v[84:85]
	v_add_f64 v[15:16], v[15:16], v[49:50]
	s_clause 0x4
	buffer_load_dword v50, off, s[0:3], 0 offset:588
	buffer_load_dword v69, off, s[0:3], 0 offset:600
	buffer_load_dword v88, off, s[0:3], 0 offset:592
	buffer_load_dword v49, off, s[0:3], 0 offset:584
	buffer_load_dword v84, off, s[0:3], 0 offset:564
	ds_read_b128 v[9:12], v62 offset:1040
	s_waitcnt vmcnt(57) lgkmcnt(1)
	v_mul_f64 v[179:180], v[1:2], v[25:26]
	v_mul_f64 v[25:26], v[3:4], v[25:26]
	s_waitcnt vmcnt(56)
	v_fma_f64 v[81:82], v[5:6], v[90:91], -v[81:82]
	v_add_f64 v[13:14], v[13:14], v[75:76]
	v_fma_f64 v[75:76], v[7:8], v[90:91], v[77:78]
	v_add_f64 v[15:16], v[15:16], v[55:56]
	s_clause 0x2
	buffer_load_dword v70, off, s[0:3], 0 offset:604
	buffer_load_dword v56, off, s[0:3], 0 offset:580
	buffer_load_dword v55, off, s[0:3], 0 offset:576
	ds_read_b128 v[5:8], v62 offset:1056
	s_waitcnt vmcnt(58) lgkmcnt(1)
	v_mul_f64 v[77:78], v[9:10], v[71:72]
	v_mul_f64 v[71:72], v[11:12], v[71:72]
	s_waitcnt vmcnt(56)
	v_fma_f64 v[25:26], v[1:2], v[19:20], -v[25:26]
	v_fma_f64 v[19:20], v[3:4], v[19:20], v[179:180]
	v_add_f64 v[13:14], v[13:14], v[81:82]
	v_add_f64 v[15:16], v[15:16], v[75:76]
	s_clause 0x4
	buffer_load_dword v76, off, s[0:3], 0 offset:620
	buffer_load_dword v81, off, s[0:3], 0 offset:632
	buffer_load_dword v85, off, s[0:3], 0 offset:624
	buffer_load_dword v75, off, s[0:3], 0 offset:616
	buffer_load_dword v89, off, s[0:3], 0 offset:596
	ds_read_b128 v[1:4], v62 offset:1072
	s_waitcnt vmcnt(57) lgkmcnt(1)
	v_mul_f64 v[90:91], v[5:6], v[63:64]
	v_mul_f64 v[63:64], v[7:8], v[63:64]
	s_waitcnt vmcnt(56)
	v_fma_f64 v[71:72], v[9:10], v[86:87], -v[71:72]
	v_add_f64 v[13:14], v[13:14], v[25:26]
	v_fma_f64 v[25:26], v[11:12], v[86:87], v[77:78]
	v_add_f64 v[15:16], v[15:16], v[19:20]
	s_clause 0x2
	buffer_load_dword v82, off, s[0:3], 0 offset:636
	buffer_load_dword v20, off, s[0:3], 0 offset:612
	buffer_load_dword v19, off, s[0:3], 0 offset:608
	ds_read_b128 v[9:12], v62 offset:1088
	s_waitcnt vmcnt(58) lgkmcnt(1)
	v_mul_f64 v[77:78], v[1:2], v[65:66]
	v_mul_f64 v[65:66], v[3:4], v[65:66]
	s_waitcnt vmcnt(56)
	v_fma_f64 v[63:64], v[5:6], v[21:22], -v[63:64]
	v_fma_f64 v[21:22], v[7:8], v[21:22], v[90:91]
	v_add_f64 v[13:14], v[13:14], v[71:72]
	;; [unrolled: 28-line block ×3, first 2 shown]
	v_add_f64 v[15:16], v[15:16], v[63:64]
	s_clause 0x4
	buffer_load_dword v64, off, s[0:3], 0 offset:684
	buffer_load_dword v65, off, s[0:3], 0 offset:696
	buffer_load_dword v77, off, s[0:3], 0 offset:688
	buffer_load_dword v63, off, s[0:3], 0 offset:680
	buffer_load_dword v91, off, s[0:3], 0 offset:660
	ds_read_b128 v[9:12], v62 offset:1136
	s_waitcnt vmcnt(57) lgkmcnt(1)
	v_mul_f64 v[179:180], v[1:2], v[23:24]
	v_mul_f64 v[23:24], v[3:4], v[23:24]
	s_waitcnt vmcnt(56)
	v_fma_f64 v[37:38], v[5:6], v[67:68], -v[37:38]
	v_add_f64 v[13:14], v[13:14], v[17:18]
	v_fma_f64 v[17:18], v[7:8], v[67:68], v[73:74]
	v_add_f64 v[15:16], v[15:16], v[27:28]
	s_clause 0x2
	buffer_load_dword v66, off, s[0:3], 0 offset:700
	buffer_load_dword v28, off, s[0:3], 0 offset:676
	;; [unrolled: 1-line block ×3, first 2 shown]
	s_waitcnt vmcnt(58) lgkmcnt(0)
	v_mul_f64 v[67:68], v[9:10], v[43:44]
	v_mul_f64 v[43:44], v[11:12], v[43:44]
	ds_read_b128 v[5:8], v62 offset:1152
	buffer_load_dword v78, off, s[0:3], 0 offset:692
	s_waitcnt vmcnt(57)
	v_fma_f64 v[23:24], v[1:2], v[33:34], -v[23:24]
	v_fma_f64 v[33:34], v[3:4], v[33:34], v[179:180]
	ds_read_b128 v[1:4], v62 offset:1168
	v_add_f64 v[13:14], v[13:14], v[37:38]
	v_add_f64 v[15:16], v[15:16], v[17:18]
	s_waitcnt vmcnt(53) lgkmcnt(1)
	v_mul_f64 v[17:18], v[5:6], v[29:30]
	v_mul_f64 v[29:30], v[7:8], v[29:30]
	s_waitcnt vmcnt(52)
	v_fma_f64 v[37:38], v[9:10], v[45:46], -v[43:44]
	v_add_f64 v[13:14], v[13:14], v[23:24]
	v_fma_f64 v[23:24], v[11:12], v[45:46], v[67:68]
	v_add_f64 v[15:16], v[15:16], v[33:34]
	ds_read_b128 v[9:12], v62 offset:1184
	s_waitcnt vmcnt(51) lgkmcnt(1)
	v_mul_f64 v[43:44], v[3:4], v[51:52]
	v_mul_f64 v[33:34], v[1:2], v[51:52]
	s_waitcnt vmcnt(49)
	v_fma_f64 v[29:30], v[5:6], v[31:32], -v[29:30]
	v_fma_f64 v[17:18], v[7:8], v[31:32], v[17:18]
	v_add_f64 v[13:14], v[13:14], v[37:38]
	v_add_f64 v[15:16], v[15:16], v[23:24]
	s_clause 0x3
	buffer_load_dword v23, off, s[0:3], 0 offset:32
	buffer_load_dword v24, off, s[0:3], 0 offset:36
	;; [unrolled: 1-line block ×4, first 2 shown]
	ds_read_b128 v[5:8], v62 offset:1200
	s_waitcnt vmcnt(49) lgkmcnt(1)
	v_mul_f64 v[37:38], v[9:10], v[35:36]
	v_mul_f64 v[35:36], v[11:12], v[35:36]
	s_waitcnt vmcnt(48)
	v_fma_f64 v[43:44], v[1:2], v[53:54], -v[43:44]
	v_add_f64 v[13:14], v[13:14], v[29:30]
	v_fma_f64 v[29:30], v[3:4], v[53:54], v[33:34]
	v_add_f64 v[15:16], v[15:16], v[17:18]
	ds_read_b128 v[1:4], v62 offset:1216
	s_waitcnt vmcnt(47) lgkmcnt(1)
	v_mul_f64 v[33:34], v[7:8], v[57:58]
	v_mul_f64 v[17:18], v[5:6], v[57:58]
	s_waitcnt vmcnt(45)
	v_fma_f64 v[35:36], v[9:10], v[39:40], -v[35:36]
	v_fma_f64 v[37:38], v[11:12], v[39:40], v[37:38]
	ds_read_b128 v[9:12], v62 offset:1232
	v_add_f64 v[13:14], v[13:14], v[43:44]
	v_add_f64 v[15:16], v[15:16], v[29:30]
	s_waitcnt vmcnt(41) lgkmcnt(1)
	v_mul_f64 v[39:40], v[3:4], v[41:42]
	s_waitcnt vmcnt(40)
	v_fma_f64 v[33:34], v[5:6], v[59:60], -v[33:34]
	v_mul_f64 v[29:30], v[1:2], v[41:42]
	v_fma_f64 v[17:18], v[7:8], v[59:60], v[17:18]
	ds_read_b128 v[5:8], v62 offset:1248
	v_add_f64 v[13:14], v[13:14], v[35:36]
	v_add_f64 v[15:16], v[15:16], v[37:38]
	s_waitcnt vmcnt(39) lgkmcnt(1)
	v_mul_f64 v[37:38], v[11:12], v[79:80]
	v_mul_f64 v[35:36], v[9:10], v[79:80]
	s_waitcnt vmcnt(37)
	v_fma_f64 v[39:40], v[1:2], v[47:48], -v[39:40]
	v_fma_f64 v[29:30], v[3:4], v[47:48], v[29:30]
	ds_read_b128 v[1:4], v62 offset:1264
	v_add_f64 v[13:14], v[13:14], v[33:34]
	v_add_f64 v[15:16], v[15:16], v[17:18]
	s_waitcnt vmcnt(33) lgkmcnt(1)
	v_mul_f64 v[33:34], v[7:8], v[49:50]
	s_waitcnt vmcnt(32)
	v_fma_f64 v[37:38], v[9:10], v[83:84], -v[37:38]
	v_mul_f64 v[17:18], v[5:6], v[49:50]
	v_fma_f64 v[35:36], v[11:12], v[83:84], v[35:36]
	ds_read_b128 v[9:12], v62 offset:1280
	v_add_f64 v[13:14], v[13:14], v[39:40]
	v_add_f64 v[15:16], v[15:16], v[29:30]
	;; [unrolled: 18-line block ×3, first 2 shown]
	s_waitcnt vmcnt(23) lgkmcnt(1)
	v_mul_f64 v[33:34], v[7:8], v[81:82]
	v_mul_f64 v[17:18], v[5:6], v[81:82]
	s_waitcnt vmcnt(21)
	v_fma_f64 v[37:38], v[9:10], v[19:20], -v[37:38]
	v_fma_f64 v[19:20], v[11:12], v[19:20], v[35:36]
	ds_read_b128 v[9:12], v62 offset:1328
	v_add_f64 v[13:14], v[13:14], v[39:40]
	v_add_f64 v[15:16], v[15:16], v[29:30]
	s_waitcnt vmcnt(17) lgkmcnt(1)
	v_mul_f64 v[29:30], v[1:2], v[25:26]
	v_mul_f64 v[25:26], v[3:4], v[25:26]
	s_waitcnt vmcnt(16)
	v_fma_f64 v[33:34], v[5:6], v[85:86], -v[33:34]
	v_fma_f64 v[17:18], v[7:8], v[85:86], v[17:18]
	ds_read_b128 v[5:8], v62 offset:1344
	v_add_f64 v[13:14], v[13:14], v[37:38]
	v_add_f64 v[15:16], v[15:16], v[19:20]
	;; [unrolled: 9-line block ×3, first 2 shown]
	s_waitcnt vmcnt(9) lgkmcnt(1)
	v_mul_f64 v[29:30], v[7:8], v[63:64]
	s_waitcnt vmcnt(8)
	v_fma_f64 v[9:10], v[9:10], v[90:91], -v[35:36]
	v_mul_f64 v[17:18], v[5:6], v[63:64]
	v_fma_f64 v[11:12], v[11:12], v[90:91], v[19:20]
	v_add_f64 v[13:14], v[13:14], v[25:26]
	v_add_f64 v[15:16], v[15:16], v[21:22]
	s_waitcnt vmcnt(7) lgkmcnt(0)
	v_mul_f64 v[21:22], v[3:4], v[65:66]
	v_mul_f64 v[19:20], v[1:2], v[65:66]
	s_waitcnt vmcnt(5)
	v_fma_f64 v[5:6], v[5:6], v[27:28], -v[29:30]
	v_fma_f64 v[7:8], v[7:8], v[27:28], v[17:18]
	v_add_f64 v[9:10], v[13:14], v[9:10]
	v_add_f64 v[11:12], v[15:16], v[11:12]
	s_waitcnt vmcnt(4)
	v_fma_f64 v[1:2], v[1:2], v[77:78], -v[21:22]
	v_fma_f64 v[3:4], v[3:4], v[77:78], v[19:20]
	v_add_f64 v[5:6], v[9:10], v[5:6]
	v_add_f64 v[7:8], v[11:12], v[7:8]
	;; [unrolled: 1-line block ×4, first 2 shown]
	s_waitcnt vmcnt(2)
	v_add_f64 v[1:2], v[23:24], -v[1:2]
	s_waitcnt vmcnt(0)
	v_add_f64 v[3:4], v[31:32], -v[3:4]
	buffer_store_dword v2, off, s[0:3], 0 offset:36
	buffer_store_dword v1, off, s[0:3], 0 offset:32
	;; [unrolled: 1-line block ×4, first 2 shown]
	v_cmpx_ne_u32_e32 0, v0
	s_cbranch_execz .LBB42_271
; %bb.270:
	s_clause 0x3
	buffer_load_dword v0, off, s[0:3], 0 offset:16
	buffer_load_dword v1, off, s[0:3], 0 offset:20
	;; [unrolled: 1-line block ×4, first 2 shown]
	buffer_store_dword v62, off, s[0:3], 0 offset:16
	buffer_store_dword v62, off, s[0:3], 0 offset:20
	;; [unrolled: 1-line block ×4, first 2 shown]
	s_waitcnt vmcnt(0)
	ds_write_b128 v61, v[0:3]
.LBB42_271:
	s_or_b32 exec_lo, exec_lo, s4
	s_waitcnt lgkmcnt(0)
	s_waitcnt_vscnt null, 0x0
	s_barrier
	buffer_gl0_inv
	s_clause 0x37
	buffer_load_dword v8, off, s[0:3], 0 offset:40
	buffer_load_dword v9, off, s[0:3], 0 offset:44
	;; [unrolled: 1-line block ×56, first 2 shown]
	ds_read_b128 v[63:66], v62 offset:704
	s_clause 0x2
	buffer_load_dword v57, off, s[0:3], 0 offset:268
	buffer_load_dword v59, off, s[0:3], 0 offset:244
	;; [unrolled: 1-line block ×3, first 2 shown]
	ds_read_b128 v[67:70], v62 offset:720
	s_clause 0x4
	buffer_load_dword v76, off, s[0:3], 0 offset:284
	buffer_load_dword v77, off, s[0:3], 0 offset:296
	;; [unrolled: 1-line block ×5, first 2 shown]
	ds_read_b128 v[71:74], v62 offset:736
	s_clause 0x2
	buffer_load_dword v78, off, s[0:3], 0 offset:300
	buffer_load_dword v83, off, s[0:3], 0 offset:276
	buffer_load_dword v82, off, s[0:3], 0 offset:272
	s_and_b32 vcc_lo, exec_lo, s55
	s_waitcnt vmcnt(62) lgkmcnt(2)
	v_mul_f64 v[60:61], v[65:66], v[8:9]
	v_mul_f64 v[8:9], v[63:64], v[8:9]
	s_waitcnt lgkmcnt(1)
	v_mul_f64 v[80:81], v[69:70], v[4:5]
	s_waitcnt vmcnt(59) lgkmcnt(0)
	v_mul_f64 v[84:85], v[73:74], v[2:3]
	v_fma_f64 v[60:61], v[63:64], v[6:7], -v[60:61]
	v_mul_f64 v[63:64], v[67:68], v[4:5]
	v_fma_f64 v[8:9], v[65:66], v[6:7], v[8:9]
	s_waitcnt vmcnt(57)
	v_fma_f64 v[67:68], v[67:68], v[0:1], -v[80:81]
	ds_read_b128 v[4:7], v62 offset:752
	v_mul_f64 v[65:66], v[71:72], v[2:3]
	s_waitcnt vmcnt(51)
	v_fma_f64 v[71:72], v[71:72], v[24:25], -v[84:85]
	v_add_f64 v[60:61], v[60:61], 0
	v_fma_f64 v[63:64], v[69:70], v[0:1], v[63:64]
	v_add_f64 v[8:9], v[8:9], 0
	s_clause 0x4
	buffer_load_dword v70, off, s[0:3], 0 offset:316
	buffer_load_dword v86, off, s[0:3], 0 offset:328
	;; [unrolled: 1-line block ×5, first 2 shown]
	s_waitcnt lgkmcnt(0)
	v_mul_f64 v[89:90], v[4:5], v[12:13]
	v_mul_f64 v[12:13], v[6:7], v[12:13]
	ds_read_b128 v[0:3], v62 offset:768
	v_fma_f64 v[24:25], v[73:74], v[24:25], v[65:66]
	v_add_f64 v[60:61], v[60:61], v[67:68]
	s_clause 0x2
	buffer_load_dword v87, off, s[0:3], 0 offset:332
	buffer_load_dword v68, off, s[0:3], 0 offset:308
	;; [unrolled: 1-line block ×3, first 2 shown]
	v_add_f64 v[8:9], v[8:9], v[63:64]
	ds_read_b128 v[63:66], v62 offset:784
	s_waitcnt vmcnt(58) lgkmcnt(1)
	v_mul_f64 v[73:74], v[0:1], v[16:17]
	v_mul_f64 v[16:17], v[2:3], v[16:17]
	s_waitcnt vmcnt(56)
	v_fma_f64 v[12:13], v[4:5], v[18:19], -v[12:13]
	v_fma_f64 v[18:19], v[6:7], v[18:19], v[89:90]
	v_add_f64 v[60:61], v[60:61], v[71:72]
	s_waitcnt vmcnt(52) lgkmcnt(0)
	v_mul_f64 v[90:91], v[63:64], v[20:21]
	v_add_f64 v[8:9], v[8:9], v[24:25]
	s_clause 0x4
	buffer_load_dword v25, off, s[0:3], 0 offset:348
	buffer_load_dword v71, off, s[0:3], 0 offset:360
	;; [unrolled: 1-line block ×5, first 2 shown]
	v_mul_f64 v[20:21], v[65:66], v[20:21]
	s_waitcnt vmcnt(56)
	v_fma_f64 v[16:17], v[0:1], v[10:11], -v[16:17]
	ds_read_b128 v[4:7], v62 offset:800
	v_fma_f64 v[10:11], v[2:3], v[10:11], v[73:74]
	v_add_f64 v[12:13], v[60:61], v[12:13]
	v_add_f64 v[8:9], v[8:9], v[18:19]
	s_clause 0x2
	buffer_load_dword v72, off, s[0:3], 0 offset:364
	buffer_load_dword v19, off, s[0:3], 0 offset:340
	;; [unrolled: 1-line block ×3, first 2 shown]
	s_waitcnt vmcnt(58) lgkmcnt(0)
	v_mul_f64 v[60:61], v[4:5], v[26:27]
	v_mul_f64 v[26:27], v[6:7], v[26:27]
	s_waitcnt vmcnt(56)
	v_fma_f64 v[20:21], v[63:64], v[28:29], -v[20:21]
	ds_read_b128 v[0:3], v62 offset:816
	v_add_f64 v[12:13], v[12:13], v[16:17]
	v_fma_f64 v[16:17], v[65:66], v[28:29], v[90:91]
	v_add_f64 v[28:29], v[8:9], v[10:11]
	s_clause 0x4
	buffer_load_dword v64, off, s[0:3], 0 offset:380
	buffer_load_dword v65, off, s[0:3], 0 offset:392
	;; [unrolled: 1-line block ×5, first 2 shown]
	ds_read_b128 v[8:11], v62 offset:832
	s_waitcnt vmcnt(57) lgkmcnt(1)
	v_mul_f64 v[90:91], v[0:1], v[30:31]
	v_mul_f64 v[30:31], v[2:3], v[30:31]
	s_waitcnt vmcnt(56)
	v_fma_f64 v[26:27], v[4:5], v[14:15], -v[26:27]
	v_fma_f64 v[14:15], v[6:7], v[14:15], v[60:61]
	v_add_f64 v[12:13], v[12:13], v[20:21]
	s_clause 0x2
	buffer_load_dword v66, off, s[0:3], 0 offset:396
	buffer_load_dword v21, off, s[0:3], 0 offset:372
	buffer_load_dword v20, off, s[0:3], 0 offset:368
	v_add_f64 v[16:17], v[28:29], v[16:17]
	s_waitcnt vmcnt(58) lgkmcnt(0)
	v_mul_f64 v[28:29], v[8:9], v[34:35]
	v_mul_f64 v[34:35], v[10:11], v[34:35]
	ds_read_b128 v[4:7], v62 offset:848
	s_waitcnt vmcnt(56)
	v_fma_f64 v[30:31], v[0:1], v[36:37], -v[30:31]
	v_add_f64 v[12:13], v[12:13], v[26:27]
	v_fma_f64 v[26:27], v[2:3], v[36:37], v[90:91]
	v_add_f64 v[14:15], v[16:17], v[14:15]
	s_clause 0x4
	buffer_load_dword v17, off, s[0:3], 0 offset:412
	buffer_load_dword v36, off, s[0:3], 0 offset:424
	;; [unrolled: 1-line block ×5, first 2 shown]
	s_waitcnt vmcnt(57) lgkmcnt(0)
	v_mul_f64 v[90:91], v[4:5], v[38:39]
	v_mul_f64 v[38:39], v[6:7], v[38:39]
	s_waitcnt vmcnt(56)
	v_fma_f64 v[34:35], v[8:9], v[22:23], -v[34:35]
	ds_read_b128 v[0:3], v62 offset:864
	v_fma_f64 v[22:23], v[10:11], v[22:23], v[28:29]
	v_add_f64 v[12:13], v[12:13], v[30:31]
	v_add_f64 v[14:15], v[14:15], v[26:27]
	s_clause 0x2
	buffer_load_dword v37, off, s[0:3], 0 offset:428
	buffer_load_dword v27, off, s[0:3], 0 offset:404
	;; [unrolled: 1-line block ×3, first 2 shown]
	ds_read_b128 v[8:11], v62 offset:880
	s_waitcnt vmcnt(58) lgkmcnt(1)
	v_mul_f64 v[30:31], v[2:3], v[42:43]
	s_waitcnt vmcnt(56)
	v_fma_f64 v[38:39], v[4:5], v[44:45], -v[38:39]
	v_mul_f64 v[28:29], v[0:1], v[42:43]
	v_add_f64 v[12:13], v[12:13], v[34:35]
	v_fma_f64 v[34:35], v[6:7], v[44:45], v[90:91]
	v_add_f64 v[14:15], v[14:15], v[22:23]
	s_clause 0x4
	buffer_load_dword v23, off, s[0:3], 0 offset:444
	buffer_load_dword v42, off, s[0:3], 0 offset:456
	;; [unrolled: 1-line block ×5, first 2 shown]
	s_waitcnt vmcnt(57) lgkmcnt(0)
	v_mul_f64 v[90:91], v[8:9], v[46:47]
	v_mul_f64 v[45:46], v[10:11], v[46:47]
	s_waitcnt vmcnt(56)
	v_fma_f64 v[30:31], v[0:1], v[32:33], -v[30:31]
	ds_read_b128 v[4:7], v62 offset:896
	v_fma_f64 v[28:29], v[2:3], v[32:33], v[28:29]
	s_clause 0x2
	buffer_load_dword v43, off, s[0:3], 0 offset:460
	buffer_load_dword v33, off, s[0:3], 0 offset:436
	;; [unrolled: 1-line block ×3, first 2 shown]
	ds_read_b128 v[0:3], v62 offset:912
	v_add_f64 v[12:13], v[12:13], v[38:39]
	v_add_f64 v[14:15], v[14:15], v[34:35]
	s_waitcnt vmcnt(58) lgkmcnt(1)
	v_mul_f64 v[38:39], v[6:7], v[50:51]
	s_waitcnt vmcnt(56)
	v_fma_f64 v[46:47], v[8:9], v[52:53], -v[45:46]
	v_mul_f64 v[34:35], v[4:5], v[50:51]
	v_add_f64 v[12:13], v[12:13], v[30:31]
	v_fma_f64 v[30:31], v[10:11], v[52:53], v[90:91]
	v_add_f64 v[14:15], v[14:15], v[28:29]
	s_clause 0x4
	buffer_load_dword v29, off, s[0:3], 0 offset:476
	buffer_load_dword v50, off, s[0:3], 0 offset:488
	;; [unrolled: 1-line block ×5, first 2 shown]
	s_waitcnt vmcnt(57) lgkmcnt(0)
	v_mul_f64 v[90:91], v[0:1], v[54:55]
	v_mul_f64 v[53:54], v[2:3], v[54:55]
	s_waitcnt vmcnt(56)
	v_fma_f64 v[38:39], v[4:5], v[40:41], -v[38:39]
	ds_read_b128 v[8:11], v62 offset:928
	v_fma_f64 v[34:35], v[6:7], v[40:41], v[34:35]
	v_add_f64 v[12:13], v[12:13], v[46:47]
	v_add_f64 v[14:15], v[14:15], v[30:31]
	s_clause 0x2
	buffer_load_dword v51, off, s[0:3], 0 offset:492
	buffer_load_dword v31, off, s[0:3], 0 offset:468
	;; [unrolled: 1-line block ×3, first 2 shown]
	ds_read_b128 v[4:7], v62 offset:944
	s_waitcnt vmcnt(58) lgkmcnt(1)
	v_mul_f64 v[46:47], v[10:11], v[56:57]
	s_waitcnt vmcnt(56)
	v_fma_f64 v[54:55], v[0:1], v[58:59], -v[53:54]
	v_mul_f64 v[40:41], v[8:9], v[56:57]
	v_add_f64 v[12:13], v[12:13], v[38:39]
	v_fma_f64 v[38:39], v[2:3], v[58:59], v[90:91]
	v_add_f64 v[14:15], v[14:15], v[34:35]
	s_clause 0x4
	buffer_load_dword v35, off, s[0:3], 0 offset:508
	buffer_load_dword v56, off, s[0:3], 0 offset:520
	;; [unrolled: 1-line block ×5, first 2 shown]
	s_waitcnt vmcnt(57) lgkmcnt(0)
	v_mul_f64 v[90:91], v[4:5], v[75:76]
	v_mul_f64 v[75:76], v[6:7], v[75:76]
	s_waitcnt vmcnt(56)
	v_fma_f64 v[46:47], v[8:9], v[48:49], -v[46:47]
	ds_read_b128 v[0:3], v62 offset:960
	v_fma_f64 v[40:41], v[10:11], v[48:49], v[40:41]
	v_add_f64 v[12:13], v[12:13], v[54:55]
	v_add_f64 v[14:15], v[14:15], v[38:39]
	s_clause 0x2
	buffer_load_dword v57, off, s[0:3], 0 offset:524
	buffer_load_dword v39, off, s[0:3], 0 offset:500
	;; [unrolled: 1-line block ×3, first 2 shown]
	ds_read_b128 v[8:11], v62 offset:976
	s_waitcnt vmcnt(58) lgkmcnt(1)
	v_mul_f64 v[54:55], v[2:3], v[77:78]
	s_waitcnt vmcnt(56)
	v_fma_f64 v[75:76], v[4:5], v[82:83], -v[75:76]
	v_mul_f64 v[48:49], v[0:1], v[77:78]
	v_add_f64 v[12:13], v[12:13], v[46:47]
	v_fma_f64 v[46:47], v[6:7], v[82:83], v[90:91]
	v_add_f64 v[14:15], v[14:15], v[40:41]
	s_clause 0x4
	buffer_load_dword v41, off, s[0:3], 0 offset:540
	buffer_load_dword v77, off, s[0:3], 0 offset:552
	;; [unrolled: 1-line block ×5, first 2 shown]
	ds_read_b128 v[4:7], v62 offset:992
	s_waitcnt vmcnt(57) lgkmcnt(1)
	v_mul_f64 v[82:83], v[8:9], v[69:70]
	v_mul_f64 v[69:70], v[10:11], v[69:70]
	s_waitcnt vmcnt(56)
	v_fma_f64 v[54:55], v[0:1], v[79:80], -v[54:55]
	v_fma_f64 v[48:49], v[2:3], v[79:80], v[48:49]
	v_add_f64 v[12:13], v[12:13], v[75:76]
	v_add_f64 v[14:15], v[14:15], v[46:47]
	s_clause 0x2
	buffer_load_dword v78, off, s[0:3], 0 offset:556
	buffer_load_dword v47, off, s[0:3], 0 offset:532
	;; [unrolled: 1-line block ×3, first 2 shown]
	ds_read_b128 v[0:3], v62 offset:1008
	s_waitcnt vmcnt(58) lgkmcnt(1)
	v_mul_f64 v[79:80], v[6:7], v[86:87]
	v_mul_f64 v[75:76], v[4:5], v[86:87]
	s_waitcnt vmcnt(56)
	v_fma_f64 v[69:70], v[8:9], v[67:68], -v[69:70]
	v_add_f64 v[12:13], v[12:13], v[54:55]
	v_fma_f64 v[54:55], v[10:11], v[67:68], v[82:83]
	v_add_f64 v[14:15], v[14:15], v[48:49]
	s_clause 0x4
	buffer_load_dword v49, off, s[0:3], 0 offset:572
	buffer_load_dword v67, off, s[0:3], 0 offset:584
	buffer_load_dword v86, off, s[0:3], 0 offset:576
	buffer_load_dword v48, off, s[0:3], 0 offset:568
	buffer_load_dword v82, off, s[0:3], 0 offset:548
	ds_read_b128 v[8:11], v62 offset:1024
	s_waitcnt vmcnt(57) lgkmcnt(1)
	v_mul_f64 v[90:91], v[0:1], v[24:25]
	v_mul_f64 v[24:25], v[2:3], v[24:25]
	s_waitcnt vmcnt(56)
	v_fma_f64 v[79:80], v[4:5], v[88:89], -v[79:80]
	v_add_f64 v[12:13], v[12:13], v[69:70]
	v_fma_f64 v[69:70], v[6:7], v[88:89], v[75:76]
	v_add_f64 v[14:15], v[14:15], v[54:55]
	s_clause 0x2
	buffer_load_dword v68, off, s[0:3], 0 offset:588
	buffer_load_dword v55, off, s[0:3], 0 offset:564
	buffer_load_dword v54, off, s[0:3], 0 offset:560
	ds_read_b128 v[4:7], v62 offset:1040
	s_waitcnt vmcnt(58) lgkmcnt(1)
	v_mul_f64 v[75:76], v[8:9], v[71:72]
	v_mul_f64 v[71:72], v[10:11], v[71:72]
	s_waitcnt vmcnt(56)
	v_fma_f64 v[24:25], v[0:1], v[18:19], -v[24:25]
	v_fma_f64 v[18:19], v[2:3], v[18:19], v[90:91]
	v_add_f64 v[12:13], v[12:13], v[79:80]
	v_add_f64 v[14:15], v[14:15], v[69:70]
	s_clause 0x4
	buffer_load_dword v70, off, s[0:3], 0 offset:604
	buffer_load_dword v79, off, s[0:3], 0 offset:616
	buffer_load_dword v83, off, s[0:3], 0 offset:608
	buffer_load_dword v69, off, s[0:3], 0 offset:600
	buffer_load_dword v87, off, s[0:3], 0 offset:580
	ds_read_b128 v[0:3], v62 offset:1056
	s_waitcnt vmcnt(57) lgkmcnt(1)
	v_mul_f64 v[88:89], v[4:5], v[63:64]
	v_mul_f64 v[63:64], v[6:7], v[63:64]
	s_waitcnt vmcnt(56)
	v_fma_f64 v[71:72], v[8:9], v[84:85], -v[71:72]
	v_add_f64 v[12:13], v[12:13], v[24:25]
	v_fma_f64 v[24:25], v[10:11], v[84:85], v[75:76]
	v_add_f64 v[14:15], v[14:15], v[18:19]
	s_clause 0x2
	buffer_load_dword v80, off, s[0:3], 0 offset:620
	buffer_load_dword v19, off, s[0:3], 0 offset:596
	buffer_load_dword v18, off, s[0:3], 0 offset:592
	ds_read_b128 v[8:11], v62 offset:1072
	s_waitcnt vmcnt(58) lgkmcnt(1)
	v_mul_f64 v[75:76], v[0:1], v[65:66]
	v_mul_f64 v[65:66], v[2:3], v[65:66]
	s_waitcnt vmcnt(56)
	v_fma_f64 v[63:64], v[4:5], v[20:21], -v[63:64]
	v_fma_f64 v[20:21], v[6:7], v[20:21], v[88:89]
	v_add_f64 v[12:13], v[12:13], v[71:72]
	;; [unrolled: 28-line block ×3, first 2 shown]
	v_add_f64 v[14:15], v[14:15], v[63:64]
	s_clause 0x4
	buffer_load_dword v64, off, s[0:3], 0 offset:668
	buffer_load_dword v65, off, s[0:3], 0 offset:680
	buffer_load_dword v75, off, s[0:3], 0 offset:672
	buffer_load_dword v63, off, s[0:3], 0 offset:664
	buffer_load_dword v89, off, s[0:3], 0 offset:644
	ds_read_b128 v[8:11], v62 offset:1120
	s_waitcnt vmcnt(57) lgkmcnt(1)
	v_mul_f64 v[90:91], v[0:1], v[22:23]
	v_mul_f64 v[22:23], v[2:3], v[22:23]
	s_waitcnt vmcnt(56)
	v_fma_f64 v[36:37], v[4:5], v[60:61], -v[36:37]
	v_add_f64 v[12:13], v[12:13], v[16:17]
	v_fma_f64 v[16:17], v[6:7], v[60:61], v[73:74]
	v_add_f64 v[14:15], v[14:15], v[26:27]
	s_clause 0x2
	buffer_load_dword v66, off, s[0:3], 0 offset:684
	buffer_load_dword v27, off, s[0:3], 0 offset:660
	;; [unrolled: 1-line block ×3, first 2 shown]
	s_waitcnt vmcnt(58) lgkmcnt(0)
	v_mul_f64 v[60:61], v[8:9], v[42:43]
	v_mul_f64 v[42:43], v[10:11], v[42:43]
	ds_read_b128 v[4:7], v62 offset:1136
	s_waitcnt vmcnt(56)
	v_fma_f64 v[22:23], v[0:1], v[32:33], -v[22:23]
	v_fma_f64 v[32:33], v[2:3], v[32:33], v[90:91]
	v_add_f64 v[12:13], v[12:13], v[36:37]
	v_add_f64 v[14:15], v[14:15], v[16:17]
	s_clause 0x2
	buffer_load_dword v17, off, s[0:3], 0 offset:700
	buffer_load_dword v16, off, s[0:3], 0 offset:696
	;; [unrolled: 1-line block ×3, first 2 shown]
	ds_read_b128 v[0:3], v62 offset:1152
	s_waitcnt vmcnt(55) lgkmcnt(1)
	v_mul_f64 v[36:37], v[4:5], v[28:29]
	v_mul_f64 v[28:29], v[6:7], v[28:29]
	s_waitcnt vmcnt(54)
	v_fma_f64 v[42:43], v[8:9], v[44:45], -v[42:43]
	v_add_f64 v[12:13], v[12:13], v[22:23]
	v_fma_f64 v[22:23], v[10:11], v[44:45], v[60:61]
	v_add_f64 v[14:15], v[14:15], v[32:33]
	s_clause 0x1
	buffer_load_dword v33, off, s[0:3], 0 offset:692
	buffer_load_dword v32, off, s[0:3], 0 offset:688
	ds_read_b128 v[8:11], v62 offset:1168
	s_waitcnt vmcnt(55) lgkmcnt(1)
	v_mul_f64 v[44:45], v[0:1], v[50:51]
	v_mul_f64 v[50:51], v[2:3], v[50:51]
	s_waitcnt vmcnt(53)
	v_fma_f64 v[28:29], v[4:5], v[30:31], -v[28:29]
	v_fma_f64 v[30:31], v[6:7], v[30:31], v[36:37]
	ds_read_b128 v[4:7], v62 offset:1184
	v_add_f64 v[12:13], v[12:13], v[42:43]
	v_add_f64 v[14:15], v[14:15], v[22:23]
	s_waitcnt vmcnt(49) lgkmcnt(1)
	v_mul_f64 v[22:23], v[8:9], v[34:35]
	v_mul_f64 v[34:35], v[10:11], v[34:35]
	s_waitcnt vmcnt(48)
	v_fma_f64 v[36:37], v[0:1], v[52:53], -v[50:51]
	v_add_f64 v[12:13], v[12:13], v[28:29]
	v_fma_f64 v[28:29], v[2:3], v[52:53], v[44:45]
	v_add_f64 v[14:15], v[14:15], v[30:31]
	s_clause 0x3
	buffer_load_dword v30, off, s[0:3], 0 offset:16
	buffer_load_dword v31, off, s[0:3], 0 offset:20
	;; [unrolled: 1-line block ×4, first 2 shown]
	ds_read_b128 v[0:3], v62 offset:1200
	s_waitcnt vmcnt(51) lgkmcnt(1)
	v_mul_f64 v[50:51], v[6:7], v[56:57]
	v_mul_f64 v[44:45], v[4:5], v[56:57]
	s_waitcnt vmcnt(49)
	v_fma_f64 v[34:35], v[8:9], v[38:39], -v[34:35]
	v_fma_f64 v[22:23], v[10:11], v[38:39], v[22:23]
	ds_read_b128 v[8:11], v62 offset:1216
	v_add_f64 v[12:13], v[12:13], v[36:37]
	v_add_f64 v[14:15], v[14:15], v[28:29]
	s_waitcnt vmcnt(45) lgkmcnt(1)
	v_mul_f64 v[36:37], v[2:3], v[40:41]
	s_waitcnt vmcnt(44)
	v_fma_f64 v[38:39], v[4:5], v[58:59], -v[50:51]
	v_mul_f64 v[28:29], v[0:1], v[40:41]
	v_add_f64 v[12:13], v[12:13], v[34:35]
	v_fma_f64 v[34:35], v[6:7], v[58:59], v[44:45]
	v_add_f64 v[14:15], v[14:15], v[22:23]
	ds_read_b128 v[4:7], v62 offset:1232
	s_waitcnt vmcnt(43) lgkmcnt(1)
	v_mul_f64 v[40:41], v[10:11], v[77:78]
	v_mul_f64 v[22:23], v[8:9], v[77:78]
	s_waitcnt vmcnt(41)
	v_fma_f64 v[36:37], v[0:1], v[46:47], -v[36:37]
	v_fma_f64 v[28:29], v[2:3], v[46:47], v[28:29]
	ds_read_b128 v[0:3], v62 offset:1248
	v_add_f64 v[12:13], v[12:13], v[38:39]
	v_add_f64 v[14:15], v[14:15], v[34:35]
	s_waitcnt vmcnt(37) lgkmcnt(1)
	v_mul_f64 v[38:39], v[6:7], v[48:49]
	s_waitcnt vmcnt(36)
	v_fma_f64 v[40:41], v[8:9], v[81:82], -v[40:41]
	v_mul_f64 v[34:35], v[4:5], v[48:49]
	v_fma_f64 v[22:23], v[10:11], v[81:82], v[22:23]
	ds_read_b128 v[8:11], v62 offset:1264
	v_add_f64 v[12:13], v[12:13], v[36:37]
	v_add_f64 v[14:15], v[14:15], v[28:29]
	s_waitcnt vmcnt(35) lgkmcnt(1)
	v_mul_f64 v[36:37], v[2:3], v[67:68]
	v_mul_f64 v[28:29], v[0:1], v[67:68]
	s_waitcnt vmcnt(33)
	v_fma_f64 v[38:39], v[4:5], v[54:55], -v[38:39]
	v_fma_f64 v[34:35], v[6:7], v[54:55], v[34:35]
	ds_read_b128 v[4:7], v62 offset:1280
	v_add_f64 v[12:13], v[12:13], v[40:41]
	v_add_f64 v[14:15], v[14:15], v[22:23]
	s_waitcnt vmcnt(29) lgkmcnt(1)
	v_mul_f64 v[40:41], v[10:11], v[69:70]
	s_waitcnt vmcnt(28)
	v_fma_f64 v[36:37], v[0:1], v[86:87], -v[36:37]
	v_mul_f64 v[22:23], v[8:9], v[69:70]
	v_fma_f64 v[28:29], v[2:3], v[86:87], v[28:29]
	ds_read_b128 v[0:3], v62 offset:1296
	v_add_f64 v[12:13], v[12:13], v[38:39]
	v_add_f64 v[14:15], v[14:15], v[34:35]
	s_waitcnt vmcnt(27) lgkmcnt(1)
	v_mul_f64 v[38:39], v[6:7], v[79:80]
	v_mul_f64 v[34:35], v[4:5], v[79:80]
	s_waitcnt vmcnt(25)
	v_fma_f64 v[40:41], v[8:9], v[18:19], -v[40:41]
	v_fma_f64 v[18:19], v[10:11], v[18:19], v[22:23]
	ds_read_b128 v[8:11], v62 offset:1312
	v_add_f64 v[12:13], v[12:13], v[36:37]
	v_add_f64 v[14:15], v[14:15], v[28:29]
	s_waitcnt vmcnt(21) lgkmcnt(1)
	v_mul_f64 v[22:23], v[0:1], v[24:25]
	v_mul_f64 v[24:25], v[2:3], v[24:25]
	s_waitcnt vmcnt(20)
	v_fma_f64 v[28:29], v[4:5], v[83:84], -v[38:39]
	;; [unrolled: 9-line block ×3, first 2 shown]
	v_fma_f64 v[20:21], v[2:3], v[20:21], v[22:23]
	ds_read_b128 v[0:3], v62 offset:1344
	v_add_f64 v[12:13], v[12:13], v[28:29]
	v_add_f64 v[14:15], v[14:15], v[34:35]
	s_waitcnt vmcnt(13) lgkmcnt(1)
	v_mul_f64 v[28:29], v[6:7], v[63:64]
	s_waitcnt vmcnt(12)
	v_fma_f64 v[34:35], v[8:9], v[88:89], -v[36:37]
	v_mul_f64 v[22:23], v[4:5], v[63:64]
	v_fma_f64 v[18:19], v[10:11], v[88:89], v[18:19]
	ds_read_b128 v[8:11], v62 offset:1360
	v_add_f64 v[12:13], v[12:13], v[24:25]
	v_add_f64 v[14:15], v[14:15], v[20:21]
	s_waitcnt vmcnt(11) lgkmcnt(1)
	v_mul_f64 v[24:25], v[2:3], v[65:66]
	v_mul_f64 v[20:21], v[0:1], v[65:66]
	s_waitcnt vmcnt(9)
	v_fma_f64 v[4:5], v[4:5], v[26:27], -v[28:29]
	v_fma_f64 v[6:7], v[6:7], v[26:27], v[22:23]
	v_add_f64 v[12:13], v[12:13], v[34:35]
	v_add_f64 v[14:15], v[14:15], v[18:19]
	s_waitcnt vmcnt(7) lgkmcnt(0)
	v_mul_f64 v[18:19], v[8:9], v[16:17]
	v_mul_f64 v[16:17], v[10:11], v[16:17]
	s_waitcnt vmcnt(6)
	v_fma_f64 v[0:1], v[0:1], v[75:76], -v[24:25]
	v_fma_f64 v[2:3], v[2:3], v[75:76], v[20:21]
	v_add_f64 v[4:5], v[12:13], v[4:5]
	v_add_f64 v[6:7], v[14:15], v[6:7]
	s_waitcnt vmcnt(4)
	v_fma_f64 v[8:9], v[8:9], v[32:33], -v[16:17]
	v_add_f64 v[0:1], v[4:5], v[0:1]
	v_fma_f64 v[4:5], v[10:11], v[32:33], v[18:19]
	v_add_f64 v[2:3], v[6:7], v[2:3]
	v_add_f64 v[0:1], v[0:1], v[8:9]
	;; [unrolled: 1-line block ×3, first 2 shown]
	s_waitcnt vmcnt(2)
	v_add_f64 v[0:1], v[30:31], -v[0:1]
	s_waitcnt vmcnt(0)
	v_add_f64 v[2:3], v[42:43], -v[2:3]
	buffer_store_dword v1, off, s[0:3], 0 offset:20
	buffer_store_dword v0, off, s[0:3], 0 offset:16
	;; [unrolled: 1-line block ×4, first 2 shown]
	s_cbranch_vccz .LBB42_356
; %bb.272:
	v_mov_b32_e32 v0, 0
	global_load_dword v1, v0, s[20:21] offset:164
	s_waitcnt vmcnt(0)
	v_add_nc_u32_e32 v1, -1, v1
	v_cmp_ne_u32_e32 vcc_lo, 41, v1
	s_cbranch_vccz .LBB42_274
; %bb.273:
	v_lshlrev_b32_e32 v1, 4, v1
	v_mov_b32_e32 v2, s9
	v_add_nc_u32_e32 v1, 16, v1
	s_clause 0x7
	buffer_load_dword v3, v1, s[0:3], 0 offen
	buffer_load_dword v4, v1, s[0:3], 0 offen offset:4
	buffer_load_dword v5, v1, s[0:3], 0 offen offset:8
	;; [unrolled: 1-line block ×6, first 2 shown]
	buffer_load_dword v10, v2, s[0:3], 0 offen
	s_waitcnt vmcnt(7)
	buffer_store_dword v3, v2, s[0:3], 0 offen
	s_waitcnt vmcnt(6)
	buffer_store_dword v4, v2, s[0:3], 0 offen offset:4
	s_waitcnt vmcnt(5)
	buffer_store_dword v5, v2, s[0:3], 0 offen offset:8
	;; [unrolled: 2-line block ×6, first 2 shown]
	s_waitcnt vmcnt(0)
	buffer_store_dword v10, v1, s[0:3], 0 offen
.LBB42_274:
	global_load_dword v0, v0, s[20:21] offset:160
	s_waitcnt vmcnt(0)
	v_add_nc_u32_e32 v0, -1, v0
	v_cmp_eq_u32_e32 vcc_lo, 40, v0
	s_cbranch_vccnz .LBB42_276
; %bb.275:
	v_lshlrev_b32_e32 v0, 4, v0
	v_mov_b32_e32 v1, s12
	v_add_nc_u32_e32 v0, 16, v0
	s_clause 0x7
	buffer_load_dword v2, v0, s[0:3], 0 offen
	buffer_load_dword v3, v0, s[0:3], 0 offen offset:4
	buffer_load_dword v4, v0, s[0:3], 0 offen offset:8
	;; [unrolled: 1-line block ×6, first 2 shown]
	buffer_load_dword v9, v1, s[0:3], 0 offen
	s_waitcnt vmcnt(7)
	buffer_store_dword v2, v1, s[0:3], 0 offen
	s_waitcnt vmcnt(6)
	buffer_store_dword v3, v1, s[0:3], 0 offen offset:4
	s_waitcnt vmcnt(5)
	buffer_store_dword v4, v1, s[0:3], 0 offen offset:8
	;; [unrolled: 2-line block ×6, first 2 shown]
	s_waitcnt vmcnt(0)
	buffer_store_dword v9, v0, s[0:3], 0 offen
.LBB42_276:
	v_mov_b32_e32 v0, 0
	global_load_dword v1, v0, s[20:21] offset:156
	s_waitcnt vmcnt(0)
	v_add_nc_u32_e32 v1, -1, v1
	v_cmp_eq_u32_e32 vcc_lo, 39, v1
	s_cbranch_vccnz .LBB42_278
; %bb.277:
	v_lshlrev_b32_e32 v1, 4, v1
	v_mov_b32_e32 v2, s13
	v_add_nc_u32_e32 v1, 16, v1
	s_clause 0x7
	buffer_load_dword v3, v1, s[0:3], 0 offen
	buffer_load_dword v4, v1, s[0:3], 0 offen offset:4
	buffer_load_dword v5, v1, s[0:3], 0 offen offset:8
	;; [unrolled: 1-line block ×6, first 2 shown]
	buffer_load_dword v10, v2, s[0:3], 0 offen
	s_waitcnt vmcnt(7)
	buffer_store_dword v3, v2, s[0:3], 0 offen
	s_waitcnt vmcnt(6)
	buffer_store_dword v4, v2, s[0:3], 0 offen offset:4
	s_waitcnt vmcnt(5)
	buffer_store_dword v5, v2, s[0:3], 0 offen offset:8
	;; [unrolled: 2-line block ×6, first 2 shown]
	s_waitcnt vmcnt(0)
	buffer_store_dword v10, v1, s[0:3], 0 offen
.LBB42_278:
	global_load_dword v0, v0, s[20:21] offset:152
	s_waitcnt vmcnt(0)
	v_add_nc_u32_e32 v0, -1, v0
	v_cmp_eq_u32_e32 vcc_lo, 38, v0
	s_cbranch_vccnz .LBB42_280
; %bb.279:
	v_lshlrev_b32_e32 v0, 4, v0
	v_mov_b32_e32 v1, s14
	v_add_nc_u32_e32 v0, 16, v0
	s_clause 0x7
	buffer_load_dword v2, v0, s[0:3], 0 offen
	buffer_load_dword v3, v0, s[0:3], 0 offen offset:4
	buffer_load_dword v4, v0, s[0:3], 0 offen offset:8
	;; [unrolled: 1-line block ×6, first 2 shown]
	buffer_load_dword v9, v1, s[0:3], 0 offen
	s_waitcnt vmcnt(7)
	buffer_store_dword v2, v1, s[0:3], 0 offen
	s_waitcnt vmcnt(6)
	buffer_store_dword v3, v1, s[0:3], 0 offen offset:4
	s_waitcnt vmcnt(5)
	buffer_store_dword v4, v1, s[0:3], 0 offen offset:8
	;; [unrolled: 2-line block ×6, first 2 shown]
	s_waitcnt vmcnt(0)
	buffer_store_dword v9, v0, s[0:3], 0 offen
.LBB42_280:
	v_mov_b32_e32 v0, 0
	global_load_dword v1, v0, s[20:21] offset:148
	s_waitcnt vmcnt(0)
	v_add_nc_u32_e32 v1, -1, v1
	v_cmp_eq_u32_e32 vcc_lo, 37, v1
	s_cbranch_vccnz .LBB42_282
; %bb.281:
	v_lshlrev_b32_e32 v1, 4, v1
	v_mov_b32_e32 v2, s15
	v_add_nc_u32_e32 v1, 16, v1
	s_clause 0x7
	buffer_load_dword v3, v1, s[0:3], 0 offen
	buffer_load_dword v4, v1, s[0:3], 0 offen offset:4
	buffer_load_dword v5, v1, s[0:3], 0 offen offset:8
	;; [unrolled: 1-line block ×6, first 2 shown]
	buffer_load_dword v10, v2, s[0:3], 0 offen
	s_waitcnt vmcnt(7)
	buffer_store_dword v3, v2, s[0:3], 0 offen
	s_waitcnt vmcnt(6)
	buffer_store_dword v4, v2, s[0:3], 0 offen offset:4
	s_waitcnt vmcnt(5)
	buffer_store_dword v5, v2, s[0:3], 0 offen offset:8
	;; [unrolled: 2-line block ×6, first 2 shown]
	s_waitcnt vmcnt(0)
	buffer_store_dword v10, v1, s[0:3], 0 offen
.LBB42_282:
	global_load_dword v0, v0, s[20:21] offset:144
	s_waitcnt vmcnt(0)
	v_add_nc_u32_e32 v0, -1, v0
	v_cmp_eq_u32_e32 vcc_lo, 36, v0
	s_cbranch_vccnz .LBB42_284
; %bb.283:
	v_lshlrev_b32_e32 v0, 4, v0
	v_mov_b32_e32 v1, s16
	v_add_nc_u32_e32 v0, 16, v0
	s_clause 0x7
	buffer_load_dword v2, v0, s[0:3], 0 offen
	buffer_load_dword v3, v0, s[0:3], 0 offen offset:4
	buffer_load_dword v4, v0, s[0:3], 0 offen offset:8
	;; [unrolled: 1-line block ×6, first 2 shown]
	buffer_load_dword v9, v1, s[0:3], 0 offen
	s_waitcnt vmcnt(7)
	buffer_store_dword v2, v1, s[0:3], 0 offen
	s_waitcnt vmcnt(6)
	buffer_store_dword v3, v1, s[0:3], 0 offen offset:4
	s_waitcnt vmcnt(5)
	buffer_store_dword v4, v1, s[0:3], 0 offen offset:8
	;; [unrolled: 2-line block ×6, first 2 shown]
	s_waitcnt vmcnt(0)
	buffer_store_dword v9, v0, s[0:3], 0 offen
.LBB42_284:
	v_mov_b32_e32 v0, 0
	global_load_dword v1, v0, s[20:21] offset:140
	s_waitcnt vmcnt(0)
	v_add_nc_u32_e32 v1, -1, v1
	v_cmp_eq_u32_e32 vcc_lo, 35, v1
	s_cbranch_vccnz .LBB42_286
; %bb.285:
	v_lshlrev_b32_e32 v1, 4, v1
	v_mov_b32_e32 v2, s17
	v_add_nc_u32_e32 v1, 16, v1
	s_clause 0x7
	buffer_load_dword v3, v1, s[0:3], 0 offen
	buffer_load_dword v4, v1, s[0:3], 0 offen offset:4
	buffer_load_dword v5, v1, s[0:3], 0 offen offset:8
	buffer_load_dword v6, v1, s[0:3], 0 offen offset:12
	buffer_load_dword v7, v2, s[0:3], 0 offen offset:12
	buffer_load_dword v8, v2, s[0:3], 0 offen offset:8
	buffer_load_dword v9, v2, s[0:3], 0 offen offset:4
	buffer_load_dword v10, v2, s[0:3], 0 offen
	s_waitcnt vmcnt(7)
	buffer_store_dword v3, v2, s[0:3], 0 offen
	s_waitcnt vmcnt(6)
	buffer_store_dword v4, v2, s[0:3], 0 offen offset:4
	s_waitcnt vmcnt(5)
	buffer_store_dword v5, v2, s[0:3], 0 offen offset:8
	;; [unrolled: 2-line block ×6, first 2 shown]
	s_waitcnt vmcnt(0)
	buffer_store_dword v10, v1, s[0:3], 0 offen
.LBB42_286:
	global_load_dword v0, v0, s[20:21] offset:136
	s_waitcnt vmcnt(0)
	v_add_nc_u32_e32 v0, -1, v0
	v_cmp_eq_u32_e32 vcc_lo, 34, v0
	s_cbranch_vccnz .LBB42_288
; %bb.287:
	v_lshlrev_b32_e32 v0, 4, v0
	v_mov_b32_e32 v1, s18
	v_add_nc_u32_e32 v0, 16, v0
	s_clause 0x7
	buffer_load_dword v2, v0, s[0:3], 0 offen
	buffer_load_dword v3, v0, s[0:3], 0 offen offset:4
	buffer_load_dword v4, v0, s[0:3], 0 offen offset:8
	;; [unrolled: 1-line block ×6, first 2 shown]
	buffer_load_dword v9, v1, s[0:3], 0 offen
	s_waitcnt vmcnt(7)
	buffer_store_dword v2, v1, s[0:3], 0 offen
	s_waitcnt vmcnt(6)
	buffer_store_dword v3, v1, s[0:3], 0 offen offset:4
	s_waitcnt vmcnt(5)
	buffer_store_dword v4, v1, s[0:3], 0 offen offset:8
	;; [unrolled: 2-line block ×6, first 2 shown]
	s_waitcnt vmcnt(0)
	buffer_store_dword v9, v0, s[0:3], 0 offen
.LBB42_288:
	v_mov_b32_e32 v0, 0
	global_load_dword v1, v0, s[20:21] offset:132
	s_waitcnt vmcnt(0)
	v_add_nc_u32_e32 v1, -1, v1
	v_cmp_eq_u32_e32 vcc_lo, 33, v1
	s_cbranch_vccnz .LBB42_290
; %bb.289:
	v_lshlrev_b32_e32 v1, 4, v1
	v_mov_b32_e32 v2, s19
	v_add_nc_u32_e32 v1, 16, v1
	s_clause 0x7
	buffer_load_dword v3, v1, s[0:3], 0 offen
	buffer_load_dword v4, v1, s[0:3], 0 offen offset:4
	buffer_load_dword v5, v1, s[0:3], 0 offen offset:8
	buffer_load_dword v6, v1, s[0:3], 0 offen offset:12
	buffer_load_dword v7, v2, s[0:3], 0 offen offset:12
	buffer_load_dword v8, v2, s[0:3], 0 offen offset:8
	buffer_load_dword v9, v2, s[0:3], 0 offen offset:4
	buffer_load_dword v10, v2, s[0:3], 0 offen
	s_waitcnt vmcnt(7)
	buffer_store_dword v3, v2, s[0:3], 0 offen
	s_waitcnt vmcnt(6)
	buffer_store_dword v4, v2, s[0:3], 0 offen offset:4
	s_waitcnt vmcnt(5)
	buffer_store_dword v5, v2, s[0:3], 0 offen offset:8
	s_waitcnt vmcnt(4)
	buffer_store_dword v6, v2, s[0:3], 0 offen offset:12
	s_waitcnt vmcnt(3)
	buffer_store_dword v7, v1, s[0:3], 0 offen offset:12
	s_waitcnt vmcnt(2)
	buffer_store_dword v8, v1, s[0:3], 0 offen offset:8
	s_waitcnt vmcnt(1)
	buffer_store_dword v9, v1, s[0:3], 0 offen offset:4
	s_waitcnt vmcnt(0)
	buffer_store_dword v10, v1, s[0:3], 0 offen
.LBB42_290:
	global_load_dword v0, v0, s[20:21] offset:128
	s_waitcnt vmcnt(0)
	v_add_nc_u32_e32 v0, -1, v0
	v_cmp_eq_u32_e32 vcc_lo, 32, v0
	s_cbranch_vccnz .LBB42_292
; %bb.291:
	v_lshlrev_b32_e32 v0, 4, v0
	v_mov_b32_e32 v1, s22
	v_add_nc_u32_e32 v0, 16, v0
	s_clause 0x7
	buffer_load_dword v2, v0, s[0:3], 0 offen
	buffer_load_dword v3, v0, s[0:3], 0 offen offset:4
	buffer_load_dword v4, v0, s[0:3], 0 offen offset:8
	;; [unrolled: 1-line block ×6, first 2 shown]
	buffer_load_dword v9, v1, s[0:3], 0 offen
	s_waitcnt vmcnt(7)
	buffer_store_dword v2, v1, s[0:3], 0 offen
	s_waitcnt vmcnt(6)
	buffer_store_dword v3, v1, s[0:3], 0 offen offset:4
	s_waitcnt vmcnt(5)
	buffer_store_dword v4, v1, s[0:3], 0 offen offset:8
	;; [unrolled: 2-line block ×6, first 2 shown]
	s_waitcnt vmcnt(0)
	buffer_store_dword v9, v0, s[0:3], 0 offen
.LBB42_292:
	v_mov_b32_e32 v0, 0
	global_load_dword v1, v0, s[20:21] offset:124
	s_waitcnt vmcnt(0)
	v_add_nc_u32_e32 v1, -1, v1
	v_cmp_eq_u32_e32 vcc_lo, 31, v1
	s_cbranch_vccnz .LBB42_294
; %bb.293:
	v_lshlrev_b32_e32 v1, 4, v1
	v_mov_b32_e32 v2, s23
	v_add_nc_u32_e32 v1, 16, v1
	s_clause 0x7
	buffer_load_dword v3, v1, s[0:3], 0 offen
	buffer_load_dword v4, v1, s[0:3], 0 offen offset:4
	buffer_load_dword v5, v1, s[0:3], 0 offen offset:8
	;; [unrolled: 1-line block ×6, first 2 shown]
	buffer_load_dword v10, v2, s[0:3], 0 offen
	s_waitcnt vmcnt(7)
	buffer_store_dword v3, v2, s[0:3], 0 offen
	s_waitcnt vmcnt(6)
	buffer_store_dword v4, v2, s[0:3], 0 offen offset:4
	s_waitcnt vmcnt(5)
	buffer_store_dword v5, v2, s[0:3], 0 offen offset:8
	;; [unrolled: 2-line block ×6, first 2 shown]
	s_waitcnt vmcnt(0)
	buffer_store_dword v10, v1, s[0:3], 0 offen
.LBB42_294:
	global_load_dword v0, v0, s[20:21] offset:120
	s_waitcnt vmcnt(0)
	v_add_nc_u32_e32 v0, -1, v0
	v_cmp_eq_u32_e32 vcc_lo, 30, v0
	s_cbranch_vccnz .LBB42_296
; %bb.295:
	v_lshlrev_b32_e32 v0, 4, v0
	v_mov_b32_e32 v1, s25
	v_add_nc_u32_e32 v0, 16, v0
	s_clause 0x7
	buffer_load_dword v2, v0, s[0:3], 0 offen
	buffer_load_dword v3, v0, s[0:3], 0 offen offset:4
	buffer_load_dword v4, v0, s[0:3], 0 offen offset:8
	;; [unrolled: 1-line block ×6, first 2 shown]
	buffer_load_dword v9, v1, s[0:3], 0 offen
	s_waitcnt vmcnt(7)
	buffer_store_dword v2, v1, s[0:3], 0 offen
	s_waitcnt vmcnt(6)
	buffer_store_dword v3, v1, s[0:3], 0 offen offset:4
	s_waitcnt vmcnt(5)
	buffer_store_dword v4, v1, s[0:3], 0 offen offset:8
	;; [unrolled: 2-line block ×6, first 2 shown]
	s_waitcnt vmcnt(0)
	buffer_store_dword v9, v0, s[0:3], 0 offen
.LBB42_296:
	v_mov_b32_e32 v0, 0
	global_load_dword v1, v0, s[20:21] offset:116
	s_waitcnt vmcnt(0)
	v_add_nc_u32_e32 v1, -1, v1
	v_cmp_eq_u32_e32 vcc_lo, 29, v1
	s_cbranch_vccnz .LBB42_298
; %bb.297:
	v_lshlrev_b32_e32 v1, 4, v1
	v_mov_b32_e32 v2, s27
	v_add_nc_u32_e32 v1, 16, v1
	s_clause 0x7
	buffer_load_dword v3, v1, s[0:3], 0 offen
	buffer_load_dword v4, v1, s[0:3], 0 offen offset:4
	buffer_load_dword v5, v1, s[0:3], 0 offen offset:8
	;; [unrolled: 1-line block ×6, first 2 shown]
	buffer_load_dword v10, v2, s[0:3], 0 offen
	s_waitcnt vmcnt(7)
	buffer_store_dword v3, v2, s[0:3], 0 offen
	s_waitcnt vmcnt(6)
	buffer_store_dword v4, v2, s[0:3], 0 offen offset:4
	s_waitcnt vmcnt(5)
	buffer_store_dword v5, v2, s[0:3], 0 offen offset:8
	;; [unrolled: 2-line block ×6, first 2 shown]
	s_waitcnt vmcnt(0)
	buffer_store_dword v10, v1, s[0:3], 0 offen
.LBB42_298:
	global_load_dword v0, v0, s[20:21] offset:112
	s_waitcnt vmcnt(0)
	v_add_nc_u32_e32 v0, -1, v0
	v_cmp_eq_u32_e32 vcc_lo, 28, v0
	s_cbranch_vccnz .LBB42_300
; %bb.299:
	v_lshlrev_b32_e32 v0, 4, v0
	v_mov_b32_e32 v1, s29
	v_add_nc_u32_e32 v0, 16, v0
	s_clause 0x7
	buffer_load_dword v2, v0, s[0:3], 0 offen
	buffer_load_dword v3, v0, s[0:3], 0 offen offset:4
	buffer_load_dword v4, v0, s[0:3], 0 offen offset:8
	buffer_load_dword v5, v0, s[0:3], 0 offen offset:12
	buffer_load_dword v6, v1, s[0:3], 0 offen offset:12
	buffer_load_dword v7, v1, s[0:3], 0 offen offset:8
	buffer_load_dword v8, v1, s[0:3], 0 offen offset:4
	buffer_load_dword v9, v1, s[0:3], 0 offen
	s_waitcnt vmcnt(7)
	buffer_store_dword v2, v1, s[0:3], 0 offen
	s_waitcnt vmcnt(6)
	buffer_store_dword v3, v1, s[0:3], 0 offen offset:4
	s_waitcnt vmcnt(5)
	buffer_store_dword v4, v1, s[0:3], 0 offen offset:8
	;; [unrolled: 2-line block ×6, first 2 shown]
	s_waitcnt vmcnt(0)
	buffer_store_dword v9, v0, s[0:3], 0 offen
.LBB42_300:
	v_mov_b32_e32 v0, 0
	global_load_dword v1, v0, s[20:21] offset:108
	s_waitcnt vmcnt(0)
	v_add_nc_u32_e32 v1, -1, v1
	v_cmp_eq_u32_e32 vcc_lo, 27, v1
	s_cbranch_vccnz .LBB42_302
; %bb.301:
	v_lshlrev_b32_e32 v1, 4, v1
	v_mov_b32_e32 v2, s31
	v_add_nc_u32_e32 v1, 16, v1
	s_clause 0x7
	buffer_load_dword v3, v1, s[0:3], 0 offen
	buffer_load_dword v4, v1, s[0:3], 0 offen offset:4
	buffer_load_dword v5, v1, s[0:3], 0 offen offset:8
	;; [unrolled: 1-line block ×6, first 2 shown]
	buffer_load_dword v10, v2, s[0:3], 0 offen
	s_waitcnt vmcnt(7)
	buffer_store_dword v3, v2, s[0:3], 0 offen
	s_waitcnt vmcnt(6)
	buffer_store_dword v4, v2, s[0:3], 0 offen offset:4
	s_waitcnt vmcnt(5)
	buffer_store_dword v5, v2, s[0:3], 0 offen offset:8
	;; [unrolled: 2-line block ×6, first 2 shown]
	s_waitcnt vmcnt(0)
	buffer_store_dword v10, v1, s[0:3], 0 offen
.LBB42_302:
	global_load_dword v0, v0, s[20:21] offset:104
	s_waitcnt vmcnt(0)
	v_add_nc_u32_e32 v0, -1, v0
	v_cmp_eq_u32_e32 vcc_lo, 26, v0
	s_cbranch_vccnz .LBB42_304
; %bb.303:
	v_lshlrev_b32_e32 v0, 4, v0
	v_mov_b32_e32 v1, s33
	v_add_nc_u32_e32 v0, 16, v0
	s_clause 0x7
	buffer_load_dword v2, v0, s[0:3], 0 offen
	buffer_load_dword v3, v0, s[0:3], 0 offen offset:4
	buffer_load_dword v4, v0, s[0:3], 0 offen offset:8
	;; [unrolled: 1-line block ×6, first 2 shown]
	buffer_load_dword v9, v1, s[0:3], 0 offen
	s_waitcnt vmcnt(7)
	buffer_store_dword v2, v1, s[0:3], 0 offen
	s_waitcnt vmcnt(6)
	buffer_store_dword v3, v1, s[0:3], 0 offen offset:4
	s_waitcnt vmcnt(5)
	buffer_store_dword v4, v1, s[0:3], 0 offen offset:8
	;; [unrolled: 2-line block ×6, first 2 shown]
	s_waitcnt vmcnt(0)
	buffer_store_dword v9, v0, s[0:3], 0 offen
.LBB42_304:
	v_mov_b32_e32 v0, 0
	global_load_dword v1, v0, s[20:21] offset:100
	s_waitcnt vmcnt(0)
	v_add_nc_u32_e32 v1, -1, v1
	v_cmp_eq_u32_e32 vcc_lo, 25, v1
	s_cbranch_vccnz .LBB42_306
; %bb.305:
	v_lshlrev_b32_e32 v1, 4, v1
	v_mov_b32_e32 v2, s35
	v_add_nc_u32_e32 v1, 16, v1
	s_clause 0x7
	buffer_load_dword v3, v1, s[0:3], 0 offen
	buffer_load_dword v4, v1, s[0:3], 0 offen offset:4
	buffer_load_dword v5, v1, s[0:3], 0 offen offset:8
	;; [unrolled: 1-line block ×6, first 2 shown]
	buffer_load_dword v10, v2, s[0:3], 0 offen
	s_waitcnt vmcnt(7)
	buffer_store_dword v3, v2, s[0:3], 0 offen
	s_waitcnt vmcnt(6)
	buffer_store_dword v4, v2, s[0:3], 0 offen offset:4
	s_waitcnt vmcnt(5)
	buffer_store_dword v5, v2, s[0:3], 0 offen offset:8
	;; [unrolled: 2-line block ×6, first 2 shown]
	s_waitcnt vmcnt(0)
	buffer_store_dword v10, v1, s[0:3], 0 offen
.LBB42_306:
	global_load_dword v0, v0, s[20:21] offset:96
	s_waitcnt vmcnt(0)
	v_add_nc_u32_e32 v0, -1, v0
	v_cmp_eq_u32_e32 vcc_lo, 24, v0
	s_cbranch_vccnz .LBB42_308
; %bb.307:
	v_lshlrev_b32_e32 v0, 4, v0
	v_mov_b32_e32 v1, s37
	v_add_nc_u32_e32 v0, 16, v0
	s_clause 0x7
	buffer_load_dword v2, v0, s[0:3], 0 offen
	buffer_load_dword v3, v0, s[0:3], 0 offen offset:4
	buffer_load_dword v4, v0, s[0:3], 0 offen offset:8
	;; [unrolled: 1-line block ×6, first 2 shown]
	buffer_load_dword v9, v1, s[0:3], 0 offen
	s_waitcnt vmcnt(7)
	buffer_store_dword v2, v1, s[0:3], 0 offen
	s_waitcnt vmcnt(6)
	buffer_store_dword v3, v1, s[0:3], 0 offen offset:4
	s_waitcnt vmcnt(5)
	buffer_store_dword v4, v1, s[0:3], 0 offen offset:8
	;; [unrolled: 2-line block ×6, first 2 shown]
	s_waitcnt vmcnt(0)
	buffer_store_dword v9, v0, s[0:3], 0 offen
.LBB42_308:
	v_mov_b32_e32 v0, 0
	global_load_dword v1, v0, s[20:21] offset:92
	s_waitcnt vmcnt(0)
	v_add_nc_u32_e32 v1, -1, v1
	v_cmp_eq_u32_e32 vcc_lo, 23, v1
	s_cbranch_vccnz .LBB42_310
; %bb.309:
	v_lshlrev_b32_e32 v1, 4, v1
	v_mov_b32_e32 v2, s39
	v_add_nc_u32_e32 v1, 16, v1
	s_clause 0x7
	buffer_load_dword v3, v1, s[0:3], 0 offen
	buffer_load_dword v4, v1, s[0:3], 0 offen offset:4
	buffer_load_dword v5, v1, s[0:3], 0 offen offset:8
	;; [unrolled: 1-line block ×6, first 2 shown]
	buffer_load_dword v10, v2, s[0:3], 0 offen
	s_waitcnt vmcnt(7)
	buffer_store_dword v3, v2, s[0:3], 0 offen
	s_waitcnt vmcnt(6)
	buffer_store_dword v4, v2, s[0:3], 0 offen offset:4
	s_waitcnt vmcnt(5)
	buffer_store_dword v5, v2, s[0:3], 0 offen offset:8
	;; [unrolled: 2-line block ×6, first 2 shown]
	s_waitcnt vmcnt(0)
	buffer_store_dword v10, v1, s[0:3], 0 offen
.LBB42_310:
	global_load_dword v0, v0, s[20:21] offset:88
	s_waitcnt vmcnt(0)
	v_add_nc_u32_e32 v0, -1, v0
	v_cmp_eq_u32_e32 vcc_lo, 22, v0
	s_cbranch_vccnz .LBB42_312
; %bb.311:
	v_lshlrev_b32_e32 v0, 4, v0
	v_mov_b32_e32 v1, s41
	v_add_nc_u32_e32 v0, 16, v0
	s_clause 0x7
	buffer_load_dword v2, v0, s[0:3], 0 offen
	buffer_load_dword v3, v0, s[0:3], 0 offen offset:4
	buffer_load_dword v4, v0, s[0:3], 0 offen offset:8
	;; [unrolled: 1-line block ×6, first 2 shown]
	buffer_load_dword v9, v1, s[0:3], 0 offen
	s_waitcnt vmcnt(7)
	buffer_store_dword v2, v1, s[0:3], 0 offen
	s_waitcnt vmcnt(6)
	buffer_store_dword v3, v1, s[0:3], 0 offen offset:4
	s_waitcnt vmcnt(5)
	buffer_store_dword v4, v1, s[0:3], 0 offen offset:8
	;; [unrolled: 2-line block ×6, first 2 shown]
	s_waitcnt vmcnt(0)
	buffer_store_dword v9, v0, s[0:3], 0 offen
.LBB42_312:
	v_mov_b32_e32 v0, 0
	global_load_dword v1, v0, s[20:21] offset:84
	s_waitcnt vmcnt(0)
	v_add_nc_u32_e32 v1, -1, v1
	v_cmp_eq_u32_e32 vcc_lo, 21, v1
	s_cbranch_vccnz .LBB42_314
; %bb.313:
	v_lshlrev_b32_e32 v1, 4, v1
	v_mov_b32_e32 v2, s43
	v_add_nc_u32_e32 v1, 16, v1
	s_clause 0x7
	buffer_load_dword v3, v1, s[0:3], 0 offen
	buffer_load_dword v4, v1, s[0:3], 0 offen offset:4
	buffer_load_dword v5, v1, s[0:3], 0 offen offset:8
	;; [unrolled: 1-line block ×6, first 2 shown]
	buffer_load_dword v10, v2, s[0:3], 0 offen
	s_waitcnt vmcnt(7)
	buffer_store_dword v3, v2, s[0:3], 0 offen
	s_waitcnt vmcnt(6)
	buffer_store_dword v4, v2, s[0:3], 0 offen offset:4
	s_waitcnt vmcnt(5)
	buffer_store_dword v5, v2, s[0:3], 0 offen offset:8
	;; [unrolled: 2-line block ×6, first 2 shown]
	s_waitcnt vmcnt(0)
	buffer_store_dword v10, v1, s[0:3], 0 offen
.LBB42_314:
	global_load_dword v0, v0, s[20:21] offset:80
	s_waitcnt vmcnt(0)
	v_add_nc_u32_e32 v0, -1, v0
	v_cmp_eq_u32_e32 vcc_lo, 20, v0
	s_cbranch_vccnz .LBB42_316
; %bb.315:
	v_lshlrev_b32_e32 v0, 4, v0
	v_mov_b32_e32 v1, s45
	v_add_nc_u32_e32 v0, 16, v0
	s_clause 0x7
	buffer_load_dword v2, v0, s[0:3], 0 offen
	buffer_load_dword v3, v0, s[0:3], 0 offen offset:4
	buffer_load_dword v4, v0, s[0:3], 0 offen offset:8
	;; [unrolled: 1-line block ×6, first 2 shown]
	buffer_load_dword v9, v1, s[0:3], 0 offen
	s_waitcnt vmcnt(7)
	buffer_store_dword v2, v1, s[0:3], 0 offen
	s_waitcnt vmcnt(6)
	buffer_store_dword v3, v1, s[0:3], 0 offen offset:4
	s_waitcnt vmcnt(5)
	buffer_store_dword v4, v1, s[0:3], 0 offen offset:8
	;; [unrolled: 2-line block ×6, first 2 shown]
	s_waitcnt vmcnt(0)
	buffer_store_dword v9, v0, s[0:3], 0 offen
.LBB42_316:
	v_mov_b32_e32 v0, 0
	global_load_dword v1, v0, s[20:21] offset:76
	s_waitcnt vmcnt(0)
	v_add_nc_u32_e32 v1, -1, v1
	v_cmp_eq_u32_e32 vcc_lo, 19, v1
	s_cbranch_vccnz .LBB42_318
; %bb.317:
	v_lshlrev_b32_e32 v1, 4, v1
	v_mov_b32_e32 v2, s47
	v_add_nc_u32_e32 v1, 16, v1
	s_clause 0x7
	buffer_load_dword v3, v1, s[0:3], 0 offen
	buffer_load_dword v4, v1, s[0:3], 0 offen offset:4
	buffer_load_dword v5, v1, s[0:3], 0 offen offset:8
	;; [unrolled: 1-line block ×6, first 2 shown]
	buffer_load_dword v10, v2, s[0:3], 0 offen
	s_waitcnt vmcnt(7)
	buffer_store_dword v3, v2, s[0:3], 0 offen
	s_waitcnt vmcnt(6)
	buffer_store_dword v4, v2, s[0:3], 0 offen offset:4
	s_waitcnt vmcnt(5)
	buffer_store_dword v5, v2, s[0:3], 0 offen offset:8
	;; [unrolled: 2-line block ×6, first 2 shown]
	s_waitcnt vmcnt(0)
	buffer_store_dword v10, v1, s[0:3], 0 offen
.LBB42_318:
	global_load_dword v0, v0, s[20:21] offset:72
	s_waitcnt vmcnt(0)
	v_add_nc_u32_e32 v0, -1, v0
	v_cmp_eq_u32_e32 vcc_lo, 18, v0
	s_cbranch_vccnz .LBB42_320
; %bb.319:
	v_lshlrev_b32_e32 v0, 4, v0
	v_mov_b32_e32 v1, s24
	v_add_nc_u32_e32 v0, 16, v0
	s_clause 0x7
	buffer_load_dword v2, v0, s[0:3], 0 offen
	buffer_load_dword v3, v0, s[0:3], 0 offen offset:4
	buffer_load_dword v4, v0, s[0:3], 0 offen offset:8
	;; [unrolled: 1-line block ×6, first 2 shown]
	buffer_load_dword v9, v1, s[0:3], 0 offen
	s_waitcnt vmcnt(7)
	buffer_store_dword v2, v1, s[0:3], 0 offen
	s_waitcnt vmcnt(6)
	buffer_store_dword v3, v1, s[0:3], 0 offen offset:4
	s_waitcnt vmcnt(5)
	buffer_store_dword v4, v1, s[0:3], 0 offen offset:8
	s_waitcnt vmcnt(4)
	buffer_store_dword v5, v1, s[0:3], 0 offen offset:12
	s_waitcnt vmcnt(3)
	buffer_store_dword v6, v0, s[0:3], 0 offen offset:12
	s_waitcnt vmcnt(2)
	buffer_store_dword v7, v0, s[0:3], 0 offen offset:8
	s_waitcnt vmcnt(1)
	buffer_store_dword v8, v0, s[0:3], 0 offen offset:4
	s_waitcnt vmcnt(0)
	buffer_store_dword v9, v0, s[0:3], 0 offen
.LBB42_320:
	v_mov_b32_e32 v0, 0
	global_load_dword v1, v0, s[20:21] offset:68
	s_waitcnt vmcnt(0)
	v_add_nc_u32_e32 v1, -1, v1
	v_cmp_eq_u32_e32 vcc_lo, 17, v1
	s_cbranch_vccnz .LBB42_322
; %bb.321:
	v_lshlrev_b32_e32 v1, 4, v1
	v_mov_b32_e32 v2, s26
	v_add_nc_u32_e32 v1, 16, v1
	s_clause 0x7
	buffer_load_dword v3, v1, s[0:3], 0 offen
	buffer_load_dword v4, v1, s[0:3], 0 offen offset:4
	buffer_load_dword v5, v1, s[0:3], 0 offen offset:8
	;; [unrolled: 1-line block ×6, first 2 shown]
	buffer_load_dword v10, v2, s[0:3], 0 offen
	s_waitcnt vmcnt(7)
	buffer_store_dword v3, v2, s[0:3], 0 offen
	s_waitcnt vmcnt(6)
	buffer_store_dword v4, v2, s[0:3], 0 offen offset:4
	s_waitcnt vmcnt(5)
	buffer_store_dword v5, v2, s[0:3], 0 offen offset:8
	;; [unrolled: 2-line block ×6, first 2 shown]
	s_waitcnt vmcnt(0)
	buffer_store_dword v10, v1, s[0:3], 0 offen
.LBB42_322:
	global_load_dword v0, v0, s[20:21] offset:64
	s_waitcnt vmcnt(0)
	v_add_nc_u32_e32 v0, -1, v0
	v_cmp_eq_u32_e32 vcc_lo, 16, v0
	s_cbranch_vccnz .LBB42_324
; %bb.323:
	v_lshlrev_b32_e32 v0, 4, v0
	v_mov_b32_e32 v1, s28
	v_add_nc_u32_e32 v0, 16, v0
	s_clause 0x7
	buffer_load_dword v2, v0, s[0:3], 0 offen
	buffer_load_dword v3, v0, s[0:3], 0 offen offset:4
	buffer_load_dword v4, v0, s[0:3], 0 offen offset:8
	;; [unrolled: 1-line block ×6, first 2 shown]
	buffer_load_dword v9, v1, s[0:3], 0 offen
	s_waitcnt vmcnt(7)
	buffer_store_dword v2, v1, s[0:3], 0 offen
	s_waitcnt vmcnt(6)
	buffer_store_dword v3, v1, s[0:3], 0 offen offset:4
	s_waitcnt vmcnt(5)
	buffer_store_dword v4, v1, s[0:3], 0 offen offset:8
	s_waitcnt vmcnt(4)
	buffer_store_dword v5, v1, s[0:3], 0 offen offset:12
	s_waitcnt vmcnt(3)
	buffer_store_dword v6, v0, s[0:3], 0 offen offset:12
	s_waitcnt vmcnt(2)
	buffer_store_dword v7, v0, s[0:3], 0 offen offset:8
	s_waitcnt vmcnt(1)
	buffer_store_dword v8, v0, s[0:3], 0 offen offset:4
	s_waitcnt vmcnt(0)
	buffer_store_dword v9, v0, s[0:3], 0 offen
.LBB42_324:
	v_mov_b32_e32 v0, 0
	global_load_dword v1, v0, s[20:21] offset:60
	s_waitcnt vmcnt(0)
	v_add_nc_u32_e32 v1, -1, v1
	v_cmp_eq_u32_e32 vcc_lo, 15, v1
	s_cbranch_vccnz .LBB42_326
; %bb.325:
	v_lshlrev_b32_e32 v1, 4, v1
	v_mov_b32_e32 v2, s30
	v_add_nc_u32_e32 v1, 16, v1
	s_clause 0x7
	buffer_load_dword v3, v1, s[0:3], 0 offen
	buffer_load_dword v4, v1, s[0:3], 0 offen offset:4
	buffer_load_dword v5, v1, s[0:3], 0 offen offset:8
	;; [unrolled: 1-line block ×6, first 2 shown]
	buffer_load_dword v10, v2, s[0:3], 0 offen
	s_waitcnt vmcnt(7)
	buffer_store_dword v3, v2, s[0:3], 0 offen
	s_waitcnt vmcnt(6)
	buffer_store_dword v4, v2, s[0:3], 0 offen offset:4
	s_waitcnt vmcnt(5)
	buffer_store_dword v5, v2, s[0:3], 0 offen offset:8
	;; [unrolled: 2-line block ×6, first 2 shown]
	s_waitcnt vmcnt(0)
	buffer_store_dword v10, v1, s[0:3], 0 offen
.LBB42_326:
	global_load_dword v0, v0, s[20:21] offset:56
	s_waitcnt vmcnt(0)
	v_add_nc_u32_e32 v0, -1, v0
	v_cmp_eq_u32_e32 vcc_lo, 14, v0
	s_cbranch_vccnz .LBB42_328
; %bb.327:
	v_lshlrev_b32_e32 v0, 4, v0
	v_mov_b32_e32 v1, s34
	v_add_nc_u32_e32 v0, 16, v0
	s_clause 0x7
	buffer_load_dword v2, v0, s[0:3], 0 offen
	buffer_load_dword v3, v0, s[0:3], 0 offen offset:4
	buffer_load_dword v4, v0, s[0:3], 0 offen offset:8
	;; [unrolled: 1-line block ×6, first 2 shown]
	buffer_load_dword v9, v1, s[0:3], 0 offen
	s_waitcnt vmcnt(7)
	buffer_store_dword v2, v1, s[0:3], 0 offen
	s_waitcnt vmcnt(6)
	buffer_store_dword v3, v1, s[0:3], 0 offen offset:4
	s_waitcnt vmcnt(5)
	buffer_store_dword v4, v1, s[0:3], 0 offen offset:8
	;; [unrolled: 2-line block ×6, first 2 shown]
	s_waitcnt vmcnt(0)
	buffer_store_dword v9, v0, s[0:3], 0 offen
.LBB42_328:
	v_mov_b32_e32 v0, 0
	global_load_dword v1, v0, s[20:21] offset:52
	s_waitcnt vmcnt(0)
	v_add_nc_u32_e32 v1, -1, v1
	v_cmp_eq_u32_e32 vcc_lo, 13, v1
	s_cbranch_vccnz .LBB42_330
; %bb.329:
	v_lshlrev_b32_e32 v1, 4, v1
	v_mov_b32_e32 v2, s36
	v_add_nc_u32_e32 v1, 16, v1
	s_clause 0x7
	buffer_load_dword v3, v1, s[0:3], 0 offen
	buffer_load_dword v4, v1, s[0:3], 0 offen offset:4
	buffer_load_dword v5, v1, s[0:3], 0 offen offset:8
	;; [unrolled: 1-line block ×6, first 2 shown]
	buffer_load_dword v10, v2, s[0:3], 0 offen
	s_waitcnt vmcnt(7)
	buffer_store_dword v3, v2, s[0:3], 0 offen
	s_waitcnt vmcnt(6)
	buffer_store_dword v4, v2, s[0:3], 0 offen offset:4
	s_waitcnt vmcnt(5)
	buffer_store_dword v5, v2, s[0:3], 0 offen offset:8
	;; [unrolled: 2-line block ×6, first 2 shown]
	s_waitcnt vmcnt(0)
	buffer_store_dword v10, v1, s[0:3], 0 offen
.LBB42_330:
	global_load_dword v0, v0, s[20:21] offset:48
	s_waitcnt vmcnt(0)
	v_add_nc_u32_e32 v0, -1, v0
	v_cmp_eq_u32_e32 vcc_lo, 12, v0
	s_cbranch_vccnz .LBB42_332
; %bb.331:
	v_lshlrev_b32_e32 v0, 4, v0
	v_mov_b32_e32 v1, s38
	v_add_nc_u32_e32 v0, 16, v0
	s_clause 0x7
	buffer_load_dword v2, v0, s[0:3], 0 offen
	buffer_load_dword v3, v0, s[0:3], 0 offen offset:4
	buffer_load_dword v4, v0, s[0:3], 0 offen offset:8
	;; [unrolled: 1-line block ×6, first 2 shown]
	buffer_load_dword v9, v1, s[0:3], 0 offen
	s_waitcnt vmcnt(7)
	buffer_store_dword v2, v1, s[0:3], 0 offen
	s_waitcnt vmcnt(6)
	buffer_store_dword v3, v1, s[0:3], 0 offen offset:4
	s_waitcnt vmcnt(5)
	buffer_store_dword v4, v1, s[0:3], 0 offen offset:8
	;; [unrolled: 2-line block ×6, first 2 shown]
	s_waitcnt vmcnt(0)
	buffer_store_dword v9, v0, s[0:3], 0 offen
.LBB42_332:
	v_mov_b32_e32 v0, 0
	global_load_dword v1, v0, s[20:21] offset:44
	s_waitcnt vmcnt(0)
	v_add_nc_u32_e32 v1, -1, v1
	v_cmp_eq_u32_e32 vcc_lo, 11, v1
	s_cbranch_vccnz .LBB42_334
; %bb.333:
	v_lshlrev_b32_e32 v1, 4, v1
	v_mov_b32_e32 v2, s40
	v_add_nc_u32_e32 v1, 16, v1
	s_clause 0x7
	buffer_load_dword v3, v1, s[0:3], 0 offen
	buffer_load_dword v4, v1, s[0:3], 0 offen offset:4
	buffer_load_dword v5, v1, s[0:3], 0 offen offset:8
	;; [unrolled: 1-line block ×6, first 2 shown]
	buffer_load_dword v10, v2, s[0:3], 0 offen
	s_waitcnt vmcnt(7)
	buffer_store_dword v3, v2, s[0:3], 0 offen
	s_waitcnt vmcnt(6)
	buffer_store_dword v4, v2, s[0:3], 0 offen offset:4
	s_waitcnt vmcnt(5)
	buffer_store_dword v5, v2, s[0:3], 0 offen offset:8
	;; [unrolled: 2-line block ×6, first 2 shown]
	s_waitcnt vmcnt(0)
	buffer_store_dword v10, v1, s[0:3], 0 offen
.LBB42_334:
	global_load_dword v0, v0, s[20:21] offset:40
	s_waitcnt vmcnt(0)
	v_add_nc_u32_e32 v0, -1, v0
	v_cmp_eq_u32_e32 vcc_lo, 10, v0
	s_cbranch_vccnz .LBB42_336
; %bb.335:
	v_lshlrev_b32_e32 v0, 4, v0
	v_mov_b32_e32 v1, s42
	v_add_nc_u32_e32 v0, 16, v0
	s_clause 0x7
	buffer_load_dword v2, v0, s[0:3], 0 offen
	buffer_load_dword v3, v0, s[0:3], 0 offen offset:4
	buffer_load_dword v4, v0, s[0:3], 0 offen offset:8
	;; [unrolled: 1-line block ×6, first 2 shown]
	buffer_load_dword v9, v1, s[0:3], 0 offen
	s_waitcnt vmcnt(7)
	buffer_store_dword v2, v1, s[0:3], 0 offen
	s_waitcnt vmcnt(6)
	buffer_store_dword v3, v1, s[0:3], 0 offen offset:4
	s_waitcnt vmcnt(5)
	buffer_store_dword v4, v1, s[0:3], 0 offen offset:8
	;; [unrolled: 2-line block ×6, first 2 shown]
	s_waitcnt vmcnt(0)
	buffer_store_dword v9, v0, s[0:3], 0 offen
.LBB42_336:
	v_mov_b32_e32 v0, 0
	global_load_dword v1, v0, s[20:21] offset:36
	s_waitcnt vmcnt(0)
	v_add_nc_u32_e32 v1, -1, v1
	v_cmp_eq_u32_e32 vcc_lo, 9, v1
	s_cbranch_vccnz .LBB42_338
; %bb.337:
	v_lshlrev_b32_e32 v1, 4, v1
	v_mov_b32_e32 v2, s44
	v_add_nc_u32_e32 v1, 16, v1
	s_clause 0x7
	buffer_load_dword v3, v1, s[0:3], 0 offen
	buffer_load_dword v4, v1, s[0:3], 0 offen offset:4
	buffer_load_dword v5, v1, s[0:3], 0 offen offset:8
	;; [unrolled: 1-line block ×6, first 2 shown]
	buffer_load_dword v10, v2, s[0:3], 0 offen
	s_waitcnt vmcnt(7)
	buffer_store_dword v3, v2, s[0:3], 0 offen
	s_waitcnt vmcnt(6)
	buffer_store_dword v4, v2, s[0:3], 0 offen offset:4
	s_waitcnt vmcnt(5)
	buffer_store_dword v5, v2, s[0:3], 0 offen offset:8
	;; [unrolled: 2-line block ×6, first 2 shown]
	s_waitcnt vmcnt(0)
	buffer_store_dword v10, v1, s[0:3], 0 offen
.LBB42_338:
	global_load_dword v0, v0, s[20:21] offset:32
	s_waitcnt vmcnt(0)
	v_add_nc_u32_e32 v0, -1, v0
	v_cmp_eq_u32_e32 vcc_lo, 8, v0
	s_cbranch_vccnz .LBB42_340
; %bb.339:
	v_lshlrev_b32_e32 v0, 4, v0
	v_mov_b32_e32 v1, s46
	v_add_nc_u32_e32 v0, 16, v0
	s_clause 0x7
	buffer_load_dword v2, v0, s[0:3], 0 offen
	buffer_load_dword v3, v0, s[0:3], 0 offen offset:4
	buffer_load_dword v4, v0, s[0:3], 0 offen offset:8
	buffer_load_dword v5, v0, s[0:3], 0 offen offset:12
	buffer_load_dword v6, v1, s[0:3], 0 offen offset:12
	buffer_load_dword v7, v1, s[0:3], 0 offen offset:8
	buffer_load_dword v8, v1, s[0:3], 0 offen offset:4
	buffer_load_dword v9, v1, s[0:3], 0 offen
	s_waitcnt vmcnt(7)
	buffer_store_dword v2, v1, s[0:3], 0 offen
	s_waitcnt vmcnt(6)
	buffer_store_dword v3, v1, s[0:3], 0 offen offset:4
	s_waitcnt vmcnt(5)
	buffer_store_dword v4, v1, s[0:3], 0 offen offset:8
	;; [unrolled: 2-line block ×6, first 2 shown]
	s_waitcnt vmcnt(0)
	buffer_store_dword v9, v0, s[0:3], 0 offen
.LBB42_340:
	v_mov_b32_e32 v0, 0
	global_load_dword v1, v0, s[20:21] offset:28
	s_waitcnt vmcnt(0)
	v_add_nc_u32_e32 v1, -1, v1
	v_cmp_eq_u32_e32 vcc_lo, 7, v1
	s_cbranch_vccnz .LBB42_342
; %bb.341:
	v_lshlrev_b32_e32 v1, 4, v1
	v_mov_b32_e32 v2, s48
	v_add_nc_u32_e32 v1, 16, v1
	s_clause 0x7
	buffer_load_dword v3, v1, s[0:3], 0 offen
	buffer_load_dword v4, v1, s[0:3], 0 offen offset:4
	buffer_load_dword v5, v1, s[0:3], 0 offen offset:8
	;; [unrolled: 1-line block ×6, first 2 shown]
	buffer_load_dword v10, v2, s[0:3], 0 offen
	s_waitcnt vmcnt(7)
	buffer_store_dword v3, v2, s[0:3], 0 offen
	s_waitcnt vmcnt(6)
	buffer_store_dword v4, v2, s[0:3], 0 offen offset:4
	s_waitcnt vmcnt(5)
	buffer_store_dword v5, v2, s[0:3], 0 offen offset:8
	;; [unrolled: 2-line block ×6, first 2 shown]
	s_waitcnt vmcnt(0)
	buffer_store_dword v10, v1, s[0:3], 0 offen
.LBB42_342:
	global_load_dword v0, v0, s[20:21] offset:24
	s_waitcnt vmcnt(0)
	v_add_nc_u32_e32 v0, -1, v0
	v_cmp_eq_u32_e32 vcc_lo, 6, v0
	s_cbranch_vccnz .LBB42_344
; %bb.343:
	v_lshlrev_b32_e32 v0, 4, v0
	v_mov_b32_e32 v1, s49
	v_add_nc_u32_e32 v0, 16, v0
	s_clause 0x7
	buffer_load_dword v2, v0, s[0:3], 0 offen
	buffer_load_dword v3, v0, s[0:3], 0 offen offset:4
	buffer_load_dword v4, v0, s[0:3], 0 offen offset:8
	;; [unrolled: 1-line block ×6, first 2 shown]
	buffer_load_dword v9, v1, s[0:3], 0 offen
	s_waitcnt vmcnt(7)
	buffer_store_dword v2, v1, s[0:3], 0 offen
	s_waitcnt vmcnt(6)
	buffer_store_dword v3, v1, s[0:3], 0 offen offset:4
	s_waitcnt vmcnt(5)
	buffer_store_dword v4, v1, s[0:3], 0 offen offset:8
	;; [unrolled: 2-line block ×6, first 2 shown]
	s_waitcnt vmcnt(0)
	buffer_store_dword v9, v0, s[0:3], 0 offen
.LBB42_344:
	v_mov_b32_e32 v0, 0
	global_load_dword v1, v0, s[20:21] offset:20
	s_waitcnt vmcnt(0)
	v_add_nc_u32_e32 v1, -1, v1
	v_cmp_eq_u32_e32 vcc_lo, 5, v1
	s_cbranch_vccnz .LBB42_346
; %bb.345:
	v_lshlrev_b32_e32 v1, 4, v1
	v_mov_b32_e32 v2, s50
	v_add_nc_u32_e32 v1, 16, v1
	s_clause 0x7
	buffer_load_dword v3, v1, s[0:3], 0 offen
	buffer_load_dword v4, v1, s[0:3], 0 offen offset:4
	buffer_load_dword v5, v1, s[0:3], 0 offen offset:8
	;; [unrolled: 1-line block ×6, first 2 shown]
	buffer_load_dword v10, v2, s[0:3], 0 offen
	s_waitcnt vmcnt(7)
	buffer_store_dword v3, v2, s[0:3], 0 offen
	s_waitcnt vmcnt(6)
	buffer_store_dword v4, v2, s[0:3], 0 offen offset:4
	s_waitcnt vmcnt(5)
	buffer_store_dword v5, v2, s[0:3], 0 offen offset:8
	;; [unrolled: 2-line block ×6, first 2 shown]
	s_waitcnt vmcnt(0)
	buffer_store_dword v10, v1, s[0:3], 0 offen
.LBB42_346:
	global_load_dword v0, v0, s[20:21] offset:16
	s_waitcnt vmcnt(0)
	v_add_nc_u32_e32 v0, -1, v0
	v_cmp_eq_u32_e32 vcc_lo, 4, v0
	s_cbranch_vccnz .LBB42_348
; %bb.347:
	v_lshlrev_b32_e32 v0, 4, v0
	v_mov_b32_e32 v1, s51
	v_add_nc_u32_e32 v0, 16, v0
	s_clause 0x7
	buffer_load_dword v2, v0, s[0:3], 0 offen
	buffer_load_dword v3, v0, s[0:3], 0 offen offset:4
	buffer_load_dword v4, v0, s[0:3], 0 offen offset:8
	;; [unrolled: 1-line block ×6, first 2 shown]
	buffer_load_dword v9, v1, s[0:3], 0 offen
	s_waitcnt vmcnt(7)
	buffer_store_dword v2, v1, s[0:3], 0 offen
	s_waitcnt vmcnt(6)
	buffer_store_dword v3, v1, s[0:3], 0 offen offset:4
	s_waitcnt vmcnt(5)
	buffer_store_dword v4, v1, s[0:3], 0 offen offset:8
	;; [unrolled: 2-line block ×6, first 2 shown]
	s_waitcnt vmcnt(0)
	buffer_store_dword v9, v0, s[0:3], 0 offen
.LBB42_348:
	v_mov_b32_e32 v0, 0
	global_load_dword v1, v0, s[20:21] offset:12
	s_waitcnt vmcnt(0)
	v_add_nc_u32_e32 v1, -1, v1
	v_cmp_eq_u32_e32 vcc_lo, 3, v1
	s_cbranch_vccnz .LBB42_350
; %bb.349:
	v_lshlrev_b32_e32 v1, 4, v1
	v_mov_b32_e32 v2, s52
	v_add_nc_u32_e32 v1, 16, v1
	s_clause 0x7
	buffer_load_dword v3, v1, s[0:3], 0 offen
	buffer_load_dword v4, v1, s[0:3], 0 offen offset:4
	buffer_load_dword v5, v1, s[0:3], 0 offen offset:8
	;; [unrolled: 1-line block ×6, first 2 shown]
	buffer_load_dword v10, v2, s[0:3], 0 offen
	s_waitcnt vmcnt(7)
	buffer_store_dword v3, v2, s[0:3], 0 offen
	s_waitcnt vmcnt(6)
	buffer_store_dword v4, v2, s[0:3], 0 offen offset:4
	s_waitcnt vmcnt(5)
	buffer_store_dword v5, v2, s[0:3], 0 offen offset:8
	;; [unrolled: 2-line block ×6, first 2 shown]
	s_waitcnt vmcnt(0)
	buffer_store_dword v10, v1, s[0:3], 0 offen
.LBB42_350:
	global_load_dword v0, v0, s[20:21] offset:8
	s_waitcnt vmcnt(0)
	v_add_nc_u32_e32 v0, -1, v0
	v_cmp_eq_u32_e32 vcc_lo, 2, v0
	s_cbranch_vccnz .LBB42_352
; %bb.351:
	v_lshlrev_b32_e32 v0, 4, v0
	v_mov_b32_e32 v1, s53
	v_add_nc_u32_e32 v0, 16, v0
	s_clause 0x7
	buffer_load_dword v2, v0, s[0:3], 0 offen
	buffer_load_dword v3, v0, s[0:3], 0 offen offset:4
	buffer_load_dword v4, v0, s[0:3], 0 offen offset:8
	;; [unrolled: 1-line block ×6, first 2 shown]
	buffer_load_dword v9, v1, s[0:3], 0 offen
	s_waitcnt vmcnt(7)
	buffer_store_dword v2, v1, s[0:3], 0 offen
	s_waitcnt vmcnt(6)
	buffer_store_dword v3, v1, s[0:3], 0 offen offset:4
	s_waitcnt vmcnt(5)
	buffer_store_dword v4, v1, s[0:3], 0 offen offset:8
	;; [unrolled: 2-line block ×6, first 2 shown]
	s_waitcnt vmcnt(0)
	buffer_store_dword v9, v0, s[0:3], 0 offen
.LBB42_352:
	v_mov_b32_e32 v0, 0
	global_load_dword v1, v0, s[20:21] offset:4
	s_waitcnt vmcnt(0)
	v_add_nc_u32_e32 v1, -1, v1
	v_cmp_eq_u32_e32 vcc_lo, 1, v1
	s_cbranch_vccnz .LBB42_354
; %bb.353:
	v_lshlrev_b32_e32 v1, 4, v1
	v_mov_b32_e32 v2, s54
	v_add_nc_u32_e32 v1, 16, v1
	s_clause 0x7
	buffer_load_dword v3, v1, s[0:3], 0 offen
	buffer_load_dword v4, v1, s[0:3], 0 offen offset:4
	buffer_load_dword v5, v1, s[0:3], 0 offen offset:8
	buffer_load_dword v6, v1, s[0:3], 0 offen offset:12
	buffer_load_dword v7, v2, s[0:3], 0 offen offset:12
	buffer_load_dword v8, v2, s[0:3], 0 offen offset:8
	buffer_load_dword v9, v2, s[0:3], 0 offen offset:4
	buffer_load_dword v10, v2, s[0:3], 0 offen
	s_waitcnt vmcnt(7)
	buffer_store_dword v3, v2, s[0:3], 0 offen
	s_waitcnt vmcnt(6)
	buffer_store_dword v4, v2, s[0:3], 0 offen offset:4
	s_waitcnt vmcnt(5)
	buffer_store_dword v5, v2, s[0:3], 0 offen offset:8
	;; [unrolled: 2-line block ×6, first 2 shown]
	s_waitcnt vmcnt(0)
	buffer_store_dword v10, v1, s[0:3], 0 offen
.LBB42_354:
	global_load_dword v0, v0, s[20:21]
	s_waitcnt vmcnt(0)
	v_add_nc_u32_e32 v0, -1, v0
	v_cmp_eq_u32_e32 vcc_lo, 0, v0
	s_cbranch_vccnz .LBB42_356
; %bb.355:
	v_lshlrev_b32_e32 v0, 4, v0
	v_add_nc_u32_e32 v0, 16, v0
	s_clause 0x7
	buffer_load_dword v1, v0, s[0:3], 0 offen
	buffer_load_dword v2, v0, s[0:3], 0 offen offset:4
	buffer_load_dword v3, v0, s[0:3], 0 offen offset:8
	;; [unrolled: 1-line block ×3, first 2 shown]
	buffer_load_dword v5, off, s[0:3], 0 offset:28
	buffer_load_dword v6, off, s[0:3], 0 offset:24
	;; [unrolled: 1-line block ×4, first 2 shown]
	s_waitcnt vmcnt(7)
	buffer_store_dword v1, off, s[0:3], 0 offset:16
	s_waitcnt vmcnt(6)
	buffer_store_dword v2, off, s[0:3], 0 offset:20
	;; [unrolled: 2-line block ×4, first 2 shown]
	s_waitcnt vmcnt(3)
	buffer_store_dword v5, v0, s[0:3], 0 offen offset:12
	s_waitcnt vmcnt(2)
	buffer_store_dword v6, v0, s[0:3], 0 offen offset:8
	;; [unrolled: 2-line block ×3, first 2 shown]
	s_waitcnt vmcnt(0)
	buffer_store_dword v8, v0, s[0:3], 0 offen
.LBB42_356:
	v_mov_b32_e32 v7, s54
	v_mov_b32_e32 v11, s53
	;; [unrolled: 1-line block ×4, first 2 shown]
	s_clause 0x3
	buffer_load_dword v0, off, s[0:3], 0 offset:16
	buffer_load_dword v1, off, s[0:3], 0 offset:20
	;; [unrolled: 1-line block ×4, first 2 shown]
	v_mov_b32_e32 v23, s50
	s_clause 0x3
	buffer_load_dword v4, v7, s[0:3], 0 offen
	buffer_load_dword v5, v7, s[0:3], 0 offen offset:4
	buffer_load_dword v6, v7, s[0:3], 0 offen offset:8
	buffer_load_dword v7, v7, s[0:3], 0 offen offset:12
	v_mov_b32_e32 v27, s49
	s_clause 0x3
	buffer_load_dword v8, v11, s[0:3], 0 offen
	buffer_load_dword v9, v11, s[0:3], 0 offen offset:4
	buffer_load_dword v10, v11, s[0:3], 0 offen offset:8
	buffer_load_dword v11, v11, s[0:3], 0 offen offset:12
	;; [unrolled: 6-line block ×7, first 2 shown]
	buffer_load_dword v32, v35, s[0:3], 0 offen
	buffer_load_dword v33, v35, s[0:3], 0 offen offset:4
	buffer_load_dword v34, v35, s[0:3], 0 offen offset:8
	buffer_load_dword v35, v35, s[0:3], 0 offen offset:12
	buffer_load_dword v36, v39, s[0:3], 0 offen
	buffer_load_dword v37, v39, s[0:3], 0 offen offset:4
	buffer_load_dword v38, v39, s[0:3], 0 offen offset:8
	buffer_load_dword v39, v39, s[0:3], 0 offen offset:12
	buffer_load_dword v40, v43, s[0:3], 0 offen
	buffer_load_dword v41, v43, s[0:3], 0 offen offset:4
	buffer_load_dword v42, v43, s[0:3], 0 offen offset:8
	buffer_load_dword v43, v43, s[0:3], 0 offen offset:12
	buffer_load_dword v44, v47, s[0:3], 0 offen
	buffer_load_dword v45, v47, s[0:3], 0 offen offset:4
	buffer_load_dword v46, v47, s[0:3], 0 offen offset:8
	buffer_load_dword v47, v47, s[0:3], 0 offen offset:12
	v_mov_b32_e32 v51, s38
	v_mov_b32_e32 v72, s24
	;; [unrolled: 1-line block ×12, first 2 shown]
	s_clause 0x17
	buffer_load_dword v48, v51, s[0:3], 0 offen
	buffer_load_dword v49, v51, s[0:3], 0 offen offset:4
	buffer_load_dword v50, v51, s[0:3], 0 offen offset:8
	buffer_load_dword v51, v51, s[0:3], 0 offen offset:12
	buffer_load_dword v52, v55, s[0:3], 0 offen
	buffer_load_dword v53, v55, s[0:3], 0 offen offset:4
	buffer_load_dword v54, v55, s[0:3], 0 offen offset:8
	buffer_load_dword v55, v55, s[0:3], 0 offen offset:12
	;; [unrolled: 4-line block ×6, first 2 shown]
	v_mov_b32_e32 v79, s43
	v_mov_b32_e32 v92, s29
	;; [unrolled: 1-line block ×19, first 2 shown]
	s_waitcnt vmcnt(62)
	global_store_dwordx4 v[93:94], v[0:3], off
	s_clause 0x7
	buffer_load_dword v0, v72, s[0:3], 0 offen
	buffer_load_dword v1, v72, s[0:3], 0 offen offset:4
	buffer_load_dword v2, v72, s[0:3], 0 offen offset:8
	;; [unrolled: 1-line block ×3, first 2 shown]
	buffer_load_dword v72, v75, s[0:3], 0 offen
	buffer_load_dword v73, v75, s[0:3], 0 offen offset:4
	buffer_load_dword v74, v75, s[0:3], 0 offen offset:8
	;; [unrolled: 1-line block ×3, first 2 shown]
	global_store_dwordx4 v[95:96], v[4:7], off
	s_clause 0x7
	buffer_load_dword v4, v76, s[0:3], 0 offen
	buffer_load_dword v5, v76, s[0:3], 0 offen offset:4
	buffer_load_dword v6, v76, s[0:3], 0 offen offset:8
	;; [unrolled: 1-line block ×3, first 2 shown]
	buffer_load_dword v76, v79, s[0:3], 0 offen
	buffer_load_dword v77, v79, s[0:3], 0 offen offset:4
	buffer_load_dword v78, v79, s[0:3], 0 offen offset:8
	;; [unrolled: 1-line block ×3, first 2 shown]
	s_waitcnt vmcnt(62)
	global_store_dwordx4 v[97:98], v[8:11], off
	s_clause 0x7
	buffer_load_dword v8, v80, s[0:3], 0 offen
	buffer_load_dword v9, v80, s[0:3], 0 offen offset:4
	buffer_load_dword v10, v80, s[0:3], 0 offen offset:8
	buffer_load_dword v11, v80, s[0:3], 0 offen offset:12
	buffer_load_dword v80, v83, s[0:3], 0 offen
	buffer_load_dword v81, v83, s[0:3], 0 offen offset:4
	buffer_load_dword v82, v83, s[0:3], 0 offen offset:8
	buffer_load_dword v83, v83, s[0:3], 0 offen offset:12
	global_store_dwordx4 v[99:100], v[12:15], off
	s_clause 0x7
	buffer_load_dword v12, v84, s[0:3], 0 offen
	buffer_load_dword v13, v84, s[0:3], 0 offen offset:4
	buffer_load_dword v14, v84, s[0:3], 0 offen offset:8
	buffer_load_dword v15, v84, s[0:3], 0 offen offset:12
	buffer_load_dword v84, v87, s[0:3], 0 offen
	buffer_load_dword v85, v87, s[0:3], 0 offen offset:4
	buffer_load_dword v86, v87, s[0:3], 0 offen offset:8
	buffer_load_dword v87, v87, s[0:3], 0 offen offset:12
	global_store_dwordx4 v[101:102], v[16:19], off
	s_clause 0x7
	buffer_load_dword v16, v88, s[0:3], 0 offen
	buffer_load_dword v17, v88, s[0:3], 0 offen offset:4
	buffer_load_dword v18, v88, s[0:3], 0 offen offset:8
	buffer_load_dword v19, v88, s[0:3], 0 offen offset:12
	buffer_load_dword v88, v91, s[0:3], 0 offen
	buffer_load_dword v89, v91, s[0:3], 0 offen offset:4
	buffer_load_dword v90, v91, s[0:3], 0 offen offset:8
	buffer_load_dword v91, v91, s[0:3], 0 offen offset:12
	global_store_dwordx4 v[103:104], v[20:23], off
	s_clause 0x7
	buffer_load_dword v20, v92, s[0:3], 0 offen
	buffer_load_dword v21, v92, s[0:3], 0 offen offset:4
	buffer_load_dword v22, v92, s[0:3], 0 offen offset:8
	buffer_load_dword v23, v92, s[0:3], 0 offen offset:12
	buffer_load_dword v92, v179, s[0:3], 0 offen
	buffer_load_dword v93, v179, s[0:3], 0 offen offset:4
	buffer_load_dword v94, v179, s[0:3], 0 offen offset:8
	buffer_load_dword v95, v179, s[0:3], 0 offen offset:12
	s_waitcnt vmcnt(62)
	global_store_dwordx4 v[105:106], v[24:27], off
	s_clause 0x7
	buffer_load_dword v24, v180, s[0:3], 0 offen
	buffer_load_dword v25, v180, s[0:3], 0 offen offset:4
	buffer_load_dword v26, v180, s[0:3], 0 offen offset:8
	buffer_load_dword v27, v180, s[0:3], 0 offen offset:12
	buffer_load_dword v96, v181, s[0:3], 0 offen
	buffer_load_dword v97, v181, s[0:3], 0 offen offset:4
	buffer_load_dword v98, v181, s[0:3], 0 offen offset:8
	buffer_load_dword v99, v181, s[0:3], 0 offen offset:12
	global_store_dwordx4 v[107:108], v[28:31], off
	s_clause 0x7
	buffer_load_dword v28, v182, s[0:3], 0 offen
	buffer_load_dword v29, v182, s[0:3], 0 offen offset:4
	buffer_load_dword v30, v182, s[0:3], 0 offen offset:8
	buffer_load_dword v31, v182, s[0:3], 0 offen offset:12
	buffer_load_dword v100, v183, s[0:3], 0 offen
	buffer_load_dword v101, v183, s[0:3], 0 offen offset:4
	buffer_load_dword v102, v183, s[0:3], 0 offen offset:8
	buffer_load_dword v103, v183, s[0:3], 0 offen offset:12
	;; [unrolled: 10-line block ×6, first 2 shown]
	buffer_load_dword v187, v192, s[0:3], 0 offen
	buffer_load_dword v188, v192, s[0:3], 0 offen offset:4
	buffer_load_dword v189, v192, s[0:3], 0 offen offset:8
	;; [unrolled: 1-line block ×3, first 2 shown]
	global_store_dwordx4 v[115:116], v[48:51], off
	global_store_dwordx4 v[119:120], v[52:55], off
	s_waitcnt vmcnt(62)
	global_store_dwordx4 v[121:122], v[56:59], off
	global_store_dwordx4 v[123:124], v[60:63], off
	global_store_dwordx4 v[125:126], v[64:67], off
	global_store_dwordx4 v[127:128], v[68:71], off
	global_store_dwordx4 v[129:130], v[0:3], off
	global_store_dwordx4 v[131:132], v[72:75], off
	global_store_dwordx4 v[133:134], v[4:7], off
	global_store_dwordx4 v[135:136], v[76:79], off
	global_store_dwordx4 v[137:138], v[8:11], off
	global_store_dwordx4 v[139:140], v[80:83], off
	global_store_dwordx4 v[141:142], v[12:15], off
	global_store_dwordx4 v[143:144], v[84:87], off
	global_store_dwordx4 v[145:146], v[16:19], off
	s_waitcnt vmcnt(60)
	global_store_dwordx4 v[147:148], v[88:91], off
	s_waitcnt vmcnt(56)
	global_store_dwordx4 v[149:150], v[20:23], off
	;; [unrolled: 2-line block ×16, first 2 shown]
	s_endpgm
	.section	.rodata,"a",@progbits
	.p2align	6, 0x0
	.amdhsa_kernel _ZN9rocsolver6v33100L18getri_kernel_smallILi43E19rocblas_complex_numIdEPS3_EEvT1_iilPiilS6_bb
		.amdhsa_group_segment_fixed_size 1384
		.amdhsa_private_segment_fixed_size 720
		.amdhsa_kernarg_size 60
		.amdhsa_user_sgpr_count 6
		.amdhsa_user_sgpr_private_segment_buffer 1
		.amdhsa_user_sgpr_dispatch_ptr 0
		.amdhsa_user_sgpr_queue_ptr 0
		.amdhsa_user_sgpr_kernarg_segment_ptr 1
		.amdhsa_user_sgpr_dispatch_id 0
		.amdhsa_user_sgpr_flat_scratch_init 0
		.amdhsa_user_sgpr_private_segment_size 0
		.amdhsa_wavefront_size32 1
		.amdhsa_uses_dynamic_stack 0
		.amdhsa_system_sgpr_private_segment_wavefront_offset 1
		.amdhsa_system_sgpr_workgroup_id_x 1
		.amdhsa_system_sgpr_workgroup_id_y 0
		.amdhsa_system_sgpr_workgroup_id_z 0
		.amdhsa_system_sgpr_workgroup_info 0
		.amdhsa_system_vgpr_workitem_id 0
		.amdhsa_next_free_vgpr 193
		.amdhsa_next_free_sgpr 59
		.amdhsa_reserve_vcc 1
		.amdhsa_reserve_flat_scratch 0
		.amdhsa_float_round_mode_32 0
		.amdhsa_float_round_mode_16_64 0
		.amdhsa_float_denorm_mode_32 3
		.amdhsa_float_denorm_mode_16_64 3
		.amdhsa_dx10_clamp 1
		.amdhsa_ieee_mode 1
		.amdhsa_fp16_overflow 0
		.amdhsa_workgroup_processor_mode 1
		.amdhsa_memory_ordered 1
		.amdhsa_forward_progress 1
		.amdhsa_shared_vgpr_count 0
		.amdhsa_exception_fp_ieee_invalid_op 0
		.amdhsa_exception_fp_denorm_src 0
		.amdhsa_exception_fp_ieee_div_zero 0
		.amdhsa_exception_fp_ieee_overflow 0
		.amdhsa_exception_fp_ieee_underflow 0
		.amdhsa_exception_fp_ieee_inexact 0
		.amdhsa_exception_int_div_zero 0
	.end_amdhsa_kernel
	.section	.text._ZN9rocsolver6v33100L18getri_kernel_smallILi43E19rocblas_complex_numIdEPS3_EEvT1_iilPiilS6_bb,"axG",@progbits,_ZN9rocsolver6v33100L18getri_kernel_smallILi43E19rocblas_complex_numIdEPS3_EEvT1_iilPiilS6_bb,comdat
.Lfunc_end42:
	.size	_ZN9rocsolver6v33100L18getri_kernel_smallILi43E19rocblas_complex_numIdEPS3_EEvT1_iilPiilS6_bb, .Lfunc_end42-_ZN9rocsolver6v33100L18getri_kernel_smallILi43E19rocblas_complex_numIdEPS3_EEvT1_iilPiilS6_bb
                                        ; -- End function
	.set _ZN9rocsolver6v33100L18getri_kernel_smallILi43E19rocblas_complex_numIdEPS3_EEvT1_iilPiilS6_bb.num_vgpr, 193
	.set _ZN9rocsolver6v33100L18getri_kernel_smallILi43E19rocblas_complex_numIdEPS3_EEvT1_iilPiilS6_bb.num_agpr, 0
	.set _ZN9rocsolver6v33100L18getri_kernel_smallILi43E19rocblas_complex_numIdEPS3_EEvT1_iilPiilS6_bb.numbered_sgpr, 59
	.set _ZN9rocsolver6v33100L18getri_kernel_smallILi43E19rocblas_complex_numIdEPS3_EEvT1_iilPiilS6_bb.num_named_barrier, 0
	.set _ZN9rocsolver6v33100L18getri_kernel_smallILi43E19rocblas_complex_numIdEPS3_EEvT1_iilPiilS6_bb.private_seg_size, 720
	.set _ZN9rocsolver6v33100L18getri_kernel_smallILi43E19rocblas_complex_numIdEPS3_EEvT1_iilPiilS6_bb.uses_vcc, 1
	.set _ZN9rocsolver6v33100L18getri_kernel_smallILi43E19rocblas_complex_numIdEPS3_EEvT1_iilPiilS6_bb.uses_flat_scratch, 0
	.set _ZN9rocsolver6v33100L18getri_kernel_smallILi43E19rocblas_complex_numIdEPS3_EEvT1_iilPiilS6_bb.has_dyn_sized_stack, 0
	.set _ZN9rocsolver6v33100L18getri_kernel_smallILi43E19rocblas_complex_numIdEPS3_EEvT1_iilPiilS6_bb.has_recursion, 0
	.set _ZN9rocsolver6v33100L18getri_kernel_smallILi43E19rocblas_complex_numIdEPS3_EEvT1_iilPiilS6_bb.has_indirect_call, 0
	.section	.AMDGPU.csdata,"",@progbits
; Kernel info:
; codeLenInByte = 128824
; TotalNumSgprs: 61
; NumVgprs: 193
; ScratchSize: 720
; MemoryBound: 0
; FloatMode: 240
; IeeeMode: 1
; LDSByteSize: 1384 bytes/workgroup (compile time only)
; SGPRBlocks: 0
; VGPRBlocks: 24
; NumSGPRsForWavesPerEU: 61
; NumVGPRsForWavesPerEU: 193
; Occupancy: 4
; WaveLimiterHint : 1
; COMPUTE_PGM_RSRC2:SCRATCH_EN: 1
; COMPUTE_PGM_RSRC2:USER_SGPR: 6
; COMPUTE_PGM_RSRC2:TRAP_HANDLER: 0
; COMPUTE_PGM_RSRC2:TGID_X_EN: 1
; COMPUTE_PGM_RSRC2:TGID_Y_EN: 0
; COMPUTE_PGM_RSRC2:TGID_Z_EN: 0
; COMPUTE_PGM_RSRC2:TIDIG_COMP_CNT: 0
	.section	.text._ZN9rocsolver6v33100L18getri_kernel_smallILi44E19rocblas_complex_numIdEPS3_EEvT1_iilPiilS6_bb,"axG",@progbits,_ZN9rocsolver6v33100L18getri_kernel_smallILi44E19rocblas_complex_numIdEPS3_EEvT1_iilPiilS6_bb,comdat
	.globl	_ZN9rocsolver6v33100L18getri_kernel_smallILi44E19rocblas_complex_numIdEPS3_EEvT1_iilPiilS6_bb ; -- Begin function _ZN9rocsolver6v33100L18getri_kernel_smallILi44E19rocblas_complex_numIdEPS3_EEvT1_iilPiilS6_bb
	.p2align	8
	.type	_ZN9rocsolver6v33100L18getri_kernel_smallILi44E19rocblas_complex_numIdEPS3_EEvT1_iilPiilS6_bb,@function
_ZN9rocsolver6v33100L18getri_kernel_smallILi44E19rocblas_complex_numIdEPS3_EEvT1_iilPiilS6_bb: ; @_ZN9rocsolver6v33100L18getri_kernel_smallILi44E19rocblas_complex_numIdEPS3_EEvT1_iilPiilS6_bb
; %bb.0:
	s_add_u32 s0, s0, s7
	s_addc_u32 s1, s1, 0
	s_mov_b32 s7, exec_lo
	v_cmpx_gt_u32_e32 44, v0
	s_cbranch_execz .LBB43_190
; %bb.1:
	s_clause 0x2
	s_load_dword s7, s[4:5], 0x38
	s_load_dwordx4 s[16:19], s[4:5], 0x10
	s_load_dwordx4 s[8:11], s[4:5], 0x28
                                        ; implicit-def: $sgpr20_sgpr21
	s_waitcnt lgkmcnt(0)
	s_bitcmp1_b32 s7, 8
	s_cselect_b32 s56, -1, 0
	s_bfe_u32 s12, s7, 0x10008
	s_ashr_i32 s7, s6, 31
	s_cmp_eq_u32 s12, 0
	s_cbranch_scc1 .LBB43_3
; %bb.2:
	s_load_dword s12, s[4:5], 0x20
	s_mul_i32 s13, s8, s7
	s_mul_hi_u32 s14, s8, s6
	s_mul_i32 s9, s9, s6
	s_add_i32 s13, s14, s13
	s_mul_i32 s8, s8, s6
	s_add_i32 s9, s13, s9
	s_lshl_b64 s[8:9], s[8:9], 2
	s_waitcnt lgkmcnt(0)
	s_ashr_i32 s13, s12, 31
	s_add_u32 s14, s18, s8
	s_addc_u32 s15, s19, s9
	s_lshl_b64 s[8:9], s[12:13], 2
	s_add_u32 s20, s14, s8
	s_addc_u32 s21, s15, s9
.LBB43_3:
	s_clause 0x1
	s_load_dwordx4 s[12:15], s[4:5], 0x0
	s_load_dword s57, s[4:5], 0x38
	s_mul_i32 s4, s16, s7
	s_mul_hi_u32 s5, s16, s6
	s_mul_i32 s8, s17, s6
	s_add_i32 s5, s5, s4
	s_mul_i32 s4, s16, s6
	s_add_i32 s5, s5, s8
	v_lshlrev_b32_e32 v145, 4, v0
	s_lshl_b64 s[4:5], s[4:5], 4
	s_movk_i32 s18, 0xf0
	s_movk_i32 s16, 0xd0
	;; [unrolled: 1-line block ×3, first 2 shown]
	s_mov_b32 s55, 32
	s_mov_b32 s54, 48
	;; [unrolled: 1-line block ×3, first 2 shown]
	s_movk_i32 s52, 0x50
	s_waitcnt lgkmcnt(0)
	v_add3_u32 v1, s15, s15, v0
	s_ashr_i32 s9, s14, 31
	s_mov_b32 s8, s14
	s_add_u32 s12, s12, s4
	s_addc_u32 s13, s13, s5
	s_lshl_b64 s[4:5], s[8:9], 4
	v_ashrrev_i32_e32 v2, 31, v1
	s_add_u32 s4, s12, s4
	s_addc_u32 s5, s13, s5
	v_add_nc_u32_e32 v5, s15, v1
	v_add_co_u32 v73, s12, s4, v145
	s_mov_b32 s8, s15
	s_ashr_i32 s9, s15, 31
	v_lshlrev_b64 v[6:7], 4, v[1:2]
	v_add_co_ci_u32_e64 v74, null, s5, 0, s12
	s_lshl_b64 s[8:9], s[8:9], 4
	v_add_nc_u32_e32 v8, s15, v5
	v_add_co_u32 v75, vcc_lo, v73, s8
	v_add_co_ci_u32_e64 v76, null, s9, v74, vcc_lo
	v_add_co_u32 v79, vcc_lo, s4, v6
	v_ashrrev_i32_e32 v6, 31, v5
	v_add_co_ci_u32_e64 v80, null, s5, v7, vcc_lo
	v_ashrrev_i32_e32 v9, 31, v8
	v_add_nc_u32_e32 v7, s15, v8
	v_lshlrev_b64 v[5:6], 4, v[5:6]
	s_clause 0x1
	global_load_dwordx4 v[1:4], v145, s[4:5]
	global_load_dwordx4 v[137:140], v[75:76], off
	v_lshlrev_b64 v[9:10], 4, v[8:9]
	v_ashrrev_i32_e32 v8, 31, v7
	v_add_nc_u32_e32 v11, s15, v7
	v_add_co_u32 v87, vcc_lo, s4, v5
	v_add_co_ci_u32_e64 v88, null, s5, v6, vcc_lo
	v_lshlrev_b64 v[5:6], 4, v[7:8]
	v_add_nc_u32_e32 v7, s15, v11
	v_ashrrev_i32_e32 v12, 31, v11
	v_add_co_u32 v77, vcc_lo, s4, v9
	v_add_co_ci_u32_e64 v78, null, s5, v10, vcc_lo
	v_ashrrev_i32_e32 v8, 31, v7
	v_add_co_u32 v83, vcc_lo, s4, v5
	v_add_nc_u32_e32 v5, s15, v7
	v_lshlrev_b64 v[9:10], 4, v[11:12]
	v_lshlrev_b64 v[7:8], 4, v[7:8]
	v_add_co_ci_u32_e64 v84, null, s5, v6, vcc_lo
	v_ashrrev_i32_e32 v6, 31, v5
	v_add_nc_u32_e32 v11, s15, v5
	v_add_co_u32 v93, vcc_lo, s4, v9
	v_add_co_ci_u32_e64 v94, null, s5, v10, vcc_lo
	v_add_co_u32 v81, vcc_lo, s4, v7
	v_lshlrev_b64 v[5:6], 4, v[5:6]
	v_add_nc_u32_e32 v7, s15, v11
	v_ashrrev_i32_e32 v12, 31, v11
	v_add_co_ci_u32_e64 v82, null, s5, v8, vcc_lo
	s_clause 0x1
	global_load_dwordx4 v[141:144], v[79:80], off
	global_load_dwordx4 v[150:153], v[77:78], off
	v_ashrrev_i32_e32 v8, 31, v7
	v_add_co_u32 v89, vcc_lo, s4, v5
	v_add_nc_u32_e32 v5, s15, v7
	v_lshlrev_b64 v[9:10], 4, v[11:12]
	v_lshlrev_b64 v[7:8], 4, v[7:8]
	v_add_co_ci_u32_e64 v90, null, s5, v6, vcc_lo
	v_ashrrev_i32_e32 v6, 31, v5
	v_add_nc_u32_e32 v11, s15, v5
	v_add_co_u32 v97, vcc_lo, s4, v9
	v_add_co_ci_u32_e64 v98, null, s5, v10, vcc_lo
	v_add_co_u32 v85, vcc_lo, s4, v7
	v_lshlrev_b64 v[5:6], 4, v[5:6]
	v_add_nc_u32_e32 v7, s15, v11
	v_ashrrev_i32_e32 v12, 31, v11
	v_add_co_ci_u32_e64 v86, null, s5, v8, vcc_lo
	global_load_dwordx4 v[146:149], v[87:88], off
	v_ashrrev_i32_e32 v8, 31, v7
	v_add_co_u32 v95, vcc_lo, s4, v5
	v_add_nc_u32_e32 v5, s15, v7
	v_lshlrev_b64 v[9:10], 4, v[11:12]
	v_lshlrev_b64 v[7:8], 4, v[7:8]
	s_clause 0x1
	global_load_dwordx4 v[154:157], v[83:84], off
	global_load_dwordx4 v[65:68], v[81:82], off
	v_add_nc_u32_e32 v11, s15, v5
	global_load_dwordx4 v[61:64], v[93:94], off
	v_add_co_ci_u32_e64 v96, null, s5, v6, vcc_lo
	v_ashrrev_i32_e32 v6, 31, v5
	v_add_co_u32 v99, vcc_lo, s4, v9
	v_add_co_ci_u32_e64 v100, null, s5, v10, vcc_lo
	v_add_co_u32 v91, vcc_lo, s4, v7
	v_add_nc_u32_e32 v7, s15, v11
	v_lshlrev_b64 v[5:6], 4, v[5:6]
	s_clause 0x2
	global_load_dwordx4 v[69:72], v[89:90], off
	global_load_dwordx4 v[41:44], v[97:98], off
	;; [unrolled: 1-line block ×3, first 2 shown]
	v_add_nc_u32_e32 v13, s15, v7
	v_ashrrev_i32_e32 v12, 31, v11
	v_add_co_ci_u32_e64 v92, null, s5, v8, vcc_lo
	v_add_co_u32 v101, vcc_lo, s4, v5
	global_load_dwordx4 v[45:48], v[85:86], off
	v_add_nc_u32_e32 v15, s15, v13
	v_add_co_ci_u32_e64 v102, null, s5, v6, vcc_lo
	v_ashrrev_i32_e32 v8, 31, v7
	v_lshlrev_b64 v[5:6], 4, v[11:12]
	global_load_dwordx4 v[49:52], v[95:96], off
	v_add_nc_u32_e32 v25, s15, v15
	global_load_dwordx4 v[37:40], v[101:102], off
	v_ashrrev_i32_e32 v14, 31, v13
	v_lshlrev_b64 v[7:8], 4, v[7:8]
	v_ashrrev_i32_e32 v16, 31, v15
	global_load_dwordx4 v[33:36], v[91:92], off
	v_add_co_u32 v103, vcc_lo, s4, v5
	v_ashrrev_i32_e32 v26, 31, v25
	v_add_co_ci_u32_e64 v104, null, s5, v6, vcc_lo
	v_lshlrev_b64 v[13:14], 4, v[13:14]
	v_add_co_u32 v105, vcc_lo, s4, v7
	v_lshlrev_b64 v[15:16], 4, v[15:16]
	v_add_co_ci_u32_e64 v106, null, s5, v8, vcc_lo
	v_lshlrev_b64 v[17:18], 4, v[25:26]
	global_load_dwordx4 v[5:8], v[103:104], off
	v_add_co_u32 v107, vcc_lo, s4, v13
	v_add_co_ci_u32_e64 v108, null, s5, v14, vcc_lo
	v_add_co_u32 v109, vcc_lo, s4, v15
	global_load_dwordx4 v[9:12], v[105:106], off
	v_add_co_ci_u32_e64 v110, null, s5, v16, vcc_lo
	v_add_co_u32 v111, vcc_lo, s4, v17
	v_add_co_ci_u32_e64 v112, null, s5, v18, vcc_lo
	s_clause 0x1
	global_load_dwordx4 v[13:16], v[107:108], off
	global_load_dwordx4 v[21:24], v[109:110], off
	v_add_nc_u32_e32 v25, s15, v25
	global_load_dwordx4 v[17:20], v[111:112], off
	s_add_i32 s29, s18, 16
	s_movk_i32 s14, 0xb0
	s_add_i32 s34, s16, 16
	v_add_nc_u32_e32 v27, s15, v25
	v_ashrrev_i32_e32 v26, 31, v25
	s_add_i32 s31, s17, 16
	s_movk_i32 s12, 0x90
	s_movk_i32 s13, 0xa0
	v_add_nc_u32_e32 v53, s15, v27
	v_ashrrev_i32_e32 v28, 31, v27
	v_lshlrev_b64 v[25:26], 4, v[25:26]
	s_add_i32 s38, s14, 16
	s_movk_i32 s8, 0x70
	v_add_nc_u32_e32 v55, s15, v53
	v_ashrrev_i32_e32 v54, 31, v53
	v_lshlrev_b64 v[27:28], 4, v[27:28]
	v_add_co_u32 v113, vcc_lo, s4, v25
	v_add_nc_u32_e32 v57, s15, v55
	v_ashrrev_i32_e32 v56, 31, v55
	v_lshlrev_b64 v[53:54], 4, v[53:54]
	v_add_co_ci_u32_e64 v114, null, s5, v26, vcc_lo
	v_add_nc_u32_e32 v121, s15, v57
	v_ashrrev_i32_e32 v58, 31, v57
	v_lshlrev_b64 v[55:56], 4, v[55:56]
	v_add_co_u32 v115, vcc_lo, s4, v27
	v_add_nc_u32_e32 v125, s15, v121
	v_ashrrev_i32_e32 v122, 31, v121
	v_lshlrev_b64 v[123:124], 4, v[57:58]
	v_add_co_ci_u32_e64 v116, null, s5, v28, vcc_lo
	v_add_nc_u32_e32 v129, s15, v125
	v_add_co_u32 v117, vcc_lo, s4, v53
	v_lshlrev_b64 v[127:128], 4, v[121:122]
	v_add_co_ci_u32_e64 v118, null, s5, v54, vcc_lo
	v_add_co_u32 v119, vcc_lo, s4, v55
	v_ashrrev_i32_e32 v130, 31, v129
	v_add_nc_u32_e32 v131, s15, v129
	v_add_co_ci_u32_e64 v120, null, s5, v56, vcc_lo
	v_add_co_u32 v121, vcc_lo, s4, v123
	v_add_co_ci_u32_e64 v122, null, s5, v124, vcc_lo
	v_add_co_u32 v123, vcc_lo, s4, v127
	v_add_co_ci_u32_e64 v124, null, s5, v128, vcc_lo
	v_lshlrev_b64 v[127:128], 4, v[129:130]
	v_add_nc_u32_e32 v129, s15, v131
	v_ashrrev_i32_e32 v126, 31, v125
	v_ashrrev_i32_e32 v132, 31, v131
	s_clause 0x2
	global_load_dwordx4 v[25:28], v[113:114], off
	global_load_dwordx4 v[57:60], v[115:116], off
	;; [unrolled: 1-line block ×3, first 2 shown]
	v_add_nc_u32_e32 v133, s15, v129
	v_lshlrev_b64 v[125:126], 4, v[125:126]
	v_ashrrev_i32_e32 v130, 31, v129
	v_lshlrev_b64 v[131:132], 4, v[131:132]
	s_clause 0x1
	global_load_dwordx4 v[158:161], v[119:120], off
	global_load_dwordx4 v[162:165], v[121:122], off
	v_add_nc_u32_e32 v182, s15, v133
	v_ashrrev_i32_e32 v134, 31, v133
	v_add_co_u32 v125, vcc_lo, s4, v125
	v_lshlrev_b64 v[135:136], 4, v[129:130]
	v_add_nc_u32_e32 v184, s15, v182
	v_add_co_ci_u32_e64 v126, null, s5, v126, vcc_lo
	v_add_co_u32 v127, vcc_lo, s4, v127
	v_lshlrev_b64 v[133:134], 4, v[133:134]
	v_add_co_ci_u32_e64 v128, null, s5, v128, vcc_lo
	v_add_co_u32 v129, vcc_lo, s4, v131
	v_add_nc_u32_e32 v186, s15, v184
	v_add_co_ci_u32_e64 v130, null, s5, v132, vcc_lo
	v_add_co_u32 v131, vcc_lo, s4, v135
	v_add_co_ci_u32_e64 v132, null, s5, v136, vcc_lo
	v_add_co_u32 v133, vcc_lo, s4, v133
	v_ashrrev_i32_e32 v183, 31, v182
	v_ashrrev_i32_e32 v185, 31, v184
	v_add_nc_u32_e32 v190, s15, v186
	v_add_co_ci_u32_e64 v134, null, s5, v134, vcc_lo
	s_clause 0x3
	global_load_dwordx4 v[166:169], v[123:124], off
	global_load_dwordx4 v[170:173], v[125:126], off
	;; [unrolled: 1-line block ×4, first 2 shown]
	v_lshlrev_b64 v[135:136], 4, v[182:183]
	v_lshlrev_b64 v[188:189], 4, v[184:185]
	v_ashrrev_i32_e32 v187, 31, v186
	v_ashrrev_i32_e32 v191, 31, v190
	s_movk_i32 s9, 0x80
	s_add_i32 s42, s12, 16
	v_add_co_u32 v135, vcc_lo, s4, v135
	v_add_co_ci_u32_e64 v136, null, s5, v136, vcc_lo
	s_add_i32 s40, s13, 16
	s_add_i32 s46, s8, 16
	;; [unrolled: 1-line block ×3, first 2 shown]
	s_waitcnt vmcnt(28)
	buffer_store_dword v4, off, s[0:3], 0 offset:28
	buffer_store_dword v3, off, s[0:3], 0 offset:24
	;; [unrolled: 1-line block ×4, first 2 shown]
	s_waitcnt vmcnt(27)
	buffer_store_dword v140, off, s[0:3], 0 offset:44
	buffer_store_dword v139, off, s[0:3], 0 offset:40
	;; [unrolled: 1-line block ×4, first 2 shown]
	s_clause 0x1
	global_load_dwordx4 v[1:4], v[131:132], off
	global_load_dwordx4 v[182:185], v[133:134], off
	s_waitcnt vmcnt(28)
	buffer_store_dword v144, off, s[0:3], 0 offset:60
	buffer_store_dword v143, off, s[0:3], 0 offset:56
	;; [unrolled: 1-line block ×4, first 2 shown]
	v_add_nc_u32_e32 v141, s15, v190
	v_lshlrev_b64 v[139:140], 4, v[186:187]
	v_add_co_u32 v137, vcc_lo, s4, v188
	v_lshlrev_b64 v[143:144], 4, v[190:191]
	v_ashrrev_i32_e32 v142, 31, v141
	v_add_nc_u32_e32 v186, s15, v141
	v_add_co_ci_u32_e64 v138, null, s5, v189, vcc_lo
	v_add_co_u32 v139, vcc_lo, s4, v139
	v_lshlrev_b64 v[188:189], 4, v[141:142]
	v_add_nc_u32_e32 v190, s15, v186
	v_ashrrev_i32_e32 v187, 31, v186
	v_add_co_ci_u32_e64 v140, null, s5, v140, vcc_lo
	v_add_co_u32 v141, vcc_lo, s4, v143
	v_add_co_ci_u32_e64 v142, null, s5, v144, vcc_lo
	v_ashrrev_i32_e32 v191, 31, v190
	v_add_co_u32 v143, vcc_lo, s4, v188
	v_add_nc_u32_e32 v188, s15, v190
	v_lshlrev_b64 v[186:187], 4, v[186:187]
	s_waitcnt vmcnt(26)
	buffer_store_dword v149, off, s[0:3], 0 offset:76
	buffer_store_dword v148, off, s[0:3], 0 offset:72
	;; [unrolled: 1-line block ×8, first 2 shown]
	s_clause 0x1
	global_load_dwordx4 v[146:149], v[135:136], off
	global_load_dwordx4 v[150:153], v[137:138], off
	s_waitcnt vmcnt(27)
	buffer_store_dword v157, off, s[0:3], 0 offset:108
	buffer_store_dword v156, off, s[0:3], 0 offset:104
	;; [unrolled: 1-line block ×4, first 2 shown]
	v_add_co_ci_u32_e64 v144, null, s5, v189, vcc_lo
	s_waitcnt vmcnt(25)
	buffer_store_dword v64, off, s[0:3], 0 offset:124
	buffer_store_dword v63, off, s[0:3], 0 offset:120
	;; [unrolled: 1-line block ×8, first 2 shown]
	v_lshlrev_b64 v[63:64], 4, v[190:191]
	v_ashrrev_i32_e32 v189, 31, v188
	v_add_nc_u32_e32 v190, s15, v188
	v_add_co_u32 v61, vcc_lo, s4, v186
	v_add_co_ci_u32_e64 v62, null, s5, v187, vcc_lo
	v_lshlrev_b64 v[186:187], 4, v[188:189]
	v_ashrrev_i32_e32 v191, 31, v190
	v_add_nc_u32_e32 v188, s15, v190
	s_clause 0x1
	global_load_dwordx4 v[65:68], v[139:140], off
	global_load_dwordx4 v[154:157], v[141:142], off
	s_waitcnt vmcnt(26)
	buffer_store_dword v72, off, s[0:3], 0 offset:156
	buffer_store_dword v71, off, s[0:3], 0 offset:152
	buffer_store_dword v70, off, s[0:3], 0 offset:148
	buffer_store_dword v69, off, s[0:3], 0 offset:144
	s_waitcnt vmcnt(25)
	buffer_store_dword v41, off, s[0:3], 0 offset:160
	buffer_store_dword v42, off, s[0:3], 0 offset:164
	buffer_store_dword v43, off, s[0:3], 0 offset:168
	buffer_store_dword v44, off, s[0:3], 0 offset:172
	;; [unrolled: 5-line block ×3, first 2 shown]
	v_lshlrev_b64 v[43:44], 4, v[190:191]
	v_ashrrev_i32_e32 v189, 31, v188
	v_add_nc_u32_e32 v190, s15, v188
	v_add_co_u32 v63, vcc_lo, s4, v63
	v_add_co_ci_u32_e64 v64, null, s5, v64, vcc_lo
	v_add_co_u32 v41, vcc_lo, s4, v186
	v_add_co_ci_u32_e64 v42, null, s5, v187, vcc_lo
	v_lshlrev_b64 v[186:187], 4, v[188:189]
	v_add_nc_u32_e32 v188, s15, v190
	s_clause 0x1
	global_load_dwordx4 v[45:48], v[143:144], off
	global_load_dwordx4 v[69:72], v[61:62], off
	s_waitcnt vmcnt(24)
	buffer_store_dword v49, off, s[0:3], 0 offset:192
	buffer_store_dword v50, off, s[0:3], 0 offset:196
	;; [unrolled: 1-line block ×8, first 2 shown]
	s_waitcnt vmcnt(22)
	buffer_store_dword v36, off, s[0:3], 0 offset:236
	buffer_store_dword v35, off, s[0:3], 0 offset:232
	;; [unrolled: 1-line block ×4, first 2 shown]
	s_clause 0x1
	global_load_dwordx4 v[31:34], v[63:64], off
	global_load_dwordx4 v[49:52], v[41:42], off
	buffer_store_dword v40, off, s[0:3], 0 offset:252
	buffer_store_dword v39, off, s[0:3], 0 offset:248
	;; [unrolled: 1-line block ×4, first 2 shown]
	v_add_nc_u32_e32 v39, s15, v188
	v_ashrrev_i32_e32 v191, 31, v190
	v_ashrrev_i32_e32 v189, 31, v188
	v_add_co_u32 v43, vcc_lo, s4, v43
	v_ashrrev_i32_e32 v40, 31, v39
	v_lshlrev_b64 v[190:191], 4, v[190:191]
	v_lshlrev_b64 v[192:193], 4, v[188:189]
	v_add_co_ci_u32_e64 v44, null, s5, v44, vcc_lo
	v_add_co_u32 v29, vcc_lo, s4, v186
	s_waitcnt vmcnt(23)
	buffer_store_dword v8, off, s[0:3], 0 offset:268
	buffer_store_dword v7, off, s[0:3], 0 offset:264
	;; [unrolled: 1-line block ×4, first 2 shown]
	s_waitcnt vmcnt(22)
	buffer_store_dword v12, off, s[0:3], 0 offset:284
	buffer_store_dword v11, off, s[0:3], 0 offset:280
	;; [unrolled: 1-line block ×4, first 2 shown]
	v_lshlrev_b64 v[9:10], 4, v[39:40]
	v_add_co_ci_u32_e64 v30, null, s5, v187, vcc_lo
	v_add_co_u32 v5, vcc_lo, s4, v190
	v_add_co_ci_u32_e64 v6, null, s5, v191, vcc_lo
	v_add_co_u32 v7, vcc_lo, s4, v192
	;; [unrolled: 2-line block ×3, first 2 shown]
	v_add_co_ci_u32_e64 v10, null, s5, v10, vcc_lo
	s_clause 0x1
	global_load_dwordx4 v[35:38], v[43:44], off
	global_load_dwordx4 v[186:189], v[29:30], off
	s_waitcnt vmcnt(23)
	buffer_store_dword v16, off, s[0:3], 0 offset:300
	buffer_store_dword v15, off, s[0:3], 0 offset:296
	;; [unrolled: 1-line block ×4, first 2 shown]
	s_waitcnt vmcnt(22)
	buffer_store_dword v24, off, s[0:3], 0 offset:316
	buffer_store_dword v23, off, s[0:3], 0 offset:312
	buffer_store_dword v22, off, s[0:3], 0 offset:308
	buffer_store_dword v21, off, s[0:3], 0 offset:304
	s_clause 0x1
	global_load_dwordx4 v[11:14], v[5:6], off
	global_load_dwordx4 v[21:24], v[7:8], off
	s_waitcnt vmcnt(23)
	buffer_store_dword v20, off, s[0:3], 0 offset:332
	buffer_store_dword v19, off, s[0:3], 0 offset:328
	buffer_store_dword v18, off, s[0:3], 0 offset:324
	buffer_store_dword v17, off, s[0:3], 0 offset:320
	global_load_dwordx4 v[15:18], v[9:10], off
	s_movk_i32 s4, 0x50
	s_movk_i32 s5, 0x60
	s_add_i32 s51, s4, 16
	s_add_i32 s49, s5, 16
	s_movk_i32 s4, 0x100
	s_movk_i32 s5, 0x110
	s_add_i32 s50, s4, 16
	s_add_i32 s48, s5, 16
	;; [unrolled: 4-line block ×11, first 2 shown]
	s_movk_i32 s4, 0x240
	s_movk_i32 s5, 0x250
	;; [unrolled: 1-line block ×3, first 2 shown]
	s_add_i32 s17, s4, 16
	s_add_i32 s16, s5, 16
	s_movk_i32 s4, 0x260
	s_movk_i32 s5, 0x270
	s_add_i32 s36, s15, 16
	s_add_i32 s15, s4, 16
	;; [unrolled: 1-line block ×3, first 2 shown]
	s_movk_i32 s4, 0x280
	s_movk_i32 s5, 0x290
	s_add_i32 s13, s4, 16
	s_add_i32 s12, s5, 16
	s_movk_i32 s4, 0x2a0
	s_movk_i32 s5, 0x2b0
	s_add_i32 s9, s4, 16
	s_add_i32 s8, s5, 16
	s_bitcmp0_b32 s57, 0
	s_mov_b32 s5, -1
	s_waitcnt vmcnt(23)
	buffer_store_dword v28, off, s[0:3], 0 offset:348
	buffer_store_dword v27, off, s[0:3], 0 offset:344
	buffer_store_dword v26, off, s[0:3], 0 offset:340
	buffer_store_dword v25, off, s[0:3], 0 offset:336
	s_waitcnt vmcnt(22)
	buffer_store_dword v60, off, s[0:3], 0 offset:364
	buffer_store_dword v59, off, s[0:3], 0 offset:360
	buffer_store_dword v58, off, s[0:3], 0 offset:356
	buffer_store_dword v57, off, s[0:3], 0 offset:352
	;; [unrolled: 5-line block ×24, first 2 shown]
	s_cbranch_scc1 .LBB43_188
; %bb.4:
	v_cmp_eq_u32_e64 s4, 0, v0
	s_and_saveexec_b32 s5, s4
; %bb.5:
	v_mov_b32_e32 v1, 0
	ds_write_b32 v1, v1 offset:1408
; %bb.6:
	s_or_b32 exec_lo, exec_lo, s5
	v_lshl_add_u32 v17, v0, 4, 16
	s_waitcnt lgkmcnt(0)
	s_waitcnt_vscnt null, 0x0
	s_barrier
	buffer_gl0_inv
	s_clause 0x3
	buffer_load_dword v1, v17, s[0:3], 0 offen
	buffer_load_dword v2, v17, s[0:3], 0 offen offset:4
	buffer_load_dword v3, v17, s[0:3], 0 offen offset:8
	;; [unrolled: 1-line block ×3, first 2 shown]
	s_waitcnt vmcnt(2)
	v_cmp_eq_f64_e32 vcc_lo, 0, v[1:2]
	s_waitcnt vmcnt(0)
	v_cmp_eq_f64_e64 s5, 0, v[3:4]
	s_and_b32 s5, vcc_lo, s5
	s_and_saveexec_b32 s57, s5
	s_cbranch_execz .LBB43_10
; %bb.7:
	v_mov_b32_e32 v1, 0
	s_mov_b32 s58, 0
	ds_read_b32 v2, v1 offset:1408
	s_waitcnt lgkmcnt(0)
	v_readfirstlane_b32 s5, v2
	v_add_nc_u32_e32 v2, 1, v0
	s_cmp_eq_u32 s5, 0
	v_cmp_gt_i32_e32 vcc_lo, s5, v2
	s_cselect_b32 s59, -1, 0
	s_or_b32 s59, s59, vcc_lo
	s_and_b32 exec_lo, exec_lo, s59
	s_cbranch_execz .LBB43_10
; %bb.8:
	v_mov_b32_e32 v3, s5
.LBB43_9:                               ; =>This Inner Loop Header: Depth=1
	ds_cmpst_rtn_b32 v3, v1, v3, v2 offset:1408
	s_waitcnt lgkmcnt(0)
	v_cmp_ne_u32_e32 vcc_lo, 0, v3
	v_cmp_le_i32_e64 s5, v3, v2
	s_and_b32 s5, vcc_lo, s5
	s_and_b32 s5, exec_lo, s5
	s_or_b32 s58, s5, s58
	s_andn2_b32 exec_lo, exec_lo, s58
	s_cbranch_execnz .LBB43_9
.LBB43_10:
	s_or_b32 exec_lo, exec_lo, s57
	v_mov_b32_e32 v1, 0
	s_barrier
	buffer_gl0_inv
	ds_read_b32 v2, v1 offset:1408
	s_and_saveexec_b32 s5, s4
	s_cbranch_execz .LBB43_12
; %bb.11:
	s_lshl_b64 s[58:59], s[6:7], 2
	s_add_u32 s58, s10, s58
	s_addc_u32 s59, s11, s59
	s_waitcnt lgkmcnt(0)
	global_store_dword v1, v2, s[58:59]
.LBB43_12:
	s_or_b32 exec_lo, exec_lo, s5
	s_waitcnt lgkmcnt(0)
	v_cmp_ne_u32_e32 vcc_lo, 0, v2
	s_mov_b32 s5, 0
	s_cbranch_vccnz .LBB43_188
; %bb.13:
	s_clause 0x3
	buffer_load_dword v13, v17, s[0:3], 0 offen
	buffer_load_dword v14, v17, s[0:3], 0 offen offset:4
	buffer_load_dword v15, v17, s[0:3], 0 offen offset:8
	;; [unrolled: 1-line block ×3, first 2 shown]
                                        ; implicit-def: $vgpr11_vgpr12
                                        ; implicit-def: $vgpr3_vgpr4
	s_waitcnt vmcnt(0)
	v_cmp_ngt_f64_e64 s5, |v[13:14]|, |v[15:16]|
	s_and_saveexec_b32 s57, s5
	s_xor_b32 s5, exec_lo, s57
	s_cbranch_execz .LBB43_15
; %bb.14:
	v_div_scale_f64 v[1:2], null, v[15:16], v[15:16], v[13:14]
	v_div_scale_f64 v[18:19], vcc_lo, v[13:14], v[15:16], v[13:14]
	v_rcp_f64_e32 v[3:4], v[1:2]
	v_fma_f64 v[11:12], -v[1:2], v[3:4], 1.0
	v_fma_f64 v[3:4], v[3:4], v[11:12], v[3:4]
	v_fma_f64 v[11:12], -v[1:2], v[3:4], 1.0
	v_fma_f64 v[3:4], v[3:4], v[11:12], v[3:4]
	v_mul_f64 v[11:12], v[18:19], v[3:4]
	v_fma_f64 v[1:2], -v[1:2], v[11:12], v[18:19]
	v_div_fmas_f64 v[1:2], v[1:2], v[3:4], v[11:12]
	v_div_fixup_f64 v[1:2], v[1:2], v[15:16], v[13:14]
	v_fma_f64 v[3:4], v[13:14], v[1:2], v[15:16]
	v_div_scale_f64 v[11:12], null, v[3:4], v[3:4], 1.0
	v_div_scale_f64 v[18:19], vcc_lo, 1.0, v[3:4], 1.0
	v_rcp_f64_e32 v[13:14], v[11:12]
	v_fma_f64 v[15:16], -v[11:12], v[13:14], 1.0
	v_fma_f64 v[13:14], v[13:14], v[15:16], v[13:14]
	v_fma_f64 v[15:16], -v[11:12], v[13:14], 1.0
	v_fma_f64 v[13:14], v[13:14], v[15:16], v[13:14]
	v_mul_f64 v[15:16], v[18:19], v[13:14]
	v_fma_f64 v[11:12], -v[11:12], v[15:16], v[18:19]
	v_div_fmas_f64 v[11:12], v[11:12], v[13:14], v[15:16]
                                        ; implicit-def: $vgpr13_vgpr14
                                        ; implicit-def: $vgpr15_vgpr16
	v_div_fixup_f64 v[3:4], v[11:12], v[3:4], 1.0
	v_mul_f64 v[11:12], v[1:2], v[3:4]
	v_xor_b32_e32 v4, 0x80000000, v4
	v_xor_b32_e32 v2, 0x80000000, v12
	v_mov_b32_e32 v1, v11
.LBB43_15:
	s_andn2_saveexec_b32 s5, s5
	s_cbranch_execz .LBB43_17
; %bb.16:
	v_div_scale_f64 v[1:2], null, v[13:14], v[13:14], v[15:16]
	v_div_scale_f64 v[18:19], vcc_lo, v[15:16], v[13:14], v[15:16]
	v_rcp_f64_e32 v[3:4], v[1:2]
	v_fma_f64 v[11:12], -v[1:2], v[3:4], 1.0
	v_fma_f64 v[3:4], v[3:4], v[11:12], v[3:4]
	v_fma_f64 v[11:12], -v[1:2], v[3:4], 1.0
	v_fma_f64 v[3:4], v[3:4], v[11:12], v[3:4]
	v_mul_f64 v[11:12], v[18:19], v[3:4]
	v_fma_f64 v[1:2], -v[1:2], v[11:12], v[18:19]
	v_div_fmas_f64 v[1:2], v[1:2], v[3:4], v[11:12]
	v_div_fixup_f64 v[1:2], v[1:2], v[13:14], v[15:16]
	v_fma_f64 v[3:4], v[15:16], v[1:2], v[13:14]
	v_div_scale_f64 v[11:12], null, v[3:4], v[3:4], 1.0
	v_rcp_f64_e32 v[13:14], v[11:12]
	v_fma_f64 v[15:16], -v[11:12], v[13:14], 1.0
	v_fma_f64 v[13:14], v[13:14], v[15:16], v[13:14]
	v_fma_f64 v[15:16], -v[11:12], v[13:14], 1.0
	v_fma_f64 v[13:14], v[13:14], v[15:16], v[13:14]
	v_div_scale_f64 v[15:16], vcc_lo, 1.0, v[3:4], 1.0
	v_mul_f64 v[18:19], v[15:16], v[13:14]
	v_fma_f64 v[11:12], -v[11:12], v[18:19], v[15:16]
	v_div_fmas_f64 v[11:12], v[11:12], v[13:14], v[18:19]
	v_div_fixup_f64 v[11:12], v[11:12], v[3:4], 1.0
	v_mul_f64 v[3:4], v[1:2], -v[11:12]
	v_xor_b32_e32 v2, 0x80000000, v12
	v_mov_b32_e32 v1, v11
.LBB43_17:
	s_or_b32 exec_lo, exec_lo, s5
	v_mov_b32_e32 v16, s55
	buffer_store_dword v12, v17, s[0:3], 0 offen offset:4
	buffer_store_dword v11, v17, s[0:3], 0 offen
	buffer_store_dword v4, v17, s[0:3], 0 offen offset:12
	buffer_store_dword v3, v17, s[0:3], 0 offen offset:8
	v_xor_b32_e32 v4, 0x80000000, v4
	v_add_nc_u32_e32 v11, 0x2c0, v145
	s_clause 0x3
	buffer_load_dword v15, v16, s[0:3], 0 offen offset:12
	buffer_load_dword v14, v16, s[0:3], 0 offen offset:8
	;; [unrolled: 1-line block ×3, first 2 shown]
	buffer_load_dword v12, v16, s[0:3], 0 offen
	ds_write_b128 v145, v[1:4]
	s_waitcnt vmcnt(0)
	ds_write_b128 v145, v[12:15] offset:704
	s_waitcnt lgkmcnt(0)
	s_waitcnt_vscnt null, 0x0
	s_barrier
	buffer_gl0_inv
	s_and_saveexec_b32 s5, s4
	s_cbranch_execz .LBB43_19
; %bb.18:
	s_clause 0x3
	buffer_load_dword v18, v17, s[0:3], 0 offen offset:8
	buffer_load_dword v19, v17, s[0:3], 0 offen offset:12
	buffer_load_dword v20, v17, s[0:3], 0 offen
	buffer_load_dword v21, v17, s[0:3], 0 offen offset:4
	ds_read_b128 v[1:4], v11
	v_mov_b32_e32 v12, 0
	ds_read_b128 v[12:15], v12 offset:16
	s_waitcnt vmcnt(2) lgkmcnt(1)
	v_mul_f64 v[22:23], v[1:2], v[18:19]
	v_mul_f64 v[18:19], v[3:4], v[18:19]
	s_waitcnt vmcnt(0)
	v_fma_f64 v[3:4], v[3:4], v[20:21], v[22:23]
	v_fma_f64 v[1:2], v[1:2], v[20:21], -v[18:19]
	v_add_f64 v[3:4], v[3:4], 0
	v_add_f64 v[1:2], v[1:2], 0
	s_waitcnt lgkmcnt(0)
	v_mul_f64 v[18:19], v[3:4], v[14:15]
	v_mul_f64 v[14:15], v[1:2], v[14:15]
	v_fma_f64 v[1:2], v[1:2], v[12:13], -v[18:19]
	v_fma_f64 v[3:4], v[3:4], v[12:13], v[14:15]
	buffer_store_dword v1, off, s[0:3], 0 offset:32
	buffer_store_dword v2, off, s[0:3], 0 offset:36
	;; [unrolled: 1-line block ×4, first 2 shown]
.LBB43_19:
	s_or_b32 exec_lo, exec_lo, s5
	v_mov_b32_e32 v4, s54
	s_waitcnt_vscnt null, 0x0
	s_barrier
	buffer_gl0_inv
	s_mov_b32 s5, exec_lo
	s_clause 0x3
	buffer_load_dword v1, v4, s[0:3], 0 offen
	buffer_load_dword v2, v4, s[0:3], 0 offen offset:4
	buffer_load_dword v3, v4, s[0:3], 0 offen offset:8
	;; [unrolled: 1-line block ×3, first 2 shown]
	s_waitcnt vmcnt(0)
	ds_write_b128 v11, v[1:4]
	s_waitcnt lgkmcnt(0)
	s_barrier
	buffer_gl0_inv
	v_cmpx_gt_u32_e32 2, v0
	s_cbranch_execz .LBB43_23
; %bb.20:
	s_clause 0x3
	buffer_load_dword v12, v17, s[0:3], 0 offen offset:8
	buffer_load_dword v13, v17, s[0:3], 0 offen offset:12
	buffer_load_dword v14, v17, s[0:3], 0 offen
	buffer_load_dword v15, v17, s[0:3], 0 offen offset:4
	ds_read_b128 v[1:4], v11
	s_waitcnt vmcnt(2) lgkmcnt(0)
	v_mul_f64 v[16:17], v[3:4], v[12:13]
	v_mul_f64 v[12:13], v[1:2], v[12:13]
	s_waitcnt vmcnt(0)
	v_fma_f64 v[1:2], v[1:2], v[14:15], -v[16:17]
	v_fma_f64 v[3:4], v[3:4], v[14:15], v[12:13]
	v_add_f64 v[1:2], v[1:2], 0
	v_add_f64 v[3:4], v[3:4], 0
	s_and_saveexec_b32 s57, s4
	s_cbranch_execz .LBB43_22
; %bb.21:
	s_clause 0x3
	buffer_load_dword v16, off, s[0:3], 0 offset:40
	buffer_load_dword v17, off, s[0:3], 0 offset:44
	;; [unrolled: 1-line block ×4, first 2 shown]
	v_mov_b32_e32 v12, 0
	ds_read_b128 v[12:15], v12 offset:720
	s_waitcnt vmcnt(2) lgkmcnt(0)
	v_mul_f64 v[20:21], v[12:13], v[16:17]
	v_mul_f64 v[16:17], v[14:15], v[16:17]
	s_waitcnt vmcnt(0)
	v_fma_f64 v[14:15], v[14:15], v[18:19], v[20:21]
	v_fma_f64 v[12:13], v[12:13], v[18:19], -v[16:17]
	v_add_f64 v[3:4], v[3:4], v[14:15]
	v_add_f64 v[1:2], v[1:2], v[12:13]
.LBB43_22:
	s_or_b32 exec_lo, exec_lo, s57
	v_mov_b32_e32 v12, 0
	ds_read_b128 v[12:15], v12 offset:32
	s_waitcnt lgkmcnt(0)
	v_mul_f64 v[16:17], v[3:4], v[14:15]
	v_mul_f64 v[14:15], v[1:2], v[14:15]
	v_fma_f64 v[1:2], v[1:2], v[12:13], -v[16:17]
	v_fma_f64 v[3:4], v[3:4], v[12:13], v[14:15]
	buffer_store_dword v2, off, s[0:3], 0 offset:52
	buffer_store_dword v1, off, s[0:3], 0 offset:48
	;; [unrolled: 1-line block ×4, first 2 shown]
.LBB43_23:
	s_or_b32 exec_lo, exec_lo, s5
	v_mov_b32_e32 v4, s53
	s_waitcnt_vscnt null, 0x0
	s_barrier
	buffer_gl0_inv
	v_add_nc_u32_e32 v12, -1, v0
	s_clause 0x3
	buffer_load_dword v1, v4, s[0:3], 0 offen
	buffer_load_dword v2, v4, s[0:3], 0 offen offset:4
	buffer_load_dword v3, v4, s[0:3], 0 offen offset:8
	;; [unrolled: 1-line block ×3, first 2 shown]
	s_mov_b32 s4, exec_lo
	s_waitcnt vmcnt(0)
	ds_write_b128 v11, v[1:4]
	s_waitcnt lgkmcnt(0)
	s_barrier
	buffer_gl0_inv
	v_cmpx_gt_u32_e32 3, v0
	s_cbranch_execz .LBB43_27
; %bb.24:
	v_mov_b32_e32 v1, 0
	v_mov_b32_e32 v3, 0
	v_add_nc_u32_e32 v13, -1, v0
	v_add_nc_u32_e32 v14, 0x2c0, v145
	v_mov_b32_e32 v2, 0
	v_mov_b32_e32 v4, 0
	v_add_nc_u32_e32 v15, 16, v145
	s_mov_b32 s5, 0
	.p2align	6
.LBB43_25:                              ; =>This Inner Loop Header: Depth=1
	s_clause 0x3
	buffer_load_dword v20, v15, s[0:3], 0 offen offset:8
	buffer_load_dword v21, v15, s[0:3], 0 offen offset:12
	buffer_load_dword v22, v15, s[0:3], 0 offen
	buffer_load_dword v23, v15, s[0:3], 0 offen offset:4
	ds_read_b128 v[16:19], v14
	v_add_nc_u32_e32 v13, 1, v13
	v_add_nc_u32_e32 v14, 16, v14
	;; [unrolled: 1-line block ×3, first 2 shown]
	v_cmp_lt_u32_e32 vcc_lo, 1, v13
	s_or_b32 s5, vcc_lo, s5
	s_waitcnt vmcnt(2) lgkmcnt(0)
	v_mul_f64 v[24:25], v[18:19], v[20:21]
	v_mul_f64 v[20:21], v[16:17], v[20:21]
	s_waitcnt vmcnt(0)
	v_fma_f64 v[16:17], v[16:17], v[22:23], -v[24:25]
	v_fma_f64 v[18:19], v[18:19], v[22:23], v[20:21]
	v_add_f64 v[3:4], v[3:4], v[16:17]
	v_add_f64 v[1:2], v[1:2], v[18:19]
	s_andn2_b32 exec_lo, exec_lo, s5
	s_cbranch_execnz .LBB43_25
; %bb.26:
	s_or_b32 exec_lo, exec_lo, s5
	v_mov_b32_e32 v13, 0
	ds_read_b128 v[13:16], v13 offset:48
	s_waitcnt lgkmcnt(0)
	v_mul_f64 v[17:18], v[1:2], v[15:16]
	v_mul_f64 v[15:16], v[3:4], v[15:16]
	v_fma_f64 v[3:4], v[3:4], v[13:14], -v[17:18]
	v_fma_f64 v[1:2], v[1:2], v[13:14], v[15:16]
	buffer_store_dword v4, off, s[0:3], 0 offset:68
	buffer_store_dword v3, off, s[0:3], 0 offset:64
	;; [unrolled: 1-line block ×4, first 2 shown]
.LBB43_27:
	s_or_b32 exec_lo, exec_lo, s4
	v_mov_b32_e32 v4, s52
	s_waitcnt_vscnt null, 0x0
	s_barrier
	buffer_gl0_inv
	s_mov_b32 s4, exec_lo
	s_clause 0x3
	buffer_load_dword v1, v4, s[0:3], 0 offen
	buffer_load_dword v2, v4, s[0:3], 0 offen offset:4
	buffer_load_dword v3, v4, s[0:3], 0 offen offset:8
	;; [unrolled: 1-line block ×3, first 2 shown]
	s_waitcnt vmcnt(0)
	ds_write_b128 v11, v[1:4]
	s_waitcnt lgkmcnt(0)
	s_barrier
	buffer_gl0_inv
	v_cmpx_gt_u32_e32 4, v0
	s_cbranch_execz .LBB43_31
; %bb.28:
	v_mov_b32_e32 v1, 0
	v_mov_b32_e32 v3, 0
	v_add_nc_u32_e32 v13, -1, v0
	v_add_nc_u32_e32 v14, 0x2c0, v145
	v_mov_b32_e32 v2, 0
	v_mov_b32_e32 v4, 0
	v_add_nc_u32_e32 v15, 16, v145
	s_mov_b32 s5, 0
	.p2align	6
.LBB43_29:                              ; =>This Inner Loop Header: Depth=1
	s_clause 0x3
	buffer_load_dword v20, v15, s[0:3], 0 offen offset:8
	buffer_load_dword v21, v15, s[0:3], 0 offen offset:12
	buffer_load_dword v22, v15, s[0:3], 0 offen
	buffer_load_dword v23, v15, s[0:3], 0 offen offset:4
	ds_read_b128 v[16:19], v14
	v_add_nc_u32_e32 v13, 1, v13
	v_add_nc_u32_e32 v14, 16, v14
	;; [unrolled: 1-line block ×3, first 2 shown]
	v_cmp_lt_u32_e32 vcc_lo, 2, v13
	s_or_b32 s5, vcc_lo, s5
	s_waitcnt vmcnt(2) lgkmcnt(0)
	v_mul_f64 v[24:25], v[18:19], v[20:21]
	v_mul_f64 v[20:21], v[16:17], v[20:21]
	s_waitcnt vmcnt(0)
	v_fma_f64 v[16:17], v[16:17], v[22:23], -v[24:25]
	v_fma_f64 v[18:19], v[18:19], v[22:23], v[20:21]
	v_add_f64 v[3:4], v[3:4], v[16:17]
	v_add_f64 v[1:2], v[1:2], v[18:19]
	s_andn2_b32 exec_lo, exec_lo, s5
	s_cbranch_execnz .LBB43_29
; %bb.30:
	s_or_b32 exec_lo, exec_lo, s5
	v_mov_b32_e32 v13, 0
	ds_read_b128 v[13:16], v13 offset:64
	s_waitcnt lgkmcnt(0)
	v_mul_f64 v[17:18], v[1:2], v[15:16]
	v_mul_f64 v[15:16], v[3:4], v[15:16]
	v_fma_f64 v[3:4], v[3:4], v[13:14], -v[17:18]
	v_fma_f64 v[1:2], v[1:2], v[13:14], v[15:16]
	buffer_store_dword v4, off, s[0:3], 0 offset:84
	buffer_store_dword v3, off, s[0:3], 0 offset:80
	;; [unrolled: 1-line block ×4, first 2 shown]
.LBB43_31:
	s_or_b32 exec_lo, exec_lo, s4
	v_mov_b32_e32 v4, s51
	s_waitcnt_vscnt null, 0x0
	s_barrier
	buffer_gl0_inv
	s_mov_b32 s4, exec_lo
	s_clause 0x3
	buffer_load_dword v1, v4, s[0:3], 0 offen
	buffer_load_dword v2, v4, s[0:3], 0 offen offset:4
	buffer_load_dword v3, v4, s[0:3], 0 offen offset:8
	;; [unrolled: 1-line block ×3, first 2 shown]
	s_waitcnt vmcnt(0)
	ds_write_b128 v11, v[1:4]
	s_waitcnt lgkmcnt(0)
	s_barrier
	buffer_gl0_inv
	v_cmpx_gt_u32_e32 5, v0
	s_cbranch_execz .LBB43_35
; %bb.32:
	v_mov_b32_e32 v1, 0
	v_mov_b32_e32 v3, 0
	v_add_nc_u32_e32 v13, -1, v0
	v_add_nc_u32_e32 v14, 0x2c0, v145
	v_mov_b32_e32 v2, 0
	v_mov_b32_e32 v4, 0
	v_add_nc_u32_e32 v15, 16, v145
	s_mov_b32 s5, 0
	.p2align	6
.LBB43_33:                              ; =>This Inner Loop Header: Depth=1
	s_clause 0x3
	buffer_load_dword v20, v15, s[0:3], 0 offen offset:8
	buffer_load_dword v21, v15, s[0:3], 0 offen offset:12
	buffer_load_dword v22, v15, s[0:3], 0 offen
	buffer_load_dword v23, v15, s[0:3], 0 offen offset:4
	ds_read_b128 v[16:19], v14
	v_add_nc_u32_e32 v13, 1, v13
	v_add_nc_u32_e32 v14, 16, v14
	;; [unrolled: 1-line block ×3, first 2 shown]
	v_cmp_lt_u32_e32 vcc_lo, 3, v13
	s_or_b32 s5, vcc_lo, s5
	s_waitcnt vmcnt(2) lgkmcnt(0)
	v_mul_f64 v[24:25], v[18:19], v[20:21]
	v_mul_f64 v[20:21], v[16:17], v[20:21]
	s_waitcnt vmcnt(0)
	v_fma_f64 v[16:17], v[16:17], v[22:23], -v[24:25]
	v_fma_f64 v[18:19], v[18:19], v[22:23], v[20:21]
	v_add_f64 v[3:4], v[3:4], v[16:17]
	v_add_f64 v[1:2], v[1:2], v[18:19]
	s_andn2_b32 exec_lo, exec_lo, s5
	s_cbranch_execnz .LBB43_33
; %bb.34:
	s_or_b32 exec_lo, exec_lo, s5
	v_mov_b32_e32 v13, 0
	ds_read_b128 v[13:16], v13 offset:80
	s_waitcnt lgkmcnt(0)
	v_mul_f64 v[17:18], v[1:2], v[15:16]
	v_mul_f64 v[15:16], v[3:4], v[15:16]
	v_fma_f64 v[3:4], v[3:4], v[13:14], -v[17:18]
	v_fma_f64 v[1:2], v[1:2], v[13:14], v[15:16]
	buffer_store_dword v4, off, s[0:3], 0 offset:100
	buffer_store_dword v3, off, s[0:3], 0 offset:96
	;; [unrolled: 1-line block ×4, first 2 shown]
.LBB43_35:
	s_or_b32 exec_lo, exec_lo, s4
	v_mov_b32_e32 v4, s49
	s_waitcnt_vscnt null, 0x0
	s_barrier
	buffer_gl0_inv
	s_mov_b32 s4, exec_lo
	s_clause 0x3
	buffer_load_dword v1, v4, s[0:3], 0 offen
	buffer_load_dword v2, v4, s[0:3], 0 offen offset:4
	buffer_load_dword v3, v4, s[0:3], 0 offen offset:8
	buffer_load_dword v4, v4, s[0:3], 0 offen offset:12
	s_waitcnt vmcnt(0)
	ds_write_b128 v11, v[1:4]
	s_waitcnt lgkmcnt(0)
	s_barrier
	buffer_gl0_inv
	v_cmpx_gt_u32_e32 6, v0
	s_cbranch_execz .LBB43_39
; %bb.36:
	v_mov_b32_e32 v1, 0
	v_mov_b32_e32 v3, 0
	v_add_nc_u32_e32 v13, -1, v0
	v_add_nc_u32_e32 v14, 0x2c0, v145
	v_mov_b32_e32 v2, 0
	v_mov_b32_e32 v4, 0
	v_add_nc_u32_e32 v15, 16, v145
	s_mov_b32 s5, 0
	.p2align	6
.LBB43_37:                              ; =>This Inner Loop Header: Depth=1
	s_clause 0x3
	buffer_load_dword v20, v15, s[0:3], 0 offen offset:8
	buffer_load_dword v21, v15, s[0:3], 0 offen offset:12
	buffer_load_dword v22, v15, s[0:3], 0 offen
	buffer_load_dword v23, v15, s[0:3], 0 offen offset:4
	ds_read_b128 v[16:19], v14
	v_add_nc_u32_e32 v13, 1, v13
	v_add_nc_u32_e32 v14, 16, v14
	;; [unrolled: 1-line block ×3, first 2 shown]
	v_cmp_lt_u32_e32 vcc_lo, 4, v13
	s_or_b32 s5, vcc_lo, s5
	s_waitcnt vmcnt(2) lgkmcnt(0)
	v_mul_f64 v[24:25], v[18:19], v[20:21]
	v_mul_f64 v[20:21], v[16:17], v[20:21]
	s_waitcnt vmcnt(0)
	v_fma_f64 v[16:17], v[16:17], v[22:23], -v[24:25]
	v_fma_f64 v[18:19], v[18:19], v[22:23], v[20:21]
	v_add_f64 v[3:4], v[3:4], v[16:17]
	v_add_f64 v[1:2], v[1:2], v[18:19]
	s_andn2_b32 exec_lo, exec_lo, s5
	s_cbranch_execnz .LBB43_37
; %bb.38:
	s_or_b32 exec_lo, exec_lo, s5
	v_mov_b32_e32 v13, 0
	ds_read_b128 v[13:16], v13 offset:96
	s_waitcnt lgkmcnt(0)
	v_mul_f64 v[17:18], v[1:2], v[15:16]
	v_mul_f64 v[15:16], v[3:4], v[15:16]
	v_fma_f64 v[3:4], v[3:4], v[13:14], -v[17:18]
	v_fma_f64 v[1:2], v[1:2], v[13:14], v[15:16]
	buffer_store_dword v4, off, s[0:3], 0 offset:116
	buffer_store_dword v3, off, s[0:3], 0 offset:112
	;; [unrolled: 1-line block ×4, first 2 shown]
.LBB43_39:
	s_or_b32 exec_lo, exec_lo, s4
	v_mov_b32_e32 v4, s46
	s_waitcnt_vscnt null, 0x0
	s_barrier
	buffer_gl0_inv
	s_mov_b32 s4, exec_lo
	s_clause 0x3
	buffer_load_dword v1, v4, s[0:3], 0 offen
	buffer_load_dword v2, v4, s[0:3], 0 offen offset:4
	buffer_load_dword v3, v4, s[0:3], 0 offen offset:8
	;; [unrolled: 1-line block ×3, first 2 shown]
	s_waitcnt vmcnt(0)
	ds_write_b128 v11, v[1:4]
	s_waitcnt lgkmcnt(0)
	s_barrier
	buffer_gl0_inv
	v_cmpx_gt_u32_e32 7, v0
	s_cbranch_execz .LBB43_43
; %bb.40:
	v_mov_b32_e32 v1, 0
	v_mov_b32_e32 v3, 0
	v_add_nc_u32_e32 v13, -1, v0
	v_add_nc_u32_e32 v14, 0x2c0, v145
	v_mov_b32_e32 v2, 0
	v_mov_b32_e32 v4, 0
	v_add_nc_u32_e32 v15, 16, v145
	s_mov_b32 s5, 0
	.p2align	6
.LBB43_41:                              ; =>This Inner Loop Header: Depth=1
	s_clause 0x3
	buffer_load_dword v20, v15, s[0:3], 0 offen offset:8
	buffer_load_dword v21, v15, s[0:3], 0 offen offset:12
	buffer_load_dword v22, v15, s[0:3], 0 offen
	buffer_load_dword v23, v15, s[0:3], 0 offen offset:4
	ds_read_b128 v[16:19], v14
	v_add_nc_u32_e32 v13, 1, v13
	v_add_nc_u32_e32 v14, 16, v14
	;; [unrolled: 1-line block ×3, first 2 shown]
	v_cmp_lt_u32_e32 vcc_lo, 5, v13
	s_or_b32 s5, vcc_lo, s5
	s_waitcnt vmcnt(2) lgkmcnt(0)
	v_mul_f64 v[24:25], v[18:19], v[20:21]
	v_mul_f64 v[20:21], v[16:17], v[20:21]
	s_waitcnt vmcnt(0)
	v_fma_f64 v[16:17], v[16:17], v[22:23], -v[24:25]
	v_fma_f64 v[18:19], v[18:19], v[22:23], v[20:21]
	v_add_f64 v[3:4], v[3:4], v[16:17]
	v_add_f64 v[1:2], v[1:2], v[18:19]
	s_andn2_b32 exec_lo, exec_lo, s5
	s_cbranch_execnz .LBB43_41
; %bb.42:
	s_or_b32 exec_lo, exec_lo, s5
	v_mov_b32_e32 v13, 0
	ds_read_b128 v[13:16], v13 offset:112
	s_waitcnt lgkmcnt(0)
	v_mul_f64 v[17:18], v[1:2], v[15:16]
	v_mul_f64 v[15:16], v[3:4], v[15:16]
	v_fma_f64 v[3:4], v[3:4], v[13:14], -v[17:18]
	v_fma_f64 v[1:2], v[1:2], v[13:14], v[15:16]
	buffer_store_dword v4, off, s[0:3], 0 offset:132
	buffer_store_dword v3, off, s[0:3], 0 offset:128
	;; [unrolled: 1-line block ×4, first 2 shown]
.LBB43_43:
	s_or_b32 exec_lo, exec_lo, s4
	v_mov_b32_e32 v4, s44
	s_waitcnt_vscnt null, 0x0
	s_barrier
	buffer_gl0_inv
	s_mov_b32 s4, exec_lo
	s_clause 0x3
	buffer_load_dword v1, v4, s[0:3], 0 offen
	buffer_load_dword v2, v4, s[0:3], 0 offen offset:4
	buffer_load_dword v3, v4, s[0:3], 0 offen offset:8
	buffer_load_dword v4, v4, s[0:3], 0 offen offset:12
	s_waitcnt vmcnt(0)
	ds_write_b128 v11, v[1:4]
	s_waitcnt lgkmcnt(0)
	s_barrier
	buffer_gl0_inv
	v_cmpx_gt_u32_e32 8, v0
	s_cbranch_execz .LBB43_47
; %bb.44:
	v_mov_b32_e32 v1, 0
	v_mov_b32_e32 v3, 0
	v_add_nc_u32_e32 v13, -1, v0
	v_add_nc_u32_e32 v14, 0x2c0, v145
	v_mov_b32_e32 v2, 0
	v_mov_b32_e32 v4, 0
	v_add_nc_u32_e32 v15, 16, v145
	s_mov_b32 s5, 0
	.p2align	6
.LBB43_45:                              ; =>This Inner Loop Header: Depth=1
	s_clause 0x3
	buffer_load_dword v20, v15, s[0:3], 0 offen offset:8
	buffer_load_dword v21, v15, s[0:3], 0 offen offset:12
	buffer_load_dword v22, v15, s[0:3], 0 offen
	buffer_load_dword v23, v15, s[0:3], 0 offen offset:4
	ds_read_b128 v[16:19], v14
	v_add_nc_u32_e32 v13, 1, v13
	v_add_nc_u32_e32 v14, 16, v14
	v_add_nc_u32_e32 v15, 16, v15
	v_cmp_lt_u32_e32 vcc_lo, 6, v13
	s_or_b32 s5, vcc_lo, s5
	s_waitcnt vmcnt(2) lgkmcnt(0)
	v_mul_f64 v[24:25], v[18:19], v[20:21]
	v_mul_f64 v[20:21], v[16:17], v[20:21]
	s_waitcnt vmcnt(0)
	v_fma_f64 v[16:17], v[16:17], v[22:23], -v[24:25]
	v_fma_f64 v[18:19], v[18:19], v[22:23], v[20:21]
	v_add_f64 v[3:4], v[3:4], v[16:17]
	v_add_f64 v[1:2], v[1:2], v[18:19]
	s_andn2_b32 exec_lo, exec_lo, s5
	s_cbranch_execnz .LBB43_45
; %bb.46:
	s_or_b32 exec_lo, exec_lo, s5
	v_mov_b32_e32 v13, 0
	ds_read_b128 v[13:16], v13 offset:128
	s_waitcnt lgkmcnt(0)
	v_mul_f64 v[17:18], v[1:2], v[15:16]
	v_mul_f64 v[15:16], v[3:4], v[15:16]
	v_fma_f64 v[3:4], v[3:4], v[13:14], -v[17:18]
	v_fma_f64 v[1:2], v[1:2], v[13:14], v[15:16]
	buffer_store_dword v4, off, s[0:3], 0 offset:148
	buffer_store_dword v3, off, s[0:3], 0 offset:144
	;; [unrolled: 1-line block ×4, first 2 shown]
.LBB43_47:
	s_or_b32 exec_lo, exec_lo, s4
	v_mov_b32_e32 v4, s42
	s_waitcnt_vscnt null, 0x0
	s_barrier
	buffer_gl0_inv
	s_mov_b32 s4, exec_lo
	s_clause 0x3
	buffer_load_dword v1, v4, s[0:3], 0 offen
	buffer_load_dword v2, v4, s[0:3], 0 offen offset:4
	buffer_load_dword v3, v4, s[0:3], 0 offen offset:8
	;; [unrolled: 1-line block ×3, first 2 shown]
	s_waitcnt vmcnt(0)
	ds_write_b128 v11, v[1:4]
	s_waitcnt lgkmcnt(0)
	s_barrier
	buffer_gl0_inv
	v_cmpx_gt_u32_e32 9, v0
	s_cbranch_execz .LBB43_51
; %bb.48:
	v_mov_b32_e32 v1, 0
	v_mov_b32_e32 v3, 0
	v_add_nc_u32_e32 v13, -1, v0
	v_add_nc_u32_e32 v14, 0x2c0, v145
	v_mov_b32_e32 v2, 0
	v_mov_b32_e32 v4, 0
	v_add_nc_u32_e32 v15, 16, v145
	s_mov_b32 s5, 0
	.p2align	6
.LBB43_49:                              ; =>This Inner Loop Header: Depth=1
	s_clause 0x3
	buffer_load_dword v20, v15, s[0:3], 0 offen offset:8
	buffer_load_dword v21, v15, s[0:3], 0 offen offset:12
	buffer_load_dword v22, v15, s[0:3], 0 offen
	buffer_load_dword v23, v15, s[0:3], 0 offen offset:4
	ds_read_b128 v[16:19], v14
	v_add_nc_u32_e32 v13, 1, v13
	v_add_nc_u32_e32 v14, 16, v14
	v_add_nc_u32_e32 v15, 16, v15
	v_cmp_lt_u32_e32 vcc_lo, 7, v13
	s_or_b32 s5, vcc_lo, s5
	s_waitcnt vmcnt(2) lgkmcnt(0)
	v_mul_f64 v[24:25], v[18:19], v[20:21]
	v_mul_f64 v[20:21], v[16:17], v[20:21]
	s_waitcnt vmcnt(0)
	v_fma_f64 v[16:17], v[16:17], v[22:23], -v[24:25]
	v_fma_f64 v[18:19], v[18:19], v[22:23], v[20:21]
	v_add_f64 v[3:4], v[3:4], v[16:17]
	v_add_f64 v[1:2], v[1:2], v[18:19]
	s_andn2_b32 exec_lo, exec_lo, s5
	s_cbranch_execnz .LBB43_49
; %bb.50:
	s_or_b32 exec_lo, exec_lo, s5
	v_mov_b32_e32 v13, 0
	ds_read_b128 v[13:16], v13 offset:144
	s_waitcnt lgkmcnt(0)
	v_mul_f64 v[17:18], v[1:2], v[15:16]
	v_mul_f64 v[15:16], v[3:4], v[15:16]
	v_fma_f64 v[3:4], v[3:4], v[13:14], -v[17:18]
	v_fma_f64 v[1:2], v[1:2], v[13:14], v[15:16]
	buffer_store_dword v4, off, s[0:3], 0 offset:164
	buffer_store_dword v3, off, s[0:3], 0 offset:160
	;; [unrolled: 1-line block ×4, first 2 shown]
.LBB43_51:
	s_or_b32 exec_lo, exec_lo, s4
	v_mov_b32_e32 v4, s40
	s_waitcnt_vscnt null, 0x0
	s_barrier
	buffer_gl0_inv
	s_mov_b32 s4, exec_lo
	s_clause 0x3
	buffer_load_dword v1, v4, s[0:3], 0 offen
	buffer_load_dword v2, v4, s[0:3], 0 offen offset:4
	buffer_load_dword v3, v4, s[0:3], 0 offen offset:8
	;; [unrolled: 1-line block ×3, first 2 shown]
	s_waitcnt vmcnt(0)
	ds_write_b128 v11, v[1:4]
	s_waitcnt lgkmcnt(0)
	s_barrier
	buffer_gl0_inv
	v_cmpx_gt_u32_e32 10, v0
	s_cbranch_execz .LBB43_55
; %bb.52:
	v_mov_b32_e32 v1, 0
	v_mov_b32_e32 v3, 0
	v_add_nc_u32_e32 v13, -1, v0
	v_add_nc_u32_e32 v14, 0x2c0, v145
	v_mov_b32_e32 v2, 0
	v_mov_b32_e32 v4, 0
	v_add_nc_u32_e32 v15, 16, v145
	s_mov_b32 s5, 0
	.p2align	6
.LBB43_53:                              ; =>This Inner Loop Header: Depth=1
	s_clause 0x3
	buffer_load_dword v20, v15, s[0:3], 0 offen offset:8
	buffer_load_dword v21, v15, s[0:3], 0 offen offset:12
	buffer_load_dword v22, v15, s[0:3], 0 offen
	buffer_load_dword v23, v15, s[0:3], 0 offen offset:4
	ds_read_b128 v[16:19], v14
	v_add_nc_u32_e32 v13, 1, v13
	v_add_nc_u32_e32 v14, 16, v14
	;; [unrolled: 1-line block ×3, first 2 shown]
	v_cmp_lt_u32_e32 vcc_lo, 8, v13
	s_or_b32 s5, vcc_lo, s5
	s_waitcnt vmcnt(2) lgkmcnt(0)
	v_mul_f64 v[24:25], v[18:19], v[20:21]
	v_mul_f64 v[20:21], v[16:17], v[20:21]
	s_waitcnt vmcnt(0)
	v_fma_f64 v[16:17], v[16:17], v[22:23], -v[24:25]
	v_fma_f64 v[18:19], v[18:19], v[22:23], v[20:21]
	v_add_f64 v[3:4], v[3:4], v[16:17]
	v_add_f64 v[1:2], v[1:2], v[18:19]
	s_andn2_b32 exec_lo, exec_lo, s5
	s_cbranch_execnz .LBB43_53
; %bb.54:
	s_or_b32 exec_lo, exec_lo, s5
	v_mov_b32_e32 v13, 0
	ds_read_b128 v[13:16], v13 offset:160
	s_waitcnt lgkmcnt(0)
	v_mul_f64 v[17:18], v[1:2], v[15:16]
	v_mul_f64 v[15:16], v[3:4], v[15:16]
	v_fma_f64 v[3:4], v[3:4], v[13:14], -v[17:18]
	v_fma_f64 v[1:2], v[1:2], v[13:14], v[15:16]
	buffer_store_dword v4, off, s[0:3], 0 offset:180
	buffer_store_dword v3, off, s[0:3], 0 offset:176
	;; [unrolled: 1-line block ×4, first 2 shown]
.LBB43_55:
	s_or_b32 exec_lo, exec_lo, s4
	v_mov_b32_e32 v4, s38
	s_waitcnt_vscnt null, 0x0
	s_barrier
	buffer_gl0_inv
	s_mov_b32 s4, exec_lo
	s_clause 0x3
	buffer_load_dword v1, v4, s[0:3], 0 offen
	buffer_load_dword v2, v4, s[0:3], 0 offen offset:4
	buffer_load_dword v3, v4, s[0:3], 0 offen offset:8
	;; [unrolled: 1-line block ×3, first 2 shown]
	s_waitcnt vmcnt(0)
	ds_write_b128 v11, v[1:4]
	s_waitcnt lgkmcnt(0)
	s_barrier
	buffer_gl0_inv
	v_cmpx_gt_u32_e32 11, v0
	s_cbranch_execz .LBB43_59
; %bb.56:
	v_mov_b32_e32 v1, 0
	v_mov_b32_e32 v3, 0
	v_add_nc_u32_e32 v13, -1, v0
	v_add_nc_u32_e32 v14, 0x2c0, v145
	v_mov_b32_e32 v2, 0
	v_mov_b32_e32 v4, 0
	v_add_nc_u32_e32 v15, 16, v145
	s_mov_b32 s5, 0
	.p2align	6
.LBB43_57:                              ; =>This Inner Loop Header: Depth=1
	s_clause 0x3
	buffer_load_dword v20, v15, s[0:3], 0 offen offset:8
	buffer_load_dword v21, v15, s[0:3], 0 offen offset:12
	buffer_load_dword v22, v15, s[0:3], 0 offen
	buffer_load_dword v23, v15, s[0:3], 0 offen offset:4
	ds_read_b128 v[16:19], v14
	v_add_nc_u32_e32 v13, 1, v13
	v_add_nc_u32_e32 v14, 16, v14
	v_add_nc_u32_e32 v15, 16, v15
	v_cmp_lt_u32_e32 vcc_lo, 9, v13
	s_or_b32 s5, vcc_lo, s5
	s_waitcnt vmcnt(2) lgkmcnt(0)
	v_mul_f64 v[24:25], v[18:19], v[20:21]
	v_mul_f64 v[20:21], v[16:17], v[20:21]
	s_waitcnt vmcnt(0)
	v_fma_f64 v[16:17], v[16:17], v[22:23], -v[24:25]
	v_fma_f64 v[18:19], v[18:19], v[22:23], v[20:21]
	v_add_f64 v[3:4], v[3:4], v[16:17]
	v_add_f64 v[1:2], v[1:2], v[18:19]
	s_andn2_b32 exec_lo, exec_lo, s5
	s_cbranch_execnz .LBB43_57
; %bb.58:
	s_or_b32 exec_lo, exec_lo, s5
	v_mov_b32_e32 v13, 0
	ds_read_b128 v[13:16], v13 offset:176
	s_waitcnt lgkmcnt(0)
	v_mul_f64 v[17:18], v[1:2], v[15:16]
	v_mul_f64 v[15:16], v[3:4], v[15:16]
	v_fma_f64 v[3:4], v[3:4], v[13:14], -v[17:18]
	v_fma_f64 v[1:2], v[1:2], v[13:14], v[15:16]
	buffer_store_dword v4, off, s[0:3], 0 offset:196
	buffer_store_dword v3, off, s[0:3], 0 offset:192
	;; [unrolled: 1-line block ×4, first 2 shown]
.LBB43_59:
	s_or_b32 exec_lo, exec_lo, s4
	v_mov_b32_e32 v4, s36
	s_waitcnt_vscnt null, 0x0
	s_barrier
	buffer_gl0_inv
	s_mov_b32 s4, exec_lo
	s_clause 0x3
	buffer_load_dword v1, v4, s[0:3], 0 offen
	buffer_load_dword v2, v4, s[0:3], 0 offen offset:4
	buffer_load_dword v3, v4, s[0:3], 0 offen offset:8
	;; [unrolled: 1-line block ×3, first 2 shown]
	s_waitcnt vmcnt(0)
	ds_write_b128 v11, v[1:4]
	s_waitcnt lgkmcnt(0)
	s_barrier
	buffer_gl0_inv
	v_cmpx_gt_u32_e32 12, v0
	s_cbranch_execz .LBB43_63
; %bb.60:
	v_mov_b32_e32 v1, 0
	v_mov_b32_e32 v3, 0
	v_add_nc_u32_e32 v13, -1, v0
	v_add_nc_u32_e32 v14, 0x2c0, v145
	v_mov_b32_e32 v2, 0
	v_mov_b32_e32 v4, 0
	v_add_nc_u32_e32 v15, 16, v145
	s_mov_b32 s5, 0
	.p2align	6
.LBB43_61:                              ; =>This Inner Loop Header: Depth=1
	s_clause 0x3
	buffer_load_dword v20, v15, s[0:3], 0 offen offset:8
	buffer_load_dword v21, v15, s[0:3], 0 offen offset:12
	buffer_load_dword v22, v15, s[0:3], 0 offen
	buffer_load_dword v23, v15, s[0:3], 0 offen offset:4
	ds_read_b128 v[16:19], v14
	v_add_nc_u32_e32 v13, 1, v13
	v_add_nc_u32_e32 v14, 16, v14
	;; [unrolled: 1-line block ×3, first 2 shown]
	v_cmp_lt_u32_e32 vcc_lo, 10, v13
	s_or_b32 s5, vcc_lo, s5
	s_waitcnt vmcnt(2) lgkmcnt(0)
	v_mul_f64 v[24:25], v[18:19], v[20:21]
	v_mul_f64 v[20:21], v[16:17], v[20:21]
	s_waitcnt vmcnt(0)
	v_fma_f64 v[16:17], v[16:17], v[22:23], -v[24:25]
	v_fma_f64 v[18:19], v[18:19], v[22:23], v[20:21]
	v_add_f64 v[3:4], v[3:4], v[16:17]
	v_add_f64 v[1:2], v[1:2], v[18:19]
	s_andn2_b32 exec_lo, exec_lo, s5
	s_cbranch_execnz .LBB43_61
; %bb.62:
	s_or_b32 exec_lo, exec_lo, s5
	v_mov_b32_e32 v13, 0
	ds_read_b128 v[13:16], v13 offset:192
	s_waitcnt lgkmcnt(0)
	v_mul_f64 v[17:18], v[1:2], v[15:16]
	v_mul_f64 v[15:16], v[3:4], v[15:16]
	v_fma_f64 v[3:4], v[3:4], v[13:14], -v[17:18]
	v_fma_f64 v[1:2], v[1:2], v[13:14], v[15:16]
	buffer_store_dword v4, off, s[0:3], 0 offset:212
	buffer_store_dword v3, off, s[0:3], 0 offset:208
	;; [unrolled: 1-line block ×4, first 2 shown]
.LBB43_63:
	s_or_b32 exec_lo, exec_lo, s4
	v_mov_b32_e32 v4, s34
	s_waitcnt_vscnt null, 0x0
	s_barrier
	buffer_gl0_inv
	s_mov_b32 s4, exec_lo
	s_clause 0x3
	buffer_load_dword v1, v4, s[0:3], 0 offen
	buffer_load_dword v2, v4, s[0:3], 0 offen offset:4
	buffer_load_dword v3, v4, s[0:3], 0 offen offset:8
	;; [unrolled: 1-line block ×3, first 2 shown]
	s_waitcnt vmcnt(0)
	ds_write_b128 v11, v[1:4]
	s_waitcnt lgkmcnt(0)
	s_barrier
	buffer_gl0_inv
	v_cmpx_gt_u32_e32 13, v0
	s_cbranch_execz .LBB43_67
; %bb.64:
	v_mov_b32_e32 v1, 0
	v_mov_b32_e32 v3, 0
	v_add_nc_u32_e32 v13, -1, v0
	v_add_nc_u32_e32 v14, 0x2c0, v145
	v_mov_b32_e32 v2, 0
	v_mov_b32_e32 v4, 0
	v_add_nc_u32_e32 v15, 16, v145
	s_mov_b32 s5, 0
	.p2align	6
.LBB43_65:                              ; =>This Inner Loop Header: Depth=1
	s_clause 0x3
	buffer_load_dword v20, v15, s[0:3], 0 offen offset:8
	buffer_load_dword v21, v15, s[0:3], 0 offen offset:12
	buffer_load_dword v22, v15, s[0:3], 0 offen
	buffer_load_dword v23, v15, s[0:3], 0 offen offset:4
	ds_read_b128 v[16:19], v14
	v_add_nc_u32_e32 v13, 1, v13
	v_add_nc_u32_e32 v14, 16, v14
	;; [unrolled: 1-line block ×3, first 2 shown]
	v_cmp_lt_u32_e32 vcc_lo, 11, v13
	s_or_b32 s5, vcc_lo, s5
	s_waitcnt vmcnt(2) lgkmcnt(0)
	v_mul_f64 v[24:25], v[18:19], v[20:21]
	v_mul_f64 v[20:21], v[16:17], v[20:21]
	s_waitcnt vmcnt(0)
	v_fma_f64 v[16:17], v[16:17], v[22:23], -v[24:25]
	v_fma_f64 v[18:19], v[18:19], v[22:23], v[20:21]
	v_add_f64 v[3:4], v[3:4], v[16:17]
	v_add_f64 v[1:2], v[1:2], v[18:19]
	s_andn2_b32 exec_lo, exec_lo, s5
	s_cbranch_execnz .LBB43_65
; %bb.66:
	s_or_b32 exec_lo, exec_lo, s5
	v_mov_b32_e32 v13, 0
	ds_read_b128 v[13:16], v13 offset:208
	s_waitcnt lgkmcnt(0)
	v_mul_f64 v[17:18], v[1:2], v[15:16]
	v_mul_f64 v[15:16], v[3:4], v[15:16]
	v_fma_f64 v[3:4], v[3:4], v[13:14], -v[17:18]
	v_fma_f64 v[1:2], v[1:2], v[13:14], v[15:16]
	buffer_store_dword v4, off, s[0:3], 0 offset:228
	buffer_store_dword v3, off, s[0:3], 0 offset:224
	;; [unrolled: 1-line block ×4, first 2 shown]
.LBB43_67:
	s_or_b32 exec_lo, exec_lo, s4
	v_mov_b32_e32 v4, s31
	s_waitcnt_vscnt null, 0x0
	s_barrier
	buffer_gl0_inv
	s_mov_b32 s4, exec_lo
	s_clause 0x3
	buffer_load_dword v1, v4, s[0:3], 0 offen
	buffer_load_dword v2, v4, s[0:3], 0 offen offset:4
	buffer_load_dword v3, v4, s[0:3], 0 offen offset:8
	;; [unrolled: 1-line block ×3, first 2 shown]
	s_waitcnt vmcnt(0)
	ds_write_b128 v11, v[1:4]
	s_waitcnt lgkmcnt(0)
	s_barrier
	buffer_gl0_inv
	v_cmpx_gt_u32_e32 14, v0
	s_cbranch_execz .LBB43_71
; %bb.68:
	v_mov_b32_e32 v1, 0
	v_mov_b32_e32 v3, 0
	v_add_nc_u32_e32 v13, -1, v0
	v_add_nc_u32_e32 v14, 0x2c0, v145
	v_mov_b32_e32 v2, 0
	v_mov_b32_e32 v4, 0
	v_add_nc_u32_e32 v15, 16, v145
	s_mov_b32 s5, 0
	.p2align	6
.LBB43_69:                              ; =>This Inner Loop Header: Depth=1
	s_clause 0x3
	buffer_load_dword v20, v15, s[0:3], 0 offen offset:8
	buffer_load_dword v21, v15, s[0:3], 0 offen offset:12
	buffer_load_dword v22, v15, s[0:3], 0 offen
	buffer_load_dword v23, v15, s[0:3], 0 offen offset:4
	ds_read_b128 v[16:19], v14
	v_add_nc_u32_e32 v13, 1, v13
	v_add_nc_u32_e32 v14, 16, v14
	;; [unrolled: 1-line block ×3, first 2 shown]
	v_cmp_lt_u32_e32 vcc_lo, 12, v13
	s_or_b32 s5, vcc_lo, s5
	s_waitcnt vmcnt(2) lgkmcnt(0)
	v_mul_f64 v[24:25], v[18:19], v[20:21]
	v_mul_f64 v[20:21], v[16:17], v[20:21]
	s_waitcnt vmcnt(0)
	v_fma_f64 v[16:17], v[16:17], v[22:23], -v[24:25]
	v_fma_f64 v[18:19], v[18:19], v[22:23], v[20:21]
	v_add_f64 v[3:4], v[3:4], v[16:17]
	v_add_f64 v[1:2], v[1:2], v[18:19]
	s_andn2_b32 exec_lo, exec_lo, s5
	s_cbranch_execnz .LBB43_69
; %bb.70:
	s_or_b32 exec_lo, exec_lo, s5
	v_mov_b32_e32 v13, 0
	ds_read_b128 v[13:16], v13 offset:224
	s_waitcnt lgkmcnt(0)
	v_mul_f64 v[17:18], v[1:2], v[15:16]
	v_mul_f64 v[15:16], v[3:4], v[15:16]
	v_fma_f64 v[3:4], v[3:4], v[13:14], -v[17:18]
	v_fma_f64 v[1:2], v[1:2], v[13:14], v[15:16]
	buffer_store_dword v4, off, s[0:3], 0 offset:244
	buffer_store_dword v3, off, s[0:3], 0 offset:240
	buffer_store_dword v2, off, s[0:3], 0 offset:252
	buffer_store_dword v1, off, s[0:3], 0 offset:248
.LBB43_71:
	s_or_b32 exec_lo, exec_lo, s4
	v_mov_b32_e32 v4, s29
	s_waitcnt_vscnt null, 0x0
	s_barrier
	buffer_gl0_inv
	s_mov_b32 s4, exec_lo
	s_clause 0x3
	buffer_load_dword v1, v4, s[0:3], 0 offen
	buffer_load_dword v2, v4, s[0:3], 0 offen offset:4
	buffer_load_dword v3, v4, s[0:3], 0 offen offset:8
	;; [unrolled: 1-line block ×3, first 2 shown]
	s_waitcnt vmcnt(0)
	ds_write_b128 v11, v[1:4]
	s_waitcnt lgkmcnt(0)
	s_barrier
	buffer_gl0_inv
	v_cmpx_gt_u32_e32 15, v0
	s_cbranch_execz .LBB43_75
; %bb.72:
	v_mov_b32_e32 v1, 0
	v_mov_b32_e32 v3, 0
	v_add_nc_u32_e32 v13, -1, v0
	v_add_nc_u32_e32 v14, 0x2c0, v145
	v_mov_b32_e32 v2, 0
	v_mov_b32_e32 v4, 0
	v_add_nc_u32_e32 v15, 16, v145
	s_mov_b32 s5, 0
	.p2align	6
.LBB43_73:                              ; =>This Inner Loop Header: Depth=1
	s_clause 0x3
	buffer_load_dword v20, v15, s[0:3], 0 offen offset:8
	buffer_load_dword v21, v15, s[0:3], 0 offen offset:12
	buffer_load_dword v22, v15, s[0:3], 0 offen
	buffer_load_dword v23, v15, s[0:3], 0 offen offset:4
	ds_read_b128 v[16:19], v14
	v_add_nc_u32_e32 v13, 1, v13
	v_add_nc_u32_e32 v14, 16, v14
	;; [unrolled: 1-line block ×3, first 2 shown]
	v_cmp_lt_u32_e32 vcc_lo, 13, v13
	s_or_b32 s5, vcc_lo, s5
	s_waitcnt vmcnt(2) lgkmcnt(0)
	v_mul_f64 v[24:25], v[18:19], v[20:21]
	v_mul_f64 v[20:21], v[16:17], v[20:21]
	s_waitcnt vmcnt(0)
	v_fma_f64 v[16:17], v[16:17], v[22:23], -v[24:25]
	v_fma_f64 v[18:19], v[18:19], v[22:23], v[20:21]
	v_add_f64 v[3:4], v[3:4], v[16:17]
	v_add_f64 v[1:2], v[1:2], v[18:19]
	s_andn2_b32 exec_lo, exec_lo, s5
	s_cbranch_execnz .LBB43_73
; %bb.74:
	s_or_b32 exec_lo, exec_lo, s5
	v_mov_b32_e32 v13, 0
	ds_read_b128 v[13:16], v13 offset:240
	s_waitcnt lgkmcnt(0)
	v_mul_f64 v[17:18], v[1:2], v[15:16]
	v_mul_f64 v[15:16], v[3:4], v[15:16]
	v_fma_f64 v[3:4], v[3:4], v[13:14], -v[17:18]
	v_fma_f64 v[1:2], v[1:2], v[13:14], v[15:16]
	buffer_store_dword v4, off, s[0:3], 0 offset:260
	buffer_store_dword v3, off, s[0:3], 0 offset:256
	;; [unrolled: 1-line block ×4, first 2 shown]
.LBB43_75:
	s_or_b32 exec_lo, exec_lo, s4
	v_mov_b32_e32 v4, s50
	s_waitcnt_vscnt null, 0x0
	s_barrier
	buffer_gl0_inv
	s_mov_b32 s4, exec_lo
	s_clause 0x3
	buffer_load_dword v1, v4, s[0:3], 0 offen
	buffer_load_dword v2, v4, s[0:3], 0 offen offset:4
	buffer_load_dword v3, v4, s[0:3], 0 offen offset:8
	;; [unrolled: 1-line block ×3, first 2 shown]
	s_waitcnt vmcnt(0)
	ds_write_b128 v11, v[1:4]
	s_waitcnt lgkmcnt(0)
	s_barrier
	buffer_gl0_inv
	v_cmpx_gt_u32_e32 16, v0
	s_cbranch_execz .LBB43_79
; %bb.76:
	v_mov_b32_e32 v1, 0
	v_mov_b32_e32 v3, 0
	v_add_nc_u32_e32 v13, -1, v0
	v_add_nc_u32_e32 v14, 0x2c0, v145
	v_mov_b32_e32 v2, 0
	v_mov_b32_e32 v4, 0
	v_add_nc_u32_e32 v15, 16, v145
	s_mov_b32 s5, 0
	.p2align	6
.LBB43_77:                              ; =>This Inner Loop Header: Depth=1
	s_clause 0x3
	buffer_load_dword v20, v15, s[0:3], 0 offen offset:8
	buffer_load_dword v21, v15, s[0:3], 0 offen offset:12
	buffer_load_dword v22, v15, s[0:3], 0 offen
	buffer_load_dword v23, v15, s[0:3], 0 offen offset:4
	ds_read_b128 v[16:19], v14
	v_add_nc_u32_e32 v13, 1, v13
	v_add_nc_u32_e32 v14, 16, v14
	;; [unrolled: 1-line block ×3, first 2 shown]
	v_cmp_lt_u32_e32 vcc_lo, 14, v13
	s_or_b32 s5, vcc_lo, s5
	s_waitcnt vmcnt(2) lgkmcnt(0)
	v_mul_f64 v[24:25], v[18:19], v[20:21]
	v_mul_f64 v[20:21], v[16:17], v[20:21]
	s_waitcnt vmcnt(0)
	v_fma_f64 v[16:17], v[16:17], v[22:23], -v[24:25]
	v_fma_f64 v[18:19], v[18:19], v[22:23], v[20:21]
	v_add_f64 v[3:4], v[3:4], v[16:17]
	v_add_f64 v[1:2], v[1:2], v[18:19]
	s_andn2_b32 exec_lo, exec_lo, s5
	s_cbranch_execnz .LBB43_77
; %bb.78:
	s_or_b32 exec_lo, exec_lo, s5
	v_mov_b32_e32 v13, 0
	ds_read_b128 v[13:16], v13 offset:256
	s_waitcnt lgkmcnt(0)
	v_mul_f64 v[17:18], v[1:2], v[15:16]
	v_mul_f64 v[15:16], v[3:4], v[15:16]
	v_fma_f64 v[3:4], v[3:4], v[13:14], -v[17:18]
	v_fma_f64 v[1:2], v[1:2], v[13:14], v[15:16]
	buffer_store_dword v4, off, s[0:3], 0 offset:276
	buffer_store_dword v3, off, s[0:3], 0 offset:272
	;; [unrolled: 1-line block ×4, first 2 shown]
.LBB43_79:
	s_or_b32 exec_lo, exec_lo, s4
	v_mov_b32_e32 v4, s48
	s_waitcnt_vscnt null, 0x0
	s_barrier
	buffer_gl0_inv
	s_mov_b32 s4, exec_lo
	s_clause 0x3
	buffer_load_dword v1, v4, s[0:3], 0 offen
	buffer_load_dword v2, v4, s[0:3], 0 offen offset:4
	buffer_load_dword v3, v4, s[0:3], 0 offen offset:8
	;; [unrolled: 1-line block ×3, first 2 shown]
	s_waitcnt vmcnt(0)
	ds_write_b128 v11, v[1:4]
	s_waitcnt lgkmcnt(0)
	s_barrier
	buffer_gl0_inv
	v_cmpx_gt_u32_e32 17, v0
	s_cbranch_execz .LBB43_83
; %bb.80:
	v_mov_b32_e32 v1, 0
	v_mov_b32_e32 v3, 0
	v_add_nc_u32_e32 v13, -1, v0
	v_add_nc_u32_e32 v14, 0x2c0, v145
	v_mov_b32_e32 v2, 0
	v_mov_b32_e32 v4, 0
	v_add_nc_u32_e32 v15, 16, v145
	s_mov_b32 s5, 0
	.p2align	6
.LBB43_81:                              ; =>This Inner Loop Header: Depth=1
	s_clause 0x3
	buffer_load_dword v20, v15, s[0:3], 0 offen offset:8
	buffer_load_dword v21, v15, s[0:3], 0 offen offset:12
	buffer_load_dword v22, v15, s[0:3], 0 offen
	buffer_load_dword v23, v15, s[0:3], 0 offen offset:4
	ds_read_b128 v[16:19], v14
	v_add_nc_u32_e32 v13, 1, v13
	v_add_nc_u32_e32 v14, 16, v14
	;; [unrolled: 1-line block ×3, first 2 shown]
	v_cmp_lt_u32_e32 vcc_lo, 15, v13
	s_or_b32 s5, vcc_lo, s5
	s_waitcnt vmcnt(2) lgkmcnt(0)
	v_mul_f64 v[24:25], v[18:19], v[20:21]
	v_mul_f64 v[20:21], v[16:17], v[20:21]
	s_waitcnt vmcnt(0)
	v_fma_f64 v[16:17], v[16:17], v[22:23], -v[24:25]
	v_fma_f64 v[18:19], v[18:19], v[22:23], v[20:21]
	v_add_f64 v[3:4], v[3:4], v[16:17]
	v_add_f64 v[1:2], v[1:2], v[18:19]
	s_andn2_b32 exec_lo, exec_lo, s5
	s_cbranch_execnz .LBB43_81
; %bb.82:
	s_or_b32 exec_lo, exec_lo, s5
	v_mov_b32_e32 v13, 0
	ds_read_b128 v[13:16], v13 offset:272
	s_waitcnt lgkmcnt(0)
	v_mul_f64 v[17:18], v[1:2], v[15:16]
	v_mul_f64 v[15:16], v[3:4], v[15:16]
	v_fma_f64 v[3:4], v[3:4], v[13:14], -v[17:18]
	v_fma_f64 v[1:2], v[1:2], v[13:14], v[15:16]
	buffer_store_dword v4, off, s[0:3], 0 offset:292
	buffer_store_dword v3, off, s[0:3], 0 offset:288
	;; [unrolled: 1-line block ×4, first 2 shown]
.LBB43_83:
	s_or_b32 exec_lo, exec_lo, s4
	v_mov_b32_e32 v4, s47
	s_waitcnt_vscnt null, 0x0
	s_barrier
	buffer_gl0_inv
	s_mov_b32 s4, exec_lo
	s_clause 0x3
	buffer_load_dword v1, v4, s[0:3], 0 offen
	buffer_load_dword v2, v4, s[0:3], 0 offen offset:4
	buffer_load_dword v3, v4, s[0:3], 0 offen offset:8
	;; [unrolled: 1-line block ×3, first 2 shown]
	s_waitcnt vmcnt(0)
	ds_write_b128 v11, v[1:4]
	s_waitcnt lgkmcnt(0)
	s_barrier
	buffer_gl0_inv
	v_cmpx_gt_u32_e32 18, v0
	s_cbranch_execz .LBB43_87
; %bb.84:
	v_mov_b32_e32 v1, 0
	v_mov_b32_e32 v3, 0
	v_add_nc_u32_e32 v13, -1, v0
	v_add_nc_u32_e32 v14, 0x2c0, v145
	v_mov_b32_e32 v2, 0
	v_mov_b32_e32 v4, 0
	v_add_nc_u32_e32 v15, 16, v145
	s_mov_b32 s5, 0
	.p2align	6
.LBB43_85:                              ; =>This Inner Loop Header: Depth=1
	s_clause 0x3
	buffer_load_dword v20, v15, s[0:3], 0 offen offset:8
	buffer_load_dword v21, v15, s[0:3], 0 offen offset:12
	buffer_load_dword v22, v15, s[0:3], 0 offen
	buffer_load_dword v23, v15, s[0:3], 0 offen offset:4
	ds_read_b128 v[16:19], v14
	v_add_nc_u32_e32 v13, 1, v13
	v_add_nc_u32_e32 v14, 16, v14
	;; [unrolled: 1-line block ×3, first 2 shown]
	v_cmp_lt_u32_e32 vcc_lo, 16, v13
	s_or_b32 s5, vcc_lo, s5
	s_waitcnt vmcnt(2) lgkmcnt(0)
	v_mul_f64 v[24:25], v[18:19], v[20:21]
	v_mul_f64 v[20:21], v[16:17], v[20:21]
	s_waitcnt vmcnt(0)
	v_fma_f64 v[16:17], v[16:17], v[22:23], -v[24:25]
	v_fma_f64 v[18:19], v[18:19], v[22:23], v[20:21]
	v_add_f64 v[3:4], v[3:4], v[16:17]
	v_add_f64 v[1:2], v[1:2], v[18:19]
	s_andn2_b32 exec_lo, exec_lo, s5
	s_cbranch_execnz .LBB43_85
; %bb.86:
	s_or_b32 exec_lo, exec_lo, s5
	v_mov_b32_e32 v13, 0
	ds_read_b128 v[13:16], v13 offset:288
	s_waitcnt lgkmcnt(0)
	v_mul_f64 v[17:18], v[1:2], v[15:16]
	v_mul_f64 v[15:16], v[3:4], v[15:16]
	v_fma_f64 v[3:4], v[3:4], v[13:14], -v[17:18]
	v_fma_f64 v[1:2], v[1:2], v[13:14], v[15:16]
	buffer_store_dword v4, off, s[0:3], 0 offset:308
	buffer_store_dword v3, off, s[0:3], 0 offset:304
	;; [unrolled: 1-line block ×4, first 2 shown]
.LBB43_87:
	s_or_b32 exec_lo, exec_lo, s4
	v_mov_b32_e32 v4, s45
	s_waitcnt_vscnt null, 0x0
	s_barrier
	buffer_gl0_inv
	s_mov_b32 s4, exec_lo
	s_clause 0x3
	buffer_load_dword v1, v4, s[0:3], 0 offen
	buffer_load_dword v2, v4, s[0:3], 0 offen offset:4
	buffer_load_dword v3, v4, s[0:3], 0 offen offset:8
	;; [unrolled: 1-line block ×3, first 2 shown]
	s_waitcnt vmcnt(0)
	ds_write_b128 v11, v[1:4]
	s_waitcnt lgkmcnt(0)
	s_barrier
	buffer_gl0_inv
	v_cmpx_gt_u32_e32 19, v0
	s_cbranch_execz .LBB43_91
; %bb.88:
	v_mov_b32_e32 v1, 0
	v_mov_b32_e32 v3, 0
	v_add_nc_u32_e32 v13, -1, v0
	v_add_nc_u32_e32 v14, 0x2c0, v145
	v_mov_b32_e32 v2, 0
	v_mov_b32_e32 v4, 0
	v_add_nc_u32_e32 v15, 16, v145
	s_mov_b32 s5, 0
	.p2align	6
.LBB43_89:                              ; =>This Inner Loop Header: Depth=1
	s_clause 0x3
	buffer_load_dword v20, v15, s[0:3], 0 offen offset:8
	buffer_load_dword v21, v15, s[0:3], 0 offen offset:12
	buffer_load_dword v22, v15, s[0:3], 0 offen
	buffer_load_dword v23, v15, s[0:3], 0 offen offset:4
	ds_read_b128 v[16:19], v14
	v_add_nc_u32_e32 v13, 1, v13
	v_add_nc_u32_e32 v14, 16, v14
	;; [unrolled: 1-line block ×3, first 2 shown]
	v_cmp_lt_u32_e32 vcc_lo, 17, v13
	s_or_b32 s5, vcc_lo, s5
	s_waitcnt vmcnt(2) lgkmcnt(0)
	v_mul_f64 v[24:25], v[18:19], v[20:21]
	v_mul_f64 v[20:21], v[16:17], v[20:21]
	s_waitcnt vmcnt(0)
	v_fma_f64 v[16:17], v[16:17], v[22:23], -v[24:25]
	v_fma_f64 v[18:19], v[18:19], v[22:23], v[20:21]
	v_add_f64 v[3:4], v[3:4], v[16:17]
	v_add_f64 v[1:2], v[1:2], v[18:19]
	s_andn2_b32 exec_lo, exec_lo, s5
	s_cbranch_execnz .LBB43_89
; %bb.90:
	s_or_b32 exec_lo, exec_lo, s5
	v_mov_b32_e32 v13, 0
	ds_read_b128 v[13:16], v13 offset:304
	s_waitcnt lgkmcnt(0)
	v_mul_f64 v[17:18], v[1:2], v[15:16]
	v_mul_f64 v[15:16], v[3:4], v[15:16]
	v_fma_f64 v[3:4], v[3:4], v[13:14], -v[17:18]
	v_fma_f64 v[1:2], v[1:2], v[13:14], v[15:16]
	buffer_store_dword v4, off, s[0:3], 0 offset:324
	buffer_store_dword v3, off, s[0:3], 0 offset:320
	;; [unrolled: 1-line block ×4, first 2 shown]
.LBB43_91:
	s_or_b32 exec_lo, exec_lo, s4
	v_mov_b32_e32 v4, s43
	s_waitcnt_vscnt null, 0x0
	s_barrier
	buffer_gl0_inv
	s_mov_b32 s4, exec_lo
	s_clause 0x3
	buffer_load_dword v1, v4, s[0:3], 0 offen
	buffer_load_dword v2, v4, s[0:3], 0 offen offset:4
	buffer_load_dword v3, v4, s[0:3], 0 offen offset:8
	;; [unrolled: 1-line block ×3, first 2 shown]
	s_waitcnt vmcnt(0)
	ds_write_b128 v11, v[1:4]
	s_waitcnt lgkmcnt(0)
	s_barrier
	buffer_gl0_inv
	v_cmpx_gt_u32_e32 20, v0
	s_cbranch_execz .LBB43_95
; %bb.92:
	v_mov_b32_e32 v1, 0
	v_mov_b32_e32 v3, 0
	v_add_nc_u32_e32 v13, -1, v0
	v_add_nc_u32_e32 v14, 0x2c0, v145
	v_mov_b32_e32 v2, 0
	v_mov_b32_e32 v4, 0
	v_add_nc_u32_e32 v15, 16, v145
	s_mov_b32 s5, 0
	.p2align	6
.LBB43_93:                              ; =>This Inner Loop Header: Depth=1
	s_clause 0x3
	buffer_load_dword v20, v15, s[0:3], 0 offen offset:8
	buffer_load_dword v21, v15, s[0:3], 0 offen offset:12
	buffer_load_dword v22, v15, s[0:3], 0 offen
	buffer_load_dword v23, v15, s[0:3], 0 offen offset:4
	ds_read_b128 v[16:19], v14
	v_add_nc_u32_e32 v13, 1, v13
	v_add_nc_u32_e32 v14, 16, v14
	;; [unrolled: 1-line block ×3, first 2 shown]
	v_cmp_lt_u32_e32 vcc_lo, 18, v13
	s_or_b32 s5, vcc_lo, s5
	s_waitcnt vmcnt(2) lgkmcnt(0)
	v_mul_f64 v[24:25], v[18:19], v[20:21]
	v_mul_f64 v[20:21], v[16:17], v[20:21]
	s_waitcnt vmcnt(0)
	v_fma_f64 v[16:17], v[16:17], v[22:23], -v[24:25]
	v_fma_f64 v[18:19], v[18:19], v[22:23], v[20:21]
	v_add_f64 v[3:4], v[3:4], v[16:17]
	v_add_f64 v[1:2], v[1:2], v[18:19]
	s_andn2_b32 exec_lo, exec_lo, s5
	s_cbranch_execnz .LBB43_93
; %bb.94:
	s_or_b32 exec_lo, exec_lo, s5
	v_mov_b32_e32 v13, 0
	ds_read_b128 v[13:16], v13 offset:320
	s_waitcnt lgkmcnt(0)
	v_mul_f64 v[17:18], v[1:2], v[15:16]
	v_mul_f64 v[15:16], v[3:4], v[15:16]
	v_fma_f64 v[3:4], v[3:4], v[13:14], -v[17:18]
	v_fma_f64 v[1:2], v[1:2], v[13:14], v[15:16]
	buffer_store_dword v4, off, s[0:3], 0 offset:340
	buffer_store_dword v3, off, s[0:3], 0 offset:336
	;; [unrolled: 1-line block ×4, first 2 shown]
.LBB43_95:
	s_or_b32 exec_lo, exec_lo, s4
	v_mov_b32_e32 v4, s41
	s_waitcnt_vscnt null, 0x0
	s_barrier
	buffer_gl0_inv
	s_mov_b32 s4, exec_lo
	s_clause 0x3
	buffer_load_dword v1, v4, s[0:3], 0 offen
	buffer_load_dword v2, v4, s[0:3], 0 offen offset:4
	buffer_load_dword v3, v4, s[0:3], 0 offen offset:8
	;; [unrolled: 1-line block ×3, first 2 shown]
	s_waitcnt vmcnt(0)
	ds_write_b128 v11, v[1:4]
	s_waitcnt lgkmcnt(0)
	s_barrier
	buffer_gl0_inv
	v_cmpx_gt_u32_e32 21, v0
	s_cbranch_execz .LBB43_99
; %bb.96:
	v_mov_b32_e32 v1, 0
	v_mov_b32_e32 v3, 0
	v_add_nc_u32_e32 v13, -1, v0
	v_add_nc_u32_e32 v14, 0x2c0, v145
	v_mov_b32_e32 v2, 0
	v_mov_b32_e32 v4, 0
	v_add_nc_u32_e32 v15, 16, v145
	s_mov_b32 s5, 0
	.p2align	6
.LBB43_97:                              ; =>This Inner Loop Header: Depth=1
	s_clause 0x3
	buffer_load_dword v20, v15, s[0:3], 0 offen offset:8
	buffer_load_dword v21, v15, s[0:3], 0 offen offset:12
	buffer_load_dword v22, v15, s[0:3], 0 offen
	buffer_load_dword v23, v15, s[0:3], 0 offen offset:4
	ds_read_b128 v[16:19], v14
	v_add_nc_u32_e32 v13, 1, v13
	v_add_nc_u32_e32 v14, 16, v14
	;; [unrolled: 1-line block ×3, first 2 shown]
	v_cmp_lt_u32_e32 vcc_lo, 19, v13
	s_or_b32 s5, vcc_lo, s5
	s_waitcnt vmcnt(2) lgkmcnt(0)
	v_mul_f64 v[24:25], v[18:19], v[20:21]
	v_mul_f64 v[20:21], v[16:17], v[20:21]
	s_waitcnt vmcnt(0)
	v_fma_f64 v[16:17], v[16:17], v[22:23], -v[24:25]
	v_fma_f64 v[18:19], v[18:19], v[22:23], v[20:21]
	v_add_f64 v[3:4], v[3:4], v[16:17]
	v_add_f64 v[1:2], v[1:2], v[18:19]
	s_andn2_b32 exec_lo, exec_lo, s5
	s_cbranch_execnz .LBB43_97
; %bb.98:
	s_or_b32 exec_lo, exec_lo, s5
	v_mov_b32_e32 v13, 0
	ds_read_b128 v[13:16], v13 offset:336
	s_waitcnt lgkmcnt(0)
	v_mul_f64 v[17:18], v[1:2], v[15:16]
	v_mul_f64 v[15:16], v[3:4], v[15:16]
	v_fma_f64 v[3:4], v[3:4], v[13:14], -v[17:18]
	v_fma_f64 v[1:2], v[1:2], v[13:14], v[15:16]
	buffer_store_dword v4, off, s[0:3], 0 offset:356
	buffer_store_dword v3, off, s[0:3], 0 offset:352
	;; [unrolled: 1-line block ×4, first 2 shown]
.LBB43_99:
	s_or_b32 exec_lo, exec_lo, s4
	v_mov_b32_e32 v4, s39
	s_waitcnt_vscnt null, 0x0
	s_barrier
	buffer_gl0_inv
	s_mov_b32 s4, exec_lo
	s_clause 0x3
	buffer_load_dword v1, v4, s[0:3], 0 offen
	buffer_load_dword v2, v4, s[0:3], 0 offen offset:4
	buffer_load_dword v3, v4, s[0:3], 0 offen offset:8
	;; [unrolled: 1-line block ×3, first 2 shown]
	s_waitcnt vmcnt(0)
	ds_write_b128 v11, v[1:4]
	s_waitcnt lgkmcnt(0)
	s_barrier
	buffer_gl0_inv
	v_cmpx_gt_u32_e32 22, v0
	s_cbranch_execz .LBB43_103
; %bb.100:
	v_mov_b32_e32 v1, 0
	v_mov_b32_e32 v3, 0
	v_add_nc_u32_e32 v13, -1, v0
	v_add_nc_u32_e32 v14, 0x2c0, v145
	v_mov_b32_e32 v2, 0
	v_mov_b32_e32 v4, 0
	v_add_nc_u32_e32 v15, 16, v145
	s_mov_b32 s5, 0
	.p2align	6
.LBB43_101:                             ; =>This Inner Loop Header: Depth=1
	s_clause 0x3
	buffer_load_dword v20, v15, s[0:3], 0 offen offset:8
	buffer_load_dword v21, v15, s[0:3], 0 offen offset:12
	buffer_load_dword v22, v15, s[0:3], 0 offen
	buffer_load_dword v23, v15, s[0:3], 0 offen offset:4
	ds_read_b128 v[16:19], v14
	v_add_nc_u32_e32 v13, 1, v13
	v_add_nc_u32_e32 v14, 16, v14
	;; [unrolled: 1-line block ×3, first 2 shown]
	v_cmp_lt_u32_e32 vcc_lo, 20, v13
	s_or_b32 s5, vcc_lo, s5
	s_waitcnt vmcnt(2) lgkmcnt(0)
	v_mul_f64 v[24:25], v[18:19], v[20:21]
	v_mul_f64 v[20:21], v[16:17], v[20:21]
	s_waitcnt vmcnt(0)
	v_fma_f64 v[16:17], v[16:17], v[22:23], -v[24:25]
	v_fma_f64 v[18:19], v[18:19], v[22:23], v[20:21]
	v_add_f64 v[3:4], v[3:4], v[16:17]
	v_add_f64 v[1:2], v[1:2], v[18:19]
	s_andn2_b32 exec_lo, exec_lo, s5
	s_cbranch_execnz .LBB43_101
; %bb.102:
	s_or_b32 exec_lo, exec_lo, s5
	v_mov_b32_e32 v13, 0
	ds_read_b128 v[13:16], v13 offset:352
	s_waitcnt lgkmcnt(0)
	v_mul_f64 v[17:18], v[1:2], v[15:16]
	v_mul_f64 v[15:16], v[3:4], v[15:16]
	v_fma_f64 v[3:4], v[3:4], v[13:14], -v[17:18]
	v_fma_f64 v[1:2], v[1:2], v[13:14], v[15:16]
	buffer_store_dword v4, off, s[0:3], 0 offset:372
	buffer_store_dword v3, off, s[0:3], 0 offset:368
	;; [unrolled: 1-line block ×4, first 2 shown]
.LBB43_103:
	s_or_b32 exec_lo, exec_lo, s4
	v_mov_b32_e32 v4, s37
	s_waitcnt_vscnt null, 0x0
	s_barrier
	buffer_gl0_inv
	s_mov_b32 s4, exec_lo
	s_clause 0x3
	buffer_load_dword v1, v4, s[0:3], 0 offen
	buffer_load_dword v2, v4, s[0:3], 0 offen offset:4
	buffer_load_dword v3, v4, s[0:3], 0 offen offset:8
	buffer_load_dword v4, v4, s[0:3], 0 offen offset:12
	s_waitcnt vmcnt(0)
	ds_write_b128 v11, v[1:4]
	s_waitcnt lgkmcnt(0)
	s_barrier
	buffer_gl0_inv
	v_cmpx_gt_u32_e32 23, v0
	s_cbranch_execz .LBB43_107
; %bb.104:
	v_mov_b32_e32 v1, 0
	v_mov_b32_e32 v3, 0
	v_add_nc_u32_e32 v13, -1, v0
	v_add_nc_u32_e32 v14, 0x2c0, v145
	v_mov_b32_e32 v2, 0
	v_mov_b32_e32 v4, 0
	v_add_nc_u32_e32 v15, 16, v145
	s_mov_b32 s5, 0
	.p2align	6
.LBB43_105:                             ; =>This Inner Loop Header: Depth=1
	s_clause 0x3
	buffer_load_dword v20, v15, s[0:3], 0 offen offset:8
	buffer_load_dword v21, v15, s[0:3], 0 offen offset:12
	buffer_load_dword v22, v15, s[0:3], 0 offen
	buffer_load_dword v23, v15, s[0:3], 0 offen offset:4
	ds_read_b128 v[16:19], v14
	v_add_nc_u32_e32 v13, 1, v13
	v_add_nc_u32_e32 v14, 16, v14
	;; [unrolled: 1-line block ×3, first 2 shown]
	v_cmp_lt_u32_e32 vcc_lo, 21, v13
	s_or_b32 s5, vcc_lo, s5
	s_waitcnt vmcnt(2) lgkmcnt(0)
	v_mul_f64 v[24:25], v[18:19], v[20:21]
	v_mul_f64 v[20:21], v[16:17], v[20:21]
	s_waitcnt vmcnt(0)
	v_fma_f64 v[16:17], v[16:17], v[22:23], -v[24:25]
	v_fma_f64 v[18:19], v[18:19], v[22:23], v[20:21]
	v_add_f64 v[3:4], v[3:4], v[16:17]
	v_add_f64 v[1:2], v[1:2], v[18:19]
	s_andn2_b32 exec_lo, exec_lo, s5
	s_cbranch_execnz .LBB43_105
; %bb.106:
	s_or_b32 exec_lo, exec_lo, s5
	v_mov_b32_e32 v13, 0
	ds_read_b128 v[13:16], v13 offset:368
	s_waitcnt lgkmcnt(0)
	v_mul_f64 v[17:18], v[1:2], v[15:16]
	v_mul_f64 v[15:16], v[3:4], v[15:16]
	v_fma_f64 v[3:4], v[3:4], v[13:14], -v[17:18]
	v_fma_f64 v[1:2], v[1:2], v[13:14], v[15:16]
	buffer_store_dword v4, off, s[0:3], 0 offset:388
	buffer_store_dword v3, off, s[0:3], 0 offset:384
	;; [unrolled: 1-line block ×4, first 2 shown]
.LBB43_107:
	s_or_b32 exec_lo, exec_lo, s4
	v_mov_b32_e32 v4, s35
	s_waitcnt_vscnt null, 0x0
	s_barrier
	buffer_gl0_inv
	s_mov_b32 s4, exec_lo
	s_clause 0x3
	buffer_load_dword v1, v4, s[0:3], 0 offen
	buffer_load_dword v2, v4, s[0:3], 0 offen offset:4
	buffer_load_dword v3, v4, s[0:3], 0 offen offset:8
	;; [unrolled: 1-line block ×3, first 2 shown]
	s_waitcnt vmcnt(0)
	ds_write_b128 v11, v[1:4]
	s_waitcnt lgkmcnt(0)
	s_barrier
	buffer_gl0_inv
	v_cmpx_gt_u32_e32 24, v0
	s_cbranch_execz .LBB43_111
; %bb.108:
	v_mov_b32_e32 v1, 0
	v_mov_b32_e32 v3, 0
	v_add_nc_u32_e32 v13, -1, v0
	v_add_nc_u32_e32 v14, 0x2c0, v145
	v_mov_b32_e32 v2, 0
	v_mov_b32_e32 v4, 0
	v_add_nc_u32_e32 v15, 16, v145
	s_mov_b32 s5, 0
	.p2align	6
.LBB43_109:                             ; =>This Inner Loop Header: Depth=1
	s_clause 0x3
	buffer_load_dword v20, v15, s[0:3], 0 offen offset:8
	buffer_load_dword v21, v15, s[0:3], 0 offen offset:12
	buffer_load_dword v22, v15, s[0:3], 0 offen
	buffer_load_dword v23, v15, s[0:3], 0 offen offset:4
	ds_read_b128 v[16:19], v14
	v_add_nc_u32_e32 v13, 1, v13
	v_add_nc_u32_e32 v14, 16, v14
	;; [unrolled: 1-line block ×3, first 2 shown]
	v_cmp_lt_u32_e32 vcc_lo, 22, v13
	s_or_b32 s5, vcc_lo, s5
	s_waitcnt vmcnt(2) lgkmcnt(0)
	v_mul_f64 v[24:25], v[18:19], v[20:21]
	v_mul_f64 v[20:21], v[16:17], v[20:21]
	s_waitcnt vmcnt(0)
	v_fma_f64 v[16:17], v[16:17], v[22:23], -v[24:25]
	v_fma_f64 v[18:19], v[18:19], v[22:23], v[20:21]
	v_add_f64 v[3:4], v[3:4], v[16:17]
	v_add_f64 v[1:2], v[1:2], v[18:19]
	s_andn2_b32 exec_lo, exec_lo, s5
	s_cbranch_execnz .LBB43_109
; %bb.110:
	s_or_b32 exec_lo, exec_lo, s5
	v_mov_b32_e32 v13, 0
	ds_read_b128 v[13:16], v13 offset:384
	s_waitcnt lgkmcnt(0)
	v_mul_f64 v[17:18], v[1:2], v[15:16]
	v_mul_f64 v[15:16], v[3:4], v[15:16]
	v_fma_f64 v[3:4], v[3:4], v[13:14], -v[17:18]
	v_fma_f64 v[1:2], v[1:2], v[13:14], v[15:16]
	buffer_store_dword v4, off, s[0:3], 0 offset:404
	buffer_store_dword v3, off, s[0:3], 0 offset:400
	;; [unrolled: 1-line block ×4, first 2 shown]
.LBB43_111:
	s_or_b32 exec_lo, exec_lo, s4
	v_mov_b32_e32 v4, s33
	s_waitcnt_vscnt null, 0x0
	s_barrier
	buffer_gl0_inv
	s_mov_b32 s4, exec_lo
	s_clause 0x3
	buffer_load_dword v1, v4, s[0:3], 0 offen
	buffer_load_dword v2, v4, s[0:3], 0 offen offset:4
	buffer_load_dword v3, v4, s[0:3], 0 offen offset:8
	;; [unrolled: 1-line block ×3, first 2 shown]
	s_waitcnt vmcnt(0)
	ds_write_b128 v11, v[1:4]
	s_waitcnt lgkmcnt(0)
	s_barrier
	buffer_gl0_inv
	v_cmpx_gt_u32_e32 25, v0
	s_cbranch_execz .LBB43_115
; %bb.112:
	v_mov_b32_e32 v1, 0
	v_mov_b32_e32 v3, 0
	v_add_nc_u32_e32 v13, -1, v0
	v_add_nc_u32_e32 v14, 0x2c0, v145
	v_mov_b32_e32 v2, 0
	v_mov_b32_e32 v4, 0
	v_add_nc_u32_e32 v15, 16, v145
	s_mov_b32 s5, 0
	.p2align	6
.LBB43_113:                             ; =>This Inner Loop Header: Depth=1
	s_clause 0x3
	buffer_load_dword v20, v15, s[0:3], 0 offen offset:8
	buffer_load_dword v21, v15, s[0:3], 0 offen offset:12
	buffer_load_dword v22, v15, s[0:3], 0 offen
	buffer_load_dword v23, v15, s[0:3], 0 offen offset:4
	ds_read_b128 v[16:19], v14
	v_add_nc_u32_e32 v13, 1, v13
	v_add_nc_u32_e32 v14, 16, v14
	;; [unrolled: 1-line block ×3, first 2 shown]
	v_cmp_lt_u32_e32 vcc_lo, 23, v13
	s_or_b32 s5, vcc_lo, s5
	s_waitcnt vmcnt(2) lgkmcnt(0)
	v_mul_f64 v[24:25], v[18:19], v[20:21]
	v_mul_f64 v[20:21], v[16:17], v[20:21]
	s_waitcnt vmcnt(0)
	v_fma_f64 v[16:17], v[16:17], v[22:23], -v[24:25]
	v_fma_f64 v[18:19], v[18:19], v[22:23], v[20:21]
	v_add_f64 v[3:4], v[3:4], v[16:17]
	v_add_f64 v[1:2], v[1:2], v[18:19]
	s_andn2_b32 exec_lo, exec_lo, s5
	s_cbranch_execnz .LBB43_113
; %bb.114:
	s_or_b32 exec_lo, exec_lo, s5
	v_mov_b32_e32 v13, 0
	ds_read_b128 v[13:16], v13 offset:400
	s_waitcnt lgkmcnt(0)
	v_mul_f64 v[17:18], v[1:2], v[15:16]
	v_mul_f64 v[15:16], v[3:4], v[15:16]
	v_fma_f64 v[3:4], v[3:4], v[13:14], -v[17:18]
	v_fma_f64 v[1:2], v[1:2], v[13:14], v[15:16]
	buffer_store_dword v4, off, s[0:3], 0 offset:420
	buffer_store_dword v3, off, s[0:3], 0 offset:416
	;; [unrolled: 1-line block ×4, first 2 shown]
.LBB43_115:
	s_or_b32 exec_lo, exec_lo, s4
	v_mov_b32_e32 v4, s30
	s_waitcnt_vscnt null, 0x0
	s_barrier
	buffer_gl0_inv
	s_mov_b32 s4, exec_lo
	s_clause 0x3
	buffer_load_dword v1, v4, s[0:3], 0 offen
	buffer_load_dword v2, v4, s[0:3], 0 offen offset:4
	buffer_load_dword v3, v4, s[0:3], 0 offen offset:8
	;; [unrolled: 1-line block ×3, first 2 shown]
	s_waitcnt vmcnt(0)
	ds_write_b128 v11, v[1:4]
	s_waitcnt lgkmcnt(0)
	s_barrier
	buffer_gl0_inv
	v_cmpx_gt_u32_e32 26, v0
	s_cbranch_execz .LBB43_119
; %bb.116:
	v_mov_b32_e32 v1, 0
	v_mov_b32_e32 v3, 0
	v_add_nc_u32_e32 v13, -1, v0
	v_add_nc_u32_e32 v14, 0x2c0, v145
	v_mov_b32_e32 v2, 0
	v_mov_b32_e32 v4, 0
	v_add_nc_u32_e32 v15, 16, v145
	s_mov_b32 s5, 0
	.p2align	6
.LBB43_117:                             ; =>This Inner Loop Header: Depth=1
	s_clause 0x3
	buffer_load_dword v20, v15, s[0:3], 0 offen offset:8
	buffer_load_dword v21, v15, s[0:3], 0 offen offset:12
	buffer_load_dword v22, v15, s[0:3], 0 offen
	buffer_load_dword v23, v15, s[0:3], 0 offen offset:4
	ds_read_b128 v[16:19], v14
	v_add_nc_u32_e32 v13, 1, v13
	v_add_nc_u32_e32 v14, 16, v14
	;; [unrolled: 1-line block ×3, first 2 shown]
	v_cmp_lt_u32_e32 vcc_lo, 24, v13
	s_or_b32 s5, vcc_lo, s5
	s_waitcnt vmcnt(2) lgkmcnt(0)
	v_mul_f64 v[24:25], v[18:19], v[20:21]
	v_mul_f64 v[20:21], v[16:17], v[20:21]
	s_waitcnt vmcnt(0)
	v_fma_f64 v[16:17], v[16:17], v[22:23], -v[24:25]
	v_fma_f64 v[18:19], v[18:19], v[22:23], v[20:21]
	v_add_f64 v[3:4], v[3:4], v[16:17]
	v_add_f64 v[1:2], v[1:2], v[18:19]
	s_andn2_b32 exec_lo, exec_lo, s5
	s_cbranch_execnz .LBB43_117
; %bb.118:
	s_or_b32 exec_lo, exec_lo, s5
	v_mov_b32_e32 v13, 0
	ds_read_b128 v[13:16], v13 offset:416
	s_waitcnt lgkmcnt(0)
	v_mul_f64 v[17:18], v[1:2], v[15:16]
	v_mul_f64 v[15:16], v[3:4], v[15:16]
	v_fma_f64 v[3:4], v[3:4], v[13:14], -v[17:18]
	v_fma_f64 v[1:2], v[1:2], v[13:14], v[15:16]
	buffer_store_dword v4, off, s[0:3], 0 offset:436
	buffer_store_dword v3, off, s[0:3], 0 offset:432
	;; [unrolled: 1-line block ×4, first 2 shown]
.LBB43_119:
	s_or_b32 exec_lo, exec_lo, s4
	v_mov_b32_e32 v4, s28
	s_waitcnt_vscnt null, 0x0
	s_barrier
	buffer_gl0_inv
	s_mov_b32 s4, exec_lo
	s_clause 0x3
	buffer_load_dword v1, v4, s[0:3], 0 offen
	buffer_load_dword v2, v4, s[0:3], 0 offen offset:4
	buffer_load_dword v3, v4, s[0:3], 0 offen offset:8
	;; [unrolled: 1-line block ×3, first 2 shown]
	s_waitcnt vmcnt(0)
	ds_write_b128 v11, v[1:4]
	s_waitcnt lgkmcnt(0)
	s_barrier
	buffer_gl0_inv
	v_cmpx_gt_u32_e32 27, v0
	s_cbranch_execz .LBB43_123
; %bb.120:
	v_mov_b32_e32 v1, 0
	v_mov_b32_e32 v3, 0
	v_add_nc_u32_e32 v13, -1, v0
	v_add_nc_u32_e32 v14, 0x2c0, v145
	v_mov_b32_e32 v2, 0
	v_mov_b32_e32 v4, 0
	v_add_nc_u32_e32 v15, 16, v145
	s_mov_b32 s5, 0
	.p2align	6
.LBB43_121:                             ; =>This Inner Loop Header: Depth=1
	s_clause 0x3
	buffer_load_dword v20, v15, s[0:3], 0 offen offset:8
	buffer_load_dword v21, v15, s[0:3], 0 offen offset:12
	buffer_load_dword v22, v15, s[0:3], 0 offen
	buffer_load_dword v23, v15, s[0:3], 0 offen offset:4
	ds_read_b128 v[16:19], v14
	v_add_nc_u32_e32 v13, 1, v13
	v_add_nc_u32_e32 v14, 16, v14
	;; [unrolled: 1-line block ×3, first 2 shown]
	v_cmp_lt_u32_e32 vcc_lo, 25, v13
	s_or_b32 s5, vcc_lo, s5
	s_waitcnt vmcnt(2) lgkmcnt(0)
	v_mul_f64 v[24:25], v[18:19], v[20:21]
	v_mul_f64 v[20:21], v[16:17], v[20:21]
	s_waitcnt vmcnt(0)
	v_fma_f64 v[16:17], v[16:17], v[22:23], -v[24:25]
	v_fma_f64 v[18:19], v[18:19], v[22:23], v[20:21]
	v_add_f64 v[3:4], v[3:4], v[16:17]
	v_add_f64 v[1:2], v[1:2], v[18:19]
	s_andn2_b32 exec_lo, exec_lo, s5
	s_cbranch_execnz .LBB43_121
; %bb.122:
	s_or_b32 exec_lo, exec_lo, s5
	v_mov_b32_e32 v13, 0
	ds_read_b128 v[13:16], v13 offset:432
	s_waitcnt lgkmcnt(0)
	v_mul_f64 v[17:18], v[1:2], v[15:16]
	v_mul_f64 v[15:16], v[3:4], v[15:16]
	v_fma_f64 v[3:4], v[3:4], v[13:14], -v[17:18]
	v_fma_f64 v[1:2], v[1:2], v[13:14], v[15:16]
	buffer_store_dword v4, off, s[0:3], 0 offset:452
	buffer_store_dword v3, off, s[0:3], 0 offset:448
	buffer_store_dword v2, off, s[0:3], 0 offset:460
	buffer_store_dword v1, off, s[0:3], 0 offset:456
.LBB43_123:
	s_or_b32 exec_lo, exec_lo, s4
	v_mov_b32_e32 v4, s27
	s_waitcnt_vscnt null, 0x0
	s_barrier
	buffer_gl0_inv
	s_mov_b32 s4, exec_lo
	s_clause 0x3
	buffer_load_dword v1, v4, s[0:3], 0 offen
	buffer_load_dword v2, v4, s[0:3], 0 offen offset:4
	buffer_load_dword v3, v4, s[0:3], 0 offen offset:8
	;; [unrolled: 1-line block ×3, first 2 shown]
	s_waitcnt vmcnt(0)
	ds_write_b128 v11, v[1:4]
	s_waitcnt lgkmcnt(0)
	s_barrier
	buffer_gl0_inv
	v_cmpx_gt_u32_e32 28, v0
	s_cbranch_execz .LBB43_127
; %bb.124:
	v_mov_b32_e32 v1, 0
	v_mov_b32_e32 v3, 0
	v_add_nc_u32_e32 v13, -1, v0
	v_add_nc_u32_e32 v14, 0x2c0, v145
	v_mov_b32_e32 v2, 0
	v_mov_b32_e32 v4, 0
	v_add_nc_u32_e32 v15, 16, v145
	s_mov_b32 s5, 0
	.p2align	6
.LBB43_125:                             ; =>This Inner Loop Header: Depth=1
	s_clause 0x3
	buffer_load_dword v20, v15, s[0:3], 0 offen offset:8
	buffer_load_dword v21, v15, s[0:3], 0 offen offset:12
	buffer_load_dword v22, v15, s[0:3], 0 offen
	buffer_load_dword v23, v15, s[0:3], 0 offen offset:4
	ds_read_b128 v[16:19], v14
	v_add_nc_u32_e32 v13, 1, v13
	v_add_nc_u32_e32 v14, 16, v14
	v_add_nc_u32_e32 v15, 16, v15
	v_cmp_lt_u32_e32 vcc_lo, 26, v13
	s_or_b32 s5, vcc_lo, s5
	s_waitcnt vmcnt(2) lgkmcnt(0)
	v_mul_f64 v[24:25], v[18:19], v[20:21]
	v_mul_f64 v[20:21], v[16:17], v[20:21]
	s_waitcnt vmcnt(0)
	v_fma_f64 v[16:17], v[16:17], v[22:23], -v[24:25]
	v_fma_f64 v[18:19], v[18:19], v[22:23], v[20:21]
	v_add_f64 v[3:4], v[3:4], v[16:17]
	v_add_f64 v[1:2], v[1:2], v[18:19]
	s_andn2_b32 exec_lo, exec_lo, s5
	s_cbranch_execnz .LBB43_125
; %bb.126:
	s_or_b32 exec_lo, exec_lo, s5
	v_mov_b32_e32 v13, 0
	ds_read_b128 v[13:16], v13 offset:448
	s_waitcnt lgkmcnt(0)
	v_mul_f64 v[17:18], v[1:2], v[15:16]
	v_mul_f64 v[15:16], v[3:4], v[15:16]
	v_fma_f64 v[3:4], v[3:4], v[13:14], -v[17:18]
	v_fma_f64 v[1:2], v[1:2], v[13:14], v[15:16]
	buffer_store_dword v4, off, s[0:3], 0 offset:468
	buffer_store_dword v3, off, s[0:3], 0 offset:464
	;; [unrolled: 1-line block ×4, first 2 shown]
.LBB43_127:
	s_or_b32 exec_lo, exec_lo, s4
	v_mov_b32_e32 v4, s26
	s_waitcnt_vscnt null, 0x0
	s_barrier
	buffer_gl0_inv
	s_mov_b32 s4, exec_lo
	s_clause 0x3
	buffer_load_dword v1, v4, s[0:3], 0 offen
	buffer_load_dword v2, v4, s[0:3], 0 offen offset:4
	buffer_load_dword v3, v4, s[0:3], 0 offen offset:8
	;; [unrolled: 1-line block ×3, first 2 shown]
	s_waitcnt vmcnt(0)
	ds_write_b128 v11, v[1:4]
	s_waitcnt lgkmcnt(0)
	s_barrier
	buffer_gl0_inv
	v_cmpx_gt_u32_e32 29, v0
	s_cbranch_execz .LBB43_131
; %bb.128:
	v_mov_b32_e32 v1, 0
	v_mov_b32_e32 v3, 0
	v_add_nc_u32_e32 v13, -1, v0
	v_add_nc_u32_e32 v14, 0x2c0, v145
	v_mov_b32_e32 v2, 0
	v_mov_b32_e32 v4, 0
	v_add_nc_u32_e32 v15, 16, v145
	s_mov_b32 s5, 0
	.p2align	6
.LBB43_129:                             ; =>This Inner Loop Header: Depth=1
	s_clause 0x3
	buffer_load_dword v20, v15, s[0:3], 0 offen offset:8
	buffer_load_dword v21, v15, s[0:3], 0 offen offset:12
	buffer_load_dword v22, v15, s[0:3], 0 offen
	buffer_load_dword v23, v15, s[0:3], 0 offen offset:4
	ds_read_b128 v[16:19], v14
	v_add_nc_u32_e32 v13, 1, v13
	v_add_nc_u32_e32 v14, 16, v14
	;; [unrolled: 1-line block ×3, first 2 shown]
	v_cmp_lt_u32_e32 vcc_lo, 27, v13
	s_or_b32 s5, vcc_lo, s5
	s_waitcnt vmcnt(2) lgkmcnt(0)
	v_mul_f64 v[24:25], v[18:19], v[20:21]
	v_mul_f64 v[20:21], v[16:17], v[20:21]
	s_waitcnt vmcnt(0)
	v_fma_f64 v[16:17], v[16:17], v[22:23], -v[24:25]
	v_fma_f64 v[18:19], v[18:19], v[22:23], v[20:21]
	v_add_f64 v[3:4], v[3:4], v[16:17]
	v_add_f64 v[1:2], v[1:2], v[18:19]
	s_andn2_b32 exec_lo, exec_lo, s5
	s_cbranch_execnz .LBB43_129
; %bb.130:
	s_or_b32 exec_lo, exec_lo, s5
	v_mov_b32_e32 v13, 0
	ds_read_b128 v[13:16], v13 offset:464
	s_waitcnt lgkmcnt(0)
	v_mul_f64 v[17:18], v[1:2], v[15:16]
	v_mul_f64 v[15:16], v[3:4], v[15:16]
	v_fma_f64 v[3:4], v[3:4], v[13:14], -v[17:18]
	v_fma_f64 v[1:2], v[1:2], v[13:14], v[15:16]
	buffer_store_dword v4, off, s[0:3], 0 offset:484
	buffer_store_dword v3, off, s[0:3], 0 offset:480
	;; [unrolled: 1-line block ×4, first 2 shown]
.LBB43_131:
	s_or_b32 exec_lo, exec_lo, s4
	v_mov_b32_e32 v4, s25
	s_waitcnt_vscnt null, 0x0
	s_barrier
	buffer_gl0_inv
	s_mov_b32 s4, exec_lo
	s_clause 0x3
	buffer_load_dword v1, v4, s[0:3], 0 offen
	buffer_load_dword v2, v4, s[0:3], 0 offen offset:4
	buffer_load_dword v3, v4, s[0:3], 0 offen offset:8
	;; [unrolled: 1-line block ×3, first 2 shown]
	s_waitcnt vmcnt(0)
	ds_write_b128 v11, v[1:4]
	s_waitcnt lgkmcnt(0)
	s_barrier
	buffer_gl0_inv
	v_cmpx_gt_u32_e32 30, v0
	s_cbranch_execz .LBB43_135
; %bb.132:
	v_mov_b32_e32 v1, 0
	v_mov_b32_e32 v3, 0
	v_add_nc_u32_e32 v13, -1, v0
	v_add_nc_u32_e32 v14, 0x2c0, v145
	v_mov_b32_e32 v2, 0
	v_mov_b32_e32 v4, 0
	v_add_nc_u32_e32 v15, 16, v145
	s_mov_b32 s5, 0
	.p2align	6
.LBB43_133:                             ; =>This Inner Loop Header: Depth=1
	s_clause 0x3
	buffer_load_dword v20, v15, s[0:3], 0 offen offset:8
	buffer_load_dword v21, v15, s[0:3], 0 offen offset:12
	buffer_load_dword v22, v15, s[0:3], 0 offen
	buffer_load_dword v23, v15, s[0:3], 0 offen offset:4
	ds_read_b128 v[16:19], v14
	v_add_nc_u32_e32 v13, 1, v13
	v_add_nc_u32_e32 v14, 16, v14
	;; [unrolled: 1-line block ×3, first 2 shown]
	v_cmp_lt_u32_e32 vcc_lo, 28, v13
	s_or_b32 s5, vcc_lo, s5
	s_waitcnt vmcnt(2) lgkmcnt(0)
	v_mul_f64 v[24:25], v[18:19], v[20:21]
	v_mul_f64 v[20:21], v[16:17], v[20:21]
	s_waitcnt vmcnt(0)
	v_fma_f64 v[16:17], v[16:17], v[22:23], -v[24:25]
	v_fma_f64 v[18:19], v[18:19], v[22:23], v[20:21]
	v_add_f64 v[3:4], v[3:4], v[16:17]
	v_add_f64 v[1:2], v[1:2], v[18:19]
	s_andn2_b32 exec_lo, exec_lo, s5
	s_cbranch_execnz .LBB43_133
; %bb.134:
	s_or_b32 exec_lo, exec_lo, s5
	v_mov_b32_e32 v13, 0
	ds_read_b128 v[13:16], v13 offset:480
	s_waitcnt lgkmcnt(0)
	v_mul_f64 v[17:18], v[1:2], v[15:16]
	v_mul_f64 v[15:16], v[3:4], v[15:16]
	v_fma_f64 v[3:4], v[3:4], v[13:14], -v[17:18]
	v_fma_f64 v[1:2], v[1:2], v[13:14], v[15:16]
	buffer_store_dword v4, off, s[0:3], 0 offset:500
	buffer_store_dword v3, off, s[0:3], 0 offset:496
	;; [unrolled: 1-line block ×4, first 2 shown]
.LBB43_135:
	s_or_b32 exec_lo, exec_lo, s4
	v_mov_b32_e32 v4, s24
	s_waitcnt_vscnt null, 0x0
	s_barrier
	buffer_gl0_inv
	s_mov_b32 s4, exec_lo
	s_clause 0x3
	buffer_load_dword v1, v4, s[0:3], 0 offen
	buffer_load_dword v2, v4, s[0:3], 0 offen offset:4
	buffer_load_dword v3, v4, s[0:3], 0 offen offset:8
	;; [unrolled: 1-line block ×3, first 2 shown]
	s_waitcnt vmcnt(0)
	ds_write_b128 v11, v[1:4]
	s_waitcnt lgkmcnt(0)
	s_barrier
	buffer_gl0_inv
	v_cmpx_gt_u32_e32 31, v0
	s_cbranch_execz .LBB43_139
; %bb.136:
	v_mov_b32_e32 v1, 0
	v_mov_b32_e32 v3, 0
	v_add_nc_u32_e32 v13, -1, v0
	v_add_nc_u32_e32 v14, 0x2c0, v145
	v_mov_b32_e32 v2, 0
	v_mov_b32_e32 v4, 0
	v_add_nc_u32_e32 v15, 16, v145
	s_mov_b32 s5, 0
	.p2align	6
.LBB43_137:                             ; =>This Inner Loop Header: Depth=1
	s_clause 0x3
	buffer_load_dword v20, v15, s[0:3], 0 offen offset:8
	buffer_load_dword v21, v15, s[0:3], 0 offen offset:12
	buffer_load_dword v22, v15, s[0:3], 0 offen
	buffer_load_dword v23, v15, s[0:3], 0 offen offset:4
	ds_read_b128 v[16:19], v14
	v_add_nc_u32_e32 v13, 1, v13
	v_add_nc_u32_e32 v14, 16, v14
	;; [unrolled: 1-line block ×3, first 2 shown]
	v_cmp_lt_u32_e32 vcc_lo, 29, v13
	s_or_b32 s5, vcc_lo, s5
	s_waitcnt vmcnt(2) lgkmcnt(0)
	v_mul_f64 v[24:25], v[18:19], v[20:21]
	v_mul_f64 v[20:21], v[16:17], v[20:21]
	s_waitcnt vmcnt(0)
	v_fma_f64 v[16:17], v[16:17], v[22:23], -v[24:25]
	v_fma_f64 v[18:19], v[18:19], v[22:23], v[20:21]
	v_add_f64 v[3:4], v[3:4], v[16:17]
	v_add_f64 v[1:2], v[1:2], v[18:19]
	s_andn2_b32 exec_lo, exec_lo, s5
	s_cbranch_execnz .LBB43_137
; %bb.138:
	s_or_b32 exec_lo, exec_lo, s5
	v_mov_b32_e32 v13, 0
	ds_read_b128 v[13:16], v13 offset:496
	s_waitcnt lgkmcnt(0)
	v_mul_f64 v[17:18], v[1:2], v[15:16]
	v_mul_f64 v[15:16], v[3:4], v[15:16]
	v_fma_f64 v[3:4], v[3:4], v[13:14], -v[17:18]
	v_fma_f64 v[1:2], v[1:2], v[13:14], v[15:16]
	buffer_store_dword v4, off, s[0:3], 0 offset:516
	buffer_store_dword v3, off, s[0:3], 0 offset:512
	;; [unrolled: 1-line block ×4, first 2 shown]
.LBB43_139:
	s_or_b32 exec_lo, exec_lo, s4
	v_mov_b32_e32 v4, s23
	s_waitcnt_vscnt null, 0x0
	s_barrier
	buffer_gl0_inv
	s_mov_b32 s4, exec_lo
	s_clause 0x3
	buffer_load_dword v1, v4, s[0:3], 0 offen
	buffer_load_dword v2, v4, s[0:3], 0 offen offset:4
	buffer_load_dword v3, v4, s[0:3], 0 offen offset:8
	;; [unrolled: 1-line block ×3, first 2 shown]
	s_waitcnt vmcnt(0)
	ds_write_b128 v11, v[1:4]
	s_waitcnt lgkmcnt(0)
	s_barrier
	buffer_gl0_inv
	v_cmpx_gt_u32_e32 32, v0
	s_cbranch_execz .LBB43_143
; %bb.140:
	v_mov_b32_e32 v1, 0
	v_mov_b32_e32 v3, 0
	v_add_nc_u32_e32 v13, -1, v0
	v_add_nc_u32_e32 v14, 0x2c0, v145
	v_mov_b32_e32 v2, 0
	v_mov_b32_e32 v4, 0
	v_add_nc_u32_e32 v15, 16, v145
	s_mov_b32 s5, 0
	.p2align	6
.LBB43_141:                             ; =>This Inner Loop Header: Depth=1
	s_clause 0x3
	buffer_load_dword v20, v15, s[0:3], 0 offen offset:8
	buffer_load_dword v21, v15, s[0:3], 0 offen offset:12
	buffer_load_dword v22, v15, s[0:3], 0 offen
	buffer_load_dword v23, v15, s[0:3], 0 offen offset:4
	ds_read_b128 v[16:19], v14
	v_add_nc_u32_e32 v13, 1, v13
	v_add_nc_u32_e32 v14, 16, v14
	;; [unrolled: 1-line block ×3, first 2 shown]
	v_cmp_lt_u32_e32 vcc_lo, 30, v13
	s_or_b32 s5, vcc_lo, s5
	s_waitcnt vmcnt(2) lgkmcnt(0)
	v_mul_f64 v[24:25], v[18:19], v[20:21]
	v_mul_f64 v[20:21], v[16:17], v[20:21]
	s_waitcnt vmcnt(0)
	v_fma_f64 v[16:17], v[16:17], v[22:23], -v[24:25]
	v_fma_f64 v[18:19], v[18:19], v[22:23], v[20:21]
	v_add_f64 v[3:4], v[3:4], v[16:17]
	v_add_f64 v[1:2], v[1:2], v[18:19]
	s_andn2_b32 exec_lo, exec_lo, s5
	s_cbranch_execnz .LBB43_141
; %bb.142:
	s_or_b32 exec_lo, exec_lo, s5
	v_mov_b32_e32 v13, 0
	ds_read_b128 v[13:16], v13 offset:512
	s_waitcnt lgkmcnt(0)
	v_mul_f64 v[17:18], v[1:2], v[15:16]
	v_mul_f64 v[15:16], v[3:4], v[15:16]
	v_fma_f64 v[3:4], v[3:4], v[13:14], -v[17:18]
	v_fma_f64 v[1:2], v[1:2], v[13:14], v[15:16]
	buffer_store_dword v4, off, s[0:3], 0 offset:532
	buffer_store_dword v3, off, s[0:3], 0 offset:528
	;; [unrolled: 1-line block ×4, first 2 shown]
.LBB43_143:
	s_or_b32 exec_lo, exec_lo, s4
	v_mov_b32_e32 v4, s22
	s_waitcnt_vscnt null, 0x0
	s_barrier
	buffer_gl0_inv
	s_mov_b32 s4, exec_lo
	s_clause 0x3
	buffer_load_dword v1, v4, s[0:3], 0 offen
	buffer_load_dword v2, v4, s[0:3], 0 offen offset:4
	buffer_load_dword v3, v4, s[0:3], 0 offen offset:8
	;; [unrolled: 1-line block ×3, first 2 shown]
	s_waitcnt vmcnt(0)
	ds_write_b128 v11, v[1:4]
	s_waitcnt lgkmcnt(0)
	s_barrier
	buffer_gl0_inv
	v_cmpx_gt_u32_e32 33, v0
	s_cbranch_execz .LBB43_147
; %bb.144:
	v_mov_b32_e32 v1, 0
	v_mov_b32_e32 v3, 0
	v_add_nc_u32_e32 v13, -1, v0
	v_add_nc_u32_e32 v14, 0x2c0, v145
	v_mov_b32_e32 v2, 0
	v_mov_b32_e32 v4, 0
	v_add_nc_u32_e32 v15, 16, v145
	s_mov_b32 s5, 0
	.p2align	6
.LBB43_145:                             ; =>This Inner Loop Header: Depth=1
	s_clause 0x3
	buffer_load_dword v20, v15, s[0:3], 0 offen offset:8
	buffer_load_dword v21, v15, s[0:3], 0 offen offset:12
	buffer_load_dword v22, v15, s[0:3], 0 offen
	buffer_load_dword v23, v15, s[0:3], 0 offen offset:4
	ds_read_b128 v[16:19], v14
	v_add_nc_u32_e32 v13, 1, v13
	v_add_nc_u32_e32 v14, 16, v14
	;; [unrolled: 1-line block ×3, first 2 shown]
	v_cmp_lt_u32_e32 vcc_lo, 31, v13
	s_or_b32 s5, vcc_lo, s5
	s_waitcnt vmcnt(2) lgkmcnt(0)
	v_mul_f64 v[24:25], v[18:19], v[20:21]
	v_mul_f64 v[20:21], v[16:17], v[20:21]
	s_waitcnt vmcnt(0)
	v_fma_f64 v[16:17], v[16:17], v[22:23], -v[24:25]
	v_fma_f64 v[18:19], v[18:19], v[22:23], v[20:21]
	v_add_f64 v[3:4], v[3:4], v[16:17]
	v_add_f64 v[1:2], v[1:2], v[18:19]
	s_andn2_b32 exec_lo, exec_lo, s5
	s_cbranch_execnz .LBB43_145
; %bb.146:
	s_or_b32 exec_lo, exec_lo, s5
	v_mov_b32_e32 v13, 0
	ds_read_b128 v[13:16], v13 offset:528
	s_waitcnt lgkmcnt(0)
	v_mul_f64 v[17:18], v[1:2], v[15:16]
	v_mul_f64 v[15:16], v[3:4], v[15:16]
	v_fma_f64 v[3:4], v[3:4], v[13:14], -v[17:18]
	v_fma_f64 v[1:2], v[1:2], v[13:14], v[15:16]
	buffer_store_dword v4, off, s[0:3], 0 offset:548
	buffer_store_dword v3, off, s[0:3], 0 offset:544
	;; [unrolled: 1-line block ×4, first 2 shown]
.LBB43_147:
	s_or_b32 exec_lo, exec_lo, s4
	v_mov_b32_e32 v4, s19
	s_waitcnt_vscnt null, 0x0
	s_barrier
	buffer_gl0_inv
	s_mov_b32 s4, exec_lo
	s_clause 0x3
	buffer_load_dword v1, v4, s[0:3], 0 offen
	buffer_load_dword v2, v4, s[0:3], 0 offen offset:4
	buffer_load_dword v3, v4, s[0:3], 0 offen offset:8
	;; [unrolled: 1-line block ×3, first 2 shown]
	s_waitcnt vmcnt(0)
	ds_write_b128 v11, v[1:4]
	s_waitcnt lgkmcnt(0)
	s_barrier
	buffer_gl0_inv
	v_cmpx_gt_u32_e32 34, v0
	s_cbranch_execz .LBB43_151
; %bb.148:
	v_mov_b32_e32 v1, 0
	v_mov_b32_e32 v3, 0
	v_add_nc_u32_e32 v13, -1, v0
	v_add_nc_u32_e32 v14, 0x2c0, v145
	v_mov_b32_e32 v2, 0
	v_mov_b32_e32 v4, 0
	v_add_nc_u32_e32 v15, 16, v145
	s_mov_b32 s5, 0
	.p2align	6
.LBB43_149:                             ; =>This Inner Loop Header: Depth=1
	s_clause 0x3
	buffer_load_dword v20, v15, s[0:3], 0 offen offset:8
	buffer_load_dword v21, v15, s[0:3], 0 offen offset:12
	buffer_load_dword v22, v15, s[0:3], 0 offen
	buffer_load_dword v23, v15, s[0:3], 0 offen offset:4
	ds_read_b128 v[16:19], v14
	v_add_nc_u32_e32 v13, 1, v13
	v_add_nc_u32_e32 v14, 16, v14
	;; [unrolled: 1-line block ×3, first 2 shown]
	v_cmp_lt_u32_e32 vcc_lo, 32, v13
	s_or_b32 s5, vcc_lo, s5
	s_waitcnt vmcnt(2) lgkmcnt(0)
	v_mul_f64 v[24:25], v[18:19], v[20:21]
	v_mul_f64 v[20:21], v[16:17], v[20:21]
	s_waitcnt vmcnt(0)
	v_fma_f64 v[16:17], v[16:17], v[22:23], -v[24:25]
	v_fma_f64 v[18:19], v[18:19], v[22:23], v[20:21]
	v_add_f64 v[3:4], v[3:4], v[16:17]
	v_add_f64 v[1:2], v[1:2], v[18:19]
	s_andn2_b32 exec_lo, exec_lo, s5
	s_cbranch_execnz .LBB43_149
; %bb.150:
	s_or_b32 exec_lo, exec_lo, s5
	v_mov_b32_e32 v13, 0
	ds_read_b128 v[13:16], v13 offset:544
	s_waitcnt lgkmcnt(0)
	v_mul_f64 v[17:18], v[1:2], v[15:16]
	v_mul_f64 v[15:16], v[3:4], v[15:16]
	v_fma_f64 v[3:4], v[3:4], v[13:14], -v[17:18]
	v_fma_f64 v[1:2], v[1:2], v[13:14], v[15:16]
	buffer_store_dword v4, off, s[0:3], 0 offset:564
	buffer_store_dword v3, off, s[0:3], 0 offset:560
	;; [unrolled: 1-line block ×4, first 2 shown]
.LBB43_151:
	s_or_b32 exec_lo, exec_lo, s4
	v_mov_b32_e32 v4, s18
	s_waitcnt_vscnt null, 0x0
	s_barrier
	buffer_gl0_inv
	s_mov_b32 s4, exec_lo
	s_clause 0x3
	buffer_load_dword v1, v4, s[0:3], 0 offen
	buffer_load_dword v2, v4, s[0:3], 0 offen offset:4
	buffer_load_dword v3, v4, s[0:3], 0 offen offset:8
	;; [unrolled: 1-line block ×3, first 2 shown]
	s_waitcnt vmcnt(0)
	ds_write_b128 v11, v[1:4]
	s_waitcnt lgkmcnt(0)
	s_barrier
	buffer_gl0_inv
	v_cmpx_gt_u32_e32 35, v0
	s_cbranch_execz .LBB43_155
; %bb.152:
	v_mov_b32_e32 v1, 0
	v_mov_b32_e32 v3, 0
	v_add_nc_u32_e32 v13, -1, v0
	v_add_nc_u32_e32 v14, 0x2c0, v145
	v_mov_b32_e32 v2, 0
	v_mov_b32_e32 v4, 0
	v_add_nc_u32_e32 v15, 16, v145
	s_mov_b32 s5, 0
	.p2align	6
.LBB43_153:                             ; =>This Inner Loop Header: Depth=1
	s_clause 0x3
	buffer_load_dword v20, v15, s[0:3], 0 offen offset:8
	buffer_load_dword v21, v15, s[0:3], 0 offen offset:12
	buffer_load_dword v22, v15, s[0:3], 0 offen
	buffer_load_dword v23, v15, s[0:3], 0 offen offset:4
	ds_read_b128 v[16:19], v14
	v_add_nc_u32_e32 v13, 1, v13
	v_add_nc_u32_e32 v14, 16, v14
	;; [unrolled: 1-line block ×3, first 2 shown]
	v_cmp_lt_u32_e32 vcc_lo, 33, v13
	s_or_b32 s5, vcc_lo, s5
	s_waitcnt vmcnt(2) lgkmcnt(0)
	v_mul_f64 v[24:25], v[18:19], v[20:21]
	v_mul_f64 v[20:21], v[16:17], v[20:21]
	s_waitcnt vmcnt(0)
	v_fma_f64 v[16:17], v[16:17], v[22:23], -v[24:25]
	v_fma_f64 v[18:19], v[18:19], v[22:23], v[20:21]
	v_add_f64 v[3:4], v[3:4], v[16:17]
	v_add_f64 v[1:2], v[1:2], v[18:19]
	s_andn2_b32 exec_lo, exec_lo, s5
	s_cbranch_execnz .LBB43_153
; %bb.154:
	s_or_b32 exec_lo, exec_lo, s5
	v_mov_b32_e32 v13, 0
	ds_read_b128 v[13:16], v13 offset:560
	s_waitcnt lgkmcnt(0)
	v_mul_f64 v[17:18], v[1:2], v[15:16]
	v_mul_f64 v[15:16], v[3:4], v[15:16]
	v_fma_f64 v[3:4], v[3:4], v[13:14], -v[17:18]
	v_fma_f64 v[1:2], v[1:2], v[13:14], v[15:16]
	buffer_store_dword v4, off, s[0:3], 0 offset:580
	buffer_store_dword v3, off, s[0:3], 0 offset:576
	;; [unrolled: 1-line block ×4, first 2 shown]
.LBB43_155:
	s_or_b32 exec_lo, exec_lo, s4
	v_mov_b32_e32 v4, s17
	s_waitcnt_vscnt null, 0x0
	s_barrier
	buffer_gl0_inv
	s_mov_b32 s4, exec_lo
	s_clause 0x3
	buffer_load_dword v1, v4, s[0:3], 0 offen
	buffer_load_dword v2, v4, s[0:3], 0 offen offset:4
	buffer_load_dword v3, v4, s[0:3], 0 offen offset:8
	;; [unrolled: 1-line block ×3, first 2 shown]
	s_waitcnt vmcnt(0)
	ds_write_b128 v11, v[1:4]
	s_waitcnt lgkmcnt(0)
	s_barrier
	buffer_gl0_inv
	v_cmpx_gt_u32_e32 36, v0
	s_cbranch_execz .LBB43_159
; %bb.156:
	v_mov_b32_e32 v1, 0
	v_mov_b32_e32 v3, 0
	v_add_nc_u32_e32 v13, -1, v0
	v_add_nc_u32_e32 v14, 0x2c0, v145
	v_mov_b32_e32 v2, 0
	v_mov_b32_e32 v4, 0
	v_add_nc_u32_e32 v15, 16, v145
	s_mov_b32 s5, 0
	.p2align	6
.LBB43_157:                             ; =>This Inner Loop Header: Depth=1
	s_clause 0x3
	buffer_load_dword v20, v15, s[0:3], 0 offen offset:8
	buffer_load_dword v21, v15, s[0:3], 0 offen offset:12
	buffer_load_dword v22, v15, s[0:3], 0 offen
	buffer_load_dword v23, v15, s[0:3], 0 offen offset:4
	ds_read_b128 v[16:19], v14
	v_add_nc_u32_e32 v13, 1, v13
	v_add_nc_u32_e32 v14, 16, v14
	;; [unrolled: 1-line block ×3, first 2 shown]
	v_cmp_lt_u32_e32 vcc_lo, 34, v13
	s_or_b32 s5, vcc_lo, s5
	s_waitcnt vmcnt(2) lgkmcnt(0)
	v_mul_f64 v[24:25], v[18:19], v[20:21]
	v_mul_f64 v[20:21], v[16:17], v[20:21]
	s_waitcnt vmcnt(0)
	v_fma_f64 v[16:17], v[16:17], v[22:23], -v[24:25]
	v_fma_f64 v[18:19], v[18:19], v[22:23], v[20:21]
	v_add_f64 v[3:4], v[3:4], v[16:17]
	v_add_f64 v[1:2], v[1:2], v[18:19]
	s_andn2_b32 exec_lo, exec_lo, s5
	s_cbranch_execnz .LBB43_157
; %bb.158:
	s_or_b32 exec_lo, exec_lo, s5
	v_mov_b32_e32 v13, 0
	ds_read_b128 v[13:16], v13 offset:576
	s_waitcnt lgkmcnt(0)
	v_mul_f64 v[17:18], v[1:2], v[15:16]
	v_mul_f64 v[15:16], v[3:4], v[15:16]
	v_fma_f64 v[3:4], v[3:4], v[13:14], -v[17:18]
	v_fma_f64 v[1:2], v[1:2], v[13:14], v[15:16]
	buffer_store_dword v4, off, s[0:3], 0 offset:596
	buffer_store_dword v3, off, s[0:3], 0 offset:592
	;; [unrolled: 1-line block ×4, first 2 shown]
.LBB43_159:
	s_or_b32 exec_lo, exec_lo, s4
	v_mov_b32_e32 v4, s16
	s_waitcnt_vscnt null, 0x0
	s_barrier
	buffer_gl0_inv
	s_mov_b32 s4, exec_lo
	s_clause 0x3
	buffer_load_dword v1, v4, s[0:3], 0 offen
	buffer_load_dword v2, v4, s[0:3], 0 offen offset:4
	buffer_load_dword v3, v4, s[0:3], 0 offen offset:8
	;; [unrolled: 1-line block ×3, first 2 shown]
	s_waitcnt vmcnt(0)
	ds_write_b128 v11, v[1:4]
	s_waitcnt lgkmcnt(0)
	s_barrier
	buffer_gl0_inv
	v_cmpx_gt_u32_e32 37, v0
	s_cbranch_execz .LBB43_163
; %bb.160:
	v_mov_b32_e32 v1, 0
	v_mov_b32_e32 v3, 0
	v_add_nc_u32_e32 v13, -1, v0
	v_add_nc_u32_e32 v14, 0x2c0, v145
	v_mov_b32_e32 v2, 0
	v_mov_b32_e32 v4, 0
	v_add_nc_u32_e32 v15, 16, v145
	s_mov_b32 s5, 0
	.p2align	6
.LBB43_161:                             ; =>This Inner Loop Header: Depth=1
	s_clause 0x3
	buffer_load_dword v20, v15, s[0:3], 0 offen offset:8
	buffer_load_dword v21, v15, s[0:3], 0 offen offset:12
	buffer_load_dword v22, v15, s[0:3], 0 offen
	buffer_load_dword v23, v15, s[0:3], 0 offen offset:4
	ds_read_b128 v[16:19], v14
	v_add_nc_u32_e32 v13, 1, v13
	v_add_nc_u32_e32 v14, 16, v14
	;; [unrolled: 1-line block ×3, first 2 shown]
	v_cmp_lt_u32_e32 vcc_lo, 35, v13
	s_or_b32 s5, vcc_lo, s5
	s_waitcnt vmcnt(2) lgkmcnt(0)
	v_mul_f64 v[24:25], v[18:19], v[20:21]
	v_mul_f64 v[20:21], v[16:17], v[20:21]
	s_waitcnt vmcnt(0)
	v_fma_f64 v[16:17], v[16:17], v[22:23], -v[24:25]
	v_fma_f64 v[18:19], v[18:19], v[22:23], v[20:21]
	v_add_f64 v[3:4], v[3:4], v[16:17]
	v_add_f64 v[1:2], v[1:2], v[18:19]
	s_andn2_b32 exec_lo, exec_lo, s5
	s_cbranch_execnz .LBB43_161
; %bb.162:
	s_or_b32 exec_lo, exec_lo, s5
	v_mov_b32_e32 v13, 0
	ds_read_b128 v[13:16], v13 offset:592
	s_waitcnt lgkmcnt(0)
	v_mul_f64 v[17:18], v[1:2], v[15:16]
	v_mul_f64 v[15:16], v[3:4], v[15:16]
	v_fma_f64 v[3:4], v[3:4], v[13:14], -v[17:18]
	v_fma_f64 v[1:2], v[1:2], v[13:14], v[15:16]
	buffer_store_dword v4, off, s[0:3], 0 offset:612
	buffer_store_dword v3, off, s[0:3], 0 offset:608
	;; [unrolled: 1-line block ×4, first 2 shown]
.LBB43_163:
	s_or_b32 exec_lo, exec_lo, s4
	v_mov_b32_e32 v4, s15
	s_waitcnt_vscnt null, 0x0
	s_barrier
	buffer_gl0_inv
	s_mov_b32 s4, exec_lo
	s_clause 0x3
	buffer_load_dword v1, v4, s[0:3], 0 offen
	buffer_load_dword v2, v4, s[0:3], 0 offen offset:4
	buffer_load_dword v3, v4, s[0:3], 0 offen offset:8
	buffer_load_dword v4, v4, s[0:3], 0 offen offset:12
	s_waitcnt vmcnt(0)
	ds_write_b128 v11, v[1:4]
	s_waitcnt lgkmcnt(0)
	s_barrier
	buffer_gl0_inv
	v_cmpx_gt_u32_e32 38, v0
	s_cbranch_execz .LBB43_167
; %bb.164:
	v_mov_b32_e32 v1, 0
	v_mov_b32_e32 v3, 0
	v_add_nc_u32_e32 v13, -1, v0
	v_add_nc_u32_e32 v14, 0x2c0, v145
	v_mov_b32_e32 v2, 0
	v_mov_b32_e32 v4, 0
	v_add_nc_u32_e32 v15, 16, v145
	s_mov_b32 s5, 0
	.p2align	6
.LBB43_165:                             ; =>This Inner Loop Header: Depth=1
	s_clause 0x3
	buffer_load_dword v20, v15, s[0:3], 0 offen offset:8
	buffer_load_dword v21, v15, s[0:3], 0 offen offset:12
	buffer_load_dword v22, v15, s[0:3], 0 offen
	buffer_load_dword v23, v15, s[0:3], 0 offen offset:4
	ds_read_b128 v[16:19], v14
	v_add_nc_u32_e32 v13, 1, v13
	v_add_nc_u32_e32 v14, 16, v14
	;; [unrolled: 1-line block ×3, first 2 shown]
	v_cmp_lt_u32_e32 vcc_lo, 36, v13
	s_or_b32 s5, vcc_lo, s5
	s_waitcnt vmcnt(2) lgkmcnt(0)
	v_mul_f64 v[24:25], v[18:19], v[20:21]
	v_mul_f64 v[20:21], v[16:17], v[20:21]
	s_waitcnt vmcnt(0)
	v_fma_f64 v[16:17], v[16:17], v[22:23], -v[24:25]
	v_fma_f64 v[18:19], v[18:19], v[22:23], v[20:21]
	v_add_f64 v[3:4], v[3:4], v[16:17]
	v_add_f64 v[1:2], v[1:2], v[18:19]
	s_andn2_b32 exec_lo, exec_lo, s5
	s_cbranch_execnz .LBB43_165
; %bb.166:
	s_or_b32 exec_lo, exec_lo, s5
	v_mov_b32_e32 v13, 0
	ds_read_b128 v[13:16], v13 offset:608
	s_waitcnt lgkmcnt(0)
	v_mul_f64 v[17:18], v[1:2], v[15:16]
	v_mul_f64 v[15:16], v[3:4], v[15:16]
	v_fma_f64 v[3:4], v[3:4], v[13:14], -v[17:18]
	v_fma_f64 v[1:2], v[1:2], v[13:14], v[15:16]
	buffer_store_dword v4, off, s[0:3], 0 offset:628
	buffer_store_dword v3, off, s[0:3], 0 offset:624
	;; [unrolled: 1-line block ×4, first 2 shown]
.LBB43_167:
	s_or_b32 exec_lo, exec_lo, s4
	v_mov_b32_e32 v4, s14
	s_waitcnt_vscnt null, 0x0
	s_barrier
	buffer_gl0_inv
	s_mov_b32 s4, exec_lo
	s_clause 0x3
	buffer_load_dword v1, v4, s[0:3], 0 offen
	buffer_load_dword v2, v4, s[0:3], 0 offen offset:4
	buffer_load_dword v3, v4, s[0:3], 0 offen offset:8
	;; [unrolled: 1-line block ×3, first 2 shown]
	s_waitcnt vmcnt(0)
	ds_write_b128 v11, v[1:4]
	s_waitcnt lgkmcnt(0)
	s_barrier
	buffer_gl0_inv
	v_cmpx_gt_u32_e32 39, v0
	s_cbranch_execz .LBB43_171
; %bb.168:
	v_mov_b32_e32 v1, 0
	v_mov_b32_e32 v3, 0
	v_add_nc_u32_e32 v13, -1, v0
	v_add_nc_u32_e32 v14, 0x2c0, v145
	v_mov_b32_e32 v2, 0
	v_mov_b32_e32 v4, 0
	v_add_nc_u32_e32 v15, 16, v145
	s_mov_b32 s5, 0
	.p2align	6
.LBB43_169:                             ; =>This Inner Loop Header: Depth=1
	s_clause 0x3
	buffer_load_dword v20, v15, s[0:3], 0 offen offset:8
	buffer_load_dword v21, v15, s[0:3], 0 offen offset:12
	buffer_load_dword v22, v15, s[0:3], 0 offen
	buffer_load_dword v23, v15, s[0:3], 0 offen offset:4
	ds_read_b128 v[16:19], v14
	v_add_nc_u32_e32 v13, 1, v13
	v_add_nc_u32_e32 v14, 16, v14
	;; [unrolled: 1-line block ×3, first 2 shown]
	v_cmp_lt_u32_e32 vcc_lo, 37, v13
	s_or_b32 s5, vcc_lo, s5
	s_waitcnt vmcnt(2) lgkmcnt(0)
	v_mul_f64 v[24:25], v[18:19], v[20:21]
	v_mul_f64 v[20:21], v[16:17], v[20:21]
	s_waitcnt vmcnt(0)
	v_fma_f64 v[16:17], v[16:17], v[22:23], -v[24:25]
	v_fma_f64 v[18:19], v[18:19], v[22:23], v[20:21]
	v_add_f64 v[3:4], v[3:4], v[16:17]
	v_add_f64 v[1:2], v[1:2], v[18:19]
	s_andn2_b32 exec_lo, exec_lo, s5
	s_cbranch_execnz .LBB43_169
; %bb.170:
	s_or_b32 exec_lo, exec_lo, s5
	v_mov_b32_e32 v13, 0
	ds_read_b128 v[13:16], v13 offset:624
	s_waitcnt lgkmcnt(0)
	v_mul_f64 v[17:18], v[1:2], v[15:16]
	v_mul_f64 v[15:16], v[3:4], v[15:16]
	v_fma_f64 v[3:4], v[3:4], v[13:14], -v[17:18]
	v_fma_f64 v[1:2], v[1:2], v[13:14], v[15:16]
	buffer_store_dword v4, off, s[0:3], 0 offset:644
	buffer_store_dword v3, off, s[0:3], 0 offset:640
	;; [unrolled: 1-line block ×4, first 2 shown]
.LBB43_171:
	s_or_b32 exec_lo, exec_lo, s4
	v_mov_b32_e32 v4, s13
	s_waitcnt_vscnt null, 0x0
	s_barrier
	buffer_gl0_inv
	s_mov_b32 s4, exec_lo
	s_clause 0x3
	buffer_load_dword v1, v4, s[0:3], 0 offen
	buffer_load_dword v2, v4, s[0:3], 0 offen offset:4
	buffer_load_dword v3, v4, s[0:3], 0 offen offset:8
	;; [unrolled: 1-line block ×3, first 2 shown]
	s_waitcnt vmcnt(0)
	ds_write_b128 v11, v[1:4]
	s_waitcnt lgkmcnt(0)
	s_barrier
	buffer_gl0_inv
	v_cmpx_gt_u32_e32 40, v0
	s_cbranch_execz .LBB43_175
; %bb.172:
	v_mov_b32_e32 v1, 0
	v_mov_b32_e32 v3, 0
	v_add_nc_u32_e32 v13, -1, v0
	v_add_nc_u32_e32 v14, 0x2c0, v145
	v_mov_b32_e32 v2, 0
	v_mov_b32_e32 v4, 0
	v_add_nc_u32_e32 v15, 16, v145
	s_mov_b32 s5, 0
	.p2align	6
.LBB43_173:                             ; =>This Inner Loop Header: Depth=1
	s_clause 0x3
	buffer_load_dword v20, v15, s[0:3], 0 offen offset:8
	buffer_load_dword v21, v15, s[0:3], 0 offen offset:12
	buffer_load_dword v22, v15, s[0:3], 0 offen
	buffer_load_dword v23, v15, s[0:3], 0 offen offset:4
	ds_read_b128 v[16:19], v14
	v_add_nc_u32_e32 v13, 1, v13
	v_add_nc_u32_e32 v14, 16, v14
	v_add_nc_u32_e32 v15, 16, v15
	v_cmp_lt_u32_e32 vcc_lo, 38, v13
	s_or_b32 s5, vcc_lo, s5
	s_waitcnt vmcnt(2) lgkmcnt(0)
	v_mul_f64 v[24:25], v[18:19], v[20:21]
	v_mul_f64 v[20:21], v[16:17], v[20:21]
	s_waitcnt vmcnt(0)
	v_fma_f64 v[16:17], v[16:17], v[22:23], -v[24:25]
	v_fma_f64 v[18:19], v[18:19], v[22:23], v[20:21]
	v_add_f64 v[3:4], v[3:4], v[16:17]
	v_add_f64 v[1:2], v[1:2], v[18:19]
	s_andn2_b32 exec_lo, exec_lo, s5
	s_cbranch_execnz .LBB43_173
; %bb.174:
	s_or_b32 exec_lo, exec_lo, s5
	v_mov_b32_e32 v13, 0
	ds_read_b128 v[13:16], v13 offset:640
	s_waitcnt lgkmcnt(0)
	v_mul_f64 v[17:18], v[1:2], v[15:16]
	v_mul_f64 v[15:16], v[3:4], v[15:16]
	v_fma_f64 v[3:4], v[3:4], v[13:14], -v[17:18]
	v_fma_f64 v[1:2], v[1:2], v[13:14], v[15:16]
	buffer_store_dword v4, off, s[0:3], 0 offset:660
	buffer_store_dword v3, off, s[0:3], 0 offset:656
	;; [unrolled: 1-line block ×4, first 2 shown]
.LBB43_175:
	s_or_b32 exec_lo, exec_lo, s4
	v_mov_b32_e32 v4, s12
	s_waitcnt_vscnt null, 0x0
	s_barrier
	buffer_gl0_inv
	s_mov_b32 s4, exec_lo
	s_clause 0x3
	buffer_load_dword v1, v4, s[0:3], 0 offen
	buffer_load_dword v2, v4, s[0:3], 0 offen offset:4
	buffer_load_dword v3, v4, s[0:3], 0 offen offset:8
	;; [unrolled: 1-line block ×3, first 2 shown]
	s_waitcnt vmcnt(0)
	ds_write_b128 v11, v[1:4]
	s_waitcnt lgkmcnt(0)
	s_barrier
	buffer_gl0_inv
	v_cmpx_gt_u32_e32 41, v0
	s_cbranch_execz .LBB43_179
; %bb.176:
	v_mov_b32_e32 v1, 0
	v_mov_b32_e32 v3, 0
	v_add_nc_u32_e32 v13, -1, v0
	v_add_nc_u32_e32 v14, 0x2c0, v145
	v_mov_b32_e32 v2, 0
	v_mov_b32_e32 v4, 0
	v_add_nc_u32_e32 v15, 16, v145
	s_mov_b32 s5, 0
	.p2align	6
.LBB43_177:                             ; =>This Inner Loop Header: Depth=1
	s_clause 0x3
	buffer_load_dword v20, v15, s[0:3], 0 offen offset:8
	buffer_load_dword v21, v15, s[0:3], 0 offen offset:12
	buffer_load_dword v22, v15, s[0:3], 0 offen
	buffer_load_dword v23, v15, s[0:3], 0 offen offset:4
	ds_read_b128 v[16:19], v14
	v_add_nc_u32_e32 v13, 1, v13
	v_add_nc_u32_e32 v14, 16, v14
	;; [unrolled: 1-line block ×3, first 2 shown]
	v_cmp_lt_u32_e32 vcc_lo, 39, v13
	s_or_b32 s5, vcc_lo, s5
	s_waitcnt vmcnt(2) lgkmcnt(0)
	v_mul_f64 v[24:25], v[18:19], v[20:21]
	v_mul_f64 v[20:21], v[16:17], v[20:21]
	s_waitcnt vmcnt(0)
	v_fma_f64 v[16:17], v[16:17], v[22:23], -v[24:25]
	v_fma_f64 v[18:19], v[18:19], v[22:23], v[20:21]
	v_add_f64 v[3:4], v[3:4], v[16:17]
	v_add_f64 v[1:2], v[1:2], v[18:19]
	s_andn2_b32 exec_lo, exec_lo, s5
	s_cbranch_execnz .LBB43_177
; %bb.178:
	s_or_b32 exec_lo, exec_lo, s5
	v_mov_b32_e32 v13, 0
	ds_read_b128 v[13:16], v13 offset:656
	s_waitcnt lgkmcnt(0)
	v_mul_f64 v[17:18], v[1:2], v[15:16]
	v_mul_f64 v[15:16], v[3:4], v[15:16]
	v_fma_f64 v[3:4], v[3:4], v[13:14], -v[17:18]
	v_fma_f64 v[1:2], v[1:2], v[13:14], v[15:16]
	buffer_store_dword v4, off, s[0:3], 0 offset:676
	buffer_store_dword v3, off, s[0:3], 0 offset:672
	;; [unrolled: 1-line block ×4, first 2 shown]
.LBB43_179:
	s_or_b32 exec_lo, exec_lo, s4
	v_mov_b32_e32 v4, s9
	s_waitcnt_vscnt null, 0x0
	s_barrier
	buffer_gl0_inv
	s_mov_b32 s4, exec_lo
	s_clause 0x3
	buffer_load_dword v1, v4, s[0:3], 0 offen
	buffer_load_dword v2, v4, s[0:3], 0 offen offset:4
	buffer_load_dword v3, v4, s[0:3], 0 offen offset:8
	;; [unrolled: 1-line block ×3, first 2 shown]
	s_waitcnt vmcnt(0)
	ds_write_b128 v11, v[1:4]
	s_waitcnt lgkmcnt(0)
	s_barrier
	buffer_gl0_inv
	v_cmpx_gt_u32_e32 42, v0
	s_cbranch_execz .LBB43_183
; %bb.180:
	v_mov_b32_e32 v1, 0
	v_mov_b32_e32 v3, 0
	v_add_nc_u32_e32 v13, -1, v0
	v_add_nc_u32_e32 v14, 0x2c0, v145
	v_mov_b32_e32 v2, 0
	v_mov_b32_e32 v4, 0
	v_add_nc_u32_e32 v15, 16, v145
	s_mov_b32 s5, 0
	.p2align	6
.LBB43_181:                             ; =>This Inner Loop Header: Depth=1
	s_clause 0x3
	buffer_load_dword v20, v15, s[0:3], 0 offen offset:8
	buffer_load_dword v21, v15, s[0:3], 0 offen offset:12
	buffer_load_dword v22, v15, s[0:3], 0 offen
	buffer_load_dword v23, v15, s[0:3], 0 offen offset:4
	ds_read_b128 v[16:19], v14
	v_add_nc_u32_e32 v13, 1, v13
	v_add_nc_u32_e32 v14, 16, v14
	;; [unrolled: 1-line block ×3, first 2 shown]
	v_cmp_lt_u32_e32 vcc_lo, 40, v13
	s_or_b32 s5, vcc_lo, s5
	s_waitcnt vmcnt(2) lgkmcnt(0)
	v_mul_f64 v[24:25], v[18:19], v[20:21]
	v_mul_f64 v[20:21], v[16:17], v[20:21]
	s_waitcnt vmcnt(0)
	v_fma_f64 v[16:17], v[16:17], v[22:23], -v[24:25]
	v_fma_f64 v[18:19], v[18:19], v[22:23], v[20:21]
	v_add_f64 v[3:4], v[3:4], v[16:17]
	v_add_f64 v[1:2], v[1:2], v[18:19]
	s_andn2_b32 exec_lo, exec_lo, s5
	s_cbranch_execnz .LBB43_181
; %bb.182:
	s_or_b32 exec_lo, exec_lo, s5
	v_mov_b32_e32 v13, 0
	ds_read_b128 v[13:16], v13 offset:672
	s_waitcnt lgkmcnt(0)
	v_mul_f64 v[17:18], v[1:2], v[15:16]
	v_mul_f64 v[15:16], v[3:4], v[15:16]
	v_fma_f64 v[3:4], v[3:4], v[13:14], -v[17:18]
	v_fma_f64 v[1:2], v[1:2], v[13:14], v[15:16]
	buffer_store_dword v4, off, s[0:3], 0 offset:692
	buffer_store_dword v3, off, s[0:3], 0 offset:688
	;; [unrolled: 1-line block ×4, first 2 shown]
.LBB43_183:
	s_or_b32 exec_lo, exec_lo, s4
	v_mov_b32_e32 v4, s8
	s_waitcnt_vscnt null, 0x0
	s_barrier
	buffer_gl0_inv
	s_mov_b32 s4, exec_lo
	s_clause 0x3
	buffer_load_dword v1, v4, s[0:3], 0 offen
	buffer_load_dword v2, v4, s[0:3], 0 offen offset:4
	buffer_load_dword v3, v4, s[0:3], 0 offen offset:8
	;; [unrolled: 1-line block ×3, first 2 shown]
	s_waitcnt vmcnt(0)
	ds_write_b128 v11, v[1:4]
	s_waitcnt lgkmcnt(0)
	s_barrier
	buffer_gl0_inv
	v_cmpx_ne_u32_e32 43, v0
	s_cbranch_execz .LBB43_187
; %bb.184:
	v_mov_b32_e32 v1, 0
	v_mov_b32_e32 v3, 0
	;; [unrolled: 1-line block ×4, first 2 shown]
	v_add_nc_u32_e32 v13, 16, v145
	s_mov_b32 s5, 0
	.p2align	6
.LBB43_185:                             ; =>This Inner Loop Header: Depth=1
	s_clause 0x3
	buffer_load_dword v18, v13, s[0:3], 0 offen offset:8
	buffer_load_dword v19, v13, s[0:3], 0 offen offset:12
	buffer_load_dword v20, v13, s[0:3], 0 offen
	buffer_load_dword v21, v13, s[0:3], 0 offen offset:4
	ds_read_b128 v[14:17], v11
	v_add_nc_u32_e32 v12, 1, v12
	v_add_nc_u32_e32 v11, 16, v11
	;; [unrolled: 1-line block ×3, first 2 shown]
	v_cmp_lt_u32_e32 vcc_lo, 41, v12
	s_or_b32 s5, vcc_lo, s5
	s_waitcnt vmcnt(2) lgkmcnt(0)
	v_mul_f64 v[22:23], v[16:17], v[18:19]
	v_mul_f64 v[18:19], v[14:15], v[18:19]
	s_waitcnt vmcnt(0)
	v_fma_f64 v[14:15], v[14:15], v[20:21], -v[22:23]
	v_fma_f64 v[16:17], v[16:17], v[20:21], v[18:19]
	v_add_f64 v[3:4], v[3:4], v[14:15]
	v_add_f64 v[1:2], v[1:2], v[16:17]
	s_andn2_b32 exec_lo, exec_lo, s5
	s_cbranch_execnz .LBB43_185
; %bb.186:
	s_or_b32 exec_lo, exec_lo, s5
	v_mov_b32_e32 v11, 0
	ds_read_b128 v[11:14], v11 offset:688
	s_waitcnt lgkmcnt(0)
	v_mul_f64 v[15:16], v[1:2], v[13:14]
	v_mul_f64 v[13:14], v[3:4], v[13:14]
	v_fma_f64 v[3:4], v[3:4], v[11:12], -v[15:16]
	v_fma_f64 v[1:2], v[1:2], v[11:12], v[13:14]
	buffer_store_dword v4, off, s[0:3], 0 offset:708
	buffer_store_dword v3, off, s[0:3], 0 offset:704
	;; [unrolled: 1-line block ×4, first 2 shown]
.LBB43_187:
	s_or_b32 exec_lo, exec_lo, s4
	s_mov_b32 s5, -1
	s_waitcnt_vscnt null, 0x0
	s_barrier
	buffer_gl0_inv
.LBB43_188:
	s_and_b32 vcc_lo, exec_lo, s5
	s_cbranch_vccz .LBB43_190
; %bb.189:
	s_lshl_b64 s[4:5], s[6:7], 2
	v_mov_b32_e32 v1, 0
	s_add_u32 s4, s10, s4
	s_addc_u32 s5, s11, s5
	global_load_dword v1, v1, s[4:5]
	s_waitcnt vmcnt(0)
	v_cmp_ne_u32_e32 vcc_lo, 0, v1
	s_cbranch_vccz .LBB43_191
.LBB43_190:
	s_endpgm
.LBB43_191:
	v_lshl_add_u32 v149, v0, 4, 0x2c0
	s_mov_b32 s4, exec_lo
	v_cmpx_eq_u32_e32 43, v0
	s_cbranch_execz .LBB43_193
; %bb.192:
	v_mov_b32_e32 v4, s9
	v_mov_b32_e32 v11, 0
	s_clause 0x3
	buffer_load_dword v1, v4, s[0:3], 0 offen
	buffer_load_dword v2, v4, s[0:3], 0 offen offset:4
	buffer_load_dword v3, v4, s[0:3], 0 offen offset:8
	;; [unrolled: 1-line block ×3, first 2 shown]
	buffer_store_dword v11, off, s[0:3], 0 offset:688
	buffer_store_dword v11, off, s[0:3], 0 offset:692
	;; [unrolled: 1-line block ×4, first 2 shown]
	s_waitcnt vmcnt(0)
	ds_write_b128 v149, v[1:4]
.LBB43_193:
	s_or_b32 exec_lo, exec_lo, s4
	s_waitcnt lgkmcnt(0)
	s_waitcnt_vscnt null, 0x0
	s_barrier
	buffer_gl0_inv
	s_clause 0x7
	buffer_load_dword v2, off, s[0:3], 0 offset:712
	buffer_load_dword v3, off, s[0:3], 0 offset:716
	;; [unrolled: 1-line block ×8, first 2 shown]
	v_mov_b32_e32 v1, 0
	s_mov_b32 s4, exec_lo
	ds_read_b128 v[11:14], v1 offset:1392
	s_waitcnt vmcnt(6) lgkmcnt(0)
	v_mul_f64 v[21:22], v[13:14], v[2:3]
	v_mul_f64 v[2:3], v[11:12], v[2:3]
	s_waitcnt vmcnt(4)
	v_fma_f64 v[11:12], v[11:12], v[15:16], -v[21:22]
	v_fma_f64 v[2:3], v[13:14], v[15:16], v[2:3]
	v_add_f64 v[11:12], v[11:12], 0
	v_add_f64 v[2:3], v[2:3], 0
	s_waitcnt vmcnt(2)
	v_add_f64 v[11:12], v[17:18], -v[11:12]
	s_waitcnt vmcnt(0)
	v_add_f64 v[2:3], v[19:20], -v[2:3]
	buffer_store_dword v11, off, s[0:3], 0 offset:688
	buffer_store_dword v12, off, s[0:3], 0 offset:692
	;; [unrolled: 1-line block ×4, first 2 shown]
	v_cmpx_lt_u32_e32 41, v0
	s_cbranch_execz .LBB43_195
; %bb.194:
	v_mov_b32_e32 v2, s12
	s_clause 0x3
	buffer_load_dword v11, v2, s[0:3], 0 offen
	buffer_load_dword v12, v2, s[0:3], 0 offen offset:4
	buffer_load_dword v13, v2, s[0:3], 0 offen offset:8
	;; [unrolled: 1-line block ×3, first 2 shown]
	buffer_store_dword v1, off, s[0:3], 0 offset:672
	buffer_store_dword v1, off, s[0:3], 0 offset:676
	;; [unrolled: 1-line block ×4, first 2 shown]
	s_waitcnt vmcnt(0)
	ds_write_b128 v149, v[11:14]
.LBB43_195:
	s_or_b32 exec_lo, exec_lo, s4
	s_waitcnt lgkmcnt(0)
	s_waitcnt_vscnt null, 0x0
	s_barrier
	buffer_gl0_inv
	s_clause 0xb
	buffer_load_dword v15, off, s[0:3], 0 offset:696
	buffer_load_dword v16, off, s[0:3], 0 offset:700
	;; [unrolled: 1-line block ×12, first 2 shown]
	ds_read_b128 v[11:14], v1 offset:1376
	ds_read_b128 v[1:4], v1 offset:1392
	s_mov_b32 s4, exec_lo
	s_waitcnt vmcnt(10) lgkmcnt(1)
	v_mul_f64 v[27:28], v[13:14], v[15:16]
	v_mul_f64 v[15:16], v[11:12], v[15:16]
	s_waitcnt vmcnt(8) lgkmcnt(0)
	v_mul_f64 v[31:32], v[3:4], v[17:18]
	v_mul_f64 v[17:18], v[1:2], v[17:18]
	s_waitcnt vmcnt(6)
	v_fma_f64 v[11:12], v[11:12], v[19:20], -v[27:28]
	v_fma_f64 v[13:14], v[13:14], v[19:20], v[15:16]
	s_waitcnt vmcnt(4)
	v_fma_f64 v[1:2], v[1:2], v[21:22], -v[31:32]
	v_fma_f64 v[3:4], v[3:4], v[21:22], v[17:18]
	v_add_f64 v[11:12], v[11:12], 0
	v_add_f64 v[13:14], v[13:14], 0
	;; [unrolled: 1-line block ×4, first 2 shown]
	s_waitcnt vmcnt(2)
	v_add_f64 v[1:2], v[23:24], -v[1:2]
	s_waitcnt vmcnt(0)
	v_add_f64 v[3:4], v[25:26], -v[3:4]
	buffer_store_dword v1, off, s[0:3], 0 offset:672
	buffer_store_dword v2, off, s[0:3], 0 offset:676
	;; [unrolled: 1-line block ×4, first 2 shown]
	v_cmpx_lt_u32_e32 40, v0
	s_cbranch_execz .LBB43_197
; %bb.196:
	v_mov_b32_e32 v4, s13
	v_mov_b32_e32 v11, 0
	s_clause 0x3
	buffer_load_dword v1, v4, s[0:3], 0 offen
	buffer_load_dword v2, v4, s[0:3], 0 offen offset:4
	buffer_load_dword v3, v4, s[0:3], 0 offen offset:8
	;; [unrolled: 1-line block ×3, first 2 shown]
	buffer_store_dword v11, off, s[0:3], 0 offset:656
	buffer_store_dword v11, off, s[0:3], 0 offset:660
	;; [unrolled: 1-line block ×4, first 2 shown]
	s_waitcnt vmcnt(0)
	ds_write_b128 v149, v[1:4]
.LBB43_197:
	s_or_b32 exec_lo, exec_lo, s4
	s_waitcnt lgkmcnt(0)
	s_waitcnt_vscnt null, 0x0
	s_barrier
	buffer_gl0_inv
	s_clause 0xf
	buffer_load_dword v2, off, s[0:3], 0 offset:680
	buffer_load_dword v3, off, s[0:3], 0 offset:684
	;; [unrolled: 1-line block ×16, first 2 shown]
	v_mov_b32_e32 v1, 0
	ds_read_b128 v[11:14], v1 offset:1360
	ds_read_b128 v[15:18], v1 offset:1376
	;; [unrolled: 1-line block ×3, first 2 shown]
	s_mov_b32 s4, exec_lo
	s_waitcnt vmcnt(14) lgkmcnt(2)
	v_mul_f64 v[39:40], v[13:14], v[2:3]
	v_mul_f64 v[2:3], v[11:12], v[2:3]
	s_waitcnt vmcnt(12) lgkmcnt(1)
	v_mul_f64 v[45:46], v[17:18], v[23:24]
	v_mul_f64 v[23:24], v[15:16], v[23:24]
	s_waitcnt vmcnt(10)
	v_fma_f64 v[11:12], v[11:12], v[25:26], -v[39:40]
	v_fma_f64 v[2:3], v[13:14], v[25:26], v[2:3]
	s_waitcnt vmcnt(8) lgkmcnt(0)
	v_mul_f64 v[25:26], v[21:22], v[27:28]
	s_waitcnt vmcnt(6)
	v_fma_f64 v[15:16], v[15:16], v[31:32], -v[45:46]
	v_mul_f64 v[13:14], v[19:20], v[27:28]
	v_fma_f64 v[17:18], v[17:18], v[31:32], v[23:24]
	v_add_f64 v[11:12], v[11:12], 0
	v_add_f64 v[2:3], v[2:3], 0
	s_waitcnt vmcnt(4)
	v_fma_f64 v[19:20], v[19:20], v[33:34], -v[25:26]
	v_fma_f64 v[13:14], v[21:22], v[33:34], v[13:14]
	v_add_f64 v[11:12], v[11:12], v[15:16]
	v_add_f64 v[2:3], v[2:3], v[17:18]
	;; [unrolled: 1-line block ×4, first 2 shown]
	s_waitcnt vmcnt(2)
	v_add_f64 v[11:12], v[35:36], -v[11:12]
	s_waitcnt vmcnt(0)
	v_add_f64 v[2:3], v[37:38], -v[2:3]
	buffer_store_dword v11, off, s[0:3], 0 offset:656
	buffer_store_dword v12, off, s[0:3], 0 offset:660
	;; [unrolled: 1-line block ×4, first 2 shown]
	v_cmpx_lt_u32_e32 39, v0
	s_cbranch_execz .LBB43_199
; %bb.198:
	v_mov_b32_e32 v2, s14
	s_clause 0x3
	buffer_load_dword v11, v2, s[0:3], 0 offen
	buffer_load_dword v12, v2, s[0:3], 0 offen offset:4
	buffer_load_dword v13, v2, s[0:3], 0 offen offset:8
	;; [unrolled: 1-line block ×3, first 2 shown]
	buffer_store_dword v1, off, s[0:3], 0 offset:640
	buffer_store_dword v1, off, s[0:3], 0 offset:644
	buffer_store_dword v1, off, s[0:3], 0 offset:648
	buffer_store_dword v1, off, s[0:3], 0 offset:652
	s_waitcnt vmcnt(0)
	ds_write_b128 v149, v[11:14]
.LBB43_199:
	s_or_b32 exec_lo, exec_lo, s4
	s_waitcnt lgkmcnt(0)
	s_waitcnt_vscnt null, 0x0
	s_barrier
	buffer_gl0_inv
	s_clause 0x13
	buffer_load_dword v2, off, s[0:3], 0 offset:664
	buffer_load_dword v3, off, s[0:3], 0 offset:668
	;; [unrolled: 1-line block ×20, first 2 shown]
	ds_read_b128 v[11:14], v1 offset:1344
	ds_read_b128 v[15:18], v1 offset:1360
	;; [unrolled: 1-line block ×3, first 2 shown]
	s_mov_b32 s4, exec_lo
	s_waitcnt vmcnt(18) lgkmcnt(2)
	v_mul_f64 v[47:48], v[13:14], v[2:3]
	v_mul_f64 v[2:3], v[11:12], v[2:3]
	s_waitcnt vmcnt(16) lgkmcnt(1)
	v_mul_f64 v[49:50], v[17:18], v[23:24]
	v_mul_f64 v[23:24], v[15:16], v[23:24]
	s_waitcnt vmcnt(14)
	v_fma_f64 v[11:12], v[11:12], v[25:26], -v[47:48]
	v_fma_f64 v[13:14], v[13:14], v[25:26], v[2:3]
	s_waitcnt vmcnt(12) lgkmcnt(0)
	v_mul_f64 v[25:26], v[19:20], v[27:28]
	v_mul_f64 v[27:28], v[21:22], v[27:28]
	s_waitcnt vmcnt(10)
	v_fma_f64 v[15:16], v[15:16], v[31:32], -v[49:50]
	ds_read_b128 v[1:4], v1 offset:1392
	v_fma_f64 v[17:18], v[17:18], v[31:32], v[23:24]
	v_add_f64 v[11:12], v[11:12], 0
	v_add_f64 v[13:14], v[13:14], 0
	s_waitcnt vmcnt(8) lgkmcnt(0)
	v_mul_f64 v[31:32], v[3:4], v[33:34]
	s_waitcnt vmcnt(6)
	v_fma_f64 v[19:20], v[19:20], v[35:36], -v[27:28]
	v_mul_f64 v[23:24], v[1:2], v[33:34]
	v_add_f64 v[11:12], v[11:12], v[15:16]
	v_fma_f64 v[15:16], v[21:22], v[35:36], v[25:26]
	v_add_f64 v[13:14], v[13:14], v[17:18]
	s_waitcnt vmcnt(4)
	v_fma_f64 v[1:2], v[1:2], v[37:38], -v[31:32]
	v_fma_f64 v[3:4], v[3:4], v[37:38], v[23:24]
	v_add_f64 v[11:12], v[11:12], v[19:20]
	v_add_f64 v[13:14], v[13:14], v[15:16]
	;; [unrolled: 1-line block ×4, first 2 shown]
	s_waitcnt vmcnt(2)
	v_add_f64 v[1:2], v[39:40], -v[1:2]
	s_waitcnt vmcnt(0)
	v_add_f64 v[3:4], v[45:46], -v[3:4]
	buffer_store_dword v1, off, s[0:3], 0 offset:640
	buffer_store_dword v2, off, s[0:3], 0 offset:644
	;; [unrolled: 1-line block ×4, first 2 shown]
	v_cmpx_lt_u32_e32 38, v0
	s_cbranch_execz .LBB43_201
; %bb.200:
	v_mov_b32_e32 v4, s15
	v_mov_b32_e32 v11, 0
	s_clause 0x3
	buffer_load_dword v1, v4, s[0:3], 0 offen
	buffer_load_dword v2, v4, s[0:3], 0 offen offset:4
	buffer_load_dword v3, v4, s[0:3], 0 offen offset:8
	;; [unrolled: 1-line block ×3, first 2 shown]
	buffer_store_dword v11, off, s[0:3], 0 offset:624
	buffer_store_dword v11, off, s[0:3], 0 offset:628
	;; [unrolled: 1-line block ×4, first 2 shown]
	s_waitcnt vmcnt(0)
	ds_write_b128 v149, v[1:4]
.LBB43_201:
	s_or_b32 exec_lo, exec_lo, s4
	s_waitcnt lgkmcnt(0)
	s_waitcnt_vscnt null, 0x0
	s_barrier
	buffer_gl0_inv
	s_clause 0x17
	buffer_load_dword v2, off, s[0:3], 0 offset:648
	buffer_load_dword v3, off, s[0:3], 0 offset:652
	;; [unrolled: 1-line block ×24, first 2 shown]
	v_mov_b32_e32 v1, 0
	ds_read_b128 v[11:14], v1 offset:1328
	ds_read_b128 v[15:18], v1 offset:1344
	;; [unrolled: 1-line block ×3, first 2 shown]
	s_mov_b32 s4, exec_lo
	s_waitcnt vmcnt(22) lgkmcnt(2)
	v_mul_f64 v[51:52], v[13:14], v[2:3]
	v_mul_f64 v[2:3], v[11:12], v[2:3]
	s_waitcnt vmcnt(20) lgkmcnt(1)
	v_mul_f64 v[53:54], v[17:18], v[23:24]
	v_mul_f64 v[23:24], v[15:16], v[23:24]
	s_waitcnt vmcnt(18)
	v_fma_f64 v[51:52], v[11:12], v[25:26], -v[51:52]
	v_fma_f64 v[2:3], v[13:14], v[25:26], v[2:3]
	ds_read_b128 v[11:14], v1 offset:1376
	s_waitcnt vmcnt(16) lgkmcnt(1)
	v_mul_f64 v[25:26], v[19:20], v[27:28]
	v_mul_f64 v[27:28], v[21:22], v[27:28]
	s_waitcnt vmcnt(14)
	v_fma_f64 v[53:54], v[15:16], v[31:32], -v[53:54]
	v_fma_f64 v[23:24], v[17:18], v[31:32], v[23:24]
	ds_read_b128 v[15:18], v1 offset:1392
	s_waitcnt vmcnt(10) lgkmcnt(1)
	v_mul_f64 v[31:32], v[11:12], v[33:34]
	v_add_f64 v[51:52], v[51:52], 0
	v_add_f64 v[2:3], v[2:3], 0
	v_mul_f64 v[33:34], v[13:14], v[33:34]
	s_waitcnt vmcnt(8)
	v_fma_f64 v[19:20], v[19:20], v[39:40], -v[27:28]
	v_fma_f64 v[21:22], v[21:22], v[39:40], v[25:26]
	s_waitcnt vmcnt(7) lgkmcnt(0)
	v_mul_f64 v[25:26], v[17:18], v[35:36]
	s_waitcnt vmcnt(5)
	v_fma_f64 v[13:14], v[13:14], v[45:46], v[31:32]
	v_add_f64 v[27:28], v[51:52], v[53:54]
	v_add_f64 v[2:3], v[2:3], v[23:24]
	v_fma_f64 v[11:12], v[11:12], v[45:46], -v[33:34]
	v_mul_f64 v[23:24], v[15:16], v[35:36]
	s_waitcnt vmcnt(4)
	v_fma_f64 v[15:16], v[15:16], v[37:38], -v[25:26]
	v_add_f64 v[19:20], v[27:28], v[19:20]
	v_add_f64 v[2:3], v[2:3], v[21:22]
	v_fma_f64 v[17:18], v[17:18], v[37:38], v[23:24]
	v_add_f64 v[11:12], v[19:20], v[11:12]
	v_add_f64 v[2:3], v[2:3], v[13:14]
	v_add_f64 v[11:12], v[11:12], v[15:16]
	v_add_f64 v[2:3], v[2:3], v[17:18]
	s_waitcnt vmcnt(2)
	v_add_f64 v[11:12], v[47:48], -v[11:12]
	s_waitcnt vmcnt(0)
	v_add_f64 v[2:3], v[49:50], -v[2:3]
	buffer_store_dword v12, off, s[0:3], 0 offset:628
	buffer_store_dword v11, off, s[0:3], 0 offset:624
	;; [unrolled: 1-line block ×4, first 2 shown]
	v_cmpx_lt_u32_e32 37, v0
	s_cbranch_execz .LBB43_203
; %bb.202:
	v_mov_b32_e32 v2, s16
	s_clause 0x3
	buffer_load_dword v11, v2, s[0:3], 0 offen
	buffer_load_dword v12, v2, s[0:3], 0 offen offset:4
	buffer_load_dword v13, v2, s[0:3], 0 offen offset:8
	;; [unrolled: 1-line block ×3, first 2 shown]
	buffer_store_dword v1, off, s[0:3], 0 offset:608
	buffer_store_dword v1, off, s[0:3], 0 offset:612
	;; [unrolled: 1-line block ×4, first 2 shown]
	s_waitcnt vmcnt(0)
	ds_write_b128 v149, v[11:14]
.LBB43_203:
	s_or_b32 exec_lo, exec_lo, s4
	s_waitcnt lgkmcnt(0)
	s_waitcnt_vscnt null, 0x0
	s_barrier
	buffer_gl0_inv
	s_clause 0x1b
	buffer_load_dword v2, off, s[0:3], 0 offset:632
	buffer_load_dword v3, off, s[0:3], 0 offset:636
	;; [unrolled: 1-line block ×28, first 2 shown]
	ds_read_b128 v[11:14], v1 offset:1312
	ds_read_b128 v[15:18], v1 offset:1328
	;; [unrolled: 1-line block ×3, first 2 shown]
	s_mov_b32 s4, exec_lo
	s_waitcnt vmcnt(26) lgkmcnt(2)
	v_mul_f64 v[55:56], v[13:14], v[2:3]
	v_mul_f64 v[2:3], v[11:12], v[2:3]
	s_waitcnt vmcnt(24) lgkmcnt(1)
	v_mul_f64 v[57:58], v[17:18], v[23:24]
	v_mul_f64 v[23:24], v[15:16], v[23:24]
	s_waitcnt vmcnt(22)
	v_fma_f64 v[55:56], v[11:12], v[25:26], -v[55:56]
	v_fma_f64 v[2:3], v[13:14], v[25:26], v[2:3]
	ds_read_b128 v[11:14], v1 offset:1360
	s_waitcnt vmcnt(20) lgkmcnt(1)
	v_mul_f64 v[25:26], v[19:20], v[27:28]
	v_mul_f64 v[27:28], v[21:22], v[27:28]
	s_waitcnt vmcnt(18)
	v_fma_f64 v[57:58], v[15:16], v[31:32], -v[57:58]
	v_fma_f64 v[23:24], v[17:18], v[31:32], v[23:24]
	ds_read_b128 v[15:18], v1 offset:1376
	s_waitcnt vmcnt(14) lgkmcnt(1)
	v_mul_f64 v[31:32], v[11:12], v[33:34]
	v_add_f64 v[55:56], v[55:56], 0
	v_add_f64 v[2:3], v[2:3], 0
	v_mul_f64 v[33:34], v[13:14], v[33:34]
	s_waitcnt vmcnt(12)
	v_fma_f64 v[19:20], v[19:20], v[39:40], -v[27:28]
	v_fma_f64 v[21:22], v[21:22], v[39:40], v[25:26]
	s_waitcnt vmcnt(11) lgkmcnt(0)
	v_mul_f64 v[25:26], v[15:16], v[35:36]
	v_mul_f64 v[35:36], v[17:18], v[35:36]
	s_waitcnt vmcnt(9)
	v_fma_f64 v[13:14], v[13:14], v[45:46], v[31:32]
	v_add_f64 v[27:28], v[55:56], v[57:58]
	v_add_f64 v[23:24], v[2:3], v[23:24]
	v_fma_f64 v[11:12], v[11:12], v[45:46], -v[33:34]
	ds_read_b128 v[1:4], v1 offset:1392
	s_waitcnt vmcnt(6)
	v_fma_f64 v[17:18], v[17:18], v[37:38], v[25:26]
	v_fma_f64 v[15:16], v[15:16], v[37:38], -v[35:36]
	v_add_f64 v[19:20], v[27:28], v[19:20]
	v_add_f64 v[21:22], v[23:24], v[21:22]
	s_waitcnt lgkmcnt(0)
	v_mul_f64 v[27:28], v[3:4], v[47:48]
	v_mul_f64 v[23:24], v[1:2], v[47:48]
	v_add_f64 v[11:12], v[19:20], v[11:12]
	v_add_f64 v[13:14], v[21:22], v[13:14]
	s_waitcnt vmcnt(4)
	v_fma_f64 v[1:2], v[1:2], v[49:50], -v[27:28]
	v_fma_f64 v[3:4], v[3:4], v[49:50], v[23:24]
	v_add_f64 v[11:12], v[11:12], v[15:16]
	v_add_f64 v[13:14], v[13:14], v[17:18]
	v_add_f64 v[1:2], v[11:12], v[1:2]
	v_add_f64 v[3:4], v[13:14], v[3:4]
	s_waitcnt vmcnt(2)
	v_add_f64 v[1:2], v[51:52], -v[1:2]
	s_waitcnt vmcnt(0)
	v_add_f64 v[3:4], v[53:54], -v[3:4]
	buffer_store_dword v2, off, s[0:3], 0 offset:612
	buffer_store_dword v1, off, s[0:3], 0 offset:608
	buffer_store_dword v4, off, s[0:3], 0 offset:620
	buffer_store_dword v3, off, s[0:3], 0 offset:616
	v_cmpx_lt_u32_e32 36, v0
	s_cbranch_execz .LBB43_205
; %bb.204:
	v_mov_b32_e32 v4, s17
	v_mov_b32_e32 v11, 0
	s_clause 0x3
	buffer_load_dword v1, v4, s[0:3], 0 offen
	buffer_load_dword v2, v4, s[0:3], 0 offen offset:4
	buffer_load_dword v3, v4, s[0:3], 0 offen offset:8
	;; [unrolled: 1-line block ×3, first 2 shown]
	buffer_store_dword v11, off, s[0:3], 0 offset:592
	buffer_store_dword v11, off, s[0:3], 0 offset:596
	;; [unrolled: 1-line block ×4, first 2 shown]
	s_waitcnt vmcnt(0)
	ds_write_b128 v149, v[1:4]
.LBB43_205:
	s_or_b32 exec_lo, exec_lo, s4
	s_waitcnt lgkmcnt(0)
	s_waitcnt_vscnt null, 0x0
	s_barrier
	buffer_gl0_inv
	s_clause 0x1f
	buffer_load_dword v2, off, s[0:3], 0 offset:616
	buffer_load_dword v3, off, s[0:3], 0 offset:620
	;; [unrolled: 1-line block ×32, first 2 shown]
	v_mov_b32_e32 v1, 0
	ds_read_b128 v[11:14], v1 offset:1296
	ds_read_b128 v[15:18], v1 offset:1312
	;; [unrolled: 1-line block ×3, first 2 shown]
	s_mov_b32 s4, exec_lo
	s_waitcnt vmcnt(30) lgkmcnt(2)
	v_mul_f64 v[59:60], v[13:14], v[2:3]
	v_mul_f64 v[2:3], v[11:12], v[2:3]
	s_waitcnt vmcnt(28) lgkmcnt(1)
	v_mul_f64 v[65:66], v[17:18], v[23:24]
	v_mul_f64 v[23:24], v[15:16], v[23:24]
	s_waitcnt vmcnt(26)
	v_fma_f64 v[59:60], v[11:12], v[25:26], -v[59:60]
	v_fma_f64 v[2:3], v[13:14], v[25:26], v[2:3]
	ds_read_b128 v[11:14], v1 offset:1344
	s_waitcnt vmcnt(24) lgkmcnt(1)
	v_mul_f64 v[25:26], v[19:20], v[27:28]
	v_mul_f64 v[27:28], v[21:22], v[27:28]
	s_waitcnt vmcnt(22)
	v_fma_f64 v[65:66], v[15:16], v[31:32], -v[65:66]
	v_fma_f64 v[23:24], v[17:18], v[31:32], v[23:24]
	ds_read_b128 v[15:18], v1 offset:1360
	s_waitcnt vmcnt(18) lgkmcnt(1)
	v_mul_f64 v[31:32], v[11:12], v[33:34]
	v_add_f64 v[59:60], v[59:60], 0
	v_add_f64 v[2:3], v[2:3], 0
	v_mul_f64 v[33:34], v[13:14], v[33:34]
	s_waitcnt vmcnt(16)
	v_fma_f64 v[27:28], v[19:20], v[39:40], -v[27:28]
	v_fma_f64 v[25:26], v[21:22], v[39:40], v[25:26]
	ds_read_b128 v[19:22], v1 offset:1376
	s_waitcnt vmcnt(13)
	v_fma_f64 v[31:32], v[13:14], v[45:46], v[31:32]
	v_add_f64 v[59:60], v[59:60], v[65:66]
	v_add_f64 v[2:3], v[2:3], v[23:24]
	s_waitcnt lgkmcnt(1)
	v_mul_f64 v[23:24], v[15:16], v[35:36]
	v_mul_f64 v[35:36], v[17:18], v[35:36]
	v_fma_f64 v[33:34], v[11:12], v[45:46], -v[33:34]
	s_waitcnt vmcnt(9) lgkmcnt(0)
	v_mul_f64 v[39:40], v[21:22], v[47:48]
	ds_read_b128 v[11:14], v1 offset:1392
	v_add_f64 v[27:28], v[59:60], v[27:28]
	v_add_f64 v[2:3], v[2:3], v[25:26]
	v_mul_f64 v[25:26], v[19:20], v[47:48]
	s_waitcnt vmcnt(8)
	v_fma_f64 v[15:16], v[15:16], v[37:38], -v[35:36]
	v_fma_f64 v[17:18], v[17:18], v[37:38], v[23:24]
	s_waitcnt vmcnt(5)
	v_fma_f64 v[19:20], v[19:20], v[53:54], -v[39:40]
	s_waitcnt lgkmcnt(0)
	v_mul_f64 v[23:24], v[11:12], v[49:50]
	v_add_f64 v[27:28], v[27:28], v[33:34]
	v_add_f64 v[2:3], v[2:3], v[31:32]
	v_mul_f64 v[31:32], v[13:14], v[49:50]
	v_fma_f64 v[21:22], v[21:22], v[53:54], v[25:26]
	s_waitcnt vmcnt(4)
	v_fma_f64 v[13:14], v[13:14], v[51:52], v[23:24]
	v_add_f64 v[15:16], v[27:28], v[15:16]
	v_add_f64 v[2:3], v[2:3], v[17:18]
	v_fma_f64 v[11:12], v[11:12], v[51:52], -v[31:32]
	v_add_f64 v[15:16], v[15:16], v[19:20]
	v_add_f64 v[2:3], v[2:3], v[21:22]
	;; [unrolled: 1-line block ×4, first 2 shown]
	s_waitcnt vmcnt(2)
	v_add_f64 v[11:12], v[55:56], -v[11:12]
	s_waitcnt vmcnt(0)
	v_add_f64 v[2:3], v[57:58], -v[2:3]
	buffer_store_dword v12, off, s[0:3], 0 offset:596
	buffer_store_dword v11, off, s[0:3], 0 offset:592
	;; [unrolled: 1-line block ×4, first 2 shown]
	v_cmpx_lt_u32_e32 35, v0
	s_cbranch_execz .LBB43_207
; %bb.206:
	v_mov_b32_e32 v2, s18
	s_clause 0x3
	buffer_load_dword v11, v2, s[0:3], 0 offen
	buffer_load_dword v12, v2, s[0:3], 0 offen offset:4
	buffer_load_dword v13, v2, s[0:3], 0 offen offset:8
	;; [unrolled: 1-line block ×3, first 2 shown]
	buffer_store_dword v1, off, s[0:3], 0 offset:576
	buffer_store_dword v1, off, s[0:3], 0 offset:580
	buffer_store_dword v1, off, s[0:3], 0 offset:584
	buffer_store_dword v1, off, s[0:3], 0 offset:588
	s_waitcnt vmcnt(0)
	ds_write_b128 v149, v[11:14]
.LBB43_207:
	s_or_b32 exec_lo, exec_lo, s4
	s_waitcnt lgkmcnt(0)
	s_waitcnt_vscnt null, 0x0
	s_barrier
	buffer_gl0_inv
	s_clause 0x23
	buffer_load_dword v2, off, s[0:3], 0 offset:600
	buffer_load_dword v3, off, s[0:3], 0 offset:604
	;; [unrolled: 1-line block ×36, first 2 shown]
	ds_read_b128 v[11:14], v1 offset:1280
	ds_read_b128 v[15:18], v1 offset:1296
	;; [unrolled: 1-line block ×3, first 2 shown]
	s_mov_b32 s4, exec_lo
	s_waitcnt vmcnt(34) lgkmcnt(2)
	v_mul_f64 v[67:68], v[13:14], v[2:3]
	v_mul_f64 v[2:3], v[11:12], v[2:3]
	s_waitcnt vmcnt(32) lgkmcnt(1)
	v_mul_f64 v[69:70], v[17:18], v[23:24]
	v_mul_f64 v[23:24], v[15:16], v[23:24]
	s_waitcnt vmcnt(30)
	v_fma_f64 v[67:68], v[11:12], v[25:26], -v[67:68]
	v_fma_f64 v[2:3], v[13:14], v[25:26], v[2:3]
	ds_read_b128 v[11:14], v1 offset:1328
	s_waitcnt vmcnt(28) lgkmcnt(1)
	v_mul_f64 v[25:26], v[19:20], v[27:28]
	v_mul_f64 v[27:28], v[21:22], v[27:28]
	s_waitcnt vmcnt(26)
	v_fma_f64 v[69:70], v[15:16], v[31:32], -v[69:70]
	v_fma_f64 v[23:24], v[17:18], v[31:32], v[23:24]
	ds_read_b128 v[15:18], v1 offset:1344
	s_waitcnt vmcnt(22) lgkmcnt(1)
	v_mul_f64 v[31:32], v[11:12], v[33:34]
	v_add_f64 v[67:68], v[67:68], 0
	v_add_f64 v[2:3], v[2:3], 0
	v_mul_f64 v[33:34], v[13:14], v[33:34]
	s_waitcnt vmcnt(20)
	v_fma_f64 v[27:28], v[19:20], v[39:40], -v[27:28]
	v_fma_f64 v[25:26], v[21:22], v[39:40], v[25:26]
	ds_read_b128 v[19:22], v1 offset:1360
	s_waitcnt vmcnt(17)
	v_fma_f64 v[31:32], v[13:14], v[45:46], v[31:32]
	v_add_f64 v[67:68], v[67:68], v[69:70]
	v_add_f64 v[2:3], v[2:3], v[23:24]
	s_waitcnt lgkmcnt(1)
	v_mul_f64 v[23:24], v[15:16], v[35:36]
	v_mul_f64 v[35:36], v[17:18], v[35:36]
	v_fma_f64 v[33:34], v[11:12], v[45:46], -v[33:34]
	s_waitcnt vmcnt(13) lgkmcnt(0)
	v_mul_f64 v[39:40], v[21:22], v[47:48]
	ds_read_b128 v[11:14], v1 offset:1376
	v_add_f64 v[27:28], v[67:68], v[27:28]
	v_add_f64 v[2:3], v[2:3], v[25:26]
	v_mul_f64 v[25:26], v[19:20], v[47:48]
	s_waitcnt vmcnt(12)
	v_fma_f64 v[15:16], v[15:16], v[37:38], -v[35:36]
	v_fma_f64 v[17:18], v[17:18], v[37:38], v[23:24]
	s_waitcnt vmcnt(9)
	v_fma_f64 v[19:20], v[19:20], v[53:54], -v[39:40]
	v_add_f64 v[27:28], v[27:28], v[33:34]
	v_add_f64 v[23:24], v[2:3], v[31:32]
	s_waitcnt lgkmcnt(0)
	v_mul_f64 v[33:34], v[13:14], v[49:50]
	ds_read_b128 v[1:4], v1 offset:1392
	v_mul_f64 v[31:32], v[11:12], v[49:50]
	v_fma_f64 v[21:22], v[21:22], v[53:54], v[25:26]
	v_add_f64 v[15:16], v[27:28], v[15:16]
	v_add_f64 v[17:18], v[23:24], v[17:18]
	s_waitcnt vmcnt(7) lgkmcnt(0)
	v_mul_f64 v[25:26], v[3:4], v[55:56]
	s_waitcnt vmcnt(6)
	v_fma_f64 v[11:12], v[11:12], v[51:52], -v[33:34]
	v_mul_f64 v[23:24], v[1:2], v[55:56]
	v_fma_f64 v[13:14], v[13:14], v[51:52], v[31:32]
	v_add_f64 v[15:16], v[15:16], v[19:20]
	v_add_f64 v[17:18], v[17:18], v[21:22]
	s_waitcnt vmcnt(4)
	v_fma_f64 v[1:2], v[1:2], v[57:58], -v[25:26]
	v_fma_f64 v[3:4], v[3:4], v[57:58], v[23:24]
	v_add_f64 v[11:12], v[15:16], v[11:12]
	v_add_f64 v[13:14], v[17:18], v[13:14]
	;; [unrolled: 1-line block ×4, first 2 shown]
	s_waitcnt vmcnt(2)
	v_add_f64 v[1:2], v[59:60], -v[1:2]
	s_waitcnt vmcnt(0)
	v_add_f64 v[3:4], v[65:66], -v[3:4]
	buffer_store_dword v2, off, s[0:3], 0 offset:580
	buffer_store_dword v1, off, s[0:3], 0 offset:576
	;; [unrolled: 1-line block ×4, first 2 shown]
	v_cmpx_lt_u32_e32 34, v0
	s_cbranch_execz .LBB43_209
; %bb.208:
	v_mov_b32_e32 v4, s19
	v_mov_b32_e32 v11, 0
	s_clause 0x3
	buffer_load_dword v1, v4, s[0:3], 0 offen
	buffer_load_dword v2, v4, s[0:3], 0 offen offset:4
	buffer_load_dword v3, v4, s[0:3], 0 offen offset:8
	;; [unrolled: 1-line block ×3, first 2 shown]
	buffer_store_dword v11, off, s[0:3], 0 offset:560
	buffer_store_dword v11, off, s[0:3], 0 offset:564
	;; [unrolled: 1-line block ×4, first 2 shown]
	s_waitcnt vmcnt(0)
	ds_write_b128 v149, v[1:4]
.LBB43_209:
	s_or_b32 exec_lo, exec_lo, s4
	s_waitcnt lgkmcnt(0)
	s_waitcnt_vscnt null, 0x0
	s_barrier
	buffer_gl0_inv
	s_clause 0x27
	buffer_load_dword v2, off, s[0:3], 0 offset:584
	buffer_load_dword v3, off, s[0:3], 0 offset:588
	;; [unrolled: 1-line block ×40, first 2 shown]
	v_mov_b32_e32 v1, 0
	ds_read_b128 v[11:14], v1 offset:1264
	ds_read_b128 v[15:18], v1 offset:1280
	;; [unrolled: 1-line block ×3, first 2 shown]
	s_mov_b32 s4, exec_lo
	s_waitcnt vmcnt(38) lgkmcnt(2)
	v_mul_f64 v[71:72], v[13:14], v[2:3]
	v_mul_f64 v[2:3], v[11:12], v[2:3]
	s_waitcnt vmcnt(36) lgkmcnt(1)
	v_mul_f64 v[145:146], v[17:18], v[23:24]
	v_mul_f64 v[23:24], v[15:16], v[23:24]
	s_waitcnt vmcnt(34)
	v_fma_f64 v[71:72], v[11:12], v[25:26], -v[71:72]
	v_fma_f64 v[2:3], v[13:14], v[25:26], v[2:3]
	ds_read_b128 v[11:14], v1 offset:1312
	s_waitcnt vmcnt(32) lgkmcnt(1)
	v_mul_f64 v[25:26], v[19:20], v[27:28]
	v_mul_f64 v[27:28], v[21:22], v[27:28]
	s_waitcnt vmcnt(30)
	v_fma_f64 v[145:146], v[15:16], v[31:32], -v[145:146]
	v_fma_f64 v[23:24], v[17:18], v[31:32], v[23:24]
	ds_read_b128 v[15:18], v1 offset:1328
	s_waitcnt vmcnt(26) lgkmcnt(1)
	v_mul_f64 v[31:32], v[11:12], v[33:34]
	v_add_f64 v[71:72], v[71:72], 0
	v_add_f64 v[2:3], v[2:3], 0
	v_mul_f64 v[33:34], v[13:14], v[33:34]
	s_waitcnt vmcnt(24)
	v_fma_f64 v[27:28], v[19:20], v[39:40], -v[27:28]
	v_fma_f64 v[25:26], v[21:22], v[39:40], v[25:26]
	ds_read_b128 v[19:22], v1 offset:1344
	s_waitcnt vmcnt(21)
	v_fma_f64 v[31:32], v[13:14], v[45:46], v[31:32]
	v_add_f64 v[71:72], v[71:72], v[145:146]
	v_add_f64 v[2:3], v[2:3], v[23:24]
	s_waitcnt lgkmcnt(1)
	v_mul_f64 v[23:24], v[15:16], v[35:36]
	v_mul_f64 v[35:36], v[17:18], v[35:36]
	v_fma_f64 v[33:34], v[11:12], v[45:46], -v[33:34]
	s_waitcnt vmcnt(17) lgkmcnt(0)
	v_mul_f64 v[39:40], v[21:22], v[47:48]
	ds_read_b128 v[11:14], v1 offset:1360
	v_add_f64 v[27:28], v[71:72], v[27:28]
	v_add_f64 v[2:3], v[2:3], v[25:26]
	v_mul_f64 v[25:26], v[19:20], v[47:48]
	s_waitcnt vmcnt(16)
	v_fma_f64 v[35:36], v[15:16], v[37:38], -v[35:36]
	v_fma_f64 v[23:24], v[17:18], v[37:38], v[23:24]
	ds_read_b128 v[15:18], v1 offset:1376
	s_waitcnt vmcnt(13)
	v_fma_f64 v[37:38], v[19:20], v[53:54], -v[39:40]
	v_add_f64 v[27:28], v[27:28], v[33:34]
	v_add_f64 v[2:3], v[2:3], v[31:32]
	s_waitcnt lgkmcnt(1)
	v_mul_f64 v[33:34], v[13:14], v[49:50]
	v_mul_f64 v[31:32], v[11:12], v[49:50]
	v_fma_f64 v[25:26], v[21:22], v[53:54], v[25:26]
	ds_read_b128 v[19:22], v1 offset:1392
	v_add_f64 v[27:28], v[27:28], v[35:36]
	v_add_f64 v[2:3], v[2:3], v[23:24]
	s_waitcnt vmcnt(9) lgkmcnt(1)
	v_mul_f64 v[35:36], v[17:18], v[55:56]
	s_waitcnt vmcnt(8)
	v_fma_f64 v[11:12], v[11:12], v[51:52], -v[33:34]
	v_mul_f64 v[23:24], v[15:16], v[55:56]
	v_fma_f64 v[13:14], v[13:14], v[51:52], v[31:32]
	s_waitcnt vmcnt(7) lgkmcnt(0)
	v_mul_f64 v[31:32], v[21:22], v[57:58]
	v_add_f64 v[27:28], v[27:28], v[37:38]
	v_add_f64 v[2:3], v[2:3], v[25:26]
	s_waitcnt vmcnt(5)
	v_fma_f64 v[15:16], v[15:16], v[65:66], -v[35:36]
	v_mul_f64 v[25:26], v[19:20], v[57:58]
	v_fma_f64 v[17:18], v[17:18], v[65:66], v[23:24]
	v_add_f64 v[11:12], v[27:28], v[11:12]
	v_add_f64 v[2:3], v[2:3], v[13:14]
	s_waitcnt vmcnt(4)
	v_fma_f64 v[13:14], v[19:20], v[59:60], -v[31:32]
	v_add_f64 v[11:12], v[11:12], v[15:16]
	v_fma_f64 v[15:16], v[21:22], v[59:60], v[25:26]
	v_add_f64 v[2:3], v[2:3], v[17:18]
	v_add_f64 v[11:12], v[11:12], v[13:14]
	;; [unrolled: 1-line block ×3, first 2 shown]
	s_waitcnt vmcnt(2)
	v_add_f64 v[11:12], v[67:68], -v[11:12]
	s_waitcnt vmcnt(0)
	v_add_f64 v[2:3], v[69:70], -v[2:3]
	buffer_store_dword v12, off, s[0:3], 0 offset:564
	buffer_store_dword v11, off, s[0:3], 0 offset:560
	;; [unrolled: 1-line block ×4, first 2 shown]
	v_cmpx_lt_u32_e32 33, v0
	s_cbranch_execz .LBB43_211
; %bb.210:
	v_mov_b32_e32 v2, s22
	s_clause 0x3
	buffer_load_dword v11, v2, s[0:3], 0 offen
	buffer_load_dword v12, v2, s[0:3], 0 offen offset:4
	buffer_load_dword v13, v2, s[0:3], 0 offen offset:8
	;; [unrolled: 1-line block ×3, first 2 shown]
	buffer_store_dword v1, off, s[0:3], 0 offset:544
	buffer_store_dword v1, off, s[0:3], 0 offset:548
	;; [unrolled: 1-line block ×4, first 2 shown]
	s_waitcnt vmcnt(0)
	ds_write_b128 v149, v[11:14]
.LBB43_211:
	s_or_b32 exec_lo, exec_lo, s4
	s_waitcnt lgkmcnt(0)
	s_waitcnt_vscnt null, 0x0
	s_barrier
	buffer_gl0_inv
	s_clause 0x2b
	buffer_load_dword v2, off, s[0:3], 0 offset:568
	buffer_load_dword v3, off, s[0:3], 0 offset:572
	;; [unrolled: 1-line block ×44, first 2 shown]
	ds_read_b128 v[11:14], v1 offset:1248
	ds_read_b128 v[15:18], v1 offset:1264
	;; [unrolled: 1-line block ×3, first 2 shown]
	s_mov_b32 s4, exec_lo
	s_waitcnt vmcnt(42) lgkmcnt(2)
	v_mul_f64 v[147:148], v[13:14], v[2:3]
	v_mul_f64 v[2:3], v[11:12], v[2:3]
	s_waitcnt vmcnt(40) lgkmcnt(1)
	v_mul_f64 v[150:151], v[17:18], v[23:24]
	v_mul_f64 v[23:24], v[15:16], v[23:24]
	s_waitcnt vmcnt(38)
	v_fma_f64 v[147:148], v[11:12], v[25:26], -v[147:148]
	v_fma_f64 v[2:3], v[13:14], v[25:26], v[2:3]
	ds_read_b128 v[11:14], v1 offset:1296
	s_waitcnt vmcnt(36) lgkmcnt(1)
	v_mul_f64 v[25:26], v[19:20], v[27:28]
	v_mul_f64 v[27:28], v[21:22], v[27:28]
	s_waitcnt vmcnt(34)
	v_fma_f64 v[150:151], v[15:16], v[31:32], -v[150:151]
	v_fma_f64 v[23:24], v[17:18], v[31:32], v[23:24]
	ds_read_b128 v[15:18], v1 offset:1312
	s_waitcnt vmcnt(30) lgkmcnt(1)
	v_mul_f64 v[31:32], v[11:12], v[33:34]
	v_add_f64 v[147:148], v[147:148], 0
	v_add_f64 v[2:3], v[2:3], 0
	v_mul_f64 v[33:34], v[13:14], v[33:34]
	s_waitcnt vmcnt(28)
	v_fma_f64 v[27:28], v[19:20], v[39:40], -v[27:28]
	v_fma_f64 v[25:26], v[21:22], v[39:40], v[25:26]
	ds_read_b128 v[19:22], v1 offset:1328
	s_waitcnt vmcnt(25)
	v_fma_f64 v[31:32], v[13:14], v[45:46], v[31:32]
	v_add_f64 v[147:148], v[147:148], v[150:151]
	v_add_f64 v[2:3], v[2:3], v[23:24]
	s_waitcnt lgkmcnt(1)
	v_mul_f64 v[23:24], v[15:16], v[35:36]
	v_mul_f64 v[35:36], v[17:18], v[35:36]
	v_fma_f64 v[33:34], v[11:12], v[45:46], -v[33:34]
	s_waitcnt vmcnt(21) lgkmcnt(0)
	v_mul_f64 v[39:40], v[21:22], v[47:48]
	ds_read_b128 v[11:14], v1 offset:1344
	v_add_f64 v[27:28], v[147:148], v[27:28]
	v_add_f64 v[2:3], v[2:3], v[25:26]
	v_mul_f64 v[25:26], v[19:20], v[47:48]
	s_waitcnt vmcnt(20)
	v_fma_f64 v[35:36], v[15:16], v[37:38], -v[35:36]
	v_fma_f64 v[23:24], v[17:18], v[37:38], v[23:24]
	ds_read_b128 v[15:18], v1 offset:1360
	s_waitcnt vmcnt(17)
	v_fma_f64 v[37:38], v[19:20], v[53:54], -v[39:40]
	v_add_f64 v[27:28], v[27:28], v[33:34]
	v_add_f64 v[2:3], v[2:3], v[31:32]
	s_waitcnt lgkmcnt(1)
	v_mul_f64 v[33:34], v[13:14], v[49:50]
	v_mul_f64 v[31:32], v[11:12], v[49:50]
	v_fma_f64 v[25:26], v[21:22], v[53:54], v[25:26]
	ds_read_b128 v[19:22], v1 offset:1376
	v_add_f64 v[27:28], v[27:28], v[35:36]
	v_add_f64 v[2:3], v[2:3], v[23:24]
	s_waitcnt vmcnt(13) lgkmcnt(1)
	v_mul_f64 v[35:36], v[17:18], v[55:56]
	s_waitcnt vmcnt(12)
	v_fma_f64 v[11:12], v[11:12], v[51:52], -v[33:34]
	v_mul_f64 v[23:24], v[15:16], v[55:56]
	v_fma_f64 v[13:14], v[13:14], v[51:52], v[31:32]
	s_waitcnt vmcnt(11) lgkmcnt(0)
	v_mul_f64 v[33:34], v[21:22], v[57:58]
	v_mul_f64 v[31:32], v[19:20], v[57:58]
	v_add_f64 v[27:28], v[27:28], v[37:38]
	v_add_f64 v[25:26], v[2:3], v[25:26]
	s_waitcnt vmcnt(9)
	v_fma_f64 v[15:16], v[15:16], v[65:66], -v[35:36]
	ds_read_b128 v[1:4], v1 offset:1392
	v_fma_f64 v[17:18], v[17:18], v[65:66], v[23:24]
	s_waitcnt vmcnt(6)
	v_fma_f64 v[19:20], v[19:20], v[59:60], -v[33:34]
	v_add_f64 v[11:12], v[27:28], v[11:12]
	v_add_f64 v[13:14], v[25:26], v[13:14]
	s_waitcnt lgkmcnt(0)
	v_mul_f64 v[25:26], v[3:4], v[67:68]
	v_mul_f64 v[23:24], v[1:2], v[67:68]
	v_add_f64 v[11:12], v[11:12], v[15:16]
	v_fma_f64 v[15:16], v[21:22], v[59:60], v[31:32]
	v_add_f64 v[13:14], v[13:14], v[17:18]
	s_waitcnt vmcnt(4)
	v_fma_f64 v[1:2], v[1:2], v[69:70], -v[25:26]
	v_fma_f64 v[3:4], v[3:4], v[69:70], v[23:24]
	v_add_f64 v[11:12], v[11:12], v[19:20]
	v_add_f64 v[13:14], v[13:14], v[15:16]
	;; [unrolled: 1-line block ×4, first 2 shown]
	s_waitcnt vmcnt(2)
	v_add_f64 v[1:2], v[71:72], -v[1:2]
	s_waitcnt vmcnt(0)
	v_add_f64 v[3:4], v[145:146], -v[3:4]
	buffer_store_dword v2, off, s[0:3], 0 offset:548
	buffer_store_dword v1, off, s[0:3], 0 offset:544
	;; [unrolled: 1-line block ×4, first 2 shown]
	v_cmpx_lt_u32_e32 32, v0
	s_cbranch_execz .LBB43_213
; %bb.212:
	v_mov_b32_e32 v4, s23
	v_mov_b32_e32 v11, 0
	s_clause 0x3
	buffer_load_dword v1, v4, s[0:3], 0 offen
	buffer_load_dword v2, v4, s[0:3], 0 offen offset:4
	buffer_load_dword v3, v4, s[0:3], 0 offen offset:8
	;; [unrolled: 1-line block ×3, first 2 shown]
	buffer_store_dword v11, off, s[0:3], 0 offset:528
	buffer_store_dword v11, off, s[0:3], 0 offset:532
	;; [unrolled: 1-line block ×4, first 2 shown]
	s_waitcnt vmcnt(0)
	ds_write_b128 v149, v[1:4]
.LBB43_213:
	s_or_b32 exec_lo, exec_lo, s4
	s_waitcnt lgkmcnt(0)
	s_waitcnt_vscnt null, 0x0
	s_barrier
	buffer_gl0_inv
	s_clause 0x2f
	buffer_load_dword v2, off, s[0:3], 0 offset:552
	buffer_load_dword v3, off, s[0:3], 0 offset:556
	;; [unrolled: 1-line block ×48, first 2 shown]
	v_mov_b32_e32 v1, 0
	ds_read_b128 v[11:14], v1 offset:1232
	ds_read_b128 v[15:18], v1 offset:1248
	;; [unrolled: 1-line block ×3, first 2 shown]
	s_mov_b32 s4, exec_lo
	s_waitcnt vmcnt(46) lgkmcnt(2)
	v_mul_f64 v[152:153], v[13:14], v[2:3]
	v_mul_f64 v[2:3], v[11:12], v[2:3]
	s_waitcnt vmcnt(44) lgkmcnt(1)
	v_mul_f64 v[154:155], v[17:18], v[23:24]
	v_mul_f64 v[23:24], v[15:16], v[23:24]
	s_waitcnt vmcnt(42)
	v_fma_f64 v[152:153], v[11:12], v[25:26], -v[152:153]
	v_fma_f64 v[2:3], v[13:14], v[25:26], v[2:3]
	ds_read_b128 v[11:14], v1 offset:1280
	s_waitcnt vmcnt(40) lgkmcnt(1)
	v_mul_f64 v[25:26], v[19:20], v[27:28]
	v_mul_f64 v[27:28], v[21:22], v[27:28]
	s_waitcnt vmcnt(38)
	v_fma_f64 v[154:155], v[15:16], v[31:32], -v[154:155]
	v_fma_f64 v[23:24], v[17:18], v[31:32], v[23:24]
	ds_read_b128 v[15:18], v1 offset:1296
	s_waitcnt vmcnt(34) lgkmcnt(1)
	v_mul_f64 v[31:32], v[11:12], v[33:34]
	v_add_f64 v[152:153], v[152:153], 0
	v_add_f64 v[2:3], v[2:3], 0
	v_mul_f64 v[33:34], v[13:14], v[33:34]
	s_waitcnt vmcnt(32)
	v_fma_f64 v[27:28], v[19:20], v[39:40], -v[27:28]
	v_fma_f64 v[25:26], v[21:22], v[39:40], v[25:26]
	ds_read_b128 v[19:22], v1 offset:1312
	s_waitcnt vmcnt(29)
	v_fma_f64 v[31:32], v[13:14], v[45:46], v[31:32]
	v_add_f64 v[152:153], v[152:153], v[154:155]
	v_add_f64 v[2:3], v[2:3], v[23:24]
	s_waitcnt lgkmcnt(1)
	v_mul_f64 v[23:24], v[15:16], v[35:36]
	v_mul_f64 v[35:36], v[17:18], v[35:36]
	v_fma_f64 v[33:34], v[11:12], v[45:46], -v[33:34]
	s_waitcnt vmcnt(25) lgkmcnt(0)
	v_mul_f64 v[39:40], v[21:22], v[47:48]
	ds_read_b128 v[11:14], v1 offset:1328
	v_add_f64 v[27:28], v[152:153], v[27:28]
	v_add_f64 v[2:3], v[2:3], v[25:26]
	v_mul_f64 v[25:26], v[19:20], v[47:48]
	s_waitcnt vmcnt(24)
	v_fma_f64 v[35:36], v[15:16], v[37:38], -v[35:36]
	v_fma_f64 v[23:24], v[17:18], v[37:38], v[23:24]
	ds_read_b128 v[15:18], v1 offset:1344
	s_waitcnt vmcnt(21)
	v_fma_f64 v[37:38], v[19:20], v[53:54], -v[39:40]
	v_add_f64 v[27:28], v[27:28], v[33:34]
	v_add_f64 v[2:3], v[2:3], v[31:32]
	s_waitcnt lgkmcnt(1)
	v_mul_f64 v[33:34], v[13:14], v[49:50]
	v_mul_f64 v[31:32], v[11:12], v[49:50]
	v_fma_f64 v[25:26], v[21:22], v[53:54], v[25:26]
	ds_read_b128 v[19:22], v1 offset:1360
	v_add_f64 v[27:28], v[27:28], v[35:36]
	v_add_f64 v[2:3], v[2:3], v[23:24]
	s_waitcnt vmcnt(17) lgkmcnt(1)
	v_mul_f64 v[35:36], v[17:18], v[55:56]
	s_waitcnt vmcnt(16)
	v_fma_f64 v[33:34], v[11:12], v[51:52], -v[33:34]
	v_mul_f64 v[23:24], v[15:16], v[55:56]
	v_fma_f64 v[31:32], v[13:14], v[51:52], v[31:32]
	ds_read_b128 v[11:14], v1 offset:1376
	v_add_f64 v[27:28], v[27:28], v[37:38]
	v_add_f64 v[2:3], v[2:3], v[25:26]
	s_waitcnt vmcnt(15) lgkmcnt(1)
	v_mul_f64 v[37:38], v[21:22], v[57:58]
	s_waitcnt vmcnt(13)
	v_fma_f64 v[35:36], v[15:16], v[65:66], -v[35:36]
	;; [unrolled: 9-line block ×3, first 2 shown]
	v_mul_f64 v[31:32], v[11:12], v[67:68]
	v_fma_f64 v[21:22], v[21:22], v[59:60], v[25:26]
	s_waitcnt vmcnt(7) lgkmcnt(0)
	v_mul_f64 v[25:26], v[17:18], v[69:70]
	v_add_f64 v[27:28], v[27:28], v[35:36]
	v_add_f64 v[2:3], v[2:3], v[23:24]
	s_waitcnt vmcnt(5)
	v_fma_f64 v[11:12], v[11:12], v[145:146], -v[33:34]
	v_mul_f64 v[23:24], v[15:16], v[69:70]
	v_fma_f64 v[13:14], v[13:14], v[145:146], v[31:32]
	s_waitcnt vmcnt(4)
	v_fma_f64 v[15:16], v[15:16], v[71:72], -v[25:26]
	v_add_f64 v[19:20], v[27:28], v[19:20]
	v_add_f64 v[2:3], v[2:3], v[21:22]
	v_fma_f64 v[17:18], v[17:18], v[71:72], v[23:24]
	v_add_f64 v[11:12], v[19:20], v[11:12]
	v_add_f64 v[2:3], v[2:3], v[13:14]
	;; [unrolled: 1-line block ×4, first 2 shown]
	s_waitcnt vmcnt(2)
	v_add_f64 v[11:12], v[147:148], -v[11:12]
	s_waitcnt vmcnt(0)
	v_add_f64 v[2:3], v[150:151], -v[2:3]
	buffer_store_dword v12, off, s[0:3], 0 offset:532
	buffer_store_dword v11, off, s[0:3], 0 offset:528
	;; [unrolled: 1-line block ×4, first 2 shown]
	v_cmpx_lt_u32_e32 31, v0
	s_cbranch_execz .LBB43_215
; %bb.214:
	v_mov_b32_e32 v2, s24
	s_clause 0x3
	buffer_load_dword v11, v2, s[0:3], 0 offen
	buffer_load_dword v12, v2, s[0:3], 0 offen offset:4
	buffer_load_dword v13, v2, s[0:3], 0 offen offset:8
	;; [unrolled: 1-line block ×3, first 2 shown]
	buffer_store_dword v1, off, s[0:3], 0 offset:512
	buffer_store_dword v1, off, s[0:3], 0 offset:516
	;; [unrolled: 1-line block ×4, first 2 shown]
	s_waitcnt vmcnt(0)
	ds_write_b128 v149, v[11:14]
.LBB43_215:
	s_or_b32 exec_lo, exec_lo, s4
	s_waitcnt lgkmcnt(0)
	s_waitcnt_vscnt null, 0x0
	s_barrier
	buffer_gl0_inv
	s_clause 0x2f
	buffer_load_dword v2, off, s[0:3], 0 offset:536
	buffer_load_dword v3, off, s[0:3], 0 offset:540
	;; [unrolled: 1-line block ×48, first 2 shown]
	ds_read_b128 v[11:14], v1 offset:1216
	s_clause 0x3
	buffer_load_dword v152, off, s[0:3], 0 offset:512
	buffer_load_dword v153, off, s[0:3], 0 offset:516
	;; [unrolled: 1-line block ×4, first 2 shown]
	ds_read_b128 v[15:18], v1 offset:1232
	ds_read_b128 v[19:22], v1 offset:1248
	s_mov_b32 s4, exec_lo
	s_waitcnt vmcnt(50) lgkmcnt(2)
	v_mul_f64 v[156:157], v[13:14], v[2:3]
	v_mul_f64 v[2:3], v[11:12], v[2:3]
	s_waitcnt vmcnt(48) lgkmcnt(1)
	v_mul_f64 v[158:159], v[17:18], v[23:24]
	v_mul_f64 v[23:24], v[15:16], v[23:24]
	s_waitcnt vmcnt(46)
	v_fma_f64 v[156:157], v[11:12], v[25:26], -v[156:157]
	v_fma_f64 v[2:3], v[13:14], v[25:26], v[2:3]
	s_waitcnt vmcnt(44) lgkmcnt(0)
	v_mul_f64 v[25:26], v[19:20], v[27:28]
	v_mul_f64 v[27:28], v[21:22], v[27:28]
	s_waitcnt vmcnt(42)
	v_fma_f64 v[158:159], v[15:16], v[31:32], -v[158:159]
	ds_read_b128 v[11:14], v1 offset:1264
	v_fma_f64 v[23:24], v[17:18], v[31:32], v[23:24]
	ds_read_b128 v[15:18], v1 offset:1280
	v_add_f64 v[156:157], v[156:157], 0
	v_add_f64 v[2:3], v[2:3], 0
	s_waitcnt vmcnt(38)
	v_fma_f64 v[25:26], v[21:22], v[35:36], v[25:26]
	s_waitcnt lgkmcnt(1)
	v_mul_f64 v[31:32], v[11:12], v[33:34]
	v_mul_f64 v[33:34], v[13:14], v[33:34]
	v_fma_f64 v[27:28], v[19:20], v[35:36], -v[27:28]
	s_waitcnt vmcnt(36) lgkmcnt(0)
	v_mul_f64 v[35:36], v[17:18], v[37:38]
	ds_read_b128 v[19:22], v1 offset:1296
	v_add_f64 v[156:157], v[156:157], v[158:159]
	v_add_f64 v[2:3], v[2:3], v[23:24]
	v_mul_f64 v[23:24], v[15:16], v[37:38]
	s_waitcnt vmcnt(34)
	v_fma_f64 v[31:32], v[13:14], v[39:40], v[31:32]
	v_fma_f64 v[33:34], v[11:12], v[39:40], -v[33:34]
	ds_read_b128 v[11:14], v1 offset:1312
	s_waitcnt vmcnt(32) lgkmcnt(1)
	v_mul_f64 v[37:38], v[21:22], v[45:46]
	s_waitcnt vmcnt(30)
	v_fma_f64 v[35:36], v[15:16], v[47:48], -v[35:36]
	v_add_f64 v[27:28], v[156:157], v[27:28]
	v_add_f64 v[2:3], v[2:3], v[25:26]
	v_mul_f64 v[25:26], v[19:20], v[45:46]
	v_fma_f64 v[23:24], v[17:18], v[47:48], v[23:24]
	ds_read_b128 v[15:18], v1 offset:1328
	s_waitcnt vmcnt(26)
	v_fma_f64 v[37:38], v[19:20], v[51:52], -v[37:38]
	v_add_f64 v[27:28], v[27:28], v[33:34]
	v_add_f64 v[2:3], v[2:3], v[31:32]
	s_waitcnt lgkmcnt(1)
	v_mul_f64 v[33:34], v[13:14], v[49:50]
	v_mul_f64 v[31:32], v[11:12], v[49:50]
	v_fma_f64 v[25:26], v[21:22], v[51:52], v[25:26]
	ds_read_b128 v[19:22], v1 offset:1344
	v_add_f64 v[27:28], v[27:28], v[35:36]
	v_add_f64 v[2:3], v[2:3], v[23:24]
	s_waitcnt vmcnt(24) lgkmcnt(1)
	v_mul_f64 v[35:36], v[17:18], v[53:54]
	s_waitcnt vmcnt(22)
	v_fma_f64 v[33:34], v[11:12], v[55:56], -v[33:34]
	v_mul_f64 v[23:24], v[15:16], v[53:54]
	v_fma_f64 v[31:32], v[13:14], v[55:56], v[31:32]
	ds_read_b128 v[11:14], v1 offset:1360
	v_add_f64 v[27:28], v[27:28], v[37:38]
	v_add_f64 v[2:3], v[2:3], v[25:26]
	s_waitcnt vmcnt(20) lgkmcnt(1)
	v_mul_f64 v[37:38], v[21:22], v[57:58]
	s_waitcnt vmcnt(18)
	v_fma_f64 v[35:36], v[15:16], v[59:60], -v[35:36]
	;; [unrolled: 9-line block ×3, first 2 shown]
	v_mul_f64 v[31:32], v[11:12], v[65:66]
	v_fma_f64 v[21:22], v[21:22], v[67:68], v[25:26]
	s_waitcnt vmcnt(12) lgkmcnt(0)
	v_mul_f64 v[25:26], v[15:16], v[69:70]
	v_add_f64 v[27:28], v[27:28], v[35:36]
	v_add_f64 v[23:24], v[2:3], v[23:24]
	v_mul_f64 v[35:36], v[17:18], v[69:70]
	s_waitcnt vmcnt(10)
	v_fma_f64 v[11:12], v[11:12], v[71:72], -v[33:34]
	ds_read_b128 v[1:4], v1 offset:1392
	v_fma_f64 v[13:14], v[13:14], v[71:72], v[31:32]
	s_waitcnt vmcnt(6)
	v_fma_f64 v[17:18], v[17:18], v[147:148], v[25:26]
	v_add_f64 v[19:20], v[27:28], v[19:20]
	v_add_f64 v[21:22], v[23:24], v[21:22]
	s_waitcnt lgkmcnt(0)
	v_mul_f64 v[27:28], v[3:4], v[145:146]
	v_fma_f64 v[15:16], v[15:16], v[147:148], -v[35:36]
	v_mul_f64 v[23:24], v[1:2], v[145:146]
	v_add_f64 v[11:12], v[19:20], v[11:12]
	v_add_f64 v[13:14], v[21:22], v[13:14]
	s_waitcnt vmcnt(4)
	v_fma_f64 v[1:2], v[1:2], v[150:151], -v[27:28]
	v_fma_f64 v[3:4], v[3:4], v[150:151], v[23:24]
	v_add_f64 v[11:12], v[11:12], v[15:16]
	v_add_f64 v[13:14], v[13:14], v[17:18]
	v_add_f64 v[1:2], v[11:12], v[1:2]
	v_add_f64 v[3:4], v[13:14], v[3:4]
	s_waitcnt vmcnt(2)
	v_add_f64 v[1:2], v[152:153], -v[1:2]
	s_waitcnt vmcnt(0)
	v_add_f64 v[3:4], v[154:155], -v[3:4]
	buffer_store_dword v2, off, s[0:3], 0 offset:516
	buffer_store_dword v1, off, s[0:3], 0 offset:512
	;; [unrolled: 1-line block ×4, first 2 shown]
	v_cmpx_lt_u32_e32 30, v0
	s_cbranch_execz .LBB43_217
; %bb.216:
	v_mov_b32_e32 v4, s25
	v_mov_b32_e32 v11, 0
	s_clause 0x3
	buffer_load_dword v1, v4, s[0:3], 0 offen
	buffer_load_dword v2, v4, s[0:3], 0 offen offset:4
	buffer_load_dword v3, v4, s[0:3], 0 offen offset:8
	;; [unrolled: 1-line block ×3, first 2 shown]
	buffer_store_dword v11, off, s[0:3], 0 offset:496
	buffer_store_dword v11, off, s[0:3], 0 offset:500
	;; [unrolled: 1-line block ×4, first 2 shown]
	s_waitcnt vmcnt(0)
	ds_write_b128 v149, v[1:4]
.LBB43_217:
	s_or_b32 exec_lo, exec_lo, s4
	s_waitcnt lgkmcnt(0)
	s_waitcnt_vscnt null, 0x0
	s_barrier
	buffer_gl0_inv
	s_clause 0x33
	buffer_load_dword v2, off, s[0:3], 0 offset:520
	buffer_load_dword v3, off, s[0:3], 0 offset:524
	;; [unrolled: 1-line block ×52, first 2 shown]
	v_mov_b32_e32 v1, 0
	ds_read_b128 v[11:14], v1 offset:1200
	ds_read_b128 v[15:18], v1 offset:1216
	s_clause 0x3
	buffer_load_dword v158, off, s[0:3], 0 offset:496
	buffer_load_dword v159, off, s[0:3], 0 offset:500
	;; [unrolled: 1-line block ×4, first 2 shown]
	ds_read_b128 v[19:22], v1 offset:1232
	s_mov_b32 s4, exec_lo
	s_waitcnt vmcnt(54) lgkmcnt(2)
	v_mul_f64 v[156:157], v[13:14], v[2:3]
	v_mul_f64 v[2:3], v[11:12], v[2:3]
	s_waitcnt vmcnt(52) lgkmcnt(1)
	v_mul_f64 v[162:163], v[17:18], v[23:24]
	v_mul_f64 v[23:24], v[15:16], v[23:24]
	s_waitcnt vmcnt(50)
	v_fma_f64 v[156:157], v[11:12], v[25:26], -v[156:157]
	v_fma_f64 v[2:3], v[13:14], v[25:26], v[2:3]
	ds_read_b128 v[11:14], v1 offset:1248
	s_waitcnt vmcnt(48) lgkmcnt(1)
	v_mul_f64 v[25:26], v[19:20], v[27:28]
	v_mul_f64 v[27:28], v[21:22], v[27:28]
	s_waitcnt vmcnt(46)
	v_fma_f64 v[162:163], v[15:16], v[31:32], -v[162:163]
	v_fma_f64 v[23:24], v[17:18], v[31:32], v[23:24]
	ds_read_b128 v[15:18], v1 offset:1264
	s_waitcnt vmcnt(42) lgkmcnt(1)
	v_mul_f64 v[31:32], v[11:12], v[33:34]
	v_add_f64 v[156:157], v[156:157], 0
	v_add_f64 v[2:3], v[2:3], 0
	v_mul_f64 v[33:34], v[13:14], v[33:34]
	s_waitcnt vmcnt(40)
	v_fma_f64 v[27:28], v[19:20], v[39:40], -v[27:28]
	v_fma_f64 v[25:26], v[21:22], v[39:40], v[25:26]
	ds_read_b128 v[19:22], v1 offset:1280
	s_waitcnt vmcnt(37)
	v_fma_f64 v[31:32], v[13:14], v[45:46], v[31:32]
	v_add_f64 v[156:157], v[156:157], v[162:163]
	v_add_f64 v[2:3], v[2:3], v[23:24]
	s_waitcnt lgkmcnt(1)
	v_mul_f64 v[23:24], v[15:16], v[35:36]
	v_mul_f64 v[35:36], v[17:18], v[35:36]
	v_fma_f64 v[33:34], v[11:12], v[45:46], -v[33:34]
	s_waitcnt vmcnt(33) lgkmcnt(0)
	v_mul_f64 v[39:40], v[21:22], v[47:48]
	ds_read_b128 v[11:14], v1 offset:1296
	v_add_f64 v[27:28], v[156:157], v[27:28]
	v_add_f64 v[2:3], v[2:3], v[25:26]
	v_mul_f64 v[25:26], v[19:20], v[47:48]
	s_waitcnt vmcnt(32)
	v_fma_f64 v[35:36], v[15:16], v[37:38], -v[35:36]
	v_fma_f64 v[23:24], v[17:18], v[37:38], v[23:24]
	ds_read_b128 v[15:18], v1 offset:1312
	s_waitcnt vmcnt(29)
	v_fma_f64 v[37:38], v[19:20], v[53:54], -v[39:40]
	v_add_f64 v[27:28], v[27:28], v[33:34]
	v_add_f64 v[2:3], v[2:3], v[31:32]
	s_waitcnt lgkmcnt(1)
	v_mul_f64 v[33:34], v[13:14], v[49:50]
	v_mul_f64 v[31:32], v[11:12], v[49:50]
	v_fma_f64 v[25:26], v[21:22], v[53:54], v[25:26]
	ds_read_b128 v[19:22], v1 offset:1328
	v_add_f64 v[27:28], v[27:28], v[35:36]
	v_add_f64 v[2:3], v[2:3], v[23:24]
	s_waitcnt vmcnt(25) lgkmcnt(1)
	v_mul_f64 v[35:36], v[17:18], v[55:56]
	s_waitcnt vmcnt(24)
	v_fma_f64 v[33:34], v[11:12], v[51:52], -v[33:34]
	v_mul_f64 v[23:24], v[15:16], v[55:56]
	v_fma_f64 v[31:32], v[13:14], v[51:52], v[31:32]
	ds_read_b128 v[11:14], v1 offset:1344
	v_add_f64 v[27:28], v[27:28], v[37:38]
	v_add_f64 v[2:3], v[2:3], v[25:26]
	s_waitcnt vmcnt(23) lgkmcnt(1)
	v_mul_f64 v[37:38], v[21:22], v[57:58]
	s_waitcnt vmcnt(21)
	v_fma_f64 v[35:36], v[15:16], v[65:66], -v[35:36]
	;; [unrolled: 9-line block ×5, first 2 shown]
	v_mul_f64 v[25:26], v[19:20], v[147:148]
	v_fma_f64 v[17:18], v[17:18], v[71:72], v[23:24]
	s_waitcnt vmcnt(7) lgkmcnt(0)
	v_mul_f64 v[23:24], v[11:12], v[150:151]
	v_add_f64 v[27:28], v[27:28], v[33:34]
	v_add_f64 v[2:3], v[2:3], v[31:32]
	v_mul_f64 v[31:32], v[13:14], v[150:151]
	s_waitcnt vmcnt(5)
	v_fma_f64 v[19:20], v[19:20], v[154:155], -v[37:38]
	v_fma_f64 v[21:22], v[21:22], v[154:155], v[25:26]
	s_waitcnt vmcnt(4)
	v_fma_f64 v[13:14], v[13:14], v[152:153], v[23:24]
	v_add_f64 v[15:16], v[27:28], v[15:16]
	v_add_f64 v[2:3], v[2:3], v[17:18]
	v_fma_f64 v[11:12], v[11:12], v[152:153], -v[31:32]
	v_add_f64 v[15:16], v[15:16], v[19:20]
	v_add_f64 v[2:3], v[2:3], v[21:22]
	;; [unrolled: 1-line block ×4, first 2 shown]
	s_waitcnt vmcnt(2)
	v_add_f64 v[11:12], v[158:159], -v[11:12]
	s_waitcnt vmcnt(0)
	v_add_f64 v[2:3], v[160:161], -v[2:3]
	buffer_store_dword v12, off, s[0:3], 0 offset:500
	buffer_store_dword v11, off, s[0:3], 0 offset:496
	;; [unrolled: 1-line block ×4, first 2 shown]
	v_cmpx_lt_u32_e32 29, v0
	s_cbranch_execz .LBB43_219
; %bb.218:
	v_mov_b32_e32 v2, s26
	s_clause 0x3
	buffer_load_dword v11, v2, s[0:3], 0 offen
	buffer_load_dword v12, v2, s[0:3], 0 offen offset:4
	buffer_load_dword v13, v2, s[0:3], 0 offen offset:8
	;; [unrolled: 1-line block ×3, first 2 shown]
	buffer_store_dword v1, off, s[0:3], 0 offset:480
	buffer_store_dword v1, off, s[0:3], 0 offset:484
	;; [unrolled: 1-line block ×4, first 2 shown]
	s_waitcnt vmcnt(0)
	ds_write_b128 v149, v[11:14]
.LBB43_219:
	s_or_b32 exec_lo, exec_lo, s4
	s_waitcnt lgkmcnt(0)
	s_waitcnt_vscnt null, 0x0
	s_barrier
	buffer_gl0_inv
	s_clause 0x35
	buffer_load_dword v2, off, s[0:3], 0 offset:504
	buffer_load_dword v3, off, s[0:3], 0 offset:508
	;; [unrolled: 1-line block ×54, first 2 shown]
	ds_read_b128 v[11:14], v1 offset:1184
	s_clause 0x1
	buffer_load_dword v159, off, s[0:3], 0 offset:708
	buffer_load_dword v158, off, s[0:3], 0 offset:704
	ds_read_b128 v[15:18], v1 offset:1200
	ds_read_b128 v[19:22], v1 offset:1216
	s_mov_b32 s4, exec_lo
	s_waitcnt vmcnt(54) lgkmcnt(2)
	v_mul_f64 v[160:161], v[13:14], v[2:3]
	v_mul_f64 v[2:3], v[11:12], v[2:3]
	s_waitcnt vmcnt(52) lgkmcnt(1)
	v_mul_f64 v[162:163], v[17:18], v[23:24]
	v_mul_f64 v[23:24], v[15:16], v[23:24]
	;; [unrolled: 3-line block ×3, first 2 shown]
	v_fma_f64 v[160:161], v[11:12], v[25:26], -v[160:161]
	v_fma_f64 v[2:3], v[13:14], v[25:26], v[2:3]
	s_clause 0x3
	buffer_load_dword v25, off, s[0:3], 0 offset:480
	buffer_load_dword v26, off, s[0:3], 0 offset:484
	;; [unrolled: 1-line block ×4, first 2 shown]
	s_waitcnt vmcnt(50)
	v_fma_f64 v[162:163], v[15:16], v[31:32], -v[162:163]
	ds_read_b128 v[11:14], v1 offset:1232
	v_fma_f64 v[23:24], v[17:18], v[31:32], v[23:24]
	ds_read_b128 v[15:18], v1 offset:1248
	s_waitcnt vmcnt(44)
	v_fma_f64 v[27:28], v[19:20], v[39:40], -v[27:28]
	v_fma_f64 v[39:40], v[21:22], v[39:40], v[166:167]
	ds_read_b128 v[19:22], v1 offset:1264
	v_add_f64 v[160:161], v[160:161], 0
	v_add_f64 v[2:3], v[2:3], 0
	s_waitcnt lgkmcnt(2)
	v_mul_f64 v[31:32], v[11:12], v[33:34]
	v_mul_f64 v[33:34], v[13:14], v[33:34]
	v_add_f64 v[160:161], v[160:161], v[162:163]
	v_add_f64 v[2:3], v[2:3], v[23:24]
	s_waitcnt vmcnt(43) lgkmcnt(1)
	v_mul_f64 v[23:24], v[15:16], v[35:36]
	v_mul_f64 v[35:36], v[17:18], v[35:36]
	s_waitcnt vmcnt(41)
	v_fma_f64 v[33:34], v[11:12], v[45:46], -v[33:34]
	v_fma_f64 v[31:32], v[13:14], v[45:46], v[31:32]
	ds_read_b128 v[11:14], v1 offset:1280
	s_waitcnt vmcnt(37) lgkmcnt(1)
	v_mul_f64 v[45:46], v[21:22], v[47:48]
	v_add_f64 v[27:28], v[160:161], v[27:28]
	v_add_f64 v[2:3], v[2:3], v[39:40]
	v_mul_f64 v[39:40], v[19:20], v[47:48]
	s_waitcnt vmcnt(36)
	v_fma_f64 v[35:36], v[15:16], v[37:38], -v[35:36]
	v_fma_f64 v[23:24], v[17:18], v[37:38], v[23:24]
	ds_read_b128 v[15:18], v1 offset:1296
	s_waitcnt vmcnt(33)
	v_fma_f64 v[37:38], v[19:20], v[53:54], -v[45:46]
	v_add_f64 v[27:28], v[27:28], v[33:34]
	v_add_f64 v[2:3], v[2:3], v[31:32]
	s_waitcnt lgkmcnt(1)
	v_mul_f64 v[33:34], v[13:14], v[49:50]
	v_mul_f64 v[31:32], v[11:12], v[49:50]
	v_add_f64 v[27:28], v[27:28], v[35:36]
	v_fma_f64 v[35:36], v[21:22], v[53:54], v[39:40]
	v_add_f64 v[2:3], v[2:3], v[23:24]
	ds_read_b128 v[19:22], v1 offset:1312
	s_waitcnt vmcnt(29) lgkmcnt(1)
	v_mul_f64 v[39:40], v[17:18], v[55:56]
	s_waitcnt vmcnt(28)
	v_fma_f64 v[33:34], v[11:12], v[51:52], -v[33:34]
	v_mul_f64 v[23:24], v[15:16], v[55:56]
	v_fma_f64 v[31:32], v[13:14], v[51:52], v[31:32]
	ds_read_b128 v[11:14], v1 offset:1328
	v_add_f64 v[27:28], v[27:28], v[37:38]
	s_waitcnt vmcnt(27) lgkmcnt(1)
	v_mul_f64 v[37:38], v[21:22], v[57:58]
	v_add_f64 v[2:3], v[2:3], v[35:36]
	v_mul_f64 v[35:36], v[19:20], v[57:58]
	s_waitcnt vmcnt(25)
	v_fma_f64 v[39:40], v[15:16], v[65:66], -v[39:40]
	v_fma_f64 v[23:24], v[17:18], v[65:66], v[23:24]
	ds_read_b128 v[15:18], v1 offset:1344
	v_add_f64 v[27:28], v[27:28], v[33:34]
	s_waitcnt vmcnt(21) lgkmcnt(1)
	v_mul_f64 v[33:34], v[13:14], v[67:68]
	v_add_f64 v[2:3], v[2:3], v[31:32]
	s_waitcnt vmcnt(20)
	v_fma_f64 v[37:38], v[19:20], v[59:60], -v[37:38]
	v_mul_f64 v[31:32], v[11:12], v[67:68]
	v_fma_f64 v[35:36], v[21:22], v[59:60], v[35:36]
	ds_read_b128 v[19:22], v1 offset:1360
	v_add_f64 v[27:28], v[27:28], v[39:40]
	s_waitcnt vmcnt(19) lgkmcnt(1)
	v_mul_f64 v[39:40], v[17:18], v[69:70]
	v_add_f64 v[2:3], v[2:3], v[23:24]
	s_waitcnt vmcnt(17)
	v_fma_f64 v[33:34], v[11:12], v[145:146], -v[33:34]
	v_mul_f64 v[23:24], v[15:16], v[69:70]
	;; [unrolled: 9-line block ×3, first 2 shown]
	v_fma_f64 v[17:18], v[17:18], v[71:72], v[23:24]
	v_add_f64 v[27:28], v[27:28], v[33:34]
	s_waitcnt vmcnt(11) lgkmcnt(0)
	v_mul_f64 v[33:34], v[13:14], v[150:151]
	v_add_f64 v[23:24], v[2:3], v[31:32]
	s_waitcnt vmcnt(9)
	v_fma_f64 v[19:20], v[19:20], v[154:155], -v[37:38]
	ds_read_b128 v[1:4], v1 offset:1392
	v_mul_f64 v[31:32], v[11:12], v[150:151]
	v_fma_f64 v[21:22], v[21:22], v[154:155], v[35:36]
	v_add_f64 v[15:16], v[27:28], v[15:16]
	s_waitcnt vmcnt(6)
	v_fma_f64 v[11:12], v[11:12], v[152:153], -v[33:34]
	v_add_f64 v[17:18], v[23:24], v[17:18]
	s_waitcnt lgkmcnt(0)
	v_mul_f64 v[27:28], v[3:4], v[156:157]
	v_mul_f64 v[23:24], v[1:2], v[156:157]
	v_fma_f64 v[13:14], v[13:14], v[152:153], v[31:32]
	v_add_f64 v[15:16], v[15:16], v[19:20]
	v_add_f64 v[17:18], v[17:18], v[21:22]
	s_waitcnt vmcnt(4)
	v_fma_f64 v[1:2], v[1:2], v[158:159], -v[27:28]
	v_fma_f64 v[3:4], v[3:4], v[158:159], v[23:24]
	v_add_f64 v[11:12], v[15:16], v[11:12]
	v_add_f64 v[13:14], v[17:18], v[13:14]
	;; [unrolled: 1-line block ×4, first 2 shown]
	s_waitcnt vmcnt(2)
	v_add_f64 v[1:2], v[25:26], -v[1:2]
	s_waitcnt vmcnt(0)
	v_add_f64 v[3:4], v[164:165], -v[3:4]
	buffer_store_dword v2, off, s[0:3], 0 offset:484
	buffer_store_dword v1, off, s[0:3], 0 offset:480
	;; [unrolled: 1-line block ×4, first 2 shown]
	v_cmpx_lt_u32_e32 28, v0
	s_cbranch_execz .LBB43_221
; %bb.220:
	v_mov_b32_e32 v4, s27
	v_mov_b32_e32 v11, 0
	s_clause 0x3
	buffer_load_dword v1, v4, s[0:3], 0 offen
	buffer_load_dword v2, v4, s[0:3], 0 offen offset:4
	buffer_load_dword v3, v4, s[0:3], 0 offen offset:8
	;; [unrolled: 1-line block ×3, first 2 shown]
	buffer_store_dword v11, off, s[0:3], 0 offset:464
	buffer_store_dword v11, off, s[0:3], 0 offset:468
	;; [unrolled: 1-line block ×4, first 2 shown]
	s_waitcnt vmcnt(0)
	ds_write_b128 v149, v[1:4]
.LBB43_221:
	s_or_b32 exec_lo, exec_lo, s4
	s_waitcnt lgkmcnt(0)
	s_waitcnt_vscnt null, 0x0
	s_barrier
	buffer_gl0_inv
	s_clause 0x37
	buffer_load_dword v2, off, s[0:3], 0 offset:488
	buffer_load_dword v3, off, s[0:3], 0 offset:492
	;; [unrolled: 1-line block ×56, first 2 shown]
	v_mov_b32_e32 v1, 0
	s_mov_b32 s4, exec_lo
	ds_read_b128 v[11:14], v1 offset:1168
	s_clause 0x2
	buffer_load_dword v159, off, s[0:3], 0 offset:716
	buffer_load_dword v163, off, s[0:3], 0 offset:692
	;; [unrolled: 1-line block ×3, first 2 shown]
	ds_read_b128 v[15:18], v1 offset:1184
	ds_read_b128 v[19:22], v1 offset:1200
	buffer_load_dword v161, off, s[0:3], 0 offset:708
	s_waitcnt vmcnt(58) lgkmcnt(2)
	v_mul_f64 v[164:165], v[13:14], v[2:3]
	v_mul_f64 v[2:3], v[11:12], v[2:3]
	s_waitcnt vmcnt(56) lgkmcnt(1)
	v_mul_f64 v[166:167], v[17:18], v[23:24]
	v_mul_f64 v[23:24], v[15:16], v[23:24]
	s_waitcnt vmcnt(54)
	v_fma_f64 v[164:165], v[11:12], v[25:26], -v[164:165]
	v_fma_f64 v[2:3], v[13:14], v[25:26], v[2:3]
	s_waitcnt vmcnt(52) lgkmcnt(0)
	v_mul_f64 v[25:26], v[19:20], v[27:28]
	v_mul_f64 v[27:28], v[21:22], v[27:28]
	s_waitcnt vmcnt(50)
	v_fma_f64 v[166:167], v[15:16], v[31:32], -v[166:167]
	ds_read_b128 v[11:14], v1 offset:1216
	v_fma_f64 v[23:24], v[17:18], v[31:32], v[23:24]
	s_clause 0x3
	buffer_load_dword v31, off, s[0:3], 0 offset:464
	buffer_load_dword v32, off, s[0:3], 0 offset:468
	;; [unrolled: 1-line block ×4, first 2 shown]
	ds_read_b128 v[15:18], v1 offset:1232
	v_add_f64 v[164:165], v[164:165], 0
	v_add_f64 v[2:3], v[2:3], 0
	s_waitcnt vmcnt(48)
	v_fma_f64 v[25:26], v[21:22], v[39:40], v[25:26]
	s_waitcnt lgkmcnt(1)
	v_mul_f64 v[170:171], v[11:12], v[33:34]
	v_mul_f64 v[33:34], v[13:14], v[33:34]
	v_fma_f64 v[27:28], v[19:20], v[39:40], -v[27:28]
	ds_read_b128 v[19:22], v1 offset:1248
	v_add_f64 v[164:165], v[164:165], v[166:167]
	v_add_f64 v[2:3], v[2:3], v[23:24]
	s_waitcnt vmcnt(47) lgkmcnt(1)
	v_mul_f64 v[23:24], v[15:16], v[35:36]
	v_mul_f64 v[35:36], v[17:18], v[35:36]
	s_waitcnt vmcnt(45)
	v_fma_f64 v[33:34], v[11:12], v[45:46], -v[33:34]
	v_fma_f64 v[39:40], v[13:14], v[45:46], v[170:171]
	s_waitcnt vmcnt(41) lgkmcnt(0)
	v_mul_f64 v[45:46], v[21:22], v[47:48]
	ds_read_b128 v[11:14], v1 offset:1264
	v_add_f64 v[27:28], v[164:165], v[27:28]
	v_add_f64 v[2:3], v[2:3], v[25:26]
	v_mul_f64 v[25:26], v[19:20], v[47:48]
	s_waitcnt vmcnt(40)
	v_fma_f64 v[35:36], v[15:16], v[37:38], -v[35:36]
	v_fma_f64 v[23:24], v[17:18], v[37:38], v[23:24]
	ds_read_b128 v[15:18], v1 offset:1280
	s_waitcnt vmcnt(39) lgkmcnt(1)
	v_mul_f64 v[37:38], v[13:14], v[49:50]
	v_add_f64 v[27:28], v[27:28], v[33:34]
	v_add_f64 v[2:3], v[2:3], v[39:40]
	s_waitcnt vmcnt(37)
	v_fma_f64 v[39:40], v[19:20], v[53:54], -v[45:46]
	v_mul_f64 v[33:34], v[11:12], v[49:50]
	v_fma_f64 v[25:26], v[21:22], v[53:54], v[25:26]
	ds_read_b128 v[19:22], v1 offset:1296
	s_waitcnt vmcnt(32)
	v_fma_f64 v[37:38], v[11:12], v[51:52], -v[37:38]
	v_add_f64 v[27:28], v[27:28], v[35:36]
	v_add_f64 v[2:3], v[2:3], v[23:24]
	s_waitcnt lgkmcnt(1)
	v_mul_f64 v[35:36], v[17:18], v[55:56]
	v_mul_f64 v[23:24], v[15:16], v[55:56]
	v_fma_f64 v[33:34], v[13:14], v[51:52], v[33:34]
	ds_read_b128 v[11:14], v1 offset:1312
	v_add_f64 v[27:28], v[27:28], v[39:40]
	v_add_f64 v[2:3], v[2:3], v[25:26]
	s_waitcnt vmcnt(31) lgkmcnt(1)
	v_mul_f64 v[39:40], v[21:22], v[57:58]
	s_waitcnt vmcnt(29)
	v_fma_f64 v[35:36], v[15:16], v[65:66], -v[35:36]
	v_mul_f64 v[25:26], v[19:20], v[57:58]
	v_fma_f64 v[23:24], v[17:18], v[65:66], v[23:24]
	ds_read_b128 v[15:18], v1 offset:1328
	v_add_f64 v[27:28], v[27:28], v[37:38]
	v_add_f64 v[2:3], v[2:3], v[33:34]
	s_waitcnt vmcnt(25) lgkmcnt(1)
	v_mul_f64 v[37:38], v[13:14], v[67:68]
	s_waitcnt vmcnt(24)
	v_fma_f64 v[39:40], v[19:20], v[59:60], -v[39:40]
	;; [unrolled: 9-line block ×6, first 2 shown]
	v_mul_f64 v[23:24], v[15:16], v[156:157]
	v_fma_f64 v[13:14], v[13:14], v[152:153], v[33:34]
	s_waitcnt vmcnt(7) lgkmcnt(0)
	v_mul_f64 v[33:34], v[21:22], v[158:159]
	v_add_f64 v[27:28], v[27:28], v[39:40]
	v_add_f64 v[2:3], v[2:3], v[25:26]
	s_waitcnt vmcnt(5)
	v_fma_f64 v[15:16], v[15:16], v[162:163], -v[35:36]
	v_mul_f64 v[25:26], v[19:20], v[158:159]
	v_fma_f64 v[17:18], v[17:18], v[162:163], v[23:24]
	v_add_f64 v[11:12], v[27:28], v[11:12]
	v_add_f64 v[2:3], v[2:3], v[13:14]
	s_waitcnt vmcnt(4)
	v_fma_f64 v[13:14], v[19:20], v[160:161], -v[33:34]
	v_add_f64 v[11:12], v[11:12], v[15:16]
	v_fma_f64 v[15:16], v[21:22], v[160:161], v[25:26]
	v_add_f64 v[2:3], v[2:3], v[17:18]
	v_add_f64 v[11:12], v[11:12], v[13:14]
	;; [unrolled: 1-line block ×3, first 2 shown]
	s_waitcnt vmcnt(2)
	v_add_f64 v[11:12], v[31:32], -v[11:12]
	s_waitcnt vmcnt(0)
	v_add_f64 v[2:3], v[168:169], -v[2:3]
	buffer_store_dword v12, off, s[0:3], 0 offset:468
	buffer_store_dword v11, off, s[0:3], 0 offset:464
	;; [unrolled: 1-line block ×4, first 2 shown]
	v_cmpx_lt_u32_e32 27, v0
	s_cbranch_execz .LBB43_223
; %bb.222:
	v_mov_b32_e32 v2, s28
	s_clause 0x3
	buffer_load_dword v11, v2, s[0:3], 0 offen
	buffer_load_dword v12, v2, s[0:3], 0 offen offset:4
	buffer_load_dword v13, v2, s[0:3], 0 offen offset:8
	;; [unrolled: 1-line block ×3, first 2 shown]
	buffer_store_dword v1, off, s[0:3], 0 offset:448
	buffer_store_dword v1, off, s[0:3], 0 offset:452
	;; [unrolled: 1-line block ×4, first 2 shown]
	s_waitcnt vmcnt(0)
	ds_write_b128 v149, v[11:14]
.LBB43_223:
	s_or_b32 exec_lo, exec_lo, s4
	s_waitcnt lgkmcnt(0)
	s_waitcnt_vscnt null, 0x0
	s_barrier
	buffer_gl0_inv
	s_clause 0x37
	buffer_load_dword v2, off, s[0:3], 0 offset:472
	buffer_load_dword v3, off, s[0:3], 0 offset:476
	;; [unrolled: 1-line block ×56, first 2 shown]
	ds_read_b128 v[11:14], v1 offset:1152
	s_clause 0x2
	buffer_load_dword v159, off, s[0:3], 0 offset:700
	buffer_load_dword v163, off, s[0:3], 0 offset:676
	;; [unrolled: 1-line block ×3, first 2 shown]
	ds_read_b128 v[15:18], v1 offset:1168
	s_clause 0x2
	buffer_load_dword v167, off, s[0:3], 0 offset:716
	buffer_load_dword v166, off, s[0:3], 0 offset:712
	;; [unrolled: 1-line block ×3, first 2 shown]
	ds_read_b128 v[19:22], v1 offset:1184
	s_mov_b32 s4, exec_lo
	s_waitcnt vmcnt(60) lgkmcnt(2)
	v_mul_f64 v[164:165], v[13:14], v[2:3]
	v_mul_f64 v[2:3], v[11:12], v[2:3]
	s_waitcnt vmcnt(58) lgkmcnt(1)
	v_mul_f64 v[168:169], v[17:18], v[23:24]
	v_mul_f64 v[23:24], v[15:16], v[23:24]
	;; [unrolled: 3-line block ×3, first 2 shown]
	v_fma_f64 v[164:165], v[11:12], v[25:26], -v[164:165]
	v_fma_f64 v[2:3], v[13:14], v[25:26], v[2:3]
	s_clause 0x1
	buffer_load_dword v26, off, s[0:3], 0 offset:708
	buffer_load_dword v25, off, s[0:3], 0 offset:704
	s_waitcnt vmcnt(54)
	v_fma_f64 v[168:169], v[15:16], v[31:32], -v[168:169]
	ds_read_b128 v[11:14], v1 offset:1200
	v_fma_f64 v[23:24], v[17:18], v[31:32], v[23:24]
	ds_read_b128 v[15:18], v1 offset:1216
	s_waitcnt vmcnt(48)
	v_fma_f64 v[27:28], v[19:20], v[39:40], -v[27:28]
	v_fma_f64 v[39:40], v[21:22], v[39:40], v[170:171]
	v_add_f64 v[164:165], v[164:165], 0
	v_add_f64 v[2:3], v[2:3], 0
	s_waitcnt lgkmcnt(1)
	v_mul_f64 v[31:32], v[11:12], v[33:34]
	v_mul_f64 v[33:34], v[13:14], v[33:34]
	s_waitcnt vmcnt(47) lgkmcnt(0)
	v_mul_f64 v[170:171], v[15:16], v[35:36]
	v_mul_f64 v[35:36], v[17:18], v[35:36]
	v_add_f64 v[164:165], v[164:165], v[168:169]
	v_add_f64 v[2:3], v[2:3], v[23:24]
	s_clause 0x3
	buffer_load_dword v23, off, s[0:3], 0 offset:448
	buffer_load_dword v24, off, s[0:3], 0 offset:452
	;; [unrolled: 1-line block ×4, first 2 shown]
	s_waitcnt vmcnt(49)
	v_fma_f64 v[33:34], v[11:12], v[45:46], -v[33:34]
	ds_read_b128 v[19:22], v1 offset:1232
	v_fma_f64 v[31:32], v[13:14], v[45:46], v[31:32]
	ds_read_b128 v[11:14], v1 offset:1248
	s_waitcnt vmcnt(44)
	v_fma_f64 v[35:36], v[15:16], v[37:38], -v[35:36]
	v_add_f64 v[27:28], v[164:165], v[27:28]
	v_add_f64 v[2:3], v[2:3], v[39:40]
	s_waitcnt lgkmcnt(1)
	v_mul_f64 v[45:46], v[21:22], v[47:48]
	v_mul_f64 v[39:40], v[19:20], v[47:48]
	v_add_f64 v[27:28], v[27:28], v[33:34]
	v_fma_f64 v[33:34], v[17:18], v[37:38], v[170:171]
	v_add_f64 v[2:3], v[2:3], v[31:32]
	s_waitcnt vmcnt(43) lgkmcnt(0)
	v_mul_f64 v[37:38], v[13:14], v[49:50]
	s_waitcnt vmcnt(41)
	v_fma_f64 v[45:46], v[19:20], v[53:54], -v[45:46]
	ds_read_b128 v[15:18], v1 offset:1264
	v_mul_f64 v[31:32], v[11:12], v[49:50]
	v_add_f64 v[27:28], v[27:28], v[35:36]
	v_fma_f64 v[35:36], v[21:22], v[53:54], v[39:40]
	v_add_f64 v[2:3], v[2:3], v[33:34]
	ds_read_b128 v[19:22], v1 offset:1280
	s_waitcnt vmcnt(37) lgkmcnt(1)
	v_mul_f64 v[39:40], v[17:18], v[55:56]
	s_waitcnt vmcnt(36)
	v_fma_f64 v[37:38], v[11:12], v[51:52], -v[37:38]
	v_mul_f64 v[33:34], v[15:16], v[55:56]
	v_fma_f64 v[31:32], v[13:14], v[51:52], v[31:32]
	ds_read_b128 v[11:14], v1 offset:1296
	v_add_f64 v[27:28], v[27:28], v[45:46]
	s_waitcnt vmcnt(35) lgkmcnt(1)
	v_mul_f64 v[45:46], v[21:22], v[57:58]
	v_add_f64 v[2:3], v[2:3], v[35:36]
	v_mul_f64 v[35:36], v[19:20], v[57:58]
	s_waitcnt vmcnt(33)
	v_fma_f64 v[39:40], v[15:16], v[65:66], -v[39:40]
	v_fma_f64 v[33:34], v[17:18], v[65:66], v[33:34]
	ds_read_b128 v[15:18], v1 offset:1312
	v_add_f64 v[27:28], v[27:28], v[37:38]
	s_waitcnt vmcnt(29) lgkmcnt(1)
	v_mul_f64 v[37:38], v[13:14], v[67:68]
	v_add_f64 v[2:3], v[2:3], v[31:32]
	s_waitcnt vmcnt(28)
	v_fma_f64 v[45:46], v[19:20], v[59:60], -v[45:46]
	v_mul_f64 v[31:32], v[11:12], v[67:68]
	v_fma_f64 v[35:36], v[21:22], v[59:60], v[35:36]
	ds_read_b128 v[19:22], v1 offset:1328
	v_add_f64 v[27:28], v[27:28], v[39:40]
	s_waitcnt vmcnt(27) lgkmcnt(1)
	v_mul_f64 v[39:40], v[17:18], v[69:70]
	v_add_f64 v[2:3], v[2:3], v[33:34]
	s_waitcnt vmcnt(25)
	v_fma_f64 v[37:38], v[11:12], v[145:146], -v[37:38]
	v_mul_f64 v[33:34], v[15:16], v[69:70]
	;; [unrolled: 9-line block ×5, first 2 shown]
	v_fma_f64 v[13:14], v[13:14], v[152:153], v[31:32]
	s_waitcnt vmcnt(11) lgkmcnt(0)
	v_mul_f64 v[37:38], v[21:22], v[158:159]
	v_add_f64 v[27:28], v[27:28], v[45:46]
	s_waitcnt vmcnt(9)
	v_fma_f64 v[15:16], v[15:16], v[162:163], -v[39:40]
	v_add_f64 v[31:32], v[2:3], v[35:36]
	ds_read_b128 v[1:4], v1 offset:1392
	v_mul_f64 v[35:36], v[19:20], v[158:159]
	v_fma_f64 v[17:18], v[17:18], v[162:163], v[33:34]
	s_waitcnt vmcnt(6)
	v_fma_f64 v[19:20], v[19:20], v[160:161], -v[37:38]
	v_add_f64 v[11:12], v[27:28], v[11:12]
	s_waitcnt lgkmcnt(0)
	v_mul_f64 v[27:28], v[1:2], v[166:167]
	v_add_f64 v[13:14], v[31:32], v[13:14]
	v_mul_f64 v[31:32], v[3:4], v[166:167]
	v_add_f64 v[11:12], v[11:12], v[15:16]
	v_fma_f64 v[15:16], v[21:22], v[160:161], v[35:36]
	v_add_f64 v[13:14], v[13:14], v[17:18]
	s_waitcnt vmcnt(4)
	v_fma_f64 v[1:2], v[1:2], v[25:26], -v[31:32]
	v_fma_f64 v[3:4], v[3:4], v[25:26], v[27:28]
	v_add_f64 v[11:12], v[11:12], v[19:20]
	v_add_f64 v[13:14], v[13:14], v[15:16]
	;; [unrolled: 1-line block ×4, first 2 shown]
	s_waitcnt vmcnt(2)
	v_add_f64 v[1:2], v[23:24], -v[1:2]
	s_waitcnt vmcnt(0)
	v_add_f64 v[3:4], v[168:169], -v[3:4]
	buffer_store_dword v2, off, s[0:3], 0 offset:452
	buffer_store_dword v1, off, s[0:3], 0 offset:448
	;; [unrolled: 1-line block ×4, first 2 shown]
	v_cmpx_lt_u32_e32 26, v0
	s_cbranch_execz .LBB43_225
; %bb.224:
	v_mov_b32_e32 v4, s30
	v_mov_b32_e32 v11, 0
	s_clause 0x3
	buffer_load_dword v1, v4, s[0:3], 0 offen
	buffer_load_dword v2, v4, s[0:3], 0 offen offset:4
	buffer_load_dword v3, v4, s[0:3], 0 offen offset:8
	;; [unrolled: 1-line block ×3, first 2 shown]
	buffer_store_dword v11, off, s[0:3], 0 offset:432
	buffer_store_dword v11, off, s[0:3], 0 offset:436
	;; [unrolled: 1-line block ×4, first 2 shown]
	s_waitcnt vmcnt(0)
	ds_write_b128 v149, v[1:4]
.LBB43_225:
	s_or_b32 exec_lo, exec_lo, s4
	s_waitcnt lgkmcnt(0)
	s_waitcnt_vscnt null, 0x0
	s_barrier
	buffer_gl0_inv
	s_clause 0x37
	buffer_load_dword v2, off, s[0:3], 0 offset:456
	buffer_load_dword v3, off, s[0:3], 0 offset:460
	;; [unrolled: 1-line block ×56, first 2 shown]
	v_mov_b32_e32 v1, 0
	s_mov_b32 s4, exec_lo
	ds_read_b128 v[11:14], v1 offset:1136
	s_clause 0x2
	buffer_load_dword v159, off, s[0:3], 0 offset:684
	buffer_load_dword v163, off, s[0:3], 0 offset:660
	;; [unrolled: 1-line block ×3, first 2 shown]
	ds_read_b128 v[15:18], v1 offset:1152
	s_clause 0x4
	buffer_load_dword v167, off, s[0:3], 0 offset:700
	buffer_load_dword v168, off, s[0:3], 0 offset:712
	;; [unrolled: 1-line block ×5, first 2 shown]
	ds_read_b128 v[19:22], v1 offset:1168
	s_waitcnt vmcnt(62) lgkmcnt(2)
	v_mul_f64 v[164:165], v[13:14], v[2:3]
	v_mul_f64 v[2:3], v[11:12], v[2:3]
	s_waitcnt vmcnt(60) lgkmcnt(1)
	v_mul_f64 v[171:172], v[17:18], v[23:24]
	v_mul_f64 v[23:24], v[15:16], v[23:24]
	;; [unrolled: 3-line block ×3, first 2 shown]
	v_fma_f64 v[164:165], v[11:12], v[25:26], -v[164:165]
	v_fma_f64 v[2:3], v[13:14], v[25:26], v[2:3]
	s_clause 0x2
	buffer_load_dword v169, off, s[0:3], 0 offset:716
	buffer_load_dword v26, off, s[0:3], 0 offset:692
	;; [unrolled: 1-line block ×3, first 2 shown]
	s_waitcnt vmcnt(57)
	v_fma_f64 v[175:176], v[15:16], v[31:32], -v[171:172]
	ds_read_b128 v[11:14], v1 offset:1184
	v_fma_f64 v[23:24], v[17:18], v[31:32], v[23:24]
	buffer_load_dword v171, off, s[0:3], 0 offset:708
	ds_read_b128 v[15:18], v1 offset:1200
	s_waitcnt vmcnt(52)
	v_fma_f64 v[27:28], v[19:20], v[39:40], -v[27:28]
	v_fma_f64 v[39:40], v[21:22], v[39:40], v[173:174]
	ds_read_b128 v[19:22], v1 offset:1216
	v_add_f64 v[164:165], v[164:165], 0
	v_add_f64 v[2:3], v[2:3], 0
	s_waitcnt lgkmcnt(2)
	v_mul_f64 v[31:32], v[11:12], v[33:34]
	v_mul_f64 v[33:34], v[13:14], v[33:34]
	v_add_f64 v[164:165], v[164:165], v[175:176]
	v_add_f64 v[2:3], v[2:3], v[23:24]
	s_waitcnt vmcnt(51) lgkmcnt(1)
	v_mul_f64 v[23:24], v[15:16], v[35:36]
	v_mul_f64 v[35:36], v[17:18], v[35:36]
	s_waitcnt vmcnt(49)
	v_fma_f64 v[33:34], v[11:12], v[45:46], -v[33:34]
	v_fma_f64 v[31:32], v[13:14], v[45:46], v[31:32]
	v_add_f64 v[27:28], v[164:165], v[27:28]
	v_add_f64 v[2:3], v[2:3], v[39:40]
	s_clause 0x3
	buffer_load_dword v39, off, s[0:3], 0 offset:432
	buffer_load_dword v40, off, s[0:3], 0 offset:436
	;; [unrolled: 1-line block ×4, first 2 shown]
	s_waitcnt vmcnt(49) lgkmcnt(0)
	v_mul_f64 v[164:165], v[19:20], v[47:48]
	v_mul_f64 v[47:48], v[21:22], v[47:48]
	s_waitcnt vmcnt(48)
	v_fma_f64 v[35:36], v[15:16], v[37:38], -v[35:36]
	ds_read_b128 v[11:14], v1 offset:1232
	v_fma_f64 v[23:24], v[17:18], v[37:38], v[23:24]
	ds_read_b128 v[15:18], v1 offset:1248
	v_add_f64 v[27:28], v[27:28], v[33:34]
	v_add_f64 v[2:3], v[2:3], v[31:32]
	s_waitcnt vmcnt(47) lgkmcnt(1)
	v_mul_f64 v[33:34], v[13:14], v[49:50]
	s_waitcnt vmcnt(45)
	v_fma_f64 v[37:38], v[19:20], v[53:54], -v[47:48]
	v_mul_f64 v[31:32], v[11:12], v[49:50]
	s_waitcnt vmcnt(41) lgkmcnt(0)
	v_mul_f64 v[47:48], v[17:18], v[55:56]
	v_add_f64 v[27:28], v[27:28], v[35:36]
	v_fma_f64 v[35:36], v[21:22], v[53:54], v[164:165]
	v_add_f64 v[2:3], v[2:3], v[23:24]
	ds_read_b128 v[19:22], v1 offset:1264
	s_waitcnt vmcnt(40)
	v_fma_f64 v[33:34], v[11:12], v[51:52], -v[33:34]
	v_mul_f64 v[23:24], v[15:16], v[55:56]
	v_fma_f64 v[31:32], v[13:14], v[51:52], v[31:32]
	ds_read_b128 v[11:14], v1 offset:1280
	s_waitcnt vmcnt(37)
	v_fma_f64 v[47:48], v[15:16], v[65:66], -v[47:48]
	v_add_f64 v[27:28], v[27:28], v[37:38]
	s_waitcnt lgkmcnt(1)
	v_mul_f64 v[37:38], v[21:22], v[57:58]
	v_add_f64 v[2:3], v[2:3], v[35:36]
	v_mul_f64 v[35:36], v[19:20], v[57:58]
	v_fma_f64 v[23:24], v[17:18], v[65:66], v[23:24]
	ds_read_b128 v[15:18], v1 offset:1296
	v_add_f64 v[27:28], v[27:28], v[33:34]
	s_waitcnt vmcnt(33) lgkmcnt(1)
	v_mul_f64 v[33:34], v[13:14], v[67:68]
	v_add_f64 v[2:3], v[2:3], v[31:32]
	s_waitcnt vmcnt(32)
	v_fma_f64 v[37:38], v[19:20], v[59:60], -v[37:38]
	v_mul_f64 v[31:32], v[11:12], v[67:68]
	v_fma_f64 v[35:36], v[21:22], v[59:60], v[35:36]
	ds_read_b128 v[19:22], v1 offset:1312
	v_add_f64 v[27:28], v[27:28], v[47:48]
	s_waitcnt vmcnt(31) lgkmcnt(1)
	v_mul_f64 v[47:48], v[17:18], v[69:70]
	v_add_f64 v[2:3], v[2:3], v[23:24]
	s_waitcnt vmcnt(29)
	v_fma_f64 v[33:34], v[11:12], v[145:146], -v[33:34]
	v_mul_f64 v[23:24], v[15:16], v[69:70]
	v_fma_f64 v[31:32], v[13:14], v[145:146], v[31:32]
	ds_read_b128 v[11:14], v1 offset:1328
	v_add_f64 v[27:28], v[27:28], v[37:38]
	s_waitcnt vmcnt(25) lgkmcnt(1)
	v_mul_f64 v[37:38], v[21:22], v[147:148]
	v_add_f64 v[2:3], v[2:3], v[35:36]
	s_waitcnt vmcnt(24)
	v_fma_f64 v[47:48], v[15:16], v[71:72], -v[47:48]
	v_mul_f64 v[35:36], v[19:20], v[147:148]
	v_fma_f64 v[23:24], v[17:18], v[71:72], v[23:24]
	ds_read_b128 v[15:18], v1 offset:1344
	v_add_f64 v[27:28], v[27:28], v[33:34]
	s_waitcnt vmcnt(23) lgkmcnt(1)
	v_mul_f64 v[33:34], v[13:14], v[150:151]
	v_add_f64 v[2:3], v[2:3], v[31:32]
	s_waitcnt vmcnt(21)
	v_fma_f64 v[37:38], v[19:20], v[154:155], -v[37:38]
	v_mul_f64 v[31:32], v[11:12], v[150:151]
	v_fma_f64 v[35:36], v[21:22], v[154:155], v[35:36]
	ds_read_b128 v[19:22], v1 offset:1360
	v_add_f64 v[27:28], v[27:28], v[47:48]
	s_waitcnt vmcnt(17) lgkmcnt(1)
	v_mul_f64 v[47:48], v[17:18], v[156:157]
	v_add_f64 v[2:3], v[2:3], v[23:24]
	s_waitcnt vmcnt(16)
	v_fma_f64 v[33:34], v[11:12], v[152:153], -v[33:34]
	v_mul_f64 v[23:24], v[15:16], v[156:157]
	v_fma_f64 v[31:32], v[13:14], v[152:153], v[31:32]
	ds_read_b128 v[11:14], v1 offset:1376
	v_add_f64 v[27:28], v[27:28], v[37:38]
	s_waitcnt vmcnt(15) lgkmcnt(1)
	v_mul_f64 v[37:38], v[21:22], v[158:159]
	v_add_f64 v[2:3], v[2:3], v[35:36]
	s_waitcnt vmcnt(13)
	v_fma_f64 v[47:48], v[15:16], v[162:163], -v[47:48]
	v_mul_f64 v[35:36], v[19:20], v[158:159]
	v_fma_f64 v[23:24], v[17:18], v[162:163], v[23:24]
	ds_read_b128 v[15:18], v1 offset:1392
	v_add_f64 v[27:28], v[27:28], v[33:34]
	s_waitcnt vmcnt(9) lgkmcnt(1)
	v_mul_f64 v[33:34], v[13:14], v[166:167]
	v_add_f64 v[2:3], v[2:3], v[31:32]
	s_waitcnt vmcnt(8)
	v_fma_f64 v[19:20], v[19:20], v[160:161], -v[37:38]
	v_mul_f64 v[31:32], v[11:12], v[166:167]
	v_fma_f64 v[21:22], v[21:22], v[160:161], v[35:36]
	v_add_f64 v[27:28], v[27:28], v[47:48]
	v_add_f64 v[2:3], v[2:3], v[23:24]
	s_waitcnt vmcnt(7) lgkmcnt(0)
	v_mul_f64 v[35:36], v[17:18], v[168:169]
	v_mul_f64 v[23:24], v[15:16], v[168:169]
	s_waitcnt vmcnt(5)
	v_fma_f64 v[11:12], v[11:12], v[25:26], -v[33:34]
	v_fma_f64 v[13:14], v[13:14], v[25:26], v[31:32]
	v_add_f64 v[19:20], v[27:28], v[19:20]
	v_add_f64 v[2:3], v[2:3], v[21:22]
	s_waitcnt vmcnt(4)
	v_fma_f64 v[15:16], v[15:16], v[170:171], -v[35:36]
	v_fma_f64 v[17:18], v[17:18], v[170:171], v[23:24]
	v_add_f64 v[11:12], v[19:20], v[11:12]
	v_add_f64 v[2:3], v[2:3], v[13:14]
	;; [unrolled: 1-line block ×4, first 2 shown]
	s_waitcnt vmcnt(2)
	v_add_f64 v[11:12], v[39:40], -v[11:12]
	s_waitcnt vmcnt(0)
	v_add_f64 v[2:3], v[45:46], -v[2:3]
	buffer_store_dword v12, off, s[0:3], 0 offset:436
	buffer_store_dword v11, off, s[0:3], 0 offset:432
	;; [unrolled: 1-line block ×4, first 2 shown]
	v_cmpx_lt_u32_e32 25, v0
	s_cbranch_execz .LBB43_227
; %bb.226:
	v_mov_b32_e32 v2, s33
	s_clause 0x3
	buffer_load_dword v11, v2, s[0:3], 0 offen
	buffer_load_dword v12, v2, s[0:3], 0 offen offset:4
	buffer_load_dword v13, v2, s[0:3], 0 offen offset:8
	;; [unrolled: 1-line block ×3, first 2 shown]
	buffer_store_dword v1, off, s[0:3], 0 offset:416
	buffer_store_dword v1, off, s[0:3], 0 offset:420
	;; [unrolled: 1-line block ×4, first 2 shown]
	s_waitcnt vmcnt(0)
	ds_write_b128 v149, v[11:14]
.LBB43_227:
	s_or_b32 exec_lo, exec_lo, s4
	s_waitcnt lgkmcnt(0)
	s_waitcnt_vscnt null, 0x0
	s_barrier
	buffer_gl0_inv
	s_clause 0x37
	buffer_load_dword v2, off, s[0:3], 0 offset:440
	buffer_load_dword v3, off, s[0:3], 0 offset:444
	;; [unrolled: 1-line block ×56, first 2 shown]
	ds_read_b128 v[11:14], v1 offset:1120
	s_clause 0x2
	buffer_load_dword v159, off, s[0:3], 0 offset:668
	buffer_load_dword v163, off, s[0:3], 0 offset:644
	;; [unrolled: 1-line block ×3, first 2 shown]
	ds_read_b128 v[15:18], v1 offset:1136
	s_clause 0x4
	buffer_load_dword v167, off, s[0:3], 0 offset:684
	buffer_load_dword v168, off, s[0:3], 0 offset:696
	;; [unrolled: 1-line block ×5, first 2 shown]
	ds_read_b128 v[19:22], v1 offset:1152
	s_mov_b32 s4, exec_lo
	s_waitcnt vmcnt(62) lgkmcnt(2)
	v_mul_f64 v[164:165], v[13:14], v[2:3]
	v_mul_f64 v[2:3], v[11:12], v[2:3]
	s_waitcnt vmcnt(60) lgkmcnt(1)
	v_mul_f64 v[171:172], v[17:18], v[23:24]
	v_mul_f64 v[23:24], v[15:16], v[23:24]
	;; [unrolled: 3-line block ×3, first 2 shown]
	v_fma_f64 v[164:165], v[11:12], v[25:26], -v[164:165]
	v_fma_f64 v[2:3], v[13:14], v[25:26], v[2:3]
	s_clause 0x2
	buffer_load_dword v169, off, s[0:3], 0 offset:700
	buffer_load_dword v26, off, s[0:3], 0 offset:676
	buffer_load_dword v25, off, s[0:3], 0 offset:672
	s_waitcnt vmcnt(57)
	v_fma_f64 v[175:176], v[15:16], v[31:32], -v[171:172]
	ds_read_b128 v[11:14], v1 offset:1168
	v_fma_f64 v[23:24], v[17:18], v[31:32], v[23:24]
	s_clause 0x2
	buffer_load_dword v32, off, s[0:3], 0 offset:716
	buffer_load_dword v31, off, s[0:3], 0 offset:712
	buffer_load_dword v171, off, s[0:3], 0 offset:692
	s_waitcnt vmcnt(54)
	v_fma_f64 v[27:28], v[19:20], v[39:40], -v[27:28]
	ds_read_b128 v[15:18], v1 offset:1184
	v_fma_f64 v[39:40], v[21:22], v[39:40], v[173:174]
	v_add_f64 v[164:165], v[164:165], 0
	v_add_f64 v[2:3], v[2:3], 0
	s_waitcnt lgkmcnt(1)
	v_mul_f64 v[177:178], v[11:12], v[33:34]
	v_mul_f64 v[33:34], v[13:14], v[33:34]
	s_waitcnt vmcnt(53) lgkmcnt(0)
	v_mul_f64 v[172:173], v[15:16], v[35:36]
	v_mul_f64 v[35:36], v[17:18], v[35:36]
	v_add_f64 v[164:165], v[164:165], v[175:176]
	v_add_f64 v[2:3], v[2:3], v[23:24]
	s_clause 0x1
	buffer_load_dword v24, off, s[0:3], 0 offset:708
	buffer_load_dword v23, off, s[0:3], 0 offset:704
	s_waitcnt vmcnt(53)
	v_fma_f64 v[33:34], v[11:12], v[45:46], -v[33:34]
	ds_read_b128 v[19:22], v1 offset:1200
	v_fma_f64 v[45:46], v[13:14], v[45:46], v[177:178]
	ds_read_b128 v[11:14], v1 offset:1216
	s_waitcnt vmcnt(48)
	v_fma_f64 v[35:36], v[15:16], v[37:38], -v[35:36]
	v_add_f64 v[27:28], v[164:165], v[27:28]
	v_add_f64 v[2:3], v[2:3], v[39:40]
	s_waitcnt lgkmcnt(1)
	v_mul_f64 v[39:40], v[19:20], v[47:48]
	v_mul_f64 v[47:48], v[21:22], v[47:48]
	s_waitcnt vmcnt(47) lgkmcnt(0)
	v_mul_f64 v[164:165], v[11:12], v[49:50]
	v_mul_f64 v[49:50], v[13:14], v[49:50]
	v_add_f64 v[27:28], v[27:28], v[33:34]
	v_fma_f64 v[33:34], v[17:18], v[37:38], v[172:173]
	v_add_f64 v[2:3], v[2:3], v[45:46]
	s_clause 0x3
	buffer_load_dword v37, off, s[0:3], 0 offset:416
	buffer_load_dword v38, off, s[0:3], 0 offset:420
	;; [unrolled: 1-line block ×4, first 2 shown]
	s_waitcnt vmcnt(49)
	v_fma_f64 v[47:48], v[19:20], v[53:54], -v[47:48]
	ds_read_b128 v[15:18], v1 offset:1232
	s_waitcnt vmcnt(44)
	v_fma_f64 v[49:50], v[11:12], v[51:52], -v[49:50]
	v_add_f64 v[27:28], v[27:28], v[35:36]
	v_fma_f64 v[35:36], v[21:22], v[53:54], v[39:40]
	v_add_f64 v[2:3], v[2:3], v[33:34]
	ds_read_b128 v[19:22], v1 offset:1248
	s_waitcnt lgkmcnt(1)
	v_mul_f64 v[39:40], v[17:18], v[55:56]
	v_mul_f64 v[33:34], v[15:16], v[55:56]
	v_add_f64 v[27:28], v[27:28], v[47:48]
	v_fma_f64 v[47:48], v[13:14], v[51:52], v[164:165]
	v_add_f64 v[2:3], v[2:3], v[35:36]
	s_waitcnt vmcnt(43) lgkmcnt(0)
	v_mul_f64 v[51:52], v[21:22], v[57:58]
	s_waitcnt vmcnt(41)
	v_fma_f64 v[39:40], v[15:16], v[65:66], -v[39:40]
	ds_read_b128 v[11:14], v1 offset:1264
	v_mul_f64 v[35:36], v[19:20], v[57:58]
	v_fma_f64 v[33:34], v[17:18], v[65:66], v[33:34]
	ds_read_b128 v[15:18], v1 offset:1280
	v_add_f64 v[27:28], v[27:28], v[49:50]
	v_add_f64 v[2:3], v[2:3], v[47:48]
	s_waitcnt vmcnt(37) lgkmcnt(1)
	v_mul_f64 v[49:50], v[13:14], v[67:68]
	s_waitcnt vmcnt(36)
	v_fma_f64 v[51:52], v[19:20], v[59:60], -v[51:52]
	v_mul_f64 v[47:48], v[11:12], v[67:68]
	v_fma_f64 v[35:36], v[21:22], v[59:60], v[35:36]
	ds_read_b128 v[19:22], v1 offset:1296
	v_add_f64 v[27:28], v[27:28], v[39:40]
	s_waitcnt vmcnt(35) lgkmcnt(1)
	v_mul_f64 v[39:40], v[17:18], v[69:70]
	v_add_f64 v[2:3], v[2:3], v[33:34]
	s_waitcnt vmcnt(33)
	v_fma_f64 v[49:50], v[11:12], v[145:146], -v[49:50]
	v_mul_f64 v[33:34], v[15:16], v[69:70]
	v_fma_f64 v[47:48], v[13:14], v[145:146], v[47:48]
	ds_read_b128 v[11:14], v1 offset:1312
	v_add_f64 v[27:28], v[27:28], v[51:52]
	s_waitcnt vmcnt(29) lgkmcnt(1)
	v_mul_f64 v[51:52], v[21:22], v[147:148]
	v_add_f64 v[2:3], v[2:3], v[35:36]
	;; [unrolled: 9-line block ×6, first 2 shown]
	s_waitcnt vmcnt(12)
	v_fma_f64 v[19:20], v[19:20], v[160:161], -v[51:52]
	v_mul_f64 v[47:48], v[11:12], v[166:167]
	v_fma_f64 v[21:22], v[21:22], v[160:161], v[35:36]
	v_add_f64 v[27:28], v[27:28], v[39:40]
	v_add_f64 v[33:34], v[2:3], v[33:34]
	ds_read_b128 v[1:4], v1 offset:1392
	s_waitcnt vmcnt(11) lgkmcnt(1)
	v_mul_f64 v[39:40], v[17:18], v[168:169]
	v_mul_f64 v[35:36], v[15:16], v[168:169]
	s_waitcnt vmcnt(9)
	v_fma_f64 v[11:12], v[11:12], v[25:26], -v[49:50]
	v_fma_f64 v[13:14], v[13:14], v[25:26], v[47:48]
	v_add_f64 v[19:20], v[27:28], v[19:20]
	s_waitcnt vmcnt(7) lgkmcnt(0)
	v_mul_f64 v[27:28], v[3:4], v[31:32]
	v_add_f64 v[21:22], v[33:34], v[21:22]
	v_mul_f64 v[25:26], v[1:2], v[31:32]
	s_waitcnt vmcnt(6)
	v_fma_f64 v[15:16], v[15:16], v[170:171], -v[39:40]
	v_fma_f64 v[17:18], v[17:18], v[170:171], v[35:36]
	v_add_f64 v[11:12], v[19:20], v[11:12]
	v_add_f64 v[13:14], v[21:22], v[13:14]
	s_waitcnt vmcnt(4)
	v_fma_f64 v[1:2], v[1:2], v[23:24], -v[27:28]
	v_fma_f64 v[3:4], v[3:4], v[23:24], v[25:26]
	v_add_f64 v[11:12], v[11:12], v[15:16]
	v_add_f64 v[13:14], v[13:14], v[17:18]
	;; [unrolled: 1-line block ×4, first 2 shown]
	s_waitcnt vmcnt(2)
	v_add_f64 v[1:2], v[37:38], -v[1:2]
	s_waitcnt vmcnt(0)
	v_add_f64 v[3:4], v[45:46], -v[3:4]
	buffer_store_dword v2, off, s[0:3], 0 offset:420
	buffer_store_dword v1, off, s[0:3], 0 offset:416
	;; [unrolled: 1-line block ×4, first 2 shown]
	v_cmpx_lt_u32_e32 24, v0
	s_cbranch_execz .LBB43_229
; %bb.228:
	v_mov_b32_e32 v4, s35
	v_mov_b32_e32 v11, 0
	s_clause 0x3
	buffer_load_dword v1, v4, s[0:3], 0 offen
	buffer_load_dword v2, v4, s[0:3], 0 offen offset:4
	buffer_load_dword v3, v4, s[0:3], 0 offen offset:8
	;; [unrolled: 1-line block ×3, first 2 shown]
	buffer_store_dword v11, off, s[0:3], 0 offset:400
	buffer_store_dword v11, off, s[0:3], 0 offset:404
	;; [unrolled: 1-line block ×4, first 2 shown]
	s_waitcnt vmcnt(0)
	ds_write_b128 v149, v[1:4]
.LBB43_229:
	s_or_b32 exec_lo, exec_lo, s4
	s_waitcnt lgkmcnt(0)
	s_waitcnt_vscnt null, 0x0
	s_barrier
	buffer_gl0_inv
	s_clause 0x37
	buffer_load_dword v2, off, s[0:3], 0 offset:424
	buffer_load_dword v3, off, s[0:3], 0 offset:428
	;; [unrolled: 1-line block ×56, first 2 shown]
	v_mov_b32_e32 v1, 0
	s_mov_b32 s4, exec_lo
	ds_read_b128 v[11:14], v1 offset:1104
	s_clause 0x2
	buffer_load_dword v159, off, s[0:3], 0 offset:652
	buffer_load_dword v163, off, s[0:3], 0 offset:628
	;; [unrolled: 1-line block ×3, first 2 shown]
	ds_read_b128 v[15:18], v1 offset:1120
	s_clause 0x4
	buffer_load_dword v167, off, s[0:3], 0 offset:668
	buffer_load_dword v168, off, s[0:3], 0 offset:680
	;; [unrolled: 1-line block ×5, first 2 shown]
	ds_read_b128 v[19:22], v1 offset:1136
	s_waitcnt vmcnt(62) lgkmcnt(2)
	v_mul_f64 v[164:165], v[13:14], v[2:3]
	v_mul_f64 v[2:3], v[11:12], v[2:3]
	s_waitcnt vmcnt(60) lgkmcnt(1)
	v_mul_f64 v[171:172], v[17:18], v[23:24]
	v_mul_f64 v[23:24], v[15:16], v[23:24]
	;; [unrolled: 3-line block ×3, first 2 shown]
	v_fma_f64 v[164:165], v[11:12], v[25:26], -v[164:165]
	v_fma_f64 v[2:3], v[13:14], v[25:26], v[2:3]
	s_clause 0x2
	buffer_load_dword v169, off, s[0:3], 0 offset:684
	buffer_load_dword v26, off, s[0:3], 0 offset:660
	;; [unrolled: 1-line block ×3, first 2 shown]
	s_waitcnt vmcnt(57)
	v_fma_f64 v[175:176], v[15:16], v[31:32], -v[171:172]
	ds_read_b128 v[11:14], v1 offset:1152
	v_fma_f64 v[23:24], v[17:18], v[31:32], v[23:24]
	s_clause 0x4
	buffer_load_dword v32, off, s[0:3], 0 offset:700
	buffer_load_dword v172, off, s[0:3], 0 offset:712
	;; [unrolled: 1-line block ×5, first 2 shown]
	s_waitcnt vmcnt(56)
	v_fma_f64 v[27:28], v[19:20], v[39:40], -v[27:28]
	ds_read_b128 v[15:18], v1 offset:1168
	v_fma_f64 v[39:40], v[21:22], v[39:40], v[173:174]
	v_add_f64 v[164:165], v[164:165], 0
	v_add_f64 v[2:3], v[2:3], 0
	s_waitcnt lgkmcnt(1)
	v_mul_f64 v[178:179], v[11:12], v[33:34]
	v_mul_f64 v[33:34], v[13:14], v[33:34]
	v_add_f64 v[164:165], v[164:165], v[175:176]
	v_add_f64 v[2:3], v[2:3], v[23:24]
	s_clause 0x2
	buffer_load_dword v173, off, s[0:3], 0 offset:716
	buffer_load_dword v24, off, s[0:3], 0 offset:692
	;; [unrolled: 1-line block ×3, first 2 shown]
	s_waitcnt vmcnt(58) lgkmcnt(0)
	v_mul_f64 v[174:175], v[15:16], v[35:36]
	v_mul_f64 v[35:36], v[17:18], v[35:36]
	s_waitcnt vmcnt(56)
	v_fma_f64 v[33:34], v[11:12], v[45:46], -v[33:34]
	ds_read_b128 v[19:22], v1 offset:1184
	v_fma_f64 v[45:46], v[13:14], v[45:46], v[178:179]
	buffer_load_dword v178, off, s[0:3], 0 offset:708
	ds_read_b128 v[11:14], v1 offset:1200
	v_add_f64 v[27:28], v[164:165], v[27:28]
	v_add_f64 v[2:3], v[2:3], v[39:40]
	s_waitcnt vmcnt(53) lgkmcnt(1)
	v_mul_f64 v[39:40], v[19:20], v[47:48]
	v_mul_f64 v[47:48], v[21:22], v[47:48]
	s_waitcnt vmcnt(52)
	v_fma_f64 v[35:36], v[15:16], v[37:38], -v[35:36]
	v_add_f64 v[27:28], v[27:28], v[33:34]
	v_fma_f64 v[33:34], v[17:18], v[37:38], v[174:175]
	v_add_f64 v[2:3], v[2:3], v[45:46]
	s_waitcnt vmcnt(51) lgkmcnt(0)
	v_mul_f64 v[45:46], v[13:14], v[49:50]
	ds_read_b128 v[15:18], v1 offset:1216
	s_waitcnt vmcnt(49)
	v_fma_f64 v[47:48], v[19:20], v[53:54], -v[47:48]
	v_mul_f64 v[37:38], v[11:12], v[49:50]
	v_add_f64 v[27:28], v[27:28], v[35:36]
	v_fma_f64 v[35:36], v[21:22], v[53:54], v[39:40]
	v_add_f64 v[2:3], v[2:3], v[33:34]
	s_clause 0x3
	buffer_load_dword v33, off, s[0:3], 0 offset:400
	buffer_load_dword v34, off, s[0:3], 0 offset:404
	;; [unrolled: 1-line block ×4, first 2 shown]
	s_waitcnt vmcnt(49) lgkmcnt(0)
	v_mul_f64 v[53:54], v[17:18], v[55:56]
	s_waitcnt vmcnt(48)
	v_fma_f64 v[45:46], v[11:12], v[51:52], -v[45:46]
	ds_read_b128 v[19:22], v1 offset:1232
	v_mul_f64 v[49:50], v[15:16], v[55:56]
	v_fma_f64 v[37:38], v[13:14], v[51:52], v[37:38]
	ds_read_b128 v[11:14], v1 offset:1248
	v_add_f64 v[27:28], v[27:28], v[47:48]
	v_add_f64 v[2:3], v[2:3], v[35:36]
	s_waitcnt vmcnt(47) lgkmcnt(1)
	v_mul_f64 v[47:48], v[21:22], v[57:58]
	s_waitcnt vmcnt(45)
	v_fma_f64 v[51:52], v[15:16], v[65:66], -v[53:54]
	v_mul_f64 v[35:36], v[19:20], v[57:58]
	v_add_f64 v[27:28], v[27:28], v[45:46]
	v_fma_f64 v[45:46], v[17:18], v[65:66], v[49:50]
	v_add_f64 v[2:3], v[2:3], v[37:38]
	s_waitcnt vmcnt(41) lgkmcnt(0)
	v_mul_f64 v[49:50], v[13:14], v[67:68]
	s_waitcnt vmcnt(40)
	v_fma_f64 v[47:48], v[19:20], v[59:60], -v[47:48]
	ds_read_b128 v[15:18], v1 offset:1264
	v_mul_f64 v[37:38], v[11:12], v[67:68]
	v_fma_f64 v[35:36], v[21:22], v[59:60], v[35:36]
	ds_read_b128 v[19:22], v1 offset:1280
	v_add_f64 v[27:28], v[27:28], v[51:52]
	v_add_f64 v[2:3], v[2:3], v[45:46]
	s_waitcnt vmcnt(39) lgkmcnt(1)
	v_mul_f64 v[51:52], v[17:18], v[69:70]
	s_waitcnt vmcnt(37)
	v_fma_f64 v[49:50], v[11:12], v[145:146], -v[49:50]
	v_mul_f64 v[45:46], v[15:16], v[69:70]
	v_fma_f64 v[37:38], v[13:14], v[145:146], v[37:38]
	ds_read_b128 v[11:14], v1 offset:1296
	v_add_f64 v[27:28], v[27:28], v[47:48]
	s_waitcnt vmcnt(33) lgkmcnt(1)
	v_mul_f64 v[47:48], v[21:22], v[147:148]
	v_add_f64 v[2:3], v[2:3], v[35:36]
	s_waitcnt vmcnt(32)
	v_fma_f64 v[51:52], v[15:16], v[71:72], -v[51:52]
	v_mul_f64 v[35:36], v[19:20], v[147:148]
	v_fma_f64 v[45:46], v[17:18], v[71:72], v[45:46]
	ds_read_b128 v[15:18], v1 offset:1312
	v_add_f64 v[27:28], v[27:28], v[49:50]
	s_waitcnt vmcnt(31) lgkmcnt(1)
	v_mul_f64 v[49:50], v[13:14], v[150:151]
	v_add_f64 v[2:3], v[2:3], v[37:38]
	;; [unrolled: 9-line block ×5, first 2 shown]
	s_waitcnt vmcnt(16)
	v_fma_f64 v[47:48], v[19:20], v[160:161], -v[47:48]
	v_mul_f64 v[37:38], v[11:12], v[166:167]
	v_fma_f64 v[35:36], v[21:22], v[160:161], v[35:36]
	ds_read_b128 v[19:22], v1 offset:1376
	v_add_f64 v[27:28], v[27:28], v[51:52]
	v_add_f64 v[2:3], v[2:3], v[45:46]
	s_waitcnt vmcnt(15) lgkmcnt(1)
	v_mul_f64 v[51:52], v[17:18], v[168:169]
	v_mul_f64 v[45:46], v[15:16], v[168:169]
	s_waitcnt vmcnt(13)
	v_fma_f64 v[49:50], v[11:12], v[25:26], -v[49:50]
	v_fma_f64 v[25:26], v[13:14], v[25:26], v[37:38]
	ds_read_b128 v[11:14], v1 offset:1392
	v_add_f64 v[27:28], v[27:28], v[47:48]
	v_add_f64 v[2:3], v[2:3], v[35:36]
	s_waitcnt vmcnt(9) lgkmcnt(1)
	v_mul_f64 v[35:36], v[19:20], v[31:32]
	v_mul_f64 v[31:32], v[21:22], v[31:32]
	s_waitcnt vmcnt(8)
	v_fma_f64 v[15:16], v[15:16], v[170:171], -v[51:52]
	v_fma_f64 v[17:18], v[17:18], v[170:171], v[45:46]
	v_add_f64 v[27:28], v[27:28], v[49:50]
	v_add_f64 v[2:3], v[2:3], v[25:26]
	s_waitcnt vmcnt(7) lgkmcnt(0)
	v_mul_f64 v[37:38], v[13:14], v[172:173]
	v_mul_f64 v[25:26], v[11:12], v[172:173]
	s_waitcnt vmcnt(5)
	v_fma_f64 v[19:20], v[19:20], v[23:24], -v[31:32]
	v_fma_f64 v[21:22], v[21:22], v[23:24], v[35:36]
	v_add_f64 v[15:16], v[27:28], v[15:16]
	v_add_f64 v[2:3], v[2:3], v[17:18]
	s_waitcnt vmcnt(4)
	v_fma_f64 v[11:12], v[11:12], v[177:178], -v[37:38]
	v_fma_f64 v[13:14], v[13:14], v[177:178], v[25:26]
	v_add_f64 v[15:16], v[15:16], v[19:20]
	v_add_f64 v[2:3], v[2:3], v[21:22]
	;; [unrolled: 1-line block ×4, first 2 shown]
	s_waitcnt vmcnt(2)
	v_add_f64 v[11:12], v[33:34], -v[11:12]
	s_waitcnt vmcnt(0)
	v_add_f64 v[2:3], v[39:40], -v[2:3]
	buffer_store_dword v12, off, s[0:3], 0 offset:404
	buffer_store_dword v11, off, s[0:3], 0 offset:400
	;; [unrolled: 1-line block ×4, first 2 shown]
	v_cmpx_lt_u32_e32 23, v0
	s_cbranch_execz .LBB43_231
; %bb.230:
	v_mov_b32_e32 v2, s37
	s_clause 0x3
	buffer_load_dword v11, v2, s[0:3], 0 offen
	buffer_load_dword v12, v2, s[0:3], 0 offen offset:4
	buffer_load_dword v13, v2, s[0:3], 0 offen offset:8
	;; [unrolled: 1-line block ×3, first 2 shown]
	buffer_store_dword v1, off, s[0:3], 0 offset:384
	buffer_store_dword v1, off, s[0:3], 0 offset:388
	;; [unrolled: 1-line block ×4, first 2 shown]
	s_waitcnt vmcnt(0)
	ds_write_b128 v149, v[11:14]
.LBB43_231:
	s_or_b32 exec_lo, exec_lo, s4
	s_waitcnt lgkmcnt(0)
	s_waitcnt_vscnt null, 0x0
	s_barrier
	buffer_gl0_inv
	s_clause 0x37
	buffer_load_dword v2, off, s[0:3], 0 offset:408
	buffer_load_dword v3, off, s[0:3], 0 offset:412
	;; [unrolled: 1-line block ×56, first 2 shown]
	ds_read_b128 v[11:14], v1 offset:1088
	s_clause 0x2
	buffer_load_dword v159, off, s[0:3], 0 offset:636
	buffer_load_dword v163, off, s[0:3], 0 offset:612
	;; [unrolled: 1-line block ×3, first 2 shown]
	ds_read_b128 v[15:18], v1 offset:1104
	s_clause 0x4
	buffer_load_dword v167, off, s[0:3], 0 offset:652
	buffer_load_dword v168, off, s[0:3], 0 offset:664
	;; [unrolled: 1-line block ×5, first 2 shown]
	ds_read_b128 v[19:22], v1 offset:1120
	s_mov_b32 s4, exec_lo
	s_waitcnt vmcnt(62) lgkmcnt(2)
	v_mul_f64 v[164:165], v[13:14], v[2:3]
	v_mul_f64 v[2:3], v[11:12], v[2:3]
	s_waitcnt vmcnt(60) lgkmcnt(1)
	v_mul_f64 v[171:172], v[17:18], v[23:24]
	v_mul_f64 v[23:24], v[15:16], v[23:24]
	;; [unrolled: 3-line block ×3, first 2 shown]
	v_fma_f64 v[164:165], v[11:12], v[25:26], -v[164:165]
	v_fma_f64 v[2:3], v[13:14], v[25:26], v[2:3]
	s_clause 0x2
	buffer_load_dword v169, off, s[0:3], 0 offset:668
	buffer_load_dword v26, off, s[0:3], 0 offset:644
	;; [unrolled: 1-line block ×3, first 2 shown]
	s_waitcnt vmcnt(57)
	v_fma_f64 v[175:176], v[15:16], v[31:32], -v[171:172]
	ds_read_b128 v[11:14], v1 offset:1136
	v_fma_f64 v[23:24], v[17:18], v[31:32], v[23:24]
	s_clause 0x4
	buffer_load_dword v32, off, s[0:3], 0 offset:684
	buffer_load_dword v172, off, s[0:3], 0 offset:696
	;; [unrolled: 1-line block ×5, first 2 shown]
	s_waitcnt vmcnt(56)
	v_fma_f64 v[27:28], v[19:20], v[39:40], -v[27:28]
	ds_read_b128 v[15:18], v1 offset:1152
	v_fma_f64 v[39:40], v[21:22], v[39:40], v[173:174]
	v_add_f64 v[164:165], v[164:165], 0
	v_add_f64 v[2:3], v[2:3], 0
	s_waitcnt lgkmcnt(1)
	v_mul_f64 v[178:179], v[11:12], v[33:34]
	v_mul_f64 v[33:34], v[13:14], v[33:34]
	v_add_f64 v[164:165], v[164:165], v[175:176]
	v_add_f64 v[2:3], v[2:3], v[23:24]
	s_clause 0x2
	buffer_load_dword v173, off, s[0:3], 0 offset:700
	buffer_load_dword v24, off, s[0:3], 0 offset:676
	;; [unrolled: 1-line block ×3, first 2 shown]
	s_waitcnt vmcnt(58) lgkmcnt(0)
	v_mul_f64 v[174:175], v[15:16], v[35:36]
	v_mul_f64 v[35:36], v[17:18], v[35:36]
	s_waitcnt vmcnt(56)
	v_fma_f64 v[33:34], v[11:12], v[45:46], -v[33:34]
	ds_read_b128 v[19:22], v1 offset:1168
	v_fma_f64 v[45:46], v[13:14], v[45:46], v[178:179]
	v_add_f64 v[27:28], v[164:165], v[27:28]
	v_add_f64 v[2:3], v[2:3], v[39:40]
	s_clause 0x2
	buffer_load_dword v40, off, s[0:3], 0 offset:716
	buffer_load_dword v39, off, s[0:3], 0 offset:712
	;; [unrolled: 1-line block ×3, first 2 shown]
	ds_read_b128 v[11:14], v1 offset:1184
	s_waitcnt vmcnt(55) lgkmcnt(1)
	v_mul_f64 v[164:165], v[19:20], v[47:48]
	v_mul_f64 v[47:48], v[21:22], v[47:48]
	s_waitcnt vmcnt(54)
	v_fma_f64 v[35:36], v[15:16], v[37:38], -v[35:36]
	v_add_f64 v[27:28], v[27:28], v[33:34]
	v_fma_f64 v[33:34], v[17:18], v[37:38], v[174:175]
	v_add_f64 v[2:3], v[2:3], v[45:46]
	s_clause 0x1
	buffer_load_dword v38, off, s[0:3], 0 offset:708
	buffer_load_dword v37, off, s[0:3], 0 offset:704
	s_waitcnt vmcnt(55) lgkmcnt(0)
	v_mul_f64 v[45:46], v[11:12], v[49:50]
	v_mul_f64 v[49:50], v[13:14], v[49:50]
	s_waitcnt vmcnt(53)
	v_fma_f64 v[47:48], v[19:20], v[53:54], -v[47:48]
	ds_read_b128 v[15:18], v1 offset:1200
	v_add_f64 v[27:28], v[27:28], v[35:36]
	v_fma_f64 v[35:36], v[21:22], v[53:54], v[164:165]
	v_add_f64 v[2:3], v[2:3], v[33:34]
	ds_read_b128 v[19:22], v1 offset:1216
	s_waitcnt vmcnt(48)
	v_fma_f64 v[45:46], v[13:14], v[51:52], v[45:46]
	s_waitcnt lgkmcnt(1)
	v_mul_f64 v[53:54], v[17:18], v[55:56]
	v_fma_f64 v[49:50], v[11:12], v[51:52], -v[49:50]
	v_mul_f64 v[33:34], v[15:16], v[55:56]
	v_add_f64 v[27:28], v[27:28], v[47:48]
	s_waitcnt vmcnt(47) lgkmcnt(0)
	v_mul_f64 v[55:56], v[21:22], v[57:58]
	v_add_f64 v[2:3], v[2:3], v[35:36]
	s_clause 0x3
	buffer_load_dword v35, off, s[0:3], 0 offset:384
	buffer_load_dword v36, off, s[0:3], 0 offset:388
	;; [unrolled: 1-line block ×4, first 2 shown]
	ds_read_b128 v[11:14], v1 offset:1232
	s_waitcnt vmcnt(49)
	v_fma_f64 v[53:54], v[15:16], v[65:66], -v[53:54]
	v_mul_f64 v[51:52], v[19:20], v[57:58]
	v_fma_f64 v[33:34], v[17:18], v[65:66], v[33:34]
	ds_read_b128 v[15:18], v1 offset:1248
	v_add_f64 v[27:28], v[27:28], v[49:50]
	s_waitcnt vmcnt(44)
	v_fma_f64 v[55:56], v[19:20], v[59:60], -v[55:56]
	v_add_f64 v[2:3], v[2:3], v[45:46]
	s_waitcnt lgkmcnt(1)
	v_mul_f64 v[49:50], v[13:14], v[67:68]
	v_mul_f64 v[45:46], v[11:12], v[67:68]
	v_fma_f64 v[51:52], v[21:22], v[59:60], v[51:52]
	ds_read_b128 v[19:22], v1 offset:1264
	v_add_f64 v[27:28], v[27:28], v[53:54]
	s_waitcnt vmcnt(43) lgkmcnt(1)
	v_mul_f64 v[53:54], v[17:18], v[69:70]
	v_add_f64 v[2:3], v[2:3], v[33:34]
	s_waitcnt vmcnt(41)
	v_fma_f64 v[49:50], v[11:12], v[145:146], -v[49:50]
	v_mul_f64 v[33:34], v[15:16], v[69:70]
	v_fma_f64 v[45:46], v[13:14], v[145:146], v[45:46]
	ds_read_b128 v[11:14], v1 offset:1280
	v_add_f64 v[27:28], v[27:28], v[55:56]
	s_waitcnt vmcnt(37) lgkmcnt(1)
	v_mul_f64 v[55:56], v[21:22], v[147:148]
	v_add_f64 v[2:3], v[2:3], v[51:52]
	s_waitcnt vmcnt(36)
	v_fma_f64 v[53:54], v[15:16], v[71:72], -v[53:54]
	;; [unrolled: 9-line block ×6, first 2 shown]
	v_mul_f64 v[45:46], v[11:12], v[166:167]
	v_fma_f64 v[51:52], v[21:22], v[160:161], v[51:52]
	ds_read_b128 v[19:22], v1 offset:1360
	v_add_f64 v[27:28], v[27:28], v[53:54]
	v_add_f64 v[2:3], v[2:3], v[33:34]
	s_waitcnt vmcnt(19) lgkmcnt(1)
	v_mul_f64 v[53:54], v[17:18], v[168:169]
	v_mul_f64 v[33:34], v[15:16], v[168:169]
	s_waitcnt vmcnt(17)
	v_fma_f64 v[49:50], v[11:12], v[25:26], -v[49:50]
	v_fma_f64 v[25:26], v[13:14], v[25:26], v[45:46]
	ds_read_b128 v[11:14], v1 offset:1376
	s_waitcnt vmcnt(13) lgkmcnt(1)
	v_mul_f64 v[45:46], v[19:20], v[31:32]
	v_mul_f64 v[31:32], v[21:22], v[31:32]
	v_add_f64 v[27:28], v[27:28], v[55:56]
	v_add_f64 v[2:3], v[2:3], v[51:52]
	s_waitcnt vmcnt(12)
	v_fma_f64 v[15:16], v[15:16], v[170:171], -v[53:54]
	v_fma_f64 v[17:18], v[17:18], v[170:171], v[33:34]
	v_add_f64 v[27:28], v[27:28], v[49:50]
	v_add_f64 v[25:26], v[2:3], v[25:26]
	ds_read_b128 v[1:4], v1 offset:1392
	s_waitcnt vmcnt(11) lgkmcnt(1)
	v_mul_f64 v[49:50], v[13:14], v[172:173]
	v_mul_f64 v[33:34], v[11:12], v[172:173]
	s_waitcnt vmcnt(9)
	v_fma_f64 v[19:20], v[19:20], v[23:24], -v[31:32]
	v_fma_f64 v[21:22], v[21:22], v[23:24], v[45:46]
	v_add_f64 v[15:16], v[27:28], v[15:16]
	v_add_f64 v[17:18], v[25:26], v[17:18]
	s_waitcnt vmcnt(7) lgkmcnt(0)
	v_mul_f64 v[25:26], v[3:4], v[39:40]
	s_waitcnt vmcnt(6)
	v_fma_f64 v[11:12], v[11:12], v[177:178], -v[49:50]
	v_mul_f64 v[23:24], v[1:2], v[39:40]
	v_fma_f64 v[13:14], v[13:14], v[177:178], v[33:34]
	v_add_f64 v[15:16], v[15:16], v[19:20]
	v_add_f64 v[17:18], v[17:18], v[21:22]
	s_waitcnt vmcnt(4)
	v_fma_f64 v[1:2], v[1:2], v[37:38], -v[25:26]
	v_fma_f64 v[3:4], v[3:4], v[37:38], v[23:24]
	v_add_f64 v[11:12], v[15:16], v[11:12]
	v_add_f64 v[13:14], v[17:18], v[13:14]
	v_add_f64 v[1:2], v[11:12], v[1:2]
	v_add_f64 v[3:4], v[13:14], v[3:4]
	s_waitcnt vmcnt(2)
	v_add_f64 v[1:2], v[35:36], -v[1:2]
	s_waitcnt vmcnt(0)
	v_add_f64 v[3:4], v[47:48], -v[3:4]
	buffer_store_dword v2, off, s[0:3], 0 offset:388
	buffer_store_dword v1, off, s[0:3], 0 offset:384
	;; [unrolled: 1-line block ×4, first 2 shown]
	v_cmpx_lt_u32_e32 22, v0
	s_cbranch_execz .LBB43_233
; %bb.232:
	v_mov_b32_e32 v4, s39
	v_mov_b32_e32 v11, 0
	s_clause 0x3
	buffer_load_dword v1, v4, s[0:3], 0 offen
	buffer_load_dword v2, v4, s[0:3], 0 offen offset:4
	buffer_load_dword v3, v4, s[0:3], 0 offen offset:8
	;; [unrolled: 1-line block ×3, first 2 shown]
	buffer_store_dword v11, off, s[0:3], 0 offset:368
	buffer_store_dword v11, off, s[0:3], 0 offset:372
	;; [unrolled: 1-line block ×4, first 2 shown]
	s_waitcnt vmcnt(0)
	ds_write_b128 v149, v[1:4]
.LBB43_233:
	s_or_b32 exec_lo, exec_lo, s4
	s_waitcnt lgkmcnt(0)
	s_waitcnt_vscnt null, 0x0
	s_barrier
	buffer_gl0_inv
	s_clause 0x37
	buffer_load_dword v2, off, s[0:3], 0 offset:392
	buffer_load_dword v3, off, s[0:3], 0 offset:396
	;; [unrolled: 1-line block ×56, first 2 shown]
	v_mov_b32_e32 v1, 0
	s_mov_b32 s4, exec_lo
	ds_read_b128 v[11:14], v1 offset:1072
	s_clause 0x2
	buffer_load_dword v159, off, s[0:3], 0 offset:620
	buffer_load_dword v163, off, s[0:3], 0 offset:596
	;; [unrolled: 1-line block ×3, first 2 shown]
	ds_read_b128 v[15:18], v1 offset:1088
	s_clause 0x4
	buffer_load_dword v167, off, s[0:3], 0 offset:636
	buffer_load_dword v168, off, s[0:3], 0 offset:648
	;; [unrolled: 1-line block ×5, first 2 shown]
	ds_read_b128 v[19:22], v1 offset:1104
	s_waitcnt vmcnt(62) lgkmcnt(2)
	v_mul_f64 v[164:165], v[13:14], v[2:3]
	v_mul_f64 v[2:3], v[11:12], v[2:3]
	s_waitcnt vmcnt(60) lgkmcnt(1)
	v_mul_f64 v[171:172], v[17:18], v[23:24]
	v_mul_f64 v[23:24], v[15:16], v[23:24]
	;; [unrolled: 3-line block ×3, first 2 shown]
	v_fma_f64 v[164:165], v[11:12], v[25:26], -v[164:165]
	v_fma_f64 v[2:3], v[13:14], v[25:26], v[2:3]
	s_clause 0x2
	buffer_load_dword v169, off, s[0:3], 0 offset:652
	buffer_load_dword v26, off, s[0:3], 0 offset:628
	;; [unrolled: 1-line block ×3, first 2 shown]
	s_waitcnt vmcnt(57)
	v_fma_f64 v[175:176], v[15:16], v[31:32], -v[171:172]
	ds_read_b128 v[11:14], v1 offset:1120
	v_fma_f64 v[23:24], v[17:18], v[31:32], v[23:24]
	s_clause 0x4
	buffer_load_dword v32, off, s[0:3], 0 offset:668
	buffer_load_dword v172, off, s[0:3], 0 offset:680
	;; [unrolled: 1-line block ×5, first 2 shown]
	s_waitcnt vmcnt(56)
	v_fma_f64 v[27:28], v[19:20], v[39:40], -v[27:28]
	ds_read_b128 v[15:18], v1 offset:1136
	v_fma_f64 v[39:40], v[21:22], v[39:40], v[173:174]
	v_add_f64 v[164:165], v[164:165], 0
	v_add_f64 v[2:3], v[2:3], 0
	s_waitcnt lgkmcnt(1)
	v_mul_f64 v[178:179], v[11:12], v[33:34]
	v_mul_f64 v[33:34], v[13:14], v[33:34]
	v_add_f64 v[164:165], v[164:165], v[175:176]
	v_add_f64 v[2:3], v[2:3], v[23:24]
	s_clause 0x2
	buffer_load_dword v173, off, s[0:3], 0 offset:684
	buffer_load_dword v24, off, s[0:3], 0 offset:660
	;; [unrolled: 1-line block ×3, first 2 shown]
	s_waitcnt vmcnt(58) lgkmcnt(0)
	v_mul_f64 v[174:175], v[15:16], v[35:36]
	v_mul_f64 v[35:36], v[17:18], v[35:36]
	s_waitcnt vmcnt(56)
	v_fma_f64 v[33:34], v[11:12], v[45:46], -v[33:34]
	ds_read_b128 v[19:22], v1 offset:1152
	v_fma_f64 v[45:46], v[13:14], v[45:46], v[178:179]
	v_add_f64 v[27:28], v[164:165], v[27:28]
	v_add_f64 v[2:3], v[2:3], v[39:40]
	s_clause 0x4
	buffer_load_dword v40, off, s[0:3], 0 offset:700
	buffer_load_dword v164, off, s[0:3], 0 offset:712
	;; [unrolled: 1-line block ×5, first 2 shown]
	ds_read_b128 v[11:14], v1 offset:1168
	s_waitcnt vmcnt(57) lgkmcnt(1)
	v_mul_f64 v[180:181], v[19:20], v[47:48]
	v_mul_f64 v[47:48], v[21:22], v[47:48]
	s_waitcnt vmcnt(56)
	v_fma_f64 v[35:36], v[15:16], v[37:38], -v[35:36]
	v_add_f64 v[27:28], v[27:28], v[33:34]
	v_fma_f64 v[33:34], v[17:18], v[37:38], v[174:175]
	v_add_f64 v[2:3], v[2:3], v[45:46]
	s_clause 0x2
	buffer_load_dword v165, off, s[0:3], 0 offset:716
	buffer_load_dword v38, off, s[0:3], 0 offset:692
	;; [unrolled: 1-line block ×3, first 2 shown]
	s_waitcnt vmcnt(58) lgkmcnt(0)
	v_mul_f64 v[45:46], v[11:12], v[49:50]
	v_mul_f64 v[49:50], v[13:14], v[49:50]
	s_waitcnt vmcnt(56)
	v_fma_f64 v[47:48], v[19:20], v[53:54], -v[47:48]
	ds_read_b128 v[15:18], v1 offset:1184
	v_add_f64 v[27:28], v[27:28], v[35:36]
	v_fma_f64 v[35:36], v[21:22], v[53:54], v[180:181]
	v_add_f64 v[2:3], v[2:3], v[33:34]
	buffer_load_dword v180, off, s[0:3], 0 offset:708
	ds_read_b128 v[19:22], v1 offset:1200
	s_waitcnt vmcnt(53) lgkmcnt(1)
	v_mul_f64 v[53:54], v[17:18], v[55:56]
	s_waitcnt vmcnt(52)
	v_fma_f64 v[49:50], v[11:12], v[51:52], -v[49:50]
	v_mul_f64 v[33:34], v[15:16], v[55:56]
	v_fma_f64 v[45:46], v[13:14], v[51:52], v[45:46]
	ds_read_b128 v[11:14], v1 offset:1216
	v_add_f64 v[27:28], v[27:28], v[47:48]
	v_add_f64 v[2:3], v[2:3], v[35:36]
	s_waitcnt vmcnt(51) lgkmcnt(1)
	v_mul_f64 v[47:48], v[21:22], v[57:58]
	v_mul_f64 v[35:36], v[19:20], v[57:58]
	s_waitcnt vmcnt(49)
	v_fma_f64 v[51:52], v[15:16], v[65:66], -v[53:54]
	v_fma_f64 v[33:34], v[17:18], v[65:66], v[33:34]
	s_waitcnt vmcnt(45) lgkmcnt(0)
	v_mul_f64 v[55:56], v[13:14], v[67:68]
	v_mul_f64 v[53:54], v[11:12], v[67:68]
	v_add_f64 v[27:28], v[27:28], v[49:50]
	v_add_f64 v[2:3], v[2:3], v[45:46]
	s_clause 0x3
	buffer_load_dword v45, off, s[0:3], 0 offset:368
	buffer_load_dword v46, off, s[0:3], 0 offset:372
	;; [unrolled: 1-line block ×4, first 2 shown]
	s_waitcnt vmcnt(48)
	v_fma_f64 v[47:48], v[19:20], v[59:60], -v[47:48]
	ds_read_b128 v[15:18], v1 offset:1232
	v_fma_f64 v[35:36], v[21:22], v[59:60], v[35:36]
	ds_read_b128 v[19:22], v1 offset:1248
	s_waitcnt vmcnt(45)
	v_fma_f64 v[55:56], v[11:12], v[145:146], -v[55:56]
	v_add_f64 v[27:28], v[27:28], v[51:52]
	v_add_f64 v[2:3], v[2:3], v[33:34]
	s_waitcnt lgkmcnt(1)
	v_mul_f64 v[51:52], v[17:18], v[69:70]
	v_mul_f64 v[33:34], v[15:16], v[69:70]
	v_add_f64 v[27:28], v[27:28], v[47:48]
	v_fma_f64 v[47:48], v[13:14], v[145:146], v[53:54]
	v_add_f64 v[2:3], v[2:3], v[35:36]
	s_waitcnt vmcnt(41) lgkmcnt(0)
	v_mul_f64 v[53:54], v[21:22], v[147:148]
	s_waitcnt vmcnt(40)
	v_fma_f64 v[51:52], v[15:16], v[71:72], -v[51:52]
	ds_read_b128 v[11:14], v1 offset:1264
	v_mul_f64 v[35:36], v[19:20], v[147:148]
	v_fma_f64 v[33:34], v[17:18], v[71:72], v[33:34]
	ds_read_b128 v[15:18], v1 offset:1280
	v_add_f64 v[27:28], v[27:28], v[55:56]
	v_add_f64 v[2:3], v[2:3], v[47:48]
	s_waitcnt vmcnt(39) lgkmcnt(1)
	v_mul_f64 v[55:56], v[13:14], v[150:151]
	s_waitcnt vmcnt(37)
	v_fma_f64 v[53:54], v[19:20], v[154:155], -v[53:54]
	v_mul_f64 v[47:48], v[11:12], v[150:151]
	v_fma_f64 v[35:36], v[21:22], v[154:155], v[35:36]
	ds_read_b128 v[19:22], v1 offset:1296
	v_add_f64 v[27:28], v[27:28], v[51:52]
	s_waitcnt vmcnt(33) lgkmcnt(1)
	v_mul_f64 v[51:52], v[17:18], v[156:157]
	v_add_f64 v[2:3], v[2:3], v[33:34]
	s_waitcnt vmcnt(32)
	v_fma_f64 v[55:56], v[11:12], v[152:153], -v[55:56]
	v_mul_f64 v[33:34], v[15:16], v[156:157]
	v_fma_f64 v[47:48], v[13:14], v[152:153], v[47:48]
	ds_read_b128 v[11:14], v1 offset:1312
	v_add_f64 v[27:28], v[27:28], v[53:54]
	s_waitcnt vmcnt(31) lgkmcnt(1)
	v_mul_f64 v[53:54], v[21:22], v[158:159]
	v_add_f64 v[2:3], v[2:3], v[35:36]
	s_waitcnt vmcnt(29)
	v_fma_f64 v[51:52], v[15:16], v[162:163], -v[51:52]
	v_mul_f64 v[35:36], v[19:20], v[158:159]
	v_fma_f64 v[33:34], v[17:18], v[162:163], v[33:34]
	ds_read_b128 v[15:18], v1 offset:1328
	v_add_f64 v[27:28], v[27:28], v[55:56]
	s_waitcnt vmcnt(25) lgkmcnt(1)
	v_mul_f64 v[55:56], v[13:14], v[166:167]
	v_add_f64 v[2:3], v[2:3], v[47:48]
	s_waitcnt vmcnt(24)
	v_fma_f64 v[53:54], v[19:20], v[160:161], -v[53:54]
	v_mul_f64 v[47:48], v[11:12], v[166:167]
	v_fma_f64 v[35:36], v[21:22], v[160:161], v[35:36]
	ds_read_b128 v[19:22], v1 offset:1344
	v_add_f64 v[27:28], v[27:28], v[51:52]
	v_add_f64 v[2:3], v[2:3], v[33:34]
	s_waitcnt vmcnt(23) lgkmcnt(1)
	v_mul_f64 v[51:52], v[17:18], v[168:169]
	v_mul_f64 v[33:34], v[15:16], v[168:169]
	s_waitcnt vmcnt(21)
	v_fma_f64 v[55:56], v[11:12], v[25:26], -v[55:56]
	v_fma_f64 v[25:26], v[13:14], v[25:26], v[47:48]
	ds_read_b128 v[11:14], v1 offset:1360
	v_add_f64 v[27:28], v[27:28], v[53:54]
	v_add_f64 v[2:3], v[2:3], v[35:36]
	s_waitcnt vmcnt(17) lgkmcnt(1)
	v_mul_f64 v[35:36], v[19:20], v[31:32]
	v_mul_f64 v[31:32], v[21:22], v[31:32]
	s_waitcnt vmcnt(16)
	v_fma_f64 v[47:48], v[15:16], v[170:171], -v[51:52]
	;; [unrolled: 9-line block ×3, first 2 shown]
	v_fma_f64 v[23:24], v[21:22], v[23:24], v[35:36]
	ds_read_b128 v[19:22], v1 offset:1392
	v_add_f64 v[27:28], v[27:28], v[47:48]
	v_add_f64 v[2:3], v[2:3], v[33:34]
	s_waitcnt vmcnt(9) lgkmcnt(1)
	v_mul_f64 v[35:36], v[17:18], v[39:40]
	s_waitcnt vmcnt(8)
	v_fma_f64 v[11:12], v[11:12], v[177:178], -v[51:52]
	v_mul_f64 v[33:34], v[15:16], v[39:40]
	v_fma_f64 v[13:14], v[13:14], v[177:178], v[25:26]
	v_add_f64 v[27:28], v[27:28], v[31:32]
	v_add_f64 v[2:3], v[2:3], v[23:24]
	s_waitcnt vmcnt(7) lgkmcnt(0)
	v_mul_f64 v[25:26], v[21:22], v[164:165]
	v_mul_f64 v[23:24], v[19:20], v[164:165]
	s_waitcnt vmcnt(5)
	v_fma_f64 v[15:16], v[15:16], v[37:38], -v[35:36]
	v_fma_f64 v[17:18], v[17:18], v[37:38], v[33:34]
	v_add_f64 v[11:12], v[27:28], v[11:12]
	v_add_f64 v[2:3], v[2:3], v[13:14]
	s_waitcnt vmcnt(4)
	v_fma_f64 v[13:14], v[19:20], v[179:180], -v[25:26]
	v_add_f64 v[11:12], v[11:12], v[15:16]
	v_fma_f64 v[15:16], v[21:22], v[179:180], v[23:24]
	v_add_f64 v[2:3], v[2:3], v[17:18]
	v_add_f64 v[11:12], v[11:12], v[13:14]
	;; [unrolled: 1-line block ×3, first 2 shown]
	s_waitcnt vmcnt(2)
	v_add_f64 v[11:12], v[45:46], -v[11:12]
	s_waitcnt vmcnt(0)
	v_add_f64 v[2:3], v[49:50], -v[2:3]
	buffer_store_dword v12, off, s[0:3], 0 offset:372
	buffer_store_dword v11, off, s[0:3], 0 offset:368
	;; [unrolled: 1-line block ×4, first 2 shown]
	v_cmpx_lt_u32_e32 21, v0
	s_cbranch_execz .LBB43_235
; %bb.234:
	v_mov_b32_e32 v2, s41
	s_clause 0x3
	buffer_load_dword v11, v2, s[0:3], 0 offen
	buffer_load_dword v12, v2, s[0:3], 0 offen offset:4
	buffer_load_dword v13, v2, s[0:3], 0 offen offset:8
	;; [unrolled: 1-line block ×3, first 2 shown]
	buffer_store_dword v1, off, s[0:3], 0 offset:352
	buffer_store_dword v1, off, s[0:3], 0 offset:356
	;; [unrolled: 1-line block ×4, first 2 shown]
	s_waitcnt vmcnt(0)
	ds_write_b128 v149, v[11:14]
.LBB43_235:
	s_or_b32 exec_lo, exec_lo, s4
	s_waitcnt lgkmcnt(0)
	s_waitcnt_vscnt null, 0x0
	s_barrier
	buffer_gl0_inv
	s_clause 0x37
	buffer_load_dword v2, off, s[0:3], 0 offset:376
	buffer_load_dword v3, off, s[0:3], 0 offset:380
	;; [unrolled: 1-line block ×56, first 2 shown]
	ds_read_b128 v[11:14], v1 offset:1056
	s_clause 0x2
	buffer_load_dword v159, off, s[0:3], 0 offset:604
	buffer_load_dword v163, off, s[0:3], 0 offset:580
	;; [unrolled: 1-line block ×3, first 2 shown]
	ds_read_b128 v[15:18], v1 offset:1072
	s_clause 0x4
	buffer_load_dword v167, off, s[0:3], 0 offset:620
	buffer_load_dword v168, off, s[0:3], 0 offset:632
	;; [unrolled: 1-line block ×5, first 2 shown]
	ds_read_b128 v[19:22], v1 offset:1088
	s_mov_b32 s4, exec_lo
	s_waitcnt vmcnt(62) lgkmcnt(2)
	v_mul_f64 v[164:165], v[13:14], v[2:3]
	v_mul_f64 v[2:3], v[11:12], v[2:3]
	s_waitcnt vmcnt(60) lgkmcnt(1)
	v_mul_f64 v[171:172], v[17:18], v[23:24]
	v_mul_f64 v[23:24], v[15:16], v[23:24]
	;; [unrolled: 3-line block ×3, first 2 shown]
	v_fma_f64 v[164:165], v[11:12], v[25:26], -v[164:165]
	v_fma_f64 v[2:3], v[13:14], v[25:26], v[2:3]
	s_clause 0x2
	buffer_load_dword v169, off, s[0:3], 0 offset:636
	buffer_load_dword v26, off, s[0:3], 0 offset:612
	;; [unrolled: 1-line block ×3, first 2 shown]
	s_waitcnt vmcnt(57)
	v_fma_f64 v[175:176], v[15:16], v[31:32], -v[171:172]
	ds_read_b128 v[11:14], v1 offset:1104
	v_fma_f64 v[23:24], v[17:18], v[31:32], v[23:24]
	s_clause 0x4
	buffer_load_dword v32, off, s[0:3], 0 offset:652
	buffer_load_dword v172, off, s[0:3], 0 offset:664
	;; [unrolled: 1-line block ×5, first 2 shown]
	s_waitcnt vmcnt(56)
	v_fma_f64 v[27:28], v[19:20], v[39:40], -v[27:28]
	ds_read_b128 v[15:18], v1 offset:1120
	v_fma_f64 v[39:40], v[21:22], v[39:40], v[173:174]
	v_add_f64 v[164:165], v[164:165], 0
	v_add_f64 v[2:3], v[2:3], 0
	s_waitcnt lgkmcnt(1)
	v_mul_f64 v[178:179], v[11:12], v[33:34]
	v_mul_f64 v[33:34], v[13:14], v[33:34]
	v_add_f64 v[164:165], v[164:165], v[175:176]
	v_add_f64 v[2:3], v[2:3], v[23:24]
	s_clause 0x2
	buffer_load_dword v173, off, s[0:3], 0 offset:668
	buffer_load_dword v24, off, s[0:3], 0 offset:644
	;; [unrolled: 1-line block ×3, first 2 shown]
	s_waitcnt vmcnt(58) lgkmcnt(0)
	v_mul_f64 v[174:175], v[15:16], v[35:36]
	v_mul_f64 v[35:36], v[17:18], v[35:36]
	s_waitcnt vmcnt(56)
	v_fma_f64 v[33:34], v[11:12], v[45:46], -v[33:34]
	ds_read_b128 v[19:22], v1 offset:1136
	v_fma_f64 v[45:46], v[13:14], v[45:46], v[178:179]
	v_add_f64 v[27:28], v[164:165], v[27:28]
	v_add_f64 v[2:3], v[2:3], v[39:40]
	s_clause 0x4
	buffer_load_dword v40, off, s[0:3], 0 offset:684
	buffer_load_dword v164, off, s[0:3], 0 offset:696
	;; [unrolled: 1-line block ×5, first 2 shown]
	ds_read_b128 v[11:14], v1 offset:1152
	s_waitcnt vmcnt(57) lgkmcnt(1)
	v_mul_f64 v[180:181], v[19:20], v[47:48]
	v_mul_f64 v[47:48], v[21:22], v[47:48]
	s_waitcnt vmcnt(56)
	v_fma_f64 v[35:36], v[15:16], v[37:38], -v[35:36]
	v_add_f64 v[27:28], v[27:28], v[33:34]
	v_fma_f64 v[33:34], v[17:18], v[37:38], v[174:175]
	v_add_f64 v[2:3], v[2:3], v[45:46]
	s_clause 0x2
	buffer_load_dword v165, off, s[0:3], 0 offset:700
	buffer_load_dword v38, off, s[0:3], 0 offset:676
	buffer_load_dword v37, off, s[0:3], 0 offset:672
	s_waitcnt vmcnt(58) lgkmcnt(0)
	v_mul_f64 v[45:46], v[11:12], v[49:50]
	v_mul_f64 v[49:50], v[13:14], v[49:50]
	s_waitcnt vmcnt(56)
	v_fma_f64 v[47:48], v[19:20], v[53:54], -v[47:48]
	ds_read_b128 v[15:18], v1 offset:1168
	v_add_f64 v[27:28], v[27:28], v[35:36]
	v_fma_f64 v[35:36], v[21:22], v[53:54], v[180:181]
	v_add_f64 v[2:3], v[2:3], v[33:34]
	s_clause 0x2
	buffer_load_dword v34, off, s[0:3], 0 offset:716
	buffer_load_dword v33, off, s[0:3], 0 offset:712
	;; [unrolled: 1-line block ×3, first 2 shown]
	ds_read_b128 v[19:22], v1 offset:1184
	s_waitcnt vmcnt(55) lgkmcnt(1)
	v_mul_f64 v[53:54], v[15:16], v[55:56]
	v_mul_f64 v[55:56], v[17:18], v[55:56]
	s_waitcnt vmcnt(54)
	v_fma_f64 v[49:50], v[11:12], v[51:52], -v[49:50]
	v_fma_f64 v[45:46], v[13:14], v[51:52], v[45:46]
	v_add_f64 v[27:28], v[27:28], v[47:48]
	v_add_f64 v[2:3], v[2:3], v[35:36]
	s_clause 0x1
	buffer_load_dword v36, off, s[0:3], 0 offset:708
	buffer_load_dword v35, off, s[0:3], 0 offset:704
	s_waitcnt vmcnt(55) lgkmcnt(0)
	v_mul_f64 v[51:52], v[21:22], v[57:58]
	ds_read_b128 v[11:14], v1 offset:1200
	s_waitcnt vmcnt(53)
	v_fma_f64 v[55:56], v[15:16], v[65:66], -v[55:56]
	v_mul_f64 v[47:48], v[19:20], v[57:58]
	v_add_f64 v[27:28], v[27:28], v[49:50]
	v_fma_f64 v[49:50], v[17:18], v[65:66], v[53:54]
	v_add_f64 v[2:3], v[2:3], v[45:46]
	ds_read_b128 v[15:18], v1 offset:1216
	s_waitcnt vmcnt(49) lgkmcnt(1)
	v_mul_f64 v[53:54], v[13:14], v[67:68]
	s_waitcnt vmcnt(48)
	v_fma_f64 v[51:52], v[19:20], v[59:60], -v[51:52]
	v_mul_f64 v[45:46], v[11:12], v[67:68]
	v_fma_f64 v[47:48], v[21:22], v[59:60], v[47:48]
	v_add_f64 v[27:28], v[27:28], v[55:56]
	s_waitcnt vmcnt(47) lgkmcnt(0)
	v_mul_f64 v[59:60], v[17:18], v[69:70]
	v_add_f64 v[2:3], v[2:3], v[49:50]
	s_clause 0x3
	buffer_load_dword v49, off, s[0:3], 0 offset:352
	buffer_load_dword v50, off, s[0:3], 0 offset:356
	;; [unrolled: 1-line block ×4, first 2 shown]
	s_waitcnt vmcnt(49)
	v_fma_f64 v[53:54], v[11:12], v[145:146], -v[53:54]
	ds_read_b128 v[19:22], v1 offset:1232
	v_mul_f64 v[57:58], v[15:16], v[69:70]
	v_fma_f64 v[45:46], v[13:14], v[145:146], v[45:46]
	ds_read_b128 v[11:14], v1 offset:1248
	v_add_f64 v[27:28], v[27:28], v[51:52]
	s_waitcnt vmcnt(44)
	v_fma_f64 v[59:60], v[15:16], v[71:72], -v[59:60]
	v_add_f64 v[2:3], v[2:3], v[47:48]
	s_waitcnt lgkmcnt(1)
	v_mul_f64 v[51:52], v[21:22], v[147:148]
	v_mul_f64 v[47:48], v[19:20], v[147:148]
	v_add_f64 v[27:28], v[27:28], v[53:54]
	v_fma_f64 v[53:54], v[17:18], v[71:72], v[57:58]
	v_add_f64 v[2:3], v[2:3], v[45:46]
	s_waitcnt vmcnt(43) lgkmcnt(0)
	v_mul_f64 v[57:58], v[13:14], v[150:151]
	s_waitcnt vmcnt(41)
	v_fma_f64 v[51:52], v[19:20], v[154:155], -v[51:52]
	ds_read_b128 v[15:18], v1 offset:1264
	v_mul_f64 v[45:46], v[11:12], v[150:151]
	v_fma_f64 v[47:48], v[21:22], v[154:155], v[47:48]
	ds_read_b128 v[19:22], v1 offset:1280
	v_add_f64 v[27:28], v[27:28], v[59:60]
	v_add_f64 v[2:3], v[2:3], v[53:54]
	s_waitcnt vmcnt(37) lgkmcnt(1)
	v_mul_f64 v[59:60], v[17:18], v[156:157]
	s_waitcnt vmcnt(36)
	v_fma_f64 v[57:58], v[11:12], v[152:153], -v[57:58]
	v_mul_f64 v[53:54], v[15:16], v[156:157]
	v_fma_f64 v[45:46], v[13:14], v[152:153], v[45:46]
	ds_read_b128 v[11:14], v1 offset:1296
	v_add_f64 v[27:28], v[27:28], v[51:52]
	s_waitcnt vmcnt(35) lgkmcnt(1)
	v_mul_f64 v[51:52], v[21:22], v[158:159]
	v_add_f64 v[2:3], v[2:3], v[47:48]
	s_waitcnt vmcnt(33)
	v_fma_f64 v[59:60], v[15:16], v[162:163], -v[59:60]
	v_mul_f64 v[47:48], v[19:20], v[158:159]
	v_fma_f64 v[53:54], v[17:18], v[162:163], v[53:54]
	ds_read_b128 v[15:18], v1 offset:1312
	v_add_f64 v[27:28], v[27:28], v[57:58]
	s_waitcnt vmcnt(29) lgkmcnt(1)
	v_mul_f64 v[57:58], v[13:14], v[166:167]
	v_add_f64 v[2:3], v[2:3], v[45:46]
	s_waitcnt vmcnt(28)
	v_fma_f64 v[51:52], v[19:20], v[160:161], -v[51:52]
	v_mul_f64 v[45:46], v[11:12], v[166:167]
	v_fma_f64 v[47:48], v[21:22], v[160:161], v[47:48]
	ds_read_b128 v[19:22], v1 offset:1328
	v_add_f64 v[27:28], v[27:28], v[59:60]
	v_add_f64 v[2:3], v[2:3], v[53:54]
	s_waitcnt vmcnt(27) lgkmcnt(1)
	v_mul_f64 v[59:60], v[17:18], v[168:169]
	v_mul_f64 v[53:54], v[15:16], v[168:169]
	s_waitcnt vmcnt(25)
	v_fma_f64 v[57:58], v[11:12], v[25:26], -v[57:58]
	v_fma_f64 v[25:26], v[13:14], v[25:26], v[45:46]
	ds_read_b128 v[11:14], v1 offset:1344
	s_waitcnt vmcnt(21) lgkmcnt(1)
	v_mul_f64 v[45:46], v[19:20], v[31:32]
	v_mul_f64 v[31:32], v[21:22], v[31:32]
	v_add_f64 v[27:28], v[27:28], v[51:52]
	v_add_f64 v[2:3], v[2:3], v[47:48]
	s_waitcnt vmcnt(20)
	v_fma_f64 v[47:48], v[15:16], v[170:171], -v[59:60]
	v_fma_f64 v[51:52], v[17:18], v[170:171], v[53:54]
	ds_read_b128 v[15:18], v1 offset:1360
	v_add_f64 v[27:28], v[27:28], v[57:58]
	v_add_f64 v[2:3], v[2:3], v[25:26]
	s_waitcnt vmcnt(19) lgkmcnt(1)
	v_mul_f64 v[53:54], v[13:14], v[172:173]
	v_mul_f64 v[25:26], v[11:12], v[172:173]
	s_waitcnt vmcnt(17)
	v_fma_f64 v[31:32], v[19:20], v[23:24], -v[31:32]
	v_fma_f64 v[23:24], v[21:22], v[23:24], v[45:46]
	ds_read_b128 v[19:22], v1 offset:1376
	v_add_f64 v[27:28], v[27:28], v[47:48]
	v_add_f64 v[2:3], v[2:3], v[51:52]
	s_waitcnt vmcnt(13) lgkmcnt(1)
	v_mul_f64 v[45:46], v[15:16], v[39:40]
	v_mul_f64 v[39:40], v[17:18], v[39:40]
	s_waitcnt vmcnt(12)
	v_fma_f64 v[11:12], v[11:12], v[177:178], -v[53:54]
	v_fma_f64 v[13:14], v[13:14], v[177:178], v[25:26]
	v_add_f64 v[27:28], v[27:28], v[31:32]
	v_add_f64 v[23:24], v[2:3], v[23:24]
	ds_read_b128 v[1:4], v1 offset:1392
	s_waitcnt vmcnt(11) lgkmcnt(1)
	v_mul_f64 v[31:32], v[21:22], v[164:165]
	v_mul_f64 v[25:26], v[19:20], v[164:165]
	s_waitcnt vmcnt(9)
	v_fma_f64 v[15:16], v[15:16], v[37:38], -v[39:40]
	v_fma_f64 v[17:18], v[17:18], v[37:38], v[45:46]
	v_add_f64 v[11:12], v[27:28], v[11:12]
	v_add_f64 v[13:14], v[23:24], v[13:14]
	s_waitcnt vmcnt(7) lgkmcnt(0)
	v_mul_f64 v[27:28], v[3:4], v[33:34]
	s_waitcnt vmcnt(6)
	v_fma_f64 v[19:20], v[19:20], v[179:180], -v[31:32]
	v_mul_f64 v[23:24], v[1:2], v[33:34]
	v_add_f64 v[11:12], v[11:12], v[15:16]
	v_fma_f64 v[15:16], v[21:22], v[179:180], v[25:26]
	v_add_f64 v[13:14], v[13:14], v[17:18]
	s_waitcnt vmcnt(4)
	v_fma_f64 v[1:2], v[1:2], v[35:36], -v[27:28]
	v_fma_f64 v[3:4], v[3:4], v[35:36], v[23:24]
	v_add_f64 v[11:12], v[11:12], v[19:20]
	v_add_f64 v[13:14], v[13:14], v[15:16]
	;; [unrolled: 1-line block ×4, first 2 shown]
	s_waitcnt vmcnt(2)
	v_add_f64 v[1:2], v[49:50], -v[1:2]
	s_waitcnt vmcnt(0)
	v_add_f64 v[3:4], v[55:56], -v[3:4]
	buffer_store_dword v2, off, s[0:3], 0 offset:356
	buffer_store_dword v1, off, s[0:3], 0 offset:352
	;; [unrolled: 1-line block ×4, first 2 shown]
	v_cmpx_lt_u32_e32 20, v0
	s_cbranch_execz .LBB43_237
; %bb.236:
	v_mov_b32_e32 v4, s43
	v_mov_b32_e32 v11, 0
	s_clause 0x3
	buffer_load_dword v1, v4, s[0:3], 0 offen
	buffer_load_dword v2, v4, s[0:3], 0 offen offset:4
	buffer_load_dword v3, v4, s[0:3], 0 offen offset:8
	;; [unrolled: 1-line block ×3, first 2 shown]
	buffer_store_dword v11, off, s[0:3], 0 offset:336
	buffer_store_dword v11, off, s[0:3], 0 offset:340
	;; [unrolled: 1-line block ×4, first 2 shown]
	s_waitcnt vmcnt(0)
	ds_write_b128 v149, v[1:4]
.LBB43_237:
	s_or_b32 exec_lo, exec_lo, s4
	s_waitcnt lgkmcnt(0)
	s_waitcnt_vscnt null, 0x0
	s_barrier
	buffer_gl0_inv
	s_clause 0x37
	buffer_load_dword v2, off, s[0:3], 0 offset:360
	buffer_load_dword v3, off, s[0:3], 0 offset:364
	;; [unrolled: 1-line block ×56, first 2 shown]
	v_mov_b32_e32 v1, 0
	s_mov_b32 s4, exec_lo
	ds_read_b128 v[11:14], v1 offset:1040
	s_clause 0x2
	buffer_load_dword v159, off, s[0:3], 0 offset:588
	buffer_load_dword v163, off, s[0:3], 0 offset:564
	;; [unrolled: 1-line block ×3, first 2 shown]
	ds_read_b128 v[15:18], v1 offset:1056
	s_clause 0x4
	buffer_load_dword v167, off, s[0:3], 0 offset:604
	buffer_load_dword v168, off, s[0:3], 0 offset:616
	;; [unrolled: 1-line block ×5, first 2 shown]
	ds_read_b128 v[19:22], v1 offset:1072
	s_waitcnt vmcnt(62) lgkmcnt(2)
	v_mul_f64 v[164:165], v[13:14], v[2:3]
	v_mul_f64 v[2:3], v[11:12], v[2:3]
	s_waitcnt vmcnt(60) lgkmcnt(1)
	v_mul_f64 v[171:172], v[17:18], v[23:24]
	v_mul_f64 v[23:24], v[15:16], v[23:24]
	;; [unrolled: 3-line block ×3, first 2 shown]
	v_fma_f64 v[164:165], v[11:12], v[25:26], -v[164:165]
	v_fma_f64 v[2:3], v[13:14], v[25:26], v[2:3]
	s_clause 0x2
	buffer_load_dword v169, off, s[0:3], 0 offset:620
	buffer_load_dword v26, off, s[0:3], 0 offset:596
	;; [unrolled: 1-line block ×3, first 2 shown]
	s_waitcnt vmcnt(57)
	v_fma_f64 v[175:176], v[15:16], v[31:32], -v[171:172]
	ds_read_b128 v[11:14], v1 offset:1088
	v_fma_f64 v[23:24], v[17:18], v[31:32], v[23:24]
	s_clause 0x4
	buffer_load_dword v32, off, s[0:3], 0 offset:636
	buffer_load_dword v172, off, s[0:3], 0 offset:648
	;; [unrolled: 1-line block ×5, first 2 shown]
	s_waitcnt vmcnt(56)
	v_fma_f64 v[27:28], v[19:20], v[39:40], -v[27:28]
	ds_read_b128 v[15:18], v1 offset:1104
	v_fma_f64 v[39:40], v[21:22], v[39:40], v[173:174]
	v_add_f64 v[164:165], v[164:165], 0
	v_add_f64 v[2:3], v[2:3], 0
	s_waitcnt lgkmcnt(1)
	v_mul_f64 v[178:179], v[11:12], v[33:34]
	v_mul_f64 v[33:34], v[13:14], v[33:34]
	v_add_f64 v[164:165], v[164:165], v[175:176]
	v_add_f64 v[2:3], v[2:3], v[23:24]
	s_clause 0x2
	buffer_load_dword v173, off, s[0:3], 0 offset:652
	buffer_load_dword v24, off, s[0:3], 0 offset:628
	;; [unrolled: 1-line block ×3, first 2 shown]
	s_waitcnt vmcnt(58) lgkmcnt(0)
	v_mul_f64 v[174:175], v[15:16], v[35:36]
	v_mul_f64 v[35:36], v[17:18], v[35:36]
	s_waitcnt vmcnt(56)
	v_fma_f64 v[33:34], v[11:12], v[45:46], -v[33:34]
	ds_read_b128 v[19:22], v1 offset:1120
	v_fma_f64 v[45:46], v[13:14], v[45:46], v[178:179]
	v_add_f64 v[27:28], v[164:165], v[27:28]
	v_add_f64 v[2:3], v[2:3], v[39:40]
	s_clause 0x4
	buffer_load_dword v40, off, s[0:3], 0 offset:668
	buffer_load_dword v164, off, s[0:3], 0 offset:680
	;; [unrolled: 1-line block ×5, first 2 shown]
	ds_read_b128 v[11:14], v1 offset:1136
	s_waitcnt vmcnt(57) lgkmcnt(1)
	v_mul_f64 v[180:181], v[19:20], v[47:48]
	v_mul_f64 v[47:48], v[21:22], v[47:48]
	s_waitcnt vmcnt(56)
	v_fma_f64 v[35:36], v[15:16], v[37:38], -v[35:36]
	v_add_f64 v[27:28], v[27:28], v[33:34]
	v_fma_f64 v[33:34], v[17:18], v[37:38], v[174:175]
	v_add_f64 v[2:3], v[2:3], v[45:46]
	s_clause 0x2
	buffer_load_dword v165, off, s[0:3], 0 offset:684
	buffer_load_dword v38, off, s[0:3], 0 offset:660
	;; [unrolled: 1-line block ×3, first 2 shown]
	s_waitcnt vmcnt(58) lgkmcnt(0)
	v_mul_f64 v[45:46], v[11:12], v[49:50]
	v_mul_f64 v[49:50], v[13:14], v[49:50]
	s_waitcnt vmcnt(56)
	v_fma_f64 v[47:48], v[19:20], v[53:54], -v[47:48]
	ds_read_b128 v[15:18], v1 offset:1152
	v_add_f64 v[27:28], v[27:28], v[35:36]
	v_fma_f64 v[35:36], v[21:22], v[53:54], v[180:181]
	v_add_f64 v[2:3], v[2:3], v[33:34]
	s_clause 0x4
	buffer_load_dword v34, off, s[0:3], 0 offset:700
	buffer_load_dword v53, off, s[0:3], 0 offset:712
	;; [unrolled: 1-line block ×5, first 2 shown]
	ds_read_b128 v[19:22], v1 offset:1168
	s_waitcnt vmcnt(57) lgkmcnt(1)
	v_mul_f64 v[175:176], v[15:16], v[55:56]
	v_mul_f64 v[55:56], v[17:18], v[55:56]
	s_waitcnt vmcnt(56)
	v_fma_f64 v[49:50], v[11:12], v[51:52], -v[49:50]
	v_fma_f64 v[45:46], v[13:14], v[51:52], v[45:46]
	v_add_f64 v[27:28], v[27:28], v[47:48]
	v_add_f64 v[2:3], v[2:3], v[35:36]
	s_clause 0x2
	buffer_load_dword v54, off, s[0:3], 0 offset:716
	buffer_load_dword v36, off, s[0:3], 0 offset:692
	buffer_load_dword v35, off, s[0:3], 0 offset:688
	s_waitcnt vmcnt(58) lgkmcnt(0)
	v_mul_f64 v[51:52], v[21:22], v[57:58]
	ds_read_b128 v[11:14], v1 offset:1184
	s_waitcnt vmcnt(56)
	v_fma_f64 v[55:56], v[15:16], v[65:66], -v[55:56]
	v_mul_f64 v[47:48], v[19:20], v[57:58]
	v_add_f64 v[27:28], v[27:28], v[49:50]
	v_fma_f64 v[49:50], v[17:18], v[65:66], v[175:176]
	v_add_f64 v[2:3], v[2:3], v[45:46]
	buffer_load_dword v175, off, s[0:3], 0 offset:708
	ds_read_b128 v[15:18], v1 offset:1200
	s_waitcnt vmcnt(53) lgkmcnt(1)
	v_mul_f64 v[57:58], v[13:14], v[67:68]
	s_waitcnt vmcnt(52)
	v_fma_f64 v[51:52], v[19:20], v[59:60], -v[51:52]
	v_mul_f64 v[45:46], v[11:12], v[67:68]
	v_fma_f64 v[47:48], v[21:22], v[59:60], v[47:48]
	ds_read_b128 v[19:22], v1 offset:1216
	v_add_f64 v[27:28], v[27:28], v[55:56]
	v_add_f64 v[2:3], v[2:3], v[49:50]
	s_waitcnt vmcnt(51) lgkmcnt(1)
	v_mul_f64 v[55:56], v[17:18], v[69:70]
	v_mul_f64 v[49:50], v[15:16], v[69:70]
	s_waitcnt vmcnt(49)
	v_fma_f64 v[57:58], v[11:12], v[145:146], -v[57:58]
	v_fma_f64 v[45:46], v[13:14], v[145:146], v[45:46]
	s_waitcnt vmcnt(45) lgkmcnt(0)
	v_mul_f64 v[65:66], v[21:22], v[147:148]
	v_mul_f64 v[59:60], v[19:20], v[147:148]
	v_add_f64 v[27:28], v[27:28], v[51:52]
	v_add_f64 v[2:3], v[2:3], v[47:48]
	s_clause 0x3
	buffer_load_dword v47, off, s[0:3], 0 offset:336
	buffer_load_dword v48, off, s[0:3], 0 offset:340
	;; [unrolled: 1-line block ×4, first 2 shown]
	s_waitcnt vmcnt(48)
	v_fma_f64 v[55:56], v[15:16], v[71:72], -v[55:56]
	ds_read_b128 v[11:14], v1 offset:1232
	v_fma_f64 v[49:50], v[17:18], v[71:72], v[49:50]
	ds_read_b128 v[15:18], v1 offset:1248
	s_waitcnt vmcnt(45)
	v_fma_f64 v[65:66], v[19:20], v[154:155], -v[65:66]
	v_add_f64 v[27:28], v[27:28], v[57:58]
	v_add_f64 v[2:3], v[2:3], v[45:46]
	s_waitcnt lgkmcnt(1)
	v_mul_f64 v[57:58], v[13:14], v[150:151]
	v_mul_f64 v[45:46], v[11:12], v[150:151]
	v_add_f64 v[27:28], v[27:28], v[55:56]
	v_fma_f64 v[55:56], v[21:22], v[154:155], v[59:60]
	v_add_f64 v[2:3], v[2:3], v[49:50]
	s_waitcnt vmcnt(41) lgkmcnt(0)
	v_mul_f64 v[59:60], v[17:18], v[156:157]
	s_waitcnt vmcnt(40)
	v_fma_f64 v[57:58], v[11:12], v[152:153], -v[57:58]
	ds_read_b128 v[19:22], v1 offset:1264
	v_mul_f64 v[49:50], v[15:16], v[156:157]
	v_fma_f64 v[45:46], v[13:14], v[152:153], v[45:46]
	ds_read_b128 v[11:14], v1 offset:1280
	v_add_f64 v[27:28], v[27:28], v[65:66]
	v_add_f64 v[2:3], v[2:3], v[55:56]
	s_waitcnt vmcnt(39) lgkmcnt(1)
	v_mul_f64 v[65:66], v[21:22], v[158:159]
	s_waitcnt vmcnt(37)
	v_fma_f64 v[59:60], v[15:16], v[162:163], -v[59:60]
	v_mul_f64 v[55:56], v[19:20], v[158:159]
	v_fma_f64 v[49:50], v[17:18], v[162:163], v[49:50]
	ds_read_b128 v[15:18], v1 offset:1296
	v_add_f64 v[27:28], v[27:28], v[57:58]
	s_waitcnt vmcnt(33) lgkmcnt(1)
	v_mul_f64 v[57:58], v[13:14], v[166:167]
	v_add_f64 v[2:3], v[2:3], v[45:46]
	s_waitcnt vmcnt(32)
	v_fma_f64 v[65:66], v[19:20], v[160:161], -v[65:66]
	v_mul_f64 v[45:46], v[11:12], v[166:167]
	v_fma_f64 v[55:56], v[21:22], v[160:161], v[55:56]
	ds_read_b128 v[19:22], v1 offset:1312
	v_add_f64 v[27:28], v[27:28], v[59:60]
	v_add_f64 v[2:3], v[2:3], v[49:50]
	s_waitcnt vmcnt(31) lgkmcnt(1)
	v_mul_f64 v[59:60], v[17:18], v[168:169]
	v_mul_f64 v[49:50], v[15:16], v[168:169]
	s_waitcnt vmcnt(29)
	v_fma_f64 v[57:58], v[11:12], v[25:26], -v[57:58]
	v_fma_f64 v[25:26], v[13:14], v[25:26], v[45:46]
	ds_read_b128 v[11:14], v1 offset:1328
	s_waitcnt vmcnt(25) lgkmcnt(1)
	v_mul_f64 v[45:46], v[19:20], v[31:32]
	v_mul_f64 v[31:32], v[21:22], v[31:32]
	v_add_f64 v[27:28], v[27:28], v[65:66]
	v_add_f64 v[2:3], v[2:3], v[55:56]
	s_waitcnt vmcnt(24)
	v_fma_f64 v[55:56], v[15:16], v[170:171], -v[59:60]
	v_fma_f64 v[49:50], v[17:18], v[170:171], v[49:50]
	ds_read_b128 v[15:18], v1 offset:1344
	v_add_f64 v[27:28], v[27:28], v[57:58]
	v_add_f64 v[2:3], v[2:3], v[25:26]
	s_waitcnt vmcnt(23) lgkmcnt(1)
	v_mul_f64 v[57:58], v[13:14], v[172:173]
	v_mul_f64 v[25:26], v[11:12], v[172:173]
	s_waitcnt vmcnt(21)
	v_fma_f64 v[31:32], v[19:20], v[23:24], -v[31:32]
	v_fma_f64 v[23:24], v[21:22], v[23:24], v[45:46]
	ds_read_b128 v[19:22], v1 offset:1360
	v_add_f64 v[27:28], v[27:28], v[55:56]
	v_add_f64 v[2:3], v[2:3], v[49:50]
	s_waitcnt vmcnt(17) lgkmcnt(1)
	v_mul_f64 v[45:46], v[15:16], v[39:40]
	v_mul_f64 v[39:40], v[17:18], v[39:40]
	;; [unrolled: 9-line block ×4, first 2 shown]
	s_waitcnt vmcnt(8)
	v_fma_f64 v[19:20], v[19:20], v[179:180], -v[31:32]
	v_fma_f64 v[21:22], v[21:22], v[179:180], v[23:24]
	v_add_f64 v[27:28], v[27:28], v[39:40]
	v_add_f64 v[2:3], v[2:3], v[37:38]
	s_waitcnt vmcnt(7) lgkmcnt(0)
	v_mul_f64 v[31:32], v[17:18], v[53:54]
	v_mul_f64 v[23:24], v[15:16], v[53:54]
	s_waitcnt vmcnt(5)
	v_fma_f64 v[11:12], v[11:12], v[35:36], -v[33:34]
	v_fma_f64 v[13:14], v[13:14], v[35:36], v[25:26]
	v_add_f64 v[19:20], v[27:28], v[19:20]
	v_add_f64 v[2:3], v[2:3], v[21:22]
	s_waitcnt vmcnt(4)
	v_fma_f64 v[15:16], v[15:16], v[174:175], -v[31:32]
	v_fma_f64 v[17:18], v[17:18], v[174:175], v[23:24]
	v_add_f64 v[11:12], v[19:20], v[11:12]
	v_add_f64 v[2:3], v[2:3], v[13:14]
	;; [unrolled: 1-line block ×4, first 2 shown]
	s_waitcnt vmcnt(2)
	v_add_f64 v[11:12], v[47:48], -v[11:12]
	s_waitcnt vmcnt(0)
	v_add_f64 v[2:3], v[51:52], -v[2:3]
	buffer_store_dword v12, off, s[0:3], 0 offset:340
	buffer_store_dword v11, off, s[0:3], 0 offset:336
	;; [unrolled: 1-line block ×4, first 2 shown]
	v_cmpx_lt_u32_e32 19, v0
	s_cbranch_execz .LBB43_239
; %bb.238:
	v_mov_b32_e32 v2, s45
	s_clause 0x3
	buffer_load_dword v11, v2, s[0:3], 0 offen
	buffer_load_dword v12, v2, s[0:3], 0 offen offset:4
	buffer_load_dword v13, v2, s[0:3], 0 offen offset:8
	;; [unrolled: 1-line block ×3, first 2 shown]
	buffer_store_dword v1, off, s[0:3], 0 offset:320
	buffer_store_dword v1, off, s[0:3], 0 offset:324
	;; [unrolled: 1-line block ×4, first 2 shown]
	s_waitcnt vmcnt(0)
	ds_write_b128 v149, v[11:14]
.LBB43_239:
	s_or_b32 exec_lo, exec_lo, s4
	s_waitcnt lgkmcnt(0)
	s_waitcnt_vscnt null, 0x0
	s_barrier
	buffer_gl0_inv
	s_clause 0x37
	buffer_load_dword v2, off, s[0:3], 0 offset:344
	buffer_load_dword v3, off, s[0:3], 0 offset:348
	;; [unrolled: 1-line block ×56, first 2 shown]
	ds_read_b128 v[11:14], v1 offset:1024
	s_clause 0x2
	buffer_load_dword v159, off, s[0:3], 0 offset:572
	buffer_load_dword v163, off, s[0:3], 0 offset:548
	;; [unrolled: 1-line block ×3, first 2 shown]
	ds_read_b128 v[15:18], v1 offset:1040
	s_clause 0x4
	buffer_load_dword v167, off, s[0:3], 0 offset:588
	buffer_load_dword v168, off, s[0:3], 0 offset:600
	;; [unrolled: 1-line block ×5, first 2 shown]
	ds_read_b128 v[19:22], v1 offset:1056
	s_mov_b32 s4, exec_lo
	s_waitcnt vmcnt(62) lgkmcnt(2)
	v_mul_f64 v[164:165], v[13:14], v[2:3]
	v_mul_f64 v[2:3], v[11:12], v[2:3]
	s_waitcnt vmcnt(60) lgkmcnt(1)
	v_mul_f64 v[171:172], v[17:18], v[23:24]
	v_mul_f64 v[23:24], v[15:16], v[23:24]
	;; [unrolled: 3-line block ×3, first 2 shown]
	v_fma_f64 v[164:165], v[11:12], v[25:26], -v[164:165]
	v_fma_f64 v[2:3], v[13:14], v[25:26], v[2:3]
	s_clause 0x2
	buffer_load_dword v169, off, s[0:3], 0 offset:604
	buffer_load_dword v26, off, s[0:3], 0 offset:580
	;; [unrolled: 1-line block ×3, first 2 shown]
	s_waitcnt vmcnt(57)
	v_fma_f64 v[175:176], v[15:16], v[31:32], -v[171:172]
	ds_read_b128 v[11:14], v1 offset:1072
	v_fma_f64 v[23:24], v[17:18], v[31:32], v[23:24]
	s_clause 0x4
	buffer_load_dword v32, off, s[0:3], 0 offset:620
	buffer_load_dword v172, off, s[0:3], 0 offset:632
	;; [unrolled: 1-line block ×5, first 2 shown]
	s_waitcnt vmcnt(56)
	v_fma_f64 v[27:28], v[19:20], v[39:40], -v[27:28]
	ds_read_b128 v[15:18], v1 offset:1088
	v_fma_f64 v[39:40], v[21:22], v[39:40], v[173:174]
	v_add_f64 v[164:165], v[164:165], 0
	v_add_f64 v[2:3], v[2:3], 0
	s_waitcnt lgkmcnt(1)
	v_mul_f64 v[178:179], v[11:12], v[33:34]
	v_mul_f64 v[33:34], v[13:14], v[33:34]
	v_add_f64 v[164:165], v[164:165], v[175:176]
	v_add_f64 v[2:3], v[2:3], v[23:24]
	s_clause 0x2
	buffer_load_dword v173, off, s[0:3], 0 offset:636
	buffer_load_dword v24, off, s[0:3], 0 offset:612
	;; [unrolled: 1-line block ×3, first 2 shown]
	s_waitcnt vmcnt(58) lgkmcnt(0)
	v_mul_f64 v[174:175], v[15:16], v[35:36]
	v_mul_f64 v[35:36], v[17:18], v[35:36]
	s_waitcnt vmcnt(56)
	v_fma_f64 v[33:34], v[11:12], v[45:46], -v[33:34]
	ds_read_b128 v[19:22], v1 offset:1104
	v_fma_f64 v[45:46], v[13:14], v[45:46], v[178:179]
	v_add_f64 v[27:28], v[164:165], v[27:28]
	v_add_f64 v[2:3], v[2:3], v[39:40]
	s_clause 0x4
	buffer_load_dword v40, off, s[0:3], 0 offset:652
	buffer_load_dword v164, off, s[0:3], 0 offset:664
	;; [unrolled: 1-line block ×5, first 2 shown]
	ds_read_b128 v[11:14], v1 offset:1120
	s_waitcnt vmcnt(57) lgkmcnt(1)
	v_mul_f64 v[180:181], v[19:20], v[47:48]
	v_mul_f64 v[47:48], v[21:22], v[47:48]
	s_waitcnt vmcnt(56)
	v_fma_f64 v[35:36], v[15:16], v[37:38], -v[35:36]
	v_add_f64 v[27:28], v[27:28], v[33:34]
	v_fma_f64 v[33:34], v[17:18], v[37:38], v[174:175]
	v_add_f64 v[2:3], v[2:3], v[45:46]
	s_clause 0x2
	buffer_load_dword v165, off, s[0:3], 0 offset:668
	buffer_load_dword v38, off, s[0:3], 0 offset:644
	;; [unrolled: 1-line block ×3, first 2 shown]
	s_waitcnt vmcnt(58) lgkmcnt(0)
	v_mul_f64 v[45:46], v[11:12], v[49:50]
	v_mul_f64 v[49:50], v[13:14], v[49:50]
	s_waitcnt vmcnt(56)
	v_fma_f64 v[47:48], v[19:20], v[53:54], -v[47:48]
	ds_read_b128 v[15:18], v1 offset:1136
	v_add_f64 v[27:28], v[27:28], v[35:36]
	v_fma_f64 v[35:36], v[21:22], v[53:54], v[180:181]
	v_add_f64 v[2:3], v[2:3], v[33:34]
	s_clause 0x4
	buffer_load_dword v34, off, s[0:3], 0 offset:684
	buffer_load_dword v53, off, s[0:3], 0 offset:696
	;; [unrolled: 1-line block ×5, first 2 shown]
	ds_read_b128 v[19:22], v1 offset:1152
	s_waitcnt vmcnt(57) lgkmcnt(1)
	v_mul_f64 v[175:176], v[15:16], v[55:56]
	v_mul_f64 v[55:56], v[17:18], v[55:56]
	s_waitcnt vmcnt(56)
	v_fma_f64 v[49:50], v[11:12], v[51:52], -v[49:50]
	v_fma_f64 v[45:46], v[13:14], v[51:52], v[45:46]
	v_add_f64 v[27:28], v[27:28], v[47:48]
	v_add_f64 v[2:3], v[2:3], v[35:36]
	s_clause 0x2
	buffer_load_dword v54, off, s[0:3], 0 offset:700
	buffer_load_dword v36, off, s[0:3], 0 offset:676
	;; [unrolled: 1-line block ×3, first 2 shown]
	s_waitcnt vmcnt(58) lgkmcnt(0)
	v_mul_f64 v[51:52], v[21:22], v[57:58]
	ds_read_b128 v[11:14], v1 offset:1168
	s_waitcnt vmcnt(56)
	v_fma_f64 v[55:56], v[15:16], v[65:66], -v[55:56]
	v_mul_f64 v[47:48], v[19:20], v[57:58]
	v_add_f64 v[27:28], v[27:28], v[49:50]
	v_fma_f64 v[49:50], v[17:18], v[65:66], v[175:176]
	v_add_f64 v[2:3], v[2:3], v[45:46]
	s_clause 0x2
	buffer_load_dword v46, off, s[0:3], 0 offset:716
	buffer_load_dword v45, off, s[0:3], 0 offset:712
	;; [unrolled: 1-line block ×3, first 2 shown]
	s_waitcnt vmcnt(55) lgkmcnt(0)
	v_mul_f64 v[65:66], v[13:14], v[67:68]
	s_waitcnt vmcnt(54)
	v_fma_f64 v[51:52], v[19:20], v[59:60], -v[51:52]
	ds_read_b128 v[15:18], v1 offset:1184
	v_mul_f64 v[57:58], v[11:12], v[67:68]
	v_fma_f64 v[47:48], v[21:22], v[59:60], v[47:48]
	v_add_f64 v[27:28], v[27:28], v[55:56]
	v_add_f64 v[2:3], v[2:3], v[49:50]
	s_clause 0x1
	buffer_load_dword v50, off, s[0:3], 0 offset:708
	buffer_load_dword v49, off, s[0:3], 0 offset:704
	s_waitcnt vmcnt(55) lgkmcnt(0)
	v_mul_f64 v[59:60], v[17:18], v[69:70]
	s_waitcnt vmcnt(53)
	v_fma_f64 v[65:66], v[11:12], v[145:146], -v[65:66]
	ds_read_b128 v[19:22], v1 offset:1200
	v_mul_f64 v[55:56], v[15:16], v[69:70]
	v_add_f64 v[27:28], v[27:28], v[51:52]
	v_fma_f64 v[51:52], v[13:14], v[145:146], v[57:58]
	v_add_f64 v[2:3], v[2:3], v[47:48]
	ds_read_b128 v[11:14], v1 offset:1216
	s_waitcnt vmcnt(49) lgkmcnt(1)
	v_mul_f64 v[57:58], v[21:22], v[147:148]
	s_waitcnt vmcnt(48)
	v_fma_f64 v[59:60], v[15:16], v[71:72], -v[59:60]
	v_mul_f64 v[47:48], v[19:20], v[147:148]
	v_fma_f64 v[55:56], v[17:18], v[71:72], v[55:56]
	v_add_f64 v[27:28], v[27:28], v[65:66]
	s_waitcnt vmcnt(47) lgkmcnt(0)
	v_mul_f64 v[69:70], v[13:14], v[150:151]
	v_add_f64 v[2:3], v[2:3], v[51:52]
	s_clause 0x3
	buffer_load_dword v51, off, s[0:3], 0 offset:320
	buffer_load_dword v52, off, s[0:3], 0 offset:324
	;; [unrolled: 1-line block ×4, first 2 shown]
	s_waitcnt vmcnt(49)
	v_fma_f64 v[57:58], v[19:20], v[154:155], -v[57:58]
	ds_read_b128 v[15:18], v1 offset:1232
	v_mul_f64 v[67:68], v[11:12], v[150:151]
	v_fma_f64 v[47:48], v[21:22], v[154:155], v[47:48]
	ds_read_b128 v[19:22], v1 offset:1248
	v_add_f64 v[27:28], v[27:28], v[59:60]
	s_waitcnt vmcnt(44)
	v_fma_f64 v[69:70], v[11:12], v[152:153], -v[69:70]
	v_add_f64 v[2:3], v[2:3], v[55:56]
	s_waitcnt lgkmcnt(1)
	v_mul_f64 v[59:60], v[17:18], v[156:157]
	v_mul_f64 v[55:56], v[15:16], v[156:157]
	v_add_f64 v[27:28], v[27:28], v[57:58]
	v_fma_f64 v[57:58], v[13:14], v[152:153], v[67:68]
	v_add_f64 v[2:3], v[2:3], v[47:48]
	s_waitcnt vmcnt(43) lgkmcnt(0)
	v_mul_f64 v[67:68], v[21:22], v[158:159]
	s_waitcnt vmcnt(41)
	v_fma_f64 v[59:60], v[15:16], v[162:163], -v[59:60]
	ds_read_b128 v[11:14], v1 offset:1264
	v_mul_f64 v[47:48], v[19:20], v[158:159]
	v_fma_f64 v[55:56], v[17:18], v[162:163], v[55:56]
	ds_read_b128 v[15:18], v1 offset:1280
	v_add_f64 v[27:28], v[27:28], v[69:70]
	v_add_f64 v[2:3], v[2:3], v[57:58]
	s_waitcnt vmcnt(37) lgkmcnt(1)
	v_mul_f64 v[69:70], v[13:14], v[166:167]
	s_waitcnt vmcnt(36)
	v_fma_f64 v[67:68], v[19:20], v[160:161], -v[67:68]
	v_mul_f64 v[57:58], v[11:12], v[166:167]
	v_fma_f64 v[47:48], v[21:22], v[160:161], v[47:48]
	ds_read_b128 v[19:22], v1 offset:1296
	v_add_f64 v[27:28], v[27:28], v[59:60]
	v_add_f64 v[2:3], v[2:3], v[55:56]
	s_waitcnt vmcnt(35) lgkmcnt(1)
	v_mul_f64 v[59:60], v[17:18], v[168:169]
	v_mul_f64 v[55:56], v[15:16], v[168:169]
	s_waitcnt vmcnt(33)
	v_fma_f64 v[69:70], v[11:12], v[25:26], -v[69:70]
	v_fma_f64 v[25:26], v[13:14], v[25:26], v[57:58]
	ds_read_b128 v[11:14], v1 offset:1312
	v_add_f64 v[27:28], v[27:28], v[67:68]
	v_add_f64 v[2:3], v[2:3], v[47:48]
	s_waitcnt vmcnt(29) lgkmcnt(1)
	v_mul_f64 v[47:48], v[19:20], v[31:32]
	v_mul_f64 v[31:32], v[21:22], v[31:32]
	s_waitcnt vmcnt(28)
	v_fma_f64 v[57:58], v[15:16], v[170:171], -v[59:60]
	;; [unrolled: 9-line block ×6, first 2 shown]
	v_fma_f64 v[21:22], v[21:22], v[179:180], v[23:24]
	v_add_f64 v[27:28], v[27:28], v[39:40]
	v_add_f64 v[23:24], v[2:3], v[37:38]
	ds_read_b128 v[1:4], v1 offset:1392
	s_waitcnt vmcnt(11) lgkmcnt(1)
	v_mul_f64 v[37:38], v[17:18], v[53:54]
	v_mul_f64 v[31:32], v[15:16], v[53:54]
	s_waitcnt vmcnt(9)
	v_fma_f64 v[11:12], v[11:12], v[35:36], -v[33:34]
	v_fma_f64 v[13:14], v[13:14], v[35:36], v[25:26]
	v_add_f64 v[19:20], v[27:28], v[19:20]
	v_add_f64 v[21:22], v[23:24], v[21:22]
	s_waitcnt vmcnt(7) lgkmcnt(0)
	v_mul_f64 v[25:26], v[3:4], v[45:46]
	s_waitcnt vmcnt(6)
	v_fma_f64 v[15:16], v[15:16], v[174:175], -v[37:38]
	v_mul_f64 v[23:24], v[1:2], v[45:46]
	v_fma_f64 v[17:18], v[17:18], v[174:175], v[31:32]
	v_add_f64 v[11:12], v[19:20], v[11:12]
	v_add_f64 v[13:14], v[21:22], v[13:14]
	s_waitcnt vmcnt(4)
	v_fma_f64 v[1:2], v[1:2], v[49:50], -v[25:26]
	v_fma_f64 v[3:4], v[3:4], v[49:50], v[23:24]
	v_add_f64 v[11:12], v[11:12], v[15:16]
	v_add_f64 v[13:14], v[13:14], v[17:18]
	;; [unrolled: 1-line block ×4, first 2 shown]
	s_waitcnt vmcnt(2)
	v_add_f64 v[1:2], v[51:52], -v[1:2]
	s_waitcnt vmcnt(0)
	v_add_f64 v[3:4], v[65:66], -v[3:4]
	buffer_store_dword v2, off, s[0:3], 0 offset:324
	buffer_store_dword v1, off, s[0:3], 0 offset:320
	;; [unrolled: 1-line block ×4, first 2 shown]
	v_cmpx_lt_u32_e32 18, v0
	s_cbranch_execz .LBB43_241
; %bb.240:
	v_mov_b32_e32 v4, s47
	v_mov_b32_e32 v11, 0
	s_clause 0x3
	buffer_load_dword v1, v4, s[0:3], 0 offen
	buffer_load_dword v2, v4, s[0:3], 0 offen offset:4
	buffer_load_dword v3, v4, s[0:3], 0 offen offset:8
	;; [unrolled: 1-line block ×3, first 2 shown]
	buffer_store_dword v11, off, s[0:3], 0 offset:304
	buffer_store_dword v11, off, s[0:3], 0 offset:308
	;; [unrolled: 1-line block ×4, first 2 shown]
	s_waitcnt vmcnt(0)
	ds_write_b128 v149, v[1:4]
.LBB43_241:
	s_or_b32 exec_lo, exec_lo, s4
	s_waitcnt lgkmcnt(0)
	s_waitcnt_vscnt null, 0x0
	s_barrier
	buffer_gl0_inv
	s_clause 0x37
	buffer_load_dword v2, off, s[0:3], 0 offset:328
	buffer_load_dword v3, off, s[0:3], 0 offset:332
	;; [unrolled: 1-line block ×56, first 2 shown]
	v_mov_b32_e32 v1, 0
	s_mov_b32 s4, exec_lo
	ds_read_b128 v[11:14], v1 offset:1008
	s_clause 0x2
	buffer_load_dword v159, off, s[0:3], 0 offset:556
	buffer_load_dword v163, off, s[0:3], 0 offset:532
	;; [unrolled: 1-line block ×3, first 2 shown]
	ds_read_b128 v[15:18], v1 offset:1024
	s_clause 0x4
	buffer_load_dword v167, off, s[0:3], 0 offset:572
	buffer_load_dword v168, off, s[0:3], 0 offset:584
	;; [unrolled: 1-line block ×5, first 2 shown]
	ds_read_b128 v[19:22], v1 offset:1040
	s_waitcnt vmcnt(62) lgkmcnt(2)
	v_mul_f64 v[164:165], v[13:14], v[2:3]
	v_mul_f64 v[2:3], v[11:12], v[2:3]
	s_waitcnt vmcnt(60) lgkmcnt(1)
	v_mul_f64 v[171:172], v[17:18], v[23:24]
	v_mul_f64 v[23:24], v[15:16], v[23:24]
	;; [unrolled: 3-line block ×3, first 2 shown]
	v_fma_f64 v[164:165], v[11:12], v[25:26], -v[164:165]
	v_fma_f64 v[2:3], v[13:14], v[25:26], v[2:3]
	s_clause 0x2
	buffer_load_dword v169, off, s[0:3], 0 offset:588
	buffer_load_dword v26, off, s[0:3], 0 offset:564
	;; [unrolled: 1-line block ×3, first 2 shown]
	s_waitcnt vmcnt(57)
	v_fma_f64 v[175:176], v[15:16], v[31:32], -v[171:172]
	ds_read_b128 v[11:14], v1 offset:1056
	v_fma_f64 v[23:24], v[17:18], v[31:32], v[23:24]
	s_clause 0x4
	buffer_load_dword v32, off, s[0:3], 0 offset:604
	buffer_load_dword v172, off, s[0:3], 0 offset:616
	;; [unrolled: 1-line block ×5, first 2 shown]
	s_waitcnt vmcnt(56)
	v_fma_f64 v[27:28], v[19:20], v[39:40], -v[27:28]
	ds_read_b128 v[15:18], v1 offset:1072
	v_fma_f64 v[39:40], v[21:22], v[39:40], v[173:174]
	v_add_f64 v[164:165], v[164:165], 0
	v_add_f64 v[2:3], v[2:3], 0
	s_waitcnt lgkmcnt(1)
	v_mul_f64 v[178:179], v[11:12], v[33:34]
	v_mul_f64 v[33:34], v[13:14], v[33:34]
	v_add_f64 v[164:165], v[164:165], v[175:176]
	v_add_f64 v[2:3], v[2:3], v[23:24]
	s_clause 0x2
	buffer_load_dword v173, off, s[0:3], 0 offset:620
	buffer_load_dword v24, off, s[0:3], 0 offset:596
	;; [unrolled: 1-line block ×3, first 2 shown]
	s_waitcnt vmcnt(58) lgkmcnt(0)
	v_mul_f64 v[174:175], v[15:16], v[35:36]
	v_mul_f64 v[35:36], v[17:18], v[35:36]
	s_waitcnt vmcnt(56)
	v_fma_f64 v[33:34], v[11:12], v[45:46], -v[33:34]
	ds_read_b128 v[19:22], v1 offset:1088
	v_fma_f64 v[45:46], v[13:14], v[45:46], v[178:179]
	v_add_f64 v[27:28], v[164:165], v[27:28]
	v_add_f64 v[2:3], v[2:3], v[39:40]
	s_clause 0x4
	buffer_load_dword v40, off, s[0:3], 0 offset:636
	buffer_load_dword v164, off, s[0:3], 0 offset:648
	;; [unrolled: 1-line block ×5, first 2 shown]
	ds_read_b128 v[11:14], v1 offset:1104
	s_waitcnt vmcnt(57) lgkmcnt(1)
	v_mul_f64 v[180:181], v[19:20], v[47:48]
	v_mul_f64 v[47:48], v[21:22], v[47:48]
	s_waitcnt vmcnt(56)
	v_fma_f64 v[35:36], v[15:16], v[37:38], -v[35:36]
	v_add_f64 v[27:28], v[27:28], v[33:34]
	v_fma_f64 v[33:34], v[17:18], v[37:38], v[174:175]
	v_add_f64 v[2:3], v[2:3], v[45:46]
	s_clause 0x2
	buffer_load_dword v165, off, s[0:3], 0 offset:652
	buffer_load_dword v38, off, s[0:3], 0 offset:628
	;; [unrolled: 1-line block ×3, first 2 shown]
	s_waitcnt vmcnt(58) lgkmcnt(0)
	v_mul_f64 v[45:46], v[11:12], v[49:50]
	v_mul_f64 v[49:50], v[13:14], v[49:50]
	s_waitcnt vmcnt(56)
	v_fma_f64 v[47:48], v[19:20], v[53:54], -v[47:48]
	ds_read_b128 v[15:18], v1 offset:1120
	v_add_f64 v[27:28], v[27:28], v[35:36]
	v_fma_f64 v[35:36], v[21:22], v[53:54], v[180:181]
	v_add_f64 v[2:3], v[2:3], v[33:34]
	s_clause 0x4
	buffer_load_dword v34, off, s[0:3], 0 offset:668
	buffer_load_dword v53, off, s[0:3], 0 offset:680
	;; [unrolled: 1-line block ×5, first 2 shown]
	ds_read_b128 v[19:22], v1 offset:1136
	s_waitcnt vmcnt(57) lgkmcnt(1)
	v_mul_f64 v[175:176], v[15:16], v[55:56]
	v_mul_f64 v[55:56], v[17:18], v[55:56]
	s_waitcnt vmcnt(56)
	v_fma_f64 v[49:50], v[11:12], v[51:52], -v[49:50]
	v_fma_f64 v[45:46], v[13:14], v[51:52], v[45:46]
	v_add_f64 v[27:28], v[27:28], v[47:48]
	v_add_f64 v[2:3], v[2:3], v[35:36]
	s_clause 0x2
	buffer_load_dword v54, off, s[0:3], 0 offset:684
	buffer_load_dword v36, off, s[0:3], 0 offset:660
	;; [unrolled: 1-line block ×3, first 2 shown]
	s_waitcnt vmcnt(58) lgkmcnt(0)
	v_mul_f64 v[51:52], v[21:22], v[57:58]
	ds_read_b128 v[11:14], v1 offset:1152
	s_waitcnt vmcnt(56)
	v_fma_f64 v[55:56], v[15:16], v[65:66], -v[55:56]
	v_mul_f64 v[47:48], v[19:20], v[57:58]
	v_add_f64 v[27:28], v[27:28], v[49:50]
	v_fma_f64 v[49:50], v[17:18], v[65:66], v[175:176]
	v_add_f64 v[2:3], v[2:3], v[45:46]
	s_clause 0x4
	buffer_load_dword v46, off, s[0:3], 0 offset:700
	buffer_load_dword v57, off, s[0:3], 0 offset:712
	;; [unrolled: 1-line block ×5, first 2 shown]
	s_waitcnt vmcnt(57) lgkmcnt(0)
	v_mul_f64 v[181:182], v[11:12], v[67:68]
	v_mul_f64 v[66:67], v[13:14], v[67:68]
	s_waitcnt vmcnt(56)
	v_fma_f64 v[51:52], v[19:20], v[59:60], -v[51:52]
	ds_read_b128 v[15:18], v1 offset:1168
	v_fma_f64 v[47:48], v[21:22], v[59:60], v[47:48]
	v_add_f64 v[27:28], v[27:28], v[55:56]
	v_add_f64 v[2:3], v[2:3], v[49:50]
	s_clause 0x2
	buffer_load_dword v58, off, s[0:3], 0 offset:716
	buffer_load_dword v50, off, s[0:3], 0 offset:692
	;; [unrolled: 1-line block ×3, first 2 shown]
	ds_read_b128 v[19:22], v1 offset:1184
	s_waitcnt vmcnt(58) lgkmcnt(1)
	v_mul_f64 v[59:60], v[17:18], v[69:70]
	s_waitcnt vmcnt(56)
	v_fma_f64 v[67:68], v[11:12], v[145:146], -v[66:67]
	v_mul_f64 v[55:56], v[15:16], v[69:70]
	buffer_load_dword v66, off, s[0:3], 0 offset:708
	v_add_f64 v[27:28], v[27:28], v[51:52]
	v_fma_f64 v[51:52], v[13:14], v[145:146], v[181:182]
	v_add_f64 v[2:3], v[2:3], v[47:48]
	ds_read_b128 v[11:14], v1 offset:1200
	s_waitcnt vmcnt(53) lgkmcnt(1)
	v_mul_f64 v[69:70], v[21:22], v[147:148]
	s_waitcnt vmcnt(52)
	v_fma_f64 v[59:60], v[15:16], v[71:72], -v[59:60]
	v_mul_f64 v[47:48], v[19:20], v[147:148]
	v_fma_f64 v[55:56], v[17:18], v[71:72], v[55:56]
	ds_read_b128 v[15:18], v1 offset:1216
	v_add_f64 v[27:28], v[27:28], v[67:68]
	s_waitcnt vmcnt(51) lgkmcnt(1)
	v_mul_f64 v[67:68], v[13:14], v[150:151]
	v_add_f64 v[2:3], v[2:3], v[51:52]
	v_mul_f64 v[51:52], v[11:12], v[150:151]
	s_waitcnt vmcnt(49)
	v_fma_f64 v[69:70], v[19:20], v[154:155], -v[69:70]
	v_fma_f64 v[47:48], v[21:22], v[154:155], v[47:48]
	s_waitcnt vmcnt(45) lgkmcnt(0)
	v_mul_f64 v[145:146], v[17:18], v[156:157]
	v_mul_f64 v[71:72], v[15:16], v[156:157]
	v_add_f64 v[27:28], v[27:28], v[59:60]
	s_waitcnt vmcnt(44)
	v_fma_f64 v[67:68], v[11:12], v[152:153], -v[67:68]
	v_add_f64 v[2:3], v[2:3], v[55:56]
	s_clause 0x3
	buffer_load_dword v55, off, s[0:3], 0 offset:304
	buffer_load_dword v56, off, s[0:3], 0 offset:308
	;; [unrolled: 1-line block ×4, first 2 shown]
	ds_read_b128 v[19:22], v1 offset:1232
	v_fma_f64 v[51:52], v[13:14], v[152:153], v[51:52]
	ds_read_b128 v[11:14], v1 offset:1248
	s_waitcnt vmcnt(45)
	v_fma_f64 v[145:146], v[15:16], v[162:163], -v[145:146]
	v_add_f64 v[27:28], v[27:28], v[69:70]
	v_add_f64 v[2:3], v[2:3], v[47:48]
	s_waitcnt lgkmcnt(1)
	v_mul_f64 v[69:70], v[21:22], v[158:159]
	v_mul_f64 v[47:48], v[19:20], v[158:159]
	v_add_f64 v[27:28], v[27:28], v[67:68]
	v_fma_f64 v[67:68], v[17:18], v[162:163], v[71:72]
	v_add_f64 v[2:3], v[2:3], v[51:52]
	s_waitcnt vmcnt(41) lgkmcnt(0)
	v_mul_f64 v[71:72], v[13:14], v[166:167]
	s_waitcnt vmcnt(40)
	v_fma_f64 v[69:70], v[19:20], v[160:161], -v[69:70]
	ds_read_b128 v[15:18], v1 offset:1264
	v_mul_f64 v[51:52], v[11:12], v[166:167]
	v_fma_f64 v[47:48], v[21:22], v[160:161], v[47:48]
	ds_read_b128 v[19:22], v1 offset:1280
	v_add_f64 v[27:28], v[27:28], v[145:146]
	v_add_f64 v[2:3], v[2:3], v[67:68]
	s_waitcnt vmcnt(39) lgkmcnt(1)
	v_mul_f64 v[145:146], v[17:18], v[168:169]
	v_mul_f64 v[67:68], v[15:16], v[168:169]
	s_waitcnt vmcnt(37)
	v_fma_f64 v[71:72], v[11:12], v[25:26], -v[71:72]
	v_fma_f64 v[25:26], v[13:14], v[25:26], v[51:52]
	ds_read_b128 v[11:14], v1 offset:1296
	v_add_f64 v[27:28], v[27:28], v[69:70]
	v_add_f64 v[2:3], v[2:3], v[47:48]
	s_waitcnt vmcnt(33) lgkmcnt(1)
	v_mul_f64 v[47:48], v[19:20], v[31:32]
	v_mul_f64 v[31:32], v[21:22], v[31:32]
	s_waitcnt vmcnt(32)
	v_fma_f64 v[51:52], v[15:16], v[170:171], -v[145:146]
	;; [unrolled: 9-line block ×7, first 2 shown]
	v_fma_f64 v[25:26], v[13:14], v[35:36], v[25:26]
	ds_read_b128 v[11:14], v1 offset:1392
	v_add_f64 v[27:28], v[27:28], v[31:32]
	v_add_f64 v[2:3], v[2:3], v[23:24]
	s_waitcnt vmcnt(9) lgkmcnt(1)
	v_mul_f64 v[31:32], v[21:22], v[45:46]
	s_waitcnt vmcnt(8)
	v_fma_f64 v[15:16], v[15:16], v[174:175], -v[39:40]
	v_mul_f64 v[23:24], v[19:20], v[45:46]
	v_fma_f64 v[17:18], v[17:18], v[174:175], v[37:38]
	v_add_f64 v[27:28], v[27:28], v[33:34]
	v_add_f64 v[2:3], v[2:3], v[25:26]
	s_waitcnt vmcnt(7) lgkmcnt(0)
	v_mul_f64 v[33:34], v[13:14], v[57:58]
	v_mul_f64 v[25:26], v[11:12], v[57:58]
	s_waitcnt vmcnt(5)
	v_fma_f64 v[19:20], v[19:20], v[49:50], -v[31:32]
	v_fma_f64 v[21:22], v[21:22], v[49:50], v[23:24]
	v_add_f64 v[15:16], v[27:28], v[15:16]
	v_add_f64 v[2:3], v[2:3], v[17:18]
	s_waitcnt vmcnt(4)
	v_fma_f64 v[11:12], v[11:12], v[65:66], -v[33:34]
	v_fma_f64 v[13:14], v[13:14], v[65:66], v[25:26]
	v_add_f64 v[15:16], v[15:16], v[19:20]
	v_add_f64 v[2:3], v[2:3], v[21:22]
	;; [unrolled: 1-line block ×4, first 2 shown]
	s_waitcnt vmcnt(2)
	v_add_f64 v[11:12], v[55:56], -v[11:12]
	s_waitcnt vmcnt(0)
	v_add_f64 v[2:3], v[59:60], -v[2:3]
	buffer_store_dword v12, off, s[0:3], 0 offset:308
	buffer_store_dword v11, off, s[0:3], 0 offset:304
	;; [unrolled: 1-line block ×4, first 2 shown]
	v_cmpx_lt_u32_e32 17, v0
	s_cbranch_execz .LBB43_243
; %bb.242:
	v_mov_b32_e32 v2, s48
	s_clause 0x3
	buffer_load_dword v11, v2, s[0:3], 0 offen
	buffer_load_dword v12, v2, s[0:3], 0 offen offset:4
	buffer_load_dword v13, v2, s[0:3], 0 offen offset:8
	buffer_load_dword v14, v2, s[0:3], 0 offen offset:12
	buffer_store_dword v1, off, s[0:3], 0 offset:288
	buffer_store_dword v1, off, s[0:3], 0 offset:292
	;; [unrolled: 1-line block ×4, first 2 shown]
	s_waitcnt vmcnt(0)
	ds_write_b128 v149, v[11:14]
.LBB43_243:
	s_or_b32 exec_lo, exec_lo, s4
	s_waitcnt lgkmcnt(0)
	s_waitcnt_vscnt null, 0x0
	s_barrier
	buffer_gl0_inv
	s_clause 0x37
	buffer_load_dword v2, off, s[0:3], 0 offset:312
	buffer_load_dword v3, off, s[0:3], 0 offset:316
	;; [unrolled: 1-line block ×56, first 2 shown]
	ds_read_b128 v[11:14], v1 offset:992
	s_clause 0x2
	buffer_load_dword v159, off, s[0:3], 0 offset:540
	buffer_load_dword v163, off, s[0:3], 0 offset:516
	;; [unrolled: 1-line block ×3, first 2 shown]
	ds_read_b128 v[15:18], v1 offset:1008
	s_clause 0x4
	buffer_load_dword v167, off, s[0:3], 0 offset:556
	buffer_load_dword v168, off, s[0:3], 0 offset:568
	;; [unrolled: 1-line block ×5, first 2 shown]
	ds_read_b128 v[19:22], v1 offset:1024
	s_mov_b32 s4, exec_lo
	s_waitcnt vmcnt(62) lgkmcnt(2)
	v_mul_f64 v[164:165], v[13:14], v[2:3]
	v_mul_f64 v[2:3], v[11:12], v[2:3]
	s_waitcnt vmcnt(60) lgkmcnt(1)
	v_mul_f64 v[171:172], v[17:18], v[23:24]
	v_mul_f64 v[23:24], v[15:16], v[23:24]
	;; [unrolled: 3-line block ×3, first 2 shown]
	v_fma_f64 v[164:165], v[11:12], v[25:26], -v[164:165]
	v_fma_f64 v[2:3], v[13:14], v[25:26], v[2:3]
	s_clause 0x2
	buffer_load_dword v169, off, s[0:3], 0 offset:572
	buffer_load_dword v26, off, s[0:3], 0 offset:548
	;; [unrolled: 1-line block ×3, first 2 shown]
	s_waitcnt vmcnt(57)
	v_fma_f64 v[175:176], v[15:16], v[31:32], -v[171:172]
	ds_read_b128 v[11:14], v1 offset:1040
	v_fma_f64 v[23:24], v[17:18], v[31:32], v[23:24]
	s_clause 0x4
	buffer_load_dword v32, off, s[0:3], 0 offset:588
	buffer_load_dword v172, off, s[0:3], 0 offset:600
	;; [unrolled: 1-line block ×5, first 2 shown]
	s_waitcnt vmcnt(56)
	v_fma_f64 v[27:28], v[19:20], v[39:40], -v[27:28]
	ds_read_b128 v[15:18], v1 offset:1056
	v_fma_f64 v[39:40], v[21:22], v[39:40], v[173:174]
	v_add_f64 v[164:165], v[164:165], 0
	v_add_f64 v[2:3], v[2:3], 0
	s_waitcnt lgkmcnt(1)
	v_mul_f64 v[178:179], v[11:12], v[33:34]
	v_mul_f64 v[33:34], v[13:14], v[33:34]
	v_add_f64 v[164:165], v[164:165], v[175:176]
	v_add_f64 v[2:3], v[2:3], v[23:24]
	s_clause 0x2
	buffer_load_dword v173, off, s[0:3], 0 offset:604
	buffer_load_dword v24, off, s[0:3], 0 offset:580
	buffer_load_dword v23, off, s[0:3], 0 offset:576
	s_waitcnt vmcnt(58) lgkmcnt(0)
	v_mul_f64 v[174:175], v[15:16], v[35:36]
	v_mul_f64 v[35:36], v[17:18], v[35:36]
	s_waitcnt vmcnt(56)
	v_fma_f64 v[33:34], v[11:12], v[45:46], -v[33:34]
	ds_read_b128 v[19:22], v1 offset:1072
	v_fma_f64 v[45:46], v[13:14], v[45:46], v[178:179]
	v_add_f64 v[27:28], v[164:165], v[27:28]
	v_add_f64 v[2:3], v[2:3], v[39:40]
	s_clause 0x4
	buffer_load_dword v40, off, s[0:3], 0 offset:620
	buffer_load_dword v164, off, s[0:3], 0 offset:632
	;; [unrolled: 1-line block ×5, first 2 shown]
	ds_read_b128 v[11:14], v1 offset:1088
	s_waitcnt vmcnt(57) lgkmcnt(1)
	v_mul_f64 v[180:181], v[19:20], v[47:48]
	v_mul_f64 v[47:48], v[21:22], v[47:48]
	s_waitcnt vmcnt(56)
	v_fma_f64 v[35:36], v[15:16], v[37:38], -v[35:36]
	v_add_f64 v[27:28], v[27:28], v[33:34]
	v_fma_f64 v[33:34], v[17:18], v[37:38], v[174:175]
	v_add_f64 v[2:3], v[2:3], v[45:46]
	s_clause 0x2
	buffer_load_dword v165, off, s[0:3], 0 offset:636
	buffer_load_dword v38, off, s[0:3], 0 offset:612
	;; [unrolled: 1-line block ×3, first 2 shown]
	s_waitcnt vmcnt(58) lgkmcnt(0)
	v_mul_f64 v[45:46], v[11:12], v[49:50]
	v_mul_f64 v[49:50], v[13:14], v[49:50]
	s_waitcnt vmcnt(56)
	v_fma_f64 v[47:48], v[19:20], v[53:54], -v[47:48]
	ds_read_b128 v[15:18], v1 offset:1104
	v_add_f64 v[27:28], v[27:28], v[35:36]
	v_fma_f64 v[35:36], v[21:22], v[53:54], v[180:181]
	v_add_f64 v[2:3], v[2:3], v[33:34]
	s_clause 0x4
	buffer_load_dword v34, off, s[0:3], 0 offset:652
	buffer_load_dword v53, off, s[0:3], 0 offset:664
	;; [unrolled: 1-line block ×5, first 2 shown]
	ds_read_b128 v[19:22], v1 offset:1120
	s_waitcnt vmcnt(57) lgkmcnt(1)
	v_mul_f64 v[175:176], v[15:16], v[55:56]
	v_mul_f64 v[55:56], v[17:18], v[55:56]
	s_waitcnt vmcnt(56)
	v_fma_f64 v[49:50], v[11:12], v[51:52], -v[49:50]
	v_fma_f64 v[45:46], v[13:14], v[51:52], v[45:46]
	v_add_f64 v[27:28], v[27:28], v[47:48]
	v_add_f64 v[2:3], v[2:3], v[35:36]
	s_clause 0x2
	buffer_load_dword v54, off, s[0:3], 0 offset:668
	buffer_load_dword v36, off, s[0:3], 0 offset:644
	;; [unrolled: 1-line block ×3, first 2 shown]
	s_waitcnt vmcnt(58) lgkmcnt(0)
	v_mul_f64 v[51:52], v[21:22], v[57:58]
	ds_read_b128 v[11:14], v1 offset:1136
	s_waitcnt vmcnt(56)
	v_fma_f64 v[55:56], v[15:16], v[65:66], -v[55:56]
	v_mul_f64 v[47:48], v[19:20], v[57:58]
	v_add_f64 v[27:28], v[27:28], v[49:50]
	v_fma_f64 v[49:50], v[17:18], v[65:66], v[175:176]
	v_add_f64 v[2:3], v[2:3], v[45:46]
	s_clause 0x4
	buffer_load_dword v46, off, s[0:3], 0 offset:684
	buffer_load_dword v57, off, s[0:3], 0 offset:696
	;; [unrolled: 1-line block ×5, first 2 shown]
	s_waitcnt vmcnt(57) lgkmcnt(0)
	v_mul_f64 v[181:182], v[11:12], v[67:68]
	v_mul_f64 v[66:67], v[13:14], v[67:68]
	s_waitcnt vmcnt(56)
	v_fma_f64 v[51:52], v[19:20], v[59:60], -v[51:52]
	ds_read_b128 v[15:18], v1 offset:1152
	v_fma_f64 v[47:48], v[21:22], v[59:60], v[47:48]
	v_add_f64 v[27:28], v[27:28], v[55:56]
	v_add_f64 v[2:3], v[2:3], v[49:50]
	s_clause 0x2
	buffer_load_dword v58, off, s[0:3], 0 offset:700
	buffer_load_dword v50, off, s[0:3], 0 offset:676
	;; [unrolled: 1-line block ×3, first 2 shown]
	ds_read_b128 v[19:22], v1 offset:1168
	s_waitcnt vmcnt(58) lgkmcnt(1)
	v_mul_f64 v[59:60], v[17:18], v[69:70]
	s_waitcnt vmcnt(56)
	v_fma_f64 v[67:68], v[11:12], v[145:146], -v[66:67]
	v_mul_f64 v[55:56], v[15:16], v[69:70]
	v_add_f64 v[27:28], v[27:28], v[51:52]
	v_fma_f64 v[51:52], v[13:14], v[145:146], v[181:182]
	v_add_f64 v[2:3], v[2:3], v[47:48]
	s_clause 0x2
	buffer_load_dword v48, off, s[0:3], 0 offset:716
	buffer_load_dword v47, off, s[0:3], 0 offset:712
	;; [unrolled: 1-line block ×3, first 2 shown]
	s_waitcnt vmcnt(55) lgkmcnt(0)
	v_mul_f64 v[145:146], v[21:22], v[147:148]
	s_waitcnt vmcnt(54)
	v_fma_f64 v[59:60], v[15:16], v[71:72], -v[59:60]
	ds_read_b128 v[11:14], v1 offset:1184
	v_mul_f64 v[69:70], v[19:20], v[147:148]
	v_fma_f64 v[55:56], v[17:18], v[71:72], v[55:56]
	v_add_f64 v[27:28], v[27:28], v[67:68]
	v_add_f64 v[2:3], v[2:3], v[51:52]
	s_clause 0x1
	buffer_load_dword v52, off, s[0:3], 0 offset:708
	buffer_load_dword v51, off, s[0:3], 0 offset:704
	s_waitcnt vmcnt(55) lgkmcnt(0)
	v_mul_f64 v[71:72], v[13:14], v[150:151]
	s_waitcnt vmcnt(53)
	v_fma_f64 v[145:146], v[19:20], v[154:155], -v[145:146]
	ds_read_b128 v[15:18], v1 offset:1200
	v_mul_f64 v[67:68], v[11:12], v[150:151]
	v_add_f64 v[27:28], v[27:28], v[59:60]
	v_fma_f64 v[59:60], v[21:22], v[154:155], v[69:70]
	v_add_f64 v[2:3], v[2:3], v[55:56]
	ds_read_b128 v[19:22], v1 offset:1216
	s_waitcnt vmcnt(49) lgkmcnt(1)
	v_mul_f64 v[69:70], v[17:18], v[156:157]
	s_waitcnt vmcnt(48)
	v_fma_f64 v[71:72], v[11:12], v[152:153], -v[71:72]
	v_mul_f64 v[55:56], v[15:16], v[156:157]
	v_fma_f64 v[67:68], v[13:14], v[152:153], v[67:68]
	v_add_f64 v[27:28], v[27:28], v[145:146]
	s_waitcnt vmcnt(47) lgkmcnt(0)
	v_mul_f64 v[150:151], v[21:22], v[158:159]
	v_add_f64 v[2:3], v[2:3], v[59:60]
	s_clause 0x3
	buffer_load_dword v59, off, s[0:3], 0 offset:288
	buffer_load_dword v60, off, s[0:3], 0 offset:292
	;; [unrolled: 1-line block ×4, first 2 shown]
	s_waitcnt vmcnt(49)
	v_fma_f64 v[69:70], v[15:16], v[162:163], -v[69:70]
	ds_read_b128 v[11:14], v1 offset:1232
	v_mul_f64 v[147:148], v[19:20], v[158:159]
	v_fma_f64 v[55:56], v[17:18], v[162:163], v[55:56]
	ds_read_b128 v[15:18], v1 offset:1248
	v_add_f64 v[27:28], v[27:28], v[71:72]
	s_waitcnt vmcnt(44)
	v_fma_f64 v[150:151], v[19:20], v[160:161], -v[150:151]
	v_add_f64 v[2:3], v[2:3], v[67:68]
	s_waitcnt lgkmcnt(1)
	v_mul_f64 v[71:72], v[13:14], v[166:167]
	v_mul_f64 v[67:68], v[11:12], v[166:167]
	v_add_f64 v[27:28], v[27:28], v[69:70]
	v_fma_f64 v[69:70], v[21:22], v[160:161], v[147:148]
	v_add_f64 v[2:3], v[2:3], v[55:56]
	ds_read_b128 v[19:22], v1 offset:1264
	s_waitcnt vmcnt(43) lgkmcnt(1)
	v_mul_f64 v[147:148], v[17:18], v[168:169]
	v_mul_f64 v[55:56], v[15:16], v[168:169]
	s_waitcnt vmcnt(41)
	v_fma_f64 v[71:72], v[11:12], v[25:26], -v[71:72]
	v_fma_f64 v[25:26], v[13:14], v[25:26], v[67:68]
	ds_read_b128 v[11:14], v1 offset:1280
	v_add_f64 v[27:28], v[27:28], v[150:151]
	s_waitcnt vmcnt(37) lgkmcnt(1)
	v_mul_f64 v[67:68], v[19:20], v[31:32]
	v_add_f64 v[2:3], v[2:3], v[69:70]
	v_mul_f64 v[31:32], v[21:22], v[31:32]
	s_waitcnt vmcnt(36)
	v_fma_f64 v[69:70], v[15:16], v[170:171], -v[147:148]
	v_fma_f64 v[55:56], v[17:18], v[170:171], v[55:56]
	ds_read_b128 v[15:18], v1 offset:1296
	v_add_f64 v[27:28], v[27:28], v[71:72]
	v_add_f64 v[2:3], v[2:3], v[25:26]
	s_waitcnt vmcnt(35) lgkmcnt(1)
	v_mul_f64 v[71:72], v[13:14], v[172:173]
	v_mul_f64 v[25:26], v[11:12], v[172:173]
	s_waitcnt vmcnt(33)
	v_fma_f64 v[31:32], v[19:20], v[23:24], -v[31:32]
	v_fma_f64 v[23:24], v[21:22], v[23:24], v[67:68]
	ds_read_b128 v[19:22], v1 offset:1312
	v_add_f64 v[27:28], v[27:28], v[69:70]
	v_add_f64 v[2:3], v[2:3], v[55:56]
	s_waitcnt vmcnt(29) lgkmcnt(1)
	v_mul_f64 v[55:56], v[15:16], v[39:40]
	;; [unrolled: 9-line block ×6, first 2 shown]
	s_waitcnt vmcnt(12)
	v_fma_f64 v[15:16], v[15:16], v[174:175], -v[39:40]
	v_mul_f64 v[23:24], v[19:20], v[45:46]
	v_fma_f64 v[17:18], v[17:18], v[174:175], v[37:38]
	v_add_f64 v[27:28], v[27:28], v[33:34]
	v_add_f64 v[25:26], v[2:3], v[25:26]
	ds_read_b128 v[1:4], v1 offset:1392
	s_waitcnt vmcnt(11) lgkmcnt(1)
	v_mul_f64 v[35:36], v[13:14], v[57:58]
	v_mul_f64 v[33:34], v[11:12], v[57:58]
	s_waitcnt vmcnt(9)
	v_fma_f64 v[19:20], v[19:20], v[49:50], -v[31:32]
	v_fma_f64 v[21:22], v[21:22], v[49:50], v[23:24]
	v_add_f64 v[15:16], v[27:28], v[15:16]
	v_add_f64 v[17:18], v[25:26], v[17:18]
	s_waitcnt vmcnt(7) lgkmcnt(0)
	v_mul_f64 v[25:26], v[3:4], v[47:48]
	s_waitcnt vmcnt(6)
	v_fma_f64 v[11:12], v[11:12], v[65:66], -v[35:36]
	v_mul_f64 v[23:24], v[1:2], v[47:48]
	v_fma_f64 v[13:14], v[13:14], v[65:66], v[33:34]
	v_add_f64 v[15:16], v[15:16], v[19:20]
	v_add_f64 v[17:18], v[17:18], v[21:22]
	s_waitcnt vmcnt(4)
	v_fma_f64 v[1:2], v[1:2], v[51:52], -v[25:26]
	v_fma_f64 v[3:4], v[3:4], v[51:52], v[23:24]
	v_add_f64 v[11:12], v[15:16], v[11:12]
	v_add_f64 v[13:14], v[17:18], v[13:14]
	;; [unrolled: 1-line block ×4, first 2 shown]
	s_waitcnt vmcnt(2)
	v_add_f64 v[1:2], v[59:60], -v[1:2]
	s_waitcnt vmcnt(0)
	v_add_f64 v[3:4], v[145:146], -v[3:4]
	buffer_store_dword v2, off, s[0:3], 0 offset:292
	buffer_store_dword v1, off, s[0:3], 0 offset:288
	;; [unrolled: 1-line block ×4, first 2 shown]
	v_cmpx_lt_u32_e32 16, v0
	s_cbranch_execz .LBB43_245
; %bb.244:
	v_mov_b32_e32 v4, s50
	v_mov_b32_e32 v11, 0
	s_clause 0x3
	buffer_load_dword v1, v4, s[0:3], 0 offen
	buffer_load_dword v2, v4, s[0:3], 0 offen offset:4
	buffer_load_dword v3, v4, s[0:3], 0 offen offset:8
	buffer_load_dword v4, v4, s[0:3], 0 offen offset:12
	buffer_store_dword v11, off, s[0:3], 0 offset:272
	buffer_store_dword v11, off, s[0:3], 0 offset:276
	;; [unrolled: 1-line block ×4, first 2 shown]
	s_waitcnt vmcnt(0)
	ds_write_b128 v149, v[1:4]
.LBB43_245:
	s_or_b32 exec_lo, exec_lo, s4
	s_waitcnt lgkmcnt(0)
	s_waitcnt_vscnt null, 0x0
	s_barrier
	buffer_gl0_inv
	s_clause 0x37
	buffer_load_dword v2, off, s[0:3], 0 offset:296
	buffer_load_dword v3, off, s[0:3], 0 offset:300
	buffer_load_dword v23, off, s[0:3], 0 offset:312
	buffer_load_dword v24, off, s[0:3], 0 offset:316
	buffer_load_dword v25, off, s[0:3], 0 offset:288
	buffer_load_dword v26, off, s[0:3], 0 offset:292
	buffer_load_dword v27, off, s[0:3], 0 offset:328
	buffer_load_dword v28, off, s[0:3], 0 offset:332
	buffer_load_dword v31, off, s[0:3], 0 offset:304
	buffer_load_dword v32, off, s[0:3], 0 offset:308
	buffer_load_dword v34, off, s[0:3], 0 offset:348
	buffer_load_dword v35, off, s[0:3], 0 offset:360
	buffer_load_dword v37, off, s[0:3], 0 offset:352
	buffer_load_dword v33, off, s[0:3], 0 offset:344
	buffer_load_dword v39, off, s[0:3], 0 offset:320
	buffer_load_dword v40, off, s[0:3], 0 offset:324
	buffer_load_dword v36, off, s[0:3], 0 offset:364
	buffer_load_dword v46, off, s[0:3], 0 offset:340
	buffer_load_dword v45, off, s[0:3], 0 offset:336
	buffer_load_dword v48, off, s[0:3], 0 offset:380
	buffer_load_dword v49, off, s[0:3], 0 offset:392
	buffer_load_dword v51, off, s[0:3], 0 offset:384
	buffer_load_dword v47, off, s[0:3], 0 offset:376
	buffer_load_dword v38, off, s[0:3], 0 offset:356
	buffer_load_dword v50, off, s[0:3], 0 offset:396
	buffer_load_dword v54, off, s[0:3], 0 offset:372
	buffer_load_dword v53, off, s[0:3], 0 offset:368
	buffer_load_dword v56, off, s[0:3], 0 offset:412
	buffer_load_dword v57, off, s[0:3], 0 offset:424
	buffer_load_dword v59, off, s[0:3], 0 offset:416
	buffer_load_dword v55, off, s[0:3], 0 offset:408
	buffer_load_dword v52, off, s[0:3], 0 offset:388
	buffer_load_dword v58, off, s[0:3], 0 offset:428
	buffer_load_dword v66, off, s[0:3], 0 offset:404
	buffer_load_dword v65, off, s[0:3], 0 offset:400
	buffer_load_dword v68, off, s[0:3], 0 offset:444
	buffer_load_dword v69, off, s[0:3], 0 offset:456
	buffer_load_dword v71, off, s[0:3], 0 offset:448
	buffer_load_dword v67, off, s[0:3], 0 offset:440
	buffer_load_dword v60, off, s[0:3], 0 offset:420
	buffer_load_dword v70, off, s[0:3], 0 offset:460
	buffer_load_dword v146, off, s[0:3], 0 offset:436
	buffer_load_dword v145, off, s[0:3], 0 offset:432
	buffer_load_dword v148, off, s[0:3], 0 offset:476
	buffer_load_dword v150, off, s[0:3], 0 offset:488
	buffer_load_dword v152, off, s[0:3], 0 offset:480
	buffer_load_dword v147, off, s[0:3], 0 offset:472
	buffer_load_dword v72, off, s[0:3], 0 offset:452
	buffer_load_dword v151, off, s[0:3], 0 offset:492
	buffer_load_dword v155, off, s[0:3], 0 offset:468
	buffer_load_dword v154, off, s[0:3], 0 offset:464
	buffer_load_dword v157, off, s[0:3], 0 offset:508
	buffer_load_dword v158, off, s[0:3], 0 offset:520
	buffer_load_dword v160, off, s[0:3], 0 offset:512
	buffer_load_dword v156, off, s[0:3], 0 offset:504
	buffer_load_dword v153, off, s[0:3], 0 offset:484
	v_mov_b32_e32 v1, 0
	s_mov_b32 s4, exec_lo
	ds_read_b128 v[11:14], v1 offset:976
	s_clause 0x2
	buffer_load_dword v159, off, s[0:3], 0 offset:524
	buffer_load_dword v163, off, s[0:3], 0 offset:500
	;; [unrolled: 1-line block ×3, first 2 shown]
	ds_read_b128 v[15:18], v1 offset:992
	s_clause 0x4
	buffer_load_dword v167, off, s[0:3], 0 offset:540
	buffer_load_dword v168, off, s[0:3], 0 offset:552
	;; [unrolled: 1-line block ×5, first 2 shown]
	ds_read_b128 v[19:22], v1 offset:1008
	s_waitcnt vmcnt(62) lgkmcnt(2)
	v_mul_f64 v[164:165], v[13:14], v[2:3]
	v_mul_f64 v[2:3], v[11:12], v[2:3]
	s_waitcnt vmcnt(60) lgkmcnt(1)
	v_mul_f64 v[171:172], v[17:18], v[23:24]
	v_mul_f64 v[23:24], v[15:16], v[23:24]
	;; [unrolled: 3-line block ×3, first 2 shown]
	v_fma_f64 v[164:165], v[11:12], v[25:26], -v[164:165]
	v_fma_f64 v[2:3], v[13:14], v[25:26], v[2:3]
	s_clause 0x2
	buffer_load_dword v169, off, s[0:3], 0 offset:556
	buffer_load_dword v26, off, s[0:3], 0 offset:532
	;; [unrolled: 1-line block ×3, first 2 shown]
	s_waitcnt vmcnt(57)
	v_fma_f64 v[175:176], v[15:16], v[31:32], -v[171:172]
	ds_read_b128 v[11:14], v1 offset:1024
	v_fma_f64 v[23:24], v[17:18], v[31:32], v[23:24]
	s_clause 0x4
	buffer_load_dword v32, off, s[0:3], 0 offset:572
	buffer_load_dword v172, off, s[0:3], 0 offset:584
	;; [unrolled: 1-line block ×5, first 2 shown]
	s_waitcnt vmcnt(56)
	v_fma_f64 v[27:28], v[19:20], v[39:40], -v[27:28]
	ds_read_b128 v[15:18], v1 offset:1040
	v_fma_f64 v[39:40], v[21:22], v[39:40], v[173:174]
	v_add_f64 v[164:165], v[164:165], 0
	v_add_f64 v[2:3], v[2:3], 0
	s_waitcnt lgkmcnt(1)
	v_mul_f64 v[178:179], v[11:12], v[33:34]
	v_mul_f64 v[33:34], v[13:14], v[33:34]
	v_add_f64 v[164:165], v[164:165], v[175:176]
	v_add_f64 v[2:3], v[2:3], v[23:24]
	s_clause 0x2
	buffer_load_dword v173, off, s[0:3], 0 offset:588
	buffer_load_dword v24, off, s[0:3], 0 offset:564
	;; [unrolled: 1-line block ×3, first 2 shown]
	s_waitcnt vmcnt(58) lgkmcnt(0)
	v_mul_f64 v[174:175], v[15:16], v[35:36]
	v_mul_f64 v[35:36], v[17:18], v[35:36]
	s_waitcnt vmcnt(56)
	v_fma_f64 v[33:34], v[11:12], v[45:46], -v[33:34]
	ds_read_b128 v[19:22], v1 offset:1056
	v_fma_f64 v[45:46], v[13:14], v[45:46], v[178:179]
	v_add_f64 v[27:28], v[164:165], v[27:28]
	v_add_f64 v[2:3], v[2:3], v[39:40]
	s_clause 0x4
	buffer_load_dword v40, off, s[0:3], 0 offset:604
	buffer_load_dword v164, off, s[0:3], 0 offset:616
	;; [unrolled: 1-line block ×5, first 2 shown]
	ds_read_b128 v[11:14], v1 offset:1072
	s_waitcnt vmcnt(57) lgkmcnt(1)
	v_mul_f64 v[180:181], v[19:20], v[47:48]
	v_mul_f64 v[47:48], v[21:22], v[47:48]
	s_waitcnt vmcnt(56)
	v_fma_f64 v[35:36], v[15:16], v[37:38], -v[35:36]
	v_add_f64 v[27:28], v[27:28], v[33:34]
	v_fma_f64 v[33:34], v[17:18], v[37:38], v[174:175]
	v_add_f64 v[2:3], v[2:3], v[45:46]
	s_clause 0x2
	buffer_load_dword v165, off, s[0:3], 0 offset:620
	buffer_load_dword v38, off, s[0:3], 0 offset:596
	;; [unrolled: 1-line block ×3, first 2 shown]
	s_waitcnt vmcnt(58) lgkmcnt(0)
	v_mul_f64 v[45:46], v[11:12], v[49:50]
	v_mul_f64 v[49:50], v[13:14], v[49:50]
	s_waitcnt vmcnt(56)
	v_fma_f64 v[47:48], v[19:20], v[53:54], -v[47:48]
	ds_read_b128 v[15:18], v1 offset:1088
	v_add_f64 v[27:28], v[27:28], v[35:36]
	v_fma_f64 v[35:36], v[21:22], v[53:54], v[180:181]
	v_add_f64 v[2:3], v[2:3], v[33:34]
	s_clause 0x4
	buffer_load_dword v34, off, s[0:3], 0 offset:636
	buffer_load_dword v53, off, s[0:3], 0 offset:648
	;; [unrolled: 1-line block ×5, first 2 shown]
	ds_read_b128 v[19:22], v1 offset:1104
	s_waitcnt vmcnt(57) lgkmcnt(1)
	v_mul_f64 v[175:176], v[15:16], v[55:56]
	v_mul_f64 v[55:56], v[17:18], v[55:56]
	s_waitcnt vmcnt(56)
	v_fma_f64 v[49:50], v[11:12], v[51:52], -v[49:50]
	v_fma_f64 v[45:46], v[13:14], v[51:52], v[45:46]
	v_add_f64 v[27:28], v[27:28], v[47:48]
	v_add_f64 v[2:3], v[2:3], v[35:36]
	s_clause 0x2
	buffer_load_dword v54, off, s[0:3], 0 offset:652
	buffer_load_dword v36, off, s[0:3], 0 offset:628
	;; [unrolled: 1-line block ×3, first 2 shown]
	s_waitcnt vmcnt(58) lgkmcnt(0)
	v_mul_f64 v[51:52], v[21:22], v[57:58]
	ds_read_b128 v[11:14], v1 offset:1120
	s_waitcnt vmcnt(56)
	v_fma_f64 v[55:56], v[15:16], v[65:66], -v[55:56]
	v_mul_f64 v[47:48], v[19:20], v[57:58]
	v_add_f64 v[27:28], v[27:28], v[49:50]
	v_fma_f64 v[49:50], v[17:18], v[65:66], v[175:176]
	v_add_f64 v[2:3], v[2:3], v[45:46]
	s_clause 0x4
	buffer_load_dword v46, off, s[0:3], 0 offset:668
	buffer_load_dword v57, off, s[0:3], 0 offset:680
	;; [unrolled: 1-line block ×5, first 2 shown]
	s_waitcnt vmcnt(57) lgkmcnt(0)
	v_mul_f64 v[181:182], v[11:12], v[67:68]
	v_mul_f64 v[66:67], v[13:14], v[67:68]
	s_waitcnt vmcnt(56)
	v_fma_f64 v[51:52], v[19:20], v[59:60], -v[51:52]
	ds_read_b128 v[15:18], v1 offset:1136
	v_fma_f64 v[47:48], v[21:22], v[59:60], v[47:48]
	v_add_f64 v[27:28], v[27:28], v[55:56]
	v_add_f64 v[2:3], v[2:3], v[49:50]
	s_clause 0x2
	buffer_load_dword v58, off, s[0:3], 0 offset:684
	buffer_load_dword v50, off, s[0:3], 0 offset:660
	;; [unrolled: 1-line block ×3, first 2 shown]
	ds_read_b128 v[19:22], v1 offset:1152
	s_waitcnt vmcnt(58) lgkmcnt(1)
	v_mul_f64 v[59:60], v[17:18], v[69:70]
	s_waitcnt vmcnt(56)
	v_fma_f64 v[67:68], v[11:12], v[145:146], -v[66:67]
	v_mul_f64 v[55:56], v[15:16], v[69:70]
	v_add_f64 v[27:28], v[27:28], v[51:52]
	v_fma_f64 v[51:52], v[13:14], v[145:146], v[181:182]
	v_add_f64 v[2:3], v[2:3], v[47:48]
	s_clause 0x4
	buffer_load_dword v48, off, s[0:3], 0 offset:700
	buffer_load_dword v69, off, s[0:3], 0 offset:712
	;; [unrolled: 1-line block ×5, first 2 shown]
	s_waitcnt vmcnt(57) lgkmcnt(0)
	v_mul_f64 v[181:182], v[19:20], v[147:148]
	v_mul_f64 v[146:147], v[21:22], v[147:148]
	s_waitcnt vmcnt(56)
	v_fma_f64 v[59:60], v[15:16], v[71:72], -v[59:60]
	ds_read_b128 v[11:14], v1 offset:1168
	v_fma_f64 v[55:56], v[17:18], v[71:72], v[55:56]
	v_add_f64 v[27:28], v[27:28], v[67:68]
	v_add_f64 v[2:3], v[2:3], v[51:52]
	s_clause 0x2
	buffer_load_dword v70, off, s[0:3], 0 offset:716
	buffer_load_dword v52, off, s[0:3], 0 offset:692
	;; [unrolled: 1-line block ×3, first 2 shown]
	ds_read_b128 v[15:18], v1 offset:1184
	s_waitcnt vmcnt(58) lgkmcnt(1)
	v_mul_f64 v[71:72], v[13:14], v[150:151]
	s_waitcnt vmcnt(56)
	v_fma_f64 v[147:148], v[19:20], v[154:155], -v[146:147]
	v_mul_f64 v[67:68], v[11:12], v[150:151]
	buffer_load_dword v146, off, s[0:3], 0 offset:708
	v_add_f64 v[27:28], v[27:28], v[59:60]
	v_fma_f64 v[59:60], v[21:22], v[154:155], v[181:182]
	v_add_f64 v[2:3], v[2:3], v[55:56]
	ds_read_b128 v[19:22], v1 offset:1200
	s_waitcnt vmcnt(53) lgkmcnt(1)
	v_mul_f64 v[150:151], v[17:18], v[156:157]
	s_waitcnt vmcnt(52)
	v_fma_f64 v[71:72], v[11:12], v[152:153], -v[71:72]
	v_mul_f64 v[55:56], v[15:16], v[156:157]
	v_fma_f64 v[67:68], v[13:14], v[152:153], v[67:68]
	ds_read_b128 v[11:14], v1 offset:1216
	v_add_f64 v[27:28], v[27:28], v[147:148]
	s_waitcnt vmcnt(51) lgkmcnt(1)
	v_mul_f64 v[147:148], v[21:22], v[158:159]
	v_add_f64 v[2:3], v[2:3], v[59:60]
	v_mul_f64 v[59:60], v[19:20], v[158:159]
	s_waitcnt vmcnt(49)
	v_fma_f64 v[150:151], v[15:16], v[162:163], -v[150:151]
	v_fma_f64 v[55:56], v[17:18], v[162:163], v[55:56]
	s_waitcnt vmcnt(45) lgkmcnt(0)
	v_mul_f64 v[154:155], v[13:14], v[166:167]
	v_mul_f64 v[152:153], v[11:12], v[166:167]
	v_add_f64 v[27:28], v[27:28], v[71:72]
	s_waitcnt vmcnt(44)
	v_fma_f64 v[147:148], v[19:20], v[160:161], -v[147:148]
	v_add_f64 v[2:3], v[2:3], v[67:68]
	s_clause 0x3
	buffer_load_dword v67, off, s[0:3], 0 offset:272
	buffer_load_dword v68, off, s[0:3], 0 offset:276
	;; [unrolled: 1-line block ×4, first 2 shown]
	ds_read_b128 v[15:18], v1 offset:1232
	v_fma_f64 v[59:60], v[21:22], v[160:161], v[59:60]
	ds_read_b128 v[19:22], v1 offset:1248
	v_add_f64 v[27:28], v[27:28], v[150:151]
	v_add_f64 v[2:3], v[2:3], v[55:56]
	s_waitcnt vmcnt(47) lgkmcnt(1)
	v_mul_f64 v[150:151], v[17:18], v[168:169]
	v_mul_f64 v[55:56], v[15:16], v[168:169]
	s_waitcnt vmcnt(45)
	v_fma_f64 v[154:155], v[11:12], v[25:26], -v[154:155]
	v_fma_f64 v[25:26], v[13:14], v[25:26], v[152:153]
	ds_read_b128 v[11:14], v1 offset:1264
	v_add_f64 v[27:28], v[27:28], v[147:148]
	v_add_f64 v[2:3], v[2:3], v[59:60]
	s_waitcnt vmcnt(41) lgkmcnt(1)
	v_mul_f64 v[59:60], v[19:20], v[31:32]
	v_mul_f64 v[31:32], v[21:22], v[31:32]
	s_waitcnt vmcnt(40)
	v_fma_f64 v[147:148], v[15:16], v[170:171], -v[150:151]
	;; [unrolled: 9-line block ×7, first 2 shown]
	v_fma_f64 v[25:26], v[13:14], v[35:36], v[25:26]
	ds_read_b128 v[11:14], v1 offset:1360
	v_add_f64 v[27:28], v[27:28], v[31:32]
	v_add_f64 v[2:3], v[2:3], v[23:24]
	s_waitcnt vmcnt(17) lgkmcnt(1)
	v_mul_f64 v[31:32], v[21:22], v[45:46]
	s_waitcnt vmcnt(16)
	v_fma_f64 v[35:36], v[15:16], v[174:175], -v[39:40]
	v_mul_f64 v[23:24], v[19:20], v[45:46]
	v_add_f64 v[27:28], v[27:28], v[33:34]
	v_fma_f64 v[33:34], v[17:18], v[174:175], v[37:38]
	v_add_f64 v[2:3], v[2:3], v[25:26]
	ds_read_b128 v[15:18], v1 offset:1376
	s_waitcnt vmcnt(15) lgkmcnt(1)
	v_mul_f64 v[37:38], v[13:14], v[57:58]
	v_mul_f64 v[25:26], v[11:12], v[57:58]
	s_waitcnt vmcnt(13)
	v_fma_f64 v[31:32], v[19:20], v[49:50], -v[31:32]
	v_fma_f64 v[23:24], v[21:22], v[49:50], v[23:24]
	ds_read_b128 v[19:22], v1 offset:1392
	v_add_f64 v[27:28], v[27:28], v[35:36]
	v_add_f64 v[2:3], v[2:3], v[33:34]
	s_waitcnt vmcnt(9) lgkmcnt(1)
	v_mul_f64 v[35:36], v[17:18], v[47:48]
	s_waitcnt vmcnt(8)
	v_fma_f64 v[11:12], v[11:12], v[65:66], -v[37:38]
	v_mul_f64 v[33:34], v[15:16], v[47:48]
	v_fma_f64 v[13:14], v[13:14], v[65:66], v[25:26]
	v_add_f64 v[27:28], v[27:28], v[31:32]
	v_add_f64 v[2:3], v[2:3], v[23:24]
	s_waitcnt vmcnt(7) lgkmcnt(0)
	v_mul_f64 v[25:26], v[21:22], v[69:70]
	v_mul_f64 v[23:24], v[19:20], v[69:70]
	s_waitcnt vmcnt(5)
	v_fma_f64 v[15:16], v[15:16], v[51:52], -v[35:36]
	v_fma_f64 v[17:18], v[17:18], v[51:52], v[33:34]
	v_add_f64 v[11:12], v[27:28], v[11:12]
	v_add_f64 v[2:3], v[2:3], v[13:14]
	s_waitcnt vmcnt(4)
	v_fma_f64 v[13:14], v[19:20], v[145:146], -v[25:26]
	v_add_f64 v[11:12], v[11:12], v[15:16]
	v_fma_f64 v[15:16], v[21:22], v[145:146], v[23:24]
	v_add_f64 v[2:3], v[2:3], v[17:18]
	v_add_f64 v[11:12], v[11:12], v[13:14]
	;; [unrolled: 1-line block ×3, first 2 shown]
	s_waitcnt vmcnt(2)
	v_add_f64 v[11:12], v[67:68], -v[11:12]
	s_waitcnt vmcnt(0)
	v_add_f64 v[2:3], v[71:72], -v[2:3]
	buffer_store_dword v12, off, s[0:3], 0 offset:276
	buffer_store_dword v11, off, s[0:3], 0 offset:272
	;; [unrolled: 1-line block ×4, first 2 shown]
	v_cmpx_lt_u32_e32 15, v0
	s_cbranch_execz .LBB43_247
; %bb.246:
	v_mov_b32_e32 v2, s29
	s_clause 0x3
	buffer_load_dword v11, v2, s[0:3], 0 offen
	buffer_load_dword v12, v2, s[0:3], 0 offen offset:4
	buffer_load_dword v13, v2, s[0:3], 0 offen offset:8
	;; [unrolled: 1-line block ×3, first 2 shown]
	buffer_store_dword v1, off, s[0:3], 0 offset:256
	buffer_store_dword v1, off, s[0:3], 0 offset:260
	;; [unrolled: 1-line block ×4, first 2 shown]
	s_waitcnt vmcnt(0)
	ds_write_b128 v149, v[11:14]
.LBB43_247:
	s_or_b32 exec_lo, exec_lo, s4
	s_waitcnt lgkmcnt(0)
	s_waitcnt_vscnt null, 0x0
	s_barrier
	buffer_gl0_inv
	s_clause 0x37
	buffer_load_dword v2, off, s[0:3], 0 offset:280
	buffer_load_dword v3, off, s[0:3], 0 offset:284
	;; [unrolled: 1-line block ×56, first 2 shown]
	ds_read_b128 v[11:14], v1 offset:960
	s_clause 0x2
	buffer_load_dword v159, off, s[0:3], 0 offset:508
	buffer_load_dword v163, off, s[0:3], 0 offset:484
	buffer_load_dword v162, off, s[0:3], 0 offset:480
	ds_read_b128 v[15:18], v1 offset:976
	s_clause 0x4
	buffer_load_dword v167, off, s[0:3], 0 offset:524
	buffer_load_dword v168, off, s[0:3], 0 offset:536
	;; [unrolled: 1-line block ×5, first 2 shown]
	ds_read_b128 v[19:22], v1 offset:992
	s_mov_b32 s4, exec_lo
	s_waitcnt vmcnt(62) lgkmcnt(2)
	v_mul_f64 v[164:165], v[13:14], v[2:3]
	v_mul_f64 v[2:3], v[11:12], v[2:3]
	s_waitcnt vmcnt(60) lgkmcnt(1)
	v_mul_f64 v[171:172], v[17:18], v[23:24]
	v_mul_f64 v[23:24], v[15:16], v[23:24]
	;; [unrolled: 3-line block ×3, first 2 shown]
	v_fma_f64 v[164:165], v[11:12], v[25:26], -v[164:165]
	v_fma_f64 v[2:3], v[13:14], v[25:26], v[2:3]
	s_clause 0x2
	buffer_load_dword v169, off, s[0:3], 0 offset:540
	buffer_load_dword v26, off, s[0:3], 0 offset:516
	;; [unrolled: 1-line block ×3, first 2 shown]
	s_waitcnt vmcnt(57)
	v_fma_f64 v[175:176], v[15:16], v[31:32], -v[171:172]
	ds_read_b128 v[11:14], v1 offset:1008
	v_fma_f64 v[23:24], v[17:18], v[31:32], v[23:24]
	s_clause 0x4
	buffer_load_dword v32, off, s[0:3], 0 offset:556
	buffer_load_dword v172, off, s[0:3], 0 offset:568
	;; [unrolled: 1-line block ×5, first 2 shown]
	s_waitcnt vmcnt(56)
	v_fma_f64 v[27:28], v[19:20], v[39:40], -v[27:28]
	ds_read_b128 v[15:18], v1 offset:1024
	v_fma_f64 v[39:40], v[21:22], v[39:40], v[173:174]
	v_add_f64 v[164:165], v[164:165], 0
	v_add_f64 v[2:3], v[2:3], 0
	s_waitcnt lgkmcnt(1)
	v_mul_f64 v[178:179], v[11:12], v[33:34]
	v_mul_f64 v[33:34], v[13:14], v[33:34]
	v_add_f64 v[164:165], v[164:165], v[175:176]
	v_add_f64 v[2:3], v[2:3], v[23:24]
	s_clause 0x2
	buffer_load_dword v173, off, s[0:3], 0 offset:572
	buffer_load_dword v24, off, s[0:3], 0 offset:548
	;; [unrolled: 1-line block ×3, first 2 shown]
	s_waitcnt vmcnt(58) lgkmcnt(0)
	v_mul_f64 v[174:175], v[15:16], v[35:36]
	v_mul_f64 v[35:36], v[17:18], v[35:36]
	s_waitcnt vmcnt(56)
	v_fma_f64 v[33:34], v[11:12], v[45:46], -v[33:34]
	ds_read_b128 v[19:22], v1 offset:1040
	v_fma_f64 v[45:46], v[13:14], v[45:46], v[178:179]
	v_add_f64 v[27:28], v[164:165], v[27:28]
	v_add_f64 v[2:3], v[2:3], v[39:40]
	s_clause 0x4
	buffer_load_dword v40, off, s[0:3], 0 offset:588
	buffer_load_dword v164, off, s[0:3], 0 offset:600
	;; [unrolled: 1-line block ×5, first 2 shown]
	ds_read_b128 v[11:14], v1 offset:1056
	s_waitcnt vmcnt(57) lgkmcnt(1)
	v_mul_f64 v[180:181], v[19:20], v[47:48]
	v_mul_f64 v[47:48], v[21:22], v[47:48]
	s_waitcnt vmcnt(56)
	v_fma_f64 v[35:36], v[15:16], v[37:38], -v[35:36]
	v_add_f64 v[27:28], v[27:28], v[33:34]
	v_fma_f64 v[33:34], v[17:18], v[37:38], v[174:175]
	v_add_f64 v[2:3], v[2:3], v[45:46]
	s_clause 0x2
	buffer_load_dword v165, off, s[0:3], 0 offset:604
	buffer_load_dword v38, off, s[0:3], 0 offset:580
	;; [unrolled: 1-line block ×3, first 2 shown]
	s_waitcnt vmcnt(58) lgkmcnt(0)
	v_mul_f64 v[45:46], v[11:12], v[49:50]
	v_mul_f64 v[49:50], v[13:14], v[49:50]
	s_waitcnt vmcnt(56)
	v_fma_f64 v[47:48], v[19:20], v[53:54], -v[47:48]
	ds_read_b128 v[15:18], v1 offset:1072
	v_add_f64 v[27:28], v[27:28], v[35:36]
	v_fma_f64 v[35:36], v[21:22], v[53:54], v[180:181]
	v_add_f64 v[2:3], v[2:3], v[33:34]
	s_clause 0x4
	buffer_load_dword v34, off, s[0:3], 0 offset:620
	buffer_load_dword v53, off, s[0:3], 0 offset:632
	;; [unrolled: 1-line block ×5, first 2 shown]
	ds_read_b128 v[19:22], v1 offset:1088
	s_waitcnt vmcnt(57) lgkmcnt(1)
	v_mul_f64 v[175:176], v[15:16], v[55:56]
	v_mul_f64 v[55:56], v[17:18], v[55:56]
	s_waitcnt vmcnt(56)
	v_fma_f64 v[49:50], v[11:12], v[51:52], -v[49:50]
	v_fma_f64 v[45:46], v[13:14], v[51:52], v[45:46]
	v_add_f64 v[27:28], v[27:28], v[47:48]
	v_add_f64 v[2:3], v[2:3], v[35:36]
	s_clause 0x2
	buffer_load_dword v54, off, s[0:3], 0 offset:636
	buffer_load_dword v36, off, s[0:3], 0 offset:612
	;; [unrolled: 1-line block ×3, first 2 shown]
	s_waitcnt vmcnt(58) lgkmcnt(0)
	v_mul_f64 v[51:52], v[21:22], v[57:58]
	ds_read_b128 v[11:14], v1 offset:1104
	s_waitcnt vmcnt(56)
	v_fma_f64 v[55:56], v[15:16], v[65:66], -v[55:56]
	v_mul_f64 v[47:48], v[19:20], v[57:58]
	v_add_f64 v[27:28], v[27:28], v[49:50]
	v_fma_f64 v[49:50], v[17:18], v[65:66], v[175:176]
	v_add_f64 v[2:3], v[2:3], v[45:46]
	s_clause 0x4
	buffer_load_dword v46, off, s[0:3], 0 offset:652
	buffer_load_dword v57, off, s[0:3], 0 offset:664
	;; [unrolled: 1-line block ×5, first 2 shown]
	s_waitcnt vmcnt(57) lgkmcnt(0)
	v_mul_f64 v[181:182], v[11:12], v[67:68]
	v_mul_f64 v[66:67], v[13:14], v[67:68]
	s_waitcnt vmcnt(56)
	v_fma_f64 v[51:52], v[19:20], v[59:60], -v[51:52]
	ds_read_b128 v[15:18], v1 offset:1120
	v_fma_f64 v[47:48], v[21:22], v[59:60], v[47:48]
	v_add_f64 v[27:28], v[27:28], v[55:56]
	v_add_f64 v[2:3], v[2:3], v[49:50]
	s_clause 0x2
	buffer_load_dword v58, off, s[0:3], 0 offset:668
	buffer_load_dword v50, off, s[0:3], 0 offset:644
	;; [unrolled: 1-line block ×3, first 2 shown]
	ds_read_b128 v[19:22], v1 offset:1136
	s_waitcnt vmcnt(58) lgkmcnt(1)
	v_mul_f64 v[59:60], v[17:18], v[69:70]
	s_waitcnt vmcnt(56)
	v_fma_f64 v[67:68], v[11:12], v[145:146], -v[66:67]
	v_mul_f64 v[55:56], v[15:16], v[69:70]
	v_add_f64 v[27:28], v[27:28], v[51:52]
	v_fma_f64 v[51:52], v[13:14], v[145:146], v[181:182]
	v_add_f64 v[2:3], v[2:3], v[47:48]
	s_clause 0x4
	buffer_load_dword v48, off, s[0:3], 0 offset:684
	buffer_load_dword v69, off, s[0:3], 0 offset:696
	;; [unrolled: 1-line block ×5, first 2 shown]
	s_waitcnt vmcnt(57) lgkmcnt(0)
	v_mul_f64 v[181:182], v[19:20], v[147:148]
	v_mul_f64 v[146:147], v[21:22], v[147:148]
	s_waitcnt vmcnt(56)
	v_fma_f64 v[59:60], v[15:16], v[71:72], -v[59:60]
	ds_read_b128 v[11:14], v1 offset:1152
	v_fma_f64 v[55:56], v[17:18], v[71:72], v[55:56]
	v_add_f64 v[27:28], v[27:28], v[67:68]
	v_add_f64 v[2:3], v[2:3], v[51:52]
	s_clause 0x2
	buffer_load_dword v70, off, s[0:3], 0 offset:700
	buffer_load_dword v52, off, s[0:3], 0 offset:676
	;; [unrolled: 1-line block ×3, first 2 shown]
	ds_read_b128 v[15:18], v1 offset:1168
	s_waitcnt vmcnt(58) lgkmcnt(1)
	v_mul_f64 v[71:72], v[13:14], v[150:151]
	s_waitcnt vmcnt(56)
	v_fma_f64 v[147:148], v[19:20], v[154:155], -v[146:147]
	v_mul_f64 v[67:68], v[11:12], v[150:151]
	v_add_f64 v[27:28], v[27:28], v[59:60]
	v_fma_f64 v[59:60], v[21:22], v[154:155], v[181:182]
	v_add_f64 v[2:3], v[2:3], v[55:56]
	s_clause 0x2
	buffer_load_dword v56, off, s[0:3], 0 offset:716
	buffer_load_dword v55, off, s[0:3], 0 offset:712
	;; [unrolled: 1-line block ×3, first 2 shown]
	s_waitcnt vmcnt(55) lgkmcnt(0)
	v_mul_f64 v[154:155], v[17:18], v[156:157]
	s_waitcnt vmcnt(54)
	v_fma_f64 v[71:72], v[11:12], v[152:153], -v[71:72]
	ds_read_b128 v[19:22], v1 offset:1184
	v_mul_f64 v[150:151], v[15:16], v[156:157]
	v_fma_f64 v[67:68], v[13:14], v[152:153], v[67:68]
	v_add_f64 v[27:28], v[27:28], v[147:148]
	v_add_f64 v[2:3], v[2:3], v[59:60]
	s_clause 0x1
	buffer_load_dword v60, off, s[0:3], 0 offset:708
	buffer_load_dword v59, off, s[0:3], 0 offset:704
	s_waitcnt vmcnt(55) lgkmcnt(0)
	v_mul_f64 v[152:153], v[21:22], v[158:159]
	s_waitcnt vmcnt(53)
	v_fma_f64 v[154:155], v[15:16], v[162:163], -v[154:155]
	ds_read_b128 v[11:14], v1 offset:1200
	v_mul_f64 v[147:148], v[19:20], v[158:159]
	v_add_f64 v[27:28], v[27:28], v[71:72]
	v_fma_f64 v[71:72], v[17:18], v[162:163], v[150:151]
	v_add_f64 v[2:3], v[2:3], v[67:68]
	ds_read_b128 v[15:18], v1 offset:1216
	s_waitcnt vmcnt(49) lgkmcnt(1)
	v_mul_f64 v[150:151], v[13:14], v[166:167]
	s_waitcnt vmcnt(48)
	v_fma_f64 v[152:153], v[19:20], v[160:161], -v[152:153]
	v_mul_f64 v[67:68], v[11:12], v[166:167]
	v_fma_f64 v[147:148], v[21:22], v[160:161], v[147:148]
	v_add_f64 v[27:28], v[27:28], v[154:155]
	v_add_f64 v[2:3], v[2:3], v[71:72]
	s_clause 0x3
	buffer_load_dword v71, off, s[0:3], 0 offset:256
	buffer_load_dword v72, off, s[0:3], 0 offset:260
	;; [unrolled: 1-line block ×4, first 2 shown]
	ds_read_b128 v[19:22], v1 offset:1232
	s_waitcnt vmcnt(51) lgkmcnt(1)
	v_mul_f64 v[158:159], v[17:18], v[168:169]
	v_mul_f64 v[156:157], v[15:16], v[168:169]
	s_waitcnt vmcnt(49)
	v_fma_f64 v[150:151], v[11:12], v[25:26], -v[150:151]
	v_fma_f64 v[25:26], v[13:14], v[25:26], v[67:68]
	ds_read_b128 v[11:14], v1 offset:1248
	v_add_f64 v[27:28], v[27:28], v[152:153]
	v_add_f64 v[2:3], v[2:3], v[147:148]
	s_waitcnt vmcnt(45) lgkmcnt(1)
	v_mul_f64 v[67:68], v[19:20], v[31:32]
	v_mul_f64 v[31:32], v[21:22], v[31:32]
	s_waitcnt vmcnt(44)
	v_fma_f64 v[147:148], v[15:16], v[170:171], -v[158:159]
	v_add_f64 v[27:28], v[27:28], v[150:151]
	v_fma_f64 v[150:151], v[17:18], v[170:171], v[156:157]
	v_add_f64 v[2:3], v[2:3], v[25:26]
	ds_read_b128 v[15:18], v1 offset:1264
	s_waitcnt vmcnt(43) lgkmcnt(1)
	v_mul_f64 v[152:153], v[13:14], v[172:173]
	v_mul_f64 v[25:26], v[11:12], v[172:173]
	s_waitcnt vmcnt(41)
	v_fma_f64 v[31:32], v[19:20], v[23:24], -v[31:32]
	v_fma_f64 v[23:24], v[21:22], v[23:24], v[67:68]
	ds_read_b128 v[19:22], v1 offset:1280
	v_add_f64 v[27:28], v[27:28], v[147:148]
	v_add_f64 v[2:3], v[2:3], v[150:151]
	s_waitcnt vmcnt(37) lgkmcnt(1)
	v_mul_f64 v[67:68], v[15:16], v[39:40]
	v_mul_f64 v[39:40], v[17:18], v[39:40]
	s_waitcnt vmcnt(36)
	v_fma_f64 v[147:148], v[11:12], v[177:178], -v[152:153]
	v_fma_f64 v[25:26], v[13:14], v[177:178], v[25:26]
	ds_read_b128 v[11:14], v1 offset:1296
	v_add_f64 v[27:28], v[27:28], v[31:32]
	v_add_f64 v[2:3], v[2:3], v[23:24]
	s_waitcnt vmcnt(35) lgkmcnt(1)
	v_mul_f64 v[31:32], v[21:22], v[164:165]
	v_mul_f64 v[23:24], v[19:20], v[164:165]
	s_waitcnt vmcnt(33)
	v_fma_f64 v[39:40], v[15:16], v[37:38], -v[39:40]
	v_fma_f64 v[37:38], v[17:18], v[37:38], v[67:68]
	ds_read_b128 v[15:18], v1 offset:1312
	v_add_f64 v[27:28], v[27:28], v[147:148]
	v_add_f64 v[2:3], v[2:3], v[25:26]
	s_waitcnt vmcnt(29) lgkmcnt(1)
	v_mul_f64 v[25:26], v[11:12], v[33:34]
	v_mul_f64 v[33:34], v[13:14], v[33:34]
	s_waitcnt vmcnt(28)
	v_fma_f64 v[31:32], v[19:20], v[179:180], -v[31:32]
	v_fma_f64 v[23:24], v[21:22], v[179:180], v[23:24]
	ds_read_b128 v[19:22], v1 offset:1328
	v_add_f64 v[27:28], v[27:28], v[39:40]
	v_add_f64 v[2:3], v[2:3], v[37:38]
	s_waitcnt vmcnt(27) lgkmcnt(1)
	v_mul_f64 v[39:40], v[17:18], v[53:54]
	v_mul_f64 v[37:38], v[15:16], v[53:54]
	s_waitcnt vmcnt(25)
	v_fma_f64 v[33:34], v[11:12], v[35:36], -v[33:34]
	v_fma_f64 v[25:26], v[13:14], v[35:36], v[25:26]
	ds_read_b128 v[11:14], v1 offset:1344
	v_add_f64 v[27:28], v[27:28], v[31:32]
	v_add_f64 v[2:3], v[2:3], v[23:24]
	s_waitcnt vmcnt(21) lgkmcnt(1)
	v_mul_f64 v[31:32], v[21:22], v[45:46]
	s_waitcnt vmcnt(20)
	v_fma_f64 v[35:36], v[15:16], v[174:175], -v[39:40]
	v_mul_f64 v[23:24], v[19:20], v[45:46]
	v_add_f64 v[27:28], v[27:28], v[33:34]
	v_fma_f64 v[33:34], v[17:18], v[174:175], v[37:38]
	v_add_f64 v[2:3], v[2:3], v[25:26]
	ds_read_b128 v[15:18], v1 offset:1360
	s_waitcnt vmcnt(19) lgkmcnt(1)
	v_mul_f64 v[37:38], v[13:14], v[57:58]
	v_mul_f64 v[25:26], v[11:12], v[57:58]
	s_waitcnt vmcnt(17)
	v_fma_f64 v[31:32], v[19:20], v[49:50], -v[31:32]
	v_fma_f64 v[23:24], v[21:22], v[49:50], v[23:24]
	ds_read_b128 v[19:22], v1 offset:1376
	v_add_f64 v[27:28], v[27:28], v[35:36]
	v_add_f64 v[2:3], v[2:3], v[33:34]
	s_waitcnt vmcnt(13) lgkmcnt(1)
	v_mul_f64 v[35:36], v[17:18], v[47:48]
	s_waitcnt vmcnt(12)
	v_fma_f64 v[11:12], v[11:12], v[65:66], -v[37:38]
	v_mul_f64 v[33:34], v[15:16], v[47:48]
	v_fma_f64 v[13:14], v[13:14], v[65:66], v[25:26]
	v_add_f64 v[27:28], v[27:28], v[31:32]
	v_add_f64 v[23:24], v[2:3], v[23:24]
	ds_read_b128 v[1:4], v1 offset:1392
	s_waitcnt vmcnt(11) lgkmcnt(1)
	v_mul_f64 v[31:32], v[21:22], v[69:70]
	v_mul_f64 v[25:26], v[19:20], v[69:70]
	s_waitcnt vmcnt(9)
	v_fma_f64 v[15:16], v[15:16], v[51:52], -v[35:36]
	v_fma_f64 v[17:18], v[17:18], v[51:52], v[33:34]
	v_add_f64 v[11:12], v[27:28], v[11:12]
	v_add_f64 v[13:14], v[23:24], v[13:14]
	s_waitcnt vmcnt(7) lgkmcnt(0)
	v_mul_f64 v[27:28], v[3:4], v[55:56]
	s_waitcnt vmcnt(6)
	v_fma_f64 v[19:20], v[19:20], v[145:146], -v[31:32]
	v_mul_f64 v[23:24], v[1:2], v[55:56]
	v_add_f64 v[11:12], v[11:12], v[15:16]
	v_fma_f64 v[15:16], v[21:22], v[145:146], v[25:26]
	v_add_f64 v[13:14], v[13:14], v[17:18]
	s_waitcnt vmcnt(4)
	v_fma_f64 v[1:2], v[1:2], v[59:60], -v[27:28]
	v_fma_f64 v[3:4], v[3:4], v[59:60], v[23:24]
	v_add_f64 v[11:12], v[11:12], v[19:20]
	v_add_f64 v[13:14], v[13:14], v[15:16]
	;; [unrolled: 1-line block ×4, first 2 shown]
	s_waitcnt vmcnt(2)
	v_add_f64 v[1:2], v[71:72], -v[1:2]
	s_waitcnt vmcnt(0)
	v_add_f64 v[3:4], v[154:155], -v[3:4]
	buffer_store_dword v2, off, s[0:3], 0 offset:260
	buffer_store_dword v1, off, s[0:3], 0 offset:256
	;; [unrolled: 1-line block ×4, first 2 shown]
	v_cmpx_lt_u32_e32 14, v0
	s_cbranch_execz .LBB43_249
; %bb.248:
	v_mov_b32_e32 v4, s31
	v_mov_b32_e32 v11, 0
	s_clause 0x3
	buffer_load_dword v1, v4, s[0:3], 0 offen
	buffer_load_dword v2, v4, s[0:3], 0 offen offset:4
	buffer_load_dword v3, v4, s[0:3], 0 offen offset:8
	;; [unrolled: 1-line block ×3, first 2 shown]
	buffer_store_dword v11, off, s[0:3], 0 offset:240
	buffer_store_dword v11, off, s[0:3], 0 offset:244
	;; [unrolled: 1-line block ×4, first 2 shown]
	s_waitcnt vmcnt(0)
	ds_write_b128 v149, v[1:4]
.LBB43_249:
	s_or_b32 exec_lo, exec_lo, s4
	s_waitcnt lgkmcnt(0)
	s_waitcnt_vscnt null, 0x0
	s_barrier
	buffer_gl0_inv
	s_clause 0x37
	buffer_load_dword v15, off, s[0:3], 0 offset:264
	buffer_load_dword v16, off, s[0:3], 0 offset:268
	buffer_load_dword v26, off, s[0:3], 0 offset:280
	buffer_load_dword v27, off, s[0:3], 0 offset:284
	buffer_load_dword v31, off, s[0:3], 0 offset:256
	buffer_load_dword v32, off, s[0:3], 0 offset:260
	buffer_load_dword v3, off, s[0:3], 0 offset:296
	buffer_load_dword v4, off, s[0:3], 0 offset:300
	buffer_load_dword v1, off, s[0:3], 0 offset:272
	buffer_load_dword v2, off, s[0:3], 0 offset:276
	buffer_load_dword v34, off, s[0:3], 0 offset:316
	buffer_load_dword v35, off, s[0:3], 0 offset:328
	buffer_load_dword v37, off, s[0:3], 0 offset:320
	buffer_load_dword v33, off, s[0:3], 0 offset:312
	buffer_load_dword v39, off, s[0:3], 0 offset:288
	buffer_load_dword v40, off, s[0:3], 0 offset:292
	buffer_load_dword v36, off, s[0:3], 0 offset:332
	buffer_load_dword v46, off, s[0:3], 0 offset:308
	buffer_load_dword v45, off, s[0:3], 0 offset:304
	buffer_load_dword v48, off, s[0:3], 0 offset:348
	buffer_load_dword v49, off, s[0:3], 0 offset:360
	buffer_load_dword v51, off, s[0:3], 0 offset:352
	buffer_load_dword v47, off, s[0:3], 0 offset:344
	buffer_load_dword v38, off, s[0:3], 0 offset:324
	buffer_load_dword v50, off, s[0:3], 0 offset:364
	buffer_load_dword v54, off, s[0:3], 0 offset:340
	buffer_load_dword v53, off, s[0:3], 0 offset:336
	buffer_load_dword v56, off, s[0:3], 0 offset:380
	buffer_load_dword v57, off, s[0:3], 0 offset:392
	buffer_load_dword v59, off, s[0:3], 0 offset:384
	buffer_load_dword v55, off, s[0:3], 0 offset:376
	buffer_load_dword v52, off, s[0:3], 0 offset:356
	buffer_load_dword v58, off, s[0:3], 0 offset:396
	buffer_load_dword v66, off, s[0:3], 0 offset:372
	buffer_load_dword v65, off, s[0:3], 0 offset:368
	buffer_load_dword v68, off, s[0:3], 0 offset:412
	buffer_load_dword v69, off, s[0:3], 0 offset:424
	buffer_load_dword v71, off, s[0:3], 0 offset:416
	buffer_load_dword v67, off, s[0:3], 0 offset:408
	buffer_load_dword v60, off, s[0:3], 0 offset:388
	buffer_load_dword v70, off, s[0:3], 0 offset:428
	buffer_load_dword v146, off, s[0:3], 0 offset:404
	buffer_load_dword v145, off, s[0:3], 0 offset:400
	buffer_load_dword v148, off, s[0:3], 0 offset:444
	buffer_load_dword v150, off, s[0:3], 0 offset:456
	buffer_load_dword v152, off, s[0:3], 0 offset:448
	buffer_load_dword v147, off, s[0:3], 0 offset:440
	buffer_load_dword v72, off, s[0:3], 0 offset:420
	buffer_load_dword v151, off, s[0:3], 0 offset:460
	buffer_load_dword v155, off, s[0:3], 0 offset:436
	buffer_load_dword v154, off, s[0:3], 0 offset:432
	buffer_load_dword v157, off, s[0:3], 0 offset:476
	buffer_load_dword v158, off, s[0:3], 0 offset:488
	buffer_load_dword v160, off, s[0:3], 0 offset:480
	buffer_load_dword v156, off, s[0:3], 0 offset:472
	buffer_load_dword v153, off, s[0:3], 0 offset:452
	v_mov_b32_e32 v17, 0
	s_mov_b32 s4, exec_lo
	ds_read_b128 v[11:14], v17 offset:944
	s_clause 0x2
	buffer_load_dword v159, off, s[0:3], 0 offset:492
	buffer_load_dword v163, off, s[0:3], 0 offset:468
	;; [unrolled: 1-line block ×3, first 2 shown]
	ds_read_b128 v[18:21], v17 offset:960
	s_clause 0x4
	buffer_load_dword v167, off, s[0:3], 0 offset:508
	buffer_load_dword v168, off, s[0:3], 0 offset:520
	;; [unrolled: 1-line block ×5, first 2 shown]
	ds_read_b128 v[22:25], v17 offset:976
	s_waitcnt vmcnt(62) lgkmcnt(2)
	v_mul_f64 v[164:165], v[13:14], v[15:16]
	v_mul_f64 v[15:16], v[11:12], v[15:16]
	s_waitcnt vmcnt(60) lgkmcnt(1)
	v_mul_f64 v[171:172], v[20:21], v[26:27]
	v_mul_f64 v[26:27], v[18:19], v[26:27]
	;; [unrolled: 3-line block ×3, first 2 shown]
	v_fma_f64 v[164:165], v[11:12], v[31:32], -v[164:165]
	v_fma_f64 v[15:16], v[13:14], v[31:32], v[15:16]
	s_clause 0x2
	buffer_load_dword v169, off, s[0:3], 0 offset:524
	buffer_load_dword v32, off, s[0:3], 0 offset:500
	;; [unrolled: 1-line block ×3, first 2 shown]
	s_waitcnt vmcnt(57)
	v_fma_f64 v[18:19], v[18:19], v[1:2], -v[171:172]
	ds_read_b128 v[11:14], v17 offset:992
	v_fma_f64 v[20:21], v[20:21], v[1:2], v[26:27]
	s_clause 0x4
	buffer_load_dword v27, off, s[0:3], 0 offset:540
	buffer_load_dword v172, off, s[0:3], 0 offset:552
	;; [unrolled: 1-line block ×5, first 2 shown]
	s_waitcnt vmcnt(56)
	v_fma_f64 v[22:23], v[22:23], v[39:40], -v[175:176]
	ds_read_b128 v[1:4], v17 offset:1008
	v_fma_f64 v[24:25], v[24:25], v[39:40], v[173:174]
	s_clause 0x2
	buffer_load_dword v173, off, s[0:3], 0 offset:556
	buffer_load_dword v40, off, s[0:3], 0 offset:532
	;; [unrolled: 1-line block ×3, first 2 shown]
	v_add_f64 v[164:165], v[164:165], 0
	v_add_f64 v[15:16], v[15:16], 0
	s_waitcnt lgkmcnt(1)
	v_mul_f64 v[178:179], v[11:12], v[33:34]
	v_mul_f64 v[33:34], v[13:14], v[33:34]
	s_waitcnt vmcnt(58) lgkmcnt(0)
	v_mul_f64 v[174:175], v[1:2], v[35:36]
	v_mul_f64 v[35:36], v[3:4], v[35:36]
	v_add_f64 v[164:165], v[164:165], v[18:19]
	v_add_f64 v[15:16], v[15:16], v[20:21]
	ds_read_b128 v[18:21], v17 offset:1024
	s_waitcnt vmcnt(56)
	v_fma_f64 v[33:34], v[11:12], v[45:46], -v[33:34]
	v_fma_f64 v[45:46], v[13:14], v[45:46], v[178:179]
	s_waitcnt vmcnt(51)
	v_fma_f64 v[35:36], v[1:2], v[37:38], -v[35:36]
	s_waitcnt lgkmcnt(0)
	v_mul_f64 v[180:181], v[18:19], v[47:48]
	v_add_f64 v[22:23], v[164:165], v[22:23]
	v_add_f64 v[15:16], v[15:16], v[24:25]
	s_clause 0x4
	buffer_load_dword v25, off, s[0:3], 0 offset:572
	buffer_load_dword v164, off, s[0:3], 0 offset:584
	;; [unrolled: 1-line block ×5, first 2 shown]
	v_mul_f64 v[47:48], v[20:21], v[47:48]
	ds_read_b128 v[11:14], v17 offset:1040
	v_add_f64 v[22:23], v[22:23], v[33:34]
	v_fma_f64 v[33:34], v[3:4], v[37:38], v[174:175]
	v_add_f64 v[15:16], v[15:16], v[45:46]
	s_clause 0x2
	buffer_load_dword v165, off, s[0:3], 0 offset:588
	buffer_load_dword v38, off, s[0:3], 0 offset:564
	;; [unrolled: 1-line block ×3, first 2 shown]
	s_waitcnt vmcnt(58) lgkmcnt(0)
	v_mul_f64 v[45:46], v[11:12], v[49:50]
	v_mul_f64 v[49:50], v[13:14], v[49:50]
	s_waitcnt vmcnt(56)
	v_fma_f64 v[47:48], v[18:19], v[53:54], -v[47:48]
	ds_read_b128 v[1:4], v17 offset:1056
	v_add_f64 v[22:23], v[22:23], v[35:36]
	v_fma_f64 v[35:36], v[20:21], v[53:54], v[180:181]
	v_add_f64 v[15:16], v[15:16], v[33:34]
	s_clause 0x4
	buffer_load_dword v34, off, s[0:3], 0 offset:604
	buffer_load_dword v53, off, s[0:3], 0 offset:616
	;; [unrolled: 1-line block ×5, first 2 shown]
	ds_read_b128 v[18:21], v17 offset:1072
	s_waitcnt vmcnt(57) lgkmcnt(1)
	v_mul_f64 v[175:176], v[1:2], v[55:56]
	v_mul_f64 v[55:56], v[3:4], v[55:56]
	s_waitcnt vmcnt(56)
	v_fma_f64 v[49:50], v[11:12], v[51:52], -v[49:50]
	v_fma_f64 v[45:46], v[13:14], v[51:52], v[45:46]
	v_add_f64 v[22:23], v[22:23], v[47:48]
	v_add_f64 v[15:16], v[15:16], v[35:36]
	s_clause 0x2
	buffer_load_dword v54, off, s[0:3], 0 offset:620
	buffer_load_dword v36, off, s[0:3], 0 offset:596
	;; [unrolled: 1-line block ×3, first 2 shown]
	s_waitcnt vmcnt(58) lgkmcnt(0)
	v_mul_f64 v[51:52], v[20:21], v[57:58]
	ds_read_b128 v[11:14], v17 offset:1088
	s_waitcnt vmcnt(56)
	v_fma_f64 v[55:56], v[1:2], v[65:66], -v[55:56]
	v_mul_f64 v[47:48], v[18:19], v[57:58]
	v_add_f64 v[22:23], v[22:23], v[49:50]
	v_fma_f64 v[49:50], v[3:4], v[65:66], v[175:176]
	v_add_f64 v[15:16], v[15:16], v[45:46]
	s_clause 0x4
	buffer_load_dword v46, off, s[0:3], 0 offset:636
	buffer_load_dword v57, off, s[0:3], 0 offset:648
	buffer_load_dword v65, off, s[0:3], 0 offset:640
	buffer_load_dword v45, off, s[0:3], 0 offset:632
	buffer_load_dword v175, off, s[0:3], 0 offset:612
	s_waitcnt vmcnt(57) lgkmcnt(0)
	v_mul_f64 v[181:182], v[11:12], v[67:68]
	v_mul_f64 v[66:67], v[13:14], v[67:68]
	s_waitcnt vmcnt(56)
	v_fma_f64 v[51:52], v[18:19], v[59:60], -v[51:52]
	ds_read_b128 v[1:4], v17 offset:1104
	v_fma_f64 v[47:48], v[20:21], v[59:60], v[47:48]
	v_add_f64 v[22:23], v[22:23], v[55:56]
	v_add_f64 v[15:16], v[15:16], v[49:50]
	s_clause 0x2
	buffer_load_dword v58, off, s[0:3], 0 offset:652
	buffer_load_dword v50, off, s[0:3], 0 offset:628
	buffer_load_dword v49, off, s[0:3], 0 offset:624
	ds_read_b128 v[18:21], v17 offset:1120
	s_waitcnt vmcnt(58) lgkmcnt(1)
	v_mul_f64 v[59:60], v[3:4], v[69:70]
	s_waitcnt vmcnt(56)
	v_fma_f64 v[67:68], v[11:12], v[145:146], -v[66:67]
	v_mul_f64 v[55:56], v[1:2], v[69:70]
	v_add_f64 v[22:23], v[22:23], v[51:52]
	v_fma_f64 v[51:52], v[13:14], v[145:146], v[181:182]
	v_add_f64 v[15:16], v[15:16], v[47:48]
	s_clause 0x4
	buffer_load_dword v48, off, s[0:3], 0 offset:668
	buffer_load_dword v69, off, s[0:3], 0 offset:680
	buffer_load_dword v145, off, s[0:3], 0 offset:672
	buffer_load_dword v47, off, s[0:3], 0 offset:664
	buffer_load_dword v66, off, s[0:3], 0 offset:644
	s_waitcnt vmcnt(57) lgkmcnt(0)
	v_mul_f64 v[181:182], v[18:19], v[147:148]
	v_mul_f64 v[146:147], v[20:21], v[147:148]
	s_waitcnt vmcnt(56)
	v_fma_f64 v[59:60], v[1:2], v[71:72], -v[59:60]
	ds_read_b128 v[11:14], v17 offset:1136
	v_fma_f64 v[55:56], v[3:4], v[71:72], v[55:56]
	v_add_f64 v[22:23], v[22:23], v[67:68]
	v_add_f64 v[15:16], v[15:16], v[51:52]
	s_clause 0x2
	buffer_load_dword v70, off, s[0:3], 0 offset:684
	buffer_load_dword v52, off, s[0:3], 0 offset:660
	buffer_load_dword v51, off, s[0:3], 0 offset:656
	ds_read_b128 v[1:4], v17 offset:1152
	s_waitcnt vmcnt(58) lgkmcnt(1)
	v_mul_f64 v[71:72], v[13:14], v[150:151]
	;; [unrolled: 28-line block ×3, first 2 shown]
	s_waitcnt vmcnt(56)
	v_fma_f64 v[156:157], v[1:2], v[162:163], -v[155:156]
	v_mul_f64 v[147:148], v[18:19], v[158:159]
	buffer_load_dword v155, off, s[0:3], 0 offset:708
	v_add_f64 v[22:23], v[22:23], v[71:72]
	v_fma_f64 v[71:72], v[3:4], v[162:163], v[181:182]
	v_add_f64 v[15:16], v[15:16], v[67:68]
	ds_read_b128 v[1:4], v17 offset:1200
	s_waitcnt vmcnt(53) lgkmcnt(1)
	v_mul_f64 v[158:159], v[13:14], v[166:167]
	s_waitcnt vmcnt(52)
	v_fma_f64 v[152:153], v[18:19], v[160:161], -v[152:153]
	v_mul_f64 v[67:68], v[11:12], v[166:167]
	v_fma_f64 v[147:148], v[20:21], v[160:161], v[147:148]
	ds_read_b128 v[18:21], v17 offset:1216
	v_add_f64 v[22:23], v[22:23], v[156:157]
	v_add_f64 v[15:16], v[15:16], v[71:72]
	s_waitcnt vmcnt(51) lgkmcnt(1)
	v_mul_f64 v[156:157], v[3:4], v[168:169]
	v_mul_f64 v[71:72], v[1:2], v[168:169]
	s_waitcnt vmcnt(49)
	v_fma_f64 v[158:159], v[11:12], v[31:32], -v[158:159]
	v_fma_f64 v[31:32], v[13:14], v[31:32], v[67:68]
	v_add_f64 v[22:23], v[22:23], v[152:153]
	s_waitcnt vmcnt(45) lgkmcnt(0)
	v_mul_f64 v[152:153], v[18:19], v[26:27]
	v_add_f64 v[15:16], v[15:16], v[147:148]
	s_clause 0x3
	buffer_load_dword v67, off, s[0:3], 0 offset:240
	buffer_load_dword v68, off, s[0:3], 0 offset:244
	;; [unrolled: 1-line block ×4, first 2 shown]
	v_mul_f64 v[26:27], v[20:21], v[26:27]
	ds_read_b128 v[11:14], v17 offset:1232
	s_waitcnt vmcnt(48)
	v_fma_f64 v[156:157], v[1:2], v[170:171], -v[156:157]
	v_fma_f64 v[71:72], v[3:4], v[170:171], v[71:72]
	ds_read_b128 v[1:4], v17 offset:1248
	v_add_f64 v[22:23], v[22:23], v[158:159]
	v_add_f64 v[15:16], v[15:16], v[31:32]
	s_waitcnt vmcnt(47) lgkmcnt(1)
	v_mul_f64 v[158:159], v[13:14], v[172:173]
	s_waitcnt vmcnt(45)
	v_fma_f64 v[26:27], v[18:19], v[39:40], -v[26:27]
	v_mul_f64 v[31:32], v[11:12], v[172:173]
	v_fma_f64 v[39:40], v[20:21], v[39:40], v[152:153]
	ds_read_b128 v[18:21], v17 offset:1264
	v_add_f64 v[22:23], v[22:23], v[156:157]
	v_add_f64 v[15:16], v[15:16], v[71:72]
	s_waitcnt vmcnt(41) lgkmcnt(1)
	v_mul_f64 v[71:72], v[1:2], v[24:25]
	v_mul_f64 v[24:25], v[3:4], v[24:25]
	s_waitcnt vmcnt(40)
	v_fma_f64 v[152:153], v[11:12], v[177:178], -v[158:159]
	v_add_f64 v[22:23], v[22:23], v[26:27]
	v_fma_f64 v[26:27], v[13:14], v[177:178], v[31:32]
	v_add_f64 v[15:16], v[15:16], v[39:40]
	ds_read_b128 v[11:14], v17 offset:1280
	s_waitcnt vmcnt(39) lgkmcnt(1)
	v_mul_f64 v[39:40], v[20:21], v[164:165]
	v_mul_f64 v[31:32], v[18:19], v[164:165]
	s_waitcnt vmcnt(37)
	v_fma_f64 v[24:25], v[1:2], v[37:38], -v[24:25]
	v_fma_f64 v[37:38], v[3:4], v[37:38], v[71:72]
	ds_read_b128 v[1:4], v17 offset:1296
	v_add_f64 v[22:23], v[22:23], v[152:153]
	v_add_f64 v[15:16], v[15:16], v[26:27]
	s_waitcnt vmcnt(33) lgkmcnt(1)
	v_mul_f64 v[26:27], v[11:12], v[33:34]
	v_mul_f64 v[33:34], v[13:14], v[33:34]
	s_waitcnt vmcnt(32)
	v_fma_f64 v[39:40], v[18:19], v[179:180], -v[39:40]
	v_add_f64 v[22:23], v[22:23], v[24:25]
	v_fma_f64 v[24:25], v[20:21], v[179:180], v[31:32]
	v_add_f64 v[15:16], v[15:16], v[37:38]
	ds_read_b128 v[18:21], v17 offset:1312
	s_waitcnt vmcnt(31) lgkmcnt(1)
	v_mul_f64 v[37:38], v[3:4], v[53:54]
	v_mul_f64 v[31:32], v[1:2], v[53:54]
	s_waitcnt vmcnt(29)
	v_fma_f64 v[33:34], v[11:12], v[35:36], -v[33:34]
	v_fma_f64 v[26:27], v[13:14], v[35:36], v[26:27]
	ds_read_b128 v[11:14], v17 offset:1328
	v_add_f64 v[22:23], v[22:23], v[39:40]
	v_add_f64 v[15:16], v[15:16], v[24:25]
	s_waitcnt vmcnt(25) lgkmcnt(1)
	v_mul_f64 v[35:36], v[20:21], v[45:46]
	s_waitcnt vmcnt(24)
	v_fma_f64 v[37:38], v[1:2], v[174:175], -v[37:38]
	v_mul_f64 v[24:25], v[18:19], v[45:46]
	v_fma_f64 v[31:32], v[3:4], v[174:175], v[31:32]
	ds_read_b128 v[1:4], v17 offset:1344
	v_add_f64 v[22:23], v[22:23], v[33:34]
	v_add_f64 v[15:16], v[15:16], v[26:27]
	s_waitcnt vmcnt(23) lgkmcnt(1)
	v_mul_f64 v[33:34], v[13:14], v[57:58]
	v_mul_f64 v[26:27], v[11:12], v[57:58]
	s_waitcnt vmcnt(21)
	v_fma_f64 v[35:36], v[18:19], v[49:50], -v[35:36]
	v_fma_f64 v[24:25], v[20:21], v[49:50], v[24:25]
	ds_read_b128 v[18:21], v17 offset:1360
	v_add_f64 v[22:23], v[22:23], v[37:38]
	v_add_f64 v[15:16], v[15:16], v[31:32]
	s_waitcnt vmcnt(17) lgkmcnt(1)
	v_mul_f64 v[37:38], v[3:4], v[47:48]
	s_waitcnt vmcnt(16)
	v_fma_f64 v[33:34], v[11:12], v[65:66], -v[33:34]
	v_mul_f64 v[31:32], v[1:2], v[47:48]
	v_fma_f64 v[26:27], v[13:14], v[65:66], v[26:27]
	ds_read_b128 v[11:14], v17 offset:1376
	v_add_f64 v[22:23], v[22:23], v[35:36]
	v_add_f64 v[15:16], v[15:16], v[24:25]
	s_waitcnt vmcnt(15) lgkmcnt(1)
	v_mul_f64 v[35:36], v[20:21], v[69:70]
	v_mul_f64 v[24:25], v[18:19], v[69:70]
	s_waitcnt vmcnt(13)
	v_fma_f64 v[37:38], v[1:2], v[51:52], -v[37:38]
	v_fma_f64 v[31:32], v[3:4], v[51:52], v[31:32]
	ds_read_b128 v[1:4], v17 offset:1392
	v_add_f64 v[22:23], v[22:23], v[33:34]
	v_add_f64 v[15:16], v[15:16], v[26:27]
	s_waitcnt vmcnt(9) lgkmcnt(1)
	v_mul_f64 v[33:34], v[13:14], v[55:56]
	s_waitcnt vmcnt(8)
	v_fma_f64 v[18:19], v[18:19], v[145:146], -v[35:36]
	v_mul_f64 v[26:27], v[11:12], v[55:56]
	v_fma_f64 v[20:21], v[20:21], v[145:146], v[24:25]
	v_add_f64 v[22:23], v[22:23], v[37:38]
	v_add_f64 v[15:16], v[15:16], v[31:32]
	s_waitcnt vmcnt(7) lgkmcnt(0)
	v_mul_f64 v[31:32], v[3:4], v[150:151]
	v_mul_f64 v[24:25], v[1:2], v[150:151]
	s_waitcnt vmcnt(5)
	v_fma_f64 v[11:12], v[11:12], v[59:60], -v[33:34]
	v_fma_f64 v[13:14], v[13:14], v[59:60], v[26:27]
	v_add_f64 v[18:19], v[22:23], v[18:19]
	v_add_f64 v[15:16], v[15:16], v[20:21]
	s_waitcnt vmcnt(4)
	v_fma_f64 v[1:2], v[1:2], v[154:155], -v[31:32]
	v_fma_f64 v[3:4], v[3:4], v[154:155], v[24:25]
	v_add_f64 v[11:12], v[18:19], v[11:12]
	v_add_f64 v[13:14], v[15:16], v[13:14]
	;; [unrolled: 1-line block ×4, first 2 shown]
	s_waitcnt vmcnt(2)
	v_add_f64 v[1:2], v[67:68], -v[1:2]
	s_waitcnt vmcnt(0)
	v_add_f64 v[3:4], v[147:148], -v[3:4]
	buffer_store_dword v2, off, s[0:3], 0 offset:244
	buffer_store_dword v1, off, s[0:3], 0 offset:240
	;; [unrolled: 1-line block ×4, first 2 shown]
	v_cmpx_lt_u32_e32 13, v0
	s_cbranch_execz .LBB43_251
; %bb.250:
	v_mov_b32_e32 v4, s34
	s_clause 0x3
	buffer_load_dword v1, v4, s[0:3], 0 offen
	buffer_load_dword v2, v4, s[0:3], 0 offen offset:4
	buffer_load_dword v3, v4, s[0:3], 0 offen offset:8
	;; [unrolled: 1-line block ×3, first 2 shown]
	buffer_store_dword v17, off, s[0:3], 0 offset:224
	buffer_store_dword v17, off, s[0:3], 0 offset:228
	;; [unrolled: 1-line block ×4, first 2 shown]
	s_waitcnt vmcnt(0)
	ds_write_b128 v149, v[1:4]
.LBB43_251:
	s_or_b32 exec_lo, exec_lo, s4
	s_waitcnt lgkmcnt(0)
	s_waitcnt_vscnt null, 0x0
	s_barrier
	buffer_gl0_inv
	s_clause 0x37
	buffer_load_dword v15, off, s[0:3], 0 offset:248
	buffer_load_dword v16, off, s[0:3], 0 offset:252
	;; [unrolled: 1-line block ×56, first 2 shown]
	ds_read_b128 v[18:21], v17 offset:928
	s_clause 0x2
	buffer_load_dword v159, off, s[0:3], 0 offset:476
	buffer_load_dword v163, off, s[0:3], 0 offset:452
	;; [unrolled: 1-line block ×3, first 2 shown]
	ds_read_b128 v[22:25], v17 offset:944
	s_clause 0x4
	buffer_load_dword v167, off, s[0:3], 0 offset:492
	buffer_load_dword v168, off, s[0:3], 0 offset:504
	buffer_load_dword v170, off, s[0:3], 0 offset:496
	buffer_load_dword v166, off, s[0:3], 0 offset:488
	buffer_load_dword v161, off, s[0:3], 0 offset:468
	ds_read_b128 v[31:34], v17 offset:960
	s_clause 0x2
	buffer_load_dword v169, off, s[0:3], 0 offset:508
	buffer_load_dword v174, off, s[0:3], 0 offset:484
	;; [unrolled: 1-line block ×3, first 2 shown]
	s_mov_b32 s4, exec_lo
	s_waitcnt vmcnt(62) lgkmcnt(2)
	v_mul_f64 v[164:165], v[20:21], v[15:16]
	v_mul_f64 v[15:16], v[18:19], v[15:16]
	s_waitcnt lgkmcnt(1)
	v_mul_f64 v[171:172], v[24:25], v[11:12]
	s_waitcnt vmcnt(59) lgkmcnt(0)
	v_mul_f64 v[175:176], v[33:34], v[3:4]
	v_fma_f64 v[18:19], v[18:19], v[13:14], -v[164:165]
	v_mul_f64 v[164:165], v[22:23], v[11:12]
	v_fma_f64 v[15:16], v[20:21], v[13:14], v[15:16]
	s_waitcnt vmcnt(57)
	v_fma_f64 v[22:23], v[22:23], v[1:2], -v[171:172]
	ds_read_b128 v[11:14], v17 offset:976
	v_mul_f64 v[20:21], v[31:32], v[3:4]
	s_waitcnt vmcnt(51)
	v_fma_f64 v[31:32], v[31:32], v[39:40], -v[175:176]
	v_add_f64 v[18:19], v[18:19], 0
	v_fma_f64 v[24:25], v[24:25], v[1:2], v[164:165]
	v_add_f64 v[15:16], v[15:16], 0
	s_clause 0x4
	buffer_load_dword v165, off, s[0:3], 0 offset:524
	buffer_load_dword v177, off, s[0:3], 0 offset:536
	;; [unrolled: 1-line block ×5, first 2 shown]
	s_waitcnt lgkmcnt(0)
	v_mul_f64 v[180:181], v[11:12], v[26:27]
	v_mul_f64 v[26:27], v[13:14], v[26:27]
	ds_read_b128 v[1:4], v17 offset:992
	v_fma_f64 v[33:34], v[33:34], v[39:40], v[20:21]
	v_add_f64 v[22:23], v[18:19], v[22:23]
	v_add_f64 v[15:16], v[15:16], v[24:25]
	s_clause 0x2
	buffer_load_dword v178, off, s[0:3], 0 offset:540
	buffer_load_dword v25, off, s[0:3], 0 offset:516
	;; [unrolled: 1-line block ×3, first 2 shown]
	s_waitcnt vmcnt(58) lgkmcnt(0)
	v_mul_f64 v[39:40], v[1:2], v[35:36]
	v_mul_f64 v[35:36], v[3:4], v[35:36]
	s_waitcnt vmcnt(56)
	v_fma_f64 v[26:27], v[11:12], v[45:46], -v[26:27]
	ds_read_b128 v[18:21], v17 offset:1008
	v_add_f64 v[22:23], v[22:23], v[31:32]
	v_fma_f64 v[31:32], v[13:14], v[45:46], v[180:181]
	v_add_f64 v[15:16], v[15:16], v[33:34]
	s_clause 0x4
	buffer_load_dword v34, off, s[0:3], 0 offset:556
	buffer_load_dword v45, off, s[0:3], 0 offset:568
	;; [unrolled: 1-line block ×5, first 2 shown]
	ds_read_b128 v[11:14], v17 offset:1024
	s_waitcnt vmcnt(57) lgkmcnt(1)
	v_mul_f64 v[181:182], v[18:19], v[47:48]
	v_mul_f64 v[47:48], v[20:21], v[47:48]
	s_waitcnt vmcnt(56)
	v_fma_f64 v[35:36], v[1:2], v[37:38], -v[35:36]
	v_add_f64 v[22:23], v[22:23], v[26:27]
	v_fma_f64 v[26:27], v[3:4], v[37:38], v[39:40]
	v_add_f64 v[15:16], v[15:16], v[31:32]
	s_clause 0x2
	buffer_load_dword v46, off, s[0:3], 0 offset:572
	buffer_load_dword v32, off, s[0:3], 0 offset:548
	buffer_load_dword v31, off, s[0:3], 0 offset:544
	s_waitcnt vmcnt(58) lgkmcnt(0)
	v_mul_f64 v[39:40], v[13:14], v[49:50]
	ds_read_b128 v[1:4], v17 offset:1040
	s_waitcnt vmcnt(56)
	v_fma_f64 v[47:48], v[18:19], v[53:54], -v[47:48]
	v_mul_f64 v[37:38], v[11:12], v[49:50]
	v_add_f64 v[22:23], v[22:23], v[35:36]
	v_fma_f64 v[35:36], v[20:21], v[53:54], v[181:182]
	v_add_f64 v[15:16], v[15:16], v[26:27]
	s_clause 0x4
	buffer_load_dword v27, off, s[0:3], 0 offset:588
	buffer_load_dword v49, off, s[0:3], 0 offset:600
	buffer_load_dword v53, off, s[0:3], 0 offset:592
	buffer_load_dword v26, off, s[0:3], 0 offset:584
	buffer_load_dword v176, off, s[0:3], 0 offset:564
	s_waitcnt vmcnt(57) lgkmcnt(0)
	v_mul_f64 v[181:182], v[1:2], v[55:56]
	v_mul_f64 v[54:55], v[3:4], v[55:56]
	s_waitcnt vmcnt(56)
	v_fma_f64 v[39:40], v[11:12], v[51:52], -v[39:40]
	ds_read_b128 v[18:21], v17 offset:1056
	v_fma_f64 v[37:38], v[13:14], v[51:52], v[37:38]
	v_add_f64 v[22:23], v[22:23], v[47:48]
	v_add_f64 v[15:16], v[15:16], v[35:36]
	s_clause 0x2
	buffer_load_dword v50, off, s[0:3], 0 offset:604
	buffer_load_dword v36, off, s[0:3], 0 offset:580
	buffer_load_dword v35, off, s[0:3], 0 offset:576
	ds_read_b128 v[11:14], v17 offset:1072
	s_waitcnt vmcnt(58) lgkmcnt(1)
	v_mul_f64 v[51:52], v[20:21], v[57:58]
	s_waitcnt vmcnt(56)
	v_fma_f64 v[55:56], v[1:2], v[65:66], -v[54:55]
	v_mul_f64 v[47:48], v[18:19], v[57:58]
	v_add_f64 v[22:23], v[22:23], v[39:40]
	v_fma_f64 v[39:40], v[3:4], v[65:66], v[181:182]
	v_add_f64 v[15:16], v[15:16], v[37:38]
	s_clause 0x4
	buffer_load_dword v38, off, s[0:3], 0 offset:620
	buffer_load_dword v57, off, s[0:3], 0 offset:632
	buffer_load_dword v65, off, s[0:3], 0 offset:624
	buffer_load_dword v37, off, s[0:3], 0 offset:616
	buffer_load_dword v54, off, s[0:3], 0 offset:596
	s_waitcnt vmcnt(57) lgkmcnt(0)
	v_mul_f64 v[181:182], v[11:12], v[67:68]
	v_mul_f64 v[66:67], v[13:14], v[67:68]
	s_waitcnt vmcnt(56)
	v_fma_f64 v[51:52], v[18:19], v[59:60], -v[51:52]
	ds_read_b128 v[1:4], v17 offset:1088
	v_fma_f64 v[47:48], v[20:21], v[59:60], v[47:48]
	v_add_f64 v[22:23], v[22:23], v[55:56]
	v_add_f64 v[15:16], v[15:16], v[39:40]
	s_clause 0x2
	buffer_load_dword v58, off, s[0:3], 0 offset:636
	buffer_load_dword v40, off, s[0:3], 0 offset:612
	buffer_load_dword v39, off, s[0:3], 0 offset:608
	ds_read_b128 v[18:21], v17 offset:1104
	s_waitcnt vmcnt(58) lgkmcnt(1)
	v_mul_f64 v[59:60], v[3:4], v[69:70]
	;; [unrolled: 28-line block ×4, first 2 shown]
	s_waitcnt vmcnt(56)
	v_fma_f64 v[156:157], v[1:2], v[162:163], -v[155:156]
	v_mul_f64 v[147:148], v[18:19], v[158:159]
	v_add_f64 v[22:23], v[22:23], v[71:72]
	v_fma_f64 v[71:72], v[3:4], v[162:163], v[181:182]
	v_add_f64 v[15:16], v[15:16], v[67:68]
	s_clause 0x2
	buffer_load_dword v68, off, s[0:3], 0 offset:716
	buffer_load_dword v67, off, s[0:3], 0 offset:712
	;; [unrolled: 1-line block ×3, first 2 shown]
	s_waitcnt vmcnt(55) lgkmcnt(0)
	v_mul_f64 v[162:163], v[13:14], v[166:167]
	s_waitcnt vmcnt(54)
	v_fma_f64 v[152:153], v[18:19], v[160:161], -v[152:153]
	ds_read_b128 v[1:4], v17 offset:1184
	v_mul_f64 v[158:159], v[11:12], v[166:167]
	v_fma_f64 v[147:148], v[20:21], v[160:161], v[147:148]
	v_add_f64 v[22:23], v[22:23], v[156:157]
	v_add_f64 v[15:16], v[15:16], v[71:72]
	s_clause 0x1
	buffer_load_dword v72, off, s[0:3], 0 offset:708
	buffer_load_dword v71, off, s[0:3], 0 offset:704
	s_waitcnt vmcnt(55) lgkmcnt(0)
	v_mul_f64 v[160:161], v[3:4], v[168:169]
	s_waitcnt vmcnt(53)
	v_fma_f64 v[162:163], v[11:12], v[173:174], -v[162:163]
	ds_read_b128 v[18:21], v17 offset:1200
	v_mul_f64 v[156:157], v[1:2], v[168:169]
	v_add_f64 v[22:23], v[22:23], v[152:153]
	v_fma_f64 v[152:153], v[13:14], v[173:174], v[158:159]
	v_add_f64 v[15:16], v[15:16], v[147:148]
	ds_read_b128 v[11:14], v17 offset:1216
	s_waitcnt vmcnt(49) lgkmcnt(1)
	v_mul_f64 v[158:159], v[20:21], v[164:165]
	s_waitcnt vmcnt(48)
	v_fma_f64 v[160:161], v[1:2], v[170:171], -v[160:161]
	v_mul_f64 v[147:148], v[18:19], v[164:165]
	v_fma_f64 v[156:157], v[3:4], v[170:171], v[156:157]
	v_add_f64 v[22:23], v[22:23], v[162:163]
	v_add_f64 v[15:16], v[15:16], v[152:153]
	s_clause 0x3
	buffer_load_dword v152, off, s[0:3], 0 offset:224
	buffer_load_dword v153, off, s[0:3], 0 offset:228
	;; [unrolled: 1-line block ×4, first 2 shown]
	ds_read_b128 v[1:4], v17 offset:1232
	s_waitcnt vmcnt(51) lgkmcnt(1)
	v_mul_f64 v[166:167], v[13:14], v[177:178]
	v_mul_f64 v[164:165], v[11:12], v[177:178]
	s_waitcnt vmcnt(49)
	v_fma_f64 v[158:159], v[18:19], v[24:25], -v[158:159]
	v_fma_f64 v[24:25], v[20:21], v[24:25], v[147:148]
	ds_read_b128 v[18:21], v17 offset:1248
	v_add_f64 v[22:23], v[22:23], v[160:161]
	v_add_f64 v[15:16], v[15:16], v[156:157]
	s_waitcnt vmcnt(45) lgkmcnt(1)
	v_mul_f64 v[147:148], v[1:2], v[33:34]
	v_mul_f64 v[33:34], v[3:4], v[33:34]
	s_waitcnt vmcnt(44)
	v_fma_f64 v[156:157], v[11:12], v[179:180], -v[166:167]
	v_add_f64 v[22:23], v[22:23], v[158:159]
	v_fma_f64 v[158:159], v[13:14], v[179:180], v[164:165]
	v_add_f64 v[15:16], v[15:16], v[24:25]
	ds_read_b128 v[11:14], v17 offset:1264
	s_waitcnt vmcnt(43) lgkmcnt(1)
	v_mul_f64 v[24:25], v[18:19], v[45:46]
	v_mul_f64 v[45:46], v[20:21], v[45:46]
	s_waitcnt vmcnt(41)
	v_fma_f64 v[33:34], v[1:2], v[31:32], -v[33:34]
	v_fma_f64 v[31:32], v[3:4], v[31:32], v[147:148]
	ds_read_b128 v[1:4], v17 offset:1280
	v_add_f64 v[22:23], v[22:23], v[156:157]
	v_add_f64 v[15:16], v[15:16], v[158:159]
	s_waitcnt vmcnt(37) lgkmcnt(1)
	v_mul_f64 v[147:148], v[11:12], v[26:27]
	v_mul_f64 v[26:27], v[13:14], v[26:27]
	s_waitcnt vmcnt(36)
	v_fma_f64 v[45:46], v[18:19], v[175:176], -v[45:46]
	v_fma_f64 v[24:25], v[20:21], v[175:176], v[24:25]
	ds_read_b128 v[18:21], v17 offset:1296
	v_add_f64 v[22:23], v[22:23], v[33:34]
	v_add_f64 v[15:16], v[15:16], v[31:32]
	;; [unrolled: 9-line block ×3, first 2 shown]
	s_waitcnt vmcnt(29) lgkmcnt(1)
	v_mul_f64 v[24:25], v[18:19], v[37:38]
	v_mul_f64 v[37:38], v[20:21], v[37:38]
	s_waitcnt vmcnt(28)
	v_fma_f64 v[33:34], v[1:2], v[53:54], -v[33:34]
	v_add_f64 v[22:23], v[22:23], v[26:27]
	v_fma_f64 v[26:27], v[3:4], v[53:54], v[31:32]
	v_add_f64 v[15:16], v[15:16], v[35:36]
	ds_read_b128 v[1:4], v17 offset:1328
	s_waitcnt vmcnt(27) lgkmcnt(1)
	v_mul_f64 v[35:36], v[13:14], v[57:58]
	v_mul_f64 v[31:32], v[11:12], v[57:58]
	s_waitcnt vmcnt(25)
	v_fma_f64 v[37:38], v[18:19], v[39:40], -v[37:38]
	v_fma_f64 v[24:25], v[20:21], v[39:40], v[24:25]
	ds_read_b128 v[18:21], v17 offset:1344
	v_add_f64 v[22:23], v[22:23], v[33:34]
	v_add_f64 v[15:16], v[15:16], v[26:27]
	s_waitcnt vmcnt(21) lgkmcnt(1)
	v_mul_f64 v[33:34], v[3:4], v[47:48]
	s_waitcnt vmcnt(20)
	v_fma_f64 v[35:36], v[11:12], v[65:66], -v[35:36]
	v_mul_f64 v[26:27], v[1:2], v[47:48]
	v_fma_f64 v[31:32], v[13:14], v[65:66], v[31:32]
	ds_read_b128 v[11:14], v17 offset:1360
	v_add_f64 v[22:23], v[22:23], v[37:38]
	v_add_f64 v[15:16], v[15:16], v[24:25]
	s_waitcnt vmcnt(19) lgkmcnt(1)
	v_mul_f64 v[37:38], v[20:21], v[69:70]
	v_mul_f64 v[24:25], v[18:19], v[69:70]
	s_waitcnt vmcnt(17)
	v_fma_f64 v[33:34], v[1:2], v[51:52], -v[33:34]
	v_fma_f64 v[26:27], v[3:4], v[51:52], v[26:27]
	ds_read_b128 v[1:4], v17 offset:1376
	v_add_f64 v[22:23], v[22:23], v[35:36]
	v_add_f64 v[15:16], v[15:16], v[31:32]
	s_waitcnt vmcnt(13) lgkmcnt(1)
	v_mul_f64 v[35:36], v[13:14], v[55:56]
	s_waitcnt vmcnt(12)
	v_fma_f64 v[37:38], v[18:19], v[145:146], -v[37:38]
	v_mul_f64 v[31:32], v[11:12], v[55:56]
	v_fma_f64 v[19:20], v[20:21], v[145:146], v[24:25]
	v_add_f64 v[22:23], v[22:23], v[33:34]
	v_add_f64 v[24:25], v[15:16], v[26:27]
	ds_read_b128 v[15:18], v17 offset:1392
	s_waitcnt vmcnt(11) lgkmcnt(1)
	v_mul_f64 v[33:34], v[3:4], v[150:151]
	v_mul_f64 v[26:27], v[1:2], v[150:151]
	s_waitcnt vmcnt(9)
	v_fma_f64 v[11:12], v[11:12], v[59:60], -v[35:36]
	v_fma_f64 v[13:14], v[13:14], v[59:60], v[31:32]
	v_add_f64 v[21:22], v[22:23], v[37:38]
	v_add_f64 v[19:20], v[24:25], v[19:20]
	s_waitcnt vmcnt(7) lgkmcnt(0)
	v_mul_f64 v[31:32], v[17:18], v[67:68]
	s_waitcnt vmcnt(6)
	v_fma_f64 v[1:2], v[1:2], v[154:155], -v[33:34]
	v_mul_f64 v[23:24], v[15:16], v[67:68]
	v_fma_f64 v[3:4], v[3:4], v[154:155], v[26:27]
	v_add_f64 v[11:12], v[21:22], v[11:12]
	v_add_f64 v[13:14], v[19:20], v[13:14]
	s_waitcnt vmcnt(4)
	v_fma_f64 v[15:16], v[15:16], v[71:72], -v[31:32]
	v_add_f64 v[1:2], v[11:12], v[1:2]
	v_fma_f64 v[11:12], v[17:18], v[71:72], v[23:24]
	v_add_f64 v[3:4], v[13:14], v[3:4]
	v_add_f64 v[1:2], v[1:2], v[15:16]
	;; [unrolled: 1-line block ×3, first 2 shown]
	s_waitcnt vmcnt(2)
	v_add_f64 v[1:2], v[152:153], -v[1:2]
	s_waitcnt vmcnt(0)
	v_add_f64 v[3:4], v[162:163], -v[3:4]
	buffer_store_dword v2, off, s[0:3], 0 offset:228
	buffer_store_dword v1, off, s[0:3], 0 offset:224
	;; [unrolled: 1-line block ×4, first 2 shown]
	v_cmpx_lt_u32_e32 12, v0
	s_cbranch_execz .LBB43_253
; %bb.252:
	v_mov_b32_e32 v4, s36
	v_mov_b32_e32 v11, 0
	s_clause 0x3
	buffer_load_dword v1, v4, s[0:3], 0 offen
	buffer_load_dword v2, v4, s[0:3], 0 offen offset:4
	buffer_load_dword v3, v4, s[0:3], 0 offen offset:8
	;; [unrolled: 1-line block ×3, first 2 shown]
	buffer_store_dword v11, off, s[0:3], 0 offset:208
	buffer_store_dword v11, off, s[0:3], 0 offset:212
	;; [unrolled: 1-line block ×4, first 2 shown]
	s_waitcnt vmcnt(0)
	ds_write_b128 v149, v[1:4]
.LBB43_253:
	s_or_b32 exec_lo, exec_lo, s4
	s_waitcnt lgkmcnt(0)
	s_waitcnt_vscnt null, 0x0
	s_barrier
	buffer_gl0_inv
	s_clause 0x37
	buffer_load_dword v15, off, s[0:3], 0 offset:232
	buffer_load_dword v16, off, s[0:3], 0 offset:236
	;; [unrolled: 1-line block ×56, first 2 shown]
	v_mov_b32_e32 v37, 0
	s_mov_b32 s4, exec_lo
	ds_read_b128 v[23:26], v37 offset:912
	s_clause 0x2
	buffer_load_dword v159, off, s[0:3], 0 offset:460
	buffer_load_dword v163, off, s[0:3], 0 offset:436
	;; [unrolled: 1-line block ×3, first 2 shown]
	ds_read_b128 v[31:34], v37 offset:928
	s_clause 0x4
	buffer_load_dword v167, off, s[0:3], 0 offset:476
	buffer_load_dword v168, off, s[0:3], 0 offset:488
	;; [unrolled: 1-line block ×5, first 2 shown]
	ds_read_b128 v[45:48], v37 offset:944
	s_clause 0x2
	buffer_load_dword v169, off, s[0:3], 0 offset:492
	buffer_load_dword v174, off, s[0:3], 0 offset:468
	;; [unrolled: 1-line block ×3, first 2 shown]
	s_waitcnt vmcnt(62) lgkmcnt(2)
	v_mul_f64 v[164:165], v[25:26], v[15:16]
	v_mul_f64 v[15:16], v[23:24], v[15:16]
	s_waitcnt lgkmcnt(1)
	v_mul_f64 v[171:172], v[33:34], v[11:12]
	s_waitcnt vmcnt(59) lgkmcnt(0)
	v_mul_f64 v[175:176], v[47:48], v[3:4]
	v_fma_f64 v[23:24], v[23:24], v[13:14], -v[164:165]
	v_mul_f64 v[164:165], v[31:32], v[11:12]
	v_fma_f64 v[15:16], v[25:26], v[13:14], v[15:16]
	s_waitcnt vmcnt(57)
	v_fma_f64 v[31:32], v[31:32], v[1:2], -v[171:172]
	ds_read_b128 v[11:14], v37 offset:960
	v_mul_f64 v[25:26], v[45:46], v[3:4]
	s_waitcnt vmcnt(51)
	v_fma_f64 v[45:46], v[45:46], v[35:36], -v[175:176]
	v_add_f64 v[23:24], v[23:24], 0
	v_fma_f64 v[33:34], v[33:34], v[1:2], v[164:165]
	v_add_f64 v[15:16], v[15:16], 0
	s_clause 0x4
	buffer_load_dword v165, off, s[0:3], 0 offset:508
	buffer_load_dword v177, off, s[0:3], 0 offset:520
	;; [unrolled: 1-line block ×5, first 2 shown]
	s_waitcnt lgkmcnt(0)
	v_mul_f64 v[180:181], v[11:12], v[19:20]
	v_mul_f64 v[19:20], v[13:14], v[19:20]
	ds_read_b128 v[1:4], v37 offset:976
	v_fma_f64 v[35:36], v[47:48], v[35:36], v[25:26]
	v_add_f64 v[31:32], v[23:24], v[31:32]
	v_add_f64 v[15:16], v[15:16], v[33:34]
	s_clause 0x2
	buffer_load_dword v178, off, s[0:3], 0 offset:524
	buffer_load_dword v34, off, s[0:3], 0 offset:500
	;; [unrolled: 1-line block ×3, first 2 shown]
	s_waitcnt vmcnt(58) lgkmcnt(0)
	v_mul_f64 v[47:48], v[1:2], v[27:28]
	v_mul_f64 v[27:28], v[3:4], v[27:28]
	s_waitcnt vmcnt(56)
	v_fma_f64 v[19:20], v[11:12], v[38:39], -v[19:20]
	ds_read_b128 v[23:26], v37 offset:992
	v_fma_f64 v[38:39], v[13:14], v[38:39], v[180:181]
	v_add_f64 v[31:32], v[31:32], v[45:46]
	v_add_f64 v[15:16], v[15:16], v[35:36]
	s_clause 0x4
	buffer_load_dword v36, off, s[0:3], 0 offset:540
	buffer_load_dword v45, off, s[0:3], 0 offset:552
	;; [unrolled: 1-line block ×5, first 2 shown]
	ds_read_b128 v[11:14], v37 offset:1008
	s_waitcnt vmcnt(57) lgkmcnt(1)
	v_mul_f64 v[181:182], v[23:24], v[49:50]
	v_mul_f64 v[49:50], v[25:26], v[49:50]
	s_waitcnt vmcnt(56)
	v_fma_f64 v[27:28], v[1:2], v[17:18], -v[27:28]
	v_fma_f64 v[17:18], v[3:4], v[17:18], v[47:48]
	v_add_f64 v[19:20], v[31:32], v[19:20]
	s_clause 0x2
	buffer_load_dword v46, off, s[0:3], 0 offset:556
	buffer_load_dword v32, off, s[0:3], 0 offset:532
	;; [unrolled: 1-line block ×3, first 2 shown]
	v_add_f64 v[15:16], v[15:16], v[38:39]
	s_waitcnt vmcnt(58) lgkmcnt(0)
	v_mul_f64 v[47:48], v[13:14], v[51:52]
	ds_read_b128 v[1:4], v37 offset:1024
	v_mul_f64 v[38:39], v[11:12], v[51:52]
	s_waitcnt vmcnt(56)
	v_fma_f64 v[23:24], v[23:24], v[53:54], -v[49:50]
	v_fma_f64 v[25:26], v[25:26], v[53:54], v[181:182]
	s_clause 0x4
	buffer_load_dword v50, off, s[0:3], 0 offset:572
	buffer_load_dword v51, off, s[0:3], 0 offset:584
	;; [unrolled: 1-line block ×5, first 2 shown]
	v_add_f64 v[19:20], v[19:20], v[27:28]
	v_add_f64 v[27:28], v[15:16], v[17:18]
	s_waitcnt vmcnt(57) lgkmcnt(0)
	v_mul_f64 v[181:182], v[1:2], v[55:56]
	v_mul_f64 v[54:55], v[3:4], v[55:56]
	s_waitcnt vmcnt(56)
	v_fma_f64 v[47:48], v[11:12], v[21:22], -v[47:48]
	ds_read_b128 v[15:18], v37 offset:1040
	v_fma_f64 v[21:22], v[13:14], v[21:22], v[38:39]
	v_add_f64 v[19:20], v[19:20], v[23:24]
	v_add_f64 v[23:24], v[27:28], v[25:26]
	s_clause 0x2
	buffer_load_dword v52, off, s[0:3], 0 offset:588
	buffer_load_dword v26, off, s[0:3], 0 offset:564
	;; [unrolled: 1-line block ×3, first 2 shown]
	s_waitcnt vmcnt(58) lgkmcnt(0)
	v_mul_f64 v[38:39], v[17:18], v[57:58]
	s_waitcnt vmcnt(56)
	v_fma_f64 v[55:56], v[1:2], v[65:66], -v[54:55]
	ds_read_b128 v[11:14], v37 offset:1056
	v_mul_f64 v[27:28], v[15:16], v[57:58]
	v_add_f64 v[19:20], v[19:20], v[47:48]
	v_fma_f64 v[47:48], v[3:4], v[65:66], v[181:182]
	v_add_f64 v[21:22], v[23:24], v[21:22]
	s_clause 0x4
	buffer_load_dword v24, off, s[0:3], 0 offset:604
	buffer_load_dword v57, off, s[0:3], 0 offset:616
	buffer_load_dword v65, off, s[0:3], 0 offset:608
	buffer_load_dword v23, off, s[0:3], 0 offset:600
	buffer_load_dword v54, off, s[0:3], 0 offset:580
	s_waitcnt vmcnt(57) lgkmcnt(0)
	v_mul_f64 v[181:182], v[11:12], v[67:68]
	v_mul_f64 v[66:67], v[13:14], v[67:68]
	s_waitcnt vmcnt(56)
	v_fma_f64 v[38:39], v[15:16], v[59:60], -v[38:39]
	ds_read_b128 v[1:4], v37 offset:1072
	v_fma_f64 v[27:28], v[17:18], v[59:60], v[27:28]
	v_add_f64 v[19:20], v[19:20], v[55:56]
	v_add_f64 v[21:22], v[21:22], v[47:48]
	s_clause 0x2
	buffer_load_dword v58, off, s[0:3], 0 offset:620
	buffer_load_dword v48, off, s[0:3], 0 offset:596
	buffer_load_dword v47, off, s[0:3], 0 offset:592
	ds_read_b128 v[15:18], v37 offset:1088
	s_waitcnt vmcnt(58) lgkmcnt(1)
	v_mul_f64 v[59:60], v[3:4], v[69:70]
	s_waitcnt vmcnt(56)
	v_fma_f64 v[67:68], v[11:12], v[145:146], -v[66:67]
	v_mul_f64 v[55:56], v[1:2], v[69:70]
	v_add_f64 v[19:20], v[19:20], v[38:39]
	v_fma_f64 v[38:39], v[13:14], v[145:146], v[181:182]
	v_add_f64 v[21:22], v[21:22], v[27:28]
	s_clause 0x4
	buffer_load_dword v28, off, s[0:3], 0 offset:636
	buffer_load_dword v69, off, s[0:3], 0 offset:648
	buffer_load_dword v145, off, s[0:3], 0 offset:640
	buffer_load_dword v27, off, s[0:3], 0 offset:632
	buffer_load_dword v66, off, s[0:3], 0 offset:612
	s_waitcnt vmcnt(57) lgkmcnt(0)
	v_mul_f64 v[181:182], v[15:16], v[147:148]
	v_mul_f64 v[146:147], v[17:18], v[147:148]
	s_waitcnt vmcnt(56)
	v_fma_f64 v[59:60], v[1:2], v[71:72], -v[59:60]
	ds_read_b128 v[11:14], v37 offset:1104
	v_fma_f64 v[55:56], v[3:4], v[71:72], v[55:56]
	v_add_f64 v[19:20], v[19:20], v[67:68]
	v_add_f64 v[21:22], v[21:22], v[38:39]
	s_clause 0x2
	buffer_load_dword v70, off, s[0:3], 0 offset:652
	buffer_load_dword v39, off, s[0:3], 0 offset:628
	buffer_load_dword v38, off, s[0:3], 0 offset:624
	ds_read_b128 v[1:4], v37 offset:1120
	s_waitcnt vmcnt(58) lgkmcnt(1)
	v_mul_f64 v[71:72], v[13:14], v[150:151]
	s_waitcnt vmcnt(56)
	v_fma_f64 v[147:148], v[15:16], v[154:155], -v[146:147]
	;; [unrolled: 28-line block ×4, first 2 shown]
	v_mul_f64 v[156:157], v[1:2], v[168:169]
	buffer_load_dword v163, off, s[0:3], 0 offset:708
	v_add_f64 v[19:20], v[19:20], v[152:153]
	v_fma_f64 v[152:153], v[13:14], v[173:174], v[181:182]
	v_add_f64 v[21:22], v[21:22], v[147:148]
	ds_read_b128 v[11:14], v37 offset:1200
	s_waitcnt vmcnt(53) lgkmcnt(1)
	v_mul_f64 v[147:148], v[15:16], v[164:165]
	v_mul_f64 v[164:165], v[17:18], v[164:165]
	s_waitcnt vmcnt(52)
	v_fma_f64 v[160:161], v[1:2], v[170:171], -v[160:161]
	v_fma_f64 v[156:157], v[3:4], v[170:171], v[156:157]
	ds_read_b128 v[1:4], v37 offset:1216
	v_add_f64 v[19:20], v[19:20], v[166:167]
	v_add_f64 v[21:22], v[21:22], v[152:153]
	s_waitcnt vmcnt(51) lgkmcnt(1)
	v_mul_f64 v[166:167], v[13:14], v[177:178]
	v_mul_f64 v[152:153], v[11:12], v[177:178]
	s_waitcnt vmcnt(49)
	v_fma_f64 v[164:165], v[15:16], v[33:34], -v[164:165]
	v_fma_f64 v[33:34], v[17:18], v[33:34], v[147:148]
	v_add_f64 v[19:20], v[19:20], v[160:161]
	v_add_f64 v[21:22], v[21:22], v[156:157]
	s_clause 0x3
	buffer_load_dword v147, off, s[0:3], 0 offset:208
	buffer_load_dword v148, off, s[0:3], 0 offset:212
	;; [unrolled: 1-line block ×4, first 2 shown]
	ds_read_b128 v[15:18], v37 offset:1232
	s_waitcnt vmcnt(49) lgkmcnt(1)
	v_mul_f64 v[160:161], v[1:2], v[35:36]
	v_mul_f64 v[35:36], v[3:4], v[35:36]
	s_waitcnt vmcnt(48)
	v_fma_f64 v[166:167], v[11:12], v[179:180], -v[166:167]
	v_fma_f64 v[152:153], v[13:14], v[179:180], v[152:153]
	ds_read_b128 v[11:14], v37 offset:1248
	v_add_f64 v[19:20], v[19:20], v[164:165]
	v_add_f64 v[21:22], v[21:22], v[33:34]
	s_waitcnt vmcnt(47) lgkmcnt(1)
	v_mul_f64 v[33:34], v[15:16], v[45:46]
	v_mul_f64 v[45:46], v[17:18], v[45:46]
	s_waitcnt vmcnt(45)
	v_fma_f64 v[35:36], v[1:2], v[31:32], -v[35:36]
	v_fma_f64 v[31:32], v[3:4], v[31:32], v[160:161]
	ds_read_b128 v[1:4], v37 offset:1264
	v_add_f64 v[19:20], v[19:20], v[166:167]
	v_add_f64 v[21:22], v[21:22], v[152:153]
	s_waitcnt vmcnt(41) lgkmcnt(1)
	v_mul_f64 v[152:153], v[11:12], v[49:50]
	v_mul_f64 v[49:50], v[13:14], v[49:50]
	s_waitcnt vmcnt(40)
	v_fma_f64 v[33:34], v[17:18], v[175:176], v[33:34]
	v_fma_f64 v[45:46], v[15:16], v[175:176], -v[45:46]
	ds_read_b128 v[15:18], v37 offset:1280
	v_add_f64 v[19:20], v[19:20], v[35:36]
	v_add_f64 v[21:22], v[21:22], v[31:32]
	s_waitcnt vmcnt(39) lgkmcnt(1)
	v_mul_f64 v[35:36], v[3:4], v[51:52]
	v_mul_f64 v[31:32], v[1:2], v[51:52]
	s_waitcnt vmcnt(37)
	v_fma_f64 v[49:50], v[11:12], v[25:26], -v[49:50]
	v_fma_f64 v[25:26], v[13:14], v[25:26], v[152:153]
	ds_read_b128 v[11:14], v37 offset:1296
	v_add_f64 v[19:20], v[19:20], v[45:46]
	v_add_f64 v[21:22], v[21:22], v[33:34]
	s_waitcnt vmcnt(33) lgkmcnt(1)
	v_mul_f64 v[33:34], v[15:16], v[23:24]
	v_mul_f64 v[23:24], v[17:18], v[23:24]
	s_waitcnt vmcnt(32)
	v_fma_f64 v[35:36], v[1:2], v[53:54], -v[35:36]
	v_fma_f64 v[31:32], v[3:4], v[53:54], v[31:32]
	;; [unrolled: 9-line block ×3, first 2 shown]
	ds_read_b128 v[15:18], v37 offset:1328
	v_add_f64 v[19:20], v[19:20], v[35:36]
	v_add_f64 v[21:22], v[21:22], v[31:32]
	s_waitcnt vmcnt(25) lgkmcnt(1)
	v_mul_f64 v[31:32], v[1:2], v[27:28]
	v_mul_f64 v[27:28], v[3:4], v[27:28]
	s_waitcnt vmcnt(24)
	v_fma_f64 v[35:36], v[11:12], v[65:66], -v[45:46]
	v_add_f64 v[19:20], v[19:20], v[23:24]
	v_fma_f64 v[23:24], v[13:14], v[65:66], v[25:26]
	v_add_f64 v[21:22], v[21:22], v[33:34]
	ds_read_b128 v[11:14], v37 offset:1344
	s_waitcnt vmcnt(23) lgkmcnt(1)
	v_mul_f64 v[33:34], v[17:18], v[69:70]
	v_mul_f64 v[25:26], v[15:16], v[69:70]
	s_waitcnt vmcnt(21)
	v_fma_f64 v[27:28], v[1:2], v[38:39], -v[27:28]
	v_fma_f64 v[31:32], v[3:4], v[38:39], v[31:32]
	ds_read_b128 v[1:4], v37 offset:1360
	v_add_f64 v[19:20], v[19:20], v[35:36]
	v_add_f64 v[21:22], v[21:22], v[23:24]
	s_waitcnt vmcnt(17) lgkmcnt(1)
	v_mul_f64 v[35:36], v[13:14], v[55:56]
	s_waitcnt vmcnt(16)
	v_fma_f64 v[33:34], v[15:16], v[145:146], -v[33:34]
	v_mul_f64 v[23:24], v[11:12], v[55:56]
	v_fma_f64 v[25:26], v[17:18], v[145:146], v[25:26]
	ds_read_b128 v[15:18], v37 offset:1376
	v_add_f64 v[19:20], v[19:20], v[27:28]
	v_add_f64 v[21:22], v[21:22], v[31:32]
	s_waitcnt vmcnt(15) lgkmcnt(1)
	v_mul_f64 v[31:32], v[3:4], v[150:151]
	v_mul_f64 v[27:28], v[1:2], v[150:151]
	s_waitcnt vmcnt(13)
	v_fma_f64 v[35:36], v[11:12], v[59:60], -v[35:36]
	v_fma_f64 v[23:24], v[13:14], v[59:60], v[23:24]
	ds_read_b128 v[11:14], v37 offset:1392
	v_add_f64 v[19:20], v[19:20], v[33:34]
	v_add_f64 v[21:22], v[21:22], v[25:26]
	s_waitcnt vmcnt(9) lgkmcnt(1)
	v_mul_f64 v[33:34], v[17:18], v[67:68]
	s_waitcnt vmcnt(8)
	v_fma_f64 v[1:2], v[1:2], v[154:155], -v[31:32]
	v_mul_f64 v[25:26], v[15:16], v[67:68]
	v_fma_f64 v[3:4], v[3:4], v[154:155], v[27:28]
	v_add_f64 v[19:20], v[19:20], v[35:36]
	v_add_f64 v[21:22], v[21:22], v[23:24]
	s_waitcnt vmcnt(7) lgkmcnt(0)
	v_mul_f64 v[27:28], v[13:14], v[158:159]
	v_mul_f64 v[23:24], v[11:12], v[158:159]
	s_waitcnt vmcnt(5)
	v_fma_f64 v[15:16], v[15:16], v[71:72], -v[33:34]
	v_fma_f64 v[17:18], v[17:18], v[71:72], v[25:26]
	v_add_f64 v[1:2], v[19:20], v[1:2]
	v_add_f64 v[3:4], v[21:22], v[3:4]
	s_waitcnt vmcnt(4)
	v_fma_f64 v[11:12], v[11:12], v[162:163], -v[27:28]
	v_fma_f64 v[13:14], v[13:14], v[162:163], v[23:24]
	v_add_f64 v[1:2], v[1:2], v[15:16]
	v_add_f64 v[3:4], v[3:4], v[17:18]
	;; [unrolled: 1-line block ×4, first 2 shown]
	s_waitcnt vmcnt(2)
	v_add_f64 v[1:2], v[147:148], -v[1:2]
	s_waitcnt vmcnt(0)
	v_add_f64 v[3:4], v[156:157], -v[3:4]
	buffer_store_dword v2, off, s[0:3], 0 offset:212
	buffer_store_dword v1, off, s[0:3], 0 offset:208
	;; [unrolled: 1-line block ×4, first 2 shown]
	v_cmpx_lt_u32_e32 11, v0
	s_cbranch_execz .LBB43_255
; %bb.254:
	v_mov_b32_e32 v4, s38
	s_clause 0x3
	buffer_load_dword v1, v4, s[0:3], 0 offen
	buffer_load_dword v2, v4, s[0:3], 0 offen offset:4
	buffer_load_dword v3, v4, s[0:3], 0 offen offset:8
	;; [unrolled: 1-line block ×3, first 2 shown]
	buffer_store_dword v37, off, s[0:3], 0 offset:192
	buffer_store_dword v37, off, s[0:3], 0 offset:196
	;; [unrolled: 1-line block ×4, first 2 shown]
	s_waitcnt vmcnt(0)
	ds_write_b128 v149, v[1:4]
.LBB43_255:
	s_or_b32 exec_lo, exec_lo, s4
	s_waitcnt lgkmcnt(0)
	s_waitcnt_vscnt null, 0x0
	s_barrier
	buffer_gl0_inv
	s_clause 0x37
	buffer_load_dword v15, off, s[0:3], 0 offset:216
	buffer_load_dword v16, off, s[0:3], 0 offset:220
	;; [unrolled: 1-line block ×56, first 2 shown]
	ds_read_b128 v[45:48], v37 offset:896
	s_clause 0x2
	buffer_load_dword v159, off, s[0:3], 0 offset:444
	buffer_load_dword v163, off, s[0:3], 0 offset:420
	;; [unrolled: 1-line block ×3, first 2 shown]
	ds_read_b128 v[49:52], v37 offset:912
	s_clause 0x4
	buffer_load_dword v167, off, s[0:3], 0 offset:460
	buffer_load_dword v168, off, s[0:3], 0 offset:472
	;; [unrolled: 1-line block ×5, first 2 shown]
	ds_read_b128 v[53:56], v37 offset:928
	s_clause 0x2
	buffer_load_dword v169, off, s[0:3], 0 offset:476
	buffer_load_dword v174, off, s[0:3], 0 offset:452
	;; [unrolled: 1-line block ×3, first 2 shown]
	s_mov_b32 s4, exec_lo
	s_waitcnt vmcnt(62) lgkmcnt(2)
	v_mul_f64 v[164:165], v[47:48], v[15:16]
	v_mul_f64 v[15:16], v[45:46], v[15:16]
	s_waitcnt lgkmcnt(1)
	v_mul_f64 v[171:172], v[51:52], v[11:12]
	s_waitcnt vmcnt(59) lgkmcnt(0)
	v_mul_f64 v[175:176], v[55:56], v[3:4]
	v_fma_f64 v[45:46], v[45:46], v[13:14], -v[164:165]
	v_mul_f64 v[164:165], v[49:50], v[11:12]
	v_fma_f64 v[15:16], v[47:48], v[13:14], v[15:16]
	s_waitcnt vmcnt(57)
	v_fma_f64 v[49:50], v[49:50], v[1:2], -v[171:172]
	ds_read_b128 v[11:14], v37 offset:944
	v_mul_f64 v[47:48], v[53:54], v[3:4]
	s_waitcnt vmcnt(51)
	v_fma_f64 v[53:54], v[53:54], v[33:34], -v[175:176]
	v_add_f64 v[45:46], v[45:46], 0
	v_fma_f64 v[51:52], v[51:52], v[1:2], v[164:165]
	v_add_f64 v[15:16], v[15:16], 0
	s_clause 0x4
	buffer_load_dword v165, off, s[0:3], 0 offset:492
	buffer_load_dword v177, off, s[0:3], 0 offset:504
	;; [unrolled: 1-line block ×5, first 2 shown]
	s_waitcnt lgkmcnt(0)
	v_mul_f64 v[180:181], v[11:12], v[19:20]
	v_mul_f64 v[19:20], v[13:14], v[19:20]
	ds_read_b128 v[1:4], v37 offset:960
	v_fma_f64 v[33:34], v[55:56], v[33:34], v[47:48]
	v_add_f64 v[49:50], v[45:46], v[49:50]
	v_add_f64 v[15:16], v[15:16], v[51:52]
	s_clause 0x2
	buffer_load_dword v178, off, s[0:3], 0 offset:508
	buffer_load_dword v52, off, s[0:3], 0 offset:484
	;; [unrolled: 1-line block ×3, first 2 shown]
	s_waitcnt vmcnt(58) lgkmcnt(0)
	v_mul_f64 v[55:56], v[1:2], v[23:24]
	v_mul_f64 v[23:24], v[3:4], v[23:24]
	s_waitcnt vmcnt(56)
	v_fma_f64 v[19:20], v[11:12], v[25:26], -v[19:20]
	ds_read_b128 v[45:48], v37 offset:976
	v_fma_f64 v[25:26], v[13:14], v[25:26], v[180:181]
	v_add_f64 v[49:50], v[49:50], v[53:54]
	v_add_f64 v[15:16], v[15:16], v[33:34]
	s_clause 0x4
	buffer_load_dword v34, off, s[0:3], 0 offset:524
	buffer_load_dword v53, off, s[0:3], 0 offset:536
	buffer_load_dword v175, off, s[0:3], 0 offset:528
	buffer_load_dword v33, off, s[0:3], 0 offset:520
	buffer_load_dword v180, off, s[0:3], 0 offset:500
	ds_read_b128 v[11:14], v37 offset:992
	s_waitcnt vmcnt(57) lgkmcnt(1)
	v_mul_f64 v[181:182], v[45:46], v[27:28]
	v_mul_f64 v[27:28], v[47:48], v[27:28]
	s_waitcnt vmcnt(56)
	v_fma_f64 v[23:24], v[1:2], v[17:18], -v[23:24]
	v_fma_f64 v[17:18], v[3:4], v[17:18], v[55:56]
	v_add_f64 v[19:20], v[49:50], v[19:20]
	v_add_f64 v[15:16], v[15:16], v[25:26]
	s_clause 0x2
	buffer_load_dword v54, off, s[0:3], 0 offset:540
	buffer_load_dword v26, off, s[0:3], 0 offset:516
	;; [unrolled: 1-line block ×3, first 2 shown]
	s_waitcnt vmcnt(58) lgkmcnt(0)
	v_mul_f64 v[49:50], v[11:12], v[35:36]
	v_mul_f64 v[35:36], v[13:14], v[35:36]
	s_waitcnt vmcnt(56)
	v_fma_f64 v[27:28], v[45:46], v[38:39], -v[27:28]
	ds_read_b128 v[1:4], v37 offset:1008
	v_add_f64 v[19:20], v[19:20], v[23:24]
	v_fma_f64 v[23:24], v[47:48], v[38:39], v[181:182]
	v_add_f64 v[38:39], v[15:16], v[17:18]
	s_clause 0x4
	buffer_load_dword v46, off, s[0:3], 0 offset:556
	buffer_load_dword v47, off, s[0:3], 0 offset:568
	;; [unrolled: 1-line block ×5, first 2 shown]
	ds_read_b128 v[15:18], v37 offset:1024
	s_waitcnt vmcnt(57) lgkmcnt(1)
	v_mul_f64 v[181:182], v[1:2], v[57:58]
	v_mul_f64 v[56:57], v[3:4], v[57:58]
	s_waitcnt vmcnt(56)
	v_fma_f64 v[35:36], v[11:12], v[21:22], -v[35:36]
	v_fma_f64 v[21:22], v[13:14], v[21:22], v[49:50]
	v_add_f64 v[19:20], v[19:20], v[27:28]
	s_clause 0x2
	buffer_load_dword v48, off, s[0:3], 0 offset:572
	buffer_load_dword v28, off, s[0:3], 0 offset:548
	;; [unrolled: 1-line block ×3, first 2 shown]
	v_add_f64 v[23:24], v[38:39], v[23:24]
	s_waitcnt vmcnt(58) lgkmcnt(0)
	v_mul_f64 v[49:50], v[17:18], v[59:60]
	ds_read_b128 v[11:14], v37 offset:1040
	v_mul_f64 v[38:39], v[15:16], v[59:60]
	s_waitcnt vmcnt(56)
	v_fma_f64 v[57:58], v[1:2], v[65:66], -v[56:57]
	v_add_f64 v[19:20], v[19:20], v[35:36]
	v_fma_f64 v[35:36], v[3:4], v[65:66], v[181:182]
	v_add_f64 v[21:22], v[23:24], v[21:22]
	s_clause 0x4
	buffer_load_dword v24, off, s[0:3], 0 offset:588
	buffer_load_dword v59, off, s[0:3], 0 offset:600
	buffer_load_dword v65, off, s[0:3], 0 offset:592
	buffer_load_dword v23, off, s[0:3], 0 offset:584
	buffer_load_dword v56, off, s[0:3], 0 offset:564
	s_waitcnt vmcnt(57) lgkmcnt(0)
	v_mul_f64 v[181:182], v[11:12], v[67:68]
	v_mul_f64 v[66:67], v[13:14], v[67:68]
	s_waitcnt vmcnt(56)
	v_fma_f64 v[49:50], v[15:16], v[31:32], -v[49:50]
	ds_read_b128 v[1:4], v37 offset:1056
	v_fma_f64 v[31:32], v[17:18], v[31:32], v[38:39]
	v_add_f64 v[19:20], v[19:20], v[57:58]
	v_add_f64 v[21:22], v[21:22], v[35:36]
	s_clause 0x2
	buffer_load_dword v60, off, s[0:3], 0 offset:604
	buffer_load_dword v36, off, s[0:3], 0 offset:580
	buffer_load_dword v35, off, s[0:3], 0 offset:576
	ds_read_b128 v[15:18], v37 offset:1072
	s_waitcnt vmcnt(58) lgkmcnt(1)
	v_mul_f64 v[57:58], v[3:4], v[69:70]
	s_waitcnt vmcnt(56)
	v_fma_f64 v[67:68], v[11:12], v[145:146], -v[66:67]
	v_mul_f64 v[38:39], v[1:2], v[69:70]
	v_add_f64 v[19:20], v[19:20], v[49:50]
	v_fma_f64 v[49:50], v[13:14], v[145:146], v[181:182]
	v_add_f64 v[21:22], v[21:22], v[31:32]
	s_clause 0x4
	buffer_load_dword v32, off, s[0:3], 0 offset:620
	buffer_load_dword v69, off, s[0:3], 0 offset:632
	buffer_load_dword v145, off, s[0:3], 0 offset:624
	buffer_load_dword v31, off, s[0:3], 0 offset:616
	buffer_load_dword v66, off, s[0:3], 0 offset:596
	s_waitcnt vmcnt(57) lgkmcnt(0)
	v_mul_f64 v[181:182], v[15:16], v[147:148]
	v_mul_f64 v[146:147], v[17:18], v[147:148]
	s_waitcnt vmcnt(56)
	v_fma_f64 v[57:58], v[1:2], v[71:72], -v[57:58]
	ds_read_b128 v[11:14], v37 offset:1088
	v_fma_f64 v[38:39], v[3:4], v[71:72], v[38:39]
	v_add_f64 v[19:20], v[19:20], v[67:68]
	v_add_f64 v[21:22], v[21:22], v[49:50]
	s_clause 0x2
	buffer_load_dword v70, off, s[0:3], 0 offset:636
	buffer_load_dword v50, off, s[0:3], 0 offset:612
	buffer_load_dword v49, off, s[0:3], 0 offset:608
	ds_read_b128 v[1:4], v37 offset:1104
	s_waitcnt vmcnt(58) lgkmcnt(1)
	v_mul_f64 v[71:72], v[13:14], v[150:151]
	s_waitcnt vmcnt(56)
	v_fma_f64 v[147:148], v[15:16], v[154:155], -v[146:147]
	v_mul_f64 v[67:68], v[11:12], v[150:151]
	v_add_f64 v[19:20], v[19:20], v[57:58]
	v_fma_f64 v[57:58], v[17:18], v[154:155], v[181:182]
	v_add_f64 v[21:22], v[21:22], v[38:39]
	s_clause 0x4
	buffer_load_dword v39, off, s[0:3], 0 offset:652
	buffer_load_dword v150, off, s[0:3], 0 offset:664
	buffer_load_dword v154, off, s[0:3], 0 offset:656
	buffer_load_dword v38, off, s[0:3], 0 offset:648
	buffer_load_dword v146, off, s[0:3], 0 offset:628
	s_waitcnt vmcnt(57) lgkmcnt(0)
	v_mul_f64 v[181:182], v[1:2], v[156:157]
	v_mul_f64 v[155:156], v[3:4], v[156:157]
	s_waitcnt vmcnt(56)
	v_fma_f64 v[71:72], v[11:12], v[152:153], -v[71:72]
	ds_read_b128 v[15:18], v37 offset:1120
	v_fma_f64 v[67:68], v[13:14], v[152:153], v[67:68]
	v_add_f64 v[19:20], v[19:20], v[147:148]
	v_add_f64 v[21:22], v[21:22], v[57:58]
	s_clause 0x2
	buffer_load_dword v151, off, s[0:3], 0 offset:668
	buffer_load_dword v58, off, s[0:3], 0 offset:644
	buffer_load_dword v57, off, s[0:3], 0 offset:640
	ds_read_b128 v[11:14], v37 offset:1136
	s_waitcnt vmcnt(58) lgkmcnt(1)
	v_mul_f64 v[152:153], v[17:18], v[158:159]
	s_waitcnt vmcnt(56)
	v_fma_f64 v[156:157], v[1:2], v[162:163], -v[155:156]
	v_mul_f64 v[147:148], v[15:16], v[158:159]
	v_add_f64 v[19:20], v[19:20], v[71:72]
	v_fma_f64 v[71:72], v[3:4], v[162:163], v[181:182]
	v_add_f64 v[21:22], v[21:22], v[67:68]
	s_clause 0x4
	buffer_load_dword v68, off, s[0:3], 0 offset:684
	buffer_load_dword v158, off, s[0:3], 0 offset:696
	buffer_load_dword v162, off, s[0:3], 0 offset:688
	buffer_load_dword v67, off, s[0:3], 0 offset:680
	buffer_load_dword v155, off, s[0:3], 0 offset:660
	s_waitcnt vmcnt(57) lgkmcnt(0)
	v_mul_f64 v[181:182], v[11:12], v[166:167]
	v_mul_f64 v[166:167], v[13:14], v[166:167]
	s_waitcnt vmcnt(56)
	v_fma_f64 v[152:153], v[15:16], v[160:161], -v[152:153]
	ds_read_b128 v[1:4], v37 offset:1152
	v_fma_f64 v[147:148], v[17:18], v[160:161], v[147:148]
	v_add_f64 v[19:20], v[19:20], v[156:157]
	v_add_f64 v[21:22], v[21:22], v[71:72]
	s_clause 0x2
	buffer_load_dword v159, off, s[0:3], 0 offset:700
	buffer_load_dword v72, off, s[0:3], 0 offset:676
	buffer_load_dword v71, off, s[0:3], 0 offset:672
	ds_read_b128 v[15:18], v37 offset:1168
	s_waitcnt vmcnt(58) lgkmcnt(1)
	v_mul_f64 v[160:161], v[3:4], v[168:169]
	s_waitcnt vmcnt(56)
	v_fma_f64 v[166:167], v[11:12], v[173:174], -v[166:167]
	v_mul_f64 v[156:157], v[1:2], v[168:169]
	v_add_f64 v[19:20], v[19:20], v[152:153]
	v_fma_f64 v[152:153], v[13:14], v[173:174], v[181:182]
	v_add_f64 v[21:22], v[21:22], v[147:148]
	s_clause 0x2
	buffer_load_dword v148, off, s[0:3], 0 offset:716
	buffer_load_dword v147, off, s[0:3], 0 offset:712
	;; [unrolled: 1-line block ×3, first 2 shown]
	ds_read_b128 v[11:14], v37 offset:1184
	s_waitcnt vmcnt(55) lgkmcnt(1)
	v_mul_f64 v[168:169], v[15:16], v[164:165]
	v_mul_f64 v[164:165], v[17:18], v[164:165]
	s_waitcnt vmcnt(54)
	v_fma_f64 v[160:161], v[1:2], v[170:171], -v[160:161]
	v_fma_f64 v[156:157], v[3:4], v[170:171], v[156:157]
	v_add_f64 v[19:20], v[19:20], v[166:167]
	v_add_f64 v[21:22], v[21:22], v[152:153]
	s_clause 0x1
	buffer_load_dword v153, off, s[0:3], 0 offset:708
	buffer_load_dword v152, off, s[0:3], 0 offset:704
	ds_read_b128 v[1:4], v37 offset:1200
	s_waitcnt vmcnt(55) lgkmcnt(1)
	v_mul_f64 v[170:171], v[13:14], v[177:178]
	v_mul_f64 v[166:167], v[11:12], v[177:178]
	s_waitcnt vmcnt(53)
	v_fma_f64 v[164:165], v[15:16], v[51:52], -v[164:165]
	v_fma_f64 v[51:52], v[17:18], v[51:52], v[168:169]
	ds_read_b128 v[15:18], v37 offset:1216
	v_add_f64 v[19:20], v[19:20], v[160:161]
	v_add_f64 v[21:22], v[21:22], v[156:157]
	s_waitcnt vmcnt(49) lgkmcnt(1)
	v_mul_f64 v[156:157], v[1:2], v[33:34]
	v_mul_f64 v[33:34], v[3:4], v[33:34]
	s_waitcnt vmcnt(48)
	v_fma_f64 v[160:161], v[11:12], v[179:180], -v[170:171]
	v_add_f64 v[19:20], v[19:20], v[164:165]
	v_fma_f64 v[164:165], v[13:14], v[179:180], v[166:167]
	v_add_f64 v[21:22], v[21:22], v[51:52]
	s_clause 0x3
	buffer_load_dword v51, off, s[0:3], 0 offset:192
	buffer_load_dword v52, off, s[0:3], 0 offset:196
	;; [unrolled: 1-line block ×4, first 2 shown]
	ds_read_b128 v[11:14], v37 offset:1232
	s_waitcnt vmcnt(51) lgkmcnt(1)
	v_mul_f64 v[168:169], v[15:16], v[53:54]
	v_mul_f64 v[53:54], v[17:18], v[53:54]
	s_waitcnt vmcnt(49)
	v_fma_f64 v[33:34], v[1:2], v[25:26], -v[33:34]
	v_fma_f64 v[25:26], v[3:4], v[25:26], v[156:157]
	ds_read_b128 v[1:4], v37 offset:1248
	v_add_f64 v[19:20], v[19:20], v[160:161]
	v_add_f64 v[21:22], v[21:22], v[164:165]
	s_waitcnt vmcnt(45) lgkmcnt(1)
	v_mul_f64 v[156:157], v[11:12], v[45:46]
	v_mul_f64 v[45:46], v[13:14], v[45:46]
	s_waitcnt vmcnt(44)
	v_fma_f64 v[53:54], v[15:16], v[175:176], -v[53:54]
	v_add_f64 v[19:20], v[19:20], v[33:34]
	v_fma_f64 v[33:34], v[17:18], v[175:176], v[168:169]
	v_add_f64 v[21:22], v[21:22], v[25:26]
	ds_read_b128 v[15:18], v37 offset:1264
	s_waitcnt vmcnt(43) lgkmcnt(1)
	v_mul_f64 v[25:26], v[1:2], v[47:48]
	v_mul_f64 v[47:48], v[3:4], v[47:48]
	s_waitcnt vmcnt(41)
	v_fma_f64 v[45:46], v[11:12], v[27:28], -v[45:46]
	v_fma_f64 v[27:28], v[13:14], v[27:28], v[156:157]
	ds_read_b128 v[11:14], v37 offset:1280
	v_add_f64 v[19:20], v[19:20], v[53:54]
	v_add_f64 v[21:22], v[21:22], v[33:34]
	s_waitcnt vmcnt(37) lgkmcnt(1)
	v_mul_f64 v[33:34], v[15:16], v[23:24]
	v_mul_f64 v[23:24], v[17:18], v[23:24]
	s_waitcnt vmcnt(36)
	v_fma_f64 v[47:48], v[1:2], v[55:56], -v[47:48]
	v_fma_f64 v[25:26], v[3:4], v[55:56], v[25:26]
	ds_read_b128 v[1:4], v37 offset:1296
	v_add_f64 v[19:20], v[19:20], v[45:46]
	v_add_f64 v[21:22], v[21:22], v[27:28]
	;; [unrolled: 9-line block ×3, first 2 shown]
	s_waitcnt vmcnt(29) lgkmcnt(1)
	v_mul_f64 v[25:26], v[1:2], v[31:32]
	v_mul_f64 v[31:32], v[3:4], v[31:32]
	s_waitcnt vmcnt(28)
	v_fma_f64 v[35:36], v[11:12], v[65:66], -v[45:46]
	v_add_f64 v[19:20], v[19:20], v[23:24]
	v_fma_f64 v[23:24], v[13:14], v[65:66], v[27:28]
	v_add_f64 v[21:22], v[21:22], v[33:34]
	ds_read_b128 v[11:14], v37 offset:1328
	s_waitcnt vmcnt(27) lgkmcnt(1)
	v_mul_f64 v[33:34], v[17:18], v[69:70]
	v_mul_f64 v[27:28], v[15:16], v[69:70]
	s_waitcnt vmcnt(25)
	v_fma_f64 v[31:32], v[1:2], v[49:50], -v[31:32]
	v_fma_f64 v[25:26], v[3:4], v[49:50], v[25:26]
	ds_read_b128 v[1:4], v37 offset:1344
	v_add_f64 v[19:20], v[19:20], v[35:36]
	v_add_f64 v[21:22], v[21:22], v[23:24]
	s_waitcnt vmcnt(21) lgkmcnt(1)
	v_mul_f64 v[35:36], v[13:14], v[38:39]
	s_waitcnt vmcnt(20)
	v_fma_f64 v[33:34], v[15:16], v[145:146], -v[33:34]
	v_mul_f64 v[23:24], v[11:12], v[38:39]
	v_fma_f64 v[27:28], v[17:18], v[145:146], v[27:28]
	ds_read_b128 v[15:18], v37 offset:1360
	v_add_f64 v[19:20], v[19:20], v[31:32]
	v_add_f64 v[21:22], v[21:22], v[25:26]
	s_waitcnt vmcnt(19) lgkmcnt(1)
	v_mul_f64 v[31:32], v[3:4], v[150:151]
	v_mul_f64 v[25:26], v[1:2], v[150:151]
	s_waitcnt vmcnt(17)
	v_fma_f64 v[35:36], v[11:12], v[57:58], -v[35:36]
	v_fma_f64 v[23:24], v[13:14], v[57:58], v[23:24]
	ds_read_b128 v[11:14], v37 offset:1376
	v_add_f64 v[19:20], v[19:20], v[33:34]
	v_add_f64 v[21:22], v[21:22], v[27:28]
	s_waitcnt vmcnt(13) lgkmcnt(1)
	v_mul_f64 v[33:34], v[17:18], v[67:68]
	s_waitcnt vmcnt(12)
	v_fma_f64 v[31:32], v[1:2], v[154:155], -v[31:32]
	v_mul_f64 v[27:28], v[15:16], v[67:68]
	v_fma_f64 v[25:26], v[3:4], v[154:155], v[25:26]
	ds_read_b128 v[1:4], v37 offset:1392
	v_add_f64 v[19:20], v[19:20], v[35:36]
	v_add_f64 v[21:22], v[21:22], v[23:24]
	s_waitcnt vmcnt(11) lgkmcnt(1)
	v_mul_f64 v[35:36], v[13:14], v[158:159]
	v_mul_f64 v[23:24], v[11:12], v[158:159]
	s_waitcnt vmcnt(9)
	v_fma_f64 v[15:16], v[15:16], v[71:72], -v[33:34]
	v_fma_f64 v[17:18], v[17:18], v[71:72], v[27:28]
	v_add_f64 v[19:20], v[19:20], v[31:32]
	v_add_f64 v[21:22], v[21:22], v[25:26]
	s_waitcnt vmcnt(7) lgkmcnt(0)
	v_mul_f64 v[27:28], v[3:4], v[147:148]
	s_waitcnt vmcnt(6)
	v_fma_f64 v[11:12], v[11:12], v[162:163], -v[35:36]
	v_mul_f64 v[25:26], v[1:2], v[147:148]
	v_fma_f64 v[13:14], v[13:14], v[162:163], v[23:24]
	v_add_f64 v[15:16], v[19:20], v[15:16]
	v_add_f64 v[17:18], v[21:22], v[17:18]
	s_waitcnt vmcnt(4)
	v_fma_f64 v[1:2], v[1:2], v[152:153], -v[27:28]
	v_fma_f64 v[3:4], v[3:4], v[152:153], v[25:26]
	v_add_f64 v[11:12], v[15:16], v[11:12]
	v_add_f64 v[13:14], v[17:18], v[13:14]
	v_add_f64 v[1:2], v[11:12], v[1:2]
	v_add_f64 v[3:4], v[13:14], v[3:4]
	s_waitcnt vmcnt(2)
	v_add_f64 v[1:2], v[51:52], -v[1:2]
	s_waitcnt vmcnt(0)
	v_add_f64 v[3:4], v[166:167], -v[3:4]
	buffer_store_dword v2, off, s[0:3], 0 offset:196
	buffer_store_dword v1, off, s[0:3], 0 offset:192
	;; [unrolled: 1-line block ×4, first 2 shown]
	v_cmpx_lt_u32_e32 10, v0
	s_cbranch_execz .LBB43_257
; %bb.256:
	v_mov_b32_e32 v4, s40
	v_mov_b32_e32 v11, 0
	s_clause 0x3
	buffer_load_dword v1, v4, s[0:3], 0 offen
	buffer_load_dword v2, v4, s[0:3], 0 offen offset:4
	buffer_load_dword v3, v4, s[0:3], 0 offen offset:8
	;; [unrolled: 1-line block ×3, first 2 shown]
	buffer_store_dword v11, off, s[0:3], 0 offset:176
	buffer_store_dword v11, off, s[0:3], 0 offset:180
	;; [unrolled: 1-line block ×4, first 2 shown]
	s_waitcnt vmcnt(0)
	ds_write_b128 v149, v[1:4]
.LBB43_257:
	s_or_b32 exec_lo, exec_lo, s4
	s_waitcnt lgkmcnt(0)
	s_waitcnt_vscnt null, 0x0
	s_barrier
	buffer_gl0_inv
	s_clause 0x37
	buffer_load_dword v15, off, s[0:3], 0 offset:200
	buffer_load_dword v16, off, s[0:3], 0 offset:204
	;; [unrolled: 1-line block ×56, first 2 shown]
	v_mov_b32_e32 v67, 0
	s_mov_b32 s4, exec_lo
	ds_read_b128 v[51:54], v67 offset:880
	s_clause 0x2
	buffer_load_dword v159, off, s[0:3], 0 offset:428
	buffer_load_dword v163, off, s[0:3], 0 offset:404
	;; [unrolled: 1-line block ×3, first 2 shown]
	ds_read_b128 v[55:58], v67 offset:896
	s_clause 0x4
	buffer_load_dword v167, off, s[0:3], 0 offset:444
	buffer_load_dword v168, off, s[0:3], 0 offset:456
	;; [unrolled: 1-line block ×5, first 2 shown]
	ds_read_b128 v[68:71], v67 offset:912
	s_clause 0x2
	buffer_load_dword v169, off, s[0:3], 0 offset:460
	buffer_load_dword v174, off, s[0:3], 0 offset:436
	;; [unrolled: 1-line block ×3, first 2 shown]
	s_waitcnt vmcnt(62) lgkmcnt(2)
	v_mul_f64 v[164:165], v[53:54], v[15:16]
	v_mul_f64 v[15:16], v[51:52], v[15:16]
	s_waitcnt lgkmcnt(1)
	v_mul_f64 v[171:172], v[57:58], v[11:12]
	s_waitcnt vmcnt(59) lgkmcnt(0)
	v_mul_f64 v[175:176], v[70:71], v[3:4]
	v_fma_f64 v[51:52], v[51:52], v[13:14], -v[164:165]
	v_mul_f64 v[164:165], v[55:56], v[11:12]
	v_fma_f64 v[15:16], v[53:54], v[13:14], v[15:16]
	s_waitcnt vmcnt(57)
	v_fma_f64 v[55:56], v[55:56], v[1:2], -v[171:172]
	ds_read_b128 v[11:14], v67 offset:928
	v_mul_f64 v[53:54], v[68:69], v[3:4]
	s_waitcnt vmcnt(51)
	v_fma_f64 v[68:69], v[68:69], v[33:34], -v[175:176]
	v_add_f64 v[51:52], v[51:52], 0
	v_fma_f64 v[57:58], v[57:58], v[1:2], v[164:165]
	v_add_f64 v[15:16], v[15:16], 0
	s_clause 0x4
	buffer_load_dword v165, off, s[0:3], 0 offset:476
	buffer_load_dword v177, off, s[0:3], 0 offset:488
	;; [unrolled: 1-line block ×5, first 2 shown]
	s_waitcnt lgkmcnt(0)
	v_mul_f64 v[180:181], v[11:12], v[19:20]
	v_mul_f64 v[19:20], v[13:14], v[19:20]
	ds_read_b128 v[1:4], v67 offset:944
	v_fma_f64 v[33:34], v[70:71], v[33:34], v[53:54]
	v_add_f64 v[55:56], v[51:52], v[55:56]
	v_add_f64 v[15:16], v[15:16], v[57:58]
	s_clause 0x2
	buffer_load_dword v178, off, s[0:3], 0 offset:492
	buffer_load_dword v58, off, s[0:3], 0 offset:468
	;; [unrolled: 1-line block ×3, first 2 shown]
	s_waitcnt vmcnt(58) lgkmcnt(0)
	v_mul_f64 v[70:71], v[1:2], v[23:24]
	v_mul_f64 v[23:24], v[3:4], v[23:24]
	s_waitcnt vmcnt(56)
	v_fma_f64 v[19:20], v[11:12], v[25:26], -v[19:20]
	ds_read_b128 v[51:54], v67 offset:960
	v_fma_f64 v[25:26], v[13:14], v[25:26], v[180:181]
	v_add_f64 v[55:56], v[55:56], v[68:69]
	v_add_f64 v[15:16], v[15:16], v[33:34]
	s_clause 0x4
	buffer_load_dword v34, off, s[0:3], 0 offset:508
	buffer_load_dword v68, off, s[0:3], 0 offset:520
	;; [unrolled: 1-line block ×5, first 2 shown]
	ds_read_b128 v[11:14], v67 offset:976
	s_waitcnt vmcnt(57) lgkmcnt(1)
	v_mul_f64 v[181:182], v[51:52], v[27:28]
	v_mul_f64 v[27:28], v[53:54], v[27:28]
	s_waitcnt vmcnt(56)
	v_fma_f64 v[23:24], v[1:2], v[17:18], -v[23:24]
	v_fma_f64 v[17:18], v[3:4], v[17:18], v[70:71]
	v_add_f64 v[19:20], v[55:56], v[19:20]
	v_add_f64 v[15:16], v[15:16], v[25:26]
	s_clause 0x2
	buffer_load_dword v69, off, s[0:3], 0 offset:524
	buffer_load_dword v26, off, s[0:3], 0 offset:500
	;; [unrolled: 1-line block ×3, first 2 shown]
	s_waitcnt vmcnt(58) lgkmcnt(0)
	v_mul_f64 v[55:56], v[11:12], v[35:36]
	v_mul_f64 v[35:36], v[13:14], v[35:36]
	s_waitcnt vmcnt(56)
	v_fma_f64 v[27:28], v[51:52], v[37:38], -v[27:28]
	ds_read_b128 v[1:4], v67 offset:992
	v_add_f64 v[19:20], v[19:20], v[23:24]
	v_fma_f64 v[23:24], v[53:54], v[37:38], v[181:182]
	v_add_f64 v[37:38], v[15:16], v[17:18]
	s_clause 0x4
	buffer_load_dword v52, off, s[0:3], 0 offset:540
	buffer_load_dword v53, off, s[0:3], 0 offset:552
	;; [unrolled: 1-line block ×5, first 2 shown]
	ds_read_b128 v[15:18], v67 offset:1008
	s_waitcnt vmcnt(57) lgkmcnt(1)
	v_mul_f64 v[71:72], v[1:2], v[39:40]
	v_mul_f64 v[39:40], v[3:4], v[39:40]
	s_waitcnt vmcnt(56)
	v_fma_f64 v[35:36], v[11:12], v[21:22], -v[35:36]
	v_fma_f64 v[21:22], v[13:14], v[21:22], v[55:56]
	v_add_f64 v[19:20], v[19:20], v[27:28]
	s_clause 0x2
	buffer_load_dword v54, off, s[0:3], 0 offset:556
	buffer_load_dword v28, off, s[0:3], 0 offset:532
	;; [unrolled: 1-line block ×3, first 2 shown]
	v_add_f64 v[23:24], v[37:38], v[23:24]
	s_waitcnt vmcnt(58) lgkmcnt(0)
	v_mul_f64 v[37:38], v[15:16], v[47:48]
	v_mul_f64 v[47:48], v[17:18], v[47:48]
	ds_read_b128 v[11:14], v67 offset:1024
	s_waitcnt vmcnt(56)
	v_fma_f64 v[39:40], v[1:2], v[49:50], -v[39:40]
	v_add_f64 v[19:20], v[19:20], v[35:36]
	v_fma_f64 v[35:36], v[3:4], v[49:50], v[71:72]
	v_add_f64 v[21:22], v[23:24], v[21:22]
	s_clause 0x4
	buffer_load_dword v24, off, s[0:3], 0 offset:572
	buffer_load_dword v49, off, s[0:3], 0 offset:584
	;; [unrolled: 1-line block ×5, first 2 shown]
	s_waitcnt vmcnt(57) lgkmcnt(0)
	v_mul_f64 v[181:182], v[11:12], v[59:60]
	v_mul_f64 v[59:60], v[13:14], v[59:60]
	s_waitcnt vmcnt(56)
	v_fma_f64 v[47:48], v[15:16], v[31:32], -v[47:48]
	ds_read_b128 v[1:4], v67 offset:1040
	v_fma_f64 v[31:32], v[17:18], v[31:32], v[37:38]
	v_add_f64 v[19:20], v[19:20], v[39:40]
	v_add_f64 v[21:22], v[21:22], v[35:36]
	s_clause 0x2
	buffer_load_dword v50, off, s[0:3], 0 offset:588
	buffer_load_dword v36, off, s[0:3], 0 offset:564
	;; [unrolled: 1-line block ×3, first 2 shown]
	ds_read_b128 v[15:18], v67 offset:1056
	s_waitcnt vmcnt(58) lgkmcnt(1)
	v_mul_f64 v[39:40], v[3:4], v[65:66]
	s_waitcnt vmcnt(56)
	v_fma_f64 v[59:60], v[11:12], v[145:146], -v[59:60]
	v_mul_f64 v[37:38], v[1:2], v[65:66]
	v_add_f64 v[19:20], v[19:20], v[47:48]
	v_fma_f64 v[47:48], v[13:14], v[145:146], v[181:182]
	v_add_f64 v[21:22], v[21:22], v[31:32]
	s_clause 0x4
	buffer_load_dword v32, off, s[0:3], 0 offset:604
	buffer_load_dword v65, off, s[0:3], 0 offset:616
	;; [unrolled: 1-line block ×5, first 2 shown]
	s_waitcnt vmcnt(57) lgkmcnt(0)
	v_mul_f64 v[181:182], v[15:16], v[147:148]
	v_mul_f64 v[146:147], v[17:18], v[147:148]
	s_waitcnt vmcnt(56)
	v_fma_f64 v[39:40], v[1:2], v[45:46], -v[39:40]
	ds_read_b128 v[11:14], v67 offset:1072
	v_fma_f64 v[37:38], v[3:4], v[45:46], v[37:38]
	s_clause 0x2
	buffer_load_dword v66, off, s[0:3], 0 offset:620
	buffer_load_dword v46, off, s[0:3], 0 offset:596
	;; [unrolled: 1-line block ×3, first 2 shown]
	ds_read_b128 v[1:4], v67 offset:1088
	v_add_f64 v[19:20], v[19:20], v[59:60]
	v_add_f64 v[21:22], v[21:22], v[47:48]
	s_waitcnt vmcnt(58) lgkmcnt(1)
	v_mul_f64 v[59:60], v[13:14], v[150:151]
	s_waitcnt vmcnt(56)
	v_fma_f64 v[147:148], v[15:16], v[154:155], -v[146:147]
	v_mul_f64 v[47:48], v[11:12], v[150:151]
	v_add_f64 v[19:20], v[19:20], v[39:40]
	v_fma_f64 v[39:40], v[17:18], v[154:155], v[181:182]
	v_add_f64 v[21:22], v[21:22], v[37:38]
	s_clause 0x4
	buffer_load_dword v38, off, s[0:3], 0 offset:636
	buffer_load_dword v150, off, s[0:3], 0 offset:648
	;; [unrolled: 1-line block ×5, first 2 shown]
	s_waitcnt vmcnt(57) lgkmcnt(0)
	v_mul_f64 v[181:182], v[1:2], v[156:157]
	v_mul_f64 v[155:156], v[3:4], v[156:157]
	s_waitcnt vmcnt(56)
	v_fma_f64 v[59:60], v[11:12], v[152:153], -v[59:60]
	ds_read_b128 v[15:18], v67 offset:1104
	v_fma_f64 v[47:48], v[13:14], v[152:153], v[47:48]
	v_add_f64 v[19:20], v[19:20], v[147:148]
	v_add_f64 v[21:22], v[21:22], v[39:40]
	s_clause 0x2
	buffer_load_dword v151, off, s[0:3], 0 offset:652
	buffer_load_dword v40, off, s[0:3], 0 offset:628
	;; [unrolled: 1-line block ×3, first 2 shown]
	ds_read_b128 v[11:14], v67 offset:1120
	s_waitcnt vmcnt(58) lgkmcnt(1)
	v_mul_f64 v[152:153], v[17:18], v[158:159]
	s_waitcnt vmcnt(56)
	v_fma_f64 v[156:157], v[1:2], v[162:163], -v[155:156]
	v_mul_f64 v[147:148], v[15:16], v[158:159]
	v_add_f64 v[19:20], v[19:20], v[59:60]
	v_fma_f64 v[59:60], v[3:4], v[162:163], v[181:182]
	v_add_f64 v[21:22], v[21:22], v[47:48]
	s_clause 0x4
	buffer_load_dword v48, off, s[0:3], 0 offset:668
	buffer_load_dword v158, off, s[0:3], 0 offset:680
	;; [unrolled: 1-line block ×5, first 2 shown]
	s_waitcnt vmcnt(57) lgkmcnt(0)
	v_mul_f64 v[181:182], v[11:12], v[166:167]
	v_mul_f64 v[166:167], v[13:14], v[166:167]
	s_waitcnt vmcnt(56)
	v_fma_f64 v[152:153], v[15:16], v[160:161], -v[152:153]
	ds_read_b128 v[1:4], v67 offset:1136
	v_fma_f64 v[147:148], v[17:18], v[160:161], v[147:148]
	v_add_f64 v[19:20], v[19:20], v[156:157]
	v_add_f64 v[21:22], v[21:22], v[59:60]
	s_clause 0x2
	buffer_load_dword v159, off, s[0:3], 0 offset:684
	buffer_load_dword v60, off, s[0:3], 0 offset:660
	;; [unrolled: 1-line block ×3, first 2 shown]
	ds_read_b128 v[15:18], v67 offset:1152
	s_waitcnt vmcnt(58) lgkmcnt(1)
	v_mul_f64 v[160:161], v[3:4], v[168:169]
	s_waitcnt vmcnt(56)
	v_fma_f64 v[166:167], v[11:12], v[173:174], -v[166:167]
	v_mul_f64 v[156:157], v[1:2], v[168:169]
	v_add_f64 v[19:20], v[19:20], v[152:153]
	v_fma_f64 v[152:153], v[13:14], v[173:174], v[181:182]
	v_add_f64 v[21:22], v[21:22], v[147:148]
	s_clause 0x4
	buffer_load_dword v148, off, s[0:3], 0 offset:700
	buffer_load_dword v168, off, s[0:3], 0 offset:712
	;; [unrolled: 1-line block ×5, first 2 shown]
	ds_read_b128 v[11:14], v67 offset:1168
	s_waitcnt vmcnt(57) lgkmcnt(1)
	v_mul_f64 v[173:174], v[15:16], v[164:165]
	v_mul_f64 v[164:165], v[17:18], v[164:165]
	s_waitcnt vmcnt(56)
	v_fma_f64 v[160:161], v[1:2], v[170:171], -v[160:161]
	v_fma_f64 v[156:157], v[3:4], v[170:171], v[156:157]
	v_add_f64 v[19:20], v[19:20], v[166:167]
	v_add_f64 v[21:22], v[21:22], v[152:153]
	s_clause 0x2
	buffer_load_dword v169, off, s[0:3], 0 offset:716
	buffer_load_dword v153, off, s[0:3], 0 offset:692
	;; [unrolled: 1-line block ×3, first 2 shown]
	ds_read_b128 v[1:4], v67 offset:1184
	s_waitcnt vmcnt(58) lgkmcnt(1)
	v_mul_f64 v[170:171], v[13:14], v[177:178]
	v_mul_f64 v[166:167], v[11:12], v[177:178]
	s_waitcnt vmcnt(56)
	v_fma_f64 v[164:165], v[15:16], v[57:58], -v[164:165]
	v_fma_f64 v[57:58], v[17:18], v[57:58], v[173:174]
	buffer_load_dword v173, off, s[0:3], 0 offset:708
	ds_read_b128 v[15:18], v67 offset:1200
	v_add_f64 v[19:20], v[19:20], v[160:161]
	v_add_f64 v[21:22], v[21:22], v[156:157]
	s_waitcnt vmcnt(53) lgkmcnt(1)
	v_mul_f64 v[156:157], v[1:2], v[33:34]
	v_mul_f64 v[33:34], v[3:4], v[33:34]
	s_waitcnt vmcnt(52)
	v_fma_f64 v[160:161], v[11:12], v[179:180], -v[170:171]
	v_add_f64 v[19:20], v[19:20], v[164:165]
	v_fma_f64 v[164:165], v[13:14], v[179:180], v[166:167]
	v_add_f64 v[21:22], v[21:22], v[57:58]
	ds_read_b128 v[11:14], v67 offset:1216
	s_waitcnt vmcnt(51) lgkmcnt(1)
	v_mul_f64 v[57:58], v[15:16], v[68:69]
	v_mul_f64 v[68:69], v[17:18], v[68:69]
	s_waitcnt vmcnt(49)
	v_fma_f64 v[33:34], v[1:2], v[25:26], -v[33:34]
	v_fma_f64 v[25:26], v[3:4], v[25:26], v[156:157]
	v_add_f64 v[19:20], v[19:20], v[160:161]
	s_clause 0x3
	buffer_load_dword v156, off, s[0:3], 0 offset:176
	buffer_load_dword v157, off, s[0:3], 0 offset:180
	;; [unrolled: 1-line block ×4, first 2 shown]
	v_add_f64 v[21:22], v[21:22], v[164:165]
	ds_read_b128 v[1:4], v67 offset:1232
	s_waitcnt vmcnt(49) lgkmcnt(1)
	v_mul_f64 v[164:165], v[11:12], v[51:52]
	v_mul_f64 v[51:52], v[13:14], v[51:52]
	s_waitcnt vmcnt(48)
	v_fma_f64 v[68:69], v[15:16], v[175:176], -v[68:69]
	v_add_f64 v[19:20], v[19:20], v[33:34]
	v_fma_f64 v[33:34], v[17:18], v[175:176], v[57:58]
	v_add_f64 v[21:22], v[21:22], v[25:26]
	ds_read_b128 v[15:18], v67 offset:1248
	s_waitcnt vmcnt(47) lgkmcnt(1)
	v_mul_f64 v[25:26], v[1:2], v[53:54]
	v_mul_f64 v[53:54], v[3:4], v[53:54]
	s_waitcnt vmcnt(45)
	v_fma_f64 v[51:52], v[11:12], v[27:28], -v[51:52]
	v_fma_f64 v[27:28], v[13:14], v[27:28], v[164:165]
	ds_read_b128 v[11:14], v67 offset:1264
	v_add_f64 v[19:20], v[19:20], v[68:69]
	v_add_f64 v[21:22], v[21:22], v[33:34]
	s_waitcnt vmcnt(41) lgkmcnt(1)
	v_mul_f64 v[33:34], v[15:16], v[23:24]
	v_mul_f64 v[23:24], v[17:18], v[23:24]
	s_waitcnt vmcnt(40)
	v_fma_f64 v[53:54], v[1:2], v[70:71], -v[53:54]
	v_fma_f64 v[25:26], v[3:4], v[70:71], v[25:26]
	ds_read_b128 v[1:4], v67 offset:1280
	v_add_f64 v[19:20], v[19:20], v[51:52]
	v_add_f64 v[21:22], v[21:22], v[27:28]
	;; [unrolled: 9-line block ×3, first 2 shown]
	s_waitcnt vmcnt(33) lgkmcnt(1)
	v_mul_f64 v[25:26], v[1:2], v[31:32]
	v_mul_f64 v[31:32], v[3:4], v[31:32]
	s_waitcnt vmcnt(32)
	v_fma_f64 v[35:36], v[11:12], v[55:56], -v[49:50]
	v_add_f64 v[19:20], v[19:20], v[23:24]
	v_fma_f64 v[23:24], v[13:14], v[55:56], v[27:28]
	v_add_f64 v[21:22], v[21:22], v[33:34]
	ds_read_b128 v[11:14], v67 offset:1312
	s_waitcnt vmcnt(31) lgkmcnt(1)
	v_mul_f64 v[33:34], v[17:18], v[65:66]
	v_mul_f64 v[27:28], v[15:16], v[65:66]
	s_waitcnt vmcnt(29)
	v_fma_f64 v[25:26], v[3:4], v[45:46], v[25:26]
	v_fma_f64 v[31:32], v[1:2], v[45:46], -v[31:32]
	ds_read_b128 v[1:4], v67 offset:1328
	v_add_f64 v[19:20], v[19:20], v[35:36]
	v_add_f64 v[21:22], v[21:22], v[23:24]
	s_waitcnt vmcnt(25) lgkmcnt(1)
	v_mul_f64 v[35:36], v[13:14], v[37:38]
	s_waitcnt vmcnt(24)
	v_fma_f64 v[33:34], v[15:16], v[145:146], -v[33:34]
	v_mul_f64 v[23:24], v[11:12], v[37:38]
	v_fma_f64 v[27:28], v[17:18], v[145:146], v[27:28]
	ds_read_b128 v[15:18], v67 offset:1344
	v_add_f64 v[19:20], v[19:20], v[31:32]
	v_add_f64 v[21:22], v[21:22], v[25:26]
	s_waitcnt vmcnt(23) lgkmcnt(1)
	v_mul_f64 v[31:32], v[3:4], v[150:151]
	v_mul_f64 v[25:26], v[1:2], v[150:151]
	s_waitcnt vmcnt(21)
	v_fma_f64 v[35:36], v[11:12], v[39:40], -v[35:36]
	v_fma_f64 v[23:24], v[13:14], v[39:40], v[23:24]
	ds_read_b128 v[11:14], v67 offset:1360
	v_add_f64 v[19:20], v[19:20], v[33:34]
	v_add_f64 v[21:22], v[21:22], v[27:28]
	s_waitcnt vmcnt(17) lgkmcnt(1)
	v_mul_f64 v[33:34], v[17:18], v[47:48]
	s_waitcnt vmcnt(16)
	v_fma_f64 v[31:32], v[1:2], v[154:155], -v[31:32]
	v_mul_f64 v[27:28], v[15:16], v[47:48]
	v_fma_f64 v[25:26], v[3:4], v[154:155], v[25:26]
	ds_read_b128 v[1:4], v67 offset:1376
	v_add_f64 v[19:20], v[19:20], v[35:36]
	v_add_f64 v[21:22], v[21:22], v[23:24]
	s_waitcnt vmcnt(15) lgkmcnt(1)
	v_mul_f64 v[35:36], v[13:14], v[158:159]
	v_mul_f64 v[23:24], v[11:12], v[158:159]
	s_waitcnt vmcnt(13)
	v_fma_f64 v[33:34], v[15:16], v[59:60], -v[33:34]
	v_fma_f64 v[27:28], v[17:18], v[59:60], v[27:28]
	ds_read_b128 v[15:18], v67 offset:1392
	v_add_f64 v[19:20], v[19:20], v[31:32]
	v_add_f64 v[21:22], v[21:22], v[25:26]
	s_waitcnt vmcnt(9) lgkmcnt(1)
	v_mul_f64 v[31:32], v[3:4], v[147:148]
	s_waitcnt vmcnt(8)
	v_fma_f64 v[11:12], v[11:12], v[162:163], -v[35:36]
	v_mul_f64 v[25:26], v[1:2], v[147:148]
	v_fma_f64 v[13:14], v[13:14], v[162:163], v[23:24]
	v_add_f64 v[19:20], v[19:20], v[33:34]
	v_add_f64 v[21:22], v[21:22], v[27:28]
	s_waitcnt vmcnt(7) lgkmcnt(0)
	v_mul_f64 v[27:28], v[17:18], v[168:169]
	v_mul_f64 v[23:24], v[15:16], v[168:169]
	s_waitcnt vmcnt(5)
	v_fma_f64 v[1:2], v[1:2], v[152:153], -v[31:32]
	v_fma_f64 v[3:4], v[3:4], v[152:153], v[25:26]
	v_add_f64 v[11:12], v[19:20], v[11:12]
	v_add_f64 v[13:14], v[21:22], v[13:14]
	s_waitcnt vmcnt(4)
	v_fma_f64 v[15:16], v[15:16], v[172:173], -v[27:28]
	v_add_f64 v[1:2], v[11:12], v[1:2]
	v_fma_f64 v[11:12], v[17:18], v[172:173], v[23:24]
	v_add_f64 v[3:4], v[13:14], v[3:4]
	v_add_f64 v[1:2], v[1:2], v[15:16]
	;; [unrolled: 1-line block ×3, first 2 shown]
	s_waitcnt vmcnt(2)
	v_add_f64 v[1:2], v[156:157], -v[1:2]
	s_waitcnt vmcnt(0)
	v_add_f64 v[3:4], v[160:161], -v[3:4]
	buffer_store_dword v2, off, s[0:3], 0 offset:180
	buffer_store_dword v1, off, s[0:3], 0 offset:176
	;; [unrolled: 1-line block ×4, first 2 shown]
	v_cmpx_lt_u32_e32 9, v0
	s_cbranch_execz .LBB43_259
; %bb.258:
	v_mov_b32_e32 v4, s42
	s_clause 0x3
	buffer_load_dword v1, v4, s[0:3], 0 offen
	buffer_load_dword v2, v4, s[0:3], 0 offen offset:4
	buffer_load_dword v3, v4, s[0:3], 0 offen offset:8
	;; [unrolled: 1-line block ×3, first 2 shown]
	buffer_store_dword v67, off, s[0:3], 0 offset:160
	buffer_store_dword v67, off, s[0:3], 0 offset:164
	;; [unrolled: 1-line block ×4, first 2 shown]
	s_waitcnt vmcnt(0)
	ds_write_b128 v149, v[1:4]
.LBB43_259:
	s_or_b32 exec_lo, exec_lo, s4
	s_waitcnt lgkmcnt(0)
	s_waitcnt_vscnt null, 0x0
	s_barrier
	buffer_gl0_inv
	s_clause 0x37
	buffer_load_dword v15, off, s[0:3], 0 offset:184
	buffer_load_dword v16, off, s[0:3], 0 offset:188
	;; [unrolled: 1-line block ×56, first 2 shown]
	ds_read_b128 v[68:71], v67 offset:864
	s_clause 0x2
	buffer_load_dword v161, off, s[0:3], 0 offset:412
	buffer_load_dword v163, off, s[0:3], 0 offset:388
	;; [unrolled: 1-line block ×3, first 2 shown]
	ds_read_b128 v[145:148], v67 offset:880
	s_clause 0x4
	buffer_load_dword v167, off, s[0:3], 0 offset:428
	buffer_load_dword v168, off, s[0:3], 0 offset:440
	;; [unrolled: 1-line block ×5, first 2 shown]
	ds_read_b128 v[150:153], v67 offset:896
	s_clause 0x2
	buffer_load_dword v169, off, s[0:3], 0 offset:444
	buffer_load_dword v174, off, s[0:3], 0 offset:420
	;; [unrolled: 1-line block ×3, first 2 shown]
	s_mov_b32 s4, exec_lo
	s_waitcnt vmcnt(62) lgkmcnt(2)
	v_mul_f64 v[164:165], v[70:71], v[15:16]
	v_mul_f64 v[15:16], v[68:69], v[15:16]
	s_waitcnt lgkmcnt(1)
	v_mul_f64 v[171:172], v[147:148], v[11:12]
	s_waitcnt vmcnt(59) lgkmcnt(0)
	v_mul_f64 v[175:176], v[152:153], v[3:4]
	v_fma_f64 v[68:69], v[68:69], v[13:14], -v[164:165]
	v_mul_f64 v[164:165], v[145:146], v[11:12]
	v_fma_f64 v[15:16], v[70:71], v[13:14], v[15:16]
	s_waitcnt vmcnt(57)
	v_fma_f64 v[145:146], v[145:146], v[1:2], -v[171:172]
	ds_read_b128 v[11:14], v67 offset:912
	v_mul_f64 v[70:71], v[150:151], v[3:4]
	s_waitcnt vmcnt(51)
	v_fma_f64 v[150:151], v[150:151], v[33:34], -v[175:176]
	v_add_f64 v[68:69], v[68:69], 0
	v_fma_f64 v[147:148], v[147:148], v[1:2], v[164:165]
	v_add_f64 v[15:16], v[15:16], 0
	s_clause 0x4
	buffer_load_dword v165, off, s[0:3], 0 offset:460
	buffer_load_dword v177, off, s[0:3], 0 offset:472
	;; [unrolled: 1-line block ×5, first 2 shown]
	s_waitcnt lgkmcnt(0)
	v_mul_f64 v[180:181], v[11:12], v[19:20]
	v_mul_f64 v[19:20], v[13:14], v[19:20]
	ds_read_b128 v[1:4], v67 offset:928
	v_fma_f64 v[33:34], v[152:153], v[33:34], v[70:71]
	v_add_f64 v[145:146], v[68:69], v[145:146]
	v_add_f64 v[15:16], v[15:16], v[147:148]
	s_clause 0x2
	buffer_load_dword v178, off, s[0:3], 0 offset:476
	buffer_load_dword v148, off, s[0:3], 0 offset:452
	;; [unrolled: 1-line block ×3, first 2 shown]
	s_waitcnt vmcnt(58) lgkmcnt(0)
	v_mul_f64 v[152:153], v[1:2], v[23:24]
	v_mul_f64 v[23:24], v[3:4], v[23:24]
	s_waitcnt vmcnt(56)
	v_fma_f64 v[19:20], v[11:12], v[25:26], -v[19:20]
	ds_read_b128 v[68:71], v67 offset:944
	v_fma_f64 v[25:26], v[13:14], v[25:26], v[180:181]
	v_add_f64 v[145:146], v[145:146], v[150:151]
	v_add_f64 v[15:16], v[15:16], v[33:34]
	s_clause 0x4
	buffer_load_dword v34, off, s[0:3], 0 offset:492
	buffer_load_dword v150, off, s[0:3], 0 offset:504
	;; [unrolled: 1-line block ×5, first 2 shown]
	ds_read_b128 v[11:14], v67 offset:960
	s_waitcnt vmcnt(57) lgkmcnt(1)
	v_mul_f64 v[181:182], v[68:69], v[27:28]
	v_mul_f64 v[27:28], v[70:71], v[27:28]
	s_waitcnt vmcnt(56)
	v_fma_f64 v[23:24], v[1:2], v[17:18], -v[23:24]
	v_fma_f64 v[17:18], v[3:4], v[17:18], v[152:153]
	v_add_f64 v[19:20], v[145:146], v[19:20]
	v_add_f64 v[15:16], v[15:16], v[25:26]
	s_clause 0x2
	buffer_load_dword v151, off, s[0:3], 0 offset:508
	buffer_load_dword v26, off, s[0:3], 0 offset:484
	;; [unrolled: 1-line block ×3, first 2 shown]
	s_waitcnt vmcnt(58) lgkmcnt(0)
	v_mul_f64 v[145:146], v[11:12], v[35:36]
	v_mul_f64 v[35:36], v[13:14], v[35:36]
	s_waitcnt vmcnt(56)
	v_fma_f64 v[27:28], v[68:69], v[37:38], -v[27:28]
	ds_read_b128 v[1:4], v67 offset:976
	v_add_f64 v[19:20], v[19:20], v[23:24]
	v_fma_f64 v[23:24], v[70:71], v[37:38], v[181:182]
	v_add_f64 v[37:38], v[15:16], v[17:18]
	s_clause 0x4
	buffer_load_dword v69, off, s[0:3], 0 offset:524
	buffer_load_dword v70, off, s[0:3], 0 offset:536
	;; [unrolled: 1-line block ×5, first 2 shown]
	ds_read_b128 v[15:18], v67 offset:992
	s_waitcnt vmcnt(57) lgkmcnt(1)
	v_mul_f64 v[181:182], v[1:2], v[39:40]
	v_mul_f64 v[39:40], v[3:4], v[39:40]
	s_waitcnt vmcnt(56)
	v_fma_f64 v[35:36], v[11:12], v[21:22], -v[35:36]
	v_fma_f64 v[21:22], v[13:14], v[21:22], v[145:146]
	v_add_f64 v[19:20], v[19:20], v[27:28]
	s_clause 0x2
	buffer_load_dword v71, off, s[0:3], 0 offset:540
	buffer_load_dword v28, off, s[0:3], 0 offset:516
	;; [unrolled: 1-line block ×3, first 2 shown]
	v_add_f64 v[23:24], v[37:38], v[23:24]
	s_waitcnt vmcnt(58) lgkmcnt(0)
	v_mul_f64 v[37:38], v[15:16], v[47:48]
	v_mul_f64 v[47:48], v[17:18], v[47:48]
	ds_read_b128 v[11:14], v67 offset:1008
	s_waitcnt vmcnt(56)
	v_fma_f64 v[39:40], v[1:2], v[49:50], -v[39:40]
	v_add_f64 v[19:20], v[19:20], v[35:36]
	v_fma_f64 v[35:36], v[3:4], v[49:50], v[181:182]
	v_add_f64 v[21:22], v[23:24], v[21:22]
	s_clause 0x4
	buffer_load_dword v24, off, s[0:3], 0 offset:556
	buffer_load_dword v49, off, s[0:3], 0 offset:568
	;; [unrolled: 1-line block ×5, first 2 shown]
	s_waitcnt vmcnt(57) lgkmcnt(0)
	v_mul_f64 v[181:182], v[11:12], v[51:52]
	v_mul_f64 v[51:52], v[13:14], v[51:52]
	s_waitcnt vmcnt(56)
	v_fma_f64 v[47:48], v[15:16], v[31:32], -v[47:48]
	ds_read_b128 v[1:4], v67 offset:1024
	v_fma_f64 v[31:32], v[17:18], v[31:32], v[37:38]
	v_add_f64 v[19:20], v[19:20], v[39:40]
	v_add_f64 v[21:22], v[21:22], v[35:36]
	s_clause 0x2
	buffer_load_dword v50, off, s[0:3], 0 offset:572
	buffer_load_dword v36, off, s[0:3], 0 offset:548
	;; [unrolled: 1-line block ×3, first 2 shown]
	ds_read_b128 v[15:18], v67 offset:1040
	s_waitcnt vmcnt(58) lgkmcnt(1)
	v_mul_f64 v[39:40], v[3:4], v[55:56]
	s_waitcnt vmcnt(56)
	v_fma_f64 v[51:52], v[11:12], v[57:58], -v[51:52]
	v_mul_f64 v[37:38], v[1:2], v[55:56]
	v_add_f64 v[19:20], v[19:20], v[47:48]
	v_fma_f64 v[47:48], v[13:14], v[57:58], v[181:182]
	v_add_f64 v[21:22], v[21:22], v[31:32]
	s_clause 0x4
	buffer_load_dword v32, off, s[0:3], 0 offset:588
	buffer_load_dword v55, off, s[0:3], 0 offset:600
	buffer_load_dword v57, off, s[0:3], 0 offset:592
	buffer_load_dword v31, off, s[0:3], 0 offset:584
	buffer_load_dword v146, off, s[0:3], 0 offset:564
	s_waitcnt vmcnt(57) lgkmcnt(0)
	v_mul_f64 v[181:182], v[15:16], v[59:60]
	v_mul_f64 v[58:59], v[17:18], v[59:60]
	s_waitcnt vmcnt(56)
	v_fma_f64 v[39:40], v[1:2], v[45:46], -v[39:40]
	ds_read_b128 v[11:14], v67 offset:1056
	v_fma_f64 v[37:38], v[3:4], v[45:46], v[37:38]
	s_clause 0x2
	buffer_load_dword v56, off, s[0:3], 0 offset:604
	buffer_load_dword v46, off, s[0:3], 0 offset:580
	;; [unrolled: 1-line block ×3, first 2 shown]
	ds_read_b128 v[1:4], v67 offset:1072
	v_add_f64 v[19:20], v[19:20], v[51:52]
	v_add_f64 v[21:22], v[21:22], v[47:48]
	s_waitcnt vmcnt(58) lgkmcnt(1)
	v_mul_f64 v[51:52], v[13:14], v[154:155]
	s_waitcnt vmcnt(56)
	v_fma_f64 v[59:60], v[15:16], v[156:157], -v[58:59]
	v_mul_f64 v[47:48], v[11:12], v[154:155]
	v_add_f64 v[19:20], v[19:20], v[39:40]
	v_fma_f64 v[39:40], v[17:18], v[156:157], v[181:182]
	v_add_f64 v[21:22], v[21:22], v[37:38]
	s_clause 0x4
	buffer_load_dword v38, off, s[0:3], 0 offset:620
	buffer_load_dword v154, off, s[0:3], 0 offset:632
	;; [unrolled: 1-line block ×5, first 2 shown]
	s_waitcnt vmcnt(57) lgkmcnt(0)
	v_mul_f64 v[181:182], v[1:2], v[158:159]
	v_mul_f64 v[157:158], v[3:4], v[158:159]
	s_waitcnt vmcnt(56)
	v_fma_f64 v[51:52], v[11:12], v[53:54], -v[51:52]
	ds_read_b128 v[15:18], v67 offset:1088
	v_fma_f64 v[47:48], v[13:14], v[53:54], v[47:48]
	v_add_f64 v[19:20], v[19:20], v[59:60]
	v_add_f64 v[21:22], v[21:22], v[39:40]
	s_clause 0x2
	buffer_load_dword v155, off, s[0:3], 0 offset:636
	buffer_load_dword v40, off, s[0:3], 0 offset:612
	buffer_load_dword v39, off, s[0:3], 0 offset:608
	ds_read_b128 v[11:14], v67 offset:1104
	s_waitcnt vmcnt(58) lgkmcnt(1)
	v_mul_f64 v[59:60], v[17:18], v[160:161]
	s_waitcnt vmcnt(56)
	v_fma_f64 v[158:159], v[1:2], v[162:163], -v[157:158]
	v_mul_f64 v[53:54], v[15:16], v[160:161]
	v_add_f64 v[19:20], v[19:20], v[51:52]
	v_fma_f64 v[51:52], v[3:4], v[162:163], v[181:182]
	v_add_f64 v[21:22], v[21:22], v[47:48]
	s_clause 0x4
	buffer_load_dword v48, off, s[0:3], 0 offset:652
	buffer_load_dword v160, off, s[0:3], 0 offset:664
	buffer_load_dword v162, off, s[0:3], 0 offset:656
	buffer_load_dword v47, off, s[0:3], 0 offset:648
	buffer_load_dword v157, off, s[0:3], 0 offset:628
	s_waitcnt vmcnt(57) lgkmcnt(0)
	v_mul_f64 v[181:182], v[11:12], v[166:167]
	v_mul_f64 v[166:167], v[13:14], v[166:167]
	s_waitcnt vmcnt(56)
	v_fma_f64 v[59:60], v[15:16], v[65:66], -v[59:60]
	ds_read_b128 v[1:4], v67 offset:1120
	v_fma_f64 v[53:54], v[17:18], v[65:66], v[53:54]
	v_add_f64 v[19:20], v[19:20], v[158:159]
	v_add_f64 v[21:22], v[21:22], v[51:52]
	s_clause 0x2
	buffer_load_dword v161, off, s[0:3], 0 offset:668
	buffer_load_dword v52, off, s[0:3], 0 offset:644
	;; [unrolled: 1-line block ×3, first 2 shown]
	ds_read_b128 v[15:18], v67 offset:1136
	s_waitcnt vmcnt(58) lgkmcnt(1)
	v_mul_f64 v[158:159], v[3:4], v[168:169]
	s_waitcnt vmcnt(56)
	v_fma_f64 v[166:167], v[11:12], v[173:174], -v[166:167]
	v_mul_f64 v[65:66], v[1:2], v[168:169]
	v_add_f64 v[19:20], v[19:20], v[59:60]
	v_fma_f64 v[59:60], v[13:14], v[173:174], v[181:182]
	v_add_f64 v[21:22], v[21:22], v[53:54]
	s_clause 0x4
	buffer_load_dword v54, off, s[0:3], 0 offset:684
	buffer_load_dword v168, off, s[0:3], 0 offset:696
	buffer_load_dword v172, off, s[0:3], 0 offset:688
	buffer_load_dword v53, off, s[0:3], 0 offset:680
	buffer_load_dword v163, off, s[0:3], 0 offset:660
	ds_read_b128 v[11:14], v67 offset:1152
	s_waitcnt vmcnt(57) lgkmcnt(1)
	v_mul_f64 v[173:174], v[15:16], v[164:165]
	v_mul_f64 v[164:165], v[17:18], v[164:165]
	s_waitcnt vmcnt(56)
	v_fma_f64 v[158:159], v[1:2], v[170:171], -v[158:159]
	v_fma_f64 v[65:66], v[3:4], v[170:171], v[65:66]
	v_add_f64 v[19:20], v[19:20], v[166:167]
	v_add_f64 v[21:22], v[21:22], v[59:60]
	s_clause 0x2
	buffer_load_dword v169, off, s[0:3], 0 offset:700
	buffer_load_dword v60, off, s[0:3], 0 offset:676
	;; [unrolled: 1-line block ×3, first 2 shown]
	ds_read_b128 v[1:4], v67 offset:1168
	s_waitcnt vmcnt(58) lgkmcnt(1)
	v_mul_f64 v[170:171], v[13:14], v[177:178]
	v_mul_f64 v[166:167], v[11:12], v[177:178]
	s_waitcnt vmcnt(56)
	v_fma_f64 v[164:165], v[15:16], v[147:148], -v[164:165]
	v_fma_f64 v[147:148], v[17:18], v[147:148], v[173:174]
	v_add_f64 v[19:20], v[19:20], v[158:159]
	v_add_f64 v[21:22], v[21:22], v[65:66]
	s_clause 0x2
	buffer_load_dword v66, off, s[0:3], 0 offset:716
	buffer_load_dword v65, off, s[0:3], 0 offset:712
	;; [unrolled: 1-line block ×3, first 2 shown]
	ds_read_b128 v[15:18], v67 offset:1184
	s_waitcnt vmcnt(55) lgkmcnt(1)
	v_mul_f64 v[158:159], v[1:2], v[33:34]
	v_mul_f64 v[33:34], v[3:4], v[33:34]
	s_waitcnt vmcnt(54)
	v_fma_f64 v[170:171], v[11:12], v[179:180], -v[170:171]
	v_add_f64 v[19:20], v[19:20], v[164:165]
	v_fma_f64 v[164:165], v[13:14], v[179:180], v[166:167]
	v_add_f64 v[21:22], v[21:22], v[147:148]
	s_clause 0x1
	buffer_load_dword v148, off, s[0:3], 0 offset:708
	buffer_load_dword v147, off, s[0:3], 0 offset:704
	ds_read_b128 v[11:14], v67 offset:1200
	s_waitcnt vmcnt(55) lgkmcnt(1)
	v_mul_f64 v[166:167], v[15:16], v[150:151]
	v_mul_f64 v[150:151], v[17:18], v[150:151]
	s_waitcnt vmcnt(53)
	v_fma_f64 v[33:34], v[1:2], v[25:26], -v[33:34]
	v_fma_f64 v[25:26], v[3:4], v[25:26], v[158:159]
	ds_read_b128 v[1:4], v67 offset:1216
	v_add_f64 v[19:20], v[19:20], v[170:171]
	v_add_f64 v[21:22], v[21:22], v[164:165]
	s_waitcnt vmcnt(49) lgkmcnt(1)
	v_mul_f64 v[158:159], v[11:12], v[68:69]
	v_mul_f64 v[68:69], v[13:14], v[68:69]
	s_waitcnt vmcnt(48)
	v_fma_f64 v[150:151], v[15:16], v[175:176], -v[150:151]
	v_add_f64 v[19:20], v[19:20], v[33:34]
	v_fma_f64 v[33:34], v[17:18], v[175:176], v[166:167]
	v_add_f64 v[21:22], v[21:22], v[25:26]
	s_clause 0x3
	buffer_load_dword v25, off, s[0:3], 0 offset:160
	buffer_load_dword v26, off, s[0:3], 0 offset:164
	;; [unrolled: 1-line block ×4, first 2 shown]
	ds_read_b128 v[15:18], v67 offset:1232
	s_waitcnt vmcnt(51) lgkmcnt(1)
	v_mul_f64 v[166:167], v[1:2], v[70:71]
	v_mul_f64 v[70:71], v[3:4], v[70:71]
	s_waitcnt vmcnt(49)
	v_fma_f64 v[68:69], v[11:12], v[27:28], -v[68:69]
	v_fma_f64 v[27:28], v[13:14], v[27:28], v[158:159]
	ds_read_b128 v[11:14], v67 offset:1248
	v_add_f64 v[19:20], v[19:20], v[150:151]
	v_add_f64 v[21:22], v[21:22], v[33:34]
	s_waitcnt vmcnt(45) lgkmcnt(1)
	v_mul_f64 v[33:34], v[15:16], v[23:24]
	v_mul_f64 v[23:24], v[17:18], v[23:24]
	s_waitcnt vmcnt(44)
	v_fma_f64 v[70:71], v[1:2], v[152:153], -v[70:71]
	v_add_f64 v[19:20], v[19:20], v[68:69]
	v_fma_f64 v[68:69], v[3:4], v[152:153], v[166:167]
	v_add_f64 v[21:22], v[21:22], v[27:28]
	ds_read_b128 v[1:4], v67 offset:1264
	s_waitcnt vmcnt(43) lgkmcnt(1)
	v_mul_f64 v[27:28], v[11:12], v[49:50]
	v_mul_f64 v[49:50], v[13:14], v[49:50]
	s_waitcnt vmcnt(41)
	v_fma_f64 v[23:24], v[15:16], v[35:36], -v[23:24]
	v_fma_f64 v[33:34], v[17:18], v[35:36], v[33:34]
	ds_read_b128 v[15:18], v67 offset:1280
	v_add_f64 v[19:20], v[19:20], v[70:71]
	v_add_f64 v[21:22], v[21:22], v[68:69]
	s_waitcnt vmcnt(37) lgkmcnt(1)
	v_mul_f64 v[35:36], v[1:2], v[31:32]
	v_mul_f64 v[31:32], v[3:4], v[31:32]
	s_waitcnt vmcnt(36)
	v_fma_f64 v[49:50], v[11:12], v[145:146], -v[49:50]
	v_add_f64 v[19:20], v[19:20], v[23:24]
	v_fma_f64 v[23:24], v[13:14], v[145:146], v[27:28]
	v_add_f64 v[21:22], v[21:22], v[33:34]
	s_waitcnt vmcnt(35) lgkmcnt(0)
	v_mul_f64 v[33:34], v[17:18], v[55:56]
	ds_read_b128 v[11:14], v67 offset:1296
	v_mul_f64 v[27:28], v[15:16], v[55:56]
	s_waitcnt vmcnt(33)
	v_fma_f64 v[35:36], v[3:4], v[45:46], v[35:36]
	v_fma_f64 v[31:32], v[1:2], v[45:46], -v[31:32]
	ds_read_b128 v[1:4], v67 offset:1312
	v_add_f64 v[19:20], v[19:20], v[49:50]
	v_add_f64 v[21:22], v[21:22], v[23:24]
	s_waitcnt vmcnt(29) lgkmcnt(1)
	v_mul_f64 v[23:24], v[11:12], v[37:38]
	v_mul_f64 v[37:38], v[13:14], v[37:38]
	s_waitcnt vmcnt(28)
	v_fma_f64 v[33:34], v[15:16], v[57:58], -v[33:34]
	v_fma_f64 v[27:28], v[17:18], v[57:58], v[27:28]
	ds_read_b128 v[15:18], v67 offset:1328
	v_add_f64 v[19:20], v[19:20], v[31:32]
	v_add_f64 v[21:22], v[21:22], v[35:36]
	s_waitcnt vmcnt(27) lgkmcnt(1)
	v_mul_f64 v[35:36], v[3:4], v[154:155]
	v_mul_f64 v[31:32], v[1:2], v[154:155]
	s_waitcnt vmcnt(25)
	v_fma_f64 v[37:38], v[11:12], v[39:40], -v[37:38]
	v_fma_f64 v[23:24], v[13:14], v[39:40], v[23:24]
	ds_read_b128 v[11:14], v67 offset:1344
	v_add_f64 v[19:20], v[19:20], v[33:34]
	v_add_f64 v[21:22], v[21:22], v[27:28]
	s_waitcnt vmcnt(21) lgkmcnt(1)
	v_mul_f64 v[33:34], v[17:18], v[47:48]
	s_waitcnt vmcnt(20)
	v_fma_f64 v[35:36], v[1:2], v[156:157], -v[35:36]
	v_mul_f64 v[27:28], v[15:16], v[47:48]
	v_fma_f64 v[31:32], v[3:4], v[156:157], v[31:32]
	ds_read_b128 v[1:4], v67 offset:1360
	v_add_f64 v[19:20], v[19:20], v[37:38]
	v_add_f64 v[21:22], v[21:22], v[23:24]
	s_waitcnt vmcnt(19) lgkmcnt(1)
	v_mul_f64 v[37:38], v[13:14], v[160:161]
	v_mul_f64 v[23:24], v[11:12], v[160:161]
	s_waitcnt vmcnt(17)
	v_fma_f64 v[33:34], v[15:16], v[51:52], -v[33:34]
	v_fma_f64 v[27:28], v[17:18], v[51:52], v[27:28]
	ds_read_b128 v[15:18], v67 offset:1376
	v_add_f64 v[19:20], v[19:20], v[35:36]
	v_add_f64 v[21:22], v[21:22], v[31:32]
	s_waitcnt vmcnt(13) lgkmcnt(1)
	v_mul_f64 v[35:36], v[3:4], v[53:54]
	s_waitcnt vmcnt(12)
	v_fma_f64 v[37:38], v[11:12], v[162:163], -v[37:38]
	v_mul_f64 v[31:32], v[1:2], v[53:54]
	v_fma_f64 v[23:24], v[13:14], v[162:163], v[23:24]
	ds_read_b128 v[11:14], v67 offset:1392
	v_add_f64 v[19:20], v[19:20], v[33:34]
	v_add_f64 v[21:22], v[21:22], v[27:28]
	s_waitcnt vmcnt(11) lgkmcnt(1)
	v_mul_f64 v[33:34], v[17:18], v[168:169]
	v_mul_f64 v[27:28], v[15:16], v[168:169]
	s_waitcnt vmcnt(9)
	v_fma_f64 v[1:2], v[1:2], v[59:60], -v[35:36]
	v_fma_f64 v[3:4], v[3:4], v[59:60], v[31:32]
	v_add_f64 v[19:20], v[19:20], v[37:38]
	v_add_f64 v[21:22], v[21:22], v[23:24]
	s_waitcnt vmcnt(7) lgkmcnt(0)
	v_mul_f64 v[31:32], v[13:14], v[65:66]
	s_waitcnt vmcnt(6)
	v_fma_f64 v[15:16], v[15:16], v[172:173], -v[33:34]
	v_mul_f64 v[23:24], v[11:12], v[65:66]
	v_fma_f64 v[17:18], v[17:18], v[172:173], v[27:28]
	v_add_f64 v[1:2], v[19:20], v[1:2]
	v_add_f64 v[3:4], v[21:22], v[3:4]
	s_waitcnt vmcnt(4)
	v_fma_f64 v[11:12], v[11:12], v[147:148], -v[31:32]
	v_fma_f64 v[13:14], v[13:14], v[147:148], v[23:24]
	v_add_f64 v[1:2], v[1:2], v[15:16]
	v_add_f64 v[3:4], v[3:4], v[17:18]
	;; [unrolled: 1-line block ×4, first 2 shown]
	s_waitcnt vmcnt(2)
	v_add_f64 v[1:2], v[25:26], -v[1:2]
	s_waitcnt vmcnt(0)
	v_add_f64 v[3:4], v[164:165], -v[3:4]
	buffer_store_dword v2, off, s[0:3], 0 offset:164
	buffer_store_dword v1, off, s[0:3], 0 offset:160
	;; [unrolled: 1-line block ×4, first 2 shown]
	v_cmpx_lt_u32_e32 8, v0
	s_cbranch_execz .LBB43_261
; %bb.260:
	v_mov_b32_e32 v4, s44
	v_mov_b32_e32 v11, 0
	s_clause 0x3
	buffer_load_dword v1, v4, s[0:3], 0 offen
	buffer_load_dword v2, v4, s[0:3], 0 offen offset:4
	buffer_load_dword v3, v4, s[0:3], 0 offen offset:8
	buffer_load_dword v4, v4, s[0:3], 0 offen offset:12
	buffer_store_dword v11, off, s[0:3], 0 offset:144
	buffer_store_dword v11, off, s[0:3], 0 offset:148
	;; [unrolled: 1-line block ×4, first 2 shown]
	s_waitcnt vmcnt(0)
	ds_write_b128 v149, v[1:4]
.LBB43_261:
	s_or_b32 exec_lo, exec_lo, s4
	s_waitcnt lgkmcnt(0)
	s_waitcnt_vscnt null, 0x0
	s_barrier
	buffer_gl0_inv
	s_clause 0x37
	buffer_load_dword v15, off, s[0:3], 0 offset:168
	buffer_load_dword v16, off, s[0:3], 0 offset:172
	buffer_load_dword v11, off, s[0:3], 0 offset:184
	buffer_load_dword v12, off, s[0:3], 0 offset:188
	buffer_load_dword v13, off, s[0:3], 0 offset:160
	buffer_load_dword v14, off, s[0:3], 0 offset:164
	buffer_load_dword v3, off, s[0:3], 0 offset:200
	buffer_load_dword v4, off, s[0:3], 0 offset:204
	buffer_load_dword v1, off, s[0:3], 0 offset:176
	buffer_load_dword v2, off, s[0:3], 0 offset:180
	buffer_load_dword v20, off, s[0:3], 0 offset:220
	buffer_load_dword v23, off, s[0:3], 0 offset:232
	buffer_load_dword v17, off, s[0:3], 0 offset:224
	buffer_load_dword v19, off, s[0:3], 0 offset:216
	buffer_load_dword v33, off, s[0:3], 0 offset:192
	buffer_load_dword v34, off, s[0:3], 0 offset:196
	buffer_load_dword v24, off, s[0:3], 0 offset:236
	buffer_load_dword v26, off, s[0:3], 0 offset:212
	buffer_load_dword v25, off, s[0:3], 0 offset:208
	buffer_load_dword v28, off, s[0:3], 0 offset:252
	buffer_load_dword v35, off, s[0:3], 0 offset:264
	buffer_load_dword v21, off, s[0:3], 0 offset:256
	buffer_load_dword v27, off, s[0:3], 0 offset:248
	buffer_load_dword v18, off, s[0:3], 0 offset:228
	buffer_load_dword v36, off, s[0:3], 0 offset:268
	buffer_load_dword v38, off, s[0:3], 0 offset:244
	buffer_load_dword v37, off, s[0:3], 0 offset:240
	buffer_load_dword v40, off, s[0:3], 0 offset:284
	buffer_load_dword v47, off, s[0:3], 0 offset:296
	buffer_load_dword v31, off, s[0:3], 0 offset:288
	buffer_load_dword v39, off, s[0:3], 0 offset:280
	buffer_load_dword v22, off, s[0:3], 0 offset:260
	buffer_load_dword v48, off, s[0:3], 0 offset:300
	buffer_load_dword v50, off, s[0:3], 0 offset:276
	buffer_load_dword v49, off, s[0:3], 0 offset:272
	buffer_load_dword v52, off, s[0:3], 0 offset:316
	buffer_load_dword v55, off, s[0:3], 0 offset:328
	buffer_load_dword v45, off, s[0:3], 0 offset:320
	buffer_load_dword v51, off, s[0:3], 0 offset:312
	buffer_load_dword v32, off, s[0:3], 0 offset:292
	buffer_load_dword v56, off, s[0:3], 0 offset:332
	buffer_load_dword v58, off, s[0:3], 0 offset:308
	buffer_load_dword v57, off, s[0:3], 0 offset:304
	buffer_load_dword v60, off, s[0:3], 0 offset:348
	buffer_load_dword v67, off, s[0:3], 0 offset:360
	buffer_load_dword v53, off, s[0:3], 0 offset:352
	buffer_load_dword v59, off, s[0:3], 0 offset:344
	buffer_load_dword v46, off, s[0:3], 0 offset:324
	buffer_load_dword v68, off, s[0:3], 0 offset:364
	buffer_load_dword v70, off, s[0:3], 0 offset:340
	buffer_load_dword v69, off, s[0:3], 0 offset:336
	buffer_load_dword v72, off, s[0:3], 0 offset:380
	buffer_load_dword v145, off, s[0:3], 0 offset:392
	buffer_load_dword v65, off, s[0:3], 0 offset:384
	buffer_load_dword v71, off, s[0:3], 0 offset:376
	buffer_load_dword v54, off, s[0:3], 0 offset:356
	v_mov_b32_e32 v150, 0
	s_mov_b32 s4, exec_lo
	ds_read_b128 v[151:154], v150 offset:848
	s_clause 0x2
	buffer_load_dword v146, off, s[0:3], 0 offset:396
	buffer_load_dword v148, off, s[0:3], 0 offset:372
	;; [unrolled: 1-line block ×3, first 2 shown]
	ds_read_b128 v[155:158], v150 offset:864
	s_clause 0x4
	buffer_load_dword v166, off, s[0:3], 0 offset:412
	buffer_load_dword v167, off, s[0:3], 0 offset:424
	;; [unrolled: 1-line block ×5, first 2 shown]
	ds_read_b128 v[159:162], v150 offset:880
	s_clause 0x2
	buffer_load_dword v168, off, s[0:3], 0 offset:428
	buffer_load_dword v173, off, s[0:3], 0 offset:404
	;; [unrolled: 1-line block ×3, first 2 shown]
	s_waitcnt vmcnt(62) lgkmcnt(2)
	v_mul_f64 v[163:164], v[153:154], v[15:16]
	v_mul_f64 v[15:16], v[151:152], v[15:16]
	s_waitcnt lgkmcnt(1)
	v_mul_f64 v[170:171], v[157:158], v[11:12]
	s_waitcnt vmcnt(59) lgkmcnt(0)
	v_mul_f64 v[174:175], v[161:162], v[3:4]
	v_fma_f64 v[151:152], v[151:152], v[13:14], -v[163:164]
	v_mul_f64 v[163:164], v[155:156], v[11:12]
	v_fma_f64 v[15:16], v[153:154], v[13:14], v[15:16]
	s_waitcnt vmcnt(57)
	v_fma_f64 v[155:156], v[155:156], v[1:2], -v[170:171]
	ds_read_b128 v[11:14], v150 offset:896
	v_mul_f64 v[153:154], v[159:160], v[3:4]
	s_waitcnt vmcnt(51)
	v_fma_f64 v[159:160], v[159:160], v[33:34], -v[174:175]
	v_add_f64 v[151:152], v[151:152], 0
	v_fma_f64 v[157:158], v[157:158], v[1:2], v[163:164]
	v_add_f64 v[15:16], v[15:16], 0
	s_clause 0x4
	buffer_load_dword v164, off, s[0:3], 0 offset:444
	buffer_load_dword v176, off, s[0:3], 0 offset:456
	;; [unrolled: 1-line block ×5, first 2 shown]
	s_waitcnt lgkmcnt(0)
	v_mul_f64 v[179:180], v[11:12], v[19:20]
	v_mul_f64 v[19:20], v[13:14], v[19:20]
	ds_read_b128 v[1:4], v150 offset:912
	v_fma_f64 v[33:34], v[161:162], v[33:34], v[153:154]
	v_add_f64 v[155:156], v[151:152], v[155:156]
	v_add_f64 v[15:16], v[15:16], v[157:158]
	s_clause 0x2
	buffer_load_dword v177, off, s[0:3], 0 offset:460
	buffer_load_dword v158, off, s[0:3], 0 offset:436
	;; [unrolled: 1-line block ×3, first 2 shown]
	s_waitcnt vmcnt(58) lgkmcnt(0)
	v_mul_f64 v[161:162], v[1:2], v[23:24]
	v_mul_f64 v[23:24], v[3:4], v[23:24]
	s_waitcnt vmcnt(56)
	v_fma_f64 v[19:20], v[11:12], v[25:26], -v[19:20]
	ds_read_b128 v[151:154], v150 offset:928
	v_fma_f64 v[25:26], v[13:14], v[25:26], v[179:180]
	v_add_f64 v[155:156], v[155:156], v[159:160]
	v_add_f64 v[15:16], v[15:16], v[33:34]
	s_clause 0x4
	buffer_load_dword v34, off, s[0:3], 0 offset:476
	buffer_load_dword v159, off, s[0:3], 0 offset:488
	;; [unrolled: 1-line block ×5, first 2 shown]
	ds_read_b128 v[11:14], v150 offset:944
	s_waitcnt vmcnt(57) lgkmcnt(1)
	v_mul_f64 v[180:181], v[151:152], v[27:28]
	v_mul_f64 v[27:28], v[153:154], v[27:28]
	s_waitcnt vmcnt(56)
	v_fma_f64 v[23:24], v[1:2], v[17:18], -v[23:24]
	v_fma_f64 v[17:18], v[3:4], v[17:18], v[161:162]
	v_add_f64 v[19:20], v[155:156], v[19:20]
	v_add_f64 v[15:16], v[15:16], v[25:26]
	s_clause 0x2
	buffer_load_dword v160, off, s[0:3], 0 offset:492
	buffer_load_dword v26, off, s[0:3], 0 offset:468
	buffer_load_dword v25, off, s[0:3], 0 offset:464
	s_waitcnt vmcnt(58) lgkmcnt(0)
	v_mul_f64 v[155:156], v[11:12], v[35:36]
	v_mul_f64 v[35:36], v[13:14], v[35:36]
	s_waitcnt vmcnt(56)
	v_fma_f64 v[27:28], v[151:152], v[37:38], -v[27:28]
	ds_read_b128 v[1:4], v150 offset:960
	v_add_f64 v[19:20], v[19:20], v[23:24]
	v_fma_f64 v[23:24], v[153:154], v[37:38], v[180:181]
	v_add_f64 v[37:38], v[15:16], v[17:18]
	s_clause 0x4
	buffer_load_dword v152, off, s[0:3], 0 offset:508
	buffer_load_dword v153, off, s[0:3], 0 offset:520
	;; [unrolled: 1-line block ×5, first 2 shown]
	ds_read_b128 v[15:18], v150 offset:976
	s_waitcnt vmcnt(57) lgkmcnt(1)
	v_mul_f64 v[180:181], v[1:2], v[39:40]
	v_mul_f64 v[39:40], v[3:4], v[39:40]
	s_waitcnt vmcnt(56)
	v_fma_f64 v[35:36], v[11:12], v[21:22], -v[35:36]
	v_fma_f64 v[21:22], v[13:14], v[21:22], v[155:156]
	v_add_f64 v[19:20], v[19:20], v[27:28]
	s_clause 0x2
	buffer_load_dword v154, off, s[0:3], 0 offset:524
	buffer_load_dword v28, off, s[0:3], 0 offset:500
	;; [unrolled: 1-line block ×3, first 2 shown]
	v_add_f64 v[23:24], v[37:38], v[23:24]
	s_waitcnt vmcnt(58) lgkmcnt(0)
	v_mul_f64 v[37:38], v[15:16], v[47:48]
	v_mul_f64 v[47:48], v[17:18], v[47:48]
	ds_read_b128 v[11:14], v150 offset:992
	s_waitcnt vmcnt(56)
	v_fma_f64 v[39:40], v[1:2], v[49:50], -v[39:40]
	v_add_f64 v[19:20], v[19:20], v[35:36]
	v_fma_f64 v[35:36], v[3:4], v[49:50], v[180:181]
	v_add_f64 v[21:22], v[23:24], v[21:22]
	s_clause 0x4
	buffer_load_dword v24, off, s[0:3], 0 offset:540
	buffer_load_dword v49, off, s[0:3], 0 offset:552
	;; [unrolled: 1-line block ×5, first 2 shown]
	s_waitcnt vmcnt(57) lgkmcnt(0)
	v_mul_f64 v[180:181], v[11:12], v[51:52]
	v_mul_f64 v[51:52], v[13:14], v[51:52]
	s_waitcnt vmcnt(56)
	v_fma_f64 v[47:48], v[15:16], v[31:32], -v[47:48]
	ds_read_b128 v[1:4], v150 offset:1008
	v_fma_f64 v[31:32], v[17:18], v[31:32], v[37:38]
	v_add_f64 v[19:20], v[19:20], v[39:40]
	v_add_f64 v[21:22], v[21:22], v[35:36]
	s_clause 0x2
	buffer_load_dword v50, off, s[0:3], 0 offset:556
	buffer_load_dword v36, off, s[0:3], 0 offset:532
	;; [unrolled: 1-line block ×3, first 2 shown]
	ds_read_b128 v[15:18], v150 offset:1024
	s_waitcnt vmcnt(58) lgkmcnt(1)
	v_mul_f64 v[39:40], v[3:4], v[55:56]
	s_waitcnt vmcnt(56)
	v_fma_f64 v[51:52], v[11:12], v[57:58], -v[51:52]
	v_mul_f64 v[37:38], v[1:2], v[55:56]
	v_add_f64 v[19:20], v[19:20], v[47:48]
	v_fma_f64 v[47:48], v[13:14], v[57:58], v[180:181]
	v_add_f64 v[21:22], v[21:22], v[31:32]
	s_clause 0x4
	buffer_load_dword v32, off, s[0:3], 0 offset:572
	buffer_load_dword v55, off, s[0:3], 0 offset:584
	;; [unrolled: 1-line block ×5, first 2 shown]
	s_waitcnt vmcnt(57) lgkmcnt(0)
	v_mul_f64 v[180:181], v[15:16], v[59:60]
	v_mul_f64 v[58:59], v[17:18], v[59:60]
	s_waitcnt vmcnt(56)
	v_fma_f64 v[39:40], v[1:2], v[45:46], -v[39:40]
	ds_read_b128 v[11:14], v150 offset:1040
	v_fma_f64 v[37:38], v[3:4], v[45:46], v[37:38]
	s_clause 0x2
	buffer_load_dword v56, off, s[0:3], 0 offset:588
	buffer_load_dword v46, off, s[0:3], 0 offset:564
	;; [unrolled: 1-line block ×3, first 2 shown]
	ds_read_b128 v[1:4], v150 offset:1056
	v_add_f64 v[19:20], v[19:20], v[51:52]
	v_add_f64 v[21:22], v[21:22], v[47:48]
	s_waitcnt vmcnt(58) lgkmcnt(1)
	v_mul_f64 v[51:52], v[13:14], v[67:68]
	s_waitcnt vmcnt(56)
	v_fma_f64 v[59:60], v[15:16], v[69:70], -v[58:59]
	v_mul_f64 v[47:48], v[11:12], v[67:68]
	v_add_f64 v[19:20], v[19:20], v[39:40]
	v_fma_f64 v[39:40], v[17:18], v[69:70], v[180:181]
	v_add_f64 v[21:22], v[21:22], v[37:38]
	s_clause 0x4
	buffer_load_dword v38, off, s[0:3], 0 offset:604
	buffer_load_dword v67, off, s[0:3], 0 offset:616
	;; [unrolled: 1-line block ×5, first 2 shown]
	s_waitcnt vmcnt(57) lgkmcnt(0)
	v_mul_f64 v[180:181], v[1:2], v[71:72]
	v_mul_f64 v[70:71], v[3:4], v[71:72]
	s_waitcnt vmcnt(56)
	v_fma_f64 v[51:52], v[11:12], v[53:54], -v[51:52]
	ds_read_b128 v[15:18], v150 offset:1072
	v_fma_f64 v[47:48], v[13:14], v[53:54], v[47:48]
	v_add_f64 v[19:20], v[19:20], v[59:60]
	v_add_f64 v[21:22], v[21:22], v[39:40]
	s_clause 0x2
	buffer_load_dword v68, off, s[0:3], 0 offset:620
	buffer_load_dword v40, off, s[0:3], 0 offset:596
	;; [unrolled: 1-line block ×3, first 2 shown]
	ds_read_b128 v[11:14], v150 offset:1088
	s_waitcnt vmcnt(58) lgkmcnt(1)
	v_mul_f64 v[59:60], v[17:18], v[145:146]
	s_waitcnt vmcnt(56)
	v_fma_f64 v[71:72], v[1:2], v[147:148], -v[70:71]
	v_mul_f64 v[53:54], v[15:16], v[145:146]
	v_add_f64 v[19:20], v[19:20], v[51:52]
	v_fma_f64 v[51:52], v[3:4], v[147:148], v[180:181]
	v_add_f64 v[21:22], v[21:22], v[47:48]
	s_clause 0x4
	buffer_load_dword v48, off, s[0:3], 0 offset:636
	buffer_load_dword v145, off, s[0:3], 0 offset:648
	;; [unrolled: 1-line block ×5, first 2 shown]
	s_waitcnt vmcnt(57) lgkmcnt(0)
	v_mul_f64 v[180:181], v[11:12], v[165:166]
	v_mul_f64 v[165:166], v[13:14], v[165:166]
	s_waitcnt vmcnt(56)
	v_fma_f64 v[59:60], v[15:16], v[65:66], -v[59:60]
	ds_read_b128 v[1:4], v150 offset:1104
	v_fma_f64 v[53:54], v[17:18], v[65:66], v[53:54]
	v_add_f64 v[19:20], v[19:20], v[71:72]
	v_add_f64 v[21:22], v[21:22], v[51:52]
	s_clause 0x2
	buffer_load_dword v146, off, s[0:3], 0 offset:652
	buffer_load_dword v52, off, s[0:3], 0 offset:628
	;; [unrolled: 1-line block ×3, first 2 shown]
	ds_read_b128 v[15:18], v150 offset:1120
	s_waitcnt vmcnt(58) lgkmcnt(1)
	v_mul_f64 v[71:72], v[3:4], v[167:168]
	s_waitcnt vmcnt(56)
	v_fma_f64 v[165:166], v[11:12], v[172:173], -v[165:166]
	v_mul_f64 v[65:66], v[1:2], v[167:168]
	v_add_f64 v[19:20], v[19:20], v[59:60]
	v_fma_f64 v[59:60], v[13:14], v[172:173], v[180:181]
	v_add_f64 v[21:22], v[21:22], v[53:54]
	s_clause 0x4
	buffer_load_dword v54, off, s[0:3], 0 offset:668
	buffer_load_dword v167, off, s[0:3], 0 offset:680
	;; [unrolled: 1-line block ×5, first 2 shown]
	ds_read_b128 v[11:14], v150 offset:1136
	s_waitcnt vmcnt(57) lgkmcnt(1)
	v_mul_f64 v[172:173], v[15:16], v[163:164]
	v_mul_f64 v[163:164], v[17:18], v[163:164]
	s_waitcnt vmcnt(56)
	v_fma_f64 v[71:72], v[1:2], v[169:170], -v[71:72]
	v_fma_f64 v[65:66], v[3:4], v[169:170], v[65:66]
	v_add_f64 v[19:20], v[19:20], v[165:166]
	v_add_f64 v[21:22], v[21:22], v[59:60]
	s_clause 0x2
	buffer_load_dword v168, off, s[0:3], 0 offset:684
	buffer_load_dword v60, off, s[0:3], 0 offset:660
	;; [unrolled: 1-line block ×3, first 2 shown]
	ds_read_b128 v[1:4], v150 offset:1152
	s_waitcnt vmcnt(58) lgkmcnt(1)
	v_mul_f64 v[169:170], v[13:14], v[176:177]
	v_mul_f64 v[165:166], v[11:12], v[176:177]
	s_waitcnt vmcnt(56)
	v_fma_f64 v[163:164], v[15:16], v[157:158], -v[163:164]
	v_add_f64 v[19:20], v[19:20], v[71:72]
	v_fma_f64 v[71:72], v[17:18], v[157:158], v[172:173]
	v_add_f64 v[21:22], v[21:22], v[65:66]
	s_clause 0x4
	buffer_load_dword v66, off, s[0:3], 0 offset:700
	buffer_load_dword v157, off, s[0:3], 0 offset:712
	buffer_load_dword v176, off, s[0:3], 0 offset:704
	buffer_load_dword v65, off, s[0:3], 0 offset:696
	buffer_load_dword v172, off, s[0:3], 0 offset:676
	ds_read_b128 v[15:18], v150 offset:1168
	s_waitcnt vmcnt(57) lgkmcnt(1)
	v_mul_f64 v[180:181], v[1:2], v[33:34]
	v_mul_f64 v[33:34], v[3:4], v[33:34]
	s_waitcnt vmcnt(56)
	v_fma_f64 v[169:170], v[11:12], v[178:179], -v[169:170]
	v_add_f64 v[19:20], v[19:20], v[163:164]
	v_fma_f64 v[163:164], v[13:14], v[178:179], v[165:166]
	v_add_f64 v[21:22], v[21:22], v[71:72]
	s_clause 0x2
	buffer_load_dword v158, off, s[0:3], 0 offset:716
	buffer_load_dword v72, off, s[0:3], 0 offset:692
	;; [unrolled: 1-line block ×3, first 2 shown]
	ds_read_b128 v[11:14], v150 offset:1184
	buffer_load_dword v177, off, s[0:3], 0 offset:708
	s_waitcnt vmcnt(59) lgkmcnt(1)
	v_mul_f64 v[165:166], v[15:16], v[159:160]
	v_mul_f64 v[159:160], v[17:18], v[159:160]
	s_waitcnt vmcnt(57)
	v_fma_f64 v[33:34], v[1:2], v[25:26], -v[33:34]
	v_fma_f64 v[25:26], v[3:4], v[25:26], v[180:181]
	ds_read_b128 v[1:4], v150 offset:1200
	v_add_f64 v[19:20], v[19:20], v[169:170]
	v_add_f64 v[21:22], v[21:22], v[163:164]
	s_waitcnt vmcnt(53) lgkmcnt(1)
	v_mul_f64 v[163:164], v[11:12], v[151:152]
	v_mul_f64 v[151:152], v[13:14], v[151:152]
	s_waitcnt vmcnt(52)
	v_fma_f64 v[159:160], v[15:16], v[174:175], -v[159:160]
	v_add_f64 v[19:20], v[19:20], v[33:34]
	v_fma_f64 v[33:34], v[17:18], v[174:175], v[165:166]
	v_add_f64 v[21:22], v[21:22], v[25:26]
	ds_read_b128 v[15:18], v150 offset:1216
	s_waitcnt vmcnt(51) lgkmcnt(1)
	v_mul_f64 v[25:26], v[1:2], v[153:154]
	v_mul_f64 v[153:154], v[3:4], v[153:154]
	s_waitcnt vmcnt(49)
	v_fma_f64 v[151:152], v[11:12], v[27:28], -v[151:152]
	v_fma_f64 v[27:28], v[13:14], v[27:28], v[163:164]
	v_add_f64 v[19:20], v[19:20], v[159:160]
	v_add_f64 v[21:22], v[21:22], v[33:34]
	s_clause 0x3
	buffer_load_dword v33, off, s[0:3], 0 offset:144
	buffer_load_dword v34, off, s[0:3], 0 offset:148
	;; [unrolled: 1-line block ×4, first 2 shown]
	ds_read_b128 v[11:14], v150 offset:1232
	s_waitcnt vmcnt(49) lgkmcnt(1)
	v_mul_f64 v[163:164], v[15:16], v[23:24]
	v_mul_f64 v[23:24], v[17:18], v[23:24]
	s_waitcnt vmcnt(48)
	v_fma_f64 v[153:154], v[1:2], v[161:162], -v[153:154]
	v_fma_f64 v[25:26], v[3:4], v[161:162], v[25:26]
	ds_read_b128 v[1:4], v150 offset:1248
	v_add_f64 v[19:20], v[19:20], v[151:152]
	v_add_f64 v[21:22], v[21:22], v[27:28]
	s_waitcnt vmcnt(47) lgkmcnt(1)
	v_mul_f64 v[27:28], v[11:12], v[49:50]
	v_mul_f64 v[49:50], v[13:14], v[49:50]
	s_waitcnt vmcnt(45)
	v_fma_f64 v[23:24], v[15:16], v[35:36], -v[23:24]
	v_fma_f64 v[35:36], v[17:18], v[35:36], v[163:164]
	ds_read_b128 v[15:18], v150 offset:1264
	v_add_f64 v[19:20], v[19:20], v[153:154]
	v_add_f64 v[21:22], v[21:22], v[25:26]
	s_waitcnt vmcnt(41) lgkmcnt(1)
	v_mul_f64 v[25:26], v[1:2], v[31:32]
	v_mul_f64 v[31:32], v[3:4], v[31:32]
	s_waitcnt vmcnt(40)
	v_fma_f64 v[49:50], v[11:12], v[155:156], -v[49:50]
	v_add_f64 v[19:20], v[19:20], v[23:24]
	v_fma_f64 v[23:24], v[13:14], v[155:156], v[27:28]
	v_add_f64 v[21:22], v[21:22], v[35:36]
	ds_read_b128 v[11:14], v150 offset:1280
	s_waitcnt vmcnt(39) lgkmcnt(1)
	v_mul_f64 v[35:36], v[17:18], v[55:56]
	v_mul_f64 v[27:28], v[15:16], v[55:56]
	s_waitcnt vmcnt(37)
	v_fma_f64 v[25:26], v[3:4], v[45:46], v[25:26]
	v_fma_f64 v[31:32], v[1:2], v[45:46], -v[31:32]
	ds_read_b128 v[1:4], v150 offset:1296
	v_add_f64 v[19:20], v[19:20], v[49:50]
	v_add_f64 v[21:22], v[21:22], v[23:24]
	s_waitcnt vmcnt(33) lgkmcnt(1)
	v_mul_f64 v[23:24], v[11:12], v[37:38]
	v_mul_f64 v[37:38], v[13:14], v[37:38]
	s_waitcnt vmcnt(32)
	v_fma_f64 v[35:36], v[15:16], v[57:58], -v[35:36]
	v_fma_f64 v[27:28], v[17:18], v[57:58], v[27:28]
	ds_read_b128 v[15:18], v150 offset:1312
	v_add_f64 v[19:20], v[19:20], v[31:32]
	v_add_f64 v[21:22], v[21:22], v[25:26]
	s_waitcnt vmcnt(31) lgkmcnt(1)
	v_mul_f64 v[31:32], v[3:4], v[67:68]
	v_mul_f64 v[25:26], v[1:2], v[67:68]
	s_waitcnt vmcnt(29)
	v_fma_f64 v[37:38], v[11:12], v[39:40], -v[37:38]
	v_fma_f64 v[23:24], v[13:14], v[39:40], v[23:24]
	ds_read_b128 v[11:14], v150 offset:1328
	v_add_f64 v[19:20], v[19:20], v[35:36]
	v_add_f64 v[21:22], v[21:22], v[27:28]
	s_waitcnt vmcnt(25) lgkmcnt(1)
	v_mul_f64 v[35:36], v[17:18], v[47:48]
	s_waitcnt vmcnt(24)
	v_fma_f64 v[31:32], v[1:2], v[69:70], -v[31:32]
	v_mul_f64 v[27:28], v[15:16], v[47:48]
	v_fma_f64 v[25:26], v[3:4], v[69:70], v[25:26]
	ds_read_b128 v[1:4], v150 offset:1344
	v_add_f64 v[19:20], v[19:20], v[37:38]
	v_add_f64 v[21:22], v[21:22], v[23:24]
	s_waitcnt vmcnt(23) lgkmcnt(1)
	v_mul_f64 v[37:38], v[13:14], v[145:146]
	v_mul_f64 v[23:24], v[11:12], v[145:146]
	s_waitcnt vmcnt(21)
	v_fma_f64 v[35:36], v[15:16], v[51:52], -v[35:36]
	v_fma_f64 v[27:28], v[17:18], v[51:52], v[27:28]
	ds_read_b128 v[15:18], v150 offset:1360
	v_add_f64 v[19:20], v[19:20], v[31:32]
	v_add_f64 v[21:22], v[21:22], v[25:26]
	s_waitcnt vmcnt(17) lgkmcnt(1)
	v_mul_f64 v[31:32], v[3:4], v[53:54]
	s_waitcnt vmcnt(16)
	v_fma_f64 v[37:38], v[11:12], v[147:148], -v[37:38]
	v_mul_f64 v[25:26], v[1:2], v[53:54]
	;; [unrolled: 18-line block ×3, first 2 shown]
	v_fma_f64 v[17:18], v[17:18], v[171:172], v[27:28]
	v_add_f64 v[19:20], v[19:20], v[31:32]
	v_add_f64 v[21:22], v[21:22], v[25:26]
	s_waitcnt vmcnt(7) lgkmcnt(0)
	v_mul_f64 v[27:28], v[3:4], v[157:158]
	v_mul_f64 v[25:26], v[1:2], v[157:158]
	s_waitcnt vmcnt(5)
	v_fma_f64 v[11:12], v[11:12], v[71:72], -v[37:38]
	v_fma_f64 v[13:14], v[13:14], v[71:72], v[23:24]
	v_add_f64 v[15:16], v[19:20], v[15:16]
	v_add_f64 v[17:18], v[21:22], v[17:18]
	s_waitcnt vmcnt(4)
	v_fma_f64 v[1:2], v[1:2], v[176:177], -v[27:28]
	v_fma_f64 v[3:4], v[3:4], v[176:177], v[25:26]
	v_add_f64 v[11:12], v[15:16], v[11:12]
	v_add_f64 v[13:14], v[17:18], v[13:14]
	;; [unrolled: 1-line block ×4, first 2 shown]
	s_waitcnt vmcnt(2)
	v_add_f64 v[1:2], v[33:34], -v[1:2]
	s_waitcnt vmcnt(0)
	v_add_f64 v[3:4], v[159:160], -v[3:4]
	buffer_store_dword v2, off, s[0:3], 0 offset:148
	buffer_store_dword v1, off, s[0:3], 0 offset:144
	;; [unrolled: 1-line block ×4, first 2 shown]
	v_cmpx_lt_u32_e32 7, v0
	s_cbranch_execz .LBB43_263
; %bb.262:
	v_mov_b32_e32 v4, s46
	s_clause 0x3
	buffer_load_dword v1, v4, s[0:3], 0 offen
	buffer_load_dword v2, v4, s[0:3], 0 offen offset:4
	buffer_load_dword v3, v4, s[0:3], 0 offen offset:8
	;; [unrolled: 1-line block ×3, first 2 shown]
	buffer_store_dword v150, off, s[0:3], 0 offset:128
	buffer_store_dword v150, off, s[0:3], 0 offset:132
	;; [unrolled: 1-line block ×4, first 2 shown]
	s_waitcnt vmcnt(0)
	ds_write_b128 v149, v[1:4]
.LBB43_263:
	s_or_b32 exec_lo, exec_lo, s4
	s_waitcnt lgkmcnt(0)
	s_waitcnt_vscnt null, 0x0
	s_barrier
	buffer_gl0_inv
	s_clause 0x37
	buffer_load_dword v15, off, s[0:3], 0 offset:152
	buffer_load_dword v16, off, s[0:3], 0 offset:156
	;; [unrolled: 1-line block ×56, first 2 shown]
	ds_read_b128 v[151:154], v150 offset:832
	s_clause 0x2
	buffer_load_dword v146, off, s[0:3], 0 offset:380
	buffer_load_dword v148, off, s[0:3], 0 offset:356
	;; [unrolled: 1-line block ×3, first 2 shown]
	ds_read_b128 v[155:158], v150 offset:848
	s_clause 0x4
	buffer_load_dword v166, off, s[0:3], 0 offset:396
	buffer_load_dword v167, off, s[0:3], 0 offset:408
	;; [unrolled: 1-line block ×5, first 2 shown]
	ds_read_b128 v[159:162], v150 offset:864
	s_clause 0x2
	buffer_load_dword v168, off, s[0:3], 0 offset:412
	buffer_load_dword v173, off, s[0:3], 0 offset:388
	;; [unrolled: 1-line block ×3, first 2 shown]
	s_mov_b32 s4, exec_lo
	s_waitcnt vmcnt(62) lgkmcnt(2)
	v_mul_f64 v[163:164], v[153:154], v[15:16]
	v_mul_f64 v[15:16], v[151:152], v[15:16]
	s_waitcnt lgkmcnt(1)
	v_mul_f64 v[170:171], v[157:158], v[11:12]
	s_waitcnt vmcnt(59) lgkmcnt(0)
	v_mul_f64 v[174:175], v[161:162], v[3:4]
	v_fma_f64 v[151:152], v[151:152], v[13:14], -v[163:164]
	v_mul_f64 v[163:164], v[155:156], v[11:12]
	v_fma_f64 v[15:16], v[153:154], v[13:14], v[15:16]
	s_waitcnt vmcnt(57)
	v_fma_f64 v[155:156], v[155:156], v[1:2], -v[170:171]
	ds_read_b128 v[11:14], v150 offset:880
	v_mul_f64 v[153:154], v[159:160], v[3:4]
	s_waitcnt vmcnt(51)
	v_fma_f64 v[159:160], v[159:160], v[33:34], -v[174:175]
	v_add_f64 v[151:152], v[151:152], 0
	v_fma_f64 v[157:158], v[157:158], v[1:2], v[163:164]
	v_add_f64 v[15:16], v[15:16], 0
	s_clause 0x4
	buffer_load_dword v164, off, s[0:3], 0 offset:428
	buffer_load_dword v176, off, s[0:3], 0 offset:440
	;; [unrolled: 1-line block ×5, first 2 shown]
	s_waitcnt lgkmcnt(0)
	v_mul_f64 v[179:180], v[11:12], v[19:20]
	v_mul_f64 v[19:20], v[13:14], v[19:20]
	ds_read_b128 v[1:4], v150 offset:896
	v_fma_f64 v[33:34], v[161:162], v[33:34], v[153:154]
	v_add_f64 v[155:156], v[151:152], v[155:156]
	v_add_f64 v[15:16], v[15:16], v[157:158]
	s_clause 0x2
	buffer_load_dword v177, off, s[0:3], 0 offset:444
	buffer_load_dword v158, off, s[0:3], 0 offset:420
	;; [unrolled: 1-line block ×3, first 2 shown]
	s_waitcnt vmcnt(58) lgkmcnt(0)
	v_mul_f64 v[161:162], v[1:2], v[23:24]
	v_mul_f64 v[23:24], v[3:4], v[23:24]
	s_waitcnt vmcnt(56)
	v_fma_f64 v[19:20], v[11:12], v[25:26], -v[19:20]
	ds_read_b128 v[151:154], v150 offset:912
	v_fma_f64 v[25:26], v[13:14], v[25:26], v[179:180]
	v_add_f64 v[155:156], v[155:156], v[159:160]
	v_add_f64 v[15:16], v[15:16], v[33:34]
	s_clause 0x4
	buffer_load_dword v34, off, s[0:3], 0 offset:460
	buffer_load_dword v159, off, s[0:3], 0 offset:472
	;; [unrolled: 1-line block ×5, first 2 shown]
	ds_read_b128 v[11:14], v150 offset:928
	s_waitcnt vmcnt(57) lgkmcnt(1)
	v_mul_f64 v[180:181], v[151:152], v[27:28]
	v_mul_f64 v[27:28], v[153:154], v[27:28]
	s_waitcnt vmcnt(56)
	v_fma_f64 v[23:24], v[1:2], v[17:18], -v[23:24]
	v_fma_f64 v[17:18], v[3:4], v[17:18], v[161:162]
	v_add_f64 v[19:20], v[155:156], v[19:20]
	v_add_f64 v[15:16], v[15:16], v[25:26]
	s_clause 0x2
	buffer_load_dword v160, off, s[0:3], 0 offset:476
	buffer_load_dword v26, off, s[0:3], 0 offset:452
	;; [unrolled: 1-line block ×3, first 2 shown]
	s_waitcnt vmcnt(58) lgkmcnt(0)
	v_mul_f64 v[155:156], v[11:12], v[35:36]
	v_mul_f64 v[35:36], v[13:14], v[35:36]
	s_waitcnt vmcnt(56)
	v_fma_f64 v[27:28], v[151:152], v[37:38], -v[27:28]
	ds_read_b128 v[1:4], v150 offset:944
	v_add_f64 v[19:20], v[19:20], v[23:24]
	v_fma_f64 v[23:24], v[153:154], v[37:38], v[180:181]
	v_add_f64 v[37:38], v[15:16], v[17:18]
	s_clause 0x4
	buffer_load_dword v152, off, s[0:3], 0 offset:492
	buffer_load_dword v153, off, s[0:3], 0 offset:504
	;; [unrolled: 1-line block ×5, first 2 shown]
	ds_read_b128 v[15:18], v150 offset:960
	s_waitcnt vmcnt(57) lgkmcnt(1)
	v_mul_f64 v[180:181], v[1:2], v[39:40]
	v_mul_f64 v[39:40], v[3:4], v[39:40]
	s_waitcnt vmcnt(56)
	v_fma_f64 v[35:36], v[11:12], v[21:22], -v[35:36]
	v_fma_f64 v[21:22], v[13:14], v[21:22], v[155:156]
	v_add_f64 v[19:20], v[19:20], v[27:28]
	s_clause 0x2
	buffer_load_dword v154, off, s[0:3], 0 offset:508
	buffer_load_dword v28, off, s[0:3], 0 offset:484
	;; [unrolled: 1-line block ×3, first 2 shown]
	v_add_f64 v[23:24], v[37:38], v[23:24]
	s_waitcnt vmcnt(58) lgkmcnt(0)
	v_mul_f64 v[37:38], v[15:16], v[47:48]
	v_mul_f64 v[47:48], v[17:18], v[47:48]
	ds_read_b128 v[11:14], v150 offset:976
	s_waitcnt vmcnt(56)
	v_fma_f64 v[39:40], v[1:2], v[49:50], -v[39:40]
	v_add_f64 v[19:20], v[19:20], v[35:36]
	v_fma_f64 v[35:36], v[3:4], v[49:50], v[180:181]
	v_add_f64 v[21:22], v[23:24], v[21:22]
	s_clause 0x4
	buffer_load_dword v24, off, s[0:3], 0 offset:524
	buffer_load_dword v49, off, s[0:3], 0 offset:536
	;; [unrolled: 1-line block ×5, first 2 shown]
	s_waitcnt vmcnt(57) lgkmcnt(0)
	v_mul_f64 v[180:181], v[11:12], v[51:52]
	v_mul_f64 v[51:52], v[13:14], v[51:52]
	s_waitcnt vmcnt(56)
	v_fma_f64 v[47:48], v[15:16], v[31:32], -v[47:48]
	ds_read_b128 v[1:4], v150 offset:992
	v_fma_f64 v[31:32], v[17:18], v[31:32], v[37:38]
	v_add_f64 v[19:20], v[19:20], v[39:40]
	v_add_f64 v[21:22], v[21:22], v[35:36]
	s_clause 0x2
	buffer_load_dword v50, off, s[0:3], 0 offset:540
	buffer_load_dword v36, off, s[0:3], 0 offset:516
	;; [unrolled: 1-line block ×3, first 2 shown]
	ds_read_b128 v[15:18], v150 offset:1008
	s_waitcnt vmcnt(58) lgkmcnt(1)
	v_mul_f64 v[39:40], v[3:4], v[55:56]
	s_waitcnt vmcnt(56)
	v_fma_f64 v[51:52], v[11:12], v[57:58], -v[51:52]
	v_mul_f64 v[37:38], v[1:2], v[55:56]
	v_add_f64 v[19:20], v[19:20], v[47:48]
	v_fma_f64 v[47:48], v[13:14], v[57:58], v[180:181]
	v_add_f64 v[21:22], v[21:22], v[31:32]
	s_clause 0x4
	buffer_load_dword v32, off, s[0:3], 0 offset:556
	buffer_load_dword v55, off, s[0:3], 0 offset:568
	;; [unrolled: 1-line block ×5, first 2 shown]
	s_waitcnt vmcnt(57) lgkmcnt(0)
	v_mul_f64 v[180:181], v[15:16], v[59:60]
	v_mul_f64 v[58:59], v[17:18], v[59:60]
	s_waitcnt vmcnt(56)
	v_fma_f64 v[39:40], v[1:2], v[45:46], -v[39:40]
	ds_read_b128 v[11:14], v150 offset:1024
	v_fma_f64 v[37:38], v[3:4], v[45:46], v[37:38]
	s_clause 0x2
	buffer_load_dword v56, off, s[0:3], 0 offset:572
	buffer_load_dword v46, off, s[0:3], 0 offset:548
	;; [unrolled: 1-line block ×3, first 2 shown]
	ds_read_b128 v[1:4], v150 offset:1040
	v_add_f64 v[19:20], v[19:20], v[51:52]
	v_add_f64 v[21:22], v[21:22], v[47:48]
	s_waitcnt vmcnt(58) lgkmcnt(1)
	v_mul_f64 v[51:52], v[13:14], v[67:68]
	s_waitcnt vmcnt(56)
	v_fma_f64 v[59:60], v[15:16], v[69:70], -v[58:59]
	v_mul_f64 v[47:48], v[11:12], v[67:68]
	v_add_f64 v[19:20], v[19:20], v[39:40]
	v_fma_f64 v[39:40], v[17:18], v[69:70], v[180:181]
	v_add_f64 v[21:22], v[21:22], v[37:38]
	s_clause 0x4
	buffer_load_dword v38, off, s[0:3], 0 offset:588
	buffer_load_dword v67, off, s[0:3], 0 offset:600
	;; [unrolled: 1-line block ×5, first 2 shown]
	s_waitcnt vmcnt(57) lgkmcnt(0)
	v_mul_f64 v[180:181], v[1:2], v[71:72]
	v_mul_f64 v[70:71], v[3:4], v[71:72]
	s_waitcnt vmcnt(56)
	v_fma_f64 v[51:52], v[11:12], v[53:54], -v[51:52]
	ds_read_b128 v[15:18], v150 offset:1056
	v_fma_f64 v[47:48], v[13:14], v[53:54], v[47:48]
	v_add_f64 v[19:20], v[19:20], v[59:60]
	v_add_f64 v[21:22], v[21:22], v[39:40]
	s_clause 0x2
	buffer_load_dword v68, off, s[0:3], 0 offset:604
	buffer_load_dword v40, off, s[0:3], 0 offset:580
	;; [unrolled: 1-line block ×3, first 2 shown]
	ds_read_b128 v[11:14], v150 offset:1072
	s_waitcnt vmcnt(58) lgkmcnt(1)
	v_mul_f64 v[59:60], v[17:18], v[145:146]
	s_waitcnt vmcnt(56)
	v_fma_f64 v[71:72], v[1:2], v[147:148], -v[70:71]
	v_mul_f64 v[53:54], v[15:16], v[145:146]
	v_add_f64 v[19:20], v[19:20], v[51:52]
	v_fma_f64 v[51:52], v[3:4], v[147:148], v[180:181]
	v_add_f64 v[21:22], v[21:22], v[47:48]
	s_clause 0x4
	buffer_load_dword v48, off, s[0:3], 0 offset:620
	buffer_load_dword v145, off, s[0:3], 0 offset:632
	;; [unrolled: 1-line block ×5, first 2 shown]
	s_waitcnt vmcnt(57) lgkmcnt(0)
	v_mul_f64 v[180:181], v[11:12], v[165:166]
	v_mul_f64 v[165:166], v[13:14], v[165:166]
	s_waitcnt vmcnt(56)
	v_fma_f64 v[59:60], v[15:16], v[65:66], -v[59:60]
	ds_read_b128 v[1:4], v150 offset:1088
	v_fma_f64 v[53:54], v[17:18], v[65:66], v[53:54]
	v_add_f64 v[19:20], v[19:20], v[71:72]
	v_add_f64 v[21:22], v[21:22], v[51:52]
	s_clause 0x2
	buffer_load_dword v146, off, s[0:3], 0 offset:636
	buffer_load_dword v52, off, s[0:3], 0 offset:612
	;; [unrolled: 1-line block ×3, first 2 shown]
	ds_read_b128 v[15:18], v150 offset:1104
	s_waitcnt vmcnt(58) lgkmcnt(1)
	v_mul_f64 v[71:72], v[3:4], v[167:168]
	s_waitcnt vmcnt(56)
	v_fma_f64 v[165:166], v[11:12], v[172:173], -v[165:166]
	v_mul_f64 v[65:66], v[1:2], v[167:168]
	v_add_f64 v[19:20], v[19:20], v[59:60]
	v_fma_f64 v[59:60], v[13:14], v[172:173], v[180:181]
	v_add_f64 v[21:22], v[21:22], v[53:54]
	s_clause 0x4
	buffer_load_dword v54, off, s[0:3], 0 offset:652
	buffer_load_dword v167, off, s[0:3], 0 offset:664
	;; [unrolled: 1-line block ×5, first 2 shown]
	ds_read_b128 v[11:14], v150 offset:1120
	s_waitcnt vmcnt(57) lgkmcnt(1)
	v_mul_f64 v[172:173], v[15:16], v[163:164]
	v_mul_f64 v[163:164], v[17:18], v[163:164]
	s_waitcnt vmcnt(56)
	v_fma_f64 v[71:72], v[1:2], v[169:170], -v[71:72]
	v_fma_f64 v[65:66], v[3:4], v[169:170], v[65:66]
	v_add_f64 v[19:20], v[19:20], v[165:166]
	v_add_f64 v[21:22], v[21:22], v[59:60]
	s_clause 0x2
	buffer_load_dword v168, off, s[0:3], 0 offset:668
	buffer_load_dword v60, off, s[0:3], 0 offset:644
	;; [unrolled: 1-line block ×3, first 2 shown]
	ds_read_b128 v[1:4], v150 offset:1136
	s_waitcnt vmcnt(58) lgkmcnt(1)
	v_mul_f64 v[169:170], v[13:14], v[176:177]
	v_mul_f64 v[165:166], v[11:12], v[176:177]
	s_waitcnt vmcnt(56)
	v_fma_f64 v[163:164], v[15:16], v[157:158], -v[163:164]
	v_add_f64 v[19:20], v[19:20], v[71:72]
	v_fma_f64 v[71:72], v[17:18], v[157:158], v[172:173]
	v_add_f64 v[21:22], v[21:22], v[65:66]
	s_clause 0x4
	buffer_load_dword v66, off, s[0:3], 0 offset:684
	buffer_load_dword v157, off, s[0:3], 0 offset:696
	buffer_load_dword v176, off, s[0:3], 0 offset:688
	buffer_load_dword v65, off, s[0:3], 0 offset:680
	buffer_load_dword v172, off, s[0:3], 0 offset:660
	ds_read_b128 v[15:18], v150 offset:1152
	s_waitcnt vmcnt(57) lgkmcnt(1)
	v_mul_f64 v[180:181], v[1:2], v[33:34]
	v_mul_f64 v[33:34], v[3:4], v[33:34]
	s_waitcnt vmcnt(56)
	v_fma_f64 v[169:170], v[11:12], v[178:179], -v[169:170]
	v_add_f64 v[19:20], v[19:20], v[163:164]
	v_fma_f64 v[163:164], v[13:14], v[178:179], v[165:166]
	v_add_f64 v[21:22], v[21:22], v[71:72]
	s_clause 0x2
	buffer_load_dword v158, off, s[0:3], 0 offset:700
	buffer_load_dword v72, off, s[0:3], 0 offset:676
	buffer_load_dword v71, off, s[0:3], 0 offset:672
	ds_read_b128 v[11:14], v150 offset:1168
	s_waitcnt vmcnt(58) lgkmcnt(1)
	v_mul_f64 v[165:166], v[15:16], v[159:160]
	v_mul_f64 v[159:160], v[17:18], v[159:160]
	s_waitcnt vmcnt(56)
	v_fma_f64 v[33:34], v[1:2], v[25:26], -v[33:34]
	v_fma_f64 v[25:26], v[3:4], v[25:26], v[180:181]
	v_add_f64 v[19:20], v[19:20], v[169:170]
	v_add_f64 v[21:22], v[21:22], v[163:164]
	s_clause 0x2
	buffer_load_dword v164, off, s[0:3], 0 offset:716
	buffer_load_dword v163, off, s[0:3], 0 offset:712
	;; [unrolled: 1-line block ×3, first 2 shown]
	ds_read_b128 v[1:4], v150 offset:1184
	s_waitcnt vmcnt(55) lgkmcnt(1)
	v_mul_f64 v[169:170], v[11:12], v[151:152]
	v_mul_f64 v[151:152], v[13:14], v[151:152]
	s_waitcnt vmcnt(54)
	v_fma_f64 v[159:160], v[15:16], v[174:175], -v[159:160]
	v_add_f64 v[19:20], v[19:20], v[33:34]
	v_fma_f64 v[33:34], v[17:18], v[174:175], v[165:166]
	v_add_f64 v[21:22], v[21:22], v[25:26]
	s_clause 0x1
	buffer_load_dword v26, off, s[0:3], 0 offset:708
	buffer_load_dword v25, off, s[0:3], 0 offset:704
	ds_read_b128 v[15:18], v150 offset:1200
	s_waitcnt vmcnt(55) lgkmcnt(1)
	v_mul_f64 v[165:166], v[1:2], v[153:154]
	v_mul_f64 v[153:154], v[3:4], v[153:154]
	s_waitcnt vmcnt(53)
	v_fma_f64 v[151:152], v[11:12], v[27:28], -v[151:152]
	v_fma_f64 v[27:28], v[13:14], v[27:28], v[169:170]
	ds_read_b128 v[11:14], v150 offset:1216
	v_add_f64 v[19:20], v[19:20], v[159:160]
	v_add_f64 v[21:22], v[21:22], v[33:34]
	s_waitcnt vmcnt(49) lgkmcnt(1)
	v_mul_f64 v[33:34], v[15:16], v[23:24]
	v_mul_f64 v[23:24], v[17:18], v[23:24]
	s_waitcnt vmcnt(48)
	v_fma_f64 v[153:154], v[1:2], v[161:162], -v[153:154]
	v_add_f64 v[19:20], v[19:20], v[151:152]
	v_fma_f64 v[151:152], v[3:4], v[161:162], v[165:166]
	v_add_f64 v[21:22], v[21:22], v[27:28]
	s_clause 0x3
	buffer_load_dword v27, off, s[0:3], 0 offset:128
	buffer_load_dword v28, off, s[0:3], 0 offset:132
	buffer_load_dword v159, off, s[0:3], 0 offset:136
	buffer_load_dword v160, off, s[0:3], 0 offset:140
	ds_read_b128 v[1:4], v150 offset:1232
	s_waitcnt vmcnt(51) lgkmcnt(1)
	v_mul_f64 v[161:162], v[11:12], v[49:50]
	v_mul_f64 v[49:50], v[13:14], v[49:50]
	s_waitcnt vmcnt(49)
	v_fma_f64 v[23:24], v[15:16], v[35:36], -v[23:24]
	v_fma_f64 v[33:34], v[17:18], v[35:36], v[33:34]
	ds_read_b128 v[15:18], v150 offset:1248
	v_add_f64 v[19:20], v[19:20], v[153:154]
	v_add_f64 v[21:22], v[21:22], v[151:152]
	s_waitcnt vmcnt(45) lgkmcnt(1)
	v_mul_f64 v[35:36], v[1:2], v[31:32]
	v_mul_f64 v[31:32], v[3:4], v[31:32]
	s_waitcnt vmcnt(44)
	v_fma_f64 v[49:50], v[11:12], v[155:156], -v[49:50]
	v_add_f64 v[19:20], v[19:20], v[23:24]
	v_fma_f64 v[23:24], v[13:14], v[155:156], v[161:162]
	v_add_f64 v[21:22], v[21:22], v[33:34]
	s_waitcnt vmcnt(43) lgkmcnt(0)
	v_mul_f64 v[33:34], v[15:16], v[55:56]
	v_mul_f64 v[55:56], v[17:18], v[55:56]
	ds_read_b128 v[11:14], v150 offset:1264
	s_waitcnt vmcnt(41)
	v_fma_f64 v[35:36], v[3:4], v[45:46], v[35:36]
	v_fma_f64 v[31:32], v[1:2], v[45:46], -v[31:32]
	ds_read_b128 v[1:4], v150 offset:1280
	v_add_f64 v[19:20], v[19:20], v[49:50]
	v_add_f64 v[21:22], v[21:22], v[23:24]
	s_waitcnt vmcnt(37) lgkmcnt(1)
	v_mul_f64 v[23:24], v[11:12], v[37:38]
	v_mul_f64 v[37:38], v[13:14], v[37:38]
	s_waitcnt vmcnt(36)
	v_fma_f64 v[45:46], v[15:16], v[57:58], -v[55:56]
	v_add_f64 v[19:20], v[19:20], v[31:32]
	v_fma_f64 v[31:32], v[17:18], v[57:58], v[33:34]
	v_add_f64 v[21:22], v[21:22], v[35:36]
	ds_read_b128 v[15:18], v150 offset:1296
	s_waitcnt vmcnt(35) lgkmcnt(1)
	v_mul_f64 v[35:36], v[3:4], v[67:68]
	v_mul_f64 v[33:34], v[1:2], v[67:68]
	s_waitcnt vmcnt(33)
	v_fma_f64 v[37:38], v[11:12], v[39:40], -v[37:38]
	v_fma_f64 v[23:24], v[13:14], v[39:40], v[23:24]
	ds_read_b128 v[11:14], v150 offset:1312
	v_add_f64 v[19:20], v[19:20], v[45:46]
	v_add_f64 v[21:22], v[21:22], v[31:32]
	s_waitcnt vmcnt(29) lgkmcnt(1)
	v_mul_f64 v[39:40], v[17:18], v[47:48]
	s_waitcnt vmcnt(28)
	v_fma_f64 v[35:36], v[1:2], v[69:70], -v[35:36]
	v_mul_f64 v[31:32], v[15:16], v[47:48]
	v_fma_f64 v[33:34], v[3:4], v[69:70], v[33:34]
	ds_read_b128 v[1:4], v150 offset:1328
	v_add_f64 v[19:20], v[19:20], v[37:38]
	v_add_f64 v[21:22], v[21:22], v[23:24]
	s_waitcnt vmcnt(27) lgkmcnt(1)
	v_mul_f64 v[37:38], v[13:14], v[145:146]
	v_mul_f64 v[23:24], v[11:12], v[145:146]
	s_waitcnt vmcnt(25)
	v_fma_f64 v[39:40], v[15:16], v[51:52], -v[39:40]
	v_fma_f64 v[31:32], v[17:18], v[51:52], v[31:32]
	ds_read_b128 v[15:18], v150 offset:1344
	v_add_f64 v[19:20], v[19:20], v[35:36]
	v_add_f64 v[21:22], v[21:22], v[33:34]
	s_waitcnt vmcnt(21) lgkmcnt(1)
	v_mul_f64 v[35:36], v[3:4], v[53:54]
	s_waitcnt vmcnt(20)
	v_fma_f64 v[37:38], v[11:12], v[147:148], -v[37:38]
	v_mul_f64 v[33:34], v[1:2], v[53:54]
	v_fma_f64 v[23:24], v[13:14], v[147:148], v[23:24]
	ds_read_b128 v[11:14], v150 offset:1360
	v_add_f64 v[19:20], v[19:20], v[39:40]
	v_add_f64 v[21:22], v[21:22], v[31:32]
	;; [unrolled: 18-line block ×3, first 2 shown]
	s_waitcnt vmcnt(11) lgkmcnt(1)
	v_mul_f64 v[35:36], v[3:4], v[157:158]
	v_mul_f64 v[33:34], v[1:2], v[157:158]
	s_waitcnt vmcnt(9)
	v_fma_f64 v[11:12], v[11:12], v[71:72], -v[37:38]
	v_fma_f64 v[13:14], v[13:14], v[71:72], v[23:24]
	v_add_f64 v[19:20], v[19:20], v[39:40]
	v_add_f64 v[21:22], v[21:22], v[31:32]
	s_waitcnt vmcnt(7) lgkmcnt(0)
	v_mul_f64 v[31:32], v[17:18], v[163:164]
	s_waitcnt vmcnt(6)
	v_fma_f64 v[1:2], v[1:2], v[176:177], -v[35:36]
	v_mul_f64 v[23:24], v[15:16], v[163:164]
	v_fma_f64 v[3:4], v[3:4], v[176:177], v[33:34]
	v_add_f64 v[11:12], v[19:20], v[11:12]
	v_add_f64 v[13:14], v[21:22], v[13:14]
	s_waitcnt vmcnt(4)
	v_fma_f64 v[15:16], v[15:16], v[25:26], -v[31:32]
	v_add_f64 v[1:2], v[11:12], v[1:2]
	v_fma_f64 v[11:12], v[17:18], v[25:26], v[23:24]
	v_add_f64 v[3:4], v[13:14], v[3:4]
	v_add_f64 v[1:2], v[1:2], v[15:16]
	;; [unrolled: 1-line block ×3, first 2 shown]
	s_waitcnt vmcnt(2)
	v_add_f64 v[1:2], v[27:28], -v[1:2]
	s_waitcnt vmcnt(0)
	v_add_f64 v[3:4], v[159:160], -v[3:4]
	buffer_store_dword v2, off, s[0:3], 0 offset:132
	buffer_store_dword v1, off, s[0:3], 0 offset:128
	;; [unrolled: 1-line block ×4, first 2 shown]
	v_cmpx_lt_u32_e32 6, v0
	s_cbranch_execz .LBB43_265
; %bb.264:
	v_mov_b32_e32 v4, s49
	v_mov_b32_e32 v11, 0
	s_clause 0x3
	buffer_load_dword v1, v4, s[0:3], 0 offen
	buffer_load_dword v2, v4, s[0:3], 0 offen offset:4
	buffer_load_dword v3, v4, s[0:3], 0 offen offset:8
	;; [unrolled: 1-line block ×3, first 2 shown]
	buffer_store_dword v11, off, s[0:3], 0 offset:112
	buffer_store_dword v11, off, s[0:3], 0 offset:116
	;; [unrolled: 1-line block ×4, first 2 shown]
	s_waitcnt vmcnt(0)
	ds_write_b128 v149, v[1:4]
.LBB43_265:
	s_or_b32 exec_lo, exec_lo, s4
	s_waitcnt lgkmcnt(0)
	s_waitcnt_vscnt null, 0x0
	s_barrier
	buffer_gl0_inv
	s_clause 0x37
	buffer_load_dword v15, off, s[0:3], 0 offset:136
	buffer_load_dword v16, off, s[0:3], 0 offset:140
	buffer_load_dword v11, off, s[0:3], 0 offset:152
	buffer_load_dword v12, off, s[0:3], 0 offset:156
	buffer_load_dword v13, off, s[0:3], 0 offset:128
	buffer_load_dword v14, off, s[0:3], 0 offset:132
	buffer_load_dword v3, off, s[0:3], 0 offset:168
	buffer_load_dword v4, off, s[0:3], 0 offset:172
	buffer_load_dword v1, off, s[0:3], 0 offset:144
	buffer_load_dword v2, off, s[0:3], 0 offset:148
	buffer_load_dword v20, off, s[0:3], 0 offset:188
	buffer_load_dword v23, off, s[0:3], 0 offset:200
	buffer_load_dword v17, off, s[0:3], 0 offset:192
	buffer_load_dword v19, off, s[0:3], 0 offset:184
	buffer_load_dword v33, off, s[0:3], 0 offset:160
	buffer_load_dword v34, off, s[0:3], 0 offset:164
	buffer_load_dword v24, off, s[0:3], 0 offset:204
	buffer_load_dword v26, off, s[0:3], 0 offset:180
	buffer_load_dword v25, off, s[0:3], 0 offset:176
	buffer_load_dword v28, off, s[0:3], 0 offset:220
	buffer_load_dword v35, off, s[0:3], 0 offset:232
	buffer_load_dword v21, off, s[0:3], 0 offset:224
	buffer_load_dword v27, off, s[0:3], 0 offset:216
	buffer_load_dword v18, off, s[0:3], 0 offset:196
	buffer_load_dword v36, off, s[0:3], 0 offset:236
	buffer_load_dword v38, off, s[0:3], 0 offset:212
	buffer_load_dword v37, off, s[0:3], 0 offset:208
	buffer_load_dword v40, off, s[0:3], 0 offset:252
	buffer_load_dword v47, off, s[0:3], 0 offset:264
	buffer_load_dword v31, off, s[0:3], 0 offset:256
	buffer_load_dword v39, off, s[0:3], 0 offset:248
	buffer_load_dword v22, off, s[0:3], 0 offset:228
	buffer_load_dword v48, off, s[0:3], 0 offset:268
	buffer_load_dword v50, off, s[0:3], 0 offset:244
	buffer_load_dword v49, off, s[0:3], 0 offset:240
	buffer_load_dword v52, off, s[0:3], 0 offset:284
	buffer_load_dword v55, off, s[0:3], 0 offset:296
	buffer_load_dword v45, off, s[0:3], 0 offset:288
	buffer_load_dword v51, off, s[0:3], 0 offset:280
	buffer_load_dword v32, off, s[0:3], 0 offset:260
	buffer_load_dword v56, off, s[0:3], 0 offset:300
	buffer_load_dword v58, off, s[0:3], 0 offset:276
	buffer_load_dword v57, off, s[0:3], 0 offset:272
	buffer_load_dword v60, off, s[0:3], 0 offset:316
	buffer_load_dword v67, off, s[0:3], 0 offset:328
	buffer_load_dword v53, off, s[0:3], 0 offset:320
	buffer_load_dword v59, off, s[0:3], 0 offset:312
	buffer_load_dword v46, off, s[0:3], 0 offset:292
	buffer_load_dword v68, off, s[0:3], 0 offset:332
	buffer_load_dword v70, off, s[0:3], 0 offset:308
	buffer_load_dword v69, off, s[0:3], 0 offset:304
	buffer_load_dword v72, off, s[0:3], 0 offset:348
	buffer_load_dword v145, off, s[0:3], 0 offset:360
	buffer_load_dword v65, off, s[0:3], 0 offset:352
	buffer_load_dword v71, off, s[0:3], 0 offset:344
	buffer_load_dword v54, off, s[0:3], 0 offset:324
	v_mov_b32_e32 v150, 0
	s_mov_b32 s4, exec_lo
	ds_read_b128 v[151:154], v150 offset:816
	s_clause 0x2
	buffer_load_dword v146, off, s[0:3], 0 offset:364
	buffer_load_dword v148, off, s[0:3], 0 offset:340
	;; [unrolled: 1-line block ×3, first 2 shown]
	ds_read_b128 v[155:158], v150 offset:832
	s_clause 0x4
	buffer_load_dword v166, off, s[0:3], 0 offset:380
	buffer_load_dword v167, off, s[0:3], 0 offset:392
	;; [unrolled: 1-line block ×5, first 2 shown]
	ds_read_b128 v[159:162], v150 offset:848
	s_clause 0x2
	buffer_load_dword v168, off, s[0:3], 0 offset:396
	buffer_load_dword v173, off, s[0:3], 0 offset:372
	;; [unrolled: 1-line block ×3, first 2 shown]
	s_waitcnt vmcnt(62) lgkmcnt(2)
	v_mul_f64 v[163:164], v[153:154], v[15:16]
	v_mul_f64 v[15:16], v[151:152], v[15:16]
	s_waitcnt lgkmcnt(1)
	v_mul_f64 v[170:171], v[157:158], v[11:12]
	s_waitcnt vmcnt(59) lgkmcnt(0)
	v_mul_f64 v[174:175], v[161:162], v[3:4]
	v_fma_f64 v[151:152], v[151:152], v[13:14], -v[163:164]
	v_mul_f64 v[163:164], v[155:156], v[11:12]
	v_fma_f64 v[15:16], v[153:154], v[13:14], v[15:16]
	s_waitcnt vmcnt(57)
	v_fma_f64 v[155:156], v[155:156], v[1:2], -v[170:171]
	ds_read_b128 v[11:14], v150 offset:864
	v_mul_f64 v[153:154], v[159:160], v[3:4]
	s_waitcnt vmcnt(51)
	v_fma_f64 v[159:160], v[159:160], v[33:34], -v[174:175]
	v_add_f64 v[151:152], v[151:152], 0
	v_fma_f64 v[157:158], v[157:158], v[1:2], v[163:164]
	v_add_f64 v[15:16], v[15:16], 0
	s_clause 0x4
	buffer_load_dword v164, off, s[0:3], 0 offset:412
	buffer_load_dword v176, off, s[0:3], 0 offset:424
	;; [unrolled: 1-line block ×5, first 2 shown]
	s_waitcnt lgkmcnt(0)
	v_mul_f64 v[179:180], v[11:12], v[19:20]
	v_mul_f64 v[19:20], v[13:14], v[19:20]
	ds_read_b128 v[1:4], v150 offset:880
	v_fma_f64 v[33:34], v[161:162], v[33:34], v[153:154]
	v_add_f64 v[155:156], v[151:152], v[155:156]
	v_add_f64 v[15:16], v[15:16], v[157:158]
	s_clause 0x2
	buffer_load_dword v177, off, s[0:3], 0 offset:428
	buffer_load_dword v158, off, s[0:3], 0 offset:404
	;; [unrolled: 1-line block ×3, first 2 shown]
	s_waitcnt vmcnt(58) lgkmcnt(0)
	v_mul_f64 v[161:162], v[1:2], v[23:24]
	v_mul_f64 v[23:24], v[3:4], v[23:24]
	s_waitcnt vmcnt(56)
	v_fma_f64 v[19:20], v[11:12], v[25:26], -v[19:20]
	ds_read_b128 v[151:154], v150 offset:896
	v_fma_f64 v[25:26], v[13:14], v[25:26], v[179:180]
	v_add_f64 v[155:156], v[155:156], v[159:160]
	v_add_f64 v[15:16], v[15:16], v[33:34]
	s_clause 0x4
	buffer_load_dword v34, off, s[0:3], 0 offset:444
	buffer_load_dword v159, off, s[0:3], 0 offset:456
	;; [unrolled: 1-line block ×5, first 2 shown]
	ds_read_b128 v[11:14], v150 offset:912
	s_waitcnt vmcnt(57) lgkmcnt(1)
	v_mul_f64 v[180:181], v[151:152], v[27:28]
	v_mul_f64 v[27:28], v[153:154], v[27:28]
	s_waitcnt vmcnt(56)
	v_fma_f64 v[23:24], v[1:2], v[17:18], -v[23:24]
	v_fma_f64 v[17:18], v[3:4], v[17:18], v[161:162]
	v_add_f64 v[19:20], v[155:156], v[19:20]
	v_add_f64 v[15:16], v[15:16], v[25:26]
	s_clause 0x2
	buffer_load_dword v160, off, s[0:3], 0 offset:460
	buffer_load_dword v26, off, s[0:3], 0 offset:436
	;; [unrolled: 1-line block ×3, first 2 shown]
	s_waitcnt vmcnt(58) lgkmcnt(0)
	v_mul_f64 v[155:156], v[11:12], v[35:36]
	v_mul_f64 v[35:36], v[13:14], v[35:36]
	s_waitcnt vmcnt(56)
	v_fma_f64 v[27:28], v[151:152], v[37:38], -v[27:28]
	ds_read_b128 v[1:4], v150 offset:928
	v_add_f64 v[19:20], v[19:20], v[23:24]
	v_fma_f64 v[23:24], v[153:154], v[37:38], v[180:181]
	v_add_f64 v[37:38], v[15:16], v[17:18]
	s_clause 0x4
	buffer_load_dword v152, off, s[0:3], 0 offset:476
	buffer_load_dword v153, off, s[0:3], 0 offset:488
	;; [unrolled: 1-line block ×5, first 2 shown]
	ds_read_b128 v[15:18], v150 offset:944
	s_waitcnt vmcnt(57) lgkmcnt(1)
	v_mul_f64 v[180:181], v[1:2], v[39:40]
	v_mul_f64 v[39:40], v[3:4], v[39:40]
	s_waitcnt vmcnt(56)
	v_fma_f64 v[35:36], v[11:12], v[21:22], -v[35:36]
	v_fma_f64 v[21:22], v[13:14], v[21:22], v[155:156]
	v_add_f64 v[19:20], v[19:20], v[27:28]
	s_clause 0x2
	buffer_load_dword v154, off, s[0:3], 0 offset:492
	buffer_load_dword v28, off, s[0:3], 0 offset:468
	buffer_load_dword v27, off, s[0:3], 0 offset:464
	v_add_f64 v[23:24], v[37:38], v[23:24]
	s_waitcnt vmcnt(58) lgkmcnt(0)
	v_mul_f64 v[37:38], v[15:16], v[47:48]
	v_mul_f64 v[47:48], v[17:18], v[47:48]
	ds_read_b128 v[11:14], v150 offset:960
	s_waitcnt vmcnt(56)
	v_fma_f64 v[39:40], v[1:2], v[49:50], -v[39:40]
	v_add_f64 v[19:20], v[19:20], v[35:36]
	v_fma_f64 v[35:36], v[3:4], v[49:50], v[180:181]
	v_add_f64 v[21:22], v[23:24], v[21:22]
	s_clause 0x4
	buffer_load_dword v24, off, s[0:3], 0 offset:508
	buffer_load_dword v49, off, s[0:3], 0 offset:520
	;; [unrolled: 1-line block ×5, first 2 shown]
	s_waitcnt vmcnt(57) lgkmcnt(0)
	v_mul_f64 v[180:181], v[11:12], v[51:52]
	v_mul_f64 v[51:52], v[13:14], v[51:52]
	s_waitcnt vmcnt(56)
	v_fma_f64 v[47:48], v[15:16], v[31:32], -v[47:48]
	ds_read_b128 v[1:4], v150 offset:976
	v_fma_f64 v[31:32], v[17:18], v[31:32], v[37:38]
	v_add_f64 v[19:20], v[19:20], v[39:40]
	v_add_f64 v[21:22], v[21:22], v[35:36]
	s_clause 0x2
	buffer_load_dword v50, off, s[0:3], 0 offset:524
	buffer_load_dword v36, off, s[0:3], 0 offset:500
	;; [unrolled: 1-line block ×3, first 2 shown]
	ds_read_b128 v[15:18], v150 offset:992
	s_waitcnt vmcnt(58) lgkmcnt(1)
	v_mul_f64 v[39:40], v[3:4], v[55:56]
	s_waitcnt vmcnt(56)
	v_fma_f64 v[51:52], v[11:12], v[57:58], -v[51:52]
	v_mul_f64 v[37:38], v[1:2], v[55:56]
	v_add_f64 v[19:20], v[19:20], v[47:48]
	v_fma_f64 v[47:48], v[13:14], v[57:58], v[180:181]
	v_add_f64 v[21:22], v[21:22], v[31:32]
	s_clause 0x4
	buffer_load_dword v32, off, s[0:3], 0 offset:540
	buffer_load_dword v55, off, s[0:3], 0 offset:552
	;; [unrolled: 1-line block ×5, first 2 shown]
	s_waitcnt vmcnt(57) lgkmcnt(0)
	v_mul_f64 v[180:181], v[15:16], v[59:60]
	v_mul_f64 v[58:59], v[17:18], v[59:60]
	s_waitcnt vmcnt(56)
	v_fma_f64 v[39:40], v[1:2], v[45:46], -v[39:40]
	ds_read_b128 v[11:14], v150 offset:1008
	v_fma_f64 v[37:38], v[3:4], v[45:46], v[37:38]
	s_clause 0x2
	buffer_load_dword v56, off, s[0:3], 0 offset:556
	buffer_load_dword v46, off, s[0:3], 0 offset:532
	;; [unrolled: 1-line block ×3, first 2 shown]
	ds_read_b128 v[1:4], v150 offset:1024
	v_add_f64 v[19:20], v[19:20], v[51:52]
	v_add_f64 v[21:22], v[21:22], v[47:48]
	s_waitcnt vmcnt(58) lgkmcnt(1)
	v_mul_f64 v[51:52], v[13:14], v[67:68]
	s_waitcnt vmcnt(56)
	v_fma_f64 v[59:60], v[15:16], v[69:70], -v[58:59]
	v_mul_f64 v[47:48], v[11:12], v[67:68]
	v_add_f64 v[19:20], v[19:20], v[39:40]
	v_fma_f64 v[39:40], v[17:18], v[69:70], v[180:181]
	v_add_f64 v[21:22], v[21:22], v[37:38]
	s_clause 0x4
	buffer_load_dword v38, off, s[0:3], 0 offset:572
	buffer_load_dword v67, off, s[0:3], 0 offset:584
	;; [unrolled: 1-line block ×5, first 2 shown]
	s_waitcnt vmcnt(57) lgkmcnt(0)
	v_mul_f64 v[180:181], v[1:2], v[71:72]
	v_mul_f64 v[70:71], v[3:4], v[71:72]
	s_waitcnt vmcnt(56)
	v_fma_f64 v[51:52], v[11:12], v[53:54], -v[51:52]
	ds_read_b128 v[15:18], v150 offset:1040
	v_fma_f64 v[47:48], v[13:14], v[53:54], v[47:48]
	v_add_f64 v[19:20], v[19:20], v[59:60]
	v_add_f64 v[21:22], v[21:22], v[39:40]
	s_clause 0x2
	buffer_load_dword v68, off, s[0:3], 0 offset:588
	buffer_load_dword v40, off, s[0:3], 0 offset:564
	;; [unrolled: 1-line block ×3, first 2 shown]
	ds_read_b128 v[11:14], v150 offset:1056
	s_waitcnt vmcnt(58) lgkmcnt(1)
	v_mul_f64 v[59:60], v[17:18], v[145:146]
	s_waitcnt vmcnt(56)
	v_fma_f64 v[71:72], v[1:2], v[147:148], -v[70:71]
	v_mul_f64 v[53:54], v[15:16], v[145:146]
	v_add_f64 v[19:20], v[19:20], v[51:52]
	v_fma_f64 v[51:52], v[3:4], v[147:148], v[180:181]
	v_add_f64 v[21:22], v[21:22], v[47:48]
	s_clause 0x4
	buffer_load_dword v48, off, s[0:3], 0 offset:604
	buffer_load_dword v145, off, s[0:3], 0 offset:616
	;; [unrolled: 1-line block ×5, first 2 shown]
	s_waitcnt vmcnt(57) lgkmcnt(0)
	v_mul_f64 v[180:181], v[11:12], v[165:166]
	v_mul_f64 v[165:166], v[13:14], v[165:166]
	s_waitcnt vmcnt(56)
	v_fma_f64 v[59:60], v[15:16], v[65:66], -v[59:60]
	ds_read_b128 v[1:4], v150 offset:1072
	v_fma_f64 v[53:54], v[17:18], v[65:66], v[53:54]
	v_add_f64 v[19:20], v[19:20], v[71:72]
	v_add_f64 v[21:22], v[21:22], v[51:52]
	s_clause 0x2
	buffer_load_dword v146, off, s[0:3], 0 offset:620
	buffer_load_dword v52, off, s[0:3], 0 offset:596
	;; [unrolled: 1-line block ×3, first 2 shown]
	ds_read_b128 v[15:18], v150 offset:1088
	s_waitcnt vmcnt(58) lgkmcnt(1)
	v_mul_f64 v[71:72], v[3:4], v[167:168]
	s_waitcnt vmcnt(56)
	v_fma_f64 v[165:166], v[11:12], v[172:173], -v[165:166]
	v_mul_f64 v[65:66], v[1:2], v[167:168]
	v_add_f64 v[19:20], v[19:20], v[59:60]
	v_fma_f64 v[59:60], v[13:14], v[172:173], v[180:181]
	v_add_f64 v[21:22], v[21:22], v[53:54]
	s_clause 0x4
	buffer_load_dword v54, off, s[0:3], 0 offset:636
	buffer_load_dword v167, off, s[0:3], 0 offset:648
	;; [unrolled: 1-line block ×5, first 2 shown]
	ds_read_b128 v[11:14], v150 offset:1104
	s_waitcnt vmcnt(57) lgkmcnt(1)
	v_mul_f64 v[172:173], v[15:16], v[163:164]
	v_mul_f64 v[163:164], v[17:18], v[163:164]
	s_waitcnt vmcnt(56)
	v_fma_f64 v[71:72], v[1:2], v[169:170], -v[71:72]
	v_fma_f64 v[65:66], v[3:4], v[169:170], v[65:66]
	v_add_f64 v[19:20], v[19:20], v[165:166]
	v_add_f64 v[21:22], v[21:22], v[59:60]
	s_clause 0x2
	buffer_load_dword v168, off, s[0:3], 0 offset:652
	buffer_load_dword v60, off, s[0:3], 0 offset:628
	;; [unrolled: 1-line block ×3, first 2 shown]
	ds_read_b128 v[1:4], v150 offset:1120
	s_waitcnt vmcnt(58) lgkmcnt(1)
	v_mul_f64 v[169:170], v[13:14], v[176:177]
	v_mul_f64 v[165:166], v[11:12], v[176:177]
	s_waitcnt vmcnt(56)
	v_fma_f64 v[163:164], v[15:16], v[157:158], -v[163:164]
	v_add_f64 v[19:20], v[19:20], v[71:72]
	v_fma_f64 v[71:72], v[17:18], v[157:158], v[172:173]
	v_add_f64 v[21:22], v[21:22], v[65:66]
	s_clause 0x4
	buffer_load_dword v66, off, s[0:3], 0 offset:668
	buffer_load_dword v157, off, s[0:3], 0 offset:680
	;; [unrolled: 1-line block ×5, first 2 shown]
	ds_read_b128 v[15:18], v150 offset:1136
	s_waitcnt vmcnt(57) lgkmcnt(1)
	v_mul_f64 v[180:181], v[1:2], v[33:34]
	v_mul_f64 v[33:34], v[3:4], v[33:34]
	s_waitcnt vmcnt(56)
	v_fma_f64 v[169:170], v[11:12], v[178:179], -v[169:170]
	v_add_f64 v[19:20], v[19:20], v[163:164]
	v_fma_f64 v[163:164], v[13:14], v[178:179], v[165:166]
	v_add_f64 v[21:22], v[21:22], v[71:72]
	s_clause 0x2
	buffer_load_dword v158, off, s[0:3], 0 offset:684
	buffer_load_dword v72, off, s[0:3], 0 offset:660
	;; [unrolled: 1-line block ×3, first 2 shown]
	ds_read_b128 v[11:14], v150 offset:1152
	s_waitcnt vmcnt(58) lgkmcnt(1)
	v_mul_f64 v[165:166], v[15:16], v[159:160]
	v_mul_f64 v[159:160], v[17:18], v[159:160]
	s_waitcnt vmcnt(56)
	v_fma_f64 v[33:34], v[1:2], v[25:26], -v[33:34]
	v_fma_f64 v[25:26], v[3:4], v[25:26], v[180:181]
	v_add_f64 v[19:20], v[19:20], v[169:170]
	v_add_f64 v[21:22], v[21:22], v[163:164]
	s_clause 0x4
	buffer_load_dword v164, off, s[0:3], 0 offset:700
	buffer_load_dword v169, off, s[0:3], 0 offset:712
	;; [unrolled: 1-line block ×5, first 2 shown]
	ds_read_b128 v[1:4], v150 offset:1168
	s_waitcnt vmcnt(57) lgkmcnt(1)
	v_mul_f64 v[178:179], v[11:12], v[151:152]
	v_mul_f64 v[151:152], v[13:14], v[151:152]
	s_waitcnt vmcnt(56)
	v_fma_f64 v[159:160], v[15:16], v[174:175], -v[159:160]
	v_add_f64 v[19:20], v[19:20], v[33:34]
	v_fma_f64 v[33:34], v[17:18], v[174:175], v[165:166]
	v_add_f64 v[21:22], v[21:22], v[25:26]
	s_clause 0x2
	buffer_load_dword v170, off, s[0:3], 0 offset:716
	buffer_load_dword v26, off, s[0:3], 0 offset:692
	;; [unrolled: 1-line block ×3, first 2 shown]
	ds_read_b128 v[15:18], v150 offset:1184
	buffer_load_dword v174, off, s[0:3], 0 offset:708
	s_waitcnt vmcnt(59) lgkmcnt(1)
	v_mul_f64 v[165:166], v[1:2], v[153:154]
	v_mul_f64 v[153:154], v[3:4], v[153:154]
	s_waitcnt vmcnt(57)
	v_fma_f64 v[151:152], v[11:12], v[27:28], -v[151:152]
	v_fma_f64 v[27:28], v[13:14], v[27:28], v[178:179]
	ds_read_b128 v[11:14], v150 offset:1200
	v_add_f64 v[19:20], v[19:20], v[159:160]
	v_add_f64 v[21:22], v[21:22], v[33:34]
	s_waitcnt vmcnt(53) lgkmcnt(1)
	v_mul_f64 v[33:34], v[15:16], v[23:24]
	v_mul_f64 v[23:24], v[17:18], v[23:24]
	s_waitcnt vmcnt(52)
	v_fma_f64 v[153:154], v[1:2], v[161:162], -v[153:154]
	v_add_f64 v[19:20], v[19:20], v[151:152]
	v_fma_f64 v[151:152], v[3:4], v[161:162], v[165:166]
	v_add_f64 v[21:22], v[21:22], v[27:28]
	ds_read_b128 v[1:4], v150 offset:1216
	s_waitcnt vmcnt(51) lgkmcnt(1)
	v_mul_f64 v[27:28], v[11:12], v[49:50]
	v_mul_f64 v[49:50], v[13:14], v[49:50]
	s_waitcnt vmcnt(49)
	v_fma_f64 v[23:24], v[15:16], v[35:36], -v[23:24]
	v_fma_f64 v[33:34], v[17:18], v[35:36], v[33:34]
	v_add_f64 v[19:20], v[19:20], v[153:154]
	v_add_f64 v[21:22], v[21:22], v[151:152]
	s_clause 0x3
	buffer_load_dword v35, off, s[0:3], 0 offset:112
	buffer_load_dword v36, off, s[0:3], 0 offset:116
	buffer_load_dword v151, off, s[0:3], 0 offset:120
	buffer_load_dword v152, off, s[0:3], 0 offset:124
	ds_read_b128 v[15:18], v150 offset:1232
	s_waitcnt vmcnt(49) lgkmcnt(1)
	v_mul_f64 v[153:154], v[1:2], v[31:32]
	v_mul_f64 v[31:32], v[3:4], v[31:32]
	s_waitcnt vmcnt(48)
	v_fma_f64 v[49:50], v[11:12], v[155:156], -v[49:50]
	v_add_f64 v[19:20], v[19:20], v[23:24]
	v_fma_f64 v[23:24], v[13:14], v[155:156], v[27:28]
	v_add_f64 v[21:22], v[21:22], v[33:34]
	ds_read_b128 v[11:14], v150 offset:1248
	s_waitcnt vmcnt(47) lgkmcnt(1)
	v_mul_f64 v[33:34], v[17:18], v[55:56]
	v_mul_f64 v[27:28], v[15:16], v[55:56]
	s_waitcnt vmcnt(45)
	v_fma_f64 v[31:32], v[1:2], v[45:46], -v[31:32]
	v_fma_f64 v[45:46], v[3:4], v[45:46], v[153:154]
	ds_read_b128 v[1:4], v150 offset:1264
	v_add_f64 v[19:20], v[19:20], v[49:50]
	v_add_f64 v[21:22], v[21:22], v[23:24]
	s_waitcnt vmcnt(41) lgkmcnt(1)
	v_mul_f64 v[23:24], v[11:12], v[37:38]
	v_mul_f64 v[37:38], v[13:14], v[37:38]
	s_waitcnt vmcnt(40)
	v_fma_f64 v[33:34], v[15:16], v[57:58], -v[33:34]
	v_fma_f64 v[27:28], v[17:18], v[57:58], v[27:28]
	ds_read_b128 v[15:18], v150 offset:1280
	v_add_f64 v[19:20], v[19:20], v[31:32]
	v_add_f64 v[21:22], v[21:22], v[45:46]
	;; [unrolled: 9-line block ×3, first 2 shown]
	s_waitcnt vmcnt(33) lgkmcnt(1)
	v_mul_f64 v[33:34], v[17:18], v[47:48]
	s_waitcnt vmcnt(32)
	v_fma_f64 v[39:40], v[1:2], v[69:70], -v[45:46]
	v_mul_f64 v[27:28], v[15:16], v[47:48]
	v_fma_f64 v[31:32], v[3:4], v[69:70], v[31:32]
	ds_read_b128 v[1:4], v150 offset:1312
	v_add_f64 v[19:20], v[19:20], v[37:38]
	v_add_f64 v[21:22], v[21:22], v[23:24]
	s_waitcnt vmcnt(31) lgkmcnt(1)
	v_mul_f64 v[37:38], v[13:14], v[145:146]
	v_mul_f64 v[23:24], v[11:12], v[145:146]
	s_waitcnt vmcnt(29)
	v_fma_f64 v[33:34], v[15:16], v[51:52], -v[33:34]
	v_fma_f64 v[27:28], v[17:18], v[51:52], v[27:28]
	ds_read_b128 v[15:18], v150 offset:1328
	v_add_f64 v[19:20], v[19:20], v[39:40]
	v_add_f64 v[21:22], v[21:22], v[31:32]
	s_waitcnt vmcnt(25) lgkmcnt(1)
	v_mul_f64 v[39:40], v[3:4], v[53:54]
	s_waitcnt vmcnt(24)
	v_fma_f64 v[37:38], v[11:12], v[147:148], -v[37:38]
	v_mul_f64 v[31:32], v[1:2], v[53:54]
	v_fma_f64 v[23:24], v[13:14], v[147:148], v[23:24]
	ds_read_b128 v[11:14], v150 offset:1344
	v_add_f64 v[19:20], v[19:20], v[33:34]
	v_add_f64 v[21:22], v[21:22], v[27:28]
	s_waitcnt vmcnt(23) lgkmcnt(1)
	v_mul_f64 v[33:34], v[17:18], v[167:168]
	v_mul_f64 v[27:28], v[15:16], v[167:168]
	s_waitcnt vmcnt(21)
	v_fma_f64 v[39:40], v[1:2], v[59:60], -v[39:40]
	v_fma_f64 v[31:32], v[3:4], v[59:60], v[31:32]
	ds_read_b128 v[1:4], v150 offset:1360
	v_add_f64 v[19:20], v[19:20], v[37:38]
	v_add_f64 v[21:22], v[21:22], v[23:24]
	;; [unrolled: 18-line block ×3, first 2 shown]
	s_waitcnt vmcnt(9) lgkmcnt(1)
	v_mul_f64 v[33:34], v[17:18], v[163:164]
	s_waitcnt vmcnt(8)
	v_fma_f64 v[1:2], v[1:2], v[176:177], -v[39:40]
	v_mul_f64 v[27:28], v[15:16], v[163:164]
	v_fma_f64 v[3:4], v[3:4], v[176:177], v[31:32]
	v_add_f64 v[19:20], v[19:20], v[37:38]
	v_add_f64 v[21:22], v[21:22], v[23:24]
	s_waitcnt vmcnt(7) lgkmcnt(0)
	v_mul_f64 v[31:32], v[13:14], v[169:170]
	v_mul_f64 v[23:24], v[11:12], v[169:170]
	s_waitcnt vmcnt(5)
	v_fma_f64 v[15:16], v[15:16], v[25:26], -v[33:34]
	v_fma_f64 v[17:18], v[17:18], v[25:26], v[27:28]
	v_add_f64 v[1:2], v[19:20], v[1:2]
	v_add_f64 v[3:4], v[21:22], v[3:4]
	s_waitcnt vmcnt(4)
	v_fma_f64 v[11:12], v[11:12], v[173:174], -v[31:32]
	v_fma_f64 v[13:14], v[13:14], v[173:174], v[23:24]
	v_add_f64 v[1:2], v[1:2], v[15:16]
	v_add_f64 v[3:4], v[3:4], v[17:18]
	;; [unrolled: 1-line block ×4, first 2 shown]
	s_waitcnt vmcnt(2)
	v_add_f64 v[1:2], v[35:36], -v[1:2]
	s_waitcnt vmcnt(0)
	v_add_f64 v[3:4], v[151:152], -v[3:4]
	buffer_store_dword v2, off, s[0:3], 0 offset:116
	buffer_store_dword v1, off, s[0:3], 0 offset:112
	buffer_store_dword v4, off, s[0:3], 0 offset:124
	buffer_store_dword v3, off, s[0:3], 0 offset:120
	v_cmpx_lt_u32_e32 5, v0
	s_cbranch_execz .LBB43_267
; %bb.266:
	v_mov_b32_e32 v4, s51
	s_clause 0x3
	buffer_load_dword v1, v4, s[0:3], 0 offen
	buffer_load_dword v2, v4, s[0:3], 0 offen offset:4
	buffer_load_dword v3, v4, s[0:3], 0 offen offset:8
	;; [unrolled: 1-line block ×3, first 2 shown]
	buffer_store_dword v150, off, s[0:3], 0 offset:96
	buffer_store_dword v150, off, s[0:3], 0 offset:100
	;; [unrolled: 1-line block ×4, first 2 shown]
	s_waitcnt vmcnt(0)
	ds_write_b128 v149, v[1:4]
.LBB43_267:
	s_or_b32 exec_lo, exec_lo, s4
	s_waitcnt lgkmcnt(0)
	s_waitcnt_vscnt null, 0x0
	s_barrier
	buffer_gl0_inv
	s_clause 0x37
	buffer_load_dword v15, off, s[0:3], 0 offset:120
	buffer_load_dword v16, off, s[0:3], 0 offset:124
	;; [unrolled: 1-line block ×56, first 2 shown]
	ds_read_b128 v[151:154], v150 offset:800
	s_clause 0x2
	buffer_load_dword v146, off, s[0:3], 0 offset:348
	buffer_load_dword v148, off, s[0:3], 0 offset:324
	;; [unrolled: 1-line block ×3, first 2 shown]
	ds_read_b128 v[155:158], v150 offset:816
	s_clause 0x4
	buffer_load_dword v166, off, s[0:3], 0 offset:364
	buffer_load_dword v167, off, s[0:3], 0 offset:376
	;; [unrolled: 1-line block ×5, first 2 shown]
	ds_read_b128 v[159:162], v150 offset:832
	s_clause 0x2
	buffer_load_dword v168, off, s[0:3], 0 offset:380
	buffer_load_dword v173, off, s[0:3], 0 offset:356
	;; [unrolled: 1-line block ×3, first 2 shown]
	s_mov_b32 s4, exec_lo
	s_waitcnt vmcnt(62) lgkmcnt(2)
	v_mul_f64 v[163:164], v[153:154], v[15:16]
	v_mul_f64 v[15:16], v[151:152], v[15:16]
	s_waitcnt lgkmcnt(1)
	v_mul_f64 v[170:171], v[157:158], v[11:12]
	s_waitcnt vmcnt(59) lgkmcnt(0)
	v_mul_f64 v[174:175], v[161:162], v[3:4]
	v_fma_f64 v[151:152], v[151:152], v[13:14], -v[163:164]
	v_mul_f64 v[163:164], v[155:156], v[11:12]
	v_fma_f64 v[15:16], v[153:154], v[13:14], v[15:16]
	s_waitcnt vmcnt(57)
	v_fma_f64 v[155:156], v[155:156], v[1:2], -v[170:171]
	ds_read_b128 v[11:14], v150 offset:848
	v_mul_f64 v[153:154], v[159:160], v[3:4]
	s_waitcnt vmcnt(51)
	v_fma_f64 v[159:160], v[159:160], v[33:34], -v[174:175]
	v_add_f64 v[151:152], v[151:152], 0
	v_fma_f64 v[157:158], v[157:158], v[1:2], v[163:164]
	v_add_f64 v[15:16], v[15:16], 0
	s_clause 0x4
	buffer_load_dword v164, off, s[0:3], 0 offset:396
	buffer_load_dword v176, off, s[0:3], 0 offset:408
	;; [unrolled: 1-line block ×5, first 2 shown]
	s_waitcnt lgkmcnt(0)
	v_mul_f64 v[179:180], v[11:12], v[19:20]
	v_mul_f64 v[19:20], v[13:14], v[19:20]
	ds_read_b128 v[1:4], v150 offset:864
	v_fma_f64 v[33:34], v[161:162], v[33:34], v[153:154]
	v_add_f64 v[155:156], v[151:152], v[155:156]
	v_add_f64 v[15:16], v[15:16], v[157:158]
	s_clause 0x2
	buffer_load_dword v177, off, s[0:3], 0 offset:412
	buffer_load_dword v158, off, s[0:3], 0 offset:388
	buffer_load_dword v157, off, s[0:3], 0 offset:384
	s_waitcnt vmcnt(58) lgkmcnt(0)
	v_mul_f64 v[161:162], v[1:2], v[23:24]
	v_mul_f64 v[23:24], v[3:4], v[23:24]
	s_waitcnt vmcnt(56)
	v_fma_f64 v[19:20], v[11:12], v[25:26], -v[19:20]
	ds_read_b128 v[151:154], v150 offset:880
	v_fma_f64 v[25:26], v[13:14], v[25:26], v[179:180]
	v_add_f64 v[155:156], v[155:156], v[159:160]
	v_add_f64 v[15:16], v[15:16], v[33:34]
	s_clause 0x4
	buffer_load_dword v34, off, s[0:3], 0 offset:428
	buffer_load_dword v159, off, s[0:3], 0 offset:440
	;; [unrolled: 1-line block ×5, first 2 shown]
	ds_read_b128 v[11:14], v150 offset:896
	s_waitcnt vmcnt(57) lgkmcnt(1)
	v_mul_f64 v[180:181], v[151:152], v[27:28]
	v_mul_f64 v[27:28], v[153:154], v[27:28]
	s_waitcnt vmcnt(56)
	v_fma_f64 v[23:24], v[1:2], v[17:18], -v[23:24]
	v_fma_f64 v[17:18], v[3:4], v[17:18], v[161:162]
	v_add_f64 v[19:20], v[155:156], v[19:20]
	v_add_f64 v[15:16], v[15:16], v[25:26]
	s_clause 0x2
	buffer_load_dword v160, off, s[0:3], 0 offset:444
	buffer_load_dword v26, off, s[0:3], 0 offset:420
	;; [unrolled: 1-line block ×3, first 2 shown]
	s_waitcnt vmcnt(58) lgkmcnt(0)
	v_mul_f64 v[155:156], v[11:12], v[35:36]
	v_mul_f64 v[35:36], v[13:14], v[35:36]
	s_waitcnt vmcnt(56)
	v_fma_f64 v[27:28], v[151:152], v[37:38], -v[27:28]
	ds_read_b128 v[1:4], v150 offset:912
	v_add_f64 v[19:20], v[19:20], v[23:24]
	v_fma_f64 v[23:24], v[153:154], v[37:38], v[180:181]
	v_add_f64 v[37:38], v[15:16], v[17:18]
	s_clause 0x4
	buffer_load_dword v152, off, s[0:3], 0 offset:460
	buffer_load_dword v153, off, s[0:3], 0 offset:472
	;; [unrolled: 1-line block ×5, first 2 shown]
	ds_read_b128 v[15:18], v150 offset:928
	s_waitcnt vmcnt(57) lgkmcnt(1)
	v_mul_f64 v[180:181], v[1:2], v[39:40]
	v_mul_f64 v[39:40], v[3:4], v[39:40]
	s_waitcnt vmcnt(56)
	v_fma_f64 v[35:36], v[11:12], v[21:22], -v[35:36]
	v_fma_f64 v[21:22], v[13:14], v[21:22], v[155:156]
	v_add_f64 v[19:20], v[19:20], v[27:28]
	s_clause 0x2
	buffer_load_dword v154, off, s[0:3], 0 offset:476
	buffer_load_dword v28, off, s[0:3], 0 offset:452
	;; [unrolled: 1-line block ×3, first 2 shown]
	v_add_f64 v[23:24], v[37:38], v[23:24]
	s_waitcnt vmcnt(58) lgkmcnt(0)
	v_mul_f64 v[37:38], v[15:16], v[47:48]
	v_mul_f64 v[47:48], v[17:18], v[47:48]
	ds_read_b128 v[11:14], v150 offset:944
	s_waitcnt vmcnt(56)
	v_fma_f64 v[39:40], v[1:2], v[49:50], -v[39:40]
	v_add_f64 v[19:20], v[19:20], v[35:36]
	v_fma_f64 v[35:36], v[3:4], v[49:50], v[180:181]
	v_add_f64 v[21:22], v[23:24], v[21:22]
	s_clause 0x4
	buffer_load_dword v24, off, s[0:3], 0 offset:492
	buffer_load_dword v49, off, s[0:3], 0 offset:504
	;; [unrolled: 1-line block ×5, first 2 shown]
	s_waitcnt vmcnt(57) lgkmcnt(0)
	v_mul_f64 v[180:181], v[11:12], v[51:52]
	v_mul_f64 v[51:52], v[13:14], v[51:52]
	s_waitcnt vmcnt(56)
	v_fma_f64 v[47:48], v[15:16], v[31:32], -v[47:48]
	ds_read_b128 v[1:4], v150 offset:960
	v_fma_f64 v[31:32], v[17:18], v[31:32], v[37:38]
	v_add_f64 v[19:20], v[19:20], v[39:40]
	v_add_f64 v[21:22], v[21:22], v[35:36]
	s_clause 0x2
	buffer_load_dword v50, off, s[0:3], 0 offset:508
	buffer_load_dword v36, off, s[0:3], 0 offset:484
	;; [unrolled: 1-line block ×3, first 2 shown]
	ds_read_b128 v[15:18], v150 offset:976
	s_waitcnt vmcnt(58) lgkmcnt(1)
	v_mul_f64 v[39:40], v[3:4], v[55:56]
	s_waitcnt vmcnt(56)
	v_fma_f64 v[51:52], v[11:12], v[57:58], -v[51:52]
	v_mul_f64 v[37:38], v[1:2], v[55:56]
	v_add_f64 v[19:20], v[19:20], v[47:48]
	v_fma_f64 v[47:48], v[13:14], v[57:58], v[180:181]
	v_add_f64 v[21:22], v[21:22], v[31:32]
	s_clause 0x4
	buffer_load_dword v32, off, s[0:3], 0 offset:524
	buffer_load_dword v55, off, s[0:3], 0 offset:536
	buffer_load_dword v57, off, s[0:3], 0 offset:528
	buffer_load_dword v31, off, s[0:3], 0 offset:520
	buffer_load_dword v156, off, s[0:3], 0 offset:500
	s_waitcnt vmcnt(57) lgkmcnt(0)
	v_mul_f64 v[180:181], v[15:16], v[59:60]
	v_mul_f64 v[58:59], v[17:18], v[59:60]
	s_waitcnt vmcnt(56)
	v_fma_f64 v[39:40], v[1:2], v[45:46], -v[39:40]
	ds_read_b128 v[11:14], v150 offset:992
	v_fma_f64 v[37:38], v[3:4], v[45:46], v[37:38]
	s_clause 0x2
	buffer_load_dword v56, off, s[0:3], 0 offset:540
	buffer_load_dword v46, off, s[0:3], 0 offset:516
	;; [unrolled: 1-line block ×3, first 2 shown]
	ds_read_b128 v[1:4], v150 offset:1008
	v_add_f64 v[19:20], v[19:20], v[51:52]
	v_add_f64 v[21:22], v[21:22], v[47:48]
	s_waitcnt vmcnt(58) lgkmcnt(1)
	v_mul_f64 v[51:52], v[13:14], v[67:68]
	s_waitcnt vmcnt(56)
	v_fma_f64 v[59:60], v[15:16], v[69:70], -v[58:59]
	v_mul_f64 v[47:48], v[11:12], v[67:68]
	v_add_f64 v[19:20], v[19:20], v[39:40]
	v_fma_f64 v[39:40], v[17:18], v[69:70], v[180:181]
	v_add_f64 v[21:22], v[21:22], v[37:38]
	s_clause 0x4
	buffer_load_dword v38, off, s[0:3], 0 offset:556
	buffer_load_dword v67, off, s[0:3], 0 offset:568
	buffer_load_dword v69, off, s[0:3], 0 offset:560
	buffer_load_dword v37, off, s[0:3], 0 offset:552
	buffer_load_dword v58, off, s[0:3], 0 offset:532
	s_waitcnt vmcnt(57) lgkmcnt(0)
	v_mul_f64 v[180:181], v[1:2], v[71:72]
	v_mul_f64 v[70:71], v[3:4], v[71:72]
	s_waitcnt vmcnt(56)
	v_fma_f64 v[51:52], v[11:12], v[53:54], -v[51:52]
	ds_read_b128 v[15:18], v150 offset:1024
	v_fma_f64 v[47:48], v[13:14], v[53:54], v[47:48]
	v_add_f64 v[19:20], v[19:20], v[59:60]
	v_add_f64 v[21:22], v[21:22], v[39:40]
	s_clause 0x2
	buffer_load_dword v68, off, s[0:3], 0 offset:572
	buffer_load_dword v40, off, s[0:3], 0 offset:548
	;; [unrolled: 1-line block ×3, first 2 shown]
	ds_read_b128 v[11:14], v150 offset:1040
	s_waitcnt vmcnt(58) lgkmcnt(1)
	v_mul_f64 v[59:60], v[17:18], v[145:146]
	s_waitcnt vmcnt(56)
	v_fma_f64 v[71:72], v[1:2], v[147:148], -v[70:71]
	v_mul_f64 v[53:54], v[15:16], v[145:146]
	v_add_f64 v[19:20], v[19:20], v[51:52]
	v_fma_f64 v[51:52], v[3:4], v[147:148], v[180:181]
	v_add_f64 v[21:22], v[21:22], v[47:48]
	s_clause 0x4
	buffer_load_dword v48, off, s[0:3], 0 offset:588
	buffer_load_dword v145, off, s[0:3], 0 offset:600
	;; [unrolled: 1-line block ×5, first 2 shown]
	s_waitcnt vmcnt(57) lgkmcnt(0)
	v_mul_f64 v[180:181], v[11:12], v[165:166]
	v_mul_f64 v[165:166], v[13:14], v[165:166]
	s_waitcnt vmcnt(56)
	v_fma_f64 v[59:60], v[15:16], v[65:66], -v[59:60]
	ds_read_b128 v[1:4], v150 offset:1056
	v_fma_f64 v[53:54], v[17:18], v[65:66], v[53:54]
	v_add_f64 v[19:20], v[19:20], v[71:72]
	v_add_f64 v[21:22], v[21:22], v[51:52]
	s_clause 0x2
	buffer_load_dword v146, off, s[0:3], 0 offset:604
	buffer_load_dword v52, off, s[0:3], 0 offset:580
	buffer_load_dword v51, off, s[0:3], 0 offset:576
	ds_read_b128 v[15:18], v150 offset:1072
	s_waitcnt vmcnt(58) lgkmcnt(1)
	v_mul_f64 v[71:72], v[3:4], v[167:168]
	s_waitcnt vmcnt(56)
	v_fma_f64 v[165:166], v[11:12], v[172:173], -v[165:166]
	v_mul_f64 v[65:66], v[1:2], v[167:168]
	v_add_f64 v[19:20], v[19:20], v[59:60]
	v_fma_f64 v[59:60], v[13:14], v[172:173], v[180:181]
	v_add_f64 v[21:22], v[21:22], v[53:54]
	s_clause 0x4
	buffer_load_dword v54, off, s[0:3], 0 offset:620
	buffer_load_dword v167, off, s[0:3], 0 offset:632
	buffer_load_dword v171, off, s[0:3], 0 offset:624
	buffer_load_dword v53, off, s[0:3], 0 offset:616
	buffer_load_dword v148, off, s[0:3], 0 offset:596
	ds_read_b128 v[11:14], v150 offset:1088
	s_waitcnt vmcnt(57) lgkmcnt(1)
	v_mul_f64 v[172:173], v[15:16], v[163:164]
	v_mul_f64 v[163:164], v[17:18], v[163:164]
	s_waitcnt vmcnt(56)
	v_fma_f64 v[71:72], v[1:2], v[169:170], -v[71:72]
	v_fma_f64 v[65:66], v[3:4], v[169:170], v[65:66]
	v_add_f64 v[19:20], v[19:20], v[165:166]
	v_add_f64 v[21:22], v[21:22], v[59:60]
	s_clause 0x2
	buffer_load_dword v168, off, s[0:3], 0 offset:636
	buffer_load_dword v60, off, s[0:3], 0 offset:612
	;; [unrolled: 1-line block ×3, first 2 shown]
	ds_read_b128 v[1:4], v150 offset:1104
	s_waitcnt vmcnt(58) lgkmcnt(1)
	v_mul_f64 v[169:170], v[13:14], v[176:177]
	v_mul_f64 v[165:166], v[11:12], v[176:177]
	s_waitcnt vmcnt(56)
	v_fma_f64 v[163:164], v[15:16], v[157:158], -v[163:164]
	v_add_f64 v[19:20], v[19:20], v[71:72]
	v_fma_f64 v[71:72], v[17:18], v[157:158], v[172:173]
	v_add_f64 v[21:22], v[21:22], v[65:66]
	s_clause 0x4
	buffer_load_dword v66, off, s[0:3], 0 offset:652
	buffer_load_dword v157, off, s[0:3], 0 offset:664
	;; [unrolled: 1-line block ×5, first 2 shown]
	ds_read_b128 v[15:18], v150 offset:1120
	s_waitcnt vmcnt(57) lgkmcnt(1)
	v_mul_f64 v[180:181], v[1:2], v[33:34]
	v_mul_f64 v[33:34], v[3:4], v[33:34]
	s_waitcnt vmcnt(56)
	v_fma_f64 v[169:170], v[11:12], v[178:179], -v[169:170]
	v_add_f64 v[19:20], v[19:20], v[163:164]
	v_fma_f64 v[163:164], v[13:14], v[178:179], v[165:166]
	v_add_f64 v[21:22], v[21:22], v[71:72]
	s_clause 0x2
	buffer_load_dword v158, off, s[0:3], 0 offset:668
	buffer_load_dword v72, off, s[0:3], 0 offset:644
	;; [unrolled: 1-line block ×3, first 2 shown]
	ds_read_b128 v[11:14], v150 offset:1136
	s_waitcnt vmcnt(58) lgkmcnt(1)
	v_mul_f64 v[165:166], v[15:16], v[159:160]
	v_mul_f64 v[159:160], v[17:18], v[159:160]
	s_waitcnt vmcnt(56)
	v_fma_f64 v[33:34], v[1:2], v[25:26], -v[33:34]
	v_fma_f64 v[25:26], v[3:4], v[25:26], v[180:181]
	v_add_f64 v[19:20], v[19:20], v[169:170]
	v_add_f64 v[21:22], v[21:22], v[163:164]
	s_clause 0x4
	buffer_load_dword v164, off, s[0:3], 0 offset:684
	buffer_load_dword v169, off, s[0:3], 0 offset:696
	;; [unrolled: 1-line block ×5, first 2 shown]
	ds_read_b128 v[1:4], v150 offset:1152
	s_waitcnt vmcnt(57) lgkmcnt(1)
	v_mul_f64 v[178:179], v[11:12], v[151:152]
	v_mul_f64 v[151:152], v[13:14], v[151:152]
	s_waitcnt vmcnt(56)
	v_fma_f64 v[159:160], v[15:16], v[174:175], -v[159:160]
	v_add_f64 v[19:20], v[19:20], v[33:34]
	v_fma_f64 v[33:34], v[17:18], v[174:175], v[165:166]
	v_add_f64 v[21:22], v[21:22], v[25:26]
	s_clause 0x2
	buffer_load_dword v170, off, s[0:3], 0 offset:700
	buffer_load_dword v26, off, s[0:3], 0 offset:676
	;; [unrolled: 1-line block ×3, first 2 shown]
	ds_read_b128 v[15:18], v150 offset:1168
	s_waitcnt vmcnt(58) lgkmcnt(1)
	v_mul_f64 v[165:166], v[1:2], v[153:154]
	v_mul_f64 v[153:154], v[3:4], v[153:154]
	s_waitcnt vmcnt(56)
	v_fma_f64 v[151:152], v[11:12], v[27:28], -v[151:152]
	v_fma_f64 v[27:28], v[13:14], v[27:28], v[178:179]
	v_add_f64 v[19:20], v[19:20], v[159:160]
	v_add_f64 v[21:22], v[21:22], v[33:34]
	s_clause 0x2
	buffer_load_dword v34, off, s[0:3], 0 offset:716
	buffer_load_dword v33, off, s[0:3], 0 offset:712
	;; [unrolled: 1-line block ×3, first 2 shown]
	ds_read_b128 v[11:14], v150 offset:1184
	s_waitcnt vmcnt(55) lgkmcnt(1)
	v_mul_f64 v[159:160], v[15:16], v[23:24]
	v_mul_f64 v[23:24], v[17:18], v[23:24]
	s_waitcnt vmcnt(54)
	v_fma_f64 v[153:154], v[1:2], v[161:162], -v[153:154]
	v_add_f64 v[19:20], v[19:20], v[151:152]
	v_fma_f64 v[151:152], v[3:4], v[161:162], v[165:166]
	v_add_f64 v[21:22], v[21:22], v[27:28]
	s_clause 0x1
	buffer_load_dword v28, off, s[0:3], 0 offset:708
	buffer_load_dword v27, off, s[0:3], 0 offset:704
	ds_read_b128 v[1:4], v150 offset:1200
	s_waitcnt vmcnt(55) lgkmcnt(1)
	v_mul_f64 v[161:162], v[11:12], v[49:50]
	v_mul_f64 v[49:50], v[13:14], v[49:50]
	s_waitcnt vmcnt(53)
	v_fma_f64 v[23:24], v[15:16], v[35:36], -v[23:24]
	v_fma_f64 v[35:36], v[17:18], v[35:36], v[159:160]
	ds_read_b128 v[15:18], v150 offset:1216
	v_add_f64 v[19:20], v[19:20], v[153:154]
	v_add_f64 v[21:22], v[21:22], v[151:152]
	s_waitcnt vmcnt(49) lgkmcnt(1)
	v_mul_f64 v[151:152], v[1:2], v[31:32]
	v_mul_f64 v[31:32], v[3:4], v[31:32]
	s_waitcnt vmcnt(48)
	v_fma_f64 v[49:50], v[11:12], v[155:156], -v[49:50]
	v_add_f64 v[19:20], v[19:20], v[23:24]
	v_fma_f64 v[23:24], v[13:14], v[155:156], v[161:162]
	v_add_f64 v[21:22], v[21:22], v[35:36]
	s_clause 0x3
	buffer_load_dword v35, off, s[0:3], 0 offset:96
	buffer_load_dword v36, off, s[0:3], 0 offset:100
	;; [unrolled: 1-line block ×4, first 2 shown]
	s_waitcnt vmcnt(51) lgkmcnt(0)
	v_mul_f64 v[155:156], v[15:16], v[55:56]
	v_mul_f64 v[55:56], v[17:18], v[55:56]
	ds_read_b128 v[11:14], v150 offset:1232
	s_waitcnt vmcnt(49)
	v_fma_f64 v[31:32], v[1:2], v[45:46], -v[31:32]
	v_fma_f64 v[45:46], v[3:4], v[45:46], v[151:152]
	ds_read_b128 v[1:4], v150 offset:1248
	v_add_f64 v[19:20], v[19:20], v[49:50]
	v_add_f64 v[21:22], v[21:22], v[23:24]
	s_waitcnt vmcnt(45) lgkmcnt(1)
	v_mul_f64 v[23:24], v[11:12], v[37:38]
	v_mul_f64 v[37:38], v[13:14], v[37:38]
	s_waitcnt vmcnt(44)
	v_fma_f64 v[49:50], v[15:16], v[57:58], -v[55:56]
	v_add_f64 v[19:20], v[19:20], v[31:32]
	v_fma_f64 v[31:32], v[17:18], v[57:58], v[155:156]
	v_add_f64 v[21:22], v[21:22], v[45:46]
	ds_read_b128 v[15:18], v150 offset:1264
	s_waitcnt vmcnt(43) lgkmcnt(1)
	v_mul_f64 v[55:56], v[3:4], v[67:68]
	v_mul_f64 v[45:46], v[1:2], v[67:68]
	s_waitcnt vmcnt(41)
	v_fma_f64 v[37:38], v[11:12], v[39:40], -v[37:38]
	v_fma_f64 v[23:24], v[13:14], v[39:40], v[23:24]
	ds_read_b128 v[11:14], v150 offset:1280
	v_add_f64 v[19:20], v[19:20], v[49:50]
	v_add_f64 v[21:22], v[21:22], v[31:32]
	s_waitcnt vmcnt(37) lgkmcnt(1)
	v_mul_f64 v[31:32], v[15:16], v[47:48]
	v_mul_f64 v[39:40], v[17:18], v[47:48]
	s_waitcnt vmcnt(36)
	v_fma_f64 v[47:48], v[1:2], v[69:70], -v[55:56]
	v_add_f64 v[19:20], v[19:20], v[37:38]
	v_fma_f64 v[37:38], v[3:4], v[69:70], v[45:46]
	v_add_f64 v[21:22], v[21:22], v[23:24]
	ds_read_b128 v[1:4], v150 offset:1296
	s_waitcnt vmcnt(35) lgkmcnt(1)
	v_mul_f64 v[45:46], v[13:14], v[145:146]
	v_mul_f64 v[23:24], v[11:12], v[145:146]
	s_waitcnt vmcnt(33)
	v_fma_f64 v[39:40], v[15:16], v[51:52], -v[39:40]
	v_fma_f64 v[31:32], v[17:18], v[51:52], v[31:32]
	ds_read_b128 v[15:18], v150 offset:1312
	v_add_f64 v[19:20], v[19:20], v[47:48]
	v_add_f64 v[21:22], v[21:22], v[37:38]
	s_waitcnt vmcnt(29) lgkmcnt(1)
	v_mul_f64 v[47:48], v[3:4], v[53:54]
	s_waitcnt vmcnt(28)
	v_fma_f64 v[45:46], v[11:12], v[147:148], -v[45:46]
	v_mul_f64 v[37:38], v[1:2], v[53:54]
	v_fma_f64 v[23:24], v[13:14], v[147:148], v[23:24]
	ds_read_b128 v[11:14], v150 offset:1328
	v_add_f64 v[19:20], v[19:20], v[39:40]
	v_add_f64 v[21:22], v[21:22], v[31:32]
	s_waitcnt vmcnt(27) lgkmcnt(1)
	v_mul_f64 v[39:40], v[17:18], v[167:168]
	v_mul_f64 v[31:32], v[15:16], v[167:168]
	s_waitcnt vmcnt(25)
	v_fma_f64 v[47:48], v[1:2], v[59:60], -v[47:48]
	v_fma_f64 v[37:38], v[3:4], v[59:60], v[37:38]
	ds_read_b128 v[1:4], v150 offset:1344
	v_add_f64 v[19:20], v[19:20], v[45:46]
	v_add_f64 v[21:22], v[21:22], v[23:24]
	s_waitcnt vmcnt(21) lgkmcnt(1)
	v_mul_f64 v[45:46], v[13:14], v[65:66]
	s_waitcnt vmcnt(20)
	v_fma_f64 v[39:40], v[15:16], v[171:172], -v[39:40]
	v_mul_f64 v[23:24], v[11:12], v[65:66]
	v_fma_f64 v[31:32], v[17:18], v[171:172], v[31:32]
	ds_read_b128 v[15:18], v150 offset:1360
	v_add_f64 v[19:20], v[19:20], v[47:48]
	v_add_f64 v[21:22], v[21:22], v[37:38]
	;; [unrolled: 18-line block ×3, first 2 shown]
	s_waitcnt vmcnt(11) lgkmcnt(1)
	v_mul_f64 v[45:46], v[13:14], v[169:170]
	v_mul_f64 v[23:24], v[11:12], v[169:170]
	s_waitcnt vmcnt(9)
	v_fma_f64 v[15:16], v[15:16], v[25:26], -v[39:40]
	v_fma_f64 v[17:18], v[17:18], v[25:26], v[31:32]
	v_add_f64 v[19:20], v[19:20], v[47:48]
	v_add_f64 v[21:22], v[21:22], v[37:38]
	s_waitcnt vmcnt(7) lgkmcnt(0)
	v_mul_f64 v[31:32], v[3:4], v[33:34]
	s_waitcnt vmcnt(6)
	v_fma_f64 v[11:12], v[11:12], v[173:174], -v[45:46]
	v_mul_f64 v[25:26], v[1:2], v[33:34]
	v_fma_f64 v[13:14], v[13:14], v[173:174], v[23:24]
	v_add_f64 v[15:16], v[19:20], v[15:16]
	v_add_f64 v[17:18], v[21:22], v[17:18]
	s_waitcnt vmcnt(4)
	v_fma_f64 v[1:2], v[1:2], v[27:28], -v[31:32]
	v_fma_f64 v[3:4], v[3:4], v[27:28], v[25:26]
	v_add_f64 v[11:12], v[15:16], v[11:12]
	v_add_f64 v[13:14], v[17:18], v[13:14]
	;; [unrolled: 1-line block ×4, first 2 shown]
	s_waitcnt vmcnt(2)
	v_add_f64 v[1:2], v[35:36], -v[1:2]
	s_waitcnt vmcnt(0)
	v_add_f64 v[3:4], v[153:154], -v[3:4]
	buffer_store_dword v2, off, s[0:3], 0 offset:100
	buffer_store_dword v1, off, s[0:3], 0 offset:96
	;; [unrolled: 1-line block ×4, first 2 shown]
	v_cmpx_lt_u32_e32 4, v0
	s_cbranch_execz .LBB43_269
; %bb.268:
	v_mov_b32_e32 v4, s52
	v_mov_b32_e32 v11, 0
	s_clause 0x3
	buffer_load_dword v1, v4, s[0:3], 0 offen
	buffer_load_dword v2, v4, s[0:3], 0 offen offset:4
	buffer_load_dword v3, v4, s[0:3], 0 offen offset:8
	;; [unrolled: 1-line block ×3, first 2 shown]
	buffer_store_dword v11, off, s[0:3], 0 offset:80
	buffer_store_dword v11, off, s[0:3], 0 offset:84
	;; [unrolled: 1-line block ×4, first 2 shown]
	s_waitcnt vmcnt(0)
	ds_write_b128 v149, v[1:4]
.LBB43_269:
	s_or_b32 exec_lo, exec_lo, s4
	s_waitcnt lgkmcnt(0)
	s_waitcnt_vscnt null, 0x0
	s_barrier
	buffer_gl0_inv
	s_clause 0x37
	buffer_load_dword v15, off, s[0:3], 0 offset:104
	buffer_load_dword v16, off, s[0:3], 0 offset:108
	;; [unrolled: 1-line block ×56, first 2 shown]
	v_mov_b32_e32 v150, 0
	s_mov_b32 s4, exec_lo
	ds_read_b128 v[151:154], v150 offset:784
	s_clause 0x2
	buffer_load_dword v146, off, s[0:3], 0 offset:332
	buffer_load_dword v148, off, s[0:3], 0 offset:308
	;; [unrolled: 1-line block ×3, first 2 shown]
	ds_read_b128 v[155:158], v150 offset:800
	s_clause 0x4
	buffer_load_dword v166, off, s[0:3], 0 offset:348
	buffer_load_dword v167, off, s[0:3], 0 offset:360
	;; [unrolled: 1-line block ×5, first 2 shown]
	ds_read_b128 v[159:162], v150 offset:816
	s_clause 0x2
	buffer_load_dword v168, off, s[0:3], 0 offset:364
	buffer_load_dword v173, off, s[0:3], 0 offset:340
	;; [unrolled: 1-line block ×3, first 2 shown]
	s_waitcnt vmcnt(62) lgkmcnt(2)
	v_mul_f64 v[163:164], v[153:154], v[15:16]
	v_mul_f64 v[15:16], v[151:152], v[15:16]
	s_waitcnt lgkmcnt(1)
	v_mul_f64 v[170:171], v[157:158], v[11:12]
	s_waitcnt vmcnt(59) lgkmcnt(0)
	v_mul_f64 v[174:175], v[161:162], v[3:4]
	v_fma_f64 v[151:152], v[151:152], v[13:14], -v[163:164]
	v_mul_f64 v[163:164], v[155:156], v[11:12]
	v_fma_f64 v[15:16], v[153:154], v[13:14], v[15:16]
	s_waitcnt vmcnt(57)
	v_fma_f64 v[155:156], v[155:156], v[1:2], -v[170:171]
	ds_read_b128 v[11:14], v150 offset:832
	v_mul_f64 v[153:154], v[159:160], v[3:4]
	s_waitcnt vmcnt(51)
	v_fma_f64 v[159:160], v[159:160], v[33:34], -v[174:175]
	v_add_f64 v[151:152], v[151:152], 0
	v_fma_f64 v[157:158], v[157:158], v[1:2], v[163:164]
	v_add_f64 v[15:16], v[15:16], 0
	s_clause 0x4
	buffer_load_dword v164, off, s[0:3], 0 offset:380
	buffer_load_dword v176, off, s[0:3], 0 offset:392
	;; [unrolled: 1-line block ×5, first 2 shown]
	s_waitcnt lgkmcnt(0)
	v_mul_f64 v[179:180], v[11:12], v[19:20]
	v_mul_f64 v[19:20], v[13:14], v[19:20]
	ds_read_b128 v[1:4], v150 offset:848
	v_fma_f64 v[33:34], v[161:162], v[33:34], v[153:154]
	v_add_f64 v[155:156], v[151:152], v[155:156]
	v_add_f64 v[15:16], v[15:16], v[157:158]
	s_clause 0x2
	buffer_load_dword v177, off, s[0:3], 0 offset:396
	buffer_load_dword v158, off, s[0:3], 0 offset:372
	;; [unrolled: 1-line block ×3, first 2 shown]
	s_waitcnt vmcnt(58) lgkmcnt(0)
	v_mul_f64 v[161:162], v[1:2], v[23:24]
	v_mul_f64 v[23:24], v[3:4], v[23:24]
	s_waitcnt vmcnt(56)
	v_fma_f64 v[19:20], v[11:12], v[25:26], -v[19:20]
	ds_read_b128 v[151:154], v150 offset:864
	v_fma_f64 v[25:26], v[13:14], v[25:26], v[179:180]
	v_add_f64 v[155:156], v[155:156], v[159:160]
	v_add_f64 v[15:16], v[15:16], v[33:34]
	s_clause 0x4
	buffer_load_dword v34, off, s[0:3], 0 offset:412
	buffer_load_dword v159, off, s[0:3], 0 offset:424
	;; [unrolled: 1-line block ×5, first 2 shown]
	ds_read_b128 v[11:14], v150 offset:880
	s_waitcnt vmcnt(57) lgkmcnt(1)
	v_mul_f64 v[180:181], v[151:152], v[27:28]
	v_mul_f64 v[27:28], v[153:154], v[27:28]
	s_waitcnt vmcnt(56)
	v_fma_f64 v[23:24], v[1:2], v[17:18], -v[23:24]
	v_fma_f64 v[17:18], v[3:4], v[17:18], v[161:162]
	v_add_f64 v[19:20], v[155:156], v[19:20]
	v_add_f64 v[15:16], v[15:16], v[25:26]
	s_clause 0x2
	buffer_load_dword v160, off, s[0:3], 0 offset:428
	buffer_load_dword v26, off, s[0:3], 0 offset:404
	;; [unrolled: 1-line block ×3, first 2 shown]
	s_waitcnt vmcnt(58) lgkmcnt(0)
	v_mul_f64 v[155:156], v[11:12], v[35:36]
	v_mul_f64 v[35:36], v[13:14], v[35:36]
	s_waitcnt vmcnt(56)
	v_fma_f64 v[27:28], v[151:152], v[37:38], -v[27:28]
	ds_read_b128 v[1:4], v150 offset:896
	v_add_f64 v[19:20], v[19:20], v[23:24]
	v_fma_f64 v[23:24], v[153:154], v[37:38], v[180:181]
	v_add_f64 v[37:38], v[15:16], v[17:18]
	s_clause 0x4
	buffer_load_dword v152, off, s[0:3], 0 offset:444
	buffer_load_dword v153, off, s[0:3], 0 offset:456
	;; [unrolled: 1-line block ×5, first 2 shown]
	ds_read_b128 v[15:18], v150 offset:912
	s_waitcnt vmcnt(57) lgkmcnt(1)
	v_mul_f64 v[180:181], v[1:2], v[39:40]
	v_mul_f64 v[39:40], v[3:4], v[39:40]
	s_waitcnt vmcnt(56)
	v_fma_f64 v[35:36], v[11:12], v[21:22], -v[35:36]
	v_fma_f64 v[21:22], v[13:14], v[21:22], v[155:156]
	v_add_f64 v[19:20], v[19:20], v[27:28]
	s_clause 0x2
	buffer_load_dword v154, off, s[0:3], 0 offset:460
	buffer_load_dword v28, off, s[0:3], 0 offset:436
	;; [unrolled: 1-line block ×3, first 2 shown]
	v_add_f64 v[23:24], v[37:38], v[23:24]
	s_waitcnt vmcnt(58) lgkmcnt(0)
	v_mul_f64 v[37:38], v[15:16], v[47:48]
	v_mul_f64 v[47:48], v[17:18], v[47:48]
	ds_read_b128 v[11:14], v150 offset:928
	s_waitcnt vmcnt(56)
	v_fma_f64 v[39:40], v[1:2], v[49:50], -v[39:40]
	v_add_f64 v[19:20], v[19:20], v[35:36]
	v_fma_f64 v[35:36], v[3:4], v[49:50], v[180:181]
	v_add_f64 v[21:22], v[23:24], v[21:22]
	s_clause 0x4
	buffer_load_dword v24, off, s[0:3], 0 offset:476
	buffer_load_dword v49, off, s[0:3], 0 offset:488
	buffer_load_dword v155, off, s[0:3], 0 offset:480
	buffer_load_dword v23, off, s[0:3], 0 offset:472
	buffer_load_dword v162, off, s[0:3], 0 offset:452
	s_waitcnt vmcnt(57) lgkmcnt(0)
	v_mul_f64 v[180:181], v[11:12], v[51:52]
	v_mul_f64 v[51:52], v[13:14], v[51:52]
	s_waitcnt vmcnt(56)
	v_fma_f64 v[47:48], v[15:16], v[31:32], -v[47:48]
	ds_read_b128 v[1:4], v150 offset:944
	v_fma_f64 v[31:32], v[17:18], v[31:32], v[37:38]
	v_add_f64 v[19:20], v[19:20], v[39:40]
	v_add_f64 v[21:22], v[21:22], v[35:36]
	s_clause 0x2
	buffer_load_dword v50, off, s[0:3], 0 offset:492
	buffer_load_dword v36, off, s[0:3], 0 offset:468
	;; [unrolled: 1-line block ×3, first 2 shown]
	ds_read_b128 v[15:18], v150 offset:960
	s_waitcnt vmcnt(58) lgkmcnt(1)
	v_mul_f64 v[39:40], v[3:4], v[55:56]
	s_waitcnt vmcnt(56)
	v_fma_f64 v[51:52], v[11:12], v[57:58], -v[51:52]
	v_mul_f64 v[37:38], v[1:2], v[55:56]
	v_add_f64 v[19:20], v[19:20], v[47:48]
	v_fma_f64 v[47:48], v[13:14], v[57:58], v[180:181]
	v_add_f64 v[21:22], v[21:22], v[31:32]
	s_clause 0x4
	buffer_load_dword v32, off, s[0:3], 0 offset:508
	buffer_load_dword v55, off, s[0:3], 0 offset:520
	buffer_load_dword v57, off, s[0:3], 0 offset:512
	buffer_load_dword v31, off, s[0:3], 0 offset:504
	buffer_load_dword v156, off, s[0:3], 0 offset:484
	s_waitcnt vmcnt(57) lgkmcnt(0)
	v_mul_f64 v[180:181], v[15:16], v[59:60]
	v_mul_f64 v[58:59], v[17:18], v[59:60]
	s_waitcnt vmcnt(56)
	v_fma_f64 v[39:40], v[1:2], v[45:46], -v[39:40]
	ds_read_b128 v[11:14], v150 offset:976
	v_fma_f64 v[37:38], v[3:4], v[45:46], v[37:38]
	s_clause 0x2
	buffer_load_dword v56, off, s[0:3], 0 offset:524
	buffer_load_dword v46, off, s[0:3], 0 offset:500
	;; [unrolled: 1-line block ×3, first 2 shown]
	ds_read_b128 v[1:4], v150 offset:992
	v_add_f64 v[19:20], v[19:20], v[51:52]
	v_add_f64 v[21:22], v[21:22], v[47:48]
	s_waitcnt vmcnt(58) lgkmcnt(1)
	v_mul_f64 v[51:52], v[13:14], v[67:68]
	s_waitcnt vmcnt(56)
	v_fma_f64 v[59:60], v[15:16], v[69:70], -v[58:59]
	v_mul_f64 v[47:48], v[11:12], v[67:68]
	v_add_f64 v[19:20], v[19:20], v[39:40]
	v_fma_f64 v[39:40], v[17:18], v[69:70], v[180:181]
	v_add_f64 v[21:22], v[21:22], v[37:38]
	s_clause 0x4
	buffer_load_dword v38, off, s[0:3], 0 offset:540
	buffer_load_dword v67, off, s[0:3], 0 offset:552
	;; [unrolled: 1-line block ×5, first 2 shown]
	s_waitcnt vmcnt(57) lgkmcnt(0)
	v_mul_f64 v[180:181], v[1:2], v[71:72]
	v_mul_f64 v[70:71], v[3:4], v[71:72]
	s_waitcnt vmcnt(56)
	v_fma_f64 v[51:52], v[11:12], v[53:54], -v[51:52]
	ds_read_b128 v[15:18], v150 offset:1008
	v_fma_f64 v[47:48], v[13:14], v[53:54], v[47:48]
	v_add_f64 v[19:20], v[19:20], v[59:60]
	v_add_f64 v[21:22], v[21:22], v[39:40]
	s_clause 0x2
	buffer_load_dword v68, off, s[0:3], 0 offset:556
	buffer_load_dword v40, off, s[0:3], 0 offset:532
	;; [unrolled: 1-line block ×3, first 2 shown]
	ds_read_b128 v[11:14], v150 offset:1024
	s_waitcnt vmcnt(58) lgkmcnt(1)
	v_mul_f64 v[59:60], v[17:18], v[145:146]
	s_waitcnt vmcnt(56)
	v_fma_f64 v[71:72], v[1:2], v[147:148], -v[70:71]
	v_mul_f64 v[53:54], v[15:16], v[145:146]
	v_add_f64 v[19:20], v[19:20], v[51:52]
	v_fma_f64 v[51:52], v[3:4], v[147:148], v[180:181]
	v_add_f64 v[21:22], v[21:22], v[47:48]
	s_clause 0x4
	buffer_load_dword v48, off, s[0:3], 0 offset:572
	buffer_load_dword v145, off, s[0:3], 0 offset:584
	;; [unrolled: 1-line block ×5, first 2 shown]
	s_waitcnt vmcnt(57) lgkmcnt(0)
	v_mul_f64 v[180:181], v[11:12], v[165:166]
	v_mul_f64 v[165:166], v[13:14], v[165:166]
	s_waitcnt vmcnt(56)
	v_fma_f64 v[59:60], v[15:16], v[65:66], -v[59:60]
	ds_read_b128 v[1:4], v150 offset:1040
	v_fma_f64 v[53:54], v[17:18], v[65:66], v[53:54]
	v_add_f64 v[19:20], v[19:20], v[71:72]
	v_add_f64 v[21:22], v[21:22], v[51:52]
	s_clause 0x2
	buffer_load_dword v146, off, s[0:3], 0 offset:588
	buffer_load_dword v52, off, s[0:3], 0 offset:564
	;; [unrolled: 1-line block ×3, first 2 shown]
	ds_read_b128 v[15:18], v150 offset:1056
	s_waitcnt vmcnt(58) lgkmcnt(1)
	v_mul_f64 v[71:72], v[3:4], v[167:168]
	s_waitcnt vmcnt(56)
	v_fma_f64 v[165:166], v[11:12], v[172:173], -v[165:166]
	v_mul_f64 v[65:66], v[1:2], v[167:168]
	v_add_f64 v[19:20], v[19:20], v[59:60]
	v_fma_f64 v[59:60], v[13:14], v[172:173], v[180:181]
	v_add_f64 v[21:22], v[21:22], v[53:54]
	s_clause 0x4
	buffer_load_dword v54, off, s[0:3], 0 offset:604
	buffer_load_dword v167, off, s[0:3], 0 offset:616
	;; [unrolled: 1-line block ×5, first 2 shown]
	ds_read_b128 v[11:14], v150 offset:1072
	s_waitcnt vmcnt(57) lgkmcnt(1)
	v_mul_f64 v[172:173], v[15:16], v[163:164]
	v_mul_f64 v[163:164], v[17:18], v[163:164]
	s_waitcnt vmcnt(56)
	v_fma_f64 v[71:72], v[1:2], v[169:170], -v[71:72]
	v_fma_f64 v[65:66], v[3:4], v[169:170], v[65:66]
	v_add_f64 v[19:20], v[19:20], v[165:166]
	v_add_f64 v[21:22], v[21:22], v[59:60]
	s_clause 0x2
	buffer_load_dword v168, off, s[0:3], 0 offset:620
	buffer_load_dword v60, off, s[0:3], 0 offset:596
	;; [unrolled: 1-line block ×3, first 2 shown]
	ds_read_b128 v[1:4], v150 offset:1088
	s_waitcnt vmcnt(58) lgkmcnt(1)
	v_mul_f64 v[169:170], v[13:14], v[176:177]
	v_mul_f64 v[165:166], v[11:12], v[176:177]
	s_waitcnt vmcnt(56)
	v_fma_f64 v[163:164], v[15:16], v[157:158], -v[163:164]
	v_add_f64 v[19:20], v[19:20], v[71:72]
	v_fma_f64 v[71:72], v[17:18], v[157:158], v[172:173]
	v_add_f64 v[21:22], v[21:22], v[65:66]
	s_clause 0x4
	buffer_load_dword v66, off, s[0:3], 0 offset:636
	buffer_load_dword v157, off, s[0:3], 0 offset:648
	;; [unrolled: 1-line block ×5, first 2 shown]
	ds_read_b128 v[15:18], v150 offset:1104
	s_waitcnt vmcnt(57) lgkmcnt(1)
	v_mul_f64 v[180:181], v[1:2], v[33:34]
	v_mul_f64 v[33:34], v[3:4], v[33:34]
	s_waitcnt vmcnt(56)
	v_fma_f64 v[169:170], v[11:12], v[178:179], -v[169:170]
	v_add_f64 v[19:20], v[19:20], v[163:164]
	v_fma_f64 v[163:164], v[13:14], v[178:179], v[165:166]
	v_add_f64 v[21:22], v[21:22], v[71:72]
	s_clause 0x2
	buffer_load_dword v158, off, s[0:3], 0 offset:652
	buffer_load_dword v72, off, s[0:3], 0 offset:628
	;; [unrolled: 1-line block ×3, first 2 shown]
	ds_read_b128 v[11:14], v150 offset:1120
	s_waitcnt vmcnt(58) lgkmcnt(1)
	v_mul_f64 v[165:166], v[15:16], v[159:160]
	v_mul_f64 v[159:160], v[17:18], v[159:160]
	s_waitcnt vmcnt(56)
	v_fma_f64 v[33:34], v[1:2], v[25:26], -v[33:34]
	v_fma_f64 v[25:26], v[3:4], v[25:26], v[180:181]
	v_add_f64 v[19:20], v[19:20], v[169:170]
	v_add_f64 v[21:22], v[21:22], v[163:164]
	s_clause 0x4
	buffer_load_dword v164, off, s[0:3], 0 offset:668
	buffer_load_dword v169, off, s[0:3], 0 offset:680
	;; [unrolled: 1-line block ×5, first 2 shown]
	ds_read_b128 v[1:4], v150 offset:1136
	s_waitcnt vmcnt(57) lgkmcnt(1)
	v_mul_f64 v[178:179], v[11:12], v[151:152]
	v_mul_f64 v[151:152], v[13:14], v[151:152]
	s_waitcnt vmcnt(56)
	v_fma_f64 v[159:160], v[15:16], v[174:175], -v[159:160]
	v_add_f64 v[19:20], v[19:20], v[33:34]
	v_fma_f64 v[33:34], v[17:18], v[174:175], v[165:166]
	v_add_f64 v[21:22], v[21:22], v[25:26]
	s_clause 0x2
	buffer_load_dword v170, off, s[0:3], 0 offset:684
	buffer_load_dword v26, off, s[0:3], 0 offset:660
	;; [unrolled: 1-line block ×3, first 2 shown]
	ds_read_b128 v[15:18], v150 offset:1152
	s_waitcnt vmcnt(58) lgkmcnt(1)
	v_mul_f64 v[165:166], v[1:2], v[153:154]
	v_mul_f64 v[153:154], v[3:4], v[153:154]
	s_waitcnt vmcnt(56)
	v_fma_f64 v[151:152], v[11:12], v[27:28], -v[151:152]
	v_fma_f64 v[27:28], v[13:14], v[27:28], v[178:179]
	v_add_f64 v[19:20], v[19:20], v[159:160]
	v_add_f64 v[21:22], v[21:22], v[33:34]
	s_clause 0x4
	buffer_load_dword v34, off, s[0:3], 0 offset:700
	buffer_load_dword v159, off, s[0:3], 0 offset:712
	;; [unrolled: 1-line block ×5, first 2 shown]
	ds_read_b128 v[11:14], v150 offset:1168
	s_waitcnt vmcnt(57) lgkmcnt(1)
	v_mul_f64 v[179:180], v[15:16], v[23:24]
	v_mul_f64 v[23:24], v[17:18], v[23:24]
	s_waitcnt vmcnt(56)
	v_fma_f64 v[153:154], v[1:2], v[161:162], -v[153:154]
	v_add_f64 v[19:20], v[19:20], v[151:152]
	v_fma_f64 v[151:152], v[3:4], v[161:162], v[165:166]
	v_add_f64 v[21:22], v[21:22], v[27:28]
	s_clause 0x2
	buffer_load_dword v160, off, s[0:3], 0 offset:716
	buffer_load_dword v28, off, s[0:3], 0 offset:692
	;; [unrolled: 1-line block ×3, first 2 shown]
	ds_read_b128 v[1:4], v150 offset:1184
	s_waitcnt vmcnt(58) lgkmcnt(1)
	v_mul_f64 v[161:162], v[11:12], v[49:50]
	v_mul_f64 v[49:50], v[13:14], v[49:50]
	s_waitcnt vmcnt(56)
	v_fma_f64 v[23:24], v[15:16], v[35:36], -v[23:24]
	v_fma_f64 v[35:36], v[17:18], v[35:36], v[179:180]
	buffer_load_dword v179, off, s[0:3], 0 offset:708
	ds_read_b128 v[15:18], v150 offset:1200
	v_add_f64 v[19:20], v[19:20], v[153:154]
	v_add_f64 v[21:22], v[21:22], v[151:152]
	s_waitcnt vmcnt(53) lgkmcnt(1)
	v_mul_f64 v[151:152], v[1:2], v[31:32]
	v_mul_f64 v[31:32], v[3:4], v[31:32]
	s_waitcnt vmcnt(52)
	v_fma_f64 v[49:50], v[11:12], v[155:156], -v[49:50]
	v_add_f64 v[19:20], v[19:20], v[23:24]
	v_fma_f64 v[23:24], v[13:14], v[155:156], v[161:162]
	v_add_f64 v[21:22], v[21:22], v[35:36]
	s_waitcnt vmcnt(51) lgkmcnt(0)
	v_mul_f64 v[35:36], v[15:16], v[55:56]
	v_mul_f64 v[55:56], v[17:18], v[55:56]
	ds_read_b128 v[11:14], v150 offset:1216
	s_waitcnt vmcnt(49)
	v_fma_f64 v[31:32], v[1:2], v[45:46], -v[31:32]
	v_fma_f64 v[45:46], v[3:4], v[45:46], v[151:152]
	v_add_f64 v[19:20], v[19:20], v[49:50]
	v_add_f64 v[21:22], v[21:22], v[23:24]
	s_clause 0x3
	buffer_load_dword v23, off, s[0:3], 0 offset:80
	buffer_load_dword v24, off, s[0:3], 0 offset:84
	;; [unrolled: 1-line block ×4, first 2 shown]
	ds_read_b128 v[1:4], v150 offset:1232
	s_waitcnt vmcnt(49) lgkmcnt(1)
	v_mul_f64 v[151:152], v[11:12], v[37:38]
	v_mul_f64 v[37:38], v[13:14], v[37:38]
	s_waitcnt vmcnt(48)
	v_fma_f64 v[55:56], v[15:16], v[57:58], -v[55:56]
	v_add_f64 v[19:20], v[19:20], v[31:32]
	v_fma_f64 v[31:32], v[17:18], v[57:58], v[35:36]
	v_add_f64 v[21:22], v[21:22], v[45:46]
	ds_read_b128 v[15:18], v150 offset:1248
	s_waitcnt vmcnt(47) lgkmcnt(1)
	v_mul_f64 v[45:46], v[3:4], v[67:68]
	v_mul_f64 v[35:36], v[1:2], v[67:68]
	s_waitcnt vmcnt(45)
	v_fma_f64 v[37:38], v[11:12], v[39:40], -v[37:38]
	v_fma_f64 v[39:40], v[13:14], v[39:40], v[151:152]
	ds_read_b128 v[11:14], v150 offset:1264
	v_add_f64 v[19:20], v[19:20], v[55:56]
	v_add_f64 v[21:22], v[21:22], v[31:32]
	s_waitcnt vmcnt(41) lgkmcnt(1)
	v_mul_f64 v[31:32], v[15:16], v[47:48]
	v_mul_f64 v[47:48], v[17:18], v[47:48]
	s_waitcnt vmcnt(40)
	v_fma_f64 v[45:46], v[1:2], v[69:70], -v[45:46]
	v_fma_f64 v[35:36], v[3:4], v[69:70], v[35:36]
	ds_read_b128 v[1:4], v150 offset:1280
	v_add_f64 v[19:20], v[19:20], v[37:38]
	v_add_f64 v[21:22], v[21:22], v[39:40]
	;; [unrolled: 9-line block ×3, first 2 shown]
	s_waitcnt vmcnt(33) lgkmcnt(1)
	v_mul_f64 v[45:46], v[3:4], v[53:54]
	s_waitcnt vmcnt(32)
	v_fma_f64 v[39:40], v[11:12], v[147:148], -v[39:40]
	v_mul_f64 v[35:36], v[1:2], v[53:54]
	v_fma_f64 v[37:38], v[13:14], v[147:148], v[37:38]
	ds_read_b128 v[11:14], v150 offset:1312
	v_add_f64 v[19:20], v[19:20], v[47:48]
	v_add_f64 v[21:22], v[21:22], v[31:32]
	s_waitcnt vmcnt(31) lgkmcnt(1)
	v_mul_f64 v[47:48], v[17:18], v[167:168]
	v_mul_f64 v[31:32], v[15:16], v[167:168]
	s_waitcnt vmcnt(29)
	v_fma_f64 v[45:46], v[1:2], v[59:60], -v[45:46]
	v_fma_f64 v[35:36], v[3:4], v[59:60], v[35:36]
	ds_read_b128 v[1:4], v150 offset:1328
	v_add_f64 v[19:20], v[19:20], v[39:40]
	v_add_f64 v[21:22], v[21:22], v[37:38]
	s_waitcnt vmcnt(25) lgkmcnt(1)
	v_mul_f64 v[39:40], v[13:14], v[65:66]
	s_waitcnt vmcnt(24)
	v_fma_f64 v[47:48], v[15:16], v[171:172], -v[47:48]
	v_mul_f64 v[37:38], v[11:12], v[65:66]
	v_fma_f64 v[31:32], v[17:18], v[171:172], v[31:32]
	ds_read_b128 v[15:18], v150 offset:1344
	v_add_f64 v[19:20], v[19:20], v[45:46]
	v_add_f64 v[21:22], v[21:22], v[35:36]
	s_waitcnt vmcnt(23) lgkmcnt(1)
	v_mul_f64 v[45:46], v[3:4], v[157:158]
	v_mul_f64 v[35:36], v[1:2], v[157:158]
	s_waitcnt vmcnt(21)
	v_fma_f64 v[39:40], v[11:12], v[71:72], -v[39:40]
	v_fma_f64 v[37:38], v[13:14], v[71:72], v[37:38]
	ds_read_b128 v[11:14], v150 offset:1360
	v_add_f64 v[19:20], v[19:20], v[47:48]
	v_add_f64 v[21:22], v[21:22], v[31:32]
	;; [unrolled: 18-line block ×3, first 2 shown]
	s_waitcnt vmcnt(9) lgkmcnt(1)
	v_mul_f64 v[31:32], v[1:2], v[33:34]
	v_mul_f64 v[33:34], v[3:4], v[33:34]
	s_waitcnt vmcnt(8)
	v_fma_f64 v[11:12], v[11:12], v[173:174], -v[39:40]
	v_fma_f64 v[13:14], v[13:14], v[173:174], v[37:38]
	v_add_f64 v[19:20], v[19:20], v[47:48]
	v_add_f64 v[21:22], v[21:22], v[25:26]
	s_waitcnt vmcnt(7) lgkmcnt(0)
	v_mul_f64 v[35:36], v[17:18], v[159:160]
	v_mul_f64 v[25:26], v[15:16], v[159:160]
	s_waitcnt vmcnt(5)
	v_fma_f64 v[1:2], v[1:2], v[27:28], -v[33:34]
	v_fma_f64 v[3:4], v[3:4], v[27:28], v[31:32]
	v_add_f64 v[11:12], v[19:20], v[11:12]
	v_add_f64 v[13:14], v[21:22], v[13:14]
	s_waitcnt vmcnt(4)
	v_fma_f64 v[15:16], v[15:16], v[178:179], -v[35:36]
	v_add_f64 v[1:2], v[11:12], v[1:2]
	v_fma_f64 v[11:12], v[17:18], v[178:179], v[25:26]
	v_add_f64 v[3:4], v[13:14], v[3:4]
	v_add_f64 v[1:2], v[1:2], v[15:16]
	;; [unrolled: 1-line block ×3, first 2 shown]
	s_waitcnt vmcnt(2)
	v_add_f64 v[1:2], v[23:24], -v[1:2]
	s_waitcnt vmcnt(0)
	v_add_f64 v[3:4], v[49:50], -v[3:4]
	buffer_store_dword v2, off, s[0:3], 0 offset:84
	buffer_store_dword v1, off, s[0:3], 0 offset:80
	;; [unrolled: 1-line block ×4, first 2 shown]
	v_cmpx_lt_u32_e32 3, v0
	s_cbranch_execz .LBB43_271
; %bb.270:
	v_mov_b32_e32 v4, s53
	s_clause 0x3
	buffer_load_dword v1, v4, s[0:3], 0 offen
	buffer_load_dword v2, v4, s[0:3], 0 offen offset:4
	buffer_load_dword v3, v4, s[0:3], 0 offen offset:8
	buffer_load_dword v4, v4, s[0:3], 0 offen offset:12
	buffer_store_dword v150, off, s[0:3], 0 offset:64
	buffer_store_dword v150, off, s[0:3], 0 offset:68
	;; [unrolled: 1-line block ×4, first 2 shown]
	s_waitcnt vmcnt(0)
	ds_write_b128 v149, v[1:4]
.LBB43_271:
	s_or_b32 exec_lo, exec_lo, s4
	s_waitcnt lgkmcnt(0)
	s_waitcnt_vscnt null, 0x0
	s_barrier
	buffer_gl0_inv
	s_clause 0x37
	buffer_load_dword v15, off, s[0:3], 0 offset:88
	buffer_load_dword v16, off, s[0:3], 0 offset:92
	;; [unrolled: 1-line block ×56, first 2 shown]
	ds_read_b128 v[151:154], v150 offset:768
	s_clause 0x2
	buffer_load_dword v146, off, s[0:3], 0 offset:316
	buffer_load_dword v148, off, s[0:3], 0 offset:292
	buffer_load_dword v147, off, s[0:3], 0 offset:288
	ds_read_b128 v[155:158], v150 offset:784
	s_clause 0x4
	buffer_load_dword v166, off, s[0:3], 0 offset:332
	buffer_load_dword v167, off, s[0:3], 0 offset:344
	;; [unrolled: 1-line block ×5, first 2 shown]
	ds_read_b128 v[159:162], v150 offset:800
	s_clause 0x2
	buffer_load_dword v168, off, s[0:3], 0 offset:348
	buffer_load_dword v173, off, s[0:3], 0 offset:324
	;; [unrolled: 1-line block ×3, first 2 shown]
	s_mov_b32 s4, exec_lo
	s_waitcnt vmcnt(62) lgkmcnt(2)
	v_mul_f64 v[163:164], v[153:154], v[15:16]
	v_mul_f64 v[15:16], v[151:152], v[15:16]
	s_waitcnt lgkmcnt(1)
	v_mul_f64 v[170:171], v[157:158], v[11:12]
	s_waitcnt vmcnt(59) lgkmcnt(0)
	v_mul_f64 v[174:175], v[161:162], v[3:4]
	v_fma_f64 v[151:152], v[151:152], v[13:14], -v[163:164]
	v_mul_f64 v[163:164], v[155:156], v[11:12]
	v_fma_f64 v[15:16], v[153:154], v[13:14], v[15:16]
	s_waitcnt vmcnt(57)
	v_fma_f64 v[155:156], v[155:156], v[1:2], -v[170:171]
	ds_read_b128 v[11:14], v150 offset:816
	v_mul_f64 v[153:154], v[159:160], v[3:4]
	s_waitcnt vmcnt(51)
	v_fma_f64 v[159:160], v[159:160], v[33:34], -v[174:175]
	v_add_f64 v[151:152], v[151:152], 0
	v_fma_f64 v[157:158], v[157:158], v[1:2], v[163:164]
	v_add_f64 v[15:16], v[15:16], 0
	s_clause 0x4
	buffer_load_dword v164, off, s[0:3], 0 offset:364
	buffer_load_dword v176, off, s[0:3], 0 offset:376
	;; [unrolled: 1-line block ×5, first 2 shown]
	s_waitcnt lgkmcnt(0)
	v_mul_f64 v[179:180], v[11:12], v[19:20]
	v_mul_f64 v[19:20], v[13:14], v[19:20]
	ds_read_b128 v[1:4], v150 offset:832
	v_fma_f64 v[33:34], v[161:162], v[33:34], v[153:154]
	v_add_f64 v[155:156], v[151:152], v[155:156]
	v_add_f64 v[15:16], v[15:16], v[157:158]
	s_clause 0x2
	buffer_load_dword v177, off, s[0:3], 0 offset:380
	buffer_load_dword v158, off, s[0:3], 0 offset:356
	;; [unrolled: 1-line block ×3, first 2 shown]
	s_waitcnt vmcnt(58) lgkmcnt(0)
	v_mul_f64 v[161:162], v[1:2], v[23:24]
	v_mul_f64 v[23:24], v[3:4], v[23:24]
	s_waitcnt vmcnt(56)
	v_fma_f64 v[19:20], v[11:12], v[25:26], -v[19:20]
	ds_read_b128 v[151:154], v150 offset:848
	v_fma_f64 v[25:26], v[13:14], v[25:26], v[179:180]
	v_add_f64 v[155:156], v[155:156], v[159:160]
	v_add_f64 v[15:16], v[15:16], v[33:34]
	s_clause 0x4
	buffer_load_dword v34, off, s[0:3], 0 offset:396
	buffer_load_dword v159, off, s[0:3], 0 offset:408
	;; [unrolled: 1-line block ×5, first 2 shown]
	ds_read_b128 v[11:14], v150 offset:864
	s_waitcnt vmcnt(57) lgkmcnt(1)
	v_mul_f64 v[180:181], v[151:152], v[27:28]
	v_mul_f64 v[27:28], v[153:154], v[27:28]
	s_waitcnt vmcnt(56)
	v_fma_f64 v[23:24], v[1:2], v[17:18], -v[23:24]
	v_fma_f64 v[17:18], v[3:4], v[17:18], v[161:162]
	v_add_f64 v[19:20], v[155:156], v[19:20]
	v_add_f64 v[15:16], v[15:16], v[25:26]
	s_clause 0x2
	buffer_load_dword v160, off, s[0:3], 0 offset:412
	buffer_load_dword v26, off, s[0:3], 0 offset:388
	;; [unrolled: 1-line block ×3, first 2 shown]
	s_waitcnt vmcnt(58) lgkmcnt(0)
	v_mul_f64 v[155:156], v[11:12], v[35:36]
	v_mul_f64 v[35:36], v[13:14], v[35:36]
	s_waitcnt vmcnt(56)
	v_fma_f64 v[27:28], v[151:152], v[37:38], -v[27:28]
	ds_read_b128 v[1:4], v150 offset:880
	v_add_f64 v[19:20], v[19:20], v[23:24]
	v_fma_f64 v[23:24], v[153:154], v[37:38], v[180:181]
	v_add_f64 v[37:38], v[15:16], v[17:18]
	s_clause 0x4
	buffer_load_dword v152, off, s[0:3], 0 offset:428
	buffer_load_dword v153, off, s[0:3], 0 offset:440
	;; [unrolled: 1-line block ×5, first 2 shown]
	ds_read_b128 v[15:18], v150 offset:896
	s_waitcnt vmcnt(57) lgkmcnt(1)
	v_mul_f64 v[180:181], v[1:2], v[39:40]
	v_mul_f64 v[39:40], v[3:4], v[39:40]
	s_waitcnt vmcnt(56)
	v_fma_f64 v[35:36], v[11:12], v[21:22], -v[35:36]
	v_fma_f64 v[21:22], v[13:14], v[21:22], v[155:156]
	v_add_f64 v[19:20], v[19:20], v[27:28]
	s_clause 0x2
	buffer_load_dword v154, off, s[0:3], 0 offset:444
	buffer_load_dword v28, off, s[0:3], 0 offset:420
	;; [unrolled: 1-line block ×3, first 2 shown]
	v_add_f64 v[23:24], v[37:38], v[23:24]
	s_waitcnt vmcnt(58) lgkmcnt(0)
	v_mul_f64 v[37:38], v[15:16], v[47:48]
	v_mul_f64 v[47:48], v[17:18], v[47:48]
	ds_read_b128 v[11:14], v150 offset:912
	s_waitcnt vmcnt(56)
	v_fma_f64 v[39:40], v[1:2], v[49:50], -v[39:40]
	v_add_f64 v[19:20], v[19:20], v[35:36]
	v_fma_f64 v[35:36], v[3:4], v[49:50], v[180:181]
	v_add_f64 v[21:22], v[23:24], v[21:22]
	s_clause 0x4
	buffer_load_dword v24, off, s[0:3], 0 offset:460
	buffer_load_dword v49, off, s[0:3], 0 offset:472
	;; [unrolled: 1-line block ×5, first 2 shown]
	s_waitcnt vmcnt(57) lgkmcnt(0)
	v_mul_f64 v[180:181], v[11:12], v[51:52]
	v_mul_f64 v[51:52], v[13:14], v[51:52]
	s_waitcnt vmcnt(56)
	v_fma_f64 v[47:48], v[15:16], v[31:32], -v[47:48]
	ds_read_b128 v[1:4], v150 offset:928
	v_fma_f64 v[31:32], v[17:18], v[31:32], v[37:38]
	v_add_f64 v[19:20], v[19:20], v[39:40]
	v_add_f64 v[21:22], v[21:22], v[35:36]
	s_clause 0x2
	buffer_load_dword v50, off, s[0:3], 0 offset:476
	buffer_load_dword v36, off, s[0:3], 0 offset:452
	;; [unrolled: 1-line block ×3, first 2 shown]
	ds_read_b128 v[15:18], v150 offset:944
	s_waitcnt vmcnt(58) lgkmcnt(1)
	v_mul_f64 v[39:40], v[3:4], v[55:56]
	s_waitcnt vmcnt(56)
	v_fma_f64 v[51:52], v[11:12], v[57:58], -v[51:52]
	v_mul_f64 v[37:38], v[1:2], v[55:56]
	v_add_f64 v[19:20], v[19:20], v[47:48]
	v_fma_f64 v[47:48], v[13:14], v[57:58], v[180:181]
	v_add_f64 v[21:22], v[21:22], v[31:32]
	s_clause 0x4
	buffer_load_dword v32, off, s[0:3], 0 offset:492
	buffer_load_dword v55, off, s[0:3], 0 offset:504
	;; [unrolled: 1-line block ×5, first 2 shown]
	s_waitcnt vmcnt(57) lgkmcnt(0)
	v_mul_f64 v[180:181], v[15:16], v[59:60]
	v_mul_f64 v[58:59], v[17:18], v[59:60]
	s_waitcnt vmcnt(56)
	v_fma_f64 v[39:40], v[1:2], v[45:46], -v[39:40]
	ds_read_b128 v[11:14], v150 offset:960
	v_fma_f64 v[37:38], v[3:4], v[45:46], v[37:38]
	s_clause 0x2
	buffer_load_dword v56, off, s[0:3], 0 offset:508
	buffer_load_dword v46, off, s[0:3], 0 offset:484
	;; [unrolled: 1-line block ×3, first 2 shown]
	ds_read_b128 v[1:4], v150 offset:976
	v_add_f64 v[19:20], v[19:20], v[51:52]
	v_add_f64 v[21:22], v[21:22], v[47:48]
	s_waitcnt vmcnt(58) lgkmcnt(1)
	v_mul_f64 v[51:52], v[13:14], v[67:68]
	s_waitcnt vmcnt(56)
	v_fma_f64 v[59:60], v[15:16], v[69:70], -v[58:59]
	v_mul_f64 v[47:48], v[11:12], v[67:68]
	v_add_f64 v[19:20], v[19:20], v[39:40]
	v_fma_f64 v[39:40], v[17:18], v[69:70], v[180:181]
	v_add_f64 v[21:22], v[21:22], v[37:38]
	s_clause 0x4
	buffer_load_dword v38, off, s[0:3], 0 offset:524
	buffer_load_dword v67, off, s[0:3], 0 offset:536
	buffer_load_dword v69, off, s[0:3], 0 offset:528
	buffer_load_dword v37, off, s[0:3], 0 offset:520
	buffer_load_dword v58, off, s[0:3], 0 offset:500
	s_waitcnt vmcnt(57) lgkmcnt(0)
	v_mul_f64 v[180:181], v[1:2], v[71:72]
	v_mul_f64 v[70:71], v[3:4], v[71:72]
	s_waitcnt vmcnt(56)
	v_fma_f64 v[51:52], v[11:12], v[53:54], -v[51:52]
	ds_read_b128 v[15:18], v150 offset:992
	v_fma_f64 v[47:48], v[13:14], v[53:54], v[47:48]
	v_add_f64 v[19:20], v[19:20], v[59:60]
	v_add_f64 v[21:22], v[21:22], v[39:40]
	s_clause 0x2
	buffer_load_dword v68, off, s[0:3], 0 offset:540
	buffer_load_dword v40, off, s[0:3], 0 offset:516
	;; [unrolled: 1-line block ×3, first 2 shown]
	ds_read_b128 v[11:14], v150 offset:1008
	s_waitcnt vmcnt(58) lgkmcnt(1)
	v_mul_f64 v[59:60], v[17:18], v[145:146]
	s_waitcnt vmcnt(56)
	v_fma_f64 v[71:72], v[1:2], v[147:148], -v[70:71]
	v_mul_f64 v[53:54], v[15:16], v[145:146]
	v_add_f64 v[19:20], v[19:20], v[51:52]
	v_fma_f64 v[51:52], v[3:4], v[147:148], v[180:181]
	v_add_f64 v[21:22], v[21:22], v[47:48]
	s_clause 0x4
	buffer_load_dword v48, off, s[0:3], 0 offset:556
	buffer_load_dword v145, off, s[0:3], 0 offset:568
	;; [unrolled: 1-line block ×5, first 2 shown]
	s_waitcnt vmcnt(57) lgkmcnt(0)
	v_mul_f64 v[180:181], v[11:12], v[165:166]
	v_mul_f64 v[165:166], v[13:14], v[165:166]
	s_waitcnt vmcnt(56)
	v_fma_f64 v[59:60], v[15:16], v[65:66], -v[59:60]
	ds_read_b128 v[1:4], v150 offset:1024
	v_fma_f64 v[53:54], v[17:18], v[65:66], v[53:54]
	v_add_f64 v[19:20], v[19:20], v[71:72]
	v_add_f64 v[21:22], v[21:22], v[51:52]
	s_clause 0x2
	buffer_load_dword v146, off, s[0:3], 0 offset:572
	buffer_load_dword v52, off, s[0:3], 0 offset:548
	;; [unrolled: 1-line block ×3, first 2 shown]
	ds_read_b128 v[15:18], v150 offset:1040
	s_waitcnt vmcnt(58) lgkmcnt(1)
	v_mul_f64 v[71:72], v[3:4], v[167:168]
	s_waitcnt vmcnt(56)
	v_fma_f64 v[165:166], v[11:12], v[172:173], -v[165:166]
	v_mul_f64 v[65:66], v[1:2], v[167:168]
	v_add_f64 v[19:20], v[19:20], v[59:60]
	v_fma_f64 v[59:60], v[13:14], v[172:173], v[180:181]
	v_add_f64 v[21:22], v[21:22], v[53:54]
	s_clause 0x4
	buffer_load_dword v54, off, s[0:3], 0 offset:588
	buffer_load_dword v167, off, s[0:3], 0 offset:600
	;; [unrolled: 1-line block ×5, first 2 shown]
	ds_read_b128 v[11:14], v150 offset:1056
	s_waitcnt vmcnt(57) lgkmcnt(1)
	v_mul_f64 v[172:173], v[15:16], v[163:164]
	v_mul_f64 v[163:164], v[17:18], v[163:164]
	s_waitcnt vmcnt(56)
	v_fma_f64 v[71:72], v[1:2], v[169:170], -v[71:72]
	v_fma_f64 v[65:66], v[3:4], v[169:170], v[65:66]
	v_add_f64 v[19:20], v[19:20], v[165:166]
	v_add_f64 v[21:22], v[21:22], v[59:60]
	s_clause 0x2
	buffer_load_dword v168, off, s[0:3], 0 offset:604
	buffer_load_dword v60, off, s[0:3], 0 offset:580
	;; [unrolled: 1-line block ×3, first 2 shown]
	ds_read_b128 v[1:4], v150 offset:1072
	s_waitcnt vmcnt(58) lgkmcnt(1)
	v_mul_f64 v[169:170], v[13:14], v[176:177]
	v_mul_f64 v[165:166], v[11:12], v[176:177]
	s_waitcnt vmcnt(56)
	v_fma_f64 v[163:164], v[15:16], v[157:158], -v[163:164]
	v_add_f64 v[19:20], v[19:20], v[71:72]
	v_fma_f64 v[71:72], v[17:18], v[157:158], v[172:173]
	v_add_f64 v[21:22], v[21:22], v[65:66]
	s_clause 0x4
	buffer_load_dword v66, off, s[0:3], 0 offset:620
	buffer_load_dword v157, off, s[0:3], 0 offset:632
	buffer_load_dword v176, off, s[0:3], 0 offset:624
	buffer_load_dword v65, off, s[0:3], 0 offset:616
	buffer_load_dword v172, off, s[0:3], 0 offset:596
	ds_read_b128 v[15:18], v150 offset:1088
	s_waitcnt vmcnt(57) lgkmcnt(1)
	v_mul_f64 v[180:181], v[1:2], v[33:34]
	v_mul_f64 v[33:34], v[3:4], v[33:34]
	s_waitcnt vmcnt(56)
	v_fma_f64 v[169:170], v[11:12], v[178:179], -v[169:170]
	v_add_f64 v[19:20], v[19:20], v[163:164]
	v_fma_f64 v[163:164], v[13:14], v[178:179], v[165:166]
	v_add_f64 v[21:22], v[21:22], v[71:72]
	s_clause 0x2
	buffer_load_dword v158, off, s[0:3], 0 offset:636
	buffer_load_dword v72, off, s[0:3], 0 offset:612
	buffer_load_dword v71, off, s[0:3], 0 offset:608
	ds_read_b128 v[11:14], v150 offset:1104
	s_waitcnt vmcnt(58) lgkmcnt(1)
	v_mul_f64 v[165:166], v[15:16], v[159:160]
	v_mul_f64 v[159:160], v[17:18], v[159:160]
	s_waitcnt vmcnt(56)
	v_fma_f64 v[33:34], v[1:2], v[25:26], -v[33:34]
	v_fma_f64 v[25:26], v[3:4], v[25:26], v[180:181]
	v_add_f64 v[19:20], v[19:20], v[169:170]
	v_add_f64 v[21:22], v[21:22], v[163:164]
	s_clause 0x4
	buffer_load_dword v164, off, s[0:3], 0 offset:652
	buffer_load_dword v169, off, s[0:3], 0 offset:664
	buffer_load_dword v173, off, s[0:3], 0 offset:656
	buffer_load_dword v163, off, s[0:3], 0 offset:648
	buffer_load_dword v177, off, s[0:3], 0 offset:628
	ds_read_b128 v[1:4], v150 offset:1120
	s_waitcnt vmcnt(57) lgkmcnt(1)
	v_mul_f64 v[178:179], v[11:12], v[151:152]
	v_mul_f64 v[151:152], v[13:14], v[151:152]
	s_waitcnt vmcnt(56)
	v_fma_f64 v[159:160], v[15:16], v[174:175], -v[159:160]
	v_add_f64 v[19:20], v[19:20], v[33:34]
	v_fma_f64 v[33:34], v[17:18], v[174:175], v[165:166]
	v_add_f64 v[21:22], v[21:22], v[25:26]
	s_clause 0x2
	buffer_load_dword v170, off, s[0:3], 0 offset:668
	buffer_load_dword v26, off, s[0:3], 0 offset:644
	buffer_load_dword v25, off, s[0:3], 0 offset:640
	ds_read_b128 v[15:18], v150 offset:1136
	s_waitcnt vmcnt(58) lgkmcnt(1)
	v_mul_f64 v[165:166], v[1:2], v[153:154]
	v_mul_f64 v[153:154], v[3:4], v[153:154]
	s_waitcnt vmcnt(56)
	v_fma_f64 v[151:152], v[11:12], v[27:28], -v[151:152]
	v_fma_f64 v[27:28], v[13:14], v[27:28], v[178:179]
	v_add_f64 v[19:20], v[19:20], v[159:160]
	;; [unrolled: 28-line block ×3, first 2 shown]
	v_add_f64 v[21:22], v[21:22], v[151:152]
	s_clause 0x2
	buffer_load_dword v152, off, s[0:3], 0 offset:716
	buffer_load_dword v151, off, s[0:3], 0 offset:712
	;; [unrolled: 1-line block ×3, first 2 shown]
	ds_read_b128 v[15:18], v150 offset:1184
	s_waitcnt vmcnt(55) lgkmcnt(1)
	v_mul_f64 v[153:154], v[1:2], v[31:32]
	v_mul_f64 v[31:32], v[3:4], v[31:32]
	s_waitcnt vmcnt(54)
	v_fma_f64 v[49:50], v[11:12], v[155:156], -v[49:50]
	v_add_f64 v[19:20], v[19:20], v[23:24]
	v_fma_f64 v[23:24], v[13:14], v[155:156], v[161:162]
	v_add_f64 v[21:22], v[21:22], v[35:36]
	s_clause 0x1
	buffer_load_dword v36, off, s[0:3], 0 offset:708
	buffer_load_dword v35, off, s[0:3], 0 offset:704
	s_waitcnt vmcnt(55) lgkmcnt(0)
	v_mul_f64 v[155:156], v[15:16], v[55:56]
	v_mul_f64 v[55:56], v[17:18], v[55:56]
	ds_read_b128 v[11:14], v150 offset:1200
	s_waitcnt vmcnt(53)
	v_fma_f64 v[31:32], v[1:2], v[45:46], -v[31:32]
	v_fma_f64 v[45:46], v[3:4], v[45:46], v[153:154]
	ds_read_b128 v[1:4], v150 offset:1216
	v_add_f64 v[19:20], v[19:20], v[49:50]
	v_add_f64 v[21:22], v[21:22], v[23:24]
	s_waitcnt vmcnt(49) lgkmcnt(1)
	v_mul_f64 v[23:24], v[11:12], v[37:38]
	v_mul_f64 v[37:38], v[13:14], v[37:38]
	s_waitcnt vmcnt(48)
	v_fma_f64 v[49:50], v[15:16], v[57:58], -v[55:56]
	v_add_f64 v[19:20], v[19:20], v[31:32]
	v_fma_f64 v[31:32], v[17:18], v[57:58], v[155:156]
	v_add_f64 v[21:22], v[21:22], v[45:46]
	s_clause 0x3
	buffer_load_dword v45, off, s[0:3], 0 offset:64
	buffer_load_dword v46, off, s[0:3], 0 offset:68
	;; [unrolled: 1-line block ×4, first 2 shown]
	ds_read_b128 v[15:18], v150 offset:1232
	s_waitcnt vmcnt(51) lgkmcnt(1)
	v_mul_f64 v[57:58], v[1:2], v[67:68]
	v_mul_f64 v[67:68], v[3:4], v[67:68]
	s_waitcnt vmcnt(49)
	v_fma_f64 v[37:38], v[11:12], v[39:40], -v[37:38]
	v_fma_f64 v[23:24], v[13:14], v[39:40], v[23:24]
	ds_read_b128 v[11:14], v150 offset:1248
	v_add_f64 v[19:20], v[19:20], v[49:50]
	v_add_f64 v[21:22], v[21:22], v[31:32]
	s_waitcnt vmcnt(45) lgkmcnt(1)
	v_mul_f64 v[31:32], v[15:16], v[47:48]
	v_mul_f64 v[39:40], v[17:18], v[47:48]
	s_waitcnt vmcnt(44)
	v_fma_f64 v[47:48], v[1:2], v[69:70], -v[67:68]
	v_add_f64 v[19:20], v[19:20], v[37:38]
	v_fma_f64 v[37:38], v[3:4], v[69:70], v[57:58]
	v_add_f64 v[21:22], v[21:22], v[23:24]
	ds_read_b128 v[1:4], v150 offset:1264
	s_waitcnt vmcnt(43) lgkmcnt(1)
	v_mul_f64 v[49:50], v[13:14], v[145:146]
	v_mul_f64 v[23:24], v[11:12], v[145:146]
	s_waitcnt vmcnt(41)
	v_fma_f64 v[39:40], v[15:16], v[51:52], -v[39:40]
	v_fma_f64 v[31:32], v[17:18], v[51:52], v[31:32]
	ds_read_b128 v[15:18], v150 offset:1280
	v_add_f64 v[19:20], v[19:20], v[47:48]
	v_add_f64 v[21:22], v[21:22], v[37:38]
	s_waitcnt vmcnt(37) lgkmcnt(1)
	v_mul_f64 v[47:48], v[3:4], v[53:54]
	s_waitcnt vmcnt(36)
	v_fma_f64 v[49:50], v[11:12], v[147:148], -v[49:50]
	v_mul_f64 v[37:38], v[1:2], v[53:54]
	v_fma_f64 v[23:24], v[13:14], v[147:148], v[23:24]
	ds_read_b128 v[11:14], v150 offset:1296
	v_add_f64 v[19:20], v[19:20], v[39:40]
	v_add_f64 v[21:22], v[21:22], v[31:32]
	s_waitcnt vmcnt(35) lgkmcnt(1)
	v_mul_f64 v[39:40], v[17:18], v[167:168]
	v_mul_f64 v[31:32], v[15:16], v[167:168]
	s_waitcnt vmcnt(33)
	v_fma_f64 v[47:48], v[1:2], v[59:60], -v[47:48]
	v_fma_f64 v[37:38], v[3:4], v[59:60], v[37:38]
	ds_read_b128 v[1:4], v150 offset:1312
	v_add_f64 v[19:20], v[19:20], v[49:50]
	v_add_f64 v[21:22], v[21:22], v[23:24]
	s_waitcnt vmcnt(29) lgkmcnt(1)
	v_mul_f64 v[49:50], v[13:14], v[65:66]
	s_waitcnt vmcnt(28)
	v_fma_f64 v[39:40], v[15:16], v[171:172], -v[39:40]
	v_mul_f64 v[23:24], v[11:12], v[65:66]
	v_fma_f64 v[31:32], v[17:18], v[171:172], v[31:32]
	ds_read_b128 v[15:18], v150 offset:1328
	v_add_f64 v[19:20], v[19:20], v[47:48]
	v_add_f64 v[21:22], v[21:22], v[37:38]
	;; [unrolled: 18-line block ×3, first 2 shown]
	s_waitcnt vmcnt(19) lgkmcnt(1)
	v_mul_f64 v[49:50], v[13:14], v[169:170]
	v_mul_f64 v[23:24], v[11:12], v[169:170]
	s_waitcnt vmcnt(17)
	v_fma_f64 v[39:40], v[15:16], v[25:26], -v[39:40]
	v_fma_f64 v[25:26], v[17:18], v[25:26], v[31:32]
	ds_read_b128 v[15:18], v150 offset:1376
	v_add_f64 v[19:20], v[19:20], v[47:48]
	v_add_f64 v[21:22], v[21:22], v[37:38]
	s_waitcnt vmcnt(13) lgkmcnt(1)
	v_mul_f64 v[31:32], v[1:2], v[33:34]
	v_mul_f64 v[33:34], v[3:4], v[33:34]
	s_waitcnt vmcnt(12)
	v_fma_f64 v[37:38], v[11:12], v[173:174], -v[49:50]
	v_fma_f64 v[23:24], v[13:14], v[173:174], v[23:24]
	ds_read_b128 v[11:14], v150 offset:1392
	v_add_f64 v[19:20], v[19:20], v[39:40]
	v_add_f64 v[21:22], v[21:22], v[25:26]
	s_waitcnt vmcnt(11) lgkmcnt(1)
	v_mul_f64 v[39:40], v[17:18], v[159:160]
	v_mul_f64 v[25:26], v[15:16], v[159:160]
	s_waitcnt vmcnt(9)
	v_fma_f64 v[1:2], v[1:2], v[27:28], -v[33:34]
	v_fma_f64 v[3:4], v[3:4], v[27:28], v[31:32]
	v_add_f64 v[19:20], v[19:20], v[37:38]
	v_add_f64 v[21:22], v[21:22], v[23:24]
	s_waitcnt vmcnt(7) lgkmcnt(0)
	v_mul_f64 v[27:28], v[13:14], v[151:152]
	s_waitcnt vmcnt(6)
	v_fma_f64 v[15:16], v[15:16], v[178:179], -v[39:40]
	v_mul_f64 v[23:24], v[11:12], v[151:152]
	v_fma_f64 v[17:18], v[17:18], v[178:179], v[25:26]
	v_add_f64 v[1:2], v[19:20], v[1:2]
	v_add_f64 v[3:4], v[21:22], v[3:4]
	s_waitcnt vmcnt(4)
	v_fma_f64 v[11:12], v[11:12], v[35:36], -v[27:28]
	v_fma_f64 v[13:14], v[13:14], v[35:36], v[23:24]
	v_add_f64 v[1:2], v[1:2], v[15:16]
	v_add_f64 v[3:4], v[3:4], v[17:18]
	v_add_f64 v[1:2], v[1:2], v[11:12]
	v_add_f64 v[3:4], v[3:4], v[13:14]
	s_waitcnt vmcnt(2)
	v_add_f64 v[1:2], v[45:46], -v[1:2]
	s_waitcnt vmcnt(0)
	v_add_f64 v[3:4], v[55:56], -v[3:4]
	buffer_store_dword v2, off, s[0:3], 0 offset:68
	buffer_store_dword v1, off, s[0:3], 0 offset:64
	;; [unrolled: 1-line block ×4, first 2 shown]
	v_cmpx_lt_u32_e32 2, v0
	s_cbranch_execz .LBB43_273
; %bb.272:
	v_mov_b32_e32 v4, s54
	v_mov_b32_e32 v11, 0
	s_clause 0x3
	buffer_load_dword v1, v4, s[0:3], 0 offen
	buffer_load_dword v2, v4, s[0:3], 0 offen offset:4
	buffer_load_dword v3, v4, s[0:3], 0 offen offset:8
	;; [unrolled: 1-line block ×3, first 2 shown]
	buffer_store_dword v11, off, s[0:3], 0 offset:48
	buffer_store_dword v11, off, s[0:3], 0 offset:52
	buffer_store_dword v11, off, s[0:3], 0 offset:56
	buffer_store_dword v11, off, s[0:3], 0 offset:60
	s_waitcnt vmcnt(0)
	ds_write_b128 v149, v[1:4]
.LBB43_273:
	s_or_b32 exec_lo, exec_lo, s4
	s_waitcnt lgkmcnt(0)
	s_waitcnt_vscnt null, 0x0
	s_barrier
	buffer_gl0_inv
	s_clause 0x37
	buffer_load_dword v15, off, s[0:3], 0 offset:72
	buffer_load_dword v16, off, s[0:3], 0 offset:76
	;; [unrolled: 1-line block ×56, first 2 shown]
	v_mov_b32_e32 v150, 0
	s_mov_b32 s4, exec_lo
	ds_read_b128 v[151:154], v150 offset:752
	s_clause 0x2
	buffer_load_dword v146, off, s[0:3], 0 offset:300
	buffer_load_dword v148, off, s[0:3], 0 offset:276
	;; [unrolled: 1-line block ×3, first 2 shown]
	ds_read_b128 v[155:158], v150 offset:768
	s_clause 0x4
	buffer_load_dword v166, off, s[0:3], 0 offset:316
	buffer_load_dword v167, off, s[0:3], 0 offset:328
	buffer_load_dword v169, off, s[0:3], 0 offset:320
	buffer_load_dword v165, off, s[0:3], 0 offset:312
	buffer_load_dword v66, off, s[0:3], 0 offset:292
	ds_read_b128 v[159:162], v150 offset:784
	s_clause 0x2
	buffer_load_dword v168, off, s[0:3], 0 offset:332
	buffer_load_dword v173, off, s[0:3], 0 offset:308
	;; [unrolled: 1-line block ×3, first 2 shown]
	s_waitcnt vmcnt(62) lgkmcnt(2)
	v_mul_f64 v[163:164], v[153:154], v[15:16]
	v_mul_f64 v[15:16], v[151:152], v[15:16]
	s_waitcnt lgkmcnt(1)
	v_mul_f64 v[170:171], v[157:158], v[11:12]
	s_waitcnt vmcnt(59) lgkmcnt(0)
	v_mul_f64 v[174:175], v[161:162], v[3:4]
	v_fma_f64 v[151:152], v[151:152], v[13:14], -v[163:164]
	v_mul_f64 v[163:164], v[155:156], v[11:12]
	v_fma_f64 v[15:16], v[153:154], v[13:14], v[15:16]
	s_waitcnt vmcnt(57)
	v_fma_f64 v[155:156], v[155:156], v[1:2], -v[170:171]
	ds_read_b128 v[11:14], v150 offset:800
	v_mul_f64 v[153:154], v[159:160], v[3:4]
	s_waitcnt vmcnt(51)
	v_fma_f64 v[159:160], v[159:160], v[33:34], -v[174:175]
	v_add_f64 v[151:152], v[151:152], 0
	v_fma_f64 v[157:158], v[157:158], v[1:2], v[163:164]
	v_add_f64 v[15:16], v[15:16], 0
	s_clause 0x4
	buffer_load_dword v164, off, s[0:3], 0 offset:348
	buffer_load_dword v176, off, s[0:3], 0 offset:360
	;; [unrolled: 1-line block ×5, first 2 shown]
	s_waitcnt lgkmcnt(0)
	v_mul_f64 v[179:180], v[11:12], v[19:20]
	v_mul_f64 v[19:20], v[13:14], v[19:20]
	ds_read_b128 v[1:4], v150 offset:816
	v_fma_f64 v[33:34], v[161:162], v[33:34], v[153:154]
	v_add_f64 v[155:156], v[151:152], v[155:156]
	v_add_f64 v[15:16], v[15:16], v[157:158]
	s_clause 0x2
	buffer_load_dword v177, off, s[0:3], 0 offset:364
	buffer_load_dword v158, off, s[0:3], 0 offset:340
	;; [unrolled: 1-line block ×3, first 2 shown]
	s_waitcnt vmcnt(58) lgkmcnt(0)
	v_mul_f64 v[161:162], v[1:2], v[23:24]
	v_mul_f64 v[23:24], v[3:4], v[23:24]
	s_waitcnt vmcnt(56)
	v_fma_f64 v[19:20], v[11:12], v[25:26], -v[19:20]
	ds_read_b128 v[151:154], v150 offset:832
	v_fma_f64 v[25:26], v[13:14], v[25:26], v[179:180]
	v_add_f64 v[155:156], v[155:156], v[159:160]
	v_add_f64 v[15:16], v[15:16], v[33:34]
	s_clause 0x4
	buffer_load_dword v34, off, s[0:3], 0 offset:380
	buffer_load_dword v159, off, s[0:3], 0 offset:392
	;; [unrolled: 1-line block ×5, first 2 shown]
	ds_read_b128 v[11:14], v150 offset:848
	s_waitcnt vmcnt(57) lgkmcnt(1)
	v_mul_f64 v[180:181], v[151:152], v[27:28]
	v_mul_f64 v[27:28], v[153:154], v[27:28]
	s_waitcnt vmcnt(56)
	v_fma_f64 v[23:24], v[1:2], v[17:18], -v[23:24]
	v_fma_f64 v[17:18], v[3:4], v[17:18], v[161:162]
	v_add_f64 v[19:20], v[155:156], v[19:20]
	v_add_f64 v[15:16], v[15:16], v[25:26]
	s_clause 0x2
	buffer_load_dword v160, off, s[0:3], 0 offset:396
	buffer_load_dword v26, off, s[0:3], 0 offset:372
	;; [unrolled: 1-line block ×3, first 2 shown]
	s_waitcnt vmcnt(58) lgkmcnt(0)
	v_mul_f64 v[155:156], v[11:12], v[35:36]
	v_mul_f64 v[35:36], v[13:14], v[35:36]
	s_waitcnt vmcnt(56)
	v_fma_f64 v[27:28], v[151:152], v[37:38], -v[27:28]
	ds_read_b128 v[1:4], v150 offset:864
	v_add_f64 v[19:20], v[19:20], v[23:24]
	v_fma_f64 v[23:24], v[153:154], v[37:38], v[180:181]
	v_add_f64 v[37:38], v[15:16], v[17:18]
	s_clause 0x4
	buffer_load_dword v152, off, s[0:3], 0 offset:412
	buffer_load_dword v153, off, s[0:3], 0 offset:424
	;; [unrolled: 1-line block ×5, first 2 shown]
	ds_read_b128 v[15:18], v150 offset:880
	s_waitcnt vmcnt(57) lgkmcnt(1)
	v_mul_f64 v[180:181], v[1:2], v[39:40]
	v_mul_f64 v[39:40], v[3:4], v[39:40]
	s_waitcnt vmcnt(56)
	v_fma_f64 v[35:36], v[11:12], v[21:22], -v[35:36]
	v_fma_f64 v[21:22], v[13:14], v[21:22], v[155:156]
	v_add_f64 v[19:20], v[19:20], v[27:28]
	s_clause 0x2
	buffer_load_dword v154, off, s[0:3], 0 offset:428
	buffer_load_dword v28, off, s[0:3], 0 offset:404
	;; [unrolled: 1-line block ×3, first 2 shown]
	v_add_f64 v[23:24], v[37:38], v[23:24]
	s_waitcnt vmcnt(58) lgkmcnt(0)
	v_mul_f64 v[37:38], v[15:16], v[47:48]
	v_mul_f64 v[47:48], v[17:18], v[47:48]
	ds_read_b128 v[11:14], v150 offset:896
	s_waitcnt vmcnt(56)
	v_fma_f64 v[39:40], v[1:2], v[49:50], -v[39:40]
	v_add_f64 v[19:20], v[19:20], v[35:36]
	v_fma_f64 v[35:36], v[3:4], v[49:50], v[180:181]
	v_add_f64 v[21:22], v[23:24], v[21:22]
	s_clause 0x4
	buffer_load_dword v24, off, s[0:3], 0 offset:444
	buffer_load_dword v49, off, s[0:3], 0 offset:456
	;; [unrolled: 1-line block ×5, first 2 shown]
	s_waitcnt vmcnt(57) lgkmcnt(0)
	v_mul_f64 v[180:181], v[11:12], v[51:52]
	v_mul_f64 v[51:52], v[13:14], v[51:52]
	s_waitcnt vmcnt(56)
	v_fma_f64 v[47:48], v[15:16], v[31:32], -v[47:48]
	ds_read_b128 v[1:4], v150 offset:912
	v_fma_f64 v[31:32], v[17:18], v[31:32], v[37:38]
	v_add_f64 v[19:20], v[19:20], v[39:40]
	v_add_f64 v[21:22], v[21:22], v[35:36]
	s_clause 0x2
	buffer_load_dword v50, off, s[0:3], 0 offset:460
	buffer_load_dword v36, off, s[0:3], 0 offset:436
	;; [unrolled: 1-line block ×3, first 2 shown]
	ds_read_b128 v[15:18], v150 offset:928
	s_waitcnt vmcnt(58) lgkmcnt(1)
	v_mul_f64 v[39:40], v[3:4], v[55:56]
	s_waitcnt vmcnt(56)
	v_fma_f64 v[51:52], v[11:12], v[57:58], -v[51:52]
	v_mul_f64 v[37:38], v[1:2], v[55:56]
	v_add_f64 v[19:20], v[19:20], v[47:48]
	v_fma_f64 v[47:48], v[13:14], v[57:58], v[180:181]
	v_add_f64 v[21:22], v[21:22], v[31:32]
	s_clause 0x4
	buffer_load_dword v32, off, s[0:3], 0 offset:476
	buffer_load_dword v55, off, s[0:3], 0 offset:488
	;; [unrolled: 1-line block ×5, first 2 shown]
	s_waitcnt vmcnt(57) lgkmcnt(0)
	v_mul_f64 v[180:181], v[15:16], v[59:60]
	v_mul_f64 v[58:59], v[17:18], v[59:60]
	s_waitcnt vmcnt(56)
	v_fma_f64 v[39:40], v[1:2], v[45:46], -v[39:40]
	ds_read_b128 v[11:14], v150 offset:944
	v_fma_f64 v[37:38], v[3:4], v[45:46], v[37:38]
	s_clause 0x2
	buffer_load_dword v56, off, s[0:3], 0 offset:492
	buffer_load_dword v46, off, s[0:3], 0 offset:468
	;; [unrolled: 1-line block ×3, first 2 shown]
	ds_read_b128 v[1:4], v150 offset:960
	v_add_f64 v[19:20], v[19:20], v[51:52]
	v_add_f64 v[21:22], v[21:22], v[47:48]
	s_waitcnt vmcnt(58) lgkmcnt(1)
	v_mul_f64 v[51:52], v[13:14], v[67:68]
	s_waitcnt vmcnt(56)
	v_fma_f64 v[59:60], v[15:16], v[69:70], -v[58:59]
	v_mul_f64 v[47:48], v[11:12], v[67:68]
	v_add_f64 v[19:20], v[19:20], v[39:40]
	v_fma_f64 v[39:40], v[17:18], v[69:70], v[180:181]
	v_add_f64 v[21:22], v[21:22], v[37:38]
	s_clause 0x4
	buffer_load_dword v38, off, s[0:3], 0 offset:508
	buffer_load_dword v67, off, s[0:3], 0 offset:520
	;; [unrolled: 1-line block ×5, first 2 shown]
	s_waitcnt vmcnt(57) lgkmcnt(0)
	v_mul_f64 v[180:181], v[1:2], v[71:72]
	v_mul_f64 v[70:71], v[3:4], v[71:72]
	s_waitcnt vmcnt(56)
	v_fma_f64 v[51:52], v[11:12], v[53:54], -v[51:52]
	ds_read_b128 v[15:18], v150 offset:976
	v_fma_f64 v[47:48], v[13:14], v[53:54], v[47:48]
	v_add_f64 v[19:20], v[19:20], v[59:60]
	v_add_f64 v[21:22], v[21:22], v[39:40]
	s_clause 0x2
	buffer_load_dword v68, off, s[0:3], 0 offset:524
	buffer_load_dword v40, off, s[0:3], 0 offset:500
	;; [unrolled: 1-line block ×3, first 2 shown]
	ds_read_b128 v[11:14], v150 offset:992
	s_waitcnt vmcnt(58) lgkmcnt(1)
	v_mul_f64 v[59:60], v[17:18], v[145:146]
	s_waitcnt vmcnt(56)
	v_fma_f64 v[71:72], v[1:2], v[147:148], -v[70:71]
	v_mul_f64 v[53:54], v[15:16], v[145:146]
	v_add_f64 v[19:20], v[19:20], v[51:52]
	v_fma_f64 v[51:52], v[3:4], v[147:148], v[180:181]
	v_add_f64 v[21:22], v[21:22], v[47:48]
	s_clause 0x4
	buffer_load_dword v48, off, s[0:3], 0 offset:540
	buffer_load_dword v145, off, s[0:3], 0 offset:552
	buffer_load_dword v147, off, s[0:3], 0 offset:544
	buffer_load_dword v47, off, s[0:3], 0 offset:536
	buffer_load_dword v70, off, s[0:3], 0 offset:516
	s_waitcnt vmcnt(57) lgkmcnt(0)
	v_mul_f64 v[180:181], v[11:12], v[165:166]
	v_mul_f64 v[165:166], v[13:14], v[165:166]
	s_waitcnt vmcnt(56)
	v_fma_f64 v[59:60], v[15:16], v[65:66], -v[59:60]
	ds_read_b128 v[1:4], v150 offset:1008
	v_fma_f64 v[53:54], v[17:18], v[65:66], v[53:54]
	v_add_f64 v[19:20], v[19:20], v[71:72]
	v_add_f64 v[21:22], v[21:22], v[51:52]
	s_clause 0x2
	buffer_load_dword v146, off, s[0:3], 0 offset:556
	buffer_load_dword v52, off, s[0:3], 0 offset:532
	;; [unrolled: 1-line block ×3, first 2 shown]
	ds_read_b128 v[15:18], v150 offset:1024
	s_waitcnt vmcnt(58) lgkmcnt(1)
	v_mul_f64 v[71:72], v[3:4], v[167:168]
	s_waitcnt vmcnt(56)
	v_fma_f64 v[165:166], v[11:12], v[172:173], -v[165:166]
	v_mul_f64 v[65:66], v[1:2], v[167:168]
	v_add_f64 v[19:20], v[19:20], v[59:60]
	v_fma_f64 v[59:60], v[13:14], v[172:173], v[180:181]
	v_add_f64 v[21:22], v[21:22], v[53:54]
	s_clause 0x4
	buffer_load_dword v54, off, s[0:3], 0 offset:572
	buffer_load_dword v167, off, s[0:3], 0 offset:584
	;; [unrolled: 1-line block ×5, first 2 shown]
	ds_read_b128 v[11:14], v150 offset:1040
	s_waitcnt vmcnt(57) lgkmcnt(1)
	v_mul_f64 v[172:173], v[15:16], v[163:164]
	v_mul_f64 v[163:164], v[17:18], v[163:164]
	s_waitcnt vmcnt(56)
	v_fma_f64 v[71:72], v[1:2], v[169:170], -v[71:72]
	v_fma_f64 v[65:66], v[3:4], v[169:170], v[65:66]
	v_add_f64 v[19:20], v[19:20], v[165:166]
	v_add_f64 v[21:22], v[21:22], v[59:60]
	s_clause 0x2
	buffer_load_dword v168, off, s[0:3], 0 offset:588
	buffer_load_dword v60, off, s[0:3], 0 offset:564
	;; [unrolled: 1-line block ×3, first 2 shown]
	ds_read_b128 v[1:4], v150 offset:1056
	s_waitcnt vmcnt(58) lgkmcnt(1)
	v_mul_f64 v[169:170], v[13:14], v[176:177]
	v_mul_f64 v[165:166], v[11:12], v[176:177]
	s_waitcnt vmcnt(56)
	v_fma_f64 v[163:164], v[15:16], v[157:158], -v[163:164]
	v_add_f64 v[19:20], v[19:20], v[71:72]
	v_fma_f64 v[71:72], v[17:18], v[157:158], v[172:173]
	v_add_f64 v[21:22], v[21:22], v[65:66]
	s_clause 0x4
	buffer_load_dword v66, off, s[0:3], 0 offset:604
	buffer_load_dword v157, off, s[0:3], 0 offset:616
	buffer_load_dword v176, off, s[0:3], 0 offset:608
	buffer_load_dword v65, off, s[0:3], 0 offset:600
	buffer_load_dword v172, off, s[0:3], 0 offset:580
	ds_read_b128 v[15:18], v150 offset:1072
	s_waitcnt vmcnt(57) lgkmcnt(1)
	v_mul_f64 v[180:181], v[1:2], v[33:34]
	v_mul_f64 v[33:34], v[3:4], v[33:34]
	s_waitcnt vmcnt(56)
	v_fma_f64 v[169:170], v[11:12], v[178:179], -v[169:170]
	v_add_f64 v[19:20], v[19:20], v[163:164]
	v_fma_f64 v[163:164], v[13:14], v[178:179], v[165:166]
	v_add_f64 v[21:22], v[21:22], v[71:72]
	s_clause 0x2
	buffer_load_dword v158, off, s[0:3], 0 offset:620
	buffer_load_dword v72, off, s[0:3], 0 offset:596
	buffer_load_dword v71, off, s[0:3], 0 offset:592
	ds_read_b128 v[11:14], v150 offset:1088
	s_waitcnt vmcnt(58) lgkmcnt(1)
	v_mul_f64 v[165:166], v[15:16], v[159:160]
	v_mul_f64 v[159:160], v[17:18], v[159:160]
	s_waitcnt vmcnt(56)
	v_fma_f64 v[33:34], v[1:2], v[25:26], -v[33:34]
	v_fma_f64 v[25:26], v[3:4], v[25:26], v[180:181]
	v_add_f64 v[19:20], v[19:20], v[169:170]
	v_add_f64 v[21:22], v[21:22], v[163:164]
	s_clause 0x4
	buffer_load_dword v164, off, s[0:3], 0 offset:636
	buffer_load_dword v169, off, s[0:3], 0 offset:648
	buffer_load_dword v173, off, s[0:3], 0 offset:640
	buffer_load_dword v163, off, s[0:3], 0 offset:632
	buffer_load_dword v177, off, s[0:3], 0 offset:612
	ds_read_b128 v[1:4], v150 offset:1104
	s_waitcnt vmcnt(57) lgkmcnt(1)
	v_mul_f64 v[178:179], v[11:12], v[151:152]
	v_mul_f64 v[151:152], v[13:14], v[151:152]
	s_waitcnt vmcnt(56)
	v_fma_f64 v[159:160], v[15:16], v[174:175], -v[159:160]
	v_add_f64 v[19:20], v[19:20], v[33:34]
	v_fma_f64 v[33:34], v[17:18], v[174:175], v[165:166]
	v_add_f64 v[21:22], v[21:22], v[25:26]
	s_clause 0x2
	buffer_load_dword v170, off, s[0:3], 0 offset:652
	buffer_load_dword v26, off, s[0:3], 0 offset:628
	buffer_load_dword v25, off, s[0:3], 0 offset:624
	ds_read_b128 v[15:18], v150 offset:1120
	s_waitcnt vmcnt(58) lgkmcnt(1)
	v_mul_f64 v[165:166], v[1:2], v[153:154]
	v_mul_f64 v[153:154], v[3:4], v[153:154]
	s_waitcnt vmcnt(56)
	v_fma_f64 v[151:152], v[11:12], v[27:28], -v[151:152]
	v_fma_f64 v[27:28], v[13:14], v[27:28], v[178:179]
	v_add_f64 v[19:20], v[19:20], v[159:160]
	v_add_f64 v[21:22], v[21:22], v[33:34]
	s_clause 0x4
	buffer_load_dword v34, off, s[0:3], 0 offset:668
	buffer_load_dword v159, off, s[0:3], 0 offset:680
	buffer_load_dword v178, off, s[0:3], 0 offset:672
	buffer_load_dword v33, off, s[0:3], 0 offset:664
	buffer_load_dword v174, off, s[0:3], 0 offset:644
	ds_read_b128 v[11:14], v150 offset:1136
	s_waitcnt vmcnt(57) lgkmcnt(1)
	v_mul_f64 v[179:180], v[15:16], v[23:24]
	v_mul_f64 v[23:24], v[17:18], v[23:24]
	s_waitcnt vmcnt(56)
	v_fma_f64 v[153:154], v[1:2], v[161:162], -v[153:154]
	v_add_f64 v[19:20], v[19:20], v[151:152]
	v_fma_f64 v[151:152], v[3:4], v[161:162], v[165:166]
	v_add_f64 v[21:22], v[21:22], v[27:28]
	s_clause 0x2
	buffer_load_dword v160, off, s[0:3], 0 offset:684
	buffer_load_dword v28, off, s[0:3], 0 offset:660
	buffer_load_dword v27, off, s[0:3], 0 offset:656
	ds_read_b128 v[1:4], v150 offset:1152
	s_waitcnt vmcnt(58) lgkmcnt(1)
	v_mul_f64 v[161:162], v[11:12], v[49:50]
	v_mul_f64 v[49:50], v[13:14], v[49:50]
	s_waitcnt vmcnt(56)
	v_fma_f64 v[23:24], v[15:16], v[35:36], -v[23:24]
	v_fma_f64 v[35:36], v[17:18], v[35:36], v[179:180]
	v_add_f64 v[19:20], v[19:20], v[153:154]
	v_add_f64 v[21:22], v[21:22], v[151:152]
	s_clause 0x4
	buffer_load_dword v152, off, s[0:3], 0 offset:700
	buffer_load_dword v153, off, s[0:3], 0 offset:712
	;; [unrolled: 1-line block ×5, first 2 shown]
	ds_read_b128 v[15:18], v150 offset:1168
	s_waitcnt vmcnt(57) lgkmcnt(1)
	v_mul_f64 v[180:181], v[1:2], v[31:32]
	v_mul_f64 v[31:32], v[3:4], v[31:32]
	s_waitcnt vmcnt(56)
	v_fma_f64 v[49:50], v[11:12], v[155:156], -v[49:50]
	v_add_f64 v[19:20], v[19:20], v[23:24]
	v_fma_f64 v[23:24], v[13:14], v[155:156], v[161:162]
	v_add_f64 v[21:22], v[21:22], v[35:36]
	s_clause 0x2
	buffer_load_dword v154, off, s[0:3], 0 offset:716
	buffer_load_dword v36, off, s[0:3], 0 offset:692
	;; [unrolled: 1-line block ×3, first 2 shown]
	s_waitcnt vmcnt(58) lgkmcnt(0)
	v_mul_f64 v[155:156], v[15:16], v[55:56]
	v_mul_f64 v[55:56], v[17:18], v[55:56]
	ds_read_b128 v[11:14], v150 offset:1184
	buffer_load_dword v166, off, s[0:3], 0 offset:708
	s_waitcnt vmcnt(57)
	v_fma_f64 v[31:32], v[1:2], v[45:46], -v[31:32]
	v_fma_f64 v[45:46], v[3:4], v[45:46], v[180:181]
	ds_read_b128 v[1:4], v150 offset:1200
	v_add_f64 v[19:20], v[19:20], v[49:50]
	v_add_f64 v[21:22], v[21:22], v[23:24]
	s_waitcnt vmcnt(53) lgkmcnt(1)
	v_mul_f64 v[23:24], v[11:12], v[37:38]
	v_mul_f64 v[37:38], v[13:14], v[37:38]
	s_waitcnt vmcnt(52)
	v_fma_f64 v[49:50], v[15:16], v[57:58], -v[55:56]
	v_add_f64 v[19:20], v[19:20], v[31:32]
	v_fma_f64 v[31:32], v[17:18], v[57:58], v[155:156]
	v_add_f64 v[21:22], v[21:22], v[45:46]
	ds_read_b128 v[15:18], v150 offset:1216
	s_waitcnt vmcnt(51) lgkmcnt(1)
	v_mul_f64 v[55:56], v[3:4], v[67:68]
	v_mul_f64 v[45:46], v[1:2], v[67:68]
	s_waitcnt vmcnt(49)
	v_fma_f64 v[37:38], v[11:12], v[39:40], -v[37:38]
	v_fma_f64 v[23:24], v[13:14], v[39:40], v[23:24]
	v_add_f64 v[19:20], v[19:20], v[49:50]
	v_add_f64 v[21:22], v[21:22], v[31:32]
	s_clause 0x3
	buffer_load_dword v31, off, s[0:3], 0 offset:48
	buffer_load_dword v32, off, s[0:3], 0 offset:52
	;; [unrolled: 1-line block ×4, first 2 shown]
	ds_read_b128 v[11:14], v150 offset:1232
	s_waitcnt vmcnt(49) lgkmcnt(1)
	v_mul_f64 v[49:50], v[15:16], v[47:48]
	v_mul_f64 v[47:48], v[17:18], v[47:48]
	s_waitcnt vmcnt(48)
	v_fma_f64 v[55:56], v[1:2], v[69:70], -v[55:56]
	v_add_f64 v[19:20], v[19:20], v[37:38]
	v_fma_f64 v[37:38], v[3:4], v[69:70], v[45:46]
	v_add_f64 v[21:22], v[21:22], v[23:24]
	ds_read_b128 v[1:4], v150 offset:1248
	s_waitcnt vmcnt(47) lgkmcnt(1)
	v_mul_f64 v[45:46], v[13:14], v[145:146]
	v_mul_f64 v[23:24], v[11:12], v[145:146]
	s_waitcnt vmcnt(45)
	v_fma_f64 v[47:48], v[15:16], v[51:52], -v[47:48]
	v_fma_f64 v[49:50], v[17:18], v[51:52], v[49:50]
	ds_read_b128 v[15:18], v150 offset:1264
	v_add_f64 v[19:20], v[19:20], v[55:56]
	v_add_f64 v[21:22], v[21:22], v[37:38]
	s_waitcnt vmcnt(41) lgkmcnt(1)
	v_mul_f64 v[51:52], v[3:4], v[53:54]
	s_waitcnt vmcnt(40)
	v_fma_f64 v[45:46], v[11:12], v[147:148], -v[45:46]
	v_mul_f64 v[37:38], v[1:2], v[53:54]
	v_fma_f64 v[23:24], v[13:14], v[147:148], v[23:24]
	ds_read_b128 v[11:14], v150 offset:1280
	v_add_f64 v[19:20], v[19:20], v[47:48]
	v_add_f64 v[21:22], v[21:22], v[49:50]
	s_waitcnt vmcnt(39) lgkmcnt(1)
	v_mul_f64 v[49:50], v[17:18], v[167:168]
	v_mul_f64 v[47:48], v[15:16], v[167:168]
	s_waitcnt vmcnt(37)
	v_fma_f64 v[51:52], v[1:2], v[59:60], -v[51:52]
	v_fma_f64 v[37:38], v[3:4], v[59:60], v[37:38]
	ds_read_b128 v[1:4], v150 offset:1296
	v_add_f64 v[19:20], v[19:20], v[45:46]
	v_add_f64 v[21:22], v[21:22], v[23:24]
	s_waitcnt vmcnt(33) lgkmcnt(1)
	v_mul_f64 v[45:46], v[13:14], v[65:66]
	s_waitcnt vmcnt(32)
	v_fma_f64 v[49:50], v[15:16], v[171:172], -v[49:50]
	v_mul_f64 v[23:24], v[11:12], v[65:66]
	v_fma_f64 v[47:48], v[17:18], v[171:172], v[47:48]
	ds_read_b128 v[15:18], v150 offset:1312
	v_add_f64 v[19:20], v[19:20], v[51:52]
	v_add_f64 v[21:22], v[21:22], v[37:38]
	;; [unrolled: 18-line block ×3, first 2 shown]
	s_waitcnt vmcnt(23) lgkmcnt(1)
	v_mul_f64 v[45:46], v[13:14], v[169:170]
	v_mul_f64 v[23:24], v[11:12], v[169:170]
	s_waitcnt vmcnt(21)
	v_fma_f64 v[49:50], v[15:16], v[25:26], -v[49:50]
	v_fma_f64 v[25:26], v[17:18], v[25:26], v[47:48]
	ds_read_b128 v[15:18], v150 offset:1360
	v_add_f64 v[19:20], v[19:20], v[51:52]
	v_add_f64 v[21:22], v[21:22], v[37:38]
	s_waitcnt vmcnt(17) lgkmcnt(1)
	v_mul_f64 v[37:38], v[1:2], v[33:34]
	v_mul_f64 v[33:34], v[3:4], v[33:34]
	s_waitcnt vmcnt(16)
	v_fma_f64 v[45:46], v[11:12], v[173:174], -v[45:46]
	v_fma_f64 v[23:24], v[13:14], v[173:174], v[23:24]
	ds_read_b128 v[11:14], v150 offset:1376
	v_add_f64 v[19:20], v[19:20], v[49:50]
	v_add_f64 v[21:22], v[21:22], v[25:26]
	;; [unrolled: 9-line block ×3, first 2 shown]
	s_waitcnt vmcnt(9) lgkmcnt(1)
	v_mul_f64 v[37:38], v[13:14], v[151:152]
	s_waitcnt vmcnt(8)
	v_fma_f64 v[15:16], v[15:16], v[178:179], -v[47:48]
	v_mul_f64 v[23:24], v[11:12], v[151:152]
	v_fma_f64 v[17:18], v[17:18], v[178:179], v[25:26]
	v_add_f64 v[19:20], v[19:20], v[33:34]
	v_add_f64 v[21:22], v[21:22], v[27:28]
	s_waitcnt vmcnt(7) lgkmcnt(0)
	v_mul_f64 v[27:28], v[3:4], v[153:154]
	v_mul_f64 v[25:26], v[1:2], v[153:154]
	s_waitcnt vmcnt(5)
	v_fma_f64 v[11:12], v[11:12], v[35:36], -v[37:38]
	v_fma_f64 v[13:14], v[13:14], v[35:36], v[23:24]
	v_add_f64 v[15:16], v[19:20], v[15:16]
	v_add_f64 v[17:18], v[21:22], v[17:18]
	s_waitcnt vmcnt(4)
	v_fma_f64 v[1:2], v[1:2], v[165:166], -v[27:28]
	v_fma_f64 v[3:4], v[3:4], v[165:166], v[25:26]
	v_add_f64 v[11:12], v[15:16], v[11:12]
	v_add_f64 v[13:14], v[17:18], v[13:14]
	;; [unrolled: 1-line block ×4, first 2 shown]
	s_waitcnt vmcnt(2)
	v_add_f64 v[1:2], v[31:32], -v[1:2]
	s_waitcnt vmcnt(0)
	v_add_f64 v[3:4], v[39:40], -v[3:4]
	buffer_store_dword v2, off, s[0:3], 0 offset:52
	buffer_store_dword v1, off, s[0:3], 0 offset:48
	;; [unrolled: 1-line block ×4, first 2 shown]
	v_cmpx_lt_u32_e32 1, v0
	s_cbranch_execz .LBB43_275
; %bb.274:
	v_mov_b32_e32 v4, s55
	s_clause 0x3
	buffer_load_dword v1, v4, s[0:3], 0 offen
	buffer_load_dword v2, v4, s[0:3], 0 offen offset:4
	buffer_load_dword v3, v4, s[0:3], 0 offen offset:8
	;; [unrolled: 1-line block ×3, first 2 shown]
	buffer_store_dword v150, off, s[0:3], 0 offset:32
	buffer_store_dword v150, off, s[0:3], 0 offset:36
	;; [unrolled: 1-line block ×4, first 2 shown]
	s_waitcnt vmcnt(0)
	ds_write_b128 v149, v[1:4]
.LBB43_275:
	s_or_b32 exec_lo, exec_lo, s4
	s_waitcnt lgkmcnt(0)
	s_waitcnt_vscnt null, 0x0
	s_barrier
	buffer_gl0_inv
	s_clause 0x37
	buffer_load_dword v15, off, s[0:3], 0 offset:56
	buffer_load_dword v16, off, s[0:3], 0 offset:60
	;; [unrolled: 1-line block ×56, first 2 shown]
	ds_read_b128 v[151:154], v150 offset:736
	s_clause 0x2
	buffer_load_dword v146, off, s[0:3], 0 offset:284
	buffer_load_dword v148, off, s[0:3], 0 offset:260
	;; [unrolled: 1-line block ×3, first 2 shown]
	ds_read_b128 v[155:158], v150 offset:752
	s_clause 0x4
	buffer_load_dword v166, off, s[0:3], 0 offset:300
	buffer_load_dword v167, off, s[0:3], 0 offset:312
	;; [unrolled: 1-line block ×5, first 2 shown]
	ds_read_b128 v[159:162], v150 offset:768
	s_clause 0x2
	buffer_load_dword v168, off, s[0:3], 0 offset:316
	buffer_load_dword v173, off, s[0:3], 0 offset:292
	;; [unrolled: 1-line block ×3, first 2 shown]
	s_mov_b32 s4, exec_lo
	s_waitcnt vmcnt(62) lgkmcnt(2)
	v_mul_f64 v[163:164], v[153:154], v[15:16]
	v_mul_f64 v[15:16], v[151:152], v[15:16]
	s_waitcnt lgkmcnt(1)
	v_mul_f64 v[170:171], v[157:158], v[11:12]
	s_waitcnt vmcnt(59) lgkmcnt(0)
	v_mul_f64 v[174:175], v[161:162], v[3:4]
	v_fma_f64 v[151:152], v[151:152], v[13:14], -v[163:164]
	v_mul_f64 v[163:164], v[155:156], v[11:12]
	v_fma_f64 v[15:16], v[153:154], v[13:14], v[15:16]
	s_waitcnt vmcnt(57)
	v_fma_f64 v[155:156], v[155:156], v[1:2], -v[170:171]
	ds_read_b128 v[11:14], v150 offset:784
	v_mul_f64 v[153:154], v[159:160], v[3:4]
	s_waitcnt vmcnt(51)
	v_fma_f64 v[159:160], v[159:160], v[33:34], -v[174:175]
	v_add_f64 v[151:152], v[151:152], 0
	v_fma_f64 v[157:158], v[157:158], v[1:2], v[163:164]
	v_add_f64 v[15:16], v[15:16], 0
	s_clause 0x4
	buffer_load_dword v164, off, s[0:3], 0 offset:332
	buffer_load_dword v176, off, s[0:3], 0 offset:344
	buffer_load_dword v178, off, s[0:3], 0 offset:336
	buffer_load_dword v163, off, s[0:3], 0 offset:328
	buffer_load_dword v170, off, s[0:3], 0 offset:308
	s_waitcnt lgkmcnt(0)
	v_mul_f64 v[179:180], v[11:12], v[19:20]
	v_mul_f64 v[19:20], v[13:14], v[19:20]
	ds_read_b128 v[1:4], v150 offset:800
	v_fma_f64 v[33:34], v[161:162], v[33:34], v[153:154]
	v_add_f64 v[155:156], v[151:152], v[155:156]
	v_add_f64 v[15:16], v[15:16], v[157:158]
	s_clause 0x2
	buffer_load_dword v177, off, s[0:3], 0 offset:348
	buffer_load_dword v158, off, s[0:3], 0 offset:324
	buffer_load_dword v157, off, s[0:3], 0 offset:320
	s_waitcnt vmcnt(58) lgkmcnt(0)
	v_mul_f64 v[161:162], v[1:2], v[23:24]
	v_mul_f64 v[23:24], v[3:4], v[23:24]
	s_waitcnt vmcnt(56)
	v_fma_f64 v[19:20], v[11:12], v[25:26], -v[19:20]
	ds_read_b128 v[151:154], v150 offset:816
	v_fma_f64 v[25:26], v[13:14], v[25:26], v[179:180]
	v_add_f64 v[155:156], v[155:156], v[159:160]
	v_add_f64 v[15:16], v[15:16], v[33:34]
	s_clause 0x4
	buffer_load_dword v34, off, s[0:3], 0 offset:364
	buffer_load_dword v159, off, s[0:3], 0 offset:376
	;; [unrolled: 1-line block ×5, first 2 shown]
	ds_read_b128 v[11:14], v150 offset:832
	s_waitcnt vmcnt(57) lgkmcnt(1)
	v_mul_f64 v[180:181], v[151:152], v[27:28]
	v_mul_f64 v[27:28], v[153:154], v[27:28]
	s_waitcnt vmcnt(56)
	v_fma_f64 v[23:24], v[1:2], v[17:18], -v[23:24]
	v_fma_f64 v[17:18], v[3:4], v[17:18], v[161:162]
	v_add_f64 v[19:20], v[155:156], v[19:20]
	v_add_f64 v[15:16], v[15:16], v[25:26]
	s_clause 0x2
	buffer_load_dword v160, off, s[0:3], 0 offset:380
	buffer_load_dword v26, off, s[0:3], 0 offset:356
	buffer_load_dword v25, off, s[0:3], 0 offset:352
	s_waitcnt vmcnt(58) lgkmcnt(0)
	v_mul_f64 v[155:156], v[11:12], v[35:36]
	v_mul_f64 v[35:36], v[13:14], v[35:36]
	s_waitcnt vmcnt(56)
	v_fma_f64 v[27:28], v[151:152], v[37:38], -v[27:28]
	ds_read_b128 v[1:4], v150 offset:848
	v_add_f64 v[19:20], v[19:20], v[23:24]
	v_fma_f64 v[23:24], v[153:154], v[37:38], v[180:181]
	v_add_f64 v[37:38], v[15:16], v[17:18]
	s_clause 0x4
	buffer_load_dword v152, off, s[0:3], 0 offset:396
	buffer_load_dword v153, off, s[0:3], 0 offset:408
	;; [unrolled: 1-line block ×5, first 2 shown]
	ds_read_b128 v[15:18], v150 offset:864
	s_waitcnt vmcnt(57) lgkmcnt(1)
	v_mul_f64 v[180:181], v[1:2], v[39:40]
	v_mul_f64 v[39:40], v[3:4], v[39:40]
	s_waitcnt vmcnt(56)
	v_fma_f64 v[35:36], v[11:12], v[21:22], -v[35:36]
	v_fma_f64 v[21:22], v[13:14], v[21:22], v[155:156]
	v_add_f64 v[19:20], v[19:20], v[27:28]
	s_clause 0x2
	buffer_load_dword v154, off, s[0:3], 0 offset:412
	buffer_load_dword v28, off, s[0:3], 0 offset:388
	;; [unrolled: 1-line block ×3, first 2 shown]
	v_add_f64 v[23:24], v[37:38], v[23:24]
	s_waitcnt vmcnt(58) lgkmcnt(0)
	v_mul_f64 v[37:38], v[15:16], v[47:48]
	v_mul_f64 v[47:48], v[17:18], v[47:48]
	ds_read_b128 v[11:14], v150 offset:880
	s_waitcnt vmcnt(56)
	v_fma_f64 v[39:40], v[1:2], v[49:50], -v[39:40]
	v_add_f64 v[19:20], v[19:20], v[35:36]
	v_fma_f64 v[35:36], v[3:4], v[49:50], v[180:181]
	v_add_f64 v[21:22], v[23:24], v[21:22]
	s_clause 0x4
	buffer_load_dword v24, off, s[0:3], 0 offset:428
	buffer_load_dword v49, off, s[0:3], 0 offset:440
	;; [unrolled: 1-line block ×5, first 2 shown]
	s_waitcnt vmcnt(57) lgkmcnt(0)
	v_mul_f64 v[180:181], v[11:12], v[51:52]
	v_mul_f64 v[51:52], v[13:14], v[51:52]
	s_waitcnt vmcnt(56)
	v_fma_f64 v[47:48], v[15:16], v[31:32], -v[47:48]
	ds_read_b128 v[1:4], v150 offset:896
	v_fma_f64 v[31:32], v[17:18], v[31:32], v[37:38]
	v_add_f64 v[19:20], v[19:20], v[39:40]
	v_add_f64 v[21:22], v[21:22], v[35:36]
	s_clause 0x2
	buffer_load_dword v50, off, s[0:3], 0 offset:444
	buffer_load_dword v36, off, s[0:3], 0 offset:420
	;; [unrolled: 1-line block ×3, first 2 shown]
	ds_read_b128 v[15:18], v150 offset:912
	s_waitcnt vmcnt(58) lgkmcnt(1)
	v_mul_f64 v[39:40], v[3:4], v[55:56]
	s_waitcnt vmcnt(56)
	v_fma_f64 v[51:52], v[11:12], v[57:58], -v[51:52]
	v_mul_f64 v[37:38], v[1:2], v[55:56]
	v_add_f64 v[19:20], v[19:20], v[47:48]
	v_fma_f64 v[47:48], v[13:14], v[57:58], v[180:181]
	v_add_f64 v[21:22], v[21:22], v[31:32]
	s_clause 0x4
	buffer_load_dword v32, off, s[0:3], 0 offset:460
	buffer_load_dword v55, off, s[0:3], 0 offset:472
	buffer_load_dword v57, off, s[0:3], 0 offset:464
	buffer_load_dword v31, off, s[0:3], 0 offset:456
	buffer_load_dword v156, off, s[0:3], 0 offset:436
	s_waitcnt vmcnt(57) lgkmcnt(0)
	v_mul_f64 v[180:181], v[15:16], v[59:60]
	v_mul_f64 v[58:59], v[17:18], v[59:60]
	s_waitcnt vmcnt(56)
	v_fma_f64 v[39:40], v[1:2], v[45:46], -v[39:40]
	ds_read_b128 v[11:14], v150 offset:928
	v_fma_f64 v[37:38], v[3:4], v[45:46], v[37:38]
	s_clause 0x2
	buffer_load_dword v56, off, s[0:3], 0 offset:476
	buffer_load_dword v46, off, s[0:3], 0 offset:452
	;; [unrolled: 1-line block ×3, first 2 shown]
	ds_read_b128 v[1:4], v150 offset:944
	v_add_f64 v[19:20], v[19:20], v[51:52]
	v_add_f64 v[21:22], v[21:22], v[47:48]
	s_waitcnt vmcnt(58) lgkmcnt(1)
	v_mul_f64 v[51:52], v[13:14], v[67:68]
	s_waitcnt vmcnt(56)
	v_fma_f64 v[59:60], v[15:16], v[69:70], -v[58:59]
	v_mul_f64 v[47:48], v[11:12], v[67:68]
	v_add_f64 v[19:20], v[19:20], v[39:40]
	v_fma_f64 v[39:40], v[17:18], v[69:70], v[180:181]
	v_add_f64 v[21:22], v[21:22], v[37:38]
	s_clause 0x4
	buffer_load_dword v38, off, s[0:3], 0 offset:492
	buffer_load_dword v67, off, s[0:3], 0 offset:504
	;; [unrolled: 1-line block ×5, first 2 shown]
	s_waitcnt vmcnt(57) lgkmcnt(0)
	v_mul_f64 v[180:181], v[1:2], v[71:72]
	v_mul_f64 v[70:71], v[3:4], v[71:72]
	s_waitcnt vmcnt(56)
	v_fma_f64 v[51:52], v[11:12], v[53:54], -v[51:52]
	ds_read_b128 v[15:18], v150 offset:960
	v_fma_f64 v[47:48], v[13:14], v[53:54], v[47:48]
	v_add_f64 v[19:20], v[19:20], v[59:60]
	v_add_f64 v[21:22], v[21:22], v[39:40]
	s_clause 0x2
	buffer_load_dword v68, off, s[0:3], 0 offset:508
	buffer_load_dword v40, off, s[0:3], 0 offset:484
	;; [unrolled: 1-line block ×3, first 2 shown]
	ds_read_b128 v[11:14], v150 offset:976
	s_waitcnt vmcnt(58) lgkmcnt(1)
	v_mul_f64 v[59:60], v[17:18], v[145:146]
	s_waitcnt vmcnt(56)
	v_fma_f64 v[71:72], v[1:2], v[147:148], -v[70:71]
	v_mul_f64 v[53:54], v[15:16], v[145:146]
	v_add_f64 v[19:20], v[19:20], v[51:52]
	v_fma_f64 v[51:52], v[3:4], v[147:148], v[180:181]
	v_add_f64 v[21:22], v[21:22], v[47:48]
	s_clause 0x4
	buffer_load_dword v48, off, s[0:3], 0 offset:524
	buffer_load_dword v145, off, s[0:3], 0 offset:536
	;; [unrolled: 1-line block ×5, first 2 shown]
	s_waitcnt vmcnt(57) lgkmcnt(0)
	v_mul_f64 v[180:181], v[11:12], v[165:166]
	v_mul_f64 v[165:166], v[13:14], v[165:166]
	s_waitcnt vmcnt(56)
	v_fma_f64 v[59:60], v[15:16], v[65:66], -v[59:60]
	ds_read_b128 v[1:4], v150 offset:992
	v_fma_f64 v[53:54], v[17:18], v[65:66], v[53:54]
	v_add_f64 v[19:20], v[19:20], v[71:72]
	v_add_f64 v[21:22], v[21:22], v[51:52]
	s_clause 0x2
	buffer_load_dword v146, off, s[0:3], 0 offset:540
	buffer_load_dword v52, off, s[0:3], 0 offset:516
	;; [unrolled: 1-line block ×3, first 2 shown]
	ds_read_b128 v[15:18], v150 offset:1008
	s_waitcnt vmcnt(58) lgkmcnt(1)
	v_mul_f64 v[71:72], v[3:4], v[167:168]
	s_waitcnt vmcnt(56)
	v_fma_f64 v[165:166], v[11:12], v[172:173], -v[165:166]
	v_mul_f64 v[65:66], v[1:2], v[167:168]
	v_add_f64 v[19:20], v[19:20], v[59:60]
	v_fma_f64 v[59:60], v[13:14], v[172:173], v[180:181]
	v_add_f64 v[21:22], v[21:22], v[53:54]
	s_clause 0x4
	buffer_load_dword v54, off, s[0:3], 0 offset:556
	buffer_load_dword v167, off, s[0:3], 0 offset:568
	;; [unrolled: 1-line block ×5, first 2 shown]
	ds_read_b128 v[11:14], v150 offset:1024
	s_waitcnt vmcnt(57) lgkmcnt(1)
	v_mul_f64 v[172:173], v[15:16], v[163:164]
	v_mul_f64 v[163:164], v[17:18], v[163:164]
	s_waitcnt vmcnt(56)
	v_fma_f64 v[71:72], v[1:2], v[169:170], -v[71:72]
	v_fma_f64 v[65:66], v[3:4], v[169:170], v[65:66]
	v_add_f64 v[19:20], v[19:20], v[165:166]
	v_add_f64 v[21:22], v[21:22], v[59:60]
	s_clause 0x2
	buffer_load_dword v168, off, s[0:3], 0 offset:572
	buffer_load_dword v60, off, s[0:3], 0 offset:548
	;; [unrolled: 1-line block ×3, first 2 shown]
	ds_read_b128 v[1:4], v150 offset:1040
	s_waitcnt vmcnt(58) lgkmcnt(1)
	v_mul_f64 v[169:170], v[13:14], v[176:177]
	v_mul_f64 v[165:166], v[11:12], v[176:177]
	s_waitcnt vmcnt(56)
	v_fma_f64 v[163:164], v[15:16], v[157:158], -v[163:164]
	v_add_f64 v[19:20], v[19:20], v[71:72]
	v_fma_f64 v[71:72], v[17:18], v[157:158], v[172:173]
	v_add_f64 v[21:22], v[21:22], v[65:66]
	s_clause 0x4
	buffer_load_dword v66, off, s[0:3], 0 offset:588
	buffer_load_dword v157, off, s[0:3], 0 offset:600
	buffer_load_dword v176, off, s[0:3], 0 offset:592
	buffer_load_dword v65, off, s[0:3], 0 offset:584
	buffer_load_dword v172, off, s[0:3], 0 offset:564
	ds_read_b128 v[15:18], v150 offset:1056
	s_waitcnt vmcnt(57) lgkmcnt(1)
	v_mul_f64 v[180:181], v[1:2], v[33:34]
	v_mul_f64 v[33:34], v[3:4], v[33:34]
	s_waitcnt vmcnt(56)
	v_fma_f64 v[169:170], v[11:12], v[178:179], -v[169:170]
	v_add_f64 v[19:20], v[19:20], v[163:164]
	v_fma_f64 v[163:164], v[13:14], v[178:179], v[165:166]
	v_add_f64 v[21:22], v[21:22], v[71:72]
	s_clause 0x2
	buffer_load_dword v158, off, s[0:3], 0 offset:604
	buffer_load_dword v72, off, s[0:3], 0 offset:580
	buffer_load_dword v71, off, s[0:3], 0 offset:576
	ds_read_b128 v[11:14], v150 offset:1072
	s_waitcnt vmcnt(58) lgkmcnt(1)
	v_mul_f64 v[165:166], v[15:16], v[159:160]
	v_mul_f64 v[159:160], v[17:18], v[159:160]
	s_waitcnt vmcnt(56)
	v_fma_f64 v[33:34], v[1:2], v[25:26], -v[33:34]
	v_fma_f64 v[25:26], v[3:4], v[25:26], v[180:181]
	v_add_f64 v[19:20], v[19:20], v[169:170]
	v_add_f64 v[21:22], v[21:22], v[163:164]
	s_clause 0x4
	buffer_load_dword v164, off, s[0:3], 0 offset:620
	buffer_load_dword v169, off, s[0:3], 0 offset:632
	buffer_load_dword v173, off, s[0:3], 0 offset:624
	buffer_load_dword v163, off, s[0:3], 0 offset:616
	buffer_load_dword v177, off, s[0:3], 0 offset:596
	ds_read_b128 v[1:4], v150 offset:1088
	s_waitcnt vmcnt(57) lgkmcnt(1)
	v_mul_f64 v[178:179], v[11:12], v[151:152]
	v_mul_f64 v[151:152], v[13:14], v[151:152]
	s_waitcnt vmcnt(56)
	v_fma_f64 v[159:160], v[15:16], v[174:175], -v[159:160]
	v_add_f64 v[19:20], v[19:20], v[33:34]
	v_fma_f64 v[33:34], v[17:18], v[174:175], v[165:166]
	v_add_f64 v[21:22], v[21:22], v[25:26]
	s_clause 0x2
	buffer_load_dword v170, off, s[0:3], 0 offset:636
	buffer_load_dword v26, off, s[0:3], 0 offset:612
	buffer_load_dword v25, off, s[0:3], 0 offset:608
	ds_read_b128 v[15:18], v150 offset:1104
	s_waitcnt vmcnt(58) lgkmcnt(1)
	v_mul_f64 v[165:166], v[1:2], v[153:154]
	v_mul_f64 v[153:154], v[3:4], v[153:154]
	s_waitcnt vmcnt(56)
	v_fma_f64 v[151:152], v[11:12], v[27:28], -v[151:152]
	v_fma_f64 v[27:28], v[13:14], v[27:28], v[178:179]
	v_add_f64 v[19:20], v[19:20], v[159:160]
	;; [unrolled: 28-line block ×3, first 2 shown]
	v_add_f64 v[21:22], v[21:22], v[151:152]
	s_clause 0x4
	buffer_load_dword v152, off, s[0:3], 0 offset:684
	buffer_load_dword v153, off, s[0:3], 0 offset:696
	;; [unrolled: 1-line block ×5, first 2 shown]
	ds_read_b128 v[15:18], v150 offset:1152
	s_waitcnt vmcnt(57) lgkmcnt(1)
	v_mul_f64 v[180:181], v[1:2], v[31:32]
	v_mul_f64 v[31:32], v[3:4], v[31:32]
	s_waitcnt vmcnt(56)
	v_fma_f64 v[49:50], v[11:12], v[155:156], -v[49:50]
	v_add_f64 v[19:20], v[19:20], v[23:24]
	v_fma_f64 v[23:24], v[13:14], v[155:156], v[161:162]
	v_add_f64 v[21:22], v[21:22], v[35:36]
	s_clause 0x2
	buffer_load_dword v154, off, s[0:3], 0 offset:700
	buffer_load_dword v36, off, s[0:3], 0 offset:676
	;; [unrolled: 1-line block ×3, first 2 shown]
	s_waitcnt vmcnt(58) lgkmcnt(0)
	v_mul_f64 v[155:156], v[15:16], v[55:56]
	v_mul_f64 v[55:56], v[17:18], v[55:56]
	ds_read_b128 v[11:14], v150 offset:1168
	s_waitcnt vmcnt(56)
	v_fma_f64 v[31:32], v[1:2], v[45:46], -v[31:32]
	v_fma_f64 v[45:46], v[3:4], v[45:46], v[180:181]
	v_add_f64 v[19:20], v[19:20], v[49:50]
	v_add_f64 v[21:22], v[21:22], v[23:24]
	s_clause 0x2
	buffer_load_dword v24, off, s[0:3], 0 offset:716
	buffer_load_dword v23, off, s[0:3], 0 offset:712
	;; [unrolled: 1-line block ×3, first 2 shown]
	ds_read_b128 v[1:4], v150 offset:1184
	s_waitcnt vmcnt(55) lgkmcnt(1)
	v_mul_f64 v[49:50], v[11:12], v[37:38]
	v_mul_f64 v[37:38], v[13:14], v[37:38]
	s_waitcnt vmcnt(54)
	v_fma_f64 v[55:56], v[15:16], v[57:58], -v[55:56]
	v_add_f64 v[19:20], v[19:20], v[31:32]
	v_fma_f64 v[31:32], v[17:18], v[57:58], v[155:156]
	v_add_f64 v[21:22], v[21:22], v[45:46]
	s_clause 0x1
	buffer_load_dword v46, off, s[0:3], 0 offset:708
	buffer_load_dword v45, off, s[0:3], 0 offset:704
	ds_read_b128 v[15:18], v150 offset:1200
	s_waitcnt vmcnt(55) lgkmcnt(1)
	v_mul_f64 v[57:58], v[1:2], v[67:68]
	v_mul_f64 v[67:68], v[3:4], v[67:68]
	s_waitcnt vmcnt(53)
	v_fma_f64 v[37:38], v[11:12], v[39:40], -v[37:38]
	v_fma_f64 v[39:40], v[13:14], v[39:40], v[49:50]
	ds_read_b128 v[11:14], v150 offset:1216
	v_add_f64 v[19:20], v[19:20], v[55:56]
	v_add_f64 v[21:22], v[21:22], v[31:32]
	s_waitcnt vmcnt(49) lgkmcnt(1)
	v_mul_f64 v[31:32], v[15:16], v[47:48]
	v_mul_f64 v[47:48], v[17:18], v[47:48]
	s_waitcnt vmcnt(48)
	v_fma_f64 v[49:50], v[1:2], v[69:70], -v[67:68]
	v_add_f64 v[19:20], v[19:20], v[37:38]
	v_fma_f64 v[37:38], v[3:4], v[69:70], v[57:58]
	v_add_f64 v[21:22], v[21:22], v[39:40]
	s_clause 0x3
	buffer_load_dword v39, off, s[0:3], 0 offset:32
	buffer_load_dword v40, off, s[0:3], 0 offset:36
	buffer_load_dword v55, off, s[0:3], 0 offset:40
	buffer_load_dword v56, off, s[0:3], 0 offset:44
	ds_read_b128 v[1:4], v150 offset:1232
	s_waitcnt vmcnt(51) lgkmcnt(1)
	v_mul_f64 v[67:68], v[13:14], v[145:146]
	v_mul_f64 v[57:58], v[11:12], v[145:146]
	s_waitcnt vmcnt(49)
	v_fma_f64 v[47:48], v[15:16], v[51:52], -v[47:48]
	v_fma_f64 v[31:32], v[17:18], v[51:52], v[31:32]
	ds_read_b128 v[15:18], v150 offset:1248
	v_add_f64 v[19:20], v[19:20], v[49:50]
	v_add_f64 v[21:22], v[21:22], v[37:38]
	s_waitcnt vmcnt(45) lgkmcnt(1)
	v_mul_f64 v[49:50], v[3:4], v[53:54]
	s_waitcnt vmcnt(44)
	v_fma_f64 v[51:52], v[11:12], v[147:148], -v[67:68]
	v_mul_f64 v[37:38], v[1:2], v[53:54]
	v_add_f64 v[19:20], v[19:20], v[47:48]
	v_fma_f64 v[47:48], v[13:14], v[147:148], v[57:58]
	v_add_f64 v[21:22], v[21:22], v[31:32]
	ds_read_b128 v[11:14], v150 offset:1264
	s_waitcnt vmcnt(43) lgkmcnt(1)
	v_mul_f64 v[53:54], v[17:18], v[167:168]
	v_mul_f64 v[31:32], v[15:16], v[167:168]
	s_waitcnt vmcnt(41)
	v_fma_f64 v[49:50], v[1:2], v[59:60], -v[49:50]
	v_fma_f64 v[37:38], v[3:4], v[59:60], v[37:38]
	ds_read_b128 v[1:4], v150 offset:1280
	v_add_f64 v[19:20], v[19:20], v[51:52]
	v_add_f64 v[21:22], v[21:22], v[47:48]
	s_waitcnt vmcnt(37) lgkmcnt(1)
	v_mul_f64 v[51:52], v[13:14], v[65:66]
	s_waitcnt vmcnt(36)
	v_fma_f64 v[53:54], v[15:16], v[171:172], -v[53:54]
	v_mul_f64 v[47:48], v[11:12], v[65:66]
	v_fma_f64 v[31:32], v[17:18], v[171:172], v[31:32]
	ds_read_b128 v[15:18], v150 offset:1296
	v_add_f64 v[19:20], v[19:20], v[49:50]
	v_add_f64 v[21:22], v[21:22], v[37:38]
	s_waitcnt vmcnt(35) lgkmcnt(1)
	v_mul_f64 v[49:50], v[3:4], v[157:158]
	v_mul_f64 v[37:38], v[1:2], v[157:158]
	s_waitcnt vmcnt(33)
	v_fma_f64 v[51:52], v[11:12], v[71:72], -v[51:52]
	v_fma_f64 v[47:48], v[13:14], v[71:72], v[47:48]
	ds_read_b128 v[11:14], v150 offset:1312
	v_add_f64 v[19:20], v[19:20], v[53:54]
	v_add_f64 v[21:22], v[21:22], v[31:32]
	s_waitcnt vmcnt(29) lgkmcnt(1)
	v_mul_f64 v[53:54], v[17:18], v[163:164]
	s_waitcnt vmcnt(28)
	v_fma_f64 v[49:50], v[1:2], v[176:177], -v[49:50]
	v_mul_f64 v[31:32], v[15:16], v[163:164]
	v_fma_f64 v[37:38], v[3:4], v[176:177], v[37:38]
	ds_read_b128 v[1:4], v150 offset:1328
	v_add_f64 v[19:20], v[19:20], v[51:52]
	v_add_f64 v[21:22], v[21:22], v[47:48]
	s_waitcnt vmcnt(27) lgkmcnt(1)
	v_mul_f64 v[51:52], v[13:14], v[169:170]
	v_mul_f64 v[47:48], v[11:12], v[169:170]
	s_waitcnt vmcnt(25)
	v_fma_f64 v[53:54], v[15:16], v[25:26], -v[53:54]
	v_fma_f64 v[25:26], v[17:18], v[25:26], v[31:32]
	ds_read_b128 v[15:18], v150 offset:1344
	v_add_f64 v[19:20], v[19:20], v[49:50]
	v_add_f64 v[21:22], v[21:22], v[37:38]
	s_waitcnt vmcnt(21) lgkmcnt(1)
	v_mul_f64 v[31:32], v[1:2], v[33:34]
	v_mul_f64 v[33:34], v[3:4], v[33:34]
	s_waitcnt vmcnt(20)
	v_fma_f64 v[37:38], v[11:12], v[173:174], -v[51:52]
	;; [unrolled: 9-line block ×3, first 2 shown]
	v_fma_f64 v[27:28], v[3:4], v[27:28], v[31:32]
	ds_read_b128 v[1:4], v150 offset:1376
	v_add_f64 v[19:20], v[19:20], v[37:38]
	v_add_f64 v[21:22], v[21:22], v[47:48]
	s_waitcnt vmcnt(13) lgkmcnt(1)
	v_mul_f64 v[37:38], v[13:14], v[151:152]
	s_waitcnt vmcnt(12)
	v_fma_f64 v[47:48], v[15:16], v[178:179], -v[49:50]
	v_mul_f64 v[31:32], v[11:12], v[151:152]
	v_fma_f64 v[25:26], v[17:18], v[178:179], v[25:26]
	ds_read_b128 v[15:18], v150 offset:1392
	v_add_f64 v[19:20], v[19:20], v[33:34]
	v_add_f64 v[21:22], v[21:22], v[27:28]
	s_waitcnt vmcnt(11) lgkmcnt(1)
	v_mul_f64 v[33:34], v[3:4], v[153:154]
	v_mul_f64 v[27:28], v[1:2], v[153:154]
	s_waitcnt vmcnt(9)
	v_fma_f64 v[11:12], v[11:12], v[35:36], -v[37:38]
	v_fma_f64 v[13:14], v[13:14], v[35:36], v[31:32]
	v_add_f64 v[19:20], v[19:20], v[47:48]
	v_add_f64 v[21:22], v[21:22], v[25:26]
	s_waitcnt vmcnt(7) lgkmcnt(0)
	v_mul_f64 v[25:26], v[15:16], v[23:24]
	v_mul_f64 v[23:24], v[17:18], v[23:24]
	s_waitcnt vmcnt(6)
	v_fma_f64 v[1:2], v[1:2], v[165:166], -v[33:34]
	v_fma_f64 v[3:4], v[3:4], v[165:166], v[27:28]
	v_add_f64 v[11:12], v[19:20], v[11:12]
	v_add_f64 v[13:14], v[21:22], v[13:14]
	s_waitcnt vmcnt(4)
	v_fma_f64 v[15:16], v[15:16], v[45:46], -v[23:24]
	v_add_f64 v[1:2], v[11:12], v[1:2]
	v_fma_f64 v[11:12], v[17:18], v[45:46], v[25:26]
	v_add_f64 v[3:4], v[13:14], v[3:4]
	v_add_f64 v[1:2], v[1:2], v[15:16]
	;; [unrolled: 1-line block ×3, first 2 shown]
	s_waitcnt vmcnt(2)
	v_add_f64 v[1:2], v[39:40], -v[1:2]
	s_waitcnt vmcnt(0)
	v_add_f64 v[3:4], v[55:56], -v[3:4]
	buffer_store_dword v2, off, s[0:3], 0 offset:36
	buffer_store_dword v1, off, s[0:3], 0 offset:32
	;; [unrolled: 1-line block ×4, first 2 shown]
	v_cmpx_ne_u32_e32 0, v0
	s_cbranch_execz .LBB43_277
; %bb.276:
	s_clause 0x3
	buffer_load_dword v0, off, s[0:3], 0 offset:16
	buffer_load_dword v1, off, s[0:3], 0 offset:20
	;; [unrolled: 1-line block ×4, first 2 shown]
	v_mov_b32_e32 v4, 0
	buffer_store_dword v4, off, s[0:3], 0 offset:16
	buffer_store_dword v4, off, s[0:3], 0 offset:20
	;; [unrolled: 1-line block ×4, first 2 shown]
	s_waitcnt vmcnt(0)
	ds_write_b128 v149, v[0:3]
.LBB43_277:
	s_or_b32 exec_lo, exec_lo, s4
	s_waitcnt lgkmcnt(0)
	s_waitcnt_vscnt null, 0x0
	s_barrier
	buffer_gl0_inv
	s_clause 0x37
	buffer_load_dword v15, off, s[0:3], 0 offset:40
	buffer_load_dword v16, off, s[0:3], 0 offset:44
	;; [unrolled: 1-line block ×56, first 2 shown]
	v_mov_b32_e32 v4, 0
	s_and_b32 vcc_lo, exec_lo, s56
	ds_read_b128 v[149:152], v4 offset:720
	s_clause 0x2
	buffer_load_dword v146, off, s[0:3], 0 offset:268
	buffer_load_dword v148, off, s[0:3], 0 offset:244
	;; [unrolled: 1-line block ×3, first 2 shown]
	ds_read_b128 v[153:156], v4 offset:736
	s_clause 0x4
	buffer_load_dword v164, off, s[0:3], 0 offset:284
	buffer_load_dword v165, off, s[0:3], 0 offset:296
	;; [unrolled: 1-line block ×5, first 2 shown]
	ds_read_b128 v[157:160], v4 offset:752
	s_clause 0x2
	buffer_load_dword v166, off, s[0:3], 0 offset:300
	buffer_load_dword v171, off, s[0:3], 0 offset:276
	;; [unrolled: 1-line block ×3, first 2 shown]
	s_waitcnt vmcnt(62) lgkmcnt(2)
	v_mul_f64 v[161:162], v[151:152], v[15:16]
	v_mul_f64 v[15:16], v[149:150], v[15:16]
	s_waitcnt lgkmcnt(1)
	v_mul_f64 v[168:169], v[155:156], v[11:12]
	s_waitcnt vmcnt(59) lgkmcnt(0)
	v_mul_f64 v[172:173], v[159:160], v[2:3]
	v_fma_f64 v[149:150], v[149:150], v[13:14], -v[161:162]
	v_mul_f64 v[161:162], v[153:154], v[11:12]
	v_fma_f64 v[15:16], v[151:152], v[13:14], v[15:16]
	s_waitcnt vmcnt(57)
	v_fma_f64 v[153:154], v[153:154], v[0:1], -v[168:169]
	ds_read_b128 v[11:14], v4 offset:768
	v_mul_f64 v[151:152], v[157:158], v[2:3]
	s_waitcnt vmcnt(51)
	v_fma_f64 v[157:158], v[157:158], v[33:34], -v[172:173]
	v_add_f64 v[149:150], v[149:150], 0
	v_fma_f64 v[155:156], v[155:156], v[0:1], v[161:162]
	v_add_f64 v[15:16], v[15:16], 0
	s_clause 0x4
	buffer_load_dword v162, off, s[0:3], 0 offset:316
	buffer_load_dword v174, off, s[0:3], 0 offset:328
	;; [unrolled: 1-line block ×5, first 2 shown]
	s_waitcnt lgkmcnt(0)
	v_mul_f64 v[177:178], v[11:12], v[19:20]
	v_mul_f64 v[19:20], v[13:14], v[19:20]
	ds_read_b128 v[0:3], v4 offset:784
	v_fma_f64 v[33:34], v[159:160], v[33:34], v[151:152]
	v_add_f64 v[153:154], v[149:150], v[153:154]
	v_add_f64 v[15:16], v[15:16], v[155:156]
	s_clause 0x2
	buffer_load_dword v175, off, s[0:3], 0 offset:332
	buffer_load_dword v156, off, s[0:3], 0 offset:308
	;; [unrolled: 1-line block ×3, first 2 shown]
	s_waitcnt vmcnt(58) lgkmcnt(0)
	v_mul_f64 v[159:160], v[0:1], v[23:24]
	v_mul_f64 v[23:24], v[2:3], v[23:24]
	s_waitcnt vmcnt(56)
	v_fma_f64 v[19:20], v[11:12], v[25:26], -v[19:20]
	ds_read_b128 v[149:152], v4 offset:800
	v_fma_f64 v[25:26], v[13:14], v[25:26], v[177:178]
	v_add_f64 v[153:154], v[153:154], v[157:158]
	v_add_f64 v[15:16], v[15:16], v[33:34]
	s_clause 0x4
	buffer_load_dword v34, off, s[0:3], 0 offset:348
	buffer_load_dword v157, off, s[0:3], 0 offset:360
	;; [unrolled: 1-line block ×5, first 2 shown]
	ds_read_b128 v[11:14], v4 offset:816
	s_waitcnt vmcnt(57) lgkmcnt(1)
	v_mul_f64 v[178:179], v[149:150], v[27:28]
	v_mul_f64 v[27:28], v[151:152], v[27:28]
	s_waitcnt vmcnt(56)
	v_fma_f64 v[23:24], v[0:1], v[17:18], -v[23:24]
	v_fma_f64 v[17:18], v[2:3], v[17:18], v[159:160]
	v_add_f64 v[19:20], v[153:154], v[19:20]
	v_add_f64 v[15:16], v[15:16], v[25:26]
	s_clause 0x2
	buffer_load_dword v158, off, s[0:3], 0 offset:364
	buffer_load_dword v26, off, s[0:3], 0 offset:340
	buffer_load_dword v25, off, s[0:3], 0 offset:336
	s_waitcnt vmcnt(58) lgkmcnt(0)
	v_mul_f64 v[153:154], v[11:12], v[35:36]
	v_mul_f64 v[35:36], v[13:14], v[35:36]
	s_waitcnt vmcnt(56)
	v_fma_f64 v[27:28], v[149:150], v[37:38], -v[27:28]
	ds_read_b128 v[0:3], v4 offset:832
	v_add_f64 v[19:20], v[19:20], v[23:24]
	v_fma_f64 v[23:24], v[151:152], v[37:38], v[178:179]
	v_add_f64 v[37:38], v[15:16], v[17:18]
	s_clause 0x4
	buffer_load_dword v150, off, s[0:3], 0 offset:380
	buffer_load_dword v151, off, s[0:3], 0 offset:392
	;; [unrolled: 1-line block ×5, first 2 shown]
	ds_read_b128 v[15:18], v4 offset:848
	s_waitcnt vmcnt(57) lgkmcnt(1)
	v_mul_f64 v[178:179], v[0:1], v[39:40]
	v_mul_f64 v[39:40], v[2:3], v[39:40]
	s_waitcnt vmcnt(56)
	v_fma_f64 v[35:36], v[11:12], v[21:22], -v[35:36]
	v_fma_f64 v[21:22], v[13:14], v[21:22], v[153:154]
	v_add_f64 v[19:20], v[19:20], v[27:28]
	s_clause 0x2
	buffer_load_dword v152, off, s[0:3], 0 offset:396
	buffer_load_dword v28, off, s[0:3], 0 offset:372
	buffer_load_dword v27, off, s[0:3], 0 offset:368
	v_add_f64 v[23:24], v[37:38], v[23:24]
	s_waitcnt vmcnt(58) lgkmcnt(0)
	v_mul_f64 v[37:38], v[15:16], v[47:48]
	v_mul_f64 v[47:48], v[17:18], v[47:48]
	ds_read_b128 v[11:14], v4 offset:864
	s_waitcnt vmcnt(56)
	v_fma_f64 v[39:40], v[0:1], v[49:50], -v[39:40]
	v_add_f64 v[19:20], v[19:20], v[35:36]
	v_fma_f64 v[35:36], v[2:3], v[49:50], v[178:179]
	v_add_f64 v[21:22], v[23:24], v[21:22]
	s_clause 0x4
	buffer_load_dword v24, off, s[0:3], 0 offset:412
	buffer_load_dword v49, off, s[0:3], 0 offset:424
	;; [unrolled: 1-line block ×5, first 2 shown]
	s_waitcnt vmcnt(57) lgkmcnt(0)
	v_mul_f64 v[178:179], v[11:12], v[51:52]
	v_mul_f64 v[51:52], v[13:14], v[51:52]
	s_waitcnt vmcnt(56)
	v_fma_f64 v[47:48], v[15:16], v[31:32], -v[47:48]
	ds_read_b128 v[0:3], v4 offset:880
	v_fma_f64 v[31:32], v[17:18], v[31:32], v[37:38]
	v_add_f64 v[19:20], v[19:20], v[39:40]
	v_add_f64 v[21:22], v[21:22], v[35:36]
	s_clause 0x2
	buffer_load_dword v50, off, s[0:3], 0 offset:428
	buffer_load_dword v36, off, s[0:3], 0 offset:404
	;; [unrolled: 1-line block ×3, first 2 shown]
	ds_read_b128 v[15:18], v4 offset:896
	s_waitcnt vmcnt(58) lgkmcnt(1)
	v_mul_f64 v[39:40], v[2:3], v[55:56]
	s_waitcnt vmcnt(56)
	v_fma_f64 v[51:52], v[11:12], v[57:58], -v[51:52]
	v_mul_f64 v[37:38], v[0:1], v[55:56]
	v_add_f64 v[19:20], v[19:20], v[47:48]
	v_fma_f64 v[47:48], v[13:14], v[57:58], v[178:179]
	v_add_f64 v[21:22], v[21:22], v[31:32]
	s_clause 0x4
	buffer_load_dword v32, off, s[0:3], 0 offset:444
	buffer_load_dword v55, off, s[0:3], 0 offset:456
	;; [unrolled: 1-line block ×5, first 2 shown]
	s_waitcnt vmcnt(57) lgkmcnt(0)
	v_mul_f64 v[178:179], v[15:16], v[59:60]
	v_mul_f64 v[58:59], v[17:18], v[59:60]
	s_waitcnt vmcnt(56)
	v_fma_f64 v[39:40], v[0:1], v[45:46], -v[39:40]
	ds_read_b128 v[11:14], v4 offset:912
	v_fma_f64 v[37:38], v[2:3], v[45:46], v[37:38]
	s_clause 0x2
	buffer_load_dword v56, off, s[0:3], 0 offset:460
	buffer_load_dword v46, off, s[0:3], 0 offset:436
	;; [unrolled: 1-line block ×3, first 2 shown]
	ds_read_b128 v[0:3], v4 offset:928
	v_add_f64 v[19:20], v[19:20], v[51:52]
	v_add_f64 v[21:22], v[21:22], v[47:48]
	s_waitcnt vmcnt(58) lgkmcnt(1)
	v_mul_f64 v[51:52], v[13:14], v[67:68]
	s_waitcnt vmcnt(56)
	v_fma_f64 v[59:60], v[15:16], v[69:70], -v[58:59]
	v_mul_f64 v[47:48], v[11:12], v[67:68]
	v_add_f64 v[19:20], v[19:20], v[39:40]
	v_fma_f64 v[39:40], v[17:18], v[69:70], v[178:179]
	v_add_f64 v[21:22], v[21:22], v[37:38]
	s_clause 0x4
	buffer_load_dword v38, off, s[0:3], 0 offset:476
	buffer_load_dword v67, off, s[0:3], 0 offset:488
	;; [unrolled: 1-line block ×5, first 2 shown]
	s_waitcnt vmcnt(57) lgkmcnt(0)
	v_mul_f64 v[178:179], v[0:1], v[71:72]
	v_mul_f64 v[70:71], v[2:3], v[71:72]
	s_waitcnt vmcnt(56)
	v_fma_f64 v[51:52], v[11:12], v[53:54], -v[51:52]
	ds_read_b128 v[15:18], v4 offset:944
	v_fma_f64 v[47:48], v[13:14], v[53:54], v[47:48]
	v_add_f64 v[19:20], v[19:20], v[59:60]
	v_add_f64 v[21:22], v[21:22], v[39:40]
	s_clause 0x2
	buffer_load_dword v68, off, s[0:3], 0 offset:492
	buffer_load_dword v40, off, s[0:3], 0 offset:468
	;; [unrolled: 1-line block ×3, first 2 shown]
	ds_read_b128 v[11:14], v4 offset:960
	s_waitcnt vmcnt(58) lgkmcnt(1)
	v_mul_f64 v[59:60], v[17:18], v[145:146]
	s_waitcnt vmcnt(56)
	v_fma_f64 v[71:72], v[0:1], v[147:148], -v[70:71]
	v_mul_f64 v[53:54], v[15:16], v[145:146]
	v_add_f64 v[19:20], v[19:20], v[51:52]
	v_fma_f64 v[51:52], v[2:3], v[147:148], v[178:179]
	v_add_f64 v[21:22], v[21:22], v[47:48]
	s_clause 0x4
	buffer_load_dword v48, off, s[0:3], 0 offset:508
	buffer_load_dword v145, off, s[0:3], 0 offset:520
	;; [unrolled: 1-line block ×5, first 2 shown]
	s_waitcnt vmcnt(57) lgkmcnt(0)
	v_mul_f64 v[178:179], v[11:12], v[163:164]
	v_mul_f64 v[163:164], v[13:14], v[163:164]
	s_waitcnt vmcnt(56)
	v_fma_f64 v[59:60], v[15:16], v[65:66], -v[59:60]
	ds_read_b128 v[0:3], v4 offset:976
	v_fma_f64 v[53:54], v[17:18], v[65:66], v[53:54]
	v_add_f64 v[19:20], v[19:20], v[71:72]
	v_add_f64 v[21:22], v[21:22], v[51:52]
	s_clause 0x2
	buffer_load_dword v146, off, s[0:3], 0 offset:524
	buffer_load_dword v52, off, s[0:3], 0 offset:500
	;; [unrolled: 1-line block ×3, first 2 shown]
	ds_read_b128 v[15:18], v4 offset:992
	s_waitcnt vmcnt(58) lgkmcnt(1)
	v_mul_f64 v[71:72], v[2:3], v[165:166]
	s_waitcnt vmcnt(56)
	v_fma_f64 v[163:164], v[11:12], v[170:171], -v[163:164]
	v_mul_f64 v[65:66], v[0:1], v[165:166]
	v_add_f64 v[19:20], v[19:20], v[59:60]
	v_fma_f64 v[59:60], v[13:14], v[170:171], v[178:179]
	v_add_f64 v[21:22], v[21:22], v[53:54]
	s_clause 0x4
	buffer_load_dword v54, off, s[0:3], 0 offset:540
	buffer_load_dword v165, off, s[0:3], 0 offset:552
	;; [unrolled: 1-line block ×5, first 2 shown]
	ds_read_b128 v[11:14], v4 offset:1008
	s_waitcnt vmcnt(57) lgkmcnt(1)
	v_mul_f64 v[170:171], v[15:16], v[161:162]
	v_mul_f64 v[161:162], v[17:18], v[161:162]
	s_waitcnt vmcnt(56)
	v_fma_f64 v[71:72], v[0:1], v[167:168], -v[71:72]
	v_fma_f64 v[65:66], v[2:3], v[167:168], v[65:66]
	v_add_f64 v[19:20], v[19:20], v[163:164]
	v_add_f64 v[21:22], v[21:22], v[59:60]
	s_clause 0x2
	buffer_load_dword v166, off, s[0:3], 0 offset:556
	buffer_load_dword v60, off, s[0:3], 0 offset:532
	;; [unrolled: 1-line block ×3, first 2 shown]
	ds_read_b128 v[0:3], v4 offset:1024
	s_waitcnt vmcnt(58) lgkmcnt(1)
	v_mul_f64 v[167:168], v[13:14], v[174:175]
	v_mul_f64 v[163:164], v[11:12], v[174:175]
	s_waitcnt vmcnt(56)
	v_fma_f64 v[161:162], v[15:16], v[155:156], -v[161:162]
	v_add_f64 v[19:20], v[19:20], v[71:72]
	v_fma_f64 v[71:72], v[17:18], v[155:156], v[170:171]
	v_add_f64 v[21:22], v[21:22], v[65:66]
	s_clause 0x4
	buffer_load_dword v66, off, s[0:3], 0 offset:572
	buffer_load_dword v155, off, s[0:3], 0 offset:584
	buffer_load_dword v174, off, s[0:3], 0 offset:576
	buffer_load_dword v65, off, s[0:3], 0 offset:568
	buffer_load_dword v170, off, s[0:3], 0 offset:548
	ds_read_b128 v[15:18], v4 offset:1040
	s_waitcnt vmcnt(57) lgkmcnt(1)
	v_mul_f64 v[178:179], v[0:1], v[33:34]
	v_mul_f64 v[33:34], v[2:3], v[33:34]
	s_waitcnt vmcnt(56)
	v_fma_f64 v[167:168], v[11:12], v[176:177], -v[167:168]
	v_add_f64 v[19:20], v[19:20], v[161:162]
	v_fma_f64 v[161:162], v[13:14], v[176:177], v[163:164]
	v_add_f64 v[21:22], v[21:22], v[71:72]
	s_clause 0x2
	buffer_load_dword v156, off, s[0:3], 0 offset:588
	buffer_load_dword v72, off, s[0:3], 0 offset:564
	buffer_load_dword v71, off, s[0:3], 0 offset:560
	ds_read_b128 v[11:14], v4 offset:1056
	s_waitcnt vmcnt(58) lgkmcnt(1)
	v_mul_f64 v[163:164], v[15:16], v[157:158]
	v_mul_f64 v[157:158], v[17:18], v[157:158]
	s_waitcnt vmcnt(56)
	v_fma_f64 v[33:34], v[0:1], v[25:26], -v[33:34]
	v_fma_f64 v[25:26], v[2:3], v[25:26], v[178:179]
	v_add_f64 v[19:20], v[19:20], v[167:168]
	v_add_f64 v[21:22], v[21:22], v[161:162]
	s_clause 0x4
	buffer_load_dword v162, off, s[0:3], 0 offset:604
	buffer_load_dword v167, off, s[0:3], 0 offset:616
	buffer_load_dword v171, off, s[0:3], 0 offset:608
	buffer_load_dword v161, off, s[0:3], 0 offset:600
	buffer_load_dword v175, off, s[0:3], 0 offset:580
	ds_read_b128 v[0:3], v4 offset:1072
	s_waitcnt vmcnt(57) lgkmcnt(1)
	v_mul_f64 v[176:177], v[11:12], v[149:150]
	v_mul_f64 v[149:150], v[13:14], v[149:150]
	s_waitcnt vmcnt(56)
	v_fma_f64 v[157:158], v[15:16], v[172:173], -v[157:158]
	v_add_f64 v[19:20], v[19:20], v[33:34]
	v_fma_f64 v[33:34], v[17:18], v[172:173], v[163:164]
	v_add_f64 v[21:22], v[21:22], v[25:26]
	s_clause 0x2
	buffer_load_dword v168, off, s[0:3], 0 offset:620
	buffer_load_dword v26, off, s[0:3], 0 offset:596
	buffer_load_dword v25, off, s[0:3], 0 offset:592
	ds_read_b128 v[15:18], v4 offset:1088
	s_waitcnt vmcnt(58) lgkmcnt(1)
	v_mul_f64 v[163:164], v[0:1], v[151:152]
	v_mul_f64 v[151:152], v[2:3], v[151:152]
	s_waitcnt vmcnt(56)
	v_fma_f64 v[149:150], v[11:12], v[27:28], -v[149:150]
	v_fma_f64 v[27:28], v[13:14], v[27:28], v[176:177]
	v_add_f64 v[19:20], v[19:20], v[157:158]
	;; [unrolled: 28-line block ×3, first 2 shown]
	v_add_f64 v[21:22], v[21:22], v[149:150]
	s_clause 0x4
	buffer_load_dword v150, off, s[0:3], 0 offset:668
	buffer_load_dword v151, off, s[0:3], 0 offset:680
	;; [unrolled: 1-line block ×5, first 2 shown]
	ds_read_b128 v[15:18], v4 offset:1136
	s_waitcnt vmcnt(57) lgkmcnt(1)
	v_mul_f64 v[178:179], v[0:1], v[31:32]
	v_mul_f64 v[31:32], v[2:3], v[31:32]
	s_waitcnt vmcnt(56)
	v_fma_f64 v[49:50], v[11:12], v[153:154], -v[49:50]
	v_add_f64 v[19:20], v[19:20], v[23:24]
	v_fma_f64 v[23:24], v[13:14], v[153:154], v[159:160]
	v_add_f64 v[21:22], v[21:22], v[35:36]
	s_clause 0x2
	buffer_load_dword v152, off, s[0:3], 0 offset:684
	buffer_load_dword v36, off, s[0:3], 0 offset:660
	;; [unrolled: 1-line block ×3, first 2 shown]
	s_waitcnt vmcnt(58) lgkmcnt(0)
	v_mul_f64 v[153:154], v[15:16], v[55:56]
	v_mul_f64 v[55:56], v[17:18], v[55:56]
	ds_read_b128 v[11:14], v4 offset:1152
	s_waitcnt vmcnt(56)
	v_fma_f64 v[31:32], v[0:1], v[45:46], -v[31:32]
	v_fma_f64 v[45:46], v[2:3], v[45:46], v[178:179]
	v_add_f64 v[19:20], v[19:20], v[49:50]
	v_add_f64 v[21:22], v[21:22], v[23:24]
	s_clause 0x4
	buffer_load_dword v24, off, s[0:3], 0 offset:700
	buffer_load_dword v49, off, s[0:3], 0 offset:712
	;; [unrolled: 1-line block ×5, first 2 shown]
	ds_read_b128 v[0:3], v4 offset:1168
	s_waitcnt vmcnt(57) lgkmcnt(1)
	v_mul_f64 v[178:179], v[11:12], v[37:38]
	v_mul_f64 v[37:38], v[13:14], v[37:38]
	s_waitcnt vmcnt(56)
	v_fma_f64 v[55:56], v[15:16], v[57:58], -v[55:56]
	v_add_f64 v[19:20], v[19:20], v[31:32]
	v_fma_f64 v[31:32], v[17:18], v[57:58], v[153:154]
	v_add_f64 v[21:22], v[21:22], v[45:46]
	s_clause 0x2
	buffer_load_dword v50, off, s[0:3], 0 offset:716
	buffer_load_dword v46, off, s[0:3], 0 offset:692
	;; [unrolled: 1-line block ×3, first 2 shown]
	ds_read_b128 v[15:18], v4 offset:1184
	buffer_load_dword v160, off, s[0:3], 0 offset:708
	s_waitcnt vmcnt(59) lgkmcnt(1)
	v_mul_f64 v[57:58], v[0:1], v[67:68]
	v_mul_f64 v[67:68], v[2:3], v[67:68]
	s_waitcnt vmcnt(57)
	v_fma_f64 v[37:38], v[11:12], v[39:40], -v[37:38]
	v_fma_f64 v[39:40], v[13:14], v[39:40], v[178:179]
	ds_read_b128 v[11:14], v4 offset:1200
	v_add_f64 v[19:20], v[19:20], v[55:56]
	v_add_f64 v[21:22], v[21:22], v[31:32]
	s_waitcnt vmcnt(53) lgkmcnt(1)
	v_mul_f64 v[31:32], v[15:16], v[47:48]
	v_mul_f64 v[47:48], v[17:18], v[47:48]
	s_waitcnt vmcnt(52)
	v_fma_f64 v[55:56], v[0:1], v[69:70], -v[67:68]
	v_add_f64 v[19:20], v[19:20], v[37:38]
	v_fma_f64 v[37:38], v[2:3], v[69:70], v[57:58]
	v_add_f64 v[21:22], v[21:22], v[39:40]
	ds_read_b128 v[0:3], v4 offset:1216
	s_waitcnt vmcnt(51) lgkmcnt(1)
	v_mul_f64 v[57:58], v[13:14], v[145:146]
	v_mul_f64 v[39:40], v[11:12], v[145:146]
	s_waitcnt vmcnt(49)
	v_fma_f64 v[47:48], v[15:16], v[51:52], -v[47:48]
	v_fma_f64 v[31:32], v[17:18], v[51:52], v[31:32]
	v_add_f64 v[19:20], v[19:20], v[55:56]
	v_add_f64 v[21:22], v[21:22], v[37:38]
	s_clause 0x3
	buffer_load_dword v37, off, s[0:3], 0 offset:16
	buffer_load_dword v38, off, s[0:3], 0 offset:20
	;; [unrolled: 1-line block ×4, first 2 shown]
	ds_read_b128 v[15:18], v4 offset:1232
	s_waitcnt vmcnt(49) lgkmcnt(1)
	v_mul_f64 v[55:56], v[0:1], v[53:54]
	v_mul_f64 v[53:54], v[2:3], v[53:54]
	s_waitcnt vmcnt(48)
	v_fma_f64 v[57:58], v[11:12], v[147:148], -v[57:58]
	v_fma_f64 v[39:40], v[13:14], v[147:148], v[39:40]
	ds_read_b128 v[11:14], v4 offset:1248
	v_add_f64 v[19:20], v[19:20], v[47:48]
	v_add_f64 v[21:22], v[21:22], v[31:32]
	s_waitcnt vmcnt(47) lgkmcnt(1)
	v_mul_f64 v[47:48], v[17:18], v[165:166]
	v_mul_f64 v[31:32], v[15:16], v[165:166]
	s_waitcnt vmcnt(45)
	v_fma_f64 v[53:54], v[0:1], v[59:60], -v[53:54]
	v_fma_f64 v[55:56], v[2:3], v[59:60], v[55:56]
	ds_read_b128 v[0:3], v4 offset:1264
	v_add_f64 v[19:20], v[19:20], v[57:58]
	v_add_f64 v[21:22], v[21:22], v[39:40]
	s_waitcnt vmcnt(41) lgkmcnt(1)
	v_mul_f64 v[57:58], v[13:14], v[65:66]
	s_waitcnt vmcnt(40)
	v_fma_f64 v[47:48], v[15:16], v[169:170], -v[47:48]
	v_mul_f64 v[39:40], v[11:12], v[65:66]
	v_fma_f64 v[31:32], v[17:18], v[169:170], v[31:32]
	ds_read_b128 v[15:18], v4 offset:1280
	v_add_f64 v[19:20], v[19:20], v[53:54]
	v_add_f64 v[21:22], v[21:22], v[55:56]
	s_waitcnt vmcnt(39) lgkmcnt(1)
	v_mul_f64 v[55:56], v[2:3], v[155:156]
	v_mul_f64 v[53:54], v[0:1], v[155:156]
	s_waitcnt vmcnt(37)
	v_fma_f64 v[57:58], v[11:12], v[71:72], -v[57:58]
	v_fma_f64 v[39:40], v[13:14], v[71:72], v[39:40]
	ds_read_b128 v[11:14], v4 offset:1296
	v_add_f64 v[19:20], v[19:20], v[47:48]
	v_add_f64 v[21:22], v[21:22], v[31:32]
	s_waitcnt vmcnt(33) lgkmcnt(1)
	v_mul_f64 v[47:48], v[17:18], v[161:162]
	s_waitcnt vmcnt(32)
	v_fma_f64 v[55:56], v[0:1], v[174:175], -v[55:56]
	v_mul_f64 v[31:32], v[15:16], v[161:162]
	v_fma_f64 v[53:54], v[2:3], v[174:175], v[53:54]
	ds_read_b128 v[0:3], v4 offset:1312
	v_add_f64 v[19:20], v[19:20], v[57:58]
	v_add_f64 v[21:22], v[21:22], v[39:40]
	s_waitcnt vmcnt(31) lgkmcnt(1)
	v_mul_f64 v[57:58], v[13:14], v[167:168]
	v_mul_f64 v[39:40], v[11:12], v[167:168]
	s_waitcnt vmcnt(29)
	v_fma_f64 v[47:48], v[15:16], v[25:26], -v[47:48]
	v_fma_f64 v[25:26], v[17:18], v[25:26], v[31:32]
	ds_read_b128 v[15:18], v4 offset:1328
	v_add_f64 v[19:20], v[19:20], v[55:56]
	v_add_f64 v[21:22], v[21:22], v[53:54]
	s_waitcnt vmcnt(25) lgkmcnt(1)
	v_mul_f64 v[31:32], v[0:1], v[33:34]
	v_mul_f64 v[33:34], v[2:3], v[33:34]
	s_waitcnt vmcnt(24)
	v_fma_f64 v[53:54], v[11:12], v[171:172], -v[57:58]
	;; [unrolled: 9-line block ×3, first 2 shown]
	v_fma_f64 v[27:28], v[2:3], v[27:28], v[31:32]
	ds_read_b128 v[0:3], v4 offset:1360
	v_add_f64 v[19:20], v[19:20], v[53:54]
	v_add_f64 v[21:22], v[21:22], v[39:40]
	s_waitcnt vmcnt(17) lgkmcnt(1)
	v_mul_f64 v[39:40], v[13:14], v[149:150]
	s_waitcnt vmcnt(16)
	v_fma_f64 v[47:48], v[15:16], v[176:177], -v[47:48]
	v_mul_f64 v[31:32], v[11:12], v[149:150]
	v_fma_f64 v[25:26], v[17:18], v[176:177], v[25:26]
	ds_read_b128 v[15:18], v4 offset:1376
	v_add_f64 v[19:20], v[19:20], v[33:34]
	v_add_f64 v[21:22], v[21:22], v[27:28]
	s_waitcnt vmcnt(15) lgkmcnt(1)
	v_mul_f64 v[33:34], v[2:3], v[151:152]
	v_mul_f64 v[27:28], v[0:1], v[151:152]
	s_waitcnt vmcnt(13)
	v_fma_f64 v[39:40], v[11:12], v[35:36], -v[39:40]
	v_fma_f64 v[31:32], v[13:14], v[35:36], v[31:32]
	ds_read_b128 v[11:14], v4 offset:1392
	v_add_f64 v[19:20], v[19:20], v[47:48]
	v_add_f64 v[21:22], v[21:22], v[25:26]
	s_waitcnt vmcnt(9) lgkmcnt(1)
	v_mul_f64 v[25:26], v[15:16], v[23:24]
	v_mul_f64 v[23:24], v[17:18], v[23:24]
	s_waitcnt vmcnt(8)
	v_fma_f64 v[0:1], v[0:1], v[163:164], -v[33:34]
	v_fma_f64 v[2:3], v[2:3], v[163:164], v[27:28]
	v_add_f64 v[19:20], v[19:20], v[39:40]
	v_add_f64 v[21:22], v[21:22], v[31:32]
	s_waitcnt vmcnt(7) lgkmcnt(0)
	v_mul_f64 v[31:32], v[13:14], v[49:50]
	v_mul_f64 v[27:28], v[11:12], v[49:50]
	s_waitcnt vmcnt(5)
	v_fma_f64 v[15:16], v[15:16], v[45:46], -v[23:24]
	v_fma_f64 v[17:18], v[17:18], v[45:46], v[25:26]
	v_add_f64 v[0:1], v[19:20], v[0:1]
	v_add_f64 v[2:3], v[21:22], v[2:3]
	s_waitcnt vmcnt(4)
	v_fma_f64 v[11:12], v[11:12], v[159:160], -v[31:32]
	v_fma_f64 v[13:14], v[13:14], v[159:160], v[27:28]
	v_add_f64 v[0:1], v[0:1], v[15:16]
	v_add_f64 v[2:3], v[2:3], v[17:18]
	v_add_f64 v[0:1], v[0:1], v[11:12]
	v_add_f64 v[2:3], v[2:3], v[13:14]
	s_waitcnt vmcnt(2)
	v_add_f64 v[0:1], v[37:38], -v[0:1]
	s_waitcnt vmcnt(0)
	v_add_f64 v[2:3], v[51:52], -v[2:3]
	buffer_store_dword v1, off, s[0:3], 0 offset:20
	buffer_store_dword v0, off, s[0:3], 0 offset:16
	buffer_store_dword v3, off, s[0:3], 0 offset:28
	buffer_store_dword v2, off, s[0:3], 0 offset:24
	s_cbranch_vccz .LBB43_364
; %bb.278:
	global_load_dword v0, v4, s[20:21] offset:168
	s_waitcnt vmcnt(0)
	v_add_nc_u32_e32 v0, -1, v0
	v_cmp_ne_u32_e32 vcc_lo, 42, v0
	s_cbranch_vccz .LBB43_280
; %bb.279:
	v_lshlrev_b32_e32 v0, 4, v0
	v_mov_b32_e32 v1, s9
	v_add_nc_u32_e32 v0, 16, v0
	s_clause 0x7
	buffer_load_dword v2, v0, s[0:3], 0 offen
	buffer_load_dword v3, v0, s[0:3], 0 offen offset:4
	buffer_load_dword v4, v0, s[0:3], 0 offen offset:8
	;; [unrolled: 1-line block ×6, first 2 shown]
	buffer_load_dword v15, v1, s[0:3], 0 offen
	s_waitcnt vmcnt(7)
	buffer_store_dword v2, v1, s[0:3], 0 offen
	s_waitcnt vmcnt(6)
	buffer_store_dword v3, v1, s[0:3], 0 offen offset:4
	s_waitcnt vmcnt(5)
	buffer_store_dword v4, v1, s[0:3], 0 offen offset:8
	;; [unrolled: 2-line block ×6, first 2 shown]
	s_waitcnt vmcnt(0)
	buffer_store_dword v15, v0, s[0:3], 0 offen
.LBB43_280:
	v_mov_b32_e32 v0, 0
	global_load_dword v1, v0, s[20:21] offset:164
	s_waitcnt vmcnt(0)
	v_add_nc_u32_e32 v1, -1, v1
	v_cmp_eq_u32_e32 vcc_lo, 41, v1
	s_cbranch_vccnz .LBB43_282
; %bb.281:
	v_lshlrev_b32_e32 v1, 4, v1
	v_mov_b32_e32 v2, s12
	v_add_nc_u32_e32 v1, 16, v1
	s_clause 0x7
	buffer_load_dword v3, v1, s[0:3], 0 offen
	buffer_load_dword v4, v1, s[0:3], 0 offen offset:4
	buffer_load_dword v11, v1, s[0:3], 0 offen offset:8
	;; [unrolled: 1-line block ×6, first 2 shown]
	buffer_load_dword v16, v2, s[0:3], 0 offen
	s_waitcnt vmcnt(7)
	buffer_store_dword v3, v2, s[0:3], 0 offen
	s_waitcnt vmcnt(6)
	buffer_store_dword v4, v2, s[0:3], 0 offen offset:4
	s_waitcnt vmcnt(5)
	buffer_store_dword v11, v2, s[0:3], 0 offen offset:8
	;; [unrolled: 2-line block ×6, first 2 shown]
	s_waitcnt vmcnt(0)
	buffer_store_dword v16, v1, s[0:3], 0 offen
.LBB43_282:
	global_load_dword v0, v0, s[20:21] offset:160
	s_waitcnt vmcnt(0)
	v_add_nc_u32_e32 v0, -1, v0
	v_cmp_eq_u32_e32 vcc_lo, 40, v0
	s_cbranch_vccnz .LBB43_284
; %bb.283:
	v_lshlrev_b32_e32 v0, 4, v0
	v_mov_b32_e32 v1, s13
	v_add_nc_u32_e32 v0, 16, v0
	s_clause 0x7
	buffer_load_dword v2, v0, s[0:3], 0 offen
	buffer_load_dword v3, v0, s[0:3], 0 offen offset:4
	buffer_load_dword v4, v0, s[0:3], 0 offen offset:8
	;; [unrolled: 1-line block ×6, first 2 shown]
	buffer_load_dword v15, v1, s[0:3], 0 offen
	s_waitcnt vmcnt(7)
	buffer_store_dword v2, v1, s[0:3], 0 offen
	s_waitcnt vmcnt(6)
	buffer_store_dword v3, v1, s[0:3], 0 offen offset:4
	s_waitcnt vmcnt(5)
	buffer_store_dword v4, v1, s[0:3], 0 offen offset:8
	;; [unrolled: 2-line block ×6, first 2 shown]
	s_waitcnt vmcnt(0)
	buffer_store_dword v15, v0, s[0:3], 0 offen
.LBB43_284:
	v_mov_b32_e32 v0, 0
	global_load_dword v1, v0, s[20:21] offset:156
	s_waitcnt vmcnt(0)
	v_add_nc_u32_e32 v1, -1, v1
	v_cmp_eq_u32_e32 vcc_lo, 39, v1
	s_cbranch_vccnz .LBB43_286
; %bb.285:
	v_lshlrev_b32_e32 v1, 4, v1
	v_mov_b32_e32 v2, s14
	v_add_nc_u32_e32 v1, 16, v1
	s_clause 0x7
	buffer_load_dword v3, v1, s[0:3], 0 offen
	buffer_load_dword v4, v1, s[0:3], 0 offen offset:4
	buffer_load_dword v11, v1, s[0:3], 0 offen offset:8
	;; [unrolled: 1-line block ×6, first 2 shown]
	buffer_load_dword v16, v2, s[0:3], 0 offen
	s_waitcnt vmcnt(7)
	buffer_store_dword v3, v2, s[0:3], 0 offen
	s_waitcnt vmcnt(6)
	buffer_store_dword v4, v2, s[0:3], 0 offen offset:4
	s_waitcnt vmcnt(5)
	buffer_store_dword v11, v2, s[0:3], 0 offen offset:8
	;; [unrolled: 2-line block ×6, first 2 shown]
	s_waitcnt vmcnt(0)
	buffer_store_dword v16, v1, s[0:3], 0 offen
.LBB43_286:
	global_load_dword v0, v0, s[20:21] offset:152
	s_waitcnt vmcnt(0)
	v_add_nc_u32_e32 v0, -1, v0
	v_cmp_eq_u32_e32 vcc_lo, 38, v0
	s_cbranch_vccnz .LBB43_288
; %bb.287:
	v_lshlrev_b32_e32 v0, 4, v0
	v_mov_b32_e32 v1, s15
	v_add_nc_u32_e32 v0, 16, v0
	s_clause 0x7
	buffer_load_dword v2, v0, s[0:3], 0 offen
	buffer_load_dword v3, v0, s[0:3], 0 offen offset:4
	buffer_load_dword v4, v0, s[0:3], 0 offen offset:8
	;; [unrolled: 1-line block ×6, first 2 shown]
	buffer_load_dword v15, v1, s[0:3], 0 offen
	s_waitcnt vmcnt(7)
	buffer_store_dword v2, v1, s[0:3], 0 offen
	s_waitcnt vmcnt(6)
	buffer_store_dword v3, v1, s[0:3], 0 offen offset:4
	s_waitcnt vmcnt(5)
	buffer_store_dword v4, v1, s[0:3], 0 offen offset:8
	;; [unrolled: 2-line block ×6, first 2 shown]
	s_waitcnt vmcnt(0)
	buffer_store_dword v15, v0, s[0:3], 0 offen
.LBB43_288:
	v_mov_b32_e32 v0, 0
	global_load_dword v1, v0, s[20:21] offset:148
	s_waitcnt vmcnt(0)
	v_add_nc_u32_e32 v1, -1, v1
	v_cmp_eq_u32_e32 vcc_lo, 37, v1
	s_cbranch_vccnz .LBB43_290
; %bb.289:
	v_lshlrev_b32_e32 v1, 4, v1
	v_mov_b32_e32 v2, s16
	v_add_nc_u32_e32 v1, 16, v1
	s_clause 0x7
	buffer_load_dword v3, v1, s[0:3], 0 offen
	buffer_load_dword v4, v1, s[0:3], 0 offen offset:4
	buffer_load_dword v11, v1, s[0:3], 0 offen offset:8
	;; [unrolled: 1-line block ×6, first 2 shown]
	buffer_load_dword v16, v2, s[0:3], 0 offen
	s_waitcnt vmcnt(7)
	buffer_store_dword v3, v2, s[0:3], 0 offen
	s_waitcnt vmcnt(6)
	buffer_store_dword v4, v2, s[0:3], 0 offen offset:4
	s_waitcnt vmcnt(5)
	buffer_store_dword v11, v2, s[0:3], 0 offen offset:8
	;; [unrolled: 2-line block ×6, first 2 shown]
	s_waitcnt vmcnt(0)
	buffer_store_dword v16, v1, s[0:3], 0 offen
.LBB43_290:
	global_load_dword v0, v0, s[20:21] offset:144
	s_waitcnt vmcnt(0)
	v_add_nc_u32_e32 v0, -1, v0
	v_cmp_eq_u32_e32 vcc_lo, 36, v0
	s_cbranch_vccnz .LBB43_292
; %bb.291:
	v_lshlrev_b32_e32 v0, 4, v0
	v_mov_b32_e32 v1, s17
	v_add_nc_u32_e32 v0, 16, v0
	s_clause 0x7
	buffer_load_dword v2, v0, s[0:3], 0 offen
	buffer_load_dword v3, v0, s[0:3], 0 offen offset:4
	buffer_load_dword v4, v0, s[0:3], 0 offen offset:8
	buffer_load_dword v11, v0, s[0:3], 0 offen offset:12
	buffer_load_dword v12, v1, s[0:3], 0 offen offset:12
	buffer_load_dword v13, v1, s[0:3], 0 offen offset:8
	buffer_load_dword v14, v1, s[0:3], 0 offen offset:4
	buffer_load_dword v15, v1, s[0:3], 0 offen
	s_waitcnt vmcnt(7)
	buffer_store_dword v2, v1, s[0:3], 0 offen
	s_waitcnt vmcnt(6)
	buffer_store_dword v3, v1, s[0:3], 0 offen offset:4
	s_waitcnt vmcnt(5)
	buffer_store_dword v4, v1, s[0:3], 0 offen offset:8
	;; [unrolled: 2-line block ×6, first 2 shown]
	s_waitcnt vmcnt(0)
	buffer_store_dword v15, v0, s[0:3], 0 offen
.LBB43_292:
	v_mov_b32_e32 v0, 0
	global_load_dword v1, v0, s[20:21] offset:140
	s_waitcnt vmcnt(0)
	v_add_nc_u32_e32 v1, -1, v1
	v_cmp_eq_u32_e32 vcc_lo, 35, v1
	s_cbranch_vccnz .LBB43_294
; %bb.293:
	v_lshlrev_b32_e32 v1, 4, v1
	v_mov_b32_e32 v2, s18
	v_add_nc_u32_e32 v1, 16, v1
	s_clause 0x7
	buffer_load_dword v3, v1, s[0:3], 0 offen
	buffer_load_dword v4, v1, s[0:3], 0 offen offset:4
	buffer_load_dword v11, v1, s[0:3], 0 offen offset:8
	;; [unrolled: 1-line block ×6, first 2 shown]
	buffer_load_dword v16, v2, s[0:3], 0 offen
	s_waitcnt vmcnt(7)
	buffer_store_dword v3, v2, s[0:3], 0 offen
	s_waitcnt vmcnt(6)
	buffer_store_dword v4, v2, s[0:3], 0 offen offset:4
	s_waitcnt vmcnt(5)
	buffer_store_dword v11, v2, s[0:3], 0 offen offset:8
	;; [unrolled: 2-line block ×6, first 2 shown]
	s_waitcnt vmcnt(0)
	buffer_store_dword v16, v1, s[0:3], 0 offen
.LBB43_294:
	global_load_dword v0, v0, s[20:21] offset:136
	s_waitcnt vmcnt(0)
	v_add_nc_u32_e32 v0, -1, v0
	v_cmp_eq_u32_e32 vcc_lo, 34, v0
	s_cbranch_vccnz .LBB43_296
; %bb.295:
	v_lshlrev_b32_e32 v0, 4, v0
	v_mov_b32_e32 v1, s19
	v_add_nc_u32_e32 v0, 16, v0
	s_clause 0x7
	buffer_load_dword v2, v0, s[0:3], 0 offen
	buffer_load_dword v3, v0, s[0:3], 0 offen offset:4
	buffer_load_dword v4, v0, s[0:3], 0 offen offset:8
	;; [unrolled: 1-line block ×6, first 2 shown]
	buffer_load_dword v15, v1, s[0:3], 0 offen
	s_waitcnt vmcnt(7)
	buffer_store_dword v2, v1, s[0:3], 0 offen
	s_waitcnt vmcnt(6)
	buffer_store_dword v3, v1, s[0:3], 0 offen offset:4
	s_waitcnt vmcnt(5)
	buffer_store_dword v4, v1, s[0:3], 0 offen offset:8
	;; [unrolled: 2-line block ×6, first 2 shown]
	s_waitcnt vmcnt(0)
	buffer_store_dword v15, v0, s[0:3], 0 offen
.LBB43_296:
	v_mov_b32_e32 v0, 0
	global_load_dword v1, v0, s[20:21] offset:132
	s_waitcnt vmcnt(0)
	v_add_nc_u32_e32 v1, -1, v1
	v_cmp_eq_u32_e32 vcc_lo, 33, v1
	s_cbranch_vccnz .LBB43_298
; %bb.297:
	v_lshlrev_b32_e32 v1, 4, v1
	v_mov_b32_e32 v2, s22
	v_add_nc_u32_e32 v1, 16, v1
	s_clause 0x7
	buffer_load_dword v3, v1, s[0:3], 0 offen
	buffer_load_dword v4, v1, s[0:3], 0 offen offset:4
	buffer_load_dword v11, v1, s[0:3], 0 offen offset:8
	;; [unrolled: 1-line block ×6, first 2 shown]
	buffer_load_dword v16, v2, s[0:3], 0 offen
	s_waitcnt vmcnt(7)
	buffer_store_dword v3, v2, s[0:3], 0 offen
	s_waitcnt vmcnt(6)
	buffer_store_dword v4, v2, s[0:3], 0 offen offset:4
	s_waitcnt vmcnt(5)
	buffer_store_dword v11, v2, s[0:3], 0 offen offset:8
	;; [unrolled: 2-line block ×6, first 2 shown]
	s_waitcnt vmcnt(0)
	buffer_store_dword v16, v1, s[0:3], 0 offen
.LBB43_298:
	global_load_dword v0, v0, s[20:21] offset:128
	s_waitcnt vmcnt(0)
	v_add_nc_u32_e32 v0, -1, v0
	v_cmp_eq_u32_e32 vcc_lo, 32, v0
	s_cbranch_vccnz .LBB43_300
; %bb.299:
	v_lshlrev_b32_e32 v0, 4, v0
	v_mov_b32_e32 v1, s23
	v_add_nc_u32_e32 v0, 16, v0
	s_clause 0x7
	buffer_load_dword v2, v0, s[0:3], 0 offen
	buffer_load_dword v3, v0, s[0:3], 0 offen offset:4
	buffer_load_dword v4, v0, s[0:3], 0 offen offset:8
	;; [unrolled: 1-line block ×6, first 2 shown]
	buffer_load_dword v15, v1, s[0:3], 0 offen
	s_waitcnt vmcnt(7)
	buffer_store_dword v2, v1, s[0:3], 0 offen
	s_waitcnt vmcnt(6)
	buffer_store_dword v3, v1, s[0:3], 0 offen offset:4
	s_waitcnt vmcnt(5)
	buffer_store_dword v4, v1, s[0:3], 0 offen offset:8
	;; [unrolled: 2-line block ×6, first 2 shown]
	s_waitcnt vmcnt(0)
	buffer_store_dword v15, v0, s[0:3], 0 offen
.LBB43_300:
	v_mov_b32_e32 v0, 0
	global_load_dword v1, v0, s[20:21] offset:124
	s_waitcnt vmcnt(0)
	v_add_nc_u32_e32 v1, -1, v1
	v_cmp_eq_u32_e32 vcc_lo, 31, v1
	s_cbranch_vccnz .LBB43_302
; %bb.301:
	v_lshlrev_b32_e32 v1, 4, v1
	v_mov_b32_e32 v2, s24
	v_add_nc_u32_e32 v1, 16, v1
	s_clause 0x7
	buffer_load_dword v3, v1, s[0:3], 0 offen
	buffer_load_dword v4, v1, s[0:3], 0 offen offset:4
	buffer_load_dword v11, v1, s[0:3], 0 offen offset:8
	;; [unrolled: 1-line block ×6, first 2 shown]
	buffer_load_dword v16, v2, s[0:3], 0 offen
	s_waitcnt vmcnt(7)
	buffer_store_dword v3, v2, s[0:3], 0 offen
	s_waitcnt vmcnt(6)
	buffer_store_dword v4, v2, s[0:3], 0 offen offset:4
	s_waitcnt vmcnt(5)
	buffer_store_dword v11, v2, s[0:3], 0 offen offset:8
	;; [unrolled: 2-line block ×6, first 2 shown]
	s_waitcnt vmcnt(0)
	buffer_store_dword v16, v1, s[0:3], 0 offen
.LBB43_302:
	global_load_dword v0, v0, s[20:21] offset:120
	s_waitcnt vmcnt(0)
	v_add_nc_u32_e32 v0, -1, v0
	v_cmp_eq_u32_e32 vcc_lo, 30, v0
	s_cbranch_vccnz .LBB43_304
; %bb.303:
	v_lshlrev_b32_e32 v0, 4, v0
	v_mov_b32_e32 v1, s25
	v_add_nc_u32_e32 v0, 16, v0
	s_clause 0x7
	buffer_load_dword v2, v0, s[0:3], 0 offen
	buffer_load_dword v3, v0, s[0:3], 0 offen offset:4
	buffer_load_dword v4, v0, s[0:3], 0 offen offset:8
	;; [unrolled: 1-line block ×6, first 2 shown]
	buffer_load_dword v15, v1, s[0:3], 0 offen
	s_waitcnt vmcnt(7)
	buffer_store_dword v2, v1, s[0:3], 0 offen
	s_waitcnt vmcnt(6)
	buffer_store_dword v3, v1, s[0:3], 0 offen offset:4
	s_waitcnt vmcnt(5)
	buffer_store_dword v4, v1, s[0:3], 0 offen offset:8
	;; [unrolled: 2-line block ×6, first 2 shown]
	s_waitcnt vmcnt(0)
	buffer_store_dword v15, v0, s[0:3], 0 offen
.LBB43_304:
	v_mov_b32_e32 v0, 0
	global_load_dword v1, v0, s[20:21] offset:116
	s_waitcnt vmcnt(0)
	v_add_nc_u32_e32 v1, -1, v1
	v_cmp_eq_u32_e32 vcc_lo, 29, v1
	s_cbranch_vccnz .LBB43_306
; %bb.305:
	v_lshlrev_b32_e32 v1, 4, v1
	v_mov_b32_e32 v2, s26
	v_add_nc_u32_e32 v1, 16, v1
	s_clause 0x7
	buffer_load_dword v3, v1, s[0:3], 0 offen
	buffer_load_dword v4, v1, s[0:3], 0 offen offset:4
	buffer_load_dword v11, v1, s[0:3], 0 offen offset:8
	;; [unrolled: 1-line block ×6, first 2 shown]
	buffer_load_dword v16, v2, s[0:3], 0 offen
	s_waitcnt vmcnt(7)
	buffer_store_dword v3, v2, s[0:3], 0 offen
	s_waitcnt vmcnt(6)
	buffer_store_dword v4, v2, s[0:3], 0 offen offset:4
	s_waitcnt vmcnt(5)
	buffer_store_dword v11, v2, s[0:3], 0 offen offset:8
	;; [unrolled: 2-line block ×6, first 2 shown]
	s_waitcnt vmcnt(0)
	buffer_store_dword v16, v1, s[0:3], 0 offen
.LBB43_306:
	global_load_dword v0, v0, s[20:21] offset:112
	s_waitcnt vmcnt(0)
	v_add_nc_u32_e32 v0, -1, v0
	v_cmp_eq_u32_e32 vcc_lo, 28, v0
	s_cbranch_vccnz .LBB43_308
; %bb.307:
	v_lshlrev_b32_e32 v0, 4, v0
	v_mov_b32_e32 v1, s27
	v_add_nc_u32_e32 v0, 16, v0
	s_clause 0x7
	buffer_load_dword v2, v0, s[0:3], 0 offen
	buffer_load_dword v3, v0, s[0:3], 0 offen offset:4
	buffer_load_dword v4, v0, s[0:3], 0 offen offset:8
	;; [unrolled: 1-line block ×6, first 2 shown]
	buffer_load_dword v15, v1, s[0:3], 0 offen
	s_waitcnt vmcnt(7)
	buffer_store_dword v2, v1, s[0:3], 0 offen
	s_waitcnt vmcnt(6)
	buffer_store_dword v3, v1, s[0:3], 0 offen offset:4
	s_waitcnt vmcnt(5)
	buffer_store_dword v4, v1, s[0:3], 0 offen offset:8
	;; [unrolled: 2-line block ×6, first 2 shown]
	s_waitcnt vmcnt(0)
	buffer_store_dword v15, v0, s[0:3], 0 offen
.LBB43_308:
	v_mov_b32_e32 v0, 0
	global_load_dword v1, v0, s[20:21] offset:108
	s_waitcnt vmcnt(0)
	v_add_nc_u32_e32 v1, -1, v1
	v_cmp_eq_u32_e32 vcc_lo, 27, v1
	s_cbranch_vccnz .LBB43_310
; %bb.309:
	v_lshlrev_b32_e32 v1, 4, v1
	v_mov_b32_e32 v2, s28
	v_add_nc_u32_e32 v1, 16, v1
	s_clause 0x7
	buffer_load_dword v3, v1, s[0:3], 0 offen
	buffer_load_dword v4, v1, s[0:3], 0 offen offset:4
	buffer_load_dword v11, v1, s[0:3], 0 offen offset:8
	;; [unrolled: 1-line block ×6, first 2 shown]
	buffer_load_dword v16, v2, s[0:3], 0 offen
	s_waitcnt vmcnt(7)
	buffer_store_dword v3, v2, s[0:3], 0 offen
	s_waitcnt vmcnt(6)
	buffer_store_dword v4, v2, s[0:3], 0 offen offset:4
	s_waitcnt vmcnt(5)
	buffer_store_dword v11, v2, s[0:3], 0 offen offset:8
	;; [unrolled: 2-line block ×6, first 2 shown]
	s_waitcnt vmcnt(0)
	buffer_store_dword v16, v1, s[0:3], 0 offen
.LBB43_310:
	global_load_dword v0, v0, s[20:21] offset:104
	s_waitcnt vmcnt(0)
	v_add_nc_u32_e32 v0, -1, v0
	v_cmp_eq_u32_e32 vcc_lo, 26, v0
	s_cbranch_vccnz .LBB43_312
; %bb.311:
	v_lshlrev_b32_e32 v0, 4, v0
	v_mov_b32_e32 v1, s30
	v_add_nc_u32_e32 v0, 16, v0
	s_clause 0x7
	buffer_load_dword v2, v0, s[0:3], 0 offen
	buffer_load_dword v3, v0, s[0:3], 0 offen offset:4
	buffer_load_dword v4, v0, s[0:3], 0 offen offset:8
	;; [unrolled: 1-line block ×6, first 2 shown]
	buffer_load_dword v15, v1, s[0:3], 0 offen
	s_waitcnt vmcnt(7)
	buffer_store_dword v2, v1, s[0:3], 0 offen
	s_waitcnt vmcnt(6)
	buffer_store_dword v3, v1, s[0:3], 0 offen offset:4
	s_waitcnt vmcnt(5)
	buffer_store_dword v4, v1, s[0:3], 0 offen offset:8
	;; [unrolled: 2-line block ×6, first 2 shown]
	s_waitcnt vmcnt(0)
	buffer_store_dword v15, v0, s[0:3], 0 offen
.LBB43_312:
	v_mov_b32_e32 v0, 0
	global_load_dword v1, v0, s[20:21] offset:100
	s_waitcnt vmcnt(0)
	v_add_nc_u32_e32 v1, -1, v1
	v_cmp_eq_u32_e32 vcc_lo, 25, v1
	s_cbranch_vccnz .LBB43_314
; %bb.313:
	v_lshlrev_b32_e32 v1, 4, v1
	v_mov_b32_e32 v2, s33
	v_add_nc_u32_e32 v1, 16, v1
	s_clause 0x7
	buffer_load_dword v3, v1, s[0:3], 0 offen
	buffer_load_dword v4, v1, s[0:3], 0 offen offset:4
	buffer_load_dword v11, v1, s[0:3], 0 offen offset:8
	;; [unrolled: 1-line block ×6, first 2 shown]
	buffer_load_dword v16, v2, s[0:3], 0 offen
	s_waitcnt vmcnt(7)
	buffer_store_dword v3, v2, s[0:3], 0 offen
	s_waitcnt vmcnt(6)
	buffer_store_dword v4, v2, s[0:3], 0 offen offset:4
	s_waitcnt vmcnt(5)
	buffer_store_dword v11, v2, s[0:3], 0 offen offset:8
	;; [unrolled: 2-line block ×6, first 2 shown]
	s_waitcnt vmcnt(0)
	buffer_store_dword v16, v1, s[0:3], 0 offen
.LBB43_314:
	global_load_dword v0, v0, s[20:21] offset:96
	s_waitcnt vmcnt(0)
	v_add_nc_u32_e32 v0, -1, v0
	v_cmp_eq_u32_e32 vcc_lo, 24, v0
	s_cbranch_vccnz .LBB43_316
; %bb.315:
	v_lshlrev_b32_e32 v0, 4, v0
	v_mov_b32_e32 v1, s35
	v_add_nc_u32_e32 v0, 16, v0
	s_clause 0x7
	buffer_load_dword v2, v0, s[0:3], 0 offen
	buffer_load_dword v3, v0, s[0:3], 0 offen offset:4
	buffer_load_dword v4, v0, s[0:3], 0 offen offset:8
	;; [unrolled: 1-line block ×6, first 2 shown]
	buffer_load_dword v15, v1, s[0:3], 0 offen
	s_waitcnt vmcnt(7)
	buffer_store_dword v2, v1, s[0:3], 0 offen
	s_waitcnt vmcnt(6)
	buffer_store_dword v3, v1, s[0:3], 0 offen offset:4
	s_waitcnt vmcnt(5)
	buffer_store_dword v4, v1, s[0:3], 0 offen offset:8
	;; [unrolled: 2-line block ×6, first 2 shown]
	s_waitcnt vmcnt(0)
	buffer_store_dword v15, v0, s[0:3], 0 offen
.LBB43_316:
	v_mov_b32_e32 v0, 0
	global_load_dword v1, v0, s[20:21] offset:92
	s_waitcnt vmcnt(0)
	v_add_nc_u32_e32 v1, -1, v1
	v_cmp_eq_u32_e32 vcc_lo, 23, v1
	s_cbranch_vccnz .LBB43_318
; %bb.317:
	v_lshlrev_b32_e32 v1, 4, v1
	v_mov_b32_e32 v2, s37
	v_add_nc_u32_e32 v1, 16, v1
	s_clause 0x7
	buffer_load_dword v3, v1, s[0:3], 0 offen
	buffer_load_dword v4, v1, s[0:3], 0 offen offset:4
	buffer_load_dword v11, v1, s[0:3], 0 offen offset:8
	buffer_load_dword v12, v1, s[0:3], 0 offen offset:12
	buffer_load_dword v13, v2, s[0:3], 0 offen offset:12
	buffer_load_dword v14, v2, s[0:3], 0 offen offset:8
	buffer_load_dword v15, v2, s[0:3], 0 offen offset:4
	buffer_load_dword v16, v2, s[0:3], 0 offen
	s_waitcnt vmcnt(7)
	buffer_store_dword v3, v2, s[0:3], 0 offen
	s_waitcnt vmcnt(6)
	buffer_store_dword v4, v2, s[0:3], 0 offen offset:4
	s_waitcnt vmcnt(5)
	buffer_store_dword v11, v2, s[0:3], 0 offen offset:8
	;; [unrolled: 2-line block ×6, first 2 shown]
	s_waitcnt vmcnt(0)
	buffer_store_dword v16, v1, s[0:3], 0 offen
.LBB43_318:
	global_load_dword v0, v0, s[20:21] offset:88
	s_waitcnt vmcnt(0)
	v_add_nc_u32_e32 v0, -1, v0
	v_cmp_eq_u32_e32 vcc_lo, 22, v0
	s_cbranch_vccnz .LBB43_320
; %bb.319:
	v_lshlrev_b32_e32 v0, 4, v0
	v_mov_b32_e32 v1, s39
	v_add_nc_u32_e32 v0, 16, v0
	s_clause 0x7
	buffer_load_dword v2, v0, s[0:3], 0 offen
	buffer_load_dword v3, v0, s[0:3], 0 offen offset:4
	buffer_load_dword v4, v0, s[0:3], 0 offen offset:8
	;; [unrolled: 1-line block ×6, first 2 shown]
	buffer_load_dword v15, v1, s[0:3], 0 offen
	s_waitcnt vmcnt(7)
	buffer_store_dword v2, v1, s[0:3], 0 offen
	s_waitcnt vmcnt(6)
	buffer_store_dword v3, v1, s[0:3], 0 offen offset:4
	s_waitcnt vmcnt(5)
	buffer_store_dword v4, v1, s[0:3], 0 offen offset:8
	s_waitcnt vmcnt(4)
	buffer_store_dword v11, v1, s[0:3], 0 offen offset:12
	s_waitcnt vmcnt(3)
	buffer_store_dword v12, v0, s[0:3], 0 offen offset:12
	s_waitcnt vmcnt(2)
	buffer_store_dword v13, v0, s[0:3], 0 offen offset:8
	s_waitcnt vmcnt(1)
	buffer_store_dword v14, v0, s[0:3], 0 offen offset:4
	s_waitcnt vmcnt(0)
	buffer_store_dword v15, v0, s[0:3], 0 offen
.LBB43_320:
	v_mov_b32_e32 v0, 0
	global_load_dword v1, v0, s[20:21] offset:84
	s_waitcnt vmcnt(0)
	v_add_nc_u32_e32 v1, -1, v1
	v_cmp_eq_u32_e32 vcc_lo, 21, v1
	s_cbranch_vccnz .LBB43_322
; %bb.321:
	v_lshlrev_b32_e32 v1, 4, v1
	v_mov_b32_e32 v2, s41
	v_add_nc_u32_e32 v1, 16, v1
	s_clause 0x7
	buffer_load_dword v3, v1, s[0:3], 0 offen
	buffer_load_dword v4, v1, s[0:3], 0 offen offset:4
	buffer_load_dword v11, v1, s[0:3], 0 offen offset:8
	;; [unrolled: 1-line block ×6, first 2 shown]
	buffer_load_dword v16, v2, s[0:3], 0 offen
	s_waitcnt vmcnt(7)
	buffer_store_dword v3, v2, s[0:3], 0 offen
	s_waitcnt vmcnt(6)
	buffer_store_dword v4, v2, s[0:3], 0 offen offset:4
	s_waitcnt vmcnt(5)
	buffer_store_dword v11, v2, s[0:3], 0 offen offset:8
	;; [unrolled: 2-line block ×6, first 2 shown]
	s_waitcnt vmcnt(0)
	buffer_store_dword v16, v1, s[0:3], 0 offen
.LBB43_322:
	global_load_dword v0, v0, s[20:21] offset:80
	s_waitcnt vmcnt(0)
	v_add_nc_u32_e32 v0, -1, v0
	v_cmp_eq_u32_e32 vcc_lo, 20, v0
	s_cbranch_vccnz .LBB43_324
; %bb.323:
	v_lshlrev_b32_e32 v0, 4, v0
	v_mov_b32_e32 v1, s43
	v_add_nc_u32_e32 v0, 16, v0
	s_clause 0x7
	buffer_load_dword v2, v0, s[0:3], 0 offen
	buffer_load_dword v3, v0, s[0:3], 0 offen offset:4
	buffer_load_dword v4, v0, s[0:3], 0 offen offset:8
	buffer_load_dword v11, v0, s[0:3], 0 offen offset:12
	buffer_load_dword v12, v1, s[0:3], 0 offen offset:12
	buffer_load_dword v13, v1, s[0:3], 0 offen offset:8
	buffer_load_dword v14, v1, s[0:3], 0 offen offset:4
	buffer_load_dword v15, v1, s[0:3], 0 offen
	s_waitcnt vmcnt(7)
	buffer_store_dword v2, v1, s[0:3], 0 offen
	s_waitcnt vmcnt(6)
	buffer_store_dword v3, v1, s[0:3], 0 offen offset:4
	s_waitcnt vmcnt(5)
	buffer_store_dword v4, v1, s[0:3], 0 offen offset:8
	;; [unrolled: 2-line block ×6, first 2 shown]
	s_waitcnt vmcnt(0)
	buffer_store_dword v15, v0, s[0:3], 0 offen
.LBB43_324:
	v_mov_b32_e32 v0, 0
	global_load_dword v1, v0, s[20:21] offset:76
	s_waitcnt vmcnt(0)
	v_add_nc_u32_e32 v1, -1, v1
	v_cmp_eq_u32_e32 vcc_lo, 19, v1
	s_cbranch_vccnz .LBB43_326
; %bb.325:
	v_lshlrev_b32_e32 v1, 4, v1
	v_mov_b32_e32 v2, s45
	v_add_nc_u32_e32 v1, 16, v1
	s_clause 0x7
	buffer_load_dword v3, v1, s[0:3], 0 offen
	buffer_load_dword v4, v1, s[0:3], 0 offen offset:4
	buffer_load_dword v11, v1, s[0:3], 0 offen offset:8
	;; [unrolled: 1-line block ×6, first 2 shown]
	buffer_load_dword v16, v2, s[0:3], 0 offen
	s_waitcnt vmcnt(7)
	buffer_store_dword v3, v2, s[0:3], 0 offen
	s_waitcnt vmcnt(6)
	buffer_store_dword v4, v2, s[0:3], 0 offen offset:4
	s_waitcnt vmcnt(5)
	buffer_store_dword v11, v2, s[0:3], 0 offen offset:8
	;; [unrolled: 2-line block ×6, first 2 shown]
	s_waitcnt vmcnt(0)
	buffer_store_dword v16, v1, s[0:3], 0 offen
.LBB43_326:
	global_load_dword v0, v0, s[20:21] offset:72
	s_waitcnt vmcnt(0)
	v_add_nc_u32_e32 v0, -1, v0
	v_cmp_eq_u32_e32 vcc_lo, 18, v0
	s_cbranch_vccnz .LBB43_328
; %bb.327:
	v_lshlrev_b32_e32 v0, 4, v0
	v_mov_b32_e32 v1, s47
	v_add_nc_u32_e32 v0, 16, v0
	s_clause 0x7
	buffer_load_dword v2, v0, s[0:3], 0 offen
	buffer_load_dword v3, v0, s[0:3], 0 offen offset:4
	buffer_load_dword v4, v0, s[0:3], 0 offen offset:8
	;; [unrolled: 1-line block ×6, first 2 shown]
	buffer_load_dword v15, v1, s[0:3], 0 offen
	s_waitcnt vmcnt(7)
	buffer_store_dword v2, v1, s[0:3], 0 offen
	s_waitcnt vmcnt(6)
	buffer_store_dword v3, v1, s[0:3], 0 offen offset:4
	s_waitcnt vmcnt(5)
	buffer_store_dword v4, v1, s[0:3], 0 offen offset:8
	;; [unrolled: 2-line block ×6, first 2 shown]
	s_waitcnt vmcnt(0)
	buffer_store_dword v15, v0, s[0:3], 0 offen
.LBB43_328:
	v_mov_b32_e32 v0, 0
	global_load_dword v1, v0, s[20:21] offset:68
	s_waitcnt vmcnt(0)
	v_add_nc_u32_e32 v1, -1, v1
	v_cmp_eq_u32_e32 vcc_lo, 17, v1
	s_cbranch_vccnz .LBB43_330
; %bb.329:
	v_lshlrev_b32_e32 v1, 4, v1
	v_mov_b32_e32 v2, s48
	v_add_nc_u32_e32 v1, 16, v1
	s_clause 0x7
	buffer_load_dword v3, v1, s[0:3], 0 offen
	buffer_load_dword v4, v1, s[0:3], 0 offen offset:4
	buffer_load_dword v11, v1, s[0:3], 0 offen offset:8
	;; [unrolled: 1-line block ×6, first 2 shown]
	buffer_load_dword v16, v2, s[0:3], 0 offen
	s_waitcnt vmcnt(7)
	buffer_store_dword v3, v2, s[0:3], 0 offen
	s_waitcnt vmcnt(6)
	buffer_store_dword v4, v2, s[0:3], 0 offen offset:4
	s_waitcnt vmcnt(5)
	buffer_store_dword v11, v2, s[0:3], 0 offen offset:8
	;; [unrolled: 2-line block ×6, first 2 shown]
	s_waitcnt vmcnt(0)
	buffer_store_dword v16, v1, s[0:3], 0 offen
.LBB43_330:
	global_load_dword v0, v0, s[20:21] offset:64
	s_waitcnt vmcnt(0)
	v_add_nc_u32_e32 v0, -1, v0
	v_cmp_eq_u32_e32 vcc_lo, 16, v0
	s_cbranch_vccnz .LBB43_332
; %bb.331:
	v_lshlrev_b32_e32 v0, 4, v0
	v_mov_b32_e32 v1, s50
	v_add_nc_u32_e32 v0, 16, v0
	s_clause 0x7
	buffer_load_dword v2, v0, s[0:3], 0 offen
	buffer_load_dword v3, v0, s[0:3], 0 offen offset:4
	buffer_load_dword v4, v0, s[0:3], 0 offen offset:8
	buffer_load_dword v11, v0, s[0:3], 0 offen offset:12
	buffer_load_dword v12, v1, s[0:3], 0 offen offset:12
	buffer_load_dword v13, v1, s[0:3], 0 offen offset:8
	buffer_load_dword v14, v1, s[0:3], 0 offen offset:4
	buffer_load_dword v15, v1, s[0:3], 0 offen
	s_waitcnt vmcnt(7)
	buffer_store_dword v2, v1, s[0:3], 0 offen
	s_waitcnt vmcnt(6)
	buffer_store_dword v3, v1, s[0:3], 0 offen offset:4
	s_waitcnt vmcnt(5)
	buffer_store_dword v4, v1, s[0:3], 0 offen offset:8
	;; [unrolled: 2-line block ×6, first 2 shown]
	s_waitcnt vmcnt(0)
	buffer_store_dword v15, v0, s[0:3], 0 offen
.LBB43_332:
	v_mov_b32_e32 v0, 0
	global_load_dword v1, v0, s[20:21] offset:60
	s_waitcnt vmcnt(0)
	v_add_nc_u32_e32 v1, -1, v1
	v_cmp_eq_u32_e32 vcc_lo, 15, v1
	s_cbranch_vccnz .LBB43_334
; %bb.333:
	v_lshlrev_b32_e32 v1, 4, v1
	v_mov_b32_e32 v2, s29
	v_add_nc_u32_e32 v1, 16, v1
	s_clause 0x7
	buffer_load_dword v3, v1, s[0:3], 0 offen
	buffer_load_dword v4, v1, s[0:3], 0 offen offset:4
	buffer_load_dword v11, v1, s[0:3], 0 offen offset:8
	;; [unrolled: 1-line block ×6, first 2 shown]
	buffer_load_dword v16, v2, s[0:3], 0 offen
	s_waitcnt vmcnt(7)
	buffer_store_dword v3, v2, s[0:3], 0 offen
	s_waitcnt vmcnt(6)
	buffer_store_dword v4, v2, s[0:3], 0 offen offset:4
	s_waitcnt vmcnt(5)
	buffer_store_dword v11, v2, s[0:3], 0 offen offset:8
	;; [unrolled: 2-line block ×6, first 2 shown]
	s_waitcnt vmcnt(0)
	buffer_store_dword v16, v1, s[0:3], 0 offen
.LBB43_334:
	global_load_dword v0, v0, s[20:21] offset:56
	s_waitcnt vmcnt(0)
	v_add_nc_u32_e32 v0, -1, v0
	v_cmp_eq_u32_e32 vcc_lo, 14, v0
	s_cbranch_vccnz .LBB43_336
; %bb.335:
	v_lshlrev_b32_e32 v0, 4, v0
	v_mov_b32_e32 v1, s31
	v_add_nc_u32_e32 v0, 16, v0
	s_clause 0x7
	buffer_load_dword v2, v0, s[0:3], 0 offen
	buffer_load_dword v3, v0, s[0:3], 0 offen offset:4
	buffer_load_dword v4, v0, s[0:3], 0 offen offset:8
	;; [unrolled: 1-line block ×6, first 2 shown]
	buffer_load_dword v15, v1, s[0:3], 0 offen
	s_waitcnt vmcnt(7)
	buffer_store_dword v2, v1, s[0:3], 0 offen
	s_waitcnt vmcnt(6)
	buffer_store_dword v3, v1, s[0:3], 0 offen offset:4
	s_waitcnt vmcnt(5)
	buffer_store_dword v4, v1, s[0:3], 0 offen offset:8
	;; [unrolled: 2-line block ×6, first 2 shown]
	s_waitcnt vmcnt(0)
	buffer_store_dword v15, v0, s[0:3], 0 offen
.LBB43_336:
	v_mov_b32_e32 v0, 0
	global_load_dword v1, v0, s[20:21] offset:52
	s_waitcnt vmcnt(0)
	v_add_nc_u32_e32 v1, -1, v1
	v_cmp_eq_u32_e32 vcc_lo, 13, v1
	s_cbranch_vccnz .LBB43_338
; %bb.337:
	v_lshlrev_b32_e32 v1, 4, v1
	v_mov_b32_e32 v2, s34
	v_add_nc_u32_e32 v1, 16, v1
	s_clause 0x7
	buffer_load_dword v3, v1, s[0:3], 0 offen
	buffer_load_dword v4, v1, s[0:3], 0 offen offset:4
	buffer_load_dword v11, v1, s[0:3], 0 offen offset:8
	;; [unrolled: 1-line block ×6, first 2 shown]
	buffer_load_dword v16, v2, s[0:3], 0 offen
	s_waitcnt vmcnt(7)
	buffer_store_dword v3, v2, s[0:3], 0 offen
	s_waitcnt vmcnt(6)
	buffer_store_dword v4, v2, s[0:3], 0 offen offset:4
	s_waitcnt vmcnt(5)
	buffer_store_dword v11, v2, s[0:3], 0 offen offset:8
	;; [unrolled: 2-line block ×6, first 2 shown]
	s_waitcnt vmcnt(0)
	buffer_store_dword v16, v1, s[0:3], 0 offen
.LBB43_338:
	global_load_dword v0, v0, s[20:21] offset:48
	s_waitcnt vmcnt(0)
	v_add_nc_u32_e32 v0, -1, v0
	v_cmp_eq_u32_e32 vcc_lo, 12, v0
	s_cbranch_vccnz .LBB43_340
; %bb.339:
	v_lshlrev_b32_e32 v0, 4, v0
	v_mov_b32_e32 v1, s36
	v_add_nc_u32_e32 v0, 16, v0
	s_clause 0x7
	buffer_load_dword v2, v0, s[0:3], 0 offen
	buffer_load_dword v3, v0, s[0:3], 0 offen offset:4
	buffer_load_dword v4, v0, s[0:3], 0 offen offset:8
	;; [unrolled: 1-line block ×6, first 2 shown]
	buffer_load_dword v15, v1, s[0:3], 0 offen
	s_waitcnt vmcnt(7)
	buffer_store_dword v2, v1, s[0:3], 0 offen
	s_waitcnt vmcnt(6)
	buffer_store_dword v3, v1, s[0:3], 0 offen offset:4
	s_waitcnt vmcnt(5)
	buffer_store_dword v4, v1, s[0:3], 0 offen offset:8
	;; [unrolled: 2-line block ×6, first 2 shown]
	s_waitcnt vmcnt(0)
	buffer_store_dword v15, v0, s[0:3], 0 offen
.LBB43_340:
	v_mov_b32_e32 v0, 0
	global_load_dword v1, v0, s[20:21] offset:44
	s_waitcnt vmcnt(0)
	v_add_nc_u32_e32 v1, -1, v1
	v_cmp_eq_u32_e32 vcc_lo, 11, v1
	s_cbranch_vccnz .LBB43_342
; %bb.341:
	v_lshlrev_b32_e32 v1, 4, v1
	v_mov_b32_e32 v2, s38
	v_add_nc_u32_e32 v1, 16, v1
	s_clause 0x7
	buffer_load_dword v3, v1, s[0:3], 0 offen
	buffer_load_dword v4, v1, s[0:3], 0 offen offset:4
	buffer_load_dword v11, v1, s[0:3], 0 offen offset:8
	;; [unrolled: 1-line block ×6, first 2 shown]
	buffer_load_dword v16, v2, s[0:3], 0 offen
	s_waitcnt vmcnt(7)
	buffer_store_dword v3, v2, s[0:3], 0 offen
	s_waitcnt vmcnt(6)
	buffer_store_dword v4, v2, s[0:3], 0 offen offset:4
	s_waitcnt vmcnt(5)
	buffer_store_dword v11, v2, s[0:3], 0 offen offset:8
	s_waitcnt vmcnt(4)
	buffer_store_dword v12, v2, s[0:3], 0 offen offset:12
	s_waitcnt vmcnt(3)
	buffer_store_dword v13, v1, s[0:3], 0 offen offset:12
	s_waitcnt vmcnt(2)
	buffer_store_dword v14, v1, s[0:3], 0 offen offset:8
	s_waitcnt vmcnt(1)
	buffer_store_dword v15, v1, s[0:3], 0 offen offset:4
	s_waitcnt vmcnt(0)
	buffer_store_dword v16, v1, s[0:3], 0 offen
.LBB43_342:
	global_load_dword v0, v0, s[20:21] offset:40
	s_waitcnt vmcnt(0)
	v_add_nc_u32_e32 v0, -1, v0
	v_cmp_eq_u32_e32 vcc_lo, 10, v0
	s_cbranch_vccnz .LBB43_344
; %bb.343:
	v_lshlrev_b32_e32 v0, 4, v0
	v_mov_b32_e32 v1, s40
	v_add_nc_u32_e32 v0, 16, v0
	s_clause 0x7
	buffer_load_dword v2, v0, s[0:3], 0 offen
	buffer_load_dword v3, v0, s[0:3], 0 offen offset:4
	buffer_load_dword v4, v0, s[0:3], 0 offen offset:8
	;; [unrolled: 1-line block ×6, first 2 shown]
	buffer_load_dword v15, v1, s[0:3], 0 offen
	s_waitcnt vmcnt(7)
	buffer_store_dword v2, v1, s[0:3], 0 offen
	s_waitcnt vmcnt(6)
	buffer_store_dword v3, v1, s[0:3], 0 offen offset:4
	s_waitcnt vmcnt(5)
	buffer_store_dword v4, v1, s[0:3], 0 offen offset:8
	;; [unrolled: 2-line block ×6, first 2 shown]
	s_waitcnt vmcnt(0)
	buffer_store_dword v15, v0, s[0:3], 0 offen
.LBB43_344:
	v_mov_b32_e32 v0, 0
	global_load_dword v1, v0, s[20:21] offset:36
	s_waitcnt vmcnt(0)
	v_add_nc_u32_e32 v1, -1, v1
	v_cmp_eq_u32_e32 vcc_lo, 9, v1
	s_cbranch_vccnz .LBB43_346
; %bb.345:
	v_lshlrev_b32_e32 v1, 4, v1
	v_mov_b32_e32 v2, s42
	v_add_nc_u32_e32 v1, 16, v1
	s_clause 0x7
	buffer_load_dword v3, v1, s[0:3], 0 offen
	buffer_load_dword v4, v1, s[0:3], 0 offen offset:4
	buffer_load_dword v11, v1, s[0:3], 0 offen offset:8
	;; [unrolled: 1-line block ×6, first 2 shown]
	buffer_load_dword v16, v2, s[0:3], 0 offen
	s_waitcnt vmcnt(7)
	buffer_store_dword v3, v2, s[0:3], 0 offen
	s_waitcnt vmcnt(6)
	buffer_store_dword v4, v2, s[0:3], 0 offen offset:4
	s_waitcnt vmcnt(5)
	buffer_store_dword v11, v2, s[0:3], 0 offen offset:8
	;; [unrolled: 2-line block ×6, first 2 shown]
	s_waitcnt vmcnt(0)
	buffer_store_dword v16, v1, s[0:3], 0 offen
.LBB43_346:
	global_load_dword v0, v0, s[20:21] offset:32
	s_waitcnt vmcnt(0)
	v_add_nc_u32_e32 v0, -1, v0
	v_cmp_eq_u32_e32 vcc_lo, 8, v0
	s_cbranch_vccnz .LBB43_348
; %bb.347:
	v_lshlrev_b32_e32 v0, 4, v0
	v_mov_b32_e32 v1, s44
	v_add_nc_u32_e32 v0, 16, v0
	s_clause 0x7
	buffer_load_dword v2, v0, s[0:3], 0 offen
	buffer_load_dword v3, v0, s[0:3], 0 offen offset:4
	buffer_load_dword v4, v0, s[0:3], 0 offen offset:8
	;; [unrolled: 1-line block ×6, first 2 shown]
	buffer_load_dword v15, v1, s[0:3], 0 offen
	s_waitcnt vmcnt(7)
	buffer_store_dword v2, v1, s[0:3], 0 offen
	s_waitcnt vmcnt(6)
	buffer_store_dword v3, v1, s[0:3], 0 offen offset:4
	s_waitcnt vmcnt(5)
	buffer_store_dword v4, v1, s[0:3], 0 offen offset:8
	;; [unrolled: 2-line block ×6, first 2 shown]
	s_waitcnt vmcnt(0)
	buffer_store_dword v15, v0, s[0:3], 0 offen
.LBB43_348:
	v_mov_b32_e32 v0, 0
	global_load_dword v1, v0, s[20:21] offset:28
	s_waitcnt vmcnt(0)
	v_add_nc_u32_e32 v1, -1, v1
	v_cmp_eq_u32_e32 vcc_lo, 7, v1
	s_cbranch_vccnz .LBB43_350
; %bb.349:
	v_lshlrev_b32_e32 v1, 4, v1
	v_mov_b32_e32 v2, s46
	v_add_nc_u32_e32 v1, 16, v1
	s_clause 0x7
	buffer_load_dword v3, v1, s[0:3], 0 offen
	buffer_load_dword v4, v1, s[0:3], 0 offen offset:4
	buffer_load_dword v11, v1, s[0:3], 0 offen offset:8
	;; [unrolled: 1-line block ×6, first 2 shown]
	buffer_load_dword v16, v2, s[0:3], 0 offen
	s_waitcnt vmcnt(7)
	buffer_store_dword v3, v2, s[0:3], 0 offen
	s_waitcnt vmcnt(6)
	buffer_store_dword v4, v2, s[0:3], 0 offen offset:4
	s_waitcnt vmcnt(5)
	buffer_store_dword v11, v2, s[0:3], 0 offen offset:8
	;; [unrolled: 2-line block ×6, first 2 shown]
	s_waitcnt vmcnt(0)
	buffer_store_dword v16, v1, s[0:3], 0 offen
.LBB43_350:
	global_load_dword v0, v0, s[20:21] offset:24
	s_waitcnt vmcnt(0)
	v_add_nc_u32_e32 v0, -1, v0
	v_cmp_eq_u32_e32 vcc_lo, 6, v0
	s_cbranch_vccnz .LBB43_352
; %bb.351:
	v_lshlrev_b32_e32 v0, 4, v0
	v_mov_b32_e32 v1, s49
	v_add_nc_u32_e32 v0, 16, v0
	s_clause 0x7
	buffer_load_dword v2, v0, s[0:3], 0 offen
	buffer_load_dword v3, v0, s[0:3], 0 offen offset:4
	buffer_load_dword v4, v0, s[0:3], 0 offen offset:8
	;; [unrolled: 1-line block ×6, first 2 shown]
	buffer_load_dword v15, v1, s[0:3], 0 offen
	s_waitcnt vmcnt(7)
	buffer_store_dword v2, v1, s[0:3], 0 offen
	s_waitcnt vmcnt(6)
	buffer_store_dword v3, v1, s[0:3], 0 offen offset:4
	s_waitcnt vmcnt(5)
	buffer_store_dword v4, v1, s[0:3], 0 offen offset:8
	;; [unrolled: 2-line block ×6, first 2 shown]
	s_waitcnt vmcnt(0)
	buffer_store_dword v15, v0, s[0:3], 0 offen
.LBB43_352:
	v_mov_b32_e32 v0, 0
	global_load_dword v1, v0, s[20:21] offset:20
	s_waitcnt vmcnt(0)
	v_add_nc_u32_e32 v1, -1, v1
	v_cmp_eq_u32_e32 vcc_lo, 5, v1
	s_cbranch_vccnz .LBB43_354
; %bb.353:
	v_lshlrev_b32_e32 v1, 4, v1
	v_mov_b32_e32 v2, s51
	v_add_nc_u32_e32 v1, 16, v1
	s_clause 0x7
	buffer_load_dword v3, v1, s[0:3], 0 offen
	buffer_load_dword v4, v1, s[0:3], 0 offen offset:4
	buffer_load_dword v11, v1, s[0:3], 0 offen offset:8
	;; [unrolled: 1-line block ×6, first 2 shown]
	buffer_load_dword v16, v2, s[0:3], 0 offen
	s_waitcnt vmcnt(7)
	buffer_store_dword v3, v2, s[0:3], 0 offen
	s_waitcnt vmcnt(6)
	buffer_store_dword v4, v2, s[0:3], 0 offen offset:4
	s_waitcnt vmcnt(5)
	buffer_store_dword v11, v2, s[0:3], 0 offen offset:8
	;; [unrolled: 2-line block ×6, first 2 shown]
	s_waitcnt vmcnt(0)
	buffer_store_dword v16, v1, s[0:3], 0 offen
.LBB43_354:
	global_load_dword v0, v0, s[20:21] offset:16
	s_waitcnt vmcnt(0)
	v_add_nc_u32_e32 v0, -1, v0
	v_cmp_eq_u32_e32 vcc_lo, 4, v0
	s_cbranch_vccnz .LBB43_356
; %bb.355:
	v_lshlrev_b32_e32 v0, 4, v0
	v_mov_b32_e32 v1, s52
	v_add_nc_u32_e32 v0, 16, v0
	s_clause 0x7
	buffer_load_dword v2, v0, s[0:3], 0 offen
	buffer_load_dword v3, v0, s[0:3], 0 offen offset:4
	buffer_load_dword v4, v0, s[0:3], 0 offen offset:8
	;; [unrolled: 1-line block ×6, first 2 shown]
	buffer_load_dword v15, v1, s[0:3], 0 offen
	s_waitcnt vmcnt(7)
	buffer_store_dword v2, v1, s[0:3], 0 offen
	s_waitcnt vmcnt(6)
	buffer_store_dword v3, v1, s[0:3], 0 offen offset:4
	s_waitcnt vmcnt(5)
	buffer_store_dword v4, v1, s[0:3], 0 offen offset:8
	;; [unrolled: 2-line block ×6, first 2 shown]
	s_waitcnt vmcnt(0)
	buffer_store_dword v15, v0, s[0:3], 0 offen
.LBB43_356:
	v_mov_b32_e32 v0, 0
	global_load_dword v1, v0, s[20:21] offset:12
	s_waitcnt vmcnt(0)
	v_add_nc_u32_e32 v1, -1, v1
	v_cmp_eq_u32_e32 vcc_lo, 3, v1
	s_cbranch_vccnz .LBB43_358
; %bb.357:
	v_lshlrev_b32_e32 v1, 4, v1
	v_mov_b32_e32 v2, s53
	v_add_nc_u32_e32 v1, 16, v1
	s_clause 0x7
	buffer_load_dword v3, v1, s[0:3], 0 offen
	buffer_load_dword v4, v1, s[0:3], 0 offen offset:4
	buffer_load_dword v11, v1, s[0:3], 0 offen offset:8
	;; [unrolled: 1-line block ×6, first 2 shown]
	buffer_load_dword v16, v2, s[0:3], 0 offen
	s_waitcnt vmcnt(7)
	buffer_store_dword v3, v2, s[0:3], 0 offen
	s_waitcnt vmcnt(6)
	buffer_store_dword v4, v2, s[0:3], 0 offen offset:4
	s_waitcnt vmcnt(5)
	buffer_store_dword v11, v2, s[0:3], 0 offen offset:8
	;; [unrolled: 2-line block ×6, first 2 shown]
	s_waitcnt vmcnt(0)
	buffer_store_dword v16, v1, s[0:3], 0 offen
.LBB43_358:
	global_load_dword v0, v0, s[20:21] offset:8
	s_waitcnt vmcnt(0)
	v_add_nc_u32_e32 v0, -1, v0
	v_cmp_eq_u32_e32 vcc_lo, 2, v0
	s_cbranch_vccnz .LBB43_360
; %bb.359:
	v_lshlrev_b32_e32 v0, 4, v0
	v_mov_b32_e32 v1, s54
	v_add_nc_u32_e32 v0, 16, v0
	s_clause 0x7
	buffer_load_dword v2, v0, s[0:3], 0 offen
	buffer_load_dword v3, v0, s[0:3], 0 offen offset:4
	buffer_load_dword v4, v0, s[0:3], 0 offen offset:8
	;; [unrolled: 1-line block ×6, first 2 shown]
	buffer_load_dword v15, v1, s[0:3], 0 offen
	s_waitcnt vmcnt(7)
	buffer_store_dword v2, v1, s[0:3], 0 offen
	s_waitcnt vmcnt(6)
	buffer_store_dword v3, v1, s[0:3], 0 offen offset:4
	s_waitcnt vmcnt(5)
	buffer_store_dword v4, v1, s[0:3], 0 offen offset:8
	;; [unrolled: 2-line block ×6, first 2 shown]
	s_waitcnt vmcnt(0)
	buffer_store_dword v15, v0, s[0:3], 0 offen
.LBB43_360:
	v_mov_b32_e32 v0, 0
	global_load_dword v1, v0, s[20:21] offset:4
	s_waitcnt vmcnt(0)
	v_add_nc_u32_e32 v1, -1, v1
	v_cmp_eq_u32_e32 vcc_lo, 1, v1
	s_cbranch_vccnz .LBB43_362
; %bb.361:
	v_lshlrev_b32_e32 v1, 4, v1
	v_mov_b32_e32 v2, s55
	v_add_nc_u32_e32 v1, 16, v1
	s_clause 0x7
	buffer_load_dword v3, v1, s[0:3], 0 offen
	buffer_load_dword v4, v1, s[0:3], 0 offen offset:4
	buffer_load_dword v11, v1, s[0:3], 0 offen offset:8
	;; [unrolled: 1-line block ×6, first 2 shown]
	buffer_load_dword v16, v2, s[0:3], 0 offen
	s_waitcnt vmcnt(7)
	buffer_store_dword v3, v2, s[0:3], 0 offen
	s_waitcnt vmcnt(6)
	buffer_store_dword v4, v2, s[0:3], 0 offen offset:4
	s_waitcnt vmcnt(5)
	buffer_store_dword v11, v2, s[0:3], 0 offen offset:8
	;; [unrolled: 2-line block ×6, first 2 shown]
	s_waitcnt vmcnt(0)
	buffer_store_dword v16, v1, s[0:3], 0 offen
.LBB43_362:
	global_load_dword v0, v0, s[20:21]
	s_waitcnt vmcnt(0)
	v_add_nc_u32_e32 v0, -1, v0
	v_cmp_eq_u32_e32 vcc_lo, 0, v0
	s_cbranch_vccnz .LBB43_364
; %bb.363:
	v_lshlrev_b32_e32 v0, 4, v0
	v_add_nc_u32_e32 v0, 16, v0
	s_clause 0x7
	buffer_load_dword v1, v0, s[0:3], 0 offen
	buffer_load_dword v2, v0, s[0:3], 0 offen offset:4
	buffer_load_dword v3, v0, s[0:3], 0 offen offset:8
	;; [unrolled: 1-line block ×3, first 2 shown]
	buffer_load_dword v11, off, s[0:3], 0 offset:28
	buffer_load_dword v12, off, s[0:3], 0 offset:24
	buffer_load_dword v13, off, s[0:3], 0 offset:20
	buffer_load_dword v14, off, s[0:3], 0 offset:16
	s_waitcnt vmcnt(7)
	buffer_store_dword v1, off, s[0:3], 0 offset:16
	s_waitcnt vmcnt(6)
	buffer_store_dword v2, off, s[0:3], 0 offset:20
	;; [unrolled: 2-line block ×4, first 2 shown]
	s_waitcnt vmcnt(3)
	buffer_store_dword v11, v0, s[0:3], 0 offen offset:12
	s_waitcnt vmcnt(2)
	buffer_store_dword v12, v0, s[0:3], 0 offen offset:8
	;; [unrolled: 2-line block ×3, first 2 shown]
	s_waitcnt vmcnt(0)
	buffer_store_dword v14, v0, s[0:3], 0 offen
.LBB43_364:
	v_mov_b32_e32 v4, s55
	s_clause 0x3
	buffer_load_dword v0, off, s[0:3], 0 offset:16
	buffer_load_dword v1, off, s[0:3], 0 offset:20
	;; [unrolled: 1-line block ×4, first 2 shown]
	v_mov_b32_e32 v165, s47
	v_mov_b32_e32 v169, s43
	;; [unrolled: 1-line block ×3, first 2 shown]
	s_clause 0x3
	buffer_load_dword v11, v4, s[0:3], 0 offen
	buffer_load_dword v12, v4, s[0:3], 0 offen offset:4
	buffer_load_dword v13, v4, s[0:3], 0 offen offset:8
	;; [unrolled: 1-line block ×3, first 2 shown]
	v_mov_b32_e32 v4, s54
	v_mov_b32_e32 v27, s31
	;; [unrolled: 1-line block ×4, first 2 shown]
	s_clause 0x3
	buffer_load_dword v15, v4, s[0:3], 0 offen
	buffer_load_dword v16, v4, s[0:3], 0 offen offset:4
	buffer_load_dword v17, v4, s[0:3], 0 offen offset:8
	;; [unrolled: 1-line block ×3, first 2 shown]
	v_mov_b32_e32 v4, s53
	v_mov_b32_e32 v39, s50
	;; [unrolled: 1-line block ×3, first 2 shown]
	s_clause 0x3
	buffer_load_dword v19, v4, s[0:3], 0 offen
	buffer_load_dword v20, v4, s[0:3], 0 offen offset:4
	buffer_load_dword v21, v4, s[0:3], 0 offen offset:8
	;; [unrolled: 1-line block ×3, first 2 shown]
	v_mov_b32_e32 v4, s52
	v_mov_b32_e32 v168, s45
	s_clause 0x3
	buffer_load_dword v23, v4, s[0:3], 0 offen
	buffer_load_dword v24, v4, s[0:3], 0 offen offset:4
	buffer_load_dword v25, v4, s[0:3], 0 offen offset:8
	buffer_load_dword v26, v4, s[0:3], 0 offen offset:12
	v_mov_b32_e32 v4, s51
	s_clause 0x3
	buffer_load_dword v31, v4, s[0:3], 0 offen
	buffer_load_dword v32, v4, s[0:3], 0 offen offset:4
	buffer_load_dword v33, v4, s[0:3], 0 offen offset:8
	buffer_load_dword v34, v4, s[0:3], 0 offen offset:12
	;; [unrolled: 6-line block ×9, first 2 shown]
	v_mov_b32_e32 v4, s34
	v_mov_b32_e32 v177, s30
	s_clause 0x13
	buffer_load_dword v145, v4, s[0:3], 0 offen
	buffer_load_dword v146, v4, s[0:3], 0 offen offset:4
	buffer_load_dword v147, v4, s[0:3], 0 offen offset:8
	buffer_load_dword v148, v4, s[0:3], 0 offen offset:12
	buffer_load_dword v149, v27, s[0:3], 0 offen
	buffer_load_dword v150, v27, s[0:3], 0 offen offset:4
	buffer_load_dword v151, v27, s[0:3], 0 offen offset:8
	buffer_load_dword v152, v27, s[0:3], 0 offen offset:12
	;; [unrolled: 4-line block ×5, first 2 shown]
	v_mov_b32_e32 v170, s41
	v_mov_b32_e32 v179, s27
	;; [unrolled: 1-line block ×20, first 2 shown]
	s_waitcnt vmcnt(62)
	global_store_dwordx4 v[73:74], v[0:3], off
	s_clause 0x7
	buffer_load_dword v0, v165, s[0:3], 0 offen
	buffer_load_dword v1, v165, s[0:3], 0 offen offset:4
	buffer_load_dword v2, v165, s[0:3], 0 offen offset:8
	;; [unrolled: 1-line block ×3, first 2 shown]
	buffer_load_dword v165, v168, s[0:3], 0 offen
	buffer_load_dword v166, v168, s[0:3], 0 offen offset:4
	buffer_load_dword v167, v168, s[0:3], 0 offen offset:8
	;; [unrolled: 1-line block ×3, first 2 shown]
	global_store_dwordx4 v[75:76], v[11:14], off
	s_clause 0x7
	buffer_load_dword v11, v169, s[0:3], 0 offen
	buffer_load_dword v12, v169, s[0:3], 0 offen offset:4
	buffer_load_dword v13, v169, s[0:3], 0 offen offset:8
	;; [unrolled: 1-line block ×3, first 2 shown]
	buffer_load_dword v73, v170, s[0:3], 0 offen
	buffer_load_dword v74, v170, s[0:3], 0 offen offset:4
	buffer_load_dword v75, v170, s[0:3], 0 offen offset:8
	;; [unrolled: 1-line block ×3, first 2 shown]
	s_waitcnt vmcnt(62)
	global_store_dwordx4 v[79:80], v[15:18], off
	s_clause 0x7
	buffer_load_dword v15, v171, s[0:3], 0 offen
	buffer_load_dword v16, v171, s[0:3], 0 offen offset:4
	buffer_load_dword v17, v171, s[0:3], 0 offen offset:8
	buffer_load_dword v18, v171, s[0:3], 0 offen offset:12
	buffer_load_dword v169, v172, s[0:3], 0 offen
	buffer_load_dword v170, v172, s[0:3], 0 offen offset:4
	buffer_load_dword v171, v172, s[0:3], 0 offen offset:8
	buffer_load_dword v172, v172, s[0:3], 0 offen offset:12
	global_store_dwordx4 v[87:88], v[19:22], off
	s_clause 0x7
	buffer_load_dword v19, v173, s[0:3], 0 offen
	buffer_load_dword v20, v173, s[0:3], 0 offen offset:4
	buffer_load_dword v21, v173, s[0:3], 0 offen offset:8
	buffer_load_dword v22, v173, s[0:3], 0 offen offset:12
	buffer_load_dword v173, v176, s[0:3], 0 offen
	buffer_load_dword v174, v176, s[0:3], 0 offen offset:4
	buffer_load_dword v175, v176, s[0:3], 0 offen offset:8
	buffer_load_dword v176, v176, s[0:3], 0 offen offset:12
	;; [unrolled: 10-line block ×4, first 2 shown]
	s_waitcnt vmcnt(62)
	global_store_dwordx4 v[93:94], v[35:38], off
	s_clause 0x7
	buffer_load_dword v35, v181, s[0:3], 0 offen
	buffer_load_dword v36, v181, s[0:3], 0 offen offset:4
	buffer_load_dword v37, v181, s[0:3], 0 offen offset:8
	buffer_load_dword v38, v181, s[0:3], 0 offen offset:12
	buffer_load_dword v181, v184, s[0:3], 0 offen
	buffer_load_dword v182, v184, s[0:3], 0 offen offset:4
	buffer_load_dword v183, v184, s[0:3], 0 offen offset:8
	buffer_load_dword v184, v184, s[0:3], 0 offen offset:12
	global_store_dwordx4 v[81:82], v[45:48], off
	s_clause 0x7
	buffer_load_dword v45, v185, s[0:3], 0 offen
	buffer_load_dword v46, v185, s[0:3], 0 offen offset:4
	buffer_load_dword v47, v185, s[0:3], 0 offen offset:8
	buffer_load_dword v48, v185, s[0:3], 0 offen offset:12
	buffer_load_dword v81, v186, s[0:3], 0 offen
	buffer_load_dword v82, v186, s[0:3], 0 offen offset:4
	buffer_load_dword v83, v186, s[0:3], 0 offen offset:8
	buffer_load_dword v84, v186, s[0:3], 0 offen offset:12
	global_store_dwordx4 v[89:90], v[49:52], off
	s_clause 0x7
	buffer_load_dword v49, v187, s[0:3], 0 offen
	buffer_load_dword v50, v187, s[0:3], 0 offen offset:4
	buffer_load_dword v51, v187, s[0:3], 0 offen offset:8
	buffer_load_dword v52, v187, s[0:3], 0 offen offset:12
	buffer_load_dword v87, v188, s[0:3], 0 offen
	buffer_load_dword v88, v188, s[0:3], 0 offen offset:4
	buffer_load_dword v89, v188, s[0:3], 0 offen offset:8
	buffer_load_dword v90, v188, s[0:3], 0 offen offset:12
	global_store_dwordx4 v[97:98], v[53:56], off
	s_clause 0x7
	buffer_load_dword v53, v189, s[0:3], 0 offen
	buffer_load_dword v54, v189, s[0:3], 0 offen offset:4
	buffer_load_dword v55, v189, s[0:3], 0 offen offset:8
	buffer_load_dword v56, v189, s[0:3], 0 offen offset:12
	buffer_load_dword v185, v190, s[0:3], 0 offen
	buffer_load_dword v186, v190, s[0:3], 0 offen offset:4
	buffer_load_dword v187, v190, s[0:3], 0 offen offset:8
	buffer_load_dword v188, v190, s[0:3], 0 offen offset:12
	global_store_dwordx4 v[85:86], v[57:60], off
	s_clause 0x7
	buffer_load_dword v57, v191, s[0:3], 0 offen
	buffer_load_dword v58, v191, s[0:3], 0 offen offset:4
	buffer_load_dword v59, v191, s[0:3], 0 offen offset:8
	buffer_load_dword v60, v191, s[0:3], 0 offen offset:12
	buffer_load_dword v189, v192, s[0:3], 0 offen
	buffer_load_dword v190, v192, s[0:3], 0 offen offset:4
	buffer_load_dword v191, v192, s[0:3], 0 offen offset:8
	buffer_load_dword v192, v192, s[0:3], 0 offen offset:12
	global_store_dwordx4 v[95:96], v[65:68], off
	s_clause 0x7
	buffer_load_dword v65, v193, s[0:3], 0 offen
	buffer_load_dword v66, v193, s[0:3], 0 offen offset:4
	buffer_load_dword v67, v193, s[0:3], 0 offen offset:8
	buffer_load_dword v68, v193, s[0:3], 0 offen offset:12
	buffer_load_dword v93, v194, s[0:3], 0 offen
	buffer_load_dword v94, v194, s[0:3], 0 offen offset:4
	buffer_load_dword v95, v194, s[0:3], 0 offen offset:8
	buffer_load_dword v96, v194, s[0:3], 0 offen offset:12
	global_store_dwordx4 v[99:100], v[69:72], off
	s_clause 0x7
	buffer_load_dword v69, v195, s[0:3], 0 offen
	buffer_load_dword v70, v195, s[0:3], 0 offen offset:4
	buffer_load_dword v71, v195, s[0:3], 0 offen offset:8
	buffer_load_dword v72, v195, s[0:3], 0 offen offset:12
	buffer_load_dword v97, v196, s[0:3], 0 offen
	buffer_load_dword v98, v196, s[0:3], 0 offen offset:4
	buffer_load_dword v99, v196, s[0:3], 0 offen offset:8
	buffer_load_dword v100, v196, s[0:3], 0 offen offset:12
	global_store_dwordx4 v[91:92], v[145:148], off
	s_waitcnt vmcnt(62)
	global_store_dwordx4 v[101:102], v[149:152], off
	global_store_dwordx4 v[103:104], v[153:156], off
	;; [unrolled: 1-line block ×14, first 2 shown]
	s_waitcnt vmcnt(60)
	global_store_dwordx4 v[129:130], v[31:34], off
	s_waitcnt vmcnt(56)
	global_store_dwordx4 v[131:132], v[177:180], off
	;; [unrolled: 2-line block ×16, first 2 shown]
	s_endpgm
	.section	.rodata,"a",@progbits
	.p2align	6, 0x0
	.amdhsa_kernel _ZN9rocsolver6v33100L18getri_kernel_smallILi44E19rocblas_complex_numIdEPS3_EEvT1_iilPiilS6_bb
		.amdhsa_group_segment_fixed_size 1416
		.amdhsa_private_segment_fixed_size 736
		.amdhsa_kernarg_size 60
		.amdhsa_user_sgpr_count 6
		.amdhsa_user_sgpr_private_segment_buffer 1
		.amdhsa_user_sgpr_dispatch_ptr 0
		.amdhsa_user_sgpr_queue_ptr 0
		.amdhsa_user_sgpr_kernarg_segment_ptr 1
		.amdhsa_user_sgpr_dispatch_id 0
		.amdhsa_user_sgpr_flat_scratch_init 0
		.amdhsa_user_sgpr_private_segment_size 0
		.amdhsa_wavefront_size32 1
		.amdhsa_uses_dynamic_stack 0
		.amdhsa_system_sgpr_private_segment_wavefront_offset 1
		.amdhsa_system_sgpr_workgroup_id_x 1
		.amdhsa_system_sgpr_workgroup_id_y 0
		.amdhsa_system_sgpr_workgroup_id_z 0
		.amdhsa_system_sgpr_workgroup_info 0
		.amdhsa_system_vgpr_workitem_id 0
		.amdhsa_next_free_vgpr 197
		.amdhsa_next_free_sgpr 60
		.amdhsa_reserve_vcc 1
		.amdhsa_reserve_flat_scratch 0
		.amdhsa_float_round_mode_32 0
		.amdhsa_float_round_mode_16_64 0
		.amdhsa_float_denorm_mode_32 3
		.amdhsa_float_denorm_mode_16_64 3
		.amdhsa_dx10_clamp 1
		.amdhsa_ieee_mode 1
		.amdhsa_fp16_overflow 0
		.amdhsa_workgroup_processor_mode 1
		.amdhsa_memory_ordered 1
		.amdhsa_forward_progress 1
		.amdhsa_shared_vgpr_count 0
		.amdhsa_exception_fp_ieee_invalid_op 0
		.amdhsa_exception_fp_denorm_src 0
		.amdhsa_exception_fp_ieee_div_zero 0
		.amdhsa_exception_fp_ieee_overflow 0
		.amdhsa_exception_fp_ieee_underflow 0
		.amdhsa_exception_fp_ieee_inexact 0
		.amdhsa_exception_int_div_zero 0
	.end_amdhsa_kernel
	.section	.text._ZN9rocsolver6v33100L18getri_kernel_smallILi44E19rocblas_complex_numIdEPS3_EEvT1_iilPiilS6_bb,"axG",@progbits,_ZN9rocsolver6v33100L18getri_kernel_smallILi44E19rocblas_complex_numIdEPS3_EEvT1_iilPiilS6_bb,comdat
.Lfunc_end43:
	.size	_ZN9rocsolver6v33100L18getri_kernel_smallILi44E19rocblas_complex_numIdEPS3_EEvT1_iilPiilS6_bb, .Lfunc_end43-_ZN9rocsolver6v33100L18getri_kernel_smallILi44E19rocblas_complex_numIdEPS3_EEvT1_iilPiilS6_bb
                                        ; -- End function
	.set _ZN9rocsolver6v33100L18getri_kernel_smallILi44E19rocblas_complex_numIdEPS3_EEvT1_iilPiilS6_bb.num_vgpr, 197
	.set _ZN9rocsolver6v33100L18getri_kernel_smallILi44E19rocblas_complex_numIdEPS3_EEvT1_iilPiilS6_bb.num_agpr, 0
	.set _ZN9rocsolver6v33100L18getri_kernel_smallILi44E19rocblas_complex_numIdEPS3_EEvT1_iilPiilS6_bb.numbered_sgpr, 60
	.set _ZN9rocsolver6v33100L18getri_kernel_smallILi44E19rocblas_complex_numIdEPS3_EEvT1_iilPiilS6_bb.num_named_barrier, 0
	.set _ZN9rocsolver6v33100L18getri_kernel_smallILi44E19rocblas_complex_numIdEPS3_EEvT1_iilPiilS6_bb.private_seg_size, 736
	.set _ZN9rocsolver6v33100L18getri_kernel_smallILi44E19rocblas_complex_numIdEPS3_EEvT1_iilPiilS6_bb.uses_vcc, 1
	.set _ZN9rocsolver6v33100L18getri_kernel_smallILi44E19rocblas_complex_numIdEPS3_EEvT1_iilPiilS6_bb.uses_flat_scratch, 0
	.set _ZN9rocsolver6v33100L18getri_kernel_smallILi44E19rocblas_complex_numIdEPS3_EEvT1_iilPiilS6_bb.has_dyn_sized_stack, 0
	.set _ZN9rocsolver6v33100L18getri_kernel_smallILi44E19rocblas_complex_numIdEPS3_EEvT1_iilPiilS6_bb.has_recursion, 0
	.set _ZN9rocsolver6v33100L18getri_kernel_smallILi44E19rocblas_complex_numIdEPS3_EEvT1_iilPiilS6_bb.has_indirect_call, 0
	.section	.AMDGPU.csdata,"",@progbits
; Kernel info:
; codeLenInByte = 133952
; TotalNumSgprs: 62
; NumVgprs: 197
; ScratchSize: 736
; MemoryBound: 0
; FloatMode: 240
; IeeeMode: 1
; LDSByteSize: 1416 bytes/workgroup (compile time only)
; SGPRBlocks: 0
; VGPRBlocks: 24
; NumSGPRsForWavesPerEU: 62
; NumVGPRsForWavesPerEU: 197
; Occupancy: 4
; WaveLimiterHint : 1
; COMPUTE_PGM_RSRC2:SCRATCH_EN: 1
; COMPUTE_PGM_RSRC2:USER_SGPR: 6
; COMPUTE_PGM_RSRC2:TRAP_HANDLER: 0
; COMPUTE_PGM_RSRC2:TGID_X_EN: 1
; COMPUTE_PGM_RSRC2:TGID_Y_EN: 0
; COMPUTE_PGM_RSRC2:TGID_Z_EN: 0
; COMPUTE_PGM_RSRC2:TIDIG_COMP_CNT: 0
	.section	.text._ZN9rocsolver6v33100L18getri_kernel_smallILi45E19rocblas_complex_numIdEPS3_EEvT1_iilPiilS6_bb,"axG",@progbits,_ZN9rocsolver6v33100L18getri_kernel_smallILi45E19rocblas_complex_numIdEPS3_EEvT1_iilPiilS6_bb,comdat
	.globl	_ZN9rocsolver6v33100L18getri_kernel_smallILi45E19rocblas_complex_numIdEPS3_EEvT1_iilPiilS6_bb ; -- Begin function _ZN9rocsolver6v33100L18getri_kernel_smallILi45E19rocblas_complex_numIdEPS3_EEvT1_iilPiilS6_bb
	.p2align	8
	.type	_ZN9rocsolver6v33100L18getri_kernel_smallILi45E19rocblas_complex_numIdEPS3_EEvT1_iilPiilS6_bb,@function
_ZN9rocsolver6v33100L18getri_kernel_smallILi45E19rocblas_complex_numIdEPS3_EEvT1_iilPiilS6_bb: ; @_ZN9rocsolver6v33100L18getri_kernel_smallILi45E19rocblas_complex_numIdEPS3_EEvT1_iilPiilS6_bb
; %bb.0:
	s_add_u32 s0, s0, s7
	s_addc_u32 s1, s1, 0
	s_mov_b32 s7, exec_lo
	v_cmpx_gt_u32_e32 45, v0
	s_cbranch_execz .LBB44_194
; %bb.1:
	s_clause 0x2
	s_load_dword s7, s[4:5], 0x38
	s_load_dwordx4 s[16:19], s[4:5], 0x10
	s_load_dwordx4 s[8:11], s[4:5], 0x28
                                        ; implicit-def: $sgpr20_sgpr21
	s_waitcnt lgkmcnt(0)
	s_bitcmp1_b32 s7, 8
	s_cselect_b32 s57, -1, 0
	s_bfe_u32 s12, s7, 0x10008
	s_ashr_i32 s7, s6, 31
	s_cmp_eq_u32 s12, 0
	s_cbranch_scc1 .LBB44_3
; %bb.2:
	s_load_dword s12, s[4:5], 0x20
	s_mul_i32 s13, s8, s7
	s_mul_hi_u32 s14, s8, s6
	s_mul_i32 s9, s9, s6
	s_add_i32 s13, s14, s13
	s_mul_i32 s8, s8, s6
	s_add_i32 s9, s13, s9
	s_lshl_b64 s[8:9], s[8:9], 2
	s_waitcnt lgkmcnt(0)
	s_ashr_i32 s13, s12, 31
	s_add_u32 s14, s18, s8
	s_addc_u32 s15, s19, s9
	s_lshl_b64 s[8:9], s[12:13], 2
	s_add_u32 s20, s14, s8
	s_addc_u32 s21, s15, s9
.LBB44_3:
	s_clause 0x1
	s_load_dwordx4 s[12:15], s[4:5], 0x0
	s_load_dword s58, s[4:5], 0x38
	s_mul_i32 s4, s16, s7
	s_mul_hi_u32 s5, s16, s6
	s_mul_i32 s8, s17, s6
	s_add_i32 s5, s5, s4
	s_mul_i32 s4, s16, s6
	s_add_i32 s5, s5, s8
	v_lshlrev_b32_e32 v181, 4, v0
	s_lshl_b64 s[4:5], s[4:5], 4
	s_mov_b32 s56, 32
	s_mov_b32 s54, 48
	s_mov_b32 s52, 64
	s_movk_i32 s49, 0x50
	s_waitcnt lgkmcnt(0)
	v_add3_u32 v5, s15, s15, v0
	s_ashr_i32 s9, s14, 31
	s_mov_b32 s8, s14
	s_add_u32 s12, s12, s4
	s_addc_u32 s13, s13, s5
	v_add_nc_u32_e32 v7, s15, v5
	s_lshl_b64 s[4:5], s[8:9], 4
	v_ashrrev_i32_e32 v6, 31, v5
	s_add_u32 s4, s12, s4
	s_addc_u32 s5, s13, s5
	v_add_nc_u32_e32 v9, s15, v7
	v_add_co_u32 v93, s12, s4, v181
	s_mov_b32 s8, s15
	s_ashr_i32 s9, s15, 31
	v_lshlrev_b64 v[5:6], 4, v[5:6]
	v_ashrrev_i32_e32 v8, 31, v7
	v_add_co_ci_u32_e64 v94, null, s5, 0, s12
	s_lshl_b64 s[8:9], s[8:9], 4
	v_ashrrev_i32_e32 v10, 31, v9
	v_add_nc_u32_e32 v11, s15, v9
	v_add_co_u32 v95, vcc_lo, v93, s8
	v_lshlrev_b64 v[7:8], 4, v[7:8]
	v_add_co_ci_u32_e64 v96, null, s9, v94, vcc_lo
	v_add_co_u32 v97, vcc_lo, s4, v5
	v_add_co_ci_u32_e64 v98, null, s5, v6, vcc_lo
	v_lshlrev_b64 v[5:6], 4, v[9:10]
	v_ashrrev_i32_e32 v12, 31, v11
	v_add_nc_u32_e32 v9, s15, v11
	v_add_co_u32 v99, vcc_lo, s4, v7
	v_add_co_ci_u32_e64 v100, null, s5, v8, vcc_lo
	v_lshlrev_b64 v[7:8], 4, v[11:12]
	v_ashrrev_i32_e32 v10, 31, v9
	v_add_nc_u32_e32 v11, s15, v9
	;; [unrolled: 5-line block ×4, first 2 shown]
	v_add_co_u32 v105, vcc_lo, s4, v5
	v_add_co_ci_u32_e64 v106, null, s5, v6, vcc_lo
	v_lshlrev_b64 v[5:6], 4, v[9:10]
	v_add_nc_u32_e32 v9, s15, v11
	v_ashrrev_i32_e32 v12, 31, v11
	v_add_co_u32 v107, vcc_lo, s4, v7
	v_add_co_ci_u32_e64 v108, null, s5, v8, vcc_lo
	v_add_nc_u32_e32 v13, s15, v9
	v_ashrrev_i32_e32 v10, 31, v9
	v_lshlrev_b64 v[11:12], 4, v[11:12]
	v_add_co_u32 v109, vcc_lo, s4, v5
	v_add_nc_u32_e32 v19, s15, v13
	v_ashrrev_i32_e32 v14, 31, v13
	v_lshlrev_b64 v[17:18], 4, v[9:10]
	v_add_co_ci_u32_e64 v110, null, s5, v6, vcc_lo
	v_add_nc_u32_e32 v27, s15, v19
	v_ashrrev_i32_e32 v20, 31, v19
	v_lshlrev_b64 v[25:26], 4, v[13:14]
	v_add_co_u32 v111, vcc_lo, s4, v11
	v_add_nc_u32_e32 v33, s15, v27
	v_ashrrev_i32_e32 v28, 31, v27
	v_lshlrev_b64 v[29:30], 4, v[19:20]
	v_add_co_ci_u32_e64 v112, null, s5, v12, vcc_lo
	v_add_nc_u32_e32 v39, s15, v33
	v_ashrrev_i32_e32 v34, 31, v33
	v_add_co_u32 v113, vcc_lo, s4, v17
	v_lshlrev_b64 v[37:38], 4, v[27:28]
	v_add_nc_u32_e32 v43, s15, v39
	v_ashrrev_i32_e32 v40, 31, v39
	v_add_co_ci_u32_e64 v114, null, s5, v18, vcc_lo
	v_add_co_u32 v115, vcc_lo, s4, v25
	v_add_nc_u32_e32 v51, s15, v43
	v_ashrrev_i32_e32 v44, 31, v43
	v_lshlrev_b64 v[41:42], 4, v[33:34]
	s_clause 0x1
	global_load_dwordx4 v[1:4], v181, s[4:5]
	global_load_dwordx4 v[5:8], v[95:96], off
	v_add_nc_u32_e32 v59, s15, v51
	v_ashrrev_i32_e32 v52, 31, v51
	v_add_co_ci_u32_e64 v116, null, s5, v26, vcc_lo
	v_add_co_u32 v117, vcc_lo, s4, v29
	v_add_nc_u32_e32 v69, s15, v59
	v_lshlrev_b64 v[49:50], 4, v[39:40]
	v_ashrrev_i32_e32 v60, 31, v59
	v_add_co_ci_u32_e64 v118, null, s5, v30, vcc_lo
	v_add_nc_u32_e32 v85, s15, v69
	v_add_co_u32 v119, vcc_lo, s4, v37
	v_lshlrev_b64 v[57:58], 4, v[43:44]
	v_ashrrev_i32_e32 v70, 31, v69
	v_add_co_ci_u32_e64 v120, null, s5, v38, vcc_lo
	v_add_co_u32 v121, vcc_lo, s4, v41
	v_lshlrev_b64 v[65:66], 4, v[51:52]
	s_clause 0x1
	global_load_dwordx4 v[9:12], v[97:98], off
	global_load_dwordx4 v[13:16], v[99:100], off
	v_ashrrev_i32_e32 v86, 31, v85
	v_add_co_ci_u32_e64 v122, null, s5, v42, vcc_lo
	v_add_co_u32 v123, vcc_lo, s4, v49
	v_lshlrev_b64 v[71:72], 4, v[59:60]
	v_add_co_ci_u32_e64 v124, null, s5, v50, vcc_lo
	v_add_co_u32 v125, vcc_lo, s4, v57
	v_lshlrev_b64 v[77:78], 4, v[69:70]
	;; [unrolled: 3-line block ×3, first 2 shown]
	v_add_co_ci_u32_e64 v128, null, s5, v66, vcc_lo
	v_add_co_u32 v129, vcc_lo, s4, v71
	v_add_co_ci_u32_e64 v130, null, s5, v72, vcc_lo
	v_add_co_u32 v131, vcc_lo, s4, v77
	s_clause 0x3
	global_load_dwordx4 v[17:20], v[101:102], off
	global_load_dwordx4 v[21:24], v[103:104], off
	;; [unrolled: 1-line block ×4, first 2 shown]
	v_add_co_ci_u32_e64 v132, null, s5, v78, vcc_lo
	v_add_co_u32 v133, vcc_lo, s4, v79
	s_clause 0x3
	global_load_dwordx4 v[33:36], v[109:110], off
	global_load_dwordx4 v[37:40], v[111:112], off
	;; [unrolled: 1-line block ×4, first 2 shown]
	v_add_co_ci_u32_e64 v134, null, s5, v80, vcc_lo
	s_clause 0x8
	global_load_dwordx4 v[61:64], v[117:118], off
	global_load_dwordx4 v[41:44], v[119:120], off
	;; [unrolled: 1-line block ×9, first 2 shown]
	v_add_nc_u32_e32 v85, s15, v85
	s_movk_i32 s14, 0xb0
	s_movk_i32 s12, 0x90
	;; [unrolled: 1-line block ×3, first 2 shown]
	s_add_i32 s35, s14, 16
	v_add_nc_u32_e32 v87, s15, v85
	v_ashrrev_i32_e32 v86, 31, v85
	s_movk_i32 s8, 0x70
	s_movk_i32 s9, 0x80
	s_add_i32 s39, s12, 16
	v_add_nc_u32_e32 v89, s15, v87
	v_lshlrev_b64 v[85:86], 4, v[85:86]
	v_ashrrev_i32_e32 v88, 31, v87
	s_add_i32 s37, s13, 16
	s_add_i32 s43, s8, 16
	v_add_nc_u32_e32 v91, s15, v89
	v_ashrrev_i32_e32 v90, 31, v89
	v_lshlrev_b64 v[87:88], 4, v[87:88]
	v_add_co_u32 v135, vcc_lo, s4, v85
	v_add_nc_u32_e32 v141, s15, v91
	v_ashrrev_i32_e32 v92, 31, v91
	v_add_co_ci_u32_e64 v136, null, s5, v86, vcc_lo
	v_lshlrev_b64 v[85:86], 4, v[89:90]
	v_add_nc_u32_e32 v145, s15, v141
	v_ashrrev_i32_e32 v142, 31, v141
	v_lshlrev_b64 v[143:144], 4, v[91:92]
	v_add_co_u32 v137, vcc_lo, s4, v87
	v_add_nc_u32_e32 v149, s15, v145
	v_lshlrev_b64 v[147:148], 4, v[141:142]
	v_add_co_ci_u32_e64 v138, null, s5, v88, vcc_lo
	v_add_co_u32 v139, vcc_lo, s4, v85
	v_ashrrev_i32_e32 v150, 31, v149
	v_add_nc_u32_e32 v151, s15, v149
	v_add_co_ci_u32_e64 v140, null, s5, v86, vcc_lo
	v_add_co_u32 v141, vcc_lo, s4, v143
	v_add_co_ci_u32_e64 v142, null, s5, v144, vcc_lo
	v_add_co_u32 v143, vcc_lo, s4, v147
	v_add_co_ci_u32_e64 v144, null, s5, v148, vcc_lo
	v_lshlrev_b64 v[147:148], 4, v[149:150]
	v_add_nc_u32_e32 v149, s15, v151
	v_ashrrev_i32_e32 v146, 31, v145
	v_ashrrev_i32_e32 v152, 31, v151
	s_clause 0x1
	global_load_dwordx4 v[89:92], v[135:136], off
	global_load_dwordx4 v[85:88], v[137:138], off
	s_add_i32 s41, s9, 16
	v_add_nc_u32_e32 v153, s15, v149
	v_lshlrev_b64 v[145:146], 4, v[145:146]
	v_ashrrev_i32_e32 v150, 31, v149
	v_lshlrev_b64 v[151:152], 4, v[151:152]
	s_waitcnt vmcnt(22)
	buffer_store_dword v4, off, s[0:3], 0 offset:28
	buffer_store_dword v3, off, s[0:3], 0 offset:24
	;; [unrolled: 1-line block ×4, first 2 shown]
	v_add_nc_u32_e32 v157, s15, v153
	v_add_co_u32 v145, vcc_lo, s4, v145
	v_lshlrev_b64 v[155:156], 4, v[149:150]
	v_add_co_ci_u32_e64 v146, null, s5, v146, vcc_lo
	v_add_co_u32 v147, vcc_lo, s4, v147
	v_ashrrev_i32_e32 v158, 31, v157
	v_add_nc_u32_e32 v159, s15, v157
	v_add_co_ci_u32_e64 v148, null, s5, v148, vcc_lo
	v_add_co_u32 v149, vcc_lo, s4, v151
	v_add_co_ci_u32_e64 v150, null, s5, v152, vcc_lo
	v_add_co_u32 v151, vcc_lo, s4, v155
	v_add_co_ci_u32_e64 v152, null, s5, v156, vcc_lo
	v_lshlrev_b64 v[155:156], 4, v[157:158]
	v_add_nc_u32_e32 v157, s15, v159
	v_ashrrev_i32_e32 v154, 31, v153
	v_ashrrev_i32_e32 v160, 31, v159
	s_clause 0x1
	global_load_dwordx4 v[1:4], v[139:140], off
	global_load_dwordx4 v[182:185], v[141:142], off
	s_waitcnt vmcnt(23)
	buffer_store_dword v8, off, s[0:3], 0 offset:44
	buffer_store_dword v7, off, s[0:3], 0 offset:40
	;; [unrolled: 1-line block ×4, first 2 shown]
	s_waitcnt vmcnt(22)
	buffer_store_dword v12, off, s[0:3], 0 offset:60
	buffer_store_dword v11, off, s[0:3], 0 offset:56
	;; [unrolled: 1-line block ×4, first 2 shown]
	v_add_nc_u32_e32 v161, s15, v157
	v_lshlrev_b64 v[153:154], 4, v[153:154]
	v_ashrrev_i32_e32 v158, 31, v157
	v_lshlrev_b64 v[159:160], 4, v[159:160]
	s_clause 0x1
	global_load_dwordx4 v[7:10], v[143:144], off
	global_load_dwordx4 v[186:189], v[145:146], off
	v_add_nc_u32_e32 v165, s15, v161
	v_ashrrev_i32_e32 v162, 31, v161
	v_add_co_u32 v153, vcc_lo, s4, v153
	v_lshlrev_b64 v[163:164], 4, v[157:158]
	v_add_co_ci_u32_e64 v154, null, s5, v154, vcc_lo
	v_add_co_u32 v155, vcc_lo, s4, v155
	v_ashrrev_i32_e32 v166, 31, v165
	v_add_nc_u32_e32 v167, s15, v165
	v_add_co_ci_u32_e64 v156, null, s5, v156, vcc_lo
	v_add_co_u32 v157, vcc_lo, s4, v159
	v_add_co_ci_u32_e64 v158, null, s5, v160, vcc_lo
	v_add_co_u32 v159, vcc_lo, s4, v163
	v_add_co_ci_u32_e64 v160, null, s5, v164, vcc_lo
	v_lshlrev_b64 v[163:164], 4, v[165:166]
	v_add_nc_u32_e32 v165, s15, v167
	v_ashrrev_i32_e32 v168, 31, v167
	v_lshlrev_b64 v[161:162], 4, v[161:162]
	s_waitcnt vmcnt(23)
	buffer_store_dword v16, off, s[0:3], 0 offset:76
	buffer_store_dword v15, off, s[0:3], 0 offset:72
	;; [unrolled: 1-line block ×4, first 2 shown]
	s_waitcnt vmcnt(22)
	buffer_store_dword v20, off, s[0:3], 0 offset:92
	buffer_store_dword v19, off, s[0:3], 0 offset:88
	;; [unrolled: 1-line block ×4, first 2 shown]
	s_clause 0x1
	global_load_dwordx4 v[11:14], v[147:148], off
	global_load_dwordx4 v[15:18], v[149:150], off
	v_add_nc_u32_e32 v169, s15, v165
	v_ashrrev_i32_e32 v166, 31, v165
	v_lshlrev_b64 v[167:168], 4, v[167:168]
	v_add_co_u32 v161, vcc_lo, s4, v161
	v_add_nc_u32_e32 v173, s15, v169
	v_lshlrev_b64 v[171:172], 4, v[165:166]
	v_add_co_ci_u32_e64 v162, null, s5, v162, vcc_lo
	v_add_co_u32 v163, vcc_lo, s4, v163
	v_ashrrev_i32_e32 v174, 31, v173
	v_add_nc_u32_e32 v175, s15, v173
	v_add_co_ci_u32_e64 v164, null, s5, v164, vcc_lo
	v_add_co_u32 v165, vcc_lo, s4, v167
	v_add_co_ci_u32_e64 v166, null, s5, v168, vcc_lo
	v_add_co_u32 v167, vcc_lo, s4, v171
	v_add_co_ci_u32_e64 v168, null, s5, v172, vcc_lo
	v_lshlrev_b64 v[171:172], 4, v[173:174]
	v_add_nc_u32_e32 v173, s15, v175
	v_ashrrev_i32_e32 v170, 31, v169
	v_ashrrev_i32_e32 v176, 31, v175
	s_waitcnt vmcnt(23)
	buffer_store_dword v24, off, s[0:3], 0 offset:108
	buffer_store_dword v23, off, s[0:3], 0 offset:104
	;; [unrolled: 1-line block ×4, first 2 shown]
	s_waitcnt vmcnt(22)
	buffer_store_dword v28, off, s[0:3], 0 offset:124
	buffer_store_dword v27, off, s[0:3], 0 offset:120
	;; [unrolled: 1-line block ×4, first 2 shown]
	s_clause 0x1
	global_load_dwordx4 v[19:22], v[151:152], off
	global_load_dwordx4 v[23:26], v[153:154], off
	v_add_nc_u32_e32 v177, s15, v173
	v_lshlrev_b64 v[169:170], 4, v[169:170]
	v_ashrrev_i32_e32 v174, 31, v173
	v_lshlrev_b64 v[175:176], 4, v[175:176]
	s_waitcnt vmcnt(23)
	buffer_store_dword v32, off, s[0:3], 0 offset:140
	buffer_store_dword v31, off, s[0:3], 0 offset:136
	;; [unrolled: 1-line block ×4, first 2 shown]
	s_waitcnt vmcnt(22)
	buffer_store_dword v36, off, s[0:3], 0 offset:156
	buffer_store_dword v35, off, s[0:3], 0 offset:152
	;; [unrolled: 1-line block ×4, first 2 shown]
	v_add_nc_u32_e32 v190, s15, v177
	v_ashrrev_i32_e32 v178, 31, v177
	v_add_co_u32 v169, vcc_lo, s4, v169
	v_lshlrev_b64 v[179:180], 4, v[173:174]
	v_add_nc_u32_e32 v5, s15, v190
	v_add_co_ci_u32_e64 v170, null, s5, v170, vcc_lo
	v_add_co_u32 v171, vcc_lo, s4, v171
	v_ashrrev_i32_e32 v191, 31, v190
	v_add_co_ci_u32_e64 v172, null, s5, v172, vcc_lo
	v_add_co_u32 v173, vcc_lo, s4, v175
	v_ashrrev_i32_e32 v6, 31, v5
	v_add_co_ci_u32_e64 v174, null, s5, v176, vcc_lo
	v_lshlrev_b64 v[177:178], 4, v[177:178]
	v_add_co_u32 v175, vcc_lo, s4, v179
	v_add_co_ci_u32_e64 v176, null, s5, v180, vcc_lo
	v_lshlrev_b64 v[179:180], 4, v[190:191]
	v_lshlrev_b64 v[5:6], 4, v[5:6]
	v_add_co_u32 v177, vcc_lo, s4, v177
	v_add_co_ci_u32_e64 v178, null, s5, v178, vcc_lo
	v_add_co_u32 v179, vcc_lo, s4, v179
	v_add_co_ci_u32_e64 v180, null, s5, v180, vcc_lo
	s_clause 0x1
	global_load_dwordx4 v[27:30], v[155:156], off
	global_load_dwordx4 v[31:34], v[157:158], off
	s_waitcnt vmcnt(23)
	buffer_store_dword v37, off, s[0:3], 0 offset:160
	buffer_store_dword v38, off, s[0:3], 0 offset:164
	;; [unrolled: 1-line block ×4, first 2 shown]
	s_waitcnt vmcnt(22)
	buffer_store_dword v45, off, s[0:3], 0 offset:176
	buffer_store_dword v46, off, s[0:3], 0 offset:180
	;; [unrolled: 1-line block ×4, first 2 shown]
	v_add_co_u32 v5, vcc_lo, s4, v5
	s_clause 0x1
	global_load_dwordx4 v[35:38], v[159:160], off
	global_load_dwordx4 v[45:48], v[161:162], off
	s_waitcnt vmcnt(23)
	buffer_store_dword v53, off, s[0:3], 0 offset:192
	buffer_store_dword v54, off, s[0:3], 0 offset:196
	;; [unrolled: 1-line block ×4, first 2 shown]
	s_waitcnt vmcnt(22)
	buffer_store_dword v64, off, s[0:3], 0 offset:220
	buffer_store_dword v63, off, s[0:3], 0 offset:216
	;; [unrolled: 1-line block ×4, first 2 shown]
	s_clause 0x1
	global_load_dwordx4 v[53:56], v[163:164], off
	global_load_dwordx4 v[61:64], v[165:166], off
	s_waitcnt vmcnt(23)
	buffer_store_dword v44, off, s[0:3], 0 offset:236
	buffer_store_dword v43, off, s[0:3], 0 offset:232
	;; [unrolled: 1-line block ×4, first 2 shown]
	s_waitcnt vmcnt(22)
	buffer_store_dword v52, off, s[0:3], 0 offset:252
	buffer_store_dword v51, off, s[0:3], 0 offset:248
	;; [unrolled: 1-line block ×4, first 2 shown]
	v_add_co_ci_u32_e64 v6, null, s5, v6, vcc_lo
	s_clause 0x1
	global_load_dwordx4 v[39:42], v[167:168], off
	global_load_dwordx4 v[49:52], v[169:170], off
	s_waitcnt vmcnt(23)
	buffer_store_dword v60, off, s[0:3], 0 offset:268
	buffer_store_dword v59, off, s[0:3], 0 offset:264
	;; [unrolled: 1-line block ×4, first 2 shown]
	s_waitcnt vmcnt(22)
	buffer_store_dword v68, off, s[0:3], 0 offset:284
	buffer_store_dword v67, off, s[0:3], 0 offset:280
	;; [unrolled: 1-line block ×4, first 2 shown]
	s_clause 0x1
	global_load_dwordx4 v[57:60], v[171:172], off
	global_load_dwordx4 v[65:68], v[173:174], off
	s_waitcnt vmcnt(23)
	buffer_store_dword v72, off, s[0:3], 0 offset:300
	buffer_store_dword v71, off, s[0:3], 0 offset:296
	;; [unrolled: 1-line block ×4, first 2 shown]
	s_waitcnt vmcnt(22)
	buffer_store_dword v76, off, s[0:3], 0 offset:316
	buffer_store_dword v75, off, s[0:3], 0 offset:312
	;; [unrolled: 1-line block ×4, first 2 shown]
	s_clause 0x1
	global_load_dwordx4 v[69:72], v[175:176], off
	global_load_dwordx4 v[73:76], v[177:178], off
	s_waitcnt vmcnt(23)
	buffer_store_dword v84, off, s[0:3], 0 offset:332
	buffer_store_dword v83, off, s[0:3], 0 offset:328
	;; [unrolled: 1-line block ×4, first 2 shown]
	s_waitcnt vmcnt(22)
	buffer_store_dword v80, off, s[0:3], 0 offset:348
	global_load_dwordx4 v[80:83], v[179:180], off
	buffer_store_dword v79, off, s[0:3], 0 offset:344
	buffer_store_dword v78, off, s[0:3], 0 offset:340
	;; [unrolled: 1-line block ×3, first 2 shown]
	global_load_dwordx4 v[190:193], v[5:6], off
	s_movk_i32 s4, 0x50
	s_movk_i32 s5, 0x60
	s_add_i32 s47, s4, 16
	s_add_i32 s45, s5, 16
	s_movk_i32 s4, 0xd0
	s_movk_i32 s5, 0xe0
	s_add_i32 s53, s4, 16
	s_add_i32 s51, s5, 16
	;; [unrolled: 4-line block ×13, first 2 shown]
	s_movk_i32 s4, 0x250
	s_movk_i32 s5, 0x260
	;; [unrolled: 1-line block ×3, first 2 shown]
	s_add_i32 s17, s4, 16
	s_add_i32 s16, s5, 16
	s_movk_i32 s4, 0x270
	s_movk_i32 s5, 0x280
	s_add_i32 s55, s15, 16
	s_add_i32 s15, s4, 16
	;; [unrolled: 1-line block ×3, first 2 shown]
	s_movk_i32 s4, 0x290
	s_movk_i32 s5, 0x2a0
	s_add_i32 s13, s4, 16
	s_add_i32 s12, s5, 16
	s_movk_i32 s4, 0x2b0
	s_movk_i32 s5, 0x2c0
	s_add_i32 s9, s4, 16
	s_add_i32 s8, s5, 16
	s_bitcmp0_b32 s58, 0
	s_mov_b32 s5, -1
	s_waitcnt vmcnt(23)
	buffer_store_dword v92, off, s[0:3], 0 offset:364
	buffer_store_dword v91, off, s[0:3], 0 offset:360
	buffer_store_dword v90, off, s[0:3], 0 offset:356
	buffer_store_dword v89, off, s[0:3], 0 offset:352
	s_waitcnt vmcnt(22)
	buffer_store_dword v88, off, s[0:3], 0 offset:380
	buffer_store_dword v87, off, s[0:3], 0 offset:376
	buffer_store_dword v86, off, s[0:3], 0 offset:372
	buffer_store_dword v85, off, s[0:3], 0 offset:368
	;; [unrolled: 5-line block ×24, first 2 shown]
	s_cbranch_scc1 .LBB44_192
; %bb.4:
	v_cmp_eq_u32_e64 s4, 0, v0
	s_and_saveexec_b32 s5, s4
; %bb.5:
	v_mov_b32_e32 v1, 0
	ds_write_b32 v1, v1 offset:1440
; %bb.6:
	s_or_b32 exec_lo, exec_lo, s5
	v_lshl_add_u32 v13, v0, 4, 16
	s_waitcnt lgkmcnt(0)
	s_waitcnt_vscnt null, 0x0
	s_barrier
	buffer_gl0_inv
	s_clause 0x3
	buffer_load_dword v1, v13, s[0:3], 0 offen
	buffer_load_dword v2, v13, s[0:3], 0 offen offset:4
	buffer_load_dword v3, v13, s[0:3], 0 offen offset:8
	;; [unrolled: 1-line block ×3, first 2 shown]
	s_waitcnt vmcnt(2)
	v_cmp_eq_f64_e32 vcc_lo, 0, v[1:2]
	s_waitcnt vmcnt(0)
	v_cmp_eq_f64_e64 s5, 0, v[3:4]
	s_and_b32 s5, vcc_lo, s5
	s_and_saveexec_b32 s58, s5
	s_cbranch_execz .LBB44_10
; %bb.7:
	v_mov_b32_e32 v1, 0
	s_mov_b32 s59, 0
	ds_read_b32 v2, v1 offset:1440
	s_waitcnt lgkmcnt(0)
	v_readfirstlane_b32 s5, v2
	v_add_nc_u32_e32 v2, 1, v0
	s_cmp_eq_u32 s5, 0
	v_cmp_gt_i32_e32 vcc_lo, s5, v2
	s_cselect_b32 s60, -1, 0
	s_or_b32 s60, s60, vcc_lo
	s_and_b32 exec_lo, exec_lo, s60
	s_cbranch_execz .LBB44_10
; %bb.8:
	v_mov_b32_e32 v3, s5
.LBB44_9:                               ; =>This Inner Loop Header: Depth=1
	ds_cmpst_rtn_b32 v3, v1, v3, v2 offset:1440
	s_waitcnt lgkmcnt(0)
	v_cmp_ne_u32_e32 vcc_lo, 0, v3
	v_cmp_le_i32_e64 s5, v3, v2
	s_and_b32 s5, vcc_lo, s5
	s_and_b32 s5, exec_lo, s5
	s_or_b32 s59, s5, s59
	s_andn2_b32 exec_lo, exec_lo, s59
	s_cbranch_execnz .LBB44_9
.LBB44_10:
	s_or_b32 exec_lo, exec_lo, s58
	v_mov_b32_e32 v1, 0
	s_barrier
	buffer_gl0_inv
	ds_read_b32 v2, v1 offset:1440
	s_and_saveexec_b32 s5, s4
	s_cbranch_execz .LBB44_12
; %bb.11:
	s_lshl_b64 s[58:59], s[6:7], 2
	s_add_u32 s58, s10, s58
	s_addc_u32 s59, s11, s59
	s_waitcnt lgkmcnt(0)
	global_store_dword v1, v2, s[58:59]
.LBB44_12:
	s_or_b32 exec_lo, exec_lo, s5
	s_waitcnt lgkmcnt(0)
	v_cmp_ne_u32_e32 vcc_lo, 0, v2
	s_mov_b32 s5, 0
	s_cbranch_vccnz .LBB44_192
; %bb.13:
	s_clause 0x3
	buffer_load_dword v9, v13, s[0:3], 0 offen
	buffer_load_dword v10, v13, s[0:3], 0 offen offset:4
	buffer_load_dword v11, v13, s[0:3], 0 offen offset:8
	;; [unrolled: 1-line block ×3, first 2 shown]
                                        ; implicit-def: $vgpr7_vgpr8
                                        ; implicit-def: $vgpr3_vgpr4
	s_waitcnt vmcnt(0)
	v_cmp_ngt_f64_e64 s5, |v[9:10]|, |v[11:12]|
	s_and_saveexec_b32 s58, s5
	s_xor_b32 s5, exec_lo, s58
	s_cbranch_execz .LBB44_15
; %bb.14:
	v_div_scale_f64 v[1:2], null, v[11:12], v[11:12], v[9:10]
	v_div_scale_f64 v[14:15], vcc_lo, v[9:10], v[11:12], v[9:10]
	v_rcp_f64_e32 v[3:4], v[1:2]
	v_fma_f64 v[7:8], -v[1:2], v[3:4], 1.0
	v_fma_f64 v[3:4], v[3:4], v[7:8], v[3:4]
	v_fma_f64 v[7:8], -v[1:2], v[3:4], 1.0
	v_fma_f64 v[3:4], v[3:4], v[7:8], v[3:4]
	v_mul_f64 v[7:8], v[14:15], v[3:4]
	v_fma_f64 v[1:2], -v[1:2], v[7:8], v[14:15]
	v_div_fmas_f64 v[1:2], v[1:2], v[3:4], v[7:8]
	v_div_fixup_f64 v[1:2], v[1:2], v[11:12], v[9:10]
	v_fma_f64 v[3:4], v[9:10], v[1:2], v[11:12]
	v_div_scale_f64 v[7:8], null, v[3:4], v[3:4], 1.0
	v_div_scale_f64 v[14:15], vcc_lo, 1.0, v[3:4], 1.0
	v_rcp_f64_e32 v[9:10], v[7:8]
	v_fma_f64 v[11:12], -v[7:8], v[9:10], 1.0
	v_fma_f64 v[9:10], v[9:10], v[11:12], v[9:10]
	v_fma_f64 v[11:12], -v[7:8], v[9:10], 1.0
	v_fma_f64 v[9:10], v[9:10], v[11:12], v[9:10]
	v_mul_f64 v[11:12], v[14:15], v[9:10]
	v_fma_f64 v[7:8], -v[7:8], v[11:12], v[14:15]
	v_div_fmas_f64 v[7:8], v[7:8], v[9:10], v[11:12]
                                        ; implicit-def: $vgpr9_vgpr10
                                        ; implicit-def: $vgpr11_vgpr12
	v_div_fixup_f64 v[3:4], v[7:8], v[3:4], 1.0
	v_mul_f64 v[7:8], v[1:2], v[3:4]
	v_xor_b32_e32 v4, 0x80000000, v4
	v_xor_b32_e32 v2, 0x80000000, v8
	v_mov_b32_e32 v1, v7
.LBB44_15:
	s_andn2_saveexec_b32 s5, s5
	s_cbranch_execz .LBB44_17
; %bb.16:
	v_div_scale_f64 v[1:2], null, v[9:10], v[9:10], v[11:12]
	v_div_scale_f64 v[14:15], vcc_lo, v[11:12], v[9:10], v[11:12]
	v_rcp_f64_e32 v[3:4], v[1:2]
	v_fma_f64 v[7:8], -v[1:2], v[3:4], 1.0
	v_fma_f64 v[3:4], v[3:4], v[7:8], v[3:4]
	v_fma_f64 v[7:8], -v[1:2], v[3:4], 1.0
	v_fma_f64 v[3:4], v[3:4], v[7:8], v[3:4]
	v_mul_f64 v[7:8], v[14:15], v[3:4]
	v_fma_f64 v[1:2], -v[1:2], v[7:8], v[14:15]
	v_div_fmas_f64 v[1:2], v[1:2], v[3:4], v[7:8]
	v_div_fixup_f64 v[1:2], v[1:2], v[9:10], v[11:12]
	v_fma_f64 v[3:4], v[11:12], v[1:2], v[9:10]
	v_div_scale_f64 v[7:8], null, v[3:4], v[3:4], 1.0
	v_rcp_f64_e32 v[9:10], v[7:8]
	v_fma_f64 v[11:12], -v[7:8], v[9:10], 1.0
	v_fma_f64 v[9:10], v[9:10], v[11:12], v[9:10]
	v_fma_f64 v[11:12], -v[7:8], v[9:10], 1.0
	v_fma_f64 v[9:10], v[9:10], v[11:12], v[9:10]
	v_div_scale_f64 v[11:12], vcc_lo, 1.0, v[3:4], 1.0
	v_mul_f64 v[14:15], v[11:12], v[9:10]
	v_fma_f64 v[7:8], -v[7:8], v[14:15], v[11:12]
	v_div_fmas_f64 v[7:8], v[7:8], v[9:10], v[14:15]
	v_div_fixup_f64 v[7:8], v[7:8], v[3:4], 1.0
	v_mul_f64 v[3:4], v[1:2], -v[7:8]
	v_xor_b32_e32 v2, 0x80000000, v8
	v_mov_b32_e32 v1, v7
.LBB44_17:
	s_or_b32 exec_lo, exec_lo, s5
	v_mov_b32_e32 v12, s56
	buffer_store_dword v8, v13, s[0:3], 0 offen offset:4
	buffer_store_dword v7, v13, s[0:3], 0 offen
	buffer_store_dword v4, v13, s[0:3], 0 offen offset:12
	buffer_store_dword v3, v13, s[0:3], 0 offen offset:8
	v_xor_b32_e32 v4, 0x80000000, v4
	v_add_nc_u32_e32 v7, 0x2d0, v181
	s_clause 0x3
	buffer_load_dword v11, v12, s[0:3], 0 offen offset:12
	buffer_load_dword v10, v12, s[0:3], 0 offen offset:8
	;; [unrolled: 1-line block ×3, first 2 shown]
	buffer_load_dword v8, v12, s[0:3], 0 offen
	ds_write_b128 v181, v[1:4]
	s_waitcnt vmcnt(0)
	ds_write_b128 v181, v[8:11] offset:720
	s_waitcnt lgkmcnt(0)
	s_waitcnt_vscnt null, 0x0
	s_barrier
	buffer_gl0_inv
	s_and_saveexec_b32 s5, s4
	s_cbranch_execz .LBB44_19
; %bb.18:
	s_clause 0x3
	buffer_load_dword v14, v13, s[0:3], 0 offen offset:8
	buffer_load_dword v15, v13, s[0:3], 0 offen offset:12
	buffer_load_dword v16, v13, s[0:3], 0 offen
	buffer_load_dword v17, v13, s[0:3], 0 offen offset:4
	ds_read_b128 v[1:4], v7
	v_mov_b32_e32 v8, 0
	ds_read_b128 v[8:11], v8 offset:16
	s_waitcnt vmcnt(2) lgkmcnt(1)
	v_mul_f64 v[18:19], v[1:2], v[14:15]
	v_mul_f64 v[14:15], v[3:4], v[14:15]
	s_waitcnt vmcnt(0)
	v_fma_f64 v[3:4], v[3:4], v[16:17], v[18:19]
	v_fma_f64 v[1:2], v[1:2], v[16:17], -v[14:15]
	v_add_f64 v[3:4], v[3:4], 0
	v_add_f64 v[1:2], v[1:2], 0
	s_waitcnt lgkmcnt(0)
	v_mul_f64 v[14:15], v[3:4], v[10:11]
	v_mul_f64 v[10:11], v[1:2], v[10:11]
	v_fma_f64 v[1:2], v[1:2], v[8:9], -v[14:15]
	v_fma_f64 v[3:4], v[3:4], v[8:9], v[10:11]
	buffer_store_dword v1, off, s[0:3], 0 offset:32
	buffer_store_dword v2, off, s[0:3], 0 offset:36
	;; [unrolled: 1-line block ×4, first 2 shown]
.LBB44_19:
	s_or_b32 exec_lo, exec_lo, s5
	v_mov_b32_e32 v4, s54
	s_waitcnt_vscnt null, 0x0
	s_barrier
	buffer_gl0_inv
	s_mov_b32 s5, exec_lo
	s_clause 0x3
	buffer_load_dword v1, v4, s[0:3], 0 offen
	buffer_load_dword v2, v4, s[0:3], 0 offen offset:4
	buffer_load_dword v3, v4, s[0:3], 0 offen offset:8
	;; [unrolled: 1-line block ×3, first 2 shown]
	s_waitcnt vmcnt(0)
	ds_write_b128 v7, v[1:4]
	s_waitcnt lgkmcnt(0)
	s_barrier
	buffer_gl0_inv
	v_cmpx_gt_u32_e32 2, v0
	s_cbranch_execz .LBB44_23
; %bb.20:
	s_clause 0x3
	buffer_load_dword v8, v13, s[0:3], 0 offen offset:8
	buffer_load_dword v9, v13, s[0:3], 0 offen offset:12
	buffer_load_dword v10, v13, s[0:3], 0 offen
	buffer_load_dword v11, v13, s[0:3], 0 offen offset:4
	ds_read_b128 v[1:4], v7
	s_waitcnt vmcnt(2) lgkmcnt(0)
	v_mul_f64 v[12:13], v[3:4], v[8:9]
	v_mul_f64 v[8:9], v[1:2], v[8:9]
	s_waitcnt vmcnt(0)
	v_fma_f64 v[1:2], v[1:2], v[10:11], -v[12:13]
	v_fma_f64 v[3:4], v[3:4], v[10:11], v[8:9]
	v_add_f64 v[1:2], v[1:2], 0
	v_add_f64 v[3:4], v[3:4], 0
	s_and_saveexec_b32 s58, s4
	s_cbranch_execz .LBB44_22
; %bb.21:
	s_clause 0x3
	buffer_load_dword v12, off, s[0:3], 0 offset:40
	buffer_load_dword v13, off, s[0:3], 0 offset:44
	;; [unrolled: 1-line block ×4, first 2 shown]
	v_mov_b32_e32 v8, 0
	ds_read_b128 v[8:11], v8 offset:736
	s_waitcnt vmcnt(2) lgkmcnt(0)
	v_mul_f64 v[16:17], v[8:9], v[12:13]
	v_mul_f64 v[12:13], v[10:11], v[12:13]
	s_waitcnt vmcnt(0)
	v_fma_f64 v[10:11], v[10:11], v[14:15], v[16:17]
	v_fma_f64 v[8:9], v[8:9], v[14:15], -v[12:13]
	v_add_f64 v[3:4], v[3:4], v[10:11]
	v_add_f64 v[1:2], v[1:2], v[8:9]
.LBB44_22:
	s_or_b32 exec_lo, exec_lo, s58
	v_mov_b32_e32 v8, 0
	ds_read_b128 v[8:11], v8 offset:32
	s_waitcnt lgkmcnt(0)
	v_mul_f64 v[12:13], v[3:4], v[10:11]
	v_mul_f64 v[10:11], v[1:2], v[10:11]
	v_fma_f64 v[1:2], v[1:2], v[8:9], -v[12:13]
	v_fma_f64 v[3:4], v[3:4], v[8:9], v[10:11]
	buffer_store_dword v2, off, s[0:3], 0 offset:52
	buffer_store_dword v1, off, s[0:3], 0 offset:48
	;; [unrolled: 1-line block ×4, first 2 shown]
.LBB44_23:
	s_or_b32 exec_lo, exec_lo, s5
	v_mov_b32_e32 v4, s52
	s_waitcnt_vscnt null, 0x0
	s_barrier
	buffer_gl0_inv
	v_add_nc_u32_e32 v8, -1, v0
	s_clause 0x3
	buffer_load_dword v1, v4, s[0:3], 0 offen
	buffer_load_dword v2, v4, s[0:3], 0 offen offset:4
	buffer_load_dword v3, v4, s[0:3], 0 offen offset:8
	buffer_load_dword v4, v4, s[0:3], 0 offen offset:12
	s_mov_b32 s4, exec_lo
	s_waitcnt vmcnt(0)
	ds_write_b128 v7, v[1:4]
	s_waitcnt lgkmcnt(0)
	s_barrier
	buffer_gl0_inv
	v_cmpx_gt_u32_e32 3, v0
	s_cbranch_execz .LBB44_27
; %bb.24:
	v_mov_b32_e32 v1, 0
	v_mov_b32_e32 v3, 0
	v_add_nc_u32_e32 v9, -1, v0
	v_add_nc_u32_e32 v10, 0x2d0, v181
	v_mov_b32_e32 v2, 0
	v_mov_b32_e32 v4, 0
	v_add_nc_u32_e32 v11, 16, v181
	s_mov_b32 s5, 0
	.p2align	6
.LBB44_25:                              ; =>This Inner Loop Header: Depth=1
	s_clause 0x3
	buffer_load_dword v16, v11, s[0:3], 0 offen offset:8
	buffer_load_dword v17, v11, s[0:3], 0 offen offset:12
	buffer_load_dword v18, v11, s[0:3], 0 offen
	buffer_load_dword v19, v11, s[0:3], 0 offen offset:4
	ds_read_b128 v[12:15], v10
	v_add_nc_u32_e32 v9, 1, v9
	v_add_nc_u32_e32 v10, 16, v10
	;; [unrolled: 1-line block ×3, first 2 shown]
	v_cmp_lt_u32_e32 vcc_lo, 1, v9
	s_or_b32 s5, vcc_lo, s5
	s_waitcnt vmcnt(2) lgkmcnt(0)
	v_mul_f64 v[20:21], v[14:15], v[16:17]
	v_mul_f64 v[16:17], v[12:13], v[16:17]
	s_waitcnt vmcnt(0)
	v_fma_f64 v[12:13], v[12:13], v[18:19], -v[20:21]
	v_fma_f64 v[14:15], v[14:15], v[18:19], v[16:17]
	v_add_f64 v[3:4], v[3:4], v[12:13]
	v_add_f64 v[1:2], v[1:2], v[14:15]
	s_andn2_b32 exec_lo, exec_lo, s5
	s_cbranch_execnz .LBB44_25
; %bb.26:
	s_or_b32 exec_lo, exec_lo, s5
	v_mov_b32_e32 v9, 0
	ds_read_b128 v[9:12], v9 offset:48
	s_waitcnt lgkmcnt(0)
	v_mul_f64 v[13:14], v[1:2], v[11:12]
	v_mul_f64 v[11:12], v[3:4], v[11:12]
	v_fma_f64 v[3:4], v[3:4], v[9:10], -v[13:14]
	v_fma_f64 v[1:2], v[1:2], v[9:10], v[11:12]
	buffer_store_dword v4, off, s[0:3], 0 offset:68
	buffer_store_dword v3, off, s[0:3], 0 offset:64
	buffer_store_dword v2, off, s[0:3], 0 offset:76
	buffer_store_dword v1, off, s[0:3], 0 offset:72
.LBB44_27:
	s_or_b32 exec_lo, exec_lo, s4
	v_mov_b32_e32 v4, s49
	s_waitcnt_vscnt null, 0x0
	s_barrier
	buffer_gl0_inv
	s_mov_b32 s4, exec_lo
	s_clause 0x3
	buffer_load_dword v1, v4, s[0:3], 0 offen
	buffer_load_dword v2, v4, s[0:3], 0 offen offset:4
	buffer_load_dword v3, v4, s[0:3], 0 offen offset:8
	;; [unrolled: 1-line block ×3, first 2 shown]
	s_waitcnt vmcnt(0)
	ds_write_b128 v7, v[1:4]
	s_waitcnt lgkmcnt(0)
	s_barrier
	buffer_gl0_inv
	v_cmpx_gt_u32_e32 4, v0
	s_cbranch_execz .LBB44_31
; %bb.28:
	v_mov_b32_e32 v1, 0
	v_mov_b32_e32 v3, 0
	v_add_nc_u32_e32 v9, -1, v0
	v_add_nc_u32_e32 v10, 0x2d0, v181
	v_mov_b32_e32 v2, 0
	v_mov_b32_e32 v4, 0
	v_add_nc_u32_e32 v11, 16, v181
	s_mov_b32 s5, 0
	.p2align	6
.LBB44_29:                              ; =>This Inner Loop Header: Depth=1
	s_clause 0x3
	buffer_load_dword v16, v11, s[0:3], 0 offen offset:8
	buffer_load_dword v17, v11, s[0:3], 0 offen offset:12
	buffer_load_dword v18, v11, s[0:3], 0 offen
	buffer_load_dword v19, v11, s[0:3], 0 offen offset:4
	ds_read_b128 v[12:15], v10
	v_add_nc_u32_e32 v9, 1, v9
	v_add_nc_u32_e32 v10, 16, v10
	;; [unrolled: 1-line block ×3, first 2 shown]
	v_cmp_lt_u32_e32 vcc_lo, 2, v9
	s_or_b32 s5, vcc_lo, s5
	s_waitcnt vmcnt(2) lgkmcnt(0)
	v_mul_f64 v[20:21], v[14:15], v[16:17]
	v_mul_f64 v[16:17], v[12:13], v[16:17]
	s_waitcnt vmcnt(0)
	v_fma_f64 v[12:13], v[12:13], v[18:19], -v[20:21]
	v_fma_f64 v[14:15], v[14:15], v[18:19], v[16:17]
	v_add_f64 v[3:4], v[3:4], v[12:13]
	v_add_f64 v[1:2], v[1:2], v[14:15]
	s_andn2_b32 exec_lo, exec_lo, s5
	s_cbranch_execnz .LBB44_29
; %bb.30:
	s_or_b32 exec_lo, exec_lo, s5
	v_mov_b32_e32 v9, 0
	ds_read_b128 v[9:12], v9 offset:64
	s_waitcnt lgkmcnt(0)
	v_mul_f64 v[13:14], v[1:2], v[11:12]
	v_mul_f64 v[11:12], v[3:4], v[11:12]
	v_fma_f64 v[3:4], v[3:4], v[9:10], -v[13:14]
	v_fma_f64 v[1:2], v[1:2], v[9:10], v[11:12]
	buffer_store_dword v4, off, s[0:3], 0 offset:84
	buffer_store_dword v3, off, s[0:3], 0 offset:80
	;; [unrolled: 1-line block ×4, first 2 shown]
.LBB44_31:
	s_or_b32 exec_lo, exec_lo, s4
	v_mov_b32_e32 v4, s47
	s_waitcnt_vscnt null, 0x0
	s_barrier
	buffer_gl0_inv
	s_mov_b32 s4, exec_lo
	s_clause 0x3
	buffer_load_dword v1, v4, s[0:3], 0 offen
	buffer_load_dword v2, v4, s[0:3], 0 offen offset:4
	buffer_load_dword v3, v4, s[0:3], 0 offen offset:8
	;; [unrolled: 1-line block ×3, first 2 shown]
	s_waitcnt vmcnt(0)
	ds_write_b128 v7, v[1:4]
	s_waitcnt lgkmcnt(0)
	s_barrier
	buffer_gl0_inv
	v_cmpx_gt_u32_e32 5, v0
	s_cbranch_execz .LBB44_35
; %bb.32:
	v_mov_b32_e32 v1, 0
	v_mov_b32_e32 v3, 0
	v_add_nc_u32_e32 v9, -1, v0
	v_add_nc_u32_e32 v10, 0x2d0, v181
	v_mov_b32_e32 v2, 0
	v_mov_b32_e32 v4, 0
	v_add_nc_u32_e32 v11, 16, v181
	s_mov_b32 s5, 0
	.p2align	6
.LBB44_33:                              ; =>This Inner Loop Header: Depth=1
	s_clause 0x3
	buffer_load_dword v16, v11, s[0:3], 0 offen offset:8
	buffer_load_dword v17, v11, s[0:3], 0 offen offset:12
	buffer_load_dword v18, v11, s[0:3], 0 offen
	buffer_load_dword v19, v11, s[0:3], 0 offen offset:4
	ds_read_b128 v[12:15], v10
	v_add_nc_u32_e32 v9, 1, v9
	v_add_nc_u32_e32 v10, 16, v10
	;; [unrolled: 1-line block ×3, first 2 shown]
	v_cmp_lt_u32_e32 vcc_lo, 3, v9
	s_or_b32 s5, vcc_lo, s5
	s_waitcnt vmcnt(2) lgkmcnt(0)
	v_mul_f64 v[20:21], v[14:15], v[16:17]
	v_mul_f64 v[16:17], v[12:13], v[16:17]
	s_waitcnt vmcnt(0)
	v_fma_f64 v[12:13], v[12:13], v[18:19], -v[20:21]
	v_fma_f64 v[14:15], v[14:15], v[18:19], v[16:17]
	v_add_f64 v[3:4], v[3:4], v[12:13]
	v_add_f64 v[1:2], v[1:2], v[14:15]
	s_andn2_b32 exec_lo, exec_lo, s5
	s_cbranch_execnz .LBB44_33
; %bb.34:
	s_or_b32 exec_lo, exec_lo, s5
	v_mov_b32_e32 v9, 0
	ds_read_b128 v[9:12], v9 offset:80
	s_waitcnt lgkmcnt(0)
	v_mul_f64 v[13:14], v[1:2], v[11:12]
	v_mul_f64 v[11:12], v[3:4], v[11:12]
	v_fma_f64 v[3:4], v[3:4], v[9:10], -v[13:14]
	v_fma_f64 v[1:2], v[1:2], v[9:10], v[11:12]
	buffer_store_dword v4, off, s[0:3], 0 offset:100
	buffer_store_dword v3, off, s[0:3], 0 offset:96
	buffer_store_dword v2, off, s[0:3], 0 offset:108
	buffer_store_dword v1, off, s[0:3], 0 offset:104
.LBB44_35:
	s_or_b32 exec_lo, exec_lo, s4
	v_mov_b32_e32 v4, s45
	s_waitcnt_vscnt null, 0x0
	s_barrier
	buffer_gl0_inv
	s_mov_b32 s4, exec_lo
	s_clause 0x3
	buffer_load_dword v1, v4, s[0:3], 0 offen
	buffer_load_dword v2, v4, s[0:3], 0 offen offset:4
	buffer_load_dword v3, v4, s[0:3], 0 offen offset:8
	;; [unrolled: 1-line block ×3, first 2 shown]
	s_waitcnt vmcnt(0)
	ds_write_b128 v7, v[1:4]
	s_waitcnt lgkmcnt(0)
	s_barrier
	buffer_gl0_inv
	v_cmpx_gt_u32_e32 6, v0
	s_cbranch_execz .LBB44_39
; %bb.36:
	v_mov_b32_e32 v1, 0
	v_mov_b32_e32 v3, 0
	v_add_nc_u32_e32 v9, -1, v0
	v_add_nc_u32_e32 v10, 0x2d0, v181
	v_mov_b32_e32 v2, 0
	v_mov_b32_e32 v4, 0
	v_add_nc_u32_e32 v11, 16, v181
	s_mov_b32 s5, 0
	.p2align	6
.LBB44_37:                              ; =>This Inner Loop Header: Depth=1
	s_clause 0x3
	buffer_load_dword v16, v11, s[0:3], 0 offen offset:8
	buffer_load_dword v17, v11, s[0:3], 0 offen offset:12
	buffer_load_dword v18, v11, s[0:3], 0 offen
	buffer_load_dword v19, v11, s[0:3], 0 offen offset:4
	ds_read_b128 v[12:15], v10
	v_add_nc_u32_e32 v9, 1, v9
	v_add_nc_u32_e32 v10, 16, v10
	;; [unrolled: 1-line block ×3, first 2 shown]
	v_cmp_lt_u32_e32 vcc_lo, 4, v9
	s_or_b32 s5, vcc_lo, s5
	s_waitcnt vmcnt(2) lgkmcnt(0)
	v_mul_f64 v[20:21], v[14:15], v[16:17]
	v_mul_f64 v[16:17], v[12:13], v[16:17]
	s_waitcnt vmcnt(0)
	v_fma_f64 v[12:13], v[12:13], v[18:19], -v[20:21]
	v_fma_f64 v[14:15], v[14:15], v[18:19], v[16:17]
	v_add_f64 v[3:4], v[3:4], v[12:13]
	v_add_f64 v[1:2], v[1:2], v[14:15]
	s_andn2_b32 exec_lo, exec_lo, s5
	s_cbranch_execnz .LBB44_37
; %bb.38:
	s_or_b32 exec_lo, exec_lo, s5
	v_mov_b32_e32 v9, 0
	ds_read_b128 v[9:12], v9 offset:96
	s_waitcnt lgkmcnt(0)
	v_mul_f64 v[13:14], v[1:2], v[11:12]
	v_mul_f64 v[11:12], v[3:4], v[11:12]
	v_fma_f64 v[3:4], v[3:4], v[9:10], -v[13:14]
	v_fma_f64 v[1:2], v[1:2], v[9:10], v[11:12]
	buffer_store_dword v4, off, s[0:3], 0 offset:116
	buffer_store_dword v3, off, s[0:3], 0 offset:112
	;; [unrolled: 1-line block ×4, first 2 shown]
.LBB44_39:
	s_or_b32 exec_lo, exec_lo, s4
	v_mov_b32_e32 v4, s43
	s_waitcnt_vscnt null, 0x0
	s_barrier
	buffer_gl0_inv
	s_mov_b32 s4, exec_lo
	s_clause 0x3
	buffer_load_dword v1, v4, s[0:3], 0 offen
	buffer_load_dword v2, v4, s[0:3], 0 offen offset:4
	buffer_load_dword v3, v4, s[0:3], 0 offen offset:8
	;; [unrolled: 1-line block ×3, first 2 shown]
	s_waitcnt vmcnt(0)
	ds_write_b128 v7, v[1:4]
	s_waitcnt lgkmcnt(0)
	s_barrier
	buffer_gl0_inv
	v_cmpx_gt_u32_e32 7, v0
	s_cbranch_execz .LBB44_43
; %bb.40:
	v_mov_b32_e32 v1, 0
	v_mov_b32_e32 v3, 0
	v_add_nc_u32_e32 v9, -1, v0
	v_add_nc_u32_e32 v10, 0x2d0, v181
	v_mov_b32_e32 v2, 0
	v_mov_b32_e32 v4, 0
	v_add_nc_u32_e32 v11, 16, v181
	s_mov_b32 s5, 0
	.p2align	6
.LBB44_41:                              ; =>This Inner Loop Header: Depth=1
	s_clause 0x3
	buffer_load_dword v16, v11, s[0:3], 0 offen offset:8
	buffer_load_dword v17, v11, s[0:3], 0 offen offset:12
	buffer_load_dword v18, v11, s[0:3], 0 offen
	buffer_load_dword v19, v11, s[0:3], 0 offen offset:4
	ds_read_b128 v[12:15], v10
	v_add_nc_u32_e32 v9, 1, v9
	v_add_nc_u32_e32 v10, 16, v10
	;; [unrolled: 1-line block ×3, first 2 shown]
	v_cmp_lt_u32_e32 vcc_lo, 5, v9
	s_or_b32 s5, vcc_lo, s5
	s_waitcnt vmcnt(2) lgkmcnt(0)
	v_mul_f64 v[20:21], v[14:15], v[16:17]
	v_mul_f64 v[16:17], v[12:13], v[16:17]
	s_waitcnt vmcnt(0)
	v_fma_f64 v[12:13], v[12:13], v[18:19], -v[20:21]
	v_fma_f64 v[14:15], v[14:15], v[18:19], v[16:17]
	v_add_f64 v[3:4], v[3:4], v[12:13]
	v_add_f64 v[1:2], v[1:2], v[14:15]
	s_andn2_b32 exec_lo, exec_lo, s5
	s_cbranch_execnz .LBB44_41
; %bb.42:
	s_or_b32 exec_lo, exec_lo, s5
	v_mov_b32_e32 v9, 0
	ds_read_b128 v[9:12], v9 offset:112
	s_waitcnt lgkmcnt(0)
	v_mul_f64 v[13:14], v[1:2], v[11:12]
	v_mul_f64 v[11:12], v[3:4], v[11:12]
	v_fma_f64 v[3:4], v[3:4], v[9:10], -v[13:14]
	v_fma_f64 v[1:2], v[1:2], v[9:10], v[11:12]
	buffer_store_dword v4, off, s[0:3], 0 offset:132
	buffer_store_dword v3, off, s[0:3], 0 offset:128
	;; [unrolled: 1-line block ×4, first 2 shown]
.LBB44_43:
	s_or_b32 exec_lo, exec_lo, s4
	v_mov_b32_e32 v4, s41
	s_waitcnt_vscnt null, 0x0
	s_barrier
	buffer_gl0_inv
	s_mov_b32 s4, exec_lo
	s_clause 0x3
	buffer_load_dword v1, v4, s[0:3], 0 offen
	buffer_load_dword v2, v4, s[0:3], 0 offen offset:4
	buffer_load_dword v3, v4, s[0:3], 0 offen offset:8
	;; [unrolled: 1-line block ×3, first 2 shown]
	s_waitcnt vmcnt(0)
	ds_write_b128 v7, v[1:4]
	s_waitcnt lgkmcnt(0)
	s_barrier
	buffer_gl0_inv
	v_cmpx_gt_u32_e32 8, v0
	s_cbranch_execz .LBB44_47
; %bb.44:
	v_mov_b32_e32 v1, 0
	v_mov_b32_e32 v3, 0
	v_add_nc_u32_e32 v9, -1, v0
	v_add_nc_u32_e32 v10, 0x2d0, v181
	v_mov_b32_e32 v2, 0
	v_mov_b32_e32 v4, 0
	v_add_nc_u32_e32 v11, 16, v181
	s_mov_b32 s5, 0
	.p2align	6
.LBB44_45:                              ; =>This Inner Loop Header: Depth=1
	s_clause 0x3
	buffer_load_dword v16, v11, s[0:3], 0 offen offset:8
	buffer_load_dword v17, v11, s[0:3], 0 offen offset:12
	buffer_load_dword v18, v11, s[0:3], 0 offen
	buffer_load_dword v19, v11, s[0:3], 0 offen offset:4
	ds_read_b128 v[12:15], v10
	v_add_nc_u32_e32 v9, 1, v9
	v_add_nc_u32_e32 v10, 16, v10
	;; [unrolled: 1-line block ×3, first 2 shown]
	v_cmp_lt_u32_e32 vcc_lo, 6, v9
	s_or_b32 s5, vcc_lo, s5
	s_waitcnt vmcnt(2) lgkmcnt(0)
	v_mul_f64 v[20:21], v[14:15], v[16:17]
	v_mul_f64 v[16:17], v[12:13], v[16:17]
	s_waitcnt vmcnt(0)
	v_fma_f64 v[12:13], v[12:13], v[18:19], -v[20:21]
	v_fma_f64 v[14:15], v[14:15], v[18:19], v[16:17]
	v_add_f64 v[3:4], v[3:4], v[12:13]
	v_add_f64 v[1:2], v[1:2], v[14:15]
	s_andn2_b32 exec_lo, exec_lo, s5
	s_cbranch_execnz .LBB44_45
; %bb.46:
	s_or_b32 exec_lo, exec_lo, s5
	v_mov_b32_e32 v9, 0
	ds_read_b128 v[9:12], v9 offset:128
	s_waitcnt lgkmcnt(0)
	v_mul_f64 v[13:14], v[1:2], v[11:12]
	v_mul_f64 v[11:12], v[3:4], v[11:12]
	v_fma_f64 v[3:4], v[3:4], v[9:10], -v[13:14]
	v_fma_f64 v[1:2], v[1:2], v[9:10], v[11:12]
	buffer_store_dword v4, off, s[0:3], 0 offset:148
	buffer_store_dword v3, off, s[0:3], 0 offset:144
	buffer_store_dword v2, off, s[0:3], 0 offset:156
	buffer_store_dword v1, off, s[0:3], 0 offset:152
.LBB44_47:
	s_or_b32 exec_lo, exec_lo, s4
	v_mov_b32_e32 v4, s39
	s_waitcnt_vscnt null, 0x0
	s_barrier
	buffer_gl0_inv
	s_mov_b32 s4, exec_lo
	s_clause 0x3
	buffer_load_dword v1, v4, s[0:3], 0 offen
	buffer_load_dword v2, v4, s[0:3], 0 offen offset:4
	buffer_load_dword v3, v4, s[0:3], 0 offen offset:8
	;; [unrolled: 1-line block ×3, first 2 shown]
	s_waitcnt vmcnt(0)
	ds_write_b128 v7, v[1:4]
	s_waitcnt lgkmcnt(0)
	s_barrier
	buffer_gl0_inv
	v_cmpx_gt_u32_e32 9, v0
	s_cbranch_execz .LBB44_51
; %bb.48:
	v_mov_b32_e32 v1, 0
	v_mov_b32_e32 v3, 0
	v_add_nc_u32_e32 v9, -1, v0
	v_add_nc_u32_e32 v10, 0x2d0, v181
	v_mov_b32_e32 v2, 0
	v_mov_b32_e32 v4, 0
	v_add_nc_u32_e32 v11, 16, v181
	s_mov_b32 s5, 0
	.p2align	6
.LBB44_49:                              ; =>This Inner Loop Header: Depth=1
	s_clause 0x3
	buffer_load_dword v16, v11, s[0:3], 0 offen offset:8
	buffer_load_dword v17, v11, s[0:3], 0 offen offset:12
	buffer_load_dword v18, v11, s[0:3], 0 offen
	buffer_load_dword v19, v11, s[0:3], 0 offen offset:4
	ds_read_b128 v[12:15], v10
	v_add_nc_u32_e32 v9, 1, v9
	v_add_nc_u32_e32 v10, 16, v10
	;; [unrolled: 1-line block ×3, first 2 shown]
	v_cmp_lt_u32_e32 vcc_lo, 7, v9
	s_or_b32 s5, vcc_lo, s5
	s_waitcnt vmcnt(2) lgkmcnt(0)
	v_mul_f64 v[20:21], v[14:15], v[16:17]
	v_mul_f64 v[16:17], v[12:13], v[16:17]
	s_waitcnt vmcnt(0)
	v_fma_f64 v[12:13], v[12:13], v[18:19], -v[20:21]
	v_fma_f64 v[14:15], v[14:15], v[18:19], v[16:17]
	v_add_f64 v[3:4], v[3:4], v[12:13]
	v_add_f64 v[1:2], v[1:2], v[14:15]
	s_andn2_b32 exec_lo, exec_lo, s5
	s_cbranch_execnz .LBB44_49
; %bb.50:
	s_or_b32 exec_lo, exec_lo, s5
	v_mov_b32_e32 v9, 0
	ds_read_b128 v[9:12], v9 offset:144
	s_waitcnt lgkmcnt(0)
	v_mul_f64 v[13:14], v[1:2], v[11:12]
	v_mul_f64 v[11:12], v[3:4], v[11:12]
	v_fma_f64 v[3:4], v[3:4], v[9:10], -v[13:14]
	v_fma_f64 v[1:2], v[1:2], v[9:10], v[11:12]
	buffer_store_dword v4, off, s[0:3], 0 offset:164
	buffer_store_dword v3, off, s[0:3], 0 offset:160
	;; [unrolled: 1-line block ×4, first 2 shown]
.LBB44_51:
	s_or_b32 exec_lo, exec_lo, s4
	v_mov_b32_e32 v4, s37
	s_waitcnt_vscnt null, 0x0
	s_barrier
	buffer_gl0_inv
	s_mov_b32 s4, exec_lo
	s_clause 0x3
	buffer_load_dword v1, v4, s[0:3], 0 offen
	buffer_load_dword v2, v4, s[0:3], 0 offen offset:4
	buffer_load_dword v3, v4, s[0:3], 0 offen offset:8
	;; [unrolled: 1-line block ×3, first 2 shown]
	s_waitcnt vmcnt(0)
	ds_write_b128 v7, v[1:4]
	s_waitcnt lgkmcnt(0)
	s_barrier
	buffer_gl0_inv
	v_cmpx_gt_u32_e32 10, v0
	s_cbranch_execz .LBB44_55
; %bb.52:
	v_mov_b32_e32 v1, 0
	v_mov_b32_e32 v3, 0
	v_add_nc_u32_e32 v9, -1, v0
	v_add_nc_u32_e32 v10, 0x2d0, v181
	v_mov_b32_e32 v2, 0
	v_mov_b32_e32 v4, 0
	v_add_nc_u32_e32 v11, 16, v181
	s_mov_b32 s5, 0
	.p2align	6
.LBB44_53:                              ; =>This Inner Loop Header: Depth=1
	s_clause 0x3
	buffer_load_dword v16, v11, s[0:3], 0 offen offset:8
	buffer_load_dword v17, v11, s[0:3], 0 offen offset:12
	buffer_load_dword v18, v11, s[0:3], 0 offen
	buffer_load_dword v19, v11, s[0:3], 0 offen offset:4
	ds_read_b128 v[12:15], v10
	v_add_nc_u32_e32 v9, 1, v9
	v_add_nc_u32_e32 v10, 16, v10
	;; [unrolled: 1-line block ×3, first 2 shown]
	v_cmp_lt_u32_e32 vcc_lo, 8, v9
	s_or_b32 s5, vcc_lo, s5
	s_waitcnt vmcnt(2) lgkmcnt(0)
	v_mul_f64 v[20:21], v[14:15], v[16:17]
	v_mul_f64 v[16:17], v[12:13], v[16:17]
	s_waitcnt vmcnt(0)
	v_fma_f64 v[12:13], v[12:13], v[18:19], -v[20:21]
	v_fma_f64 v[14:15], v[14:15], v[18:19], v[16:17]
	v_add_f64 v[3:4], v[3:4], v[12:13]
	v_add_f64 v[1:2], v[1:2], v[14:15]
	s_andn2_b32 exec_lo, exec_lo, s5
	s_cbranch_execnz .LBB44_53
; %bb.54:
	s_or_b32 exec_lo, exec_lo, s5
	v_mov_b32_e32 v9, 0
	ds_read_b128 v[9:12], v9 offset:160
	s_waitcnt lgkmcnt(0)
	v_mul_f64 v[13:14], v[1:2], v[11:12]
	v_mul_f64 v[11:12], v[3:4], v[11:12]
	v_fma_f64 v[3:4], v[3:4], v[9:10], -v[13:14]
	v_fma_f64 v[1:2], v[1:2], v[9:10], v[11:12]
	buffer_store_dword v4, off, s[0:3], 0 offset:180
	buffer_store_dword v3, off, s[0:3], 0 offset:176
	;; [unrolled: 1-line block ×4, first 2 shown]
.LBB44_55:
	s_or_b32 exec_lo, exec_lo, s4
	v_mov_b32_e32 v4, s35
	s_waitcnt_vscnt null, 0x0
	s_barrier
	buffer_gl0_inv
	s_mov_b32 s4, exec_lo
	s_clause 0x3
	buffer_load_dword v1, v4, s[0:3], 0 offen
	buffer_load_dword v2, v4, s[0:3], 0 offen offset:4
	buffer_load_dword v3, v4, s[0:3], 0 offen offset:8
	;; [unrolled: 1-line block ×3, first 2 shown]
	s_waitcnt vmcnt(0)
	ds_write_b128 v7, v[1:4]
	s_waitcnt lgkmcnt(0)
	s_barrier
	buffer_gl0_inv
	v_cmpx_gt_u32_e32 11, v0
	s_cbranch_execz .LBB44_59
; %bb.56:
	v_mov_b32_e32 v1, 0
	v_mov_b32_e32 v3, 0
	v_add_nc_u32_e32 v9, -1, v0
	v_add_nc_u32_e32 v10, 0x2d0, v181
	v_mov_b32_e32 v2, 0
	v_mov_b32_e32 v4, 0
	v_add_nc_u32_e32 v11, 16, v181
	s_mov_b32 s5, 0
	.p2align	6
.LBB44_57:                              ; =>This Inner Loop Header: Depth=1
	s_clause 0x3
	buffer_load_dword v16, v11, s[0:3], 0 offen offset:8
	buffer_load_dword v17, v11, s[0:3], 0 offen offset:12
	buffer_load_dword v18, v11, s[0:3], 0 offen
	buffer_load_dword v19, v11, s[0:3], 0 offen offset:4
	ds_read_b128 v[12:15], v10
	v_add_nc_u32_e32 v9, 1, v9
	v_add_nc_u32_e32 v10, 16, v10
	;; [unrolled: 1-line block ×3, first 2 shown]
	v_cmp_lt_u32_e32 vcc_lo, 9, v9
	s_or_b32 s5, vcc_lo, s5
	s_waitcnt vmcnt(2) lgkmcnt(0)
	v_mul_f64 v[20:21], v[14:15], v[16:17]
	v_mul_f64 v[16:17], v[12:13], v[16:17]
	s_waitcnt vmcnt(0)
	v_fma_f64 v[12:13], v[12:13], v[18:19], -v[20:21]
	v_fma_f64 v[14:15], v[14:15], v[18:19], v[16:17]
	v_add_f64 v[3:4], v[3:4], v[12:13]
	v_add_f64 v[1:2], v[1:2], v[14:15]
	s_andn2_b32 exec_lo, exec_lo, s5
	s_cbranch_execnz .LBB44_57
; %bb.58:
	s_or_b32 exec_lo, exec_lo, s5
	v_mov_b32_e32 v9, 0
	ds_read_b128 v[9:12], v9 offset:176
	s_waitcnt lgkmcnt(0)
	v_mul_f64 v[13:14], v[1:2], v[11:12]
	v_mul_f64 v[11:12], v[3:4], v[11:12]
	v_fma_f64 v[3:4], v[3:4], v[9:10], -v[13:14]
	v_fma_f64 v[1:2], v[1:2], v[9:10], v[11:12]
	buffer_store_dword v4, off, s[0:3], 0 offset:196
	buffer_store_dword v3, off, s[0:3], 0 offset:192
	;; [unrolled: 1-line block ×4, first 2 shown]
.LBB44_59:
	s_or_b32 exec_lo, exec_lo, s4
	v_mov_b32_e32 v4, s55
	s_waitcnt_vscnt null, 0x0
	s_barrier
	buffer_gl0_inv
	s_mov_b32 s4, exec_lo
	s_clause 0x3
	buffer_load_dword v1, v4, s[0:3], 0 offen
	buffer_load_dword v2, v4, s[0:3], 0 offen offset:4
	buffer_load_dword v3, v4, s[0:3], 0 offen offset:8
	;; [unrolled: 1-line block ×3, first 2 shown]
	s_waitcnt vmcnt(0)
	ds_write_b128 v7, v[1:4]
	s_waitcnt lgkmcnt(0)
	s_barrier
	buffer_gl0_inv
	v_cmpx_gt_u32_e32 12, v0
	s_cbranch_execz .LBB44_63
; %bb.60:
	v_mov_b32_e32 v1, 0
	v_mov_b32_e32 v3, 0
	v_add_nc_u32_e32 v9, -1, v0
	v_add_nc_u32_e32 v10, 0x2d0, v181
	v_mov_b32_e32 v2, 0
	v_mov_b32_e32 v4, 0
	v_add_nc_u32_e32 v11, 16, v181
	s_mov_b32 s5, 0
	.p2align	6
.LBB44_61:                              ; =>This Inner Loop Header: Depth=1
	s_clause 0x3
	buffer_load_dword v16, v11, s[0:3], 0 offen offset:8
	buffer_load_dword v17, v11, s[0:3], 0 offen offset:12
	buffer_load_dword v18, v11, s[0:3], 0 offen
	buffer_load_dword v19, v11, s[0:3], 0 offen offset:4
	ds_read_b128 v[12:15], v10
	v_add_nc_u32_e32 v9, 1, v9
	v_add_nc_u32_e32 v10, 16, v10
	;; [unrolled: 1-line block ×3, first 2 shown]
	v_cmp_lt_u32_e32 vcc_lo, 10, v9
	s_or_b32 s5, vcc_lo, s5
	s_waitcnt vmcnt(2) lgkmcnt(0)
	v_mul_f64 v[20:21], v[14:15], v[16:17]
	v_mul_f64 v[16:17], v[12:13], v[16:17]
	s_waitcnt vmcnt(0)
	v_fma_f64 v[12:13], v[12:13], v[18:19], -v[20:21]
	v_fma_f64 v[14:15], v[14:15], v[18:19], v[16:17]
	v_add_f64 v[3:4], v[3:4], v[12:13]
	v_add_f64 v[1:2], v[1:2], v[14:15]
	s_andn2_b32 exec_lo, exec_lo, s5
	s_cbranch_execnz .LBB44_61
; %bb.62:
	s_or_b32 exec_lo, exec_lo, s5
	v_mov_b32_e32 v9, 0
	ds_read_b128 v[9:12], v9 offset:192
	s_waitcnt lgkmcnt(0)
	v_mul_f64 v[13:14], v[1:2], v[11:12]
	v_mul_f64 v[11:12], v[3:4], v[11:12]
	v_fma_f64 v[3:4], v[3:4], v[9:10], -v[13:14]
	v_fma_f64 v[1:2], v[1:2], v[9:10], v[11:12]
	buffer_store_dword v4, off, s[0:3], 0 offset:212
	buffer_store_dword v3, off, s[0:3], 0 offset:208
	;; [unrolled: 1-line block ×4, first 2 shown]
.LBB44_63:
	s_or_b32 exec_lo, exec_lo, s4
	v_mov_b32_e32 v4, s53
	s_waitcnt_vscnt null, 0x0
	s_barrier
	buffer_gl0_inv
	s_mov_b32 s4, exec_lo
	s_clause 0x3
	buffer_load_dword v1, v4, s[0:3], 0 offen
	buffer_load_dword v2, v4, s[0:3], 0 offen offset:4
	buffer_load_dword v3, v4, s[0:3], 0 offen offset:8
	;; [unrolled: 1-line block ×3, first 2 shown]
	s_waitcnt vmcnt(0)
	ds_write_b128 v7, v[1:4]
	s_waitcnt lgkmcnt(0)
	s_barrier
	buffer_gl0_inv
	v_cmpx_gt_u32_e32 13, v0
	s_cbranch_execz .LBB44_67
; %bb.64:
	v_mov_b32_e32 v1, 0
	v_mov_b32_e32 v3, 0
	v_add_nc_u32_e32 v9, -1, v0
	v_add_nc_u32_e32 v10, 0x2d0, v181
	v_mov_b32_e32 v2, 0
	v_mov_b32_e32 v4, 0
	v_add_nc_u32_e32 v11, 16, v181
	s_mov_b32 s5, 0
	.p2align	6
.LBB44_65:                              ; =>This Inner Loop Header: Depth=1
	s_clause 0x3
	buffer_load_dword v16, v11, s[0:3], 0 offen offset:8
	buffer_load_dword v17, v11, s[0:3], 0 offen offset:12
	buffer_load_dword v18, v11, s[0:3], 0 offen
	buffer_load_dword v19, v11, s[0:3], 0 offen offset:4
	ds_read_b128 v[12:15], v10
	v_add_nc_u32_e32 v9, 1, v9
	v_add_nc_u32_e32 v10, 16, v10
	;; [unrolled: 1-line block ×3, first 2 shown]
	v_cmp_lt_u32_e32 vcc_lo, 11, v9
	s_or_b32 s5, vcc_lo, s5
	s_waitcnt vmcnt(2) lgkmcnt(0)
	v_mul_f64 v[20:21], v[14:15], v[16:17]
	v_mul_f64 v[16:17], v[12:13], v[16:17]
	s_waitcnt vmcnt(0)
	v_fma_f64 v[12:13], v[12:13], v[18:19], -v[20:21]
	v_fma_f64 v[14:15], v[14:15], v[18:19], v[16:17]
	v_add_f64 v[3:4], v[3:4], v[12:13]
	v_add_f64 v[1:2], v[1:2], v[14:15]
	s_andn2_b32 exec_lo, exec_lo, s5
	s_cbranch_execnz .LBB44_65
; %bb.66:
	s_or_b32 exec_lo, exec_lo, s5
	v_mov_b32_e32 v9, 0
	ds_read_b128 v[9:12], v9 offset:208
	s_waitcnt lgkmcnt(0)
	v_mul_f64 v[13:14], v[1:2], v[11:12]
	v_mul_f64 v[11:12], v[3:4], v[11:12]
	v_fma_f64 v[3:4], v[3:4], v[9:10], -v[13:14]
	v_fma_f64 v[1:2], v[1:2], v[9:10], v[11:12]
	buffer_store_dword v4, off, s[0:3], 0 offset:228
	buffer_store_dword v3, off, s[0:3], 0 offset:224
	;; [unrolled: 1-line block ×4, first 2 shown]
.LBB44_67:
	s_or_b32 exec_lo, exec_lo, s4
	v_mov_b32_e32 v4, s51
	s_waitcnt_vscnt null, 0x0
	s_barrier
	buffer_gl0_inv
	s_mov_b32 s4, exec_lo
	s_clause 0x3
	buffer_load_dword v1, v4, s[0:3], 0 offen
	buffer_load_dword v2, v4, s[0:3], 0 offen offset:4
	buffer_load_dword v3, v4, s[0:3], 0 offen offset:8
	;; [unrolled: 1-line block ×3, first 2 shown]
	s_waitcnt vmcnt(0)
	ds_write_b128 v7, v[1:4]
	s_waitcnt lgkmcnt(0)
	s_barrier
	buffer_gl0_inv
	v_cmpx_gt_u32_e32 14, v0
	s_cbranch_execz .LBB44_71
; %bb.68:
	v_mov_b32_e32 v1, 0
	v_mov_b32_e32 v3, 0
	v_add_nc_u32_e32 v9, -1, v0
	v_add_nc_u32_e32 v10, 0x2d0, v181
	v_mov_b32_e32 v2, 0
	v_mov_b32_e32 v4, 0
	v_add_nc_u32_e32 v11, 16, v181
	s_mov_b32 s5, 0
	.p2align	6
.LBB44_69:                              ; =>This Inner Loop Header: Depth=1
	s_clause 0x3
	buffer_load_dword v16, v11, s[0:3], 0 offen offset:8
	buffer_load_dword v17, v11, s[0:3], 0 offen offset:12
	buffer_load_dword v18, v11, s[0:3], 0 offen
	buffer_load_dword v19, v11, s[0:3], 0 offen offset:4
	ds_read_b128 v[12:15], v10
	v_add_nc_u32_e32 v9, 1, v9
	v_add_nc_u32_e32 v10, 16, v10
	;; [unrolled: 1-line block ×3, first 2 shown]
	v_cmp_lt_u32_e32 vcc_lo, 12, v9
	s_or_b32 s5, vcc_lo, s5
	s_waitcnt vmcnt(2) lgkmcnt(0)
	v_mul_f64 v[20:21], v[14:15], v[16:17]
	v_mul_f64 v[16:17], v[12:13], v[16:17]
	s_waitcnt vmcnt(0)
	v_fma_f64 v[12:13], v[12:13], v[18:19], -v[20:21]
	v_fma_f64 v[14:15], v[14:15], v[18:19], v[16:17]
	v_add_f64 v[3:4], v[3:4], v[12:13]
	v_add_f64 v[1:2], v[1:2], v[14:15]
	s_andn2_b32 exec_lo, exec_lo, s5
	s_cbranch_execnz .LBB44_69
; %bb.70:
	s_or_b32 exec_lo, exec_lo, s5
	v_mov_b32_e32 v9, 0
	ds_read_b128 v[9:12], v9 offset:224
	s_waitcnt lgkmcnt(0)
	v_mul_f64 v[13:14], v[1:2], v[11:12]
	v_mul_f64 v[11:12], v[3:4], v[11:12]
	v_fma_f64 v[3:4], v[3:4], v[9:10], -v[13:14]
	v_fma_f64 v[1:2], v[1:2], v[9:10], v[11:12]
	buffer_store_dword v4, off, s[0:3], 0 offset:244
	buffer_store_dword v3, off, s[0:3], 0 offset:240
	buffer_store_dword v2, off, s[0:3], 0 offset:252
	buffer_store_dword v1, off, s[0:3], 0 offset:248
.LBB44_71:
	s_or_b32 exec_lo, exec_lo, s4
	v_mov_b32_e32 v4, s50
	s_waitcnt_vscnt null, 0x0
	s_barrier
	buffer_gl0_inv
	s_mov_b32 s4, exec_lo
	s_clause 0x3
	buffer_load_dword v1, v4, s[0:3], 0 offen
	buffer_load_dword v2, v4, s[0:3], 0 offen offset:4
	buffer_load_dword v3, v4, s[0:3], 0 offen offset:8
	;; [unrolled: 1-line block ×3, first 2 shown]
	s_waitcnt vmcnt(0)
	ds_write_b128 v7, v[1:4]
	s_waitcnt lgkmcnt(0)
	s_barrier
	buffer_gl0_inv
	v_cmpx_gt_u32_e32 15, v0
	s_cbranch_execz .LBB44_75
; %bb.72:
	v_mov_b32_e32 v1, 0
	v_mov_b32_e32 v3, 0
	v_add_nc_u32_e32 v9, -1, v0
	v_add_nc_u32_e32 v10, 0x2d0, v181
	v_mov_b32_e32 v2, 0
	v_mov_b32_e32 v4, 0
	v_add_nc_u32_e32 v11, 16, v181
	s_mov_b32 s5, 0
	.p2align	6
.LBB44_73:                              ; =>This Inner Loop Header: Depth=1
	s_clause 0x3
	buffer_load_dword v16, v11, s[0:3], 0 offen offset:8
	buffer_load_dword v17, v11, s[0:3], 0 offen offset:12
	buffer_load_dword v18, v11, s[0:3], 0 offen
	buffer_load_dword v19, v11, s[0:3], 0 offen offset:4
	ds_read_b128 v[12:15], v10
	v_add_nc_u32_e32 v9, 1, v9
	v_add_nc_u32_e32 v10, 16, v10
	v_add_nc_u32_e32 v11, 16, v11
	v_cmp_lt_u32_e32 vcc_lo, 13, v9
	s_or_b32 s5, vcc_lo, s5
	s_waitcnt vmcnt(2) lgkmcnt(0)
	v_mul_f64 v[20:21], v[14:15], v[16:17]
	v_mul_f64 v[16:17], v[12:13], v[16:17]
	s_waitcnt vmcnt(0)
	v_fma_f64 v[12:13], v[12:13], v[18:19], -v[20:21]
	v_fma_f64 v[14:15], v[14:15], v[18:19], v[16:17]
	v_add_f64 v[3:4], v[3:4], v[12:13]
	v_add_f64 v[1:2], v[1:2], v[14:15]
	s_andn2_b32 exec_lo, exec_lo, s5
	s_cbranch_execnz .LBB44_73
; %bb.74:
	s_or_b32 exec_lo, exec_lo, s5
	v_mov_b32_e32 v9, 0
	ds_read_b128 v[9:12], v9 offset:240
	s_waitcnt lgkmcnt(0)
	v_mul_f64 v[13:14], v[1:2], v[11:12]
	v_mul_f64 v[11:12], v[3:4], v[11:12]
	v_fma_f64 v[3:4], v[3:4], v[9:10], -v[13:14]
	v_fma_f64 v[1:2], v[1:2], v[9:10], v[11:12]
	buffer_store_dword v4, off, s[0:3], 0 offset:260
	buffer_store_dword v3, off, s[0:3], 0 offset:256
	;; [unrolled: 1-line block ×4, first 2 shown]
.LBB44_75:
	s_or_b32 exec_lo, exec_lo, s4
	v_mov_b32_e32 v4, s48
	s_waitcnt_vscnt null, 0x0
	s_barrier
	buffer_gl0_inv
	s_mov_b32 s4, exec_lo
	s_clause 0x3
	buffer_load_dword v1, v4, s[0:3], 0 offen
	buffer_load_dword v2, v4, s[0:3], 0 offen offset:4
	buffer_load_dword v3, v4, s[0:3], 0 offen offset:8
	;; [unrolled: 1-line block ×3, first 2 shown]
	s_waitcnt vmcnt(0)
	ds_write_b128 v7, v[1:4]
	s_waitcnt lgkmcnt(0)
	s_barrier
	buffer_gl0_inv
	v_cmpx_gt_u32_e32 16, v0
	s_cbranch_execz .LBB44_79
; %bb.76:
	v_mov_b32_e32 v1, 0
	v_mov_b32_e32 v3, 0
	v_add_nc_u32_e32 v9, -1, v0
	v_add_nc_u32_e32 v10, 0x2d0, v181
	v_mov_b32_e32 v2, 0
	v_mov_b32_e32 v4, 0
	v_add_nc_u32_e32 v11, 16, v181
	s_mov_b32 s5, 0
	.p2align	6
.LBB44_77:                              ; =>This Inner Loop Header: Depth=1
	s_clause 0x3
	buffer_load_dword v16, v11, s[0:3], 0 offen offset:8
	buffer_load_dword v17, v11, s[0:3], 0 offen offset:12
	buffer_load_dword v18, v11, s[0:3], 0 offen
	buffer_load_dword v19, v11, s[0:3], 0 offen offset:4
	ds_read_b128 v[12:15], v10
	v_add_nc_u32_e32 v9, 1, v9
	v_add_nc_u32_e32 v10, 16, v10
	;; [unrolled: 1-line block ×3, first 2 shown]
	v_cmp_lt_u32_e32 vcc_lo, 14, v9
	s_or_b32 s5, vcc_lo, s5
	s_waitcnt vmcnt(2) lgkmcnt(0)
	v_mul_f64 v[20:21], v[14:15], v[16:17]
	v_mul_f64 v[16:17], v[12:13], v[16:17]
	s_waitcnt vmcnt(0)
	v_fma_f64 v[12:13], v[12:13], v[18:19], -v[20:21]
	v_fma_f64 v[14:15], v[14:15], v[18:19], v[16:17]
	v_add_f64 v[3:4], v[3:4], v[12:13]
	v_add_f64 v[1:2], v[1:2], v[14:15]
	s_andn2_b32 exec_lo, exec_lo, s5
	s_cbranch_execnz .LBB44_77
; %bb.78:
	s_or_b32 exec_lo, exec_lo, s5
	v_mov_b32_e32 v9, 0
	ds_read_b128 v[9:12], v9 offset:256
	s_waitcnt lgkmcnt(0)
	v_mul_f64 v[13:14], v[1:2], v[11:12]
	v_mul_f64 v[11:12], v[3:4], v[11:12]
	v_fma_f64 v[3:4], v[3:4], v[9:10], -v[13:14]
	v_fma_f64 v[1:2], v[1:2], v[9:10], v[11:12]
	buffer_store_dword v4, off, s[0:3], 0 offset:276
	buffer_store_dword v3, off, s[0:3], 0 offset:272
	;; [unrolled: 1-line block ×4, first 2 shown]
.LBB44_79:
	s_or_b32 exec_lo, exec_lo, s4
	v_mov_b32_e32 v4, s46
	s_waitcnt_vscnt null, 0x0
	s_barrier
	buffer_gl0_inv
	s_mov_b32 s4, exec_lo
	s_clause 0x3
	buffer_load_dword v1, v4, s[0:3], 0 offen
	buffer_load_dword v2, v4, s[0:3], 0 offen offset:4
	buffer_load_dword v3, v4, s[0:3], 0 offen offset:8
	;; [unrolled: 1-line block ×3, first 2 shown]
	s_waitcnt vmcnt(0)
	ds_write_b128 v7, v[1:4]
	s_waitcnt lgkmcnt(0)
	s_barrier
	buffer_gl0_inv
	v_cmpx_gt_u32_e32 17, v0
	s_cbranch_execz .LBB44_83
; %bb.80:
	v_mov_b32_e32 v1, 0
	v_mov_b32_e32 v3, 0
	v_add_nc_u32_e32 v9, -1, v0
	v_add_nc_u32_e32 v10, 0x2d0, v181
	v_mov_b32_e32 v2, 0
	v_mov_b32_e32 v4, 0
	v_add_nc_u32_e32 v11, 16, v181
	s_mov_b32 s5, 0
	.p2align	6
.LBB44_81:                              ; =>This Inner Loop Header: Depth=1
	s_clause 0x3
	buffer_load_dword v16, v11, s[0:3], 0 offen offset:8
	buffer_load_dword v17, v11, s[0:3], 0 offen offset:12
	buffer_load_dword v18, v11, s[0:3], 0 offen
	buffer_load_dword v19, v11, s[0:3], 0 offen offset:4
	ds_read_b128 v[12:15], v10
	v_add_nc_u32_e32 v9, 1, v9
	v_add_nc_u32_e32 v10, 16, v10
	;; [unrolled: 1-line block ×3, first 2 shown]
	v_cmp_lt_u32_e32 vcc_lo, 15, v9
	s_or_b32 s5, vcc_lo, s5
	s_waitcnt vmcnt(2) lgkmcnt(0)
	v_mul_f64 v[20:21], v[14:15], v[16:17]
	v_mul_f64 v[16:17], v[12:13], v[16:17]
	s_waitcnt vmcnt(0)
	v_fma_f64 v[12:13], v[12:13], v[18:19], -v[20:21]
	v_fma_f64 v[14:15], v[14:15], v[18:19], v[16:17]
	v_add_f64 v[3:4], v[3:4], v[12:13]
	v_add_f64 v[1:2], v[1:2], v[14:15]
	s_andn2_b32 exec_lo, exec_lo, s5
	s_cbranch_execnz .LBB44_81
; %bb.82:
	s_or_b32 exec_lo, exec_lo, s5
	v_mov_b32_e32 v9, 0
	ds_read_b128 v[9:12], v9 offset:272
	s_waitcnt lgkmcnt(0)
	v_mul_f64 v[13:14], v[1:2], v[11:12]
	v_mul_f64 v[11:12], v[3:4], v[11:12]
	v_fma_f64 v[3:4], v[3:4], v[9:10], -v[13:14]
	v_fma_f64 v[1:2], v[1:2], v[9:10], v[11:12]
	buffer_store_dword v4, off, s[0:3], 0 offset:292
	buffer_store_dword v3, off, s[0:3], 0 offset:288
	;; [unrolled: 1-line block ×4, first 2 shown]
.LBB44_83:
	s_or_b32 exec_lo, exec_lo, s4
	v_mov_b32_e32 v4, s44
	s_waitcnt_vscnt null, 0x0
	s_barrier
	buffer_gl0_inv
	s_mov_b32 s4, exec_lo
	s_clause 0x3
	buffer_load_dword v1, v4, s[0:3], 0 offen
	buffer_load_dword v2, v4, s[0:3], 0 offen offset:4
	buffer_load_dword v3, v4, s[0:3], 0 offen offset:8
	;; [unrolled: 1-line block ×3, first 2 shown]
	s_waitcnt vmcnt(0)
	ds_write_b128 v7, v[1:4]
	s_waitcnt lgkmcnt(0)
	s_barrier
	buffer_gl0_inv
	v_cmpx_gt_u32_e32 18, v0
	s_cbranch_execz .LBB44_87
; %bb.84:
	v_mov_b32_e32 v1, 0
	v_mov_b32_e32 v3, 0
	v_add_nc_u32_e32 v9, -1, v0
	v_add_nc_u32_e32 v10, 0x2d0, v181
	v_mov_b32_e32 v2, 0
	v_mov_b32_e32 v4, 0
	v_add_nc_u32_e32 v11, 16, v181
	s_mov_b32 s5, 0
	.p2align	6
.LBB44_85:                              ; =>This Inner Loop Header: Depth=1
	s_clause 0x3
	buffer_load_dword v16, v11, s[0:3], 0 offen offset:8
	buffer_load_dword v17, v11, s[0:3], 0 offen offset:12
	buffer_load_dword v18, v11, s[0:3], 0 offen
	buffer_load_dword v19, v11, s[0:3], 0 offen offset:4
	ds_read_b128 v[12:15], v10
	v_add_nc_u32_e32 v9, 1, v9
	v_add_nc_u32_e32 v10, 16, v10
	;; [unrolled: 1-line block ×3, first 2 shown]
	v_cmp_lt_u32_e32 vcc_lo, 16, v9
	s_or_b32 s5, vcc_lo, s5
	s_waitcnt vmcnt(2) lgkmcnt(0)
	v_mul_f64 v[20:21], v[14:15], v[16:17]
	v_mul_f64 v[16:17], v[12:13], v[16:17]
	s_waitcnt vmcnt(0)
	v_fma_f64 v[12:13], v[12:13], v[18:19], -v[20:21]
	v_fma_f64 v[14:15], v[14:15], v[18:19], v[16:17]
	v_add_f64 v[3:4], v[3:4], v[12:13]
	v_add_f64 v[1:2], v[1:2], v[14:15]
	s_andn2_b32 exec_lo, exec_lo, s5
	s_cbranch_execnz .LBB44_85
; %bb.86:
	s_or_b32 exec_lo, exec_lo, s5
	v_mov_b32_e32 v9, 0
	ds_read_b128 v[9:12], v9 offset:288
	s_waitcnt lgkmcnt(0)
	v_mul_f64 v[13:14], v[1:2], v[11:12]
	v_mul_f64 v[11:12], v[3:4], v[11:12]
	v_fma_f64 v[3:4], v[3:4], v[9:10], -v[13:14]
	v_fma_f64 v[1:2], v[1:2], v[9:10], v[11:12]
	buffer_store_dword v4, off, s[0:3], 0 offset:308
	buffer_store_dword v3, off, s[0:3], 0 offset:304
	;; [unrolled: 1-line block ×4, first 2 shown]
.LBB44_87:
	s_or_b32 exec_lo, exec_lo, s4
	v_mov_b32_e32 v4, s42
	s_waitcnt_vscnt null, 0x0
	s_barrier
	buffer_gl0_inv
	s_mov_b32 s4, exec_lo
	s_clause 0x3
	buffer_load_dword v1, v4, s[0:3], 0 offen
	buffer_load_dword v2, v4, s[0:3], 0 offen offset:4
	buffer_load_dword v3, v4, s[0:3], 0 offen offset:8
	;; [unrolled: 1-line block ×3, first 2 shown]
	s_waitcnt vmcnt(0)
	ds_write_b128 v7, v[1:4]
	s_waitcnt lgkmcnt(0)
	s_barrier
	buffer_gl0_inv
	v_cmpx_gt_u32_e32 19, v0
	s_cbranch_execz .LBB44_91
; %bb.88:
	v_mov_b32_e32 v1, 0
	v_mov_b32_e32 v3, 0
	v_add_nc_u32_e32 v9, -1, v0
	v_add_nc_u32_e32 v10, 0x2d0, v181
	v_mov_b32_e32 v2, 0
	v_mov_b32_e32 v4, 0
	v_add_nc_u32_e32 v11, 16, v181
	s_mov_b32 s5, 0
	.p2align	6
.LBB44_89:                              ; =>This Inner Loop Header: Depth=1
	s_clause 0x3
	buffer_load_dword v16, v11, s[0:3], 0 offen offset:8
	buffer_load_dword v17, v11, s[0:3], 0 offen offset:12
	buffer_load_dword v18, v11, s[0:3], 0 offen
	buffer_load_dword v19, v11, s[0:3], 0 offen offset:4
	ds_read_b128 v[12:15], v10
	v_add_nc_u32_e32 v9, 1, v9
	v_add_nc_u32_e32 v10, 16, v10
	;; [unrolled: 1-line block ×3, first 2 shown]
	v_cmp_lt_u32_e32 vcc_lo, 17, v9
	s_or_b32 s5, vcc_lo, s5
	s_waitcnt vmcnt(2) lgkmcnt(0)
	v_mul_f64 v[20:21], v[14:15], v[16:17]
	v_mul_f64 v[16:17], v[12:13], v[16:17]
	s_waitcnt vmcnt(0)
	v_fma_f64 v[12:13], v[12:13], v[18:19], -v[20:21]
	v_fma_f64 v[14:15], v[14:15], v[18:19], v[16:17]
	v_add_f64 v[3:4], v[3:4], v[12:13]
	v_add_f64 v[1:2], v[1:2], v[14:15]
	s_andn2_b32 exec_lo, exec_lo, s5
	s_cbranch_execnz .LBB44_89
; %bb.90:
	s_or_b32 exec_lo, exec_lo, s5
	v_mov_b32_e32 v9, 0
	ds_read_b128 v[9:12], v9 offset:304
	s_waitcnt lgkmcnt(0)
	v_mul_f64 v[13:14], v[1:2], v[11:12]
	v_mul_f64 v[11:12], v[3:4], v[11:12]
	v_fma_f64 v[3:4], v[3:4], v[9:10], -v[13:14]
	v_fma_f64 v[1:2], v[1:2], v[9:10], v[11:12]
	buffer_store_dword v4, off, s[0:3], 0 offset:324
	buffer_store_dword v3, off, s[0:3], 0 offset:320
	;; [unrolled: 1-line block ×4, first 2 shown]
.LBB44_91:
	s_or_b32 exec_lo, exec_lo, s4
	v_mov_b32_e32 v4, s40
	s_waitcnt_vscnt null, 0x0
	s_barrier
	buffer_gl0_inv
	s_mov_b32 s4, exec_lo
	s_clause 0x3
	buffer_load_dword v1, v4, s[0:3], 0 offen
	buffer_load_dword v2, v4, s[0:3], 0 offen offset:4
	buffer_load_dword v3, v4, s[0:3], 0 offen offset:8
	;; [unrolled: 1-line block ×3, first 2 shown]
	s_waitcnt vmcnt(0)
	ds_write_b128 v7, v[1:4]
	s_waitcnt lgkmcnt(0)
	s_barrier
	buffer_gl0_inv
	v_cmpx_gt_u32_e32 20, v0
	s_cbranch_execz .LBB44_95
; %bb.92:
	v_mov_b32_e32 v1, 0
	v_mov_b32_e32 v3, 0
	v_add_nc_u32_e32 v9, -1, v0
	v_add_nc_u32_e32 v10, 0x2d0, v181
	v_mov_b32_e32 v2, 0
	v_mov_b32_e32 v4, 0
	v_add_nc_u32_e32 v11, 16, v181
	s_mov_b32 s5, 0
	.p2align	6
.LBB44_93:                              ; =>This Inner Loop Header: Depth=1
	s_clause 0x3
	buffer_load_dword v16, v11, s[0:3], 0 offen offset:8
	buffer_load_dword v17, v11, s[0:3], 0 offen offset:12
	buffer_load_dword v18, v11, s[0:3], 0 offen
	buffer_load_dword v19, v11, s[0:3], 0 offen offset:4
	ds_read_b128 v[12:15], v10
	v_add_nc_u32_e32 v9, 1, v9
	v_add_nc_u32_e32 v10, 16, v10
	;; [unrolled: 1-line block ×3, first 2 shown]
	v_cmp_lt_u32_e32 vcc_lo, 18, v9
	s_or_b32 s5, vcc_lo, s5
	s_waitcnt vmcnt(2) lgkmcnt(0)
	v_mul_f64 v[20:21], v[14:15], v[16:17]
	v_mul_f64 v[16:17], v[12:13], v[16:17]
	s_waitcnt vmcnt(0)
	v_fma_f64 v[12:13], v[12:13], v[18:19], -v[20:21]
	v_fma_f64 v[14:15], v[14:15], v[18:19], v[16:17]
	v_add_f64 v[3:4], v[3:4], v[12:13]
	v_add_f64 v[1:2], v[1:2], v[14:15]
	s_andn2_b32 exec_lo, exec_lo, s5
	s_cbranch_execnz .LBB44_93
; %bb.94:
	s_or_b32 exec_lo, exec_lo, s5
	v_mov_b32_e32 v9, 0
	ds_read_b128 v[9:12], v9 offset:320
	s_waitcnt lgkmcnt(0)
	v_mul_f64 v[13:14], v[1:2], v[11:12]
	v_mul_f64 v[11:12], v[3:4], v[11:12]
	v_fma_f64 v[3:4], v[3:4], v[9:10], -v[13:14]
	v_fma_f64 v[1:2], v[1:2], v[9:10], v[11:12]
	buffer_store_dword v4, off, s[0:3], 0 offset:340
	buffer_store_dword v3, off, s[0:3], 0 offset:336
	;; [unrolled: 1-line block ×4, first 2 shown]
.LBB44_95:
	s_or_b32 exec_lo, exec_lo, s4
	v_mov_b32_e32 v4, s38
	s_waitcnt_vscnt null, 0x0
	s_barrier
	buffer_gl0_inv
	s_mov_b32 s4, exec_lo
	s_clause 0x3
	buffer_load_dword v1, v4, s[0:3], 0 offen
	buffer_load_dword v2, v4, s[0:3], 0 offen offset:4
	buffer_load_dword v3, v4, s[0:3], 0 offen offset:8
	;; [unrolled: 1-line block ×3, first 2 shown]
	s_waitcnt vmcnt(0)
	ds_write_b128 v7, v[1:4]
	s_waitcnt lgkmcnt(0)
	s_barrier
	buffer_gl0_inv
	v_cmpx_gt_u32_e32 21, v0
	s_cbranch_execz .LBB44_99
; %bb.96:
	v_mov_b32_e32 v1, 0
	v_mov_b32_e32 v3, 0
	v_add_nc_u32_e32 v9, -1, v0
	v_add_nc_u32_e32 v10, 0x2d0, v181
	v_mov_b32_e32 v2, 0
	v_mov_b32_e32 v4, 0
	v_add_nc_u32_e32 v11, 16, v181
	s_mov_b32 s5, 0
	.p2align	6
.LBB44_97:                              ; =>This Inner Loop Header: Depth=1
	s_clause 0x3
	buffer_load_dword v16, v11, s[0:3], 0 offen offset:8
	buffer_load_dword v17, v11, s[0:3], 0 offen offset:12
	buffer_load_dword v18, v11, s[0:3], 0 offen
	buffer_load_dword v19, v11, s[0:3], 0 offen offset:4
	ds_read_b128 v[12:15], v10
	v_add_nc_u32_e32 v9, 1, v9
	v_add_nc_u32_e32 v10, 16, v10
	;; [unrolled: 1-line block ×3, first 2 shown]
	v_cmp_lt_u32_e32 vcc_lo, 19, v9
	s_or_b32 s5, vcc_lo, s5
	s_waitcnt vmcnt(2) lgkmcnt(0)
	v_mul_f64 v[20:21], v[14:15], v[16:17]
	v_mul_f64 v[16:17], v[12:13], v[16:17]
	s_waitcnt vmcnt(0)
	v_fma_f64 v[12:13], v[12:13], v[18:19], -v[20:21]
	v_fma_f64 v[14:15], v[14:15], v[18:19], v[16:17]
	v_add_f64 v[3:4], v[3:4], v[12:13]
	v_add_f64 v[1:2], v[1:2], v[14:15]
	s_andn2_b32 exec_lo, exec_lo, s5
	s_cbranch_execnz .LBB44_97
; %bb.98:
	s_or_b32 exec_lo, exec_lo, s5
	v_mov_b32_e32 v9, 0
	ds_read_b128 v[9:12], v9 offset:336
	s_waitcnt lgkmcnt(0)
	v_mul_f64 v[13:14], v[1:2], v[11:12]
	v_mul_f64 v[11:12], v[3:4], v[11:12]
	v_fma_f64 v[3:4], v[3:4], v[9:10], -v[13:14]
	v_fma_f64 v[1:2], v[1:2], v[9:10], v[11:12]
	buffer_store_dword v4, off, s[0:3], 0 offset:356
	buffer_store_dword v3, off, s[0:3], 0 offset:352
	;; [unrolled: 1-line block ×4, first 2 shown]
.LBB44_99:
	s_or_b32 exec_lo, exec_lo, s4
	v_mov_b32_e32 v4, s36
	s_waitcnt_vscnt null, 0x0
	s_barrier
	buffer_gl0_inv
	s_mov_b32 s4, exec_lo
	s_clause 0x3
	buffer_load_dword v1, v4, s[0:3], 0 offen
	buffer_load_dword v2, v4, s[0:3], 0 offen offset:4
	buffer_load_dword v3, v4, s[0:3], 0 offen offset:8
	;; [unrolled: 1-line block ×3, first 2 shown]
	s_waitcnt vmcnt(0)
	ds_write_b128 v7, v[1:4]
	s_waitcnt lgkmcnt(0)
	s_barrier
	buffer_gl0_inv
	v_cmpx_gt_u32_e32 22, v0
	s_cbranch_execz .LBB44_103
; %bb.100:
	v_mov_b32_e32 v1, 0
	v_mov_b32_e32 v3, 0
	v_add_nc_u32_e32 v9, -1, v0
	v_add_nc_u32_e32 v10, 0x2d0, v181
	v_mov_b32_e32 v2, 0
	v_mov_b32_e32 v4, 0
	v_add_nc_u32_e32 v11, 16, v181
	s_mov_b32 s5, 0
	.p2align	6
.LBB44_101:                             ; =>This Inner Loop Header: Depth=1
	s_clause 0x3
	buffer_load_dword v16, v11, s[0:3], 0 offen offset:8
	buffer_load_dword v17, v11, s[0:3], 0 offen offset:12
	buffer_load_dword v18, v11, s[0:3], 0 offen
	buffer_load_dword v19, v11, s[0:3], 0 offen offset:4
	ds_read_b128 v[12:15], v10
	v_add_nc_u32_e32 v9, 1, v9
	v_add_nc_u32_e32 v10, 16, v10
	;; [unrolled: 1-line block ×3, first 2 shown]
	v_cmp_lt_u32_e32 vcc_lo, 20, v9
	s_or_b32 s5, vcc_lo, s5
	s_waitcnt vmcnt(2) lgkmcnt(0)
	v_mul_f64 v[20:21], v[14:15], v[16:17]
	v_mul_f64 v[16:17], v[12:13], v[16:17]
	s_waitcnt vmcnt(0)
	v_fma_f64 v[12:13], v[12:13], v[18:19], -v[20:21]
	v_fma_f64 v[14:15], v[14:15], v[18:19], v[16:17]
	v_add_f64 v[3:4], v[3:4], v[12:13]
	v_add_f64 v[1:2], v[1:2], v[14:15]
	s_andn2_b32 exec_lo, exec_lo, s5
	s_cbranch_execnz .LBB44_101
; %bb.102:
	s_or_b32 exec_lo, exec_lo, s5
	v_mov_b32_e32 v9, 0
	ds_read_b128 v[9:12], v9 offset:352
	s_waitcnt lgkmcnt(0)
	v_mul_f64 v[13:14], v[1:2], v[11:12]
	v_mul_f64 v[11:12], v[3:4], v[11:12]
	v_fma_f64 v[3:4], v[3:4], v[9:10], -v[13:14]
	v_fma_f64 v[1:2], v[1:2], v[9:10], v[11:12]
	buffer_store_dword v4, off, s[0:3], 0 offset:372
	buffer_store_dword v3, off, s[0:3], 0 offset:368
	;; [unrolled: 1-line block ×4, first 2 shown]
.LBB44_103:
	s_or_b32 exec_lo, exec_lo, s4
	v_mov_b32_e32 v4, s34
	s_waitcnt_vscnt null, 0x0
	s_barrier
	buffer_gl0_inv
	s_mov_b32 s4, exec_lo
	s_clause 0x3
	buffer_load_dword v1, v4, s[0:3], 0 offen
	buffer_load_dword v2, v4, s[0:3], 0 offen offset:4
	buffer_load_dword v3, v4, s[0:3], 0 offen offset:8
	;; [unrolled: 1-line block ×3, first 2 shown]
	s_waitcnt vmcnt(0)
	ds_write_b128 v7, v[1:4]
	s_waitcnt lgkmcnt(0)
	s_barrier
	buffer_gl0_inv
	v_cmpx_gt_u32_e32 23, v0
	s_cbranch_execz .LBB44_107
; %bb.104:
	v_mov_b32_e32 v1, 0
	v_mov_b32_e32 v3, 0
	v_add_nc_u32_e32 v9, -1, v0
	v_add_nc_u32_e32 v10, 0x2d0, v181
	v_mov_b32_e32 v2, 0
	v_mov_b32_e32 v4, 0
	v_add_nc_u32_e32 v11, 16, v181
	s_mov_b32 s5, 0
	.p2align	6
.LBB44_105:                             ; =>This Inner Loop Header: Depth=1
	s_clause 0x3
	buffer_load_dword v16, v11, s[0:3], 0 offen offset:8
	buffer_load_dword v17, v11, s[0:3], 0 offen offset:12
	buffer_load_dword v18, v11, s[0:3], 0 offen
	buffer_load_dword v19, v11, s[0:3], 0 offen offset:4
	ds_read_b128 v[12:15], v10
	v_add_nc_u32_e32 v9, 1, v9
	v_add_nc_u32_e32 v10, 16, v10
	;; [unrolled: 1-line block ×3, first 2 shown]
	v_cmp_lt_u32_e32 vcc_lo, 21, v9
	s_or_b32 s5, vcc_lo, s5
	s_waitcnt vmcnt(2) lgkmcnt(0)
	v_mul_f64 v[20:21], v[14:15], v[16:17]
	v_mul_f64 v[16:17], v[12:13], v[16:17]
	s_waitcnt vmcnt(0)
	v_fma_f64 v[12:13], v[12:13], v[18:19], -v[20:21]
	v_fma_f64 v[14:15], v[14:15], v[18:19], v[16:17]
	v_add_f64 v[3:4], v[3:4], v[12:13]
	v_add_f64 v[1:2], v[1:2], v[14:15]
	s_andn2_b32 exec_lo, exec_lo, s5
	s_cbranch_execnz .LBB44_105
; %bb.106:
	s_or_b32 exec_lo, exec_lo, s5
	v_mov_b32_e32 v9, 0
	ds_read_b128 v[9:12], v9 offset:368
	s_waitcnt lgkmcnt(0)
	v_mul_f64 v[13:14], v[1:2], v[11:12]
	v_mul_f64 v[11:12], v[3:4], v[11:12]
	v_fma_f64 v[3:4], v[3:4], v[9:10], -v[13:14]
	v_fma_f64 v[1:2], v[1:2], v[9:10], v[11:12]
	buffer_store_dword v4, off, s[0:3], 0 offset:388
	buffer_store_dword v3, off, s[0:3], 0 offset:384
	;; [unrolled: 1-line block ×4, first 2 shown]
.LBB44_107:
	s_or_b32 exec_lo, exec_lo, s4
	v_mov_b32_e32 v4, s33
	s_waitcnt_vscnt null, 0x0
	s_barrier
	buffer_gl0_inv
	s_mov_b32 s4, exec_lo
	s_clause 0x3
	buffer_load_dword v1, v4, s[0:3], 0 offen
	buffer_load_dword v2, v4, s[0:3], 0 offen offset:4
	buffer_load_dword v3, v4, s[0:3], 0 offen offset:8
	;; [unrolled: 1-line block ×3, first 2 shown]
	s_waitcnt vmcnt(0)
	ds_write_b128 v7, v[1:4]
	s_waitcnt lgkmcnt(0)
	s_barrier
	buffer_gl0_inv
	v_cmpx_gt_u32_e32 24, v0
	s_cbranch_execz .LBB44_111
; %bb.108:
	v_mov_b32_e32 v1, 0
	v_mov_b32_e32 v3, 0
	v_add_nc_u32_e32 v9, -1, v0
	v_add_nc_u32_e32 v10, 0x2d0, v181
	v_mov_b32_e32 v2, 0
	v_mov_b32_e32 v4, 0
	v_add_nc_u32_e32 v11, 16, v181
	s_mov_b32 s5, 0
	.p2align	6
.LBB44_109:                             ; =>This Inner Loop Header: Depth=1
	s_clause 0x3
	buffer_load_dword v16, v11, s[0:3], 0 offen offset:8
	buffer_load_dword v17, v11, s[0:3], 0 offen offset:12
	buffer_load_dword v18, v11, s[0:3], 0 offen
	buffer_load_dword v19, v11, s[0:3], 0 offen offset:4
	ds_read_b128 v[12:15], v10
	v_add_nc_u32_e32 v9, 1, v9
	v_add_nc_u32_e32 v10, 16, v10
	;; [unrolled: 1-line block ×3, first 2 shown]
	v_cmp_lt_u32_e32 vcc_lo, 22, v9
	s_or_b32 s5, vcc_lo, s5
	s_waitcnt vmcnt(2) lgkmcnt(0)
	v_mul_f64 v[20:21], v[14:15], v[16:17]
	v_mul_f64 v[16:17], v[12:13], v[16:17]
	s_waitcnt vmcnt(0)
	v_fma_f64 v[12:13], v[12:13], v[18:19], -v[20:21]
	v_fma_f64 v[14:15], v[14:15], v[18:19], v[16:17]
	v_add_f64 v[3:4], v[3:4], v[12:13]
	v_add_f64 v[1:2], v[1:2], v[14:15]
	s_andn2_b32 exec_lo, exec_lo, s5
	s_cbranch_execnz .LBB44_109
; %bb.110:
	s_or_b32 exec_lo, exec_lo, s5
	v_mov_b32_e32 v9, 0
	ds_read_b128 v[9:12], v9 offset:384
	s_waitcnt lgkmcnt(0)
	v_mul_f64 v[13:14], v[1:2], v[11:12]
	v_mul_f64 v[11:12], v[3:4], v[11:12]
	v_fma_f64 v[3:4], v[3:4], v[9:10], -v[13:14]
	v_fma_f64 v[1:2], v[1:2], v[9:10], v[11:12]
	buffer_store_dword v4, off, s[0:3], 0 offset:404
	buffer_store_dword v3, off, s[0:3], 0 offset:400
	;; [unrolled: 1-line block ×4, first 2 shown]
.LBB44_111:
	s_or_b32 exec_lo, exec_lo, s4
	v_mov_b32_e32 v4, s31
	s_waitcnt_vscnt null, 0x0
	s_barrier
	buffer_gl0_inv
	s_mov_b32 s4, exec_lo
	s_clause 0x3
	buffer_load_dword v1, v4, s[0:3], 0 offen
	buffer_load_dword v2, v4, s[0:3], 0 offen offset:4
	buffer_load_dword v3, v4, s[0:3], 0 offen offset:8
	;; [unrolled: 1-line block ×3, first 2 shown]
	s_waitcnt vmcnt(0)
	ds_write_b128 v7, v[1:4]
	s_waitcnt lgkmcnt(0)
	s_barrier
	buffer_gl0_inv
	v_cmpx_gt_u32_e32 25, v0
	s_cbranch_execz .LBB44_115
; %bb.112:
	v_mov_b32_e32 v1, 0
	v_mov_b32_e32 v3, 0
	v_add_nc_u32_e32 v9, -1, v0
	v_add_nc_u32_e32 v10, 0x2d0, v181
	v_mov_b32_e32 v2, 0
	v_mov_b32_e32 v4, 0
	v_add_nc_u32_e32 v11, 16, v181
	s_mov_b32 s5, 0
	.p2align	6
.LBB44_113:                             ; =>This Inner Loop Header: Depth=1
	s_clause 0x3
	buffer_load_dword v16, v11, s[0:3], 0 offen offset:8
	buffer_load_dword v17, v11, s[0:3], 0 offen offset:12
	buffer_load_dword v18, v11, s[0:3], 0 offen
	buffer_load_dword v19, v11, s[0:3], 0 offen offset:4
	ds_read_b128 v[12:15], v10
	v_add_nc_u32_e32 v9, 1, v9
	v_add_nc_u32_e32 v10, 16, v10
	;; [unrolled: 1-line block ×3, first 2 shown]
	v_cmp_lt_u32_e32 vcc_lo, 23, v9
	s_or_b32 s5, vcc_lo, s5
	s_waitcnt vmcnt(2) lgkmcnt(0)
	v_mul_f64 v[20:21], v[14:15], v[16:17]
	v_mul_f64 v[16:17], v[12:13], v[16:17]
	s_waitcnt vmcnt(0)
	v_fma_f64 v[12:13], v[12:13], v[18:19], -v[20:21]
	v_fma_f64 v[14:15], v[14:15], v[18:19], v[16:17]
	v_add_f64 v[3:4], v[3:4], v[12:13]
	v_add_f64 v[1:2], v[1:2], v[14:15]
	s_andn2_b32 exec_lo, exec_lo, s5
	s_cbranch_execnz .LBB44_113
; %bb.114:
	s_or_b32 exec_lo, exec_lo, s5
	v_mov_b32_e32 v9, 0
	ds_read_b128 v[9:12], v9 offset:400
	s_waitcnt lgkmcnt(0)
	v_mul_f64 v[13:14], v[1:2], v[11:12]
	v_mul_f64 v[11:12], v[3:4], v[11:12]
	v_fma_f64 v[3:4], v[3:4], v[9:10], -v[13:14]
	v_fma_f64 v[1:2], v[1:2], v[9:10], v[11:12]
	buffer_store_dword v4, off, s[0:3], 0 offset:420
	buffer_store_dword v3, off, s[0:3], 0 offset:416
	;; [unrolled: 1-line block ×4, first 2 shown]
.LBB44_115:
	s_or_b32 exec_lo, exec_lo, s4
	v_mov_b32_e32 v4, s30
	s_waitcnt_vscnt null, 0x0
	s_barrier
	buffer_gl0_inv
	s_mov_b32 s4, exec_lo
	s_clause 0x3
	buffer_load_dword v1, v4, s[0:3], 0 offen
	buffer_load_dword v2, v4, s[0:3], 0 offen offset:4
	buffer_load_dword v3, v4, s[0:3], 0 offen offset:8
	buffer_load_dword v4, v4, s[0:3], 0 offen offset:12
	s_waitcnt vmcnt(0)
	ds_write_b128 v7, v[1:4]
	s_waitcnt lgkmcnt(0)
	s_barrier
	buffer_gl0_inv
	v_cmpx_gt_u32_e32 26, v0
	s_cbranch_execz .LBB44_119
; %bb.116:
	v_mov_b32_e32 v1, 0
	v_mov_b32_e32 v3, 0
	v_add_nc_u32_e32 v9, -1, v0
	v_add_nc_u32_e32 v10, 0x2d0, v181
	v_mov_b32_e32 v2, 0
	v_mov_b32_e32 v4, 0
	v_add_nc_u32_e32 v11, 16, v181
	s_mov_b32 s5, 0
	.p2align	6
.LBB44_117:                             ; =>This Inner Loop Header: Depth=1
	s_clause 0x3
	buffer_load_dword v16, v11, s[0:3], 0 offen offset:8
	buffer_load_dword v17, v11, s[0:3], 0 offen offset:12
	buffer_load_dword v18, v11, s[0:3], 0 offen
	buffer_load_dword v19, v11, s[0:3], 0 offen offset:4
	ds_read_b128 v[12:15], v10
	v_add_nc_u32_e32 v9, 1, v9
	v_add_nc_u32_e32 v10, 16, v10
	;; [unrolled: 1-line block ×3, first 2 shown]
	v_cmp_lt_u32_e32 vcc_lo, 24, v9
	s_or_b32 s5, vcc_lo, s5
	s_waitcnt vmcnt(2) lgkmcnt(0)
	v_mul_f64 v[20:21], v[14:15], v[16:17]
	v_mul_f64 v[16:17], v[12:13], v[16:17]
	s_waitcnt vmcnt(0)
	v_fma_f64 v[12:13], v[12:13], v[18:19], -v[20:21]
	v_fma_f64 v[14:15], v[14:15], v[18:19], v[16:17]
	v_add_f64 v[3:4], v[3:4], v[12:13]
	v_add_f64 v[1:2], v[1:2], v[14:15]
	s_andn2_b32 exec_lo, exec_lo, s5
	s_cbranch_execnz .LBB44_117
; %bb.118:
	s_or_b32 exec_lo, exec_lo, s5
	v_mov_b32_e32 v9, 0
	ds_read_b128 v[9:12], v9 offset:416
	s_waitcnt lgkmcnt(0)
	v_mul_f64 v[13:14], v[1:2], v[11:12]
	v_mul_f64 v[11:12], v[3:4], v[11:12]
	v_fma_f64 v[3:4], v[3:4], v[9:10], -v[13:14]
	v_fma_f64 v[1:2], v[1:2], v[9:10], v[11:12]
	buffer_store_dword v4, off, s[0:3], 0 offset:436
	buffer_store_dword v3, off, s[0:3], 0 offset:432
	;; [unrolled: 1-line block ×4, first 2 shown]
.LBB44_119:
	s_or_b32 exec_lo, exec_lo, s4
	v_mov_b32_e32 v4, s29
	s_waitcnt_vscnt null, 0x0
	s_barrier
	buffer_gl0_inv
	s_mov_b32 s4, exec_lo
	s_clause 0x3
	buffer_load_dword v1, v4, s[0:3], 0 offen
	buffer_load_dword v2, v4, s[0:3], 0 offen offset:4
	buffer_load_dword v3, v4, s[0:3], 0 offen offset:8
	;; [unrolled: 1-line block ×3, first 2 shown]
	s_waitcnt vmcnt(0)
	ds_write_b128 v7, v[1:4]
	s_waitcnt lgkmcnt(0)
	s_barrier
	buffer_gl0_inv
	v_cmpx_gt_u32_e32 27, v0
	s_cbranch_execz .LBB44_123
; %bb.120:
	v_mov_b32_e32 v1, 0
	v_mov_b32_e32 v3, 0
	v_add_nc_u32_e32 v9, -1, v0
	v_add_nc_u32_e32 v10, 0x2d0, v181
	v_mov_b32_e32 v2, 0
	v_mov_b32_e32 v4, 0
	v_add_nc_u32_e32 v11, 16, v181
	s_mov_b32 s5, 0
	.p2align	6
.LBB44_121:                             ; =>This Inner Loop Header: Depth=1
	s_clause 0x3
	buffer_load_dword v16, v11, s[0:3], 0 offen offset:8
	buffer_load_dword v17, v11, s[0:3], 0 offen offset:12
	buffer_load_dword v18, v11, s[0:3], 0 offen
	buffer_load_dword v19, v11, s[0:3], 0 offen offset:4
	ds_read_b128 v[12:15], v10
	v_add_nc_u32_e32 v9, 1, v9
	v_add_nc_u32_e32 v10, 16, v10
	;; [unrolled: 1-line block ×3, first 2 shown]
	v_cmp_lt_u32_e32 vcc_lo, 25, v9
	s_or_b32 s5, vcc_lo, s5
	s_waitcnt vmcnt(2) lgkmcnt(0)
	v_mul_f64 v[20:21], v[14:15], v[16:17]
	v_mul_f64 v[16:17], v[12:13], v[16:17]
	s_waitcnt vmcnt(0)
	v_fma_f64 v[12:13], v[12:13], v[18:19], -v[20:21]
	v_fma_f64 v[14:15], v[14:15], v[18:19], v[16:17]
	v_add_f64 v[3:4], v[3:4], v[12:13]
	v_add_f64 v[1:2], v[1:2], v[14:15]
	s_andn2_b32 exec_lo, exec_lo, s5
	s_cbranch_execnz .LBB44_121
; %bb.122:
	s_or_b32 exec_lo, exec_lo, s5
	v_mov_b32_e32 v9, 0
	ds_read_b128 v[9:12], v9 offset:432
	s_waitcnt lgkmcnt(0)
	v_mul_f64 v[13:14], v[1:2], v[11:12]
	v_mul_f64 v[11:12], v[3:4], v[11:12]
	v_fma_f64 v[3:4], v[3:4], v[9:10], -v[13:14]
	v_fma_f64 v[1:2], v[1:2], v[9:10], v[11:12]
	buffer_store_dword v4, off, s[0:3], 0 offset:452
	buffer_store_dword v3, off, s[0:3], 0 offset:448
	buffer_store_dword v2, off, s[0:3], 0 offset:460
	buffer_store_dword v1, off, s[0:3], 0 offset:456
.LBB44_123:
	s_or_b32 exec_lo, exec_lo, s4
	v_mov_b32_e32 v4, s28
	s_waitcnt_vscnt null, 0x0
	s_barrier
	buffer_gl0_inv
	s_mov_b32 s4, exec_lo
	s_clause 0x3
	buffer_load_dword v1, v4, s[0:3], 0 offen
	buffer_load_dword v2, v4, s[0:3], 0 offen offset:4
	buffer_load_dword v3, v4, s[0:3], 0 offen offset:8
	;; [unrolled: 1-line block ×3, first 2 shown]
	s_waitcnt vmcnt(0)
	ds_write_b128 v7, v[1:4]
	s_waitcnt lgkmcnt(0)
	s_barrier
	buffer_gl0_inv
	v_cmpx_gt_u32_e32 28, v0
	s_cbranch_execz .LBB44_127
; %bb.124:
	v_mov_b32_e32 v1, 0
	v_mov_b32_e32 v3, 0
	v_add_nc_u32_e32 v9, -1, v0
	v_add_nc_u32_e32 v10, 0x2d0, v181
	v_mov_b32_e32 v2, 0
	v_mov_b32_e32 v4, 0
	v_add_nc_u32_e32 v11, 16, v181
	s_mov_b32 s5, 0
	.p2align	6
.LBB44_125:                             ; =>This Inner Loop Header: Depth=1
	s_clause 0x3
	buffer_load_dword v16, v11, s[0:3], 0 offen offset:8
	buffer_load_dword v17, v11, s[0:3], 0 offen offset:12
	buffer_load_dword v18, v11, s[0:3], 0 offen
	buffer_load_dword v19, v11, s[0:3], 0 offen offset:4
	ds_read_b128 v[12:15], v10
	v_add_nc_u32_e32 v9, 1, v9
	v_add_nc_u32_e32 v10, 16, v10
	;; [unrolled: 1-line block ×3, first 2 shown]
	v_cmp_lt_u32_e32 vcc_lo, 26, v9
	s_or_b32 s5, vcc_lo, s5
	s_waitcnt vmcnt(2) lgkmcnt(0)
	v_mul_f64 v[20:21], v[14:15], v[16:17]
	v_mul_f64 v[16:17], v[12:13], v[16:17]
	s_waitcnt vmcnt(0)
	v_fma_f64 v[12:13], v[12:13], v[18:19], -v[20:21]
	v_fma_f64 v[14:15], v[14:15], v[18:19], v[16:17]
	v_add_f64 v[3:4], v[3:4], v[12:13]
	v_add_f64 v[1:2], v[1:2], v[14:15]
	s_andn2_b32 exec_lo, exec_lo, s5
	s_cbranch_execnz .LBB44_125
; %bb.126:
	s_or_b32 exec_lo, exec_lo, s5
	v_mov_b32_e32 v9, 0
	ds_read_b128 v[9:12], v9 offset:448
	s_waitcnt lgkmcnt(0)
	v_mul_f64 v[13:14], v[1:2], v[11:12]
	v_mul_f64 v[11:12], v[3:4], v[11:12]
	v_fma_f64 v[3:4], v[3:4], v[9:10], -v[13:14]
	v_fma_f64 v[1:2], v[1:2], v[9:10], v[11:12]
	buffer_store_dword v4, off, s[0:3], 0 offset:468
	buffer_store_dword v3, off, s[0:3], 0 offset:464
	;; [unrolled: 1-line block ×4, first 2 shown]
.LBB44_127:
	s_or_b32 exec_lo, exec_lo, s4
	v_mov_b32_e32 v4, s27
	s_waitcnt_vscnt null, 0x0
	s_barrier
	buffer_gl0_inv
	s_mov_b32 s4, exec_lo
	s_clause 0x3
	buffer_load_dword v1, v4, s[0:3], 0 offen
	buffer_load_dword v2, v4, s[0:3], 0 offen offset:4
	buffer_load_dword v3, v4, s[0:3], 0 offen offset:8
	buffer_load_dword v4, v4, s[0:3], 0 offen offset:12
	s_waitcnt vmcnt(0)
	ds_write_b128 v7, v[1:4]
	s_waitcnt lgkmcnt(0)
	s_barrier
	buffer_gl0_inv
	v_cmpx_gt_u32_e32 29, v0
	s_cbranch_execz .LBB44_131
; %bb.128:
	v_mov_b32_e32 v1, 0
	v_mov_b32_e32 v3, 0
	v_add_nc_u32_e32 v9, -1, v0
	v_add_nc_u32_e32 v10, 0x2d0, v181
	v_mov_b32_e32 v2, 0
	v_mov_b32_e32 v4, 0
	v_add_nc_u32_e32 v11, 16, v181
	s_mov_b32 s5, 0
	.p2align	6
.LBB44_129:                             ; =>This Inner Loop Header: Depth=1
	s_clause 0x3
	buffer_load_dword v16, v11, s[0:3], 0 offen offset:8
	buffer_load_dword v17, v11, s[0:3], 0 offen offset:12
	buffer_load_dword v18, v11, s[0:3], 0 offen
	buffer_load_dword v19, v11, s[0:3], 0 offen offset:4
	ds_read_b128 v[12:15], v10
	v_add_nc_u32_e32 v9, 1, v9
	v_add_nc_u32_e32 v10, 16, v10
	;; [unrolled: 1-line block ×3, first 2 shown]
	v_cmp_lt_u32_e32 vcc_lo, 27, v9
	s_or_b32 s5, vcc_lo, s5
	s_waitcnt vmcnt(2) lgkmcnt(0)
	v_mul_f64 v[20:21], v[14:15], v[16:17]
	v_mul_f64 v[16:17], v[12:13], v[16:17]
	s_waitcnt vmcnt(0)
	v_fma_f64 v[12:13], v[12:13], v[18:19], -v[20:21]
	v_fma_f64 v[14:15], v[14:15], v[18:19], v[16:17]
	v_add_f64 v[3:4], v[3:4], v[12:13]
	v_add_f64 v[1:2], v[1:2], v[14:15]
	s_andn2_b32 exec_lo, exec_lo, s5
	s_cbranch_execnz .LBB44_129
; %bb.130:
	s_or_b32 exec_lo, exec_lo, s5
	v_mov_b32_e32 v9, 0
	ds_read_b128 v[9:12], v9 offset:464
	s_waitcnt lgkmcnt(0)
	v_mul_f64 v[13:14], v[1:2], v[11:12]
	v_mul_f64 v[11:12], v[3:4], v[11:12]
	v_fma_f64 v[3:4], v[3:4], v[9:10], -v[13:14]
	v_fma_f64 v[1:2], v[1:2], v[9:10], v[11:12]
	buffer_store_dword v4, off, s[0:3], 0 offset:484
	buffer_store_dword v3, off, s[0:3], 0 offset:480
	;; [unrolled: 1-line block ×4, first 2 shown]
.LBB44_131:
	s_or_b32 exec_lo, exec_lo, s4
	v_mov_b32_e32 v4, s26
	s_waitcnt_vscnt null, 0x0
	s_barrier
	buffer_gl0_inv
	s_mov_b32 s4, exec_lo
	s_clause 0x3
	buffer_load_dword v1, v4, s[0:3], 0 offen
	buffer_load_dword v2, v4, s[0:3], 0 offen offset:4
	buffer_load_dword v3, v4, s[0:3], 0 offen offset:8
	;; [unrolled: 1-line block ×3, first 2 shown]
	s_waitcnt vmcnt(0)
	ds_write_b128 v7, v[1:4]
	s_waitcnt lgkmcnt(0)
	s_barrier
	buffer_gl0_inv
	v_cmpx_gt_u32_e32 30, v0
	s_cbranch_execz .LBB44_135
; %bb.132:
	v_mov_b32_e32 v1, 0
	v_mov_b32_e32 v3, 0
	v_add_nc_u32_e32 v9, -1, v0
	v_add_nc_u32_e32 v10, 0x2d0, v181
	v_mov_b32_e32 v2, 0
	v_mov_b32_e32 v4, 0
	v_add_nc_u32_e32 v11, 16, v181
	s_mov_b32 s5, 0
	.p2align	6
.LBB44_133:                             ; =>This Inner Loop Header: Depth=1
	s_clause 0x3
	buffer_load_dword v16, v11, s[0:3], 0 offen offset:8
	buffer_load_dword v17, v11, s[0:3], 0 offen offset:12
	buffer_load_dword v18, v11, s[0:3], 0 offen
	buffer_load_dword v19, v11, s[0:3], 0 offen offset:4
	ds_read_b128 v[12:15], v10
	v_add_nc_u32_e32 v9, 1, v9
	v_add_nc_u32_e32 v10, 16, v10
	;; [unrolled: 1-line block ×3, first 2 shown]
	v_cmp_lt_u32_e32 vcc_lo, 28, v9
	s_or_b32 s5, vcc_lo, s5
	s_waitcnt vmcnt(2) lgkmcnt(0)
	v_mul_f64 v[20:21], v[14:15], v[16:17]
	v_mul_f64 v[16:17], v[12:13], v[16:17]
	s_waitcnt vmcnt(0)
	v_fma_f64 v[12:13], v[12:13], v[18:19], -v[20:21]
	v_fma_f64 v[14:15], v[14:15], v[18:19], v[16:17]
	v_add_f64 v[3:4], v[3:4], v[12:13]
	v_add_f64 v[1:2], v[1:2], v[14:15]
	s_andn2_b32 exec_lo, exec_lo, s5
	s_cbranch_execnz .LBB44_133
; %bb.134:
	s_or_b32 exec_lo, exec_lo, s5
	v_mov_b32_e32 v9, 0
	ds_read_b128 v[9:12], v9 offset:480
	s_waitcnt lgkmcnt(0)
	v_mul_f64 v[13:14], v[1:2], v[11:12]
	v_mul_f64 v[11:12], v[3:4], v[11:12]
	v_fma_f64 v[3:4], v[3:4], v[9:10], -v[13:14]
	v_fma_f64 v[1:2], v[1:2], v[9:10], v[11:12]
	buffer_store_dword v4, off, s[0:3], 0 offset:500
	buffer_store_dword v3, off, s[0:3], 0 offset:496
	;; [unrolled: 1-line block ×4, first 2 shown]
.LBB44_135:
	s_or_b32 exec_lo, exec_lo, s4
	v_mov_b32_e32 v4, s25
	s_waitcnt_vscnt null, 0x0
	s_barrier
	buffer_gl0_inv
	s_mov_b32 s4, exec_lo
	s_clause 0x3
	buffer_load_dword v1, v4, s[0:3], 0 offen
	buffer_load_dword v2, v4, s[0:3], 0 offen offset:4
	buffer_load_dword v3, v4, s[0:3], 0 offen offset:8
	;; [unrolled: 1-line block ×3, first 2 shown]
	s_waitcnt vmcnt(0)
	ds_write_b128 v7, v[1:4]
	s_waitcnt lgkmcnt(0)
	s_barrier
	buffer_gl0_inv
	v_cmpx_gt_u32_e32 31, v0
	s_cbranch_execz .LBB44_139
; %bb.136:
	v_mov_b32_e32 v1, 0
	v_mov_b32_e32 v3, 0
	v_add_nc_u32_e32 v9, -1, v0
	v_add_nc_u32_e32 v10, 0x2d0, v181
	v_mov_b32_e32 v2, 0
	v_mov_b32_e32 v4, 0
	v_add_nc_u32_e32 v11, 16, v181
	s_mov_b32 s5, 0
	.p2align	6
.LBB44_137:                             ; =>This Inner Loop Header: Depth=1
	s_clause 0x3
	buffer_load_dword v16, v11, s[0:3], 0 offen offset:8
	buffer_load_dword v17, v11, s[0:3], 0 offen offset:12
	buffer_load_dword v18, v11, s[0:3], 0 offen
	buffer_load_dword v19, v11, s[0:3], 0 offen offset:4
	ds_read_b128 v[12:15], v10
	v_add_nc_u32_e32 v9, 1, v9
	v_add_nc_u32_e32 v10, 16, v10
	;; [unrolled: 1-line block ×3, first 2 shown]
	v_cmp_lt_u32_e32 vcc_lo, 29, v9
	s_or_b32 s5, vcc_lo, s5
	s_waitcnt vmcnt(2) lgkmcnt(0)
	v_mul_f64 v[20:21], v[14:15], v[16:17]
	v_mul_f64 v[16:17], v[12:13], v[16:17]
	s_waitcnt vmcnt(0)
	v_fma_f64 v[12:13], v[12:13], v[18:19], -v[20:21]
	v_fma_f64 v[14:15], v[14:15], v[18:19], v[16:17]
	v_add_f64 v[3:4], v[3:4], v[12:13]
	v_add_f64 v[1:2], v[1:2], v[14:15]
	s_andn2_b32 exec_lo, exec_lo, s5
	s_cbranch_execnz .LBB44_137
; %bb.138:
	s_or_b32 exec_lo, exec_lo, s5
	v_mov_b32_e32 v9, 0
	ds_read_b128 v[9:12], v9 offset:496
	s_waitcnt lgkmcnt(0)
	v_mul_f64 v[13:14], v[1:2], v[11:12]
	v_mul_f64 v[11:12], v[3:4], v[11:12]
	v_fma_f64 v[3:4], v[3:4], v[9:10], -v[13:14]
	v_fma_f64 v[1:2], v[1:2], v[9:10], v[11:12]
	buffer_store_dword v4, off, s[0:3], 0 offset:516
	buffer_store_dword v3, off, s[0:3], 0 offset:512
	;; [unrolled: 1-line block ×4, first 2 shown]
.LBB44_139:
	s_or_b32 exec_lo, exec_lo, s4
	v_mov_b32_e32 v4, s24
	s_waitcnt_vscnt null, 0x0
	s_barrier
	buffer_gl0_inv
	s_mov_b32 s4, exec_lo
	s_clause 0x3
	buffer_load_dword v1, v4, s[0:3], 0 offen
	buffer_load_dword v2, v4, s[0:3], 0 offen offset:4
	buffer_load_dword v3, v4, s[0:3], 0 offen offset:8
	;; [unrolled: 1-line block ×3, first 2 shown]
	s_waitcnt vmcnt(0)
	ds_write_b128 v7, v[1:4]
	s_waitcnt lgkmcnt(0)
	s_barrier
	buffer_gl0_inv
	v_cmpx_gt_u32_e32 32, v0
	s_cbranch_execz .LBB44_143
; %bb.140:
	v_mov_b32_e32 v1, 0
	v_mov_b32_e32 v3, 0
	v_add_nc_u32_e32 v9, -1, v0
	v_add_nc_u32_e32 v10, 0x2d0, v181
	v_mov_b32_e32 v2, 0
	v_mov_b32_e32 v4, 0
	v_add_nc_u32_e32 v11, 16, v181
	s_mov_b32 s5, 0
	.p2align	6
.LBB44_141:                             ; =>This Inner Loop Header: Depth=1
	s_clause 0x3
	buffer_load_dword v16, v11, s[0:3], 0 offen offset:8
	buffer_load_dword v17, v11, s[0:3], 0 offen offset:12
	buffer_load_dword v18, v11, s[0:3], 0 offen
	buffer_load_dword v19, v11, s[0:3], 0 offen offset:4
	ds_read_b128 v[12:15], v10
	v_add_nc_u32_e32 v9, 1, v9
	v_add_nc_u32_e32 v10, 16, v10
	v_add_nc_u32_e32 v11, 16, v11
	v_cmp_lt_u32_e32 vcc_lo, 30, v9
	s_or_b32 s5, vcc_lo, s5
	s_waitcnt vmcnt(2) lgkmcnt(0)
	v_mul_f64 v[20:21], v[14:15], v[16:17]
	v_mul_f64 v[16:17], v[12:13], v[16:17]
	s_waitcnt vmcnt(0)
	v_fma_f64 v[12:13], v[12:13], v[18:19], -v[20:21]
	v_fma_f64 v[14:15], v[14:15], v[18:19], v[16:17]
	v_add_f64 v[3:4], v[3:4], v[12:13]
	v_add_f64 v[1:2], v[1:2], v[14:15]
	s_andn2_b32 exec_lo, exec_lo, s5
	s_cbranch_execnz .LBB44_141
; %bb.142:
	s_or_b32 exec_lo, exec_lo, s5
	v_mov_b32_e32 v9, 0
	ds_read_b128 v[9:12], v9 offset:512
	s_waitcnt lgkmcnt(0)
	v_mul_f64 v[13:14], v[1:2], v[11:12]
	v_mul_f64 v[11:12], v[3:4], v[11:12]
	v_fma_f64 v[3:4], v[3:4], v[9:10], -v[13:14]
	v_fma_f64 v[1:2], v[1:2], v[9:10], v[11:12]
	buffer_store_dword v4, off, s[0:3], 0 offset:532
	buffer_store_dword v3, off, s[0:3], 0 offset:528
	;; [unrolled: 1-line block ×4, first 2 shown]
.LBB44_143:
	s_or_b32 exec_lo, exec_lo, s4
	v_mov_b32_e32 v4, s23
	s_waitcnt_vscnt null, 0x0
	s_barrier
	buffer_gl0_inv
	s_mov_b32 s4, exec_lo
	s_clause 0x3
	buffer_load_dword v1, v4, s[0:3], 0 offen
	buffer_load_dword v2, v4, s[0:3], 0 offen offset:4
	buffer_load_dword v3, v4, s[0:3], 0 offen offset:8
	;; [unrolled: 1-line block ×3, first 2 shown]
	s_waitcnt vmcnt(0)
	ds_write_b128 v7, v[1:4]
	s_waitcnt lgkmcnt(0)
	s_barrier
	buffer_gl0_inv
	v_cmpx_gt_u32_e32 33, v0
	s_cbranch_execz .LBB44_147
; %bb.144:
	v_mov_b32_e32 v1, 0
	v_mov_b32_e32 v3, 0
	v_add_nc_u32_e32 v9, -1, v0
	v_add_nc_u32_e32 v10, 0x2d0, v181
	v_mov_b32_e32 v2, 0
	v_mov_b32_e32 v4, 0
	v_add_nc_u32_e32 v11, 16, v181
	s_mov_b32 s5, 0
	.p2align	6
.LBB44_145:                             ; =>This Inner Loop Header: Depth=1
	s_clause 0x3
	buffer_load_dword v16, v11, s[0:3], 0 offen offset:8
	buffer_load_dword v17, v11, s[0:3], 0 offen offset:12
	buffer_load_dword v18, v11, s[0:3], 0 offen
	buffer_load_dword v19, v11, s[0:3], 0 offen offset:4
	ds_read_b128 v[12:15], v10
	v_add_nc_u32_e32 v9, 1, v9
	v_add_nc_u32_e32 v10, 16, v10
	;; [unrolled: 1-line block ×3, first 2 shown]
	v_cmp_lt_u32_e32 vcc_lo, 31, v9
	s_or_b32 s5, vcc_lo, s5
	s_waitcnt vmcnt(2) lgkmcnt(0)
	v_mul_f64 v[20:21], v[14:15], v[16:17]
	v_mul_f64 v[16:17], v[12:13], v[16:17]
	s_waitcnt vmcnt(0)
	v_fma_f64 v[12:13], v[12:13], v[18:19], -v[20:21]
	v_fma_f64 v[14:15], v[14:15], v[18:19], v[16:17]
	v_add_f64 v[3:4], v[3:4], v[12:13]
	v_add_f64 v[1:2], v[1:2], v[14:15]
	s_andn2_b32 exec_lo, exec_lo, s5
	s_cbranch_execnz .LBB44_145
; %bb.146:
	s_or_b32 exec_lo, exec_lo, s5
	v_mov_b32_e32 v9, 0
	ds_read_b128 v[9:12], v9 offset:528
	s_waitcnt lgkmcnt(0)
	v_mul_f64 v[13:14], v[1:2], v[11:12]
	v_mul_f64 v[11:12], v[3:4], v[11:12]
	v_fma_f64 v[3:4], v[3:4], v[9:10], -v[13:14]
	v_fma_f64 v[1:2], v[1:2], v[9:10], v[11:12]
	buffer_store_dword v4, off, s[0:3], 0 offset:548
	buffer_store_dword v3, off, s[0:3], 0 offset:544
	;; [unrolled: 1-line block ×4, first 2 shown]
.LBB44_147:
	s_or_b32 exec_lo, exec_lo, s4
	v_mov_b32_e32 v4, s22
	s_waitcnt_vscnt null, 0x0
	s_barrier
	buffer_gl0_inv
	s_mov_b32 s4, exec_lo
	s_clause 0x3
	buffer_load_dword v1, v4, s[0:3], 0 offen
	buffer_load_dword v2, v4, s[0:3], 0 offen offset:4
	buffer_load_dword v3, v4, s[0:3], 0 offen offset:8
	;; [unrolled: 1-line block ×3, first 2 shown]
	s_waitcnt vmcnt(0)
	ds_write_b128 v7, v[1:4]
	s_waitcnt lgkmcnt(0)
	s_barrier
	buffer_gl0_inv
	v_cmpx_gt_u32_e32 34, v0
	s_cbranch_execz .LBB44_151
; %bb.148:
	v_mov_b32_e32 v1, 0
	v_mov_b32_e32 v3, 0
	v_add_nc_u32_e32 v9, -1, v0
	v_add_nc_u32_e32 v10, 0x2d0, v181
	v_mov_b32_e32 v2, 0
	v_mov_b32_e32 v4, 0
	v_add_nc_u32_e32 v11, 16, v181
	s_mov_b32 s5, 0
	.p2align	6
.LBB44_149:                             ; =>This Inner Loop Header: Depth=1
	s_clause 0x3
	buffer_load_dword v16, v11, s[0:3], 0 offen offset:8
	buffer_load_dword v17, v11, s[0:3], 0 offen offset:12
	buffer_load_dword v18, v11, s[0:3], 0 offen
	buffer_load_dword v19, v11, s[0:3], 0 offen offset:4
	ds_read_b128 v[12:15], v10
	v_add_nc_u32_e32 v9, 1, v9
	v_add_nc_u32_e32 v10, 16, v10
	;; [unrolled: 1-line block ×3, first 2 shown]
	v_cmp_lt_u32_e32 vcc_lo, 32, v9
	s_or_b32 s5, vcc_lo, s5
	s_waitcnt vmcnt(2) lgkmcnt(0)
	v_mul_f64 v[20:21], v[14:15], v[16:17]
	v_mul_f64 v[16:17], v[12:13], v[16:17]
	s_waitcnt vmcnt(0)
	v_fma_f64 v[12:13], v[12:13], v[18:19], -v[20:21]
	v_fma_f64 v[14:15], v[14:15], v[18:19], v[16:17]
	v_add_f64 v[3:4], v[3:4], v[12:13]
	v_add_f64 v[1:2], v[1:2], v[14:15]
	s_andn2_b32 exec_lo, exec_lo, s5
	s_cbranch_execnz .LBB44_149
; %bb.150:
	s_or_b32 exec_lo, exec_lo, s5
	v_mov_b32_e32 v9, 0
	ds_read_b128 v[9:12], v9 offset:544
	s_waitcnt lgkmcnt(0)
	v_mul_f64 v[13:14], v[1:2], v[11:12]
	v_mul_f64 v[11:12], v[3:4], v[11:12]
	v_fma_f64 v[3:4], v[3:4], v[9:10], -v[13:14]
	v_fma_f64 v[1:2], v[1:2], v[9:10], v[11:12]
	buffer_store_dword v4, off, s[0:3], 0 offset:564
	buffer_store_dword v3, off, s[0:3], 0 offset:560
	;; [unrolled: 1-line block ×4, first 2 shown]
.LBB44_151:
	s_or_b32 exec_lo, exec_lo, s4
	v_mov_b32_e32 v4, s19
	s_waitcnt_vscnt null, 0x0
	s_barrier
	buffer_gl0_inv
	s_mov_b32 s4, exec_lo
	s_clause 0x3
	buffer_load_dword v1, v4, s[0:3], 0 offen
	buffer_load_dword v2, v4, s[0:3], 0 offen offset:4
	buffer_load_dword v3, v4, s[0:3], 0 offen offset:8
	;; [unrolled: 1-line block ×3, first 2 shown]
	s_waitcnt vmcnt(0)
	ds_write_b128 v7, v[1:4]
	s_waitcnt lgkmcnt(0)
	s_barrier
	buffer_gl0_inv
	v_cmpx_gt_u32_e32 35, v0
	s_cbranch_execz .LBB44_155
; %bb.152:
	v_mov_b32_e32 v1, 0
	v_mov_b32_e32 v3, 0
	v_add_nc_u32_e32 v9, -1, v0
	v_add_nc_u32_e32 v10, 0x2d0, v181
	v_mov_b32_e32 v2, 0
	v_mov_b32_e32 v4, 0
	v_add_nc_u32_e32 v11, 16, v181
	s_mov_b32 s5, 0
	.p2align	6
.LBB44_153:                             ; =>This Inner Loop Header: Depth=1
	s_clause 0x3
	buffer_load_dword v16, v11, s[0:3], 0 offen offset:8
	buffer_load_dword v17, v11, s[0:3], 0 offen offset:12
	buffer_load_dword v18, v11, s[0:3], 0 offen
	buffer_load_dword v19, v11, s[0:3], 0 offen offset:4
	ds_read_b128 v[12:15], v10
	v_add_nc_u32_e32 v9, 1, v9
	v_add_nc_u32_e32 v10, 16, v10
	v_add_nc_u32_e32 v11, 16, v11
	v_cmp_lt_u32_e32 vcc_lo, 33, v9
	s_or_b32 s5, vcc_lo, s5
	s_waitcnt vmcnt(2) lgkmcnt(0)
	v_mul_f64 v[20:21], v[14:15], v[16:17]
	v_mul_f64 v[16:17], v[12:13], v[16:17]
	s_waitcnt vmcnt(0)
	v_fma_f64 v[12:13], v[12:13], v[18:19], -v[20:21]
	v_fma_f64 v[14:15], v[14:15], v[18:19], v[16:17]
	v_add_f64 v[3:4], v[3:4], v[12:13]
	v_add_f64 v[1:2], v[1:2], v[14:15]
	s_andn2_b32 exec_lo, exec_lo, s5
	s_cbranch_execnz .LBB44_153
; %bb.154:
	s_or_b32 exec_lo, exec_lo, s5
	v_mov_b32_e32 v9, 0
	ds_read_b128 v[9:12], v9 offset:560
	s_waitcnt lgkmcnt(0)
	v_mul_f64 v[13:14], v[1:2], v[11:12]
	v_mul_f64 v[11:12], v[3:4], v[11:12]
	v_fma_f64 v[3:4], v[3:4], v[9:10], -v[13:14]
	v_fma_f64 v[1:2], v[1:2], v[9:10], v[11:12]
	buffer_store_dword v4, off, s[0:3], 0 offset:580
	buffer_store_dword v3, off, s[0:3], 0 offset:576
	;; [unrolled: 1-line block ×4, first 2 shown]
.LBB44_155:
	s_or_b32 exec_lo, exec_lo, s4
	v_mov_b32_e32 v4, s18
	s_waitcnt_vscnt null, 0x0
	s_barrier
	buffer_gl0_inv
	s_mov_b32 s4, exec_lo
	s_clause 0x3
	buffer_load_dword v1, v4, s[0:3], 0 offen
	buffer_load_dword v2, v4, s[0:3], 0 offen offset:4
	buffer_load_dword v3, v4, s[0:3], 0 offen offset:8
	;; [unrolled: 1-line block ×3, first 2 shown]
	s_waitcnt vmcnt(0)
	ds_write_b128 v7, v[1:4]
	s_waitcnt lgkmcnt(0)
	s_barrier
	buffer_gl0_inv
	v_cmpx_gt_u32_e32 36, v0
	s_cbranch_execz .LBB44_159
; %bb.156:
	v_mov_b32_e32 v1, 0
	v_mov_b32_e32 v3, 0
	v_add_nc_u32_e32 v9, -1, v0
	v_add_nc_u32_e32 v10, 0x2d0, v181
	v_mov_b32_e32 v2, 0
	v_mov_b32_e32 v4, 0
	v_add_nc_u32_e32 v11, 16, v181
	s_mov_b32 s5, 0
	.p2align	6
.LBB44_157:                             ; =>This Inner Loop Header: Depth=1
	s_clause 0x3
	buffer_load_dword v16, v11, s[0:3], 0 offen offset:8
	buffer_load_dword v17, v11, s[0:3], 0 offen offset:12
	buffer_load_dword v18, v11, s[0:3], 0 offen
	buffer_load_dword v19, v11, s[0:3], 0 offen offset:4
	ds_read_b128 v[12:15], v10
	v_add_nc_u32_e32 v9, 1, v9
	v_add_nc_u32_e32 v10, 16, v10
	;; [unrolled: 1-line block ×3, first 2 shown]
	v_cmp_lt_u32_e32 vcc_lo, 34, v9
	s_or_b32 s5, vcc_lo, s5
	s_waitcnt vmcnt(2) lgkmcnt(0)
	v_mul_f64 v[20:21], v[14:15], v[16:17]
	v_mul_f64 v[16:17], v[12:13], v[16:17]
	s_waitcnt vmcnt(0)
	v_fma_f64 v[12:13], v[12:13], v[18:19], -v[20:21]
	v_fma_f64 v[14:15], v[14:15], v[18:19], v[16:17]
	v_add_f64 v[3:4], v[3:4], v[12:13]
	v_add_f64 v[1:2], v[1:2], v[14:15]
	s_andn2_b32 exec_lo, exec_lo, s5
	s_cbranch_execnz .LBB44_157
; %bb.158:
	s_or_b32 exec_lo, exec_lo, s5
	v_mov_b32_e32 v9, 0
	ds_read_b128 v[9:12], v9 offset:576
	s_waitcnt lgkmcnt(0)
	v_mul_f64 v[13:14], v[1:2], v[11:12]
	v_mul_f64 v[11:12], v[3:4], v[11:12]
	v_fma_f64 v[3:4], v[3:4], v[9:10], -v[13:14]
	v_fma_f64 v[1:2], v[1:2], v[9:10], v[11:12]
	buffer_store_dword v4, off, s[0:3], 0 offset:596
	buffer_store_dword v3, off, s[0:3], 0 offset:592
	;; [unrolled: 1-line block ×4, first 2 shown]
.LBB44_159:
	s_or_b32 exec_lo, exec_lo, s4
	v_mov_b32_e32 v4, s17
	s_waitcnt_vscnt null, 0x0
	s_barrier
	buffer_gl0_inv
	s_mov_b32 s4, exec_lo
	s_clause 0x3
	buffer_load_dword v1, v4, s[0:3], 0 offen
	buffer_load_dword v2, v4, s[0:3], 0 offen offset:4
	buffer_load_dword v3, v4, s[0:3], 0 offen offset:8
	;; [unrolled: 1-line block ×3, first 2 shown]
	s_waitcnt vmcnt(0)
	ds_write_b128 v7, v[1:4]
	s_waitcnt lgkmcnt(0)
	s_barrier
	buffer_gl0_inv
	v_cmpx_gt_u32_e32 37, v0
	s_cbranch_execz .LBB44_163
; %bb.160:
	v_mov_b32_e32 v1, 0
	v_mov_b32_e32 v3, 0
	v_add_nc_u32_e32 v9, -1, v0
	v_add_nc_u32_e32 v10, 0x2d0, v181
	v_mov_b32_e32 v2, 0
	v_mov_b32_e32 v4, 0
	v_add_nc_u32_e32 v11, 16, v181
	s_mov_b32 s5, 0
	.p2align	6
.LBB44_161:                             ; =>This Inner Loop Header: Depth=1
	s_clause 0x3
	buffer_load_dword v16, v11, s[0:3], 0 offen offset:8
	buffer_load_dword v17, v11, s[0:3], 0 offen offset:12
	buffer_load_dword v18, v11, s[0:3], 0 offen
	buffer_load_dword v19, v11, s[0:3], 0 offen offset:4
	ds_read_b128 v[12:15], v10
	v_add_nc_u32_e32 v9, 1, v9
	v_add_nc_u32_e32 v10, 16, v10
	;; [unrolled: 1-line block ×3, first 2 shown]
	v_cmp_lt_u32_e32 vcc_lo, 35, v9
	s_or_b32 s5, vcc_lo, s5
	s_waitcnt vmcnt(2) lgkmcnt(0)
	v_mul_f64 v[20:21], v[14:15], v[16:17]
	v_mul_f64 v[16:17], v[12:13], v[16:17]
	s_waitcnt vmcnt(0)
	v_fma_f64 v[12:13], v[12:13], v[18:19], -v[20:21]
	v_fma_f64 v[14:15], v[14:15], v[18:19], v[16:17]
	v_add_f64 v[3:4], v[3:4], v[12:13]
	v_add_f64 v[1:2], v[1:2], v[14:15]
	s_andn2_b32 exec_lo, exec_lo, s5
	s_cbranch_execnz .LBB44_161
; %bb.162:
	s_or_b32 exec_lo, exec_lo, s5
	v_mov_b32_e32 v9, 0
	ds_read_b128 v[9:12], v9 offset:592
	s_waitcnt lgkmcnt(0)
	v_mul_f64 v[13:14], v[1:2], v[11:12]
	v_mul_f64 v[11:12], v[3:4], v[11:12]
	v_fma_f64 v[3:4], v[3:4], v[9:10], -v[13:14]
	v_fma_f64 v[1:2], v[1:2], v[9:10], v[11:12]
	buffer_store_dword v4, off, s[0:3], 0 offset:612
	buffer_store_dword v3, off, s[0:3], 0 offset:608
	;; [unrolled: 1-line block ×4, first 2 shown]
.LBB44_163:
	s_or_b32 exec_lo, exec_lo, s4
	v_mov_b32_e32 v4, s16
	s_waitcnt_vscnt null, 0x0
	s_barrier
	buffer_gl0_inv
	s_mov_b32 s4, exec_lo
	s_clause 0x3
	buffer_load_dword v1, v4, s[0:3], 0 offen
	buffer_load_dword v2, v4, s[0:3], 0 offen offset:4
	buffer_load_dword v3, v4, s[0:3], 0 offen offset:8
	;; [unrolled: 1-line block ×3, first 2 shown]
	s_waitcnt vmcnt(0)
	ds_write_b128 v7, v[1:4]
	s_waitcnt lgkmcnt(0)
	s_barrier
	buffer_gl0_inv
	v_cmpx_gt_u32_e32 38, v0
	s_cbranch_execz .LBB44_167
; %bb.164:
	v_mov_b32_e32 v1, 0
	v_mov_b32_e32 v3, 0
	v_add_nc_u32_e32 v9, -1, v0
	v_add_nc_u32_e32 v10, 0x2d0, v181
	v_mov_b32_e32 v2, 0
	v_mov_b32_e32 v4, 0
	v_add_nc_u32_e32 v11, 16, v181
	s_mov_b32 s5, 0
	.p2align	6
.LBB44_165:                             ; =>This Inner Loop Header: Depth=1
	s_clause 0x3
	buffer_load_dword v16, v11, s[0:3], 0 offen offset:8
	buffer_load_dword v17, v11, s[0:3], 0 offen offset:12
	buffer_load_dword v18, v11, s[0:3], 0 offen
	buffer_load_dword v19, v11, s[0:3], 0 offen offset:4
	ds_read_b128 v[12:15], v10
	v_add_nc_u32_e32 v9, 1, v9
	v_add_nc_u32_e32 v10, 16, v10
	;; [unrolled: 1-line block ×3, first 2 shown]
	v_cmp_lt_u32_e32 vcc_lo, 36, v9
	s_or_b32 s5, vcc_lo, s5
	s_waitcnt vmcnt(2) lgkmcnt(0)
	v_mul_f64 v[20:21], v[14:15], v[16:17]
	v_mul_f64 v[16:17], v[12:13], v[16:17]
	s_waitcnt vmcnt(0)
	v_fma_f64 v[12:13], v[12:13], v[18:19], -v[20:21]
	v_fma_f64 v[14:15], v[14:15], v[18:19], v[16:17]
	v_add_f64 v[3:4], v[3:4], v[12:13]
	v_add_f64 v[1:2], v[1:2], v[14:15]
	s_andn2_b32 exec_lo, exec_lo, s5
	s_cbranch_execnz .LBB44_165
; %bb.166:
	s_or_b32 exec_lo, exec_lo, s5
	v_mov_b32_e32 v9, 0
	ds_read_b128 v[9:12], v9 offset:608
	s_waitcnt lgkmcnt(0)
	v_mul_f64 v[13:14], v[1:2], v[11:12]
	v_mul_f64 v[11:12], v[3:4], v[11:12]
	v_fma_f64 v[3:4], v[3:4], v[9:10], -v[13:14]
	v_fma_f64 v[1:2], v[1:2], v[9:10], v[11:12]
	buffer_store_dword v4, off, s[0:3], 0 offset:628
	buffer_store_dword v3, off, s[0:3], 0 offset:624
	;; [unrolled: 1-line block ×4, first 2 shown]
.LBB44_167:
	s_or_b32 exec_lo, exec_lo, s4
	v_mov_b32_e32 v4, s15
	s_waitcnt_vscnt null, 0x0
	s_barrier
	buffer_gl0_inv
	s_mov_b32 s4, exec_lo
	s_clause 0x3
	buffer_load_dword v1, v4, s[0:3], 0 offen
	buffer_load_dword v2, v4, s[0:3], 0 offen offset:4
	buffer_load_dword v3, v4, s[0:3], 0 offen offset:8
	;; [unrolled: 1-line block ×3, first 2 shown]
	s_waitcnt vmcnt(0)
	ds_write_b128 v7, v[1:4]
	s_waitcnt lgkmcnt(0)
	s_barrier
	buffer_gl0_inv
	v_cmpx_gt_u32_e32 39, v0
	s_cbranch_execz .LBB44_171
; %bb.168:
	v_mov_b32_e32 v1, 0
	v_mov_b32_e32 v3, 0
	v_add_nc_u32_e32 v9, -1, v0
	v_add_nc_u32_e32 v10, 0x2d0, v181
	v_mov_b32_e32 v2, 0
	v_mov_b32_e32 v4, 0
	v_add_nc_u32_e32 v11, 16, v181
	s_mov_b32 s5, 0
	.p2align	6
.LBB44_169:                             ; =>This Inner Loop Header: Depth=1
	s_clause 0x3
	buffer_load_dword v16, v11, s[0:3], 0 offen offset:8
	buffer_load_dword v17, v11, s[0:3], 0 offen offset:12
	buffer_load_dword v18, v11, s[0:3], 0 offen
	buffer_load_dword v19, v11, s[0:3], 0 offen offset:4
	ds_read_b128 v[12:15], v10
	v_add_nc_u32_e32 v9, 1, v9
	v_add_nc_u32_e32 v10, 16, v10
	;; [unrolled: 1-line block ×3, first 2 shown]
	v_cmp_lt_u32_e32 vcc_lo, 37, v9
	s_or_b32 s5, vcc_lo, s5
	s_waitcnt vmcnt(2) lgkmcnt(0)
	v_mul_f64 v[20:21], v[14:15], v[16:17]
	v_mul_f64 v[16:17], v[12:13], v[16:17]
	s_waitcnt vmcnt(0)
	v_fma_f64 v[12:13], v[12:13], v[18:19], -v[20:21]
	v_fma_f64 v[14:15], v[14:15], v[18:19], v[16:17]
	v_add_f64 v[3:4], v[3:4], v[12:13]
	v_add_f64 v[1:2], v[1:2], v[14:15]
	s_andn2_b32 exec_lo, exec_lo, s5
	s_cbranch_execnz .LBB44_169
; %bb.170:
	s_or_b32 exec_lo, exec_lo, s5
	v_mov_b32_e32 v9, 0
	ds_read_b128 v[9:12], v9 offset:624
	s_waitcnt lgkmcnt(0)
	v_mul_f64 v[13:14], v[1:2], v[11:12]
	v_mul_f64 v[11:12], v[3:4], v[11:12]
	v_fma_f64 v[3:4], v[3:4], v[9:10], -v[13:14]
	v_fma_f64 v[1:2], v[1:2], v[9:10], v[11:12]
	buffer_store_dword v4, off, s[0:3], 0 offset:644
	buffer_store_dword v3, off, s[0:3], 0 offset:640
	;; [unrolled: 1-line block ×4, first 2 shown]
.LBB44_171:
	s_or_b32 exec_lo, exec_lo, s4
	v_mov_b32_e32 v4, s14
	s_waitcnt_vscnt null, 0x0
	s_barrier
	buffer_gl0_inv
	s_mov_b32 s4, exec_lo
	s_clause 0x3
	buffer_load_dword v1, v4, s[0:3], 0 offen
	buffer_load_dword v2, v4, s[0:3], 0 offen offset:4
	buffer_load_dword v3, v4, s[0:3], 0 offen offset:8
	buffer_load_dword v4, v4, s[0:3], 0 offen offset:12
	s_waitcnt vmcnt(0)
	ds_write_b128 v7, v[1:4]
	s_waitcnt lgkmcnt(0)
	s_barrier
	buffer_gl0_inv
	v_cmpx_gt_u32_e32 40, v0
	s_cbranch_execz .LBB44_175
; %bb.172:
	v_mov_b32_e32 v1, 0
	v_mov_b32_e32 v3, 0
	v_add_nc_u32_e32 v9, -1, v0
	v_add_nc_u32_e32 v10, 0x2d0, v181
	v_mov_b32_e32 v2, 0
	v_mov_b32_e32 v4, 0
	v_add_nc_u32_e32 v11, 16, v181
	s_mov_b32 s5, 0
	.p2align	6
.LBB44_173:                             ; =>This Inner Loop Header: Depth=1
	s_clause 0x3
	buffer_load_dword v16, v11, s[0:3], 0 offen offset:8
	buffer_load_dword v17, v11, s[0:3], 0 offen offset:12
	buffer_load_dword v18, v11, s[0:3], 0 offen
	buffer_load_dword v19, v11, s[0:3], 0 offen offset:4
	ds_read_b128 v[12:15], v10
	v_add_nc_u32_e32 v9, 1, v9
	v_add_nc_u32_e32 v10, 16, v10
	;; [unrolled: 1-line block ×3, first 2 shown]
	v_cmp_lt_u32_e32 vcc_lo, 38, v9
	s_or_b32 s5, vcc_lo, s5
	s_waitcnt vmcnt(2) lgkmcnt(0)
	v_mul_f64 v[20:21], v[14:15], v[16:17]
	v_mul_f64 v[16:17], v[12:13], v[16:17]
	s_waitcnt vmcnt(0)
	v_fma_f64 v[12:13], v[12:13], v[18:19], -v[20:21]
	v_fma_f64 v[14:15], v[14:15], v[18:19], v[16:17]
	v_add_f64 v[3:4], v[3:4], v[12:13]
	v_add_f64 v[1:2], v[1:2], v[14:15]
	s_andn2_b32 exec_lo, exec_lo, s5
	s_cbranch_execnz .LBB44_173
; %bb.174:
	s_or_b32 exec_lo, exec_lo, s5
	v_mov_b32_e32 v9, 0
	ds_read_b128 v[9:12], v9 offset:640
	s_waitcnt lgkmcnt(0)
	v_mul_f64 v[13:14], v[1:2], v[11:12]
	v_mul_f64 v[11:12], v[3:4], v[11:12]
	v_fma_f64 v[3:4], v[3:4], v[9:10], -v[13:14]
	v_fma_f64 v[1:2], v[1:2], v[9:10], v[11:12]
	buffer_store_dword v4, off, s[0:3], 0 offset:660
	buffer_store_dword v3, off, s[0:3], 0 offset:656
	;; [unrolled: 1-line block ×4, first 2 shown]
.LBB44_175:
	s_or_b32 exec_lo, exec_lo, s4
	v_mov_b32_e32 v4, s13
	s_waitcnt_vscnt null, 0x0
	s_barrier
	buffer_gl0_inv
	s_mov_b32 s4, exec_lo
	s_clause 0x3
	buffer_load_dword v1, v4, s[0:3], 0 offen
	buffer_load_dword v2, v4, s[0:3], 0 offen offset:4
	buffer_load_dword v3, v4, s[0:3], 0 offen offset:8
	;; [unrolled: 1-line block ×3, first 2 shown]
	s_waitcnt vmcnt(0)
	ds_write_b128 v7, v[1:4]
	s_waitcnt lgkmcnt(0)
	s_barrier
	buffer_gl0_inv
	v_cmpx_gt_u32_e32 41, v0
	s_cbranch_execz .LBB44_179
; %bb.176:
	v_mov_b32_e32 v1, 0
	v_mov_b32_e32 v3, 0
	v_add_nc_u32_e32 v9, -1, v0
	v_add_nc_u32_e32 v10, 0x2d0, v181
	v_mov_b32_e32 v2, 0
	v_mov_b32_e32 v4, 0
	v_add_nc_u32_e32 v11, 16, v181
	s_mov_b32 s5, 0
	.p2align	6
.LBB44_177:                             ; =>This Inner Loop Header: Depth=1
	s_clause 0x3
	buffer_load_dword v16, v11, s[0:3], 0 offen offset:8
	buffer_load_dword v17, v11, s[0:3], 0 offen offset:12
	buffer_load_dword v18, v11, s[0:3], 0 offen
	buffer_load_dword v19, v11, s[0:3], 0 offen offset:4
	ds_read_b128 v[12:15], v10
	v_add_nc_u32_e32 v9, 1, v9
	v_add_nc_u32_e32 v10, 16, v10
	;; [unrolled: 1-line block ×3, first 2 shown]
	v_cmp_lt_u32_e32 vcc_lo, 39, v9
	s_or_b32 s5, vcc_lo, s5
	s_waitcnt vmcnt(2) lgkmcnt(0)
	v_mul_f64 v[20:21], v[14:15], v[16:17]
	v_mul_f64 v[16:17], v[12:13], v[16:17]
	s_waitcnt vmcnt(0)
	v_fma_f64 v[12:13], v[12:13], v[18:19], -v[20:21]
	v_fma_f64 v[14:15], v[14:15], v[18:19], v[16:17]
	v_add_f64 v[3:4], v[3:4], v[12:13]
	v_add_f64 v[1:2], v[1:2], v[14:15]
	s_andn2_b32 exec_lo, exec_lo, s5
	s_cbranch_execnz .LBB44_177
; %bb.178:
	s_or_b32 exec_lo, exec_lo, s5
	v_mov_b32_e32 v9, 0
	ds_read_b128 v[9:12], v9 offset:656
	s_waitcnt lgkmcnt(0)
	v_mul_f64 v[13:14], v[1:2], v[11:12]
	v_mul_f64 v[11:12], v[3:4], v[11:12]
	v_fma_f64 v[3:4], v[3:4], v[9:10], -v[13:14]
	v_fma_f64 v[1:2], v[1:2], v[9:10], v[11:12]
	buffer_store_dword v4, off, s[0:3], 0 offset:676
	buffer_store_dword v3, off, s[0:3], 0 offset:672
	buffer_store_dword v2, off, s[0:3], 0 offset:684
	buffer_store_dword v1, off, s[0:3], 0 offset:680
.LBB44_179:
	s_or_b32 exec_lo, exec_lo, s4
	v_mov_b32_e32 v4, s12
	s_waitcnt_vscnt null, 0x0
	s_barrier
	buffer_gl0_inv
	s_mov_b32 s4, exec_lo
	s_clause 0x3
	buffer_load_dword v1, v4, s[0:3], 0 offen
	buffer_load_dword v2, v4, s[0:3], 0 offen offset:4
	buffer_load_dword v3, v4, s[0:3], 0 offen offset:8
	;; [unrolled: 1-line block ×3, first 2 shown]
	s_waitcnt vmcnt(0)
	ds_write_b128 v7, v[1:4]
	s_waitcnt lgkmcnt(0)
	s_barrier
	buffer_gl0_inv
	v_cmpx_gt_u32_e32 42, v0
	s_cbranch_execz .LBB44_183
; %bb.180:
	v_mov_b32_e32 v1, 0
	v_mov_b32_e32 v3, 0
	v_add_nc_u32_e32 v9, -1, v0
	v_add_nc_u32_e32 v10, 0x2d0, v181
	v_mov_b32_e32 v2, 0
	v_mov_b32_e32 v4, 0
	v_add_nc_u32_e32 v11, 16, v181
	s_mov_b32 s5, 0
	.p2align	6
.LBB44_181:                             ; =>This Inner Loop Header: Depth=1
	s_clause 0x3
	buffer_load_dword v16, v11, s[0:3], 0 offen offset:8
	buffer_load_dword v17, v11, s[0:3], 0 offen offset:12
	buffer_load_dword v18, v11, s[0:3], 0 offen
	buffer_load_dword v19, v11, s[0:3], 0 offen offset:4
	ds_read_b128 v[12:15], v10
	v_add_nc_u32_e32 v9, 1, v9
	v_add_nc_u32_e32 v10, 16, v10
	;; [unrolled: 1-line block ×3, first 2 shown]
	v_cmp_lt_u32_e32 vcc_lo, 40, v9
	s_or_b32 s5, vcc_lo, s5
	s_waitcnt vmcnt(2) lgkmcnt(0)
	v_mul_f64 v[20:21], v[14:15], v[16:17]
	v_mul_f64 v[16:17], v[12:13], v[16:17]
	s_waitcnt vmcnt(0)
	v_fma_f64 v[12:13], v[12:13], v[18:19], -v[20:21]
	v_fma_f64 v[14:15], v[14:15], v[18:19], v[16:17]
	v_add_f64 v[3:4], v[3:4], v[12:13]
	v_add_f64 v[1:2], v[1:2], v[14:15]
	s_andn2_b32 exec_lo, exec_lo, s5
	s_cbranch_execnz .LBB44_181
; %bb.182:
	s_or_b32 exec_lo, exec_lo, s5
	v_mov_b32_e32 v9, 0
	ds_read_b128 v[9:12], v9 offset:672
	s_waitcnt lgkmcnt(0)
	v_mul_f64 v[13:14], v[1:2], v[11:12]
	v_mul_f64 v[11:12], v[3:4], v[11:12]
	v_fma_f64 v[3:4], v[3:4], v[9:10], -v[13:14]
	v_fma_f64 v[1:2], v[1:2], v[9:10], v[11:12]
	buffer_store_dword v4, off, s[0:3], 0 offset:692
	buffer_store_dword v3, off, s[0:3], 0 offset:688
	;; [unrolled: 1-line block ×4, first 2 shown]
.LBB44_183:
	s_or_b32 exec_lo, exec_lo, s4
	v_mov_b32_e32 v4, s9
	s_waitcnt_vscnt null, 0x0
	s_barrier
	buffer_gl0_inv
	s_mov_b32 s4, exec_lo
	s_clause 0x3
	buffer_load_dword v1, v4, s[0:3], 0 offen
	buffer_load_dword v2, v4, s[0:3], 0 offen offset:4
	buffer_load_dword v3, v4, s[0:3], 0 offen offset:8
	;; [unrolled: 1-line block ×3, first 2 shown]
	s_waitcnt vmcnt(0)
	ds_write_b128 v7, v[1:4]
	s_waitcnt lgkmcnt(0)
	s_barrier
	buffer_gl0_inv
	v_cmpx_gt_u32_e32 43, v0
	s_cbranch_execz .LBB44_187
; %bb.184:
	v_mov_b32_e32 v1, 0
	v_mov_b32_e32 v3, 0
	v_add_nc_u32_e32 v9, -1, v0
	v_add_nc_u32_e32 v10, 0x2d0, v181
	v_mov_b32_e32 v2, 0
	v_mov_b32_e32 v4, 0
	v_add_nc_u32_e32 v11, 16, v181
	s_mov_b32 s5, 0
	.p2align	6
.LBB44_185:                             ; =>This Inner Loop Header: Depth=1
	s_clause 0x3
	buffer_load_dword v16, v11, s[0:3], 0 offen offset:8
	buffer_load_dword v17, v11, s[0:3], 0 offen offset:12
	buffer_load_dword v18, v11, s[0:3], 0 offen
	buffer_load_dword v19, v11, s[0:3], 0 offen offset:4
	ds_read_b128 v[12:15], v10
	v_add_nc_u32_e32 v9, 1, v9
	v_add_nc_u32_e32 v10, 16, v10
	;; [unrolled: 1-line block ×3, first 2 shown]
	v_cmp_lt_u32_e32 vcc_lo, 41, v9
	s_or_b32 s5, vcc_lo, s5
	s_waitcnt vmcnt(2) lgkmcnt(0)
	v_mul_f64 v[20:21], v[14:15], v[16:17]
	v_mul_f64 v[16:17], v[12:13], v[16:17]
	s_waitcnt vmcnt(0)
	v_fma_f64 v[12:13], v[12:13], v[18:19], -v[20:21]
	v_fma_f64 v[14:15], v[14:15], v[18:19], v[16:17]
	v_add_f64 v[3:4], v[3:4], v[12:13]
	v_add_f64 v[1:2], v[1:2], v[14:15]
	s_andn2_b32 exec_lo, exec_lo, s5
	s_cbranch_execnz .LBB44_185
; %bb.186:
	s_or_b32 exec_lo, exec_lo, s5
	v_mov_b32_e32 v9, 0
	ds_read_b128 v[9:12], v9 offset:688
	s_waitcnt lgkmcnt(0)
	v_mul_f64 v[13:14], v[1:2], v[11:12]
	v_mul_f64 v[11:12], v[3:4], v[11:12]
	v_fma_f64 v[3:4], v[3:4], v[9:10], -v[13:14]
	v_fma_f64 v[1:2], v[1:2], v[9:10], v[11:12]
	buffer_store_dword v4, off, s[0:3], 0 offset:708
	buffer_store_dword v3, off, s[0:3], 0 offset:704
	;; [unrolled: 1-line block ×4, first 2 shown]
.LBB44_187:
	s_or_b32 exec_lo, exec_lo, s4
	v_mov_b32_e32 v4, s8
	s_waitcnt_vscnt null, 0x0
	s_barrier
	buffer_gl0_inv
	s_mov_b32 s4, exec_lo
	s_clause 0x3
	buffer_load_dword v1, v4, s[0:3], 0 offen
	buffer_load_dword v2, v4, s[0:3], 0 offen offset:4
	buffer_load_dword v3, v4, s[0:3], 0 offen offset:8
	;; [unrolled: 1-line block ×3, first 2 shown]
	s_waitcnt vmcnt(0)
	ds_write_b128 v7, v[1:4]
	s_waitcnt lgkmcnt(0)
	s_barrier
	buffer_gl0_inv
	v_cmpx_ne_u32_e32 44, v0
	s_cbranch_execz .LBB44_191
; %bb.188:
	v_mov_b32_e32 v1, 0
	v_mov_b32_e32 v3, 0
	;; [unrolled: 1-line block ×4, first 2 shown]
	v_add_nc_u32_e32 v9, 16, v181
	s_mov_b32 s5, 0
	.p2align	6
.LBB44_189:                             ; =>This Inner Loop Header: Depth=1
	s_clause 0x3
	buffer_load_dword v14, v9, s[0:3], 0 offen offset:8
	buffer_load_dword v15, v9, s[0:3], 0 offen offset:12
	buffer_load_dword v16, v9, s[0:3], 0 offen
	buffer_load_dword v17, v9, s[0:3], 0 offen offset:4
	ds_read_b128 v[10:13], v7
	v_add_nc_u32_e32 v8, 1, v8
	v_add_nc_u32_e32 v7, 16, v7
	;; [unrolled: 1-line block ×3, first 2 shown]
	v_cmp_lt_u32_e32 vcc_lo, 42, v8
	s_or_b32 s5, vcc_lo, s5
	s_waitcnt vmcnt(2) lgkmcnt(0)
	v_mul_f64 v[18:19], v[12:13], v[14:15]
	v_mul_f64 v[14:15], v[10:11], v[14:15]
	s_waitcnt vmcnt(0)
	v_fma_f64 v[10:11], v[10:11], v[16:17], -v[18:19]
	v_fma_f64 v[12:13], v[12:13], v[16:17], v[14:15]
	v_add_f64 v[3:4], v[3:4], v[10:11]
	v_add_f64 v[1:2], v[1:2], v[12:13]
	s_andn2_b32 exec_lo, exec_lo, s5
	s_cbranch_execnz .LBB44_189
; %bb.190:
	s_or_b32 exec_lo, exec_lo, s5
	v_mov_b32_e32 v7, 0
	ds_read_b128 v[7:10], v7 offset:704
	s_waitcnt lgkmcnt(0)
	v_mul_f64 v[11:12], v[1:2], v[9:10]
	v_mul_f64 v[9:10], v[3:4], v[9:10]
	v_fma_f64 v[3:4], v[3:4], v[7:8], -v[11:12]
	v_fma_f64 v[1:2], v[1:2], v[7:8], v[9:10]
	buffer_store_dword v4, off, s[0:3], 0 offset:724
	buffer_store_dword v3, off, s[0:3], 0 offset:720
	;; [unrolled: 1-line block ×4, first 2 shown]
.LBB44_191:
	s_or_b32 exec_lo, exec_lo, s4
	s_mov_b32 s5, -1
	s_waitcnt_vscnt null, 0x0
	s_barrier
	buffer_gl0_inv
.LBB44_192:
	s_and_b32 vcc_lo, exec_lo, s5
	s_cbranch_vccz .LBB44_194
; %bb.193:
	s_lshl_b64 s[4:5], s[6:7], 2
	v_mov_b32_e32 v1, 0
	s_add_u32 s4, s10, s4
	s_addc_u32 s5, s11, s5
	global_load_dword v1, v1, s[4:5]
	s_waitcnt vmcnt(0)
	v_cmp_ne_u32_e32 vcc_lo, 0, v1
	s_cbranch_vccz .LBB44_195
.LBB44_194:
	s_endpgm
.LBB44_195:
	v_lshl_add_u32 v63, v0, 4, 0x2d0
	s_mov_b32 s4, exec_lo
	v_cmpx_eq_u32_e32 44, v0
	s_cbranch_execz .LBB44_197
; %bb.196:
	v_mov_b32_e32 v4, s9
	v_mov_b32_e32 v7, 0
	s_clause 0x3
	buffer_load_dword v1, v4, s[0:3], 0 offen
	buffer_load_dword v2, v4, s[0:3], 0 offen offset:4
	buffer_load_dword v3, v4, s[0:3], 0 offen offset:8
	;; [unrolled: 1-line block ×3, first 2 shown]
	buffer_store_dword v7, off, s[0:3], 0 offset:704
	buffer_store_dword v7, off, s[0:3], 0 offset:708
	;; [unrolled: 1-line block ×4, first 2 shown]
	s_waitcnt vmcnt(0)
	ds_write_b128 v63, v[1:4]
.LBB44_197:
	s_or_b32 exec_lo, exec_lo, s4
	s_waitcnt lgkmcnt(0)
	s_waitcnt_vscnt null, 0x0
	s_barrier
	buffer_gl0_inv
	s_clause 0x7
	buffer_load_dword v2, off, s[0:3], 0 offset:728
	buffer_load_dword v3, off, s[0:3], 0 offset:732
	;; [unrolled: 1-line block ×8, first 2 shown]
	v_mov_b32_e32 v1, 0
	s_mov_b32 s4, exec_lo
	ds_read_b128 v[7:10], v1 offset:1424
	s_waitcnt vmcnt(6) lgkmcnt(0)
	v_mul_f64 v[17:18], v[9:10], v[2:3]
	v_mul_f64 v[2:3], v[7:8], v[2:3]
	s_waitcnt vmcnt(4)
	v_fma_f64 v[7:8], v[7:8], v[11:12], -v[17:18]
	v_fma_f64 v[2:3], v[9:10], v[11:12], v[2:3]
	v_add_f64 v[7:8], v[7:8], 0
	v_add_f64 v[2:3], v[2:3], 0
	s_waitcnt vmcnt(2)
	v_add_f64 v[7:8], v[13:14], -v[7:8]
	s_waitcnt vmcnt(0)
	v_add_f64 v[2:3], v[15:16], -v[2:3]
	buffer_store_dword v7, off, s[0:3], 0 offset:704
	buffer_store_dword v8, off, s[0:3], 0 offset:708
	;; [unrolled: 1-line block ×4, first 2 shown]
	v_cmpx_lt_u32_e32 42, v0
	s_cbranch_execz .LBB44_199
; %bb.198:
	v_mov_b32_e32 v2, s12
	s_clause 0x3
	buffer_load_dword v7, v2, s[0:3], 0 offen
	buffer_load_dword v8, v2, s[0:3], 0 offen offset:4
	buffer_load_dword v9, v2, s[0:3], 0 offen offset:8
	;; [unrolled: 1-line block ×3, first 2 shown]
	buffer_store_dword v1, off, s[0:3], 0 offset:688
	buffer_store_dword v1, off, s[0:3], 0 offset:692
	;; [unrolled: 1-line block ×4, first 2 shown]
	s_waitcnt vmcnt(0)
	ds_write_b128 v63, v[7:10]
.LBB44_199:
	s_or_b32 exec_lo, exec_lo, s4
	s_waitcnt lgkmcnt(0)
	s_waitcnt_vscnt null, 0x0
	s_barrier
	buffer_gl0_inv
	s_clause 0xb
	buffer_load_dword v11, off, s[0:3], 0 offset:712
	buffer_load_dword v12, off, s[0:3], 0 offset:716
	;; [unrolled: 1-line block ×12, first 2 shown]
	ds_read_b128 v[7:10], v1 offset:1408
	ds_read_b128 v[1:4], v1 offset:1424
	s_mov_b32 s4, exec_lo
	s_waitcnt vmcnt(10) lgkmcnt(1)
	v_mul_f64 v[23:24], v[9:10], v[11:12]
	v_mul_f64 v[11:12], v[7:8], v[11:12]
	s_waitcnt vmcnt(8) lgkmcnt(0)
	v_mul_f64 v[25:26], v[3:4], v[13:14]
	v_mul_f64 v[13:14], v[1:2], v[13:14]
	s_waitcnt vmcnt(6)
	v_fma_f64 v[7:8], v[7:8], v[15:16], -v[23:24]
	v_fma_f64 v[9:10], v[9:10], v[15:16], v[11:12]
	s_waitcnt vmcnt(4)
	v_fma_f64 v[1:2], v[1:2], v[17:18], -v[25:26]
	v_fma_f64 v[3:4], v[3:4], v[17:18], v[13:14]
	v_add_f64 v[7:8], v[7:8], 0
	v_add_f64 v[9:10], v[9:10], 0
	;; [unrolled: 1-line block ×4, first 2 shown]
	s_waitcnt vmcnt(2)
	v_add_f64 v[1:2], v[19:20], -v[1:2]
	s_waitcnt vmcnt(0)
	v_add_f64 v[3:4], v[21:22], -v[3:4]
	buffer_store_dword v1, off, s[0:3], 0 offset:688
	buffer_store_dword v2, off, s[0:3], 0 offset:692
	;; [unrolled: 1-line block ×4, first 2 shown]
	v_cmpx_lt_u32_e32 41, v0
	s_cbranch_execz .LBB44_201
; %bb.200:
	v_mov_b32_e32 v4, s13
	v_mov_b32_e32 v7, 0
	s_clause 0x3
	buffer_load_dword v1, v4, s[0:3], 0 offen
	buffer_load_dword v2, v4, s[0:3], 0 offen offset:4
	buffer_load_dword v3, v4, s[0:3], 0 offen offset:8
	;; [unrolled: 1-line block ×3, first 2 shown]
	buffer_store_dword v7, off, s[0:3], 0 offset:672
	buffer_store_dword v7, off, s[0:3], 0 offset:676
	;; [unrolled: 1-line block ×4, first 2 shown]
	s_waitcnt vmcnt(0)
	ds_write_b128 v63, v[1:4]
.LBB44_201:
	s_or_b32 exec_lo, exec_lo, s4
	s_waitcnt lgkmcnt(0)
	s_waitcnt_vscnt null, 0x0
	s_barrier
	buffer_gl0_inv
	s_clause 0xf
	buffer_load_dword v2, off, s[0:3], 0 offset:696
	buffer_load_dword v3, off, s[0:3], 0 offset:700
	;; [unrolled: 1-line block ×16, first 2 shown]
	v_mov_b32_e32 v1, 0
	ds_read_b128 v[7:10], v1 offset:1392
	ds_read_b128 v[11:14], v1 offset:1408
	;; [unrolled: 1-line block ×3, first 2 shown]
	s_mov_b32 s4, exec_lo
	s_waitcnt vmcnt(14) lgkmcnt(2)
	v_mul_f64 v[33:34], v[9:10], v[2:3]
	v_mul_f64 v[2:3], v[7:8], v[2:3]
	s_waitcnt vmcnt(12) lgkmcnt(1)
	v_mul_f64 v[35:36], v[13:14], v[19:20]
	v_mul_f64 v[19:20], v[11:12], v[19:20]
	s_waitcnt vmcnt(10)
	v_fma_f64 v[7:8], v[7:8], v[21:22], -v[33:34]
	v_fma_f64 v[2:3], v[9:10], v[21:22], v[2:3]
	s_waitcnt vmcnt(8) lgkmcnt(0)
	v_mul_f64 v[21:22], v[17:18], v[23:24]
	s_waitcnt vmcnt(6)
	v_fma_f64 v[11:12], v[11:12], v[25:26], -v[35:36]
	v_mul_f64 v[9:10], v[15:16], v[23:24]
	v_fma_f64 v[13:14], v[13:14], v[25:26], v[19:20]
	v_add_f64 v[7:8], v[7:8], 0
	v_add_f64 v[2:3], v[2:3], 0
	s_waitcnt vmcnt(4)
	v_fma_f64 v[15:16], v[15:16], v[27:28], -v[21:22]
	v_fma_f64 v[9:10], v[17:18], v[27:28], v[9:10]
	v_add_f64 v[7:8], v[7:8], v[11:12]
	v_add_f64 v[2:3], v[2:3], v[13:14]
	;; [unrolled: 1-line block ×4, first 2 shown]
	s_waitcnt vmcnt(2)
	v_add_f64 v[7:8], v[29:30], -v[7:8]
	s_waitcnt vmcnt(0)
	v_add_f64 v[2:3], v[31:32], -v[2:3]
	buffer_store_dword v7, off, s[0:3], 0 offset:672
	buffer_store_dword v8, off, s[0:3], 0 offset:676
	buffer_store_dword v2, off, s[0:3], 0 offset:680
	buffer_store_dword v3, off, s[0:3], 0 offset:684
	v_cmpx_lt_u32_e32 40, v0
	s_cbranch_execz .LBB44_203
; %bb.202:
	v_mov_b32_e32 v2, s14
	s_clause 0x3
	buffer_load_dword v7, v2, s[0:3], 0 offen
	buffer_load_dword v8, v2, s[0:3], 0 offen offset:4
	buffer_load_dword v9, v2, s[0:3], 0 offen offset:8
	;; [unrolled: 1-line block ×3, first 2 shown]
	buffer_store_dword v1, off, s[0:3], 0 offset:656
	buffer_store_dword v1, off, s[0:3], 0 offset:660
	;; [unrolled: 1-line block ×4, first 2 shown]
	s_waitcnt vmcnt(0)
	ds_write_b128 v63, v[7:10]
.LBB44_203:
	s_or_b32 exec_lo, exec_lo, s4
	s_waitcnt lgkmcnt(0)
	s_waitcnt_vscnt null, 0x0
	s_barrier
	buffer_gl0_inv
	s_clause 0x13
	buffer_load_dword v2, off, s[0:3], 0 offset:680
	buffer_load_dword v3, off, s[0:3], 0 offset:684
	;; [unrolled: 1-line block ×20, first 2 shown]
	ds_read_b128 v[7:10], v1 offset:1376
	ds_read_b128 v[11:14], v1 offset:1392
	;; [unrolled: 1-line block ×3, first 2 shown]
	s_mov_b32 s4, exec_lo
	s_waitcnt vmcnt(18) lgkmcnt(2)
	v_mul_f64 v[37:38], v[9:10], v[2:3]
	v_mul_f64 v[2:3], v[7:8], v[2:3]
	s_waitcnt vmcnt(16) lgkmcnt(1)
	v_mul_f64 v[39:40], v[13:14], v[19:20]
	v_mul_f64 v[19:20], v[11:12], v[19:20]
	s_waitcnt vmcnt(14)
	v_fma_f64 v[7:8], v[7:8], v[21:22], -v[37:38]
	v_fma_f64 v[9:10], v[9:10], v[21:22], v[2:3]
	s_waitcnt vmcnt(12) lgkmcnt(0)
	v_mul_f64 v[21:22], v[15:16], v[23:24]
	v_mul_f64 v[23:24], v[17:18], v[23:24]
	s_waitcnt vmcnt(10)
	v_fma_f64 v[11:12], v[11:12], v[25:26], -v[39:40]
	ds_read_b128 v[1:4], v1 offset:1424
	v_fma_f64 v[13:14], v[13:14], v[25:26], v[19:20]
	v_add_f64 v[7:8], v[7:8], 0
	v_add_f64 v[9:10], v[9:10], 0
	s_waitcnt vmcnt(8) lgkmcnt(0)
	v_mul_f64 v[25:26], v[3:4], v[27:28]
	s_waitcnt vmcnt(6)
	v_fma_f64 v[15:16], v[15:16], v[29:30], -v[23:24]
	v_mul_f64 v[19:20], v[1:2], v[27:28]
	v_add_f64 v[7:8], v[7:8], v[11:12]
	v_fma_f64 v[11:12], v[17:18], v[29:30], v[21:22]
	v_add_f64 v[9:10], v[9:10], v[13:14]
	s_waitcnt vmcnt(4)
	v_fma_f64 v[1:2], v[1:2], v[31:32], -v[25:26]
	v_fma_f64 v[3:4], v[3:4], v[31:32], v[19:20]
	v_add_f64 v[7:8], v[7:8], v[15:16]
	v_add_f64 v[9:10], v[9:10], v[11:12]
	;; [unrolled: 1-line block ×4, first 2 shown]
	s_waitcnt vmcnt(2)
	v_add_f64 v[1:2], v[33:34], -v[1:2]
	s_waitcnt vmcnt(0)
	v_add_f64 v[3:4], v[35:36], -v[3:4]
	buffer_store_dword v1, off, s[0:3], 0 offset:656
	buffer_store_dword v2, off, s[0:3], 0 offset:660
	;; [unrolled: 1-line block ×4, first 2 shown]
	v_cmpx_lt_u32_e32 39, v0
	s_cbranch_execz .LBB44_205
; %bb.204:
	v_mov_b32_e32 v4, s15
	v_mov_b32_e32 v7, 0
	s_clause 0x3
	buffer_load_dword v1, v4, s[0:3], 0 offen
	buffer_load_dword v2, v4, s[0:3], 0 offen offset:4
	buffer_load_dword v3, v4, s[0:3], 0 offen offset:8
	buffer_load_dword v4, v4, s[0:3], 0 offen offset:12
	buffer_store_dword v7, off, s[0:3], 0 offset:640
	buffer_store_dword v7, off, s[0:3], 0 offset:644
	;; [unrolled: 1-line block ×4, first 2 shown]
	s_waitcnt vmcnt(0)
	ds_write_b128 v63, v[1:4]
.LBB44_205:
	s_or_b32 exec_lo, exec_lo, s4
	s_waitcnt lgkmcnt(0)
	s_waitcnt_vscnt null, 0x0
	s_barrier
	buffer_gl0_inv
	s_clause 0x17
	buffer_load_dword v2, off, s[0:3], 0 offset:664
	buffer_load_dword v3, off, s[0:3], 0 offset:668
	;; [unrolled: 1-line block ×24, first 2 shown]
	v_mov_b32_e32 v1, 0
	ds_read_b128 v[7:10], v1 offset:1360
	ds_read_b128 v[11:14], v1 offset:1376
	;; [unrolled: 1-line block ×3, first 2 shown]
	s_mov_b32 s4, exec_lo
	s_waitcnt vmcnt(22) lgkmcnt(2)
	v_mul_f64 v[41:42], v[9:10], v[2:3]
	v_mul_f64 v[2:3], v[7:8], v[2:3]
	s_waitcnt vmcnt(20) lgkmcnt(1)
	v_mul_f64 v[43:44], v[13:14], v[19:20]
	v_mul_f64 v[19:20], v[11:12], v[19:20]
	s_waitcnt vmcnt(18)
	v_fma_f64 v[41:42], v[7:8], v[21:22], -v[41:42]
	v_fma_f64 v[2:3], v[9:10], v[21:22], v[2:3]
	ds_read_b128 v[7:10], v1 offset:1408
	s_waitcnt vmcnt(16) lgkmcnt(1)
	v_mul_f64 v[21:22], v[15:16], v[23:24]
	v_mul_f64 v[23:24], v[17:18], v[23:24]
	s_waitcnt vmcnt(14)
	v_fma_f64 v[43:44], v[11:12], v[25:26], -v[43:44]
	v_fma_f64 v[19:20], v[13:14], v[25:26], v[19:20]
	ds_read_b128 v[11:14], v1 offset:1424
	s_waitcnt vmcnt(10) lgkmcnt(1)
	v_mul_f64 v[25:26], v[7:8], v[27:28]
	v_add_f64 v[41:42], v[41:42], 0
	v_add_f64 v[2:3], v[2:3], 0
	v_mul_f64 v[27:28], v[9:10], v[27:28]
	s_waitcnt vmcnt(8)
	v_fma_f64 v[15:16], v[15:16], v[33:34], -v[23:24]
	v_fma_f64 v[17:18], v[17:18], v[33:34], v[21:22]
	s_waitcnt vmcnt(7) lgkmcnt(0)
	v_mul_f64 v[21:22], v[13:14], v[29:30]
	s_waitcnt vmcnt(5)
	v_fma_f64 v[9:10], v[9:10], v[35:36], v[25:26]
	v_add_f64 v[23:24], v[41:42], v[43:44]
	v_add_f64 v[2:3], v[2:3], v[19:20]
	v_fma_f64 v[7:8], v[7:8], v[35:36], -v[27:28]
	v_mul_f64 v[19:20], v[11:12], v[29:30]
	s_waitcnt vmcnt(4)
	v_fma_f64 v[11:12], v[11:12], v[31:32], -v[21:22]
	v_add_f64 v[15:16], v[23:24], v[15:16]
	v_add_f64 v[2:3], v[2:3], v[17:18]
	v_fma_f64 v[13:14], v[13:14], v[31:32], v[19:20]
	v_add_f64 v[7:8], v[15:16], v[7:8]
	v_add_f64 v[2:3], v[2:3], v[9:10]
	v_add_f64 v[7:8], v[7:8], v[11:12]
	v_add_f64 v[2:3], v[2:3], v[13:14]
	s_waitcnt vmcnt(2)
	v_add_f64 v[7:8], v[37:38], -v[7:8]
	s_waitcnt vmcnt(0)
	v_add_f64 v[2:3], v[39:40], -v[2:3]
	buffer_store_dword v8, off, s[0:3], 0 offset:644
	buffer_store_dword v7, off, s[0:3], 0 offset:640
	;; [unrolled: 1-line block ×4, first 2 shown]
	v_cmpx_lt_u32_e32 38, v0
	s_cbranch_execz .LBB44_207
; %bb.206:
	v_mov_b32_e32 v2, s16
	s_clause 0x3
	buffer_load_dword v7, v2, s[0:3], 0 offen
	buffer_load_dword v8, v2, s[0:3], 0 offen offset:4
	buffer_load_dword v9, v2, s[0:3], 0 offen offset:8
	;; [unrolled: 1-line block ×3, first 2 shown]
	buffer_store_dword v1, off, s[0:3], 0 offset:624
	buffer_store_dword v1, off, s[0:3], 0 offset:628
	;; [unrolled: 1-line block ×4, first 2 shown]
	s_waitcnt vmcnt(0)
	ds_write_b128 v63, v[7:10]
.LBB44_207:
	s_or_b32 exec_lo, exec_lo, s4
	s_waitcnt lgkmcnt(0)
	s_waitcnt_vscnt null, 0x0
	s_barrier
	buffer_gl0_inv
	s_clause 0x1b
	buffer_load_dword v2, off, s[0:3], 0 offset:648
	buffer_load_dword v3, off, s[0:3], 0 offset:652
	;; [unrolled: 1-line block ×28, first 2 shown]
	ds_read_b128 v[7:10], v1 offset:1344
	ds_read_b128 v[11:14], v1 offset:1360
	;; [unrolled: 1-line block ×3, first 2 shown]
	s_mov_b32 s4, exec_lo
	s_waitcnt vmcnt(26) lgkmcnt(2)
	v_mul_f64 v[45:46], v[9:10], v[2:3]
	v_mul_f64 v[2:3], v[7:8], v[2:3]
	s_waitcnt vmcnt(24) lgkmcnt(1)
	v_mul_f64 v[47:48], v[13:14], v[19:20]
	v_mul_f64 v[19:20], v[11:12], v[19:20]
	s_waitcnt vmcnt(22)
	v_fma_f64 v[45:46], v[7:8], v[21:22], -v[45:46]
	v_fma_f64 v[2:3], v[9:10], v[21:22], v[2:3]
	ds_read_b128 v[7:10], v1 offset:1392
	s_waitcnt vmcnt(20) lgkmcnt(1)
	v_mul_f64 v[21:22], v[15:16], v[23:24]
	v_mul_f64 v[23:24], v[17:18], v[23:24]
	s_waitcnt vmcnt(18)
	v_fma_f64 v[47:48], v[11:12], v[25:26], -v[47:48]
	v_fma_f64 v[19:20], v[13:14], v[25:26], v[19:20]
	ds_read_b128 v[11:14], v1 offset:1408
	s_waitcnt vmcnt(14) lgkmcnt(1)
	v_mul_f64 v[25:26], v[7:8], v[27:28]
	v_add_f64 v[45:46], v[45:46], 0
	v_add_f64 v[2:3], v[2:3], 0
	v_mul_f64 v[27:28], v[9:10], v[27:28]
	s_waitcnt vmcnt(12)
	v_fma_f64 v[15:16], v[15:16], v[33:34], -v[23:24]
	v_fma_f64 v[17:18], v[17:18], v[33:34], v[21:22]
	s_waitcnt vmcnt(11) lgkmcnt(0)
	v_mul_f64 v[21:22], v[11:12], v[29:30]
	v_mul_f64 v[29:30], v[13:14], v[29:30]
	s_waitcnt vmcnt(9)
	v_fma_f64 v[9:10], v[9:10], v[35:36], v[25:26]
	v_add_f64 v[23:24], v[45:46], v[47:48]
	v_add_f64 v[19:20], v[2:3], v[19:20]
	v_fma_f64 v[7:8], v[7:8], v[35:36], -v[27:28]
	ds_read_b128 v[1:4], v1 offset:1424
	s_waitcnt vmcnt(6)
	v_fma_f64 v[13:14], v[13:14], v[31:32], v[21:22]
	v_fma_f64 v[11:12], v[11:12], v[31:32], -v[29:30]
	v_add_f64 v[15:16], v[23:24], v[15:16]
	v_add_f64 v[17:18], v[19:20], v[17:18]
	s_waitcnt lgkmcnt(0)
	v_mul_f64 v[23:24], v[3:4], v[37:38]
	v_mul_f64 v[19:20], v[1:2], v[37:38]
	v_add_f64 v[7:8], v[15:16], v[7:8]
	v_add_f64 v[9:10], v[17:18], v[9:10]
	s_waitcnt vmcnt(4)
	v_fma_f64 v[1:2], v[1:2], v[39:40], -v[23:24]
	v_fma_f64 v[3:4], v[3:4], v[39:40], v[19:20]
	v_add_f64 v[7:8], v[7:8], v[11:12]
	v_add_f64 v[9:10], v[9:10], v[13:14]
	;; [unrolled: 1-line block ×4, first 2 shown]
	s_waitcnt vmcnt(2)
	v_add_f64 v[1:2], v[41:42], -v[1:2]
	s_waitcnt vmcnt(0)
	v_add_f64 v[3:4], v[43:44], -v[3:4]
	buffer_store_dword v2, off, s[0:3], 0 offset:628
	buffer_store_dword v1, off, s[0:3], 0 offset:624
	;; [unrolled: 1-line block ×4, first 2 shown]
	v_cmpx_lt_u32_e32 37, v0
	s_cbranch_execz .LBB44_209
; %bb.208:
	v_mov_b32_e32 v4, s17
	v_mov_b32_e32 v7, 0
	s_clause 0x3
	buffer_load_dword v1, v4, s[0:3], 0 offen
	buffer_load_dword v2, v4, s[0:3], 0 offen offset:4
	buffer_load_dword v3, v4, s[0:3], 0 offen offset:8
	buffer_load_dword v4, v4, s[0:3], 0 offen offset:12
	buffer_store_dword v7, off, s[0:3], 0 offset:608
	buffer_store_dword v7, off, s[0:3], 0 offset:612
	;; [unrolled: 1-line block ×4, first 2 shown]
	s_waitcnt vmcnt(0)
	ds_write_b128 v63, v[1:4]
.LBB44_209:
	s_or_b32 exec_lo, exec_lo, s4
	s_waitcnt lgkmcnt(0)
	s_waitcnt_vscnt null, 0x0
	s_barrier
	buffer_gl0_inv
	s_clause 0x1f
	buffer_load_dword v2, off, s[0:3], 0 offset:632
	buffer_load_dword v3, off, s[0:3], 0 offset:636
	;; [unrolled: 1-line block ×32, first 2 shown]
	v_mov_b32_e32 v1, 0
	ds_read_b128 v[7:10], v1 offset:1328
	ds_read_b128 v[11:14], v1 offset:1344
	;; [unrolled: 1-line block ×3, first 2 shown]
	s_mov_b32 s4, exec_lo
	s_waitcnt vmcnt(30) lgkmcnt(2)
	v_mul_f64 v[49:50], v[9:10], v[2:3]
	v_mul_f64 v[2:3], v[7:8], v[2:3]
	s_waitcnt vmcnt(28) lgkmcnt(1)
	v_mul_f64 v[51:52], v[13:14], v[19:20]
	v_mul_f64 v[19:20], v[11:12], v[19:20]
	s_waitcnt vmcnt(26)
	v_fma_f64 v[49:50], v[7:8], v[21:22], -v[49:50]
	v_fma_f64 v[2:3], v[9:10], v[21:22], v[2:3]
	ds_read_b128 v[7:10], v1 offset:1376
	s_waitcnt vmcnt(24) lgkmcnt(1)
	v_mul_f64 v[21:22], v[15:16], v[23:24]
	v_mul_f64 v[23:24], v[17:18], v[23:24]
	s_waitcnt vmcnt(22)
	v_fma_f64 v[51:52], v[11:12], v[25:26], -v[51:52]
	v_fma_f64 v[19:20], v[13:14], v[25:26], v[19:20]
	ds_read_b128 v[11:14], v1 offset:1392
	s_waitcnt vmcnt(18) lgkmcnt(1)
	v_mul_f64 v[25:26], v[7:8], v[27:28]
	v_add_f64 v[49:50], v[49:50], 0
	v_add_f64 v[2:3], v[2:3], 0
	v_mul_f64 v[27:28], v[9:10], v[27:28]
	s_waitcnt vmcnt(16)
	v_fma_f64 v[23:24], v[15:16], v[33:34], -v[23:24]
	v_fma_f64 v[21:22], v[17:18], v[33:34], v[21:22]
	ds_read_b128 v[15:18], v1 offset:1408
	s_waitcnt vmcnt(13)
	v_fma_f64 v[25:26], v[9:10], v[35:36], v[25:26]
	v_add_f64 v[49:50], v[49:50], v[51:52]
	v_add_f64 v[2:3], v[2:3], v[19:20]
	s_waitcnt lgkmcnt(1)
	v_mul_f64 v[19:20], v[11:12], v[29:30]
	v_mul_f64 v[29:30], v[13:14], v[29:30]
	v_fma_f64 v[27:28], v[7:8], v[35:36], -v[27:28]
	s_waitcnt vmcnt(9) lgkmcnt(0)
	v_mul_f64 v[33:34], v[17:18], v[37:38]
	ds_read_b128 v[7:10], v1 offset:1424
	v_add_f64 v[23:24], v[49:50], v[23:24]
	v_add_f64 v[2:3], v[2:3], v[21:22]
	v_mul_f64 v[21:22], v[15:16], v[37:38]
	s_waitcnt vmcnt(8)
	v_fma_f64 v[11:12], v[11:12], v[31:32], -v[29:30]
	v_fma_f64 v[13:14], v[13:14], v[31:32], v[19:20]
	s_waitcnt vmcnt(5)
	v_fma_f64 v[15:16], v[15:16], v[43:44], -v[33:34]
	s_waitcnt lgkmcnt(0)
	v_mul_f64 v[19:20], v[7:8], v[39:40]
	v_add_f64 v[23:24], v[23:24], v[27:28]
	v_add_f64 v[2:3], v[2:3], v[25:26]
	v_mul_f64 v[25:26], v[9:10], v[39:40]
	v_fma_f64 v[17:18], v[17:18], v[43:44], v[21:22]
	s_waitcnt vmcnt(4)
	v_fma_f64 v[9:10], v[9:10], v[41:42], v[19:20]
	v_add_f64 v[11:12], v[23:24], v[11:12]
	v_add_f64 v[2:3], v[2:3], v[13:14]
	v_fma_f64 v[7:8], v[7:8], v[41:42], -v[25:26]
	v_add_f64 v[11:12], v[11:12], v[15:16]
	v_add_f64 v[2:3], v[2:3], v[17:18]
	;; [unrolled: 1-line block ×4, first 2 shown]
	s_waitcnt vmcnt(2)
	v_add_f64 v[7:8], v[45:46], -v[7:8]
	s_waitcnt vmcnt(0)
	v_add_f64 v[2:3], v[47:48], -v[2:3]
	buffer_store_dword v8, off, s[0:3], 0 offset:612
	buffer_store_dword v7, off, s[0:3], 0 offset:608
	;; [unrolled: 1-line block ×4, first 2 shown]
	v_cmpx_lt_u32_e32 36, v0
	s_cbranch_execz .LBB44_211
; %bb.210:
	v_mov_b32_e32 v2, s18
	s_clause 0x3
	buffer_load_dword v7, v2, s[0:3], 0 offen
	buffer_load_dword v8, v2, s[0:3], 0 offen offset:4
	buffer_load_dword v9, v2, s[0:3], 0 offen offset:8
	;; [unrolled: 1-line block ×3, first 2 shown]
	buffer_store_dword v1, off, s[0:3], 0 offset:592
	buffer_store_dword v1, off, s[0:3], 0 offset:596
	;; [unrolled: 1-line block ×4, first 2 shown]
	s_waitcnt vmcnt(0)
	ds_write_b128 v63, v[7:10]
.LBB44_211:
	s_or_b32 exec_lo, exec_lo, s4
	s_waitcnt lgkmcnt(0)
	s_waitcnt_vscnt null, 0x0
	s_barrier
	buffer_gl0_inv
	s_clause 0x23
	buffer_load_dword v2, off, s[0:3], 0 offset:616
	buffer_load_dword v3, off, s[0:3], 0 offset:620
	;; [unrolled: 1-line block ×36, first 2 shown]
	ds_read_b128 v[7:10], v1 offset:1312
	ds_read_b128 v[11:14], v1 offset:1328
	;; [unrolled: 1-line block ×3, first 2 shown]
	s_mov_b32 s4, exec_lo
	s_waitcnt vmcnt(34) lgkmcnt(2)
	v_mul_f64 v[53:54], v[9:10], v[2:3]
	v_mul_f64 v[2:3], v[7:8], v[2:3]
	s_waitcnt vmcnt(32) lgkmcnt(1)
	v_mul_f64 v[55:56], v[13:14], v[19:20]
	v_mul_f64 v[19:20], v[11:12], v[19:20]
	s_waitcnt vmcnt(30)
	v_fma_f64 v[53:54], v[7:8], v[21:22], -v[53:54]
	v_fma_f64 v[2:3], v[9:10], v[21:22], v[2:3]
	ds_read_b128 v[7:10], v1 offset:1360
	s_waitcnt vmcnt(28) lgkmcnt(1)
	v_mul_f64 v[21:22], v[15:16], v[23:24]
	v_mul_f64 v[23:24], v[17:18], v[23:24]
	s_waitcnt vmcnt(26)
	v_fma_f64 v[55:56], v[11:12], v[25:26], -v[55:56]
	v_fma_f64 v[19:20], v[13:14], v[25:26], v[19:20]
	ds_read_b128 v[11:14], v1 offset:1376
	s_waitcnt vmcnt(22) lgkmcnt(1)
	v_mul_f64 v[25:26], v[7:8], v[27:28]
	v_add_f64 v[53:54], v[53:54], 0
	v_add_f64 v[2:3], v[2:3], 0
	v_mul_f64 v[27:28], v[9:10], v[27:28]
	s_waitcnt vmcnt(20)
	v_fma_f64 v[23:24], v[15:16], v[33:34], -v[23:24]
	v_fma_f64 v[21:22], v[17:18], v[33:34], v[21:22]
	ds_read_b128 v[15:18], v1 offset:1392
	s_waitcnt vmcnt(17)
	v_fma_f64 v[25:26], v[9:10], v[35:36], v[25:26]
	v_add_f64 v[53:54], v[53:54], v[55:56]
	v_add_f64 v[2:3], v[2:3], v[19:20]
	s_waitcnt lgkmcnt(1)
	v_mul_f64 v[19:20], v[11:12], v[29:30]
	v_mul_f64 v[29:30], v[13:14], v[29:30]
	v_fma_f64 v[27:28], v[7:8], v[35:36], -v[27:28]
	s_waitcnt vmcnt(13) lgkmcnt(0)
	v_mul_f64 v[33:34], v[17:18], v[37:38]
	ds_read_b128 v[7:10], v1 offset:1408
	v_add_f64 v[23:24], v[53:54], v[23:24]
	v_add_f64 v[2:3], v[2:3], v[21:22]
	v_mul_f64 v[21:22], v[15:16], v[37:38]
	s_waitcnt vmcnt(12)
	v_fma_f64 v[11:12], v[11:12], v[31:32], -v[29:30]
	v_fma_f64 v[13:14], v[13:14], v[31:32], v[19:20]
	s_waitcnt vmcnt(9)
	v_fma_f64 v[15:16], v[15:16], v[43:44], -v[33:34]
	v_add_f64 v[23:24], v[23:24], v[27:28]
	v_add_f64 v[19:20], v[2:3], v[25:26]
	s_waitcnt lgkmcnt(0)
	v_mul_f64 v[27:28], v[9:10], v[39:40]
	ds_read_b128 v[1:4], v1 offset:1424
	v_mul_f64 v[25:26], v[7:8], v[39:40]
	v_fma_f64 v[17:18], v[17:18], v[43:44], v[21:22]
	v_add_f64 v[11:12], v[23:24], v[11:12]
	v_add_f64 v[13:14], v[19:20], v[13:14]
	s_waitcnt vmcnt(7) lgkmcnt(0)
	v_mul_f64 v[21:22], v[3:4], v[45:46]
	s_waitcnt vmcnt(6)
	v_fma_f64 v[7:8], v[7:8], v[41:42], -v[27:28]
	v_mul_f64 v[19:20], v[1:2], v[45:46]
	v_fma_f64 v[9:10], v[9:10], v[41:42], v[25:26]
	v_add_f64 v[11:12], v[11:12], v[15:16]
	v_add_f64 v[13:14], v[13:14], v[17:18]
	s_waitcnt vmcnt(4)
	v_fma_f64 v[1:2], v[1:2], v[47:48], -v[21:22]
	v_fma_f64 v[3:4], v[3:4], v[47:48], v[19:20]
	v_add_f64 v[7:8], v[11:12], v[7:8]
	v_add_f64 v[9:10], v[13:14], v[9:10]
	;; [unrolled: 1-line block ×4, first 2 shown]
	s_waitcnt vmcnt(2)
	v_add_f64 v[1:2], v[49:50], -v[1:2]
	s_waitcnt vmcnt(0)
	v_add_f64 v[3:4], v[51:52], -v[3:4]
	buffer_store_dword v2, off, s[0:3], 0 offset:596
	buffer_store_dword v1, off, s[0:3], 0 offset:592
	;; [unrolled: 1-line block ×4, first 2 shown]
	v_cmpx_lt_u32_e32 35, v0
	s_cbranch_execz .LBB44_213
; %bb.212:
	v_mov_b32_e32 v4, s19
	v_mov_b32_e32 v7, 0
	s_clause 0x3
	buffer_load_dword v1, v4, s[0:3], 0 offen
	buffer_load_dword v2, v4, s[0:3], 0 offen offset:4
	buffer_load_dword v3, v4, s[0:3], 0 offen offset:8
	;; [unrolled: 1-line block ×3, first 2 shown]
	buffer_store_dword v7, off, s[0:3], 0 offset:576
	buffer_store_dword v7, off, s[0:3], 0 offset:580
	;; [unrolled: 1-line block ×4, first 2 shown]
	s_waitcnt vmcnt(0)
	ds_write_b128 v63, v[1:4]
.LBB44_213:
	s_or_b32 exec_lo, exec_lo, s4
	s_waitcnt lgkmcnt(0)
	s_waitcnt_vscnt null, 0x0
	s_barrier
	buffer_gl0_inv
	s_clause 0x27
	buffer_load_dword v2, off, s[0:3], 0 offset:600
	buffer_load_dword v3, off, s[0:3], 0 offset:604
	;; [unrolled: 1-line block ×40, first 2 shown]
	v_mov_b32_e32 v1, 0
	ds_read_b128 v[7:10], v1 offset:1296
	ds_read_b128 v[11:14], v1 offset:1312
	;; [unrolled: 1-line block ×3, first 2 shown]
	s_mov_b32 s4, exec_lo
	s_waitcnt vmcnt(38) lgkmcnt(2)
	v_mul_f64 v[57:58], v[9:10], v[2:3]
	v_mul_f64 v[2:3], v[7:8], v[2:3]
	s_waitcnt vmcnt(36) lgkmcnt(1)
	v_mul_f64 v[59:60], v[13:14], v[19:20]
	v_mul_f64 v[19:20], v[11:12], v[19:20]
	s_waitcnt vmcnt(34)
	v_fma_f64 v[57:58], v[7:8], v[21:22], -v[57:58]
	v_fma_f64 v[2:3], v[9:10], v[21:22], v[2:3]
	ds_read_b128 v[7:10], v1 offset:1344
	s_waitcnt vmcnt(32) lgkmcnt(1)
	v_mul_f64 v[21:22], v[15:16], v[23:24]
	v_mul_f64 v[23:24], v[17:18], v[23:24]
	s_waitcnt vmcnt(30)
	v_fma_f64 v[59:60], v[11:12], v[25:26], -v[59:60]
	v_fma_f64 v[19:20], v[13:14], v[25:26], v[19:20]
	ds_read_b128 v[11:14], v1 offset:1360
	s_waitcnt vmcnt(26) lgkmcnt(1)
	v_mul_f64 v[25:26], v[7:8], v[27:28]
	v_add_f64 v[57:58], v[57:58], 0
	v_add_f64 v[2:3], v[2:3], 0
	v_mul_f64 v[27:28], v[9:10], v[27:28]
	s_waitcnt vmcnt(24)
	v_fma_f64 v[23:24], v[15:16], v[33:34], -v[23:24]
	v_fma_f64 v[21:22], v[17:18], v[33:34], v[21:22]
	ds_read_b128 v[15:18], v1 offset:1376
	s_waitcnt vmcnt(21)
	v_fma_f64 v[25:26], v[9:10], v[35:36], v[25:26]
	v_add_f64 v[57:58], v[57:58], v[59:60]
	v_add_f64 v[2:3], v[2:3], v[19:20]
	s_waitcnt lgkmcnt(1)
	v_mul_f64 v[19:20], v[11:12], v[29:30]
	v_mul_f64 v[29:30], v[13:14], v[29:30]
	v_fma_f64 v[27:28], v[7:8], v[35:36], -v[27:28]
	s_waitcnt vmcnt(17) lgkmcnt(0)
	v_mul_f64 v[33:34], v[17:18], v[37:38]
	ds_read_b128 v[7:10], v1 offset:1392
	v_add_f64 v[23:24], v[57:58], v[23:24]
	v_add_f64 v[2:3], v[2:3], v[21:22]
	v_mul_f64 v[21:22], v[15:16], v[37:38]
	s_waitcnt vmcnt(16)
	v_fma_f64 v[29:30], v[11:12], v[31:32], -v[29:30]
	v_fma_f64 v[19:20], v[13:14], v[31:32], v[19:20]
	ds_read_b128 v[11:14], v1 offset:1408
	s_waitcnt vmcnt(13)
	v_fma_f64 v[31:32], v[15:16], v[43:44], -v[33:34]
	v_add_f64 v[23:24], v[23:24], v[27:28]
	v_add_f64 v[2:3], v[2:3], v[25:26]
	s_waitcnt lgkmcnt(1)
	v_mul_f64 v[27:28], v[9:10], v[39:40]
	v_mul_f64 v[25:26], v[7:8], v[39:40]
	v_fma_f64 v[21:22], v[17:18], v[43:44], v[21:22]
	ds_read_b128 v[15:18], v1 offset:1424
	v_add_f64 v[23:24], v[23:24], v[29:30]
	v_add_f64 v[2:3], v[2:3], v[19:20]
	s_waitcnt vmcnt(9) lgkmcnt(1)
	v_mul_f64 v[29:30], v[13:14], v[45:46]
	s_waitcnt vmcnt(8)
	v_fma_f64 v[7:8], v[7:8], v[41:42], -v[27:28]
	v_mul_f64 v[19:20], v[11:12], v[45:46]
	v_fma_f64 v[9:10], v[9:10], v[41:42], v[25:26]
	s_waitcnt vmcnt(7) lgkmcnt(0)
	v_mul_f64 v[25:26], v[17:18], v[47:48]
	v_add_f64 v[23:24], v[23:24], v[31:32]
	v_add_f64 v[2:3], v[2:3], v[21:22]
	s_waitcnt vmcnt(5)
	v_fma_f64 v[11:12], v[11:12], v[51:52], -v[29:30]
	v_mul_f64 v[21:22], v[15:16], v[47:48]
	v_fma_f64 v[13:14], v[13:14], v[51:52], v[19:20]
	v_add_f64 v[7:8], v[23:24], v[7:8]
	v_add_f64 v[2:3], v[2:3], v[9:10]
	s_waitcnt vmcnt(4)
	v_fma_f64 v[9:10], v[15:16], v[49:50], -v[25:26]
	v_add_f64 v[7:8], v[7:8], v[11:12]
	v_fma_f64 v[11:12], v[17:18], v[49:50], v[21:22]
	v_add_f64 v[2:3], v[2:3], v[13:14]
	v_add_f64 v[7:8], v[7:8], v[9:10]
	;; [unrolled: 1-line block ×3, first 2 shown]
	s_waitcnt vmcnt(2)
	v_add_f64 v[7:8], v[53:54], -v[7:8]
	s_waitcnt vmcnt(0)
	v_add_f64 v[2:3], v[55:56], -v[2:3]
	buffer_store_dword v8, off, s[0:3], 0 offset:580
	buffer_store_dword v7, off, s[0:3], 0 offset:576
	buffer_store_dword v3, off, s[0:3], 0 offset:588
	buffer_store_dword v2, off, s[0:3], 0 offset:584
	v_cmpx_lt_u32_e32 34, v0
	s_cbranch_execz .LBB44_215
; %bb.214:
	v_mov_b32_e32 v2, s22
	s_clause 0x3
	buffer_load_dword v7, v2, s[0:3], 0 offen
	buffer_load_dword v8, v2, s[0:3], 0 offen offset:4
	buffer_load_dword v9, v2, s[0:3], 0 offen offset:8
	;; [unrolled: 1-line block ×3, first 2 shown]
	buffer_store_dword v1, off, s[0:3], 0 offset:560
	buffer_store_dword v1, off, s[0:3], 0 offset:564
	;; [unrolled: 1-line block ×4, first 2 shown]
	s_waitcnt vmcnt(0)
	ds_write_b128 v63, v[7:10]
.LBB44_215:
	s_or_b32 exec_lo, exec_lo, s4
	s_waitcnt lgkmcnt(0)
	s_waitcnt_vscnt null, 0x0
	s_barrier
	buffer_gl0_inv
	s_clause 0x2b
	buffer_load_dword v2, off, s[0:3], 0 offset:584
	buffer_load_dword v3, off, s[0:3], 0 offset:588
	;; [unrolled: 1-line block ×44, first 2 shown]
	ds_read_b128 v[7:10], v1 offset:1280
	ds_read_b128 v[11:14], v1 offset:1296
	;; [unrolled: 1-line block ×3, first 2 shown]
	s_mov_b32 s4, exec_lo
	s_waitcnt vmcnt(42) lgkmcnt(2)
	v_mul_f64 v[61:62], v[9:10], v[2:3]
	v_mul_f64 v[2:3], v[7:8], v[2:3]
	s_waitcnt vmcnt(40) lgkmcnt(1)
	v_mul_f64 v[64:65], v[13:14], v[19:20]
	v_mul_f64 v[19:20], v[11:12], v[19:20]
	s_waitcnt vmcnt(38)
	v_fma_f64 v[61:62], v[7:8], v[21:22], -v[61:62]
	v_fma_f64 v[2:3], v[9:10], v[21:22], v[2:3]
	ds_read_b128 v[7:10], v1 offset:1328
	s_waitcnt vmcnt(36) lgkmcnt(1)
	v_mul_f64 v[21:22], v[15:16], v[23:24]
	v_mul_f64 v[23:24], v[17:18], v[23:24]
	s_waitcnt vmcnt(34)
	v_fma_f64 v[64:65], v[11:12], v[25:26], -v[64:65]
	v_fma_f64 v[19:20], v[13:14], v[25:26], v[19:20]
	ds_read_b128 v[11:14], v1 offset:1344
	s_waitcnt vmcnt(30) lgkmcnt(1)
	v_mul_f64 v[25:26], v[7:8], v[27:28]
	v_add_f64 v[61:62], v[61:62], 0
	v_add_f64 v[2:3], v[2:3], 0
	v_mul_f64 v[27:28], v[9:10], v[27:28]
	s_waitcnt vmcnt(28)
	v_fma_f64 v[23:24], v[15:16], v[33:34], -v[23:24]
	v_fma_f64 v[21:22], v[17:18], v[33:34], v[21:22]
	ds_read_b128 v[15:18], v1 offset:1360
	s_waitcnt vmcnt(25)
	v_fma_f64 v[25:26], v[9:10], v[35:36], v[25:26]
	v_add_f64 v[61:62], v[61:62], v[64:65]
	v_add_f64 v[2:3], v[2:3], v[19:20]
	s_waitcnt lgkmcnt(1)
	v_mul_f64 v[19:20], v[11:12], v[29:30]
	v_mul_f64 v[29:30], v[13:14], v[29:30]
	v_fma_f64 v[27:28], v[7:8], v[35:36], -v[27:28]
	s_waitcnt vmcnt(21) lgkmcnt(0)
	v_mul_f64 v[33:34], v[17:18], v[37:38]
	ds_read_b128 v[7:10], v1 offset:1376
	v_add_f64 v[23:24], v[61:62], v[23:24]
	v_add_f64 v[2:3], v[2:3], v[21:22]
	v_mul_f64 v[21:22], v[15:16], v[37:38]
	s_waitcnt vmcnt(20)
	v_fma_f64 v[29:30], v[11:12], v[31:32], -v[29:30]
	v_fma_f64 v[19:20], v[13:14], v[31:32], v[19:20]
	ds_read_b128 v[11:14], v1 offset:1392
	s_waitcnt vmcnt(17)
	v_fma_f64 v[31:32], v[15:16], v[43:44], -v[33:34]
	v_add_f64 v[23:24], v[23:24], v[27:28]
	v_add_f64 v[2:3], v[2:3], v[25:26]
	s_waitcnt lgkmcnt(1)
	v_mul_f64 v[27:28], v[9:10], v[39:40]
	v_mul_f64 v[25:26], v[7:8], v[39:40]
	v_fma_f64 v[21:22], v[17:18], v[43:44], v[21:22]
	ds_read_b128 v[15:18], v1 offset:1408
	v_add_f64 v[23:24], v[23:24], v[29:30]
	v_add_f64 v[2:3], v[2:3], v[19:20]
	s_waitcnt vmcnt(13) lgkmcnt(1)
	v_mul_f64 v[29:30], v[13:14], v[45:46]
	s_waitcnt vmcnt(12)
	v_fma_f64 v[7:8], v[7:8], v[41:42], -v[27:28]
	v_mul_f64 v[19:20], v[11:12], v[45:46]
	v_fma_f64 v[9:10], v[9:10], v[41:42], v[25:26]
	s_waitcnt vmcnt(11) lgkmcnt(0)
	v_mul_f64 v[27:28], v[17:18], v[47:48]
	v_mul_f64 v[25:26], v[15:16], v[47:48]
	v_add_f64 v[23:24], v[23:24], v[31:32]
	v_add_f64 v[21:22], v[2:3], v[21:22]
	s_waitcnt vmcnt(9)
	v_fma_f64 v[11:12], v[11:12], v[51:52], -v[29:30]
	ds_read_b128 v[1:4], v1 offset:1424
	v_fma_f64 v[13:14], v[13:14], v[51:52], v[19:20]
	s_waitcnt vmcnt(6)
	v_fma_f64 v[15:16], v[15:16], v[49:50], -v[27:28]
	v_add_f64 v[7:8], v[23:24], v[7:8]
	v_add_f64 v[9:10], v[21:22], v[9:10]
	s_waitcnt lgkmcnt(0)
	v_mul_f64 v[21:22], v[3:4], v[53:54]
	v_mul_f64 v[19:20], v[1:2], v[53:54]
	v_add_f64 v[7:8], v[7:8], v[11:12]
	v_fma_f64 v[11:12], v[17:18], v[49:50], v[25:26]
	v_add_f64 v[9:10], v[9:10], v[13:14]
	s_waitcnt vmcnt(4)
	v_fma_f64 v[1:2], v[1:2], v[55:56], -v[21:22]
	v_fma_f64 v[3:4], v[3:4], v[55:56], v[19:20]
	v_add_f64 v[7:8], v[7:8], v[15:16]
	v_add_f64 v[9:10], v[9:10], v[11:12]
	;; [unrolled: 1-line block ×4, first 2 shown]
	s_waitcnt vmcnt(2)
	v_add_f64 v[1:2], v[57:58], -v[1:2]
	s_waitcnt vmcnt(0)
	v_add_f64 v[3:4], v[59:60], -v[3:4]
	buffer_store_dword v2, off, s[0:3], 0 offset:564
	buffer_store_dword v1, off, s[0:3], 0 offset:560
	;; [unrolled: 1-line block ×4, first 2 shown]
	v_cmpx_lt_u32_e32 33, v0
	s_cbranch_execz .LBB44_217
; %bb.216:
	v_mov_b32_e32 v4, s23
	v_mov_b32_e32 v7, 0
	s_clause 0x3
	buffer_load_dword v1, v4, s[0:3], 0 offen
	buffer_load_dword v2, v4, s[0:3], 0 offen offset:4
	buffer_load_dword v3, v4, s[0:3], 0 offen offset:8
	;; [unrolled: 1-line block ×3, first 2 shown]
	buffer_store_dword v7, off, s[0:3], 0 offset:544
	buffer_store_dword v7, off, s[0:3], 0 offset:548
	;; [unrolled: 1-line block ×4, first 2 shown]
	s_waitcnt vmcnt(0)
	ds_write_b128 v63, v[1:4]
.LBB44_217:
	s_or_b32 exec_lo, exec_lo, s4
	s_waitcnt lgkmcnt(0)
	s_waitcnt_vscnt null, 0x0
	s_barrier
	buffer_gl0_inv
	s_clause 0x2f
	buffer_load_dword v2, off, s[0:3], 0 offset:568
	buffer_load_dword v3, off, s[0:3], 0 offset:572
	;; [unrolled: 1-line block ×48, first 2 shown]
	v_mov_b32_e32 v1, 0
	ds_read_b128 v[7:10], v1 offset:1264
	ds_read_b128 v[11:14], v1 offset:1280
	;; [unrolled: 1-line block ×3, first 2 shown]
	s_mov_b32 s4, exec_lo
	s_waitcnt vmcnt(46) lgkmcnt(2)
	v_mul_f64 v[66:67], v[9:10], v[2:3]
	v_mul_f64 v[2:3], v[7:8], v[2:3]
	s_waitcnt vmcnt(44) lgkmcnt(1)
	v_mul_f64 v[68:69], v[13:14], v[19:20]
	v_mul_f64 v[19:20], v[11:12], v[19:20]
	s_waitcnt vmcnt(42)
	v_fma_f64 v[66:67], v[7:8], v[21:22], -v[66:67]
	v_fma_f64 v[2:3], v[9:10], v[21:22], v[2:3]
	ds_read_b128 v[7:10], v1 offset:1312
	s_waitcnt vmcnt(40) lgkmcnt(1)
	v_mul_f64 v[21:22], v[15:16], v[23:24]
	v_mul_f64 v[23:24], v[17:18], v[23:24]
	s_waitcnt vmcnt(38)
	v_fma_f64 v[68:69], v[11:12], v[25:26], -v[68:69]
	v_fma_f64 v[19:20], v[13:14], v[25:26], v[19:20]
	ds_read_b128 v[11:14], v1 offset:1328
	s_waitcnt vmcnt(34) lgkmcnt(1)
	v_mul_f64 v[25:26], v[7:8], v[27:28]
	v_add_f64 v[66:67], v[66:67], 0
	v_add_f64 v[2:3], v[2:3], 0
	v_mul_f64 v[27:28], v[9:10], v[27:28]
	s_waitcnt vmcnt(32)
	v_fma_f64 v[23:24], v[15:16], v[33:34], -v[23:24]
	v_fma_f64 v[21:22], v[17:18], v[33:34], v[21:22]
	ds_read_b128 v[15:18], v1 offset:1344
	s_waitcnt vmcnt(29)
	v_fma_f64 v[25:26], v[9:10], v[35:36], v[25:26]
	v_add_f64 v[66:67], v[66:67], v[68:69]
	v_add_f64 v[2:3], v[2:3], v[19:20]
	s_waitcnt lgkmcnt(1)
	v_mul_f64 v[19:20], v[11:12], v[29:30]
	v_mul_f64 v[29:30], v[13:14], v[29:30]
	v_fma_f64 v[27:28], v[7:8], v[35:36], -v[27:28]
	s_waitcnt vmcnt(25) lgkmcnt(0)
	v_mul_f64 v[33:34], v[17:18], v[37:38]
	ds_read_b128 v[7:10], v1 offset:1360
	v_add_f64 v[23:24], v[66:67], v[23:24]
	v_add_f64 v[2:3], v[2:3], v[21:22]
	v_mul_f64 v[21:22], v[15:16], v[37:38]
	s_waitcnt vmcnt(24)
	v_fma_f64 v[29:30], v[11:12], v[31:32], -v[29:30]
	v_fma_f64 v[19:20], v[13:14], v[31:32], v[19:20]
	ds_read_b128 v[11:14], v1 offset:1376
	s_waitcnt vmcnt(21)
	v_fma_f64 v[31:32], v[15:16], v[43:44], -v[33:34]
	v_add_f64 v[23:24], v[23:24], v[27:28]
	v_add_f64 v[2:3], v[2:3], v[25:26]
	s_waitcnt lgkmcnt(1)
	v_mul_f64 v[27:28], v[9:10], v[39:40]
	v_mul_f64 v[25:26], v[7:8], v[39:40]
	v_fma_f64 v[21:22], v[17:18], v[43:44], v[21:22]
	ds_read_b128 v[15:18], v1 offset:1392
	v_add_f64 v[23:24], v[23:24], v[29:30]
	v_add_f64 v[2:3], v[2:3], v[19:20]
	s_waitcnt vmcnt(17) lgkmcnt(1)
	v_mul_f64 v[29:30], v[13:14], v[45:46]
	s_waitcnt vmcnt(16)
	v_fma_f64 v[27:28], v[7:8], v[41:42], -v[27:28]
	v_mul_f64 v[19:20], v[11:12], v[45:46]
	v_fma_f64 v[25:26], v[9:10], v[41:42], v[25:26]
	ds_read_b128 v[7:10], v1 offset:1408
	v_add_f64 v[23:24], v[23:24], v[31:32]
	v_add_f64 v[2:3], v[2:3], v[21:22]
	s_waitcnt vmcnt(15) lgkmcnt(1)
	v_mul_f64 v[31:32], v[17:18], v[47:48]
	s_waitcnt vmcnt(13)
	v_fma_f64 v[29:30], v[11:12], v[51:52], -v[29:30]
	;; [unrolled: 9-line block ×3, first 2 shown]
	v_mul_f64 v[25:26], v[7:8], v[53:54]
	v_fma_f64 v[17:18], v[17:18], v[49:50], v[21:22]
	s_waitcnt vmcnt(7) lgkmcnt(0)
	v_mul_f64 v[21:22], v[13:14], v[55:56]
	v_add_f64 v[23:24], v[23:24], v[29:30]
	v_add_f64 v[2:3], v[2:3], v[19:20]
	s_waitcnt vmcnt(5)
	v_fma_f64 v[7:8], v[7:8], v[59:60], -v[27:28]
	v_mul_f64 v[19:20], v[11:12], v[55:56]
	v_fma_f64 v[9:10], v[9:10], v[59:60], v[25:26]
	s_waitcnt vmcnt(4)
	v_fma_f64 v[11:12], v[11:12], v[57:58], -v[21:22]
	v_add_f64 v[15:16], v[23:24], v[15:16]
	v_add_f64 v[2:3], v[2:3], v[17:18]
	v_fma_f64 v[13:14], v[13:14], v[57:58], v[19:20]
	v_add_f64 v[7:8], v[15:16], v[7:8]
	v_add_f64 v[2:3], v[2:3], v[9:10]
	;; [unrolled: 1-line block ×4, first 2 shown]
	s_waitcnt vmcnt(2)
	v_add_f64 v[7:8], v[61:62], -v[7:8]
	s_waitcnt vmcnt(0)
	v_add_f64 v[2:3], v[64:65], -v[2:3]
	buffer_store_dword v8, off, s[0:3], 0 offset:548
	buffer_store_dword v7, off, s[0:3], 0 offset:544
	;; [unrolled: 1-line block ×4, first 2 shown]
	v_cmpx_lt_u32_e32 32, v0
	s_cbranch_execz .LBB44_219
; %bb.218:
	v_mov_b32_e32 v2, s24
	s_clause 0x3
	buffer_load_dword v7, v2, s[0:3], 0 offen
	buffer_load_dword v8, v2, s[0:3], 0 offen offset:4
	buffer_load_dword v9, v2, s[0:3], 0 offen offset:8
	;; [unrolled: 1-line block ×3, first 2 shown]
	buffer_store_dword v1, off, s[0:3], 0 offset:528
	buffer_store_dword v1, off, s[0:3], 0 offset:532
	buffer_store_dword v1, off, s[0:3], 0 offset:536
	buffer_store_dword v1, off, s[0:3], 0 offset:540
	s_waitcnt vmcnt(0)
	ds_write_b128 v63, v[7:10]
.LBB44_219:
	s_or_b32 exec_lo, exec_lo, s4
	s_waitcnt lgkmcnt(0)
	s_waitcnt_vscnt null, 0x0
	s_barrier
	buffer_gl0_inv
	s_clause 0x2f
	buffer_load_dword v2, off, s[0:3], 0 offset:552
	buffer_load_dword v3, off, s[0:3], 0 offset:556
	buffer_load_dword v19, off, s[0:3], 0 offset:568
	buffer_load_dword v20, off, s[0:3], 0 offset:572
	buffer_load_dword v21, off, s[0:3], 0 offset:544
	buffer_load_dword v22, off, s[0:3], 0 offset:548
	buffer_load_dword v23, off, s[0:3], 0 offset:584
	buffer_load_dword v24, off, s[0:3], 0 offset:588
	buffer_load_dword v25, off, s[0:3], 0 offset:560
	buffer_load_dword v26, off, s[0:3], 0 offset:564
	buffer_load_dword v28, off, s[0:3], 0 offset:604
	buffer_load_dword v27, off, s[0:3], 0 offset:600
	buffer_load_dword v29, off, s[0:3], 0 offset:576
	buffer_load_dword v30, off, s[0:3], 0 offset:580
	buffer_load_dword v31, off, s[0:3], 0 offset:616
	buffer_load_dword v32, off, s[0:3], 0 offset:620
	buffer_load_dword v34, off, s[0:3], 0 offset:596
	buffer_load_dword v33, off, s[0:3], 0 offset:592
	buffer_load_dword v36, off, s[0:3], 0 offset:636
	buffer_load_dword v35, off, s[0:3], 0 offset:632
	buffer_load_dword v37, off, s[0:3], 0 offset:608
	buffer_load_dword v38, off, s[0:3], 0 offset:612
	buffer_load_dword v39, off, s[0:3], 0 offset:648
	buffer_load_dword v40, off, s[0:3], 0 offset:652
	buffer_load_dword v42, off, s[0:3], 0 offset:628
	buffer_load_dword v41, off, s[0:3], 0 offset:624
	buffer_load_dword v44, off, s[0:3], 0 offset:668
	buffer_load_dword v43, off, s[0:3], 0 offset:664
	buffer_load_dword v45, off, s[0:3], 0 offset:640
	buffer_load_dword v46, off, s[0:3], 0 offset:644
	buffer_load_dword v47, off, s[0:3], 0 offset:680
	buffer_load_dword v48, off, s[0:3], 0 offset:684
	buffer_load_dword v50, off, s[0:3], 0 offset:660
	buffer_load_dword v49, off, s[0:3], 0 offset:656
	buffer_load_dword v52, off, s[0:3], 0 offset:700
	buffer_load_dword v51, off, s[0:3], 0 offset:696
	buffer_load_dword v53, off, s[0:3], 0 offset:672
	buffer_load_dword v54, off, s[0:3], 0 offset:676
	buffer_load_dword v55, off, s[0:3], 0 offset:712
	buffer_load_dword v56, off, s[0:3], 0 offset:716
	buffer_load_dword v58, off, s[0:3], 0 offset:692
	buffer_load_dword v57, off, s[0:3], 0 offset:688
	buffer_load_dword v60, off, s[0:3], 0 offset:732
	buffer_load_dword v59, off, s[0:3], 0 offset:728
	buffer_load_dword v61, off, s[0:3], 0 offset:704
	buffer_load_dword v62, off, s[0:3], 0 offset:708
	buffer_load_dword v65, off, s[0:3], 0 offset:724
	buffer_load_dword v64, off, s[0:3], 0 offset:720
	ds_read_b128 v[7:10], v1 offset:1248
	s_clause 0x3
	buffer_load_dword v66, off, s[0:3], 0 offset:528
	buffer_load_dword v67, off, s[0:3], 0 offset:532
	;; [unrolled: 1-line block ×4, first 2 shown]
	ds_read_b128 v[11:14], v1 offset:1264
	ds_read_b128 v[15:18], v1 offset:1280
	s_mov_b32 s4, exec_lo
	s_waitcnt vmcnt(50) lgkmcnt(2)
	v_mul_f64 v[70:71], v[9:10], v[2:3]
	v_mul_f64 v[2:3], v[7:8], v[2:3]
	s_waitcnt vmcnt(48) lgkmcnt(1)
	v_mul_f64 v[72:73], v[13:14], v[19:20]
	v_mul_f64 v[19:20], v[11:12], v[19:20]
	s_waitcnt vmcnt(46)
	v_fma_f64 v[70:71], v[7:8], v[21:22], -v[70:71]
	v_fma_f64 v[2:3], v[9:10], v[21:22], v[2:3]
	s_waitcnt vmcnt(44) lgkmcnt(0)
	v_mul_f64 v[21:22], v[15:16], v[23:24]
	v_mul_f64 v[23:24], v[17:18], v[23:24]
	s_waitcnt vmcnt(42)
	v_fma_f64 v[72:73], v[11:12], v[25:26], -v[72:73]
	ds_read_b128 v[7:10], v1 offset:1296
	v_fma_f64 v[19:20], v[13:14], v[25:26], v[19:20]
	ds_read_b128 v[11:14], v1 offset:1312
	v_add_f64 v[70:71], v[70:71], 0
	v_add_f64 v[2:3], v[2:3], 0
	s_waitcnt vmcnt(38)
	v_fma_f64 v[21:22], v[17:18], v[29:30], v[21:22]
	s_waitcnt lgkmcnt(1)
	v_mul_f64 v[25:26], v[7:8], v[27:28]
	v_mul_f64 v[27:28], v[9:10], v[27:28]
	v_fma_f64 v[23:24], v[15:16], v[29:30], -v[23:24]
	s_waitcnt vmcnt(36) lgkmcnt(0)
	v_mul_f64 v[29:30], v[13:14], v[31:32]
	ds_read_b128 v[15:18], v1 offset:1328
	v_add_f64 v[70:71], v[70:71], v[72:73]
	v_add_f64 v[2:3], v[2:3], v[19:20]
	v_mul_f64 v[19:20], v[11:12], v[31:32]
	s_waitcnt vmcnt(34)
	v_fma_f64 v[25:26], v[9:10], v[33:34], v[25:26]
	v_fma_f64 v[27:28], v[7:8], v[33:34], -v[27:28]
	ds_read_b128 v[7:10], v1 offset:1344
	s_waitcnt vmcnt(32) lgkmcnt(1)
	v_mul_f64 v[31:32], v[17:18], v[35:36]
	s_waitcnt vmcnt(30)
	v_fma_f64 v[29:30], v[11:12], v[37:38], -v[29:30]
	v_add_f64 v[23:24], v[70:71], v[23:24]
	v_add_f64 v[2:3], v[2:3], v[21:22]
	v_mul_f64 v[21:22], v[15:16], v[35:36]
	v_fma_f64 v[19:20], v[13:14], v[37:38], v[19:20]
	ds_read_b128 v[11:14], v1 offset:1360
	s_waitcnt vmcnt(26)
	v_fma_f64 v[31:32], v[15:16], v[41:42], -v[31:32]
	v_add_f64 v[23:24], v[23:24], v[27:28]
	v_add_f64 v[2:3], v[2:3], v[25:26]
	s_waitcnt lgkmcnt(1)
	v_mul_f64 v[27:28], v[9:10], v[39:40]
	v_mul_f64 v[25:26], v[7:8], v[39:40]
	v_fma_f64 v[21:22], v[17:18], v[41:42], v[21:22]
	ds_read_b128 v[15:18], v1 offset:1376
	v_add_f64 v[23:24], v[23:24], v[29:30]
	v_add_f64 v[2:3], v[2:3], v[19:20]
	s_waitcnt vmcnt(24) lgkmcnt(1)
	v_mul_f64 v[29:30], v[13:14], v[43:44]
	s_waitcnt vmcnt(22)
	v_fma_f64 v[27:28], v[7:8], v[45:46], -v[27:28]
	v_mul_f64 v[19:20], v[11:12], v[43:44]
	v_fma_f64 v[25:26], v[9:10], v[45:46], v[25:26]
	ds_read_b128 v[7:10], v1 offset:1392
	v_add_f64 v[23:24], v[23:24], v[31:32]
	v_add_f64 v[2:3], v[2:3], v[21:22]
	s_waitcnt vmcnt(20) lgkmcnt(1)
	v_mul_f64 v[31:32], v[17:18], v[47:48]
	s_waitcnt vmcnt(18)
	v_fma_f64 v[29:30], v[11:12], v[49:50], -v[29:30]
	;; [unrolled: 9-line block ×3, first 2 shown]
	v_mul_f64 v[25:26], v[7:8], v[51:52]
	v_fma_f64 v[17:18], v[17:18], v[53:54], v[21:22]
	s_waitcnt vmcnt(12) lgkmcnt(0)
	v_mul_f64 v[21:22], v[11:12], v[55:56]
	v_add_f64 v[23:24], v[23:24], v[29:30]
	v_add_f64 v[19:20], v[2:3], v[19:20]
	v_mul_f64 v[29:30], v[13:14], v[55:56]
	s_waitcnt vmcnt(10)
	v_fma_f64 v[7:8], v[7:8], v[57:58], -v[27:28]
	ds_read_b128 v[1:4], v1 offset:1424
	v_fma_f64 v[9:10], v[9:10], v[57:58], v[25:26]
	s_waitcnt vmcnt(6)
	v_fma_f64 v[13:14], v[13:14], v[61:62], v[21:22]
	v_add_f64 v[15:16], v[23:24], v[15:16]
	v_add_f64 v[17:18], v[19:20], v[17:18]
	s_waitcnt lgkmcnt(0)
	v_mul_f64 v[23:24], v[3:4], v[59:60]
	v_fma_f64 v[11:12], v[11:12], v[61:62], -v[29:30]
	v_mul_f64 v[19:20], v[1:2], v[59:60]
	v_add_f64 v[7:8], v[15:16], v[7:8]
	v_add_f64 v[9:10], v[17:18], v[9:10]
	s_waitcnt vmcnt(4)
	v_fma_f64 v[1:2], v[1:2], v[64:65], -v[23:24]
	v_fma_f64 v[3:4], v[3:4], v[64:65], v[19:20]
	v_add_f64 v[7:8], v[7:8], v[11:12]
	v_add_f64 v[9:10], v[9:10], v[13:14]
	v_add_f64 v[1:2], v[7:8], v[1:2]
	v_add_f64 v[3:4], v[9:10], v[3:4]
	s_waitcnt vmcnt(2)
	v_add_f64 v[1:2], v[66:67], -v[1:2]
	s_waitcnt vmcnt(0)
	v_add_f64 v[3:4], v[68:69], -v[3:4]
	buffer_store_dword v2, off, s[0:3], 0 offset:532
	buffer_store_dword v1, off, s[0:3], 0 offset:528
	;; [unrolled: 1-line block ×4, first 2 shown]
	v_cmpx_lt_u32_e32 31, v0
	s_cbranch_execz .LBB44_221
; %bb.220:
	v_mov_b32_e32 v4, s25
	v_mov_b32_e32 v7, 0
	s_clause 0x3
	buffer_load_dword v1, v4, s[0:3], 0 offen
	buffer_load_dword v2, v4, s[0:3], 0 offen offset:4
	buffer_load_dword v3, v4, s[0:3], 0 offen offset:8
	;; [unrolled: 1-line block ×3, first 2 shown]
	buffer_store_dword v7, off, s[0:3], 0 offset:512
	buffer_store_dword v7, off, s[0:3], 0 offset:516
	;; [unrolled: 1-line block ×4, first 2 shown]
	s_waitcnt vmcnt(0)
	ds_write_b128 v63, v[1:4]
.LBB44_221:
	s_or_b32 exec_lo, exec_lo, s4
	s_waitcnt lgkmcnt(0)
	s_waitcnt_vscnt null, 0x0
	s_barrier
	buffer_gl0_inv
	s_clause 0x33
	buffer_load_dword v2, off, s[0:3], 0 offset:536
	buffer_load_dword v3, off, s[0:3], 0 offset:540
	buffer_load_dword v19, off, s[0:3], 0 offset:552
	buffer_load_dword v20, off, s[0:3], 0 offset:556
	buffer_load_dword v21, off, s[0:3], 0 offset:528
	buffer_load_dword v22, off, s[0:3], 0 offset:532
	buffer_load_dword v23, off, s[0:3], 0 offset:568
	buffer_load_dword v24, off, s[0:3], 0 offset:572
	buffer_load_dword v25, off, s[0:3], 0 offset:544
	buffer_load_dword v26, off, s[0:3], 0 offset:548
	buffer_load_dword v28, off, s[0:3], 0 offset:588
	buffer_load_dword v29, off, s[0:3], 0 offset:600
	buffer_load_dword v31, off, s[0:3], 0 offset:592
	buffer_load_dword v27, off, s[0:3], 0 offset:584
	buffer_load_dword v33, off, s[0:3], 0 offset:560
	buffer_load_dword v34, off, s[0:3], 0 offset:564
	buffer_load_dword v30, off, s[0:3], 0 offset:604
	buffer_load_dword v36, off, s[0:3], 0 offset:580
	buffer_load_dword v35, off, s[0:3], 0 offset:576
	buffer_load_dword v38, off, s[0:3], 0 offset:620
	buffer_load_dword v39, off, s[0:3], 0 offset:632
	buffer_load_dword v41, off, s[0:3], 0 offset:624
	buffer_load_dword v37, off, s[0:3], 0 offset:616
	buffer_load_dword v32, off, s[0:3], 0 offset:596
	buffer_load_dword v40, off, s[0:3], 0 offset:636
	buffer_load_dword v44, off, s[0:3], 0 offset:612
	buffer_load_dword v43, off, s[0:3], 0 offset:608
	buffer_load_dword v46, off, s[0:3], 0 offset:652
	buffer_load_dword v47, off, s[0:3], 0 offset:664
	buffer_load_dword v49, off, s[0:3], 0 offset:656
	buffer_load_dword v45, off, s[0:3], 0 offset:648
	buffer_load_dword v42, off, s[0:3], 0 offset:628
	buffer_load_dword v48, off, s[0:3], 0 offset:668
	buffer_load_dword v52, off, s[0:3], 0 offset:644
	buffer_load_dword v51, off, s[0:3], 0 offset:640
	buffer_load_dword v54, off, s[0:3], 0 offset:684
	buffer_load_dword v55, off, s[0:3], 0 offset:696
	buffer_load_dword v57, off, s[0:3], 0 offset:688
	buffer_load_dword v53, off, s[0:3], 0 offset:680
	buffer_load_dword v50, off, s[0:3], 0 offset:660
	buffer_load_dword v56, off, s[0:3], 0 offset:700
	buffer_load_dword v60, off, s[0:3], 0 offset:676
	buffer_load_dword v59, off, s[0:3], 0 offset:672
	buffer_load_dword v62, off, s[0:3], 0 offset:716
	buffer_load_dword v64, off, s[0:3], 0 offset:728
	buffer_load_dword v66, off, s[0:3], 0 offset:720
	buffer_load_dword v61, off, s[0:3], 0 offset:712
	buffer_load_dword v58, off, s[0:3], 0 offset:692
	buffer_load_dword v65, off, s[0:3], 0 offset:732
	buffer_load_dword v69, off, s[0:3], 0 offset:708
	buffer_load_dword v68, off, s[0:3], 0 offset:704
	buffer_load_dword v67, off, s[0:3], 0 offset:724
	v_mov_b32_e32 v1, 0
	ds_read_b128 v[7:10], v1 offset:1232
	ds_read_b128 v[11:14], v1 offset:1248
	s_clause 0x3
	buffer_load_dword v72, off, s[0:3], 0 offset:512
	buffer_load_dword v73, off, s[0:3], 0 offset:516
	;; [unrolled: 1-line block ×4, first 2 shown]
	ds_read_b128 v[15:18], v1 offset:1264
	s_mov_b32 s4, exec_lo
	s_waitcnt vmcnt(54) lgkmcnt(2)
	v_mul_f64 v[70:71], v[9:10], v[2:3]
	v_mul_f64 v[2:3], v[7:8], v[2:3]
	s_waitcnt vmcnt(52) lgkmcnt(1)
	v_mul_f64 v[76:77], v[13:14], v[19:20]
	v_mul_f64 v[19:20], v[11:12], v[19:20]
	s_waitcnt vmcnt(50)
	v_fma_f64 v[70:71], v[7:8], v[21:22], -v[70:71]
	v_fma_f64 v[2:3], v[9:10], v[21:22], v[2:3]
	ds_read_b128 v[7:10], v1 offset:1280
	s_waitcnt vmcnt(48) lgkmcnt(1)
	v_mul_f64 v[21:22], v[15:16], v[23:24]
	v_mul_f64 v[23:24], v[17:18], v[23:24]
	s_waitcnt vmcnt(46)
	v_fma_f64 v[76:77], v[11:12], v[25:26], -v[76:77]
	v_fma_f64 v[19:20], v[13:14], v[25:26], v[19:20]
	ds_read_b128 v[11:14], v1 offset:1296
	s_waitcnt vmcnt(42) lgkmcnt(1)
	v_mul_f64 v[25:26], v[7:8], v[27:28]
	v_add_f64 v[70:71], v[70:71], 0
	v_add_f64 v[2:3], v[2:3], 0
	v_mul_f64 v[27:28], v[9:10], v[27:28]
	s_waitcnt vmcnt(40)
	v_fma_f64 v[23:24], v[15:16], v[33:34], -v[23:24]
	v_fma_f64 v[21:22], v[17:18], v[33:34], v[21:22]
	ds_read_b128 v[15:18], v1 offset:1312
	s_waitcnt vmcnt(37)
	v_fma_f64 v[25:26], v[9:10], v[35:36], v[25:26]
	v_add_f64 v[70:71], v[70:71], v[76:77]
	v_add_f64 v[2:3], v[2:3], v[19:20]
	s_waitcnt lgkmcnt(1)
	v_mul_f64 v[19:20], v[11:12], v[29:30]
	v_mul_f64 v[29:30], v[13:14], v[29:30]
	v_fma_f64 v[27:28], v[7:8], v[35:36], -v[27:28]
	s_waitcnt vmcnt(33) lgkmcnt(0)
	v_mul_f64 v[33:34], v[17:18], v[37:38]
	ds_read_b128 v[7:10], v1 offset:1328
	v_add_f64 v[23:24], v[70:71], v[23:24]
	v_add_f64 v[2:3], v[2:3], v[21:22]
	v_mul_f64 v[21:22], v[15:16], v[37:38]
	s_waitcnt vmcnt(32)
	v_fma_f64 v[29:30], v[11:12], v[31:32], -v[29:30]
	v_fma_f64 v[19:20], v[13:14], v[31:32], v[19:20]
	ds_read_b128 v[11:14], v1 offset:1344
	s_waitcnt vmcnt(29)
	v_fma_f64 v[31:32], v[15:16], v[43:44], -v[33:34]
	v_add_f64 v[23:24], v[23:24], v[27:28]
	v_add_f64 v[2:3], v[2:3], v[25:26]
	s_waitcnt lgkmcnt(1)
	v_mul_f64 v[27:28], v[9:10], v[39:40]
	v_mul_f64 v[25:26], v[7:8], v[39:40]
	v_fma_f64 v[21:22], v[17:18], v[43:44], v[21:22]
	ds_read_b128 v[15:18], v1 offset:1360
	v_add_f64 v[23:24], v[23:24], v[29:30]
	v_add_f64 v[2:3], v[2:3], v[19:20]
	s_waitcnt vmcnt(25) lgkmcnt(1)
	v_mul_f64 v[29:30], v[13:14], v[45:46]
	s_waitcnt vmcnt(24)
	v_fma_f64 v[27:28], v[7:8], v[41:42], -v[27:28]
	v_mul_f64 v[19:20], v[11:12], v[45:46]
	v_fma_f64 v[25:26], v[9:10], v[41:42], v[25:26]
	ds_read_b128 v[7:10], v1 offset:1376
	v_add_f64 v[23:24], v[23:24], v[31:32]
	v_add_f64 v[2:3], v[2:3], v[21:22]
	s_waitcnt vmcnt(23) lgkmcnt(1)
	v_mul_f64 v[31:32], v[17:18], v[47:48]
	s_waitcnt vmcnt(21)
	v_fma_f64 v[29:30], v[11:12], v[51:52], -v[29:30]
	;; [unrolled: 9-line block ×5, first 2 shown]
	v_mul_f64 v[21:22], v[15:16], v[61:62]
	v_fma_f64 v[13:14], v[13:14], v[57:58], v[19:20]
	s_waitcnt vmcnt(7) lgkmcnt(0)
	v_mul_f64 v[19:20], v[7:8], v[64:65]
	v_add_f64 v[23:24], v[23:24], v[27:28]
	v_add_f64 v[2:3], v[2:3], v[25:26]
	v_mul_f64 v[25:26], v[9:10], v[64:65]
	s_waitcnt vmcnt(5)
	v_fma_f64 v[15:16], v[15:16], v[68:69], -v[31:32]
	v_fma_f64 v[17:18], v[17:18], v[68:69], v[21:22]
	s_waitcnt vmcnt(4)
	v_fma_f64 v[9:10], v[9:10], v[66:67], v[19:20]
	v_add_f64 v[11:12], v[23:24], v[11:12]
	v_add_f64 v[2:3], v[2:3], v[13:14]
	v_fma_f64 v[7:8], v[7:8], v[66:67], -v[25:26]
	v_add_f64 v[11:12], v[11:12], v[15:16]
	v_add_f64 v[2:3], v[2:3], v[17:18]
	;; [unrolled: 1-line block ×4, first 2 shown]
	s_waitcnt vmcnt(2)
	v_add_f64 v[7:8], v[72:73], -v[7:8]
	s_waitcnt vmcnt(0)
	v_add_f64 v[2:3], v[74:75], -v[2:3]
	buffer_store_dword v8, off, s[0:3], 0 offset:516
	buffer_store_dword v7, off, s[0:3], 0 offset:512
	;; [unrolled: 1-line block ×4, first 2 shown]
	v_cmpx_lt_u32_e32 30, v0
	s_cbranch_execz .LBB44_223
; %bb.222:
	v_mov_b32_e32 v2, s26
	s_clause 0x3
	buffer_load_dword v7, v2, s[0:3], 0 offen
	buffer_load_dword v8, v2, s[0:3], 0 offen offset:4
	buffer_load_dword v9, v2, s[0:3], 0 offen offset:8
	;; [unrolled: 1-line block ×3, first 2 shown]
	buffer_store_dword v1, off, s[0:3], 0 offset:496
	buffer_store_dword v1, off, s[0:3], 0 offset:500
	buffer_store_dword v1, off, s[0:3], 0 offset:504
	buffer_store_dword v1, off, s[0:3], 0 offset:508
	s_waitcnt vmcnt(0)
	ds_write_b128 v63, v[7:10]
.LBB44_223:
	s_or_b32 exec_lo, exec_lo, s4
	s_waitcnt lgkmcnt(0)
	s_waitcnt_vscnt null, 0x0
	s_barrier
	buffer_gl0_inv
	s_clause 0x35
	buffer_load_dword v2, off, s[0:3], 0 offset:520
	buffer_load_dword v3, off, s[0:3], 0 offset:524
	;; [unrolled: 1-line block ×54, first 2 shown]
	ds_read_b128 v[7:10], v1 offset:1216
	s_clause 0x1
	buffer_load_dword v73, off, s[0:3], 0 offset:724
	buffer_load_dword v72, off, s[0:3], 0 offset:720
	ds_read_b128 v[11:14], v1 offset:1232
	ds_read_b128 v[15:18], v1 offset:1248
	s_mov_b32 s4, exec_lo
	s_waitcnt vmcnt(54) lgkmcnt(2)
	v_mul_f64 v[74:75], v[9:10], v[2:3]
	v_mul_f64 v[2:3], v[7:8], v[2:3]
	s_waitcnt vmcnt(52) lgkmcnt(1)
	v_mul_f64 v[76:77], v[13:14], v[19:20]
	v_mul_f64 v[19:20], v[11:12], v[19:20]
	;; [unrolled: 3-line block ×3, first 2 shown]
	v_fma_f64 v[74:75], v[7:8], v[21:22], -v[74:75]
	v_fma_f64 v[2:3], v[9:10], v[21:22], v[2:3]
	s_clause 0x3
	buffer_load_dword v21, off, s[0:3], 0 offset:496
	buffer_load_dword v22, off, s[0:3], 0 offset:500
	;; [unrolled: 1-line block ×4, first 2 shown]
	s_waitcnt vmcnt(50)
	v_fma_f64 v[76:77], v[11:12], v[25:26], -v[76:77]
	ds_read_b128 v[7:10], v1 offset:1264
	v_fma_f64 v[19:20], v[13:14], v[25:26], v[19:20]
	ds_read_b128 v[11:14], v1 offset:1280
	s_waitcnt vmcnt(44)
	v_fma_f64 v[23:24], v[15:16], v[33:34], -v[23:24]
	v_fma_f64 v[33:34], v[17:18], v[33:34], v[80:81]
	ds_read_b128 v[15:18], v1 offset:1296
	v_add_f64 v[74:75], v[74:75], 0
	v_add_f64 v[2:3], v[2:3], 0
	s_waitcnt lgkmcnt(2)
	v_mul_f64 v[25:26], v[7:8], v[27:28]
	v_mul_f64 v[27:28], v[9:10], v[27:28]
	v_add_f64 v[74:75], v[74:75], v[76:77]
	v_add_f64 v[2:3], v[2:3], v[19:20]
	s_waitcnt vmcnt(43) lgkmcnt(1)
	v_mul_f64 v[19:20], v[11:12], v[29:30]
	v_mul_f64 v[29:30], v[13:14], v[29:30]
	s_waitcnt vmcnt(41)
	v_fma_f64 v[27:28], v[7:8], v[35:36], -v[27:28]
	v_fma_f64 v[25:26], v[9:10], v[35:36], v[25:26]
	ds_read_b128 v[7:10], v1 offset:1312
	s_waitcnt vmcnt(37) lgkmcnt(1)
	v_mul_f64 v[35:36], v[17:18], v[37:38]
	v_add_f64 v[23:24], v[74:75], v[23:24]
	v_add_f64 v[2:3], v[2:3], v[33:34]
	v_mul_f64 v[33:34], v[15:16], v[37:38]
	s_waitcnt vmcnt(36)
	v_fma_f64 v[29:30], v[11:12], v[31:32], -v[29:30]
	v_fma_f64 v[19:20], v[13:14], v[31:32], v[19:20]
	ds_read_b128 v[11:14], v1 offset:1328
	s_waitcnt vmcnt(33)
	v_fma_f64 v[31:32], v[15:16], v[43:44], -v[35:36]
	v_add_f64 v[23:24], v[23:24], v[27:28]
	v_add_f64 v[2:3], v[2:3], v[25:26]
	s_waitcnt lgkmcnt(1)
	v_mul_f64 v[27:28], v[9:10], v[39:40]
	v_mul_f64 v[25:26], v[7:8], v[39:40]
	v_add_f64 v[23:24], v[23:24], v[29:30]
	v_fma_f64 v[29:30], v[17:18], v[43:44], v[33:34]
	v_add_f64 v[2:3], v[2:3], v[19:20]
	ds_read_b128 v[15:18], v1 offset:1344
	s_waitcnt vmcnt(29) lgkmcnt(1)
	v_mul_f64 v[33:34], v[13:14], v[45:46]
	s_waitcnt vmcnt(28)
	v_fma_f64 v[27:28], v[7:8], v[41:42], -v[27:28]
	v_mul_f64 v[19:20], v[11:12], v[45:46]
	v_fma_f64 v[25:26], v[9:10], v[41:42], v[25:26]
	ds_read_b128 v[7:10], v1 offset:1360
	v_add_f64 v[23:24], v[23:24], v[31:32]
	s_waitcnt vmcnt(27) lgkmcnt(1)
	v_mul_f64 v[31:32], v[17:18], v[47:48]
	v_add_f64 v[2:3], v[2:3], v[29:30]
	v_mul_f64 v[29:30], v[15:16], v[47:48]
	s_waitcnt vmcnt(25)
	v_fma_f64 v[33:34], v[11:12], v[51:52], -v[33:34]
	v_fma_f64 v[19:20], v[13:14], v[51:52], v[19:20]
	ds_read_b128 v[11:14], v1 offset:1376
	v_add_f64 v[23:24], v[23:24], v[27:28]
	s_waitcnt vmcnt(21) lgkmcnt(1)
	v_mul_f64 v[27:28], v[9:10], v[53:54]
	v_add_f64 v[2:3], v[2:3], v[25:26]
	s_waitcnt vmcnt(20)
	v_fma_f64 v[31:32], v[15:16], v[49:50], -v[31:32]
	v_mul_f64 v[25:26], v[7:8], v[53:54]
	v_fma_f64 v[29:30], v[17:18], v[49:50], v[29:30]
	ds_read_b128 v[15:18], v1 offset:1392
	v_add_f64 v[23:24], v[23:24], v[33:34]
	s_waitcnt vmcnt(19) lgkmcnt(1)
	v_mul_f64 v[33:34], v[13:14], v[55:56]
	v_add_f64 v[2:3], v[2:3], v[19:20]
	s_waitcnt vmcnt(17)
	v_fma_f64 v[27:28], v[7:8], v[59:60], -v[27:28]
	v_mul_f64 v[19:20], v[11:12], v[55:56]
	;; [unrolled: 9-line block ×3, first 2 shown]
	v_fma_f64 v[13:14], v[13:14], v[57:58], v[19:20]
	v_add_f64 v[23:24], v[23:24], v[27:28]
	s_waitcnt vmcnt(11) lgkmcnt(0)
	v_mul_f64 v[27:28], v[9:10], v[64:65]
	v_add_f64 v[19:20], v[2:3], v[25:26]
	s_waitcnt vmcnt(9)
	v_fma_f64 v[15:16], v[15:16], v[68:69], -v[31:32]
	ds_read_b128 v[1:4], v1 offset:1424
	v_mul_f64 v[25:26], v[7:8], v[64:65]
	v_fma_f64 v[17:18], v[17:18], v[68:69], v[29:30]
	v_add_f64 v[11:12], v[23:24], v[11:12]
	s_waitcnt vmcnt(6)
	v_fma_f64 v[7:8], v[7:8], v[66:67], -v[27:28]
	v_add_f64 v[13:14], v[19:20], v[13:14]
	s_waitcnt lgkmcnt(0)
	v_mul_f64 v[23:24], v[3:4], v[70:71]
	v_mul_f64 v[19:20], v[1:2], v[70:71]
	v_fma_f64 v[9:10], v[9:10], v[66:67], v[25:26]
	v_add_f64 v[11:12], v[11:12], v[15:16]
	v_add_f64 v[13:14], v[13:14], v[17:18]
	s_waitcnt vmcnt(4)
	v_fma_f64 v[1:2], v[1:2], v[72:73], -v[23:24]
	v_fma_f64 v[3:4], v[3:4], v[72:73], v[19:20]
	v_add_f64 v[7:8], v[11:12], v[7:8]
	v_add_f64 v[9:10], v[13:14], v[9:10]
	;; [unrolled: 1-line block ×4, first 2 shown]
	s_waitcnt vmcnt(2)
	v_add_f64 v[1:2], v[21:22], -v[1:2]
	s_waitcnt vmcnt(0)
	v_add_f64 v[3:4], v[78:79], -v[3:4]
	buffer_store_dword v2, off, s[0:3], 0 offset:500
	buffer_store_dword v1, off, s[0:3], 0 offset:496
	;; [unrolled: 1-line block ×4, first 2 shown]
	v_cmpx_lt_u32_e32 29, v0
	s_cbranch_execz .LBB44_225
; %bb.224:
	v_mov_b32_e32 v4, s27
	v_mov_b32_e32 v7, 0
	s_clause 0x3
	buffer_load_dword v1, v4, s[0:3], 0 offen
	buffer_load_dword v2, v4, s[0:3], 0 offen offset:4
	buffer_load_dword v3, v4, s[0:3], 0 offen offset:8
	;; [unrolled: 1-line block ×3, first 2 shown]
	buffer_store_dword v7, off, s[0:3], 0 offset:480
	buffer_store_dword v7, off, s[0:3], 0 offset:484
	;; [unrolled: 1-line block ×4, first 2 shown]
	s_waitcnt vmcnt(0)
	ds_write_b128 v63, v[1:4]
.LBB44_225:
	s_or_b32 exec_lo, exec_lo, s4
	s_waitcnt lgkmcnt(0)
	s_waitcnt_vscnt null, 0x0
	s_barrier
	buffer_gl0_inv
	s_clause 0x37
	buffer_load_dword v2, off, s[0:3], 0 offset:504
	buffer_load_dword v3, off, s[0:3], 0 offset:508
	buffer_load_dword v19, off, s[0:3], 0 offset:520
	buffer_load_dword v20, off, s[0:3], 0 offset:524
	buffer_load_dword v21, off, s[0:3], 0 offset:496
	buffer_load_dword v22, off, s[0:3], 0 offset:500
	buffer_load_dword v23, off, s[0:3], 0 offset:536
	buffer_load_dword v24, off, s[0:3], 0 offset:540
	buffer_load_dword v25, off, s[0:3], 0 offset:512
	buffer_load_dword v26, off, s[0:3], 0 offset:516
	buffer_load_dword v28, off, s[0:3], 0 offset:556
	buffer_load_dword v29, off, s[0:3], 0 offset:568
	buffer_load_dword v31, off, s[0:3], 0 offset:560
	buffer_load_dword v27, off, s[0:3], 0 offset:552
	buffer_load_dword v33, off, s[0:3], 0 offset:528
	buffer_load_dword v34, off, s[0:3], 0 offset:532
	buffer_load_dword v30, off, s[0:3], 0 offset:572
	buffer_load_dword v36, off, s[0:3], 0 offset:548
	buffer_load_dword v35, off, s[0:3], 0 offset:544
	buffer_load_dword v38, off, s[0:3], 0 offset:588
	buffer_load_dword v39, off, s[0:3], 0 offset:600
	buffer_load_dword v41, off, s[0:3], 0 offset:592
	buffer_load_dword v37, off, s[0:3], 0 offset:584
	buffer_load_dword v32, off, s[0:3], 0 offset:564
	buffer_load_dword v40, off, s[0:3], 0 offset:604
	buffer_load_dword v44, off, s[0:3], 0 offset:580
	buffer_load_dword v43, off, s[0:3], 0 offset:576
	buffer_load_dword v46, off, s[0:3], 0 offset:620
	buffer_load_dword v47, off, s[0:3], 0 offset:632
	buffer_load_dword v49, off, s[0:3], 0 offset:624
	buffer_load_dword v45, off, s[0:3], 0 offset:616
	buffer_load_dword v42, off, s[0:3], 0 offset:596
	buffer_load_dword v48, off, s[0:3], 0 offset:636
	buffer_load_dword v52, off, s[0:3], 0 offset:612
	buffer_load_dword v51, off, s[0:3], 0 offset:608
	buffer_load_dword v54, off, s[0:3], 0 offset:652
	buffer_load_dword v55, off, s[0:3], 0 offset:664
	buffer_load_dword v57, off, s[0:3], 0 offset:656
	buffer_load_dword v53, off, s[0:3], 0 offset:648
	buffer_load_dword v50, off, s[0:3], 0 offset:628
	buffer_load_dword v56, off, s[0:3], 0 offset:668
	buffer_load_dword v60, off, s[0:3], 0 offset:644
	buffer_load_dword v59, off, s[0:3], 0 offset:640
	buffer_load_dword v62, off, s[0:3], 0 offset:684
	buffer_load_dword v64, off, s[0:3], 0 offset:696
	buffer_load_dword v66, off, s[0:3], 0 offset:688
	buffer_load_dword v61, off, s[0:3], 0 offset:680
	buffer_load_dword v58, off, s[0:3], 0 offset:660
	buffer_load_dword v65, off, s[0:3], 0 offset:700
	buffer_load_dword v69, off, s[0:3], 0 offset:676
	buffer_load_dword v68, off, s[0:3], 0 offset:672
	buffer_load_dword v71, off, s[0:3], 0 offset:716
	buffer_load_dword v72, off, s[0:3], 0 offset:728
	buffer_load_dword v74, off, s[0:3], 0 offset:720
	buffer_load_dword v70, off, s[0:3], 0 offset:712
	buffer_load_dword v67, off, s[0:3], 0 offset:692
	v_mov_b32_e32 v1, 0
	s_mov_b32 s4, exec_lo
	ds_read_b128 v[7:10], v1 offset:1200
	s_clause 0x2
	buffer_load_dword v73, off, s[0:3], 0 offset:732
	buffer_load_dword v77, off, s[0:3], 0 offset:708
	;; [unrolled: 1-line block ×3, first 2 shown]
	ds_read_b128 v[11:14], v1 offset:1216
	ds_read_b128 v[15:18], v1 offset:1232
	buffer_load_dword v75, off, s[0:3], 0 offset:724
	s_waitcnt vmcnt(58) lgkmcnt(2)
	v_mul_f64 v[78:79], v[9:10], v[2:3]
	v_mul_f64 v[2:3], v[7:8], v[2:3]
	s_waitcnt vmcnt(56) lgkmcnt(1)
	v_mul_f64 v[80:81], v[13:14], v[19:20]
	v_mul_f64 v[19:20], v[11:12], v[19:20]
	s_waitcnt vmcnt(54)
	v_fma_f64 v[78:79], v[7:8], v[21:22], -v[78:79]
	v_fma_f64 v[2:3], v[9:10], v[21:22], v[2:3]
	s_waitcnt vmcnt(52) lgkmcnt(0)
	v_mul_f64 v[21:22], v[15:16], v[23:24]
	v_mul_f64 v[23:24], v[17:18], v[23:24]
	s_waitcnt vmcnt(50)
	v_fma_f64 v[80:81], v[11:12], v[25:26], -v[80:81]
	ds_read_b128 v[7:10], v1 offset:1248
	v_fma_f64 v[19:20], v[13:14], v[25:26], v[19:20]
	s_clause 0x3
	buffer_load_dword v25, off, s[0:3], 0 offset:480
	buffer_load_dword v26, off, s[0:3], 0 offset:484
	;; [unrolled: 1-line block ×4, first 2 shown]
	ds_read_b128 v[11:14], v1 offset:1264
	v_add_f64 v[78:79], v[78:79], 0
	v_add_f64 v[2:3], v[2:3], 0
	s_waitcnt vmcnt(48)
	v_fma_f64 v[21:22], v[17:18], v[33:34], v[21:22]
	s_waitcnt lgkmcnt(1)
	v_mul_f64 v[84:85], v[7:8], v[27:28]
	v_mul_f64 v[27:28], v[9:10], v[27:28]
	v_fma_f64 v[23:24], v[15:16], v[33:34], -v[23:24]
	ds_read_b128 v[15:18], v1 offset:1280
	v_add_f64 v[78:79], v[78:79], v[80:81]
	v_add_f64 v[2:3], v[2:3], v[19:20]
	s_waitcnt vmcnt(47) lgkmcnt(1)
	v_mul_f64 v[19:20], v[11:12], v[29:30]
	v_mul_f64 v[29:30], v[13:14], v[29:30]
	s_waitcnt vmcnt(45)
	v_fma_f64 v[27:28], v[7:8], v[35:36], -v[27:28]
	v_fma_f64 v[33:34], v[9:10], v[35:36], v[84:85]
	s_waitcnt vmcnt(41) lgkmcnt(0)
	v_mul_f64 v[35:36], v[17:18], v[37:38]
	ds_read_b128 v[7:10], v1 offset:1296
	v_add_f64 v[23:24], v[78:79], v[23:24]
	v_add_f64 v[2:3], v[2:3], v[21:22]
	v_mul_f64 v[21:22], v[15:16], v[37:38]
	s_waitcnt vmcnt(40)
	v_fma_f64 v[29:30], v[11:12], v[31:32], -v[29:30]
	v_fma_f64 v[19:20], v[13:14], v[31:32], v[19:20]
	ds_read_b128 v[11:14], v1 offset:1312
	s_waitcnt vmcnt(39) lgkmcnt(1)
	v_mul_f64 v[31:32], v[9:10], v[39:40]
	v_add_f64 v[23:24], v[23:24], v[27:28]
	v_add_f64 v[2:3], v[2:3], v[33:34]
	s_waitcnt vmcnt(37)
	v_fma_f64 v[33:34], v[15:16], v[43:44], -v[35:36]
	v_mul_f64 v[27:28], v[7:8], v[39:40]
	v_fma_f64 v[21:22], v[17:18], v[43:44], v[21:22]
	ds_read_b128 v[15:18], v1 offset:1328
	s_waitcnt vmcnt(32)
	v_fma_f64 v[31:32], v[7:8], v[41:42], -v[31:32]
	v_add_f64 v[23:24], v[23:24], v[29:30]
	v_add_f64 v[2:3], v[2:3], v[19:20]
	s_waitcnt lgkmcnt(1)
	v_mul_f64 v[29:30], v[13:14], v[45:46]
	v_mul_f64 v[19:20], v[11:12], v[45:46]
	v_fma_f64 v[27:28], v[9:10], v[41:42], v[27:28]
	ds_read_b128 v[7:10], v1 offset:1344
	v_add_f64 v[23:24], v[23:24], v[33:34]
	v_add_f64 v[2:3], v[2:3], v[21:22]
	s_waitcnt vmcnt(31) lgkmcnt(1)
	v_mul_f64 v[33:34], v[17:18], v[47:48]
	s_waitcnt vmcnt(29)
	v_fma_f64 v[29:30], v[11:12], v[51:52], -v[29:30]
	v_mul_f64 v[21:22], v[15:16], v[47:48]
	v_fma_f64 v[19:20], v[13:14], v[51:52], v[19:20]
	ds_read_b128 v[11:14], v1 offset:1360
	v_add_f64 v[23:24], v[23:24], v[31:32]
	v_add_f64 v[2:3], v[2:3], v[27:28]
	s_waitcnt vmcnt(25) lgkmcnt(1)
	v_mul_f64 v[31:32], v[9:10], v[53:54]
	s_waitcnt vmcnt(24)
	v_fma_f64 v[33:34], v[15:16], v[49:50], -v[33:34]
	;; [unrolled: 9-line block ×6, first 2 shown]
	v_mul_f64 v[19:20], v[11:12], v[70:71]
	v_fma_f64 v[9:10], v[9:10], v[66:67], v[27:28]
	s_waitcnt vmcnt(7) lgkmcnt(0)
	v_mul_f64 v[27:28], v[17:18], v[72:73]
	v_add_f64 v[23:24], v[23:24], v[33:34]
	v_add_f64 v[2:3], v[2:3], v[21:22]
	s_waitcnt vmcnt(5)
	v_fma_f64 v[11:12], v[11:12], v[76:77], -v[29:30]
	v_mul_f64 v[21:22], v[15:16], v[72:73]
	v_fma_f64 v[13:14], v[13:14], v[76:77], v[19:20]
	v_add_f64 v[7:8], v[23:24], v[7:8]
	v_add_f64 v[2:3], v[2:3], v[9:10]
	s_waitcnt vmcnt(4)
	v_fma_f64 v[9:10], v[15:16], v[74:75], -v[27:28]
	v_add_f64 v[7:8], v[7:8], v[11:12]
	v_fma_f64 v[11:12], v[17:18], v[74:75], v[21:22]
	v_add_f64 v[2:3], v[2:3], v[13:14]
	v_add_f64 v[7:8], v[7:8], v[9:10]
	;; [unrolled: 1-line block ×3, first 2 shown]
	s_waitcnt vmcnt(2)
	v_add_f64 v[7:8], v[25:26], -v[7:8]
	s_waitcnt vmcnt(0)
	v_add_f64 v[2:3], v[82:83], -v[2:3]
	buffer_store_dword v8, off, s[0:3], 0 offset:484
	buffer_store_dword v7, off, s[0:3], 0 offset:480
	;; [unrolled: 1-line block ×4, first 2 shown]
	v_cmpx_lt_u32_e32 28, v0
	s_cbranch_execz .LBB44_227
; %bb.226:
	v_mov_b32_e32 v2, s28
	s_clause 0x3
	buffer_load_dword v7, v2, s[0:3], 0 offen
	buffer_load_dword v8, v2, s[0:3], 0 offen offset:4
	buffer_load_dword v9, v2, s[0:3], 0 offen offset:8
	;; [unrolled: 1-line block ×3, first 2 shown]
	buffer_store_dword v1, off, s[0:3], 0 offset:464
	buffer_store_dword v1, off, s[0:3], 0 offset:468
	;; [unrolled: 1-line block ×4, first 2 shown]
	s_waitcnt vmcnt(0)
	ds_write_b128 v63, v[7:10]
.LBB44_227:
	s_or_b32 exec_lo, exec_lo, s4
	s_waitcnt lgkmcnt(0)
	s_waitcnt_vscnt null, 0x0
	s_barrier
	buffer_gl0_inv
	s_clause 0x37
	buffer_load_dword v2, off, s[0:3], 0 offset:488
	buffer_load_dword v3, off, s[0:3], 0 offset:492
	;; [unrolled: 1-line block ×56, first 2 shown]
	ds_read_b128 v[7:10], v1 offset:1184
	s_clause 0x2
	buffer_load_dword v73, off, s[0:3], 0 offset:716
	buffer_load_dword v77, off, s[0:3], 0 offset:692
	;; [unrolled: 1-line block ×3, first 2 shown]
	ds_read_b128 v[11:14], v1 offset:1200
	s_clause 0x2
	buffer_load_dword v81, off, s[0:3], 0 offset:732
	buffer_load_dword v80, off, s[0:3], 0 offset:728
	;; [unrolled: 1-line block ×3, first 2 shown]
	ds_read_b128 v[15:18], v1 offset:1216
	s_mov_b32 s4, exec_lo
	s_waitcnt vmcnt(60) lgkmcnt(2)
	v_mul_f64 v[78:79], v[9:10], v[2:3]
	v_mul_f64 v[2:3], v[7:8], v[2:3]
	s_waitcnt vmcnt(58) lgkmcnt(1)
	v_mul_f64 v[82:83], v[13:14], v[19:20]
	v_mul_f64 v[19:20], v[11:12], v[19:20]
	;; [unrolled: 3-line block ×3, first 2 shown]
	v_fma_f64 v[78:79], v[7:8], v[21:22], -v[78:79]
	v_fma_f64 v[2:3], v[9:10], v[21:22], v[2:3]
	s_clause 0x1
	buffer_load_dword v22, off, s[0:3], 0 offset:724
	buffer_load_dword v21, off, s[0:3], 0 offset:720
	s_waitcnt vmcnt(54)
	v_fma_f64 v[82:83], v[11:12], v[25:26], -v[82:83]
	ds_read_b128 v[7:10], v1 offset:1232
	v_fma_f64 v[19:20], v[13:14], v[25:26], v[19:20]
	ds_read_b128 v[11:14], v1 offset:1248
	s_waitcnt vmcnt(48)
	v_fma_f64 v[23:24], v[15:16], v[33:34], -v[23:24]
	v_fma_f64 v[33:34], v[17:18], v[33:34], v[84:85]
	v_add_f64 v[78:79], v[78:79], 0
	v_add_f64 v[2:3], v[2:3], 0
	s_waitcnt lgkmcnt(1)
	v_mul_f64 v[25:26], v[7:8], v[27:28]
	v_mul_f64 v[27:28], v[9:10], v[27:28]
	s_waitcnt vmcnt(47) lgkmcnt(0)
	v_mul_f64 v[84:85], v[11:12], v[29:30]
	v_mul_f64 v[29:30], v[13:14], v[29:30]
	v_add_f64 v[78:79], v[78:79], v[82:83]
	v_add_f64 v[2:3], v[2:3], v[19:20]
	s_clause 0x3
	buffer_load_dword v19, off, s[0:3], 0 offset:464
	buffer_load_dword v20, off, s[0:3], 0 offset:468
	;; [unrolled: 1-line block ×4, first 2 shown]
	s_waitcnt vmcnt(49)
	v_fma_f64 v[27:28], v[7:8], v[35:36], -v[27:28]
	ds_read_b128 v[15:18], v1 offset:1264
	v_fma_f64 v[25:26], v[9:10], v[35:36], v[25:26]
	ds_read_b128 v[7:10], v1 offset:1280
	s_waitcnt vmcnt(44)
	v_fma_f64 v[29:30], v[11:12], v[31:32], -v[29:30]
	v_add_f64 v[23:24], v[78:79], v[23:24]
	v_add_f64 v[2:3], v[2:3], v[33:34]
	s_waitcnt lgkmcnt(1)
	v_mul_f64 v[35:36], v[17:18], v[37:38]
	v_mul_f64 v[33:34], v[15:16], v[37:38]
	v_add_f64 v[23:24], v[23:24], v[27:28]
	v_fma_f64 v[27:28], v[13:14], v[31:32], v[84:85]
	v_add_f64 v[2:3], v[2:3], v[25:26]
	s_waitcnt vmcnt(43) lgkmcnt(0)
	v_mul_f64 v[31:32], v[9:10], v[39:40]
	s_waitcnt vmcnt(41)
	v_fma_f64 v[35:36], v[15:16], v[43:44], -v[35:36]
	ds_read_b128 v[11:14], v1 offset:1296
	v_mul_f64 v[25:26], v[7:8], v[39:40]
	v_add_f64 v[23:24], v[23:24], v[29:30]
	v_fma_f64 v[29:30], v[17:18], v[43:44], v[33:34]
	v_add_f64 v[2:3], v[2:3], v[27:28]
	ds_read_b128 v[15:18], v1 offset:1312
	s_waitcnt vmcnt(37) lgkmcnt(1)
	v_mul_f64 v[33:34], v[13:14], v[45:46]
	s_waitcnt vmcnt(36)
	v_fma_f64 v[31:32], v[7:8], v[41:42], -v[31:32]
	v_mul_f64 v[27:28], v[11:12], v[45:46]
	v_fma_f64 v[25:26], v[9:10], v[41:42], v[25:26]
	ds_read_b128 v[7:10], v1 offset:1328
	v_add_f64 v[23:24], v[23:24], v[35:36]
	s_waitcnt vmcnt(35) lgkmcnt(1)
	v_mul_f64 v[35:36], v[17:18], v[47:48]
	v_add_f64 v[2:3], v[2:3], v[29:30]
	v_mul_f64 v[29:30], v[15:16], v[47:48]
	s_waitcnt vmcnt(33)
	v_fma_f64 v[33:34], v[11:12], v[51:52], -v[33:34]
	v_fma_f64 v[27:28], v[13:14], v[51:52], v[27:28]
	ds_read_b128 v[11:14], v1 offset:1344
	v_add_f64 v[23:24], v[23:24], v[31:32]
	s_waitcnt vmcnt(29) lgkmcnt(1)
	v_mul_f64 v[31:32], v[9:10], v[53:54]
	v_add_f64 v[2:3], v[2:3], v[25:26]
	s_waitcnt vmcnt(28)
	v_fma_f64 v[35:36], v[15:16], v[49:50], -v[35:36]
	v_mul_f64 v[25:26], v[7:8], v[53:54]
	v_fma_f64 v[29:30], v[17:18], v[49:50], v[29:30]
	ds_read_b128 v[15:18], v1 offset:1360
	v_add_f64 v[23:24], v[23:24], v[33:34]
	s_waitcnt vmcnt(27) lgkmcnt(1)
	v_mul_f64 v[33:34], v[13:14], v[55:56]
	v_add_f64 v[2:3], v[2:3], v[27:28]
	s_waitcnt vmcnt(25)
	v_fma_f64 v[31:32], v[7:8], v[59:60], -v[31:32]
	v_mul_f64 v[27:28], v[11:12], v[55:56]
	;; [unrolled: 9-line block ×5, first 2 shown]
	v_fma_f64 v[9:10], v[9:10], v[66:67], v[25:26]
	s_waitcnt vmcnt(11) lgkmcnt(0)
	v_mul_f64 v[31:32], v[17:18], v[72:73]
	v_add_f64 v[23:24], v[23:24], v[35:36]
	s_waitcnt vmcnt(9)
	v_fma_f64 v[11:12], v[11:12], v[76:77], -v[33:34]
	v_add_f64 v[25:26], v[2:3], v[29:30]
	ds_read_b128 v[1:4], v1 offset:1424
	v_mul_f64 v[29:30], v[15:16], v[72:73]
	v_fma_f64 v[13:14], v[13:14], v[76:77], v[27:28]
	s_waitcnt vmcnt(6)
	v_fma_f64 v[15:16], v[15:16], v[74:75], -v[31:32]
	v_add_f64 v[7:8], v[23:24], v[7:8]
	s_waitcnt lgkmcnt(0)
	v_mul_f64 v[23:24], v[1:2], v[80:81]
	v_add_f64 v[9:10], v[25:26], v[9:10]
	v_mul_f64 v[25:26], v[3:4], v[80:81]
	v_add_f64 v[7:8], v[7:8], v[11:12]
	v_fma_f64 v[11:12], v[17:18], v[74:75], v[29:30]
	v_add_f64 v[9:10], v[9:10], v[13:14]
	s_waitcnt vmcnt(4)
	v_fma_f64 v[1:2], v[1:2], v[21:22], -v[25:26]
	v_fma_f64 v[3:4], v[3:4], v[21:22], v[23:24]
	v_add_f64 v[7:8], v[7:8], v[15:16]
	v_add_f64 v[9:10], v[9:10], v[11:12]
	v_add_f64 v[1:2], v[7:8], v[1:2]
	v_add_f64 v[3:4], v[9:10], v[3:4]
	s_waitcnt vmcnt(2)
	v_add_f64 v[1:2], v[19:20], -v[1:2]
	s_waitcnt vmcnt(0)
	v_add_f64 v[3:4], v[82:83], -v[3:4]
	buffer_store_dword v2, off, s[0:3], 0 offset:468
	buffer_store_dword v1, off, s[0:3], 0 offset:464
	buffer_store_dword v4, off, s[0:3], 0 offset:476
	buffer_store_dword v3, off, s[0:3], 0 offset:472
	v_cmpx_lt_u32_e32 27, v0
	s_cbranch_execz .LBB44_229
; %bb.228:
	v_mov_b32_e32 v4, s29
	v_mov_b32_e32 v7, 0
	s_clause 0x3
	buffer_load_dword v1, v4, s[0:3], 0 offen
	buffer_load_dword v2, v4, s[0:3], 0 offen offset:4
	buffer_load_dword v3, v4, s[0:3], 0 offen offset:8
	;; [unrolled: 1-line block ×3, first 2 shown]
	buffer_store_dword v7, off, s[0:3], 0 offset:448
	buffer_store_dword v7, off, s[0:3], 0 offset:452
	;; [unrolled: 1-line block ×4, first 2 shown]
	s_waitcnt vmcnt(0)
	ds_write_b128 v63, v[1:4]
.LBB44_229:
	s_or_b32 exec_lo, exec_lo, s4
	s_waitcnt lgkmcnt(0)
	s_waitcnt_vscnt null, 0x0
	s_barrier
	buffer_gl0_inv
	s_clause 0x37
	buffer_load_dword v2, off, s[0:3], 0 offset:472
	buffer_load_dword v3, off, s[0:3], 0 offset:476
	;; [unrolled: 1-line block ×56, first 2 shown]
	v_mov_b32_e32 v1, 0
	s_mov_b32 s4, exec_lo
	ds_read_b128 v[7:10], v1 offset:1168
	s_clause 0x2
	buffer_load_dword v73, off, s[0:3], 0 offset:700
	buffer_load_dword v77, off, s[0:3], 0 offset:676
	;; [unrolled: 1-line block ×3, first 2 shown]
	ds_read_b128 v[11:14], v1 offset:1184
	s_clause 0x4
	buffer_load_dword v81, off, s[0:3], 0 offset:716
	buffer_load_dword v82, off, s[0:3], 0 offset:728
	;; [unrolled: 1-line block ×5, first 2 shown]
	ds_read_b128 v[15:18], v1 offset:1200
	s_waitcnt vmcnt(62) lgkmcnt(2)
	v_mul_f64 v[78:79], v[9:10], v[2:3]
	v_mul_f64 v[2:3], v[7:8], v[2:3]
	s_waitcnt vmcnt(60) lgkmcnt(1)
	v_mul_f64 v[85:86], v[13:14], v[19:20]
	v_mul_f64 v[19:20], v[11:12], v[19:20]
	;; [unrolled: 3-line block ×3, first 2 shown]
	v_fma_f64 v[78:79], v[7:8], v[21:22], -v[78:79]
	v_fma_f64 v[2:3], v[9:10], v[21:22], v[2:3]
	s_clause 0x2
	buffer_load_dword v83, off, s[0:3], 0 offset:732
	buffer_load_dword v22, off, s[0:3], 0 offset:708
	;; [unrolled: 1-line block ×3, first 2 shown]
	s_waitcnt vmcnt(57)
	v_fma_f64 v[89:90], v[11:12], v[25:26], -v[85:86]
	ds_read_b128 v[7:10], v1 offset:1216
	v_fma_f64 v[19:20], v[13:14], v[25:26], v[19:20]
	buffer_load_dword v85, off, s[0:3], 0 offset:724
	ds_read_b128 v[11:14], v1 offset:1232
	s_waitcnt vmcnt(52)
	v_fma_f64 v[23:24], v[15:16], v[33:34], -v[23:24]
	v_fma_f64 v[33:34], v[17:18], v[33:34], v[87:88]
	ds_read_b128 v[15:18], v1 offset:1248
	v_add_f64 v[78:79], v[78:79], 0
	v_add_f64 v[2:3], v[2:3], 0
	s_waitcnt lgkmcnt(2)
	v_mul_f64 v[25:26], v[7:8], v[27:28]
	v_mul_f64 v[27:28], v[9:10], v[27:28]
	v_add_f64 v[78:79], v[78:79], v[89:90]
	v_add_f64 v[2:3], v[2:3], v[19:20]
	s_waitcnt vmcnt(51) lgkmcnt(1)
	v_mul_f64 v[19:20], v[11:12], v[29:30]
	v_mul_f64 v[29:30], v[13:14], v[29:30]
	s_waitcnt vmcnt(49)
	v_fma_f64 v[27:28], v[7:8], v[35:36], -v[27:28]
	v_fma_f64 v[25:26], v[9:10], v[35:36], v[25:26]
	v_add_f64 v[23:24], v[78:79], v[23:24]
	v_add_f64 v[2:3], v[2:3], v[33:34]
	s_clause 0x3
	buffer_load_dword v33, off, s[0:3], 0 offset:448
	buffer_load_dword v34, off, s[0:3], 0 offset:452
	;; [unrolled: 1-line block ×4, first 2 shown]
	s_waitcnt vmcnt(49) lgkmcnt(0)
	v_mul_f64 v[78:79], v[15:16], v[37:38]
	v_mul_f64 v[37:38], v[17:18], v[37:38]
	s_waitcnt vmcnt(48)
	v_fma_f64 v[29:30], v[11:12], v[31:32], -v[29:30]
	ds_read_b128 v[7:10], v1 offset:1264
	v_fma_f64 v[19:20], v[13:14], v[31:32], v[19:20]
	ds_read_b128 v[11:14], v1 offset:1280
	v_add_f64 v[23:24], v[23:24], v[27:28]
	v_add_f64 v[2:3], v[2:3], v[25:26]
	s_waitcnt vmcnt(47) lgkmcnt(1)
	v_mul_f64 v[27:28], v[9:10], v[39:40]
	s_waitcnt vmcnt(45)
	v_fma_f64 v[31:32], v[15:16], v[43:44], -v[37:38]
	v_mul_f64 v[25:26], v[7:8], v[39:40]
	s_waitcnt vmcnt(41) lgkmcnt(0)
	v_mul_f64 v[37:38], v[13:14], v[45:46]
	v_add_f64 v[23:24], v[23:24], v[29:30]
	v_fma_f64 v[29:30], v[17:18], v[43:44], v[78:79]
	v_add_f64 v[2:3], v[2:3], v[19:20]
	ds_read_b128 v[15:18], v1 offset:1296
	s_waitcnt vmcnt(40)
	v_fma_f64 v[27:28], v[7:8], v[41:42], -v[27:28]
	v_mul_f64 v[19:20], v[11:12], v[45:46]
	v_fma_f64 v[25:26], v[9:10], v[41:42], v[25:26]
	ds_read_b128 v[7:10], v1 offset:1312
	s_waitcnt vmcnt(37)
	v_fma_f64 v[37:38], v[11:12], v[51:52], -v[37:38]
	v_add_f64 v[23:24], v[23:24], v[31:32]
	s_waitcnt lgkmcnt(1)
	v_mul_f64 v[31:32], v[17:18], v[47:48]
	v_add_f64 v[2:3], v[2:3], v[29:30]
	v_mul_f64 v[29:30], v[15:16], v[47:48]
	v_fma_f64 v[19:20], v[13:14], v[51:52], v[19:20]
	ds_read_b128 v[11:14], v1 offset:1328
	v_add_f64 v[23:24], v[23:24], v[27:28]
	s_waitcnt vmcnt(33) lgkmcnt(1)
	v_mul_f64 v[27:28], v[9:10], v[53:54]
	v_add_f64 v[2:3], v[2:3], v[25:26]
	s_waitcnt vmcnt(32)
	v_fma_f64 v[31:32], v[15:16], v[49:50], -v[31:32]
	v_mul_f64 v[25:26], v[7:8], v[53:54]
	v_fma_f64 v[29:30], v[17:18], v[49:50], v[29:30]
	ds_read_b128 v[15:18], v1 offset:1344
	v_add_f64 v[23:24], v[23:24], v[37:38]
	s_waitcnt vmcnt(31) lgkmcnt(1)
	v_mul_f64 v[37:38], v[13:14], v[55:56]
	v_add_f64 v[2:3], v[2:3], v[19:20]
	s_waitcnt vmcnt(29)
	v_fma_f64 v[27:28], v[7:8], v[59:60], -v[27:28]
	;; [unrolled: 9-line block ×7, first 2 shown]
	v_mul_f64 v[25:26], v[7:8], v[80:81]
	v_fma_f64 v[17:18], v[17:18], v[74:75], v[29:30]
	v_add_f64 v[23:24], v[23:24], v[37:38]
	v_add_f64 v[2:3], v[2:3], v[19:20]
	s_waitcnt vmcnt(7) lgkmcnt(0)
	v_mul_f64 v[29:30], v[13:14], v[82:83]
	v_mul_f64 v[19:20], v[11:12], v[82:83]
	s_waitcnt vmcnt(5)
	v_fma_f64 v[7:8], v[7:8], v[21:22], -v[27:28]
	v_fma_f64 v[9:10], v[9:10], v[21:22], v[25:26]
	v_add_f64 v[15:16], v[23:24], v[15:16]
	v_add_f64 v[2:3], v[2:3], v[17:18]
	s_waitcnt vmcnt(4)
	v_fma_f64 v[11:12], v[11:12], v[84:85], -v[29:30]
	v_fma_f64 v[13:14], v[13:14], v[84:85], v[19:20]
	v_add_f64 v[7:8], v[15:16], v[7:8]
	v_add_f64 v[2:3], v[2:3], v[9:10]
	;; [unrolled: 1-line block ×4, first 2 shown]
	s_waitcnt vmcnt(2)
	v_add_f64 v[7:8], v[33:34], -v[7:8]
	s_waitcnt vmcnt(0)
	v_add_f64 v[2:3], v[35:36], -v[2:3]
	buffer_store_dword v8, off, s[0:3], 0 offset:452
	buffer_store_dword v7, off, s[0:3], 0 offset:448
	;; [unrolled: 1-line block ×4, first 2 shown]
	v_cmpx_lt_u32_e32 26, v0
	s_cbranch_execz .LBB44_231
; %bb.230:
	v_mov_b32_e32 v2, s30
	s_clause 0x3
	buffer_load_dword v7, v2, s[0:3], 0 offen
	buffer_load_dword v8, v2, s[0:3], 0 offen offset:4
	buffer_load_dword v9, v2, s[0:3], 0 offen offset:8
	;; [unrolled: 1-line block ×3, first 2 shown]
	buffer_store_dword v1, off, s[0:3], 0 offset:432
	buffer_store_dword v1, off, s[0:3], 0 offset:436
	;; [unrolled: 1-line block ×4, first 2 shown]
	s_waitcnt vmcnt(0)
	ds_write_b128 v63, v[7:10]
.LBB44_231:
	s_or_b32 exec_lo, exec_lo, s4
	s_waitcnt lgkmcnt(0)
	s_waitcnt_vscnt null, 0x0
	s_barrier
	buffer_gl0_inv
	s_clause 0x37
	buffer_load_dword v2, off, s[0:3], 0 offset:456
	buffer_load_dword v3, off, s[0:3], 0 offset:460
	buffer_load_dword v19, off, s[0:3], 0 offset:472
	buffer_load_dword v20, off, s[0:3], 0 offset:476
	buffer_load_dword v21, off, s[0:3], 0 offset:448
	buffer_load_dword v22, off, s[0:3], 0 offset:452
	buffer_load_dword v23, off, s[0:3], 0 offset:488
	buffer_load_dword v24, off, s[0:3], 0 offset:492
	buffer_load_dword v25, off, s[0:3], 0 offset:464
	buffer_load_dword v26, off, s[0:3], 0 offset:468
	buffer_load_dword v28, off, s[0:3], 0 offset:508
	buffer_load_dword v29, off, s[0:3], 0 offset:520
	buffer_load_dword v31, off, s[0:3], 0 offset:512
	buffer_load_dword v27, off, s[0:3], 0 offset:504
	buffer_load_dword v33, off, s[0:3], 0 offset:480
	buffer_load_dword v34, off, s[0:3], 0 offset:484
	buffer_load_dword v30, off, s[0:3], 0 offset:524
	buffer_load_dword v36, off, s[0:3], 0 offset:500
	buffer_load_dword v35, off, s[0:3], 0 offset:496
	buffer_load_dword v38, off, s[0:3], 0 offset:540
	buffer_load_dword v39, off, s[0:3], 0 offset:552
	buffer_load_dword v41, off, s[0:3], 0 offset:544
	buffer_load_dword v37, off, s[0:3], 0 offset:536
	buffer_load_dword v32, off, s[0:3], 0 offset:516
	buffer_load_dword v40, off, s[0:3], 0 offset:556
	buffer_load_dword v44, off, s[0:3], 0 offset:532
	buffer_load_dword v43, off, s[0:3], 0 offset:528
	buffer_load_dword v46, off, s[0:3], 0 offset:572
	buffer_load_dword v47, off, s[0:3], 0 offset:584
	buffer_load_dword v49, off, s[0:3], 0 offset:576
	buffer_load_dword v45, off, s[0:3], 0 offset:568
	buffer_load_dword v42, off, s[0:3], 0 offset:548
	buffer_load_dword v48, off, s[0:3], 0 offset:588
	buffer_load_dword v52, off, s[0:3], 0 offset:564
	buffer_load_dword v51, off, s[0:3], 0 offset:560
	buffer_load_dword v54, off, s[0:3], 0 offset:604
	buffer_load_dword v55, off, s[0:3], 0 offset:616
	buffer_load_dword v57, off, s[0:3], 0 offset:608
	buffer_load_dword v53, off, s[0:3], 0 offset:600
	buffer_load_dword v50, off, s[0:3], 0 offset:580
	buffer_load_dword v56, off, s[0:3], 0 offset:620
	buffer_load_dword v60, off, s[0:3], 0 offset:596
	buffer_load_dword v59, off, s[0:3], 0 offset:592
	buffer_load_dword v62, off, s[0:3], 0 offset:636
	buffer_load_dword v64, off, s[0:3], 0 offset:648
	buffer_load_dword v66, off, s[0:3], 0 offset:640
	buffer_load_dword v61, off, s[0:3], 0 offset:632
	buffer_load_dword v58, off, s[0:3], 0 offset:612
	buffer_load_dword v65, off, s[0:3], 0 offset:652
	buffer_load_dword v69, off, s[0:3], 0 offset:628
	buffer_load_dword v68, off, s[0:3], 0 offset:624
	buffer_load_dword v71, off, s[0:3], 0 offset:668
	buffer_load_dword v72, off, s[0:3], 0 offset:680
	buffer_load_dword v74, off, s[0:3], 0 offset:672
	buffer_load_dword v70, off, s[0:3], 0 offset:664
	buffer_load_dword v67, off, s[0:3], 0 offset:644
	ds_read_b128 v[7:10], v1 offset:1152
	s_clause 0x2
	buffer_load_dword v73, off, s[0:3], 0 offset:684
	buffer_load_dword v77, off, s[0:3], 0 offset:660
	;; [unrolled: 1-line block ×3, first 2 shown]
	ds_read_b128 v[11:14], v1 offset:1168
	s_clause 0x4
	buffer_load_dword v81, off, s[0:3], 0 offset:700
	buffer_load_dword v82, off, s[0:3], 0 offset:712
	;; [unrolled: 1-line block ×5, first 2 shown]
	ds_read_b128 v[15:18], v1 offset:1184
	s_mov_b32 s4, exec_lo
	s_waitcnt vmcnt(62) lgkmcnt(2)
	v_mul_f64 v[78:79], v[9:10], v[2:3]
	v_mul_f64 v[2:3], v[7:8], v[2:3]
	s_waitcnt vmcnt(60) lgkmcnt(1)
	v_mul_f64 v[85:86], v[13:14], v[19:20]
	v_mul_f64 v[19:20], v[11:12], v[19:20]
	;; [unrolled: 3-line block ×3, first 2 shown]
	v_fma_f64 v[78:79], v[7:8], v[21:22], -v[78:79]
	v_fma_f64 v[2:3], v[9:10], v[21:22], v[2:3]
	s_clause 0x2
	buffer_load_dword v83, off, s[0:3], 0 offset:716
	buffer_load_dword v22, off, s[0:3], 0 offset:692
	buffer_load_dword v21, off, s[0:3], 0 offset:688
	s_waitcnt vmcnt(57)
	v_fma_f64 v[89:90], v[11:12], v[25:26], -v[85:86]
	ds_read_b128 v[7:10], v1 offset:1200
	v_fma_f64 v[19:20], v[13:14], v[25:26], v[19:20]
	s_clause 0x2
	buffer_load_dword v26, off, s[0:3], 0 offset:732
	buffer_load_dword v25, off, s[0:3], 0 offset:728
	;; [unrolled: 1-line block ×3, first 2 shown]
	s_waitcnt vmcnt(54)
	v_fma_f64 v[23:24], v[15:16], v[33:34], -v[23:24]
	ds_read_b128 v[11:14], v1 offset:1216
	v_fma_f64 v[33:34], v[17:18], v[33:34], v[87:88]
	v_add_f64 v[78:79], v[78:79], 0
	v_add_f64 v[2:3], v[2:3], 0
	s_waitcnt lgkmcnt(1)
	v_mul_f64 v[91:92], v[7:8], v[27:28]
	v_mul_f64 v[27:28], v[9:10], v[27:28]
	s_waitcnt vmcnt(53) lgkmcnt(0)
	v_mul_f64 v[86:87], v[11:12], v[29:30]
	v_mul_f64 v[29:30], v[13:14], v[29:30]
	v_add_f64 v[78:79], v[78:79], v[89:90]
	v_add_f64 v[2:3], v[2:3], v[19:20]
	s_clause 0x1
	buffer_load_dword v20, off, s[0:3], 0 offset:724
	buffer_load_dword v19, off, s[0:3], 0 offset:720
	s_waitcnt vmcnt(53)
	v_fma_f64 v[27:28], v[7:8], v[35:36], -v[27:28]
	ds_read_b128 v[15:18], v1 offset:1232
	v_fma_f64 v[35:36], v[9:10], v[35:36], v[91:92]
	ds_read_b128 v[7:10], v1 offset:1248
	s_waitcnt vmcnt(48)
	v_fma_f64 v[29:30], v[11:12], v[31:32], -v[29:30]
	v_add_f64 v[23:24], v[78:79], v[23:24]
	v_add_f64 v[2:3], v[2:3], v[33:34]
	s_waitcnt lgkmcnt(1)
	v_mul_f64 v[33:34], v[15:16], v[37:38]
	v_mul_f64 v[37:38], v[17:18], v[37:38]
	s_waitcnt vmcnt(47) lgkmcnt(0)
	v_mul_f64 v[78:79], v[7:8], v[39:40]
	v_mul_f64 v[39:40], v[9:10], v[39:40]
	v_add_f64 v[23:24], v[23:24], v[27:28]
	v_fma_f64 v[27:28], v[13:14], v[31:32], v[86:87]
	v_add_f64 v[2:3], v[2:3], v[35:36]
	s_clause 0x3
	buffer_load_dword v31, off, s[0:3], 0 offset:432
	buffer_load_dword v32, off, s[0:3], 0 offset:436
	;; [unrolled: 1-line block ×4, first 2 shown]
	s_waitcnt vmcnt(49)
	v_fma_f64 v[37:38], v[15:16], v[43:44], -v[37:38]
	ds_read_b128 v[11:14], v1 offset:1264
	s_waitcnt vmcnt(44)
	v_fma_f64 v[39:40], v[7:8], v[41:42], -v[39:40]
	v_add_f64 v[23:24], v[23:24], v[29:30]
	v_fma_f64 v[29:30], v[17:18], v[43:44], v[33:34]
	v_add_f64 v[2:3], v[2:3], v[27:28]
	ds_read_b128 v[15:18], v1 offset:1280
	s_waitcnt lgkmcnt(1)
	v_mul_f64 v[33:34], v[13:14], v[45:46]
	v_mul_f64 v[27:28], v[11:12], v[45:46]
	v_add_f64 v[23:24], v[23:24], v[37:38]
	v_fma_f64 v[37:38], v[9:10], v[41:42], v[78:79]
	v_add_f64 v[2:3], v[2:3], v[29:30]
	s_waitcnt vmcnt(43) lgkmcnt(0)
	v_mul_f64 v[41:42], v[17:18], v[47:48]
	s_waitcnt vmcnt(41)
	v_fma_f64 v[33:34], v[11:12], v[51:52], -v[33:34]
	ds_read_b128 v[7:10], v1 offset:1296
	v_mul_f64 v[29:30], v[15:16], v[47:48]
	v_fma_f64 v[27:28], v[13:14], v[51:52], v[27:28]
	ds_read_b128 v[11:14], v1 offset:1312
	v_add_f64 v[23:24], v[23:24], v[39:40]
	v_add_f64 v[2:3], v[2:3], v[37:38]
	s_waitcnt vmcnt(37) lgkmcnt(1)
	v_mul_f64 v[39:40], v[9:10], v[53:54]
	s_waitcnt vmcnt(36)
	v_fma_f64 v[41:42], v[15:16], v[49:50], -v[41:42]
	v_mul_f64 v[37:38], v[7:8], v[53:54]
	v_fma_f64 v[29:30], v[17:18], v[49:50], v[29:30]
	ds_read_b128 v[15:18], v1 offset:1328
	v_add_f64 v[23:24], v[23:24], v[33:34]
	s_waitcnt vmcnt(35) lgkmcnt(1)
	v_mul_f64 v[33:34], v[13:14], v[55:56]
	v_add_f64 v[2:3], v[2:3], v[27:28]
	s_waitcnt vmcnt(33)
	v_fma_f64 v[39:40], v[7:8], v[59:60], -v[39:40]
	v_mul_f64 v[27:28], v[11:12], v[55:56]
	v_fma_f64 v[37:38], v[9:10], v[59:60], v[37:38]
	ds_read_b128 v[7:10], v1 offset:1344
	v_add_f64 v[23:24], v[23:24], v[41:42]
	s_waitcnt vmcnt(29) lgkmcnt(1)
	v_mul_f64 v[41:42], v[17:18], v[61:62]
	v_add_f64 v[2:3], v[2:3], v[29:30]
	;; [unrolled: 9-line block ×6, first 2 shown]
	s_waitcnt vmcnt(12)
	v_fma_f64 v[15:16], v[15:16], v[74:75], -v[41:42]
	v_mul_f64 v[37:38], v[7:8], v[80:81]
	v_fma_f64 v[17:18], v[17:18], v[74:75], v[29:30]
	v_add_f64 v[23:24], v[23:24], v[33:34]
	v_add_f64 v[27:28], v[2:3], v[27:28]
	ds_read_b128 v[1:4], v1 offset:1424
	s_waitcnt vmcnt(11) lgkmcnt(1)
	v_mul_f64 v[33:34], v[13:14], v[82:83]
	v_mul_f64 v[29:30], v[11:12], v[82:83]
	s_waitcnt vmcnt(9)
	v_fma_f64 v[7:8], v[7:8], v[21:22], -v[39:40]
	v_fma_f64 v[9:10], v[9:10], v[21:22], v[37:38]
	v_add_f64 v[15:16], v[23:24], v[15:16]
	s_waitcnt vmcnt(7) lgkmcnt(0)
	v_mul_f64 v[23:24], v[3:4], v[25:26]
	v_add_f64 v[17:18], v[27:28], v[17:18]
	v_mul_f64 v[21:22], v[1:2], v[25:26]
	s_waitcnt vmcnt(6)
	v_fma_f64 v[11:12], v[11:12], v[84:85], -v[33:34]
	v_fma_f64 v[13:14], v[13:14], v[84:85], v[29:30]
	v_add_f64 v[7:8], v[15:16], v[7:8]
	v_add_f64 v[9:10], v[17:18], v[9:10]
	s_waitcnt vmcnt(4)
	v_fma_f64 v[1:2], v[1:2], v[19:20], -v[23:24]
	v_fma_f64 v[3:4], v[3:4], v[19:20], v[21:22]
	v_add_f64 v[7:8], v[7:8], v[11:12]
	v_add_f64 v[9:10], v[9:10], v[13:14]
	;; [unrolled: 1-line block ×4, first 2 shown]
	s_waitcnt vmcnt(2)
	v_add_f64 v[1:2], v[31:32], -v[1:2]
	s_waitcnt vmcnt(0)
	v_add_f64 v[3:4], v[35:36], -v[3:4]
	buffer_store_dword v2, off, s[0:3], 0 offset:436
	buffer_store_dword v1, off, s[0:3], 0 offset:432
	;; [unrolled: 1-line block ×4, first 2 shown]
	v_cmpx_lt_u32_e32 25, v0
	s_cbranch_execz .LBB44_233
; %bb.232:
	v_mov_b32_e32 v4, s31
	v_mov_b32_e32 v7, 0
	s_clause 0x3
	buffer_load_dword v1, v4, s[0:3], 0 offen
	buffer_load_dword v2, v4, s[0:3], 0 offen offset:4
	buffer_load_dword v3, v4, s[0:3], 0 offen offset:8
	;; [unrolled: 1-line block ×3, first 2 shown]
	buffer_store_dword v7, off, s[0:3], 0 offset:416
	buffer_store_dword v7, off, s[0:3], 0 offset:420
	;; [unrolled: 1-line block ×4, first 2 shown]
	s_waitcnt vmcnt(0)
	ds_write_b128 v63, v[1:4]
.LBB44_233:
	s_or_b32 exec_lo, exec_lo, s4
	s_waitcnt lgkmcnt(0)
	s_waitcnt_vscnt null, 0x0
	s_barrier
	buffer_gl0_inv
	s_clause 0x37
	buffer_load_dword v2, off, s[0:3], 0 offset:440
	buffer_load_dword v3, off, s[0:3], 0 offset:444
	;; [unrolled: 1-line block ×56, first 2 shown]
	v_mov_b32_e32 v1, 0
	s_mov_b32 s4, exec_lo
	ds_read_b128 v[7:10], v1 offset:1136
	s_clause 0x2
	buffer_load_dword v73, off, s[0:3], 0 offset:668
	buffer_load_dword v77, off, s[0:3], 0 offset:644
	buffer_load_dword v76, off, s[0:3], 0 offset:640
	ds_read_b128 v[11:14], v1 offset:1152
	s_clause 0x4
	buffer_load_dword v81, off, s[0:3], 0 offset:684
	buffer_load_dword v82, off, s[0:3], 0 offset:696
	;; [unrolled: 1-line block ×5, first 2 shown]
	ds_read_b128 v[15:18], v1 offset:1168
	s_waitcnt vmcnt(62) lgkmcnt(2)
	v_mul_f64 v[78:79], v[9:10], v[2:3]
	v_mul_f64 v[2:3], v[7:8], v[2:3]
	s_waitcnt vmcnt(60) lgkmcnt(1)
	v_mul_f64 v[85:86], v[13:14], v[19:20]
	v_mul_f64 v[19:20], v[11:12], v[19:20]
	;; [unrolled: 3-line block ×3, first 2 shown]
	v_fma_f64 v[78:79], v[7:8], v[21:22], -v[78:79]
	v_fma_f64 v[2:3], v[9:10], v[21:22], v[2:3]
	s_clause 0x2
	buffer_load_dword v83, off, s[0:3], 0 offset:700
	buffer_load_dword v22, off, s[0:3], 0 offset:676
	;; [unrolled: 1-line block ×3, first 2 shown]
	s_waitcnt vmcnt(57)
	v_fma_f64 v[89:90], v[11:12], v[25:26], -v[85:86]
	ds_read_b128 v[7:10], v1 offset:1184
	v_fma_f64 v[19:20], v[13:14], v[25:26], v[19:20]
	s_clause 0x4
	buffer_load_dword v26, off, s[0:3], 0 offset:716
	buffer_load_dword v86, off, s[0:3], 0 offset:728
	;; [unrolled: 1-line block ×5, first 2 shown]
	s_waitcnt vmcnt(56)
	v_fma_f64 v[23:24], v[15:16], v[33:34], -v[23:24]
	ds_read_b128 v[11:14], v1 offset:1200
	v_fma_f64 v[33:34], v[17:18], v[33:34], v[87:88]
	v_add_f64 v[78:79], v[78:79], 0
	v_add_f64 v[2:3], v[2:3], 0
	s_waitcnt lgkmcnt(1)
	v_mul_f64 v[181:182], v[7:8], v[27:28]
	v_mul_f64 v[27:28], v[9:10], v[27:28]
	v_add_f64 v[78:79], v[78:79], v[89:90]
	v_add_f64 v[2:3], v[2:3], v[19:20]
	s_clause 0x2
	buffer_load_dword v87, off, s[0:3], 0 offset:732
	buffer_load_dword v20, off, s[0:3], 0 offset:708
	;; [unrolled: 1-line block ×3, first 2 shown]
	s_waitcnt vmcnt(58) lgkmcnt(0)
	v_mul_f64 v[88:89], v[11:12], v[29:30]
	v_mul_f64 v[29:30], v[13:14], v[29:30]
	s_waitcnt vmcnt(56)
	v_fma_f64 v[27:28], v[7:8], v[35:36], -v[27:28]
	ds_read_b128 v[15:18], v1 offset:1216
	v_fma_f64 v[35:36], v[9:10], v[35:36], v[181:182]
	buffer_load_dword v92, off, s[0:3], 0 offset:724
	ds_read_b128 v[7:10], v1 offset:1232
	v_add_f64 v[23:24], v[78:79], v[23:24]
	v_add_f64 v[2:3], v[2:3], v[33:34]
	s_waitcnt vmcnt(53) lgkmcnt(1)
	v_mul_f64 v[33:34], v[15:16], v[37:38]
	v_mul_f64 v[37:38], v[17:18], v[37:38]
	s_waitcnt vmcnt(52)
	v_fma_f64 v[29:30], v[11:12], v[31:32], -v[29:30]
	v_add_f64 v[23:24], v[23:24], v[27:28]
	v_fma_f64 v[27:28], v[13:14], v[31:32], v[88:89]
	v_add_f64 v[2:3], v[2:3], v[35:36]
	s_waitcnt vmcnt(51) lgkmcnt(0)
	v_mul_f64 v[35:36], v[9:10], v[39:40]
	ds_read_b128 v[11:14], v1 offset:1248
	s_waitcnt vmcnt(49)
	v_fma_f64 v[37:38], v[15:16], v[43:44], -v[37:38]
	v_mul_f64 v[31:32], v[7:8], v[39:40]
	v_add_f64 v[23:24], v[23:24], v[29:30]
	v_fma_f64 v[29:30], v[17:18], v[43:44], v[33:34]
	v_add_f64 v[2:3], v[2:3], v[27:28]
	s_clause 0x3
	buffer_load_dword v27, off, s[0:3], 0 offset:416
	buffer_load_dword v28, off, s[0:3], 0 offset:420
	;; [unrolled: 1-line block ×4, first 2 shown]
	s_waitcnt vmcnt(49) lgkmcnt(0)
	v_mul_f64 v[43:44], v[13:14], v[45:46]
	s_waitcnt vmcnt(48)
	v_fma_f64 v[35:36], v[7:8], v[41:42], -v[35:36]
	ds_read_b128 v[15:18], v1 offset:1264
	v_mul_f64 v[39:40], v[11:12], v[45:46]
	v_fma_f64 v[31:32], v[9:10], v[41:42], v[31:32]
	ds_read_b128 v[7:10], v1 offset:1280
	v_add_f64 v[23:24], v[23:24], v[37:38]
	v_add_f64 v[2:3], v[2:3], v[29:30]
	s_waitcnt vmcnt(47) lgkmcnt(1)
	v_mul_f64 v[37:38], v[17:18], v[47:48]
	s_waitcnt vmcnt(45)
	v_fma_f64 v[41:42], v[11:12], v[51:52], -v[43:44]
	v_mul_f64 v[29:30], v[15:16], v[47:48]
	v_add_f64 v[23:24], v[23:24], v[35:36]
	v_fma_f64 v[35:36], v[13:14], v[51:52], v[39:40]
	v_add_f64 v[2:3], v[2:3], v[31:32]
	s_waitcnt vmcnt(41) lgkmcnt(0)
	v_mul_f64 v[39:40], v[9:10], v[53:54]
	s_waitcnt vmcnt(40)
	v_fma_f64 v[37:38], v[15:16], v[49:50], -v[37:38]
	ds_read_b128 v[11:14], v1 offset:1296
	v_mul_f64 v[31:32], v[7:8], v[53:54]
	v_fma_f64 v[29:30], v[17:18], v[49:50], v[29:30]
	ds_read_b128 v[15:18], v1 offset:1312
	v_add_f64 v[23:24], v[23:24], v[41:42]
	v_add_f64 v[2:3], v[2:3], v[35:36]
	s_waitcnt vmcnt(39) lgkmcnt(1)
	v_mul_f64 v[41:42], v[13:14], v[55:56]
	s_waitcnt vmcnt(37)
	v_fma_f64 v[39:40], v[7:8], v[59:60], -v[39:40]
	v_mul_f64 v[35:36], v[11:12], v[55:56]
	v_fma_f64 v[31:32], v[9:10], v[59:60], v[31:32]
	ds_read_b128 v[7:10], v1 offset:1328
	v_add_f64 v[23:24], v[23:24], v[37:38]
	s_waitcnt vmcnt(33) lgkmcnt(1)
	v_mul_f64 v[37:38], v[17:18], v[61:62]
	v_add_f64 v[2:3], v[2:3], v[29:30]
	s_waitcnt vmcnt(32)
	v_fma_f64 v[41:42], v[11:12], v[57:58], -v[41:42]
	v_mul_f64 v[29:30], v[15:16], v[61:62]
	v_fma_f64 v[35:36], v[13:14], v[57:58], v[35:36]
	ds_read_b128 v[11:14], v1 offset:1344
	v_add_f64 v[23:24], v[23:24], v[39:40]
	s_waitcnt vmcnt(31) lgkmcnt(1)
	v_mul_f64 v[39:40], v[9:10], v[64:65]
	v_add_f64 v[2:3], v[2:3], v[31:32]
	;; [unrolled: 9-line block ×5, first 2 shown]
	s_waitcnt vmcnt(16)
	v_fma_f64 v[37:38], v[15:16], v[74:75], -v[37:38]
	v_mul_f64 v[31:32], v[7:8], v[80:81]
	v_fma_f64 v[29:30], v[17:18], v[74:75], v[29:30]
	ds_read_b128 v[15:18], v1 offset:1408
	v_add_f64 v[23:24], v[23:24], v[41:42]
	v_add_f64 v[2:3], v[2:3], v[35:36]
	s_waitcnt vmcnt(15) lgkmcnt(1)
	v_mul_f64 v[41:42], v[13:14], v[82:83]
	v_mul_f64 v[35:36], v[11:12], v[82:83]
	s_waitcnt vmcnt(13)
	v_fma_f64 v[39:40], v[7:8], v[21:22], -v[39:40]
	v_fma_f64 v[21:22], v[9:10], v[21:22], v[31:32]
	ds_read_b128 v[7:10], v1 offset:1424
	v_add_f64 v[23:24], v[23:24], v[37:38]
	v_add_f64 v[2:3], v[2:3], v[29:30]
	s_waitcnt vmcnt(9) lgkmcnt(1)
	v_mul_f64 v[29:30], v[15:16], v[25:26]
	v_mul_f64 v[25:26], v[17:18], v[25:26]
	s_waitcnt vmcnt(8)
	v_fma_f64 v[11:12], v[11:12], v[84:85], -v[41:42]
	v_fma_f64 v[13:14], v[13:14], v[84:85], v[35:36]
	v_add_f64 v[23:24], v[23:24], v[39:40]
	v_add_f64 v[2:3], v[2:3], v[21:22]
	s_waitcnt vmcnt(7) lgkmcnt(0)
	v_mul_f64 v[31:32], v[9:10], v[86:87]
	v_mul_f64 v[21:22], v[7:8], v[86:87]
	s_waitcnt vmcnt(5)
	v_fma_f64 v[15:16], v[15:16], v[19:20], -v[25:26]
	v_fma_f64 v[17:18], v[17:18], v[19:20], v[29:30]
	v_add_f64 v[11:12], v[23:24], v[11:12]
	v_add_f64 v[2:3], v[2:3], v[13:14]
	s_waitcnt vmcnt(4)
	v_fma_f64 v[7:8], v[7:8], v[91:92], -v[31:32]
	v_fma_f64 v[9:10], v[9:10], v[91:92], v[21:22]
	v_add_f64 v[11:12], v[11:12], v[15:16]
	v_add_f64 v[2:3], v[2:3], v[17:18]
	;; [unrolled: 1-line block ×4, first 2 shown]
	s_waitcnt vmcnt(2)
	v_add_f64 v[7:8], v[27:28], -v[7:8]
	s_waitcnt vmcnt(0)
	v_add_f64 v[2:3], v[33:34], -v[2:3]
	buffer_store_dword v8, off, s[0:3], 0 offset:420
	buffer_store_dword v7, off, s[0:3], 0 offset:416
	;; [unrolled: 1-line block ×4, first 2 shown]
	v_cmpx_lt_u32_e32 24, v0
	s_cbranch_execz .LBB44_235
; %bb.234:
	v_mov_b32_e32 v2, s33
	s_clause 0x3
	buffer_load_dword v7, v2, s[0:3], 0 offen
	buffer_load_dword v8, v2, s[0:3], 0 offen offset:4
	buffer_load_dword v9, v2, s[0:3], 0 offen offset:8
	buffer_load_dword v10, v2, s[0:3], 0 offen offset:12
	buffer_store_dword v1, off, s[0:3], 0 offset:400
	buffer_store_dword v1, off, s[0:3], 0 offset:404
	;; [unrolled: 1-line block ×4, first 2 shown]
	s_waitcnt vmcnt(0)
	ds_write_b128 v63, v[7:10]
.LBB44_235:
	s_or_b32 exec_lo, exec_lo, s4
	s_waitcnt lgkmcnt(0)
	s_waitcnt_vscnt null, 0x0
	s_barrier
	buffer_gl0_inv
	s_clause 0x37
	buffer_load_dword v2, off, s[0:3], 0 offset:424
	buffer_load_dword v3, off, s[0:3], 0 offset:428
	;; [unrolled: 1-line block ×56, first 2 shown]
	ds_read_b128 v[7:10], v1 offset:1120
	s_clause 0x2
	buffer_load_dword v73, off, s[0:3], 0 offset:652
	buffer_load_dword v77, off, s[0:3], 0 offset:628
	buffer_load_dword v76, off, s[0:3], 0 offset:624
	ds_read_b128 v[11:14], v1 offset:1136
	s_clause 0x4
	buffer_load_dword v81, off, s[0:3], 0 offset:668
	buffer_load_dword v82, off, s[0:3], 0 offset:680
	;; [unrolled: 1-line block ×5, first 2 shown]
	ds_read_b128 v[15:18], v1 offset:1152
	s_mov_b32 s4, exec_lo
	s_waitcnt vmcnt(62) lgkmcnt(2)
	v_mul_f64 v[78:79], v[9:10], v[2:3]
	v_mul_f64 v[2:3], v[7:8], v[2:3]
	s_waitcnt vmcnt(60) lgkmcnt(1)
	v_mul_f64 v[85:86], v[13:14], v[19:20]
	v_mul_f64 v[19:20], v[11:12], v[19:20]
	;; [unrolled: 3-line block ×3, first 2 shown]
	v_fma_f64 v[78:79], v[7:8], v[21:22], -v[78:79]
	v_fma_f64 v[2:3], v[9:10], v[21:22], v[2:3]
	s_clause 0x2
	buffer_load_dword v83, off, s[0:3], 0 offset:684
	buffer_load_dword v22, off, s[0:3], 0 offset:660
	;; [unrolled: 1-line block ×3, first 2 shown]
	s_waitcnt vmcnt(57)
	v_fma_f64 v[89:90], v[11:12], v[25:26], -v[85:86]
	ds_read_b128 v[7:10], v1 offset:1168
	v_fma_f64 v[19:20], v[13:14], v[25:26], v[19:20]
	s_clause 0x4
	buffer_load_dword v26, off, s[0:3], 0 offset:700
	buffer_load_dword v86, off, s[0:3], 0 offset:712
	;; [unrolled: 1-line block ×5, first 2 shown]
	s_waitcnt vmcnt(56)
	v_fma_f64 v[23:24], v[15:16], v[33:34], -v[23:24]
	ds_read_b128 v[11:14], v1 offset:1184
	v_fma_f64 v[33:34], v[17:18], v[33:34], v[87:88]
	v_add_f64 v[78:79], v[78:79], 0
	v_add_f64 v[2:3], v[2:3], 0
	s_waitcnt lgkmcnt(1)
	v_mul_f64 v[181:182], v[7:8], v[27:28]
	v_mul_f64 v[27:28], v[9:10], v[27:28]
	v_add_f64 v[78:79], v[78:79], v[89:90]
	v_add_f64 v[2:3], v[2:3], v[19:20]
	s_clause 0x2
	buffer_load_dword v87, off, s[0:3], 0 offset:716
	buffer_load_dword v20, off, s[0:3], 0 offset:692
	;; [unrolled: 1-line block ×3, first 2 shown]
	s_waitcnt vmcnt(58) lgkmcnt(0)
	v_mul_f64 v[88:89], v[11:12], v[29:30]
	v_mul_f64 v[29:30], v[13:14], v[29:30]
	s_waitcnt vmcnt(56)
	v_fma_f64 v[27:28], v[7:8], v[35:36], -v[27:28]
	ds_read_b128 v[15:18], v1 offset:1200
	v_fma_f64 v[35:36], v[9:10], v[35:36], v[181:182]
	v_add_f64 v[23:24], v[78:79], v[23:24]
	v_add_f64 v[2:3], v[2:3], v[33:34]
	s_clause 0x2
	buffer_load_dword v34, off, s[0:3], 0 offset:732
	buffer_load_dword v33, off, s[0:3], 0 offset:728
	;; [unrolled: 1-line block ×3, first 2 shown]
	ds_read_b128 v[7:10], v1 offset:1216
	s_waitcnt vmcnt(55) lgkmcnt(1)
	v_mul_f64 v[78:79], v[15:16], v[37:38]
	v_mul_f64 v[37:38], v[17:18], v[37:38]
	s_waitcnt vmcnt(54)
	v_fma_f64 v[29:30], v[11:12], v[31:32], -v[29:30]
	v_add_f64 v[23:24], v[23:24], v[27:28]
	v_fma_f64 v[27:28], v[13:14], v[31:32], v[88:89]
	v_add_f64 v[2:3], v[2:3], v[35:36]
	s_clause 0x1
	buffer_load_dword v32, off, s[0:3], 0 offset:724
	buffer_load_dword v31, off, s[0:3], 0 offset:720
	s_waitcnt vmcnt(55) lgkmcnt(0)
	v_mul_f64 v[35:36], v[7:8], v[39:40]
	v_mul_f64 v[39:40], v[9:10], v[39:40]
	s_waitcnt vmcnt(53)
	v_fma_f64 v[37:38], v[15:16], v[43:44], -v[37:38]
	ds_read_b128 v[11:14], v1 offset:1232
	v_add_f64 v[23:24], v[23:24], v[29:30]
	v_fma_f64 v[29:30], v[17:18], v[43:44], v[78:79]
	v_add_f64 v[2:3], v[2:3], v[27:28]
	ds_read_b128 v[15:18], v1 offset:1248
	s_waitcnt vmcnt(48)
	v_fma_f64 v[35:36], v[9:10], v[41:42], v[35:36]
	s_waitcnt lgkmcnt(1)
	v_mul_f64 v[43:44], v[13:14], v[45:46]
	v_fma_f64 v[39:40], v[7:8], v[41:42], -v[39:40]
	v_mul_f64 v[27:28], v[11:12], v[45:46]
	v_add_f64 v[23:24], v[23:24], v[37:38]
	s_waitcnt vmcnt(47) lgkmcnt(0)
	v_mul_f64 v[45:46], v[17:18], v[47:48]
	v_add_f64 v[2:3], v[2:3], v[29:30]
	s_clause 0x3
	buffer_load_dword v29, off, s[0:3], 0 offset:400
	buffer_load_dword v30, off, s[0:3], 0 offset:404
	;; [unrolled: 1-line block ×4, first 2 shown]
	ds_read_b128 v[7:10], v1 offset:1264
	s_waitcnt vmcnt(49)
	v_fma_f64 v[43:44], v[11:12], v[51:52], -v[43:44]
	v_mul_f64 v[41:42], v[15:16], v[47:48]
	v_fma_f64 v[27:28], v[13:14], v[51:52], v[27:28]
	ds_read_b128 v[11:14], v1 offset:1280
	v_add_f64 v[23:24], v[23:24], v[39:40]
	s_waitcnt vmcnt(44)
	v_fma_f64 v[45:46], v[15:16], v[49:50], -v[45:46]
	v_add_f64 v[2:3], v[2:3], v[35:36]
	s_waitcnt lgkmcnt(1)
	v_mul_f64 v[39:40], v[9:10], v[53:54]
	v_mul_f64 v[35:36], v[7:8], v[53:54]
	v_fma_f64 v[41:42], v[17:18], v[49:50], v[41:42]
	ds_read_b128 v[15:18], v1 offset:1296
	v_add_f64 v[23:24], v[23:24], v[43:44]
	s_waitcnt vmcnt(43) lgkmcnt(1)
	v_mul_f64 v[43:44], v[13:14], v[55:56]
	v_add_f64 v[2:3], v[2:3], v[27:28]
	s_waitcnt vmcnt(41)
	v_fma_f64 v[39:40], v[7:8], v[59:60], -v[39:40]
	v_mul_f64 v[27:28], v[11:12], v[55:56]
	v_fma_f64 v[35:36], v[9:10], v[59:60], v[35:36]
	ds_read_b128 v[7:10], v1 offset:1312
	v_add_f64 v[23:24], v[23:24], v[45:46]
	s_waitcnt vmcnt(37) lgkmcnt(1)
	v_mul_f64 v[45:46], v[17:18], v[61:62]
	v_add_f64 v[2:3], v[2:3], v[41:42]
	s_waitcnt vmcnt(36)
	v_fma_f64 v[43:44], v[11:12], v[57:58], -v[43:44]
	;; [unrolled: 9-line block ×6, first 2 shown]
	v_mul_f64 v[35:36], v[7:8], v[80:81]
	v_fma_f64 v[41:42], v[17:18], v[74:75], v[41:42]
	ds_read_b128 v[15:18], v1 offset:1392
	v_add_f64 v[23:24], v[23:24], v[43:44]
	v_add_f64 v[2:3], v[2:3], v[27:28]
	s_waitcnt vmcnt(19) lgkmcnt(1)
	v_mul_f64 v[43:44], v[13:14], v[82:83]
	v_mul_f64 v[27:28], v[11:12], v[82:83]
	s_waitcnt vmcnt(17)
	v_fma_f64 v[39:40], v[7:8], v[21:22], -v[39:40]
	v_fma_f64 v[21:22], v[9:10], v[21:22], v[35:36]
	ds_read_b128 v[7:10], v1 offset:1408
	s_waitcnt vmcnt(13) lgkmcnt(1)
	v_mul_f64 v[35:36], v[15:16], v[25:26]
	v_mul_f64 v[25:26], v[17:18], v[25:26]
	v_add_f64 v[23:24], v[23:24], v[45:46]
	v_add_f64 v[2:3], v[2:3], v[41:42]
	s_waitcnt vmcnt(12)
	v_fma_f64 v[11:12], v[11:12], v[84:85], -v[43:44]
	v_fma_f64 v[13:14], v[13:14], v[84:85], v[27:28]
	v_add_f64 v[23:24], v[23:24], v[39:40]
	v_add_f64 v[21:22], v[2:3], v[21:22]
	ds_read_b128 v[1:4], v1 offset:1424
	s_waitcnt vmcnt(11) lgkmcnt(1)
	v_mul_f64 v[39:40], v[9:10], v[86:87]
	v_mul_f64 v[27:28], v[7:8], v[86:87]
	s_waitcnt vmcnt(9)
	v_fma_f64 v[15:16], v[15:16], v[19:20], -v[25:26]
	v_fma_f64 v[17:18], v[17:18], v[19:20], v[35:36]
	v_add_f64 v[11:12], v[23:24], v[11:12]
	v_add_f64 v[13:14], v[21:22], v[13:14]
	s_waitcnt vmcnt(7) lgkmcnt(0)
	v_mul_f64 v[21:22], v[3:4], v[33:34]
	s_waitcnt vmcnt(6)
	v_fma_f64 v[7:8], v[7:8], v[91:92], -v[39:40]
	v_mul_f64 v[19:20], v[1:2], v[33:34]
	v_fma_f64 v[9:10], v[9:10], v[91:92], v[27:28]
	v_add_f64 v[11:12], v[11:12], v[15:16]
	v_add_f64 v[13:14], v[13:14], v[17:18]
	s_waitcnt vmcnt(4)
	v_fma_f64 v[1:2], v[1:2], v[31:32], -v[21:22]
	v_fma_f64 v[3:4], v[3:4], v[31:32], v[19:20]
	v_add_f64 v[7:8], v[11:12], v[7:8]
	v_add_f64 v[9:10], v[13:14], v[9:10]
	;; [unrolled: 1-line block ×4, first 2 shown]
	s_waitcnt vmcnt(2)
	v_add_f64 v[1:2], v[29:30], -v[1:2]
	s_waitcnt vmcnt(0)
	v_add_f64 v[3:4], v[37:38], -v[3:4]
	buffer_store_dword v2, off, s[0:3], 0 offset:404
	buffer_store_dword v1, off, s[0:3], 0 offset:400
	;; [unrolled: 1-line block ×4, first 2 shown]
	v_cmpx_lt_u32_e32 23, v0
	s_cbranch_execz .LBB44_237
; %bb.236:
	v_mov_b32_e32 v4, s34
	v_mov_b32_e32 v7, 0
	s_clause 0x3
	buffer_load_dword v1, v4, s[0:3], 0 offen
	buffer_load_dword v2, v4, s[0:3], 0 offen offset:4
	buffer_load_dword v3, v4, s[0:3], 0 offen offset:8
	;; [unrolled: 1-line block ×3, first 2 shown]
	buffer_store_dword v7, off, s[0:3], 0 offset:384
	buffer_store_dword v7, off, s[0:3], 0 offset:388
	;; [unrolled: 1-line block ×4, first 2 shown]
	s_waitcnt vmcnt(0)
	ds_write_b128 v63, v[1:4]
.LBB44_237:
	s_or_b32 exec_lo, exec_lo, s4
	s_waitcnt lgkmcnt(0)
	s_waitcnt_vscnt null, 0x0
	s_barrier
	buffer_gl0_inv
	s_clause 0x37
	buffer_load_dword v2, off, s[0:3], 0 offset:408
	buffer_load_dword v3, off, s[0:3], 0 offset:412
	;; [unrolled: 1-line block ×56, first 2 shown]
	v_mov_b32_e32 v1, 0
	s_mov_b32 s4, exec_lo
	ds_read_b128 v[7:10], v1 offset:1104
	s_clause 0x2
	buffer_load_dword v73, off, s[0:3], 0 offset:636
	buffer_load_dword v77, off, s[0:3], 0 offset:612
	;; [unrolled: 1-line block ×3, first 2 shown]
	ds_read_b128 v[11:14], v1 offset:1120
	s_clause 0x4
	buffer_load_dword v81, off, s[0:3], 0 offset:652
	buffer_load_dword v82, off, s[0:3], 0 offset:664
	;; [unrolled: 1-line block ×5, first 2 shown]
	ds_read_b128 v[15:18], v1 offset:1136
	s_waitcnt vmcnt(62) lgkmcnt(2)
	v_mul_f64 v[78:79], v[9:10], v[2:3]
	v_mul_f64 v[2:3], v[7:8], v[2:3]
	s_waitcnt vmcnt(60) lgkmcnt(1)
	v_mul_f64 v[85:86], v[13:14], v[19:20]
	v_mul_f64 v[19:20], v[11:12], v[19:20]
	s_waitcnt vmcnt(56) lgkmcnt(0)
	v_mul_f64 v[87:88], v[15:16], v[23:24]
	v_mul_f64 v[23:24], v[17:18], v[23:24]
	v_fma_f64 v[78:79], v[7:8], v[21:22], -v[78:79]
	v_fma_f64 v[2:3], v[9:10], v[21:22], v[2:3]
	s_clause 0x2
	buffer_load_dword v83, off, s[0:3], 0 offset:668
	buffer_load_dword v22, off, s[0:3], 0 offset:644
	;; [unrolled: 1-line block ×3, first 2 shown]
	s_waitcnt vmcnt(57)
	v_fma_f64 v[89:90], v[11:12], v[25:26], -v[85:86]
	ds_read_b128 v[7:10], v1 offset:1152
	v_fma_f64 v[19:20], v[13:14], v[25:26], v[19:20]
	s_clause 0x4
	buffer_load_dword v26, off, s[0:3], 0 offset:684
	buffer_load_dword v86, off, s[0:3], 0 offset:696
	;; [unrolled: 1-line block ×5, first 2 shown]
	s_waitcnt vmcnt(56)
	v_fma_f64 v[23:24], v[15:16], v[33:34], -v[23:24]
	ds_read_b128 v[11:14], v1 offset:1168
	v_fma_f64 v[33:34], v[17:18], v[33:34], v[87:88]
	v_add_f64 v[78:79], v[78:79], 0
	v_add_f64 v[2:3], v[2:3], 0
	s_waitcnt lgkmcnt(1)
	v_mul_f64 v[181:182], v[7:8], v[27:28]
	v_mul_f64 v[27:28], v[9:10], v[27:28]
	v_add_f64 v[78:79], v[78:79], v[89:90]
	v_add_f64 v[2:3], v[2:3], v[19:20]
	s_clause 0x2
	buffer_load_dword v87, off, s[0:3], 0 offset:700
	buffer_load_dword v20, off, s[0:3], 0 offset:676
	;; [unrolled: 1-line block ×3, first 2 shown]
	s_waitcnt vmcnt(58) lgkmcnt(0)
	v_mul_f64 v[88:89], v[11:12], v[29:30]
	v_mul_f64 v[29:30], v[13:14], v[29:30]
	s_waitcnt vmcnt(56)
	v_fma_f64 v[27:28], v[7:8], v[35:36], -v[27:28]
	ds_read_b128 v[15:18], v1 offset:1184
	v_fma_f64 v[35:36], v[9:10], v[35:36], v[181:182]
	v_add_f64 v[23:24], v[78:79], v[23:24]
	v_add_f64 v[2:3], v[2:3], v[33:34]
	s_clause 0x4
	buffer_load_dword v34, off, s[0:3], 0 offset:716
	buffer_load_dword v78, off, s[0:3], 0 offset:728
	;; [unrolled: 1-line block ×5, first 2 shown]
	ds_read_b128 v[7:10], v1 offset:1200
	s_waitcnt vmcnt(57) lgkmcnt(1)
	v_mul_f64 v[182:183], v[15:16], v[37:38]
	v_mul_f64 v[37:38], v[17:18], v[37:38]
	s_waitcnt vmcnt(56)
	v_fma_f64 v[29:30], v[11:12], v[31:32], -v[29:30]
	v_add_f64 v[23:24], v[23:24], v[27:28]
	v_fma_f64 v[27:28], v[13:14], v[31:32], v[88:89]
	v_add_f64 v[2:3], v[2:3], v[35:36]
	s_clause 0x2
	buffer_load_dword v79, off, s[0:3], 0 offset:732
	buffer_load_dword v32, off, s[0:3], 0 offset:708
	buffer_load_dword v31, off, s[0:3], 0 offset:704
	s_waitcnt vmcnt(58) lgkmcnt(0)
	v_mul_f64 v[35:36], v[7:8], v[39:40]
	v_mul_f64 v[39:40], v[9:10], v[39:40]
	s_waitcnt vmcnt(56)
	v_fma_f64 v[37:38], v[15:16], v[43:44], -v[37:38]
	ds_read_b128 v[11:14], v1 offset:1216
	v_add_f64 v[23:24], v[23:24], v[29:30]
	v_fma_f64 v[29:30], v[17:18], v[43:44], v[182:183]
	v_add_f64 v[2:3], v[2:3], v[27:28]
	buffer_load_dword v182, off, s[0:3], 0 offset:724
	ds_read_b128 v[15:18], v1 offset:1232
	s_waitcnt vmcnt(53) lgkmcnt(1)
	v_mul_f64 v[43:44], v[13:14], v[45:46]
	s_waitcnt vmcnt(52)
	v_fma_f64 v[39:40], v[7:8], v[41:42], -v[39:40]
	v_mul_f64 v[27:28], v[11:12], v[45:46]
	v_fma_f64 v[35:36], v[9:10], v[41:42], v[35:36]
	ds_read_b128 v[7:10], v1 offset:1248
	v_add_f64 v[23:24], v[23:24], v[37:38]
	v_add_f64 v[2:3], v[2:3], v[29:30]
	s_waitcnt vmcnt(51) lgkmcnt(1)
	v_mul_f64 v[37:38], v[17:18], v[47:48]
	v_mul_f64 v[29:30], v[15:16], v[47:48]
	s_waitcnt vmcnt(49)
	v_fma_f64 v[41:42], v[11:12], v[51:52], -v[43:44]
	v_fma_f64 v[27:28], v[13:14], v[51:52], v[27:28]
	s_waitcnt vmcnt(45) lgkmcnt(0)
	v_mul_f64 v[45:46], v[9:10], v[53:54]
	v_mul_f64 v[43:44], v[7:8], v[53:54]
	v_add_f64 v[23:24], v[23:24], v[39:40]
	v_add_f64 v[2:3], v[2:3], v[35:36]
	s_clause 0x3
	buffer_load_dword v35, off, s[0:3], 0 offset:384
	buffer_load_dword v36, off, s[0:3], 0 offset:388
	;; [unrolled: 1-line block ×4, first 2 shown]
	s_waitcnt vmcnt(48)
	v_fma_f64 v[37:38], v[15:16], v[49:50], -v[37:38]
	ds_read_b128 v[11:14], v1 offset:1264
	v_fma_f64 v[29:30], v[17:18], v[49:50], v[29:30]
	ds_read_b128 v[15:18], v1 offset:1280
	s_waitcnt vmcnt(45)
	v_fma_f64 v[45:46], v[7:8], v[59:60], -v[45:46]
	v_add_f64 v[23:24], v[23:24], v[41:42]
	v_add_f64 v[2:3], v[2:3], v[27:28]
	s_waitcnt lgkmcnt(1)
	v_mul_f64 v[41:42], v[13:14], v[55:56]
	v_mul_f64 v[27:28], v[11:12], v[55:56]
	v_add_f64 v[23:24], v[23:24], v[37:38]
	v_fma_f64 v[37:38], v[9:10], v[59:60], v[43:44]
	v_add_f64 v[2:3], v[2:3], v[29:30]
	s_waitcnt vmcnt(41) lgkmcnt(0)
	v_mul_f64 v[43:44], v[17:18], v[61:62]
	s_waitcnt vmcnt(40)
	v_fma_f64 v[41:42], v[11:12], v[57:58], -v[41:42]
	ds_read_b128 v[7:10], v1 offset:1296
	v_mul_f64 v[29:30], v[15:16], v[61:62]
	v_fma_f64 v[27:28], v[13:14], v[57:58], v[27:28]
	ds_read_b128 v[11:14], v1 offset:1312
	v_add_f64 v[23:24], v[23:24], v[45:46]
	v_add_f64 v[2:3], v[2:3], v[37:38]
	s_waitcnt vmcnt(39) lgkmcnt(1)
	v_mul_f64 v[45:46], v[9:10], v[64:65]
	s_waitcnt vmcnt(37)
	v_fma_f64 v[43:44], v[15:16], v[68:69], -v[43:44]
	v_mul_f64 v[37:38], v[7:8], v[64:65]
	v_fma_f64 v[29:30], v[17:18], v[68:69], v[29:30]
	ds_read_b128 v[15:18], v1 offset:1328
	v_add_f64 v[23:24], v[23:24], v[41:42]
	s_waitcnt vmcnt(33) lgkmcnt(1)
	v_mul_f64 v[41:42], v[13:14], v[70:71]
	v_add_f64 v[2:3], v[2:3], v[27:28]
	s_waitcnt vmcnt(32)
	v_fma_f64 v[45:46], v[7:8], v[66:67], -v[45:46]
	v_mul_f64 v[27:28], v[11:12], v[70:71]
	v_fma_f64 v[37:38], v[9:10], v[66:67], v[37:38]
	ds_read_b128 v[7:10], v1 offset:1344
	v_add_f64 v[23:24], v[23:24], v[43:44]
	s_waitcnt vmcnt(31) lgkmcnt(1)
	v_mul_f64 v[43:44], v[17:18], v[72:73]
	v_add_f64 v[2:3], v[2:3], v[29:30]
	;; [unrolled: 9-line block ×3, first 2 shown]
	s_waitcnt vmcnt(24)
	v_fma_f64 v[43:44], v[15:16], v[74:75], -v[43:44]
	v_mul_f64 v[37:38], v[7:8], v[80:81]
	v_fma_f64 v[29:30], v[17:18], v[74:75], v[29:30]
	ds_read_b128 v[15:18], v1 offset:1376
	v_add_f64 v[23:24], v[23:24], v[41:42]
	v_add_f64 v[2:3], v[2:3], v[27:28]
	s_waitcnt vmcnt(23) lgkmcnt(1)
	v_mul_f64 v[41:42], v[13:14], v[82:83]
	v_mul_f64 v[27:28], v[11:12], v[82:83]
	s_waitcnt vmcnt(21)
	v_fma_f64 v[45:46], v[7:8], v[21:22], -v[45:46]
	v_fma_f64 v[21:22], v[9:10], v[21:22], v[37:38]
	ds_read_b128 v[7:10], v1 offset:1392
	v_add_f64 v[23:24], v[23:24], v[43:44]
	v_add_f64 v[2:3], v[2:3], v[29:30]
	s_waitcnt vmcnt(17) lgkmcnt(1)
	v_mul_f64 v[29:30], v[15:16], v[25:26]
	v_mul_f64 v[25:26], v[17:18], v[25:26]
	s_waitcnt vmcnt(16)
	v_fma_f64 v[37:38], v[11:12], v[84:85], -v[41:42]
	;; [unrolled: 9-line block ×3, first 2 shown]
	v_fma_f64 v[19:20], v[17:18], v[19:20], v[29:30]
	ds_read_b128 v[15:18], v1 offset:1424
	v_add_f64 v[23:24], v[23:24], v[37:38]
	v_add_f64 v[2:3], v[2:3], v[27:28]
	s_waitcnt vmcnt(9) lgkmcnt(1)
	v_mul_f64 v[29:30], v[13:14], v[33:34]
	s_waitcnt vmcnt(8)
	v_fma_f64 v[7:8], v[7:8], v[91:92], -v[41:42]
	v_mul_f64 v[27:28], v[11:12], v[33:34]
	v_fma_f64 v[9:10], v[9:10], v[91:92], v[21:22]
	v_add_f64 v[23:24], v[23:24], v[25:26]
	v_add_f64 v[2:3], v[2:3], v[19:20]
	s_waitcnt vmcnt(7) lgkmcnt(0)
	v_mul_f64 v[21:22], v[17:18], v[78:79]
	v_mul_f64 v[19:20], v[15:16], v[78:79]
	s_waitcnt vmcnt(5)
	v_fma_f64 v[11:12], v[11:12], v[31:32], -v[29:30]
	v_fma_f64 v[13:14], v[13:14], v[31:32], v[27:28]
	v_add_f64 v[7:8], v[23:24], v[7:8]
	v_add_f64 v[2:3], v[2:3], v[9:10]
	s_waitcnt vmcnt(4)
	v_fma_f64 v[9:10], v[15:16], v[181:182], -v[21:22]
	v_add_f64 v[7:8], v[7:8], v[11:12]
	v_fma_f64 v[11:12], v[17:18], v[181:182], v[19:20]
	v_add_f64 v[2:3], v[2:3], v[13:14]
	v_add_f64 v[7:8], v[7:8], v[9:10]
	;; [unrolled: 1-line block ×3, first 2 shown]
	s_waitcnt vmcnt(2)
	v_add_f64 v[7:8], v[35:36], -v[7:8]
	s_waitcnt vmcnt(0)
	v_add_f64 v[2:3], v[39:40], -v[2:3]
	buffer_store_dword v8, off, s[0:3], 0 offset:388
	buffer_store_dword v7, off, s[0:3], 0 offset:384
	;; [unrolled: 1-line block ×4, first 2 shown]
	v_cmpx_lt_u32_e32 22, v0
	s_cbranch_execz .LBB44_239
; %bb.238:
	v_mov_b32_e32 v2, s36
	s_clause 0x3
	buffer_load_dword v7, v2, s[0:3], 0 offen
	buffer_load_dword v8, v2, s[0:3], 0 offen offset:4
	buffer_load_dword v9, v2, s[0:3], 0 offen offset:8
	;; [unrolled: 1-line block ×3, first 2 shown]
	buffer_store_dword v1, off, s[0:3], 0 offset:368
	buffer_store_dword v1, off, s[0:3], 0 offset:372
	;; [unrolled: 1-line block ×4, first 2 shown]
	s_waitcnt vmcnt(0)
	ds_write_b128 v63, v[7:10]
.LBB44_239:
	s_or_b32 exec_lo, exec_lo, s4
	s_waitcnt lgkmcnt(0)
	s_waitcnt_vscnt null, 0x0
	s_barrier
	buffer_gl0_inv
	s_clause 0x37
	buffer_load_dword v2, off, s[0:3], 0 offset:392
	buffer_load_dword v3, off, s[0:3], 0 offset:396
	;; [unrolled: 1-line block ×56, first 2 shown]
	ds_read_b128 v[7:10], v1 offset:1088
	s_clause 0x2
	buffer_load_dword v73, off, s[0:3], 0 offset:620
	buffer_load_dword v77, off, s[0:3], 0 offset:596
	;; [unrolled: 1-line block ×3, first 2 shown]
	ds_read_b128 v[11:14], v1 offset:1104
	s_clause 0x4
	buffer_load_dword v81, off, s[0:3], 0 offset:636
	buffer_load_dword v82, off, s[0:3], 0 offset:648
	;; [unrolled: 1-line block ×5, first 2 shown]
	ds_read_b128 v[15:18], v1 offset:1120
	s_mov_b32 s4, exec_lo
	s_waitcnt vmcnt(62) lgkmcnt(2)
	v_mul_f64 v[78:79], v[9:10], v[2:3]
	v_mul_f64 v[2:3], v[7:8], v[2:3]
	s_waitcnt vmcnt(60) lgkmcnt(1)
	v_mul_f64 v[85:86], v[13:14], v[19:20]
	v_mul_f64 v[19:20], v[11:12], v[19:20]
	;; [unrolled: 3-line block ×3, first 2 shown]
	v_fma_f64 v[78:79], v[7:8], v[21:22], -v[78:79]
	v_fma_f64 v[2:3], v[9:10], v[21:22], v[2:3]
	s_clause 0x2
	buffer_load_dword v83, off, s[0:3], 0 offset:652
	buffer_load_dword v22, off, s[0:3], 0 offset:628
	;; [unrolled: 1-line block ×3, first 2 shown]
	s_waitcnt vmcnt(57)
	v_fma_f64 v[89:90], v[11:12], v[25:26], -v[85:86]
	ds_read_b128 v[7:10], v1 offset:1136
	v_fma_f64 v[19:20], v[13:14], v[25:26], v[19:20]
	s_clause 0x4
	buffer_load_dword v26, off, s[0:3], 0 offset:668
	buffer_load_dword v86, off, s[0:3], 0 offset:680
	;; [unrolled: 1-line block ×5, first 2 shown]
	s_waitcnt vmcnt(56)
	v_fma_f64 v[23:24], v[15:16], v[33:34], -v[23:24]
	ds_read_b128 v[11:14], v1 offset:1152
	v_fma_f64 v[33:34], v[17:18], v[33:34], v[87:88]
	v_add_f64 v[78:79], v[78:79], 0
	v_add_f64 v[2:3], v[2:3], 0
	s_waitcnt lgkmcnt(1)
	v_mul_f64 v[181:182], v[7:8], v[27:28]
	v_mul_f64 v[27:28], v[9:10], v[27:28]
	v_add_f64 v[78:79], v[78:79], v[89:90]
	v_add_f64 v[2:3], v[2:3], v[19:20]
	s_clause 0x2
	buffer_load_dword v87, off, s[0:3], 0 offset:684
	buffer_load_dword v20, off, s[0:3], 0 offset:660
	;; [unrolled: 1-line block ×3, first 2 shown]
	s_waitcnt vmcnt(58) lgkmcnt(0)
	v_mul_f64 v[88:89], v[11:12], v[29:30]
	v_mul_f64 v[29:30], v[13:14], v[29:30]
	s_waitcnt vmcnt(56)
	v_fma_f64 v[27:28], v[7:8], v[35:36], -v[27:28]
	ds_read_b128 v[15:18], v1 offset:1168
	v_fma_f64 v[35:36], v[9:10], v[35:36], v[181:182]
	v_add_f64 v[23:24], v[78:79], v[23:24]
	v_add_f64 v[2:3], v[2:3], v[33:34]
	s_clause 0x4
	buffer_load_dword v34, off, s[0:3], 0 offset:700
	buffer_load_dword v78, off, s[0:3], 0 offset:712
	;; [unrolled: 1-line block ×5, first 2 shown]
	ds_read_b128 v[7:10], v1 offset:1184
	s_waitcnt vmcnt(57) lgkmcnt(1)
	v_mul_f64 v[182:183], v[15:16], v[37:38]
	v_mul_f64 v[37:38], v[17:18], v[37:38]
	s_waitcnt vmcnt(56)
	v_fma_f64 v[29:30], v[11:12], v[31:32], -v[29:30]
	v_add_f64 v[23:24], v[23:24], v[27:28]
	v_fma_f64 v[27:28], v[13:14], v[31:32], v[88:89]
	v_add_f64 v[2:3], v[2:3], v[35:36]
	s_clause 0x2
	buffer_load_dword v79, off, s[0:3], 0 offset:716
	buffer_load_dword v32, off, s[0:3], 0 offset:692
	;; [unrolled: 1-line block ×3, first 2 shown]
	s_waitcnt vmcnt(58) lgkmcnt(0)
	v_mul_f64 v[35:36], v[7:8], v[39:40]
	v_mul_f64 v[39:40], v[9:10], v[39:40]
	s_waitcnt vmcnt(56)
	v_fma_f64 v[37:38], v[15:16], v[43:44], -v[37:38]
	ds_read_b128 v[11:14], v1 offset:1200
	v_add_f64 v[23:24], v[23:24], v[29:30]
	v_fma_f64 v[29:30], v[17:18], v[43:44], v[182:183]
	v_add_f64 v[2:3], v[2:3], v[27:28]
	s_clause 0x2
	buffer_load_dword v28, off, s[0:3], 0 offset:732
	buffer_load_dword v27, off, s[0:3], 0 offset:728
	;; [unrolled: 1-line block ×3, first 2 shown]
	ds_read_b128 v[15:18], v1 offset:1216
	s_waitcnt vmcnt(55) lgkmcnt(1)
	v_mul_f64 v[43:44], v[11:12], v[45:46]
	v_mul_f64 v[45:46], v[13:14], v[45:46]
	s_waitcnt vmcnt(54)
	v_fma_f64 v[39:40], v[7:8], v[41:42], -v[39:40]
	v_fma_f64 v[35:36], v[9:10], v[41:42], v[35:36]
	v_add_f64 v[23:24], v[23:24], v[37:38]
	v_add_f64 v[2:3], v[2:3], v[29:30]
	s_clause 0x1
	buffer_load_dword v30, off, s[0:3], 0 offset:724
	buffer_load_dword v29, off, s[0:3], 0 offset:720
	s_waitcnt vmcnt(55) lgkmcnt(0)
	v_mul_f64 v[41:42], v[17:18], v[47:48]
	ds_read_b128 v[7:10], v1 offset:1232
	s_waitcnt vmcnt(53)
	v_fma_f64 v[45:46], v[11:12], v[51:52], -v[45:46]
	v_mul_f64 v[37:38], v[15:16], v[47:48]
	v_add_f64 v[23:24], v[23:24], v[39:40]
	v_fma_f64 v[39:40], v[13:14], v[51:52], v[43:44]
	v_add_f64 v[2:3], v[2:3], v[35:36]
	ds_read_b128 v[11:14], v1 offset:1248
	s_waitcnt vmcnt(49) lgkmcnt(1)
	v_mul_f64 v[43:44], v[9:10], v[53:54]
	s_waitcnt vmcnt(48)
	v_fma_f64 v[41:42], v[15:16], v[49:50], -v[41:42]
	v_mul_f64 v[35:36], v[7:8], v[53:54]
	v_fma_f64 v[37:38], v[17:18], v[49:50], v[37:38]
	v_add_f64 v[23:24], v[23:24], v[45:46]
	s_waitcnt vmcnt(47) lgkmcnt(0)
	v_mul_f64 v[49:50], v[13:14], v[55:56]
	v_add_f64 v[2:3], v[2:3], v[39:40]
	s_clause 0x3
	buffer_load_dword v39, off, s[0:3], 0 offset:368
	buffer_load_dword v40, off, s[0:3], 0 offset:372
	;; [unrolled: 1-line block ×4, first 2 shown]
	s_waitcnt vmcnt(49)
	v_fma_f64 v[43:44], v[7:8], v[59:60], -v[43:44]
	ds_read_b128 v[15:18], v1 offset:1264
	v_mul_f64 v[47:48], v[11:12], v[55:56]
	v_fma_f64 v[35:36], v[9:10], v[59:60], v[35:36]
	ds_read_b128 v[7:10], v1 offset:1280
	v_add_f64 v[23:24], v[23:24], v[41:42]
	s_waitcnt vmcnt(44)
	v_fma_f64 v[49:50], v[11:12], v[57:58], -v[49:50]
	v_add_f64 v[2:3], v[2:3], v[37:38]
	s_waitcnt lgkmcnt(1)
	v_mul_f64 v[41:42], v[17:18], v[61:62]
	v_mul_f64 v[37:38], v[15:16], v[61:62]
	v_add_f64 v[23:24], v[23:24], v[43:44]
	v_fma_f64 v[43:44], v[13:14], v[57:58], v[47:48]
	v_add_f64 v[2:3], v[2:3], v[35:36]
	s_waitcnt vmcnt(43) lgkmcnt(0)
	v_mul_f64 v[47:48], v[9:10], v[64:65]
	s_waitcnt vmcnt(41)
	v_fma_f64 v[41:42], v[15:16], v[68:69], -v[41:42]
	ds_read_b128 v[11:14], v1 offset:1296
	v_mul_f64 v[35:36], v[7:8], v[64:65]
	v_fma_f64 v[37:38], v[17:18], v[68:69], v[37:38]
	ds_read_b128 v[15:18], v1 offset:1312
	v_add_f64 v[23:24], v[23:24], v[49:50]
	v_add_f64 v[2:3], v[2:3], v[43:44]
	s_waitcnt vmcnt(37) lgkmcnt(1)
	v_mul_f64 v[49:50], v[13:14], v[70:71]
	s_waitcnt vmcnt(36)
	v_fma_f64 v[47:48], v[7:8], v[66:67], -v[47:48]
	v_mul_f64 v[43:44], v[11:12], v[70:71]
	v_fma_f64 v[35:36], v[9:10], v[66:67], v[35:36]
	ds_read_b128 v[7:10], v1 offset:1328
	v_add_f64 v[23:24], v[23:24], v[41:42]
	s_waitcnt vmcnt(35) lgkmcnt(1)
	v_mul_f64 v[41:42], v[17:18], v[72:73]
	v_add_f64 v[2:3], v[2:3], v[37:38]
	s_waitcnt vmcnt(33)
	v_fma_f64 v[49:50], v[11:12], v[76:77], -v[49:50]
	v_mul_f64 v[37:38], v[15:16], v[72:73]
	v_fma_f64 v[43:44], v[13:14], v[76:77], v[43:44]
	ds_read_b128 v[11:14], v1 offset:1344
	v_add_f64 v[23:24], v[23:24], v[47:48]
	s_waitcnt vmcnt(29) lgkmcnt(1)
	v_mul_f64 v[47:48], v[9:10], v[80:81]
	v_add_f64 v[2:3], v[2:3], v[35:36]
	s_waitcnt vmcnt(28)
	v_fma_f64 v[41:42], v[15:16], v[74:75], -v[41:42]
	v_mul_f64 v[35:36], v[7:8], v[80:81]
	v_fma_f64 v[37:38], v[17:18], v[74:75], v[37:38]
	ds_read_b128 v[15:18], v1 offset:1360
	v_add_f64 v[23:24], v[23:24], v[49:50]
	v_add_f64 v[2:3], v[2:3], v[43:44]
	s_waitcnt vmcnt(27) lgkmcnt(1)
	v_mul_f64 v[49:50], v[13:14], v[82:83]
	v_mul_f64 v[43:44], v[11:12], v[82:83]
	s_waitcnt vmcnt(25)
	v_fma_f64 v[47:48], v[7:8], v[21:22], -v[47:48]
	v_fma_f64 v[21:22], v[9:10], v[21:22], v[35:36]
	ds_read_b128 v[7:10], v1 offset:1376
	s_waitcnt vmcnt(21) lgkmcnt(1)
	v_mul_f64 v[35:36], v[15:16], v[25:26]
	v_mul_f64 v[25:26], v[17:18], v[25:26]
	v_add_f64 v[23:24], v[23:24], v[41:42]
	v_add_f64 v[2:3], v[2:3], v[37:38]
	s_waitcnt vmcnt(20)
	v_fma_f64 v[37:38], v[11:12], v[84:85], -v[49:50]
	v_fma_f64 v[41:42], v[13:14], v[84:85], v[43:44]
	ds_read_b128 v[11:14], v1 offset:1392
	v_add_f64 v[23:24], v[23:24], v[47:48]
	v_add_f64 v[2:3], v[2:3], v[21:22]
	s_waitcnt vmcnt(19) lgkmcnt(1)
	v_mul_f64 v[43:44], v[9:10], v[86:87]
	v_mul_f64 v[21:22], v[7:8], v[86:87]
	s_waitcnt vmcnt(17)
	v_fma_f64 v[25:26], v[15:16], v[19:20], -v[25:26]
	v_fma_f64 v[19:20], v[17:18], v[19:20], v[35:36]
	ds_read_b128 v[15:18], v1 offset:1408
	v_add_f64 v[23:24], v[23:24], v[37:38]
	v_add_f64 v[2:3], v[2:3], v[41:42]
	s_waitcnt vmcnt(13) lgkmcnt(1)
	v_mul_f64 v[35:36], v[11:12], v[33:34]
	v_mul_f64 v[33:34], v[13:14], v[33:34]
	s_waitcnt vmcnt(12)
	v_fma_f64 v[7:8], v[7:8], v[91:92], -v[43:44]
	v_fma_f64 v[9:10], v[9:10], v[91:92], v[21:22]
	v_add_f64 v[23:24], v[23:24], v[25:26]
	v_add_f64 v[19:20], v[2:3], v[19:20]
	ds_read_b128 v[1:4], v1 offset:1424
	s_waitcnt vmcnt(11) lgkmcnt(1)
	v_mul_f64 v[25:26], v[17:18], v[78:79]
	v_mul_f64 v[21:22], v[15:16], v[78:79]
	s_waitcnt vmcnt(9)
	v_fma_f64 v[11:12], v[11:12], v[31:32], -v[33:34]
	v_fma_f64 v[13:14], v[13:14], v[31:32], v[35:36]
	v_add_f64 v[7:8], v[23:24], v[7:8]
	v_add_f64 v[9:10], v[19:20], v[9:10]
	s_waitcnt vmcnt(7) lgkmcnt(0)
	v_mul_f64 v[23:24], v[3:4], v[27:28]
	s_waitcnt vmcnt(6)
	v_fma_f64 v[15:16], v[15:16], v[181:182], -v[25:26]
	v_mul_f64 v[19:20], v[1:2], v[27:28]
	v_add_f64 v[7:8], v[7:8], v[11:12]
	v_fma_f64 v[11:12], v[17:18], v[181:182], v[21:22]
	v_add_f64 v[9:10], v[9:10], v[13:14]
	s_waitcnt vmcnt(4)
	v_fma_f64 v[1:2], v[1:2], v[29:30], -v[23:24]
	v_fma_f64 v[3:4], v[3:4], v[29:30], v[19:20]
	v_add_f64 v[7:8], v[7:8], v[15:16]
	v_add_f64 v[9:10], v[9:10], v[11:12]
	;; [unrolled: 1-line block ×4, first 2 shown]
	s_waitcnt vmcnt(2)
	v_add_f64 v[1:2], v[39:40], -v[1:2]
	s_waitcnt vmcnt(0)
	v_add_f64 v[3:4], v[45:46], -v[3:4]
	buffer_store_dword v2, off, s[0:3], 0 offset:372
	buffer_store_dword v1, off, s[0:3], 0 offset:368
	;; [unrolled: 1-line block ×4, first 2 shown]
	v_cmpx_lt_u32_e32 21, v0
	s_cbranch_execz .LBB44_241
; %bb.240:
	v_mov_b32_e32 v4, s38
	v_mov_b32_e32 v7, 0
	s_clause 0x3
	buffer_load_dword v1, v4, s[0:3], 0 offen
	buffer_load_dword v2, v4, s[0:3], 0 offen offset:4
	buffer_load_dword v3, v4, s[0:3], 0 offen offset:8
	;; [unrolled: 1-line block ×3, first 2 shown]
	buffer_store_dword v7, off, s[0:3], 0 offset:352
	buffer_store_dword v7, off, s[0:3], 0 offset:356
	buffer_store_dword v7, off, s[0:3], 0 offset:360
	buffer_store_dword v7, off, s[0:3], 0 offset:364
	s_waitcnt vmcnt(0)
	ds_write_b128 v63, v[1:4]
.LBB44_241:
	s_or_b32 exec_lo, exec_lo, s4
	s_waitcnt lgkmcnt(0)
	s_waitcnt_vscnt null, 0x0
	s_barrier
	buffer_gl0_inv
	s_clause 0x37
	buffer_load_dword v2, off, s[0:3], 0 offset:376
	buffer_load_dword v3, off, s[0:3], 0 offset:380
	;; [unrolled: 1-line block ×56, first 2 shown]
	v_mov_b32_e32 v1, 0
	s_mov_b32 s4, exec_lo
	ds_read_b128 v[7:10], v1 offset:1072
	s_clause 0x2
	buffer_load_dword v73, off, s[0:3], 0 offset:604
	buffer_load_dword v77, off, s[0:3], 0 offset:580
	;; [unrolled: 1-line block ×3, first 2 shown]
	ds_read_b128 v[11:14], v1 offset:1088
	s_clause 0x4
	buffer_load_dword v81, off, s[0:3], 0 offset:620
	buffer_load_dword v82, off, s[0:3], 0 offset:632
	;; [unrolled: 1-line block ×5, first 2 shown]
	ds_read_b128 v[15:18], v1 offset:1104
	s_waitcnt vmcnt(62) lgkmcnt(2)
	v_mul_f64 v[78:79], v[9:10], v[2:3]
	v_mul_f64 v[2:3], v[7:8], v[2:3]
	s_waitcnt vmcnt(60) lgkmcnt(1)
	v_mul_f64 v[85:86], v[13:14], v[19:20]
	v_mul_f64 v[19:20], v[11:12], v[19:20]
	;; [unrolled: 3-line block ×3, first 2 shown]
	v_fma_f64 v[78:79], v[7:8], v[21:22], -v[78:79]
	v_fma_f64 v[2:3], v[9:10], v[21:22], v[2:3]
	s_clause 0x2
	buffer_load_dword v83, off, s[0:3], 0 offset:636
	buffer_load_dword v22, off, s[0:3], 0 offset:612
	;; [unrolled: 1-line block ×3, first 2 shown]
	s_waitcnt vmcnt(57)
	v_fma_f64 v[89:90], v[11:12], v[25:26], -v[85:86]
	ds_read_b128 v[7:10], v1 offset:1120
	v_fma_f64 v[19:20], v[13:14], v[25:26], v[19:20]
	s_clause 0x4
	buffer_load_dword v26, off, s[0:3], 0 offset:652
	buffer_load_dword v86, off, s[0:3], 0 offset:664
	;; [unrolled: 1-line block ×5, first 2 shown]
	s_waitcnt vmcnt(56)
	v_fma_f64 v[23:24], v[15:16], v[33:34], -v[23:24]
	ds_read_b128 v[11:14], v1 offset:1136
	v_fma_f64 v[33:34], v[17:18], v[33:34], v[87:88]
	v_add_f64 v[78:79], v[78:79], 0
	v_add_f64 v[2:3], v[2:3], 0
	s_waitcnt lgkmcnt(1)
	v_mul_f64 v[181:182], v[7:8], v[27:28]
	v_mul_f64 v[27:28], v[9:10], v[27:28]
	v_add_f64 v[78:79], v[78:79], v[89:90]
	v_add_f64 v[2:3], v[2:3], v[19:20]
	s_clause 0x2
	buffer_load_dword v87, off, s[0:3], 0 offset:668
	buffer_load_dword v20, off, s[0:3], 0 offset:644
	;; [unrolled: 1-line block ×3, first 2 shown]
	s_waitcnt vmcnt(58) lgkmcnt(0)
	v_mul_f64 v[88:89], v[11:12], v[29:30]
	v_mul_f64 v[29:30], v[13:14], v[29:30]
	s_waitcnt vmcnt(56)
	v_fma_f64 v[27:28], v[7:8], v[35:36], -v[27:28]
	ds_read_b128 v[15:18], v1 offset:1152
	v_fma_f64 v[35:36], v[9:10], v[35:36], v[181:182]
	v_add_f64 v[23:24], v[78:79], v[23:24]
	v_add_f64 v[2:3], v[2:3], v[33:34]
	s_clause 0x4
	buffer_load_dword v34, off, s[0:3], 0 offset:684
	buffer_load_dword v78, off, s[0:3], 0 offset:696
	;; [unrolled: 1-line block ×5, first 2 shown]
	ds_read_b128 v[7:10], v1 offset:1168
	s_waitcnt vmcnt(57) lgkmcnt(1)
	v_mul_f64 v[182:183], v[15:16], v[37:38]
	v_mul_f64 v[37:38], v[17:18], v[37:38]
	s_waitcnt vmcnt(56)
	v_fma_f64 v[29:30], v[11:12], v[31:32], -v[29:30]
	v_add_f64 v[23:24], v[23:24], v[27:28]
	v_fma_f64 v[27:28], v[13:14], v[31:32], v[88:89]
	v_add_f64 v[2:3], v[2:3], v[35:36]
	s_clause 0x2
	buffer_load_dword v79, off, s[0:3], 0 offset:700
	buffer_load_dword v32, off, s[0:3], 0 offset:676
	;; [unrolled: 1-line block ×3, first 2 shown]
	s_waitcnt vmcnt(58) lgkmcnt(0)
	v_mul_f64 v[35:36], v[7:8], v[39:40]
	v_mul_f64 v[39:40], v[9:10], v[39:40]
	s_waitcnt vmcnt(56)
	v_fma_f64 v[37:38], v[15:16], v[43:44], -v[37:38]
	ds_read_b128 v[11:14], v1 offset:1184
	v_add_f64 v[23:24], v[23:24], v[29:30]
	v_fma_f64 v[29:30], v[17:18], v[43:44], v[182:183]
	v_add_f64 v[2:3], v[2:3], v[27:28]
	s_clause 0x4
	buffer_load_dword v28, off, s[0:3], 0 offset:716
	buffer_load_dword v43, off, s[0:3], 0 offset:728
	;; [unrolled: 1-line block ×5, first 2 shown]
	ds_read_b128 v[15:18], v1 offset:1200
	s_waitcnt vmcnt(57) lgkmcnt(1)
	v_mul_f64 v[89:90], v[11:12], v[45:46]
	v_mul_f64 v[45:46], v[13:14], v[45:46]
	s_waitcnt vmcnt(56)
	v_fma_f64 v[39:40], v[7:8], v[41:42], -v[39:40]
	v_fma_f64 v[35:36], v[9:10], v[41:42], v[35:36]
	v_add_f64 v[23:24], v[23:24], v[37:38]
	v_add_f64 v[2:3], v[2:3], v[29:30]
	s_clause 0x2
	buffer_load_dword v44, off, s[0:3], 0 offset:732
	buffer_load_dword v30, off, s[0:3], 0 offset:708
	;; [unrolled: 1-line block ×3, first 2 shown]
	s_waitcnt vmcnt(58) lgkmcnt(0)
	v_mul_f64 v[41:42], v[17:18], v[47:48]
	ds_read_b128 v[7:10], v1 offset:1216
	s_waitcnt vmcnt(56)
	v_fma_f64 v[45:46], v[11:12], v[51:52], -v[45:46]
	v_mul_f64 v[37:38], v[15:16], v[47:48]
	v_add_f64 v[23:24], v[23:24], v[39:40]
	v_fma_f64 v[39:40], v[13:14], v[51:52], v[89:90]
	v_add_f64 v[2:3], v[2:3], v[35:36]
	buffer_load_dword v89, off, s[0:3], 0 offset:724
	ds_read_b128 v[11:14], v1 offset:1232
	s_waitcnt vmcnt(53) lgkmcnt(1)
	v_mul_f64 v[47:48], v[9:10], v[53:54]
	s_waitcnt vmcnt(52)
	v_fma_f64 v[41:42], v[15:16], v[49:50], -v[41:42]
	v_mul_f64 v[35:36], v[7:8], v[53:54]
	v_fma_f64 v[37:38], v[17:18], v[49:50], v[37:38]
	ds_read_b128 v[15:18], v1 offset:1248
	v_add_f64 v[23:24], v[23:24], v[45:46]
	v_add_f64 v[2:3], v[2:3], v[39:40]
	s_waitcnt vmcnt(51) lgkmcnt(1)
	v_mul_f64 v[45:46], v[13:14], v[55:56]
	v_mul_f64 v[39:40], v[11:12], v[55:56]
	s_waitcnt vmcnt(49)
	v_fma_f64 v[47:48], v[7:8], v[59:60], -v[47:48]
	v_fma_f64 v[35:36], v[9:10], v[59:60], v[35:36]
	s_waitcnt vmcnt(45) lgkmcnt(0)
	v_mul_f64 v[51:52], v[17:18], v[61:62]
	v_mul_f64 v[49:50], v[15:16], v[61:62]
	v_add_f64 v[23:24], v[23:24], v[41:42]
	v_add_f64 v[2:3], v[2:3], v[37:38]
	s_clause 0x3
	buffer_load_dword v37, off, s[0:3], 0 offset:352
	buffer_load_dword v38, off, s[0:3], 0 offset:356
	;; [unrolled: 1-line block ×4, first 2 shown]
	s_waitcnt vmcnt(48)
	v_fma_f64 v[45:46], v[11:12], v[57:58], -v[45:46]
	ds_read_b128 v[7:10], v1 offset:1264
	v_fma_f64 v[39:40], v[13:14], v[57:58], v[39:40]
	ds_read_b128 v[11:14], v1 offset:1280
	s_waitcnt vmcnt(45)
	v_fma_f64 v[51:52], v[15:16], v[68:69], -v[51:52]
	v_add_f64 v[23:24], v[23:24], v[47:48]
	v_add_f64 v[2:3], v[2:3], v[35:36]
	s_waitcnt lgkmcnt(1)
	v_mul_f64 v[47:48], v[9:10], v[64:65]
	v_mul_f64 v[35:36], v[7:8], v[64:65]
	v_add_f64 v[23:24], v[23:24], v[45:46]
	v_fma_f64 v[45:46], v[17:18], v[68:69], v[49:50]
	v_add_f64 v[2:3], v[2:3], v[39:40]
	s_waitcnt vmcnt(41) lgkmcnt(0)
	v_mul_f64 v[49:50], v[13:14], v[70:71]
	s_waitcnt vmcnt(40)
	v_fma_f64 v[47:48], v[7:8], v[66:67], -v[47:48]
	ds_read_b128 v[15:18], v1 offset:1296
	v_mul_f64 v[39:40], v[11:12], v[70:71]
	v_fma_f64 v[35:36], v[9:10], v[66:67], v[35:36]
	ds_read_b128 v[7:10], v1 offset:1312
	v_add_f64 v[23:24], v[23:24], v[51:52]
	v_add_f64 v[2:3], v[2:3], v[45:46]
	s_waitcnt vmcnt(39) lgkmcnt(1)
	v_mul_f64 v[51:52], v[17:18], v[72:73]
	s_waitcnt vmcnt(37)
	v_fma_f64 v[49:50], v[11:12], v[76:77], -v[49:50]
	v_mul_f64 v[45:46], v[15:16], v[72:73]
	v_fma_f64 v[39:40], v[13:14], v[76:77], v[39:40]
	ds_read_b128 v[11:14], v1 offset:1328
	v_add_f64 v[23:24], v[23:24], v[47:48]
	s_waitcnt vmcnt(33) lgkmcnt(1)
	v_mul_f64 v[47:48], v[9:10], v[80:81]
	v_add_f64 v[2:3], v[2:3], v[35:36]
	s_waitcnt vmcnt(32)
	v_fma_f64 v[51:52], v[15:16], v[74:75], -v[51:52]
	v_mul_f64 v[35:36], v[7:8], v[80:81]
	v_fma_f64 v[45:46], v[17:18], v[74:75], v[45:46]
	ds_read_b128 v[15:18], v1 offset:1344
	v_add_f64 v[23:24], v[23:24], v[49:50]
	v_add_f64 v[2:3], v[2:3], v[39:40]
	s_waitcnt vmcnt(31) lgkmcnt(1)
	v_mul_f64 v[49:50], v[13:14], v[82:83]
	v_mul_f64 v[39:40], v[11:12], v[82:83]
	s_waitcnt vmcnt(29)
	v_fma_f64 v[47:48], v[7:8], v[21:22], -v[47:48]
	v_fma_f64 v[21:22], v[9:10], v[21:22], v[35:36]
	ds_read_b128 v[7:10], v1 offset:1360
	s_waitcnt vmcnt(25) lgkmcnt(1)
	v_mul_f64 v[35:36], v[15:16], v[25:26]
	v_mul_f64 v[25:26], v[17:18], v[25:26]
	v_add_f64 v[23:24], v[23:24], v[51:52]
	v_add_f64 v[2:3], v[2:3], v[45:46]
	s_waitcnt vmcnt(24)
	v_fma_f64 v[45:46], v[11:12], v[84:85], -v[49:50]
	v_fma_f64 v[39:40], v[13:14], v[84:85], v[39:40]
	ds_read_b128 v[11:14], v1 offset:1376
	v_add_f64 v[23:24], v[23:24], v[47:48]
	v_add_f64 v[2:3], v[2:3], v[21:22]
	s_waitcnt vmcnt(23) lgkmcnt(1)
	v_mul_f64 v[47:48], v[9:10], v[86:87]
	v_mul_f64 v[21:22], v[7:8], v[86:87]
	s_waitcnt vmcnt(21)
	v_fma_f64 v[25:26], v[15:16], v[19:20], -v[25:26]
	v_fma_f64 v[19:20], v[17:18], v[19:20], v[35:36]
	ds_read_b128 v[15:18], v1 offset:1392
	v_add_f64 v[23:24], v[23:24], v[45:46]
	v_add_f64 v[2:3], v[2:3], v[39:40]
	s_waitcnt vmcnt(17) lgkmcnt(1)
	v_mul_f64 v[35:36], v[11:12], v[33:34]
	v_mul_f64 v[33:34], v[13:14], v[33:34]
	;; [unrolled: 9-line block ×4, first 2 shown]
	s_waitcnt vmcnt(8)
	v_fma_f64 v[15:16], v[15:16], v[181:182], -v[25:26]
	v_fma_f64 v[17:18], v[17:18], v[181:182], v[19:20]
	v_add_f64 v[23:24], v[23:24], v[33:34]
	v_add_f64 v[2:3], v[2:3], v[31:32]
	s_waitcnt vmcnt(7) lgkmcnt(0)
	v_mul_f64 v[25:26], v[13:14], v[43:44]
	v_mul_f64 v[19:20], v[11:12], v[43:44]
	s_waitcnt vmcnt(5)
	v_fma_f64 v[7:8], v[7:8], v[29:30], -v[27:28]
	v_fma_f64 v[9:10], v[9:10], v[29:30], v[21:22]
	v_add_f64 v[15:16], v[23:24], v[15:16]
	v_add_f64 v[2:3], v[2:3], v[17:18]
	s_waitcnt vmcnt(4)
	v_fma_f64 v[11:12], v[11:12], v[88:89], -v[25:26]
	v_fma_f64 v[13:14], v[13:14], v[88:89], v[19:20]
	v_add_f64 v[7:8], v[15:16], v[7:8]
	v_add_f64 v[2:3], v[2:3], v[9:10]
	;; [unrolled: 1-line block ×4, first 2 shown]
	s_waitcnt vmcnt(2)
	v_add_f64 v[7:8], v[37:38], -v[7:8]
	s_waitcnt vmcnt(0)
	v_add_f64 v[2:3], v[41:42], -v[2:3]
	buffer_store_dword v8, off, s[0:3], 0 offset:356
	buffer_store_dword v7, off, s[0:3], 0 offset:352
	buffer_store_dword v3, off, s[0:3], 0 offset:364
	buffer_store_dword v2, off, s[0:3], 0 offset:360
	v_cmpx_lt_u32_e32 20, v0
	s_cbranch_execz .LBB44_243
; %bb.242:
	v_mov_b32_e32 v2, s40
	s_clause 0x3
	buffer_load_dword v7, v2, s[0:3], 0 offen
	buffer_load_dword v8, v2, s[0:3], 0 offen offset:4
	buffer_load_dword v9, v2, s[0:3], 0 offen offset:8
	;; [unrolled: 1-line block ×3, first 2 shown]
	buffer_store_dword v1, off, s[0:3], 0 offset:336
	buffer_store_dword v1, off, s[0:3], 0 offset:340
	;; [unrolled: 1-line block ×4, first 2 shown]
	s_waitcnt vmcnt(0)
	ds_write_b128 v63, v[7:10]
.LBB44_243:
	s_or_b32 exec_lo, exec_lo, s4
	s_waitcnt lgkmcnt(0)
	s_waitcnt_vscnt null, 0x0
	s_barrier
	buffer_gl0_inv
	s_clause 0x37
	buffer_load_dword v2, off, s[0:3], 0 offset:360
	buffer_load_dword v3, off, s[0:3], 0 offset:364
	;; [unrolled: 1-line block ×56, first 2 shown]
	ds_read_b128 v[7:10], v1 offset:1056
	s_clause 0x2
	buffer_load_dword v73, off, s[0:3], 0 offset:588
	buffer_load_dword v77, off, s[0:3], 0 offset:564
	buffer_load_dword v76, off, s[0:3], 0 offset:560
	ds_read_b128 v[11:14], v1 offset:1072
	s_clause 0x4
	buffer_load_dword v81, off, s[0:3], 0 offset:604
	buffer_load_dword v82, off, s[0:3], 0 offset:616
	;; [unrolled: 1-line block ×5, first 2 shown]
	ds_read_b128 v[15:18], v1 offset:1088
	s_mov_b32 s4, exec_lo
	s_waitcnt vmcnt(62) lgkmcnt(2)
	v_mul_f64 v[78:79], v[9:10], v[2:3]
	v_mul_f64 v[2:3], v[7:8], v[2:3]
	s_waitcnt vmcnt(60) lgkmcnt(1)
	v_mul_f64 v[85:86], v[13:14], v[19:20]
	v_mul_f64 v[19:20], v[11:12], v[19:20]
	;; [unrolled: 3-line block ×3, first 2 shown]
	v_fma_f64 v[78:79], v[7:8], v[21:22], -v[78:79]
	v_fma_f64 v[2:3], v[9:10], v[21:22], v[2:3]
	s_clause 0x2
	buffer_load_dword v83, off, s[0:3], 0 offset:620
	buffer_load_dword v22, off, s[0:3], 0 offset:596
	;; [unrolled: 1-line block ×3, first 2 shown]
	s_waitcnt vmcnt(57)
	v_fma_f64 v[89:90], v[11:12], v[25:26], -v[85:86]
	ds_read_b128 v[7:10], v1 offset:1104
	v_fma_f64 v[19:20], v[13:14], v[25:26], v[19:20]
	s_clause 0x4
	buffer_load_dword v26, off, s[0:3], 0 offset:636
	buffer_load_dword v86, off, s[0:3], 0 offset:648
	;; [unrolled: 1-line block ×5, first 2 shown]
	s_waitcnt vmcnt(56)
	v_fma_f64 v[23:24], v[15:16], v[33:34], -v[23:24]
	ds_read_b128 v[11:14], v1 offset:1120
	v_fma_f64 v[33:34], v[17:18], v[33:34], v[87:88]
	v_add_f64 v[78:79], v[78:79], 0
	v_add_f64 v[2:3], v[2:3], 0
	s_waitcnt lgkmcnt(1)
	v_mul_f64 v[181:182], v[7:8], v[27:28]
	v_mul_f64 v[27:28], v[9:10], v[27:28]
	v_add_f64 v[78:79], v[78:79], v[89:90]
	v_add_f64 v[2:3], v[2:3], v[19:20]
	s_clause 0x2
	buffer_load_dword v87, off, s[0:3], 0 offset:652
	buffer_load_dword v20, off, s[0:3], 0 offset:628
	;; [unrolled: 1-line block ×3, first 2 shown]
	s_waitcnt vmcnt(58) lgkmcnt(0)
	v_mul_f64 v[88:89], v[11:12], v[29:30]
	v_mul_f64 v[29:30], v[13:14], v[29:30]
	s_waitcnt vmcnt(56)
	v_fma_f64 v[27:28], v[7:8], v[35:36], -v[27:28]
	ds_read_b128 v[15:18], v1 offset:1136
	v_fma_f64 v[35:36], v[9:10], v[35:36], v[181:182]
	v_add_f64 v[23:24], v[78:79], v[23:24]
	v_add_f64 v[2:3], v[2:3], v[33:34]
	s_clause 0x4
	buffer_load_dword v34, off, s[0:3], 0 offset:668
	buffer_load_dword v78, off, s[0:3], 0 offset:680
	;; [unrolled: 1-line block ×5, first 2 shown]
	ds_read_b128 v[7:10], v1 offset:1152
	s_waitcnt vmcnt(57) lgkmcnt(1)
	v_mul_f64 v[182:183], v[15:16], v[37:38]
	v_mul_f64 v[37:38], v[17:18], v[37:38]
	s_waitcnt vmcnt(56)
	v_fma_f64 v[29:30], v[11:12], v[31:32], -v[29:30]
	v_add_f64 v[23:24], v[23:24], v[27:28]
	v_fma_f64 v[27:28], v[13:14], v[31:32], v[88:89]
	v_add_f64 v[2:3], v[2:3], v[35:36]
	s_clause 0x2
	buffer_load_dword v79, off, s[0:3], 0 offset:684
	buffer_load_dword v32, off, s[0:3], 0 offset:660
	;; [unrolled: 1-line block ×3, first 2 shown]
	s_waitcnt vmcnt(58) lgkmcnt(0)
	v_mul_f64 v[35:36], v[7:8], v[39:40]
	v_mul_f64 v[39:40], v[9:10], v[39:40]
	s_waitcnt vmcnt(56)
	v_fma_f64 v[37:38], v[15:16], v[43:44], -v[37:38]
	ds_read_b128 v[11:14], v1 offset:1168
	v_add_f64 v[23:24], v[23:24], v[29:30]
	v_fma_f64 v[29:30], v[17:18], v[43:44], v[182:183]
	v_add_f64 v[2:3], v[2:3], v[27:28]
	s_clause 0x4
	buffer_load_dword v28, off, s[0:3], 0 offset:700
	buffer_load_dword v43, off, s[0:3], 0 offset:712
	;; [unrolled: 1-line block ×5, first 2 shown]
	ds_read_b128 v[15:18], v1 offset:1184
	s_waitcnt vmcnt(57) lgkmcnt(1)
	v_mul_f64 v[89:90], v[11:12], v[45:46]
	v_mul_f64 v[45:46], v[13:14], v[45:46]
	s_waitcnt vmcnt(56)
	v_fma_f64 v[39:40], v[7:8], v[41:42], -v[39:40]
	v_fma_f64 v[35:36], v[9:10], v[41:42], v[35:36]
	v_add_f64 v[23:24], v[23:24], v[37:38]
	v_add_f64 v[2:3], v[2:3], v[29:30]
	s_clause 0x2
	buffer_load_dword v44, off, s[0:3], 0 offset:716
	buffer_load_dword v30, off, s[0:3], 0 offset:692
	buffer_load_dword v29, off, s[0:3], 0 offset:688
	s_waitcnt vmcnt(58) lgkmcnt(0)
	v_mul_f64 v[41:42], v[17:18], v[47:48]
	ds_read_b128 v[7:10], v1 offset:1200
	s_waitcnt vmcnt(56)
	v_fma_f64 v[45:46], v[11:12], v[51:52], -v[45:46]
	v_mul_f64 v[37:38], v[15:16], v[47:48]
	v_add_f64 v[23:24], v[23:24], v[39:40]
	v_fma_f64 v[39:40], v[13:14], v[51:52], v[89:90]
	v_add_f64 v[2:3], v[2:3], v[35:36]
	s_clause 0x2
	buffer_load_dword v36, off, s[0:3], 0 offset:732
	buffer_load_dword v35, off, s[0:3], 0 offset:728
	;; [unrolled: 1-line block ×3, first 2 shown]
	s_waitcnt vmcnt(55) lgkmcnt(0)
	v_mul_f64 v[51:52], v[9:10], v[53:54]
	s_waitcnt vmcnt(54)
	v_fma_f64 v[41:42], v[15:16], v[49:50], -v[41:42]
	ds_read_b128 v[11:14], v1 offset:1216
	v_mul_f64 v[47:48], v[7:8], v[53:54]
	v_fma_f64 v[37:38], v[17:18], v[49:50], v[37:38]
	v_add_f64 v[23:24], v[23:24], v[45:46]
	v_add_f64 v[2:3], v[2:3], v[39:40]
	s_clause 0x1
	buffer_load_dword v40, off, s[0:3], 0 offset:724
	buffer_load_dword v39, off, s[0:3], 0 offset:720
	s_waitcnt vmcnt(55) lgkmcnt(0)
	v_mul_f64 v[49:50], v[13:14], v[55:56]
	s_waitcnt vmcnt(53)
	v_fma_f64 v[51:52], v[7:8], v[59:60], -v[51:52]
	ds_read_b128 v[15:18], v1 offset:1232
	v_mul_f64 v[45:46], v[11:12], v[55:56]
	v_add_f64 v[23:24], v[23:24], v[41:42]
	v_fma_f64 v[41:42], v[9:10], v[59:60], v[47:48]
	v_add_f64 v[2:3], v[2:3], v[37:38]
	ds_read_b128 v[7:10], v1 offset:1248
	s_waitcnt vmcnt(49) lgkmcnt(1)
	v_mul_f64 v[47:48], v[17:18], v[61:62]
	s_waitcnt vmcnt(48)
	v_fma_f64 v[49:50], v[11:12], v[57:58], -v[49:50]
	v_mul_f64 v[37:38], v[15:16], v[61:62]
	v_fma_f64 v[45:46], v[13:14], v[57:58], v[45:46]
	v_add_f64 v[23:24], v[23:24], v[51:52]
	s_waitcnt vmcnt(47) lgkmcnt(0)
	v_mul_f64 v[55:56], v[9:10], v[64:65]
	v_add_f64 v[2:3], v[2:3], v[41:42]
	s_clause 0x3
	buffer_load_dword v41, off, s[0:3], 0 offset:336
	buffer_load_dword v42, off, s[0:3], 0 offset:340
	buffer_load_dword v51, off, s[0:3], 0 offset:344
	buffer_load_dword v52, off, s[0:3], 0 offset:348
	s_waitcnt vmcnt(49)
	v_fma_f64 v[47:48], v[15:16], v[68:69], -v[47:48]
	ds_read_b128 v[11:14], v1 offset:1264
	v_mul_f64 v[53:54], v[7:8], v[64:65]
	v_fma_f64 v[37:38], v[17:18], v[68:69], v[37:38]
	ds_read_b128 v[15:18], v1 offset:1280
	v_add_f64 v[23:24], v[23:24], v[49:50]
	s_waitcnt vmcnt(44)
	v_fma_f64 v[55:56], v[7:8], v[66:67], -v[55:56]
	v_add_f64 v[2:3], v[2:3], v[45:46]
	s_waitcnt lgkmcnt(1)
	v_mul_f64 v[49:50], v[13:14], v[70:71]
	v_mul_f64 v[45:46], v[11:12], v[70:71]
	v_add_f64 v[23:24], v[23:24], v[47:48]
	v_fma_f64 v[47:48], v[9:10], v[66:67], v[53:54]
	v_add_f64 v[2:3], v[2:3], v[37:38]
	s_waitcnt vmcnt(43) lgkmcnt(0)
	v_mul_f64 v[53:54], v[17:18], v[72:73]
	s_waitcnt vmcnt(41)
	v_fma_f64 v[49:50], v[11:12], v[76:77], -v[49:50]
	ds_read_b128 v[7:10], v1 offset:1296
	v_mul_f64 v[37:38], v[15:16], v[72:73]
	v_fma_f64 v[45:46], v[13:14], v[76:77], v[45:46]
	ds_read_b128 v[11:14], v1 offset:1312
	v_add_f64 v[23:24], v[23:24], v[55:56]
	v_add_f64 v[2:3], v[2:3], v[47:48]
	s_waitcnt vmcnt(37) lgkmcnt(1)
	v_mul_f64 v[55:56], v[9:10], v[80:81]
	s_waitcnt vmcnt(36)
	v_fma_f64 v[53:54], v[15:16], v[74:75], -v[53:54]
	v_mul_f64 v[47:48], v[7:8], v[80:81]
	v_fma_f64 v[37:38], v[17:18], v[74:75], v[37:38]
	ds_read_b128 v[15:18], v1 offset:1328
	v_add_f64 v[23:24], v[23:24], v[49:50]
	v_add_f64 v[2:3], v[2:3], v[45:46]
	s_waitcnt vmcnt(35) lgkmcnt(1)
	v_mul_f64 v[49:50], v[13:14], v[82:83]
	v_mul_f64 v[45:46], v[11:12], v[82:83]
	s_waitcnt vmcnt(33)
	v_fma_f64 v[55:56], v[7:8], v[21:22], -v[55:56]
	v_fma_f64 v[21:22], v[9:10], v[21:22], v[47:48]
	ds_read_b128 v[7:10], v1 offset:1344
	v_add_f64 v[23:24], v[23:24], v[53:54]
	v_add_f64 v[2:3], v[2:3], v[37:38]
	s_waitcnt vmcnt(29) lgkmcnt(1)
	v_mul_f64 v[37:38], v[15:16], v[25:26]
	v_mul_f64 v[25:26], v[17:18], v[25:26]
	s_waitcnt vmcnt(28)
	v_fma_f64 v[47:48], v[11:12], v[84:85], -v[49:50]
	;; [unrolled: 9-line block ×6, first 2 shown]
	v_fma_f64 v[17:18], v[17:18], v[181:182], v[19:20]
	v_add_f64 v[23:24], v[23:24], v[33:34]
	v_add_f64 v[19:20], v[2:3], v[31:32]
	ds_read_b128 v[1:4], v1 offset:1424
	s_waitcnt vmcnt(11) lgkmcnt(1)
	v_mul_f64 v[31:32], v[13:14], v[43:44]
	v_mul_f64 v[25:26], v[11:12], v[43:44]
	s_waitcnt vmcnt(9)
	v_fma_f64 v[7:8], v[7:8], v[29:30], -v[27:28]
	v_fma_f64 v[9:10], v[9:10], v[29:30], v[21:22]
	v_add_f64 v[15:16], v[23:24], v[15:16]
	v_add_f64 v[17:18], v[19:20], v[17:18]
	s_waitcnt vmcnt(7) lgkmcnt(0)
	v_mul_f64 v[21:22], v[3:4], v[35:36]
	s_waitcnt vmcnt(6)
	v_fma_f64 v[11:12], v[11:12], v[88:89], -v[31:32]
	v_mul_f64 v[19:20], v[1:2], v[35:36]
	v_fma_f64 v[13:14], v[13:14], v[88:89], v[25:26]
	v_add_f64 v[7:8], v[15:16], v[7:8]
	v_add_f64 v[9:10], v[17:18], v[9:10]
	s_waitcnt vmcnt(4)
	v_fma_f64 v[1:2], v[1:2], v[39:40], -v[21:22]
	v_fma_f64 v[3:4], v[3:4], v[39:40], v[19:20]
	v_add_f64 v[7:8], v[7:8], v[11:12]
	v_add_f64 v[9:10], v[9:10], v[13:14]
	;; [unrolled: 1-line block ×4, first 2 shown]
	s_waitcnt vmcnt(2)
	v_add_f64 v[1:2], v[41:42], -v[1:2]
	s_waitcnt vmcnt(0)
	v_add_f64 v[3:4], v[51:52], -v[3:4]
	buffer_store_dword v2, off, s[0:3], 0 offset:340
	buffer_store_dword v1, off, s[0:3], 0 offset:336
	;; [unrolled: 1-line block ×4, first 2 shown]
	v_cmpx_lt_u32_e32 19, v0
	s_cbranch_execz .LBB44_245
; %bb.244:
	v_mov_b32_e32 v4, s42
	v_mov_b32_e32 v7, 0
	s_clause 0x3
	buffer_load_dword v1, v4, s[0:3], 0 offen
	buffer_load_dword v2, v4, s[0:3], 0 offen offset:4
	buffer_load_dword v3, v4, s[0:3], 0 offen offset:8
	buffer_load_dword v4, v4, s[0:3], 0 offen offset:12
	buffer_store_dword v7, off, s[0:3], 0 offset:320
	buffer_store_dword v7, off, s[0:3], 0 offset:324
	;; [unrolled: 1-line block ×4, first 2 shown]
	s_waitcnt vmcnt(0)
	ds_write_b128 v63, v[1:4]
.LBB44_245:
	s_or_b32 exec_lo, exec_lo, s4
	s_waitcnt lgkmcnt(0)
	s_waitcnt_vscnt null, 0x0
	s_barrier
	buffer_gl0_inv
	s_clause 0x37
	buffer_load_dword v2, off, s[0:3], 0 offset:344
	buffer_load_dword v3, off, s[0:3], 0 offset:348
	;; [unrolled: 1-line block ×56, first 2 shown]
	v_mov_b32_e32 v1, 0
	s_mov_b32 s4, exec_lo
	ds_read_b128 v[7:10], v1 offset:1040
	s_clause 0x2
	buffer_load_dword v73, off, s[0:3], 0 offset:572
	buffer_load_dword v77, off, s[0:3], 0 offset:548
	;; [unrolled: 1-line block ×3, first 2 shown]
	ds_read_b128 v[11:14], v1 offset:1056
	s_clause 0x4
	buffer_load_dword v81, off, s[0:3], 0 offset:588
	buffer_load_dword v82, off, s[0:3], 0 offset:600
	buffer_load_dword v84, off, s[0:3], 0 offset:592
	buffer_load_dword v80, off, s[0:3], 0 offset:584
	buffer_load_dword v75, off, s[0:3], 0 offset:564
	ds_read_b128 v[15:18], v1 offset:1072
	s_waitcnt vmcnt(62) lgkmcnt(2)
	v_mul_f64 v[78:79], v[9:10], v[2:3]
	v_mul_f64 v[2:3], v[7:8], v[2:3]
	s_waitcnt vmcnt(60) lgkmcnt(1)
	v_mul_f64 v[85:86], v[13:14], v[19:20]
	v_mul_f64 v[19:20], v[11:12], v[19:20]
	;; [unrolled: 3-line block ×3, first 2 shown]
	v_fma_f64 v[78:79], v[7:8], v[21:22], -v[78:79]
	v_fma_f64 v[2:3], v[9:10], v[21:22], v[2:3]
	s_clause 0x2
	buffer_load_dword v83, off, s[0:3], 0 offset:604
	buffer_load_dword v22, off, s[0:3], 0 offset:580
	;; [unrolled: 1-line block ×3, first 2 shown]
	s_waitcnt vmcnt(57)
	v_fma_f64 v[89:90], v[11:12], v[25:26], -v[85:86]
	ds_read_b128 v[7:10], v1 offset:1088
	v_fma_f64 v[19:20], v[13:14], v[25:26], v[19:20]
	s_clause 0x4
	buffer_load_dword v26, off, s[0:3], 0 offset:620
	buffer_load_dword v86, off, s[0:3], 0 offset:632
	;; [unrolled: 1-line block ×5, first 2 shown]
	s_waitcnt vmcnt(56)
	v_fma_f64 v[23:24], v[15:16], v[33:34], -v[23:24]
	ds_read_b128 v[11:14], v1 offset:1104
	v_fma_f64 v[33:34], v[17:18], v[33:34], v[87:88]
	v_add_f64 v[78:79], v[78:79], 0
	v_add_f64 v[2:3], v[2:3], 0
	s_waitcnt lgkmcnt(1)
	v_mul_f64 v[181:182], v[7:8], v[27:28]
	v_mul_f64 v[27:28], v[9:10], v[27:28]
	v_add_f64 v[78:79], v[78:79], v[89:90]
	v_add_f64 v[2:3], v[2:3], v[19:20]
	s_clause 0x2
	buffer_load_dword v87, off, s[0:3], 0 offset:636
	buffer_load_dword v20, off, s[0:3], 0 offset:612
	;; [unrolled: 1-line block ×3, first 2 shown]
	s_waitcnt vmcnt(58) lgkmcnt(0)
	v_mul_f64 v[88:89], v[11:12], v[29:30]
	v_mul_f64 v[29:30], v[13:14], v[29:30]
	s_waitcnt vmcnt(56)
	v_fma_f64 v[27:28], v[7:8], v[35:36], -v[27:28]
	ds_read_b128 v[15:18], v1 offset:1120
	v_fma_f64 v[35:36], v[9:10], v[35:36], v[181:182]
	v_add_f64 v[23:24], v[78:79], v[23:24]
	v_add_f64 v[2:3], v[2:3], v[33:34]
	s_clause 0x4
	buffer_load_dword v34, off, s[0:3], 0 offset:652
	buffer_load_dword v78, off, s[0:3], 0 offset:664
	;; [unrolled: 1-line block ×5, first 2 shown]
	ds_read_b128 v[7:10], v1 offset:1136
	s_waitcnt vmcnt(57) lgkmcnt(1)
	v_mul_f64 v[182:183], v[15:16], v[37:38]
	v_mul_f64 v[37:38], v[17:18], v[37:38]
	s_waitcnt vmcnt(56)
	v_fma_f64 v[29:30], v[11:12], v[31:32], -v[29:30]
	v_add_f64 v[23:24], v[23:24], v[27:28]
	v_fma_f64 v[27:28], v[13:14], v[31:32], v[88:89]
	v_add_f64 v[2:3], v[2:3], v[35:36]
	s_clause 0x2
	buffer_load_dword v79, off, s[0:3], 0 offset:668
	buffer_load_dword v32, off, s[0:3], 0 offset:644
	;; [unrolled: 1-line block ×3, first 2 shown]
	s_waitcnt vmcnt(58) lgkmcnt(0)
	v_mul_f64 v[35:36], v[7:8], v[39:40]
	v_mul_f64 v[39:40], v[9:10], v[39:40]
	s_waitcnt vmcnt(56)
	v_fma_f64 v[37:38], v[15:16], v[43:44], -v[37:38]
	ds_read_b128 v[11:14], v1 offset:1152
	v_add_f64 v[23:24], v[23:24], v[29:30]
	v_fma_f64 v[29:30], v[17:18], v[43:44], v[182:183]
	v_add_f64 v[2:3], v[2:3], v[27:28]
	s_clause 0x4
	buffer_load_dword v28, off, s[0:3], 0 offset:684
	buffer_load_dword v43, off, s[0:3], 0 offset:696
	;; [unrolled: 1-line block ×5, first 2 shown]
	ds_read_b128 v[15:18], v1 offset:1168
	s_waitcnt vmcnt(57) lgkmcnt(1)
	v_mul_f64 v[89:90], v[11:12], v[45:46]
	v_mul_f64 v[45:46], v[13:14], v[45:46]
	s_waitcnt vmcnt(56)
	v_fma_f64 v[39:40], v[7:8], v[41:42], -v[39:40]
	v_fma_f64 v[35:36], v[9:10], v[41:42], v[35:36]
	v_add_f64 v[23:24], v[23:24], v[37:38]
	v_add_f64 v[2:3], v[2:3], v[29:30]
	s_clause 0x2
	buffer_load_dword v44, off, s[0:3], 0 offset:700
	buffer_load_dword v30, off, s[0:3], 0 offset:676
	;; [unrolled: 1-line block ×3, first 2 shown]
	s_waitcnt vmcnt(58) lgkmcnt(0)
	v_mul_f64 v[41:42], v[17:18], v[47:48]
	ds_read_b128 v[7:10], v1 offset:1184
	s_waitcnt vmcnt(56)
	v_fma_f64 v[45:46], v[11:12], v[51:52], -v[45:46]
	v_mul_f64 v[37:38], v[15:16], v[47:48]
	v_add_f64 v[23:24], v[23:24], v[39:40]
	v_fma_f64 v[39:40], v[13:14], v[51:52], v[89:90]
	v_add_f64 v[2:3], v[2:3], v[35:36]
	s_clause 0x4
	buffer_load_dword v36, off, s[0:3], 0 offset:716
	buffer_load_dword v47, off, s[0:3], 0 offset:728
	;; [unrolled: 1-line block ×5, first 2 shown]
	s_waitcnt vmcnt(57) lgkmcnt(0)
	v_mul_f64 v[183:184], v[7:8], v[53:54]
	v_mul_f64 v[52:53], v[9:10], v[53:54]
	s_waitcnt vmcnt(56)
	v_fma_f64 v[41:42], v[15:16], v[49:50], -v[41:42]
	ds_read_b128 v[11:14], v1 offset:1200
	v_fma_f64 v[37:38], v[17:18], v[49:50], v[37:38]
	v_add_f64 v[23:24], v[23:24], v[45:46]
	v_add_f64 v[2:3], v[2:3], v[39:40]
	s_clause 0x2
	buffer_load_dword v48, off, s[0:3], 0 offset:732
	buffer_load_dword v40, off, s[0:3], 0 offset:708
	;; [unrolled: 1-line block ×3, first 2 shown]
	ds_read_b128 v[15:18], v1 offset:1216
	s_waitcnt vmcnt(58) lgkmcnt(1)
	v_mul_f64 v[49:50], v[13:14], v[55:56]
	s_waitcnt vmcnt(56)
	v_fma_f64 v[53:54], v[7:8], v[59:60], -v[52:53]
	v_mul_f64 v[45:46], v[11:12], v[55:56]
	buffer_load_dword v52, off, s[0:3], 0 offset:724
	v_add_f64 v[23:24], v[23:24], v[41:42]
	v_fma_f64 v[41:42], v[9:10], v[59:60], v[183:184]
	v_add_f64 v[2:3], v[2:3], v[37:38]
	ds_read_b128 v[7:10], v1 offset:1232
	s_waitcnt vmcnt(53) lgkmcnt(1)
	v_mul_f64 v[55:56], v[17:18], v[61:62]
	s_waitcnt vmcnt(52)
	v_fma_f64 v[49:50], v[11:12], v[57:58], -v[49:50]
	v_mul_f64 v[37:38], v[15:16], v[61:62]
	v_fma_f64 v[45:46], v[13:14], v[57:58], v[45:46]
	ds_read_b128 v[11:14], v1 offset:1248
	v_add_f64 v[23:24], v[23:24], v[53:54]
	s_waitcnt vmcnt(51) lgkmcnt(1)
	v_mul_f64 v[53:54], v[9:10], v[64:65]
	v_add_f64 v[2:3], v[2:3], v[41:42]
	v_mul_f64 v[41:42], v[7:8], v[64:65]
	s_waitcnt vmcnt(49)
	v_fma_f64 v[55:56], v[15:16], v[68:69], -v[55:56]
	v_fma_f64 v[37:38], v[17:18], v[68:69], v[37:38]
	s_waitcnt vmcnt(45) lgkmcnt(0)
	v_mul_f64 v[59:60], v[13:14], v[70:71]
	v_mul_f64 v[57:58], v[11:12], v[70:71]
	v_add_f64 v[23:24], v[23:24], v[49:50]
	s_waitcnt vmcnt(44)
	v_fma_f64 v[53:54], v[7:8], v[66:67], -v[53:54]
	v_add_f64 v[2:3], v[2:3], v[45:46]
	s_clause 0x3
	buffer_load_dword v45, off, s[0:3], 0 offset:320
	buffer_load_dword v46, off, s[0:3], 0 offset:324
	;; [unrolled: 1-line block ×4, first 2 shown]
	ds_read_b128 v[15:18], v1 offset:1264
	v_fma_f64 v[41:42], v[9:10], v[66:67], v[41:42]
	ds_read_b128 v[7:10], v1 offset:1280
	s_waitcnt vmcnt(45)
	v_fma_f64 v[59:60], v[11:12], v[76:77], -v[59:60]
	v_add_f64 v[23:24], v[23:24], v[55:56]
	v_add_f64 v[2:3], v[2:3], v[37:38]
	s_waitcnt lgkmcnt(1)
	v_mul_f64 v[55:56], v[17:18], v[72:73]
	v_mul_f64 v[37:38], v[15:16], v[72:73]
	v_add_f64 v[23:24], v[23:24], v[53:54]
	v_fma_f64 v[53:54], v[13:14], v[76:77], v[57:58]
	v_add_f64 v[2:3], v[2:3], v[41:42]
	s_waitcnt vmcnt(41) lgkmcnt(0)
	v_mul_f64 v[57:58], v[9:10], v[80:81]
	s_waitcnt vmcnt(40)
	v_fma_f64 v[55:56], v[15:16], v[74:75], -v[55:56]
	ds_read_b128 v[11:14], v1 offset:1296
	v_mul_f64 v[41:42], v[7:8], v[80:81]
	v_fma_f64 v[37:38], v[17:18], v[74:75], v[37:38]
	ds_read_b128 v[15:18], v1 offset:1312
	v_add_f64 v[23:24], v[23:24], v[59:60]
	v_add_f64 v[2:3], v[2:3], v[53:54]
	s_waitcnt vmcnt(39) lgkmcnt(1)
	v_mul_f64 v[59:60], v[13:14], v[82:83]
	v_mul_f64 v[53:54], v[11:12], v[82:83]
	s_waitcnt vmcnt(37)
	v_fma_f64 v[57:58], v[7:8], v[21:22], -v[57:58]
	v_fma_f64 v[21:22], v[9:10], v[21:22], v[41:42]
	ds_read_b128 v[7:10], v1 offset:1328
	v_add_f64 v[23:24], v[23:24], v[55:56]
	v_add_f64 v[2:3], v[2:3], v[37:38]
	s_waitcnt vmcnt(33) lgkmcnt(1)
	v_mul_f64 v[37:38], v[15:16], v[25:26]
	v_mul_f64 v[25:26], v[17:18], v[25:26]
	s_waitcnt vmcnt(32)
	v_fma_f64 v[41:42], v[11:12], v[84:85], -v[59:60]
	;; [unrolled: 9-line block ×7, first 2 shown]
	v_fma_f64 v[21:22], v[9:10], v[29:30], v[21:22]
	ds_read_b128 v[7:10], v1 offset:1424
	v_add_f64 v[23:24], v[23:24], v[25:26]
	v_add_f64 v[2:3], v[2:3], v[19:20]
	s_waitcnt vmcnt(9) lgkmcnt(1)
	v_mul_f64 v[25:26], v[17:18], v[35:36]
	s_waitcnt vmcnt(8)
	v_fma_f64 v[11:12], v[11:12], v[88:89], -v[33:34]
	v_mul_f64 v[19:20], v[15:16], v[35:36]
	v_fma_f64 v[13:14], v[13:14], v[88:89], v[31:32]
	v_add_f64 v[23:24], v[23:24], v[27:28]
	v_add_f64 v[2:3], v[2:3], v[21:22]
	s_waitcnt vmcnt(7) lgkmcnt(0)
	v_mul_f64 v[27:28], v[9:10], v[47:48]
	v_mul_f64 v[21:22], v[7:8], v[47:48]
	s_waitcnt vmcnt(5)
	v_fma_f64 v[15:16], v[15:16], v[39:40], -v[25:26]
	v_fma_f64 v[17:18], v[17:18], v[39:40], v[19:20]
	v_add_f64 v[11:12], v[23:24], v[11:12]
	v_add_f64 v[2:3], v[2:3], v[13:14]
	s_waitcnt vmcnt(4)
	v_fma_f64 v[7:8], v[7:8], v[51:52], -v[27:28]
	v_fma_f64 v[9:10], v[9:10], v[51:52], v[21:22]
	v_add_f64 v[11:12], v[11:12], v[15:16]
	v_add_f64 v[2:3], v[2:3], v[17:18]
	;; [unrolled: 1-line block ×4, first 2 shown]
	s_waitcnt vmcnt(2)
	v_add_f64 v[7:8], v[45:46], -v[7:8]
	s_waitcnt vmcnt(0)
	v_add_f64 v[2:3], v[49:50], -v[2:3]
	buffer_store_dword v8, off, s[0:3], 0 offset:324
	buffer_store_dword v7, off, s[0:3], 0 offset:320
	;; [unrolled: 1-line block ×4, first 2 shown]
	v_cmpx_lt_u32_e32 18, v0
	s_cbranch_execz .LBB44_247
; %bb.246:
	v_mov_b32_e32 v2, s44
	s_clause 0x3
	buffer_load_dword v7, v2, s[0:3], 0 offen
	buffer_load_dword v8, v2, s[0:3], 0 offen offset:4
	buffer_load_dword v9, v2, s[0:3], 0 offen offset:8
	;; [unrolled: 1-line block ×3, first 2 shown]
	buffer_store_dword v1, off, s[0:3], 0 offset:304
	buffer_store_dword v1, off, s[0:3], 0 offset:308
	buffer_store_dword v1, off, s[0:3], 0 offset:312
	buffer_store_dword v1, off, s[0:3], 0 offset:316
	s_waitcnt vmcnt(0)
	ds_write_b128 v63, v[7:10]
.LBB44_247:
	s_or_b32 exec_lo, exec_lo, s4
	s_waitcnt lgkmcnt(0)
	s_waitcnt_vscnt null, 0x0
	s_barrier
	buffer_gl0_inv
	s_clause 0x37
	buffer_load_dword v2, off, s[0:3], 0 offset:328
	buffer_load_dword v3, off, s[0:3], 0 offset:332
	;; [unrolled: 1-line block ×56, first 2 shown]
	ds_read_b128 v[7:10], v1 offset:1024
	s_clause 0x2
	buffer_load_dword v73, off, s[0:3], 0 offset:556
	buffer_load_dword v77, off, s[0:3], 0 offset:532
	;; [unrolled: 1-line block ×3, first 2 shown]
	ds_read_b128 v[11:14], v1 offset:1040
	s_clause 0x4
	buffer_load_dword v81, off, s[0:3], 0 offset:572
	buffer_load_dword v82, off, s[0:3], 0 offset:584
	;; [unrolled: 1-line block ×5, first 2 shown]
	ds_read_b128 v[15:18], v1 offset:1056
	s_mov_b32 s4, exec_lo
	s_waitcnt vmcnt(62) lgkmcnt(2)
	v_mul_f64 v[78:79], v[9:10], v[2:3]
	v_mul_f64 v[2:3], v[7:8], v[2:3]
	s_waitcnt vmcnt(60) lgkmcnt(1)
	v_mul_f64 v[85:86], v[13:14], v[19:20]
	v_mul_f64 v[19:20], v[11:12], v[19:20]
	;; [unrolled: 3-line block ×3, first 2 shown]
	v_fma_f64 v[78:79], v[7:8], v[21:22], -v[78:79]
	v_fma_f64 v[2:3], v[9:10], v[21:22], v[2:3]
	s_clause 0x2
	buffer_load_dword v83, off, s[0:3], 0 offset:588
	buffer_load_dword v22, off, s[0:3], 0 offset:564
	;; [unrolled: 1-line block ×3, first 2 shown]
	s_waitcnt vmcnt(57)
	v_fma_f64 v[89:90], v[11:12], v[25:26], -v[85:86]
	ds_read_b128 v[7:10], v1 offset:1072
	v_fma_f64 v[19:20], v[13:14], v[25:26], v[19:20]
	s_clause 0x4
	buffer_load_dword v26, off, s[0:3], 0 offset:604
	buffer_load_dword v86, off, s[0:3], 0 offset:616
	;; [unrolled: 1-line block ×5, first 2 shown]
	s_waitcnt vmcnt(56)
	v_fma_f64 v[23:24], v[15:16], v[33:34], -v[23:24]
	ds_read_b128 v[11:14], v1 offset:1088
	v_fma_f64 v[33:34], v[17:18], v[33:34], v[87:88]
	v_add_f64 v[78:79], v[78:79], 0
	v_add_f64 v[2:3], v[2:3], 0
	s_waitcnt lgkmcnt(1)
	v_mul_f64 v[181:182], v[7:8], v[27:28]
	v_mul_f64 v[27:28], v[9:10], v[27:28]
	v_add_f64 v[78:79], v[78:79], v[89:90]
	v_add_f64 v[2:3], v[2:3], v[19:20]
	s_clause 0x2
	buffer_load_dword v87, off, s[0:3], 0 offset:620
	buffer_load_dword v20, off, s[0:3], 0 offset:596
	;; [unrolled: 1-line block ×3, first 2 shown]
	s_waitcnt vmcnt(58) lgkmcnt(0)
	v_mul_f64 v[88:89], v[11:12], v[29:30]
	v_mul_f64 v[29:30], v[13:14], v[29:30]
	s_waitcnt vmcnt(56)
	v_fma_f64 v[27:28], v[7:8], v[35:36], -v[27:28]
	ds_read_b128 v[15:18], v1 offset:1104
	v_fma_f64 v[35:36], v[9:10], v[35:36], v[181:182]
	v_add_f64 v[23:24], v[78:79], v[23:24]
	v_add_f64 v[2:3], v[2:3], v[33:34]
	s_clause 0x4
	buffer_load_dword v34, off, s[0:3], 0 offset:636
	buffer_load_dword v78, off, s[0:3], 0 offset:648
	;; [unrolled: 1-line block ×5, first 2 shown]
	ds_read_b128 v[7:10], v1 offset:1120
	s_waitcnt vmcnt(57) lgkmcnt(1)
	v_mul_f64 v[182:183], v[15:16], v[37:38]
	v_mul_f64 v[37:38], v[17:18], v[37:38]
	s_waitcnt vmcnt(56)
	v_fma_f64 v[29:30], v[11:12], v[31:32], -v[29:30]
	v_add_f64 v[23:24], v[23:24], v[27:28]
	v_fma_f64 v[27:28], v[13:14], v[31:32], v[88:89]
	v_add_f64 v[2:3], v[2:3], v[35:36]
	s_clause 0x2
	buffer_load_dword v79, off, s[0:3], 0 offset:652
	buffer_load_dword v32, off, s[0:3], 0 offset:628
	;; [unrolled: 1-line block ×3, first 2 shown]
	s_waitcnt vmcnt(58) lgkmcnt(0)
	v_mul_f64 v[35:36], v[7:8], v[39:40]
	v_mul_f64 v[39:40], v[9:10], v[39:40]
	s_waitcnt vmcnt(56)
	v_fma_f64 v[37:38], v[15:16], v[43:44], -v[37:38]
	ds_read_b128 v[11:14], v1 offset:1136
	v_add_f64 v[23:24], v[23:24], v[29:30]
	v_fma_f64 v[29:30], v[17:18], v[43:44], v[182:183]
	v_add_f64 v[2:3], v[2:3], v[27:28]
	s_clause 0x4
	buffer_load_dword v28, off, s[0:3], 0 offset:668
	buffer_load_dword v43, off, s[0:3], 0 offset:680
	;; [unrolled: 1-line block ×5, first 2 shown]
	ds_read_b128 v[15:18], v1 offset:1152
	s_waitcnt vmcnt(57) lgkmcnt(1)
	v_mul_f64 v[89:90], v[11:12], v[45:46]
	v_mul_f64 v[45:46], v[13:14], v[45:46]
	s_waitcnt vmcnt(56)
	v_fma_f64 v[39:40], v[7:8], v[41:42], -v[39:40]
	v_fma_f64 v[35:36], v[9:10], v[41:42], v[35:36]
	v_add_f64 v[23:24], v[23:24], v[37:38]
	v_add_f64 v[2:3], v[2:3], v[29:30]
	s_clause 0x2
	buffer_load_dword v44, off, s[0:3], 0 offset:684
	buffer_load_dword v30, off, s[0:3], 0 offset:660
	;; [unrolled: 1-line block ×3, first 2 shown]
	s_waitcnt vmcnt(58) lgkmcnt(0)
	v_mul_f64 v[41:42], v[17:18], v[47:48]
	ds_read_b128 v[7:10], v1 offset:1168
	s_waitcnt vmcnt(56)
	v_fma_f64 v[45:46], v[11:12], v[51:52], -v[45:46]
	v_mul_f64 v[37:38], v[15:16], v[47:48]
	v_add_f64 v[23:24], v[23:24], v[39:40]
	v_fma_f64 v[39:40], v[13:14], v[51:52], v[89:90]
	v_add_f64 v[2:3], v[2:3], v[35:36]
	s_clause 0x4
	buffer_load_dword v36, off, s[0:3], 0 offset:700
	buffer_load_dword v47, off, s[0:3], 0 offset:712
	;; [unrolled: 1-line block ×5, first 2 shown]
	s_waitcnt vmcnt(57) lgkmcnt(0)
	v_mul_f64 v[183:184], v[7:8], v[53:54]
	v_mul_f64 v[52:53], v[9:10], v[53:54]
	s_waitcnt vmcnt(56)
	v_fma_f64 v[41:42], v[15:16], v[49:50], -v[41:42]
	ds_read_b128 v[11:14], v1 offset:1184
	v_fma_f64 v[37:38], v[17:18], v[49:50], v[37:38]
	v_add_f64 v[23:24], v[23:24], v[45:46]
	v_add_f64 v[2:3], v[2:3], v[39:40]
	s_clause 0x2
	buffer_load_dword v48, off, s[0:3], 0 offset:716
	buffer_load_dword v40, off, s[0:3], 0 offset:692
	;; [unrolled: 1-line block ×3, first 2 shown]
	ds_read_b128 v[15:18], v1 offset:1200
	s_waitcnt vmcnt(58) lgkmcnt(1)
	v_mul_f64 v[49:50], v[13:14], v[55:56]
	s_waitcnt vmcnt(56)
	v_fma_f64 v[53:54], v[7:8], v[59:60], -v[52:53]
	v_mul_f64 v[45:46], v[11:12], v[55:56]
	v_add_f64 v[23:24], v[23:24], v[41:42]
	v_fma_f64 v[41:42], v[9:10], v[59:60], v[183:184]
	v_add_f64 v[2:3], v[2:3], v[37:38]
	s_clause 0x2
	buffer_load_dword v38, off, s[0:3], 0 offset:732
	buffer_load_dword v37, off, s[0:3], 0 offset:728
	;; [unrolled: 1-line block ×3, first 2 shown]
	s_waitcnt vmcnt(55) lgkmcnt(0)
	v_mul_f64 v[59:60], v[17:18], v[61:62]
	s_waitcnt vmcnt(54)
	v_fma_f64 v[49:50], v[11:12], v[57:58], -v[49:50]
	ds_read_b128 v[7:10], v1 offset:1216
	v_mul_f64 v[55:56], v[15:16], v[61:62]
	v_fma_f64 v[45:46], v[13:14], v[57:58], v[45:46]
	v_add_f64 v[23:24], v[23:24], v[53:54]
	v_add_f64 v[2:3], v[2:3], v[41:42]
	s_clause 0x1
	buffer_load_dword v42, off, s[0:3], 0 offset:724
	buffer_load_dword v41, off, s[0:3], 0 offset:720
	s_waitcnt vmcnt(55) lgkmcnt(0)
	v_mul_f64 v[57:58], v[9:10], v[64:65]
	s_waitcnt vmcnt(53)
	v_fma_f64 v[59:60], v[15:16], v[68:69], -v[59:60]
	ds_read_b128 v[11:14], v1 offset:1232
	v_mul_f64 v[53:54], v[7:8], v[64:65]
	v_add_f64 v[23:24], v[23:24], v[49:50]
	v_fma_f64 v[49:50], v[17:18], v[68:69], v[55:56]
	v_add_f64 v[2:3], v[2:3], v[45:46]
	ds_read_b128 v[15:18], v1 offset:1248
	s_waitcnt vmcnt(49) lgkmcnt(1)
	v_mul_f64 v[55:56], v[13:14], v[70:71]
	s_waitcnt vmcnt(48)
	v_fma_f64 v[57:58], v[7:8], v[66:67], -v[57:58]
	v_mul_f64 v[45:46], v[11:12], v[70:71]
	v_fma_f64 v[53:54], v[9:10], v[66:67], v[53:54]
	v_add_f64 v[23:24], v[23:24], v[59:60]
	s_waitcnt vmcnt(47) lgkmcnt(0)
	v_mul_f64 v[64:65], v[17:18], v[72:73]
	v_add_f64 v[2:3], v[2:3], v[49:50]
	s_clause 0x3
	buffer_load_dword v49, off, s[0:3], 0 offset:304
	buffer_load_dword v50, off, s[0:3], 0 offset:308
	;; [unrolled: 1-line block ×4, first 2 shown]
	s_waitcnt vmcnt(49)
	v_fma_f64 v[55:56], v[11:12], v[76:77], -v[55:56]
	ds_read_b128 v[7:10], v1 offset:1264
	v_mul_f64 v[61:62], v[15:16], v[72:73]
	v_fma_f64 v[45:46], v[13:14], v[76:77], v[45:46]
	ds_read_b128 v[11:14], v1 offset:1280
	v_add_f64 v[23:24], v[23:24], v[57:58]
	s_waitcnt vmcnt(44)
	v_fma_f64 v[64:65], v[15:16], v[74:75], -v[64:65]
	v_add_f64 v[2:3], v[2:3], v[53:54]
	s_waitcnt lgkmcnt(1)
	v_mul_f64 v[57:58], v[9:10], v[80:81]
	v_mul_f64 v[53:54], v[7:8], v[80:81]
	v_add_f64 v[23:24], v[23:24], v[55:56]
	v_fma_f64 v[55:56], v[17:18], v[74:75], v[61:62]
	v_add_f64 v[2:3], v[2:3], v[45:46]
	ds_read_b128 v[15:18], v1 offset:1296
	s_waitcnt vmcnt(43) lgkmcnt(1)
	v_mul_f64 v[61:62], v[13:14], v[82:83]
	v_mul_f64 v[45:46], v[11:12], v[82:83]
	s_waitcnt vmcnt(41)
	v_fma_f64 v[57:58], v[7:8], v[21:22], -v[57:58]
	v_fma_f64 v[21:22], v[9:10], v[21:22], v[53:54]
	ds_read_b128 v[7:10], v1 offset:1312
	v_add_f64 v[23:24], v[23:24], v[64:65]
	s_waitcnt vmcnt(37) lgkmcnt(1)
	v_mul_f64 v[53:54], v[15:16], v[25:26]
	v_add_f64 v[2:3], v[2:3], v[55:56]
	v_mul_f64 v[25:26], v[17:18], v[25:26]
	s_waitcnt vmcnt(36)
	v_fma_f64 v[55:56], v[11:12], v[84:85], -v[61:62]
	v_fma_f64 v[45:46], v[13:14], v[84:85], v[45:46]
	ds_read_b128 v[11:14], v1 offset:1328
	v_add_f64 v[23:24], v[23:24], v[57:58]
	v_add_f64 v[2:3], v[2:3], v[21:22]
	s_waitcnt vmcnt(35) lgkmcnt(1)
	v_mul_f64 v[57:58], v[9:10], v[86:87]
	v_mul_f64 v[21:22], v[7:8], v[86:87]
	s_waitcnt vmcnt(33)
	v_fma_f64 v[25:26], v[15:16], v[19:20], -v[25:26]
	v_fma_f64 v[19:20], v[17:18], v[19:20], v[53:54]
	ds_read_b128 v[15:18], v1 offset:1344
	v_add_f64 v[23:24], v[23:24], v[55:56]
	v_add_f64 v[2:3], v[2:3], v[45:46]
	s_waitcnt vmcnt(29) lgkmcnt(1)
	v_mul_f64 v[45:46], v[11:12], v[33:34]
	;; [unrolled: 9-line block ×6, first 2 shown]
	s_waitcnt vmcnt(12)
	v_fma_f64 v[11:12], v[11:12], v[88:89], -v[33:34]
	v_mul_f64 v[19:20], v[15:16], v[35:36]
	v_fma_f64 v[13:14], v[13:14], v[88:89], v[31:32]
	v_add_f64 v[23:24], v[23:24], v[27:28]
	v_add_f64 v[21:22], v[2:3], v[21:22]
	ds_read_b128 v[1:4], v1 offset:1424
	s_waitcnt vmcnt(11) lgkmcnt(1)
	v_mul_f64 v[29:30], v[9:10], v[47:48]
	v_mul_f64 v[27:28], v[7:8], v[47:48]
	s_waitcnt vmcnt(9)
	v_fma_f64 v[15:16], v[15:16], v[39:40], -v[25:26]
	v_fma_f64 v[17:18], v[17:18], v[39:40], v[19:20]
	v_add_f64 v[11:12], v[23:24], v[11:12]
	v_add_f64 v[13:14], v[21:22], v[13:14]
	s_waitcnt vmcnt(7) lgkmcnt(0)
	v_mul_f64 v[21:22], v[3:4], v[37:38]
	s_waitcnt vmcnt(6)
	v_fma_f64 v[7:8], v[7:8], v[51:52], -v[29:30]
	v_mul_f64 v[19:20], v[1:2], v[37:38]
	v_fma_f64 v[9:10], v[9:10], v[51:52], v[27:28]
	v_add_f64 v[11:12], v[11:12], v[15:16]
	v_add_f64 v[13:14], v[13:14], v[17:18]
	s_waitcnt vmcnt(4)
	v_fma_f64 v[1:2], v[1:2], v[41:42], -v[21:22]
	v_fma_f64 v[3:4], v[3:4], v[41:42], v[19:20]
	v_add_f64 v[7:8], v[11:12], v[7:8]
	v_add_f64 v[9:10], v[13:14], v[9:10]
	;; [unrolled: 1-line block ×4, first 2 shown]
	s_waitcnt vmcnt(2)
	v_add_f64 v[1:2], v[49:50], -v[1:2]
	s_waitcnt vmcnt(0)
	v_add_f64 v[3:4], v[59:60], -v[3:4]
	buffer_store_dword v2, off, s[0:3], 0 offset:308
	buffer_store_dword v1, off, s[0:3], 0 offset:304
	buffer_store_dword v4, off, s[0:3], 0 offset:316
	buffer_store_dword v3, off, s[0:3], 0 offset:312
	v_cmpx_lt_u32_e32 17, v0
	s_cbranch_execz .LBB44_249
; %bb.248:
	v_mov_b32_e32 v4, s46
	v_mov_b32_e32 v7, 0
	s_clause 0x3
	buffer_load_dword v1, v4, s[0:3], 0 offen
	buffer_load_dword v2, v4, s[0:3], 0 offen offset:4
	buffer_load_dword v3, v4, s[0:3], 0 offen offset:8
	;; [unrolled: 1-line block ×3, first 2 shown]
	buffer_store_dword v7, off, s[0:3], 0 offset:288
	buffer_store_dword v7, off, s[0:3], 0 offset:292
	;; [unrolled: 1-line block ×4, first 2 shown]
	s_waitcnt vmcnt(0)
	ds_write_b128 v63, v[1:4]
.LBB44_249:
	s_or_b32 exec_lo, exec_lo, s4
	s_waitcnt lgkmcnt(0)
	s_waitcnt_vscnt null, 0x0
	s_barrier
	buffer_gl0_inv
	s_clause 0x37
	buffer_load_dword v2, off, s[0:3], 0 offset:312
	buffer_load_dword v3, off, s[0:3], 0 offset:316
	;; [unrolled: 1-line block ×56, first 2 shown]
	v_mov_b32_e32 v1, 0
	s_mov_b32 s4, exec_lo
	ds_read_b128 v[7:10], v1 offset:1008
	s_clause 0x2
	buffer_load_dword v73, off, s[0:3], 0 offset:540
	buffer_load_dword v77, off, s[0:3], 0 offset:516
	;; [unrolled: 1-line block ×3, first 2 shown]
	ds_read_b128 v[11:14], v1 offset:1024
	s_clause 0x4
	buffer_load_dword v81, off, s[0:3], 0 offset:556
	buffer_load_dword v82, off, s[0:3], 0 offset:568
	;; [unrolled: 1-line block ×5, first 2 shown]
	ds_read_b128 v[15:18], v1 offset:1040
	s_waitcnt vmcnt(62) lgkmcnt(2)
	v_mul_f64 v[78:79], v[9:10], v[2:3]
	v_mul_f64 v[2:3], v[7:8], v[2:3]
	s_waitcnt vmcnt(60) lgkmcnt(1)
	v_mul_f64 v[85:86], v[13:14], v[19:20]
	v_mul_f64 v[19:20], v[11:12], v[19:20]
	;; [unrolled: 3-line block ×3, first 2 shown]
	v_fma_f64 v[78:79], v[7:8], v[21:22], -v[78:79]
	v_fma_f64 v[2:3], v[9:10], v[21:22], v[2:3]
	s_clause 0x2
	buffer_load_dword v83, off, s[0:3], 0 offset:572
	buffer_load_dword v22, off, s[0:3], 0 offset:548
	;; [unrolled: 1-line block ×3, first 2 shown]
	s_waitcnt vmcnt(57)
	v_fma_f64 v[89:90], v[11:12], v[25:26], -v[85:86]
	ds_read_b128 v[7:10], v1 offset:1056
	v_fma_f64 v[19:20], v[13:14], v[25:26], v[19:20]
	s_clause 0x4
	buffer_load_dword v26, off, s[0:3], 0 offset:588
	buffer_load_dword v86, off, s[0:3], 0 offset:600
	;; [unrolled: 1-line block ×5, first 2 shown]
	s_waitcnt vmcnt(56)
	v_fma_f64 v[23:24], v[15:16], v[33:34], -v[23:24]
	ds_read_b128 v[11:14], v1 offset:1072
	v_fma_f64 v[33:34], v[17:18], v[33:34], v[87:88]
	v_add_f64 v[78:79], v[78:79], 0
	v_add_f64 v[2:3], v[2:3], 0
	s_waitcnt lgkmcnt(1)
	v_mul_f64 v[181:182], v[7:8], v[27:28]
	v_mul_f64 v[27:28], v[9:10], v[27:28]
	v_add_f64 v[78:79], v[78:79], v[89:90]
	v_add_f64 v[2:3], v[2:3], v[19:20]
	s_clause 0x2
	buffer_load_dword v87, off, s[0:3], 0 offset:604
	buffer_load_dword v20, off, s[0:3], 0 offset:580
	buffer_load_dword v19, off, s[0:3], 0 offset:576
	s_waitcnt vmcnt(58) lgkmcnt(0)
	v_mul_f64 v[88:89], v[11:12], v[29:30]
	v_mul_f64 v[29:30], v[13:14], v[29:30]
	s_waitcnt vmcnt(56)
	v_fma_f64 v[27:28], v[7:8], v[35:36], -v[27:28]
	ds_read_b128 v[15:18], v1 offset:1088
	v_fma_f64 v[35:36], v[9:10], v[35:36], v[181:182]
	v_add_f64 v[23:24], v[78:79], v[23:24]
	v_add_f64 v[2:3], v[2:3], v[33:34]
	s_clause 0x4
	buffer_load_dword v34, off, s[0:3], 0 offset:620
	buffer_load_dword v78, off, s[0:3], 0 offset:632
	buffer_load_dword v181, off, s[0:3], 0 offset:624
	buffer_load_dword v33, off, s[0:3], 0 offset:616
	buffer_load_dword v92, off, s[0:3], 0 offset:596
	ds_read_b128 v[7:10], v1 offset:1104
	s_waitcnt vmcnt(57) lgkmcnt(1)
	v_mul_f64 v[182:183], v[15:16], v[37:38]
	v_mul_f64 v[37:38], v[17:18], v[37:38]
	s_waitcnt vmcnt(56)
	v_fma_f64 v[29:30], v[11:12], v[31:32], -v[29:30]
	v_add_f64 v[23:24], v[23:24], v[27:28]
	v_fma_f64 v[27:28], v[13:14], v[31:32], v[88:89]
	v_add_f64 v[2:3], v[2:3], v[35:36]
	s_clause 0x2
	buffer_load_dword v79, off, s[0:3], 0 offset:636
	buffer_load_dword v32, off, s[0:3], 0 offset:612
	;; [unrolled: 1-line block ×3, first 2 shown]
	s_waitcnt vmcnt(58) lgkmcnt(0)
	v_mul_f64 v[35:36], v[7:8], v[39:40]
	v_mul_f64 v[39:40], v[9:10], v[39:40]
	s_waitcnt vmcnt(56)
	v_fma_f64 v[37:38], v[15:16], v[43:44], -v[37:38]
	ds_read_b128 v[11:14], v1 offset:1120
	v_add_f64 v[23:24], v[23:24], v[29:30]
	v_fma_f64 v[29:30], v[17:18], v[43:44], v[182:183]
	v_add_f64 v[2:3], v[2:3], v[27:28]
	s_clause 0x4
	buffer_load_dword v28, off, s[0:3], 0 offset:652
	buffer_load_dword v43, off, s[0:3], 0 offset:664
	;; [unrolled: 1-line block ×5, first 2 shown]
	ds_read_b128 v[15:18], v1 offset:1136
	s_waitcnt vmcnt(57) lgkmcnt(1)
	v_mul_f64 v[89:90], v[11:12], v[45:46]
	v_mul_f64 v[45:46], v[13:14], v[45:46]
	s_waitcnt vmcnt(56)
	v_fma_f64 v[39:40], v[7:8], v[41:42], -v[39:40]
	v_fma_f64 v[35:36], v[9:10], v[41:42], v[35:36]
	v_add_f64 v[23:24], v[23:24], v[37:38]
	v_add_f64 v[2:3], v[2:3], v[29:30]
	s_clause 0x2
	buffer_load_dword v44, off, s[0:3], 0 offset:668
	buffer_load_dword v30, off, s[0:3], 0 offset:644
	;; [unrolled: 1-line block ×3, first 2 shown]
	s_waitcnt vmcnt(58) lgkmcnt(0)
	v_mul_f64 v[41:42], v[17:18], v[47:48]
	ds_read_b128 v[7:10], v1 offset:1152
	s_waitcnt vmcnt(56)
	v_fma_f64 v[45:46], v[11:12], v[51:52], -v[45:46]
	v_mul_f64 v[37:38], v[15:16], v[47:48]
	v_add_f64 v[23:24], v[23:24], v[39:40]
	v_fma_f64 v[39:40], v[13:14], v[51:52], v[89:90]
	v_add_f64 v[2:3], v[2:3], v[35:36]
	s_clause 0x4
	buffer_load_dword v36, off, s[0:3], 0 offset:684
	buffer_load_dword v47, off, s[0:3], 0 offset:696
	;; [unrolled: 1-line block ×5, first 2 shown]
	s_waitcnt vmcnt(57) lgkmcnt(0)
	v_mul_f64 v[183:184], v[7:8], v[53:54]
	v_mul_f64 v[52:53], v[9:10], v[53:54]
	s_waitcnt vmcnt(56)
	v_fma_f64 v[41:42], v[15:16], v[49:50], -v[41:42]
	ds_read_b128 v[11:14], v1 offset:1168
	v_fma_f64 v[37:38], v[17:18], v[49:50], v[37:38]
	v_add_f64 v[23:24], v[23:24], v[45:46]
	v_add_f64 v[2:3], v[2:3], v[39:40]
	s_clause 0x2
	buffer_load_dword v48, off, s[0:3], 0 offset:700
	buffer_load_dword v40, off, s[0:3], 0 offset:676
	;; [unrolled: 1-line block ×3, first 2 shown]
	ds_read_b128 v[15:18], v1 offset:1184
	s_waitcnt vmcnt(58) lgkmcnt(1)
	v_mul_f64 v[49:50], v[13:14], v[55:56]
	s_waitcnt vmcnt(56)
	v_fma_f64 v[53:54], v[7:8], v[59:60], -v[52:53]
	v_mul_f64 v[45:46], v[11:12], v[55:56]
	v_add_f64 v[23:24], v[23:24], v[41:42]
	v_fma_f64 v[41:42], v[9:10], v[59:60], v[183:184]
	v_add_f64 v[2:3], v[2:3], v[37:38]
	s_clause 0x4
	buffer_load_dword v38, off, s[0:3], 0 offset:716
	buffer_load_dword v55, off, s[0:3], 0 offset:728
	;; [unrolled: 1-line block ×5, first 2 shown]
	s_waitcnt vmcnt(57) lgkmcnt(0)
	v_mul_f64 v[183:184], v[15:16], v[61:62]
	v_mul_f64 v[60:61], v[17:18], v[61:62]
	s_waitcnt vmcnt(56)
	v_fma_f64 v[49:50], v[11:12], v[57:58], -v[49:50]
	ds_read_b128 v[7:10], v1 offset:1200
	v_fma_f64 v[45:46], v[13:14], v[57:58], v[45:46]
	v_add_f64 v[23:24], v[23:24], v[53:54]
	v_add_f64 v[2:3], v[2:3], v[41:42]
	s_clause 0x2
	buffer_load_dword v56, off, s[0:3], 0 offset:732
	buffer_load_dword v42, off, s[0:3], 0 offset:708
	;; [unrolled: 1-line block ×3, first 2 shown]
	ds_read_b128 v[11:14], v1 offset:1216
	s_waitcnt vmcnt(58) lgkmcnt(1)
	v_mul_f64 v[57:58], v[9:10], v[64:65]
	s_waitcnt vmcnt(56)
	v_fma_f64 v[61:62], v[15:16], v[68:69], -v[60:61]
	v_mul_f64 v[53:54], v[7:8], v[64:65]
	buffer_load_dword v60, off, s[0:3], 0 offset:724
	v_add_f64 v[23:24], v[23:24], v[49:50]
	v_fma_f64 v[49:50], v[17:18], v[68:69], v[183:184]
	v_add_f64 v[2:3], v[2:3], v[45:46]
	ds_read_b128 v[15:18], v1 offset:1232
	s_waitcnt vmcnt(53) lgkmcnt(1)
	v_mul_f64 v[64:65], v[13:14], v[70:71]
	s_waitcnt vmcnt(52)
	v_fma_f64 v[57:58], v[7:8], v[66:67], -v[57:58]
	v_mul_f64 v[45:46], v[11:12], v[70:71]
	v_fma_f64 v[53:54], v[9:10], v[66:67], v[53:54]
	ds_read_b128 v[7:10], v1 offset:1248
	v_add_f64 v[23:24], v[23:24], v[61:62]
	s_waitcnt vmcnt(51) lgkmcnt(1)
	v_mul_f64 v[61:62], v[17:18], v[72:73]
	v_add_f64 v[2:3], v[2:3], v[49:50]
	v_mul_f64 v[49:50], v[15:16], v[72:73]
	s_waitcnt vmcnt(49)
	v_fma_f64 v[64:65], v[11:12], v[76:77], -v[64:65]
	v_fma_f64 v[45:46], v[13:14], v[76:77], v[45:46]
	s_waitcnt vmcnt(45) lgkmcnt(0)
	v_mul_f64 v[68:69], v[9:10], v[80:81]
	v_mul_f64 v[66:67], v[7:8], v[80:81]
	v_add_f64 v[23:24], v[23:24], v[57:58]
	s_waitcnt vmcnt(44)
	v_fma_f64 v[61:62], v[15:16], v[74:75], -v[61:62]
	v_add_f64 v[2:3], v[2:3], v[53:54]
	s_clause 0x3
	buffer_load_dword v53, off, s[0:3], 0 offset:288
	buffer_load_dword v54, off, s[0:3], 0 offset:292
	;; [unrolled: 1-line block ×4, first 2 shown]
	ds_read_b128 v[11:14], v1 offset:1264
	v_fma_f64 v[49:50], v[17:18], v[74:75], v[49:50]
	ds_read_b128 v[15:18], v1 offset:1280
	v_add_f64 v[23:24], v[23:24], v[64:65]
	v_add_f64 v[2:3], v[2:3], v[45:46]
	s_waitcnt vmcnt(47) lgkmcnt(1)
	v_mul_f64 v[64:65], v[13:14], v[82:83]
	v_mul_f64 v[45:46], v[11:12], v[82:83]
	s_waitcnt vmcnt(45)
	v_fma_f64 v[68:69], v[7:8], v[21:22], -v[68:69]
	v_fma_f64 v[21:22], v[9:10], v[21:22], v[66:67]
	ds_read_b128 v[7:10], v1 offset:1296
	v_add_f64 v[23:24], v[23:24], v[61:62]
	v_add_f64 v[2:3], v[2:3], v[49:50]
	s_waitcnt vmcnt(41) lgkmcnt(1)
	v_mul_f64 v[49:50], v[15:16], v[25:26]
	v_mul_f64 v[25:26], v[17:18], v[25:26]
	s_waitcnt vmcnt(40)
	v_fma_f64 v[61:62], v[11:12], v[84:85], -v[64:65]
	;; [unrolled: 9-line block ×7, first 2 shown]
	v_fma_f64 v[21:22], v[9:10], v[29:30], v[21:22]
	ds_read_b128 v[7:10], v1 offset:1392
	v_add_f64 v[23:24], v[23:24], v[25:26]
	v_add_f64 v[2:3], v[2:3], v[19:20]
	s_waitcnt vmcnt(17) lgkmcnt(1)
	v_mul_f64 v[25:26], v[17:18], v[35:36]
	s_waitcnt vmcnt(16)
	v_fma_f64 v[29:30], v[11:12], v[88:89], -v[33:34]
	v_mul_f64 v[19:20], v[15:16], v[35:36]
	v_add_f64 v[23:24], v[23:24], v[27:28]
	v_fma_f64 v[27:28], v[13:14], v[88:89], v[31:32]
	v_add_f64 v[2:3], v[2:3], v[21:22]
	ds_read_b128 v[11:14], v1 offset:1408
	s_waitcnt vmcnt(15) lgkmcnt(1)
	v_mul_f64 v[31:32], v[9:10], v[47:48]
	v_mul_f64 v[21:22], v[7:8], v[47:48]
	s_waitcnt vmcnt(13)
	v_fma_f64 v[25:26], v[15:16], v[39:40], -v[25:26]
	v_fma_f64 v[19:20], v[17:18], v[39:40], v[19:20]
	ds_read_b128 v[15:18], v1 offset:1424
	v_add_f64 v[23:24], v[23:24], v[29:30]
	v_add_f64 v[2:3], v[2:3], v[27:28]
	s_waitcnt vmcnt(9) lgkmcnt(1)
	v_mul_f64 v[29:30], v[13:14], v[37:38]
	s_waitcnt vmcnt(8)
	v_fma_f64 v[7:8], v[7:8], v[51:52], -v[31:32]
	v_mul_f64 v[27:28], v[11:12], v[37:38]
	v_fma_f64 v[9:10], v[9:10], v[51:52], v[21:22]
	v_add_f64 v[23:24], v[23:24], v[25:26]
	v_add_f64 v[2:3], v[2:3], v[19:20]
	s_waitcnt vmcnt(7) lgkmcnt(0)
	v_mul_f64 v[21:22], v[17:18], v[55:56]
	v_mul_f64 v[19:20], v[15:16], v[55:56]
	s_waitcnt vmcnt(5)
	v_fma_f64 v[11:12], v[11:12], v[41:42], -v[29:30]
	v_fma_f64 v[13:14], v[13:14], v[41:42], v[27:28]
	v_add_f64 v[7:8], v[23:24], v[7:8]
	v_add_f64 v[2:3], v[2:3], v[9:10]
	s_waitcnt vmcnt(4)
	v_fma_f64 v[9:10], v[15:16], v[59:60], -v[21:22]
	v_add_f64 v[7:8], v[7:8], v[11:12]
	v_fma_f64 v[11:12], v[17:18], v[59:60], v[19:20]
	v_add_f64 v[2:3], v[2:3], v[13:14]
	v_add_f64 v[7:8], v[7:8], v[9:10]
	v_add_f64 v[2:3], v[2:3], v[11:12]
	s_waitcnt vmcnt(2)
	v_add_f64 v[7:8], v[53:54], -v[7:8]
	s_waitcnt vmcnt(0)
	v_add_f64 v[2:3], v[57:58], -v[2:3]
	buffer_store_dword v8, off, s[0:3], 0 offset:292
	buffer_store_dword v7, off, s[0:3], 0 offset:288
	;; [unrolled: 1-line block ×4, first 2 shown]
	v_cmpx_lt_u32_e32 16, v0
	s_cbranch_execz .LBB44_251
; %bb.250:
	v_mov_b32_e32 v2, s48
	s_clause 0x3
	buffer_load_dword v7, v2, s[0:3], 0 offen
	buffer_load_dword v8, v2, s[0:3], 0 offen offset:4
	buffer_load_dword v9, v2, s[0:3], 0 offen offset:8
	;; [unrolled: 1-line block ×3, first 2 shown]
	buffer_store_dword v1, off, s[0:3], 0 offset:272
	buffer_store_dword v1, off, s[0:3], 0 offset:276
	;; [unrolled: 1-line block ×4, first 2 shown]
	s_waitcnt vmcnt(0)
	ds_write_b128 v63, v[7:10]
.LBB44_251:
	s_or_b32 exec_lo, exec_lo, s4
	s_waitcnt lgkmcnt(0)
	s_waitcnt_vscnt null, 0x0
	s_barrier
	buffer_gl0_inv
	s_clause 0x37
	buffer_load_dword v2, off, s[0:3], 0 offset:296
	buffer_load_dword v3, off, s[0:3], 0 offset:300
	;; [unrolled: 1-line block ×56, first 2 shown]
	ds_read_b128 v[7:10], v1 offset:992
	s_clause 0x2
	buffer_load_dword v73, off, s[0:3], 0 offset:524
	buffer_load_dword v77, off, s[0:3], 0 offset:500
	;; [unrolled: 1-line block ×3, first 2 shown]
	ds_read_b128 v[11:14], v1 offset:1008
	s_clause 0x4
	buffer_load_dword v81, off, s[0:3], 0 offset:540
	buffer_load_dword v82, off, s[0:3], 0 offset:552
	;; [unrolled: 1-line block ×5, first 2 shown]
	ds_read_b128 v[15:18], v1 offset:1024
	s_mov_b32 s4, exec_lo
	s_waitcnt vmcnt(62) lgkmcnt(2)
	v_mul_f64 v[78:79], v[9:10], v[2:3]
	v_mul_f64 v[2:3], v[7:8], v[2:3]
	s_waitcnt vmcnt(60) lgkmcnt(1)
	v_mul_f64 v[85:86], v[13:14], v[19:20]
	v_mul_f64 v[19:20], v[11:12], v[19:20]
	s_waitcnt vmcnt(56) lgkmcnt(0)
	v_mul_f64 v[87:88], v[15:16], v[23:24]
	v_mul_f64 v[23:24], v[17:18], v[23:24]
	v_fma_f64 v[78:79], v[7:8], v[21:22], -v[78:79]
	v_fma_f64 v[2:3], v[9:10], v[21:22], v[2:3]
	s_clause 0x2
	buffer_load_dword v83, off, s[0:3], 0 offset:556
	buffer_load_dword v22, off, s[0:3], 0 offset:532
	;; [unrolled: 1-line block ×3, first 2 shown]
	s_waitcnt vmcnt(57)
	v_fma_f64 v[89:90], v[11:12], v[25:26], -v[85:86]
	ds_read_b128 v[7:10], v1 offset:1040
	v_fma_f64 v[19:20], v[13:14], v[25:26], v[19:20]
	s_clause 0x4
	buffer_load_dword v26, off, s[0:3], 0 offset:572
	buffer_load_dword v86, off, s[0:3], 0 offset:584
	;; [unrolled: 1-line block ×5, first 2 shown]
	s_waitcnt vmcnt(56)
	v_fma_f64 v[23:24], v[15:16], v[33:34], -v[23:24]
	ds_read_b128 v[11:14], v1 offset:1056
	v_fma_f64 v[33:34], v[17:18], v[33:34], v[87:88]
	v_add_f64 v[78:79], v[78:79], 0
	v_add_f64 v[2:3], v[2:3], 0
	s_waitcnt lgkmcnt(1)
	v_mul_f64 v[181:182], v[7:8], v[27:28]
	v_mul_f64 v[27:28], v[9:10], v[27:28]
	v_add_f64 v[78:79], v[78:79], v[89:90]
	v_add_f64 v[2:3], v[2:3], v[19:20]
	s_clause 0x2
	buffer_load_dword v87, off, s[0:3], 0 offset:588
	buffer_load_dword v20, off, s[0:3], 0 offset:564
	;; [unrolled: 1-line block ×3, first 2 shown]
	s_waitcnt vmcnt(58) lgkmcnt(0)
	v_mul_f64 v[88:89], v[11:12], v[29:30]
	v_mul_f64 v[29:30], v[13:14], v[29:30]
	s_waitcnt vmcnt(56)
	v_fma_f64 v[27:28], v[7:8], v[35:36], -v[27:28]
	ds_read_b128 v[15:18], v1 offset:1072
	v_fma_f64 v[35:36], v[9:10], v[35:36], v[181:182]
	v_add_f64 v[23:24], v[78:79], v[23:24]
	v_add_f64 v[2:3], v[2:3], v[33:34]
	s_clause 0x4
	buffer_load_dword v34, off, s[0:3], 0 offset:604
	buffer_load_dword v78, off, s[0:3], 0 offset:616
	;; [unrolled: 1-line block ×5, first 2 shown]
	ds_read_b128 v[7:10], v1 offset:1088
	s_waitcnt vmcnt(57) lgkmcnt(1)
	v_mul_f64 v[182:183], v[15:16], v[37:38]
	v_mul_f64 v[37:38], v[17:18], v[37:38]
	s_waitcnt vmcnt(56)
	v_fma_f64 v[29:30], v[11:12], v[31:32], -v[29:30]
	v_add_f64 v[23:24], v[23:24], v[27:28]
	v_fma_f64 v[27:28], v[13:14], v[31:32], v[88:89]
	v_add_f64 v[2:3], v[2:3], v[35:36]
	s_clause 0x2
	buffer_load_dword v79, off, s[0:3], 0 offset:620
	buffer_load_dword v32, off, s[0:3], 0 offset:596
	;; [unrolled: 1-line block ×3, first 2 shown]
	s_waitcnt vmcnt(58) lgkmcnt(0)
	v_mul_f64 v[35:36], v[7:8], v[39:40]
	v_mul_f64 v[39:40], v[9:10], v[39:40]
	s_waitcnt vmcnt(56)
	v_fma_f64 v[37:38], v[15:16], v[43:44], -v[37:38]
	ds_read_b128 v[11:14], v1 offset:1104
	v_add_f64 v[23:24], v[23:24], v[29:30]
	v_fma_f64 v[29:30], v[17:18], v[43:44], v[182:183]
	v_add_f64 v[2:3], v[2:3], v[27:28]
	s_clause 0x4
	buffer_load_dword v28, off, s[0:3], 0 offset:636
	buffer_load_dword v43, off, s[0:3], 0 offset:648
	;; [unrolled: 1-line block ×5, first 2 shown]
	ds_read_b128 v[15:18], v1 offset:1120
	s_waitcnt vmcnt(57) lgkmcnt(1)
	v_mul_f64 v[89:90], v[11:12], v[45:46]
	v_mul_f64 v[45:46], v[13:14], v[45:46]
	s_waitcnt vmcnt(56)
	v_fma_f64 v[39:40], v[7:8], v[41:42], -v[39:40]
	v_fma_f64 v[35:36], v[9:10], v[41:42], v[35:36]
	v_add_f64 v[23:24], v[23:24], v[37:38]
	v_add_f64 v[2:3], v[2:3], v[29:30]
	s_clause 0x2
	buffer_load_dword v44, off, s[0:3], 0 offset:652
	buffer_load_dword v30, off, s[0:3], 0 offset:628
	;; [unrolled: 1-line block ×3, first 2 shown]
	s_waitcnt vmcnt(58) lgkmcnt(0)
	v_mul_f64 v[41:42], v[17:18], v[47:48]
	ds_read_b128 v[7:10], v1 offset:1136
	s_waitcnt vmcnt(56)
	v_fma_f64 v[45:46], v[11:12], v[51:52], -v[45:46]
	v_mul_f64 v[37:38], v[15:16], v[47:48]
	v_add_f64 v[23:24], v[23:24], v[39:40]
	v_fma_f64 v[39:40], v[13:14], v[51:52], v[89:90]
	v_add_f64 v[2:3], v[2:3], v[35:36]
	s_clause 0x4
	buffer_load_dword v36, off, s[0:3], 0 offset:668
	buffer_load_dword v47, off, s[0:3], 0 offset:680
	;; [unrolled: 1-line block ×5, first 2 shown]
	s_waitcnt vmcnt(57) lgkmcnt(0)
	v_mul_f64 v[183:184], v[7:8], v[53:54]
	v_mul_f64 v[52:53], v[9:10], v[53:54]
	s_waitcnt vmcnt(56)
	v_fma_f64 v[41:42], v[15:16], v[49:50], -v[41:42]
	ds_read_b128 v[11:14], v1 offset:1152
	v_fma_f64 v[37:38], v[17:18], v[49:50], v[37:38]
	v_add_f64 v[23:24], v[23:24], v[45:46]
	v_add_f64 v[2:3], v[2:3], v[39:40]
	s_clause 0x2
	buffer_load_dword v48, off, s[0:3], 0 offset:684
	buffer_load_dword v40, off, s[0:3], 0 offset:660
	;; [unrolled: 1-line block ×3, first 2 shown]
	ds_read_b128 v[15:18], v1 offset:1168
	s_waitcnt vmcnt(58) lgkmcnt(1)
	v_mul_f64 v[49:50], v[13:14], v[55:56]
	s_waitcnt vmcnt(56)
	v_fma_f64 v[53:54], v[7:8], v[59:60], -v[52:53]
	v_mul_f64 v[45:46], v[11:12], v[55:56]
	v_add_f64 v[23:24], v[23:24], v[41:42]
	v_fma_f64 v[41:42], v[9:10], v[59:60], v[183:184]
	v_add_f64 v[2:3], v[2:3], v[37:38]
	s_clause 0x4
	buffer_load_dword v38, off, s[0:3], 0 offset:700
	buffer_load_dword v55, off, s[0:3], 0 offset:712
	;; [unrolled: 1-line block ×5, first 2 shown]
	s_waitcnt vmcnt(57) lgkmcnt(0)
	v_mul_f64 v[183:184], v[15:16], v[61:62]
	v_mul_f64 v[60:61], v[17:18], v[61:62]
	s_waitcnt vmcnt(56)
	v_fma_f64 v[49:50], v[11:12], v[57:58], -v[49:50]
	ds_read_b128 v[7:10], v1 offset:1184
	v_fma_f64 v[45:46], v[13:14], v[57:58], v[45:46]
	v_add_f64 v[23:24], v[23:24], v[53:54]
	v_add_f64 v[2:3], v[2:3], v[41:42]
	s_clause 0x2
	buffer_load_dword v56, off, s[0:3], 0 offset:716
	buffer_load_dword v42, off, s[0:3], 0 offset:692
	;; [unrolled: 1-line block ×3, first 2 shown]
	ds_read_b128 v[11:14], v1 offset:1200
	s_waitcnt vmcnt(58) lgkmcnt(1)
	v_mul_f64 v[57:58], v[9:10], v[64:65]
	s_waitcnt vmcnt(56)
	v_fma_f64 v[61:62], v[15:16], v[68:69], -v[60:61]
	v_mul_f64 v[53:54], v[7:8], v[64:65]
	v_add_f64 v[23:24], v[23:24], v[49:50]
	v_fma_f64 v[49:50], v[17:18], v[68:69], v[183:184]
	v_add_f64 v[2:3], v[2:3], v[45:46]
	s_clause 0x2
	buffer_load_dword v46, off, s[0:3], 0 offset:732
	buffer_load_dword v45, off, s[0:3], 0 offset:728
	;; [unrolled: 1-line block ×3, first 2 shown]
	s_waitcnt vmcnt(55) lgkmcnt(0)
	v_mul_f64 v[68:69], v[13:14], v[70:71]
	s_waitcnt vmcnt(54)
	v_fma_f64 v[57:58], v[7:8], v[66:67], -v[57:58]
	ds_read_b128 v[15:18], v1 offset:1216
	v_mul_f64 v[64:65], v[11:12], v[70:71]
	v_fma_f64 v[53:54], v[9:10], v[66:67], v[53:54]
	v_add_f64 v[23:24], v[23:24], v[61:62]
	v_add_f64 v[2:3], v[2:3], v[49:50]
	s_clause 0x1
	buffer_load_dword v50, off, s[0:3], 0 offset:724
	buffer_load_dword v49, off, s[0:3], 0 offset:720
	s_waitcnt vmcnt(55) lgkmcnt(0)
	v_mul_f64 v[66:67], v[17:18], v[72:73]
	s_waitcnt vmcnt(53)
	v_fma_f64 v[68:69], v[11:12], v[76:77], -v[68:69]
	ds_read_b128 v[7:10], v1 offset:1232
	v_mul_f64 v[61:62], v[15:16], v[72:73]
	v_add_f64 v[23:24], v[23:24], v[57:58]
	v_fma_f64 v[57:58], v[13:14], v[76:77], v[64:65]
	v_add_f64 v[2:3], v[2:3], v[53:54]
	ds_read_b128 v[11:14], v1 offset:1248
	s_waitcnt vmcnt(49) lgkmcnt(1)
	v_mul_f64 v[64:65], v[9:10], v[80:81]
	s_waitcnt vmcnt(48)
	v_fma_f64 v[66:67], v[15:16], v[74:75], -v[66:67]
	v_mul_f64 v[53:54], v[7:8], v[80:81]
	v_fma_f64 v[61:62], v[17:18], v[74:75], v[61:62]
	v_add_f64 v[23:24], v[23:24], v[68:69]
	v_add_f64 v[2:3], v[2:3], v[57:58]
	s_clause 0x3
	buffer_load_dword v57, off, s[0:3], 0 offset:272
	buffer_load_dword v58, off, s[0:3], 0 offset:276
	buffer_load_dword v68, off, s[0:3], 0 offset:280
	buffer_load_dword v69, off, s[0:3], 0 offset:284
	ds_read_b128 v[15:18], v1 offset:1264
	s_waitcnt vmcnt(51) lgkmcnt(1)
	v_mul_f64 v[72:73], v[13:14], v[82:83]
	v_mul_f64 v[70:71], v[11:12], v[82:83]
	s_waitcnt vmcnt(49)
	v_fma_f64 v[64:65], v[7:8], v[21:22], -v[64:65]
	v_fma_f64 v[21:22], v[9:10], v[21:22], v[53:54]
	ds_read_b128 v[7:10], v1 offset:1280
	v_add_f64 v[23:24], v[23:24], v[66:67]
	v_add_f64 v[2:3], v[2:3], v[61:62]
	s_waitcnt vmcnt(45) lgkmcnt(1)
	v_mul_f64 v[53:54], v[15:16], v[25:26]
	v_mul_f64 v[25:26], v[17:18], v[25:26]
	s_waitcnt vmcnt(44)
	v_fma_f64 v[61:62], v[11:12], v[84:85], -v[72:73]
	v_add_f64 v[23:24], v[23:24], v[64:65]
	v_fma_f64 v[64:65], v[13:14], v[84:85], v[70:71]
	v_add_f64 v[2:3], v[2:3], v[21:22]
	ds_read_b128 v[11:14], v1 offset:1296
	s_waitcnt vmcnt(43) lgkmcnt(1)
	v_mul_f64 v[66:67], v[9:10], v[86:87]
	v_mul_f64 v[21:22], v[7:8], v[86:87]
	s_waitcnt vmcnt(41)
	v_fma_f64 v[25:26], v[15:16], v[19:20], -v[25:26]
	v_fma_f64 v[19:20], v[17:18], v[19:20], v[53:54]
	ds_read_b128 v[15:18], v1 offset:1312
	v_add_f64 v[23:24], v[23:24], v[61:62]
	v_add_f64 v[2:3], v[2:3], v[64:65]
	s_waitcnt vmcnt(37) lgkmcnt(1)
	v_mul_f64 v[53:54], v[11:12], v[33:34]
	v_mul_f64 v[33:34], v[13:14], v[33:34]
	s_waitcnt vmcnt(36)
	v_fma_f64 v[61:62], v[7:8], v[91:92], -v[66:67]
	v_fma_f64 v[21:22], v[9:10], v[91:92], v[21:22]
	ds_read_b128 v[7:10], v1 offset:1328
	v_add_f64 v[23:24], v[23:24], v[25:26]
	v_add_f64 v[2:3], v[2:3], v[19:20]
	;; [unrolled: 9-line block ×5, first 2 shown]
	s_waitcnt vmcnt(21) lgkmcnt(1)
	v_mul_f64 v[25:26], v[17:18], v[35:36]
	s_waitcnt vmcnt(20)
	v_fma_f64 v[29:30], v[11:12], v[88:89], -v[33:34]
	v_mul_f64 v[19:20], v[15:16], v[35:36]
	v_add_f64 v[23:24], v[23:24], v[27:28]
	v_fma_f64 v[27:28], v[13:14], v[88:89], v[31:32]
	v_add_f64 v[2:3], v[2:3], v[21:22]
	ds_read_b128 v[11:14], v1 offset:1392
	s_waitcnt vmcnt(19) lgkmcnt(1)
	v_mul_f64 v[31:32], v[9:10], v[47:48]
	v_mul_f64 v[21:22], v[7:8], v[47:48]
	s_waitcnt vmcnt(17)
	v_fma_f64 v[25:26], v[15:16], v[39:40], -v[25:26]
	v_fma_f64 v[19:20], v[17:18], v[39:40], v[19:20]
	ds_read_b128 v[15:18], v1 offset:1408
	v_add_f64 v[23:24], v[23:24], v[29:30]
	v_add_f64 v[2:3], v[2:3], v[27:28]
	s_waitcnt vmcnt(13) lgkmcnt(1)
	v_mul_f64 v[29:30], v[13:14], v[37:38]
	s_waitcnt vmcnt(12)
	v_fma_f64 v[7:8], v[7:8], v[51:52], -v[31:32]
	v_mul_f64 v[27:28], v[11:12], v[37:38]
	v_fma_f64 v[9:10], v[9:10], v[51:52], v[21:22]
	v_add_f64 v[23:24], v[23:24], v[25:26]
	v_add_f64 v[19:20], v[2:3], v[19:20]
	ds_read_b128 v[1:4], v1 offset:1424
	s_waitcnt vmcnt(11) lgkmcnt(1)
	v_mul_f64 v[25:26], v[17:18], v[55:56]
	v_mul_f64 v[21:22], v[15:16], v[55:56]
	s_waitcnt vmcnt(9)
	v_fma_f64 v[11:12], v[11:12], v[41:42], -v[29:30]
	v_fma_f64 v[13:14], v[13:14], v[41:42], v[27:28]
	v_add_f64 v[7:8], v[23:24], v[7:8]
	v_add_f64 v[9:10], v[19:20], v[9:10]
	s_waitcnt vmcnt(7) lgkmcnt(0)
	v_mul_f64 v[23:24], v[3:4], v[45:46]
	s_waitcnt vmcnt(6)
	v_fma_f64 v[15:16], v[15:16], v[59:60], -v[25:26]
	v_mul_f64 v[19:20], v[1:2], v[45:46]
	v_add_f64 v[7:8], v[7:8], v[11:12]
	v_fma_f64 v[11:12], v[17:18], v[59:60], v[21:22]
	v_add_f64 v[9:10], v[9:10], v[13:14]
	s_waitcnt vmcnt(4)
	v_fma_f64 v[1:2], v[1:2], v[49:50], -v[23:24]
	v_fma_f64 v[3:4], v[3:4], v[49:50], v[19:20]
	v_add_f64 v[7:8], v[7:8], v[15:16]
	v_add_f64 v[9:10], v[9:10], v[11:12]
	;; [unrolled: 1-line block ×4, first 2 shown]
	s_waitcnt vmcnt(2)
	v_add_f64 v[1:2], v[57:58], -v[1:2]
	s_waitcnt vmcnt(0)
	v_add_f64 v[3:4], v[68:69], -v[3:4]
	buffer_store_dword v2, off, s[0:3], 0 offset:276
	buffer_store_dword v1, off, s[0:3], 0 offset:272
	;; [unrolled: 1-line block ×4, first 2 shown]
	v_cmpx_lt_u32_e32 15, v0
	s_cbranch_execz .LBB44_253
; %bb.252:
	v_mov_b32_e32 v4, s50
	v_mov_b32_e32 v7, 0
	s_clause 0x3
	buffer_load_dword v1, v4, s[0:3], 0 offen
	buffer_load_dword v2, v4, s[0:3], 0 offen offset:4
	buffer_load_dword v3, v4, s[0:3], 0 offen offset:8
	;; [unrolled: 1-line block ×3, first 2 shown]
	buffer_store_dword v7, off, s[0:3], 0 offset:256
	buffer_store_dword v7, off, s[0:3], 0 offset:260
	;; [unrolled: 1-line block ×4, first 2 shown]
	s_waitcnt vmcnt(0)
	ds_write_b128 v63, v[1:4]
.LBB44_253:
	s_or_b32 exec_lo, exec_lo, s4
	s_waitcnt lgkmcnt(0)
	s_waitcnt_vscnt null, 0x0
	s_barrier
	buffer_gl0_inv
	s_clause 0x37
	buffer_load_dword v11, off, s[0:3], 0 offset:280
	buffer_load_dword v12, off, s[0:3], 0 offset:284
	;; [unrolled: 1-line block ×56, first 2 shown]
	v_mov_b32_e32 v13, 0
	s_mov_b32 s4, exec_lo
	ds_read_b128 v[7:10], v13 offset:976
	s_clause 0x2
	buffer_load_dword v73, off, s[0:3], 0 offset:508
	buffer_load_dword v77, off, s[0:3], 0 offset:484
	;; [unrolled: 1-line block ×3, first 2 shown]
	ds_read_b128 v[14:17], v13 offset:992
	s_clause 0x4
	buffer_load_dword v81, off, s[0:3], 0 offset:524
	buffer_load_dword v82, off, s[0:3], 0 offset:536
	;; [unrolled: 1-line block ×5, first 2 shown]
	ds_read_b128 v[18:21], v13 offset:1008
	s_waitcnt vmcnt(62) lgkmcnt(2)
	v_mul_f64 v[78:79], v[9:10], v[11:12]
	v_mul_f64 v[11:12], v[7:8], v[11:12]
	s_waitcnt vmcnt(60) lgkmcnt(1)
	v_mul_f64 v[85:86], v[16:17], v[22:23]
	v_mul_f64 v[22:23], v[14:15], v[22:23]
	;; [unrolled: 3-line block ×3, first 2 shown]
	v_fma_f64 v[78:79], v[7:8], v[24:25], -v[78:79]
	v_fma_f64 v[11:12], v[9:10], v[24:25], v[11:12]
	s_clause 0x2
	buffer_load_dword v83, off, s[0:3], 0 offset:540
	buffer_load_dword v25, off, s[0:3], 0 offset:516
	;; [unrolled: 1-line block ×3, first 2 shown]
	s_waitcnt vmcnt(57)
	v_fma_f64 v[14:15], v[14:15], v[1:2], -v[85:86]
	ds_read_b128 v[7:10], v13 offset:1024
	v_fma_f64 v[16:17], v[16:17], v[1:2], v[22:23]
	s_clause 0x4
	buffer_load_dword v23, off, s[0:3], 0 offset:556
	buffer_load_dword v86, off, s[0:3], 0 offset:568
	;; [unrolled: 1-line block ×5, first 2 shown]
	s_waitcnt vmcnt(56)
	v_fma_f64 v[18:19], v[18:19], v[32:33], -v[89:90]
	ds_read_b128 v[1:4], v13 offset:1040
	v_fma_f64 v[20:21], v[20:21], v[32:33], v[87:88]
	s_clause 0x2
	buffer_load_dword v87, off, s[0:3], 0 offset:572
	buffer_load_dword v33, off, s[0:3], 0 offset:548
	;; [unrolled: 1-line block ×3, first 2 shown]
	v_add_f64 v[78:79], v[78:79], 0
	v_add_f64 v[11:12], v[11:12], 0
	s_waitcnt lgkmcnt(1)
	v_mul_f64 v[181:182], v[7:8], v[26:27]
	v_mul_f64 v[26:27], v[9:10], v[26:27]
	s_waitcnt vmcnt(58) lgkmcnt(0)
	v_mul_f64 v[88:89], v[1:2], v[28:29]
	v_mul_f64 v[28:29], v[3:4], v[28:29]
	v_add_f64 v[78:79], v[78:79], v[14:15]
	v_add_f64 v[11:12], v[11:12], v[16:17]
	ds_read_b128 v[14:17], v13 offset:1056
	s_waitcnt vmcnt(56)
	v_fma_f64 v[26:27], v[7:8], v[34:35], -v[26:27]
	v_fma_f64 v[34:35], v[9:10], v[34:35], v[181:182]
	s_waitcnt vmcnt(51)
	v_fma_f64 v[28:29], v[1:2], v[30:31], -v[28:29]
	s_waitcnt lgkmcnt(0)
	v_mul_f64 v[182:183], v[14:15], v[36:37]
	v_add_f64 v[18:19], v[78:79], v[18:19]
	v_add_f64 v[11:12], v[11:12], v[20:21]
	s_clause 0x4
	buffer_load_dword v21, off, s[0:3], 0 offset:588
	buffer_load_dword v78, off, s[0:3], 0 offset:600
	;; [unrolled: 1-line block ×5, first 2 shown]
	v_mul_f64 v[36:37], v[16:17], v[36:37]
	ds_read_b128 v[7:10], v13 offset:1072
	v_add_f64 v[18:19], v[18:19], v[26:27]
	v_fma_f64 v[26:27], v[3:4], v[30:31], v[88:89]
	v_add_f64 v[11:12], v[11:12], v[34:35]
	s_clause 0x2
	buffer_load_dword v79, off, s[0:3], 0 offset:604
	buffer_load_dword v31, off, s[0:3], 0 offset:580
	;; [unrolled: 1-line block ×3, first 2 shown]
	s_waitcnt vmcnt(58) lgkmcnt(0)
	v_mul_f64 v[34:35], v[7:8], v[38:39]
	v_mul_f64 v[38:39], v[9:10], v[38:39]
	s_waitcnt vmcnt(56)
	v_fma_f64 v[36:37], v[14:15], v[42:43], -v[36:37]
	ds_read_b128 v[1:4], v13 offset:1088
	v_add_f64 v[18:19], v[18:19], v[28:29]
	v_fma_f64 v[28:29], v[16:17], v[42:43], v[182:183]
	v_add_f64 v[11:12], v[11:12], v[26:27]
	s_clause 0x4
	buffer_load_dword v27, off, s[0:3], 0 offset:620
	buffer_load_dword v42, off, s[0:3], 0 offset:632
	;; [unrolled: 1-line block ×5, first 2 shown]
	ds_read_b128 v[14:17], v13 offset:1104
	s_waitcnt vmcnt(57) lgkmcnt(1)
	v_mul_f64 v[89:90], v[1:2], v[44:45]
	v_mul_f64 v[44:45], v[3:4], v[44:45]
	s_waitcnt vmcnt(56)
	v_fma_f64 v[38:39], v[7:8], v[40:41], -v[38:39]
	v_fma_f64 v[34:35], v[9:10], v[40:41], v[34:35]
	v_add_f64 v[18:19], v[18:19], v[36:37]
	v_add_f64 v[11:12], v[11:12], v[28:29]
	s_clause 0x2
	buffer_load_dword v43, off, s[0:3], 0 offset:636
	buffer_load_dword v29, off, s[0:3], 0 offset:612
	;; [unrolled: 1-line block ×3, first 2 shown]
	s_waitcnt vmcnt(58) lgkmcnt(0)
	v_mul_f64 v[40:41], v[16:17], v[46:47]
	ds_read_b128 v[7:10], v13 offset:1120
	s_waitcnt vmcnt(56)
	v_fma_f64 v[44:45], v[1:2], v[50:51], -v[44:45]
	v_mul_f64 v[36:37], v[14:15], v[46:47]
	v_add_f64 v[18:19], v[18:19], v[38:39]
	v_fma_f64 v[38:39], v[3:4], v[50:51], v[89:90]
	v_add_f64 v[11:12], v[11:12], v[34:35]
	s_clause 0x4
	buffer_load_dword v35, off, s[0:3], 0 offset:652
	buffer_load_dword v46, off, s[0:3], 0 offset:664
	buffer_load_dword v50, off, s[0:3], 0 offset:656
	buffer_load_dword v34, off, s[0:3], 0 offset:648
	buffer_load_dword v89, off, s[0:3], 0 offset:628
	s_waitcnt vmcnt(57) lgkmcnt(0)
	v_mul_f64 v[183:184], v[7:8], v[52:53]
	v_mul_f64 v[51:52], v[9:10], v[52:53]
	s_waitcnt vmcnt(56)
	v_fma_f64 v[40:41], v[14:15], v[48:49], -v[40:41]
	ds_read_b128 v[1:4], v13 offset:1136
	v_fma_f64 v[36:37], v[16:17], v[48:49], v[36:37]
	v_add_f64 v[18:19], v[18:19], v[44:45]
	v_add_f64 v[11:12], v[11:12], v[38:39]
	s_clause 0x2
	buffer_load_dword v47, off, s[0:3], 0 offset:668
	buffer_load_dword v39, off, s[0:3], 0 offset:644
	buffer_load_dword v38, off, s[0:3], 0 offset:640
	ds_read_b128 v[14:17], v13 offset:1152
	s_waitcnt vmcnt(58) lgkmcnt(1)
	v_mul_f64 v[48:49], v[3:4], v[54:55]
	s_waitcnt vmcnt(56)
	v_fma_f64 v[52:53], v[7:8], v[58:59], -v[51:52]
	v_mul_f64 v[44:45], v[1:2], v[54:55]
	v_add_f64 v[18:19], v[18:19], v[40:41]
	v_fma_f64 v[40:41], v[9:10], v[58:59], v[183:184]
	v_add_f64 v[11:12], v[11:12], v[36:37]
	s_clause 0x4
	buffer_load_dword v37, off, s[0:3], 0 offset:684
	buffer_load_dword v54, off, s[0:3], 0 offset:696
	buffer_load_dword v58, off, s[0:3], 0 offset:688
	buffer_load_dword v36, off, s[0:3], 0 offset:680
	buffer_load_dword v51, off, s[0:3], 0 offset:660
	s_waitcnt vmcnt(57) lgkmcnt(0)
	v_mul_f64 v[183:184], v[14:15], v[60:61]
	v_mul_f64 v[59:60], v[16:17], v[60:61]
	s_waitcnt vmcnt(56)
	v_fma_f64 v[48:49], v[1:2], v[56:57], -v[48:49]
	ds_read_b128 v[7:10], v13 offset:1168
	v_fma_f64 v[44:45], v[3:4], v[56:57], v[44:45]
	v_add_f64 v[18:19], v[18:19], v[52:53]
	v_add_f64 v[11:12], v[11:12], v[40:41]
	s_clause 0x2
	buffer_load_dword v55, off, s[0:3], 0 offset:700
	buffer_load_dword v41, off, s[0:3], 0 offset:676
	buffer_load_dword v40, off, s[0:3], 0 offset:672
	ds_read_b128 v[1:4], v13 offset:1184
	s_waitcnt vmcnt(58) lgkmcnt(1)
	v_mul_f64 v[56:57], v[9:10], v[64:65]
	;; [unrolled: 28-line block ×3, first 2 shown]
	s_waitcnt vmcnt(56)
	v_fma_f64 v[70:71], v[1:2], v[76:77], -v[69:70]
	v_mul_f64 v[60:61], v[14:15], v[72:73]
	buffer_load_dword v69, off, s[0:3], 0 offset:724
	v_add_f64 v[18:19], v[18:19], v[56:57]
	v_fma_f64 v[56:57], v[3:4], v[76:77], v[183:184]
	v_add_f64 v[11:12], v[11:12], v[52:53]
	ds_read_b128 v[1:4], v13 offset:1232
	s_waitcnt vmcnt(53) lgkmcnt(1)
	v_mul_f64 v[72:73], v[9:10], v[80:81]
	s_waitcnt vmcnt(52)
	v_fma_f64 v[66:67], v[14:15], v[74:75], -v[66:67]
	v_mul_f64 v[52:53], v[7:8], v[80:81]
	v_fma_f64 v[60:61], v[16:17], v[74:75], v[60:61]
	ds_read_b128 v[14:17], v13 offset:1248
	v_add_f64 v[18:19], v[18:19], v[70:71]
	v_add_f64 v[11:12], v[11:12], v[56:57]
	s_waitcnt vmcnt(51) lgkmcnt(1)
	v_mul_f64 v[70:71], v[3:4], v[82:83]
	v_mul_f64 v[56:57], v[1:2], v[82:83]
	s_waitcnt vmcnt(49)
	v_fma_f64 v[72:73], v[7:8], v[24:25], -v[72:73]
	v_fma_f64 v[24:25], v[9:10], v[24:25], v[52:53]
	v_add_f64 v[18:19], v[18:19], v[66:67]
	s_waitcnt vmcnt(45) lgkmcnt(0)
	v_mul_f64 v[66:67], v[14:15], v[22:23]
	v_add_f64 v[11:12], v[11:12], v[60:61]
	s_clause 0x3
	buffer_load_dword v52, off, s[0:3], 0 offset:256
	buffer_load_dword v53, off, s[0:3], 0 offset:260
	;; [unrolled: 1-line block ×4, first 2 shown]
	v_mul_f64 v[22:23], v[16:17], v[22:23]
	ds_read_b128 v[7:10], v13 offset:1264
	s_waitcnt vmcnt(48)
	v_fma_f64 v[70:71], v[1:2], v[84:85], -v[70:71]
	v_fma_f64 v[56:57], v[3:4], v[84:85], v[56:57]
	ds_read_b128 v[1:4], v13 offset:1280
	v_add_f64 v[18:19], v[18:19], v[72:73]
	v_add_f64 v[11:12], v[11:12], v[24:25]
	s_waitcnt vmcnt(47) lgkmcnt(1)
	v_mul_f64 v[72:73], v[9:10], v[86:87]
	s_waitcnt vmcnt(45)
	v_fma_f64 v[22:23], v[14:15], v[32:33], -v[22:23]
	v_mul_f64 v[24:25], v[7:8], v[86:87]
	v_fma_f64 v[32:33], v[16:17], v[32:33], v[66:67]
	ds_read_b128 v[14:17], v13 offset:1296
	v_add_f64 v[18:19], v[18:19], v[70:71]
	v_add_f64 v[11:12], v[11:12], v[56:57]
	s_waitcnt vmcnt(41) lgkmcnt(1)
	v_mul_f64 v[56:57], v[1:2], v[20:21]
	v_mul_f64 v[20:21], v[3:4], v[20:21]
	s_waitcnt vmcnt(40)
	v_fma_f64 v[66:67], v[7:8], v[91:92], -v[72:73]
	v_add_f64 v[18:19], v[18:19], v[22:23]
	v_fma_f64 v[22:23], v[9:10], v[91:92], v[24:25]
	v_add_f64 v[11:12], v[11:12], v[32:33]
	ds_read_b128 v[7:10], v13 offset:1312
	s_waitcnt vmcnt(39) lgkmcnt(1)
	v_mul_f64 v[32:33], v[16:17], v[78:79]
	v_mul_f64 v[24:25], v[14:15], v[78:79]
	s_waitcnt vmcnt(37)
	v_fma_f64 v[20:21], v[1:2], v[30:31], -v[20:21]
	v_fma_f64 v[30:31], v[3:4], v[30:31], v[56:57]
	ds_read_b128 v[1:4], v13 offset:1328
	v_add_f64 v[18:19], v[18:19], v[66:67]
	v_add_f64 v[11:12], v[11:12], v[22:23]
	s_waitcnt vmcnt(33) lgkmcnt(1)
	v_mul_f64 v[22:23], v[7:8], v[26:27]
	v_mul_f64 v[26:27], v[9:10], v[26:27]
	s_waitcnt vmcnt(32)
	v_fma_f64 v[32:33], v[14:15], v[181:182], -v[32:33]
	v_add_f64 v[18:19], v[18:19], v[20:21]
	v_fma_f64 v[20:21], v[16:17], v[181:182], v[24:25]
	v_add_f64 v[11:12], v[11:12], v[30:31]
	ds_read_b128 v[14:17], v13 offset:1344
	s_waitcnt vmcnt(31) lgkmcnt(1)
	v_mul_f64 v[30:31], v[3:4], v[42:43]
	v_mul_f64 v[24:25], v[1:2], v[42:43]
	s_waitcnt vmcnt(29)
	v_fma_f64 v[26:27], v[7:8], v[28:29], -v[26:27]
	v_fma_f64 v[22:23], v[9:10], v[28:29], v[22:23]
	ds_read_b128 v[7:10], v13 offset:1360
	v_add_f64 v[18:19], v[18:19], v[32:33]
	v_add_f64 v[11:12], v[11:12], v[20:21]
	s_waitcnt vmcnt(25) lgkmcnt(1)
	v_mul_f64 v[28:29], v[16:17], v[34:35]
	s_waitcnt vmcnt(24)
	v_fma_f64 v[30:31], v[1:2], v[88:89], -v[30:31]
	v_mul_f64 v[20:21], v[14:15], v[34:35]
	v_fma_f64 v[24:25], v[3:4], v[88:89], v[24:25]
	ds_read_b128 v[1:4], v13 offset:1376
	v_add_f64 v[18:19], v[18:19], v[26:27]
	v_add_f64 v[11:12], v[11:12], v[22:23]
	s_waitcnt vmcnt(23) lgkmcnt(1)
	v_mul_f64 v[26:27], v[9:10], v[46:47]
	v_mul_f64 v[22:23], v[7:8], v[46:47]
	s_waitcnt vmcnt(21)
	v_fma_f64 v[28:29], v[14:15], v[38:39], -v[28:29]
	v_fma_f64 v[20:21], v[16:17], v[38:39], v[20:21]
	ds_read_b128 v[14:17], v13 offset:1392
	v_add_f64 v[18:19], v[18:19], v[30:31]
	v_add_f64 v[11:12], v[11:12], v[24:25]
	s_waitcnt vmcnt(17) lgkmcnt(1)
	v_mul_f64 v[30:31], v[3:4], v[36:37]
	s_waitcnt vmcnt(16)
	v_fma_f64 v[26:27], v[7:8], v[50:51], -v[26:27]
	v_mul_f64 v[24:25], v[1:2], v[36:37]
	v_fma_f64 v[22:23], v[9:10], v[50:51], v[22:23]
	ds_read_b128 v[7:10], v13 offset:1408
	v_add_f64 v[18:19], v[18:19], v[28:29]
	v_add_f64 v[11:12], v[11:12], v[20:21]
	s_waitcnt vmcnt(15) lgkmcnt(1)
	v_mul_f64 v[28:29], v[16:17], v[54:55]
	v_mul_f64 v[20:21], v[14:15], v[54:55]
	s_waitcnt vmcnt(13)
	v_fma_f64 v[30:31], v[1:2], v[40:41], -v[30:31]
	v_fma_f64 v[24:25], v[3:4], v[40:41], v[24:25]
	ds_read_b128 v[1:4], v13 offset:1424
	v_add_f64 v[18:19], v[18:19], v[26:27]
	v_add_f64 v[11:12], v[11:12], v[22:23]
	s_waitcnt vmcnt(9) lgkmcnt(1)
	v_mul_f64 v[26:27], v[9:10], v[44:45]
	s_waitcnt vmcnt(8)
	v_fma_f64 v[14:15], v[14:15], v[58:59], -v[28:29]
	v_mul_f64 v[22:23], v[7:8], v[44:45]
	v_fma_f64 v[16:17], v[16:17], v[58:59], v[20:21]
	v_add_f64 v[18:19], v[18:19], v[30:31]
	v_add_f64 v[11:12], v[11:12], v[24:25]
	s_waitcnt vmcnt(7) lgkmcnt(0)
	v_mul_f64 v[24:25], v[3:4], v[64:65]
	v_mul_f64 v[20:21], v[1:2], v[64:65]
	s_waitcnt vmcnt(5)
	v_fma_f64 v[7:8], v[7:8], v[48:49], -v[26:27]
	v_fma_f64 v[9:10], v[9:10], v[48:49], v[22:23]
	v_add_f64 v[14:15], v[18:19], v[14:15]
	v_add_f64 v[11:12], v[11:12], v[16:17]
	s_waitcnt vmcnt(4)
	v_fma_f64 v[1:2], v[1:2], v[68:69], -v[24:25]
	v_fma_f64 v[3:4], v[3:4], v[68:69], v[20:21]
	v_add_f64 v[7:8], v[14:15], v[7:8]
	v_add_f64 v[9:10], v[11:12], v[9:10]
	;; [unrolled: 1-line block ×4, first 2 shown]
	s_waitcnt vmcnt(2)
	v_add_f64 v[1:2], v[52:53], -v[1:2]
	s_waitcnt vmcnt(0)
	v_add_f64 v[3:4], v[60:61], -v[3:4]
	buffer_store_dword v2, off, s[0:3], 0 offset:260
	buffer_store_dword v1, off, s[0:3], 0 offset:256
	;; [unrolled: 1-line block ×4, first 2 shown]
	v_cmpx_lt_u32_e32 14, v0
	s_cbranch_execz .LBB44_255
; %bb.254:
	v_mov_b32_e32 v4, s51
	s_clause 0x3
	buffer_load_dword v1, v4, s[0:3], 0 offen
	buffer_load_dword v2, v4, s[0:3], 0 offen offset:4
	buffer_load_dword v3, v4, s[0:3], 0 offen offset:8
	;; [unrolled: 1-line block ×3, first 2 shown]
	buffer_store_dword v13, off, s[0:3], 0 offset:240
	buffer_store_dword v13, off, s[0:3], 0 offset:244
	;; [unrolled: 1-line block ×4, first 2 shown]
	s_waitcnt vmcnt(0)
	ds_write_b128 v63, v[1:4]
.LBB44_255:
	s_or_b32 exec_lo, exec_lo, s4
	s_waitcnt lgkmcnt(0)
	s_waitcnt_vscnt null, 0x0
	s_barrier
	buffer_gl0_inv
	s_clause 0x37
	buffer_load_dword v11, off, s[0:3], 0 offset:264
	buffer_load_dword v12, off, s[0:3], 0 offset:268
	;; [unrolled: 1-line block ×56, first 2 shown]
	ds_read_b128 v[14:17], v13 offset:960
	s_clause 0x2
	buffer_load_dword v73, off, s[0:3], 0 offset:492
	buffer_load_dword v77, off, s[0:3], 0 offset:468
	;; [unrolled: 1-line block ×3, first 2 shown]
	ds_read_b128 v[18:21], v13 offset:976
	s_clause 0x4
	buffer_load_dword v81, off, s[0:3], 0 offset:508
	buffer_load_dword v82, off, s[0:3], 0 offset:520
	;; [unrolled: 1-line block ×5, first 2 shown]
	ds_read_b128 v[22:25], v13 offset:992
	s_clause 0x2
	buffer_load_dword v83, off, s[0:3], 0 offset:524
	buffer_load_dword v88, off, s[0:3], 0 offset:500
	;; [unrolled: 1-line block ×3, first 2 shown]
	s_mov_b32 s4, exec_lo
	s_waitcnt vmcnt(62) lgkmcnt(2)
	v_mul_f64 v[78:79], v[16:17], v[11:12]
	v_mul_f64 v[11:12], v[14:15], v[11:12]
	s_waitcnt lgkmcnt(1)
	v_mul_f64 v[85:86], v[20:21], v[7:8]
	s_waitcnt vmcnt(59) lgkmcnt(0)
	v_mul_f64 v[89:90], v[24:25], v[3:4]
	v_fma_f64 v[14:15], v[14:15], v[9:10], -v[78:79]
	v_mul_f64 v[78:79], v[18:19], v[7:8]
	v_fma_f64 v[11:12], v[16:17], v[9:10], v[11:12]
	s_waitcnt vmcnt(57)
	v_fma_f64 v[18:19], v[18:19], v[1:2], -v[85:86]
	ds_read_b128 v[7:10], v13 offset:1008
	v_mul_f64 v[16:17], v[22:23], v[3:4]
	s_waitcnt vmcnt(51)
	v_fma_f64 v[22:23], v[22:23], v[32:33], -v[89:90]
	v_add_f64 v[14:15], v[14:15], 0
	v_fma_f64 v[20:21], v[20:21], v[1:2], v[78:79]
	v_add_f64 v[11:12], v[11:12], 0
	s_clause 0x4
	buffer_load_dword v79, off, s[0:3], 0 offset:540
	buffer_load_dword v91, off, s[0:3], 0 offset:552
	;; [unrolled: 1-line block ×5, first 2 shown]
	s_waitcnt lgkmcnt(0)
	v_mul_f64 v[182:183], v[7:8], v[26:27]
	v_mul_f64 v[26:27], v[9:10], v[26:27]
	ds_read_b128 v[1:4], v13 offset:1024
	v_fma_f64 v[24:25], v[24:25], v[32:33], v[16:17]
	v_add_f64 v[18:19], v[14:15], v[18:19]
	v_add_f64 v[11:12], v[11:12], v[20:21]
	s_clause 0x2
	buffer_load_dword v92, off, s[0:3], 0 offset:556
	buffer_load_dword v21, off, s[0:3], 0 offset:532
	;; [unrolled: 1-line block ×3, first 2 shown]
	s_waitcnt vmcnt(58) lgkmcnt(0)
	v_mul_f64 v[32:33], v[1:2], v[28:29]
	v_mul_f64 v[28:29], v[3:4], v[28:29]
	s_waitcnt vmcnt(56)
	v_fma_f64 v[26:27], v[7:8], v[34:35], -v[26:27]
	ds_read_b128 v[14:17], v13 offset:1040
	v_add_f64 v[18:19], v[18:19], v[22:23]
	v_fma_f64 v[22:23], v[9:10], v[34:35], v[182:183]
	v_add_f64 v[11:12], v[11:12], v[24:25]
	s_clause 0x4
	buffer_load_dword v25, off, s[0:3], 0 offset:572
	buffer_load_dword v34, off, s[0:3], 0 offset:584
	;; [unrolled: 1-line block ×5, first 2 shown]
	ds_read_b128 v[7:10], v13 offset:1056
	s_waitcnt vmcnt(57) lgkmcnt(1)
	v_mul_f64 v[183:184], v[14:15], v[36:37]
	v_mul_f64 v[36:37], v[16:17], v[36:37]
	s_waitcnt vmcnt(56)
	v_fma_f64 v[28:29], v[1:2], v[30:31], -v[28:29]
	v_add_f64 v[18:19], v[18:19], v[26:27]
	v_fma_f64 v[26:27], v[3:4], v[30:31], v[32:33]
	v_add_f64 v[11:12], v[11:12], v[22:23]
	s_clause 0x2
	buffer_load_dword v35, off, s[0:3], 0 offset:588
	buffer_load_dword v23, off, s[0:3], 0 offset:564
	;; [unrolled: 1-line block ×3, first 2 shown]
	s_waitcnt vmcnt(58) lgkmcnt(0)
	v_mul_f64 v[32:33], v[9:10], v[38:39]
	ds_read_b128 v[1:4], v13 offset:1072
	s_waitcnt vmcnt(56)
	v_fma_f64 v[36:37], v[14:15], v[42:43], -v[36:37]
	v_mul_f64 v[30:31], v[7:8], v[38:39]
	v_add_f64 v[18:19], v[18:19], v[28:29]
	v_fma_f64 v[28:29], v[16:17], v[42:43], v[183:184]
	v_add_f64 v[11:12], v[11:12], v[26:27]
	s_clause 0x4
	buffer_load_dword v27, off, s[0:3], 0 offset:604
	buffer_load_dword v38, off, s[0:3], 0 offset:616
	buffer_load_dword v42, off, s[0:3], 0 offset:608
	buffer_load_dword v26, off, s[0:3], 0 offset:600
	buffer_load_dword v90, off, s[0:3], 0 offset:580
	s_waitcnt vmcnt(57) lgkmcnt(0)
	v_mul_f64 v[183:184], v[1:2], v[44:45]
	v_mul_f64 v[43:44], v[3:4], v[44:45]
	s_waitcnt vmcnt(56)
	v_fma_f64 v[32:33], v[7:8], v[40:41], -v[32:33]
	ds_read_b128 v[14:17], v13 offset:1088
	v_fma_f64 v[30:31], v[9:10], v[40:41], v[30:31]
	v_add_f64 v[18:19], v[18:19], v[36:37]
	v_add_f64 v[11:12], v[11:12], v[28:29]
	s_clause 0x2
	buffer_load_dword v39, off, s[0:3], 0 offset:620
	buffer_load_dword v29, off, s[0:3], 0 offset:596
	buffer_load_dword v28, off, s[0:3], 0 offset:592
	ds_read_b128 v[7:10], v13 offset:1104
	s_waitcnt vmcnt(58) lgkmcnt(1)
	v_mul_f64 v[40:41], v[16:17], v[46:47]
	s_waitcnt vmcnt(56)
	v_fma_f64 v[44:45], v[1:2], v[50:51], -v[43:44]
	v_mul_f64 v[36:37], v[14:15], v[46:47]
	v_add_f64 v[18:19], v[18:19], v[32:33]
	v_fma_f64 v[32:33], v[3:4], v[50:51], v[183:184]
	v_add_f64 v[11:12], v[11:12], v[30:31]
	s_clause 0x4
	buffer_load_dword v31, off, s[0:3], 0 offset:636
	buffer_load_dword v46, off, s[0:3], 0 offset:648
	buffer_load_dword v50, off, s[0:3], 0 offset:640
	buffer_load_dword v30, off, s[0:3], 0 offset:632
	buffer_load_dword v43, off, s[0:3], 0 offset:612
	s_waitcnt vmcnt(57) lgkmcnt(0)
	v_mul_f64 v[183:184], v[7:8], v[52:53]
	v_mul_f64 v[51:52], v[9:10], v[52:53]
	s_waitcnt vmcnt(56)
	v_fma_f64 v[40:41], v[14:15], v[48:49], -v[40:41]
	ds_read_b128 v[1:4], v13 offset:1120
	v_fma_f64 v[36:37], v[16:17], v[48:49], v[36:37]
	v_add_f64 v[18:19], v[18:19], v[44:45]
	v_add_f64 v[11:12], v[11:12], v[32:33]
	s_clause 0x2
	buffer_load_dword v47, off, s[0:3], 0 offset:652
	buffer_load_dword v33, off, s[0:3], 0 offset:628
	buffer_load_dword v32, off, s[0:3], 0 offset:624
	ds_read_b128 v[14:17], v13 offset:1136
	s_waitcnt vmcnt(58) lgkmcnt(1)
	v_mul_f64 v[48:49], v[3:4], v[54:55]
	;; [unrolled: 28-line block ×4, first 2 shown]
	s_waitcnt vmcnt(56)
	v_fma_f64 v[70:71], v[1:2], v[76:77], -v[69:70]
	v_mul_f64 v[60:61], v[14:15], v[72:73]
	v_add_f64 v[18:19], v[18:19], v[56:57]
	v_fma_f64 v[56:57], v[3:4], v[76:77], v[183:184]
	v_add_f64 v[11:12], v[11:12], v[52:53]
	s_clause 0x2
	buffer_load_dword v53, off, s[0:3], 0 offset:732
	buffer_load_dword v52, off, s[0:3], 0 offset:728
	;; [unrolled: 1-line block ×3, first 2 shown]
	s_waitcnt vmcnt(55) lgkmcnt(0)
	v_mul_f64 v[76:77], v[9:10], v[80:81]
	s_waitcnt vmcnt(54)
	v_fma_f64 v[66:67], v[14:15], v[74:75], -v[66:67]
	ds_read_b128 v[1:4], v13 offset:1216
	v_mul_f64 v[72:73], v[7:8], v[80:81]
	v_fma_f64 v[60:61], v[16:17], v[74:75], v[60:61]
	v_add_f64 v[18:19], v[18:19], v[70:71]
	v_add_f64 v[11:12], v[11:12], v[56:57]
	s_clause 0x1
	buffer_load_dword v57, off, s[0:3], 0 offset:724
	buffer_load_dword v56, off, s[0:3], 0 offset:720
	s_waitcnt vmcnt(55) lgkmcnt(0)
	v_mul_f64 v[74:75], v[3:4], v[82:83]
	s_waitcnt vmcnt(53)
	v_fma_f64 v[76:77], v[7:8], v[87:88], -v[76:77]
	ds_read_b128 v[14:17], v13 offset:1232
	v_mul_f64 v[70:71], v[1:2], v[82:83]
	v_add_f64 v[18:19], v[18:19], v[66:67]
	v_fma_f64 v[66:67], v[9:10], v[87:88], v[72:73]
	v_add_f64 v[11:12], v[11:12], v[60:61]
	ds_read_b128 v[7:10], v13 offset:1248
	s_waitcnt vmcnt(49) lgkmcnt(1)
	v_mul_f64 v[72:73], v[16:17], v[78:79]
	s_waitcnt vmcnt(48)
	v_fma_f64 v[74:75], v[1:2], v[84:85], -v[74:75]
	v_mul_f64 v[60:61], v[14:15], v[78:79]
	v_fma_f64 v[70:71], v[3:4], v[84:85], v[70:71]
	v_add_f64 v[18:19], v[18:19], v[76:77]
	v_add_f64 v[11:12], v[11:12], v[66:67]
	s_clause 0x3
	buffer_load_dword v66, off, s[0:3], 0 offset:240
	buffer_load_dword v67, off, s[0:3], 0 offset:244
	;; [unrolled: 1-line block ×4, first 2 shown]
	ds_read_b128 v[1:4], v13 offset:1264
	s_waitcnt vmcnt(51) lgkmcnt(1)
	v_mul_f64 v[80:81], v[9:10], v[91:92]
	v_mul_f64 v[78:79], v[7:8], v[91:92]
	s_waitcnt vmcnt(49)
	v_fma_f64 v[72:73], v[14:15], v[20:21], -v[72:73]
	v_fma_f64 v[20:21], v[16:17], v[20:21], v[60:61]
	ds_read_b128 v[14:17], v13 offset:1280
	v_add_f64 v[18:19], v[18:19], v[74:75]
	v_add_f64 v[11:12], v[11:12], v[70:71]
	s_waitcnt vmcnt(45) lgkmcnt(1)
	v_mul_f64 v[60:61], v[1:2], v[24:25]
	v_mul_f64 v[24:25], v[3:4], v[24:25]
	s_waitcnt vmcnt(44)
	v_fma_f64 v[70:71], v[7:8], v[181:182], -v[80:81]
	v_add_f64 v[18:19], v[18:19], v[72:73]
	v_fma_f64 v[72:73], v[9:10], v[181:182], v[78:79]
	v_add_f64 v[11:12], v[11:12], v[20:21]
	ds_read_b128 v[7:10], v13 offset:1296
	s_waitcnt vmcnt(43) lgkmcnt(1)
	v_mul_f64 v[20:21], v[14:15], v[34:35]
	v_mul_f64 v[34:35], v[16:17], v[34:35]
	s_waitcnt vmcnt(41)
	v_fma_f64 v[24:25], v[1:2], v[22:23], -v[24:25]
	v_fma_f64 v[22:23], v[3:4], v[22:23], v[60:61]
	ds_read_b128 v[1:4], v13 offset:1312
	v_add_f64 v[18:19], v[18:19], v[70:71]
	v_add_f64 v[11:12], v[11:12], v[72:73]
	s_waitcnt vmcnt(37) lgkmcnt(1)
	v_mul_f64 v[60:61], v[7:8], v[26:27]
	v_mul_f64 v[26:27], v[9:10], v[26:27]
	s_waitcnt vmcnt(36)
	v_fma_f64 v[34:35], v[14:15], v[89:90], -v[34:35]
	v_fma_f64 v[20:21], v[16:17], v[89:90], v[20:21]
	ds_read_b128 v[14:17], v13 offset:1328
	v_add_f64 v[18:19], v[18:19], v[24:25]
	v_add_f64 v[11:12], v[11:12], v[22:23]
	;; [unrolled: 9-line block ×5, first 2 shown]
	s_waitcnt vmcnt(21) lgkmcnt(1)
	v_mul_f64 v[24:25], v[3:4], v[36:37]
	s_waitcnt vmcnt(20)
	v_fma_f64 v[28:29], v[7:8], v[50:51], -v[28:29]
	v_mul_f64 v[22:23], v[1:2], v[36:37]
	v_fma_f64 v[26:27], v[9:10], v[50:51], v[26:27]
	ds_read_b128 v[7:10], v13 offset:1392
	v_add_f64 v[18:19], v[18:19], v[30:31]
	v_add_f64 v[11:12], v[11:12], v[20:21]
	s_waitcnt vmcnt(19) lgkmcnt(1)
	v_mul_f64 v[30:31], v[16:17], v[54:55]
	v_mul_f64 v[20:21], v[14:15], v[54:55]
	s_waitcnt vmcnt(17)
	v_fma_f64 v[24:25], v[1:2], v[40:41], -v[24:25]
	v_fma_f64 v[22:23], v[3:4], v[40:41], v[22:23]
	ds_read_b128 v[1:4], v13 offset:1408
	v_add_f64 v[18:19], v[18:19], v[28:29]
	v_add_f64 v[11:12], v[11:12], v[26:27]
	s_waitcnt vmcnt(13) lgkmcnt(1)
	v_mul_f64 v[28:29], v[9:10], v[44:45]
	s_waitcnt vmcnt(12)
	v_fma_f64 v[30:31], v[14:15], v[58:59], -v[30:31]
	v_mul_f64 v[26:27], v[7:8], v[44:45]
	v_fma_f64 v[15:16], v[16:17], v[58:59], v[20:21]
	v_add_f64 v[18:19], v[18:19], v[24:25]
	v_add_f64 v[20:21], v[11:12], v[22:23]
	ds_read_b128 v[11:14], v13 offset:1424
	s_waitcnt vmcnt(11) lgkmcnt(1)
	v_mul_f64 v[24:25], v[3:4], v[64:65]
	v_mul_f64 v[22:23], v[1:2], v[64:65]
	s_waitcnt vmcnt(9)
	v_fma_f64 v[7:8], v[7:8], v[48:49], -v[28:29]
	v_fma_f64 v[9:10], v[9:10], v[48:49], v[26:27]
	v_add_f64 v[17:18], v[18:19], v[30:31]
	v_add_f64 v[15:16], v[20:21], v[15:16]
	s_waitcnt vmcnt(7) lgkmcnt(0)
	v_mul_f64 v[26:27], v[13:14], v[52:53]
	s_waitcnt vmcnt(6)
	v_fma_f64 v[1:2], v[1:2], v[68:69], -v[24:25]
	v_mul_f64 v[19:20], v[11:12], v[52:53]
	v_fma_f64 v[3:4], v[3:4], v[68:69], v[22:23]
	v_add_f64 v[7:8], v[17:18], v[7:8]
	v_add_f64 v[9:10], v[15:16], v[9:10]
	s_waitcnt vmcnt(4)
	v_fma_f64 v[11:12], v[11:12], v[56:57], -v[26:27]
	v_add_f64 v[1:2], v[7:8], v[1:2]
	v_fma_f64 v[7:8], v[13:14], v[56:57], v[19:20]
	v_add_f64 v[3:4], v[9:10], v[3:4]
	v_add_f64 v[1:2], v[1:2], v[11:12]
	;; [unrolled: 1-line block ×3, first 2 shown]
	s_waitcnt vmcnt(2)
	v_add_f64 v[1:2], v[66:67], -v[1:2]
	s_waitcnt vmcnt(0)
	v_add_f64 v[3:4], v[76:77], -v[3:4]
	buffer_store_dword v2, off, s[0:3], 0 offset:244
	buffer_store_dword v1, off, s[0:3], 0 offset:240
	;; [unrolled: 1-line block ×4, first 2 shown]
	v_cmpx_lt_u32_e32 13, v0
	s_cbranch_execz .LBB44_257
; %bb.256:
	v_mov_b32_e32 v4, s53
	v_mov_b32_e32 v7, 0
	s_clause 0x3
	buffer_load_dword v1, v4, s[0:3], 0 offen
	buffer_load_dword v2, v4, s[0:3], 0 offen offset:4
	buffer_load_dword v3, v4, s[0:3], 0 offen offset:8
	;; [unrolled: 1-line block ×3, first 2 shown]
	buffer_store_dword v7, off, s[0:3], 0 offset:224
	buffer_store_dword v7, off, s[0:3], 0 offset:228
	;; [unrolled: 1-line block ×4, first 2 shown]
	s_waitcnt vmcnt(0)
	ds_write_b128 v63, v[1:4]
.LBB44_257:
	s_or_b32 exec_lo, exec_lo, s4
	s_waitcnt lgkmcnt(0)
	s_waitcnt_vscnt null, 0x0
	s_barrier
	buffer_gl0_inv
	s_clause 0x37
	buffer_load_dword v11, off, s[0:3], 0 offset:248
	buffer_load_dword v12, off, s[0:3], 0 offset:252
	;; [unrolled: 1-line block ×56, first 2 shown]
	v_mov_b32_e32 v31, 0
	s_mov_b32 s4, exec_lo
	ds_read_b128 v[19:22], v31 offset:944
	s_clause 0x2
	buffer_load_dword v73, off, s[0:3], 0 offset:476
	buffer_load_dword v77, off, s[0:3], 0 offset:452
	;; [unrolled: 1-line block ×3, first 2 shown]
	ds_read_b128 v[23:26], v31 offset:960
	s_clause 0x4
	buffer_load_dword v81, off, s[0:3], 0 offset:492
	buffer_load_dword v82, off, s[0:3], 0 offset:504
	;; [unrolled: 1-line block ×5, first 2 shown]
	ds_read_b128 v[27:30], v31 offset:976
	s_clause 0x2
	buffer_load_dword v83, off, s[0:3], 0 offset:508
	buffer_load_dword v88, off, s[0:3], 0 offset:484
	;; [unrolled: 1-line block ×3, first 2 shown]
	s_waitcnt vmcnt(62) lgkmcnt(2)
	v_mul_f64 v[78:79], v[21:22], v[11:12]
	v_mul_f64 v[11:12], v[19:20], v[11:12]
	s_waitcnt lgkmcnt(1)
	v_mul_f64 v[85:86], v[25:26], v[7:8]
	s_waitcnt vmcnt(59) lgkmcnt(0)
	v_mul_f64 v[89:90], v[29:30], v[3:4]
	v_fma_f64 v[19:20], v[19:20], v[9:10], -v[78:79]
	v_mul_f64 v[78:79], v[23:24], v[7:8]
	v_fma_f64 v[11:12], v[21:22], v[9:10], v[11:12]
	s_waitcnt vmcnt(57)
	v_fma_f64 v[23:24], v[23:24], v[1:2], -v[85:86]
	ds_read_b128 v[7:10], v31 offset:992
	v_mul_f64 v[21:22], v[27:28], v[3:4]
	s_waitcnt vmcnt(51)
	v_fma_f64 v[27:28], v[27:28], v[34:35], -v[89:90]
	v_add_f64 v[19:20], v[19:20], 0
	v_fma_f64 v[25:26], v[25:26], v[1:2], v[78:79]
	v_add_f64 v[11:12], v[11:12], 0
	s_clause 0x4
	buffer_load_dword v79, off, s[0:3], 0 offset:524
	buffer_load_dword v91, off, s[0:3], 0 offset:536
	;; [unrolled: 1-line block ×5, first 2 shown]
	s_waitcnt lgkmcnt(0)
	v_mul_f64 v[182:183], v[7:8], v[15:16]
	v_mul_f64 v[15:16], v[9:10], v[15:16]
	ds_read_b128 v[1:4], v31 offset:1008
	v_fma_f64 v[29:30], v[29:30], v[34:35], v[21:22]
	v_add_f64 v[23:24], v[19:20], v[23:24]
	v_add_f64 v[11:12], v[11:12], v[25:26]
	s_clause 0x2
	buffer_load_dword v92, off, s[0:3], 0 offset:540
	buffer_load_dword v26, off, s[0:3], 0 offset:516
	;; [unrolled: 1-line block ×3, first 2 shown]
	s_waitcnt vmcnt(58) lgkmcnt(0)
	v_mul_f64 v[34:35], v[1:2], v[32:33]
	v_mul_f64 v[32:33], v[3:4], v[32:33]
	s_waitcnt vmcnt(56)
	v_fma_f64 v[15:16], v[7:8], v[36:37], -v[15:16]
	ds_read_b128 v[19:22], v31 offset:1024
	v_add_f64 v[23:24], v[23:24], v[27:28]
	v_fma_f64 v[27:28], v[9:10], v[36:37], v[182:183]
	v_add_f64 v[11:12], v[11:12], v[29:30]
	s_clause 0x4
	buffer_load_dword v30, off, s[0:3], 0 offset:556
	buffer_load_dword v36, off, s[0:3], 0 offset:568
	;; [unrolled: 1-line block ×5, first 2 shown]
	ds_read_b128 v[7:10], v31 offset:1040
	s_waitcnt vmcnt(57) lgkmcnt(1)
	v_mul_f64 v[183:184], v[19:20], v[38:39]
	v_mul_f64 v[38:39], v[21:22], v[38:39]
	s_waitcnt vmcnt(56)
	v_fma_f64 v[32:33], v[1:2], v[13:14], -v[32:33]
	v_fma_f64 v[13:14], v[3:4], v[13:14], v[34:35]
	v_add_f64 v[15:16], v[23:24], v[15:16]
	s_clause 0x2
	buffer_load_dword v37, off, s[0:3], 0 offset:572
	buffer_load_dword v24, off, s[0:3], 0 offset:548
	;; [unrolled: 1-line block ×3, first 2 shown]
	v_add_f64 v[11:12], v[11:12], v[27:28]
	s_waitcnt vmcnt(58) lgkmcnt(0)
	v_mul_f64 v[34:35], v[9:10], v[40:41]
	ds_read_b128 v[1:4], v31 offset:1056
	v_mul_f64 v[27:28], v[7:8], v[40:41]
	s_waitcnt vmcnt(56)
	v_fma_f64 v[19:20], v[19:20], v[42:43], -v[38:39]
	v_fma_f64 v[21:22], v[21:22], v[42:43], v[183:184]
	s_clause 0x4
	buffer_load_dword v39, off, s[0:3], 0 offset:588
	buffer_load_dword v40, off, s[0:3], 0 offset:600
	;; [unrolled: 1-line block ×5, first 2 shown]
	v_add_f64 v[15:16], v[15:16], v[32:33]
	v_add_f64 v[32:33], v[11:12], v[13:14]
	s_waitcnt vmcnt(57) lgkmcnt(0)
	v_mul_f64 v[183:184], v[1:2], v[44:45]
	v_mul_f64 v[43:44], v[3:4], v[44:45]
	s_waitcnt vmcnt(56)
	v_fma_f64 v[34:35], v[7:8], v[17:18], -v[34:35]
	ds_read_b128 v[11:14], v31 offset:1072
	v_fma_f64 v[17:18], v[9:10], v[17:18], v[27:28]
	v_add_f64 v[15:16], v[15:16], v[19:20]
	v_add_f64 v[19:20], v[32:33], v[21:22]
	s_clause 0x2
	buffer_load_dword v41, off, s[0:3], 0 offset:604
	buffer_load_dword v22, off, s[0:3], 0 offset:580
	;; [unrolled: 1-line block ×3, first 2 shown]
	s_waitcnt vmcnt(58) lgkmcnt(0)
	v_mul_f64 v[32:33], v[13:14], v[46:47]
	s_waitcnt vmcnt(56)
	v_fma_f64 v[44:45], v[1:2], v[50:51], -v[43:44]
	ds_read_b128 v[7:10], v31 offset:1088
	v_mul_f64 v[27:28], v[11:12], v[46:47]
	v_add_f64 v[15:16], v[15:16], v[34:35]
	v_fma_f64 v[34:35], v[3:4], v[50:51], v[183:184]
	v_add_f64 v[17:18], v[19:20], v[17:18]
	s_clause 0x4
	buffer_load_dword v20, off, s[0:3], 0 offset:620
	buffer_load_dword v46, off, s[0:3], 0 offset:632
	buffer_load_dword v50, off, s[0:3], 0 offset:624
	buffer_load_dword v19, off, s[0:3], 0 offset:616
	buffer_load_dword v43, off, s[0:3], 0 offset:596
	s_waitcnt vmcnt(57) lgkmcnt(0)
	v_mul_f64 v[183:184], v[7:8], v[52:53]
	v_mul_f64 v[51:52], v[9:10], v[52:53]
	s_waitcnt vmcnt(56)
	v_fma_f64 v[32:33], v[11:12], v[48:49], -v[32:33]
	ds_read_b128 v[1:4], v31 offset:1104
	v_fma_f64 v[27:28], v[13:14], v[48:49], v[27:28]
	v_add_f64 v[15:16], v[15:16], v[44:45]
	v_add_f64 v[17:18], v[17:18], v[34:35]
	s_clause 0x2
	buffer_load_dword v47, off, s[0:3], 0 offset:636
	buffer_load_dword v35, off, s[0:3], 0 offset:612
	buffer_load_dword v34, off, s[0:3], 0 offset:608
	ds_read_b128 v[11:14], v31 offset:1120
	s_waitcnt vmcnt(58) lgkmcnt(1)
	v_mul_f64 v[48:49], v[3:4], v[54:55]
	s_waitcnt vmcnt(56)
	v_fma_f64 v[52:53], v[7:8], v[58:59], -v[51:52]
	v_mul_f64 v[44:45], v[1:2], v[54:55]
	v_add_f64 v[15:16], v[15:16], v[32:33]
	v_fma_f64 v[32:33], v[9:10], v[58:59], v[183:184]
	v_add_f64 v[17:18], v[17:18], v[27:28]
	s_clause 0x4
	buffer_load_dword v28, off, s[0:3], 0 offset:652
	buffer_load_dword v54, off, s[0:3], 0 offset:664
	buffer_load_dword v58, off, s[0:3], 0 offset:656
	buffer_load_dword v27, off, s[0:3], 0 offset:648
	buffer_load_dword v51, off, s[0:3], 0 offset:628
	s_waitcnt vmcnt(57) lgkmcnt(0)
	v_mul_f64 v[183:184], v[11:12], v[60:61]
	v_mul_f64 v[59:60], v[13:14], v[60:61]
	s_waitcnt vmcnt(56)
	v_fma_f64 v[48:49], v[1:2], v[56:57], -v[48:49]
	ds_read_b128 v[7:10], v31 offset:1136
	v_fma_f64 v[44:45], v[3:4], v[56:57], v[44:45]
	v_add_f64 v[15:16], v[15:16], v[52:53]
	v_add_f64 v[17:18], v[17:18], v[32:33]
	s_clause 0x2
	buffer_load_dword v55, off, s[0:3], 0 offset:668
	buffer_load_dword v33, off, s[0:3], 0 offset:644
	buffer_load_dword v32, off, s[0:3], 0 offset:640
	ds_read_b128 v[1:4], v31 offset:1152
	s_waitcnt vmcnt(58) lgkmcnt(1)
	v_mul_f64 v[56:57], v[9:10], v[64:65]
	s_waitcnt vmcnt(56)
	v_fma_f64 v[60:61], v[11:12], v[68:69], -v[59:60]
	;; [unrolled: 28-line block ×4, first 2 shown]
	v_mul_f64 v[70:71], v[1:2], v[82:83]
	buffer_load_dword v77, off, s[0:3], 0 offset:724
	v_add_f64 v[15:16], v[15:16], v[66:67]
	v_fma_f64 v[66:67], v[9:10], v[87:88], v[183:184]
	v_add_f64 v[17:18], v[17:18], v[60:61]
	ds_read_b128 v[7:10], v31 offset:1232
	s_waitcnt vmcnt(53) lgkmcnt(1)
	v_mul_f64 v[60:61], v[11:12], v[78:79]
	v_mul_f64 v[78:79], v[13:14], v[78:79]
	s_waitcnt vmcnt(52)
	v_fma_f64 v[74:75], v[1:2], v[84:85], -v[74:75]
	v_fma_f64 v[70:71], v[3:4], v[84:85], v[70:71]
	ds_read_b128 v[1:4], v31 offset:1248
	v_add_f64 v[15:16], v[15:16], v[80:81]
	v_add_f64 v[17:18], v[17:18], v[66:67]
	s_waitcnt vmcnt(51) lgkmcnt(1)
	v_mul_f64 v[80:81], v[9:10], v[91:92]
	v_mul_f64 v[66:67], v[7:8], v[91:92]
	s_waitcnt vmcnt(49)
	v_fma_f64 v[78:79], v[11:12], v[25:26], -v[78:79]
	v_fma_f64 v[25:26], v[13:14], v[25:26], v[60:61]
	v_add_f64 v[15:16], v[15:16], v[74:75]
	v_add_f64 v[17:18], v[17:18], v[70:71]
	s_clause 0x3
	buffer_load_dword v60, off, s[0:3], 0 offset:224
	buffer_load_dword v61, off, s[0:3], 0 offset:228
	;; [unrolled: 1-line block ×4, first 2 shown]
	ds_read_b128 v[11:14], v31 offset:1264
	s_waitcnt vmcnt(49) lgkmcnt(1)
	v_mul_f64 v[74:75], v[1:2], v[29:30]
	v_mul_f64 v[29:30], v[3:4], v[29:30]
	s_waitcnt vmcnt(48)
	v_fma_f64 v[80:81], v[7:8], v[181:182], -v[80:81]
	v_fma_f64 v[66:67], v[9:10], v[181:182], v[66:67]
	ds_read_b128 v[7:10], v31 offset:1280
	v_add_f64 v[15:16], v[15:16], v[78:79]
	v_add_f64 v[17:18], v[17:18], v[25:26]
	s_waitcnt vmcnt(47) lgkmcnt(1)
	v_mul_f64 v[25:26], v[11:12], v[36:37]
	v_mul_f64 v[36:37], v[13:14], v[36:37]
	s_waitcnt vmcnt(45)
	v_fma_f64 v[29:30], v[1:2], v[23:24], -v[29:30]
	v_fma_f64 v[23:24], v[3:4], v[23:24], v[74:75]
	ds_read_b128 v[1:4], v31 offset:1296
	v_add_f64 v[15:16], v[15:16], v[80:81]
	v_add_f64 v[17:18], v[17:18], v[66:67]
	s_waitcnt vmcnt(41) lgkmcnt(1)
	v_mul_f64 v[66:67], v[7:8], v[38:39]
	v_mul_f64 v[38:39], v[9:10], v[38:39]
	s_waitcnt vmcnt(40)
	v_fma_f64 v[25:26], v[13:14], v[89:90], v[25:26]
	v_fma_f64 v[36:37], v[11:12], v[89:90], -v[36:37]
	ds_read_b128 v[11:14], v31 offset:1312
	v_add_f64 v[15:16], v[15:16], v[29:30]
	v_add_f64 v[17:18], v[17:18], v[23:24]
	s_waitcnt vmcnt(39) lgkmcnt(1)
	v_mul_f64 v[29:30], v[3:4], v[40:41]
	v_mul_f64 v[23:24], v[1:2], v[40:41]
	s_waitcnt vmcnt(37)
	v_fma_f64 v[38:39], v[7:8], v[21:22], -v[38:39]
	v_fma_f64 v[21:22], v[9:10], v[21:22], v[66:67]
	ds_read_b128 v[7:10], v31 offset:1328
	v_add_f64 v[15:16], v[15:16], v[36:37]
	v_add_f64 v[17:18], v[17:18], v[25:26]
	s_waitcnt vmcnt(33) lgkmcnt(1)
	v_mul_f64 v[25:26], v[11:12], v[19:20]
	v_mul_f64 v[19:20], v[13:14], v[19:20]
	s_waitcnt vmcnt(32)
	v_fma_f64 v[29:30], v[1:2], v[42:43], -v[29:30]
	v_fma_f64 v[23:24], v[3:4], v[42:43], v[23:24]
	;; [unrolled: 9-line block ×3, first 2 shown]
	ds_read_b128 v[11:14], v31 offset:1360
	v_add_f64 v[15:16], v[15:16], v[29:30]
	v_add_f64 v[17:18], v[17:18], v[23:24]
	s_waitcnt vmcnt(25) lgkmcnt(1)
	v_mul_f64 v[23:24], v[1:2], v[27:28]
	v_mul_f64 v[27:28], v[3:4], v[27:28]
	s_waitcnt vmcnt(24)
	v_fma_f64 v[29:30], v[7:8], v[50:51], -v[36:37]
	v_add_f64 v[15:16], v[15:16], v[19:20]
	v_fma_f64 v[19:20], v[9:10], v[50:51], v[21:22]
	v_add_f64 v[17:18], v[17:18], v[25:26]
	ds_read_b128 v[7:10], v31 offset:1376
	s_waitcnt vmcnt(23) lgkmcnt(1)
	v_mul_f64 v[25:26], v[13:14], v[54:55]
	v_mul_f64 v[21:22], v[11:12], v[54:55]
	s_waitcnt vmcnt(21)
	v_fma_f64 v[27:28], v[1:2], v[32:33], -v[27:28]
	v_fma_f64 v[23:24], v[3:4], v[32:33], v[23:24]
	ds_read_b128 v[1:4], v31 offset:1392
	v_add_f64 v[15:16], v[15:16], v[29:30]
	v_add_f64 v[17:18], v[17:18], v[19:20]
	s_waitcnt vmcnt(17) lgkmcnt(1)
	v_mul_f64 v[29:30], v[9:10], v[44:45]
	s_waitcnt vmcnt(16)
	v_fma_f64 v[25:26], v[11:12], v[58:59], -v[25:26]
	v_mul_f64 v[19:20], v[7:8], v[44:45]
	v_fma_f64 v[21:22], v[13:14], v[58:59], v[21:22]
	ds_read_b128 v[11:14], v31 offset:1408
	v_add_f64 v[15:16], v[15:16], v[27:28]
	v_add_f64 v[17:18], v[17:18], v[23:24]
	s_waitcnt vmcnt(15) lgkmcnt(1)
	v_mul_f64 v[27:28], v[3:4], v[64:65]
	v_mul_f64 v[23:24], v[1:2], v[64:65]
	s_waitcnt vmcnt(13)
	v_fma_f64 v[29:30], v[7:8], v[48:49], -v[29:30]
	v_fma_f64 v[19:20], v[9:10], v[48:49], v[19:20]
	ds_read_b128 v[7:10], v31 offset:1424
	v_add_f64 v[15:16], v[15:16], v[25:26]
	v_add_f64 v[17:18], v[17:18], v[21:22]
	s_waitcnt vmcnt(9) lgkmcnt(1)
	v_mul_f64 v[25:26], v[13:14], v[52:53]
	s_waitcnt vmcnt(8)
	v_fma_f64 v[1:2], v[1:2], v[68:69], -v[27:28]
	v_mul_f64 v[21:22], v[11:12], v[52:53]
	v_fma_f64 v[3:4], v[3:4], v[68:69], v[23:24]
	v_add_f64 v[15:16], v[15:16], v[29:30]
	v_add_f64 v[17:18], v[17:18], v[19:20]
	s_waitcnt vmcnt(7) lgkmcnt(0)
	v_mul_f64 v[23:24], v[9:10], v[72:73]
	v_mul_f64 v[19:20], v[7:8], v[72:73]
	s_waitcnt vmcnt(5)
	v_fma_f64 v[11:12], v[11:12], v[56:57], -v[25:26]
	v_fma_f64 v[13:14], v[13:14], v[56:57], v[21:22]
	v_add_f64 v[1:2], v[15:16], v[1:2]
	v_add_f64 v[3:4], v[17:18], v[3:4]
	s_waitcnt vmcnt(4)
	v_fma_f64 v[7:8], v[7:8], v[76:77], -v[23:24]
	v_fma_f64 v[9:10], v[9:10], v[76:77], v[19:20]
	v_add_f64 v[1:2], v[1:2], v[11:12]
	v_add_f64 v[3:4], v[3:4], v[13:14]
	;; [unrolled: 1-line block ×4, first 2 shown]
	s_waitcnt vmcnt(2)
	v_add_f64 v[1:2], v[60:61], -v[1:2]
	s_waitcnt vmcnt(0)
	v_add_f64 v[3:4], v[70:71], -v[3:4]
	buffer_store_dword v2, off, s[0:3], 0 offset:228
	buffer_store_dword v1, off, s[0:3], 0 offset:224
	;; [unrolled: 1-line block ×4, first 2 shown]
	v_cmpx_lt_u32_e32 12, v0
	s_cbranch_execz .LBB44_259
; %bb.258:
	v_mov_b32_e32 v4, s55
	s_clause 0x3
	buffer_load_dword v1, v4, s[0:3], 0 offen
	buffer_load_dword v2, v4, s[0:3], 0 offen offset:4
	buffer_load_dword v3, v4, s[0:3], 0 offen offset:8
	;; [unrolled: 1-line block ×3, first 2 shown]
	buffer_store_dword v31, off, s[0:3], 0 offset:208
	buffer_store_dword v31, off, s[0:3], 0 offset:212
	;; [unrolled: 1-line block ×4, first 2 shown]
	s_waitcnt vmcnt(0)
	ds_write_b128 v63, v[1:4]
.LBB44_259:
	s_or_b32 exec_lo, exec_lo, s4
	s_waitcnt lgkmcnt(0)
	s_waitcnt_vscnt null, 0x0
	s_barrier
	buffer_gl0_inv
	s_clause 0x37
	buffer_load_dword v11, off, s[0:3], 0 offset:232
	buffer_load_dword v12, off, s[0:3], 0 offset:236
	;; [unrolled: 1-line block ×56, first 2 shown]
	ds_read_b128 v[32:35], v31 offset:928
	s_clause 0x2
	buffer_load_dword v73, off, s[0:3], 0 offset:460
	buffer_load_dword v77, off, s[0:3], 0 offset:436
	;; [unrolled: 1-line block ×3, first 2 shown]
	ds_read_b128 v[36:39], v31 offset:944
	s_clause 0x4
	buffer_load_dword v81, off, s[0:3], 0 offset:476
	buffer_load_dword v82, off, s[0:3], 0 offset:488
	;; [unrolled: 1-line block ×5, first 2 shown]
	ds_read_b128 v[40:43], v31 offset:960
	s_clause 0x2
	buffer_load_dword v83, off, s[0:3], 0 offset:492
	buffer_load_dword v88, off, s[0:3], 0 offset:468
	;; [unrolled: 1-line block ×3, first 2 shown]
	s_mov_b32 s4, exec_lo
	s_waitcnt vmcnt(62) lgkmcnt(2)
	v_mul_f64 v[78:79], v[34:35], v[11:12]
	v_mul_f64 v[11:12], v[32:33], v[11:12]
	s_waitcnt lgkmcnt(1)
	v_mul_f64 v[85:86], v[38:39], v[7:8]
	s_waitcnt vmcnt(59) lgkmcnt(0)
	v_mul_f64 v[89:90], v[42:43], v[3:4]
	v_fma_f64 v[32:33], v[32:33], v[9:10], -v[78:79]
	v_mul_f64 v[78:79], v[36:37], v[7:8]
	v_fma_f64 v[11:12], v[34:35], v[9:10], v[11:12]
	s_waitcnt vmcnt(57)
	v_fma_f64 v[36:37], v[36:37], v[1:2], -v[85:86]
	ds_read_b128 v[7:10], v31 offset:976
	v_mul_f64 v[34:35], v[40:41], v[3:4]
	s_waitcnt vmcnt(51)
	v_fma_f64 v[40:41], v[40:41], v[27:28], -v[89:90]
	v_add_f64 v[32:33], v[32:33], 0
	v_fma_f64 v[38:39], v[38:39], v[1:2], v[78:79]
	v_add_f64 v[11:12], v[11:12], 0
	s_clause 0x4
	buffer_load_dword v79, off, s[0:3], 0 offset:508
	buffer_load_dword v91, off, s[0:3], 0 offset:520
	;; [unrolled: 1-line block ×5, first 2 shown]
	s_waitcnt lgkmcnt(0)
	v_mul_f64 v[182:183], v[7:8], v[15:16]
	v_mul_f64 v[15:16], v[9:10], v[15:16]
	ds_read_b128 v[1:4], v31 offset:992
	v_fma_f64 v[27:28], v[42:43], v[27:28], v[34:35]
	v_add_f64 v[36:37], v[32:33], v[36:37]
	v_add_f64 v[11:12], v[11:12], v[38:39]
	s_clause 0x2
	buffer_load_dword v92, off, s[0:3], 0 offset:524
	buffer_load_dword v39, off, s[0:3], 0 offset:500
	;; [unrolled: 1-line block ×3, first 2 shown]
	s_waitcnt vmcnt(58) lgkmcnt(0)
	v_mul_f64 v[42:43], v[1:2], v[19:20]
	v_mul_f64 v[19:20], v[3:4], v[19:20]
	s_waitcnt vmcnt(56)
	v_fma_f64 v[15:16], v[7:8], v[21:22], -v[15:16]
	ds_read_b128 v[32:35], v31 offset:1008
	v_fma_f64 v[21:22], v[9:10], v[21:22], v[182:183]
	v_add_f64 v[36:37], v[36:37], v[40:41]
	v_add_f64 v[11:12], v[11:12], v[27:28]
	s_clause 0x4
	buffer_load_dword v28, off, s[0:3], 0 offset:540
	buffer_load_dword v40, off, s[0:3], 0 offset:552
	;; [unrolled: 1-line block ×5, first 2 shown]
	ds_read_b128 v[7:10], v31 offset:1024
	s_waitcnt vmcnt(57) lgkmcnt(1)
	v_mul_f64 v[183:184], v[32:33], v[23:24]
	v_mul_f64 v[23:24], v[34:35], v[23:24]
	s_waitcnt vmcnt(56)
	v_fma_f64 v[19:20], v[1:2], v[13:14], -v[19:20]
	v_fma_f64 v[13:14], v[3:4], v[13:14], v[42:43]
	v_add_f64 v[15:16], v[36:37], v[15:16]
	v_add_f64 v[11:12], v[11:12], v[21:22]
	s_clause 0x2
	buffer_load_dword v41, off, s[0:3], 0 offset:556
	buffer_load_dword v22, off, s[0:3], 0 offset:532
	;; [unrolled: 1-line block ×3, first 2 shown]
	s_waitcnt vmcnt(58) lgkmcnt(0)
	v_mul_f64 v[36:37], v[7:8], v[29:30]
	v_mul_f64 v[29:30], v[9:10], v[29:30]
	s_waitcnt vmcnt(56)
	v_fma_f64 v[23:24], v[32:33], v[44:45], -v[23:24]
	ds_read_b128 v[1:4], v31 offset:1040
	v_add_f64 v[15:16], v[15:16], v[19:20]
	v_fma_f64 v[19:20], v[34:35], v[44:45], v[183:184]
	v_add_f64 v[32:33], v[11:12], v[13:14]
	s_clause 0x4
	buffer_load_dword v35, off, s[0:3], 0 offset:572
	buffer_load_dword v42, off, s[0:3], 0 offset:584
	;; [unrolled: 1-line block ×5, first 2 shown]
	ds_read_b128 v[11:14], v31 offset:1056
	s_waitcnt vmcnt(57) lgkmcnt(1)
	v_mul_f64 v[183:184], v[1:2], v[46:47]
	v_mul_f64 v[45:46], v[3:4], v[46:47]
	s_waitcnt vmcnt(56)
	v_fma_f64 v[29:30], v[7:8], v[17:18], -v[29:30]
	v_fma_f64 v[17:18], v[9:10], v[17:18], v[36:37]
	v_add_f64 v[15:16], v[15:16], v[23:24]
	s_clause 0x2
	buffer_load_dword v43, off, s[0:3], 0 offset:588
	buffer_load_dword v24, off, s[0:3], 0 offset:564
	;; [unrolled: 1-line block ×3, first 2 shown]
	v_add_f64 v[19:20], v[32:33], v[19:20]
	s_waitcnt vmcnt(58) lgkmcnt(0)
	v_mul_f64 v[36:37], v[13:14], v[48:49]
	ds_read_b128 v[7:10], v31 offset:1072
	v_mul_f64 v[32:33], v[11:12], v[48:49]
	s_waitcnt vmcnt(56)
	v_fma_f64 v[46:47], v[1:2], v[50:51], -v[45:46]
	v_add_f64 v[15:16], v[15:16], v[29:30]
	v_fma_f64 v[29:30], v[3:4], v[50:51], v[183:184]
	v_add_f64 v[17:18], v[19:20], v[17:18]
	s_clause 0x4
	buffer_load_dword v20, off, s[0:3], 0 offset:604
	buffer_load_dword v48, off, s[0:3], 0 offset:616
	buffer_load_dword v50, off, s[0:3], 0 offset:608
	buffer_load_dword v19, off, s[0:3], 0 offset:600
	buffer_load_dword v45, off, s[0:3], 0 offset:580
	s_waitcnt vmcnt(57) lgkmcnt(0)
	v_mul_f64 v[183:184], v[7:8], v[52:53]
	v_mul_f64 v[51:52], v[9:10], v[52:53]
	s_waitcnt vmcnt(56)
	v_fma_f64 v[36:37], v[11:12], v[25:26], -v[36:37]
	ds_read_b128 v[1:4], v31 offset:1088
	v_fma_f64 v[25:26], v[13:14], v[25:26], v[32:33]
	v_add_f64 v[15:16], v[15:16], v[46:47]
	v_add_f64 v[17:18], v[17:18], v[29:30]
	s_clause 0x2
	buffer_load_dword v49, off, s[0:3], 0 offset:620
	buffer_load_dword v30, off, s[0:3], 0 offset:596
	buffer_load_dword v29, off, s[0:3], 0 offset:592
	ds_read_b128 v[11:14], v31 offset:1104
	s_waitcnt vmcnt(58) lgkmcnt(1)
	v_mul_f64 v[46:47], v[3:4], v[54:55]
	s_waitcnt vmcnt(56)
	v_fma_f64 v[52:53], v[7:8], v[58:59], -v[51:52]
	v_mul_f64 v[32:33], v[1:2], v[54:55]
	v_add_f64 v[15:16], v[15:16], v[36:37]
	v_fma_f64 v[36:37], v[9:10], v[58:59], v[183:184]
	v_add_f64 v[17:18], v[17:18], v[25:26]
	s_clause 0x4
	buffer_load_dword v26, off, s[0:3], 0 offset:636
	buffer_load_dword v54, off, s[0:3], 0 offset:648
	buffer_load_dword v58, off, s[0:3], 0 offset:640
	buffer_load_dword v25, off, s[0:3], 0 offset:632
	buffer_load_dword v51, off, s[0:3], 0 offset:612
	s_waitcnt vmcnt(57) lgkmcnt(0)
	v_mul_f64 v[183:184], v[11:12], v[60:61]
	v_mul_f64 v[59:60], v[13:14], v[60:61]
	s_waitcnt vmcnt(56)
	v_fma_f64 v[46:47], v[1:2], v[56:57], -v[46:47]
	ds_read_b128 v[7:10], v31 offset:1120
	v_fma_f64 v[32:33], v[3:4], v[56:57], v[32:33]
	v_add_f64 v[15:16], v[15:16], v[52:53]
	v_add_f64 v[17:18], v[17:18], v[36:37]
	s_clause 0x2
	buffer_load_dword v55, off, s[0:3], 0 offset:652
	buffer_load_dword v37, off, s[0:3], 0 offset:628
	buffer_load_dword v36, off, s[0:3], 0 offset:624
	ds_read_b128 v[1:4], v31 offset:1136
	s_waitcnt vmcnt(58) lgkmcnt(1)
	v_mul_f64 v[56:57], v[9:10], v[64:65]
	s_waitcnt vmcnt(56)
	v_fma_f64 v[60:61], v[11:12], v[68:69], -v[59:60]
	v_mul_f64 v[52:53], v[7:8], v[64:65]
	;; [unrolled: 28-line block ×4, first 2 shown]
	v_add_f64 v[15:16], v[15:16], v[66:67]
	v_fma_f64 v[66:67], v[9:10], v[87:88], v[183:184]
	v_add_f64 v[17:18], v[17:18], v[60:61]
	s_clause 0x2
	buffer_load_dword v61, off, s[0:3], 0 offset:732
	buffer_load_dword v60, off, s[0:3], 0 offset:728
	;; [unrolled: 1-line block ×3, first 2 shown]
	ds_read_b128 v[7:10], v31 offset:1216
	s_waitcnt vmcnt(55) lgkmcnt(1)
	v_mul_f64 v[82:83], v[11:12], v[78:79]
	v_mul_f64 v[78:79], v[13:14], v[78:79]
	s_waitcnt vmcnt(54)
	v_fma_f64 v[74:75], v[1:2], v[84:85], -v[74:75]
	v_fma_f64 v[70:71], v[3:4], v[84:85], v[70:71]
	v_add_f64 v[15:16], v[15:16], v[80:81]
	v_add_f64 v[17:18], v[17:18], v[66:67]
	s_clause 0x1
	buffer_load_dword v67, off, s[0:3], 0 offset:724
	buffer_load_dword v66, off, s[0:3], 0 offset:720
	ds_read_b128 v[1:4], v31 offset:1232
	s_waitcnt vmcnt(55) lgkmcnt(1)
	v_mul_f64 v[84:85], v[9:10], v[91:92]
	v_mul_f64 v[80:81], v[7:8], v[91:92]
	s_waitcnt vmcnt(53)
	v_fma_f64 v[78:79], v[11:12], v[38:39], -v[78:79]
	v_fma_f64 v[38:39], v[13:14], v[38:39], v[82:83]
	ds_read_b128 v[11:14], v31 offset:1248
	v_add_f64 v[15:16], v[15:16], v[74:75]
	v_add_f64 v[17:18], v[17:18], v[70:71]
	s_waitcnt vmcnt(49) lgkmcnt(1)
	v_mul_f64 v[70:71], v[1:2], v[27:28]
	v_mul_f64 v[27:28], v[3:4], v[27:28]
	s_waitcnt vmcnt(48)
	v_fma_f64 v[74:75], v[7:8], v[181:182], -v[84:85]
	v_add_f64 v[15:16], v[15:16], v[78:79]
	v_fma_f64 v[78:79], v[9:10], v[181:182], v[80:81]
	v_add_f64 v[17:18], v[17:18], v[38:39]
	s_clause 0x3
	buffer_load_dword v38, off, s[0:3], 0 offset:208
	buffer_load_dword v39, off, s[0:3], 0 offset:212
	;; [unrolled: 1-line block ×4, first 2 shown]
	ds_read_b128 v[7:10], v31 offset:1264
	s_waitcnt vmcnt(51) lgkmcnt(1)
	v_mul_f64 v[82:83], v[11:12], v[40:41]
	v_mul_f64 v[40:41], v[13:14], v[40:41]
	s_waitcnt vmcnt(49)
	v_fma_f64 v[27:28], v[1:2], v[21:22], -v[27:28]
	v_fma_f64 v[21:22], v[3:4], v[21:22], v[70:71]
	ds_read_b128 v[1:4], v31 offset:1280
	v_add_f64 v[15:16], v[15:16], v[74:75]
	v_add_f64 v[17:18], v[17:18], v[78:79]
	s_waitcnt vmcnt(45) lgkmcnt(1)
	v_mul_f64 v[70:71], v[7:8], v[34:35]
	v_mul_f64 v[34:35], v[9:10], v[34:35]
	s_waitcnt vmcnt(44)
	v_fma_f64 v[40:41], v[11:12], v[89:90], -v[40:41]
	v_add_f64 v[15:16], v[15:16], v[27:28]
	v_fma_f64 v[27:28], v[13:14], v[89:90], v[82:83]
	v_add_f64 v[17:18], v[17:18], v[21:22]
	ds_read_b128 v[11:14], v31 offset:1296
	s_waitcnt vmcnt(43) lgkmcnt(1)
	v_mul_f64 v[21:22], v[1:2], v[42:43]
	v_mul_f64 v[42:43], v[3:4], v[42:43]
	s_waitcnt vmcnt(41)
	v_fma_f64 v[34:35], v[7:8], v[23:24], -v[34:35]
	v_fma_f64 v[23:24], v[9:10], v[23:24], v[70:71]
	ds_read_b128 v[7:10], v31 offset:1312
	v_add_f64 v[15:16], v[15:16], v[40:41]
	v_add_f64 v[17:18], v[17:18], v[27:28]
	s_waitcnt vmcnt(37) lgkmcnt(1)
	v_mul_f64 v[27:28], v[11:12], v[19:20]
	v_mul_f64 v[19:20], v[13:14], v[19:20]
	s_waitcnt vmcnt(36)
	v_fma_f64 v[40:41], v[1:2], v[44:45], -v[42:43]
	v_fma_f64 v[21:22], v[3:4], v[44:45], v[21:22]
	ds_read_b128 v[1:4], v31 offset:1328
	v_add_f64 v[15:16], v[15:16], v[34:35]
	v_add_f64 v[17:18], v[17:18], v[23:24]
	;; [unrolled: 9-line block ×3, first 2 shown]
	s_waitcnt vmcnt(29) lgkmcnt(1)
	v_mul_f64 v[21:22], v[1:2], v[25:26]
	v_mul_f64 v[25:26], v[3:4], v[25:26]
	s_waitcnt vmcnt(28)
	v_fma_f64 v[29:30], v[7:8], v[50:51], -v[34:35]
	v_add_f64 v[15:16], v[15:16], v[19:20]
	v_fma_f64 v[19:20], v[9:10], v[50:51], v[23:24]
	v_add_f64 v[17:18], v[17:18], v[27:28]
	ds_read_b128 v[7:10], v31 offset:1360
	s_waitcnt vmcnt(27) lgkmcnt(1)
	v_mul_f64 v[27:28], v[13:14], v[54:55]
	v_mul_f64 v[23:24], v[11:12], v[54:55]
	s_waitcnt vmcnt(25)
	v_fma_f64 v[25:26], v[1:2], v[36:37], -v[25:26]
	v_fma_f64 v[21:22], v[3:4], v[36:37], v[21:22]
	ds_read_b128 v[1:4], v31 offset:1376
	v_add_f64 v[15:16], v[15:16], v[29:30]
	v_add_f64 v[17:18], v[17:18], v[19:20]
	s_waitcnt vmcnt(21) lgkmcnt(1)
	v_mul_f64 v[29:30], v[9:10], v[32:33]
	s_waitcnt vmcnt(20)
	v_fma_f64 v[27:28], v[11:12], v[58:59], -v[27:28]
	v_mul_f64 v[19:20], v[7:8], v[32:33]
	v_fma_f64 v[23:24], v[13:14], v[58:59], v[23:24]
	ds_read_b128 v[11:14], v31 offset:1392
	v_add_f64 v[15:16], v[15:16], v[25:26]
	v_add_f64 v[17:18], v[17:18], v[21:22]
	s_waitcnt vmcnt(19) lgkmcnt(1)
	v_mul_f64 v[25:26], v[3:4], v[64:65]
	v_mul_f64 v[21:22], v[1:2], v[64:65]
	s_waitcnt vmcnt(17)
	v_fma_f64 v[29:30], v[7:8], v[46:47], -v[29:30]
	v_fma_f64 v[19:20], v[9:10], v[46:47], v[19:20]
	ds_read_b128 v[7:10], v31 offset:1408
	v_add_f64 v[15:16], v[15:16], v[27:28]
	v_add_f64 v[17:18], v[17:18], v[23:24]
	s_waitcnt vmcnt(13) lgkmcnt(1)
	v_mul_f64 v[27:28], v[13:14], v[52:53]
	s_waitcnt vmcnt(12)
	v_fma_f64 v[25:26], v[1:2], v[68:69], -v[25:26]
	v_mul_f64 v[23:24], v[11:12], v[52:53]
	v_fma_f64 v[21:22], v[3:4], v[68:69], v[21:22]
	ds_read_b128 v[1:4], v31 offset:1424
	v_add_f64 v[15:16], v[15:16], v[29:30]
	v_add_f64 v[17:18], v[17:18], v[19:20]
	s_waitcnt vmcnt(11) lgkmcnt(1)
	v_mul_f64 v[29:30], v[9:10], v[72:73]
	v_mul_f64 v[19:20], v[7:8], v[72:73]
	s_waitcnt vmcnt(9)
	v_fma_f64 v[11:12], v[11:12], v[56:57], -v[27:28]
	v_fma_f64 v[13:14], v[13:14], v[56:57], v[23:24]
	v_add_f64 v[15:16], v[15:16], v[25:26]
	v_add_f64 v[17:18], v[17:18], v[21:22]
	s_waitcnt vmcnt(7) lgkmcnt(0)
	v_mul_f64 v[23:24], v[3:4], v[60:61]
	s_waitcnt vmcnt(6)
	v_fma_f64 v[7:8], v[7:8], v[76:77], -v[29:30]
	v_mul_f64 v[21:22], v[1:2], v[60:61]
	v_fma_f64 v[9:10], v[9:10], v[76:77], v[19:20]
	v_add_f64 v[11:12], v[15:16], v[11:12]
	v_add_f64 v[13:14], v[17:18], v[13:14]
	s_waitcnt vmcnt(4)
	v_fma_f64 v[1:2], v[1:2], v[66:67], -v[23:24]
	v_fma_f64 v[3:4], v[3:4], v[66:67], v[21:22]
	v_add_f64 v[7:8], v[11:12], v[7:8]
	v_add_f64 v[9:10], v[13:14], v[9:10]
	;; [unrolled: 1-line block ×4, first 2 shown]
	s_waitcnt vmcnt(2)
	v_add_f64 v[1:2], v[38:39], -v[1:2]
	s_waitcnt vmcnt(0)
	v_add_f64 v[3:4], v[80:81], -v[3:4]
	buffer_store_dword v2, off, s[0:3], 0 offset:212
	buffer_store_dword v1, off, s[0:3], 0 offset:208
	;; [unrolled: 1-line block ×4, first 2 shown]
	v_cmpx_lt_u32_e32 11, v0
	s_cbranch_execz .LBB44_261
; %bb.260:
	v_mov_b32_e32 v4, s35
	v_mov_b32_e32 v7, 0
	s_clause 0x3
	buffer_load_dword v1, v4, s[0:3], 0 offen
	buffer_load_dword v2, v4, s[0:3], 0 offen offset:4
	buffer_load_dword v3, v4, s[0:3], 0 offen offset:8
	;; [unrolled: 1-line block ×3, first 2 shown]
	buffer_store_dword v7, off, s[0:3], 0 offset:192
	buffer_store_dword v7, off, s[0:3], 0 offset:196
	;; [unrolled: 1-line block ×4, first 2 shown]
	s_waitcnt vmcnt(0)
	ds_write_b128 v63, v[1:4]
.LBB44_261:
	s_or_b32 exec_lo, exec_lo, s4
	s_waitcnt lgkmcnt(0)
	s_waitcnt_vscnt null, 0x0
	s_barrier
	buffer_gl0_inv
	s_clause 0x37
	buffer_load_dword v11, off, s[0:3], 0 offset:216
	buffer_load_dword v12, off, s[0:3], 0 offset:220
	;; [unrolled: 1-line block ×56, first 2 shown]
	v_mov_b32_e32 v53, 0
	s_mov_b32 s4, exec_lo
	ds_read_b128 v[41:44], v53 offset:912
	s_clause 0x2
	buffer_load_dword v73, off, s[0:3], 0 offset:444
	buffer_load_dword v77, off, s[0:3], 0 offset:420
	;; [unrolled: 1-line block ×3, first 2 shown]
	ds_read_b128 v[45:48], v53 offset:928
	s_clause 0x4
	buffer_load_dword v81, off, s[0:3], 0 offset:460
	buffer_load_dword v82, off, s[0:3], 0 offset:472
	;; [unrolled: 1-line block ×5, first 2 shown]
	ds_read_b128 v[49:52], v53 offset:944
	s_clause 0x2
	buffer_load_dword v83, off, s[0:3], 0 offset:476
	buffer_load_dword v88, off, s[0:3], 0 offset:452
	;; [unrolled: 1-line block ×3, first 2 shown]
	s_waitcnt vmcnt(62) lgkmcnt(2)
	v_mul_f64 v[78:79], v[43:44], v[11:12]
	v_mul_f64 v[11:12], v[41:42], v[11:12]
	s_waitcnt lgkmcnt(1)
	v_mul_f64 v[85:86], v[47:48], v[7:8]
	s_waitcnt vmcnt(59) lgkmcnt(0)
	v_mul_f64 v[89:90], v[51:52], v[3:4]
	v_fma_f64 v[41:42], v[41:42], v[9:10], -v[78:79]
	v_mul_f64 v[78:79], v[45:46], v[7:8]
	v_fma_f64 v[11:12], v[43:44], v[9:10], v[11:12]
	s_waitcnt vmcnt(57)
	v_fma_f64 v[45:46], v[45:46], v[1:2], -v[85:86]
	ds_read_b128 v[7:10], v53 offset:960
	v_mul_f64 v[43:44], v[49:50], v[3:4]
	s_waitcnt vmcnt(51)
	v_fma_f64 v[49:50], v[49:50], v[27:28], -v[89:90]
	v_add_f64 v[41:42], v[41:42], 0
	v_fma_f64 v[47:48], v[47:48], v[1:2], v[78:79]
	v_add_f64 v[11:12], v[11:12], 0
	s_clause 0x4
	buffer_load_dword v79, off, s[0:3], 0 offset:492
	buffer_load_dword v91, off, s[0:3], 0 offset:504
	;; [unrolled: 1-line block ×5, first 2 shown]
	s_waitcnt lgkmcnt(0)
	v_mul_f64 v[182:183], v[7:8], v[15:16]
	v_mul_f64 v[15:16], v[9:10], v[15:16]
	ds_read_b128 v[1:4], v53 offset:976
	v_fma_f64 v[27:28], v[51:52], v[27:28], v[43:44]
	v_add_f64 v[45:46], v[41:42], v[45:46]
	v_add_f64 v[11:12], v[11:12], v[47:48]
	s_clause 0x2
	buffer_load_dword v92, off, s[0:3], 0 offset:508
	buffer_load_dword v48, off, s[0:3], 0 offset:484
	;; [unrolled: 1-line block ×3, first 2 shown]
	s_waitcnt vmcnt(58) lgkmcnt(0)
	v_mul_f64 v[51:52], v[1:2], v[19:20]
	v_mul_f64 v[19:20], v[3:4], v[19:20]
	s_waitcnt vmcnt(56)
	v_fma_f64 v[15:16], v[7:8], v[21:22], -v[15:16]
	ds_read_b128 v[41:44], v53 offset:992
	v_fma_f64 v[21:22], v[9:10], v[21:22], v[182:183]
	v_add_f64 v[45:46], v[45:46], v[49:50]
	v_add_f64 v[11:12], v[11:12], v[27:28]
	s_clause 0x4
	buffer_load_dword v28, off, s[0:3], 0 offset:524
	buffer_load_dword v49, off, s[0:3], 0 offset:536
	;; [unrolled: 1-line block ×5, first 2 shown]
	ds_read_b128 v[7:10], v53 offset:1008
	s_waitcnt vmcnt(57) lgkmcnt(1)
	v_mul_f64 v[183:184], v[41:42], v[23:24]
	v_mul_f64 v[23:24], v[43:44], v[23:24]
	s_waitcnt vmcnt(56)
	v_fma_f64 v[19:20], v[1:2], v[13:14], -v[19:20]
	v_fma_f64 v[13:14], v[3:4], v[13:14], v[51:52]
	v_add_f64 v[15:16], v[45:46], v[15:16]
	v_add_f64 v[11:12], v[11:12], v[21:22]
	s_clause 0x2
	buffer_load_dword v50, off, s[0:3], 0 offset:540
	buffer_load_dword v22, off, s[0:3], 0 offset:516
	;; [unrolled: 1-line block ×3, first 2 shown]
	s_waitcnt vmcnt(58) lgkmcnt(0)
	v_mul_f64 v[45:46], v[7:8], v[29:30]
	v_mul_f64 v[29:30], v[9:10], v[29:30]
	s_waitcnt vmcnt(56)
	v_fma_f64 v[23:24], v[41:42], v[31:32], -v[23:24]
	ds_read_b128 v[1:4], v53 offset:1024
	v_add_f64 v[15:16], v[15:16], v[19:20]
	v_fma_f64 v[19:20], v[43:44], v[31:32], v[183:184]
	v_add_f64 v[31:32], v[11:12], v[13:14]
	s_clause 0x4
	buffer_load_dword v42, off, s[0:3], 0 offset:556
	buffer_load_dword v43, off, s[0:3], 0 offset:568
	;; [unrolled: 1-line block ×5, first 2 shown]
	ds_read_b128 v[11:14], v53 offset:1040
	s_waitcnt vmcnt(57) lgkmcnt(1)
	v_mul_f64 v[183:184], v[1:2], v[33:34]
	v_mul_f64 v[33:34], v[3:4], v[33:34]
	s_waitcnt vmcnt(56)
	v_fma_f64 v[29:30], v[7:8], v[17:18], -v[29:30]
	v_fma_f64 v[17:18], v[9:10], v[17:18], v[45:46]
	v_add_f64 v[15:16], v[15:16], v[23:24]
	s_clause 0x2
	buffer_load_dword v44, off, s[0:3], 0 offset:572
	buffer_load_dword v24, off, s[0:3], 0 offset:548
	;; [unrolled: 1-line block ×3, first 2 shown]
	v_add_f64 v[19:20], v[31:32], v[19:20]
	s_waitcnt vmcnt(58) lgkmcnt(0)
	v_mul_f64 v[31:32], v[11:12], v[37:38]
	v_mul_f64 v[37:38], v[13:14], v[37:38]
	ds_read_b128 v[7:10], v53 offset:1056
	s_waitcnt vmcnt(56)
	v_fma_f64 v[33:34], v[1:2], v[39:40], -v[33:34]
	v_add_f64 v[15:16], v[15:16], v[29:30]
	v_fma_f64 v[29:30], v[3:4], v[39:40], v[183:184]
	v_add_f64 v[17:18], v[19:20], v[17:18]
	s_clause 0x4
	buffer_load_dword v20, off, s[0:3], 0 offset:588
	buffer_load_dword v39, off, s[0:3], 0 offset:600
	;; [unrolled: 1-line block ×5, first 2 shown]
	s_waitcnt vmcnt(57) lgkmcnt(0)
	v_mul_f64 v[183:184], v[7:8], v[54:55]
	v_mul_f64 v[54:55], v[9:10], v[54:55]
	s_waitcnt vmcnt(56)
	v_fma_f64 v[37:38], v[11:12], v[25:26], -v[37:38]
	ds_read_b128 v[1:4], v53 offset:1072
	v_fma_f64 v[25:26], v[13:14], v[25:26], v[31:32]
	v_add_f64 v[15:16], v[15:16], v[33:34]
	v_add_f64 v[17:18], v[17:18], v[29:30]
	s_clause 0x2
	buffer_load_dword v40, off, s[0:3], 0 offset:604
	buffer_load_dword v30, off, s[0:3], 0 offset:580
	;; [unrolled: 1-line block ×3, first 2 shown]
	ds_read_b128 v[11:14], v53 offset:1088
	s_waitcnt vmcnt(58) lgkmcnt(1)
	v_mul_f64 v[33:34], v[3:4], v[56:57]
	s_waitcnt vmcnt(56)
	v_fma_f64 v[54:55], v[7:8], v[58:59], -v[54:55]
	v_mul_f64 v[31:32], v[1:2], v[56:57]
	v_add_f64 v[15:16], v[15:16], v[37:38]
	v_fma_f64 v[37:38], v[9:10], v[58:59], v[183:184]
	v_add_f64 v[17:18], v[17:18], v[25:26]
	s_clause 0x4
	buffer_load_dword v26, off, s[0:3], 0 offset:620
	buffer_load_dword v56, off, s[0:3], 0 offset:632
	;; [unrolled: 1-line block ×5, first 2 shown]
	s_waitcnt vmcnt(57) lgkmcnt(0)
	v_mul_f64 v[183:184], v[11:12], v[60:61]
	v_mul_f64 v[59:60], v[13:14], v[60:61]
	s_waitcnt vmcnt(56)
	v_fma_f64 v[33:34], v[1:2], v[35:36], -v[33:34]
	ds_read_b128 v[7:10], v53 offset:1104
	v_fma_f64 v[31:32], v[3:4], v[35:36], v[31:32]
	s_clause 0x2
	buffer_load_dword v57, off, s[0:3], 0 offset:636
	buffer_load_dword v36, off, s[0:3], 0 offset:612
	;; [unrolled: 1-line block ×3, first 2 shown]
	ds_read_b128 v[1:4], v53 offset:1120
	v_add_f64 v[15:16], v[15:16], v[54:55]
	v_add_f64 v[17:18], v[17:18], v[37:38]
	s_waitcnt vmcnt(58) lgkmcnt(1)
	v_mul_f64 v[54:55], v[9:10], v[64:65]
	s_waitcnt vmcnt(56)
	v_fma_f64 v[60:61], v[11:12], v[68:69], -v[59:60]
	v_mul_f64 v[37:38], v[7:8], v[64:65]
	v_add_f64 v[15:16], v[15:16], v[33:34]
	v_fma_f64 v[33:34], v[13:14], v[68:69], v[183:184]
	v_add_f64 v[17:18], v[17:18], v[31:32]
	s_clause 0x4
	buffer_load_dword v32, off, s[0:3], 0 offset:652
	buffer_load_dword v64, off, s[0:3], 0 offset:664
	;; [unrolled: 1-line block ×5, first 2 shown]
	s_waitcnt vmcnt(57) lgkmcnt(0)
	v_mul_f64 v[183:184], v[1:2], v[70:71]
	v_mul_f64 v[69:70], v[3:4], v[70:71]
	s_waitcnt vmcnt(56)
	v_fma_f64 v[54:55], v[7:8], v[66:67], -v[54:55]
	ds_read_b128 v[11:14], v53 offset:1136
	v_fma_f64 v[37:38], v[9:10], v[66:67], v[37:38]
	v_add_f64 v[15:16], v[15:16], v[60:61]
	v_add_f64 v[17:18], v[17:18], v[33:34]
	s_clause 0x2
	buffer_load_dword v65, off, s[0:3], 0 offset:668
	buffer_load_dword v34, off, s[0:3], 0 offset:644
	;; [unrolled: 1-line block ×3, first 2 shown]
	ds_read_b128 v[7:10], v53 offset:1152
	s_waitcnt vmcnt(58) lgkmcnt(1)
	v_mul_f64 v[66:67], v[13:14], v[72:73]
	s_waitcnt vmcnt(56)
	v_fma_f64 v[70:71], v[1:2], v[76:77], -v[69:70]
	v_mul_f64 v[60:61], v[11:12], v[72:73]
	v_add_f64 v[15:16], v[15:16], v[54:55]
	v_fma_f64 v[54:55], v[3:4], v[76:77], v[183:184]
	v_add_f64 v[17:18], v[17:18], v[37:38]
	s_clause 0x4
	buffer_load_dword v38, off, s[0:3], 0 offset:684
	buffer_load_dword v72, off, s[0:3], 0 offset:696
	;; [unrolled: 1-line block ×5, first 2 shown]
	s_waitcnt vmcnt(57) lgkmcnt(0)
	v_mul_f64 v[183:184], v[7:8], v[80:81]
	v_mul_f64 v[80:81], v[9:10], v[80:81]
	s_waitcnt vmcnt(56)
	v_fma_f64 v[66:67], v[11:12], v[74:75], -v[66:67]
	ds_read_b128 v[1:4], v53 offset:1168
	v_fma_f64 v[60:61], v[13:14], v[74:75], v[60:61]
	v_add_f64 v[15:16], v[15:16], v[70:71]
	v_add_f64 v[17:18], v[17:18], v[54:55]
	s_clause 0x2
	buffer_load_dword v73, off, s[0:3], 0 offset:700
	buffer_load_dword v55, off, s[0:3], 0 offset:676
	;; [unrolled: 1-line block ×3, first 2 shown]
	ds_read_b128 v[11:14], v53 offset:1184
	s_waitcnt vmcnt(58) lgkmcnt(1)
	v_mul_f64 v[74:75], v[3:4], v[82:83]
	s_waitcnt vmcnt(56)
	v_fma_f64 v[80:81], v[7:8], v[87:88], -v[80:81]
	v_mul_f64 v[70:71], v[1:2], v[82:83]
	v_add_f64 v[15:16], v[15:16], v[66:67]
	v_fma_f64 v[66:67], v[9:10], v[87:88], v[183:184]
	v_add_f64 v[17:18], v[17:18], v[60:61]
	s_clause 0x4
	buffer_load_dword v61, off, s[0:3], 0 offset:716
	buffer_load_dword v82, off, s[0:3], 0 offset:728
	;; [unrolled: 1-line block ×5, first 2 shown]
	ds_read_b128 v[7:10], v53 offset:1200
	s_waitcnt vmcnt(57) lgkmcnt(1)
	v_mul_f64 v[87:88], v[11:12], v[78:79]
	v_mul_f64 v[78:79], v[13:14], v[78:79]
	s_waitcnt vmcnt(56)
	v_fma_f64 v[74:75], v[1:2], v[84:85], -v[74:75]
	v_fma_f64 v[70:71], v[3:4], v[84:85], v[70:71]
	v_add_f64 v[15:16], v[15:16], v[80:81]
	v_add_f64 v[17:18], v[17:18], v[66:67]
	s_clause 0x2
	buffer_load_dword v83, off, s[0:3], 0 offset:732
	buffer_load_dword v67, off, s[0:3], 0 offset:708
	;; [unrolled: 1-line block ×3, first 2 shown]
	ds_read_b128 v[1:4], v53 offset:1216
	s_waitcnt vmcnt(58) lgkmcnt(1)
	v_mul_f64 v[84:85], v[9:10], v[91:92]
	v_mul_f64 v[80:81], v[7:8], v[91:92]
	s_waitcnt vmcnt(56)
	v_fma_f64 v[78:79], v[11:12], v[47:48], -v[78:79]
	v_fma_f64 v[47:48], v[13:14], v[47:48], v[87:88]
	buffer_load_dword v87, off, s[0:3], 0 offset:724
	ds_read_b128 v[11:14], v53 offset:1232
	v_add_f64 v[15:16], v[15:16], v[74:75]
	v_add_f64 v[17:18], v[17:18], v[70:71]
	s_waitcnt vmcnt(53) lgkmcnt(1)
	v_mul_f64 v[70:71], v[1:2], v[27:28]
	v_mul_f64 v[27:28], v[3:4], v[27:28]
	s_waitcnt vmcnt(52)
	v_fma_f64 v[74:75], v[7:8], v[181:182], -v[84:85]
	v_add_f64 v[15:16], v[15:16], v[78:79]
	v_fma_f64 v[78:79], v[9:10], v[181:182], v[80:81]
	v_add_f64 v[17:18], v[17:18], v[47:48]
	ds_read_b128 v[7:10], v53 offset:1248
	s_waitcnt vmcnt(51) lgkmcnt(1)
	v_mul_f64 v[47:48], v[11:12], v[49:50]
	v_mul_f64 v[49:50], v[13:14], v[49:50]
	s_waitcnt vmcnt(49)
	v_fma_f64 v[27:28], v[1:2], v[21:22], -v[27:28]
	v_fma_f64 v[21:22], v[3:4], v[21:22], v[70:71]
	v_add_f64 v[15:16], v[15:16], v[74:75]
	s_clause 0x3
	buffer_load_dword v70, off, s[0:3], 0 offset:192
	buffer_load_dword v71, off, s[0:3], 0 offset:196
	;; [unrolled: 1-line block ×4, first 2 shown]
	v_add_f64 v[17:18], v[17:18], v[78:79]
	ds_read_b128 v[1:4], v53 offset:1264
	s_waitcnt vmcnt(49) lgkmcnt(1)
	v_mul_f64 v[78:79], v[7:8], v[41:42]
	v_mul_f64 v[41:42], v[9:10], v[41:42]
	s_waitcnt vmcnt(48)
	v_fma_f64 v[49:50], v[11:12], v[89:90], -v[49:50]
	v_add_f64 v[15:16], v[15:16], v[27:28]
	v_fma_f64 v[27:28], v[13:14], v[89:90], v[47:48]
	v_add_f64 v[17:18], v[17:18], v[21:22]
	ds_read_b128 v[11:14], v53 offset:1280
	s_waitcnt vmcnt(47) lgkmcnt(1)
	v_mul_f64 v[21:22], v[1:2], v[43:44]
	v_mul_f64 v[43:44], v[3:4], v[43:44]
	s_waitcnt vmcnt(45)
	v_fma_f64 v[41:42], v[7:8], v[23:24], -v[41:42]
	v_fma_f64 v[23:24], v[9:10], v[23:24], v[78:79]
	ds_read_b128 v[7:10], v53 offset:1296
	v_add_f64 v[15:16], v[15:16], v[49:50]
	v_add_f64 v[17:18], v[17:18], v[27:28]
	s_waitcnt vmcnt(41) lgkmcnt(1)
	v_mul_f64 v[27:28], v[11:12], v[19:20]
	v_mul_f64 v[19:20], v[13:14], v[19:20]
	s_waitcnt vmcnt(40)
	v_fma_f64 v[43:44], v[1:2], v[51:52], -v[43:44]
	v_fma_f64 v[21:22], v[3:4], v[51:52], v[21:22]
	ds_read_b128 v[1:4], v53 offset:1312
	v_add_f64 v[15:16], v[15:16], v[41:42]
	v_add_f64 v[17:18], v[17:18], v[23:24]
	;; [unrolled: 9-line block ×3, first 2 shown]
	s_waitcnt vmcnt(33) lgkmcnt(1)
	v_mul_f64 v[21:22], v[1:2], v[25:26]
	v_mul_f64 v[25:26], v[3:4], v[25:26]
	s_waitcnt vmcnt(32)
	v_fma_f64 v[29:30], v[7:8], v[45:46], -v[39:40]
	v_add_f64 v[15:16], v[15:16], v[19:20]
	v_fma_f64 v[19:20], v[9:10], v[45:46], v[23:24]
	v_add_f64 v[17:18], v[17:18], v[27:28]
	ds_read_b128 v[7:10], v53 offset:1344
	s_waitcnt vmcnt(31) lgkmcnt(1)
	v_mul_f64 v[27:28], v[13:14], v[56:57]
	v_mul_f64 v[23:24], v[11:12], v[56:57]
	s_waitcnt vmcnt(29)
	v_fma_f64 v[21:22], v[3:4], v[35:36], v[21:22]
	v_fma_f64 v[25:26], v[1:2], v[35:36], -v[25:26]
	ds_read_b128 v[1:4], v53 offset:1360
	v_add_f64 v[15:16], v[15:16], v[29:30]
	v_add_f64 v[17:18], v[17:18], v[19:20]
	s_waitcnt vmcnt(25) lgkmcnt(1)
	v_mul_f64 v[29:30], v[9:10], v[31:32]
	s_waitcnt vmcnt(24)
	v_fma_f64 v[27:28], v[11:12], v[58:59], -v[27:28]
	v_mul_f64 v[19:20], v[7:8], v[31:32]
	v_fma_f64 v[23:24], v[13:14], v[58:59], v[23:24]
	ds_read_b128 v[11:14], v53 offset:1376
	v_add_f64 v[15:16], v[15:16], v[25:26]
	v_add_f64 v[17:18], v[17:18], v[21:22]
	s_waitcnt vmcnt(23) lgkmcnt(1)
	v_mul_f64 v[25:26], v[3:4], v[64:65]
	v_mul_f64 v[21:22], v[1:2], v[64:65]
	s_waitcnt vmcnt(21)
	v_fma_f64 v[29:30], v[7:8], v[33:34], -v[29:30]
	v_fma_f64 v[19:20], v[9:10], v[33:34], v[19:20]
	ds_read_b128 v[7:10], v53 offset:1392
	v_add_f64 v[15:16], v[15:16], v[27:28]
	v_add_f64 v[17:18], v[17:18], v[23:24]
	s_waitcnt vmcnt(17) lgkmcnt(1)
	v_mul_f64 v[27:28], v[13:14], v[37:38]
	s_waitcnt vmcnt(16)
	v_fma_f64 v[25:26], v[1:2], v[68:69], -v[25:26]
	v_mul_f64 v[23:24], v[11:12], v[37:38]
	v_fma_f64 v[21:22], v[3:4], v[68:69], v[21:22]
	ds_read_b128 v[1:4], v53 offset:1408
	v_add_f64 v[15:16], v[15:16], v[29:30]
	v_add_f64 v[17:18], v[17:18], v[19:20]
	s_waitcnt vmcnt(15) lgkmcnt(1)
	v_mul_f64 v[29:30], v[9:10], v[72:73]
	v_mul_f64 v[19:20], v[7:8], v[72:73]
	s_waitcnt vmcnt(13)
	v_fma_f64 v[27:28], v[11:12], v[54:55], -v[27:28]
	v_fma_f64 v[23:24], v[13:14], v[54:55], v[23:24]
	ds_read_b128 v[11:14], v53 offset:1424
	v_add_f64 v[15:16], v[15:16], v[25:26]
	v_add_f64 v[17:18], v[17:18], v[21:22]
	s_waitcnt vmcnt(9) lgkmcnt(1)
	v_mul_f64 v[25:26], v[3:4], v[60:61]
	s_waitcnt vmcnt(8)
	v_fma_f64 v[7:8], v[7:8], v[76:77], -v[29:30]
	v_mul_f64 v[21:22], v[1:2], v[60:61]
	v_fma_f64 v[9:10], v[9:10], v[76:77], v[19:20]
	v_add_f64 v[15:16], v[15:16], v[27:28]
	v_add_f64 v[17:18], v[17:18], v[23:24]
	s_waitcnt vmcnt(7) lgkmcnt(0)
	v_mul_f64 v[23:24], v[13:14], v[82:83]
	v_mul_f64 v[19:20], v[11:12], v[82:83]
	s_waitcnt vmcnt(5)
	v_fma_f64 v[1:2], v[1:2], v[66:67], -v[25:26]
	v_fma_f64 v[3:4], v[3:4], v[66:67], v[21:22]
	v_add_f64 v[7:8], v[15:16], v[7:8]
	v_add_f64 v[9:10], v[17:18], v[9:10]
	s_waitcnt vmcnt(4)
	v_fma_f64 v[11:12], v[11:12], v[86:87], -v[23:24]
	v_add_f64 v[1:2], v[7:8], v[1:2]
	v_fma_f64 v[7:8], v[13:14], v[86:87], v[19:20]
	v_add_f64 v[3:4], v[9:10], v[3:4]
	v_add_f64 v[1:2], v[1:2], v[11:12]
	;; [unrolled: 1-line block ×3, first 2 shown]
	s_waitcnt vmcnt(2)
	v_add_f64 v[1:2], v[70:71], -v[1:2]
	s_waitcnt vmcnt(0)
	v_add_f64 v[3:4], v[74:75], -v[3:4]
	buffer_store_dword v2, off, s[0:3], 0 offset:196
	buffer_store_dword v1, off, s[0:3], 0 offset:192
	;; [unrolled: 1-line block ×4, first 2 shown]
	v_cmpx_lt_u32_e32 10, v0
	s_cbranch_execz .LBB44_263
; %bb.262:
	v_mov_b32_e32 v4, s37
	s_clause 0x3
	buffer_load_dword v1, v4, s[0:3], 0 offen
	buffer_load_dword v2, v4, s[0:3], 0 offen offset:4
	buffer_load_dword v3, v4, s[0:3], 0 offen offset:8
	;; [unrolled: 1-line block ×3, first 2 shown]
	buffer_store_dword v53, off, s[0:3], 0 offset:176
	buffer_store_dword v53, off, s[0:3], 0 offset:180
	;; [unrolled: 1-line block ×4, first 2 shown]
	s_waitcnt vmcnt(0)
	ds_write_b128 v63, v[1:4]
.LBB44_263:
	s_or_b32 exec_lo, exec_lo, s4
	s_waitcnt lgkmcnt(0)
	s_waitcnt_vscnt null, 0x0
	s_barrier
	buffer_gl0_inv
	s_clause 0x37
	buffer_load_dword v11, off, s[0:3], 0 offset:200
	buffer_load_dword v12, off, s[0:3], 0 offset:204
	;; [unrolled: 1-line block ×56, first 2 shown]
	ds_read_b128 v[54:57], v53 offset:896
	s_clause 0x2
	buffer_load_dword v75, off, s[0:3], 0 offset:428
	buffer_load_dword v77, off, s[0:3], 0 offset:404
	;; [unrolled: 1-line block ×3, first 2 shown]
	ds_read_b128 v[58:61], v53 offset:912
	s_clause 0x4
	buffer_load_dword v81, off, s[0:3], 0 offset:444
	buffer_load_dword v82, off, s[0:3], 0 offset:456
	;; [unrolled: 1-line block ×5, first 2 shown]
	ds_read_b128 v[64:67], v53 offset:928
	s_clause 0x2
	buffer_load_dword v83, off, s[0:3], 0 offset:460
	buffer_load_dword v88, off, s[0:3], 0 offset:436
	;; [unrolled: 1-line block ×3, first 2 shown]
	s_mov_b32 s4, exec_lo
	s_waitcnt vmcnt(62) lgkmcnt(2)
	v_mul_f64 v[78:79], v[56:57], v[11:12]
	v_mul_f64 v[11:12], v[54:55], v[11:12]
	s_waitcnt lgkmcnt(1)
	v_mul_f64 v[85:86], v[60:61], v[7:8]
	s_waitcnt vmcnt(59) lgkmcnt(0)
	v_mul_f64 v[89:90], v[66:67], v[3:4]
	v_fma_f64 v[54:55], v[54:55], v[9:10], -v[78:79]
	v_mul_f64 v[78:79], v[58:59], v[7:8]
	v_fma_f64 v[11:12], v[56:57], v[9:10], v[11:12]
	s_waitcnt vmcnt(57)
	v_fma_f64 v[58:59], v[58:59], v[1:2], -v[85:86]
	ds_read_b128 v[7:10], v53 offset:944
	v_mul_f64 v[56:57], v[64:65], v[3:4]
	s_waitcnt vmcnt(51)
	v_fma_f64 v[64:65], v[64:65], v[27:28], -v[89:90]
	v_add_f64 v[54:55], v[54:55], 0
	v_fma_f64 v[60:61], v[60:61], v[1:2], v[78:79]
	v_add_f64 v[11:12], v[11:12], 0
	s_clause 0x4
	buffer_load_dword v79, off, s[0:3], 0 offset:476
	buffer_load_dword v91, off, s[0:3], 0 offset:488
	;; [unrolled: 1-line block ×5, first 2 shown]
	s_waitcnt lgkmcnt(0)
	v_mul_f64 v[182:183], v[7:8], v[15:16]
	v_mul_f64 v[15:16], v[9:10], v[15:16]
	ds_read_b128 v[1:4], v53 offset:960
	v_fma_f64 v[27:28], v[66:67], v[27:28], v[56:57]
	v_add_f64 v[58:59], v[54:55], v[58:59]
	v_add_f64 v[11:12], v[11:12], v[60:61]
	s_clause 0x2
	buffer_load_dword v92, off, s[0:3], 0 offset:492
	buffer_load_dword v61, off, s[0:3], 0 offset:468
	buffer_load_dword v60, off, s[0:3], 0 offset:464
	s_waitcnt vmcnt(58) lgkmcnt(0)
	v_mul_f64 v[66:67], v[1:2], v[19:20]
	v_mul_f64 v[19:20], v[3:4], v[19:20]
	s_waitcnt vmcnt(56)
	v_fma_f64 v[15:16], v[7:8], v[21:22], -v[15:16]
	ds_read_b128 v[54:57], v53 offset:976
	v_fma_f64 v[21:22], v[9:10], v[21:22], v[182:183]
	v_add_f64 v[58:59], v[58:59], v[64:65]
	v_add_f64 v[11:12], v[11:12], v[27:28]
	s_clause 0x4
	buffer_load_dword v28, off, s[0:3], 0 offset:508
	buffer_load_dword v64, off, s[0:3], 0 offset:520
	buffer_load_dword v89, off, s[0:3], 0 offset:512
	buffer_load_dword v27, off, s[0:3], 0 offset:504
	buffer_load_dword v182, off, s[0:3], 0 offset:484
	ds_read_b128 v[7:10], v53 offset:992
	s_waitcnt vmcnt(57) lgkmcnt(1)
	v_mul_f64 v[183:184], v[54:55], v[23:24]
	v_mul_f64 v[23:24], v[56:57], v[23:24]
	s_waitcnt vmcnt(56)
	v_fma_f64 v[19:20], v[1:2], v[13:14], -v[19:20]
	v_fma_f64 v[13:14], v[3:4], v[13:14], v[66:67]
	v_add_f64 v[15:16], v[58:59], v[15:16]
	v_add_f64 v[11:12], v[11:12], v[21:22]
	s_clause 0x2
	buffer_load_dword v65, off, s[0:3], 0 offset:524
	buffer_load_dword v22, off, s[0:3], 0 offset:500
	;; [unrolled: 1-line block ×3, first 2 shown]
	s_waitcnt vmcnt(58) lgkmcnt(0)
	v_mul_f64 v[58:59], v[7:8], v[29:30]
	v_mul_f64 v[29:30], v[9:10], v[29:30]
	s_waitcnt vmcnt(56)
	v_fma_f64 v[23:24], v[54:55], v[31:32], -v[23:24]
	ds_read_b128 v[1:4], v53 offset:1008
	v_add_f64 v[15:16], v[15:16], v[19:20]
	v_fma_f64 v[19:20], v[56:57], v[31:32], v[183:184]
	v_add_f64 v[31:32], v[11:12], v[13:14]
	s_clause 0x4
	buffer_load_dword v55, off, s[0:3], 0 offset:540
	buffer_load_dword v56, off, s[0:3], 0 offset:552
	;; [unrolled: 1-line block ×5, first 2 shown]
	ds_read_b128 v[11:14], v53 offset:1024
	s_waitcnt vmcnt(57) lgkmcnt(1)
	v_mul_f64 v[183:184], v[1:2], v[33:34]
	v_mul_f64 v[33:34], v[3:4], v[33:34]
	s_waitcnt vmcnt(56)
	v_fma_f64 v[29:30], v[7:8], v[17:18], -v[29:30]
	v_fma_f64 v[17:18], v[9:10], v[17:18], v[58:59]
	v_add_f64 v[15:16], v[15:16], v[23:24]
	s_clause 0x2
	buffer_load_dword v57, off, s[0:3], 0 offset:556
	buffer_load_dword v24, off, s[0:3], 0 offset:532
	;; [unrolled: 1-line block ×3, first 2 shown]
	v_add_f64 v[19:20], v[31:32], v[19:20]
	s_waitcnt vmcnt(58) lgkmcnt(0)
	v_mul_f64 v[31:32], v[11:12], v[37:38]
	v_mul_f64 v[37:38], v[13:14], v[37:38]
	ds_read_b128 v[7:10], v53 offset:1040
	s_waitcnt vmcnt(56)
	v_fma_f64 v[33:34], v[1:2], v[39:40], -v[33:34]
	v_add_f64 v[15:16], v[15:16], v[29:30]
	v_fma_f64 v[29:30], v[3:4], v[39:40], v[183:184]
	v_add_f64 v[17:18], v[19:20], v[17:18]
	s_clause 0x4
	buffer_load_dword v20, off, s[0:3], 0 offset:572
	buffer_load_dword v39, off, s[0:3], 0 offset:584
	;; [unrolled: 1-line block ×5, first 2 shown]
	s_waitcnt vmcnt(57) lgkmcnt(0)
	v_mul_f64 v[183:184], v[7:8], v[41:42]
	v_mul_f64 v[41:42], v[9:10], v[41:42]
	s_waitcnt vmcnt(56)
	v_fma_f64 v[37:38], v[11:12], v[25:26], -v[37:38]
	ds_read_b128 v[1:4], v53 offset:1056
	v_fma_f64 v[25:26], v[13:14], v[25:26], v[31:32]
	v_add_f64 v[15:16], v[15:16], v[33:34]
	v_add_f64 v[17:18], v[17:18], v[29:30]
	s_clause 0x2
	buffer_load_dword v40, off, s[0:3], 0 offset:588
	buffer_load_dword v30, off, s[0:3], 0 offset:564
	;; [unrolled: 1-line block ×3, first 2 shown]
	ds_read_b128 v[11:14], v53 offset:1072
	s_waitcnt vmcnt(58) lgkmcnt(1)
	v_mul_f64 v[33:34], v[3:4], v[45:46]
	s_waitcnt vmcnt(56)
	v_fma_f64 v[41:42], v[7:8], v[47:48], -v[41:42]
	v_mul_f64 v[31:32], v[1:2], v[45:46]
	v_add_f64 v[15:16], v[15:16], v[37:38]
	v_fma_f64 v[37:38], v[9:10], v[47:48], v[183:184]
	v_add_f64 v[17:18], v[17:18], v[25:26]
	s_clause 0x4
	buffer_load_dword v26, off, s[0:3], 0 offset:604
	buffer_load_dword v45, off, s[0:3], 0 offset:616
	;; [unrolled: 1-line block ×5, first 2 shown]
	s_waitcnt vmcnt(57) lgkmcnt(0)
	v_mul_f64 v[183:184], v[11:12], v[49:50]
	v_mul_f64 v[48:49], v[13:14], v[49:50]
	s_waitcnt vmcnt(56)
	v_fma_f64 v[33:34], v[1:2], v[35:36], -v[33:34]
	ds_read_b128 v[7:10], v53 offset:1088
	v_fma_f64 v[31:32], v[3:4], v[35:36], v[31:32]
	s_clause 0x2
	buffer_load_dword v46, off, s[0:3], 0 offset:620
	buffer_load_dword v36, off, s[0:3], 0 offset:596
	;; [unrolled: 1-line block ×3, first 2 shown]
	ds_read_b128 v[1:4], v53 offset:1104
	v_add_f64 v[15:16], v[15:16], v[41:42]
	v_add_f64 v[17:18], v[17:18], v[37:38]
	s_waitcnt vmcnt(58) lgkmcnt(1)
	v_mul_f64 v[41:42], v[9:10], v[68:69]
	s_waitcnt vmcnt(56)
	v_fma_f64 v[49:50], v[11:12], v[70:71], -v[48:49]
	v_mul_f64 v[37:38], v[7:8], v[68:69]
	v_add_f64 v[15:16], v[15:16], v[33:34]
	v_fma_f64 v[33:34], v[13:14], v[70:71], v[183:184]
	v_add_f64 v[17:18], v[17:18], v[31:32]
	s_clause 0x4
	buffer_load_dword v32, off, s[0:3], 0 offset:636
	buffer_load_dword v68, off, s[0:3], 0 offset:648
	buffer_load_dword v70, off, s[0:3], 0 offset:640
	buffer_load_dword v31, off, s[0:3], 0 offset:632
	buffer_load_dword v48, off, s[0:3], 0 offset:612
	s_waitcnt vmcnt(57) lgkmcnt(0)
	v_mul_f64 v[183:184], v[1:2], v[72:73]
	v_mul_f64 v[71:72], v[3:4], v[72:73]
	s_waitcnt vmcnt(56)
	v_fma_f64 v[41:42], v[7:8], v[43:44], -v[41:42]
	ds_read_b128 v[11:14], v53 offset:1120
	v_fma_f64 v[37:38], v[9:10], v[43:44], v[37:38]
	v_add_f64 v[15:16], v[15:16], v[49:50]
	v_add_f64 v[17:18], v[17:18], v[33:34]
	s_clause 0x2
	buffer_load_dword v69, off, s[0:3], 0 offset:652
	buffer_load_dword v34, off, s[0:3], 0 offset:628
	;; [unrolled: 1-line block ×3, first 2 shown]
	ds_read_b128 v[7:10], v53 offset:1136
	s_waitcnt vmcnt(58) lgkmcnt(1)
	v_mul_f64 v[49:50], v[13:14], v[74:75]
	s_waitcnt vmcnt(56)
	v_fma_f64 v[72:73], v[1:2], v[76:77], -v[71:72]
	v_mul_f64 v[43:44], v[11:12], v[74:75]
	v_add_f64 v[15:16], v[15:16], v[41:42]
	v_fma_f64 v[41:42], v[3:4], v[76:77], v[183:184]
	v_add_f64 v[17:18], v[17:18], v[37:38]
	s_clause 0x4
	buffer_load_dword v38, off, s[0:3], 0 offset:668
	buffer_load_dword v74, off, s[0:3], 0 offset:680
	buffer_load_dword v76, off, s[0:3], 0 offset:672
	buffer_load_dword v37, off, s[0:3], 0 offset:664
	buffer_load_dword v71, off, s[0:3], 0 offset:644
	s_waitcnt vmcnt(57) lgkmcnt(0)
	v_mul_f64 v[183:184], v[7:8], v[80:81]
	v_mul_f64 v[80:81], v[9:10], v[80:81]
	s_waitcnt vmcnt(56)
	v_fma_f64 v[49:50], v[11:12], v[51:52], -v[49:50]
	ds_read_b128 v[1:4], v53 offset:1152
	v_fma_f64 v[43:44], v[13:14], v[51:52], v[43:44]
	v_add_f64 v[15:16], v[15:16], v[72:73]
	v_add_f64 v[17:18], v[17:18], v[41:42]
	s_clause 0x2
	buffer_load_dword v75, off, s[0:3], 0 offset:684
	buffer_load_dword v42, off, s[0:3], 0 offset:660
	;; [unrolled: 1-line block ×3, first 2 shown]
	ds_read_b128 v[11:14], v53 offset:1168
	s_waitcnt vmcnt(58) lgkmcnt(1)
	v_mul_f64 v[72:73], v[3:4], v[82:83]
	s_waitcnt vmcnt(56)
	v_fma_f64 v[80:81], v[7:8], v[87:88], -v[80:81]
	v_mul_f64 v[51:52], v[1:2], v[82:83]
	v_add_f64 v[15:16], v[15:16], v[49:50]
	v_fma_f64 v[49:50], v[9:10], v[87:88], v[183:184]
	v_add_f64 v[17:18], v[17:18], v[43:44]
	s_clause 0x4
	buffer_load_dword v44, off, s[0:3], 0 offset:700
	buffer_load_dword v82, off, s[0:3], 0 offset:712
	;; [unrolled: 1-line block ×5, first 2 shown]
	ds_read_b128 v[7:10], v53 offset:1184
	s_waitcnt vmcnt(57) lgkmcnt(1)
	v_mul_f64 v[87:88], v[11:12], v[78:79]
	v_mul_f64 v[78:79], v[13:14], v[78:79]
	s_waitcnt vmcnt(56)
	v_fma_f64 v[72:73], v[1:2], v[84:85], -v[72:73]
	v_fma_f64 v[51:52], v[3:4], v[84:85], v[51:52]
	v_add_f64 v[15:16], v[15:16], v[80:81]
	v_add_f64 v[17:18], v[17:18], v[49:50]
	s_clause 0x2
	buffer_load_dword v83, off, s[0:3], 0 offset:716
	buffer_load_dword v50, off, s[0:3], 0 offset:692
	;; [unrolled: 1-line block ×3, first 2 shown]
	ds_read_b128 v[1:4], v53 offset:1200
	s_waitcnt vmcnt(58) lgkmcnt(1)
	v_mul_f64 v[84:85], v[9:10], v[91:92]
	v_mul_f64 v[80:81], v[7:8], v[91:92]
	s_waitcnt vmcnt(56)
	v_fma_f64 v[78:79], v[11:12], v[60:61], -v[78:79]
	v_fma_f64 v[60:61], v[13:14], v[60:61], v[87:88]
	v_add_f64 v[15:16], v[15:16], v[72:73]
	v_add_f64 v[17:18], v[17:18], v[51:52]
	s_clause 0x2
	buffer_load_dword v52, off, s[0:3], 0 offset:732
	buffer_load_dword v51, off, s[0:3], 0 offset:728
	;; [unrolled: 1-line block ×3, first 2 shown]
	ds_read_b128 v[11:14], v53 offset:1216
	s_waitcnt vmcnt(55) lgkmcnt(1)
	v_mul_f64 v[72:73], v[1:2], v[27:28]
	v_mul_f64 v[27:28], v[3:4], v[27:28]
	s_waitcnt vmcnt(54)
	v_fma_f64 v[84:85], v[7:8], v[181:182], -v[84:85]
	v_add_f64 v[15:16], v[15:16], v[78:79]
	v_fma_f64 v[78:79], v[9:10], v[181:182], v[80:81]
	v_add_f64 v[17:18], v[17:18], v[60:61]
	s_clause 0x1
	buffer_load_dword v61, off, s[0:3], 0 offset:724
	buffer_load_dword v60, off, s[0:3], 0 offset:720
	ds_read_b128 v[7:10], v53 offset:1232
	s_waitcnt vmcnt(55) lgkmcnt(1)
	v_mul_f64 v[80:81], v[11:12], v[64:65]
	v_mul_f64 v[64:65], v[13:14], v[64:65]
	s_waitcnt vmcnt(53)
	v_fma_f64 v[27:28], v[1:2], v[21:22], -v[27:28]
	v_fma_f64 v[21:22], v[3:4], v[21:22], v[72:73]
	ds_read_b128 v[1:4], v53 offset:1248
	v_add_f64 v[15:16], v[15:16], v[84:85]
	v_add_f64 v[17:18], v[17:18], v[78:79]
	s_waitcnt vmcnt(49) lgkmcnt(1)
	v_mul_f64 v[72:73], v[7:8], v[54:55]
	v_mul_f64 v[54:55], v[9:10], v[54:55]
	s_waitcnt vmcnt(48)
	v_fma_f64 v[64:65], v[11:12], v[89:90], -v[64:65]
	v_add_f64 v[15:16], v[15:16], v[27:28]
	v_fma_f64 v[27:28], v[13:14], v[89:90], v[80:81]
	v_add_f64 v[17:18], v[17:18], v[21:22]
	s_clause 0x3
	buffer_load_dword v21, off, s[0:3], 0 offset:176
	buffer_load_dword v22, off, s[0:3], 0 offset:180
	;; [unrolled: 1-line block ×4, first 2 shown]
	ds_read_b128 v[11:14], v53 offset:1264
	s_waitcnt vmcnt(51) lgkmcnt(1)
	v_mul_f64 v[80:81], v[1:2], v[56:57]
	v_mul_f64 v[56:57], v[3:4], v[56:57]
	s_waitcnt vmcnt(49)
	v_fma_f64 v[54:55], v[7:8], v[23:24], -v[54:55]
	v_fma_f64 v[23:24], v[9:10], v[23:24], v[72:73]
	ds_read_b128 v[7:10], v53 offset:1280
	v_add_f64 v[15:16], v[15:16], v[64:65]
	v_add_f64 v[17:18], v[17:18], v[27:28]
	s_waitcnt vmcnt(45) lgkmcnt(1)
	v_mul_f64 v[27:28], v[11:12], v[19:20]
	v_mul_f64 v[19:20], v[13:14], v[19:20]
	s_waitcnt vmcnt(44)
	v_fma_f64 v[56:57], v[1:2], v[66:67], -v[56:57]
	v_add_f64 v[15:16], v[15:16], v[54:55]
	v_fma_f64 v[54:55], v[3:4], v[66:67], v[80:81]
	v_add_f64 v[17:18], v[17:18], v[23:24]
	ds_read_b128 v[1:4], v53 offset:1296
	s_waitcnt vmcnt(43) lgkmcnt(1)
	v_mul_f64 v[23:24], v[7:8], v[39:40]
	v_mul_f64 v[39:40], v[9:10], v[39:40]
	s_waitcnt vmcnt(41)
	v_fma_f64 v[19:20], v[11:12], v[29:30], -v[19:20]
	v_fma_f64 v[27:28], v[13:14], v[29:30], v[27:28]
	ds_read_b128 v[11:14], v53 offset:1312
	v_add_f64 v[15:16], v[15:16], v[56:57]
	v_add_f64 v[17:18], v[17:18], v[54:55]
	s_waitcnt vmcnt(37) lgkmcnt(1)
	v_mul_f64 v[29:30], v[1:2], v[25:26]
	v_mul_f64 v[25:26], v[3:4], v[25:26]
	s_waitcnt vmcnt(36)
	v_fma_f64 v[39:40], v[7:8], v[58:59], -v[39:40]
	v_add_f64 v[15:16], v[15:16], v[19:20]
	v_fma_f64 v[19:20], v[9:10], v[58:59], v[23:24]
	v_add_f64 v[17:18], v[17:18], v[27:28]
	s_waitcnt vmcnt(35) lgkmcnt(0)
	v_mul_f64 v[27:28], v[13:14], v[45:46]
	ds_read_b128 v[7:10], v53 offset:1328
	v_mul_f64 v[23:24], v[11:12], v[45:46]
	s_waitcnt vmcnt(33)
	v_fma_f64 v[29:30], v[3:4], v[35:36], v[29:30]
	v_fma_f64 v[25:26], v[1:2], v[35:36], -v[25:26]
	ds_read_b128 v[1:4], v53 offset:1344
	v_add_f64 v[15:16], v[15:16], v[39:40]
	v_add_f64 v[17:18], v[17:18], v[19:20]
	s_waitcnt vmcnt(29) lgkmcnt(1)
	v_mul_f64 v[19:20], v[7:8], v[31:32]
	v_mul_f64 v[31:32], v[9:10], v[31:32]
	s_waitcnt vmcnt(28)
	v_fma_f64 v[27:28], v[11:12], v[47:48], -v[27:28]
	v_fma_f64 v[23:24], v[13:14], v[47:48], v[23:24]
	ds_read_b128 v[11:14], v53 offset:1360
	v_add_f64 v[15:16], v[15:16], v[25:26]
	v_add_f64 v[17:18], v[17:18], v[29:30]
	s_waitcnt vmcnt(27) lgkmcnt(1)
	v_mul_f64 v[29:30], v[3:4], v[68:69]
	v_mul_f64 v[25:26], v[1:2], v[68:69]
	s_waitcnt vmcnt(25)
	v_fma_f64 v[31:32], v[7:8], v[33:34], -v[31:32]
	v_fma_f64 v[19:20], v[9:10], v[33:34], v[19:20]
	ds_read_b128 v[7:10], v53 offset:1376
	v_add_f64 v[15:16], v[15:16], v[27:28]
	v_add_f64 v[17:18], v[17:18], v[23:24]
	s_waitcnt vmcnt(21) lgkmcnt(1)
	v_mul_f64 v[27:28], v[13:14], v[37:38]
	s_waitcnt vmcnt(20)
	v_fma_f64 v[29:30], v[1:2], v[70:71], -v[29:30]
	v_mul_f64 v[23:24], v[11:12], v[37:38]
	v_fma_f64 v[25:26], v[3:4], v[70:71], v[25:26]
	ds_read_b128 v[1:4], v53 offset:1392
	v_add_f64 v[15:16], v[15:16], v[31:32]
	v_add_f64 v[17:18], v[17:18], v[19:20]
	s_waitcnt vmcnt(19) lgkmcnt(1)
	v_mul_f64 v[31:32], v[9:10], v[74:75]
	v_mul_f64 v[19:20], v[7:8], v[74:75]
	s_waitcnt vmcnt(17)
	v_fma_f64 v[27:28], v[11:12], v[41:42], -v[27:28]
	v_fma_f64 v[23:24], v[13:14], v[41:42], v[23:24]
	ds_read_b128 v[11:14], v53 offset:1408
	v_add_f64 v[15:16], v[15:16], v[29:30]
	v_add_f64 v[17:18], v[17:18], v[25:26]
	s_waitcnt vmcnt(13) lgkmcnt(1)
	v_mul_f64 v[29:30], v[3:4], v[43:44]
	s_waitcnt vmcnt(12)
	v_fma_f64 v[31:32], v[7:8], v[76:77], -v[31:32]
	v_mul_f64 v[25:26], v[1:2], v[43:44]
	v_fma_f64 v[19:20], v[9:10], v[76:77], v[19:20]
	ds_read_b128 v[7:10], v53 offset:1424
	v_add_f64 v[15:16], v[15:16], v[27:28]
	v_add_f64 v[17:18], v[17:18], v[23:24]
	s_waitcnt vmcnt(11) lgkmcnt(1)
	v_mul_f64 v[27:28], v[13:14], v[82:83]
	v_mul_f64 v[23:24], v[11:12], v[82:83]
	s_waitcnt vmcnt(9)
	v_fma_f64 v[1:2], v[1:2], v[49:50], -v[29:30]
	v_fma_f64 v[3:4], v[3:4], v[49:50], v[25:26]
	v_add_f64 v[15:16], v[15:16], v[31:32]
	v_add_f64 v[17:18], v[17:18], v[19:20]
	s_waitcnt vmcnt(7) lgkmcnt(0)
	v_mul_f64 v[25:26], v[9:10], v[51:52]
	s_waitcnt vmcnt(6)
	v_fma_f64 v[11:12], v[11:12], v[86:87], -v[27:28]
	v_mul_f64 v[19:20], v[7:8], v[51:52]
	v_fma_f64 v[13:14], v[13:14], v[86:87], v[23:24]
	v_add_f64 v[1:2], v[15:16], v[1:2]
	v_add_f64 v[3:4], v[17:18], v[3:4]
	s_waitcnt vmcnt(4)
	v_fma_f64 v[7:8], v[7:8], v[60:61], -v[25:26]
	v_fma_f64 v[9:10], v[9:10], v[60:61], v[19:20]
	v_add_f64 v[1:2], v[1:2], v[11:12]
	v_add_f64 v[3:4], v[3:4], v[13:14]
	;; [unrolled: 1-line block ×4, first 2 shown]
	s_waitcnt vmcnt(2)
	v_add_f64 v[1:2], v[21:22], -v[1:2]
	s_waitcnt vmcnt(0)
	v_add_f64 v[3:4], v[78:79], -v[3:4]
	buffer_store_dword v2, off, s[0:3], 0 offset:180
	buffer_store_dword v1, off, s[0:3], 0 offset:176
	;; [unrolled: 1-line block ×4, first 2 shown]
	v_cmpx_lt_u32_e32 9, v0
	s_cbranch_execz .LBB44_265
; %bb.264:
	v_mov_b32_e32 v4, s39
	v_mov_b32_e32 v7, 0
	s_clause 0x3
	buffer_load_dword v1, v4, s[0:3], 0 offen
	buffer_load_dword v2, v4, s[0:3], 0 offen offset:4
	buffer_load_dword v3, v4, s[0:3], 0 offen offset:8
	;; [unrolled: 1-line block ×3, first 2 shown]
	buffer_store_dword v7, off, s[0:3], 0 offset:160
	buffer_store_dword v7, off, s[0:3], 0 offset:164
	;; [unrolled: 1-line block ×4, first 2 shown]
	s_waitcnt vmcnt(0)
	ds_write_b128 v63, v[1:4]
.LBB44_265:
	s_or_b32 exec_lo, exec_lo, s4
	s_waitcnt lgkmcnt(0)
	s_waitcnt_vscnt null, 0x0
	s_barrier
	buffer_gl0_inv
	s_clause 0x37
	buffer_load_dword v11, off, s[0:3], 0 offset:184
	buffer_load_dword v12, off, s[0:3], 0 offset:188
	;; [unrolled: 1-line block ×56, first 2 shown]
	v_mov_b32_e32 v64, 0
	s_mov_b32 s4, exec_lo
	ds_read_b128 v[65:68], v64 offset:880
	s_clause 0x2
	buffer_load_dword v60, off, s[0:3], 0 offset:412
	buffer_load_dword v62, off, s[0:3], 0 offset:388
	;; [unrolled: 1-line block ×3, first 2 shown]
	ds_read_b128 v[69:72], v64 offset:896
	s_clause 0x4
	buffer_load_dword v80, off, s[0:3], 0 offset:428
	buffer_load_dword v81, off, s[0:3], 0 offset:440
	;; [unrolled: 1-line block ×5, first 2 shown]
	ds_read_b128 v[73:76], v64 offset:912
	s_clause 0x2
	buffer_load_dword v82, off, s[0:3], 0 offset:444
	buffer_load_dword v87, off, s[0:3], 0 offset:420
	;; [unrolled: 1-line block ×3, first 2 shown]
	s_waitcnt vmcnt(62) lgkmcnt(2)
	v_mul_f64 v[77:78], v[67:68], v[11:12]
	v_mul_f64 v[11:12], v[65:66], v[11:12]
	s_waitcnt lgkmcnt(1)
	v_mul_f64 v[84:85], v[71:72], v[7:8]
	s_waitcnt vmcnt(59) lgkmcnt(0)
	v_mul_f64 v[88:89], v[75:76], v[3:4]
	v_fma_f64 v[65:66], v[65:66], v[9:10], -v[77:78]
	v_mul_f64 v[77:78], v[69:70], v[7:8]
	v_fma_f64 v[11:12], v[67:68], v[9:10], v[11:12]
	s_waitcnt vmcnt(57)
	v_fma_f64 v[69:70], v[69:70], v[1:2], -v[84:85]
	ds_read_b128 v[7:10], v64 offset:928
	v_mul_f64 v[67:68], v[73:74], v[3:4]
	s_waitcnt vmcnt(51)
	v_fma_f64 v[73:74], v[73:74], v[27:28], -v[88:89]
	v_add_f64 v[65:66], v[65:66], 0
	v_fma_f64 v[71:72], v[71:72], v[1:2], v[77:78]
	v_add_f64 v[11:12], v[11:12], 0
	s_clause 0x4
	buffer_load_dword v78, off, s[0:3], 0 offset:460
	buffer_load_dword v90, off, s[0:3], 0 offset:472
	;; [unrolled: 1-line block ×5, first 2 shown]
	s_waitcnt lgkmcnt(0)
	v_mul_f64 v[182:183], v[7:8], v[15:16]
	v_mul_f64 v[15:16], v[9:10], v[15:16]
	ds_read_b128 v[1:4], v64 offset:944
	v_fma_f64 v[27:28], v[75:76], v[27:28], v[67:68]
	v_add_f64 v[69:70], v[65:66], v[69:70]
	v_add_f64 v[11:12], v[11:12], v[71:72]
	s_clause 0x2
	buffer_load_dword v91, off, s[0:3], 0 offset:476
	buffer_load_dword v72, off, s[0:3], 0 offset:452
	;; [unrolled: 1-line block ×3, first 2 shown]
	s_waitcnt vmcnt(58) lgkmcnt(0)
	v_mul_f64 v[75:76], v[1:2], v[19:20]
	v_mul_f64 v[19:20], v[3:4], v[19:20]
	s_waitcnt vmcnt(56)
	v_fma_f64 v[15:16], v[7:8], v[21:22], -v[15:16]
	ds_read_b128 v[65:68], v64 offset:960
	v_fma_f64 v[21:22], v[9:10], v[21:22], v[182:183]
	v_add_f64 v[69:70], v[69:70], v[73:74]
	v_add_f64 v[11:12], v[11:12], v[27:28]
	s_clause 0x4
	buffer_load_dword v28, off, s[0:3], 0 offset:492
	buffer_load_dword v73, off, s[0:3], 0 offset:504
	buffer_load_dword v88, off, s[0:3], 0 offset:496
	buffer_load_dword v27, off, s[0:3], 0 offset:488
	buffer_load_dword v182, off, s[0:3], 0 offset:468
	ds_read_b128 v[7:10], v64 offset:976
	s_waitcnt vmcnt(57) lgkmcnt(1)
	v_mul_f64 v[183:184], v[65:66], v[23:24]
	v_mul_f64 v[23:24], v[67:68], v[23:24]
	s_waitcnt vmcnt(56)
	v_fma_f64 v[19:20], v[1:2], v[13:14], -v[19:20]
	v_fma_f64 v[13:14], v[3:4], v[13:14], v[75:76]
	v_add_f64 v[15:16], v[69:70], v[15:16]
	v_add_f64 v[11:12], v[11:12], v[21:22]
	s_clause 0x2
	buffer_load_dword v74, off, s[0:3], 0 offset:508
	buffer_load_dword v22, off, s[0:3], 0 offset:484
	;; [unrolled: 1-line block ×3, first 2 shown]
	s_waitcnt vmcnt(58) lgkmcnt(0)
	v_mul_f64 v[69:70], v[7:8], v[29:30]
	v_mul_f64 v[29:30], v[9:10], v[29:30]
	s_waitcnt vmcnt(56)
	v_fma_f64 v[23:24], v[65:66], v[31:32], -v[23:24]
	ds_read_b128 v[1:4], v64 offset:992
	v_add_f64 v[15:16], v[15:16], v[19:20]
	v_fma_f64 v[19:20], v[67:68], v[31:32], v[183:184]
	v_add_f64 v[31:32], v[11:12], v[13:14]
	s_clause 0x4
	buffer_load_dword v66, off, s[0:3], 0 offset:524
	buffer_load_dword v67, off, s[0:3], 0 offset:536
	;; [unrolled: 1-line block ×5, first 2 shown]
	ds_read_b128 v[11:14], v64 offset:1008
	s_waitcnt vmcnt(57) lgkmcnt(1)
	v_mul_f64 v[183:184], v[1:2], v[33:34]
	v_mul_f64 v[33:34], v[3:4], v[33:34]
	s_waitcnt vmcnt(56)
	v_fma_f64 v[29:30], v[7:8], v[17:18], -v[29:30]
	v_fma_f64 v[17:18], v[9:10], v[17:18], v[69:70]
	v_add_f64 v[15:16], v[15:16], v[23:24]
	s_clause 0x2
	buffer_load_dword v68, off, s[0:3], 0 offset:540
	buffer_load_dword v24, off, s[0:3], 0 offset:516
	;; [unrolled: 1-line block ×3, first 2 shown]
	v_add_f64 v[19:20], v[31:32], v[19:20]
	s_waitcnt vmcnt(58) lgkmcnt(0)
	v_mul_f64 v[31:32], v[11:12], v[37:38]
	v_mul_f64 v[37:38], v[13:14], v[37:38]
	ds_read_b128 v[7:10], v64 offset:1024
	s_waitcnt vmcnt(56)
	v_fma_f64 v[33:34], v[1:2], v[39:40], -v[33:34]
	v_add_f64 v[15:16], v[15:16], v[29:30]
	v_fma_f64 v[29:30], v[3:4], v[39:40], v[183:184]
	v_add_f64 v[17:18], v[19:20], v[17:18]
	s_clause 0x4
	buffer_load_dword v20, off, s[0:3], 0 offset:556
	buffer_load_dword v39, off, s[0:3], 0 offset:568
	;; [unrolled: 1-line block ×5, first 2 shown]
	s_waitcnt vmcnt(57) lgkmcnt(0)
	v_mul_f64 v[183:184], v[7:8], v[41:42]
	v_mul_f64 v[41:42], v[9:10], v[41:42]
	s_waitcnt vmcnt(56)
	v_fma_f64 v[37:38], v[11:12], v[25:26], -v[37:38]
	ds_read_b128 v[1:4], v64 offset:1040
	v_fma_f64 v[25:26], v[13:14], v[25:26], v[31:32]
	v_add_f64 v[15:16], v[15:16], v[33:34]
	v_add_f64 v[17:18], v[17:18], v[29:30]
	s_clause 0x2
	buffer_load_dword v40, off, s[0:3], 0 offset:572
	buffer_load_dword v30, off, s[0:3], 0 offset:548
	;; [unrolled: 1-line block ×3, first 2 shown]
	ds_read_b128 v[11:14], v64 offset:1056
	s_waitcnt vmcnt(58) lgkmcnt(1)
	v_mul_f64 v[33:34], v[3:4], v[45:46]
	s_waitcnt vmcnt(56)
	v_fma_f64 v[41:42], v[7:8], v[47:48], -v[41:42]
	v_mul_f64 v[31:32], v[1:2], v[45:46]
	v_add_f64 v[15:16], v[15:16], v[37:38]
	v_fma_f64 v[37:38], v[9:10], v[47:48], v[183:184]
	v_add_f64 v[17:18], v[17:18], v[25:26]
	s_clause 0x4
	buffer_load_dword v26, off, s[0:3], 0 offset:588
	buffer_load_dword v45, off, s[0:3], 0 offset:600
	;; [unrolled: 1-line block ×5, first 2 shown]
	s_waitcnt vmcnt(57) lgkmcnt(0)
	v_mul_f64 v[183:184], v[11:12], v[49:50]
	v_mul_f64 v[48:49], v[13:14], v[49:50]
	s_waitcnt vmcnt(56)
	v_fma_f64 v[33:34], v[1:2], v[35:36], -v[33:34]
	ds_read_b128 v[7:10], v64 offset:1072
	v_fma_f64 v[31:32], v[3:4], v[35:36], v[31:32]
	s_clause 0x2
	buffer_load_dword v46, off, s[0:3], 0 offset:604
	buffer_load_dword v36, off, s[0:3], 0 offset:580
	;; [unrolled: 1-line block ×3, first 2 shown]
	ds_read_b128 v[1:4], v64 offset:1088
	v_add_f64 v[15:16], v[15:16], v[41:42]
	v_add_f64 v[17:18], v[17:18], v[37:38]
	s_waitcnt vmcnt(58) lgkmcnt(1)
	v_mul_f64 v[41:42], v[9:10], v[53:54]
	s_waitcnt vmcnt(56)
	v_fma_f64 v[49:50], v[11:12], v[55:56], -v[48:49]
	v_mul_f64 v[37:38], v[7:8], v[53:54]
	v_add_f64 v[15:16], v[15:16], v[33:34]
	v_fma_f64 v[33:34], v[13:14], v[55:56], v[183:184]
	v_add_f64 v[17:18], v[17:18], v[31:32]
	s_clause 0x4
	buffer_load_dword v32, off, s[0:3], 0 offset:620
	buffer_load_dword v53, off, s[0:3], 0 offset:632
	;; [unrolled: 1-line block ×5, first 2 shown]
	s_waitcnt vmcnt(57) lgkmcnt(0)
	v_mul_f64 v[183:184], v[1:2], v[57:58]
	v_mul_f64 v[56:57], v[3:4], v[57:58]
	s_waitcnt vmcnt(56)
	v_fma_f64 v[41:42], v[7:8], v[43:44], -v[41:42]
	ds_read_b128 v[11:14], v64 offset:1104
	v_fma_f64 v[37:38], v[9:10], v[43:44], v[37:38]
	v_add_f64 v[15:16], v[15:16], v[49:50]
	v_add_f64 v[17:18], v[17:18], v[33:34]
	s_clause 0x2
	buffer_load_dword v54, off, s[0:3], 0 offset:636
	buffer_load_dword v34, off, s[0:3], 0 offset:612
	;; [unrolled: 1-line block ×3, first 2 shown]
	ds_read_b128 v[7:10], v64 offset:1120
	s_waitcnt vmcnt(58) lgkmcnt(1)
	v_mul_f64 v[49:50], v[13:14], v[59:60]
	s_waitcnt vmcnt(56)
	v_fma_f64 v[57:58], v[1:2], v[61:62], -v[56:57]
	v_mul_f64 v[43:44], v[11:12], v[59:60]
	v_add_f64 v[15:16], v[15:16], v[41:42]
	v_fma_f64 v[41:42], v[3:4], v[61:62], v[183:184]
	v_add_f64 v[17:18], v[17:18], v[37:38]
	s_clause 0x4
	buffer_load_dword v38, off, s[0:3], 0 offset:652
	buffer_load_dword v59, off, s[0:3], 0 offset:664
	;; [unrolled: 1-line block ×5, first 2 shown]
	s_waitcnt vmcnt(57) lgkmcnt(0)
	v_mul_f64 v[183:184], v[7:8], v[79:80]
	v_mul_f64 v[79:80], v[9:10], v[79:80]
	s_waitcnt vmcnt(56)
	v_fma_f64 v[49:50], v[11:12], v[51:52], -v[49:50]
	ds_read_b128 v[1:4], v64 offset:1136
	v_fma_f64 v[43:44], v[13:14], v[51:52], v[43:44]
	v_add_f64 v[15:16], v[15:16], v[57:58]
	v_add_f64 v[17:18], v[17:18], v[41:42]
	s_clause 0x2
	buffer_load_dword v60, off, s[0:3], 0 offset:668
	buffer_load_dword v42, off, s[0:3], 0 offset:644
	;; [unrolled: 1-line block ×3, first 2 shown]
	ds_read_b128 v[11:14], v64 offset:1152
	s_waitcnt vmcnt(58) lgkmcnt(1)
	v_mul_f64 v[57:58], v[3:4], v[81:82]
	s_waitcnt vmcnt(56)
	v_fma_f64 v[79:80], v[7:8], v[86:87], -v[79:80]
	v_mul_f64 v[51:52], v[1:2], v[81:82]
	v_add_f64 v[15:16], v[15:16], v[49:50]
	v_fma_f64 v[49:50], v[9:10], v[86:87], v[183:184]
	v_add_f64 v[17:18], v[17:18], v[43:44]
	s_clause 0x4
	buffer_load_dword v44, off, s[0:3], 0 offset:684
	buffer_load_dword v81, off, s[0:3], 0 offset:696
	;; [unrolled: 1-line block ×5, first 2 shown]
	ds_read_b128 v[7:10], v64 offset:1168
	s_waitcnt vmcnt(57) lgkmcnt(1)
	v_mul_f64 v[86:87], v[11:12], v[77:78]
	v_mul_f64 v[77:78], v[13:14], v[77:78]
	s_waitcnt vmcnt(56)
	v_fma_f64 v[57:58], v[1:2], v[83:84], -v[57:58]
	v_fma_f64 v[51:52], v[3:4], v[83:84], v[51:52]
	v_add_f64 v[15:16], v[15:16], v[79:80]
	v_add_f64 v[17:18], v[17:18], v[49:50]
	s_clause 0x2
	buffer_load_dword v82, off, s[0:3], 0 offset:700
	buffer_load_dword v50, off, s[0:3], 0 offset:676
	;; [unrolled: 1-line block ×3, first 2 shown]
	ds_read_b128 v[1:4], v64 offset:1184
	s_waitcnt vmcnt(58) lgkmcnt(1)
	v_mul_f64 v[83:84], v[9:10], v[90:91]
	v_mul_f64 v[79:80], v[7:8], v[90:91]
	s_waitcnt vmcnt(56)
	v_fma_f64 v[77:78], v[11:12], v[71:72], -v[77:78]
	v_add_f64 v[15:16], v[15:16], v[57:58]
	v_fma_f64 v[57:58], v[13:14], v[71:72], v[86:87]
	v_add_f64 v[17:18], v[17:18], v[51:52]
	s_clause 0x4
	buffer_load_dword v52, off, s[0:3], 0 offset:716
	buffer_load_dword v71, off, s[0:3], 0 offset:728
	;; [unrolled: 1-line block ×5, first 2 shown]
	ds_read_b128 v[11:14], v64 offset:1200
	s_waitcnt vmcnt(57) lgkmcnt(1)
	v_mul_f64 v[91:92], v[1:2], v[27:28]
	v_mul_f64 v[27:28], v[3:4], v[27:28]
	s_waitcnt vmcnt(56)
	v_fma_f64 v[83:84], v[7:8], v[181:182], -v[83:84]
	v_add_f64 v[15:16], v[15:16], v[77:78]
	v_fma_f64 v[77:78], v[9:10], v[181:182], v[79:80]
	v_add_f64 v[17:18], v[17:18], v[57:58]
	s_clause 0x2
	buffer_load_dword v72, off, s[0:3], 0 offset:732
	buffer_load_dword v58, off, s[0:3], 0 offset:708
	;; [unrolled: 1-line block ×3, first 2 shown]
	ds_read_b128 v[7:10], v64 offset:1216
	s_waitcnt vmcnt(58) lgkmcnt(1)
	v_mul_f64 v[79:80], v[11:12], v[73:74]
	v_mul_f64 v[73:74], v[13:14], v[73:74]
	s_waitcnt vmcnt(56)
	v_fma_f64 v[27:28], v[1:2], v[21:22], -v[27:28]
	v_fma_f64 v[21:22], v[3:4], v[21:22], v[91:92]
	buffer_load_dword v91, off, s[0:3], 0 offset:724
	ds_read_b128 v[1:4], v64 offset:1232
	v_add_f64 v[15:16], v[15:16], v[83:84]
	v_add_f64 v[17:18], v[17:18], v[77:78]
	s_waitcnt vmcnt(53) lgkmcnt(1)
	v_mul_f64 v[77:78], v[7:8], v[65:66]
	v_mul_f64 v[65:66], v[9:10], v[65:66]
	s_waitcnt vmcnt(52)
	v_fma_f64 v[73:74], v[11:12], v[88:89], -v[73:74]
	v_add_f64 v[15:16], v[15:16], v[27:28]
	v_fma_f64 v[27:28], v[13:14], v[88:89], v[79:80]
	v_add_f64 v[17:18], v[17:18], v[21:22]
	ds_read_b128 v[11:14], v64 offset:1248
	s_waitcnt vmcnt(51) lgkmcnt(1)
	v_mul_f64 v[21:22], v[1:2], v[67:68]
	v_mul_f64 v[67:68], v[3:4], v[67:68]
	s_waitcnt vmcnt(49)
	v_fma_f64 v[65:66], v[7:8], v[23:24], -v[65:66]
	v_fma_f64 v[23:24], v[9:10], v[23:24], v[77:78]
	v_add_f64 v[15:16], v[15:16], v[73:74]
	v_add_f64 v[17:18], v[17:18], v[27:28]
	s_clause 0x3
	buffer_load_dword v27, off, s[0:3], 0 offset:160
	buffer_load_dword v28, off, s[0:3], 0 offset:164
	;; [unrolled: 1-line block ×4, first 2 shown]
	ds_read_b128 v[7:10], v64 offset:1264
	s_waitcnt vmcnt(49) lgkmcnt(1)
	v_mul_f64 v[77:78], v[11:12], v[19:20]
	v_mul_f64 v[19:20], v[13:14], v[19:20]
	s_waitcnt vmcnt(48)
	v_fma_f64 v[67:68], v[1:2], v[75:76], -v[67:68]
	v_fma_f64 v[21:22], v[3:4], v[75:76], v[21:22]
	ds_read_b128 v[1:4], v64 offset:1280
	v_add_f64 v[15:16], v[15:16], v[65:66]
	v_add_f64 v[17:18], v[17:18], v[23:24]
	s_waitcnt vmcnt(47) lgkmcnt(1)
	v_mul_f64 v[23:24], v[7:8], v[39:40]
	v_mul_f64 v[39:40], v[9:10], v[39:40]
	s_waitcnt vmcnt(45)
	v_fma_f64 v[19:20], v[11:12], v[29:30], -v[19:20]
	v_fma_f64 v[29:30], v[13:14], v[29:30], v[77:78]
	ds_read_b128 v[11:14], v64 offset:1296
	v_add_f64 v[15:16], v[15:16], v[67:68]
	v_add_f64 v[17:18], v[17:18], v[21:22]
	s_waitcnt vmcnt(41) lgkmcnt(1)
	v_mul_f64 v[21:22], v[1:2], v[25:26]
	v_mul_f64 v[25:26], v[3:4], v[25:26]
	s_waitcnt vmcnt(40)
	v_fma_f64 v[39:40], v[7:8], v[69:70], -v[39:40]
	v_add_f64 v[15:16], v[15:16], v[19:20]
	v_fma_f64 v[19:20], v[9:10], v[69:70], v[23:24]
	v_add_f64 v[17:18], v[17:18], v[29:30]
	ds_read_b128 v[7:10], v64 offset:1312
	s_waitcnt vmcnt(39) lgkmcnt(1)
	v_mul_f64 v[29:30], v[13:14], v[45:46]
	v_mul_f64 v[23:24], v[11:12], v[45:46]
	s_waitcnt vmcnt(37)
	v_fma_f64 v[21:22], v[3:4], v[35:36], v[21:22]
	v_fma_f64 v[25:26], v[1:2], v[35:36], -v[25:26]
	ds_read_b128 v[1:4], v64 offset:1328
	v_add_f64 v[15:16], v[15:16], v[39:40]
	v_add_f64 v[17:18], v[17:18], v[19:20]
	s_waitcnt vmcnt(33) lgkmcnt(1)
	v_mul_f64 v[19:20], v[7:8], v[31:32]
	v_mul_f64 v[31:32], v[9:10], v[31:32]
	s_waitcnt vmcnt(32)
	v_fma_f64 v[29:30], v[11:12], v[47:48], -v[29:30]
	v_fma_f64 v[23:24], v[13:14], v[47:48], v[23:24]
	ds_read_b128 v[11:14], v64 offset:1344
	v_add_f64 v[15:16], v[15:16], v[25:26]
	v_add_f64 v[17:18], v[17:18], v[21:22]
	s_waitcnt vmcnt(31) lgkmcnt(1)
	v_mul_f64 v[25:26], v[3:4], v[53:54]
	v_mul_f64 v[21:22], v[1:2], v[53:54]
	s_waitcnt vmcnt(29)
	v_fma_f64 v[31:32], v[7:8], v[33:34], -v[31:32]
	v_fma_f64 v[19:20], v[9:10], v[33:34], v[19:20]
	ds_read_b128 v[7:10], v64 offset:1360
	v_add_f64 v[15:16], v[15:16], v[29:30]
	v_add_f64 v[17:18], v[17:18], v[23:24]
	s_waitcnt vmcnt(25) lgkmcnt(1)
	v_mul_f64 v[29:30], v[13:14], v[37:38]
	s_waitcnt vmcnt(24)
	v_fma_f64 v[25:26], v[1:2], v[55:56], -v[25:26]
	v_mul_f64 v[23:24], v[11:12], v[37:38]
	v_fma_f64 v[21:22], v[3:4], v[55:56], v[21:22]
	ds_read_b128 v[1:4], v64 offset:1376
	v_add_f64 v[15:16], v[15:16], v[31:32]
	v_add_f64 v[17:18], v[17:18], v[19:20]
	s_waitcnt vmcnt(23) lgkmcnt(1)
	v_mul_f64 v[31:32], v[9:10], v[59:60]
	v_mul_f64 v[19:20], v[7:8], v[59:60]
	s_waitcnt vmcnt(21)
	v_fma_f64 v[29:30], v[11:12], v[41:42], -v[29:30]
	v_fma_f64 v[23:24], v[13:14], v[41:42], v[23:24]
	ds_read_b128 v[11:14], v64 offset:1392
	v_add_f64 v[15:16], v[15:16], v[25:26]
	v_add_f64 v[17:18], v[17:18], v[21:22]
	s_waitcnt vmcnt(17) lgkmcnt(1)
	v_mul_f64 v[25:26], v[3:4], v[43:44]
	s_waitcnt vmcnt(16)
	v_fma_f64 v[31:32], v[7:8], v[61:62], -v[31:32]
	v_mul_f64 v[21:22], v[1:2], v[43:44]
	;; [unrolled: 18-line block ×3, first 2 shown]
	v_fma_f64 v[13:14], v[13:14], v[85:86], v[23:24]
	v_add_f64 v[15:16], v[15:16], v[25:26]
	v_add_f64 v[17:18], v[17:18], v[21:22]
	s_waitcnt vmcnt(7) lgkmcnt(0)
	v_mul_f64 v[23:24], v[3:4], v[71:72]
	v_mul_f64 v[21:22], v[1:2], v[71:72]
	s_waitcnt vmcnt(5)
	v_fma_f64 v[7:8], v[7:8], v[57:58], -v[31:32]
	v_fma_f64 v[9:10], v[9:10], v[57:58], v[19:20]
	v_add_f64 v[11:12], v[15:16], v[11:12]
	v_add_f64 v[13:14], v[17:18], v[13:14]
	s_waitcnt vmcnt(4)
	v_fma_f64 v[1:2], v[1:2], v[90:91], -v[23:24]
	v_fma_f64 v[3:4], v[3:4], v[90:91], v[21:22]
	v_add_f64 v[7:8], v[11:12], v[7:8]
	v_add_f64 v[9:10], v[13:14], v[9:10]
	;; [unrolled: 1-line block ×4, first 2 shown]
	s_waitcnt vmcnt(2)
	v_add_f64 v[1:2], v[27:28], -v[1:2]
	s_waitcnt vmcnt(0)
	v_add_f64 v[3:4], v[73:74], -v[3:4]
	buffer_store_dword v2, off, s[0:3], 0 offset:164
	buffer_store_dword v1, off, s[0:3], 0 offset:160
	;; [unrolled: 1-line block ×4, first 2 shown]
	v_cmpx_lt_u32_e32 8, v0
	s_cbranch_execz .LBB44_267
; %bb.266:
	v_mov_b32_e32 v4, s41
	s_clause 0x3
	buffer_load_dword v1, v4, s[0:3], 0 offen
	buffer_load_dword v2, v4, s[0:3], 0 offen offset:4
	buffer_load_dword v3, v4, s[0:3], 0 offen offset:8
	;; [unrolled: 1-line block ×3, first 2 shown]
	buffer_store_dword v64, off, s[0:3], 0 offset:144
	buffer_store_dword v64, off, s[0:3], 0 offset:148
	;; [unrolled: 1-line block ×4, first 2 shown]
	s_waitcnt vmcnt(0)
	ds_write_b128 v63, v[1:4]
.LBB44_267:
	s_or_b32 exec_lo, exec_lo, s4
	s_waitcnt lgkmcnt(0)
	s_waitcnt_vscnt null, 0x0
	s_barrier
	buffer_gl0_inv
	s_clause 0x37
	buffer_load_dword v11, off, s[0:3], 0 offset:168
	buffer_load_dword v12, off, s[0:3], 0 offset:172
	;; [unrolled: 1-line block ×56, first 2 shown]
	ds_read_b128 v[65:68], v64 offset:864
	s_clause 0x2
	buffer_load_dword v60, off, s[0:3], 0 offset:396
	buffer_load_dword v62, off, s[0:3], 0 offset:372
	;; [unrolled: 1-line block ×3, first 2 shown]
	ds_read_b128 v[69:72], v64 offset:880
	s_clause 0x4
	buffer_load_dword v80, off, s[0:3], 0 offset:412
	buffer_load_dword v81, off, s[0:3], 0 offset:424
	;; [unrolled: 1-line block ×5, first 2 shown]
	ds_read_b128 v[73:76], v64 offset:896
	s_clause 0x2
	buffer_load_dword v82, off, s[0:3], 0 offset:428
	buffer_load_dword v87, off, s[0:3], 0 offset:404
	buffer_load_dword v86, off, s[0:3], 0 offset:400
	s_mov_b32 s4, exec_lo
	s_waitcnt vmcnt(62) lgkmcnt(2)
	v_mul_f64 v[77:78], v[67:68], v[11:12]
	v_mul_f64 v[11:12], v[65:66], v[11:12]
	s_waitcnt lgkmcnt(1)
	v_mul_f64 v[84:85], v[71:72], v[7:8]
	s_waitcnt vmcnt(59) lgkmcnt(0)
	v_mul_f64 v[88:89], v[75:76], v[3:4]
	v_fma_f64 v[65:66], v[65:66], v[9:10], -v[77:78]
	v_mul_f64 v[77:78], v[69:70], v[7:8]
	v_fma_f64 v[11:12], v[67:68], v[9:10], v[11:12]
	s_waitcnt vmcnt(57)
	v_fma_f64 v[69:70], v[69:70], v[1:2], -v[84:85]
	ds_read_b128 v[7:10], v64 offset:912
	v_mul_f64 v[67:68], v[73:74], v[3:4]
	s_waitcnt vmcnt(51)
	v_fma_f64 v[73:74], v[73:74], v[27:28], -v[88:89]
	v_add_f64 v[65:66], v[65:66], 0
	v_fma_f64 v[71:72], v[71:72], v[1:2], v[77:78]
	v_add_f64 v[11:12], v[11:12], 0
	s_clause 0x4
	buffer_load_dword v78, off, s[0:3], 0 offset:444
	buffer_load_dword v90, off, s[0:3], 0 offset:456
	;; [unrolled: 1-line block ×5, first 2 shown]
	s_waitcnt lgkmcnt(0)
	v_mul_f64 v[182:183], v[7:8], v[15:16]
	v_mul_f64 v[15:16], v[9:10], v[15:16]
	ds_read_b128 v[1:4], v64 offset:928
	v_fma_f64 v[27:28], v[75:76], v[27:28], v[67:68]
	v_add_f64 v[69:70], v[65:66], v[69:70]
	v_add_f64 v[11:12], v[11:12], v[71:72]
	s_clause 0x2
	buffer_load_dword v91, off, s[0:3], 0 offset:460
	buffer_load_dword v72, off, s[0:3], 0 offset:436
	;; [unrolled: 1-line block ×3, first 2 shown]
	s_waitcnt vmcnt(58) lgkmcnt(0)
	v_mul_f64 v[75:76], v[1:2], v[19:20]
	v_mul_f64 v[19:20], v[3:4], v[19:20]
	s_waitcnt vmcnt(56)
	v_fma_f64 v[15:16], v[7:8], v[21:22], -v[15:16]
	ds_read_b128 v[65:68], v64 offset:944
	v_fma_f64 v[21:22], v[9:10], v[21:22], v[182:183]
	v_add_f64 v[69:70], v[69:70], v[73:74]
	v_add_f64 v[11:12], v[11:12], v[27:28]
	s_clause 0x4
	buffer_load_dword v28, off, s[0:3], 0 offset:476
	buffer_load_dword v73, off, s[0:3], 0 offset:488
	;; [unrolled: 1-line block ×5, first 2 shown]
	ds_read_b128 v[7:10], v64 offset:960
	s_waitcnt vmcnt(57) lgkmcnt(1)
	v_mul_f64 v[183:184], v[65:66], v[23:24]
	v_mul_f64 v[23:24], v[67:68], v[23:24]
	s_waitcnt vmcnt(56)
	v_fma_f64 v[19:20], v[1:2], v[13:14], -v[19:20]
	v_fma_f64 v[13:14], v[3:4], v[13:14], v[75:76]
	v_add_f64 v[15:16], v[69:70], v[15:16]
	v_add_f64 v[11:12], v[11:12], v[21:22]
	s_clause 0x2
	buffer_load_dword v74, off, s[0:3], 0 offset:492
	buffer_load_dword v22, off, s[0:3], 0 offset:468
	;; [unrolled: 1-line block ×3, first 2 shown]
	s_waitcnt vmcnt(58) lgkmcnt(0)
	v_mul_f64 v[69:70], v[7:8], v[29:30]
	v_mul_f64 v[29:30], v[9:10], v[29:30]
	s_waitcnt vmcnt(56)
	v_fma_f64 v[23:24], v[65:66], v[31:32], -v[23:24]
	ds_read_b128 v[1:4], v64 offset:976
	v_add_f64 v[15:16], v[15:16], v[19:20]
	v_fma_f64 v[19:20], v[67:68], v[31:32], v[183:184]
	v_add_f64 v[31:32], v[11:12], v[13:14]
	s_clause 0x4
	buffer_load_dword v66, off, s[0:3], 0 offset:508
	buffer_load_dword v67, off, s[0:3], 0 offset:520
	;; [unrolled: 1-line block ×5, first 2 shown]
	ds_read_b128 v[11:14], v64 offset:992
	s_waitcnt vmcnt(57) lgkmcnt(1)
	v_mul_f64 v[183:184], v[1:2], v[33:34]
	v_mul_f64 v[33:34], v[3:4], v[33:34]
	s_waitcnt vmcnt(56)
	v_fma_f64 v[29:30], v[7:8], v[17:18], -v[29:30]
	v_fma_f64 v[17:18], v[9:10], v[17:18], v[69:70]
	v_add_f64 v[15:16], v[15:16], v[23:24]
	s_clause 0x2
	buffer_load_dword v68, off, s[0:3], 0 offset:524
	buffer_load_dword v24, off, s[0:3], 0 offset:500
	;; [unrolled: 1-line block ×3, first 2 shown]
	v_add_f64 v[19:20], v[31:32], v[19:20]
	s_waitcnt vmcnt(58) lgkmcnt(0)
	v_mul_f64 v[31:32], v[11:12], v[37:38]
	v_mul_f64 v[37:38], v[13:14], v[37:38]
	ds_read_b128 v[7:10], v64 offset:1008
	s_waitcnt vmcnt(56)
	v_fma_f64 v[33:34], v[1:2], v[39:40], -v[33:34]
	v_add_f64 v[15:16], v[15:16], v[29:30]
	v_fma_f64 v[29:30], v[3:4], v[39:40], v[183:184]
	v_add_f64 v[17:18], v[19:20], v[17:18]
	s_clause 0x4
	buffer_load_dword v20, off, s[0:3], 0 offset:540
	buffer_load_dword v39, off, s[0:3], 0 offset:552
	;; [unrolled: 1-line block ×5, first 2 shown]
	s_waitcnt vmcnt(57) lgkmcnt(0)
	v_mul_f64 v[183:184], v[7:8], v[41:42]
	v_mul_f64 v[41:42], v[9:10], v[41:42]
	s_waitcnt vmcnt(56)
	v_fma_f64 v[37:38], v[11:12], v[25:26], -v[37:38]
	ds_read_b128 v[1:4], v64 offset:1024
	v_fma_f64 v[25:26], v[13:14], v[25:26], v[31:32]
	v_add_f64 v[15:16], v[15:16], v[33:34]
	v_add_f64 v[17:18], v[17:18], v[29:30]
	s_clause 0x2
	buffer_load_dword v40, off, s[0:3], 0 offset:556
	buffer_load_dword v30, off, s[0:3], 0 offset:532
	;; [unrolled: 1-line block ×3, first 2 shown]
	ds_read_b128 v[11:14], v64 offset:1040
	s_waitcnt vmcnt(58) lgkmcnt(1)
	v_mul_f64 v[33:34], v[3:4], v[45:46]
	s_waitcnt vmcnt(56)
	v_fma_f64 v[41:42], v[7:8], v[47:48], -v[41:42]
	v_mul_f64 v[31:32], v[1:2], v[45:46]
	v_add_f64 v[15:16], v[15:16], v[37:38]
	v_fma_f64 v[37:38], v[9:10], v[47:48], v[183:184]
	v_add_f64 v[17:18], v[17:18], v[25:26]
	s_clause 0x4
	buffer_load_dword v26, off, s[0:3], 0 offset:572
	buffer_load_dword v45, off, s[0:3], 0 offset:584
	;; [unrolled: 1-line block ×5, first 2 shown]
	s_waitcnt vmcnt(57) lgkmcnt(0)
	v_mul_f64 v[183:184], v[11:12], v[49:50]
	v_mul_f64 v[48:49], v[13:14], v[49:50]
	s_waitcnt vmcnt(56)
	v_fma_f64 v[33:34], v[1:2], v[35:36], -v[33:34]
	ds_read_b128 v[7:10], v64 offset:1056
	v_fma_f64 v[31:32], v[3:4], v[35:36], v[31:32]
	s_clause 0x2
	buffer_load_dword v46, off, s[0:3], 0 offset:588
	buffer_load_dword v36, off, s[0:3], 0 offset:564
	;; [unrolled: 1-line block ×3, first 2 shown]
	ds_read_b128 v[1:4], v64 offset:1072
	v_add_f64 v[15:16], v[15:16], v[41:42]
	v_add_f64 v[17:18], v[17:18], v[37:38]
	s_waitcnt vmcnt(58) lgkmcnt(1)
	v_mul_f64 v[41:42], v[9:10], v[53:54]
	s_waitcnt vmcnt(56)
	v_fma_f64 v[49:50], v[11:12], v[55:56], -v[48:49]
	v_mul_f64 v[37:38], v[7:8], v[53:54]
	v_add_f64 v[15:16], v[15:16], v[33:34]
	v_fma_f64 v[33:34], v[13:14], v[55:56], v[183:184]
	v_add_f64 v[17:18], v[17:18], v[31:32]
	s_clause 0x4
	buffer_load_dword v32, off, s[0:3], 0 offset:604
	buffer_load_dword v53, off, s[0:3], 0 offset:616
	;; [unrolled: 1-line block ×5, first 2 shown]
	s_waitcnt vmcnt(57) lgkmcnt(0)
	v_mul_f64 v[183:184], v[1:2], v[57:58]
	v_mul_f64 v[56:57], v[3:4], v[57:58]
	s_waitcnt vmcnt(56)
	v_fma_f64 v[41:42], v[7:8], v[43:44], -v[41:42]
	ds_read_b128 v[11:14], v64 offset:1088
	v_fma_f64 v[37:38], v[9:10], v[43:44], v[37:38]
	v_add_f64 v[15:16], v[15:16], v[49:50]
	v_add_f64 v[17:18], v[17:18], v[33:34]
	s_clause 0x2
	buffer_load_dword v54, off, s[0:3], 0 offset:620
	buffer_load_dword v34, off, s[0:3], 0 offset:596
	;; [unrolled: 1-line block ×3, first 2 shown]
	ds_read_b128 v[7:10], v64 offset:1104
	s_waitcnt vmcnt(58) lgkmcnt(1)
	v_mul_f64 v[49:50], v[13:14], v[59:60]
	s_waitcnt vmcnt(56)
	v_fma_f64 v[57:58], v[1:2], v[61:62], -v[56:57]
	v_mul_f64 v[43:44], v[11:12], v[59:60]
	v_add_f64 v[15:16], v[15:16], v[41:42]
	v_fma_f64 v[41:42], v[3:4], v[61:62], v[183:184]
	v_add_f64 v[17:18], v[17:18], v[37:38]
	s_clause 0x4
	buffer_load_dword v38, off, s[0:3], 0 offset:636
	buffer_load_dword v59, off, s[0:3], 0 offset:648
	;; [unrolled: 1-line block ×5, first 2 shown]
	s_waitcnt vmcnt(57) lgkmcnt(0)
	v_mul_f64 v[183:184], v[7:8], v[79:80]
	v_mul_f64 v[79:80], v[9:10], v[79:80]
	s_waitcnt vmcnt(56)
	v_fma_f64 v[49:50], v[11:12], v[51:52], -v[49:50]
	ds_read_b128 v[1:4], v64 offset:1120
	v_fma_f64 v[43:44], v[13:14], v[51:52], v[43:44]
	v_add_f64 v[15:16], v[15:16], v[57:58]
	v_add_f64 v[17:18], v[17:18], v[41:42]
	s_clause 0x2
	buffer_load_dword v60, off, s[0:3], 0 offset:652
	buffer_load_dword v42, off, s[0:3], 0 offset:628
	;; [unrolled: 1-line block ×3, first 2 shown]
	ds_read_b128 v[11:14], v64 offset:1136
	s_waitcnt vmcnt(58) lgkmcnt(1)
	v_mul_f64 v[57:58], v[3:4], v[81:82]
	s_waitcnt vmcnt(56)
	v_fma_f64 v[79:80], v[7:8], v[86:87], -v[79:80]
	v_mul_f64 v[51:52], v[1:2], v[81:82]
	v_add_f64 v[15:16], v[15:16], v[49:50]
	v_fma_f64 v[49:50], v[9:10], v[86:87], v[183:184]
	v_add_f64 v[17:18], v[17:18], v[43:44]
	s_clause 0x4
	buffer_load_dword v44, off, s[0:3], 0 offset:668
	buffer_load_dword v81, off, s[0:3], 0 offset:680
	;; [unrolled: 1-line block ×5, first 2 shown]
	ds_read_b128 v[7:10], v64 offset:1152
	s_waitcnt vmcnt(57) lgkmcnt(1)
	v_mul_f64 v[86:87], v[11:12], v[77:78]
	v_mul_f64 v[77:78], v[13:14], v[77:78]
	s_waitcnt vmcnt(56)
	v_fma_f64 v[57:58], v[1:2], v[83:84], -v[57:58]
	v_fma_f64 v[51:52], v[3:4], v[83:84], v[51:52]
	v_add_f64 v[15:16], v[15:16], v[79:80]
	v_add_f64 v[17:18], v[17:18], v[49:50]
	s_clause 0x2
	buffer_load_dword v82, off, s[0:3], 0 offset:684
	buffer_load_dword v50, off, s[0:3], 0 offset:660
	;; [unrolled: 1-line block ×3, first 2 shown]
	ds_read_b128 v[1:4], v64 offset:1168
	s_waitcnt vmcnt(58) lgkmcnt(1)
	v_mul_f64 v[83:84], v[9:10], v[90:91]
	v_mul_f64 v[79:80], v[7:8], v[90:91]
	s_waitcnt vmcnt(56)
	v_fma_f64 v[77:78], v[11:12], v[71:72], -v[77:78]
	v_add_f64 v[15:16], v[15:16], v[57:58]
	v_fma_f64 v[57:58], v[13:14], v[71:72], v[86:87]
	v_add_f64 v[17:18], v[17:18], v[51:52]
	s_clause 0x4
	buffer_load_dword v52, off, s[0:3], 0 offset:700
	buffer_load_dword v71, off, s[0:3], 0 offset:712
	;; [unrolled: 1-line block ×5, first 2 shown]
	ds_read_b128 v[11:14], v64 offset:1184
	s_waitcnt vmcnt(57) lgkmcnt(1)
	v_mul_f64 v[91:92], v[1:2], v[27:28]
	v_mul_f64 v[27:28], v[3:4], v[27:28]
	s_waitcnt vmcnt(56)
	v_fma_f64 v[83:84], v[7:8], v[181:182], -v[83:84]
	v_add_f64 v[15:16], v[15:16], v[77:78]
	v_fma_f64 v[77:78], v[9:10], v[181:182], v[79:80]
	v_add_f64 v[17:18], v[17:18], v[57:58]
	s_clause 0x2
	buffer_load_dword v72, off, s[0:3], 0 offset:716
	buffer_load_dword v58, off, s[0:3], 0 offset:692
	;; [unrolled: 1-line block ×3, first 2 shown]
	ds_read_b128 v[7:10], v64 offset:1200
	s_waitcnt vmcnt(58) lgkmcnt(1)
	v_mul_f64 v[79:80], v[11:12], v[73:74]
	v_mul_f64 v[73:74], v[13:14], v[73:74]
	s_waitcnt vmcnt(56)
	v_fma_f64 v[27:28], v[1:2], v[21:22], -v[27:28]
	v_fma_f64 v[21:22], v[3:4], v[21:22], v[91:92]
	v_add_f64 v[15:16], v[15:16], v[83:84]
	v_add_f64 v[17:18], v[17:18], v[77:78]
	s_clause 0x2
	buffer_load_dword v78, off, s[0:3], 0 offset:732
	buffer_load_dword v77, off, s[0:3], 0 offset:728
	;; [unrolled: 1-line block ×3, first 2 shown]
	ds_read_b128 v[1:4], v64 offset:1216
	s_waitcnt vmcnt(55) lgkmcnt(1)
	v_mul_f64 v[83:84], v[7:8], v[65:66]
	v_mul_f64 v[65:66], v[9:10], v[65:66]
	s_waitcnt vmcnt(54)
	v_fma_f64 v[73:74], v[11:12], v[88:89], -v[73:74]
	v_add_f64 v[15:16], v[15:16], v[27:28]
	v_fma_f64 v[27:28], v[13:14], v[88:89], v[79:80]
	v_add_f64 v[17:18], v[17:18], v[21:22]
	s_clause 0x1
	buffer_load_dword v22, off, s[0:3], 0 offset:724
	buffer_load_dword v21, off, s[0:3], 0 offset:720
	ds_read_b128 v[11:14], v64 offset:1232
	s_waitcnt vmcnt(55) lgkmcnt(1)
	v_mul_f64 v[79:80], v[1:2], v[67:68]
	v_mul_f64 v[67:68], v[3:4], v[67:68]
	s_waitcnt vmcnt(53)
	v_fma_f64 v[65:66], v[7:8], v[23:24], -v[65:66]
	v_fma_f64 v[23:24], v[9:10], v[23:24], v[83:84]
	ds_read_b128 v[7:10], v64 offset:1248
	v_add_f64 v[15:16], v[15:16], v[73:74]
	v_add_f64 v[17:18], v[17:18], v[27:28]
	s_waitcnt vmcnt(49) lgkmcnt(1)
	v_mul_f64 v[27:28], v[11:12], v[19:20]
	v_mul_f64 v[19:20], v[13:14], v[19:20]
	s_waitcnt vmcnt(48)
	v_fma_f64 v[67:68], v[1:2], v[75:76], -v[67:68]
	v_add_f64 v[15:16], v[15:16], v[65:66]
	v_fma_f64 v[65:66], v[3:4], v[75:76], v[79:80]
	v_add_f64 v[17:18], v[17:18], v[23:24]
	s_clause 0x3
	buffer_load_dword v23, off, s[0:3], 0 offset:144
	buffer_load_dword v24, off, s[0:3], 0 offset:148
	;; [unrolled: 1-line block ×4, first 2 shown]
	ds_read_b128 v[1:4], v64 offset:1264
	s_waitcnt vmcnt(51) lgkmcnt(1)
	v_mul_f64 v[75:76], v[7:8], v[39:40]
	v_mul_f64 v[39:40], v[9:10], v[39:40]
	s_waitcnt vmcnt(49)
	v_fma_f64 v[19:20], v[11:12], v[29:30], -v[19:20]
	v_fma_f64 v[27:28], v[13:14], v[29:30], v[27:28]
	ds_read_b128 v[11:14], v64 offset:1280
	v_add_f64 v[15:16], v[15:16], v[67:68]
	v_add_f64 v[17:18], v[17:18], v[65:66]
	s_waitcnt vmcnt(45) lgkmcnt(1)
	v_mul_f64 v[29:30], v[1:2], v[25:26]
	v_mul_f64 v[25:26], v[3:4], v[25:26]
	s_waitcnt vmcnt(44)
	v_fma_f64 v[39:40], v[7:8], v[69:70], -v[39:40]
	v_add_f64 v[15:16], v[15:16], v[19:20]
	v_fma_f64 v[19:20], v[9:10], v[69:70], v[75:76]
	v_add_f64 v[17:18], v[17:18], v[27:28]
	s_waitcnt vmcnt(43) lgkmcnt(0)
	v_mul_f64 v[27:28], v[11:12], v[45:46]
	v_mul_f64 v[45:46], v[13:14], v[45:46]
	ds_read_b128 v[7:10], v64 offset:1296
	s_waitcnt vmcnt(41)
	v_fma_f64 v[29:30], v[3:4], v[35:36], v[29:30]
	v_fma_f64 v[25:26], v[1:2], v[35:36], -v[25:26]
	ds_read_b128 v[1:4], v64 offset:1312
	v_add_f64 v[15:16], v[15:16], v[39:40]
	v_add_f64 v[17:18], v[17:18], v[19:20]
	s_waitcnt vmcnt(37) lgkmcnt(1)
	v_mul_f64 v[19:20], v[7:8], v[31:32]
	v_mul_f64 v[31:32], v[9:10], v[31:32]
	s_waitcnt vmcnt(36)
	v_fma_f64 v[35:36], v[11:12], v[47:48], -v[45:46]
	v_add_f64 v[15:16], v[15:16], v[25:26]
	v_fma_f64 v[25:26], v[13:14], v[47:48], v[27:28]
	v_add_f64 v[17:18], v[17:18], v[29:30]
	ds_read_b128 v[11:14], v64 offset:1328
	s_waitcnt vmcnt(35) lgkmcnt(1)
	v_mul_f64 v[29:30], v[3:4], v[53:54]
	v_mul_f64 v[27:28], v[1:2], v[53:54]
	s_waitcnt vmcnt(33)
	v_fma_f64 v[31:32], v[7:8], v[33:34], -v[31:32]
	v_fma_f64 v[19:20], v[9:10], v[33:34], v[19:20]
	ds_read_b128 v[7:10], v64 offset:1344
	v_add_f64 v[15:16], v[15:16], v[35:36]
	v_add_f64 v[17:18], v[17:18], v[25:26]
	s_waitcnt vmcnt(29) lgkmcnt(1)
	v_mul_f64 v[33:34], v[13:14], v[37:38]
	s_waitcnt vmcnt(28)
	v_fma_f64 v[29:30], v[1:2], v[55:56], -v[29:30]
	v_mul_f64 v[25:26], v[11:12], v[37:38]
	v_fma_f64 v[27:28], v[3:4], v[55:56], v[27:28]
	ds_read_b128 v[1:4], v64 offset:1360
	v_add_f64 v[15:16], v[15:16], v[31:32]
	v_add_f64 v[17:18], v[17:18], v[19:20]
	s_waitcnt vmcnt(27) lgkmcnt(1)
	v_mul_f64 v[31:32], v[9:10], v[59:60]
	v_mul_f64 v[19:20], v[7:8], v[59:60]
	s_waitcnt vmcnt(25)
	v_fma_f64 v[33:34], v[11:12], v[41:42], -v[33:34]
	v_fma_f64 v[25:26], v[13:14], v[41:42], v[25:26]
	ds_read_b128 v[11:14], v64 offset:1376
	v_add_f64 v[15:16], v[15:16], v[29:30]
	v_add_f64 v[17:18], v[17:18], v[27:28]
	s_waitcnt vmcnt(21) lgkmcnt(1)
	v_mul_f64 v[29:30], v[3:4], v[43:44]
	s_waitcnt vmcnt(20)
	v_fma_f64 v[31:32], v[7:8], v[61:62], -v[31:32]
	v_mul_f64 v[27:28], v[1:2], v[43:44]
	v_fma_f64 v[19:20], v[9:10], v[61:62], v[19:20]
	ds_read_b128 v[7:10], v64 offset:1392
	v_add_f64 v[15:16], v[15:16], v[33:34]
	v_add_f64 v[17:18], v[17:18], v[25:26]
	;; [unrolled: 18-line block ×3, first 2 shown]
	s_waitcnt vmcnt(11) lgkmcnt(1)
	v_mul_f64 v[29:30], v[3:4], v[71:72]
	v_mul_f64 v[27:28], v[1:2], v[71:72]
	s_waitcnt vmcnt(9)
	v_fma_f64 v[7:8], v[7:8], v[57:58], -v[31:32]
	v_fma_f64 v[9:10], v[9:10], v[57:58], v[19:20]
	v_add_f64 v[15:16], v[15:16], v[33:34]
	v_add_f64 v[17:18], v[17:18], v[25:26]
	s_waitcnt vmcnt(7) lgkmcnt(0)
	v_mul_f64 v[25:26], v[13:14], v[77:78]
	s_waitcnt vmcnt(6)
	v_fma_f64 v[1:2], v[1:2], v[90:91], -v[29:30]
	v_mul_f64 v[19:20], v[11:12], v[77:78]
	v_fma_f64 v[3:4], v[3:4], v[90:91], v[27:28]
	v_add_f64 v[7:8], v[15:16], v[7:8]
	v_add_f64 v[9:10], v[17:18], v[9:10]
	s_waitcnt vmcnt(4)
	v_fma_f64 v[11:12], v[11:12], v[21:22], -v[25:26]
	v_add_f64 v[1:2], v[7:8], v[1:2]
	v_fma_f64 v[7:8], v[13:14], v[21:22], v[19:20]
	v_add_f64 v[3:4], v[9:10], v[3:4]
	v_add_f64 v[1:2], v[1:2], v[11:12]
	;; [unrolled: 1-line block ×3, first 2 shown]
	s_waitcnt vmcnt(2)
	v_add_f64 v[1:2], v[23:24], -v[1:2]
	s_waitcnt vmcnt(0)
	v_add_f64 v[3:4], v[73:74], -v[3:4]
	buffer_store_dword v2, off, s[0:3], 0 offset:148
	buffer_store_dword v1, off, s[0:3], 0 offset:144
	;; [unrolled: 1-line block ×4, first 2 shown]
	v_cmpx_lt_u32_e32 7, v0
	s_cbranch_execz .LBB44_269
; %bb.268:
	v_mov_b32_e32 v4, s43
	v_mov_b32_e32 v7, 0
	s_clause 0x3
	buffer_load_dword v1, v4, s[0:3], 0 offen
	buffer_load_dword v2, v4, s[0:3], 0 offen offset:4
	buffer_load_dword v3, v4, s[0:3], 0 offen offset:8
	;; [unrolled: 1-line block ×3, first 2 shown]
	buffer_store_dword v7, off, s[0:3], 0 offset:128
	buffer_store_dword v7, off, s[0:3], 0 offset:132
	;; [unrolled: 1-line block ×4, first 2 shown]
	s_waitcnt vmcnt(0)
	ds_write_b128 v63, v[1:4]
.LBB44_269:
	s_or_b32 exec_lo, exec_lo, s4
	s_waitcnt lgkmcnt(0)
	s_waitcnt_vscnt null, 0x0
	s_barrier
	buffer_gl0_inv
	s_clause 0x37
	buffer_load_dword v11, off, s[0:3], 0 offset:152
	buffer_load_dword v12, off, s[0:3], 0 offset:156
	;; [unrolled: 1-line block ×56, first 2 shown]
	v_mov_b32_e32 v64, 0
	s_mov_b32 s4, exec_lo
	ds_read_b128 v[65:68], v64 offset:848
	s_clause 0x2
	buffer_load_dword v60, off, s[0:3], 0 offset:380
	buffer_load_dword v62, off, s[0:3], 0 offset:356
	;; [unrolled: 1-line block ×3, first 2 shown]
	ds_read_b128 v[69:72], v64 offset:864
	s_clause 0x4
	buffer_load_dword v80, off, s[0:3], 0 offset:396
	buffer_load_dword v81, off, s[0:3], 0 offset:408
	;; [unrolled: 1-line block ×5, first 2 shown]
	ds_read_b128 v[73:76], v64 offset:880
	s_clause 0x2
	buffer_load_dword v82, off, s[0:3], 0 offset:412
	buffer_load_dword v87, off, s[0:3], 0 offset:388
	;; [unrolled: 1-line block ×3, first 2 shown]
	s_waitcnt vmcnt(62) lgkmcnt(2)
	v_mul_f64 v[77:78], v[67:68], v[11:12]
	v_mul_f64 v[11:12], v[65:66], v[11:12]
	s_waitcnt lgkmcnt(1)
	v_mul_f64 v[84:85], v[71:72], v[7:8]
	s_waitcnt vmcnt(59) lgkmcnt(0)
	v_mul_f64 v[88:89], v[75:76], v[3:4]
	v_fma_f64 v[65:66], v[65:66], v[9:10], -v[77:78]
	v_mul_f64 v[77:78], v[69:70], v[7:8]
	v_fma_f64 v[11:12], v[67:68], v[9:10], v[11:12]
	s_waitcnt vmcnt(57)
	v_fma_f64 v[69:70], v[69:70], v[1:2], -v[84:85]
	ds_read_b128 v[7:10], v64 offset:896
	v_mul_f64 v[67:68], v[73:74], v[3:4]
	s_waitcnt vmcnt(51)
	v_fma_f64 v[73:74], v[73:74], v[27:28], -v[88:89]
	v_add_f64 v[65:66], v[65:66], 0
	v_fma_f64 v[71:72], v[71:72], v[1:2], v[77:78]
	v_add_f64 v[11:12], v[11:12], 0
	s_clause 0x4
	buffer_load_dword v78, off, s[0:3], 0 offset:428
	buffer_load_dword v90, off, s[0:3], 0 offset:440
	;; [unrolled: 1-line block ×5, first 2 shown]
	s_waitcnt lgkmcnt(0)
	v_mul_f64 v[182:183], v[7:8], v[15:16]
	v_mul_f64 v[15:16], v[9:10], v[15:16]
	ds_read_b128 v[1:4], v64 offset:912
	v_fma_f64 v[27:28], v[75:76], v[27:28], v[67:68]
	v_add_f64 v[69:70], v[65:66], v[69:70]
	v_add_f64 v[11:12], v[11:12], v[71:72]
	s_clause 0x2
	buffer_load_dword v91, off, s[0:3], 0 offset:444
	buffer_load_dword v72, off, s[0:3], 0 offset:420
	;; [unrolled: 1-line block ×3, first 2 shown]
	s_waitcnt vmcnt(58) lgkmcnt(0)
	v_mul_f64 v[75:76], v[1:2], v[19:20]
	v_mul_f64 v[19:20], v[3:4], v[19:20]
	s_waitcnt vmcnt(56)
	v_fma_f64 v[15:16], v[7:8], v[21:22], -v[15:16]
	ds_read_b128 v[65:68], v64 offset:928
	v_fma_f64 v[21:22], v[9:10], v[21:22], v[182:183]
	v_add_f64 v[69:70], v[69:70], v[73:74]
	v_add_f64 v[11:12], v[11:12], v[27:28]
	s_clause 0x4
	buffer_load_dword v28, off, s[0:3], 0 offset:460
	buffer_load_dword v73, off, s[0:3], 0 offset:472
	;; [unrolled: 1-line block ×5, first 2 shown]
	ds_read_b128 v[7:10], v64 offset:944
	s_waitcnt vmcnt(57) lgkmcnt(1)
	v_mul_f64 v[183:184], v[65:66], v[23:24]
	v_mul_f64 v[23:24], v[67:68], v[23:24]
	s_waitcnt vmcnt(56)
	v_fma_f64 v[19:20], v[1:2], v[13:14], -v[19:20]
	v_fma_f64 v[13:14], v[3:4], v[13:14], v[75:76]
	v_add_f64 v[15:16], v[69:70], v[15:16]
	v_add_f64 v[11:12], v[11:12], v[21:22]
	s_clause 0x2
	buffer_load_dword v74, off, s[0:3], 0 offset:476
	buffer_load_dword v22, off, s[0:3], 0 offset:452
	;; [unrolled: 1-line block ×3, first 2 shown]
	s_waitcnt vmcnt(58) lgkmcnt(0)
	v_mul_f64 v[69:70], v[7:8], v[29:30]
	v_mul_f64 v[29:30], v[9:10], v[29:30]
	s_waitcnt vmcnt(56)
	v_fma_f64 v[23:24], v[65:66], v[31:32], -v[23:24]
	ds_read_b128 v[1:4], v64 offset:960
	v_add_f64 v[15:16], v[15:16], v[19:20]
	v_fma_f64 v[19:20], v[67:68], v[31:32], v[183:184]
	v_add_f64 v[31:32], v[11:12], v[13:14]
	s_clause 0x4
	buffer_load_dword v66, off, s[0:3], 0 offset:492
	buffer_load_dword v67, off, s[0:3], 0 offset:504
	;; [unrolled: 1-line block ×5, first 2 shown]
	ds_read_b128 v[11:14], v64 offset:976
	s_waitcnt vmcnt(57) lgkmcnt(1)
	v_mul_f64 v[183:184], v[1:2], v[33:34]
	v_mul_f64 v[33:34], v[3:4], v[33:34]
	s_waitcnt vmcnt(56)
	v_fma_f64 v[29:30], v[7:8], v[17:18], -v[29:30]
	v_fma_f64 v[17:18], v[9:10], v[17:18], v[69:70]
	v_add_f64 v[15:16], v[15:16], v[23:24]
	s_clause 0x2
	buffer_load_dword v68, off, s[0:3], 0 offset:508
	buffer_load_dword v24, off, s[0:3], 0 offset:484
	;; [unrolled: 1-line block ×3, first 2 shown]
	v_add_f64 v[19:20], v[31:32], v[19:20]
	s_waitcnt vmcnt(58) lgkmcnt(0)
	v_mul_f64 v[31:32], v[11:12], v[37:38]
	v_mul_f64 v[37:38], v[13:14], v[37:38]
	ds_read_b128 v[7:10], v64 offset:992
	s_waitcnt vmcnt(56)
	v_fma_f64 v[33:34], v[1:2], v[39:40], -v[33:34]
	v_add_f64 v[15:16], v[15:16], v[29:30]
	v_fma_f64 v[29:30], v[3:4], v[39:40], v[183:184]
	v_add_f64 v[17:18], v[19:20], v[17:18]
	s_clause 0x4
	buffer_load_dword v20, off, s[0:3], 0 offset:524
	buffer_load_dword v39, off, s[0:3], 0 offset:536
	;; [unrolled: 1-line block ×5, first 2 shown]
	s_waitcnt vmcnt(57) lgkmcnt(0)
	v_mul_f64 v[183:184], v[7:8], v[41:42]
	v_mul_f64 v[41:42], v[9:10], v[41:42]
	s_waitcnt vmcnt(56)
	v_fma_f64 v[37:38], v[11:12], v[25:26], -v[37:38]
	ds_read_b128 v[1:4], v64 offset:1008
	v_fma_f64 v[25:26], v[13:14], v[25:26], v[31:32]
	v_add_f64 v[15:16], v[15:16], v[33:34]
	v_add_f64 v[17:18], v[17:18], v[29:30]
	s_clause 0x2
	buffer_load_dword v40, off, s[0:3], 0 offset:540
	buffer_load_dword v30, off, s[0:3], 0 offset:516
	;; [unrolled: 1-line block ×3, first 2 shown]
	ds_read_b128 v[11:14], v64 offset:1024
	s_waitcnt vmcnt(58) lgkmcnt(1)
	v_mul_f64 v[33:34], v[3:4], v[45:46]
	s_waitcnt vmcnt(56)
	v_fma_f64 v[41:42], v[7:8], v[47:48], -v[41:42]
	v_mul_f64 v[31:32], v[1:2], v[45:46]
	v_add_f64 v[15:16], v[15:16], v[37:38]
	v_fma_f64 v[37:38], v[9:10], v[47:48], v[183:184]
	v_add_f64 v[17:18], v[17:18], v[25:26]
	s_clause 0x4
	buffer_load_dword v26, off, s[0:3], 0 offset:556
	buffer_load_dword v45, off, s[0:3], 0 offset:568
	;; [unrolled: 1-line block ×5, first 2 shown]
	s_waitcnt vmcnt(57) lgkmcnt(0)
	v_mul_f64 v[183:184], v[11:12], v[49:50]
	v_mul_f64 v[48:49], v[13:14], v[49:50]
	s_waitcnt vmcnt(56)
	v_fma_f64 v[33:34], v[1:2], v[35:36], -v[33:34]
	ds_read_b128 v[7:10], v64 offset:1040
	v_fma_f64 v[31:32], v[3:4], v[35:36], v[31:32]
	s_clause 0x2
	buffer_load_dword v46, off, s[0:3], 0 offset:572
	buffer_load_dword v36, off, s[0:3], 0 offset:548
	;; [unrolled: 1-line block ×3, first 2 shown]
	ds_read_b128 v[1:4], v64 offset:1056
	v_add_f64 v[15:16], v[15:16], v[41:42]
	v_add_f64 v[17:18], v[17:18], v[37:38]
	s_waitcnt vmcnt(58) lgkmcnt(1)
	v_mul_f64 v[41:42], v[9:10], v[53:54]
	s_waitcnt vmcnt(56)
	v_fma_f64 v[49:50], v[11:12], v[55:56], -v[48:49]
	v_mul_f64 v[37:38], v[7:8], v[53:54]
	v_add_f64 v[15:16], v[15:16], v[33:34]
	v_fma_f64 v[33:34], v[13:14], v[55:56], v[183:184]
	v_add_f64 v[17:18], v[17:18], v[31:32]
	s_clause 0x4
	buffer_load_dword v32, off, s[0:3], 0 offset:588
	buffer_load_dword v53, off, s[0:3], 0 offset:600
	;; [unrolled: 1-line block ×5, first 2 shown]
	s_waitcnt vmcnt(57) lgkmcnt(0)
	v_mul_f64 v[183:184], v[1:2], v[57:58]
	v_mul_f64 v[56:57], v[3:4], v[57:58]
	s_waitcnt vmcnt(56)
	v_fma_f64 v[41:42], v[7:8], v[43:44], -v[41:42]
	ds_read_b128 v[11:14], v64 offset:1072
	v_fma_f64 v[37:38], v[9:10], v[43:44], v[37:38]
	v_add_f64 v[15:16], v[15:16], v[49:50]
	v_add_f64 v[17:18], v[17:18], v[33:34]
	s_clause 0x2
	buffer_load_dword v54, off, s[0:3], 0 offset:604
	buffer_load_dword v34, off, s[0:3], 0 offset:580
	;; [unrolled: 1-line block ×3, first 2 shown]
	ds_read_b128 v[7:10], v64 offset:1088
	s_waitcnt vmcnt(58) lgkmcnt(1)
	v_mul_f64 v[49:50], v[13:14], v[59:60]
	s_waitcnt vmcnt(56)
	v_fma_f64 v[57:58], v[1:2], v[61:62], -v[56:57]
	v_mul_f64 v[43:44], v[11:12], v[59:60]
	v_add_f64 v[15:16], v[15:16], v[41:42]
	v_fma_f64 v[41:42], v[3:4], v[61:62], v[183:184]
	v_add_f64 v[17:18], v[17:18], v[37:38]
	s_clause 0x4
	buffer_load_dword v38, off, s[0:3], 0 offset:620
	buffer_load_dword v59, off, s[0:3], 0 offset:632
	buffer_load_dword v61, off, s[0:3], 0 offset:624
	buffer_load_dword v37, off, s[0:3], 0 offset:616
	buffer_load_dword v56, off, s[0:3], 0 offset:596
	s_waitcnt vmcnt(57) lgkmcnt(0)
	v_mul_f64 v[183:184], v[7:8], v[79:80]
	v_mul_f64 v[79:80], v[9:10], v[79:80]
	s_waitcnt vmcnt(56)
	v_fma_f64 v[49:50], v[11:12], v[51:52], -v[49:50]
	ds_read_b128 v[1:4], v64 offset:1104
	v_fma_f64 v[43:44], v[13:14], v[51:52], v[43:44]
	v_add_f64 v[15:16], v[15:16], v[57:58]
	v_add_f64 v[17:18], v[17:18], v[41:42]
	s_clause 0x2
	buffer_load_dword v60, off, s[0:3], 0 offset:636
	buffer_load_dword v42, off, s[0:3], 0 offset:612
	;; [unrolled: 1-line block ×3, first 2 shown]
	ds_read_b128 v[11:14], v64 offset:1120
	s_waitcnt vmcnt(58) lgkmcnt(1)
	v_mul_f64 v[57:58], v[3:4], v[81:82]
	s_waitcnt vmcnt(56)
	v_fma_f64 v[79:80], v[7:8], v[86:87], -v[79:80]
	v_mul_f64 v[51:52], v[1:2], v[81:82]
	v_add_f64 v[15:16], v[15:16], v[49:50]
	v_fma_f64 v[49:50], v[9:10], v[86:87], v[183:184]
	v_add_f64 v[17:18], v[17:18], v[43:44]
	s_clause 0x4
	buffer_load_dword v44, off, s[0:3], 0 offset:652
	buffer_load_dword v81, off, s[0:3], 0 offset:664
	;; [unrolled: 1-line block ×5, first 2 shown]
	ds_read_b128 v[7:10], v64 offset:1136
	s_waitcnt vmcnt(57) lgkmcnt(1)
	v_mul_f64 v[86:87], v[11:12], v[77:78]
	v_mul_f64 v[77:78], v[13:14], v[77:78]
	s_waitcnt vmcnt(56)
	v_fma_f64 v[57:58], v[1:2], v[83:84], -v[57:58]
	v_fma_f64 v[51:52], v[3:4], v[83:84], v[51:52]
	v_add_f64 v[15:16], v[15:16], v[79:80]
	v_add_f64 v[17:18], v[17:18], v[49:50]
	s_clause 0x2
	buffer_load_dword v82, off, s[0:3], 0 offset:668
	buffer_load_dword v50, off, s[0:3], 0 offset:644
	;; [unrolled: 1-line block ×3, first 2 shown]
	ds_read_b128 v[1:4], v64 offset:1152
	s_waitcnt vmcnt(58) lgkmcnt(1)
	v_mul_f64 v[83:84], v[9:10], v[90:91]
	v_mul_f64 v[79:80], v[7:8], v[90:91]
	s_waitcnt vmcnt(56)
	v_fma_f64 v[77:78], v[11:12], v[71:72], -v[77:78]
	v_add_f64 v[15:16], v[15:16], v[57:58]
	v_fma_f64 v[57:58], v[13:14], v[71:72], v[86:87]
	v_add_f64 v[17:18], v[17:18], v[51:52]
	s_clause 0x4
	buffer_load_dword v52, off, s[0:3], 0 offset:684
	buffer_load_dword v71, off, s[0:3], 0 offset:696
	;; [unrolled: 1-line block ×5, first 2 shown]
	ds_read_b128 v[11:14], v64 offset:1168
	s_waitcnt vmcnt(57) lgkmcnt(1)
	v_mul_f64 v[91:92], v[1:2], v[27:28]
	v_mul_f64 v[27:28], v[3:4], v[27:28]
	s_waitcnt vmcnt(56)
	v_fma_f64 v[83:84], v[7:8], v[181:182], -v[83:84]
	v_add_f64 v[15:16], v[15:16], v[77:78]
	v_fma_f64 v[77:78], v[9:10], v[181:182], v[79:80]
	v_add_f64 v[17:18], v[17:18], v[57:58]
	s_clause 0x2
	buffer_load_dword v72, off, s[0:3], 0 offset:700
	buffer_load_dword v58, off, s[0:3], 0 offset:676
	buffer_load_dword v57, off, s[0:3], 0 offset:672
	ds_read_b128 v[7:10], v64 offset:1184
	s_waitcnt vmcnt(58) lgkmcnt(1)
	v_mul_f64 v[79:80], v[11:12], v[73:74]
	v_mul_f64 v[73:74], v[13:14], v[73:74]
	s_waitcnt vmcnt(56)
	v_fma_f64 v[27:28], v[1:2], v[21:22], -v[27:28]
	v_fma_f64 v[21:22], v[3:4], v[21:22], v[91:92]
	v_add_f64 v[15:16], v[15:16], v[83:84]
	v_add_f64 v[17:18], v[17:18], v[77:78]
	s_clause 0x4
	buffer_load_dword v78, off, s[0:3], 0 offset:716
	buffer_load_dword v83, off, s[0:3], 0 offset:728
	;; [unrolled: 1-line block ×5, first 2 shown]
	ds_read_b128 v[1:4], v64 offset:1200
	s_waitcnt vmcnt(57) lgkmcnt(1)
	v_mul_f64 v[181:182], v[7:8], v[65:66]
	v_mul_f64 v[65:66], v[9:10], v[65:66]
	s_waitcnt vmcnt(56)
	v_fma_f64 v[73:74], v[11:12], v[88:89], -v[73:74]
	v_add_f64 v[15:16], v[15:16], v[27:28]
	v_fma_f64 v[27:28], v[13:14], v[88:89], v[79:80]
	v_add_f64 v[17:18], v[17:18], v[21:22]
	s_clause 0x2
	buffer_load_dword v84, off, s[0:3], 0 offset:732
	buffer_load_dword v22, off, s[0:3], 0 offset:708
	;; [unrolled: 1-line block ×3, first 2 shown]
	ds_read_b128 v[11:14], v64 offset:1216
	buffer_load_dword v88, off, s[0:3], 0 offset:724
	s_waitcnt vmcnt(59) lgkmcnt(1)
	v_mul_f64 v[79:80], v[1:2], v[67:68]
	v_mul_f64 v[67:68], v[3:4], v[67:68]
	s_waitcnt vmcnt(57)
	v_fma_f64 v[65:66], v[7:8], v[23:24], -v[65:66]
	v_fma_f64 v[23:24], v[9:10], v[23:24], v[181:182]
	ds_read_b128 v[7:10], v64 offset:1232
	v_add_f64 v[15:16], v[15:16], v[73:74]
	v_add_f64 v[17:18], v[17:18], v[27:28]
	s_waitcnt vmcnt(53) lgkmcnt(1)
	v_mul_f64 v[27:28], v[11:12], v[19:20]
	v_mul_f64 v[19:20], v[13:14], v[19:20]
	s_waitcnt vmcnt(52)
	v_fma_f64 v[67:68], v[1:2], v[75:76], -v[67:68]
	v_add_f64 v[15:16], v[15:16], v[65:66]
	v_fma_f64 v[65:66], v[3:4], v[75:76], v[79:80]
	v_add_f64 v[17:18], v[17:18], v[23:24]
	ds_read_b128 v[1:4], v64 offset:1248
	s_waitcnt vmcnt(51) lgkmcnt(1)
	v_mul_f64 v[23:24], v[7:8], v[39:40]
	v_mul_f64 v[39:40], v[9:10], v[39:40]
	s_waitcnt vmcnt(49)
	v_fma_f64 v[19:20], v[11:12], v[29:30], -v[19:20]
	v_fma_f64 v[27:28], v[13:14], v[29:30], v[27:28]
	v_add_f64 v[15:16], v[15:16], v[67:68]
	v_add_f64 v[17:18], v[17:18], v[65:66]
	s_clause 0x3
	buffer_load_dword v29, off, s[0:3], 0 offset:128
	buffer_load_dword v30, off, s[0:3], 0 offset:132
	;; [unrolled: 1-line block ×4, first 2 shown]
	ds_read_b128 v[11:14], v64 offset:1264
	s_waitcnt vmcnt(49) lgkmcnt(1)
	v_mul_f64 v[67:68], v[1:2], v[25:26]
	v_mul_f64 v[25:26], v[3:4], v[25:26]
	s_waitcnt vmcnt(48)
	v_fma_f64 v[39:40], v[7:8], v[69:70], -v[39:40]
	v_add_f64 v[15:16], v[15:16], v[19:20]
	v_fma_f64 v[19:20], v[9:10], v[69:70], v[23:24]
	v_add_f64 v[17:18], v[17:18], v[27:28]
	ds_read_b128 v[7:10], v64 offset:1280
	s_waitcnt vmcnt(47) lgkmcnt(1)
	v_mul_f64 v[27:28], v[13:14], v[45:46]
	v_mul_f64 v[23:24], v[11:12], v[45:46]
	s_waitcnt vmcnt(45)
	v_fma_f64 v[25:26], v[1:2], v[35:36], -v[25:26]
	v_fma_f64 v[35:36], v[3:4], v[35:36], v[67:68]
	ds_read_b128 v[1:4], v64 offset:1296
	v_add_f64 v[15:16], v[15:16], v[39:40]
	v_add_f64 v[17:18], v[17:18], v[19:20]
	s_waitcnt vmcnt(41) lgkmcnt(1)
	v_mul_f64 v[19:20], v[7:8], v[31:32]
	v_mul_f64 v[31:32], v[9:10], v[31:32]
	s_waitcnt vmcnt(40)
	v_fma_f64 v[27:28], v[11:12], v[47:48], -v[27:28]
	v_fma_f64 v[23:24], v[13:14], v[47:48], v[23:24]
	ds_read_b128 v[11:14], v64 offset:1312
	v_add_f64 v[15:16], v[15:16], v[25:26]
	v_add_f64 v[17:18], v[17:18], v[35:36]
	;; [unrolled: 9-line block ×3, first 2 shown]
	s_waitcnt vmcnt(33) lgkmcnt(1)
	v_mul_f64 v[27:28], v[13:14], v[37:38]
	s_waitcnt vmcnt(32)
	v_fma_f64 v[33:34], v[1:2], v[55:56], -v[35:36]
	v_mul_f64 v[23:24], v[11:12], v[37:38]
	v_fma_f64 v[25:26], v[3:4], v[55:56], v[25:26]
	ds_read_b128 v[1:4], v64 offset:1344
	v_add_f64 v[15:16], v[15:16], v[31:32]
	v_add_f64 v[17:18], v[17:18], v[19:20]
	s_waitcnt vmcnt(31) lgkmcnt(1)
	v_mul_f64 v[31:32], v[9:10], v[59:60]
	v_mul_f64 v[19:20], v[7:8], v[59:60]
	s_waitcnt vmcnt(29)
	v_fma_f64 v[27:28], v[11:12], v[41:42], -v[27:28]
	v_fma_f64 v[23:24], v[13:14], v[41:42], v[23:24]
	ds_read_b128 v[11:14], v64 offset:1360
	v_add_f64 v[15:16], v[15:16], v[33:34]
	v_add_f64 v[17:18], v[17:18], v[25:26]
	s_waitcnt vmcnt(25) lgkmcnt(1)
	v_mul_f64 v[33:34], v[3:4], v[43:44]
	s_waitcnt vmcnt(24)
	v_fma_f64 v[31:32], v[7:8], v[61:62], -v[31:32]
	v_mul_f64 v[25:26], v[1:2], v[43:44]
	v_fma_f64 v[19:20], v[9:10], v[61:62], v[19:20]
	ds_read_b128 v[7:10], v64 offset:1376
	v_add_f64 v[15:16], v[15:16], v[27:28]
	v_add_f64 v[17:18], v[17:18], v[23:24]
	s_waitcnt vmcnt(23) lgkmcnt(1)
	v_mul_f64 v[27:28], v[13:14], v[81:82]
	v_mul_f64 v[23:24], v[11:12], v[81:82]
	s_waitcnt vmcnt(21)
	v_fma_f64 v[33:34], v[1:2], v[49:50], -v[33:34]
	v_fma_f64 v[25:26], v[3:4], v[49:50], v[25:26]
	ds_read_b128 v[1:4], v64 offset:1392
	v_add_f64 v[15:16], v[15:16], v[31:32]
	v_add_f64 v[17:18], v[17:18], v[19:20]
	s_waitcnt vmcnt(17) lgkmcnt(1)
	v_mul_f64 v[31:32], v[9:10], v[51:52]
	s_waitcnt vmcnt(16)
	v_fma_f64 v[27:28], v[11:12], v[85:86], -v[27:28]
	v_mul_f64 v[19:20], v[7:8], v[51:52]
	v_fma_f64 v[23:24], v[13:14], v[85:86], v[23:24]
	ds_read_b128 v[11:14], v64 offset:1408
	v_add_f64 v[15:16], v[15:16], v[33:34]
	v_add_f64 v[17:18], v[17:18], v[25:26]
	s_waitcnt vmcnt(15) lgkmcnt(1)
	v_mul_f64 v[33:34], v[3:4], v[71:72]
	v_mul_f64 v[25:26], v[1:2], v[71:72]
	s_waitcnt vmcnt(13)
	v_fma_f64 v[31:32], v[7:8], v[57:58], -v[31:32]
	v_fma_f64 v[19:20], v[9:10], v[57:58], v[19:20]
	ds_read_b128 v[7:10], v64 offset:1424
	v_add_f64 v[15:16], v[15:16], v[27:28]
	v_add_f64 v[17:18], v[17:18], v[23:24]
	s_waitcnt vmcnt(9) lgkmcnt(1)
	v_mul_f64 v[27:28], v[13:14], v[77:78]
	s_waitcnt vmcnt(8)
	v_fma_f64 v[1:2], v[1:2], v[90:91], -v[33:34]
	v_mul_f64 v[23:24], v[11:12], v[77:78]
	v_fma_f64 v[3:4], v[3:4], v[90:91], v[25:26]
	v_add_f64 v[15:16], v[15:16], v[31:32]
	v_add_f64 v[17:18], v[17:18], v[19:20]
	s_waitcnt vmcnt(7) lgkmcnt(0)
	v_mul_f64 v[25:26], v[9:10], v[83:84]
	v_mul_f64 v[19:20], v[7:8], v[83:84]
	s_waitcnt vmcnt(5)
	v_fma_f64 v[11:12], v[11:12], v[21:22], -v[27:28]
	v_fma_f64 v[13:14], v[13:14], v[21:22], v[23:24]
	v_add_f64 v[1:2], v[15:16], v[1:2]
	v_add_f64 v[3:4], v[17:18], v[3:4]
	s_waitcnt vmcnt(4)
	v_fma_f64 v[7:8], v[7:8], v[87:88], -v[25:26]
	v_fma_f64 v[9:10], v[9:10], v[87:88], v[19:20]
	v_add_f64 v[1:2], v[1:2], v[11:12]
	v_add_f64 v[3:4], v[3:4], v[13:14]
	;; [unrolled: 1-line block ×4, first 2 shown]
	s_waitcnt vmcnt(2)
	v_add_f64 v[1:2], v[29:30], -v[1:2]
	s_waitcnt vmcnt(0)
	v_add_f64 v[3:4], v[65:66], -v[3:4]
	buffer_store_dword v2, off, s[0:3], 0 offset:132
	buffer_store_dword v1, off, s[0:3], 0 offset:128
	;; [unrolled: 1-line block ×4, first 2 shown]
	v_cmpx_lt_u32_e32 6, v0
	s_cbranch_execz .LBB44_271
; %bb.270:
	v_mov_b32_e32 v4, s45
	s_clause 0x3
	buffer_load_dword v1, v4, s[0:3], 0 offen
	buffer_load_dword v2, v4, s[0:3], 0 offen offset:4
	buffer_load_dword v3, v4, s[0:3], 0 offen offset:8
	;; [unrolled: 1-line block ×3, first 2 shown]
	buffer_store_dword v64, off, s[0:3], 0 offset:112
	buffer_store_dword v64, off, s[0:3], 0 offset:116
	;; [unrolled: 1-line block ×4, first 2 shown]
	s_waitcnt vmcnt(0)
	ds_write_b128 v63, v[1:4]
.LBB44_271:
	s_or_b32 exec_lo, exec_lo, s4
	s_waitcnt lgkmcnt(0)
	s_waitcnt_vscnt null, 0x0
	s_barrier
	buffer_gl0_inv
	s_clause 0x37
	buffer_load_dword v11, off, s[0:3], 0 offset:136
	buffer_load_dword v12, off, s[0:3], 0 offset:140
	;; [unrolled: 1-line block ×56, first 2 shown]
	ds_read_b128 v[65:68], v64 offset:832
	s_clause 0x2
	buffer_load_dword v60, off, s[0:3], 0 offset:364
	buffer_load_dword v62, off, s[0:3], 0 offset:340
	;; [unrolled: 1-line block ×3, first 2 shown]
	ds_read_b128 v[69:72], v64 offset:848
	s_clause 0x4
	buffer_load_dword v80, off, s[0:3], 0 offset:380
	buffer_load_dword v81, off, s[0:3], 0 offset:392
	;; [unrolled: 1-line block ×5, first 2 shown]
	ds_read_b128 v[73:76], v64 offset:864
	s_clause 0x2
	buffer_load_dword v82, off, s[0:3], 0 offset:396
	buffer_load_dword v87, off, s[0:3], 0 offset:372
	;; [unrolled: 1-line block ×3, first 2 shown]
	s_mov_b32 s4, exec_lo
	s_waitcnt vmcnt(62) lgkmcnt(2)
	v_mul_f64 v[77:78], v[67:68], v[11:12]
	v_mul_f64 v[11:12], v[65:66], v[11:12]
	s_waitcnt lgkmcnt(1)
	v_mul_f64 v[84:85], v[71:72], v[7:8]
	s_waitcnt vmcnt(59) lgkmcnt(0)
	v_mul_f64 v[88:89], v[75:76], v[3:4]
	v_fma_f64 v[65:66], v[65:66], v[9:10], -v[77:78]
	v_mul_f64 v[77:78], v[69:70], v[7:8]
	v_fma_f64 v[11:12], v[67:68], v[9:10], v[11:12]
	s_waitcnt vmcnt(57)
	v_fma_f64 v[69:70], v[69:70], v[1:2], -v[84:85]
	ds_read_b128 v[7:10], v64 offset:880
	v_mul_f64 v[67:68], v[73:74], v[3:4]
	s_waitcnt vmcnt(51)
	v_fma_f64 v[73:74], v[73:74], v[27:28], -v[88:89]
	v_add_f64 v[65:66], v[65:66], 0
	v_fma_f64 v[71:72], v[71:72], v[1:2], v[77:78]
	v_add_f64 v[11:12], v[11:12], 0
	s_clause 0x4
	buffer_load_dword v78, off, s[0:3], 0 offset:412
	buffer_load_dword v90, off, s[0:3], 0 offset:424
	;; [unrolled: 1-line block ×5, first 2 shown]
	s_waitcnt lgkmcnt(0)
	v_mul_f64 v[182:183], v[7:8], v[15:16]
	v_mul_f64 v[15:16], v[9:10], v[15:16]
	ds_read_b128 v[1:4], v64 offset:896
	v_fma_f64 v[27:28], v[75:76], v[27:28], v[67:68]
	v_add_f64 v[69:70], v[65:66], v[69:70]
	v_add_f64 v[11:12], v[11:12], v[71:72]
	s_clause 0x2
	buffer_load_dword v91, off, s[0:3], 0 offset:428
	buffer_load_dword v72, off, s[0:3], 0 offset:404
	;; [unrolled: 1-line block ×3, first 2 shown]
	s_waitcnt vmcnt(58) lgkmcnt(0)
	v_mul_f64 v[75:76], v[1:2], v[19:20]
	v_mul_f64 v[19:20], v[3:4], v[19:20]
	s_waitcnt vmcnt(56)
	v_fma_f64 v[15:16], v[7:8], v[21:22], -v[15:16]
	ds_read_b128 v[65:68], v64 offset:912
	v_fma_f64 v[21:22], v[9:10], v[21:22], v[182:183]
	v_add_f64 v[69:70], v[69:70], v[73:74]
	v_add_f64 v[11:12], v[11:12], v[27:28]
	s_clause 0x4
	buffer_load_dword v28, off, s[0:3], 0 offset:444
	buffer_load_dword v73, off, s[0:3], 0 offset:456
	;; [unrolled: 1-line block ×5, first 2 shown]
	ds_read_b128 v[7:10], v64 offset:928
	s_waitcnt vmcnt(57) lgkmcnt(1)
	v_mul_f64 v[183:184], v[65:66], v[23:24]
	v_mul_f64 v[23:24], v[67:68], v[23:24]
	s_waitcnt vmcnt(56)
	v_fma_f64 v[19:20], v[1:2], v[13:14], -v[19:20]
	v_fma_f64 v[13:14], v[3:4], v[13:14], v[75:76]
	v_add_f64 v[15:16], v[69:70], v[15:16]
	v_add_f64 v[11:12], v[11:12], v[21:22]
	s_clause 0x2
	buffer_load_dword v74, off, s[0:3], 0 offset:460
	buffer_load_dword v22, off, s[0:3], 0 offset:436
	;; [unrolled: 1-line block ×3, first 2 shown]
	s_waitcnt vmcnt(58) lgkmcnt(0)
	v_mul_f64 v[69:70], v[7:8], v[29:30]
	v_mul_f64 v[29:30], v[9:10], v[29:30]
	s_waitcnt vmcnt(56)
	v_fma_f64 v[23:24], v[65:66], v[31:32], -v[23:24]
	ds_read_b128 v[1:4], v64 offset:944
	v_add_f64 v[15:16], v[15:16], v[19:20]
	v_fma_f64 v[19:20], v[67:68], v[31:32], v[183:184]
	v_add_f64 v[31:32], v[11:12], v[13:14]
	s_clause 0x4
	buffer_load_dword v66, off, s[0:3], 0 offset:476
	buffer_load_dword v67, off, s[0:3], 0 offset:488
	;; [unrolled: 1-line block ×5, first 2 shown]
	ds_read_b128 v[11:14], v64 offset:960
	s_waitcnt vmcnt(57) lgkmcnt(1)
	v_mul_f64 v[183:184], v[1:2], v[33:34]
	v_mul_f64 v[33:34], v[3:4], v[33:34]
	s_waitcnt vmcnt(56)
	v_fma_f64 v[29:30], v[7:8], v[17:18], -v[29:30]
	v_fma_f64 v[17:18], v[9:10], v[17:18], v[69:70]
	v_add_f64 v[15:16], v[15:16], v[23:24]
	s_clause 0x2
	buffer_load_dword v68, off, s[0:3], 0 offset:492
	buffer_load_dword v24, off, s[0:3], 0 offset:468
	;; [unrolled: 1-line block ×3, first 2 shown]
	v_add_f64 v[19:20], v[31:32], v[19:20]
	s_waitcnt vmcnt(58) lgkmcnt(0)
	v_mul_f64 v[31:32], v[11:12], v[37:38]
	v_mul_f64 v[37:38], v[13:14], v[37:38]
	ds_read_b128 v[7:10], v64 offset:976
	s_waitcnt vmcnt(56)
	v_fma_f64 v[33:34], v[1:2], v[39:40], -v[33:34]
	v_add_f64 v[15:16], v[15:16], v[29:30]
	v_fma_f64 v[29:30], v[3:4], v[39:40], v[183:184]
	v_add_f64 v[17:18], v[19:20], v[17:18]
	s_clause 0x4
	buffer_load_dword v20, off, s[0:3], 0 offset:508
	buffer_load_dword v39, off, s[0:3], 0 offset:520
	;; [unrolled: 1-line block ×5, first 2 shown]
	s_waitcnt vmcnt(57) lgkmcnt(0)
	v_mul_f64 v[183:184], v[7:8], v[41:42]
	v_mul_f64 v[41:42], v[9:10], v[41:42]
	s_waitcnt vmcnt(56)
	v_fma_f64 v[37:38], v[11:12], v[25:26], -v[37:38]
	ds_read_b128 v[1:4], v64 offset:992
	v_fma_f64 v[25:26], v[13:14], v[25:26], v[31:32]
	v_add_f64 v[15:16], v[15:16], v[33:34]
	v_add_f64 v[17:18], v[17:18], v[29:30]
	s_clause 0x2
	buffer_load_dword v40, off, s[0:3], 0 offset:524
	buffer_load_dword v30, off, s[0:3], 0 offset:500
	;; [unrolled: 1-line block ×3, first 2 shown]
	ds_read_b128 v[11:14], v64 offset:1008
	s_waitcnt vmcnt(58) lgkmcnt(1)
	v_mul_f64 v[33:34], v[3:4], v[45:46]
	s_waitcnt vmcnt(56)
	v_fma_f64 v[41:42], v[7:8], v[47:48], -v[41:42]
	v_mul_f64 v[31:32], v[1:2], v[45:46]
	v_add_f64 v[15:16], v[15:16], v[37:38]
	v_fma_f64 v[37:38], v[9:10], v[47:48], v[183:184]
	v_add_f64 v[17:18], v[17:18], v[25:26]
	s_clause 0x4
	buffer_load_dword v26, off, s[0:3], 0 offset:540
	buffer_load_dword v45, off, s[0:3], 0 offset:552
	;; [unrolled: 1-line block ×5, first 2 shown]
	s_waitcnt vmcnt(57) lgkmcnt(0)
	v_mul_f64 v[183:184], v[11:12], v[49:50]
	v_mul_f64 v[48:49], v[13:14], v[49:50]
	s_waitcnt vmcnt(56)
	v_fma_f64 v[33:34], v[1:2], v[35:36], -v[33:34]
	ds_read_b128 v[7:10], v64 offset:1024
	v_fma_f64 v[31:32], v[3:4], v[35:36], v[31:32]
	s_clause 0x2
	buffer_load_dword v46, off, s[0:3], 0 offset:556
	buffer_load_dword v36, off, s[0:3], 0 offset:532
	;; [unrolled: 1-line block ×3, first 2 shown]
	ds_read_b128 v[1:4], v64 offset:1040
	v_add_f64 v[15:16], v[15:16], v[41:42]
	v_add_f64 v[17:18], v[17:18], v[37:38]
	s_waitcnt vmcnt(58) lgkmcnt(1)
	v_mul_f64 v[41:42], v[9:10], v[53:54]
	s_waitcnt vmcnt(56)
	v_fma_f64 v[49:50], v[11:12], v[55:56], -v[48:49]
	v_mul_f64 v[37:38], v[7:8], v[53:54]
	v_add_f64 v[15:16], v[15:16], v[33:34]
	v_fma_f64 v[33:34], v[13:14], v[55:56], v[183:184]
	v_add_f64 v[17:18], v[17:18], v[31:32]
	s_clause 0x4
	buffer_load_dword v32, off, s[0:3], 0 offset:572
	buffer_load_dword v53, off, s[0:3], 0 offset:584
	;; [unrolled: 1-line block ×5, first 2 shown]
	s_waitcnt vmcnt(57) lgkmcnt(0)
	v_mul_f64 v[183:184], v[1:2], v[57:58]
	v_mul_f64 v[56:57], v[3:4], v[57:58]
	s_waitcnt vmcnt(56)
	v_fma_f64 v[41:42], v[7:8], v[43:44], -v[41:42]
	ds_read_b128 v[11:14], v64 offset:1056
	v_fma_f64 v[37:38], v[9:10], v[43:44], v[37:38]
	v_add_f64 v[15:16], v[15:16], v[49:50]
	v_add_f64 v[17:18], v[17:18], v[33:34]
	s_clause 0x2
	buffer_load_dword v54, off, s[0:3], 0 offset:588
	buffer_load_dword v34, off, s[0:3], 0 offset:564
	;; [unrolled: 1-line block ×3, first 2 shown]
	ds_read_b128 v[7:10], v64 offset:1072
	s_waitcnt vmcnt(58) lgkmcnt(1)
	v_mul_f64 v[49:50], v[13:14], v[59:60]
	s_waitcnt vmcnt(56)
	v_fma_f64 v[57:58], v[1:2], v[61:62], -v[56:57]
	v_mul_f64 v[43:44], v[11:12], v[59:60]
	v_add_f64 v[15:16], v[15:16], v[41:42]
	v_fma_f64 v[41:42], v[3:4], v[61:62], v[183:184]
	v_add_f64 v[17:18], v[17:18], v[37:38]
	s_clause 0x4
	buffer_load_dword v38, off, s[0:3], 0 offset:604
	buffer_load_dword v59, off, s[0:3], 0 offset:616
	;; [unrolled: 1-line block ×5, first 2 shown]
	s_waitcnt vmcnt(57) lgkmcnt(0)
	v_mul_f64 v[183:184], v[7:8], v[79:80]
	v_mul_f64 v[79:80], v[9:10], v[79:80]
	s_waitcnt vmcnt(56)
	v_fma_f64 v[49:50], v[11:12], v[51:52], -v[49:50]
	ds_read_b128 v[1:4], v64 offset:1088
	v_fma_f64 v[43:44], v[13:14], v[51:52], v[43:44]
	v_add_f64 v[15:16], v[15:16], v[57:58]
	v_add_f64 v[17:18], v[17:18], v[41:42]
	s_clause 0x2
	buffer_load_dword v60, off, s[0:3], 0 offset:620
	buffer_load_dword v42, off, s[0:3], 0 offset:596
	;; [unrolled: 1-line block ×3, first 2 shown]
	ds_read_b128 v[11:14], v64 offset:1104
	s_waitcnt vmcnt(58) lgkmcnt(1)
	v_mul_f64 v[57:58], v[3:4], v[81:82]
	s_waitcnt vmcnt(56)
	v_fma_f64 v[79:80], v[7:8], v[86:87], -v[79:80]
	v_mul_f64 v[51:52], v[1:2], v[81:82]
	v_add_f64 v[15:16], v[15:16], v[49:50]
	v_fma_f64 v[49:50], v[9:10], v[86:87], v[183:184]
	v_add_f64 v[17:18], v[17:18], v[43:44]
	s_clause 0x4
	buffer_load_dword v44, off, s[0:3], 0 offset:636
	buffer_load_dword v81, off, s[0:3], 0 offset:648
	;; [unrolled: 1-line block ×5, first 2 shown]
	ds_read_b128 v[7:10], v64 offset:1120
	s_waitcnt vmcnt(57) lgkmcnt(1)
	v_mul_f64 v[86:87], v[11:12], v[77:78]
	v_mul_f64 v[77:78], v[13:14], v[77:78]
	s_waitcnt vmcnt(56)
	v_fma_f64 v[57:58], v[1:2], v[83:84], -v[57:58]
	v_fma_f64 v[51:52], v[3:4], v[83:84], v[51:52]
	v_add_f64 v[15:16], v[15:16], v[79:80]
	v_add_f64 v[17:18], v[17:18], v[49:50]
	s_clause 0x2
	buffer_load_dword v82, off, s[0:3], 0 offset:652
	buffer_load_dword v50, off, s[0:3], 0 offset:628
	;; [unrolled: 1-line block ×3, first 2 shown]
	ds_read_b128 v[1:4], v64 offset:1136
	s_waitcnt vmcnt(58) lgkmcnt(1)
	v_mul_f64 v[83:84], v[9:10], v[90:91]
	v_mul_f64 v[79:80], v[7:8], v[90:91]
	s_waitcnt vmcnt(56)
	v_fma_f64 v[77:78], v[11:12], v[71:72], -v[77:78]
	v_add_f64 v[15:16], v[15:16], v[57:58]
	v_fma_f64 v[57:58], v[13:14], v[71:72], v[86:87]
	v_add_f64 v[17:18], v[17:18], v[51:52]
	s_clause 0x4
	buffer_load_dword v52, off, s[0:3], 0 offset:668
	buffer_load_dword v71, off, s[0:3], 0 offset:680
	;; [unrolled: 1-line block ×5, first 2 shown]
	ds_read_b128 v[11:14], v64 offset:1152
	s_waitcnt vmcnt(57) lgkmcnt(1)
	v_mul_f64 v[91:92], v[1:2], v[27:28]
	v_mul_f64 v[27:28], v[3:4], v[27:28]
	s_waitcnt vmcnt(56)
	v_fma_f64 v[83:84], v[7:8], v[181:182], -v[83:84]
	v_add_f64 v[15:16], v[15:16], v[77:78]
	v_fma_f64 v[77:78], v[9:10], v[181:182], v[79:80]
	v_add_f64 v[17:18], v[17:18], v[57:58]
	s_clause 0x2
	buffer_load_dword v72, off, s[0:3], 0 offset:684
	buffer_load_dword v58, off, s[0:3], 0 offset:660
	;; [unrolled: 1-line block ×3, first 2 shown]
	ds_read_b128 v[7:10], v64 offset:1168
	s_waitcnt vmcnt(58) lgkmcnt(1)
	v_mul_f64 v[79:80], v[11:12], v[73:74]
	v_mul_f64 v[73:74], v[13:14], v[73:74]
	s_waitcnt vmcnt(56)
	v_fma_f64 v[27:28], v[1:2], v[21:22], -v[27:28]
	v_fma_f64 v[21:22], v[3:4], v[21:22], v[91:92]
	v_add_f64 v[15:16], v[15:16], v[83:84]
	v_add_f64 v[17:18], v[17:18], v[77:78]
	s_clause 0x4
	buffer_load_dword v78, off, s[0:3], 0 offset:700
	buffer_load_dword v83, off, s[0:3], 0 offset:712
	buffer_load_dword v87, off, s[0:3], 0 offset:704
	buffer_load_dword v77, off, s[0:3], 0 offset:696
	buffer_load_dword v91, off, s[0:3], 0 offset:676
	ds_read_b128 v[1:4], v64 offset:1184
	s_waitcnt vmcnt(57) lgkmcnt(1)
	v_mul_f64 v[181:182], v[7:8], v[65:66]
	v_mul_f64 v[65:66], v[9:10], v[65:66]
	s_waitcnt vmcnt(56)
	v_fma_f64 v[73:74], v[11:12], v[88:89], -v[73:74]
	v_add_f64 v[15:16], v[15:16], v[27:28]
	v_fma_f64 v[27:28], v[13:14], v[88:89], v[79:80]
	v_add_f64 v[17:18], v[17:18], v[21:22]
	s_clause 0x2
	buffer_load_dword v84, off, s[0:3], 0 offset:716
	buffer_load_dword v22, off, s[0:3], 0 offset:692
	;; [unrolled: 1-line block ×3, first 2 shown]
	ds_read_b128 v[11:14], v64 offset:1200
	s_waitcnt vmcnt(58) lgkmcnt(1)
	v_mul_f64 v[79:80], v[1:2], v[67:68]
	v_mul_f64 v[67:68], v[3:4], v[67:68]
	s_waitcnt vmcnt(56)
	v_fma_f64 v[65:66], v[7:8], v[23:24], -v[65:66]
	v_fma_f64 v[23:24], v[9:10], v[23:24], v[181:182]
	v_add_f64 v[15:16], v[15:16], v[73:74]
	v_add_f64 v[17:18], v[17:18], v[27:28]
	s_clause 0x2
	buffer_load_dword v28, off, s[0:3], 0 offset:732
	buffer_load_dword v27, off, s[0:3], 0 offset:728
	;; [unrolled: 1-line block ×3, first 2 shown]
	ds_read_b128 v[7:10], v64 offset:1216
	s_waitcnt vmcnt(55) lgkmcnt(1)
	v_mul_f64 v[73:74], v[11:12], v[19:20]
	v_mul_f64 v[19:20], v[13:14], v[19:20]
	s_waitcnt vmcnt(54)
	v_fma_f64 v[67:68], v[1:2], v[75:76], -v[67:68]
	v_add_f64 v[15:16], v[15:16], v[65:66]
	v_fma_f64 v[65:66], v[3:4], v[75:76], v[79:80]
	v_add_f64 v[17:18], v[17:18], v[23:24]
	s_clause 0x1
	buffer_load_dword v24, off, s[0:3], 0 offset:724
	buffer_load_dword v23, off, s[0:3], 0 offset:720
	ds_read_b128 v[1:4], v64 offset:1232
	s_waitcnt vmcnt(55) lgkmcnt(1)
	v_mul_f64 v[75:76], v[7:8], v[39:40]
	v_mul_f64 v[39:40], v[9:10], v[39:40]
	s_waitcnt vmcnt(53)
	v_fma_f64 v[19:20], v[11:12], v[29:30], -v[19:20]
	v_fma_f64 v[29:30], v[13:14], v[29:30], v[73:74]
	ds_read_b128 v[11:14], v64 offset:1248
	v_add_f64 v[15:16], v[15:16], v[67:68]
	v_add_f64 v[17:18], v[17:18], v[65:66]
	s_waitcnt vmcnt(49) lgkmcnt(1)
	v_mul_f64 v[65:66], v[1:2], v[25:26]
	v_mul_f64 v[25:26], v[3:4], v[25:26]
	s_waitcnt vmcnt(48)
	v_fma_f64 v[39:40], v[7:8], v[69:70], -v[39:40]
	v_add_f64 v[15:16], v[15:16], v[19:20]
	v_fma_f64 v[19:20], v[9:10], v[69:70], v[75:76]
	v_add_f64 v[17:18], v[17:18], v[29:30]
	s_clause 0x3
	buffer_load_dword v29, off, s[0:3], 0 offset:112
	buffer_load_dword v30, off, s[0:3], 0 offset:116
	;; [unrolled: 1-line block ×4, first 2 shown]
	s_waitcnt vmcnt(51) lgkmcnt(0)
	v_mul_f64 v[69:70], v[11:12], v[45:46]
	v_mul_f64 v[45:46], v[13:14], v[45:46]
	ds_read_b128 v[7:10], v64 offset:1264
	s_waitcnt vmcnt(49)
	v_fma_f64 v[25:26], v[1:2], v[35:36], -v[25:26]
	v_fma_f64 v[35:36], v[3:4], v[35:36], v[65:66]
	ds_read_b128 v[1:4], v64 offset:1280
	v_add_f64 v[15:16], v[15:16], v[39:40]
	v_add_f64 v[17:18], v[17:18], v[19:20]
	s_waitcnt vmcnt(45) lgkmcnt(1)
	v_mul_f64 v[19:20], v[7:8], v[31:32]
	v_mul_f64 v[31:32], v[9:10], v[31:32]
	s_waitcnt vmcnt(44)
	v_fma_f64 v[39:40], v[11:12], v[47:48], -v[45:46]
	v_add_f64 v[15:16], v[15:16], v[25:26]
	v_fma_f64 v[25:26], v[13:14], v[47:48], v[69:70]
	v_add_f64 v[17:18], v[17:18], v[35:36]
	ds_read_b128 v[11:14], v64 offset:1296
	s_waitcnt vmcnt(43) lgkmcnt(1)
	v_mul_f64 v[45:46], v[3:4], v[53:54]
	v_mul_f64 v[35:36], v[1:2], v[53:54]
	s_waitcnt vmcnt(41)
	v_fma_f64 v[31:32], v[7:8], v[33:34], -v[31:32]
	v_fma_f64 v[19:20], v[9:10], v[33:34], v[19:20]
	ds_read_b128 v[7:10], v64 offset:1312
	v_add_f64 v[15:16], v[15:16], v[39:40]
	v_add_f64 v[17:18], v[17:18], v[25:26]
	s_waitcnt vmcnt(37) lgkmcnt(1)
	v_mul_f64 v[25:26], v[11:12], v[37:38]
	v_mul_f64 v[33:34], v[13:14], v[37:38]
	s_waitcnt vmcnt(36)
	v_fma_f64 v[37:38], v[1:2], v[55:56], -v[45:46]
	v_add_f64 v[15:16], v[15:16], v[31:32]
	v_fma_f64 v[31:32], v[3:4], v[55:56], v[35:36]
	v_add_f64 v[17:18], v[17:18], v[19:20]
	ds_read_b128 v[1:4], v64 offset:1328
	s_waitcnt vmcnt(35) lgkmcnt(1)
	v_mul_f64 v[35:36], v[9:10], v[59:60]
	v_mul_f64 v[19:20], v[7:8], v[59:60]
	s_waitcnt vmcnt(33)
	v_fma_f64 v[33:34], v[11:12], v[41:42], -v[33:34]
	v_fma_f64 v[25:26], v[13:14], v[41:42], v[25:26]
	ds_read_b128 v[11:14], v64 offset:1344
	v_add_f64 v[15:16], v[15:16], v[37:38]
	v_add_f64 v[17:18], v[17:18], v[31:32]
	s_waitcnt vmcnt(29) lgkmcnt(1)
	v_mul_f64 v[37:38], v[3:4], v[43:44]
	s_waitcnt vmcnt(28)
	v_fma_f64 v[35:36], v[7:8], v[61:62], -v[35:36]
	v_mul_f64 v[31:32], v[1:2], v[43:44]
	v_fma_f64 v[19:20], v[9:10], v[61:62], v[19:20]
	ds_read_b128 v[7:10], v64 offset:1360
	v_add_f64 v[15:16], v[15:16], v[33:34]
	v_add_f64 v[17:18], v[17:18], v[25:26]
	s_waitcnt vmcnt(27) lgkmcnt(1)
	v_mul_f64 v[33:34], v[13:14], v[81:82]
	v_mul_f64 v[25:26], v[11:12], v[81:82]
	s_waitcnt vmcnt(25)
	v_fma_f64 v[37:38], v[1:2], v[49:50], -v[37:38]
	v_fma_f64 v[31:32], v[3:4], v[49:50], v[31:32]
	ds_read_b128 v[1:4], v64 offset:1376
	v_add_f64 v[15:16], v[15:16], v[35:36]
	v_add_f64 v[17:18], v[17:18], v[19:20]
	s_waitcnt vmcnt(21) lgkmcnt(1)
	v_mul_f64 v[35:36], v[9:10], v[51:52]
	s_waitcnt vmcnt(20)
	v_fma_f64 v[33:34], v[11:12], v[85:86], -v[33:34]
	v_mul_f64 v[19:20], v[7:8], v[51:52]
	v_fma_f64 v[25:26], v[13:14], v[85:86], v[25:26]
	ds_read_b128 v[11:14], v64 offset:1392
	v_add_f64 v[15:16], v[15:16], v[37:38]
	v_add_f64 v[17:18], v[17:18], v[31:32]
	;; [unrolled: 18-line block ×3, first 2 shown]
	s_waitcnt vmcnt(11) lgkmcnt(1)
	v_mul_f64 v[35:36], v[9:10], v[83:84]
	v_mul_f64 v[19:20], v[7:8], v[83:84]
	s_waitcnt vmcnt(9)
	v_fma_f64 v[11:12], v[11:12], v[21:22], -v[33:34]
	v_fma_f64 v[13:14], v[13:14], v[21:22], v[25:26]
	v_add_f64 v[15:16], v[15:16], v[37:38]
	v_add_f64 v[17:18], v[17:18], v[31:32]
	s_waitcnt vmcnt(7) lgkmcnt(0)
	v_mul_f64 v[25:26], v[3:4], v[27:28]
	s_waitcnt vmcnt(6)
	v_fma_f64 v[7:8], v[7:8], v[87:88], -v[35:36]
	v_mul_f64 v[21:22], v[1:2], v[27:28]
	v_fma_f64 v[9:10], v[9:10], v[87:88], v[19:20]
	v_add_f64 v[11:12], v[15:16], v[11:12]
	v_add_f64 v[13:14], v[17:18], v[13:14]
	s_waitcnt vmcnt(4)
	v_fma_f64 v[1:2], v[1:2], v[23:24], -v[25:26]
	v_fma_f64 v[3:4], v[3:4], v[23:24], v[21:22]
	v_add_f64 v[7:8], v[11:12], v[7:8]
	v_add_f64 v[9:10], v[13:14], v[9:10]
	;; [unrolled: 1-line block ×4, first 2 shown]
	s_waitcnt vmcnt(2)
	v_add_f64 v[1:2], v[29:30], -v[1:2]
	s_waitcnt vmcnt(0)
	v_add_f64 v[3:4], v[67:68], -v[3:4]
	buffer_store_dword v2, off, s[0:3], 0 offset:116
	buffer_store_dword v1, off, s[0:3], 0 offset:112
	buffer_store_dword v4, off, s[0:3], 0 offset:124
	buffer_store_dword v3, off, s[0:3], 0 offset:120
	v_cmpx_lt_u32_e32 5, v0
	s_cbranch_execz .LBB44_273
; %bb.272:
	v_mov_b32_e32 v4, s47
	v_mov_b32_e32 v7, 0
	s_clause 0x3
	buffer_load_dword v1, v4, s[0:3], 0 offen
	buffer_load_dword v2, v4, s[0:3], 0 offen offset:4
	buffer_load_dword v3, v4, s[0:3], 0 offen offset:8
	;; [unrolled: 1-line block ×3, first 2 shown]
	buffer_store_dword v7, off, s[0:3], 0 offset:96
	buffer_store_dword v7, off, s[0:3], 0 offset:100
	;; [unrolled: 1-line block ×4, first 2 shown]
	s_waitcnt vmcnt(0)
	ds_write_b128 v63, v[1:4]
.LBB44_273:
	s_or_b32 exec_lo, exec_lo, s4
	s_waitcnt lgkmcnt(0)
	s_waitcnt_vscnt null, 0x0
	s_barrier
	buffer_gl0_inv
	s_clause 0x37
	buffer_load_dword v11, off, s[0:3], 0 offset:120
	buffer_load_dword v12, off, s[0:3], 0 offset:124
	;; [unrolled: 1-line block ×56, first 2 shown]
	v_mov_b32_e32 v64, 0
	s_mov_b32 s4, exec_lo
	ds_read_b128 v[65:68], v64 offset:816
	s_clause 0x2
	buffer_load_dword v60, off, s[0:3], 0 offset:348
	buffer_load_dword v62, off, s[0:3], 0 offset:324
	;; [unrolled: 1-line block ×3, first 2 shown]
	ds_read_b128 v[69:72], v64 offset:832
	s_clause 0x4
	buffer_load_dword v80, off, s[0:3], 0 offset:364
	buffer_load_dword v81, off, s[0:3], 0 offset:376
	;; [unrolled: 1-line block ×5, first 2 shown]
	ds_read_b128 v[73:76], v64 offset:848
	s_clause 0x2
	buffer_load_dword v82, off, s[0:3], 0 offset:380
	buffer_load_dword v87, off, s[0:3], 0 offset:356
	;; [unrolled: 1-line block ×3, first 2 shown]
	s_waitcnt vmcnt(62) lgkmcnt(2)
	v_mul_f64 v[77:78], v[67:68], v[11:12]
	v_mul_f64 v[11:12], v[65:66], v[11:12]
	s_waitcnt lgkmcnt(1)
	v_mul_f64 v[84:85], v[71:72], v[7:8]
	s_waitcnt vmcnt(59) lgkmcnt(0)
	v_mul_f64 v[88:89], v[75:76], v[3:4]
	v_fma_f64 v[65:66], v[65:66], v[9:10], -v[77:78]
	v_mul_f64 v[77:78], v[69:70], v[7:8]
	v_fma_f64 v[11:12], v[67:68], v[9:10], v[11:12]
	s_waitcnt vmcnt(57)
	v_fma_f64 v[69:70], v[69:70], v[1:2], -v[84:85]
	ds_read_b128 v[7:10], v64 offset:864
	v_mul_f64 v[67:68], v[73:74], v[3:4]
	s_waitcnt vmcnt(51)
	v_fma_f64 v[73:74], v[73:74], v[27:28], -v[88:89]
	v_add_f64 v[65:66], v[65:66], 0
	v_fma_f64 v[71:72], v[71:72], v[1:2], v[77:78]
	v_add_f64 v[11:12], v[11:12], 0
	s_clause 0x4
	buffer_load_dword v78, off, s[0:3], 0 offset:396
	buffer_load_dword v90, off, s[0:3], 0 offset:408
	;; [unrolled: 1-line block ×5, first 2 shown]
	s_waitcnt lgkmcnt(0)
	v_mul_f64 v[182:183], v[7:8], v[15:16]
	v_mul_f64 v[15:16], v[9:10], v[15:16]
	ds_read_b128 v[1:4], v64 offset:880
	v_fma_f64 v[27:28], v[75:76], v[27:28], v[67:68]
	v_add_f64 v[69:70], v[65:66], v[69:70]
	v_add_f64 v[11:12], v[11:12], v[71:72]
	s_clause 0x2
	buffer_load_dword v91, off, s[0:3], 0 offset:412
	buffer_load_dword v72, off, s[0:3], 0 offset:388
	buffer_load_dword v71, off, s[0:3], 0 offset:384
	s_waitcnt vmcnt(58) lgkmcnt(0)
	v_mul_f64 v[75:76], v[1:2], v[19:20]
	v_mul_f64 v[19:20], v[3:4], v[19:20]
	s_waitcnt vmcnt(56)
	v_fma_f64 v[15:16], v[7:8], v[21:22], -v[15:16]
	ds_read_b128 v[65:68], v64 offset:896
	v_fma_f64 v[21:22], v[9:10], v[21:22], v[182:183]
	v_add_f64 v[69:70], v[69:70], v[73:74]
	v_add_f64 v[11:12], v[11:12], v[27:28]
	s_clause 0x4
	buffer_load_dword v28, off, s[0:3], 0 offset:428
	buffer_load_dword v73, off, s[0:3], 0 offset:440
	;; [unrolled: 1-line block ×5, first 2 shown]
	ds_read_b128 v[7:10], v64 offset:912
	s_waitcnt vmcnt(57) lgkmcnt(1)
	v_mul_f64 v[183:184], v[65:66], v[23:24]
	v_mul_f64 v[23:24], v[67:68], v[23:24]
	s_waitcnt vmcnt(56)
	v_fma_f64 v[19:20], v[1:2], v[13:14], -v[19:20]
	v_fma_f64 v[13:14], v[3:4], v[13:14], v[75:76]
	v_add_f64 v[15:16], v[69:70], v[15:16]
	v_add_f64 v[11:12], v[11:12], v[21:22]
	s_clause 0x2
	buffer_load_dword v74, off, s[0:3], 0 offset:444
	buffer_load_dword v22, off, s[0:3], 0 offset:420
	;; [unrolled: 1-line block ×3, first 2 shown]
	s_waitcnt vmcnt(58) lgkmcnt(0)
	v_mul_f64 v[69:70], v[7:8], v[29:30]
	v_mul_f64 v[29:30], v[9:10], v[29:30]
	s_waitcnt vmcnt(56)
	v_fma_f64 v[23:24], v[65:66], v[31:32], -v[23:24]
	ds_read_b128 v[1:4], v64 offset:928
	v_add_f64 v[15:16], v[15:16], v[19:20]
	v_fma_f64 v[19:20], v[67:68], v[31:32], v[183:184]
	v_add_f64 v[31:32], v[11:12], v[13:14]
	s_clause 0x4
	buffer_load_dword v66, off, s[0:3], 0 offset:460
	buffer_load_dword v67, off, s[0:3], 0 offset:472
	;; [unrolled: 1-line block ×5, first 2 shown]
	ds_read_b128 v[11:14], v64 offset:944
	s_waitcnt vmcnt(57) lgkmcnt(1)
	v_mul_f64 v[183:184], v[1:2], v[33:34]
	v_mul_f64 v[33:34], v[3:4], v[33:34]
	s_waitcnt vmcnt(56)
	v_fma_f64 v[29:30], v[7:8], v[17:18], -v[29:30]
	v_fma_f64 v[17:18], v[9:10], v[17:18], v[69:70]
	v_add_f64 v[15:16], v[15:16], v[23:24]
	s_clause 0x2
	buffer_load_dword v68, off, s[0:3], 0 offset:476
	buffer_load_dword v24, off, s[0:3], 0 offset:452
	;; [unrolled: 1-line block ×3, first 2 shown]
	v_add_f64 v[19:20], v[31:32], v[19:20]
	s_waitcnt vmcnt(58) lgkmcnt(0)
	v_mul_f64 v[31:32], v[11:12], v[37:38]
	v_mul_f64 v[37:38], v[13:14], v[37:38]
	ds_read_b128 v[7:10], v64 offset:960
	s_waitcnt vmcnt(56)
	v_fma_f64 v[33:34], v[1:2], v[39:40], -v[33:34]
	v_add_f64 v[15:16], v[15:16], v[29:30]
	v_fma_f64 v[29:30], v[3:4], v[39:40], v[183:184]
	v_add_f64 v[17:18], v[19:20], v[17:18]
	s_clause 0x4
	buffer_load_dword v20, off, s[0:3], 0 offset:492
	buffer_load_dword v39, off, s[0:3], 0 offset:504
	;; [unrolled: 1-line block ×5, first 2 shown]
	s_waitcnt vmcnt(57) lgkmcnt(0)
	v_mul_f64 v[183:184], v[7:8], v[41:42]
	v_mul_f64 v[41:42], v[9:10], v[41:42]
	s_waitcnt vmcnt(56)
	v_fma_f64 v[37:38], v[11:12], v[25:26], -v[37:38]
	ds_read_b128 v[1:4], v64 offset:976
	v_fma_f64 v[25:26], v[13:14], v[25:26], v[31:32]
	v_add_f64 v[15:16], v[15:16], v[33:34]
	v_add_f64 v[17:18], v[17:18], v[29:30]
	s_clause 0x2
	buffer_load_dword v40, off, s[0:3], 0 offset:508
	buffer_load_dword v30, off, s[0:3], 0 offset:484
	;; [unrolled: 1-line block ×3, first 2 shown]
	ds_read_b128 v[11:14], v64 offset:992
	s_waitcnt vmcnt(58) lgkmcnt(1)
	v_mul_f64 v[33:34], v[3:4], v[45:46]
	s_waitcnt vmcnt(56)
	v_fma_f64 v[41:42], v[7:8], v[47:48], -v[41:42]
	v_mul_f64 v[31:32], v[1:2], v[45:46]
	v_add_f64 v[15:16], v[15:16], v[37:38]
	v_fma_f64 v[37:38], v[9:10], v[47:48], v[183:184]
	v_add_f64 v[17:18], v[17:18], v[25:26]
	s_clause 0x4
	buffer_load_dword v26, off, s[0:3], 0 offset:524
	buffer_load_dword v45, off, s[0:3], 0 offset:536
	;; [unrolled: 1-line block ×5, first 2 shown]
	s_waitcnt vmcnt(57) lgkmcnt(0)
	v_mul_f64 v[183:184], v[11:12], v[49:50]
	v_mul_f64 v[48:49], v[13:14], v[49:50]
	s_waitcnt vmcnt(56)
	v_fma_f64 v[33:34], v[1:2], v[35:36], -v[33:34]
	ds_read_b128 v[7:10], v64 offset:1008
	v_fma_f64 v[31:32], v[3:4], v[35:36], v[31:32]
	s_clause 0x2
	buffer_load_dword v46, off, s[0:3], 0 offset:540
	buffer_load_dword v36, off, s[0:3], 0 offset:516
	;; [unrolled: 1-line block ×3, first 2 shown]
	ds_read_b128 v[1:4], v64 offset:1024
	v_add_f64 v[15:16], v[15:16], v[41:42]
	v_add_f64 v[17:18], v[17:18], v[37:38]
	s_waitcnt vmcnt(58) lgkmcnt(1)
	v_mul_f64 v[41:42], v[9:10], v[53:54]
	s_waitcnt vmcnt(56)
	v_fma_f64 v[49:50], v[11:12], v[55:56], -v[48:49]
	v_mul_f64 v[37:38], v[7:8], v[53:54]
	v_add_f64 v[15:16], v[15:16], v[33:34]
	v_fma_f64 v[33:34], v[13:14], v[55:56], v[183:184]
	v_add_f64 v[17:18], v[17:18], v[31:32]
	s_clause 0x4
	buffer_load_dword v32, off, s[0:3], 0 offset:556
	buffer_load_dword v53, off, s[0:3], 0 offset:568
	;; [unrolled: 1-line block ×5, first 2 shown]
	s_waitcnt vmcnt(57) lgkmcnt(0)
	v_mul_f64 v[183:184], v[1:2], v[57:58]
	v_mul_f64 v[56:57], v[3:4], v[57:58]
	s_waitcnt vmcnt(56)
	v_fma_f64 v[41:42], v[7:8], v[43:44], -v[41:42]
	ds_read_b128 v[11:14], v64 offset:1040
	v_fma_f64 v[37:38], v[9:10], v[43:44], v[37:38]
	v_add_f64 v[15:16], v[15:16], v[49:50]
	v_add_f64 v[17:18], v[17:18], v[33:34]
	s_clause 0x2
	buffer_load_dword v54, off, s[0:3], 0 offset:572
	buffer_load_dword v34, off, s[0:3], 0 offset:548
	;; [unrolled: 1-line block ×3, first 2 shown]
	ds_read_b128 v[7:10], v64 offset:1056
	s_waitcnt vmcnt(58) lgkmcnt(1)
	v_mul_f64 v[49:50], v[13:14], v[59:60]
	s_waitcnt vmcnt(56)
	v_fma_f64 v[57:58], v[1:2], v[61:62], -v[56:57]
	v_mul_f64 v[43:44], v[11:12], v[59:60]
	v_add_f64 v[15:16], v[15:16], v[41:42]
	v_fma_f64 v[41:42], v[3:4], v[61:62], v[183:184]
	v_add_f64 v[17:18], v[17:18], v[37:38]
	s_clause 0x4
	buffer_load_dword v38, off, s[0:3], 0 offset:588
	buffer_load_dword v59, off, s[0:3], 0 offset:600
	;; [unrolled: 1-line block ×5, first 2 shown]
	s_waitcnt vmcnt(57) lgkmcnt(0)
	v_mul_f64 v[183:184], v[7:8], v[79:80]
	v_mul_f64 v[79:80], v[9:10], v[79:80]
	s_waitcnt vmcnt(56)
	v_fma_f64 v[49:50], v[11:12], v[51:52], -v[49:50]
	ds_read_b128 v[1:4], v64 offset:1072
	v_fma_f64 v[43:44], v[13:14], v[51:52], v[43:44]
	v_add_f64 v[15:16], v[15:16], v[57:58]
	v_add_f64 v[17:18], v[17:18], v[41:42]
	s_clause 0x2
	buffer_load_dword v60, off, s[0:3], 0 offset:604
	buffer_load_dword v42, off, s[0:3], 0 offset:580
	;; [unrolled: 1-line block ×3, first 2 shown]
	ds_read_b128 v[11:14], v64 offset:1088
	s_waitcnt vmcnt(58) lgkmcnt(1)
	v_mul_f64 v[57:58], v[3:4], v[81:82]
	s_waitcnt vmcnt(56)
	v_fma_f64 v[79:80], v[7:8], v[86:87], -v[79:80]
	v_mul_f64 v[51:52], v[1:2], v[81:82]
	v_add_f64 v[15:16], v[15:16], v[49:50]
	v_fma_f64 v[49:50], v[9:10], v[86:87], v[183:184]
	v_add_f64 v[17:18], v[17:18], v[43:44]
	s_clause 0x4
	buffer_load_dword v44, off, s[0:3], 0 offset:620
	buffer_load_dword v81, off, s[0:3], 0 offset:632
	;; [unrolled: 1-line block ×5, first 2 shown]
	ds_read_b128 v[7:10], v64 offset:1104
	s_waitcnt vmcnt(57) lgkmcnt(1)
	v_mul_f64 v[86:87], v[11:12], v[77:78]
	v_mul_f64 v[77:78], v[13:14], v[77:78]
	s_waitcnt vmcnt(56)
	v_fma_f64 v[57:58], v[1:2], v[83:84], -v[57:58]
	v_fma_f64 v[51:52], v[3:4], v[83:84], v[51:52]
	v_add_f64 v[15:16], v[15:16], v[79:80]
	v_add_f64 v[17:18], v[17:18], v[49:50]
	s_clause 0x2
	buffer_load_dword v82, off, s[0:3], 0 offset:636
	buffer_load_dword v50, off, s[0:3], 0 offset:612
	;; [unrolled: 1-line block ×3, first 2 shown]
	ds_read_b128 v[1:4], v64 offset:1120
	s_waitcnt vmcnt(58) lgkmcnt(1)
	v_mul_f64 v[83:84], v[9:10], v[90:91]
	v_mul_f64 v[79:80], v[7:8], v[90:91]
	s_waitcnt vmcnt(56)
	v_fma_f64 v[77:78], v[11:12], v[71:72], -v[77:78]
	v_add_f64 v[15:16], v[15:16], v[57:58]
	v_fma_f64 v[57:58], v[13:14], v[71:72], v[86:87]
	v_add_f64 v[17:18], v[17:18], v[51:52]
	s_clause 0x4
	buffer_load_dword v52, off, s[0:3], 0 offset:652
	buffer_load_dword v71, off, s[0:3], 0 offset:664
	;; [unrolled: 1-line block ×5, first 2 shown]
	ds_read_b128 v[11:14], v64 offset:1136
	s_waitcnt vmcnt(57) lgkmcnt(1)
	v_mul_f64 v[91:92], v[1:2], v[27:28]
	v_mul_f64 v[27:28], v[3:4], v[27:28]
	s_waitcnt vmcnt(56)
	v_fma_f64 v[83:84], v[7:8], v[181:182], -v[83:84]
	v_add_f64 v[15:16], v[15:16], v[77:78]
	v_fma_f64 v[77:78], v[9:10], v[181:182], v[79:80]
	v_add_f64 v[17:18], v[17:18], v[57:58]
	s_clause 0x2
	buffer_load_dword v72, off, s[0:3], 0 offset:668
	buffer_load_dword v58, off, s[0:3], 0 offset:644
	;; [unrolled: 1-line block ×3, first 2 shown]
	ds_read_b128 v[7:10], v64 offset:1152
	s_waitcnt vmcnt(58) lgkmcnt(1)
	v_mul_f64 v[79:80], v[11:12], v[73:74]
	v_mul_f64 v[73:74], v[13:14], v[73:74]
	s_waitcnt vmcnt(56)
	v_fma_f64 v[27:28], v[1:2], v[21:22], -v[27:28]
	v_fma_f64 v[21:22], v[3:4], v[21:22], v[91:92]
	v_add_f64 v[15:16], v[15:16], v[83:84]
	v_add_f64 v[17:18], v[17:18], v[77:78]
	s_clause 0x4
	buffer_load_dword v78, off, s[0:3], 0 offset:684
	buffer_load_dword v83, off, s[0:3], 0 offset:696
	;; [unrolled: 1-line block ×5, first 2 shown]
	ds_read_b128 v[1:4], v64 offset:1168
	s_waitcnt vmcnt(57) lgkmcnt(1)
	v_mul_f64 v[181:182], v[7:8], v[65:66]
	v_mul_f64 v[65:66], v[9:10], v[65:66]
	s_waitcnt vmcnt(56)
	v_fma_f64 v[73:74], v[11:12], v[88:89], -v[73:74]
	v_add_f64 v[15:16], v[15:16], v[27:28]
	v_fma_f64 v[27:28], v[13:14], v[88:89], v[79:80]
	v_add_f64 v[17:18], v[17:18], v[21:22]
	s_clause 0x2
	buffer_load_dword v84, off, s[0:3], 0 offset:700
	buffer_load_dword v22, off, s[0:3], 0 offset:676
	;; [unrolled: 1-line block ×3, first 2 shown]
	ds_read_b128 v[11:14], v64 offset:1184
	s_waitcnt vmcnt(58) lgkmcnt(1)
	v_mul_f64 v[79:80], v[1:2], v[67:68]
	v_mul_f64 v[67:68], v[3:4], v[67:68]
	s_waitcnt vmcnt(56)
	v_fma_f64 v[65:66], v[7:8], v[23:24], -v[65:66]
	v_fma_f64 v[23:24], v[9:10], v[23:24], v[181:182]
	v_add_f64 v[15:16], v[15:16], v[73:74]
	v_add_f64 v[17:18], v[17:18], v[27:28]
	s_clause 0x4
	buffer_load_dword v28, off, s[0:3], 0 offset:716
	buffer_load_dword v73, off, s[0:3], 0 offset:728
	;; [unrolled: 1-line block ×5, first 2 shown]
	ds_read_b128 v[7:10], v64 offset:1200
	s_waitcnt vmcnt(57) lgkmcnt(1)
	v_mul_f64 v[182:183], v[11:12], v[19:20]
	v_mul_f64 v[19:20], v[13:14], v[19:20]
	s_waitcnt vmcnt(56)
	v_fma_f64 v[67:68], v[1:2], v[75:76], -v[67:68]
	v_add_f64 v[15:16], v[15:16], v[65:66]
	v_fma_f64 v[65:66], v[3:4], v[75:76], v[79:80]
	v_add_f64 v[17:18], v[17:18], v[23:24]
	s_clause 0x2
	buffer_load_dword v74, off, s[0:3], 0 offset:732
	buffer_load_dword v24, off, s[0:3], 0 offset:708
	;; [unrolled: 1-line block ×3, first 2 shown]
	ds_read_b128 v[1:4], v64 offset:1216
	s_waitcnt vmcnt(58) lgkmcnt(1)
	v_mul_f64 v[75:76], v[7:8], v[39:40]
	v_mul_f64 v[39:40], v[9:10], v[39:40]
	s_waitcnt vmcnt(56)
	v_fma_f64 v[19:20], v[11:12], v[29:30], -v[19:20]
	v_fma_f64 v[29:30], v[13:14], v[29:30], v[182:183]
	buffer_load_dword v182, off, s[0:3], 0 offset:724
	ds_read_b128 v[11:14], v64 offset:1232
	v_add_f64 v[15:16], v[15:16], v[67:68]
	v_add_f64 v[17:18], v[17:18], v[65:66]
	s_waitcnt vmcnt(53) lgkmcnt(1)
	v_mul_f64 v[65:66], v[1:2], v[25:26]
	v_mul_f64 v[25:26], v[3:4], v[25:26]
	s_waitcnt vmcnt(52)
	v_fma_f64 v[39:40], v[7:8], v[69:70], -v[39:40]
	v_add_f64 v[15:16], v[15:16], v[19:20]
	v_fma_f64 v[19:20], v[9:10], v[69:70], v[75:76]
	v_add_f64 v[17:18], v[17:18], v[29:30]
	s_waitcnt vmcnt(51) lgkmcnt(0)
	v_mul_f64 v[29:30], v[11:12], v[45:46]
	v_mul_f64 v[45:46], v[13:14], v[45:46]
	ds_read_b128 v[7:10], v64 offset:1248
	s_waitcnt vmcnt(49)
	v_fma_f64 v[25:26], v[1:2], v[35:36], -v[25:26]
	v_fma_f64 v[35:36], v[3:4], v[35:36], v[65:66]
	v_add_f64 v[15:16], v[15:16], v[39:40]
	v_add_f64 v[17:18], v[17:18], v[19:20]
	s_clause 0x3
	buffer_load_dword v19, off, s[0:3], 0 offset:96
	buffer_load_dword v20, off, s[0:3], 0 offset:100
	;; [unrolled: 1-line block ×4, first 2 shown]
	ds_read_b128 v[1:4], v64 offset:1264
	s_waitcnt vmcnt(49) lgkmcnt(1)
	v_mul_f64 v[65:66], v[7:8], v[31:32]
	v_mul_f64 v[31:32], v[9:10], v[31:32]
	s_waitcnt vmcnt(48)
	v_fma_f64 v[45:46], v[11:12], v[47:48], -v[45:46]
	v_add_f64 v[15:16], v[15:16], v[25:26]
	v_fma_f64 v[25:26], v[13:14], v[47:48], v[29:30]
	v_add_f64 v[17:18], v[17:18], v[35:36]
	ds_read_b128 v[11:14], v64 offset:1280
	s_waitcnt vmcnt(47) lgkmcnt(1)
	v_mul_f64 v[35:36], v[3:4], v[53:54]
	v_mul_f64 v[29:30], v[1:2], v[53:54]
	s_waitcnt vmcnt(45)
	v_fma_f64 v[31:32], v[7:8], v[33:34], -v[31:32]
	v_fma_f64 v[33:34], v[9:10], v[33:34], v[65:66]
	ds_read_b128 v[7:10], v64 offset:1296
	v_add_f64 v[15:16], v[15:16], v[45:46]
	v_add_f64 v[17:18], v[17:18], v[25:26]
	s_waitcnt vmcnt(41) lgkmcnt(1)
	v_mul_f64 v[25:26], v[11:12], v[37:38]
	v_mul_f64 v[37:38], v[13:14], v[37:38]
	s_waitcnt vmcnt(40)
	v_fma_f64 v[35:36], v[1:2], v[55:56], -v[35:36]
	v_fma_f64 v[29:30], v[3:4], v[55:56], v[29:30]
	ds_read_b128 v[1:4], v64 offset:1312
	v_add_f64 v[15:16], v[15:16], v[31:32]
	v_add_f64 v[17:18], v[17:18], v[33:34]
	;; [unrolled: 9-line block ×3, first 2 shown]
	s_waitcnt vmcnt(33) lgkmcnt(1)
	v_mul_f64 v[35:36], v[3:4], v[43:44]
	s_waitcnt vmcnt(32)
	v_fma_f64 v[33:34], v[7:8], v[61:62], -v[33:34]
	v_mul_f64 v[29:30], v[1:2], v[43:44]
	v_fma_f64 v[31:32], v[9:10], v[61:62], v[31:32]
	ds_read_b128 v[7:10], v64 offset:1344
	v_add_f64 v[15:16], v[15:16], v[37:38]
	v_add_f64 v[17:18], v[17:18], v[25:26]
	s_waitcnt vmcnt(31) lgkmcnt(1)
	v_mul_f64 v[37:38], v[13:14], v[81:82]
	v_mul_f64 v[25:26], v[11:12], v[81:82]
	s_waitcnt vmcnt(29)
	v_fma_f64 v[35:36], v[1:2], v[49:50], -v[35:36]
	v_fma_f64 v[29:30], v[3:4], v[49:50], v[29:30]
	ds_read_b128 v[1:4], v64 offset:1360
	v_add_f64 v[15:16], v[15:16], v[33:34]
	v_add_f64 v[17:18], v[17:18], v[31:32]
	s_waitcnt vmcnt(25) lgkmcnt(1)
	v_mul_f64 v[33:34], v[9:10], v[51:52]
	s_waitcnt vmcnt(24)
	v_fma_f64 v[37:38], v[11:12], v[85:86], -v[37:38]
	v_mul_f64 v[31:32], v[7:8], v[51:52]
	v_fma_f64 v[25:26], v[13:14], v[85:86], v[25:26]
	ds_read_b128 v[11:14], v64 offset:1376
	v_add_f64 v[15:16], v[15:16], v[35:36]
	v_add_f64 v[17:18], v[17:18], v[29:30]
	s_waitcnt vmcnt(23) lgkmcnt(1)
	v_mul_f64 v[35:36], v[3:4], v[71:72]
	v_mul_f64 v[29:30], v[1:2], v[71:72]
	s_waitcnt vmcnt(21)
	v_fma_f64 v[33:34], v[7:8], v[57:58], -v[33:34]
	v_fma_f64 v[31:32], v[9:10], v[57:58], v[31:32]
	ds_read_b128 v[7:10], v64 offset:1392
	v_add_f64 v[15:16], v[15:16], v[37:38]
	v_add_f64 v[17:18], v[17:18], v[25:26]
	;; [unrolled: 18-line block ×3, first 2 shown]
	s_waitcnt vmcnt(9) lgkmcnt(1)
	v_mul_f64 v[25:26], v[1:2], v[27:28]
	v_mul_f64 v[27:28], v[3:4], v[27:28]
	s_waitcnt vmcnt(8)
	v_fma_f64 v[7:8], v[7:8], v[87:88], -v[33:34]
	v_fma_f64 v[9:10], v[9:10], v[87:88], v[31:32]
	v_add_f64 v[15:16], v[15:16], v[37:38]
	v_add_f64 v[17:18], v[17:18], v[21:22]
	s_waitcnt vmcnt(7) lgkmcnt(0)
	v_mul_f64 v[29:30], v[13:14], v[73:74]
	v_mul_f64 v[21:22], v[11:12], v[73:74]
	s_waitcnt vmcnt(5)
	v_fma_f64 v[1:2], v[1:2], v[23:24], -v[27:28]
	v_fma_f64 v[3:4], v[3:4], v[23:24], v[25:26]
	v_add_f64 v[7:8], v[15:16], v[7:8]
	v_add_f64 v[9:10], v[17:18], v[9:10]
	s_waitcnt vmcnt(4)
	v_fma_f64 v[11:12], v[11:12], v[181:182], -v[29:30]
	v_add_f64 v[1:2], v[7:8], v[1:2]
	v_fma_f64 v[7:8], v[13:14], v[181:182], v[21:22]
	v_add_f64 v[3:4], v[9:10], v[3:4]
	v_add_f64 v[1:2], v[1:2], v[11:12]
	;; [unrolled: 1-line block ×3, first 2 shown]
	s_waitcnt vmcnt(2)
	v_add_f64 v[1:2], v[19:20], -v[1:2]
	s_waitcnt vmcnt(0)
	v_add_f64 v[3:4], v[39:40], -v[3:4]
	buffer_store_dword v2, off, s[0:3], 0 offset:100
	buffer_store_dword v1, off, s[0:3], 0 offset:96
	;; [unrolled: 1-line block ×4, first 2 shown]
	v_cmpx_lt_u32_e32 4, v0
	s_cbranch_execz .LBB44_275
; %bb.274:
	v_mov_b32_e32 v4, s49
	s_clause 0x3
	buffer_load_dword v1, v4, s[0:3], 0 offen
	buffer_load_dword v2, v4, s[0:3], 0 offen offset:4
	buffer_load_dword v3, v4, s[0:3], 0 offen offset:8
	buffer_load_dword v4, v4, s[0:3], 0 offen offset:12
	buffer_store_dword v64, off, s[0:3], 0 offset:80
	buffer_store_dword v64, off, s[0:3], 0 offset:84
	;; [unrolled: 1-line block ×4, first 2 shown]
	s_waitcnt vmcnt(0)
	ds_write_b128 v63, v[1:4]
.LBB44_275:
	s_or_b32 exec_lo, exec_lo, s4
	s_waitcnt lgkmcnt(0)
	s_waitcnt_vscnt null, 0x0
	s_barrier
	buffer_gl0_inv
	s_clause 0x37
	buffer_load_dword v11, off, s[0:3], 0 offset:104
	buffer_load_dword v12, off, s[0:3], 0 offset:108
	buffer_load_dword v7, off, s[0:3], 0 offset:120
	buffer_load_dword v8, off, s[0:3], 0 offset:124
	buffer_load_dword v9, off, s[0:3], 0 offset:96
	buffer_load_dword v10, off, s[0:3], 0 offset:100
	buffer_load_dword v3, off, s[0:3], 0 offset:136
	buffer_load_dword v4, off, s[0:3], 0 offset:140
	buffer_load_dword v1, off, s[0:3], 0 offset:112
	buffer_load_dword v2, off, s[0:3], 0 offset:116
	buffer_load_dword v16, off, s[0:3], 0 offset:156
	buffer_load_dword v19, off, s[0:3], 0 offset:168
	buffer_load_dword v13, off, s[0:3], 0 offset:160
	buffer_load_dword v15, off, s[0:3], 0 offset:152
	buffer_load_dword v27, off, s[0:3], 0 offset:128
	buffer_load_dword v28, off, s[0:3], 0 offset:132
	buffer_load_dword v20, off, s[0:3], 0 offset:172
	buffer_load_dword v22, off, s[0:3], 0 offset:148
	buffer_load_dword v21, off, s[0:3], 0 offset:144
	buffer_load_dword v24, off, s[0:3], 0 offset:188
	buffer_load_dword v29, off, s[0:3], 0 offset:200
	buffer_load_dword v17, off, s[0:3], 0 offset:192
	buffer_load_dword v23, off, s[0:3], 0 offset:184
	buffer_load_dword v14, off, s[0:3], 0 offset:164
	buffer_load_dword v30, off, s[0:3], 0 offset:204
	buffer_load_dword v32, off, s[0:3], 0 offset:180
	buffer_load_dword v31, off, s[0:3], 0 offset:176
	buffer_load_dword v34, off, s[0:3], 0 offset:220
	buffer_load_dword v37, off, s[0:3], 0 offset:232
	buffer_load_dword v25, off, s[0:3], 0 offset:224
	buffer_load_dword v33, off, s[0:3], 0 offset:216
	buffer_load_dword v18, off, s[0:3], 0 offset:196
	buffer_load_dword v38, off, s[0:3], 0 offset:236
	buffer_load_dword v40, off, s[0:3], 0 offset:212
	buffer_load_dword v39, off, s[0:3], 0 offset:208
	buffer_load_dword v42, off, s[0:3], 0 offset:252
	buffer_load_dword v45, off, s[0:3], 0 offset:264
	buffer_load_dword v35, off, s[0:3], 0 offset:256
	buffer_load_dword v41, off, s[0:3], 0 offset:248
	buffer_load_dword v26, off, s[0:3], 0 offset:228
	buffer_load_dword v46, off, s[0:3], 0 offset:268
	buffer_load_dword v48, off, s[0:3], 0 offset:244
	buffer_load_dword v47, off, s[0:3], 0 offset:240
	buffer_load_dword v50, off, s[0:3], 0 offset:284
	buffer_load_dword v53, off, s[0:3], 0 offset:296
	buffer_load_dword v43, off, s[0:3], 0 offset:288
	buffer_load_dword v49, off, s[0:3], 0 offset:280
	buffer_load_dword v36, off, s[0:3], 0 offset:260
	buffer_load_dword v54, off, s[0:3], 0 offset:300
	buffer_load_dword v56, off, s[0:3], 0 offset:276
	buffer_load_dword v55, off, s[0:3], 0 offset:272
	buffer_load_dword v58, off, s[0:3], 0 offset:316
	buffer_load_dword v59, off, s[0:3], 0 offset:328
	buffer_load_dword v51, off, s[0:3], 0 offset:320
	buffer_load_dword v57, off, s[0:3], 0 offset:312
	buffer_load_dword v44, off, s[0:3], 0 offset:292
	ds_read_b128 v[65:68], v64 offset:800
	s_clause 0x2
	buffer_load_dword v60, off, s[0:3], 0 offset:332
	buffer_load_dword v62, off, s[0:3], 0 offset:308
	;; [unrolled: 1-line block ×3, first 2 shown]
	ds_read_b128 v[69:72], v64 offset:816
	s_clause 0x4
	buffer_load_dword v80, off, s[0:3], 0 offset:348
	buffer_load_dword v81, off, s[0:3], 0 offset:360
	buffer_load_dword v83, off, s[0:3], 0 offset:352
	buffer_load_dword v79, off, s[0:3], 0 offset:344
	buffer_load_dword v52, off, s[0:3], 0 offset:324
	ds_read_b128 v[73:76], v64 offset:832
	s_clause 0x2
	buffer_load_dword v82, off, s[0:3], 0 offset:364
	buffer_load_dword v87, off, s[0:3], 0 offset:340
	;; [unrolled: 1-line block ×3, first 2 shown]
	s_mov_b32 s4, exec_lo
	s_waitcnt vmcnt(62) lgkmcnt(2)
	v_mul_f64 v[77:78], v[67:68], v[11:12]
	v_mul_f64 v[11:12], v[65:66], v[11:12]
	s_waitcnt lgkmcnt(1)
	v_mul_f64 v[84:85], v[71:72], v[7:8]
	s_waitcnt vmcnt(59) lgkmcnt(0)
	v_mul_f64 v[88:89], v[75:76], v[3:4]
	v_fma_f64 v[65:66], v[65:66], v[9:10], -v[77:78]
	v_mul_f64 v[77:78], v[69:70], v[7:8]
	v_fma_f64 v[11:12], v[67:68], v[9:10], v[11:12]
	s_waitcnt vmcnt(57)
	v_fma_f64 v[69:70], v[69:70], v[1:2], -v[84:85]
	ds_read_b128 v[7:10], v64 offset:848
	v_mul_f64 v[67:68], v[73:74], v[3:4]
	s_waitcnt vmcnt(51)
	v_fma_f64 v[73:74], v[73:74], v[27:28], -v[88:89]
	v_add_f64 v[65:66], v[65:66], 0
	v_fma_f64 v[71:72], v[71:72], v[1:2], v[77:78]
	v_add_f64 v[11:12], v[11:12], 0
	s_clause 0x4
	buffer_load_dword v78, off, s[0:3], 0 offset:380
	buffer_load_dword v90, off, s[0:3], 0 offset:392
	;; [unrolled: 1-line block ×5, first 2 shown]
	s_waitcnt lgkmcnt(0)
	v_mul_f64 v[182:183], v[7:8], v[15:16]
	v_mul_f64 v[15:16], v[9:10], v[15:16]
	ds_read_b128 v[1:4], v64 offset:864
	v_fma_f64 v[27:28], v[75:76], v[27:28], v[67:68]
	v_add_f64 v[69:70], v[65:66], v[69:70]
	v_add_f64 v[11:12], v[11:12], v[71:72]
	s_clause 0x2
	buffer_load_dword v91, off, s[0:3], 0 offset:396
	buffer_load_dword v72, off, s[0:3], 0 offset:372
	;; [unrolled: 1-line block ×3, first 2 shown]
	s_waitcnt vmcnt(58) lgkmcnt(0)
	v_mul_f64 v[75:76], v[1:2], v[19:20]
	v_mul_f64 v[19:20], v[3:4], v[19:20]
	s_waitcnt vmcnt(56)
	v_fma_f64 v[15:16], v[7:8], v[21:22], -v[15:16]
	ds_read_b128 v[65:68], v64 offset:880
	v_fma_f64 v[21:22], v[9:10], v[21:22], v[182:183]
	v_add_f64 v[69:70], v[69:70], v[73:74]
	v_add_f64 v[11:12], v[11:12], v[27:28]
	s_clause 0x4
	buffer_load_dword v28, off, s[0:3], 0 offset:412
	buffer_load_dword v73, off, s[0:3], 0 offset:424
	;; [unrolled: 1-line block ×5, first 2 shown]
	ds_read_b128 v[7:10], v64 offset:896
	s_waitcnt vmcnt(57) lgkmcnt(1)
	v_mul_f64 v[183:184], v[65:66], v[23:24]
	v_mul_f64 v[23:24], v[67:68], v[23:24]
	s_waitcnt vmcnt(56)
	v_fma_f64 v[19:20], v[1:2], v[13:14], -v[19:20]
	v_fma_f64 v[13:14], v[3:4], v[13:14], v[75:76]
	v_add_f64 v[15:16], v[69:70], v[15:16]
	v_add_f64 v[11:12], v[11:12], v[21:22]
	s_clause 0x2
	buffer_load_dword v74, off, s[0:3], 0 offset:428
	buffer_load_dword v22, off, s[0:3], 0 offset:404
	;; [unrolled: 1-line block ×3, first 2 shown]
	s_waitcnt vmcnt(58) lgkmcnt(0)
	v_mul_f64 v[69:70], v[7:8], v[29:30]
	v_mul_f64 v[29:30], v[9:10], v[29:30]
	s_waitcnt vmcnt(56)
	v_fma_f64 v[23:24], v[65:66], v[31:32], -v[23:24]
	ds_read_b128 v[1:4], v64 offset:912
	v_add_f64 v[15:16], v[15:16], v[19:20]
	v_fma_f64 v[19:20], v[67:68], v[31:32], v[183:184]
	v_add_f64 v[31:32], v[11:12], v[13:14]
	s_clause 0x4
	buffer_load_dword v66, off, s[0:3], 0 offset:444
	buffer_load_dword v67, off, s[0:3], 0 offset:456
	;; [unrolled: 1-line block ×5, first 2 shown]
	ds_read_b128 v[11:14], v64 offset:928
	s_waitcnt vmcnt(57) lgkmcnt(1)
	v_mul_f64 v[183:184], v[1:2], v[33:34]
	v_mul_f64 v[33:34], v[3:4], v[33:34]
	s_waitcnt vmcnt(56)
	v_fma_f64 v[29:30], v[7:8], v[17:18], -v[29:30]
	v_fma_f64 v[17:18], v[9:10], v[17:18], v[69:70]
	v_add_f64 v[15:16], v[15:16], v[23:24]
	s_clause 0x2
	buffer_load_dword v68, off, s[0:3], 0 offset:460
	buffer_load_dword v24, off, s[0:3], 0 offset:436
	;; [unrolled: 1-line block ×3, first 2 shown]
	v_add_f64 v[19:20], v[31:32], v[19:20]
	s_waitcnt vmcnt(58) lgkmcnt(0)
	v_mul_f64 v[31:32], v[11:12], v[37:38]
	v_mul_f64 v[37:38], v[13:14], v[37:38]
	ds_read_b128 v[7:10], v64 offset:944
	s_waitcnt vmcnt(56)
	v_fma_f64 v[33:34], v[1:2], v[39:40], -v[33:34]
	v_add_f64 v[15:16], v[15:16], v[29:30]
	v_fma_f64 v[29:30], v[3:4], v[39:40], v[183:184]
	v_add_f64 v[17:18], v[19:20], v[17:18]
	s_clause 0x4
	buffer_load_dword v20, off, s[0:3], 0 offset:476
	buffer_load_dword v39, off, s[0:3], 0 offset:488
	;; [unrolled: 1-line block ×5, first 2 shown]
	s_waitcnt vmcnt(57) lgkmcnt(0)
	v_mul_f64 v[183:184], v[7:8], v[41:42]
	v_mul_f64 v[41:42], v[9:10], v[41:42]
	s_waitcnt vmcnt(56)
	v_fma_f64 v[37:38], v[11:12], v[25:26], -v[37:38]
	ds_read_b128 v[1:4], v64 offset:960
	v_fma_f64 v[25:26], v[13:14], v[25:26], v[31:32]
	v_add_f64 v[15:16], v[15:16], v[33:34]
	v_add_f64 v[17:18], v[17:18], v[29:30]
	s_clause 0x2
	buffer_load_dword v40, off, s[0:3], 0 offset:492
	buffer_load_dword v30, off, s[0:3], 0 offset:468
	;; [unrolled: 1-line block ×3, first 2 shown]
	ds_read_b128 v[11:14], v64 offset:976
	s_waitcnt vmcnt(58) lgkmcnt(1)
	v_mul_f64 v[33:34], v[3:4], v[45:46]
	s_waitcnt vmcnt(56)
	v_fma_f64 v[41:42], v[7:8], v[47:48], -v[41:42]
	v_mul_f64 v[31:32], v[1:2], v[45:46]
	v_add_f64 v[15:16], v[15:16], v[37:38]
	v_fma_f64 v[37:38], v[9:10], v[47:48], v[183:184]
	v_add_f64 v[17:18], v[17:18], v[25:26]
	s_clause 0x4
	buffer_load_dword v26, off, s[0:3], 0 offset:508
	buffer_load_dword v45, off, s[0:3], 0 offset:520
	;; [unrolled: 1-line block ×5, first 2 shown]
	s_waitcnt vmcnt(57) lgkmcnt(0)
	v_mul_f64 v[183:184], v[11:12], v[49:50]
	v_mul_f64 v[48:49], v[13:14], v[49:50]
	s_waitcnt vmcnt(56)
	v_fma_f64 v[33:34], v[1:2], v[35:36], -v[33:34]
	ds_read_b128 v[7:10], v64 offset:992
	v_fma_f64 v[31:32], v[3:4], v[35:36], v[31:32]
	s_clause 0x2
	buffer_load_dword v46, off, s[0:3], 0 offset:524
	buffer_load_dword v36, off, s[0:3], 0 offset:500
	;; [unrolled: 1-line block ×3, first 2 shown]
	ds_read_b128 v[1:4], v64 offset:1008
	v_add_f64 v[15:16], v[15:16], v[41:42]
	v_add_f64 v[17:18], v[17:18], v[37:38]
	s_waitcnt vmcnt(58) lgkmcnt(1)
	v_mul_f64 v[41:42], v[9:10], v[53:54]
	s_waitcnt vmcnt(56)
	v_fma_f64 v[49:50], v[11:12], v[55:56], -v[48:49]
	v_mul_f64 v[37:38], v[7:8], v[53:54]
	v_add_f64 v[15:16], v[15:16], v[33:34]
	v_fma_f64 v[33:34], v[13:14], v[55:56], v[183:184]
	v_add_f64 v[17:18], v[17:18], v[31:32]
	s_clause 0x4
	buffer_load_dword v32, off, s[0:3], 0 offset:540
	buffer_load_dword v53, off, s[0:3], 0 offset:552
	;; [unrolled: 1-line block ×5, first 2 shown]
	s_waitcnt vmcnt(57) lgkmcnt(0)
	v_mul_f64 v[183:184], v[1:2], v[57:58]
	v_mul_f64 v[56:57], v[3:4], v[57:58]
	s_waitcnt vmcnt(56)
	v_fma_f64 v[41:42], v[7:8], v[43:44], -v[41:42]
	ds_read_b128 v[11:14], v64 offset:1024
	v_fma_f64 v[37:38], v[9:10], v[43:44], v[37:38]
	v_add_f64 v[15:16], v[15:16], v[49:50]
	v_add_f64 v[17:18], v[17:18], v[33:34]
	s_clause 0x2
	buffer_load_dword v54, off, s[0:3], 0 offset:556
	buffer_load_dword v34, off, s[0:3], 0 offset:532
	;; [unrolled: 1-line block ×3, first 2 shown]
	ds_read_b128 v[7:10], v64 offset:1040
	s_waitcnt vmcnt(58) lgkmcnt(1)
	v_mul_f64 v[49:50], v[13:14], v[59:60]
	s_waitcnt vmcnt(56)
	v_fma_f64 v[57:58], v[1:2], v[61:62], -v[56:57]
	v_mul_f64 v[43:44], v[11:12], v[59:60]
	v_add_f64 v[15:16], v[15:16], v[41:42]
	v_fma_f64 v[41:42], v[3:4], v[61:62], v[183:184]
	v_add_f64 v[17:18], v[17:18], v[37:38]
	s_clause 0x4
	buffer_load_dword v38, off, s[0:3], 0 offset:572
	buffer_load_dword v59, off, s[0:3], 0 offset:584
	buffer_load_dword v61, off, s[0:3], 0 offset:576
	buffer_load_dword v37, off, s[0:3], 0 offset:568
	buffer_load_dword v56, off, s[0:3], 0 offset:548
	s_waitcnt vmcnt(57) lgkmcnt(0)
	v_mul_f64 v[183:184], v[7:8], v[79:80]
	v_mul_f64 v[79:80], v[9:10], v[79:80]
	s_waitcnt vmcnt(56)
	v_fma_f64 v[49:50], v[11:12], v[51:52], -v[49:50]
	ds_read_b128 v[1:4], v64 offset:1056
	v_fma_f64 v[43:44], v[13:14], v[51:52], v[43:44]
	v_add_f64 v[15:16], v[15:16], v[57:58]
	v_add_f64 v[17:18], v[17:18], v[41:42]
	s_clause 0x2
	buffer_load_dword v60, off, s[0:3], 0 offset:588
	buffer_load_dword v42, off, s[0:3], 0 offset:564
	;; [unrolled: 1-line block ×3, first 2 shown]
	ds_read_b128 v[11:14], v64 offset:1072
	s_waitcnt vmcnt(58) lgkmcnt(1)
	v_mul_f64 v[57:58], v[3:4], v[81:82]
	s_waitcnt vmcnt(56)
	v_fma_f64 v[79:80], v[7:8], v[86:87], -v[79:80]
	v_mul_f64 v[51:52], v[1:2], v[81:82]
	v_add_f64 v[15:16], v[15:16], v[49:50]
	v_fma_f64 v[49:50], v[9:10], v[86:87], v[183:184]
	v_add_f64 v[17:18], v[17:18], v[43:44]
	s_clause 0x4
	buffer_load_dword v44, off, s[0:3], 0 offset:604
	buffer_load_dword v81, off, s[0:3], 0 offset:616
	;; [unrolled: 1-line block ×5, first 2 shown]
	ds_read_b128 v[7:10], v64 offset:1088
	s_waitcnt vmcnt(57) lgkmcnt(1)
	v_mul_f64 v[86:87], v[11:12], v[77:78]
	v_mul_f64 v[77:78], v[13:14], v[77:78]
	s_waitcnt vmcnt(56)
	v_fma_f64 v[57:58], v[1:2], v[83:84], -v[57:58]
	v_fma_f64 v[51:52], v[3:4], v[83:84], v[51:52]
	v_add_f64 v[15:16], v[15:16], v[79:80]
	v_add_f64 v[17:18], v[17:18], v[49:50]
	s_clause 0x2
	buffer_load_dword v82, off, s[0:3], 0 offset:620
	buffer_load_dword v50, off, s[0:3], 0 offset:596
	;; [unrolled: 1-line block ×3, first 2 shown]
	ds_read_b128 v[1:4], v64 offset:1104
	s_waitcnt vmcnt(58) lgkmcnt(1)
	v_mul_f64 v[83:84], v[9:10], v[90:91]
	v_mul_f64 v[79:80], v[7:8], v[90:91]
	s_waitcnt vmcnt(56)
	v_fma_f64 v[77:78], v[11:12], v[71:72], -v[77:78]
	v_add_f64 v[15:16], v[15:16], v[57:58]
	v_fma_f64 v[57:58], v[13:14], v[71:72], v[86:87]
	v_add_f64 v[17:18], v[17:18], v[51:52]
	s_clause 0x4
	buffer_load_dword v52, off, s[0:3], 0 offset:636
	buffer_load_dword v71, off, s[0:3], 0 offset:648
	buffer_load_dword v90, off, s[0:3], 0 offset:640
	buffer_load_dword v51, off, s[0:3], 0 offset:632
	buffer_load_dword v86, off, s[0:3], 0 offset:612
	ds_read_b128 v[11:14], v64 offset:1120
	s_waitcnt vmcnt(57) lgkmcnt(1)
	v_mul_f64 v[91:92], v[1:2], v[27:28]
	v_mul_f64 v[27:28], v[3:4], v[27:28]
	s_waitcnt vmcnt(56)
	v_fma_f64 v[83:84], v[7:8], v[181:182], -v[83:84]
	v_add_f64 v[15:16], v[15:16], v[77:78]
	v_fma_f64 v[77:78], v[9:10], v[181:182], v[79:80]
	v_add_f64 v[17:18], v[17:18], v[57:58]
	s_clause 0x2
	buffer_load_dword v72, off, s[0:3], 0 offset:652
	buffer_load_dword v58, off, s[0:3], 0 offset:628
	buffer_load_dword v57, off, s[0:3], 0 offset:624
	ds_read_b128 v[7:10], v64 offset:1136
	s_waitcnt vmcnt(58) lgkmcnt(1)
	v_mul_f64 v[79:80], v[11:12], v[73:74]
	v_mul_f64 v[73:74], v[13:14], v[73:74]
	s_waitcnt vmcnt(56)
	v_fma_f64 v[27:28], v[1:2], v[21:22], -v[27:28]
	v_fma_f64 v[21:22], v[3:4], v[21:22], v[91:92]
	v_add_f64 v[15:16], v[15:16], v[83:84]
	v_add_f64 v[17:18], v[17:18], v[77:78]
	s_clause 0x4
	buffer_load_dword v78, off, s[0:3], 0 offset:668
	buffer_load_dword v83, off, s[0:3], 0 offset:680
	buffer_load_dword v87, off, s[0:3], 0 offset:672
	buffer_load_dword v77, off, s[0:3], 0 offset:664
	buffer_load_dword v91, off, s[0:3], 0 offset:644
	ds_read_b128 v[1:4], v64 offset:1152
	s_waitcnt vmcnt(57) lgkmcnt(1)
	v_mul_f64 v[181:182], v[7:8], v[65:66]
	v_mul_f64 v[65:66], v[9:10], v[65:66]
	s_waitcnt vmcnt(56)
	v_fma_f64 v[73:74], v[11:12], v[88:89], -v[73:74]
	v_add_f64 v[15:16], v[15:16], v[27:28]
	v_fma_f64 v[27:28], v[13:14], v[88:89], v[79:80]
	v_add_f64 v[17:18], v[17:18], v[21:22]
	s_clause 0x2
	buffer_load_dword v84, off, s[0:3], 0 offset:684
	buffer_load_dword v22, off, s[0:3], 0 offset:660
	buffer_load_dword v21, off, s[0:3], 0 offset:656
	ds_read_b128 v[11:14], v64 offset:1168
	s_waitcnt vmcnt(58) lgkmcnt(1)
	v_mul_f64 v[79:80], v[1:2], v[67:68]
	v_mul_f64 v[67:68], v[3:4], v[67:68]
	s_waitcnt vmcnt(56)
	v_fma_f64 v[65:66], v[7:8], v[23:24], -v[65:66]
	v_fma_f64 v[23:24], v[9:10], v[23:24], v[181:182]
	v_add_f64 v[15:16], v[15:16], v[73:74]
	;; [unrolled: 28-line block ×3, first 2 shown]
	v_add_f64 v[17:18], v[17:18], v[65:66]
	s_clause 0x2
	buffer_load_dword v66, off, s[0:3], 0 offset:732
	buffer_load_dword v65, off, s[0:3], 0 offset:728
	buffer_load_dword v182, off, s[0:3], 0 offset:708
	ds_read_b128 v[11:14], v64 offset:1216
	s_waitcnt vmcnt(55) lgkmcnt(1)
	v_mul_f64 v[67:68], v[1:2], v[25:26]
	v_mul_f64 v[25:26], v[3:4], v[25:26]
	s_waitcnt vmcnt(54)
	v_fma_f64 v[39:40], v[7:8], v[69:70], -v[39:40]
	v_add_f64 v[15:16], v[15:16], v[19:20]
	v_fma_f64 v[19:20], v[9:10], v[69:70], v[75:76]
	v_add_f64 v[17:18], v[17:18], v[29:30]
	s_clause 0x1
	buffer_load_dword v30, off, s[0:3], 0 offset:724
	buffer_load_dword v29, off, s[0:3], 0 offset:720
	s_waitcnt vmcnt(55) lgkmcnt(0)
	v_mul_f64 v[69:70], v[11:12], v[45:46]
	v_mul_f64 v[45:46], v[13:14], v[45:46]
	ds_read_b128 v[7:10], v64 offset:1232
	s_waitcnt vmcnt(53)
	v_fma_f64 v[25:26], v[1:2], v[35:36], -v[25:26]
	v_fma_f64 v[35:36], v[3:4], v[35:36], v[67:68]
	ds_read_b128 v[1:4], v64 offset:1248
	v_add_f64 v[15:16], v[15:16], v[39:40]
	v_add_f64 v[17:18], v[17:18], v[19:20]
	s_waitcnt vmcnt(49) lgkmcnt(1)
	v_mul_f64 v[19:20], v[7:8], v[31:32]
	v_mul_f64 v[31:32], v[9:10], v[31:32]
	s_waitcnt vmcnt(48)
	v_fma_f64 v[39:40], v[11:12], v[47:48], -v[45:46]
	v_add_f64 v[15:16], v[15:16], v[25:26]
	v_fma_f64 v[25:26], v[13:14], v[47:48], v[69:70]
	v_add_f64 v[17:18], v[17:18], v[35:36]
	s_clause 0x3
	buffer_load_dword v35, off, s[0:3], 0 offset:80
	buffer_load_dword v36, off, s[0:3], 0 offset:84
	;; [unrolled: 1-line block ×4, first 2 shown]
	ds_read_b128 v[11:14], v64 offset:1264
	s_waitcnt vmcnt(51) lgkmcnt(1)
	v_mul_f64 v[47:48], v[1:2], v[53:54]
	v_mul_f64 v[53:54], v[3:4], v[53:54]
	s_waitcnt vmcnt(49)
	v_fma_f64 v[31:32], v[7:8], v[33:34], -v[31:32]
	v_fma_f64 v[19:20], v[9:10], v[33:34], v[19:20]
	ds_read_b128 v[7:10], v64 offset:1280
	v_add_f64 v[15:16], v[15:16], v[39:40]
	v_add_f64 v[17:18], v[17:18], v[25:26]
	s_waitcnt vmcnt(45) lgkmcnt(1)
	v_mul_f64 v[25:26], v[11:12], v[37:38]
	v_mul_f64 v[33:34], v[13:14], v[37:38]
	s_waitcnt vmcnt(44)
	v_fma_f64 v[37:38], v[1:2], v[55:56], -v[53:54]
	v_add_f64 v[15:16], v[15:16], v[31:32]
	v_fma_f64 v[31:32], v[3:4], v[55:56], v[47:48]
	v_add_f64 v[17:18], v[17:18], v[19:20]
	ds_read_b128 v[1:4], v64 offset:1296
	s_waitcnt vmcnt(43) lgkmcnt(1)
	v_mul_f64 v[39:40], v[9:10], v[59:60]
	v_mul_f64 v[19:20], v[7:8], v[59:60]
	s_waitcnt vmcnt(41)
	v_fma_f64 v[33:34], v[11:12], v[41:42], -v[33:34]
	v_fma_f64 v[25:26], v[13:14], v[41:42], v[25:26]
	ds_read_b128 v[11:14], v64 offset:1312
	v_add_f64 v[15:16], v[15:16], v[37:38]
	v_add_f64 v[17:18], v[17:18], v[31:32]
	s_waitcnt vmcnt(37) lgkmcnt(1)
	v_mul_f64 v[37:38], v[3:4], v[43:44]
	s_waitcnt vmcnt(36)
	v_fma_f64 v[39:40], v[7:8], v[61:62], -v[39:40]
	v_mul_f64 v[31:32], v[1:2], v[43:44]
	v_fma_f64 v[19:20], v[9:10], v[61:62], v[19:20]
	ds_read_b128 v[7:10], v64 offset:1328
	v_add_f64 v[15:16], v[15:16], v[33:34]
	v_add_f64 v[17:18], v[17:18], v[25:26]
	s_waitcnt vmcnt(35) lgkmcnt(1)
	v_mul_f64 v[33:34], v[13:14], v[81:82]
	v_mul_f64 v[25:26], v[11:12], v[81:82]
	s_waitcnt vmcnt(33)
	v_fma_f64 v[37:38], v[1:2], v[49:50], -v[37:38]
	v_fma_f64 v[31:32], v[3:4], v[49:50], v[31:32]
	ds_read_b128 v[1:4], v64 offset:1344
	v_add_f64 v[15:16], v[15:16], v[39:40]
	v_add_f64 v[17:18], v[17:18], v[19:20]
	s_waitcnt vmcnt(29) lgkmcnt(1)
	v_mul_f64 v[39:40], v[9:10], v[51:52]
	s_waitcnt vmcnt(28)
	v_fma_f64 v[33:34], v[11:12], v[85:86], -v[33:34]
	v_mul_f64 v[19:20], v[7:8], v[51:52]
	v_fma_f64 v[25:26], v[13:14], v[85:86], v[25:26]
	ds_read_b128 v[11:14], v64 offset:1360
	v_add_f64 v[15:16], v[15:16], v[37:38]
	v_add_f64 v[17:18], v[17:18], v[31:32]
	;; [unrolled: 18-line block ×3, first 2 shown]
	s_waitcnt vmcnt(19) lgkmcnt(1)
	v_mul_f64 v[39:40], v[9:10], v[83:84]
	v_mul_f64 v[19:20], v[7:8], v[83:84]
	s_waitcnt vmcnt(17)
	v_fma_f64 v[33:34], v[11:12], v[21:22], -v[33:34]
	v_fma_f64 v[21:22], v[13:14], v[21:22], v[25:26]
	ds_read_b128 v[11:14], v64 offset:1408
	v_add_f64 v[15:16], v[15:16], v[37:38]
	v_add_f64 v[17:18], v[17:18], v[31:32]
	s_waitcnt vmcnt(13) lgkmcnt(1)
	v_mul_f64 v[25:26], v[1:2], v[27:28]
	v_mul_f64 v[27:28], v[3:4], v[27:28]
	s_waitcnt vmcnt(12)
	v_fma_f64 v[31:32], v[7:8], v[87:88], -v[39:40]
	v_fma_f64 v[19:20], v[9:10], v[87:88], v[19:20]
	ds_read_b128 v[7:10], v64 offset:1424
	v_add_f64 v[15:16], v[15:16], v[33:34]
	v_add_f64 v[17:18], v[17:18], v[21:22]
	s_waitcnt vmcnt(11) lgkmcnt(1)
	v_mul_f64 v[33:34], v[13:14], v[73:74]
	v_mul_f64 v[21:22], v[11:12], v[73:74]
	s_waitcnt vmcnt(9)
	v_fma_f64 v[1:2], v[1:2], v[23:24], -v[27:28]
	v_fma_f64 v[3:4], v[3:4], v[23:24], v[25:26]
	v_add_f64 v[15:16], v[15:16], v[31:32]
	v_add_f64 v[17:18], v[17:18], v[19:20]
	s_waitcnt vmcnt(7) lgkmcnt(0)
	v_mul_f64 v[23:24], v[9:10], v[65:66]
	s_waitcnt vmcnt(6)
	v_fma_f64 v[11:12], v[11:12], v[181:182], -v[33:34]
	v_mul_f64 v[19:20], v[7:8], v[65:66]
	v_fma_f64 v[13:14], v[13:14], v[181:182], v[21:22]
	v_add_f64 v[1:2], v[15:16], v[1:2]
	v_add_f64 v[3:4], v[17:18], v[3:4]
	s_waitcnt vmcnt(4)
	v_fma_f64 v[7:8], v[7:8], v[29:30], -v[23:24]
	v_fma_f64 v[9:10], v[9:10], v[29:30], v[19:20]
	v_add_f64 v[1:2], v[1:2], v[11:12]
	v_add_f64 v[3:4], v[3:4], v[13:14]
	;; [unrolled: 1-line block ×4, first 2 shown]
	s_waitcnt vmcnt(2)
	v_add_f64 v[1:2], v[35:36], -v[1:2]
	s_waitcnt vmcnt(0)
	v_add_f64 v[3:4], v[45:46], -v[3:4]
	buffer_store_dword v2, off, s[0:3], 0 offset:84
	buffer_store_dword v1, off, s[0:3], 0 offset:80
	;; [unrolled: 1-line block ×4, first 2 shown]
	v_cmpx_lt_u32_e32 3, v0
	s_cbranch_execz .LBB44_277
; %bb.276:
	v_mov_b32_e32 v4, s52
	v_mov_b32_e32 v7, 0
	s_clause 0x3
	buffer_load_dword v1, v4, s[0:3], 0 offen
	buffer_load_dword v2, v4, s[0:3], 0 offen offset:4
	buffer_load_dword v3, v4, s[0:3], 0 offen offset:8
	;; [unrolled: 1-line block ×3, first 2 shown]
	buffer_store_dword v7, off, s[0:3], 0 offset:64
	buffer_store_dword v7, off, s[0:3], 0 offset:68
	;; [unrolled: 1-line block ×4, first 2 shown]
	s_waitcnt vmcnt(0)
	ds_write_b128 v63, v[1:4]
.LBB44_277:
	s_or_b32 exec_lo, exec_lo, s4
	s_waitcnt lgkmcnt(0)
	s_waitcnt_vscnt null, 0x0
	s_barrier
	buffer_gl0_inv
	s_clause 0x37
	buffer_load_dword v11, off, s[0:3], 0 offset:88
	buffer_load_dword v12, off, s[0:3], 0 offset:92
	;; [unrolled: 1-line block ×56, first 2 shown]
	v_mov_b32_e32 v64, 0
	s_mov_b32 s4, exec_lo
	ds_read_b128 v[65:68], v64 offset:784
	s_clause 0x2
	buffer_load_dword v60, off, s[0:3], 0 offset:316
	buffer_load_dword v62, off, s[0:3], 0 offset:292
	;; [unrolled: 1-line block ×3, first 2 shown]
	ds_read_b128 v[69:72], v64 offset:800
	s_clause 0x4
	buffer_load_dword v80, off, s[0:3], 0 offset:332
	buffer_load_dword v81, off, s[0:3], 0 offset:344
	;; [unrolled: 1-line block ×5, first 2 shown]
	ds_read_b128 v[73:76], v64 offset:816
	s_clause 0x2
	buffer_load_dword v82, off, s[0:3], 0 offset:348
	buffer_load_dword v87, off, s[0:3], 0 offset:324
	;; [unrolled: 1-line block ×3, first 2 shown]
	s_waitcnt vmcnt(62) lgkmcnt(2)
	v_mul_f64 v[77:78], v[67:68], v[11:12]
	v_mul_f64 v[11:12], v[65:66], v[11:12]
	s_waitcnt lgkmcnt(1)
	v_mul_f64 v[84:85], v[71:72], v[7:8]
	s_waitcnt vmcnt(59) lgkmcnt(0)
	v_mul_f64 v[88:89], v[75:76], v[3:4]
	v_fma_f64 v[65:66], v[65:66], v[9:10], -v[77:78]
	v_mul_f64 v[77:78], v[69:70], v[7:8]
	v_fma_f64 v[11:12], v[67:68], v[9:10], v[11:12]
	s_waitcnt vmcnt(57)
	v_fma_f64 v[69:70], v[69:70], v[1:2], -v[84:85]
	ds_read_b128 v[7:10], v64 offset:832
	v_mul_f64 v[67:68], v[73:74], v[3:4]
	s_waitcnt vmcnt(51)
	v_fma_f64 v[73:74], v[73:74], v[27:28], -v[88:89]
	v_add_f64 v[65:66], v[65:66], 0
	v_fma_f64 v[71:72], v[71:72], v[1:2], v[77:78]
	v_add_f64 v[11:12], v[11:12], 0
	s_clause 0x4
	buffer_load_dword v78, off, s[0:3], 0 offset:364
	buffer_load_dword v90, off, s[0:3], 0 offset:376
	;; [unrolled: 1-line block ×5, first 2 shown]
	s_waitcnt lgkmcnt(0)
	v_mul_f64 v[182:183], v[7:8], v[15:16]
	v_mul_f64 v[15:16], v[9:10], v[15:16]
	ds_read_b128 v[1:4], v64 offset:848
	v_fma_f64 v[27:28], v[75:76], v[27:28], v[67:68]
	v_add_f64 v[69:70], v[65:66], v[69:70]
	v_add_f64 v[11:12], v[11:12], v[71:72]
	s_clause 0x2
	buffer_load_dword v91, off, s[0:3], 0 offset:380
	buffer_load_dword v72, off, s[0:3], 0 offset:356
	buffer_load_dword v71, off, s[0:3], 0 offset:352
	s_waitcnt vmcnt(58) lgkmcnt(0)
	v_mul_f64 v[75:76], v[1:2], v[19:20]
	v_mul_f64 v[19:20], v[3:4], v[19:20]
	s_waitcnt vmcnt(56)
	v_fma_f64 v[15:16], v[7:8], v[21:22], -v[15:16]
	ds_read_b128 v[65:68], v64 offset:864
	v_fma_f64 v[21:22], v[9:10], v[21:22], v[182:183]
	v_add_f64 v[69:70], v[69:70], v[73:74]
	v_add_f64 v[11:12], v[11:12], v[27:28]
	s_clause 0x4
	buffer_load_dword v28, off, s[0:3], 0 offset:396
	buffer_load_dword v73, off, s[0:3], 0 offset:408
	;; [unrolled: 1-line block ×5, first 2 shown]
	ds_read_b128 v[7:10], v64 offset:880
	s_waitcnt vmcnt(57) lgkmcnt(1)
	v_mul_f64 v[183:184], v[65:66], v[23:24]
	v_mul_f64 v[23:24], v[67:68], v[23:24]
	s_waitcnt vmcnt(56)
	v_fma_f64 v[19:20], v[1:2], v[13:14], -v[19:20]
	v_fma_f64 v[13:14], v[3:4], v[13:14], v[75:76]
	v_add_f64 v[15:16], v[69:70], v[15:16]
	v_add_f64 v[11:12], v[11:12], v[21:22]
	s_clause 0x2
	buffer_load_dword v74, off, s[0:3], 0 offset:412
	buffer_load_dword v22, off, s[0:3], 0 offset:388
	buffer_load_dword v21, off, s[0:3], 0 offset:384
	s_waitcnt vmcnt(58) lgkmcnt(0)
	v_mul_f64 v[69:70], v[7:8], v[29:30]
	v_mul_f64 v[29:30], v[9:10], v[29:30]
	s_waitcnt vmcnt(56)
	v_fma_f64 v[23:24], v[65:66], v[31:32], -v[23:24]
	ds_read_b128 v[1:4], v64 offset:896
	v_add_f64 v[15:16], v[15:16], v[19:20]
	v_fma_f64 v[19:20], v[67:68], v[31:32], v[183:184]
	v_add_f64 v[31:32], v[11:12], v[13:14]
	s_clause 0x4
	buffer_load_dword v66, off, s[0:3], 0 offset:428
	buffer_load_dword v67, off, s[0:3], 0 offset:440
	;; [unrolled: 1-line block ×5, first 2 shown]
	ds_read_b128 v[11:14], v64 offset:912
	s_waitcnt vmcnt(57) lgkmcnt(1)
	v_mul_f64 v[183:184], v[1:2], v[33:34]
	v_mul_f64 v[33:34], v[3:4], v[33:34]
	s_waitcnt vmcnt(56)
	v_fma_f64 v[29:30], v[7:8], v[17:18], -v[29:30]
	v_fma_f64 v[17:18], v[9:10], v[17:18], v[69:70]
	v_add_f64 v[15:16], v[15:16], v[23:24]
	s_clause 0x2
	buffer_load_dword v68, off, s[0:3], 0 offset:444
	buffer_load_dword v24, off, s[0:3], 0 offset:420
	;; [unrolled: 1-line block ×3, first 2 shown]
	v_add_f64 v[19:20], v[31:32], v[19:20]
	s_waitcnt vmcnt(58) lgkmcnt(0)
	v_mul_f64 v[31:32], v[11:12], v[37:38]
	v_mul_f64 v[37:38], v[13:14], v[37:38]
	ds_read_b128 v[7:10], v64 offset:928
	s_waitcnt vmcnt(56)
	v_fma_f64 v[33:34], v[1:2], v[39:40], -v[33:34]
	v_add_f64 v[15:16], v[15:16], v[29:30]
	v_fma_f64 v[29:30], v[3:4], v[39:40], v[183:184]
	v_add_f64 v[17:18], v[19:20], v[17:18]
	s_clause 0x4
	buffer_load_dword v20, off, s[0:3], 0 offset:460
	buffer_load_dword v39, off, s[0:3], 0 offset:472
	buffer_load_dword v69, off, s[0:3], 0 offset:464
	buffer_load_dword v19, off, s[0:3], 0 offset:456
	buffer_load_dword v76, off, s[0:3], 0 offset:436
	s_waitcnt vmcnt(57) lgkmcnt(0)
	v_mul_f64 v[183:184], v[7:8], v[41:42]
	v_mul_f64 v[41:42], v[9:10], v[41:42]
	s_waitcnt vmcnt(56)
	v_fma_f64 v[37:38], v[11:12], v[25:26], -v[37:38]
	ds_read_b128 v[1:4], v64 offset:944
	v_fma_f64 v[25:26], v[13:14], v[25:26], v[31:32]
	v_add_f64 v[15:16], v[15:16], v[33:34]
	v_add_f64 v[17:18], v[17:18], v[29:30]
	s_clause 0x2
	buffer_load_dword v40, off, s[0:3], 0 offset:476
	buffer_load_dword v30, off, s[0:3], 0 offset:452
	;; [unrolled: 1-line block ×3, first 2 shown]
	ds_read_b128 v[11:14], v64 offset:960
	s_waitcnt vmcnt(58) lgkmcnt(1)
	v_mul_f64 v[33:34], v[3:4], v[45:46]
	s_waitcnt vmcnt(56)
	v_fma_f64 v[41:42], v[7:8], v[47:48], -v[41:42]
	v_mul_f64 v[31:32], v[1:2], v[45:46]
	v_add_f64 v[15:16], v[15:16], v[37:38]
	v_fma_f64 v[37:38], v[9:10], v[47:48], v[183:184]
	v_add_f64 v[17:18], v[17:18], v[25:26]
	s_clause 0x4
	buffer_load_dword v26, off, s[0:3], 0 offset:492
	buffer_load_dword v45, off, s[0:3], 0 offset:504
	;; [unrolled: 1-line block ×5, first 2 shown]
	s_waitcnt vmcnt(57) lgkmcnt(0)
	v_mul_f64 v[183:184], v[11:12], v[49:50]
	v_mul_f64 v[48:49], v[13:14], v[49:50]
	s_waitcnt vmcnt(56)
	v_fma_f64 v[33:34], v[1:2], v[35:36], -v[33:34]
	ds_read_b128 v[7:10], v64 offset:976
	v_fma_f64 v[31:32], v[3:4], v[35:36], v[31:32]
	s_clause 0x2
	buffer_load_dword v46, off, s[0:3], 0 offset:508
	buffer_load_dword v36, off, s[0:3], 0 offset:484
	;; [unrolled: 1-line block ×3, first 2 shown]
	ds_read_b128 v[1:4], v64 offset:992
	v_add_f64 v[15:16], v[15:16], v[41:42]
	v_add_f64 v[17:18], v[17:18], v[37:38]
	s_waitcnt vmcnt(58) lgkmcnt(1)
	v_mul_f64 v[41:42], v[9:10], v[53:54]
	s_waitcnt vmcnt(56)
	v_fma_f64 v[49:50], v[11:12], v[55:56], -v[48:49]
	v_mul_f64 v[37:38], v[7:8], v[53:54]
	v_add_f64 v[15:16], v[15:16], v[33:34]
	v_fma_f64 v[33:34], v[13:14], v[55:56], v[183:184]
	v_add_f64 v[17:18], v[17:18], v[31:32]
	s_clause 0x4
	buffer_load_dword v32, off, s[0:3], 0 offset:524
	buffer_load_dword v53, off, s[0:3], 0 offset:536
	;; [unrolled: 1-line block ×5, first 2 shown]
	s_waitcnt vmcnt(57) lgkmcnt(0)
	v_mul_f64 v[183:184], v[1:2], v[57:58]
	v_mul_f64 v[56:57], v[3:4], v[57:58]
	s_waitcnt vmcnt(56)
	v_fma_f64 v[41:42], v[7:8], v[43:44], -v[41:42]
	ds_read_b128 v[11:14], v64 offset:1008
	v_fma_f64 v[37:38], v[9:10], v[43:44], v[37:38]
	v_add_f64 v[15:16], v[15:16], v[49:50]
	v_add_f64 v[17:18], v[17:18], v[33:34]
	s_clause 0x2
	buffer_load_dword v54, off, s[0:3], 0 offset:540
	buffer_load_dword v34, off, s[0:3], 0 offset:516
	;; [unrolled: 1-line block ×3, first 2 shown]
	ds_read_b128 v[7:10], v64 offset:1024
	s_waitcnt vmcnt(58) lgkmcnt(1)
	v_mul_f64 v[49:50], v[13:14], v[59:60]
	s_waitcnt vmcnt(56)
	v_fma_f64 v[57:58], v[1:2], v[61:62], -v[56:57]
	v_mul_f64 v[43:44], v[11:12], v[59:60]
	v_add_f64 v[15:16], v[15:16], v[41:42]
	v_fma_f64 v[41:42], v[3:4], v[61:62], v[183:184]
	v_add_f64 v[17:18], v[17:18], v[37:38]
	s_clause 0x4
	buffer_load_dword v38, off, s[0:3], 0 offset:556
	buffer_load_dword v59, off, s[0:3], 0 offset:568
	;; [unrolled: 1-line block ×5, first 2 shown]
	s_waitcnt vmcnt(57) lgkmcnt(0)
	v_mul_f64 v[183:184], v[7:8], v[79:80]
	v_mul_f64 v[79:80], v[9:10], v[79:80]
	s_waitcnt vmcnt(56)
	v_fma_f64 v[49:50], v[11:12], v[51:52], -v[49:50]
	ds_read_b128 v[1:4], v64 offset:1040
	v_fma_f64 v[43:44], v[13:14], v[51:52], v[43:44]
	v_add_f64 v[15:16], v[15:16], v[57:58]
	v_add_f64 v[17:18], v[17:18], v[41:42]
	s_clause 0x2
	buffer_load_dword v60, off, s[0:3], 0 offset:572
	buffer_load_dword v42, off, s[0:3], 0 offset:548
	;; [unrolled: 1-line block ×3, first 2 shown]
	ds_read_b128 v[11:14], v64 offset:1056
	s_waitcnt vmcnt(58) lgkmcnt(1)
	v_mul_f64 v[57:58], v[3:4], v[81:82]
	s_waitcnt vmcnt(56)
	v_fma_f64 v[79:80], v[7:8], v[86:87], -v[79:80]
	v_mul_f64 v[51:52], v[1:2], v[81:82]
	v_add_f64 v[15:16], v[15:16], v[49:50]
	v_fma_f64 v[49:50], v[9:10], v[86:87], v[183:184]
	v_add_f64 v[17:18], v[17:18], v[43:44]
	s_clause 0x4
	buffer_load_dword v44, off, s[0:3], 0 offset:588
	buffer_load_dword v81, off, s[0:3], 0 offset:600
	;; [unrolled: 1-line block ×5, first 2 shown]
	ds_read_b128 v[7:10], v64 offset:1072
	s_waitcnt vmcnt(57) lgkmcnt(1)
	v_mul_f64 v[86:87], v[11:12], v[77:78]
	v_mul_f64 v[77:78], v[13:14], v[77:78]
	s_waitcnt vmcnt(56)
	v_fma_f64 v[57:58], v[1:2], v[83:84], -v[57:58]
	v_fma_f64 v[51:52], v[3:4], v[83:84], v[51:52]
	v_add_f64 v[15:16], v[15:16], v[79:80]
	v_add_f64 v[17:18], v[17:18], v[49:50]
	s_clause 0x2
	buffer_load_dword v82, off, s[0:3], 0 offset:604
	buffer_load_dword v50, off, s[0:3], 0 offset:580
	;; [unrolled: 1-line block ×3, first 2 shown]
	ds_read_b128 v[1:4], v64 offset:1088
	s_waitcnt vmcnt(58) lgkmcnt(1)
	v_mul_f64 v[83:84], v[9:10], v[90:91]
	v_mul_f64 v[79:80], v[7:8], v[90:91]
	s_waitcnt vmcnt(56)
	v_fma_f64 v[77:78], v[11:12], v[71:72], -v[77:78]
	v_add_f64 v[15:16], v[15:16], v[57:58]
	v_fma_f64 v[57:58], v[13:14], v[71:72], v[86:87]
	v_add_f64 v[17:18], v[17:18], v[51:52]
	s_clause 0x4
	buffer_load_dword v52, off, s[0:3], 0 offset:620
	buffer_load_dword v71, off, s[0:3], 0 offset:632
	buffer_load_dword v90, off, s[0:3], 0 offset:624
	buffer_load_dword v51, off, s[0:3], 0 offset:616
	buffer_load_dword v86, off, s[0:3], 0 offset:596
	ds_read_b128 v[11:14], v64 offset:1104
	s_waitcnt vmcnt(57) lgkmcnt(1)
	v_mul_f64 v[91:92], v[1:2], v[27:28]
	v_mul_f64 v[27:28], v[3:4], v[27:28]
	s_waitcnt vmcnt(56)
	v_fma_f64 v[83:84], v[7:8], v[181:182], -v[83:84]
	v_add_f64 v[15:16], v[15:16], v[77:78]
	v_fma_f64 v[77:78], v[9:10], v[181:182], v[79:80]
	v_add_f64 v[17:18], v[17:18], v[57:58]
	s_clause 0x2
	buffer_load_dword v72, off, s[0:3], 0 offset:636
	buffer_load_dword v58, off, s[0:3], 0 offset:612
	buffer_load_dword v57, off, s[0:3], 0 offset:608
	ds_read_b128 v[7:10], v64 offset:1120
	s_waitcnt vmcnt(58) lgkmcnt(1)
	v_mul_f64 v[79:80], v[11:12], v[73:74]
	v_mul_f64 v[73:74], v[13:14], v[73:74]
	s_waitcnt vmcnt(56)
	v_fma_f64 v[27:28], v[1:2], v[21:22], -v[27:28]
	v_fma_f64 v[21:22], v[3:4], v[21:22], v[91:92]
	v_add_f64 v[15:16], v[15:16], v[83:84]
	v_add_f64 v[17:18], v[17:18], v[77:78]
	s_clause 0x4
	buffer_load_dword v78, off, s[0:3], 0 offset:652
	buffer_load_dword v83, off, s[0:3], 0 offset:664
	buffer_load_dword v87, off, s[0:3], 0 offset:656
	buffer_load_dword v77, off, s[0:3], 0 offset:648
	buffer_load_dword v91, off, s[0:3], 0 offset:628
	ds_read_b128 v[1:4], v64 offset:1136
	s_waitcnt vmcnt(57) lgkmcnt(1)
	v_mul_f64 v[181:182], v[7:8], v[65:66]
	v_mul_f64 v[65:66], v[9:10], v[65:66]
	s_waitcnt vmcnt(56)
	v_fma_f64 v[73:74], v[11:12], v[88:89], -v[73:74]
	v_add_f64 v[15:16], v[15:16], v[27:28]
	v_fma_f64 v[27:28], v[13:14], v[88:89], v[79:80]
	v_add_f64 v[17:18], v[17:18], v[21:22]
	s_clause 0x2
	buffer_load_dword v84, off, s[0:3], 0 offset:668
	buffer_load_dword v22, off, s[0:3], 0 offset:644
	buffer_load_dword v21, off, s[0:3], 0 offset:640
	ds_read_b128 v[11:14], v64 offset:1152
	s_waitcnt vmcnt(58) lgkmcnt(1)
	v_mul_f64 v[79:80], v[1:2], v[67:68]
	v_mul_f64 v[67:68], v[3:4], v[67:68]
	s_waitcnt vmcnt(56)
	v_fma_f64 v[65:66], v[7:8], v[23:24], -v[65:66]
	v_fma_f64 v[23:24], v[9:10], v[23:24], v[181:182]
	v_add_f64 v[15:16], v[15:16], v[73:74]
	;; [unrolled: 28-line block ×3, first 2 shown]
	v_add_f64 v[17:18], v[17:18], v[65:66]
	s_clause 0x4
	buffer_load_dword v66, off, s[0:3], 0 offset:716
	buffer_load_dword v67, off, s[0:3], 0 offset:728
	;; [unrolled: 1-line block ×5, first 2 shown]
	ds_read_b128 v[11:14], v64 offset:1200
	s_waitcnt vmcnt(57) lgkmcnt(1)
	v_mul_f64 v[183:184], v[1:2], v[25:26]
	v_mul_f64 v[25:26], v[3:4], v[25:26]
	s_waitcnt vmcnt(56)
	v_fma_f64 v[39:40], v[7:8], v[69:70], -v[39:40]
	v_add_f64 v[15:16], v[15:16], v[19:20]
	v_fma_f64 v[19:20], v[9:10], v[69:70], v[75:76]
	v_add_f64 v[17:18], v[17:18], v[29:30]
	s_clause 0x2
	buffer_load_dword v68, off, s[0:3], 0 offset:732
	buffer_load_dword v30, off, s[0:3], 0 offset:708
	;; [unrolled: 1-line block ×3, first 2 shown]
	s_waitcnt vmcnt(58) lgkmcnt(0)
	v_mul_f64 v[69:70], v[11:12], v[45:46]
	v_mul_f64 v[45:46], v[13:14], v[45:46]
	ds_read_b128 v[7:10], v64 offset:1216
	buffer_load_dword v80, off, s[0:3], 0 offset:724
	s_waitcnt vmcnt(57)
	v_fma_f64 v[25:26], v[1:2], v[35:36], -v[25:26]
	v_fma_f64 v[35:36], v[3:4], v[35:36], v[183:184]
	ds_read_b128 v[1:4], v64 offset:1232
	v_add_f64 v[15:16], v[15:16], v[39:40]
	v_add_f64 v[17:18], v[17:18], v[19:20]
	s_waitcnt vmcnt(53) lgkmcnt(1)
	v_mul_f64 v[19:20], v[7:8], v[31:32]
	v_mul_f64 v[31:32], v[9:10], v[31:32]
	s_waitcnt vmcnt(52)
	v_fma_f64 v[39:40], v[11:12], v[47:48], -v[45:46]
	v_add_f64 v[15:16], v[15:16], v[25:26]
	v_fma_f64 v[25:26], v[13:14], v[47:48], v[69:70]
	v_add_f64 v[17:18], v[17:18], v[35:36]
	ds_read_b128 v[11:14], v64 offset:1248
	s_waitcnt vmcnt(51) lgkmcnt(1)
	v_mul_f64 v[45:46], v[3:4], v[53:54]
	v_mul_f64 v[35:36], v[1:2], v[53:54]
	s_waitcnt vmcnt(49)
	v_fma_f64 v[31:32], v[7:8], v[33:34], -v[31:32]
	v_fma_f64 v[19:20], v[9:10], v[33:34], v[19:20]
	v_add_f64 v[15:16], v[15:16], v[39:40]
	v_add_f64 v[17:18], v[17:18], v[25:26]
	s_clause 0x3
	buffer_load_dword v25, off, s[0:3], 0 offset:64
	buffer_load_dword v26, off, s[0:3], 0 offset:68
	;; [unrolled: 1-line block ×4, first 2 shown]
	ds_read_b128 v[7:10], v64 offset:1264
	s_waitcnt vmcnt(49) lgkmcnt(1)
	v_mul_f64 v[39:40], v[11:12], v[37:38]
	v_mul_f64 v[37:38], v[13:14], v[37:38]
	s_waitcnt vmcnt(48)
	v_fma_f64 v[45:46], v[1:2], v[55:56], -v[45:46]
	v_add_f64 v[15:16], v[15:16], v[31:32]
	v_fma_f64 v[31:32], v[3:4], v[55:56], v[35:36]
	v_add_f64 v[17:18], v[17:18], v[19:20]
	ds_read_b128 v[1:4], v64 offset:1280
	s_waitcnt vmcnt(47) lgkmcnt(1)
	v_mul_f64 v[35:36], v[9:10], v[59:60]
	v_mul_f64 v[19:20], v[7:8], v[59:60]
	s_waitcnt vmcnt(45)
	v_fma_f64 v[37:38], v[11:12], v[41:42], -v[37:38]
	v_fma_f64 v[39:40], v[13:14], v[41:42], v[39:40]
	ds_read_b128 v[11:14], v64 offset:1296
	v_add_f64 v[15:16], v[15:16], v[45:46]
	v_add_f64 v[17:18], v[17:18], v[31:32]
	s_waitcnt vmcnt(41) lgkmcnt(1)
	v_mul_f64 v[41:42], v[3:4], v[43:44]
	s_waitcnt vmcnt(40)
	v_fma_f64 v[35:36], v[7:8], v[61:62], -v[35:36]
	v_mul_f64 v[31:32], v[1:2], v[43:44]
	v_fma_f64 v[19:20], v[9:10], v[61:62], v[19:20]
	ds_read_b128 v[7:10], v64 offset:1312
	v_add_f64 v[15:16], v[15:16], v[37:38]
	v_add_f64 v[17:18], v[17:18], v[39:40]
	s_waitcnt vmcnt(39) lgkmcnt(1)
	v_mul_f64 v[39:40], v[13:14], v[81:82]
	v_mul_f64 v[37:38], v[11:12], v[81:82]
	s_waitcnt vmcnt(37)
	v_fma_f64 v[41:42], v[1:2], v[49:50], -v[41:42]
	v_fma_f64 v[31:32], v[3:4], v[49:50], v[31:32]
	ds_read_b128 v[1:4], v64 offset:1328
	v_add_f64 v[15:16], v[15:16], v[35:36]
	v_add_f64 v[17:18], v[17:18], v[19:20]
	s_waitcnt vmcnt(33) lgkmcnt(1)
	v_mul_f64 v[35:36], v[9:10], v[51:52]
	s_waitcnt vmcnt(32)
	v_fma_f64 v[39:40], v[11:12], v[85:86], -v[39:40]
	v_mul_f64 v[19:20], v[7:8], v[51:52]
	v_fma_f64 v[37:38], v[13:14], v[85:86], v[37:38]
	ds_read_b128 v[11:14], v64 offset:1344
	v_add_f64 v[15:16], v[15:16], v[41:42]
	v_add_f64 v[17:18], v[17:18], v[31:32]
	;; [unrolled: 18-line block ×3, first 2 shown]
	s_waitcnt vmcnt(23) lgkmcnt(1)
	v_mul_f64 v[35:36], v[9:10], v[83:84]
	v_mul_f64 v[19:20], v[7:8], v[83:84]
	s_waitcnt vmcnt(21)
	v_fma_f64 v[39:40], v[11:12], v[21:22], -v[39:40]
	v_fma_f64 v[21:22], v[13:14], v[21:22], v[37:38]
	ds_read_b128 v[11:14], v64 offset:1392
	v_add_f64 v[15:16], v[15:16], v[41:42]
	v_add_f64 v[17:18], v[17:18], v[31:32]
	s_waitcnt vmcnt(17) lgkmcnt(1)
	v_mul_f64 v[31:32], v[1:2], v[27:28]
	v_mul_f64 v[27:28], v[3:4], v[27:28]
	s_waitcnt vmcnt(16)
	v_fma_f64 v[35:36], v[7:8], v[87:88], -v[35:36]
	v_fma_f64 v[19:20], v[9:10], v[87:88], v[19:20]
	ds_read_b128 v[7:10], v64 offset:1408
	v_add_f64 v[15:16], v[15:16], v[39:40]
	v_add_f64 v[17:18], v[17:18], v[21:22]
	s_waitcnt vmcnt(15) lgkmcnt(1)
	v_mul_f64 v[37:38], v[13:14], v[73:74]
	v_mul_f64 v[21:22], v[11:12], v[73:74]
	s_waitcnt vmcnt(13)
	v_fma_f64 v[27:28], v[1:2], v[23:24], -v[27:28]
	v_fma_f64 v[23:24], v[3:4], v[23:24], v[31:32]
	ds_read_b128 v[1:4], v64 offset:1424
	v_add_f64 v[15:16], v[15:16], v[35:36]
	v_add_f64 v[17:18], v[17:18], v[19:20]
	s_waitcnt vmcnt(9) lgkmcnt(1)
	v_mul_f64 v[31:32], v[9:10], v[65:66]
	s_waitcnt vmcnt(8)
	v_fma_f64 v[11:12], v[11:12], v[181:182], -v[37:38]
	v_mul_f64 v[19:20], v[7:8], v[65:66]
	v_fma_f64 v[13:14], v[13:14], v[181:182], v[21:22]
	v_add_f64 v[15:16], v[15:16], v[27:28]
	v_add_f64 v[17:18], v[17:18], v[23:24]
	s_waitcnt vmcnt(7) lgkmcnt(0)
	v_mul_f64 v[23:24], v[3:4], v[67:68]
	v_mul_f64 v[21:22], v[1:2], v[67:68]
	s_waitcnt vmcnt(5)
	v_fma_f64 v[7:8], v[7:8], v[29:30], -v[31:32]
	v_fma_f64 v[9:10], v[9:10], v[29:30], v[19:20]
	v_add_f64 v[11:12], v[15:16], v[11:12]
	v_add_f64 v[13:14], v[17:18], v[13:14]
	s_waitcnt vmcnt(4)
	v_fma_f64 v[1:2], v[1:2], v[79:80], -v[23:24]
	v_fma_f64 v[3:4], v[3:4], v[79:80], v[21:22]
	v_add_f64 v[7:8], v[11:12], v[7:8]
	v_add_f64 v[9:10], v[13:14], v[9:10]
	;; [unrolled: 1-line block ×4, first 2 shown]
	s_waitcnt vmcnt(2)
	v_add_f64 v[1:2], v[25:26], -v[1:2]
	s_waitcnt vmcnt(0)
	v_add_f64 v[3:4], v[33:34], -v[3:4]
	buffer_store_dword v2, off, s[0:3], 0 offset:68
	buffer_store_dword v1, off, s[0:3], 0 offset:64
	;; [unrolled: 1-line block ×4, first 2 shown]
	v_cmpx_lt_u32_e32 2, v0
	s_cbranch_execz .LBB44_279
; %bb.278:
	v_mov_b32_e32 v4, s54
	s_clause 0x3
	buffer_load_dword v1, v4, s[0:3], 0 offen
	buffer_load_dword v2, v4, s[0:3], 0 offen offset:4
	buffer_load_dword v3, v4, s[0:3], 0 offen offset:8
	;; [unrolled: 1-line block ×3, first 2 shown]
	buffer_store_dword v64, off, s[0:3], 0 offset:48
	buffer_store_dword v64, off, s[0:3], 0 offset:52
	;; [unrolled: 1-line block ×4, first 2 shown]
	s_waitcnt vmcnt(0)
	ds_write_b128 v63, v[1:4]
.LBB44_279:
	s_or_b32 exec_lo, exec_lo, s4
	s_waitcnt lgkmcnt(0)
	s_waitcnt_vscnt null, 0x0
	s_barrier
	buffer_gl0_inv
	s_clause 0x37
	buffer_load_dword v11, off, s[0:3], 0 offset:72
	buffer_load_dword v12, off, s[0:3], 0 offset:76
	;; [unrolled: 1-line block ×56, first 2 shown]
	ds_read_b128 v[65:68], v64 offset:768
	s_clause 0x2
	buffer_load_dword v60, off, s[0:3], 0 offset:300
	buffer_load_dword v62, off, s[0:3], 0 offset:276
	;; [unrolled: 1-line block ×3, first 2 shown]
	ds_read_b128 v[69:72], v64 offset:784
	s_clause 0x4
	buffer_load_dword v80, off, s[0:3], 0 offset:316
	buffer_load_dword v81, off, s[0:3], 0 offset:328
	buffer_load_dword v83, off, s[0:3], 0 offset:320
	buffer_load_dword v79, off, s[0:3], 0 offset:312
	buffer_load_dword v52, off, s[0:3], 0 offset:292
	ds_read_b128 v[73:76], v64 offset:800
	s_clause 0x2
	buffer_load_dword v82, off, s[0:3], 0 offset:332
	buffer_load_dword v87, off, s[0:3], 0 offset:308
	buffer_load_dword v86, off, s[0:3], 0 offset:304
	s_mov_b32 s4, exec_lo
	s_waitcnt vmcnt(62) lgkmcnt(2)
	v_mul_f64 v[77:78], v[67:68], v[11:12]
	v_mul_f64 v[11:12], v[65:66], v[11:12]
	s_waitcnt lgkmcnt(1)
	v_mul_f64 v[84:85], v[71:72], v[7:8]
	s_waitcnt vmcnt(59) lgkmcnt(0)
	v_mul_f64 v[88:89], v[75:76], v[3:4]
	v_fma_f64 v[65:66], v[65:66], v[9:10], -v[77:78]
	v_mul_f64 v[77:78], v[69:70], v[7:8]
	v_fma_f64 v[11:12], v[67:68], v[9:10], v[11:12]
	s_waitcnt vmcnt(57)
	v_fma_f64 v[69:70], v[69:70], v[1:2], -v[84:85]
	ds_read_b128 v[7:10], v64 offset:816
	v_mul_f64 v[67:68], v[73:74], v[3:4]
	s_waitcnt vmcnt(51)
	v_fma_f64 v[73:74], v[73:74], v[27:28], -v[88:89]
	v_add_f64 v[65:66], v[65:66], 0
	v_fma_f64 v[71:72], v[71:72], v[1:2], v[77:78]
	v_add_f64 v[11:12], v[11:12], 0
	s_clause 0x4
	buffer_load_dword v78, off, s[0:3], 0 offset:348
	buffer_load_dword v90, off, s[0:3], 0 offset:360
	;; [unrolled: 1-line block ×5, first 2 shown]
	s_waitcnt lgkmcnt(0)
	v_mul_f64 v[182:183], v[7:8], v[15:16]
	v_mul_f64 v[15:16], v[9:10], v[15:16]
	ds_read_b128 v[1:4], v64 offset:832
	v_fma_f64 v[27:28], v[75:76], v[27:28], v[67:68]
	v_add_f64 v[69:70], v[65:66], v[69:70]
	v_add_f64 v[11:12], v[11:12], v[71:72]
	s_clause 0x2
	buffer_load_dword v91, off, s[0:3], 0 offset:364
	buffer_load_dword v72, off, s[0:3], 0 offset:340
	;; [unrolled: 1-line block ×3, first 2 shown]
	s_waitcnt vmcnt(58) lgkmcnt(0)
	v_mul_f64 v[75:76], v[1:2], v[19:20]
	v_mul_f64 v[19:20], v[3:4], v[19:20]
	s_waitcnt vmcnt(56)
	v_fma_f64 v[15:16], v[7:8], v[21:22], -v[15:16]
	ds_read_b128 v[65:68], v64 offset:848
	v_fma_f64 v[21:22], v[9:10], v[21:22], v[182:183]
	v_add_f64 v[69:70], v[69:70], v[73:74]
	v_add_f64 v[11:12], v[11:12], v[27:28]
	s_clause 0x4
	buffer_load_dword v28, off, s[0:3], 0 offset:380
	buffer_load_dword v73, off, s[0:3], 0 offset:392
	;; [unrolled: 1-line block ×5, first 2 shown]
	ds_read_b128 v[7:10], v64 offset:864
	s_waitcnt vmcnt(57) lgkmcnt(1)
	v_mul_f64 v[183:184], v[65:66], v[23:24]
	v_mul_f64 v[23:24], v[67:68], v[23:24]
	s_waitcnt vmcnt(56)
	v_fma_f64 v[19:20], v[1:2], v[13:14], -v[19:20]
	v_fma_f64 v[13:14], v[3:4], v[13:14], v[75:76]
	v_add_f64 v[15:16], v[69:70], v[15:16]
	v_add_f64 v[11:12], v[11:12], v[21:22]
	s_clause 0x2
	buffer_load_dword v74, off, s[0:3], 0 offset:396
	buffer_load_dword v22, off, s[0:3], 0 offset:372
	;; [unrolled: 1-line block ×3, first 2 shown]
	s_waitcnt vmcnt(58) lgkmcnt(0)
	v_mul_f64 v[69:70], v[7:8], v[29:30]
	v_mul_f64 v[29:30], v[9:10], v[29:30]
	s_waitcnt vmcnt(56)
	v_fma_f64 v[23:24], v[65:66], v[31:32], -v[23:24]
	ds_read_b128 v[1:4], v64 offset:880
	v_add_f64 v[15:16], v[15:16], v[19:20]
	v_fma_f64 v[19:20], v[67:68], v[31:32], v[183:184]
	v_add_f64 v[31:32], v[11:12], v[13:14]
	s_clause 0x4
	buffer_load_dword v66, off, s[0:3], 0 offset:412
	buffer_load_dword v67, off, s[0:3], 0 offset:424
	;; [unrolled: 1-line block ×5, first 2 shown]
	ds_read_b128 v[11:14], v64 offset:896
	s_waitcnt vmcnt(57) lgkmcnt(1)
	v_mul_f64 v[183:184], v[1:2], v[33:34]
	v_mul_f64 v[33:34], v[3:4], v[33:34]
	s_waitcnt vmcnt(56)
	v_fma_f64 v[29:30], v[7:8], v[17:18], -v[29:30]
	v_fma_f64 v[17:18], v[9:10], v[17:18], v[69:70]
	v_add_f64 v[15:16], v[15:16], v[23:24]
	s_clause 0x2
	buffer_load_dword v68, off, s[0:3], 0 offset:428
	buffer_load_dword v24, off, s[0:3], 0 offset:404
	;; [unrolled: 1-line block ×3, first 2 shown]
	v_add_f64 v[19:20], v[31:32], v[19:20]
	s_waitcnt vmcnt(58) lgkmcnt(0)
	v_mul_f64 v[31:32], v[11:12], v[37:38]
	v_mul_f64 v[37:38], v[13:14], v[37:38]
	ds_read_b128 v[7:10], v64 offset:912
	s_waitcnt vmcnt(56)
	v_fma_f64 v[33:34], v[1:2], v[39:40], -v[33:34]
	v_add_f64 v[15:16], v[15:16], v[29:30]
	v_fma_f64 v[29:30], v[3:4], v[39:40], v[183:184]
	v_add_f64 v[17:18], v[19:20], v[17:18]
	s_clause 0x4
	buffer_load_dword v20, off, s[0:3], 0 offset:444
	buffer_load_dword v39, off, s[0:3], 0 offset:456
	;; [unrolled: 1-line block ×5, first 2 shown]
	s_waitcnt vmcnt(57) lgkmcnt(0)
	v_mul_f64 v[183:184], v[7:8], v[41:42]
	v_mul_f64 v[41:42], v[9:10], v[41:42]
	s_waitcnt vmcnt(56)
	v_fma_f64 v[37:38], v[11:12], v[25:26], -v[37:38]
	ds_read_b128 v[1:4], v64 offset:928
	v_fma_f64 v[25:26], v[13:14], v[25:26], v[31:32]
	v_add_f64 v[15:16], v[15:16], v[33:34]
	v_add_f64 v[17:18], v[17:18], v[29:30]
	s_clause 0x2
	buffer_load_dword v40, off, s[0:3], 0 offset:460
	buffer_load_dword v30, off, s[0:3], 0 offset:436
	;; [unrolled: 1-line block ×3, first 2 shown]
	ds_read_b128 v[11:14], v64 offset:944
	s_waitcnt vmcnt(58) lgkmcnt(1)
	v_mul_f64 v[33:34], v[3:4], v[45:46]
	s_waitcnt vmcnt(56)
	v_fma_f64 v[41:42], v[7:8], v[47:48], -v[41:42]
	v_mul_f64 v[31:32], v[1:2], v[45:46]
	v_add_f64 v[15:16], v[15:16], v[37:38]
	v_fma_f64 v[37:38], v[9:10], v[47:48], v[183:184]
	v_add_f64 v[17:18], v[17:18], v[25:26]
	s_clause 0x4
	buffer_load_dword v26, off, s[0:3], 0 offset:476
	buffer_load_dword v45, off, s[0:3], 0 offset:488
	;; [unrolled: 1-line block ×5, first 2 shown]
	s_waitcnt vmcnt(57) lgkmcnt(0)
	v_mul_f64 v[183:184], v[11:12], v[49:50]
	v_mul_f64 v[48:49], v[13:14], v[49:50]
	s_waitcnt vmcnt(56)
	v_fma_f64 v[33:34], v[1:2], v[35:36], -v[33:34]
	ds_read_b128 v[7:10], v64 offset:960
	v_fma_f64 v[31:32], v[3:4], v[35:36], v[31:32]
	s_clause 0x2
	buffer_load_dword v46, off, s[0:3], 0 offset:492
	buffer_load_dword v36, off, s[0:3], 0 offset:468
	;; [unrolled: 1-line block ×3, first 2 shown]
	ds_read_b128 v[1:4], v64 offset:976
	v_add_f64 v[15:16], v[15:16], v[41:42]
	v_add_f64 v[17:18], v[17:18], v[37:38]
	s_waitcnt vmcnt(58) lgkmcnt(1)
	v_mul_f64 v[41:42], v[9:10], v[53:54]
	s_waitcnt vmcnt(56)
	v_fma_f64 v[49:50], v[11:12], v[55:56], -v[48:49]
	v_mul_f64 v[37:38], v[7:8], v[53:54]
	v_add_f64 v[15:16], v[15:16], v[33:34]
	v_fma_f64 v[33:34], v[13:14], v[55:56], v[183:184]
	v_add_f64 v[17:18], v[17:18], v[31:32]
	s_clause 0x4
	buffer_load_dword v32, off, s[0:3], 0 offset:508
	buffer_load_dword v53, off, s[0:3], 0 offset:520
	;; [unrolled: 1-line block ×5, first 2 shown]
	s_waitcnt vmcnt(57) lgkmcnt(0)
	v_mul_f64 v[183:184], v[1:2], v[57:58]
	v_mul_f64 v[56:57], v[3:4], v[57:58]
	s_waitcnt vmcnt(56)
	v_fma_f64 v[41:42], v[7:8], v[43:44], -v[41:42]
	ds_read_b128 v[11:14], v64 offset:992
	v_fma_f64 v[37:38], v[9:10], v[43:44], v[37:38]
	v_add_f64 v[15:16], v[15:16], v[49:50]
	v_add_f64 v[17:18], v[17:18], v[33:34]
	s_clause 0x2
	buffer_load_dword v54, off, s[0:3], 0 offset:524
	buffer_load_dword v34, off, s[0:3], 0 offset:500
	;; [unrolled: 1-line block ×3, first 2 shown]
	ds_read_b128 v[7:10], v64 offset:1008
	s_waitcnt vmcnt(58) lgkmcnt(1)
	v_mul_f64 v[49:50], v[13:14], v[59:60]
	s_waitcnt vmcnt(56)
	v_fma_f64 v[57:58], v[1:2], v[61:62], -v[56:57]
	v_mul_f64 v[43:44], v[11:12], v[59:60]
	v_add_f64 v[15:16], v[15:16], v[41:42]
	v_fma_f64 v[41:42], v[3:4], v[61:62], v[183:184]
	v_add_f64 v[17:18], v[17:18], v[37:38]
	s_clause 0x4
	buffer_load_dword v38, off, s[0:3], 0 offset:540
	buffer_load_dword v59, off, s[0:3], 0 offset:552
	;; [unrolled: 1-line block ×5, first 2 shown]
	s_waitcnt vmcnt(57) lgkmcnt(0)
	v_mul_f64 v[183:184], v[7:8], v[79:80]
	v_mul_f64 v[79:80], v[9:10], v[79:80]
	s_waitcnt vmcnt(56)
	v_fma_f64 v[49:50], v[11:12], v[51:52], -v[49:50]
	ds_read_b128 v[1:4], v64 offset:1024
	v_fma_f64 v[43:44], v[13:14], v[51:52], v[43:44]
	v_add_f64 v[15:16], v[15:16], v[57:58]
	v_add_f64 v[17:18], v[17:18], v[41:42]
	s_clause 0x2
	buffer_load_dword v60, off, s[0:3], 0 offset:556
	buffer_load_dword v42, off, s[0:3], 0 offset:532
	buffer_load_dword v41, off, s[0:3], 0 offset:528
	ds_read_b128 v[11:14], v64 offset:1040
	s_waitcnt vmcnt(58) lgkmcnt(1)
	v_mul_f64 v[57:58], v[3:4], v[81:82]
	s_waitcnt vmcnt(56)
	v_fma_f64 v[79:80], v[7:8], v[86:87], -v[79:80]
	v_mul_f64 v[51:52], v[1:2], v[81:82]
	v_add_f64 v[15:16], v[15:16], v[49:50]
	v_fma_f64 v[49:50], v[9:10], v[86:87], v[183:184]
	v_add_f64 v[17:18], v[17:18], v[43:44]
	s_clause 0x4
	buffer_load_dword v44, off, s[0:3], 0 offset:572
	buffer_load_dword v81, off, s[0:3], 0 offset:584
	;; [unrolled: 1-line block ×5, first 2 shown]
	ds_read_b128 v[7:10], v64 offset:1056
	s_waitcnt vmcnt(57) lgkmcnt(1)
	v_mul_f64 v[86:87], v[11:12], v[77:78]
	v_mul_f64 v[77:78], v[13:14], v[77:78]
	s_waitcnt vmcnt(56)
	v_fma_f64 v[57:58], v[1:2], v[83:84], -v[57:58]
	v_fma_f64 v[51:52], v[3:4], v[83:84], v[51:52]
	v_add_f64 v[15:16], v[15:16], v[79:80]
	v_add_f64 v[17:18], v[17:18], v[49:50]
	s_clause 0x2
	buffer_load_dword v82, off, s[0:3], 0 offset:588
	buffer_load_dword v50, off, s[0:3], 0 offset:564
	buffer_load_dword v49, off, s[0:3], 0 offset:560
	ds_read_b128 v[1:4], v64 offset:1072
	s_waitcnt vmcnt(58) lgkmcnt(1)
	v_mul_f64 v[83:84], v[9:10], v[90:91]
	v_mul_f64 v[79:80], v[7:8], v[90:91]
	s_waitcnt vmcnt(56)
	v_fma_f64 v[77:78], v[11:12], v[71:72], -v[77:78]
	v_add_f64 v[15:16], v[15:16], v[57:58]
	v_fma_f64 v[57:58], v[13:14], v[71:72], v[86:87]
	v_add_f64 v[17:18], v[17:18], v[51:52]
	s_clause 0x4
	buffer_load_dword v52, off, s[0:3], 0 offset:604
	buffer_load_dword v71, off, s[0:3], 0 offset:616
	buffer_load_dword v90, off, s[0:3], 0 offset:608
	buffer_load_dword v51, off, s[0:3], 0 offset:600
	buffer_load_dword v86, off, s[0:3], 0 offset:580
	ds_read_b128 v[11:14], v64 offset:1088
	s_waitcnt vmcnt(57) lgkmcnt(1)
	v_mul_f64 v[91:92], v[1:2], v[27:28]
	v_mul_f64 v[27:28], v[3:4], v[27:28]
	s_waitcnt vmcnt(56)
	v_fma_f64 v[83:84], v[7:8], v[181:182], -v[83:84]
	v_add_f64 v[15:16], v[15:16], v[77:78]
	v_fma_f64 v[77:78], v[9:10], v[181:182], v[79:80]
	v_add_f64 v[17:18], v[17:18], v[57:58]
	s_clause 0x2
	buffer_load_dword v72, off, s[0:3], 0 offset:620
	buffer_load_dword v58, off, s[0:3], 0 offset:596
	buffer_load_dword v57, off, s[0:3], 0 offset:592
	ds_read_b128 v[7:10], v64 offset:1104
	s_waitcnt vmcnt(58) lgkmcnt(1)
	v_mul_f64 v[79:80], v[11:12], v[73:74]
	v_mul_f64 v[73:74], v[13:14], v[73:74]
	s_waitcnt vmcnt(56)
	v_fma_f64 v[27:28], v[1:2], v[21:22], -v[27:28]
	v_fma_f64 v[21:22], v[3:4], v[21:22], v[91:92]
	v_add_f64 v[15:16], v[15:16], v[83:84]
	v_add_f64 v[17:18], v[17:18], v[77:78]
	s_clause 0x4
	buffer_load_dword v78, off, s[0:3], 0 offset:636
	buffer_load_dword v83, off, s[0:3], 0 offset:648
	buffer_load_dword v87, off, s[0:3], 0 offset:640
	buffer_load_dword v77, off, s[0:3], 0 offset:632
	buffer_load_dword v91, off, s[0:3], 0 offset:612
	ds_read_b128 v[1:4], v64 offset:1120
	s_waitcnt vmcnt(57) lgkmcnt(1)
	v_mul_f64 v[181:182], v[7:8], v[65:66]
	v_mul_f64 v[65:66], v[9:10], v[65:66]
	s_waitcnt vmcnt(56)
	v_fma_f64 v[73:74], v[11:12], v[88:89], -v[73:74]
	v_add_f64 v[15:16], v[15:16], v[27:28]
	v_fma_f64 v[27:28], v[13:14], v[88:89], v[79:80]
	v_add_f64 v[17:18], v[17:18], v[21:22]
	s_clause 0x2
	buffer_load_dword v84, off, s[0:3], 0 offset:652
	buffer_load_dword v22, off, s[0:3], 0 offset:628
	buffer_load_dword v21, off, s[0:3], 0 offset:624
	ds_read_b128 v[11:14], v64 offset:1136
	s_waitcnt vmcnt(58) lgkmcnt(1)
	v_mul_f64 v[79:80], v[1:2], v[67:68]
	v_mul_f64 v[67:68], v[3:4], v[67:68]
	s_waitcnt vmcnt(56)
	v_fma_f64 v[65:66], v[7:8], v[23:24], -v[65:66]
	v_fma_f64 v[23:24], v[9:10], v[23:24], v[181:182]
	v_add_f64 v[15:16], v[15:16], v[73:74]
	;; [unrolled: 28-line block ×3, first 2 shown]
	v_add_f64 v[17:18], v[17:18], v[65:66]
	s_clause 0x4
	buffer_load_dword v66, off, s[0:3], 0 offset:700
	buffer_load_dword v67, off, s[0:3], 0 offset:712
	;; [unrolled: 1-line block ×5, first 2 shown]
	ds_read_b128 v[11:14], v64 offset:1184
	s_waitcnt vmcnt(57) lgkmcnt(1)
	v_mul_f64 v[183:184], v[1:2], v[25:26]
	v_mul_f64 v[25:26], v[3:4], v[25:26]
	s_waitcnt vmcnt(56)
	v_fma_f64 v[39:40], v[7:8], v[69:70], -v[39:40]
	v_add_f64 v[15:16], v[15:16], v[19:20]
	v_fma_f64 v[19:20], v[9:10], v[69:70], v[75:76]
	v_add_f64 v[17:18], v[17:18], v[29:30]
	s_clause 0x2
	buffer_load_dword v68, off, s[0:3], 0 offset:716
	buffer_load_dword v30, off, s[0:3], 0 offset:692
	;; [unrolled: 1-line block ×3, first 2 shown]
	s_waitcnt vmcnt(58) lgkmcnt(0)
	v_mul_f64 v[69:70], v[11:12], v[45:46]
	v_mul_f64 v[45:46], v[13:14], v[45:46]
	ds_read_b128 v[7:10], v64 offset:1200
	s_waitcnt vmcnt(56)
	v_fma_f64 v[25:26], v[1:2], v[35:36], -v[25:26]
	v_fma_f64 v[35:36], v[3:4], v[35:36], v[183:184]
	v_add_f64 v[15:16], v[15:16], v[39:40]
	v_add_f64 v[17:18], v[17:18], v[19:20]
	s_clause 0x2
	buffer_load_dword v20, off, s[0:3], 0 offset:732
	buffer_load_dword v19, off, s[0:3], 0 offset:728
	;; [unrolled: 1-line block ×3, first 2 shown]
	ds_read_b128 v[1:4], v64 offset:1216
	s_waitcnt vmcnt(55) lgkmcnt(1)
	v_mul_f64 v[39:40], v[7:8], v[31:32]
	v_mul_f64 v[31:32], v[9:10], v[31:32]
	s_waitcnt vmcnt(54)
	v_fma_f64 v[45:46], v[11:12], v[47:48], -v[45:46]
	v_add_f64 v[15:16], v[15:16], v[25:26]
	v_fma_f64 v[25:26], v[13:14], v[47:48], v[69:70]
	v_add_f64 v[17:18], v[17:18], v[35:36]
	s_clause 0x1
	buffer_load_dword v36, off, s[0:3], 0 offset:724
	buffer_load_dword v35, off, s[0:3], 0 offset:720
	ds_read_b128 v[11:14], v64 offset:1232
	s_waitcnt vmcnt(55) lgkmcnt(1)
	v_mul_f64 v[47:48], v[1:2], v[53:54]
	v_mul_f64 v[53:54], v[3:4], v[53:54]
	s_waitcnt vmcnt(53)
	v_fma_f64 v[31:32], v[7:8], v[33:34], -v[31:32]
	v_fma_f64 v[33:34], v[9:10], v[33:34], v[39:40]
	ds_read_b128 v[7:10], v64 offset:1248
	v_add_f64 v[15:16], v[15:16], v[45:46]
	v_add_f64 v[17:18], v[17:18], v[25:26]
	s_waitcnt vmcnt(49) lgkmcnt(1)
	v_mul_f64 v[25:26], v[11:12], v[37:38]
	v_mul_f64 v[37:38], v[13:14], v[37:38]
	s_waitcnt vmcnt(48)
	v_fma_f64 v[39:40], v[1:2], v[55:56], -v[53:54]
	v_add_f64 v[15:16], v[15:16], v[31:32]
	v_fma_f64 v[31:32], v[3:4], v[55:56], v[47:48]
	v_add_f64 v[17:18], v[17:18], v[33:34]
	s_clause 0x3
	buffer_load_dword v33, off, s[0:3], 0 offset:48
	buffer_load_dword v34, off, s[0:3], 0 offset:52
	;; [unrolled: 1-line block ×4, first 2 shown]
	ds_read_b128 v[1:4], v64 offset:1264
	s_waitcnt vmcnt(51) lgkmcnt(1)
	v_mul_f64 v[53:54], v[9:10], v[59:60]
	v_mul_f64 v[47:48], v[7:8], v[59:60]
	s_waitcnt vmcnt(49)
	v_fma_f64 v[37:38], v[11:12], v[41:42], -v[37:38]
	v_fma_f64 v[25:26], v[13:14], v[41:42], v[25:26]
	ds_read_b128 v[11:14], v64 offset:1280
	v_add_f64 v[15:16], v[15:16], v[39:40]
	v_add_f64 v[17:18], v[17:18], v[31:32]
	s_waitcnt vmcnt(45) lgkmcnt(1)
	v_mul_f64 v[39:40], v[3:4], v[43:44]
	s_waitcnt vmcnt(44)
	v_fma_f64 v[41:42], v[7:8], v[61:62], -v[53:54]
	v_mul_f64 v[31:32], v[1:2], v[43:44]
	v_add_f64 v[15:16], v[15:16], v[37:38]
	v_fma_f64 v[37:38], v[9:10], v[61:62], v[47:48]
	v_add_f64 v[17:18], v[17:18], v[25:26]
	ds_read_b128 v[7:10], v64 offset:1296
	s_waitcnt vmcnt(43) lgkmcnt(1)
	v_mul_f64 v[43:44], v[13:14], v[81:82]
	v_mul_f64 v[25:26], v[11:12], v[81:82]
	s_waitcnt vmcnt(41)
	v_fma_f64 v[39:40], v[1:2], v[49:50], -v[39:40]
	v_fma_f64 v[31:32], v[3:4], v[49:50], v[31:32]
	ds_read_b128 v[1:4], v64 offset:1312
	v_add_f64 v[15:16], v[15:16], v[41:42]
	v_add_f64 v[17:18], v[17:18], v[37:38]
	s_waitcnt vmcnt(37) lgkmcnt(1)
	v_mul_f64 v[41:42], v[9:10], v[51:52]
	s_waitcnt vmcnt(36)
	v_fma_f64 v[43:44], v[11:12], v[85:86], -v[43:44]
	v_mul_f64 v[37:38], v[7:8], v[51:52]
	v_fma_f64 v[25:26], v[13:14], v[85:86], v[25:26]
	ds_read_b128 v[11:14], v64 offset:1328
	v_add_f64 v[15:16], v[15:16], v[39:40]
	v_add_f64 v[17:18], v[17:18], v[31:32]
	s_waitcnt vmcnt(35) lgkmcnt(1)
	v_mul_f64 v[39:40], v[3:4], v[71:72]
	v_mul_f64 v[31:32], v[1:2], v[71:72]
	s_waitcnt vmcnt(33)
	v_fma_f64 v[41:42], v[7:8], v[57:58], -v[41:42]
	v_fma_f64 v[37:38], v[9:10], v[57:58], v[37:38]
	ds_read_b128 v[7:10], v64 offset:1344
	v_add_f64 v[15:16], v[15:16], v[43:44]
	v_add_f64 v[17:18], v[17:18], v[25:26]
	s_waitcnt vmcnt(29) lgkmcnt(1)
	v_mul_f64 v[43:44], v[13:14], v[77:78]
	s_waitcnt vmcnt(28)
	v_fma_f64 v[39:40], v[1:2], v[90:91], -v[39:40]
	v_mul_f64 v[25:26], v[11:12], v[77:78]
	v_fma_f64 v[31:32], v[3:4], v[90:91], v[31:32]
	ds_read_b128 v[1:4], v64 offset:1360
	v_add_f64 v[15:16], v[15:16], v[41:42]
	v_add_f64 v[17:18], v[17:18], v[37:38]
	s_waitcnt vmcnt(27) lgkmcnt(1)
	v_mul_f64 v[41:42], v[9:10], v[83:84]
	v_mul_f64 v[37:38], v[7:8], v[83:84]
	s_waitcnt vmcnt(25)
	v_fma_f64 v[43:44], v[11:12], v[21:22], -v[43:44]
	v_fma_f64 v[21:22], v[13:14], v[21:22], v[25:26]
	ds_read_b128 v[11:14], v64 offset:1376
	v_add_f64 v[15:16], v[15:16], v[39:40]
	v_add_f64 v[17:18], v[17:18], v[31:32]
	s_waitcnt vmcnt(21) lgkmcnt(1)
	v_mul_f64 v[25:26], v[1:2], v[27:28]
	v_mul_f64 v[27:28], v[3:4], v[27:28]
	s_waitcnt vmcnt(20)
	v_fma_f64 v[31:32], v[7:8], v[87:88], -v[41:42]
	;; [unrolled: 9-line block ×3, first 2 shown]
	v_fma_f64 v[23:24], v[3:4], v[23:24], v[25:26]
	ds_read_b128 v[1:4], v64 offset:1408
	v_add_f64 v[15:16], v[15:16], v[31:32]
	v_add_f64 v[17:18], v[17:18], v[37:38]
	s_waitcnt vmcnt(13) lgkmcnt(1)
	v_mul_f64 v[31:32], v[9:10], v[65:66]
	s_waitcnt vmcnt(12)
	v_fma_f64 v[37:38], v[11:12], v[181:182], -v[39:40]
	v_mul_f64 v[25:26], v[7:8], v[65:66]
	v_fma_f64 v[21:22], v[13:14], v[181:182], v[21:22]
	ds_read_b128 v[11:14], v64 offset:1424
	v_add_f64 v[15:16], v[15:16], v[27:28]
	v_add_f64 v[17:18], v[17:18], v[23:24]
	s_waitcnt vmcnt(11) lgkmcnt(1)
	v_mul_f64 v[27:28], v[3:4], v[67:68]
	v_mul_f64 v[23:24], v[1:2], v[67:68]
	s_waitcnt vmcnt(9)
	v_fma_f64 v[7:8], v[7:8], v[29:30], -v[31:32]
	v_fma_f64 v[9:10], v[9:10], v[29:30], v[25:26]
	v_add_f64 v[15:16], v[15:16], v[37:38]
	v_add_f64 v[17:18], v[17:18], v[21:22]
	s_waitcnt vmcnt(7) lgkmcnt(0)
	v_mul_f64 v[21:22], v[11:12], v[19:20]
	v_mul_f64 v[19:20], v[13:14], v[19:20]
	s_waitcnt vmcnt(6)
	v_fma_f64 v[1:2], v[1:2], v[79:80], -v[27:28]
	v_fma_f64 v[3:4], v[3:4], v[79:80], v[23:24]
	v_add_f64 v[7:8], v[15:16], v[7:8]
	v_add_f64 v[9:10], v[17:18], v[9:10]
	s_waitcnt vmcnt(4)
	v_fma_f64 v[11:12], v[11:12], v[35:36], -v[19:20]
	v_add_f64 v[1:2], v[7:8], v[1:2]
	v_fma_f64 v[7:8], v[13:14], v[35:36], v[21:22]
	v_add_f64 v[3:4], v[9:10], v[3:4]
	v_add_f64 v[1:2], v[1:2], v[11:12]
	;; [unrolled: 1-line block ×3, first 2 shown]
	s_waitcnt vmcnt(2)
	v_add_f64 v[1:2], v[33:34], -v[1:2]
	s_waitcnt vmcnt(0)
	v_add_f64 v[3:4], v[45:46], -v[3:4]
	buffer_store_dword v2, off, s[0:3], 0 offset:52
	buffer_store_dword v1, off, s[0:3], 0 offset:48
	;; [unrolled: 1-line block ×4, first 2 shown]
	v_cmpx_lt_u32_e32 1, v0
	s_cbranch_execz .LBB44_281
; %bb.280:
	v_mov_b32_e32 v4, s56
	v_mov_b32_e32 v7, 0
	s_clause 0x3
	buffer_load_dword v1, v4, s[0:3], 0 offen
	buffer_load_dword v2, v4, s[0:3], 0 offen offset:4
	buffer_load_dword v3, v4, s[0:3], 0 offen offset:8
	;; [unrolled: 1-line block ×3, first 2 shown]
	buffer_store_dword v7, off, s[0:3], 0 offset:32
	buffer_store_dword v7, off, s[0:3], 0 offset:36
	;; [unrolled: 1-line block ×4, first 2 shown]
	s_waitcnt vmcnt(0)
	ds_write_b128 v63, v[1:4]
.LBB44_281:
	s_or_b32 exec_lo, exec_lo, s4
	s_waitcnt lgkmcnt(0)
	s_waitcnt_vscnt null, 0x0
	s_barrier
	buffer_gl0_inv
	s_clause 0x37
	buffer_load_dword v11, off, s[0:3], 0 offset:56
	buffer_load_dword v12, off, s[0:3], 0 offset:60
	;; [unrolled: 1-line block ×56, first 2 shown]
	v_mov_b32_e32 v64, 0
	s_mov_b32 s4, exec_lo
	ds_read_b128 v[65:68], v64 offset:752
	s_clause 0x2
	buffer_load_dword v60, off, s[0:3], 0 offset:284
	buffer_load_dword v62, off, s[0:3], 0 offset:260
	;; [unrolled: 1-line block ×3, first 2 shown]
	ds_read_b128 v[69:72], v64 offset:768
	s_clause 0x4
	buffer_load_dword v80, off, s[0:3], 0 offset:300
	buffer_load_dword v81, off, s[0:3], 0 offset:312
	buffer_load_dword v83, off, s[0:3], 0 offset:304
	buffer_load_dword v79, off, s[0:3], 0 offset:296
	buffer_load_dword v52, off, s[0:3], 0 offset:276
	ds_read_b128 v[73:76], v64 offset:784
	s_clause 0x2
	buffer_load_dword v82, off, s[0:3], 0 offset:316
	buffer_load_dword v87, off, s[0:3], 0 offset:292
	;; [unrolled: 1-line block ×3, first 2 shown]
	s_waitcnt vmcnt(62) lgkmcnt(2)
	v_mul_f64 v[77:78], v[67:68], v[11:12]
	v_mul_f64 v[11:12], v[65:66], v[11:12]
	s_waitcnt lgkmcnt(1)
	v_mul_f64 v[84:85], v[71:72], v[7:8]
	s_waitcnt vmcnt(59) lgkmcnt(0)
	v_mul_f64 v[88:89], v[75:76], v[3:4]
	v_fma_f64 v[65:66], v[65:66], v[9:10], -v[77:78]
	v_mul_f64 v[77:78], v[69:70], v[7:8]
	v_fma_f64 v[11:12], v[67:68], v[9:10], v[11:12]
	s_waitcnt vmcnt(57)
	v_fma_f64 v[69:70], v[69:70], v[1:2], -v[84:85]
	ds_read_b128 v[7:10], v64 offset:800
	v_mul_f64 v[67:68], v[73:74], v[3:4]
	s_waitcnt vmcnt(51)
	v_fma_f64 v[73:74], v[73:74], v[27:28], -v[88:89]
	v_add_f64 v[65:66], v[65:66], 0
	v_fma_f64 v[71:72], v[71:72], v[1:2], v[77:78]
	v_add_f64 v[11:12], v[11:12], 0
	s_clause 0x4
	buffer_load_dword v78, off, s[0:3], 0 offset:332
	buffer_load_dword v90, off, s[0:3], 0 offset:344
	;; [unrolled: 1-line block ×5, first 2 shown]
	s_waitcnt lgkmcnt(0)
	v_mul_f64 v[182:183], v[7:8], v[15:16]
	v_mul_f64 v[15:16], v[9:10], v[15:16]
	ds_read_b128 v[1:4], v64 offset:816
	v_fma_f64 v[27:28], v[75:76], v[27:28], v[67:68]
	v_add_f64 v[69:70], v[65:66], v[69:70]
	v_add_f64 v[11:12], v[11:12], v[71:72]
	s_clause 0x2
	buffer_load_dword v91, off, s[0:3], 0 offset:348
	buffer_load_dword v72, off, s[0:3], 0 offset:324
	;; [unrolled: 1-line block ×3, first 2 shown]
	s_waitcnt vmcnt(58) lgkmcnt(0)
	v_mul_f64 v[75:76], v[1:2], v[19:20]
	v_mul_f64 v[19:20], v[3:4], v[19:20]
	s_waitcnt vmcnt(56)
	v_fma_f64 v[15:16], v[7:8], v[21:22], -v[15:16]
	ds_read_b128 v[65:68], v64 offset:832
	v_fma_f64 v[21:22], v[9:10], v[21:22], v[182:183]
	v_add_f64 v[69:70], v[69:70], v[73:74]
	v_add_f64 v[11:12], v[11:12], v[27:28]
	s_clause 0x4
	buffer_load_dword v28, off, s[0:3], 0 offset:364
	buffer_load_dword v73, off, s[0:3], 0 offset:376
	;; [unrolled: 1-line block ×5, first 2 shown]
	ds_read_b128 v[7:10], v64 offset:848
	s_waitcnt vmcnt(57) lgkmcnt(1)
	v_mul_f64 v[183:184], v[65:66], v[23:24]
	v_mul_f64 v[23:24], v[67:68], v[23:24]
	s_waitcnt vmcnt(56)
	v_fma_f64 v[19:20], v[1:2], v[13:14], -v[19:20]
	v_fma_f64 v[13:14], v[3:4], v[13:14], v[75:76]
	v_add_f64 v[15:16], v[69:70], v[15:16]
	v_add_f64 v[11:12], v[11:12], v[21:22]
	s_clause 0x2
	buffer_load_dword v74, off, s[0:3], 0 offset:380
	buffer_load_dword v22, off, s[0:3], 0 offset:356
	;; [unrolled: 1-line block ×3, first 2 shown]
	s_waitcnt vmcnt(58) lgkmcnt(0)
	v_mul_f64 v[69:70], v[7:8], v[29:30]
	v_mul_f64 v[29:30], v[9:10], v[29:30]
	s_waitcnt vmcnt(56)
	v_fma_f64 v[23:24], v[65:66], v[31:32], -v[23:24]
	ds_read_b128 v[1:4], v64 offset:864
	v_add_f64 v[15:16], v[15:16], v[19:20]
	v_fma_f64 v[19:20], v[67:68], v[31:32], v[183:184]
	v_add_f64 v[31:32], v[11:12], v[13:14]
	s_clause 0x4
	buffer_load_dword v66, off, s[0:3], 0 offset:396
	buffer_load_dword v67, off, s[0:3], 0 offset:408
	buffer_load_dword v75, off, s[0:3], 0 offset:400
	buffer_load_dword v65, off, s[0:3], 0 offset:392
	buffer_load_dword v89, off, s[0:3], 0 offset:372
	ds_read_b128 v[11:14], v64 offset:880
	s_waitcnt vmcnt(57) lgkmcnt(1)
	v_mul_f64 v[183:184], v[1:2], v[33:34]
	v_mul_f64 v[33:34], v[3:4], v[33:34]
	s_waitcnt vmcnt(56)
	v_fma_f64 v[29:30], v[7:8], v[17:18], -v[29:30]
	v_fma_f64 v[17:18], v[9:10], v[17:18], v[69:70]
	v_add_f64 v[15:16], v[15:16], v[23:24]
	s_clause 0x2
	buffer_load_dword v68, off, s[0:3], 0 offset:412
	buffer_load_dword v24, off, s[0:3], 0 offset:388
	;; [unrolled: 1-line block ×3, first 2 shown]
	v_add_f64 v[19:20], v[31:32], v[19:20]
	s_waitcnt vmcnt(58) lgkmcnt(0)
	v_mul_f64 v[31:32], v[11:12], v[37:38]
	v_mul_f64 v[37:38], v[13:14], v[37:38]
	ds_read_b128 v[7:10], v64 offset:896
	s_waitcnt vmcnt(56)
	v_fma_f64 v[33:34], v[1:2], v[39:40], -v[33:34]
	v_add_f64 v[15:16], v[15:16], v[29:30]
	v_fma_f64 v[29:30], v[3:4], v[39:40], v[183:184]
	v_add_f64 v[17:18], v[19:20], v[17:18]
	s_clause 0x4
	buffer_load_dword v20, off, s[0:3], 0 offset:428
	buffer_load_dword v39, off, s[0:3], 0 offset:440
	;; [unrolled: 1-line block ×5, first 2 shown]
	s_waitcnt vmcnt(57) lgkmcnt(0)
	v_mul_f64 v[183:184], v[7:8], v[41:42]
	v_mul_f64 v[41:42], v[9:10], v[41:42]
	s_waitcnt vmcnt(56)
	v_fma_f64 v[37:38], v[11:12], v[25:26], -v[37:38]
	ds_read_b128 v[1:4], v64 offset:912
	v_fma_f64 v[25:26], v[13:14], v[25:26], v[31:32]
	v_add_f64 v[15:16], v[15:16], v[33:34]
	v_add_f64 v[17:18], v[17:18], v[29:30]
	s_clause 0x2
	buffer_load_dword v40, off, s[0:3], 0 offset:444
	buffer_load_dword v30, off, s[0:3], 0 offset:420
	;; [unrolled: 1-line block ×3, first 2 shown]
	ds_read_b128 v[11:14], v64 offset:928
	s_waitcnt vmcnt(58) lgkmcnt(1)
	v_mul_f64 v[33:34], v[3:4], v[45:46]
	s_waitcnt vmcnt(56)
	v_fma_f64 v[41:42], v[7:8], v[47:48], -v[41:42]
	v_mul_f64 v[31:32], v[1:2], v[45:46]
	v_add_f64 v[15:16], v[15:16], v[37:38]
	v_fma_f64 v[37:38], v[9:10], v[47:48], v[183:184]
	v_add_f64 v[17:18], v[17:18], v[25:26]
	s_clause 0x4
	buffer_load_dword v26, off, s[0:3], 0 offset:460
	buffer_load_dword v45, off, s[0:3], 0 offset:472
	;; [unrolled: 1-line block ×5, first 2 shown]
	s_waitcnt vmcnt(57) lgkmcnt(0)
	v_mul_f64 v[183:184], v[11:12], v[49:50]
	v_mul_f64 v[48:49], v[13:14], v[49:50]
	s_waitcnt vmcnt(56)
	v_fma_f64 v[33:34], v[1:2], v[35:36], -v[33:34]
	ds_read_b128 v[7:10], v64 offset:944
	v_fma_f64 v[31:32], v[3:4], v[35:36], v[31:32]
	s_clause 0x2
	buffer_load_dword v46, off, s[0:3], 0 offset:476
	buffer_load_dword v36, off, s[0:3], 0 offset:452
	;; [unrolled: 1-line block ×3, first 2 shown]
	ds_read_b128 v[1:4], v64 offset:960
	v_add_f64 v[15:16], v[15:16], v[41:42]
	v_add_f64 v[17:18], v[17:18], v[37:38]
	s_waitcnt vmcnt(58) lgkmcnt(1)
	v_mul_f64 v[41:42], v[9:10], v[53:54]
	s_waitcnt vmcnt(56)
	v_fma_f64 v[49:50], v[11:12], v[55:56], -v[48:49]
	v_mul_f64 v[37:38], v[7:8], v[53:54]
	v_add_f64 v[15:16], v[15:16], v[33:34]
	v_fma_f64 v[33:34], v[13:14], v[55:56], v[183:184]
	v_add_f64 v[17:18], v[17:18], v[31:32]
	s_clause 0x4
	buffer_load_dword v32, off, s[0:3], 0 offset:492
	buffer_load_dword v53, off, s[0:3], 0 offset:504
	;; [unrolled: 1-line block ×5, first 2 shown]
	s_waitcnt vmcnt(57) lgkmcnt(0)
	v_mul_f64 v[183:184], v[1:2], v[57:58]
	v_mul_f64 v[56:57], v[3:4], v[57:58]
	s_waitcnt vmcnt(56)
	v_fma_f64 v[41:42], v[7:8], v[43:44], -v[41:42]
	ds_read_b128 v[11:14], v64 offset:976
	v_fma_f64 v[37:38], v[9:10], v[43:44], v[37:38]
	v_add_f64 v[15:16], v[15:16], v[49:50]
	v_add_f64 v[17:18], v[17:18], v[33:34]
	s_clause 0x2
	buffer_load_dword v54, off, s[0:3], 0 offset:508
	buffer_load_dword v34, off, s[0:3], 0 offset:484
	;; [unrolled: 1-line block ×3, first 2 shown]
	ds_read_b128 v[7:10], v64 offset:992
	s_waitcnt vmcnt(58) lgkmcnt(1)
	v_mul_f64 v[49:50], v[13:14], v[59:60]
	s_waitcnt vmcnt(56)
	v_fma_f64 v[57:58], v[1:2], v[61:62], -v[56:57]
	v_mul_f64 v[43:44], v[11:12], v[59:60]
	v_add_f64 v[15:16], v[15:16], v[41:42]
	v_fma_f64 v[41:42], v[3:4], v[61:62], v[183:184]
	v_add_f64 v[17:18], v[17:18], v[37:38]
	s_clause 0x4
	buffer_load_dword v38, off, s[0:3], 0 offset:524
	buffer_load_dword v59, off, s[0:3], 0 offset:536
	;; [unrolled: 1-line block ×5, first 2 shown]
	s_waitcnt vmcnt(57) lgkmcnt(0)
	v_mul_f64 v[183:184], v[7:8], v[79:80]
	v_mul_f64 v[79:80], v[9:10], v[79:80]
	s_waitcnt vmcnt(56)
	v_fma_f64 v[49:50], v[11:12], v[51:52], -v[49:50]
	ds_read_b128 v[1:4], v64 offset:1008
	v_fma_f64 v[43:44], v[13:14], v[51:52], v[43:44]
	v_add_f64 v[15:16], v[15:16], v[57:58]
	v_add_f64 v[17:18], v[17:18], v[41:42]
	s_clause 0x2
	buffer_load_dword v60, off, s[0:3], 0 offset:540
	buffer_load_dword v42, off, s[0:3], 0 offset:516
	;; [unrolled: 1-line block ×3, first 2 shown]
	ds_read_b128 v[11:14], v64 offset:1024
	s_waitcnt vmcnt(58) lgkmcnt(1)
	v_mul_f64 v[57:58], v[3:4], v[81:82]
	s_waitcnt vmcnt(56)
	v_fma_f64 v[79:80], v[7:8], v[86:87], -v[79:80]
	v_mul_f64 v[51:52], v[1:2], v[81:82]
	v_add_f64 v[15:16], v[15:16], v[49:50]
	v_fma_f64 v[49:50], v[9:10], v[86:87], v[183:184]
	v_add_f64 v[17:18], v[17:18], v[43:44]
	s_clause 0x4
	buffer_load_dword v44, off, s[0:3], 0 offset:556
	buffer_load_dword v81, off, s[0:3], 0 offset:568
	;; [unrolled: 1-line block ×5, first 2 shown]
	ds_read_b128 v[7:10], v64 offset:1040
	s_waitcnt vmcnt(57) lgkmcnt(1)
	v_mul_f64 v[86:87], v[11:12], v[77:78]
	v_mul_f64 v[77:78], v[13:14], v[77:78]
	s_waitcnt vmcnt(56)
	v_fma_f64 v[57:58], v[1:2], v[83:84], -v[57:58]
	v_fma_f64 v[51:52], v[3:4], v[83:84], v[51:52]
	v_add_f64 v[15:16], v[15:16], v[79:80]
	v_add_f64 v[17:18], v[17:18], v[49:50]
	s_clause 0x2
	buffer_load_dword v82, off, s[0:3], 0 offset:572
	buffer_load_dword v50, off, s[0:3], 0 offset:548
	;; [unrolled: 1-line block ×3, first 2 shown]
	ds_read_b128 v[1:4], v64 offset:1056
	s_waitcnt vmcnt(58) lgkmcnt(1)
	v_mul_f64 v[83:84], v[9:10], v[90:91]
	v_mul_f64 v[79:80], v[7:8], v[90:91]
	s_waitcnt vmcnt(56)
	v_fma_f64 v[77:78], v[11:12], v[71:72], -v[77:78]
	v_add_f64 v[15:16], v[15:16], v[57:58]
	v_fma_f64 v[57:58], v[13:14], v[71:72], v[86:87]
	v_add_f64 v[17:18], v[17:18], v[51:52]
	s_clause 0x4
	buffer_load_dword v52, off, s[0:3], 0 offset:588
	buffer_load_dword v71, off, s[0:3], 0 offset:600
	buffer_load_dword v90, off, s[0:3], 0 offset:592
	buffer_load_dword v51, off, s[0:3], 0 offset:584
	buffer_load_dword v86, off, s[0:3], 0 offset:564
	ds_read_b128 v[11:14], v64 offset:1072
	s_waitcnt vmcnt(57) lgkmcnt(1)
	v_mul_f64 v[91:92], v[1:2], v[27:28]
	v_mul_f64 v[27:28], v[3:4], v[27:28]
	s_waitcnt vmcnt(56)
	v_fma_f64 v[83:84], v[7:8], v[181:182], -v[83:84]
	v_add_f64 v[15:16], v[15:16], v[77:78]
	v_fma_f64 v[77:78], v[9:10], v[181:182], v[79:80]
	v_add_f64 v[17:18], v[17:18], v[57:58]
	s_clause 0x2
	buffer_load_dword v72, off, s[0:3], 0 offset:604
	buffer_load_dword v58, off, s[0:3], 0 offset:580
	buffer_load_dword v57, off, s[0:3], 0 offset:576
	ds_read_b128 v[7:10], v64 offset:1088
	s_waitcnt vmcnt(58) lgkmcnt(1)
	v_mul_f64 v[79:80], v[11:12], v[73:74]
	v_mul_f64 v[73:74], v[13:14], v[73:74]
	s_waitcnt vmcnt(56)
	v_fma_f64 v[27:28], v[1:2], v[21:22], -v[27:28]
	v_fma_f64 v[21:22], v[3:4], v[21:22], v[91:92]
	v_add_f64 v[15:16], v[15:16], v[83:84]
	v_add_f64 v[17:18], v[17:18], v[77:78]
	s_clause 0x4
	buffer_load_dword v78, off, s[0:3], 0 offset:620
	buffer_load_dword v83, off, s[0:3], 0 offset:632
	buffer_load_dword v87, off, s[0:3], 0 offset:624
	buffer_load_dword v77, off, s[0:3], 0 offset:616
	buffer_load_dword v91, off, s[0:3], 0 offset:596
	ds_read_b128 v[1:4], v64 offset:1104
	s_waitcnt vmcnt(57) lgkmcnt(1)
	v_mul_f64 v[181:182], v[7:8], v[65:66]
	v_mul_f64 v[65:66], v[9:10], v[65:66]
	s_waitcnt vmcnt(56)
	v_fma_f64 v[73:74], v[11:12], v[88:89], -v[73:74]
	v_add_f64 v[15:16], v[15:16], v[27:28]
	v_fma_f64 v[27:28], v[13:14], v[88:89], v[79:80]
	v_add_f64 v[17:18], v[17:18], v[21:22]
	s_clause 0x2
	buffer_load_dword v84, off, s[0:3], 0 offset:636
	buffer_load_dword v22, off, s[0:3], 0 offset:612
	buffer_load_dword v21, off, s[0:3], 0 offset:608
	ds_read_b128 v[11:14], v64 offset:1120
	s_waitcnt vmcnt(58) lgkmcnt(1)
	v_mul_f64 v[79:80], v[1:2], v[67:68]
	v_mul_f64 v[67:68], v[3:4], v[67:68]
	s_waitcnt vmcnt(56)
	v_fma_f64 v[65:66], v[7:8], v[23:24], -v[65:66]
	v_fma_f64 v[23:24], v[9:10], v[23:24], v[181:182]
	v_add_f64 v[15:16], v[15:16], v[73:74]
	;; [unrolled: 28-line block ×3, first 2 shown]
	v_add_f64 v[17:18], v[17:18], v[65:66]
	s_clause 0x4
	buffer_load_dword v66, off, s[0:3], 0 offset:684
	buffer_load_dword v67, off, s[0:3], 0 offset:696
	;; [unrolled: 1-line block ×5, first 2 shown]
	ds_read_b128 v[11:14], v64 offset:1168
	s_waitcnt vmcnt(57) lgkmcnt(1)
	v_mul_f64 v[183:184], v[1:2], v[25:26]
	v_mul_f64 v[25:26], v[3:4], v[25:26]
	s_waitcnt vmcnt(56)
	v_fma_f64 v[39:40], v[7:8], v[69:70], -v[39:40]
	v_add_f64 v[15:16], v[15:16], v[19:20]
	v_fma_f64 v[19:20], v[9:10], v[69:70], v[75:76]
	v_add_f64 v[17:18], v[17:18], v[29:30]
	s_clause 0x2
	buffer_load_dword v68, off, s[0:3], 0 offset:700
	buffer_load_dword v30, off, s[0:3], 0 offset:676
	buffer_load_dword v29, off, s[0:3], 0 offset:672
	s_waitcnt vmcnt(58) lgkmcnt(0)
	v_mul_f64 v[69:70], v[11:12], v[45:46]
	v_mul_f64 v[45:46], v[13:14], v[45:46]
	ds_read_b128 v[7:10], v64 offset:1184
	s_waitcnt vmcnt(56)
	v_fma_f64 v[25:26], v[1:2], v[35:36], -v[25:26]
	v_fma_f64 v[35:36], v[3:4], v[35:36], v[183:184]
	v_add_f64 v[15:16], v[15:16], v[39:40]
	v_add_f64 v[17:18], v[17:18], v[19:20]
	s_clause 0x4
	buffer_load_dword v20, off, s[0:3], 0 offset:716
	buffer_load_dword v39, off, s[0:3], 0 offset:728
	;; [unrolled: 1-line block ×5, first 2 shown]
	ds_read_b128 v[1:4], v64 offset:1200
	s_waitcnt vmcnt(57) lgkmcnt(1)
	v_mul_f64 v[183:184], v[7:8], v[31:32]
	v_mul_f64 v[31:32], v[9:10], v[31:32]
	s_waitcnt vmcnt(56)
	v_fma_f64 v[45:46], v[11:12], v[47:48], -v[45:46]
	v_add_f64 v[15:16], v[15:16], v[25:26]
	v_fma_f64 v[25:26], v[13:14], v[47:48], v[69:70]
	v_add_f64 v[17:18], v[17:18], v[35:36]
	s_clause 0x2
	buffer_load_dword v40, off, s[0:3], 0 offset:732
	buffer_load_dword v36, off, s[0:3], 0 offset:708
	;; [unrolled: 1-line block ×3, first 2 shown]
	ds_read_b128 v[11:14], v64 offset:1216
	buffer_load_dword v76, off, s[0:3], 0 offset:724
	s_waitcnt vmcnt(59) lgkmcnt(1)
	v_mul_f64 v[47:48], v[1:2], v[53:54]
	v_mul_f64 v[53:54], v[3:4], v[53:54]
	s_waitcnt vmcnt(57)
	v_fma_f64 v[31:32], v[7:8], v[33:34], -v[31:32]
	v_fma_f64 v[33:34], v[9:10], v[33:34], v[183:184]
	ds_read_b128 v[7:10], v64 offset:1232
	v_add_f64 v[15:16], v[15:16], v[45:46]
	v_add_f64 v[17:18], v[17:18], v[25:26]
	s_waitcnt vmcnt(53) lgkmcnt(1)
	v_mul_f64 v[25:26], v[11:12], v[37:38]
	v_mul_f64 v[37:38], v[13:14], v[37:38]
	s_waitcnt vmcnt(52)
	v_fma_f64 v[45:46], v[1:2], v[55:56], -v[53:54]
	v_add_f64 v[15:16], v[15:16], v[31:32]
	v_fma_f64 v[31:32], v[3:4], v[55:56], v[47:48]
	v_add_f64 v[17:18], v[17:18], v[33:34]
	ds_read_b128 v[1:4], v64 offset:1248
	s_waitcnt vmcnt(51) lgkmcnt(1)
	v_mul_f64 v[47:48], v[9:10], v[59:60]
	v_mul_f64 v[33:34], v[7:8], v[59:60]
	s_waitcnt vmcnt(49)
	v_fma_f64 v[37:38], v[11:12], v[41:42], -v[37:38]
	v_fma_f64 v[25:26], v[13:14], v[41:42], v[25:26]
	v_add_f64 v[15:16], v[15:16], v[45:46]
	v_add_f64 v[17:18], v[17:18], v[31:32]
	s_clause 0x3
	buffer_load_dword v31, off, s[0:3], 0 offset:32
	buffer_load_dword v32, off, s[0:3], 0 offset:36
	buffer_load_dword v41, off, s[0:3], 0 offset:40
	buffer_load_dword v42, off, s[0:3], 0 offset:44
	ds_read_b128 v[11:14], v64 offset:1264
	s_waitcnt vmcnt(49) lgkmcnt(1)
	v_mul_f64 v[45:46], v[1:2], v[43:44]
	v_mul_f64 v[43:44], v[3:4], v[43:44]
	s_waitcnt vmcnt(48)
	v_fma_f64 v[47:48], v[7:8], v[61:62], -v[47:48]
	v_fma_f64 v[33:34], v[9:10], v[61:62], v[33:34]
	ds_read_b128 v[7:10], v64 offset:1280
	v_add_f64 v[15:16], v[15:16], v[37:38]
	v_add_f64 v[17:18], v[17:18], v[25:26]
	s_waitcnt vmcnt(47) lgkmcnt(1)
	v_mul_f64 v[37:38], v[13:14], v[81:82]
	v_mul_f64 v[25:26], v[11:12], v[81:82]
	s_waitcnt vmcnt(45)
	v_fma_f64 v[43:44], v[1:2], v[49:50], -v[43:44]
	v_fma_f64 v[45:46], v[3:4], v[49:50], v[45:46]
	ds_read_b128 v[1:4], v64 offset:1296
	v_add_f64 v[15:16], v[15:16], v[47:48]
	v_add_f64 v[17:18], v[17:18], v[33:34]
	s_waitcnt vmcnt(41) lgkmcnt(1)
	v_mul_f64 v[47:48], v[9:10], v[51:52]
	s_waitcnt vmcnt(40)
	v_fma_f64 v[37:38], v[11:12], v[85:86], -v[37:38]
	v_mul_f64 v[33:34], v[7:8], v[51:52]
	v_fma_f64 v[25:26], v[13:14], v[85:86], v[25:26]
	ds_read_b128 v[11:14], v64 offset:1312
	v_add_f64 v[15:16], v[15:16], v[43:44]
	v_add_f64 v[17:18], v[17:18], v[45:46]
	s_waitcnt vmcnt(39) lgkmcnt(1)
	v_mul_f64 v[45:46], v[3:4], v[71:72]
	v_mul_f64 v[43:44], v[1:2], v[71:72]
	s_waitcnt vmcnt(37)
	v_fma_f64 v[47:48], v[7:8], v[57:58], -v[47:48]
	v_fma_f64 v[33:34], v[9:10], v[57:58], v[33:34]
	ds_read_b128 v[7:10], v64 offset:1328
	v_add_f64 v[15:16], v[15:16], v[37:38]
	v_add_f64 v[17:18], v[17:18], v[25:26]
	s_waitcnt vmcnt(33) lgkmcnt(1)
	v_mul_f64 v[37:38], v[13:14], v[77:78]
	s_waitcnt vmcnt(32)
	v_fma_f64 v[45:46], v[1:2], v[90:91], -v[45:46]
	v_mul_f64 v[25:26], v[11:12], v[77:78]
	v_fma_f64 v[43:44], v[3:4], v[90:91], v[43:44]
	ds_read_b128 v[1:4], v64 offset:1344
	v_add_f64 v[15:16], v[15:16], v[47:48]
	v_add_f64 v[17:18], v[17:18], v[33:34]
	s_waitcnt vmcnt(31) lgkmcnt(1)
	v_mul_f64 v[47:48], v[9:10], v[83:84]
	v_mul_f64 v[33:34], v[7:8], v[83:84]
	s_waitcnt vmcnt(29)
	v_fma_f64 v[37:38], v[11:12], v[21:22], -v[37:38]
	v_fma_f64 v[21:22], v[13:14], v[21:22], v[25:26]
	ds_read_b128 v[11:14], v64 offset:1360
	v_add_f64 v[15:16], v[15:16], v[45:46]
	v_add_f64 v[17:18], v[17:18], v[43:44]
	s_waitcnt vmcnt(25) lgkmcnt(1)
	v_mul_f64 v[25:26], v[1:2], v[27:28]
	v_mul_f64 v[27:28], v[3:4], v[27:28]
	s_waitcnt vmcnt(24)
	v_fma_f64 v[43:44], v[7:8], v[87:88], -v[47:48]
	;; [unrolled: 9-line block ×3, first 2 shown]
	v_fma_f64 v[23:24], v[3:4], v[23:24], v[25:26]
	ds_read_b128 v[1:4], v64 offset:1392
	v_add_f64 v[15:16], v[15:16], v[43:44]
	v_add_f64 v[17:18], v[17:18], v[33:34]
	s_waitcnt vmcnt(17) lgkmcnt(1)
	v_mul_f64 v[33:34], v[9:10], v[65:66]
	s_waitcnt vmcnt(16)
	v_fma_f64 v[37:38], v[11:12], v[181:182], -v[37:38]
	v_mul_f64 v[25:26], v[7:8], v[65:66]
	v_fma_f64 v[21:22], v[13:14], v[181:182], v[21:22]
	ds_read_b128 v[11:14], v64 offset:1408
	v_add_f64 v[15:16], v[15:16], v[27:28]
	v_add_f64 v[17:18], v[17:18], v[23:24]
	s_waitcnt vmcnt(15) lgkmcnt(1)
	v_mul_f64 v[27:28], v[3:4], v[67:68]
	v_mul_f64 v[23:24], v[1:2], v[67:68]
	s_waitcnt vmcnt(13)
	v_fma_f64 v[33:34], v[7:8], v[29:30], -v[33:34]
	v_fma_f64 v[25:26], v[9:10], v[29:30], v[25:26]
	ds_read_b128 v[7:10], v64 offset:1424
	v_add_f64 v[15:16], v[15:16], v[37:38]
	v_add_f64 v[17:18], v[17:18], v[21:22]
	s_waitcnt vmcnt(9) lgkmcnt(1)
	v_mul_f64 v[21:22], v[11:12], v[19:20]
	v_mul_f64 v[19:20], v[13:14], v[19:20]
	s_waitcnt vmcnt(8)
	v_fma_f64 v[1:2], v[1:2], v[79:80], -v[27:28]
	v_fma_f64 v[3:4], v[3:4], v[79:80], v[23:24]
	v_add_f64 v[15:16], v[15:16], v[33:34]
	v_add_f64 v[17:18], v[17:18], v[25:26]
	s_waitcnt vmcnt(7) lgkmcnt(0)
	v_mul_f64 v[25:26], v[9:10], v[39:40]
	v_mul_f64 v[23:24], v[7:8], v[39:40]
	s_waitcnt vmcnt(5)
	v_fma_f64 v[11:12], v[11:12], v[35:36], -v[19:20]
	v_fma_f64 v[13:14], v[13:14], v[35:36], v[21:22]
	v_add_f64 v[1:2], v[15:16], v[1:2]
	v_add_f64 v[3:4], v[17:18], v[3:4]
	s_waitcnt vmcnt(4)
	v_fma_f64 v[7:8], v[7:8], v[75:76], -v[25:26]
	v_fma_f64 v[9:10], v[9:10], v[75:76], v[23:24]
	v_add_f64 v[1:2], v[1:2], v[11:12]
	v_add_f64 v[3:4], v[3:4], v[13:14]
	;; [unrolled: 1-line block ×4, first 2 shown]
	s_waitcnt vmcnt(2)
	v_add_f64 v[1:2], v[31:32], -v[1:2]
	s_waitcnt vmcnt(0)
	v_add_f64 v[3:4], v[41:42], -v[3:4]
	buffer_store_dword v2, off, s[0:3], 0 offset:36
	buffer_store_dword v1, off, s[0:3], 0 offset:32
	;; [unrolled: 1-line block ×4, first 2 shown]
	v_cmpx_ne_u32_e32 0, v0
	s_cbranch_execz .LBB44_283
; %bb.282:
	s_clause 0x3
	buffer_load_dword v0, off, s[0:3], 0 offset:16
	buffer_load_dword v1, off, s[0:3], 0 offset:20
	;; [unrolled: 1-line block ×4, first 2 shown]
	buffer_store_dword v64, off, s[0:3], 0 offset:16
	buffer_store_dword v64, off, s[0:3], 0 offset:20
	;; [unrolled: 1-line block ×4, first 2 shown]
	s_waitcnt vmcnt(0)
	ds_write_b128 v63, v[0:3]
.LBB44_283:
	s_or_b32 exec_lo, exec_lo, s4
	s_waitcnt lgkmcnt(0)
	s_waitcnt_vscnt null, 0x0
	s_barrier
	buffer_gl0_inv
	s_clause 0x37
	buffer_load_dword v11, off, s[0:3], 0 offset:40
	buffer_load_dword v12, off, s[0:3], 0 offset:44
	buffer_load_dword v7, off, s[0:3], 0 offset:56
	buffer_load_dword v8, off, s[0:3], 0 offset:60
	buffer_load_dword v9, off, s[0:3], 0 offset:32
	buffer_load_dword v10, off, s[0:3], 0 offset:36
	buffer_load_dword v2, off, s[0:3], 0 offset:72
	buffer_load_dword v3, off, s[0:3], 0 offset:76
	buffer_load_dword v0, off, s[0:3], 0 offset:48
	buffer_load_dword v1, off, s[0:3], 0 offset:52
	buffer_load_dword v16, off, s[0:3], 0 offset:92
	buffer_load_dword v19, off, s[0:3], 0 offset:104
	buffer_load_dword v13, off, s[0:3], 0 offset:96
	buffer_load_dword v15, off, s[0:3], 0 offset:88
	buffer_load_dword v27, off, s[0:3], 0 offset:64
	buffer_load_dword v28, off, s[0:3], 0 offset:68
	buffer_load_dword v20, off, s[0:3], 0 offset:108
	buffer_load_dword v22, off, s[0:3], 0 offset:84
	buffer_load_dword v21, off, s[0:3], 0 offset:80
	buffer_load_dword v24, off, s[0:3], 0 offset:124
	buffer_load_dword v29, off, s[0:3], 0 offset:136
	buffer_load_dword v17, off, s[0:3], 0 offset:128
	buffer_load_dword v23, off, s[0:3], 0 offset:120
	buffer_load_dword v14, off, s[0:3], 0 offset:100
	buffer_load_dword v30, off, s[0:3], 0 offset:140
	buffer_load_dword v32, off, s[0:3], 0 offset:116
	buffer_load_dword v31, off, s[0:3], 0 offset:112
	buffer_load_dword v34, off, s[0:3], 0 offset:156
	buffer_load_dword v37, off, s[0:3], 0 offset:168
	buffer_load_dword v25, off, s[0:3], 0 offset:160
	buffer_load_dword v33, off, s[0:3], 0 offset:152
	buffer_load_dword v18, off, s[0:3], 0 offset:132
	buffer_load_dword v38, off, s[0:3], 0 offset:172
	buffer_load_dword v40, off, s[0:3], 0 offset:148
	buffer_load_dword v39, off, s[0:3], 0 offset:144
	buffer_load_dword v42, off, s[0:3], 0 offset:188
	buffer_load_dword v45, off, s[0:3], 0 offset:200
	buffer_load_dword v35, off, s[0:3], 0 offset:192
	buffer_load_dword v41, off, s[0:3], 0 offset:184
	buffer_load_dword v26, off, s[0:3], 0 offset:164
	buffer_load_dword v46, off, s[0:3], 0 offset:204
	buffer_load_dword v48, off, s[0:3], 0 offset:180
	buffer_load_dword v47, off, s[0:3], 0 offset:176
	buffer_load_dword v50, off, s[0:3], 0 offset:220
	buffer_load_dword v53, off, s[0:3], 0 offset:232
	buffer_load_dword v43, off, s[0:3], 0 offset:224
	buffer_load_dword v49, off, s[0:3], 0 offset:216
	buffer_load_dword v36, off, s[0:3], 0 offset:196
	buffer_load_dword v54, off, s[0:3], 0 offset:236
	buffer_load_dword v56, off, s[0:3], 0 offset:212
	buffer_load_dword v55, off, s[0:3], 0 offset:208
	buffer_load_dword v58, off, s[0:3], 0 offset:252
	buffer_load_dword v59, off, s[0:3], 0 offset:264
	buffer_load_dword v51, off, s[0:3], 0 offset:256
	buffer_load_dword v57, off, s[0:3], 0 offset:248
	buffer_load_dword v44, off, s[0:3], 0 offset:228
	ds_read_b128 v[65:68], v64 offset:736
	s_clause 0x2
	buffer_load_dword v60, off, s[0:3], 0 offset:268
	buffer_load_dword v62, off, s[0:3], 0 offset:244
	;; [unrolled: 1-line block ×3, first 2 shown]
	ds_read_b128 v[69:72], v64 offset:752
	s_clause 0x4
	buffer_load_dword v80, off, s[0:3], 0 offset:284
	buffer_load_dword v81, off, s[0:3], 0 offset:296
	;; [unrolled: 1-line block ×5, first 2 shown]
	ds_read_b128 v[73:76], v64 offset:768
	s_clause 0x2
	buffer_load_dword v82, off, s[0:3], 0 offset:300
	buffer_load_dword v87, off, s[0:3], 0 offset:276
	;; [unrolled: 1-line block ×3, first 2 shown]
	s_and_b32 vcc_lo, exec_lo, s57
	s_waitcnt vmcnt(62) lgkmcnt(2)
	v_mul_f64 v[77:78], v[67:68], v[11:12]
	v_mul_f64 v[11:12], v[65:66], v[11:12]
	s_waitcnt lgkmcnt(1)
	v_mul_f64 v[84:85], v[71:72], v[7:8]
	s_waitcnt vmcnt(59) lgkmcnt(0)
	v_mul_f64 v[88:89], v[75:76], v[2:3]
	v_fma_f64 v[65:66], v[65:66], v[9:10], -v[77:78]
	v_mul_f64 v[77:78], v[69:70], v[7:8]
	v_fma_f64 v[11:12], v[67:68], v[9:10], v[11:12]
	s_waitcnt vmcnt(57)
	v_fma_f64 v[69:70], v[69:70], v[0:1], -v[84:85]
	ds_read_b128 v[7:10], v64 offset:784
	v_mul_f64 v[67:68], v[73:74], v[2:3]
	s_waitcnt vmcnt(51)
	v_fma_f64 v[73:74], v[73:74], v[27:28], -v[88:89]
	v_add_f64 v[65:66], v[65:66], 0
	v_fma_f64 v[71:72], v[71:72], v[0:1], v[77:78]
	v_add_f64 v[11:12], v[11:12], 0
	s_clause 0x4
	buffer_load_dword v78, off, s[0:3], 0 offset:316
	buffer_load_dword v90, off, s[0:3], 0 offset:328
	;; [unrolled: 1-line block ×5, first 2 shown]
	s_waitcnt lgkmcnt(0)
	v_mul_f64 v[182:183], v[7:8], v[15:16]
	v_mul_f64 v[15:16], v[9:10], v[15:16]
	ds_read_b128 v[0:3], v64 offset:800
	v_fma_f64 v[27:28], v[75:76], v[27:28], v[67:68]
	v_add_f64 v[69:70], v[65:66], v[69:70]
	v_add_f64 v[11:12], v[11:12], v[71:72]
	s_clause 0x2
	buffer_load_dword v91, off, s[0:3], 0 offset:332
	buffer_load_dword v72, off, s[0:3], 0 offset:308
	buffer_load_dword v71, off, s[0:3], 0 offset:304
	s_waitcnt vmcnt(58) lgkmcnt(0)
	v_mul_f64 v[75:76], v[0:1], v[19:20]
	v_mul_f64 v[19:20], v[2:3], v[19:20]
	s_waitcnt vmcnt(56)
	v_fma_f64 v[15:16], v[7:8], v[21:22], -v[15:16]
	ds_read_b128 v[65:68], v64 offset:816
	v_fma_f64 v[21:22], v[9:10], v[21:22], v[182:183]
	v_add_f64 v[69:70], v[69:70], v[73:74]
	v_add_f64 v[11:12], v[11:12], v[27:28]
	s_clause 0x4
	buffer_load_dword v28, off, s[0:3], 0 offset:348
	buffer_load_dword v73, off, s[0:3], 0 offset:360
	;; [unrolled: 1-line block ×5, first 2 shown]
	ds_read_b128 v[7:10], v64 offset:832
	s_waitcnt vmcnt(57) lgkmcnt(1)
	v_mul_f64 v[183:184], v[65:66], v[23:24]
	v_mul_f64 v[23:24], v[67:68], v[23:24]
	s_waitcnt vmcnt(56)
	v_fma_f64 v[19:20], v[0:1], v[13:14], -v[19:20]
	v_fma_f64 v[13:14], v[2:3], v[13:14], v[75:76]
	v_add_f64 v[15:16], v[69:70], v[15:16]
	v_add_f64 v[11:12], v[11:12], v[21:22]
	s_clause 0x2
	buffer_load_dword v74, off, s[0:3], 0 offset:364
	buffer_load_dword v22, off, s[0:3], 0 offset:340
	;; [unrolled: 1-line block ×3, first 2 shown]
	s_waitcnt vmcnt(58) lgkmcnt(0)
	v_mul_f64 v[69:70], v[7:8], v[29:30]
	v_mul_f64 v[29:30], v[9:10], v[29:30]
	s_waitcnt vmcnt(56)
	v_fma_f64 v[23:24], v[65:66], v[31:32], -v[23:24]
	ds_read_b128 v[0:3], v64 offset:848
	v_add_f64 v[15:16], v[15:16], v[19:20]
	v_fma_f64 v[19:20], v[67:68], v[31:32], v[183:184]
	v_add_f64 v[31:32], v[11:12], v[13:14]
	s_clause 0x4
	buffer_load_dword v66, off, s[0:3], 0 offset:380
	buffer_load_dword v67, off, s[0:3], 0 offset:392
	buffer_load_dword v75, off, s[0:3], 0 offset:384
	buffer_load_dword v65, off, s[0:3], 0 offset:376
	buffer_load_dword v89, off, s[0:3], 0 offset:356
	ds_read_b128 v[11:14], v64 offset:864
	s_waitcnt vmcnt(57) lgkmcnt(1)
	v_mul_f64 v[183:184], v[0:1], v[33:34]
	v_mul_f64 v[33:34], v[2:3], v[33:34]
	s_waitcnt vmcnt(56)
	v_fma_f64 v[29:30], v[7:8], v[17:18], -v[29:30]
	v_fma_f64 v[17:18], v[9:10], v[17:18], v[69:70]
	v_add_f64 v[15:16], v[15:16], v[23:24]
	s_clause 0x2
	buffer_load_dword v68, off, s[0:3], 0 offset:396
	buffer_load_dword v24, off, s[0:3], 0 offset:372
	;; [unrolled: 1-line block ×3, first 2 shown]
	v_add_f64 v[19:20], v[31:32], v[19:20]
	s_waitcnt vmcnt(58) lgkmcnt(0)
	v_mul_f64 v[31:32], v[11:12], v[37:38]
	v_mul_f64 v[37:38], v[13:14], v[37:38]
	ds_read_b128 v[7:10], v64 offset:880
	s_waitcnt vmcnt(56)
	v_fma_f64 v[33:34], v[0:1], v[39:40], -v[33:34]
	v_add_f64 v[15:16], v[15:16], v[29:30]
	v_fma_f64 v[29:30], v[2:3], v[39:40], v[183:184]
	v_add_f64 v[17:18], v[19:20], v[17:18]
	s_clause 0x4
	buffer_load_dword v20, off, s[0:3], 0 offset:412
	buffer_load_dword v39, off, s[0:3], 0 offset:424
	;; [unrolled: 1-line block ×5, first 2 shown]
	s_waitcnt vmcnt(57) lgkmcnt(0)
	v_mul_f64 v[183:184], v[7:8], v[41:42]
	v_mul_f64 v[41:42], v[9:10], v[41:42]
	s_waitcnt vmcnt(56)
	v_fma_f64 v[37:38], v[11:12], v[25:26], -v[37:38]
	ds_read_b128 v[0:3], v64 offset:896
	v_fma_f64 v[25:26], v[13:14], v[25:26], v[31:32]
	v_add_f64 v[15:16], v[15:16], v[33:34]
	v_add_f64 v[17:18], v[17:18], v[29:30]
	s_clause 0x2
	buffer_load_dword v40, off, s[0:3], 0 offset:428
	buffer_load_dword v30, off, s[0:3], 0 offset:404
	;; [unrolled: 1-line block ×3, first 2 shown]
	ds_read_b128 v[11:14], v64 offset:912
	s_waitcnt vmcnt(58) lgkmcnt(1)
	v_mul_f64 v[33:34], v[2:3], v[45:46]
	s_waitcnt vmcnt(56)
	v_fma_f64 v[41:42], v[7:8], v[47:48], -v[41:42]
	v_mul_f64 v[31:32], v[0:1], v[45:46]
	v_add_f64 v[15:16], v[15:16], v[37:38]
	v_fma_f64 v[37:38], v[9:10], v[47:48], v[183:184]
	v_add_f64 v[17:18], v[17:18], v[25:26]
	s_clause 0x4
	buffer_load_dword v26, off, s[0:3], 0 offset:444
	buffer_load_dword v45, off, s[0:3], 0 offset:456
	buffer_load_dword v47, off, s[0:3], 0 offset:448
	buffer_load_dword v25, off, s[0:3], 0 offset:440
	buffer_load_dword v70, off, s[0:3], 0 offset:420
	s_waitcnt vmcnt(57) lgkmcnt(0)
	v_mul_f64 v[183:184], v[11:12], v[49:50]
	v_mul_f64 v[48:49], v[13:14], v[49:50]
	s_waitcnt vmcnt(56)
	v_fma_f64 v[33:34], v[0:1], v[35:36], -v[33:34]
	ds_read_b128 v[7:10], v64 offset:928
	v_fma_f64 v[31:32], v[2:3], v[35:36], v[31:32]
	s_clause 0x2
	buffer_load_dword v46, off, s[0:3], 0 offset:460
	buffer_load_dword v36, off, s[0:3], 0 offset:436
	;; [unrolled: 1-line block ×3, first 2 shown]
	ds_read_b128 v[0:3], v64 offset:944
	v_add_f64 v[15:16], v[15:16], v[41:42]
	v_add_f64 v[17:18], v[17:18], v[37:38]
	s_waitcnt vmcnt(58) lgkmcnt(1)
	v_mul_f64 v[41:42], v[9:10], v[53:54]
	s_waitcnt vmcnt(56)
	v_fma_f64 v[49:50], v[11:12], v[55:56], -v[48:49]
	v_mul_f64 v[37:38], v[7:8], v[53:54]
	v_add_f64 v[15:16], v[15:16], v[33:34]
	v_fma_f64 v[33:34], v[13:14], v[55:56], v[183:184]
	v_add_f64 v[17:18], v[17:18], v[31:32]
	s_clause 0x4
	buffer_load_dword v32, off, s[0:3], 0 offset:476
	buffer_load_dword v53, off, s[0:3], 0 offset:488
	;; [unrolled: 1-line block ×5, first 2 shown]
	s_waitcnt vmcnt(57) lgkmcnt(0)
	v_mul_f64 v[183:184], v[0:1], v[57:58]
	v_mul_f64 v[56:57], v[2:3], v[57:58]
	s_waitcnt vmcnt(56)
	v_fma_f64 v[41:42], v[7:8], v[43:44], -v[41:42]
	ds_read_b128 v[11:14], v64 offset:960
	v_fma_f64 v[37:38], v[9:10], v[43:44], v[37:38]
	v_add_f64 v[15:16], v[15:16], v[49:50]
	v_add_f64 v[17:18], v[17:18], v[33:34]
	s_clause 0x2
	buffer_load_dword v54, off, s[0:3], 0 offset:492
	buffer_load_dword v34, off, s[0:3], 0 offset:468
	;; [unrolled: 1-line block ×3, first 2 shown]
	ds_read_b128 v[7:10], v64 offset:976
	s_waitcnt vmcnt(58) lgkmcnt(1)
	v_mul_f64 v[49:50], v[13:14], v[59:60]
	s_waitcnt vmcnt(56)
	v_fma_f64 v[57:58], v[0:1], v[61:62], -v[56:57]
	v_mul_f64 v[43:44], v[11:12], v[59:60]
	v_add_f64 v[15:16], v[15:16], v[41:42]
	v_fma_f64 v[41:42], v[2:3], v[61:62], v[183:184]
	v_add_f64 v[17:18], v[17:18], v[37:38]
	s_clause 0x4
	buffer_load_dword v38, off, s[0:3], 0 offset:508
	buffer_load_dword v59, off, s[0:3], 0 offset:520
	;; [unrolled: 1-line block ×5, first 2 shown]
	s_waitcnt vmcnt(57) lgkmcnt(0)
	v_mul_f64 v[62:63], v[7:8], v[79:80]
	v_mul_f64 v[79:80], v[9:10], v[79:80]
	s_waitcnt vmcnt(56)
	v_fma_f64 v[49:50], v[11:12], v[51:52], -v[49:50]
	ds_read_b128 v[0:3], v64 offset:992
	v_fma_f64 v[43:44], v[13:14], v[51:52], v[43:44]
	v_add_f64 v[15:16], v[15:16], v[57:58]
	v_add_f64 v[17:18], v[17:18], v[41:42]
	s_clause 0x2
	buffer_load_dword v60, off, s[0:3], 0 offset:524
	buffer_load_dword v42, off, s[0:3], 0 offset:500
	;; [unrolled: 1-line block ×3, first 2 shown]
	ds_read_b128 v[11:14], v64 offset:1008
	s_waitcnt vmcnt(58) lgkmcnt(1)
	v_mul_f64 v[57:58], v[2:3], v[81:82]
	s_waitcnt vmcnt(56)
	v_fma_f64 v[79:80], v[7:8], v[86:87], -v[79:80]
	v_mul_f64 v[51:52], v[0:1], v[81:82]
	v_add_f64 v[15:16], v[15:16], v[49:50]
	v_fma_f64 v[49:50], v[9:10], v[86:87], v[62:63]
	v_add_f64 v[17:18], v[17:18], v[43:44]
	s_clause 0x4
	buffer_load_dword v44, off, s[0:3], 0 offset:540
	buffer_load_dword v81, off, s[0:3], 0 offset:552
	;; [unrolled: 1-line block ×5, first 2 shown]
	ds_read_b128 v[7:10], v64 offset:1024
	s_waitcnt vmcnt(57) lgkmcnt(1)
	v_mul_f64 v[86:87], v[11:12], v[77:78]
	v_mul_f64 v[77:78], v[13:14], v[77:78]
	s_waitcnt vmcnt(56)
	v_fma_f64 v[57:58], v[0:1], v[83:84], -v[57:58]
	v_fma_f64 v[51:52], v[2:3], v[83:84], v[51:52]
	v_add_f64 v[15:16], v[15:16], v[79:80]
	v_add_f64 v[17:18], v[17:18], v[49:50]
	s_clause 0x2
	buffer_load_dword v82, off, s[0:3], 0 offset:556
	buffer_load_dword v50, off, s[0:3], 0 offset:532
	;; [unrolled: 1-line block ×3, first 2 shown]
	ds_read_b128 v[0:3], v64 offset:1040
	s_waitcnt vmcnt(58) lgkmcnt(1)
	v_mul_f64 v[83:84], v[9:10], v[90:91]
	v_mul_f64 v[79:80], v[7:8], v[90:91]
	s_waitcnt vmcnt(56)
	v_fma_f64 v[77:78], v[11:12], v[71:72], -v[77:78]
	v_add_f64 v[15:16], v[15:16], v[57:58]
	v_fma_f64 v[57:58], v[13:14], v[71:72], v[86:87]
	v_add_f64 v[17:18], v[17:18], v[51:52]
	s_clause 0x4
	buffer_load_dword v52, off, s[0:3], 0 offset:572
	buffer_load_dword v71, off, s[0:3], 0 offset:584
	buffer_load_dword v90, off, s[0:3], 0 offset:576
	buffer_load_dword v51, off, s[0:3], 0 offset:568
	buffer_load_dword v86, off, s[0:3], 0 offset:548
	ds_read_b128 v[11:14], v64 offset:1056
	s_waitcnt vmcnt(57) lgkmcnt(1)
	v_mul_f64 v[91:92], v[0:1], v[27:28]
	v_mul_f64 v[27:28], v[2:3], v[27:28]
	s_waitcnt vmcnt(56)
	v_fma_f64 v[83:84], v[7:8], v[181:182], -v[83:84]
	v_add_f64 v[15:16], v[15:16], v[77:78]
	v_fma_f64 v[77:78], v[9:10], v[181:182], v[79:80]
	v_add_f64 v[17:18], v[17:18], v[57:58]
	s_clause 0x2
	buffer_load_dword v72, off, s[0:3], 0 offset:588
	buffer_load_dword v58, off, s[0:3], 0 offset:564
	buffer_load_dword v57, off, s[0:3], 0 offset:560
	ds_read_b128 v[7:10], v64 offset:1072
	s_waitcnt vmcnt(58) lgkmcnt(1)
	v_mul_f64 v[79:80], v[11:12], v[73:74]
	v_mul_f64 v[73:74], v[13:14], v[73:74]
	s_waitcnt vmcnt(56)
	v_fma_f64 v[27:28], v[0:1], v[21:22], -v[27:28]
	v_fma_f64 v[21:22], v[2:3], v[21:22], v[91:92]
	v_add_f64 v[15:16], v[15:16], v[83:84]
	v_add_f64 v[17:18], v[17:18], v[77:78]
	s_clause 0x4
	buffer_load_dword v78, off, s[0:3], 0 offset:604
	buffer_load_dword v83, off, s[0:3], 0 offset:616
	buffer_load_dword v87, off, s[0:3], 0 offset:608
	buffer_load_dword v77, off, s[0:3], 0 offset:600
	buffer_load_dword v91, off, s[0:3], 0 offset:580
	ds_read_b128 v[0:3], v64 offset:1088
	s_waitcnt vmcnt(57) lgkmcnt(1)
	v_mul_f64 v[181:182], v[7:8], v[65:66]
	v_mul_f64 v[65:66], v[9:10], v[65:66]
	s_waitcnt vmcnt(56)
	v_fma_f64 v[73:74], v[11:12], v[88:89], -v[73:74]
	v_add_f64 v[15:16], v[15:16], v[27:28]
	v_fma_f64 v[27:28], v[13:14], v[88:89], v[79:80]
	v_add_f64 v[17:18], v[17:18], v[21:22]
	s_clause 0x2
	buffer_load_dword v84, off, s[0:3], 0 offset:620
	buffer_load_dword v22, off, s[0:3], 0 offset:596
	buffer_load_dword v21, off, s[0:3], 0 offset:592
	ds_read_b128 v[11:14], v64 offset:1104
	s_waitcnt vmcnt(58) lgkmcnt(1)
	v_mul_f64 v[79:80], v[0:1], v[67:68]
	v_mul_f64 v[67:68], v[2:3], v[67:68]
	s_waitcnt vmcnt(56)
	v_fma_f64 v[65:66], v[7:8], v[23:24], -v[65:66]
	v_fma_f64 v[23:24], v[9:10], v[23:24], v[181:182]
	v_add_f64 v[15:16], v[15:16], v[73:74]
	;; [unrolled: 28-line block ×3, first 2 shown]
	v_add_f64 v[17:18], v[17:18], v[65:66]
	s_clause 0x4
	buffer_load_dword v66, off, s[0:3], 0 offset:668
	buffer_load_dword v67, off, s[0:3], 0 offset:680
	;; [unrolled: 1-line block ×5, first 2 shown]
	ds_read_b128 v[11:14], v64 offset:1152
	s_waitcnt vmcnt(57) lgkmcnt(1)
	v_mul_f64 v[183:184], v[0:1], v[25:26]
	v_mul_f64 v[25:26], v[2:3], v[25:26]
	s_waitcnt vmcnt(56)
	v_fma_f64 v[39:40], v[7:8], v[69:70], -v[39:40]
	v_add_f64 v[15:16], v[15:16], v[19:20]
	v_fma_f64 v[19:20], v[9:10], v[69:70], v[75:76]
	v_add_f64 v[17:18], v[17:18], v[29:30]
	s_clause 0x2
	buffer_load_dword v68, off, s[0:3], 0 offset:684
	buffer_load_dword v30, off, s[0:3], 0 offset:660
	;; [unrolled: 1-line block ×3, first 2 shown]
	s_waitcnt vmcnt(58) lgkmcnt(0)
	v_mul_f64 v[69:70], v[11:12], v[45:46]
	v_mul_f64 v[45:46], v[13:14], v[45:46]
	ds_read_b128 v[7:10], v64 offset:1168
	s_waitcnt vmcnt(56)
	v_fma_f64 v[25:26], v[0:1], v[35:36], -v[25:26]
	v_fma_f64 v[35:36], v[2:3], v[35:36], v[183:184]
	v_add_f64 v[15:16], v[15:16], v[39:40]
	v_add_f64 v[17:18], v[17:18], v[19:20]
	s_clause 0x4
	buffer_load_dword v20, off, s[0:3], 0 offset:700
	buffer_load_dword v39, off, s[0:3], 0 offset:712
	;; [unrolled: 1-line block ×5, first 2 shown]
	ds_read_b128 v[0:3], v64 offset:1184
	s_waitcnt vmcnt(57) lgkmcnt(1)
	v_mul_f64 v[183:184], v[7:8], v[31:32]
	v_mul_f64 v[31:32], v[9:10], v[31:32]
	s_waitcnt vmcnt(56)
	v_fma_f64 v[45:46], v[11:12], v[47:48], -v[45:46]
	v_add_f64 v[15:16], v[15:16], v[25:26]
	v_fma_f64 v[25:26], v[13:14], v[47:48], v[69:70]
	v_add_f64 v[17:18], v[17:18], v[35:36]
	s_clause 0x2
	buffer_load_dword v40, off, s[0:3], 0 offset:716
	buffer_load_dword v36, off, s[0:3], 0 offset:692
	buffer_load_dword v35, off, s[0:3], 0 offset:688
	ds_read_b128 v[11:14], v64 offset:1200
	s_waitcnt vmcnt(58) lgkmcnt(1)
	v_mul_f64 v[47:48], v[0:1], v[53:54]
	v_mul_f64 v[53:54], v[2:3], v[53:54]
	s_waitcnt vmcnt(56)
	v_fma_f64 v[31:32], v[7:8], v[33:34], -v[31:32]
	v_fma_f64 v[33:34], v[9:10], v[33:34], v[183:184]
	v_add_f64 v[15:16], v[15:16], v[45:46]
	v_add_f64 v[17:18], v[17:18], v[25:26]
	s_clause 0x2
	buffer_load_dword v26, off, s[0:3], 0 offset:732
	buffer_load_dword v25, off, s[0:3], 0 offset:728
	buffer_load_dword v76, off, s[0:3], 0 offset:708
	ds_read_b128 v[7:10], v64 offset:1216
	s_waitcnt vmcnt(55) lgkmcnt(1)
	v_mul_f64 v[45:46], v[11:12], v[37:38]
	v_mul_f64 v[37:38], v[13:14], v[37:38]
	s_waitcnt vmcnt(54)
	v_fma_f64 v[53:54], v[0:1], v[55:56], -v[53:54]
	v_add_f64 v[15:16], v[15:16], v[31:32]
	v_fma_f64 v[31:32], v[2:3], v[55:56], v[47:48]
	v_add_f64 v[17:18], v[17:18], v[33:34]
	s_clause 0x1
	buffer_load_dword v34, off, s[0:3], 0 offset:724
	buffer_load_dword v33, off, s[0:3], 0 offset:720
	ds_read_b128 v[0:3], v64 offset:1232
	s_waitcnt vmcnt(55) lgkmcnt(1)
	v_mul_f64 v[55:56], v[9:10], v[59:60]
	v_mul_f64 v[47:48], v[7:8], v[59:60]
	s_waitcnt vmcnt(53)
	v_fma_f64 v[37:38], v[11:12], v[41:42], -v[37:38]
	v_fma_f64 v[41:42], v[13:14], v[41:42], v[45:46]
	ds_read_b128 v[11:14], v64 offset:1248
	v_add_f64 v[15:16], v[15:16], v[53:54]
	v_add_f64 v[17:18], v[17:18], v[31:32]
	s_waitcnt vmcnt(49) lgkmcnt(1)
	v_mul_f64 v[31:32], v[0:1], v[43:44]
	v_mul_f64 v[43:44], v[2:3], v[43:44]
	s_waitcnt vmcnt(48)
	v_fma_f64 v[45:46], v[7:8], v[61:62], -v[55:56]
	v_add_f64 v[15:16], v[15:16], v[37:38]
	v_fma_f64 v[37:38], v[9:10], v[61:62], v[47:48]
	v_add_f64 v[17:18], v[17:18], v[41:42]
	s_clause 0x3
	buffer_load_dword v41, off, s[0:3], 0 offset:16
	buffer_load_dword v42, off, s[0:3], 0 offset:20
	;; [unrolled: 1-line block ×4, first 2 shown]
	ds_read_b128 v[7:10], v64 offset:1264
	s_waitcnt vmcnt(51) lgkmcnt(1)
	v_mul_f64 v[55:56], v[13:14], v[81:82]
	v_mul_f64 v[53:54], v[11:12], v[81:82]
	s_waitcnt vmcnt(49)
	v_fma_f64 v[43:44], v[0:1], v[49:50], -v[43:44]
	v_fma_f64 v[31:32], v[2:3], v[49:50], v[31:32]
	ds_read_b128 v[0:3], v64 offset:1280
	v_add_f64 v[15:16], v[15:16], v[45:46]
	v_add_f64 v[17:18], v[17:18], v[37:38]
	s_waitcnt vmcnt(45) lgkmcnt(1)
	v_mul_f64 v[45:46], v[9:10], v[51:52]
	s_waitcnt vmcnt(44)
	v_fma_f64 v[49:50], v[11:12], v[85:86], -v[55:56]
	v_mul_f64 v[37:38], v[7:8], v[51:52]
	v_add_f64 v[15:16], v[15:16], v[43:44]
	v_fma_f64 v[43:44], v[13:14], v[85:86], v[53:54]
	v_add_f64 v[17:18], v[17:18], v[31:32]
	ds_read_b128 v[11:14], v64 offset:1296
	s_waitcnt vmcnt(43) lgkmcnt(1)
	v_mul_f64 v[51:52], v[2:3], v[71:72]
	v_mul_f64 v[31:32], v[0:1], v[71:72]
	s_waitcnt vmcnt(41)
	v_fma_f64 v[45:46], v[7:8], v[57:58], -v[45:46]
	v_fma_f64 v[37:38], v[9:10], v[57:58], v[37:38]
	ds_read_b128 v[7:10], v64 offset:1312
	v_add_f64 v[15:16], v[15:16], v[49:50]
	v_add_f64 v[17:18], v[17:18], v[43:44]
	s_waitcnt vmcnt(37) lgkmcnt(1)
	v_mul_f64 v[49:50], v[13:14], v[77:78]
	s_waitcnt vmcnt(36)
	v_fma_f64 v[51:52], v[0:1], v[90:91], -v[51:52]
	v_mul_f64 v[43:44], v[11:12], v[77:78]
	v_fma_f64 v[31:32], v[2:3], v[90:91], v[31:32]
	ds_read_b128 v[0:3], v64 offset:1328
	v_add_f64 v[15:16], v[15:16], v[45:46]
	v_add_f64 v[17:18], v[17:18], v[37:38]
	s_waitcnt vmcnt(35) lgkmcnt(1)
	v_mul_f64 v[45:46], v[9:10], v[83:84]
	v_mul_f64 v[37:38], v[7:8], v[83:84]
	s_waitcnt vmcnt(33)
	v_fma_f64 v[49:50], v[11:12], v[21:22], -v[49:50]
	v_fma_f64 v[21:22], v[13:14], v[21:22], v[43:44]
	ds_read_b128 v[11:14], v64 offset:1344
	v_add_f64 v[15:16], v[15:16], v[51:52]
	v_add_f64 v[17:18], v[17:18], v[31:32]
	s_waitcnt vmcnt(29) lgkmcnt(1)
	v_mul_f64 v[31:32], v[0:1], v[27:28]
	v_mul_f64 v[27:28], v[2:3], v[27:28]
	s_waitcnt vmcnt(28)
	v_fma_f64 v[43:44], v[7:8], v[87:88], -v[45:46]
	;; [unrolled: 9-line block ×3, first 2 shown]
	v_fma_f64 v[23:24], v[2:3], v[23:24], v[31:32]
	ds_read_b128 v[0:3], v64 offset:1376
	v_add_f64 v[15:16], v[15:16], v[43:44]
	v_add_f64 v[17:18], v[17:18], v[37:38]
	s_waitcnt vmcnt(21) lgkmcnt(1)
	v_mul_f64 v[37:38], v[9:10], v[65:66]
	s_waitcnt vmcnt(20)
	v_fma_f64 v[43:44], v[11:12], v[181:182], -v[45:46]
	v_mul_f64 v[31:32], v[7:8], v[65:66]
	v_fma_f64 v[21:22], v[13:14], v[181:182], v[21:22]
	ds_read_b128 v[11:14], v64 offset:1392
	v_add_f64 v[15:16], v[15:16], v[27:28]
	v_add_f64 v[17:18], v[17:18], v[23:24]
	s_waitcnt vmcnt(19) lgkmcnt(1)
	v_mul_f64 v[27:28], v[2:3], v[67:68]
	v_mul_f64 v[23:24], v[0:1], v[67:68]
	s_waitcnt vmcnt(17)
	v_fma_f64 v[37:38], v[7:8], v[29:30], -v[37:38]
	v_fma_f64 v[29:30], v[9:10], v[29:30], v[31:32]
	ds_read_b128 v[7:10], v64 offset:1408
	v_add_f64 v[15:16], v[15:16], v[43:44]
	v_add_f64 v[17:18], v[17:18], v[21:22]
	s_waitcnt vmcnt(13) lgkmcnt(1)
	v_mul_f64 v[21:22], v[11:12], v[19:20]
	v_mul_f64 v[19:20], v[13:14], v[19:20]
	s_waitcnt vmcnt(12)
	v_fma_f64 v[27:28], v[0:1], v[79:80], -v[27:28]
	;; [unrolled: 9-line block ×3, first 2 shown]
	v_fma_f64 v[13:14], v[13:14], v[35:36], v[21:22]
	v_add_f64 v[15:16], v[15:16], v[27:28]
	v_add_f64 v[17:18], v[17:18], v[23:24]
	s_waitcnt vmcnt(7) lgkmcnt(0)
	v_mul_f64 v[21:22], v[2:3], v[25:26]
	s_waitcnt vmcnt(6)
	v_fma_f64 v[7:8], v[7:8], v[75:76], -v[31:32]
	v_mul_f64 v[19:20], v[0:1], v[25:26]
	v_fma_f64 v[9:10], v[9:10], v[75:76], v[29:30]
	v_add_f64 v[11:12], v[15:16], v[11:12]
	v_add_f64 v[13:14], v[17:18], v[13:14]
	s_waitcnt vmcnt(4)
	v_fma_f64 v[0:1], v[0:1], v[33:34], -v[21:22]
	v_fma_f64 v[2:3], v[2:3], v[33:34], v[19:20]
	v_add_f64 v[7:8], v[11:12], v[7:8]
	v_add_f64 v[9:10], v[13:14], v[9:10]
	;; [unrolled: 1-line block ×4, first 2 shown]
	s_waitcnt vmcnt(2)
	v_add_f64 v[0:1], v[41:42], -v[0:1]
	s_waitcnt vmcnt(0)
	v_add_f64 v[2:3], v[47:48], -v[2:3]
	buffer_store_dword v1, off, s[0:3], 0 offset:20
	buffer_store_dword v0, off, s[0:3], 0 offset:16
	;; [unrolled: 1-line block ×4, first 2 shown]
	s_cbranch_vccz .LBB44_372
; %bb.284:
	v_mov_b32_e32 v0, 0
	global_load_dword v1, v0, s[20:21] offset:172
	s_waitcnt vmcnt(0)
	v_add_nc_u32_e32 v1, -1, v1
	v_cmp_ne_u32_e32 vcc_lo, 43, v1
	s_cbranch_vccz .LBB44_286
; %bb.285:
	v_lshlrev_b32_e32 v1, 4, v1
	v_mov_b32_e32 v2, s9
	v_add_nc_u32_e32 v1, 16, v1
	s_clause 0x7
	buffer_load_dword v3, v1, s[0:3], 0 offen
	buffer_load_dword v4, v1, s[0:3], 0 offen offset:4
	buffer_load_dword v7, v1, s[0:3], 0 offen offset:8
	;; [unrolled: 1-line block ×6, first 2 shown]
	buffer_load_dword v12, v2, s[0:3], 0 offen
	s_waitcnt vmcnt(7)
	buffer_store_dword v3, v2, s[0:3], 0 offen
	s_waitcnt vmcnt(6)
	buffer_store_dword v4, v2, s[0:3], 0 offen offset:4
	s_waitcnt vmcnt(5)
	buffer_store_dword v7, v2, s[0:3], 0 offen offset:8
	s_waitcnt vmcnt(4)
	buffer_store_dword v8, v2, s[0:3], 0 offen offset:12
	s_waitcnt vmcnt(3)
	buffer_store_dword v9, v1, s[0:3], 0 offen offset:12
	s_waitcnt vmcnt(2)
	buffer_store_dword v10, v1, s[0:3], 0 offen offset:8
	s_waitcnt vmcnt(1)
	buffer_store_dword v11, v1, s[0:3], 0 offen offset:4
	s_waitcnt vmcnt(0)
	buffer_store_dword v12, v1, s[0:3], 0 offen
.LBB44_286:
	global_load_dword v0, v0, s[20:21] offset:168
	s_waitcnt vmcnt(0)
	v_add_nc_u32_e32 v0, -1, v0
	v_cmp_eq_u32_e32 vcc_lo, 42, v0
	s_cbranch_vccnz .LBB44_288
; %bb.287:
	v_lshlrev_b32_e32 v0, 4, v0
	v_mov_b32_e32 v1, s12
	v_add_nc_u32_e32 v0, 16, v0
	s_clause 0x7
	buffer_load_dword v2, v0, s[0:3], 0 offen
	buffer_load_dword v3, v0, s[0:3], 0 offen offset:4
	buffer_load_dword v4, v0, s[0:3], 0 offen offset:8
	;; [unrolled: 1-line block ×6, first 2 shown]
	buffer_load_dword v11, v1, s[0:3], 0 offen
	s_waitcnt vmcnt(7)
	buffer_store_dword v2, v1, s[0:3], 0 offen
	s_waitcnt vmcnt(6)
	buffer_store_dword v3, v1, s[0:3], 0 offen offset:4
	s_waitcnt vmcnt(5)
	buffer_store_dword v4, v1, s[0:3], 0 offen offset:8
	;; [unrolled: 2-line block ×6, first 2 shown]
	s_waitcnt vmcnt(0)
	buffer_store_dword v11, v0, s[0:3], 0 offen
.LBB44_288:
	v_mov_b32_e32 v0, 0
	global_load_dword v1, v0, s[20:21] offset:164
	s_waitcnt vmcnt(0)
	v_add_nc_u32_e32 v1, -1, v1
	v_cmp_eq_u32_e32 vcc_lo, 41, v1
	s_cbranch_vccnz .LBB44_290
; %bb.289:
	v_lshlrev_b32_e32 v1, 4, v1
	v_mov_b32_e32 v2, s13
	v_add_nc_u32_e32 v1, 16, v1
	s_clause 0x7
	buffer_load_dword v3, v1, s[0:3], 0 offen
	buffer_load_dword v4, v1, s[0:3], 0 offen offset:4
	buffer_load_dword v7, v1, s[0:3], 0 offen offset:8
	;; [unrolled: 1-line block ×6, first 2 shown]
	buffer_load_dword v12, v2, s[0:3], 0 offen
	s_waitcnt vmcnt(7)
	buffer_store_dword v3, v2, s[0:3], 0 offen
	s_waitcnt vmcnt(6)
	buffer_store_dword v4, v2, s[0:3], 0 offen offset:4
	s_waitcnt vmcnt(5)
	buffer_store_dword v7, v2, s[0:3], 0 offen offset:8
	;; [unrolled: 2-line block ×6, first 2 shown]
	s_waitcnt vmcnt(0)
	buffer_store_dword v12, v1, s[0:3], 0 offen
.LBB44_290:
	global_load_dword v0, v0, s[20:21] offset:160
	s_waitcnt vmcnt(0)
	v_add_nc_u32_e32 v0, -1, v0
	v_cmp_eq_u32_e32 vcc_lo, 40, v0
	s_cbranch_vccnz .LBB44_292
; %bb.291:
	v_lshlrev_b32_e32 v0, 4, v0
	v_mov_b32_e32 v1, s14
	v_add_nc_u32_e32 v0, 16, v0
	s_clause 0x7
	buffer_load_dword v2, v0, s[0:3], 0 offen
	buffer_load_dword v3, v0, s[0:3], 0 offen offset:4
	buffer_load_dword v4, v0, s[0:3], 0 offen offset:8
	;; [unrolled: 1-line block ×6, first 2 shown]
	buffer_load_dword v11, v1, s[0:3], 0 offen
	s_waitcnt vmcnt(7)
	buffer_store_dword v2, v1, s[0:3], 0 offen
	s_waitcnt vmcnt(6)
	buffer_store_dword v3, v1, s[0:3], 0 offen offset:4
	s_waitcnt vmcnt(5)
	buffer_store_dword v4, v1, s[0:3], 0 offen offset:8
	;; [unrolled: 2-line block ×6, first 2 shown]
	s_waitcnt vmcnt(0)
	buffer_store_dword v11, v0, s[0:3], 0 offen
.LBB44_292:
	v_mov_b32_e32 v0, 0
	global_load_dword v1, v0, s[20:21] offset:156
	s_waitcnt vmcnt(0)
	v_add_nc_u32_e32 v1, -1, v1
	v_cmp_eq_u32_e32 vcc_lo, 39, v1
	s_cbranch_vccnz .LBB44_294
; %bb.293:
	v_lshlrev_b32_e32 v1, 4, v1
	v_mov_b32_e32 v2, s15
	v_add_nc_u32_e32 v1, 16, v1
	s_clause 0x7
	buffer_load_dword v3, v1, s[0:3], 0 offen
	buffer_load_dword v4, v1, s[0:3], 0 offen offset:4
	buffer_load_dword v7, v1, s[0:3], 0 offen offset:8
	;; [unrolled: 1-line block ×6, first 2 shown]
	buffer_load_dword v12, v2, s[0:3], 0 offen
	s_waitcnt vmcnt(7)
	buffer_store_dword v3, v2, s[0:3], 0 offen
	s_waitcnt vmcnt(6)
	buffer_store_dword v4, v2, s[0:3], 0 offen offset:4
	s_waitcnt vmcnt(5)
	buffer_store_dword v7, v2, s[0:3], 0 offen offset:8
	;; [unrolled: 2-line block ×6, first 2 shown]
	s_waitcnt vmcnt(0)
	buffer_store_dword v12, v1, s[0:3], 0 offen
.LBB44_294:
	global_load_dword v0, v0, s[20:21] offset:152
	s_waitcnt vmcnt(0)
	v_add_nc_u32_e32 v0, -1, v0
	v_cmp_eq_u32_e32 vcc_lo, 38, v0
	s_cbranch_vccnz .LBB44_296
; %bb.295:
	v_lshlrev_b32_e32 v0, 4, v0
	v_mov_b32_e32 v1, s16
	v_add_nc_u32_e32 v0, 16, v0
	s_clause 0x7
	buffer_load_dword v2, v0, s[0:3], 0 offen
	buffer_load_dword v3, v0, s[0:3], 0 offen offset:4
	buffer_load_dword v4, v0, s[0:3], 0 offen offset:8
	;; [unrolled: 1-line block ×6, first 2 shown]
	buffer_load_dword v11, v1, s[0:3], 0 offen
	s_waitcnt vmcnt(7)
	buffer_store_dword v2, v1, s[0:3], 0 offen
	s_waitcnt vmcnt(6)
	buffer_store_dword v3, v1, s[0:3], 0 offen offset:4
	s_waitcnt vmcnt(5)
	buffer_store_dword v4, v1, s[0:3], 0 offen offset:8
	;; [unrolled: 2-line block ×6, first 2 shown]
	s_waitcnt vmcnt(0)
	buffer_store_dword v11, v0, s[0:3], 0 offen
.LBB44_296:
	v_mov_b32_e32 v0, 0
	global_load_dword v1, v0, s[20:21] offset:148
	s_waitcnt vmcnt(0)
	v_add_nc_u32_e32 v1, -1, v1
	v_cmp_eq_u32_e32 vcc_lo, 37, v1
	s_cbranch_vccnz .LBB44_298
; %bb.297:
	v_lshlrev_b32_e32 v1, 4, v1
	v_mov_b32_e32 v2, s17
	v_add_nc_u32_e32 v1, 16, v1
	s_clause 0x7
	buffer_load_dword v3, v1, s[0:3], 0 offen
	buffer_load_dword v4, v1, s[0:3], 0 offen offset:4
	buffer_load_dword v7, v1, s[0:3], 0 offen offset:8
	;; [unrolled: 1-line block ×6, first 2 shown]
	buffer_load_dword v12, v2, s[0:3], 0 offen
	s_waitcnt vmcnt(7)
	buffer_store_dword v3, v2, s[0:3], 0 offen
	s_waitcnt vmcnt(6)
	buffer_store_dword v4, v2, s[0:3], 0 offen offset:4
	s_waitcnt vmcnt(5)
	buffer_store_dword v7, v2, s[0:3], 0 offen offset:8
	;; [unrolled: 2-line block ×6, first 2 shown]
	s_waitcnt vmcnt(0)
	buffer_store_dword v12, v1, s[0:3], 0 offen
.LBB44_298:
	global_load_dword v0, v0, s[20:21] offset:144
	s_waitcnt vmcnt(0)
	v_add_nc_u32_e32 v0, -1, v0
	v_cmp_eq_u32_e32 vcc_lo, 36, v0
	s_cbranch_vccnz .LBB44_300
; %bb.299:
	v_lshlrev_b32_e32 v0, 4, v0
	v_mov_b32_e32 v1, s18
	v_add_nc_u32_e32 v0, 16, v0
	s_clause 0x7
	buffer_load_dword v2, v0, s[0:3], 0 offen
	buffer_load_dword v3, v0, s[0:3], 0 offen offset:4
	buffer_load_dword v4, v0, s[0:3], 0 offen offset:8
	;; [unrolled: 1-line block ×6, first 2 shown]
	buffer_load_dword v11, v1, s[0:3], 0 offen
	s_waitcnt vmcnt(7)
	buffer_store_dword v2, v1, s[0:3], 0 offen
	s_waitcnt vmcnt(6)
	buffer_store_dword v3, v1, s[0:3], 0 offen offset:4
	s_waitcnt vmcnt(5)
	buffer_store_dword v4, v1, s[0:3], 0 offen offset:8
	;; [unrolled: 2-line block ×6, first 2 shown]
	s_waitcnt vmcnt(0)
	buffer_store_dword v11, v0, s[0:3], 0 offen
.LBB44_300:
	v_mov_b32_e32 v0, 0
	global_load_dword v1, v0, s[20:21] offset:140
	s_waitcnt vmcnt(0)
	v_add_nc_u32_e32 v1, -1, v1
	v_cmp_eq_u32_e32 vcc_lo, 35, v1
	s_cbranch_vccnz .LBB44_302
; %bb.301:
	v_lshlrev_b32_e32 v1, 4, v1
	v_mov_b32_e32 v2, s19
	v_add_nc_u32_e32 v1, 16, v1
	s_clause 0x7
	buffer_load_dword v3, v1, s[0:3], 0 offen
	buffer_load_dword v4, v1, s[0:3], 0 offen offset:4
	buffer_load_dword v7, v1, s[0:3], 0 offen offset:8
	;; [unrolled: 1-line block ×6, first 2 shown]
	buffer_load_dword v12, v2, s[0:3], 0 offen
	s_waitcnt vmcnt(7)
	buffer_store_dword v3, v2, s[0:3], 0 offen
	s_waitcnt vmcnt(6)
	buffer_store_dword v4, v2, s[0:3], 0 offen offset:4
	s_waitcnt vmcnt(5)
	buffer_store_dword v7, v2, s[0:3], 0 offen offset:8
	;; [unrolled: 2-line block ×6, first 2 shown]
	s_waitcnt vmcnt(0)
	buffer_store_dword v12, v1, s[0:3], 0 offen
.LBB44_302:
	global_load_dword v0, v0, s[20:21] offset:136
	s_waitcnt vmcnt(0)
	v_add_nc_u32_e32 v0, -1, v0
	v_cmp_eq_u32_e32 vcc_lo, 34, v0
	s_cbranch_vccnz .LBB44_304
; %bb.303:
	v_lshlrev_b32_e32 v0, 4, v0
	v_mov_b32_e32 v1, s22
	v_add_nc_u32_e32 v0, 16, v0
	s_clause 0x7
	buffer_load_dword v2, v0, s[0:3], 0 offen
	buffer_load_dword v3, v0, s[0:3], 0 offen offset:4
	buffer_load_dword v4, v0, s[0:3], 0 offen offset:8
	;; [unrolled: 1-line block ×6, first 2 shown]
	buffer_load_dword v11, v1, s[0:3], 0 offen
	s_waitcnt vmcnt(7)
	buffer_store_dword v2, v1, s[0:3], 0 offen
	s_waitcnt vmcnt(6)
	buffer_store_dword v3, v1, s[0:3], 0 offen offset:4
	s_waitcnt vmcnt(5)
	buffer_store_dword v4, v1, s[0:3], 0 offen offset:8
	;; [unrolled: 2-line block ×6, first 2 shown]
	s_waitcnt vmcnt(0)
	buffer_store_dword v11, v0, s[0:3], 0 offen
.LBB44_304:
	v_mov_b32_e32 v0, 0
	global_load_dword v1, v0, s[20:21] offset:132
	s_waitcnt vmcnt(0)
	v_add_nc_u32_e32 v1, -1, v1
	v_cmp_eq_u32_e32 vcc_lo, 33, v1
	s_cbranch_vccnz .LBB44_306
; %bb.305:
	v_lshlrev_b32_e32 v1, 4, v1
	v_mov_b32_e32 v2, s23
	v_add_nc_u32_e32 v1, 16, v1
	s_clause 0x7
	buffer_load_dword v3, v1, s[0:3], 0 offen
	buffer_load_dword v4, v1, s[0:3], 0 offen offset:4
	buffer_load_dword v7, v1, s[0:3], 0 offen offset:8
	;; [unrolled: 1-line block ×6, first 2 shown]
	buffer_load_dword v12, v2, s[0:3], 0 offen
	s_waitcnt vmcnt(7)
	buffer_store_dword v3, v2, s[0:3], 0 offen
	s_waitcnt vmcnt(6)
	buffer_store_dword v4, v2, s[0:3], 0 offen offset:4
	s_waitcnt vmcnt(5)
	buffer_store_dword v7, v2, s[0:3], 0 offen offset:8
	;; [unrolled: 2-line block ×6, first 2 shown]
	s_waitcnt vmcnt(0)
	buffer_store_dword v12, v1, s[0:3], 0 offen
.LBB44_306:
	global_load_dword v0, v0, s[20:21] offset:128
	s_waitcnt vmcnt(0)
	v_add_nc_u32_e32 v0, -1, v0
	v_cmp_eq_u32_e32 vcc_lo, 32, v0
	s_cbranch_vccnz .LBB44_308
; %bb.307:
	v_lshlrev_b32_e32 v0, 4, v0
	v_mov_b32_e32 v1, s24
	v_add_nc_u32_e32 v0, 16, v0
	s_clause 0x7
	buffer_load_dword v2, v0, s[0:3], 0 offen
	buffer_load_dword v3, v0, s[0:3], 0 offen offset:4
	buffer_load_dword v4, v0, s[0:3], 0 offen offset:8
	buffer_load_dword v7, v0, s[0:3], 0 offen offset:12
	buffer_load_dword v8, v1, s[0:3], 0 offen offset:12
	buffer_load_dword v9, v1, s[0:3], 0 offen offset:8
	buffer_load_dword v10, v1, s[0:3], 0 offen offset:4
	buffer_load_dword v11, v1, s[0:3], 0 offen
	s_waitcnt vmcnt(7)
	buffer_store_dword v2, v1, s[0:3], 0 offen
	s_waitcnt vmcnt(6)
	buffer_store_dword v3, v1, s[0:3], 0 offen offset:4
	s_waitcnt vmcnt(5)
	buffer_store_dword v4, v1, s[0:3], 0 offen offset:8
	;; [unrolled: 2-line block ×6, first 2 shown]
	s_waitcnt vmcnt(0)
	buffer_store_dword v11, v0, s[0:3], 0 offen
.LBB44_308:
	v_mov_b32_e32 v0, 0
	global_load_dword v1, v0, s[20:21] offset:124
	s_waitcnt vmcnt(0)
	v_add_nc_u32_e32 v1, -1, v1
	v_cmp_eq_u32_e32 vcc_lo, 31, v1
	s_cbranch_vccnz .LBB44_310
; %bb.309:
	v_lshlrev_b32_e32 v1, 4, v1
	v_mov_b32_e32 v2, s25
	v_add_nc_u32_e32 v1, 16, v1
	s_clause 0x7
	buffer_load_dword v3, v1, s[0:3], 0 offen
	buffer_load_dword v4, v1, s[0:3], 0 offen offset:4
	buffer_load_dword v7, v1, s[0:3], 0 offen offset:8
	;; [unrolled: 1-line block ×6, first 2 shown]
	buffer_load_dword v12, v2, s[0:3], 0 offen
	s_waitcnt vmcnt(7)
	buffer_store_dword v3, v2, s[0:3], 0 offen
	s_waitcnt vmcnt(6)
	buffer_store_dword v4, v2, s[0:3], 0 offen offset:4
	s_waitcnt vmcnt(5)
	buffer_store_dword v7, v2, s[0:3], 0 offen offset:8
	;; [unrolled: 2-line block ×6, first 2 shown]
	s_waitcnt vmcnt(0)
	buffer_store_dword v12, v1, s[0:3], 0 offen
.LBB44_310:
	global_load_dword v0, v0, s[20:21] offset:120
	s_waitcnt vmcnt(0)
	v_add_nc_u32_e32 v0, -1, v0
	v_cmp_eq_u32_e32 vcc_lo, 30, v0
	s_cbranch_vccnz .LBB44_312
; %bb.311:
	v_lshlrev_b32_e32 v0, 4, v0
	v_mov_b32_e32 v1, s26
	v_add_nc_u32_e32 v0, 16, v0
	s_clause 0x7
	buffer_load_dword v2, v0, s[0:3], 0 offen
	buffer_load_dword v3, v0, s[0:3], 0 offen offset:4
	buffer_load_dword v4, v0, s[0:3], 0 offen offset:8
	;; [unrolled: 1-line block ×6, first 2 shown]
	buffer_load_dword v11, v1, s[0:3], 0 offen
	s_waitcnt vmcnt(7)
	buffer_store_dword v2, v1, s[0:3], 0 offen
	s_waitcnt vmcnt(6)
	buffer_store_dword v3, v1, s[0:3], 0 offen offset:4
	s_waitcnt vmcnt(5)
	buffer_store_dword v4, v1, s[0:3], 0 offen offset:8
	s_waitcnt vmcnt(4)
	buffer_store_dword v7, v1, s[0:3], 0 offen offset:12
	s_waitcnt vmcnt(3)
	buffer_store_dword v8, v0, s[0:3], 0 offen offset:12
	s_waitcnt vmcnt(2)
	buffer_store_dword v9, v0, s[0:3], 0 offen offset:8
	s_waitcnt vmcnt(1)
	buffer_store_dword v10, v0, s[0:3], 0 offen offset:4
	s_waitcnt vmcnt(0)
	buffer_store_dword v11, v0, s[0:3], 0 offen
.LBB44_312:
	v_mov_b32_e32 v0, 0
	global_load_dword v1, v0, s[20:21] offset:116
	s_waitcnt vmcnt(0)
	v_add_nc_u32_e32 v1, -1, v1
	v_cmp_eq_u32_e32 vcc_lo, 29, v1
	s_cbranch_vccnz .LBB44_314
; %bb.313:
	v_lshlrev_b32_e32 v1, 4, v1
	v_mov_b32_e32 v2, s27
	v_add_nc_u32_e32 v1, 16, v1
	s_clause 0x7
	buffer_load_dword v3, v1, s[0:3], 0 offen
	buffer_load_dword v4, v1, s[0:3], 0 offen offset:4
	buffer_load_dword v7, v1, s[0:3], 0 offen offset:8
	;; [unrolled: 1-line block ×6, first 2 shown]
	buffer_load_dword v12, v2, s[0:3], 0 offen
	s_waitcnt vmcnt(7)
	buffer_store_dword v3, v2, s[0:3], 0 offen
	s_waitcnt vmcnt(6)
	buffer_store_dword v4, v2, s[0:3], 0 offen offset:4
	s_waitcnt vmcnt(5)
	buffer_store_dword v7, v2, s[0:3], 0 offen offset:8
	;; [unrolled: 2-line block ×6, first 2 shown]
	s_waitcnt vmcnt(0)
	buffer_store_dword v12, v1, s[0:3], 0 offen
.LBB44_314:
	global_load_dword v0, v0, s[20:21] offset:112
	s_waitcnt vmcnt(0)
	v_add_nc_u32_e32 v0, -1, v0
	v_cmp_eq_u32_e32 vcc_lo, 28, v0
	s_cbranch_vccnz .LBB44_316
; %bb.315:
	v_lshlrev_b32_e32 v0, 4, v0
	v_mov_b32_e32 v1, s28
	v_add_nc_u32_e32 v0, 16, v0
	s_clause 0x7
	buffer_load_dword v2, v0, s[0:3], 0 offen
	buffer_load_dword v3, v0, s[0:3], 0 offen offset:4
	buffer_load_dword v4, v0, s[0:3], 0 offen offset:8
	buffer_load_dword v7, v0, s[0:3], 0 offen offset:12
	buffer_load_dword v8, v1, s[0:3], 0 offen offset:12
	buffer_load_dword v9, v1, s[0:3], 0 offen offset:8
	buffer_load_dword v10, v1, s[0:3], 0 offen offset:4
	buffer_load_dword v11, v1, s[0:3], 0 offen
	s_waitcnt vmcnt(7)
	buffer_store_dword v2, v1, s[0:3], 0 offen
	s_waitcnt vmcnt(6)
	buffer_store_dword v3, v1, s[0:3], 0 offen offset:4
	s_waitcnt vmcnt(5)
	buffer_store_dword v4, v1, s[0:3], 0 offen offset:8
	;; [unrolled: 2-line block ×6, first 2 shown]
	s_waitcnt vmcnt(0)
	buffer_store_dword v11, v0, s[0:3], 0 offen
.LBB44_316:
	v_mov_b32_e32 v0, 0
	global_load_dword v1, v0, s[20:21] offset:108
	s_waitcnt vmcnt(0)
	v_add_nc_u32_e32 v1, -1, v1
	v_cmp_eq_u32_e32 vcc_lo, 27, v1
	s_cbranch_vccnz .LBB44_318
; %bb.317:
	v_lshlrev_b32_e32 v1, 4, v1
	v_mov_b32_e32 v2, s29
	v_add_nc_u32_e32 v1, 16, v1
	s_clause 0x7
	buffer_load_dword v3, v1, s[0:3], 0 offen
	buffer_load_dword v4, v1, s[0:3], 0 offen offset:4
	buffer_load_dword v7, v1, s[0:3], 0 offen offset:8
	;; [unrolled: 1-line block ×6, first 2 shown]
	buffer_load_dword v12, v2, s[0:3], 0 offen
	s_waitcnt vmcnt(7)
	buffer_store_dword v3, v2, s[0:3], 0 offen
	s_waitcnt vmcnt(6)
	buffer_store_dword v4, v2, s[0:3], 0 offen offset:4
	s_waitcnt vmcnt(5)
	buffer_store_dword v7, v2, s[0:3], 0 offen offset:8
	;; [unrolled: 2-line block ×6, first 2 shown]
	s_waitcnt vmcnt(0)
	buffer_store_dword v12, v1, s[0:3], 0 offen
.LBB44_318:
	global_load_dword v0, v0, s[20:21] offset:104
	s_waitcnt vmcnt(0)
	v_add_nc_u32_e32 v0, -1, v0
	v_cmp_eq_u32_e32 vcc_lo, 26, v0
	s_cbranch_vccnz .LBB44_320
; %bb.319:
	v_lshlrev_b32_e32 v0, 4, v0
	v_mov_b32_e32 v1, s30
	v_add_nc_u32_e32 v0, 16, v0
	s_clause 0x7
	buffer_load_dword v2, v0, s[0:3], 0 offen
	buffer_load_dword v3, v0, s[0:3], 0 offen offset:4
	buffer_load_dword v4, v0, s[0:3], 0 offen offset:8
	;; [unrolled: 1-line block ×6, first 2 shown]
	buffer_load_dword v11, v1, s[0:3], 0 offen
	s_waitcnt vmcnt(7)
	buffer_store_dword v2, v1, s[0:3], 0 offen
	s_waitcnt vmcnt(6)
	buffer_store_dword v3, v1, s[0:3], 0 offen offset:4
	s_waitcnt vmcnt(5)
	buffer_store_dword v4, v1, s[0:3], 0 offen offset:8
	;; [unrolled: 2-line block ×6, first 2 shown]
	s_waitcnt vmcnt(0)
	buffer_store_dword v11, v0, s[0:3], 0 offen
.LBB44_320:
	v_mov_b32_e32 v0, 0
	global_load_dword v1, v0, s[20:21] offset:100
	s_waitcnt vmcnt(0)
	v_add_nc_u32_e32 v1, -1, v1
	v_cmp_eq_u32_e32 vcc_lo, 25, v1
	s_cbranch_vccnz .LBB44_322
; %bb.321:
	v_lshlrev_b32_e32 v1, 4, v1
	v_mov_b32_e32 v2, s31
	v_add_nc_u32_e32 v1, 16, v1
	s_clause 0x7
	buffer_load_dword v3, v1, s[0:3], 0 offen
	buffer_load_dword v4, v1, s[0:3], 0 offen offset:4
	buffer_load_dword v7, v1, s[0:3], 0 offen offset:8
	;; [unrolled: 1-line block ×6, first 2 shown]
	buffer_load_dword v12, v2, s[0:3], 0 offen
	s_waitcnt vmcnt(7)
	buffer_store_dword v3, v2, s[0:3], 0 offen
	s_waitcnt vmcnt(6)
	buffer_store_dword v4, v2, s[0:3], 0 offen offset:4
	s_waitcnt vmcnt(5)
	buffer_store_dword v7, v2, s[0:3], 0 offen offset:8
	;; [unrolled: 2-line block ×6, first 2 shown]
	s_waitcnt vmcnt(0)
	buffer_store_dword v12, v1, s[0:3], 0 offen
.LBB44_322:
	global_load_dword v0, v0, s[20:21] offset:96
	s_waitcnt vmcnt(0)
	v_add_nc_u32_e32 v0, -1, v0
	v_cmp_eq_u32_e32 vcc_lo, 24, v0
	s_cbranch_vccnz .LBB44_324
; %bb.323:
	v_lshlrev_b32_e32 v0, 4, v0
	v_mov_b32_e32 v1, s33
	v_add_nc_u32_e32 v0, 16, v0
	s_clause 0x7
	buffer_load_dword v2, v0, s[0:3], 0 offen
	buffer_load_dword v3, v0, s[0:3], 0 offen offset:4
	buffer_load_dword v4, v0, s[0:3], 0 offen offset:8
	;; [unrolled: 1-line block ×6, first 2 shown]
	buffer_load_dword v11, v1, s[0:3], 0 offen
	s_waitcnt vmcnt(7)
	buffer_store_dword v2, v1, s[0:3], 0 offen
	s_waitcnt vmcnt(6)
	buffer_store_dword v3, v1, s[0:3], 0 offen offset:4
	s_waitcnt vmcnt(5)
	buffer_store_dword v4, v1, s[0:3], 0 offen offset:8
	;; [unrolled: 2-line block ×6, first 2 shown]
	s_waitcnt vmcnt(0)
	buffer_store_dword v11, v0, s[0:3], 0 offen
.LBB44_324:
	v_mov_b32_e32 v0, 0
	global_load_dword v1, v0, s[20:21] offset:92
	s_waitcnt vmcnt(0)
	v_add_nc_u32_e32 v1, -1, v1
	v_cmp_eq_u32_e32 vcc_lo, 23, v1
	s_cbranch_vccnz .LBB44_326
; %bb.325:
	v_lshlrev_b32_e32 v1, 4, v1
	v_mov_b32_e32 v2, s34
	v_add_nc_u32_e32 v1, 16, v1
	s_clause 0x7
	buffer_load_dword v3, v1, s[0:3], 0 offen
	buffer_load_dword v4, v1, s[0:3], 0 offen offset:4
	buffer_load_dword v7, v1, s[0:3], 0 offen offset:8
	;; [unrolled: 1-line block ×6, first 2 shown]
	buffer_load_dword v12, v2, s[0:3], 0 offen
	s_waitcnt vmcnt(7)
	buffer_store_dword v3, v2, s[0:3], 0 offen
	s_waitcnt vmcnt(6)
	buffer_store_dword v4, v2, s[0:3], 0 offen offset:4
	s_waitcnt vmcnt(5)
	buffer_store_dword v7, v2, s[0:3], 0 offen offset:8
	;; [unrolled: 2-line block ×6, first 2 shown]
	s_waitcnt vmcnt(0)
	buffer_store_dword v12, v1, s[0:3], 0 offen
.LBB44_326:
	global_load_dword v0, v0, s[20:21] offset:88
	s_waitcnt vmcnt(0)
	v_add_nc_u32_e32 v0, -1, v0
	v_cmp_eq_u32_e32 vcc_lo, 22, v0
	s_cbranch_vccnz .LBB44_328
; %bb.327:
	v_lshlrev_b32_e32 v0, 4, v0
	v_mov_b32_e32 v1, s36
	v_add_nc_u32_e32 v0, 16, v0
	s_clause 0x7
	buffer_load_dword v2, v0, s[0:3], 0 offen
	buffer_load_dword v3, v0, s[0:3], 0 offen offset:4
	buffer_load_dword v4, v0, s[0:3], 0 offen offset:8
	;; [unrolled: 1-line block ×6, first 2 shown]
	buffer_load_dword v11, v1, s[0:3], 0 offen
	s_waitcnt vmcnt(7)
	buffer_store_dword v2, v1, s[0:3], 0 offen
	s_waitcnt vmcnt(6)
	buffer_store_dword v3, v1, s[0:3], 0 offen offset:4
	s_waitcnt vmcnt(5)
	buffer_store_dword v4, v1, s[0:3], 0 offen offset:8
	;; [unrolled: 2-line block ×6, first 2 shown]
	s_waitcnt vmcnt(0)
	buffer_store_dword v11, v0, s[0:3], 0 offen
.LBB44_328:
	v_mov_b32_e32 v0, 0
	global_load_dword v1, v0, s[20:21] offset:84
	s_waitcnt vmcnt(0)
	v_add_nc_u32_e32 v1, -1, v1
	v_cmp_eq_u32_e32 vcc_lo, 21, v1
	s_cbranch_vccnz .LBB44_330
; %bb.329:
	v_lshlrev_b32_e32 v1, 4, v1
	v_mov_b32_e32 v2, s38
	v_add_nc_u32_e32 v1, 16, v1
	s_clause 0x7
	buffer_load_dword v3, v1, s[0:3], 0 offen
	buffer_load_dword v4, v1, s[0:3], 0 offen offset:4
	buffer_load_dword v7, v1, s[0:3], 0 offen offset:8
	;; [unrolled: 1-line block ×6, first 2 shown]
	buffer_load_dword v12, v2, s[0:3], 0 offen
	s_waitcnt vmcnt(7)
	buffer_store_dword v3, v2, s[0:3], 0 offen
	s_waitcnt vmcnt(6)
	buffer_store_dword v4, v2, s[0:3], 0 offen offset:4
	s_waitcnt vmcnt(5)
	buffer_store_dword v7, v2, s[0:3], 0 offen offset:8
	s_waitcnt vmcnt(4)
	buffer_store_dword v8, v2, s[0:3], 0 offen offset:12
	s_waitcnt vmcnt(3)
	buffer_store_dword v9, v1, s[0:3], 0 offen offset:12
	s_waitcnt vmcnt(2)
	buffer_store_dword v10, v1, s[0:3], 0 offen offset:8
	s_waitcnt vmcnt(1)
	buffer_store_dword v11, v1, s[0:3], 0 offen offset:4
	s_waitcnt vmcnt(0)
	buffer_store_dword v12, v1, s[0:3], 0 offen
.LBB44_330:
	global_load_dword v0, v0, s[20:21] offset:80
	s_waitcnt vmcnt(0)
	v_add_nc_u32_e32 v0, -1, v0
	v_cmp_eq_u32_e32 vcc_lo, 20, v0
	s_cbranch_vccnz .LBB44_332
; %bb.331:
	v_lshlrev_b32_e32 v0, 4, v0
	v_mov_b32_e32 v1, s40
	v_add_nc_u32_e32 v0, 16, v0
	s_clause 0x7
	buffer_load_dword v2, v0, s[0:3], 0 offen
	buffer_load_dword v3, v0, s[0:3], 0 offen offset:4
	buffer_load_dword v4, v0, s[0:3], 0 offen offset:8
	;; [unrolled: 1-line block ×6, first 2 shown]
	buffer_load_dword v11, v1, s[0:3], 0 offen
	s_waitcnt vmcnt(7)
	buffer_store_dword v2, v1, s[0:3], 0 offen
	s_waitcnt vmcnt(6)
	buffer_store_dword v3, v1, s[0:3], 0 offen offset:4
	s_waitcnt vmcnt(5)
	buffer_store_dword v4, v1, s[0:3], 0 offen offset:8
	;; [unrolled: 2-line block ×6, first 2 shown]
	s_waitcnt vmcnt(0)
	buffer_store_dword v11, v0, s[0:3], 0 offen
.LBB44_332:
	v_mov_b32_e32 v0, 0
	global_load_dword v1, v0, s[20:21] offset:76
	s_waitcnt vmcnt(0)
	v_add_nc_u32_e32 v1, -1, v1
	v_cmp_eq_u32_e32 vcc_lo, 19, v1
	s_cbranch_vccnz .LBB44_334
; %bb.333:
	v_lshlrev_b32_e32 v1, 4, v1
	v_mov_b32_e32 v2, s42
	v_add_nc_u32_e32 v1, 16, v1
	s_clause 0x7
	buffer_load_dword v3, v1, s[0:3], 0 offen
	buffer_load_dword v4, v1, s[0:3], 0 offen offset:4
	buffer_load_dword v7, v1, s[0:3], 0 offen offset:8
	;; [unrolled: 1-line block ×6, first 2 shown]
	buffer_load_dword v12, v2, s[0:3], 0 offen
	s_waitcnt vmcnt(7)
	buffer_store_dword v3, v2, s[0:3], 0 offen
	s_waitcnt vmcnt(6)
	buffer_store_dword v4, v2, s[0:3], 0 offen offset:4
	s_waitcnt vmcnt(5)
	buffer_store_dword v7, v2, s[0:3], 0 offen offset:8
	;; [unrolled: 2-line block ×6, first 2 shown]
	s_waitcnt vmcnt(0)
	buffer_store_dword v12, v1, s[0:3], 0 offen
.LBB44_334:
	global_load_dword v0, v0, s[20:21] offset:72
	s_waitcnt vmcnt(0)
	v_add_nc_u32_e32 v0, -1, v0
	v_cmp_eq_u32_e32 vcc_lo, 18, v0
	s_cbranch_vccnz .LBB44_336
; %bb.335:
	v_lshlrev_b32_e32 v0, 4, v0
	v_mov_b32_e32 v1, s44
	v_add_nc_u32_e32 v0, 16, v0
	s_clause 0x7
	buffer_load_dword v2, v0, s[0:3], 0 offen
	buffer_load_dword v3, v0, s[0:3], 0 offen offset:4
	buffer_load_dword v4, v0, s[0:3], 0 offen offset:8
	;; [unrolled: 1-line block ×6, first 2 shown]
	buffer_load_dword v11, v1, s[0:3], 0 offen
	s_waitcnt vmcnt(7)
	buffer_store_dword v2, v1, s[0:3], 0 offen
	s_waitcnt vmcnt(6)
	buffer_store_dword v3, v1, s[0:3], 0 offen offset:4
	s_waitcnt vmcnt(5)
	buffer_store_dword v4, v1, s[0:3], 0 offen offset:8
	;; [unrolled: 2-line block ×6, first 2 shown]
	s_waitcnt vmcnt(0)
	buffer_store_dword v11, v0, s[0:3], 0 offen
.LBB44_336:
	v_mov_b32_e32 v0, 0
	global_load_dword v1, v0, s[20:21] offset:68
	s_waitcnt vmcnt(0)
	v_add_nc_u32_e32 v1, -1, v1
	v_cmp_eq_u32_e32 vcc_lo, 17, v1
	s_cbranch_vccnz .LBB44_338
; %bb.337:
	v_lshlrev_b32_e32 v1, 4, v1
	v_mov_b32_e32 v2, s46
	v_add_nc_u32_e32 v1, 16, v1
	s_clause 0x7
	buffer_load_dword v3, v1, s[0:3], 0 offen
	buffer_load_dword v4, v1, s[0:3], 0 offen offset:4
	buffer_load_dword v7, v1, s[0:3], 0 offen offset:8
	;; [unrolled: 1-line block ×6, first 2 shown]
	buffer_load_dword v12, v2, s[0:3], 0 offen
	s_waitcnt vmcnt(7)
	buffer_store_dword v3, v2, s[0:3], 0 offen
	s_waitcnt vmcnt(6)
	buffer_store_dword v4, v2, s[0:3], 0 offen offset:4
	s_waitcnt vmcnt(5)
	buffer_store_dword v7, v2, s[0:3], 0 offen offset:8
	;; [unrolled: 2-line block ×6, first 2 shown]
	s_waitcnt vmcnt(0)
	buffer_store_dword v12, v1, s[0:3], 0 offen
.LBB44_338:
	global_load_dword v0, v0, s[20:21] offset:64
	s_waitcnt vmcnt(0)
	v_add_nc_u32_e32 v0, -1, v0
	v_cmp_eq_u32_e32 vcc_lo, 16, v0
	s_cbranch_vccnz .LBB44_340
; %bb.339:
	v_lshlrev_b32_e32 v0, 4, v0
	v_mov_b32_e32 v1, s48
	v_add_nc_u32_e32 v0, 16, v0
	s_clause 0x7
	buffer_load_dword v2, v0, s[0:3], 0 offen
	buffer_load_dword v3, v0, s[0:3], 0 offen offset:4
	buffer_load_dword v4, v0, s[0:3], 0 offen offset:8
	;; [unrolled: 1-line block ×6, first 2 shown]
	buffer_load_dword v11, v1, s[0:3], 0 offen
	s_waitcnt vmcnt(7)
	buffer_store_dword v2, v1, s[0:3], 0 offen
	s_waitcnt vmcnt(6)
	buffer_store_dword v3, v1, s[0:3], 0 offen offset:4
	s_waitcnt vmcnt(5)
	buffer_store_dword v4, v1, s[0:3], 0 offen offset:8
	;; [unrolled: 2-line block ×6, first 2 shown]
	s_waitcnt vmcnt(0)
	buffer_store_dword v11, v0, s[0:3], 0 offen
.LBB44_340:
	v_mov_b32_e32 v0, 0
	global_load_dword v1, v0, s[20:21] offset:60
	s_waitcnt vmcnt(0)
	v_add_nc_u32_e32 v1, -1, v1
	v_cmp_eq_u32_e32 vcc_lo, 15, v1
	s_cbranch_vccnz .LBB44_342
; %bb.341:
	v_lshlrev_b32_e32 v1, 4, v1
	v_mov_b32_e32 v2, s50
	v_add_nc_u32_e32 v1, 16, v1
	s_clause 0x7
	buffer_load_dword v3, v1, s[0:3], 0 offen
	buffer_load_dword v4, v1, s[0:3], 0 offen offset:4
	buffer_load_dword v7, v1, s[0:3], 0 offen offset:8
	buffer_load_dword v8, v1, s[0:3], 0 offen offset:12
	buffer_load_dword v9, v2, s[0:3], 0 offen offset:12
	buffer_load_dword v10, v2, s[0:3], 0 offen offset:8
	buffer_load_dword v11, v2, s[0:3], 0 offen offset:4
	buffer_load_dword v12, v2, s[0:3], 0 offen
	s_waitcnt vmcnt(7)
	buffer_store_dword v3, v2, s[0:3], 0 offen
	s_waitcnt vmcnt(6)
	buffer_store_dword v4, v2, s[0:3], 0 offen offset:4
	s_waitcnt vmcnt(5)
	buffer_store_dword v7, v2, s[0:3], 0 offen offset:8
	;; [unrolled: 2-line block ×6, first 2 shown]
	s_waitcnt vmcnt(0)
	buffer_store_dword v12, v1, s[0:3], 0 offen
.LBB44_342:
	global_load_dword v0, v0, s[20:21] offset:56
	s_waitcnt vmcnt(0)
	v_add_nc_u32_e32 v0, -1, v0
	v_cmp_eq_u32_e32 vcc_lo, 14, v0
	s_cbranch_vccnz .LBB44_344
; %bb.343:
	v_lshlrev_b32_e32 v0, 4, v0
	v_mov_b32_e32 v1, s51
	v_add_nc_u32_e32 v0, 16, v0
	s_clause 0x7
	buffer_load_dword v2, v0, s[0:3], 0 offen
	buffer_load_dword v3, v0, s[0:3], 0 offen offset:4
	buffer_load_dword v4, v0, s[0:3], 0 offen offset:8
	;; [unrolled: 1-line block ×6, first 2 shown]
	buffer_load_dword v11, v1, s[0:3], 0 offen
	s_waitcnt vmcnt(7)
	buffer_store_dword v2, v1, s[0:3], 0 offen
	s_waitcnt vmcnt(6)
	buffer_store_dword v3, v1, s[0:3], 0 offen offset:4
	s_waitcnt vmcnt(5)
	buffer_store_dword v4, v1, s[0:3], 0 offen offset:8
	;; [unrolled: 2-line block ×6, first 2 shown]
	s_waitcnt vmcnt(0)
	buffer_store_dword v11, v0, s[0:3], 0 offen
.LBB44_344:
	v_mov_b32_e32 v0, 0
	global_load_dword v1, v0, s[20:21] offset:52
	s_waitcnt vmcnt(0)
	v_add_nc_u32_e32 v1, -1, v1
	v_cmp_eq_u32_e32 vcc_lo, 13, v1
	s_cbranch_vccnz .LBB44_346
; %bb.345:
	v_lshlrev_b32_e32 v1, 4, v1
	v_mov_b32_e32 v2, s53
	v_add_nc_u32_e32 v1, 16, v1
	s_clause 0x7
	buffer_load_dword v3, v1, s[0:3], 0 offen
	buffer_load_dword v4, v1, s[0:3], 0 offen offset:4
	buffer_load_dword v7, v1, s[0:3], 0 offen offset:8
	;; [unrolled: 1-line block ×6, first 2 shown]
	buffer_load_dword v12, v2, s[0:3], 0 offen
	s_waitcnt vmcnt(7)
	buffer_store_dword v3, v2, s[0:3], 0 offen
	s_waitcnt vmcnt(6)
	buffer_store_dword v4, v2, s[0:3], 0 offen offset:4
	s_waitcnt vmcnt(5)
	buffer_store_dword v7, v2, s[0:3], 0 offen offset:8
	s_waitcnt vmcnt(4)
	buffer_store_dword v8, v2, s[0:3], 0 offen offset:12
	s_waitcnt vmcnt(3)
	buffer_store_dword v9, v1, s[0:3], 0 offen offset:12
	s_waitcnt vmcnt(2)
	buffer_store_dword v10, v1, s[0:3], 0 offen offset:8
	s_waitcnt vmcnt(1)
	buffer_store_dword v11, v1, s[0:3], 0 offen offset:4
	s_waitcnt vmcnt(0)
	buffer_store_dword v12, v1, s[0:3], 0 offen
.LBB44_346:
	global_load_dword v0, v0, s[20:21] offset:48
	s_waitcnt vmcnt(0)
	v_add_nc_u32_e32 v0, -1, v0
	v_cmp_eq_u32_e32 vcc_lo, 12, v0
	s_cbranch_vccnz .LBB44_348
; %bb.347:
	v_lshlrev_b32_e32 v0, 4, v0
	v_mov_b32_e32 v1, s55
	v_add_nc_u32_e32 v0, 16, v0
	s_clause 0x7
	buffer_load_dword v2, v0, s[0:3], 0 offen
	buffer_load_dword v3, v0, s[0:3], 0 offen offset:4
	buffer_load_dword v4, v0, s[0:3], 0 offen offset:8
	;; [unrolled: 1-line block ×6, first 2 shown]
	buffer_load_dword v11, v1, s[0:3], 0 offen
	s_waitcnt vmcnt(7)
	buffer_store_dword v2, v1, s[0:3], 0 offen
	s_waitcnt vmcnt(6)
	buffer_store_dword v3, v1, s[0:3], 0 offen offset:4
	s_waitcnt vmcnt(5)
	buffer_store_dword v4, v1, s[0:3], 0 offen offset:8
	s_waitcnt vmcnt(4)
	buffer_store_dword v7, v1, s[0:3], 0 offen offset:12
	s_waitcnt vmcnt(3)
	buffer_store_dword v8, v0, s[0:3], 0 offen offset:12
	s_waitcnt vmcnt(2)
	buffer_store_dword v9, v0, s[0:3], 0 offen offset:8
	s_waitcnt vmcnt(1)
	buffer_store_dword v10, v0, s[0:3], 0 offen offset:4
	s_waitcnt vmcnt(0)
	buffer_store_dword v11, v0, s[0:3], 0 offen
.LBB44_348:
	v_mov_b32_e32 v0, 0
	global_load_dword v1, v0, s[20:21] offset:44
	s_waitcnt vmcnt(0)
	v_add_nc_u32_e32 v1, -1, v1
	v_cmp_eq_u32_e32 vcc_lo, 11, v1
	s_cbranch_vccnz .LBB44_350
; %bb.349:
	v_lshlrev_b32_e32 v1, 4, v1
	v_mov_b32_e32 v2, s35
	v_add_nc_u32_e32 v1, 16, v1
	s_clause 0x7
	buffer_load_dword v3, v1, s[0:3], 0 offen
	buffer_load_dword v4, v1, s[0:3], 0 offen offset:4
	buffer_load_dword v7, v1, s[0:3], 0 offen offset:8
	;; [unrolled: 1-line block ×6, first 2 shown]
	buffer_load_dword v12, v2, s[0:3], 0 offen
	s_waitcnt vmcnt(7)
	buffer_store_dword v3, v2, s[0:3], 0 offen
	s_waitcnt vmcnt(6)
	buffer_store_dword v4, v2, s[0:3], 0 offen offset:4
	s_waitcnt vmcnt(5)
	buffer_store_dword v7, v2, s[0:3], 0 offen offset:8
	s_waitcnt vmcnt(4)
	buffer_store_dword v8, v2, s[0:3], 0 offen offset:12
	s_waitcnt vmcnt(3)
	buffer_store_dword v9, v1, s[0:3], 0 offen offset:12
	s_waitcnt vmcnt(2)
	buffer_store_dword v10, v1, s[0:3], 0 offen offset:8
	s_waitcnt vmcnt(1)
	buffer_store_dword v11, v1, s[0:3], 0 offen offset:4
	s_waitcnt vmcnt(0)
	buffer_store_dword v12, v1, s[0:3], 0 offen
.LBB44_350:
	global_load_dword v0, v0, s[20:21] offset:40
	s_waitcnt vmcnt(0)
	v_add_nc_u32_e32 v0, -1, v0
	v_cmp_eq_u32_e32 vcc_lo, 10, v0
	s_cbranch_vccnz .LBB44_352
; %bb.351:
	v_lshlrev_b32_e32 v0, 4, v0
	v_mov_b32_e32 v1, s37
	v_add_nc_u32_e32 v0, 16, v0
	s_clause 0x7
	buffer_load_dword v2, v0, s[0:3], 0 offen
	buffer_load_dword v3, v0, s[0:3], 0 offen offset:4
	buffer_load_dword v4, v0, s[0:3], 0 offen offset:8
	;; [unrolled: 1-line block ×6, first 2 shown]
	buffer_load_dword v11, v1, s[0:3], 0 offen
	s_waitcnt vmcnt(7)
	buffer_store_dword v2, v1, s[0:3], 0 offen
	s_waitcnt vmcnt(6)
	buffer_store_dword v3, v1, s[0:3], 0 offen offset:4
	s_waitcnt vmcnt(5)
	buffer_store_dword v4, v1, s[0:3], 0 offen offset:8
	;; [unrolled: 2-line block ×6, first 2 shown]
	s_waitcnt vmcnt(0)
	buffer_store_dword v11, v0, s[0:3], 0 offen
.LBB44_352:
	v_mov_b32_e32 v0, 0
	global_load_dword v1, v0, s[20:21] offset:36
	s_waitcnt vmcnt(0)
	v_add_nc_u32_e32 v1, -1, v1
	v_cmp_eq_u32_e32 vcc_lo, 9, v1
	s_cbranch_vccnz .LBB44_354
; %bb.353:
	v_lshlrev_b32_e32 v1, 4, v1
	v_mov_b32_e32 v2, s39
	v_add_nc_u32_e32 v1, 16, v1
	s_clause 0x7
	buffer_load_dword v3, v1, s[0:3], 0 offen
	buffer_load_dword v4, v1, s[0:3], 0 offen offset:4
	buffer_load_dword v7, v1, s[0:3], 0 offen offset:8
	;; [unrolled: 1-line block ×6, first 2 shown]
	buffer_load_dword v12, v2, s[0:3], 0 offen
	s_waitcnt vmcnt(7)
	buffer_store_dword v3, v2, s[0:3], 0 offen
	s_waitcnt vmcnt(6)
	buffer_store_dword v4, v2, s[0:3], 0 offen offset:4
	s_waitcnt vmcnt(5)
	buffer_store_dword v7, v2, s[0:3], 0 offen offset:8
	;; [unrolled: 2-line block ×6, first 2 shown]
	s_waitcnt vmcnt(0)
	buffer_store_dword v12, v1, s[0:3], 0 offen
.LBB44_354:
	global_load_dword v0, v0, s[20:21] offset:32
	s_waitcnt vmcnt(0)
	v_add_nc_u32_e32 v0, -1, v0
	v_cmp_eq_u32_e32 vcc_lo, 8, v0
	s_cbranch_vccnz .LBB44_356
; %bb.355:
	v_lshlrev_b32_e32 v0, 4, v0
	v_mov_b32_e32 v1, s41
	v_add_nc_u32_e32 v0, 16, v0
	s_clause 0x7
	buffer_load_dword v2, v0, s[0:3], 0 offen
	buffer_load_dword v3, v0, s[0:3], 0 offen offset:4
	buffer_load_dword v4, v0, s[0:3], 0 offen offset:8
	;; [unrolled: 1-line block ×6, first 2 shown]
	buffer_load_dword v11, v1, s[0:3], 0 offen
	s_waitcnt vmcnt(7)
	buffer_store_dword v2, v1, s[0:3], 0 offen
	s_waitcnt vmcnt(6)
	buffer_store_dword v3, v1, s[0:3], 0 offen offset:4
	s_waitcnt vmcnt(5)
	buffer_store_dword v4, v1, s[0:3], 0 offen offset:8
	;; [unrolled: 2-line block ×6, first 2 shown]
	s_waitcnt vmcnt(0)
	buffer_store_dword v11, v0, s[0:3], 0 offen
.LBB44_356:
	v_mov_b32_e32 v0, 0
	global_load_dword v1, v0, s[20:21] offset:28
	s_waitcnt vmcnt(0)
	v_add_nc_u32_e32 v1, -1, v1
	v_cmp_eq_u32_e32 vcc_lo, 7, v1
	s_cbranch_vccnz .LBB44_358
; %bb.357:
	v_lshlrev_b32_e32 v1, 4, v1
	v_mov_b32_e32 v2, s43
	v_add_nc_u32_e32 v1, 16, v1
	s_clause 0x7
	buffer_load_dword v3, v1, s[0:3], 0 offen
	buffer_load_dword v4, v1, s[0:3], 0 offen offset:4
	buffer_load_dword v7, v1, s[0:3], 0 offen offset:8
	;; [unrolled: 1-line block ×6, first 2 shown]
	buffer_load_dword v12, v2, s[0:3], 0 offen
	s_waitcnt vmcnt(7)
	buffer_store_dword v3, v2, s[0:3], 0 offen
	s_waitcnt vmcnt(6)
	buffer_store_dword v4, v2, s[0:3], 0 offen offset:4
	s_waitcnt vmcnt(5)
	buffer_store_dword v7, v2, s[0:3], 0 offen offset:8
	;; [unrolled: 2-line block ×6, first 2 shown]
	s_waitcnt vmcnt(0)
	buffer_store_dword v12, v1, s[0:3], 0 offen
.LBB44_358:
	global_load_dword v0, v0, s[20:21] offset:24
	s_waitcnt vmcnt(0)
	v_add_nc_u32_e32 v0, -1, v0
	v_cmp_eq_u32_e32 vcc_lo, 6, v0
	s_cbranch_vccnz .LBB44_360
; %bb.359:
	v_lshlrev_b32_e32 v0, 4, v0
	v_mov_b32_e32 v1, s45
	v_add_nc_u32_e32 v0, 16, v0
	s_clause 0x7
	buffer_load_dword v2, v0, s[0:3], 0 offen
	buffer_load_dword v3, v0, s[0:3], 0 offen offset:4
	buffer_load_dword v4, v0, s[0:3], 0 offen offset:8
	;; [unrolled: 1-line block ×6, first 2 shown]
	buffer_load_dword v11, v1, s[0:3], 0 offen
	s_waitcnt vmcnt(7)
	buffer_store_dword v2, v1, s[0:3], 0 offen
	s_waitcnt vmcnt(6)
	buffer_store_dword v3, v1, s[0:3], 0 offen offset:4
	s_waitcnt vmcnt(5)
	buffer_store_dword v4, v1, s[0:3], 0 offen offset:8
	;; [unrolled: 2-line block ×6, first 2 shown]
	s_waitcnt vmcnt(0)
	buffer_store_dword v11, v0, s[0:3], 0 offen
.LBB44_360:
	v_mov_b32_e32 v0, 0
	global_load_dword v1, v0, s[20:21] offset:20
	s_waitcnt vmcnt(0)
	v_add_nc_u32_e32 v1, -1, v1
	v_cmp_eq_u32_e32 vcc_lo, 5, v1
	s_cbranch_vccnz .LBB44_362
; %bb.361:
	v_lshlrev_b32_e32 v1, 4, v1
	v_mov_b32_e32 v2, s47
	v_add_nc_u32_e32 v1, 16, v1
	s_clause 0x7
	buffer_load_dword v3, v1, s[0:3], 0 offen
	buffer_load_dword v4, v1, s[0:3], 0 offen offset:4
	buffer_load_dword v7, v1, s[0:3], 0 offen offset:8
	;; [unrolled: 1-line block ×6, first 2 shown]
	buffer_load_dword v12, v2, s[0:3], 0 offen
	s_waitcnt vmcnt(7)
	buffer_store_dword v3, v2, s[0:3], 0 offen
	s_waitcnt vmcnt(6)
	buffer_store_dword v4, v2, s[0:3], 0 offen offset:4
	s_waitcnt vmcnt(5)
	buffer_store_dword v7, v2, s[0:3], 0 offen offset:8
	;; [unrolled: 2-line block ×6, first 2 shown]
	s_waitcnt vmcnt(0)
	buffer_store_dword v12, v1, s[0:3], 0 offen
.LBB44_362:
	global_load_dword v0, v0, s[20:21] offset:16
	s_waitcnt vmcnt(0)
	v_add_nc_u32_e32 v0, -1, v0
	v_cmp_eq_u32_e32 vcc_lo, 4, v0
	s_cbranch_vccnz .LBB44_364
; %bb.363:
	v_lshlrev_b32_e32 v0, 4, v0
	v_mov_b32_e32 v1, s49
	v_add_nc_u32_e32 v0, 16, v0
	s_clause 0x7
	buffer_load_dword v2, v0, s[0:3], 0 offen
	buffer_load_dword v3, v0, s[0:3], 0 offen offset:4
	buffer_load_dword v4, v0, s[0:3], 0 offen offset:8
	;; [unrolled: 1-line block ×6, first 2 shown]
	buffer_load_dword v11, v1, s[0:3], 0 offen
	s_waitcnt vmcnt(7)
	buffer_store_dword v2, v1, s[0:3], 0 offen
	s_waitcnt vmcnt(6)
	buffer_store_dword v3, v1, s[0:3], 0 offen offset:4
	s_waitcnt vmcnt(5)
	buffer_store_dword v4, v1, s[0:3], 0 offen offset:8
	;; [unrolled: 2-line block ×6, first 2 shown]
	s_waitcnt vmcnt(0)
	buffer_store_dword v11, v0, s[0:3], 0 offen
.LBB44_364:
	v_mov_b32_e32 v0, 0
	global_load_dword v1, v0, s[20:21] offset:12
	s_waitcnt vmcnt(0)
	v_add_nc_u32_e32 v1, -1, v1
	v_cmp_eq_u32_e32 vcc_lo, 3, v1
	s_cbranch_vccnz .LBB44_366
; %bb.365:
	v_lshlrev_b32_e32 v1, 4, v1
	v_mov_b32_e32 v2, s52
	v_add_nc_u32_e32 v1, 16, v1
	s_clause 0x7
	buffer_load_dword v3, v1, s[0:3], 0 offen
	buffer_load_dword v4, v1, s[0:3], 0 offen offset:4
	buffer_load_dword v7, v1, s[0:3], 0 offen offset:8
	;; [unrolled: 1-line block ×6, first 2 shown]
	buffer_load_dword v12, v2, s[0:3], 0 offen
	s_waitcnt vmcnt(7)
	buffer_store_dword v3, v2, s[0:3], 0 offen
	s_waitcnt vmcnt(6)
	buffer_store_dword v4, v2, s[0:3], 0 offen offset:4
	s_waitcnt vmcnt(5)
	buffer_store_dword v7, v2, s[0:3], 0 offen offset:8
	;; [unrolled: 2-line block ×6, first 2 shown]
	s_waitcnt vmcnt(0)
	buffer_store_dword v12, v1, s[0:3], 0 offen
.LBB44_366:
	global_load_dword v0, v0, s[20:21] offset:8
	s_waitcnt vmcnt(0)
	v_add_nc_u32_e32 v0, -1, v0
	v_cmp_eq_u32_e32 vcc_lo, 2, v0
	s_cbranch_vccnz .LBB44_368
; %bb.367:
	v_lshlrev_b32_e32 v0, 4, v0
	v_mov_b32_e32 v1, s54
	v_add_nc_u32_e32 v0, 16, v0
	s_clause 0x7
	buffer_load_dword v2, v0, s[0:3], 0 offen
	buffer_load_dword v3, v0, s[0:3], 0 offen offset:4
	buffer_load_dword v4, v0, s[0:3], 0 offen offset:8
	;; [unrolled: 1-line block ×6, first 2 shown]
	buffer_load_dword v11, v1, s[0:3], 0 offen
	s_waitcnt vmcnt(7)
	buffer_store_dword v2, v1, s[0:3], 0 offen
	s_waitcnt vmcnt(6)
	buffer_store_dword v3, v1, s[0:3], 0 offen offset:4
	s_waitcnt vmcnt(5)
	buffer_store_dword v4, v1, s[0:3], 0 offen offset:8
	;; [unrolled: 2-line block ×6, first 2 shown]
	s_waitcnt vmcnt(0)
	buffer_store_dword v11, v0, s[0:3], 0 offen
.LBB44_368:
	v_mov_b32_e32 v0, 0
	global_load_dword v1, v0, s[20:21] offset:4
	s_waitcnt vmcnt(0)
	v_add_nc_u32_e32 v1, -1, v1
	v_cmp_eq_u32_e32 vcc_lo, 1, v1
	s_cbranch_vccnz .LBB44_370
; %bb.369:
	v_lshlrev_b32_e32 v1, 4, v1
	v_mov_b32_e32 v2, s56
	v_add_nc_u32_e32 v1, 16, v1
	s_clause 0x7
	buffer_load_dword v3, v1, s[0:3], 0 offen
	buffer_load_dword v4, v1, s[0:3], 0 offen offset:4
	buffer_load_dword v7, v1, s[0:3], 0 offen offset:8
	;; [unrolled: 1-line block ×6, first 2 shown]
	buffer_load_dword v12, v2, s[0:3], 0 offen
	s_waitcnt vmcnt(7)
	buffer_store_dword v3, v2, s[0:3], 0 offen
	s_waitcnt vmcnt(6)
	buffer_store_dword v4, v2, s[0:3], 0 offen offset:4
	s_waitcnt vmcnt(5)
	buffer_store_dword v7, v2, s[0:3], 0 offen offset:8
	;; [unrolled: 2-line block ×6, first 2 shown]
	s_waitcnt vmcnt(0)
	buffer_store_dword v12, v1, s[0:3], 0 offen
.LBB44_370:
	global_load_dword v0, v0, s[20:21]
	s_waitcnt vmcnt(0)
	v_add_nc_u32_e32 v0, -1, v0
	v_cmp_eq_u32_e32 vcc_lo, 0, v0
	s_cbranch_vccnz .LBB44_372
; %bb.371:
	v_lshlrev_b32_e32 v0, 4, v0
	v_add_nc_u32_e32 v0, 16, v0
	s_clause 0x7
	buffer_load_dword v1, v0, s[0:3], 0 offen
	buffer_load_dword v2, v0, s[0:3], 0 offen offset:4
	buffer_load_dword v3, v0, s[0:3], 0 offen offset:8
	;; [unrolled: 1-line block ×3, first 2 shown]
	buffer_load_dword v7, off, s[0:3], 0 offset:28
	buffer_load_dword v8, off, s[0:3], 0 offset:24
	;; [unrolled: 1-line block ×4, first 2 shown]
	s_waitcnt vmcnt(7)
	buffer_store_dword v1, off, s[0:3], 0 offset:16
	s_waitcnt vmcnt(6)
	buffer_store_dword v2, off, s[0:3], 0 offset:20
	;; [unrolled: 2-line block ×4, first 2 shown]
	s_waitcnt vmcnt(3)
	buffer_store_dword v7, v0, s[0:3], 0 offen offset:12
	s_waitcnt vmcnt(2)
	buffer_store_dword v8, v0, s[0:3], 0 offen offset:8
	;; [unrolled: 2-line block ×3, first 2 shown]
	s_waitcnt vmcnt(0)
	buffer_store_dword v10, v0, s[0:3], 0 offen
.LBB44_372:
	v_mov_b32_e32 v4, s56
	s_clause 0x3
	buffer_load_dword v0, off, s[0:3], 0 offset:16
	buffer_load_dword v1, off, s[0:3], 0 offset:20
	buffer_load_dword v2, off, s[0:3], 0 offset:24
	buffer_load_dword v3, off, s[0:3], 0 offset:28
	v_mov_b32_e32 v67, s48
	v_mov_b32_e32 v71, s44
	v_mov_b32_e32 v75, s40
	s_clause 0x3
	buffer_load_dword v7, v4, s[0:3], 0 offen
	buffer_load_dword v8, v4, s[0:3], 0 offen offset:4
	buffer_load_dword v9, v4, s[0:3], 0 offen offset:8
	;; [unrolled: 1-line block ×3, first 2 shown]
	v_mov_b32_e32 v4, s54
	v_mov_b32_e32 v66, s50
	v_mov_b32_e32 v79, s36
	v_mov_b32_e32 v70, s46
	s_clause 0x3
	buffer_load_dword v11, v4, s[0:3], 0 offen
	buffer_load_dword v12, v4, s[0:3], 0 offen offset:4
	buffer_load_dword v13, v4, s[0:3], 0 offen offset:8
	;; [unrolled: 1-line block ×3, first 2 shown]
	v_mov_b32_e32 v4, s52
	v_mov_b32_e32 v83, s33
	;; [unrolled: 1-line block ×3, first 2 shown]
	s_clause 0x3
	buffer_load_dword v15, v4, s[0:3], 0 offen
	buffer_load_dword v16, v4, s[0:3], 0 offen offset:4
	buffer_load_dword v17, v4, s[0:3], 0 offen offset:8
	;; [unrolled: 1-line block ×3, first 2 shown]
	v_mov_b32_e32 v4, s49
	v_mov_b32_e32 v87, s30
	s_clause 0x3
	buffer_load_dword v19, v4, s[0:3], 0 offen
	buffer_load_dword v20, v4, s[0:3], 0 offen offset:4
	buffer_load_dword v21, v4, s[0:3], 0 offen offset:8
	buffer_load_dword v22, v4, s[0:3], 0 offen offset:12
	v_mov_b32_e32 v4, s47
	s_clause 0x3
	buffer_load_dword v23, v4, s[0:3], 0 offen
	buffer_load_dword v24, v4, s[0:3], 0 offen offset:4
	buffer_load_dword v25, v4, s[0:3], 0 offen offset:8
	buffer_load_dword v26, v4, s[0:3], 0 offen offset:12
	;; [unrolled: 6-line block ×11, first 2 shown]
	buffer_load_dword v63, v66, s[0:3], 0 offen
	buffer_load_dword v64, v66, s[0:3], 0 offen offset:4
	buffer_load_dword v65, v66, s[0:3], 0 offen offset:8
	buffer_load_dword v66, v66, s[0:3], 0 offen offset:12
	v_mov_b32_e32 v78, s38
	v_mov_b32_e32 v91, s28
	;; [unrolled: 1-line block ×21, first 2 shown]
	s_waitcnt vmcnt(60)
	global_store_dwordx4 v[93:94], v[0:3], off
	s_clause 0x7
	buffer_load_dword v0, v67, s[0:3], 0 offen
	buffer_load_dword v1, v67, s[0:3], 0 offen offset:4
	buffer_load_dword v2, v67, s[0:3], 0 offen offset:8
	buffer_load_dword v3, v67, s[0:3], 0 offen offset:12
	buffer_load_dword v67, v70, s[0:3], 0 offen
	buffer_load_dword v68, v70, s[0:3], 0 offen offset:4
	buffer_load_dword v69, v70, s[0:3], 0 offen offset:8
	buffer_load_dword v70, v70, s[0:3], 0 offen offset:12
	s_waitcnt vmcnt(62)
	global_store_dwordx4 v[95:96], v[7:10], off
	s_clause 0x7
	buffer_load_dword v7, v71, s[0:3], 0 offen
	buffer_load_dword v8, v71, s[0:3], 0 offen offset:4
	buffer_load_dword v9, v71, s[0:3], 0 offen offset:8
	buffer_load_dword v10, v71, s[0:3], 0 offen offset:12
	buffer_load_dword v71, v74, s[0:3], 0 offen
	buffer_load_dword v72, v74, s[0:3], 0 offen offset:4
	buffer_load_dword v73, v74, s[0:3], 0 offen offset:8
	buffer_load_dword v74, v74, s[0:3], 0 offen offset:12
	;; [unrolled: 11-line block ×3, first 2 shown]
	global_store_dwordx4 v[99:100], v[15:18], off
	s_clause 0x7
	buffer_load_dword v15, v79, s[0:3], 0 offen
	buffer_load_dword v16, v79, s[0:3], 0 offen offset:4
	buffer_load_dword v17, v79, s[0:3], 0 offen offset:8
	;; [unrolled: 1-line block ×3, first 2 shown]
	buffer_load_dword v79, v82, s[0:3], 0 offen
	buffer_load_dword v80, v82, s[0:3], 0 offen offset:4
	buffer_load_dword v81, v82, s[0:3], 0 offen offset:8
	;; [unrolled: 1-line block ×3, first 2 shown]
	s_waitcnt vmcnt(62)
	global_store_dwordx4 v[101:102], v[19:22], off
	s_clause 0x7
	buffer_load_dword v19, v83, s[0:3], 0 offen
	buffer_load_dword v20, v83, s[0:3], 0 offen offset:4
	buffer_load_dword v21, v83, s[0:3], 0 offen offset:8
	buffer_load_dword v22, v83, s[0:3], 0 offen offset:12
	buffer_load_dword v83, v86, s[0:3], 0 offen
	buffer_load_dword v84, v86, s[0:3], 0 offen offset:4
	buffer_load_dword v85, v86, s[0:3], 0 offen offset:8
	buffer_load_dword v86, v86, s[0:3], 0 offen offset:12
	global_store_dwordx4 v[103:104], v[23:26], off
	s_clause 0x7
	buffer_load_dword v23, v87, s[0:3], 0 offen
	buffer_load_dword v24, v87, s[0:3], 0 offen offset:4
	buffer_load_dword v25, v87, s[0:3], 0 offen offset:8
	buffer_load_dword v26, v87, s[0:3], 0 offen offset:12
	buffer_load_dword v87, v90, s[0:3], 0 offen
	buffer_load_dword v88, v90, s[0:3], 0 offen offset:4
	buffer_load_dword v89, v90, s[0:3], 0 offen offset:8
	buffer_load_dword v90, v90, s[0:3], 0 offen offset:12
	;; [unrolled: 10-line block ×4, first 2 shown]
	s_waitcnt vmcnt(62)
	global_store_dwordx4 v[109:110], v[35:38], off
	s_clause 0x7
	buffer_load_dword v35, v184, s[0:3], 0 offen
	buffer_load_dword v36, v184, s[0:3], 0 offen offset:4
	buffer_load_dword v37, v184, s[0:3], 0 offen offset:8
	buffer_load_dword v38, v184, s[0:3], 0 offen offset:12
	buffer_load_dword v99, v185, s[0:3], 0 offen
	buffer_load_dword v100, v185, s[0:3], 0 offen offset:4
	buffer_load_dword v101, v185, s[0:3], 0 offen offset:8
	buffer_load_dword v102, v185, s[0:3], 0 offen offset:12
	global_store_dwordx4 v[111:112], v[39:42], off
	s_clause 0x7
	buffer_load_dword v39, v186, s[0:3], 0 offen
	buffer_load_dword v40, v186, s[0:3], 0 offen offset:4
	buffer_load_dword v41, v186, s[0:3], 0 offen offset:8
	buffer_load_dword v42, v186, s[0:3], 0 offen offset:12
	buffer_load_dword v103, v187, s[0:3], 0 offen
	buffer_load_dword v104, v187, s[0:3], 0 offen offset:4
	buffer_load_dword v105, v187, s[0:3], 0 offen offset:8
	buffer_load_dword v106, v187, s[0:3], 0 offen offset:12
	;; [unrolled: 10-line block ×6, first 2 shown]
	buffer_load_dword v185, v196, s[0:3], 0 offen
	buffer_load_dword v186, v196, s[0:3], 0 offen offset:4
	buffer_load_dword v187, v196, s[0:3], 0 offen offset:8
	;; [unrolled: 1-line block ×3, first 2 shown]
	global_store_dwordx4 v[121:122], v[59:62], off
	global_store_dwordx4 v[123:124], v[63:66], off
	s_waitcnt vmcnt(62)
	global_store_dwordx4 v[125:126], v[0:3], off
	global_store_dwordx4 v[127:128], v[67:70], off
	;; [unrolled: 1-line block ×13, first 2 shown]
	s_waitcnt vmcnt(60)
	global_store_dwordx4 v[151:152], v[91:94], off
	s_waitcnt vmcnt(56)
	global_store_dwordx4 v[153:154], v[31:34], off
	s_waitcnt vmcnt(52)
	global_store_dwordx4 v[155:156], v[95:98], off
	s_waitcnt vmcnt(48)
	global_store_dwordx4 v[157:158], v[35:38], off
	s_waitcnt vmcnt(44)
	global_store_dwordx4 v[159:160], v[99:102], off
	s_waitcnt vmcnt(40)
	global_store_dwordx4 v[161:162], v[39:42], off
	s_waitcnt vmcnt(36)
	global_store_dwordx4 v[163:164], v[103:106], off
	s_waitcnt vmcnt(32)
	global_store_dwordx4 v[165:166], v[43:46], off
	s_waitcnt vmcnt(28)
	global_store_dwordx4 v[167:168], v[107:110], off
	s_waitcnt vmcnt(24)
	global_store_dwordx4 v[169:170], v[47:50], off
	s_waitcnt vmcnt(20)
	global_store_dwordx4 v[171:172], v[111:114], off
	s_waitcnt vmcnt(16)
	global_store_dwordx4 v[173:174], v[51:54], off
	s_waitcnt vmcnt(12)
	global_store_dwordx4 v[175:176], v[115:118], off
	s_waitcnt vmcnt(8)
	global_store_dwordx4 v[177:178], v[55:58], off
	s_waitcnt vmcnt(4)
	global_store_dwordx4 v[179:180], v[181:184], off
	s_waitcnt vmcnt(0)
	global_store_dwordx4 v[5:6], v[185:188], off
	s_endpgm
	.section	.rodata,"a",@progbits
	.p2align	6, 0x0
	.amdhsa_kernel _ZN9rocsolver6v33100L18getri_kernel_smallILi45E19rocblas_complex_numIdEPS3_EEvT1_iilPiilS6_bb
		.amdhsa_group_segment_fixed_size 1448
		.amdhsa_private_segment_fixed_size 752
		.amdhsa_kernarg_size 60
		.amdhsa_user_sgpr_count 6
		.amdhsa_user_sgpr_private_segment_buffer 1
		.amdhsa_user_sgpr_dispatch_ptr 0
		.amdhsa_user_sgpr_queue_ptr 0
		.amdhsa_user_sgpr_kernarg_segment_ptr 1
		.amdhsa_user_sgpr_dispatch_id 0
		.amdhsa_user_sgpr_flat_scratch_init 0
		.amdhsa_user_sgpr_private_segment_size 0
		.amdhsa_wavefront_size32 1
		.amdhsa_uses_dynamic_stack 0
		.amdhsa_system_sgpr_private_segment_wavefront_offset 1
		.amdhsa_system_sgpr_workgroup_id_x 1
		.amdhsa_system_sgpr_workgroup_id_y 0
		.amdhsa_system_sgpr_workgroup_id_z 0
		.amdhsa_system_sgpr_workgroup_info 0
		.amdhsa_system_vgpr_workitem_id 0
		.amdhsa_next_free_vgpr 197
		.amdhsa_next_free_sgpr 61
		.amdhsa_reserve_vcc 1
		.amdhsa_reserve_flat_scratch 0
		.amdhsa_float_round_mode_32 0
		.amdhsa_float_round_mode_16_64 0
		.amdhsa_float_denorm_mode_32 3
		.amdhsa_float_denorm_mode_16_64 3
		.amdhsa_dx10_clamp 1
		.amdhsa_ieee_mode 1
		.amdhsa_fp16_overflow 0
		.amdhsa_workgroup_processor_mode 1
		.amdhsa_memory_ordered 1
		.amdhsa_forward_progress 1
		.amdhsa_shared_vgpr_count 0
		.amdhsa_exception_fp_ieee_invalid_op 0
		.amdhsa_exception_fp_denorm_src 0
		.amdhsa_exception_fp_ieee_div_zero 0
		.amdhsa_exception_fp_ieee_overflow 0
		.amdhsa_exception_fp_ieee_underflow 0
		.amdhsa_exception_fp_ieee_inexact 0
		.amdhsa_exception_int_div_zero 0
	.end_amdhsa_kernel
	.section	.text._ZN9rocsolver6v33100L18getri_kernel_smallILi45E19rocblas_complex_numIdEPS3_EEvT1_iilPiilS6_bb,"axG",@progbits,_ZN9rocsolver6v33100L18getri_kernel_smallILi45E19rocblas_complex_numIdEPS3_EEvT1_iilPiilS6_bb,comdat
.Lfunc_end44:
	.size	_ZN9rocsolver6v33100L18getri_kernel_smallILi45E19rocblas_complex_numIdEPS3_EEvT1_iilPiilS6_bb, .Lfunc_end44-_ZN9rocsolver6v33100L18getri_kernel_smallILi45E19rocblas_complex_numIdEPS3_EEvT1_iilPiilS6_bb
                                        ; -- End function
	.set _ZN9rocsolver6v33100L18getri_kernel_smallILi45E19rocblas_complex_numIdEPS3_EEvT1_iilPiilS6_bb.num_vgpr, 197
	.set _ZN9rocsolver6v33100L18getri_kernel_smallILi45E19rocblas_complex_numIdEPS3_EEvT1_iilPiilS6_bb.num_agpr, 0
	.set _ZN9rocsolver6v33100L18getri_kernel_smallILi45E19rocblas_complex_numIdEPS3_EEvT1_iilPiilS6_bb.numbered_sgpr, 61
	.set _ZN9rocsolver6v33100L18getri_kernel_smallILi45E19rocblas_complex_numIdEPS3_EEvT1_iilPiilS6_bb.num_named_barrier, 0
	.set _ZN9rocsolver6v33100L18getri_kernel_smallILi45E19rocblas_complex_numIdEPS3_EEvT1_iilPiilS6_bb.private_seg_size, 752
	.set _ZN9rocsolver6v33100L18getri_kernel_smallILi45E19rocblas_complex_numIdEPS3_EEvT1_iilPiilS6_bb.uses_vcc, 1
	.set _ZN9rocsolver6v33100L18getri_kernel_smallILi45E19rocblas_complex_numIdEPS3_EEvT1_iilPiilS6_bb.uses_flat_scratch, 0
	.set _ZN9rocsolver6v33100L18getri_kernel_smallILi45E19rocblas_complex_numIdEPS3_EEvT1_iilPiilS6_bb.has_dyn_sized_stack, 0
	.set _ZN9rocsolver6v33100L18getri_kernel_smallILi45E19rocblas_complex_numIdEPS3_EEvT1_iilPiilS6_bb.has_recursion, 0
	.set _ZN9rocsolver6v33100L18getri_kernel_smallILi45E19rocblas_complex_numIdEPS3_EEvT1_iilPiilS6_bb.has_indirect_call, 0
	.section	.AMDGPU.csdata,"",@progbits
; Kernel info:
; codeLenInByte = 139288
; TotalNumSgprs: 63
; NumVgprs: 197
; ScratchSize: 752
; MemoryBound: 0
; FloatMode: 240
; IeeeMode: 1
; LDSByteSize: 1448 bytes/workgroup (compile time only)
; SGPRBlocks: 0
; VGPRBlocks: 24
; NumSGPRsForWavesPerEU: 63
; NumVGPRsForWavesPerEU: 197
; Occupancy: 4
; WaveLimiterHint : 1
; COMPUTE_PGM_RSRC2:SCRATCH_EN: 1
; COMPUTE_PGM_RSRC2:USER_SGPR: 6
; COMPUTE_PGM_RSRC2:TRAP_HANDLER: 0
; COMPUTE_PGM_RSRC2:TGID_X_EN: 1
; COMPUTE_PGM_RSRC2:TGID_Y_EN: 0
; COMPUTE_PGM_RSRC2:TGID_Z_EN: 0
; COMPUTE_PGM_RSRC2:TIDIG_COMP_CNT: 0
	.section	.text._ZN9rocsolver6v33100L18getri_kernel_smallILi46E19rocblas_complex_numIdEPS3_EEvT1_iilPiilS6_bb,"axG",@progbits,_ZN9rocsolver6v33100L18getri_kernel_smallILi46E19rocblas_complex_numIdEPS3_EEvT1_iilPiilS6_bb,comdat
	.globl	_ZN9rocsolver6v33100L18getri_kernel_smallILi46E19rocblas_complex_numIdEPS3_EEvT1_iilPiilS6_bb ; -- Begin function _ZN9rocsolver6v33100L18getri_kernel_smallILi46E19rocblas_complex_numIdEPS3_EEvT1_iilPiilS6_bb
	.p2align	8
	.type	_ZN9rocsolver6v33100L18getri_kernel_smallILi46E19rocblas_complex_numIdEPS3_EEvT1_iilPiilS6_bb,@function
_ZN9rocsolver6v33100L18getri_kernel_smallILi46E19rocblas_complex_numIdEPS3_EEvT1_iilPiilS6_bb: ; @_ZN9rocsolver6v33100L18getri_kernel_smallILi46E19rocblas_complex_numIdEPS3_EEvT1_iilPiilS6_bb
; %bb.0:
	s_add_u32 s0, s0, s7
	s_addc_u32 s1, s1, 0
	s_mov_b32 s7, exec_lo
	v_cmpx_gt_u32_e32 46, v0
	s_cbranch_execz .LBB45_198
; %bb.1:
	s_clause 0x2
	s_load_dword s7, s[4:5], 0x38
	s_load_dwordx4 s[16:19], s[4:5], 0x10
	s_load_dwordx4 s[8:11], s[4:5], 0x28
                                        ; implicit-def: $sgpr20_sgpr21
	s_waitcnt lgkmcnt(0)
	s_bitcmp1_b32 s7, 8
	s_cselect_b32 s58, -1, 0
	s_bfe_u32 s12, s7, 0x10008
	s_ashr_i32 s7, s6, 31
	s_cmp_eq_u32 s12, 0
	s_cbranch_scc1 .LBB45_3
; %bb.2:
	s_load_dword s12, s[4:5], 0x20
	s_mul_i32 s13, s8, s7
	s_mul_hi_u32 s14, s8, s6
	s_mul_i32 s9, s9, s6
	s_add_i32 s13, s14, s13
	s_mul_i32 s8, s8, s6
	s_add_i32 s9, s13, s9
	s_lshl_b64 s[8:9], s[8:9], 2
	s_waitcnt lgkmcnt(0)
	s_ashr_i32 s13, s12, 31
	s_add_u32 s14, s18, s8
	s_addc_u32 s15, s19, s9
	s_lshl_b64 s[8:9], s[12:13], 2
	s_add_u32 s20, s14, s8
	s_addc_u32 s21, s15, s9
.LBB45_3:
	s_clause 0x1
	s_load_dwordx4 s[12:15], s[4:5], 0x0
	s_load_dword s59, s[4:5], 0x38
	s_mul_i32 s4, s16, s7
	s_mul_hi_u32 s5, s16, s6
	s_mul_i32 s8, s17, s6
	s_add_i32 s5, s5, s4
	s_mul_i32 s4, s16, s6
	s_add_i32 s5, s5, s8
	v_lshlrev_b32_e32 v153, 4, v0
	s_lshl_b64 s[4:5], s[4:5], 4
	s_mov_b32 s53, 32
	s_mov_b32 s51, 48
	;; [unrolled: 1-line block ×3, first 2 shown]
	s_movk_i32 s47, 0x50
	s_waitcnt lgkmcnt(0)
	v_add3_u32 v1, s15, s15, v0
	s_ashr_i32 s9, s14, 31
	s_mov_b32 s8, s14
	s_add_u32 s12, s12, s4
	s_addc_u32 s13, s13, s5
	s_lshl_b64 s[4:5], s[8:9], 4
	v_ashrrev_i32_e32 v2, 31, v1
	s_add_u32 s4, s12, s4
	s_addc_u32 s5, s13, s5
	v_add_nc_u32_e32 v5, s15, v1
	v_add_co_u32 v81, s12, s4, v153
	s_mov_b32 s8, s15
	s_ashr_i32 s9, s15, 31
	v_lshlrev_b64 v[6:7], 4, v[1:2]
	v_add_co_ci_u32_e64 v82, null, s5, 0, s12
	s_lshl_b64 s[8:9], s[8:9], 4
	v_add_nc_u32_e32 v8, s15, v5
	v_add_co_u32 v83, vcc_lo, v81, s8
	v_add_co_ci_u32_e64 v84, null, s9, v82, vcc_lo
	v_add_co_u32 v87, vcc_lo, s4, v6
	v_ashrrev_i32_e32 v6, 31, v5
	v_add_co_ci_u32_e64 v88, null, s5, v7, vcc_lo
	v_ashrrev_i32_e32 v9, 31, v8
	v_add_nc_u32_e32 v7, s15, v8
	v_lshlrev_b64 v[5:6], 4, v[5:6]
	s_clause 0x1
	global_load_dwordx4 v[1:4], v153, s[4:5]
	global_load_dwordx4 v[145:148], v[83:84], off
	v_lshlrev_b64 v[9:10], 4, v[8:9]
	v_ashrrev_i32_e32 v8, 31, v7
	v_add_nc_u32_e32 v11, s15, v7
	v_add_co_u32 v95, vcc_lo, s4, v5
	v_add_co_ci_u32_e64 v96, null, s5, v6, vcc_lo
	v_lshlrev_b64 v[5:6], 4, v[7:8]
	v_add_nc_u32_e32 v7, s15, v11
	v_add_co_u32 v85, vcc_lo, s4, v9
	v_ashrrev_i32_e32 v12, 31, v11
	v_add_co_ci_u32_e64 v86, null, s5, v10, vcc_lo
	v_add_co_u32 v91, vcc_lo, s4, v5
	v_ashrrev_i32_e32 v8, 31, v7
	v_add_nc_u32_e32 v5, s15, v7
	v_lshlrev_b64 v[9:10], 4, v[11:12]
	v_add_co_ci_u32_e64 v92, null, s5, v6, vcc_lo
	v_lshlrev_b64 v[7:8], 4, v[7:8]
	v_ashrrev_i32_e32 v6, 31, v5
	v_add_nc_u32_e32 v11, s15, v5
	v_add_co_u32 v101, vcc_lo, s4, v9
	v_add_co_ci_u32_e64 v102, null, s5, v10, vcc_lo
	v_lshlrev_b64 v[5:6], 4, v[5:6]
	v_add_co_u32 v89, vcc_lo, s4, v7
	v_add_nc_u32_e32 v7, s15, v11
	v_ashrrev_i32_e32 v12, 31, v11
	v_add_co_ci_u32_e64 v90, null, s5, v8, vcc_lo
	v_add_co_u32 v97, vcc_lo, s4, v5
	v_ashrrev_i32_e32 v8, 31, v7
	v_add_nc_u32_e32 v5, s15, v7
	v_lshlrev_b64 v[9:10], 4, v[11:12]
	v_add_co_ci_u32_e64 v98, null, s5, v6, vcc_lo
	v_lshlrev_b64 v[7:8], 4, v[7:8]
	v_ashrrev_i32_e32 v6, 31, v5
	v_add_nc_u32_e32 v11, s15, v5
	v_add_co_u32 v105, vcc_lo, s4, v9
	v_add_co_ci_u32_e64 v106, null, s5, v10, vcc_lo
	v_lshlrev_b64 v[5:6], 4, v[5:6]
	v_add_co_u32 v93, vcc_lo, s4, v7
	v_add_nc_u32_e32 v7, s15, v11
	s_clause 0x1
	global_load_dwordx4 v[149:152], v[87:88], off
	global_load_dwordx4 v[158:161], v[85:86], off
	v_ashrrev_i32_e32 v12, 31, v11
	v_add_co_ci_u32_e64 v94, null, s5, v8, vcc_lo
	v_add_co_u32 v103, vcc_lo, s4, v5
	v_ashrrev_i32_e32 v8, 31, v7
	v_add_nc_u32_e32 v5, s15, v7
	v_lshlrev_b64 v[9:10], 4, v[11:12]
	v_add_co_ci_u32_e64 v104, null, s5, v6, vcc_lo
	v_lshlrev_b64 v[7:8], 4, v[7:8]
	v_ashrrev_i32_e32 v6, 31, v5
	v_add_nc_u32_e32 v11, s15, v5
	v_add_co_u32 v109, vcc_lo, s4, v9
	v_add_co_ci_u32_e64 v110, null, s5, v10, vcc_lo
	v_lshlrev_b64 v[5:6], 4, v[5:6]
	v_add_co_u32 v99, vcc_lo, s4, v7
	v_add_nc_u32_e32 v7, s15, v11
	v_ashrrev_i32_e32 v12, 31, v11
	v_add_co_ci_u32_e64 v100, null, s5, v8, vcc_lo
	v_add_co_u32 v107, vcc_lo, s4, v5
	v_add_nc_u32_e32 v5, s15, v7
	s_clause 0x5
	global_load_dwordx4 v[154:157], v[95:96], off
	global_load_dwordx4 v[53:56], v[93:94], off
	;; [unrolled: 1-line block ×6, first 2 shown]
	v_ashrrev_i32_e32 v8, 31, v7
	v_lshlrev_b64 v[9:10], 4, v[11:12]
	v_add_nc_u32_e32 v11, s15, v5
	v_add_co_ci_u32_e64 v108, null, s5, v6, vcc_lo
	v_ashrrev_i32_e32 v6, 31, v5
	v_lshlrev_b64 v[7:8], 4, v[7:8]
	v_add_co_u32 v111, vcc_lo, s4, v9
	v_add_nc_u32_e32 v9, s15, v11
	v_lshlrev_b64 v[5:6], 4, v[5:6]
	s_clause 0x3
	global_load_dwordx4 v[77:80], v[97:98], off
	global_load_dwordx4 v[41:44], v[99:100], off
	;; [unrolled: 1-line block ×4, first 2 shown]
	v_add_co_ci_u32_e64 v112, null, s5, v10, vcc_lo
	v_add_co_u32 v113, vcc_lo, s4, v7
	v_ashrrev_i32_e32 v12, 31, v11
	v_add_nc_u32_e32 v7, s15, v9
	v_add_co_ci_u32_e64 v114, null, s5, v8, vcc_lo
	v_add_co_u32 v115, vcc_lo, s4, v5
	v_ashrrev_i32_e32 v10, 31, v9
	v_add_co_ci_u32_e64 v116, null, s5, v6, vcc_lo
	v_lshlrev_b64 v[5:6], 4, v[11:12]
	v_add_nc_u32_e32 v11, s15, v7
	s_clause 0x1
	global_load_dwordx4 v[37:40], v[109:110], off
	global_load_dwordx4 v[25:28], v[111:112], off
	v_lshlrev_b64 v[9:10], 4, v[9:10]
	v_ashrrev_i32_e32 v8, 31, v7
	v_add_nc_u32_e32 v61, s15, v11
	v_ashrrev_i32_e32 v12, 31, v11
	v_add_co_u32 v117, vcc_lo, s4, v5
	v_add_co_ci_u32_e64 v118, null, s5, v6, vcc_lo
	v_ashrrev_i32_e32 v62, 31, v61
	v_lshlrev_b64 v[13:14], 4, v[7:8]
	v_add_co_u32 v119, vcc_lo, s4, v9
	s_clause 0x1
	global_load_dwordx4 v[29:32], v[113:114], off
	global_load_dwordx4 v[33:36], v[115:116], off
	v_add_co_ci_u32_e64 v120, null, s5, v10, vcc_lo
	v_lshlrev_b64 v[9:10], 4, v[11:12]
	v_lshlrev_b64 v[11:12], 4, v[61:62]
	v_add_co_u32 v121, vcc_lo, s4, v13
	v_add_co_ci_u32_e64 v122, null, s5, v14, vcc_lo
	v_add_co_u32 v123, vcc_lo, s4, v9
	v_add_co_ci_u32_e64 v124, null, s5, v10, vcc_lo
	v_add_co_u32 v125, vcc_lo, s4, v11
	s_clause 0x1
	global_load_dwordx4 v[5:8], v[117:118], off
	global_load_dwordx4 v[17:20], v[119:120], off
	v_add_co_ci_u32_e64 v126, null, s5, v12, vcc_lo
	s_clause 0x2
	global_load_dwordx4 v[13:16], v[121:122], off
	global_load_dwordx4 v[21:24], v[123:124], off
	global_load_dwordx4 v[9:12], v[125:126], off
	v_add_nc_u32_e32 v61, s15, v61
	s_movk_i32 s12, 0x90
	s_movk_i32 s8, 0x70
	;; [unrolled: 1-line block ×3, first 2 shown]
	s_add_i32 s56, s12, 16
	v_add_nc_u32_e32 v63, s15, v61
	v_ashrrev_i32_e32 v62, 31, v61
	s_add_i32 s40, s8, 16
	s_add_i32 s57, s9, 16
	v_add_nc_u32_e32 v65, s15, v63
	v_ashrrev_i32_e32 v64, 31, v63
	v_lshlrev_b64 v[61:62], 4, v[61:62]
	v_add_nc_u32_e32 v67, s15, v65
	v_ashrrev_i32_e32 v66, 31, v65
	v_lshlrev_b64 v[63:64], 4, v[63:64]
	v_add_co_u32 v127, vcc_lo, s4, v61
	v_add_nc_u32_e32 v133, s15, v67
	v_ashrrev_i32_e32 v68, 31, v67
	v_lshlrev_b64 v[131:132], 4, v[65:66]
	v_add_co_ci_u32_e64 v128, null, s5, v62, vcc_lo
	v_add_nc_u32_e32 v137, s15, v133
	v_ashrrev_i32_e32 v134, 31, v133
	v_lshlrev_b64 v[135:136], 4, v[67:68]
	v_add_co_u32 v129, vcc_lo, s4, v63
	v_add_nc_u32_e32 v141, s15, v137
	v_lshlrev_b64 v[139:140], 4, v[133:134]
	v_add_co_ci_u32_e64 v130, null, s5, v64, vcc_lo
	v_add_co_u32 v131, vcc_lo, s4, v131
	v_ashrrev_i32_e32 v142, 31, v141
	v_add_nc_u32_e32 v143, s15, v141
	v_add_co_ci_u32_e64 v132, null, s5, v132, vcc_lo
	v_add_co_u32 v133, vcc_lo, s4, v135
	v_add_co_ci_u32_e64 v134, null, s5, v136, vcc_lo
	v_add_co_u32 v135, vcc_lo, s4, v139
	v_ashrrev_i32_e32 v138, 31, v137
	v_add_co_ci_u32_e64 v136, null, s5, v140, vcc_lo
	v_lshlrev_b64 v[139:140], 4, v[141:142]
	v_add_nc_u32_e32 v141, s15, v143
	v_ashrrev_i32_e32 v144, 31, v143
	v_lshlrev_b64 v[137:138], 4, v[137:138]
	s_clause 0x3
	global_load_dwordx4 v[65:68], v[127:128], off
	global_load_dwordx4 v[61:64], v[129:130], off
	;; [unrolled: 1-line block ×4, first 2 shown]
	v_add_nc_u32_e32 v182, s15, v141
	v_ashrrev_i32_e32 v142, 31, v141
	v_lshlrev_b64 v[143:144], 4, v[143:144]
	v_add_co_u32 v137, vcc_lo, s4, v137
	v_add_nc_u32_e32 v186, s15, v182
	v_add_co_ci_u32_e64 v138, null, s5, v138, vcc_lo
	v_add_co_u32 v139, vcc_lo, s4, v139
	v_lshlrev_b64 v[184:185], 4, v[141:142]
	v_add_co_ci_u32_e64 v140, null, s5, v140, vcc_lo
	v_add_co_u32 v141, vcc_lo, s4, v143
	v_ashrrev_i32_e32 v183, 31, v182
	v_add_nc_u32_e32 v190, s15, v186
	v_add_co_ci_u32_e64 v142, null, s5, v144, vcc_lo
	v_add_co_u32 v143, vcc_lo, s4, v184
	s_clause 0x1
	global_load_dwordx4 v[174:177], v[135:136], off
	global_load_dwordx4 v[178:181], v[137:138], off
	v_lshlrev_b64 v[188:189], 4, v[182:183]
	v_add_co_ci_u32_e64 v144, null, s5, v185, vcc_lo
	v_ashrrev_i32_e32 v187, 31, v186
	v_ashrrev_i32_e32 v191, 31, v190
	s_waitcnt vmcnt(28)
	buffer_store_dword v4, off, s[0:3], 0 offset:28
	buffer_store_dword v3, off, s[0:3], 0 offset:24
	;; [unrolled: 1-line block ×4, first 2 shown]
	s_waitcnt vmcnt(27)
	buffer_store_dword v148, off, s[0:3], 0 offset:44
	buffer_store_dword v147, off, s[0:3], 0 offset:40
	;; [unrolled: 1-line block ×4, first 2 shown]
	s_clause 0x1
	global_load_dwordx4 v[1:4], v[139:140], off
	global_load_dwordx4 v[182:185], v[141:142], off
	s_waitcnt vmcnt(28)
	buffer_store_dword v152, off, s[0:3], 0 offset:60
	buffer_store_dword v151, off, s[0:3], 0 offset:56
	;; [unrolled: 1-line block ×4, first 2 shown]
	v_add_nc_u32_e32 v149, s15, v190
	v_lshlrev_b64 v[147:148], 4, v[186:187]
	v_add_co_u32 v145, vcc_lo, s4, v188
	v_lshlrev_b64 v[151:152], 4, v[190:191]
	v_ashrrev_i32_e32 v150, 31, v149
	v_add_nc_u32_e32 v186, s15, v149
	v_add_co_ci_u32_e64 v146, null, s5, v189, vcc_lo
	v_add_co_u32 v147, vcc_lo, s4, v147
	v_lshlrev_b64 v[188:189], 4, v[149:150]
	v_add_nc_u32_e32 v190, s15, v186
	v_ashrrev_i32_e32 v187, 31, v186
	v_add_co_ci_u32_e64 v148, null, s5, v148, vcc_lo
	v_add_co_u32 v149, vcc_lo, s4, v151
	v_add_co_ci_u32_e64 v150, null, s5, v152, vcc_lo
	v_ashrrev_i32_e32 v191, 31, v190
	v_add_co_u32 v151, vcc_lo, s4, v188
	v_add_nc_u32_e32 v188, s15, v190
	v_lshlrev_b64 v[186:187], 4, v[186:187]
	s_waitcnt vmcnt(26)
	buffer_store_dword v157, off, s[0:3], 0 offset:76
	buffer_store_dword v156, off, s[0:3], 0 offset:72
	buffer_store_dword v155, off, s[0:3], 0 offset:68
	buffer_store_dword v154, off, s[0:3], 0 offset:64
	buffer_store_dword v161, off, s[0:3], 0 offset:92
	buffer_store_dword v160, off, s[0:3], 0 offset:88
	buffer_store_dword v159, off, s[0:3], 0 offset:84
	buffer_store_dword v158, off, s[0:3], 0 offset:80
	s_clause 0x1
	global_load_dwordx4 v[154:157], v[143:144], off
	global_load_dwordx4 v[158:161], v[145:146], off
	s_waitcnt vmcnt(26)
	buffer_store_dword v165, off, s[0:3], 0 offset:108
	buffer_store_dword v164, off, s[0:3], 0 offset:104
	;; [unrolled: 1-line block ×4, first 2 shown]
	v_add_co_ci_u32_e64 v152, null, s5, v189, vcc_lo
	s_waitcnt vmcnt(24)
	buffer_store_dword v72, off, s[0:3], 0 offset:124
	buffer_store_dword v71, off, s[0:3], 0 offset:120
	;; [unrolled: 1-line block ×8, first 2 shown]
	v_lshlrev_b64 v[71:72], 4, v[190:191]
	v_ashrrev_i32_e32 v189, 31, v188
	v_add_nc_u32_e32 v190, s15, v188
	v_add_co_u32 v69, vcc_lo, s4, v186
	v_add_co_ci_u32_e64 v70, null, s5, v187, vcc_lo
	v_lshlrev_b64 v[186:187], 4, v[188:189]
	v_ashrrev_i32_e32 v191, 31, v190
	v_add_nc_u32_e32 v188, s15, v190
	s_clause 0x1
	global_load_dwordx4 v[73:76], v[147:148], off
	global_load_dwordx4 v[162:165], v[149:150], off
	s_waitcnt vmcnt(24)
	buffer_store_dword v80, off, s[0:3], 0 offset:156
	buffer_store_dword v79, off, s[0:3], 0 offset:152
	;; [unrolled: 1-line block ×4, first 2 shown]
	s_waitcnt vmcnt(22)
	buffer_store_dword v49, off, s[0:3], 0 offset:160
	buffer_store_dword v50, off, s[0:3], 0 offset:164
	;; [unrolled: 1-line block ×8, first 2 shown]
	v_lshlrev_b64 v[51:52], 4, v[190:191]
	v_ashrrev_i32_e32 v189, 31, v188
	v_add_nc_u32_e32 v190, s15, v188
	v_add_co_u32 v71, vcc_lo, s4, v71
	v_add_co_ci_u32_e64 v72, null, s5, v72, vcc_lo
	v_add_co_u32 v49, vcc_lo, s4, v186
	v_add_co_ci_u32_e64 v50, null, s5, v187, vcc_lo
	v_lshlrev_b64 v[186:187], 4, v[188:189]
	v_ashrrev_i32_e32 v191, 31, v190
	v_add_nc_u32_e32 v188, s15, v190
	s_clause 0x1
	global_load_dwordx4 v[53:56], v[151:152], off
	global_load_dwordx4 v[77:80], v[69:70], off
	buffer_store_dword v57, off, s[0:3], 0 offset:192
	buffer_store_dword v58, off, s[0:3], 0 offset:196
	;; [unrolled: 1-line block ×4, first 2 shown]
	s_waitcnt vmcnt(22)
	buffer_store_dword v40, off, s[0:3], 0 offset:220
	buffer_store_dword v39, off, s[0:3], 0 offset:216
	;; [unrolled: 1-line block ×8, first 2 shown]
	v_lshlrev_b64 v[39:40], 4, v[190:191]
	v_ashrrev_i32_e32 v189, 31, v188
	v_add_nc_u32_e32 v190, s15, v188
	v_add_co_u32 v51, vcc_lo, s4, v51
	v_add_co_ci_u32_e64 v52, null, s5, v52, vcc_lo
	v_add_co_u32 v37, vcc_lo, s4, v186
	v_add_co_ci_u32_e64 v38, null, s5, v187, vcc_lo
	v_lshlrev_b64 v[186:187], 4, v[188:189]
	v_add_nc_u32_e32 v188, s15, v190
	s_clause 0x1
	global_load_dwordx4 v[41:44], v[71:72], off
	global_load_dwordx4 v[57:60], v[49:50], off
	buffer_store_dword v48, off, s[0:3], 0 offset:252
	buffer_store_dword v47, off, s[0:3], 0 offset:248
	buffer_store_dword v46, off, s[0:3], 0 offset:244
	buffer_store_dword v45, off, s[0:3], 0 offset:240
	s_waitcnt vmcnt(23)
	buffer_store_dword v28, off, s[0:3], 0 offset:268
	buffer_store_dword v27, off, s[0:3], 0 offset:264
	buffer_store_dword v26, off, s[0:3], 0 offset:260
	buffer_store_dword v25, off, s[0:3], 0 offset:256
	s_waitcnt vmcnt(22)
	buffer_store_dword v32, off, s[0:3], 0 offset:284
	buffer_store_dword v31, off, s[0:3], 0 offset:280
	;; [unrolled: 1-line block ×4, first 2 shown]
	s_clause 0x1
	global_load_dwordx4 v[27:30], v[51:52], off
	global_load_dwordx4 v[45:48], v[37:38], off
	s_waitcnt vmcnt(23)
	buffer_store_dword v36, off, s[0:3], 0 offset:300
	buffer_store_dword v35, off, s[0:3], 0 offset:296
	;; [unrolled: 1-line block ×4, first 2 shown]
	v_add_nc_u32_e32 v35, s15, v188
	v_ashrrev_i32_e32 v191, 31, v190
	v_ashrrev_i32_e32 v189, 31, v188
	v_add_co_u32 v39, vcc_lo, s4, v39
	v_ashrrev_i32_e32 v36, 31, v35
	v_add_co_ci_u32_e64 v40, null, s5, v40, vcc_lo
	v_lshlrev_b64 v[190:191], 4, v[190:191]
	v_add_co_u32 v25, vcc_lo, s4, v186
	v_add_co_ci_u32_e64 v26, null, s5, v187, vcc_lo
	v_lshlrev_b64 v[186:187], 4, v[188:189]
	s_waitcnt vmcnt(22)
	buffer_store_dword v8, off, s[0:3], 0 offset:316
	buffer_store_dword v7, off, s[0:3], 0 offset:312
	;; [unrolled: 1-line block ×4, first 2 shown]
	s_waitcnt vmcnt(21)
	buffer_store_dword v20, off, s[0:3], 0 offset:332
	buffer_store_dword v19, off, s[0:3], 0 offset:328
	;; [unrolled: 1-line block ×4, first 2 shown]
	v_lshlrev_b64 v[7:8], 4, v[35:36]
	v_add_co_u32 v5, vcc_lo, s4, v190
	s_clause 0x1
	global_load_dwordx4 v[17:20], v[39:40], off
	global_load_dwordx4 v[31:34], v[25:26], off
	v_add_co_ci_u32_e64 v6, null, s5, v191, vcc_lo
	s_waitcnt vmcnt(22)
	buffer_store_dword v16, off, s[0:3], 0 offset:348
	buffer_store_dword v15, off, s[0:3], 0 offset:344
	;; [unrolled: 1-line block ×4, first 2 shown]
	s_waitcnt vmcnt(21)
	buffer_store_dword v24, off, s[0:3], 0 offset:364
	buffer_store_dword v23, off, s[0:3], 0 offset:360
	;; [unrolled: 1-line block ×4, first 2 shown]
	s_waitcnt vmcnt(20)
	buffer_store_dword v12, off, s[0:3], 0 offset:380
	v_add_co_u32 v12, vcc_lo, s4, v186
	v_add_co_ci_u32_e64 v13, null, s5, v187, vcc_lo
	v_add_co_u32 v7, vcc_lo, s4, v7
	v_add_co_ci_u32_e64 v8, null, s5, v8, vcc_lo
	s_clause 0x1
	global_load_dwordx4 v[21:24], v[5:6], off
	global_load_dwordx4 v[186:189], v[12:13], off
	buffer_store_dword v11, off, s[0:3], 0 offset:376
	buffer_store_dword v10, off, s[0:3], 0 offset:372
	;; [unrolled: 1-line block ×3, first 2 shown]
	global_load_dwordx4 v[190:193], v[7:8], off
	s_movk_i32 s4, 0x50
	s_movk_i32 s5, 0x60
	s_add_i32 s44, s4, 16
	s_add_i32 s42, s5, 16
	s_movk_i32 s4, 0xa0
	s_movk_i32 s5, 0xb0
	s_add_i32 s55, s4, 16
	s_add_i32 s54, s5, 16
	;; [unrolled: 4-line block ×19, first 2 shown]
	s_bitcmp0_b32 s59, 0
	s_mov_b32 s5, -1
	s_waitcnt vmcnt(22)
	buffer_store_dword v68, off, s[0:3], 0 offset:396
	buffer_store_dword v67, off, s[0:3], 0 offset:392
	buffer_store_dword v66, off, s[0:3], 0 offset:388
	buffer_store_dword v65, off, s[0:3], 0 offset:384
	s_waitcnt vmcnt(21)
	buffer_store_dword v64, off, s[0:3], 0 offset:412
	buffer_store_dword v63, off, s[0:3], 0 offset:408
	buffer_store_dword v62, off, s[0:3], 0 offset:404
	buffer_store_dword v61, off, s[0:3], 0 offset:400
	;; [unrolled: 5-line block ×23, first 2 shown]
	s_cbranch_scc1 .LBB45_196
; %bb.4:
	v_cmp_eq_u32_e64 s4, 0, v0
	s_and_saveexec_b32 s5, s4
; %bb.5:
	v_mov_b32_e32 v1, 0
	ds_write_b32 v1, v1 offset:1472
; %bb.6:
	s_or_b32 exec_lo, exec_lo, s5
	v_lshl_add_u32 v11, v0, 4, 16
	s_waitcnt lgkmcnt(0)
	s_waitcnt_vscnt null, 0x0
	s_barrier
	buffer_gl0_inv
	s_clause 0x3
	buffer_load_dword v1, v11, s[0:3], 0 offen
	buffer_load_dword v2, v11, s[0:3], 0 offen offset:4
	buffer_load_dword v3, v11, s[0:3], 0 offen offset:8
	;; [unrolled: 1-line block ×3, first 2 shown]
	s_waitcnt vmcnt(2)
	v_cmp_eq_f64_e32 vcc_lo, 0, v[1:2]
	s_waitcnt vmcnt(0)
	v_cmp_eq_f64_e64 s5, 0, v[3:4]
	s_and_b32 s5, vcc_lo, s5
	s_and_saveexec_b32 s59, s5
	s_cbranch_execz .LBB45_10
; %bb.7:
	v_mov_b32_e32 v1, 0
	s_mov_b32 s60, 0
	ds_read_b32 v2, v1 offset:1472
	s_waitcnt lgkmcnt(0)
	v_readfirstlane_b32 s5, v2
	v_add_nc_u32_e32 v2, 1, v0
	s_cmp_eq_u32 s5, 0
	v_cmp_gt_i32_e32 vcc_lo, s5, v2
	s_cselect_b32 s61, -1, 0
	s_or_b32 s61, s61, vcc_lo
	s_and_b32 exec_lo, exec_lo, s61
	s_cbranch_execz .LBB45_10
; %bb.8:
	v_mov_b32_e32 v3, s5
.LBB45_9:                               ; =>This Inner Loop Header: Depth=1
	ds_cmpst_rtn_b32 v3, v1, v3, v2 offset:1472
	s_waitcnt lgkmcnt(0)
	v_cmp_ne_u32_e32 vcc_lo, 0, v3
	v_cmp_le_i32_e64 s5, v3, v2
	s_and_b32 s5, vcc_lo, s5
	s_and_b32 s5, exec_lo, s5
	s_or_b32 s60, s5, s60
	s_andn2_b32 exec_lo, exec_lo, s60
	s_cbranch_execnz .LBB45_9
.LBB45_10:
	s_or_b32 exec_lo, exec_lo, s59
	v_mov_b32_e32 v1, 0
	s_barrier
	buffer_gl0_inv
	ds_read_b32 v2, v1 offset:1472
	s_and_saveexec_b32 s5, s4
	s_cbranch_execz .LBB45_12
; %bb.11:
	s_lshl_b64 s[60:61], s[6:7], 2
	s_add_u32 s60, s10, s60
	s_addc_u32 s61, s11, s61
	s_waitcnt lgkmcnt(0)
	global_store_dword v1, v2, s[60:61]
.LBB45_12:
	s_or_b32 exec_lo, exec_lo, s5
	s_waitcnt lgkmcnt(0)
	v_cmp_ne_u32_e32 vcc_lo, 0, v2
	s_mov_b32 s5, 0
	s_cbranch_vccnz .LBB45_196
; %bb.13:
	s_clause 0x3
	buffer_load_dword v14, v11, s[0:3], 0 offen
	buffer_load_dword v15, v11, s[0:3], 0 offen offset:4
	buffer_load_dword v16, v11, s[0:3], 0 offen offset:8
	;; [unrolled: 1-line block ×3, first 2 shown]
                                        ; implicit-def: $vgpr9_vgpr10
                                        ; implicit-def: $vgpr3_vgpr4
	s_waitcnt vmcnt(0)
	v_cmp_ngt_f64_e64 s5, |v[14:15]|, |v[16:17]|
	s_and_saveexec_b32 s59, s5
	s_xor_b32 s5, exec_lo, s59
	s_cbranch_execz .LBB45_15
; %bb.14:
	v_div_scale_f64 v[1:2], null, v[16:17], v[16:17], v[14:15]
	v_div_scale_f64 v[18:19], vcc_lo, v[14:15], v[16:17], v[14:15]
	v_rcp_f64_e32 v[3:4], v[1:2]
	v_fma_f64 v[9:10], -v[1:2], v[3:4], 1.0
	v_fma_f64 v[3:4], v[3:4], v[9:10], v[3:4]
	v_fma_f64 v[9:10], -v[1:2], v[3:4], 1.0
	v_fma_f64 v[3:4], v[3:4], v[9:10], v[3:4]
	v_mul_f64 v[9:10], v[18:19], v[3:4]
	v_fma_f64 v[1:2], -v[1:2], v[9:10], v[18:19]
	v_div_fmas_f64 v[1:2], v[1:2], v[3:4], v[9:10]
	v_div_fixup_f64 v[1:2], v[1:2], v[16:17], v[14:15]
	v_fma_f64 v[3:4], v[14:15], v[1:2], v[16:17]
	v_div_scale_f64 v[9:10], null, v[3:4], v[3:4], 1.0
	v_div_scale_f64 v[18:19], vcc_lo, 1.0, v[3:4], 1.0
	v_rcp_f64_e32 v[14:15], v[9:10]
	v_fma_f64 v[16:17], -v[9:10], v[14:15], 1.0
	v_fma_f64 v[14:15], v[14:15], v[16:17], v[14:15]
	v_fma_f64 v[16:17], -v[9:10], v[14:15], 1.0
	v_fma_f64 v[14:15], v[14:15], v[16:17], v[14:15]
	v_mul_f64 v[16:17], v[18:19], v[14:15]
	v_fma_f64 v[9:10], -v[9:10], v[16:17], v[18:19]
	v_div_fmas_f64 v[9:10], v[9:10], v[14:15], v[16:17]
                                        ; implicit-def: $vgpr14_vgpr15
                                        ; implicit-def: $vgpr16_vgpr17
	v_div_fixup_f64 v[3:4], v[9:10], v[3:4], 1.0
	v_mul_f64 v[9:10], v[1:2], v[3:4]
	v_xor_b32_e32 v4, 0x80000000, v4
	v_xor_b32_e32 v2, 0x80000000, v10
	v_mov_b32_e32 v1, v9
.LBB45_15:
	s_andn2_saveexec_b32 s5, s5
	s_cbranch_execz .LBB45_17
; %bb.16:
	v_div_scale_f64 v[1:2], null, v[14:15], v[14:15], v[16:17]
	v_div_scale_f64 v[18:19], vcc_lo, v[16:17], v[14:15], v[16:17]
	v_rcp_f64_e32 v[3:4], v[1:2]
	v_fma_f64 v[9:10], -v[1:2], v[3:4], 1.0
	v_fma_f64 v[3:4], v[3:4], v[9:10], v[3:4]
	v_fma_f64 v[9:10], -v[1:2], v[3:4], 1.0
	v_fma_f64 v[3:4], v[3:4], v[9:10], v[3:4]
	v_mul_f64 v[9:10], v[18:19], v[3:4]
	v_fma_f64 v[1:2], -v[1:2], v[9:10], v[18:19]
	v_div_fmas_f64 v[1:2], v[1:2], v[3:4], v[9:10]
	v_div_fixup_f64 v[1:2], v[1:2], v[14:15], v[16:17]
	v_fma_f64 v[3:4], v[16:17], v[1:2], v[14:15]
	v_div_scale_f64 v[9:10], null, v[3:4], v[3:4], 1.0
	v_rcp_f64_e32 v[14:15], v[9:10]
	v_fma_f64 v[16:17], -v[9:10], v[14:15], 1.0
	v_fma_f64 v[14:15], v[14:15], v[16:17], v[14:15]
	v_fma_f64 v[16:17], -v[9:10], v[14:15], 1.0
	v_fma_f64 v[14:15], v[14:15], v[16:17], v[14:15]
	v_div_scale_f64 v[16:17], vcc_lo, 1.0, v[3:4], 1.0
	v_mul_f64 v[18:19], v[16:17], v[14:15]
	v_fma_f64 v[9:10], -v[9:10], v[18:19], v[16:17]
	v_div_fmas_f64 v[9:10], v[9:10], v[14:15], v[18:19]
	v_div_fixup_f64 v[9:10], v[9:10], v[3:4], 1.0
	v_mul_f64 v[3:4], v[1:2], -v[9:10]
	v_xor_b32_e32 v2, 0x80000000, v10
	v_mov_b32_e32 v1, v9
.LBB45_17:
	s_or_b32 exec_lo, exec_lo, s5
	v_mov_b32_e32 v14, s53
	buffer_store_dword v10, v11, s[0:3], 0 offen offset:4
	buffer_store_dword v9, v11, s[0:3], 0 offen
	buffer_store_dword v4, v11, s[0:3], 0 offen offset:12
	buffer_store_dword v3, v11, s[0:3], 0 offen offset:8
	v_xor_b32_e32 v4, 0x80000000, v4
	v_add_nc_u32_e32 v9, 0x2e0, v153
	s_clause 0x3
	buffer_load_dword v17, v14, s[0:3], 0 offen offset:12
	buffer_load_dword v16, v14, s[0:3], 0 offen offset:8
	buffer_load_dword v15, v14, s[0:3], 0 offen offset:4
	buffer_load_dword v14, v14, s[0:3], 0 offen
	ds_write_b128 v153, v[1:4]
	s_waitcnt vmcnt(0)
	ds_write_b128 v153, v[14:17] offset:736
	s_waitcnt lgkmcnt(0)
	s_waitcnt_vscnt null, 0x0
	s_barrier
	buffer_gl0_inv
	s_and_saveexec_b32 s5, s4
	s_cbranch_execz .LBB45_19
; %bb.18:
	s_clause 0x3
	buffer_load_dword v18, v11, s[0:3], 0 offen offset:8
	buffer_load_dword v19, v11, s[0:3], 0 offen offset:12
	buffer_load_dword v20, v11, s[0:3], 0 offen
	buffer_load_dword v21, v11, s[0:3], 0 offen offset:4
	ds_read_b128 v[1:4], v9
	v_mov_b32_e32 v10, 0
	ds_read_b128 v[14:17], v10 offset:16
	s_waitcnt vmcnt(2) lgkmcnt(1)
	v_mul_f64 v[22:23], v[1:2], v[18:19]
	v_mul_f64 v[18:19], v[3:4], v[18:19]
	s_waitcnt vmcnt(0)
	v_fma_f64 v[3:4], v[3:4], v[20:21], v[22:23]
	v_fma_f64 v[1:2], v[1:2], v[20:21], -v[18:19]
	v_add_f64 v[3:4], v[3:4], 0
	v_add_f64 v[1:2], v[1:2], 0
	s_waitcnt lgkmcnt(0)
	v_mul_f64 v[18:19], v[3:4], v[16:17]
	v_mul_f64 v[16:17], v[1:2], v[16:17]
	v_fma_f64 v[1:2], v[1:2], v[14:15], -v[18:19]
	v_fma_f64 v[3:4], v[3:4], v[14:15], v[16:17]
	buffer_store_dword v1, off, s[0:3], 0 offset:32
	buffer_store_dword v2, off, s[0:3], 0 offset:36
	;; [unrolled: 1-line block ×4, first 2 shown]
.LBB45_19:
	s_or_b32 exec_lo, exec_lo, s5
	v_mov_b32_e32 v4, s51
	s_waitcnt_vscnt null, 0x0
	s_barrier
	buffer_gl0_inv
	s_mov_b32 s5, exec_lo
	s_clause 0x3
	buffer_load_dword v1, v4, s[0:3], 0 offen
	buffer_load_dword v2, v4, s[0:3], 0 offen offset:4
	buffer_load_dword v3, v4, s[0:3], 0 offen offset:8
	;; [unrolled: 1-line block ×3, first 2 shown]
	s_waitcnt vmcnt(0)
	ds_write_b128 v9, v[1:4]
	s_waitcnt lgkmcnt(0)
	s_barrier
	buffer_gl0_inv
	v_cmpx_gt_u32_e32 2, v0
	s_cbranch_execz .LBB45_23
; %bb.20:
	s_clause 0x3
	buffer_load_dword v14, v11, s[0:3], 0 offen offset:8
	buffer_load_dword v15, v11, s[0:3], 0 offen offset:12
	buffer_load_dword v10, v11, s[0:3], 0 offen
	buffer_load_dword v11, v11, s[0:3], 0 offen offset:4
	ds_read_b128 v[1:4], v9
	s_waitcnt vmcnt(2) lgkmcnt(0)
	v_mul_f64 v[16:17], v[3:4], v[14:15]
	v_mul_f64 v[14:15], v[1:2], v[14:15]
	s_waitcnt vmcnt(0)
	v_fma_f64 v[1:2], v[1:2], v[10:11], -v[16:17]
	v_fma_f64 v[3:4], v[3:4], v[10:11], v[14:15]
	v_add_f64 v[1:2], v[1:2], 0
	v_add_f64 v[3:4], v[3:4], 0
	s_and_saveexec_b32 s59, s4
	s_cbranch_execz .LBB45_22
; %bb.21:
	s_clause 0x3
	buffer_load_dword v10, off, s[0:3], 0 offset:40
	buffer_load_dword v11, off, s[0:3], 0 offset:44
	;; [unrolled: 1-line block ×4, first 2 shown]
	v_mov_b32_e32 v14, 0
	ds_read_b128 v[14:17], v14 offset:752
	s_waitcnt vmcnt(2) lgkmcnt(0)
	v_mul_f64 v[20:21], v[14:15], v[10:11]
	v_mul_f64 v[10:11], v[16:17], v[10:11]
	s_waitcnt vmcnt(0)
	v_fma_f64 v[16:17], v[16:17], v[18:19], v[20:21]
	v_fma_f64 v[10:11], v[14:15], v[18:19], -v[10:11]
	v_add_f64 v[3:4], v[3:4], v[16:17]
	v_add_f64 v[1:2], v[1:2], v[10:11]
.LBB45_22:
	s_or_b32 exec_lo, exec_lo, s59
	v_mov_b32_e32 v10, 0
	ds_read_b128 v[14:17], v10 offset:32
	s_waitcnt lgkmcnt(0)
	v_mul_f64 v[10:11], v[3:4], v[16:17]
	v_mul_f64 v[16:17], v[1:2], v[16:17]
	v_fma_f64 v[1:2], v[1:2], v[14:15], -v[10:11]
	v_fma_f64 v[3:4], v[3:4], v[14:15], v[16:17]
	buffer_store_dword v2, off, s[0:3], 0 offset:52
	buffer_store_dword v1, off, s[0:3], 0 offset:48
	;; [unrolled: 1-line block ×4, first 2 shown]
.LBB45_23:
	s_or_b32 exec_lo, exec_lo, s5
	v_mov_b32_e32 v4, s49
	s_waitcnt_vscnt null, 0x0
	s_barrier
	buffer_gl0_inv
	v_add_nc_u32_e32 v10, -1, v0
	s_clause 0x3
	buffer_load_dword v1, v4, s[0:3], 0 offen
	buffer_load_dword v2, v4, s[0:3], 0 offen offset:4
	buffer_load_dword v3, v4, s[0:3], 0 offen offset:8
	;; [unrolled: 1-line block ×3, first 2 shown]
	s_mov_b32 s4, exec_lo
	s_waitcnt vmcnt(0)
	ds_write_b128 v9, v[1:4]
	s_waitcnt lgkmcnt(0)
	s_barrier
	buffer_gl0_inv
	v_cmpx_gt_u32_e32 3, v0
	s_cbranch_execz .LBB45_27
; %bb.24:
	v_mov_b32_e32 v1, 0
	v_mov_b32_e32 v3, 0
	v_add_nc_u32_e32 v11, -1, v0
	v_add_nc_u32_e32 v14, 0x2e0, v153
	v_mov_b32_e32 v2, 0
	v_mov_b32_e32 v4, 0
	v_add_nc_u32_e32 v15, 16, v153
	s_mov_b32 s5, 0
	.p2align	6
.LBB45_25:                              ; =>This Inner Loop Header: Depth=1
	s_clause 0x3
	buffer_load_dword v20, v15, s[0:3], 0 offen offset:8
	buffer_load_dword v21, v15, s[0:3], 0 offen offset:12
	buffer_load_dword v22, v15, s[0:3], 0 offen
	buffer_load_dword v23, v15, s[0:3], 0 offen offset:4
	ds_read_b128 v[16:19], v14
	v_add_nc_u32_e32 v11, 1, v11
	v_add_nc_u32_e32 v14, 16, v14
	;; [unrolled: 1-line block ×3, first 2 shown]
	v_cmp_lt_u32_e32 vcc_lo, 1, v11
	s_or_b32 s5, vcc_lo, s5
	s_waitcnt vmcnt(2) lgkmcnt(0)
	v_mul_f64 v[27:28], v[18:19], v[20:21]
	v_mul_f64 v[20:21], v[16:17], v[20:21]
	s_waitcnt vmcnt(0)
	v_fma_f64 v[16:17], v[16:17], v[22:23], -v[27:28]
	v_fma_f64 v[18:19], v[18:19], v[22:23], v[20:21]
	v_add_f64 v[3:4], v[3:4], v[16:17]
	v_add_f64 v[1:2], v[1:2], v[18:19]
	s_andn2_b32 exec_lo, exec_lo, s5
	s_cbranch_execnz .LBB45_25
; %bb.26:
	s_or_b32 exec_lo, exec_lo, s5
	v_mov_b32_e32 v11, 0
	ds_read_b128 v[14:17], v11 offset:48
	s_waitcnt lgkmcnt(0)
	v_mul_f64 v[18:19], v[1:2], v[16:17]
	v_mul_f64 v[16:17], v[3:4], v[16:17]
	v_fma_f64 v[3:4], v[3:4], v[14:15], -v[18:19]
	v_fma_f64 v[1:2], v[1:2], v[14:15], v[16:17]
	buffer_store_dword v4, off, s[0:3], 0 offset:68
	buffer_store_dword v3, off, s[0:3], 0 offset:64
	;; [unrolled: 1-line block ×4, first 2 shown]
.LBB45_27:
	s_or_b32 exec_lo, exec_lo, s4
	v_mov_b32_e32 v4, s47
	s_waitcnt_vscnt null, 0x0
	s_barrier
	buffer_gl0_inv
	s_mov_b32 s4, exec_lo
	s_clause 0x3
	buffer_load_dword v1, v4, s[0:3], 0 offen
	buffer_load_dword v2, v4, s[0:3], 0 offen offset:4
	buffer_load_dword v3, v4, s[0:3], 0 offen offset:8
	;; [unrolled: 1-line block ×3, first 2 shown]
	s_waitcnt vmcnt(0)
	ds_write_b128 v9, v[1:4]
	s_waitcnt lgkmcnt(0)
	s_barrier
	buffer_gl0_inv
	v_cmpx_gt_u32_e32 4, v0
	s_cbranch_execz .LBB45_31
; %bb.28:
	v_mov_b32_e32 v1, 0
	v_mov_b32_e32 v3, 0
	v_add_nc_u32_e32 v11, -1, v0
	v_add_nc_u32_e32 v14, 0x2e0, v153
	v_mov_b32_e32 v2, 0
	v_mov_b32_e32 v4, 0
	v_add_nc_u32_e32 v15, 16, v153
	s_mov_b32 s5, 0
	.p2align	6
.LBB45_29:                              ; =>This Inner Loop Header: Depth=1
	s_clause 0x3
	buffer_load_dword v20, v15, s[0:3], 0 offen offset:8
	buffer_load_dword v21, v15, s[0:3], 0 offen offset:12
	buffer_load_dword v22, v15, s[0:3], 0 offen
	buffer_load_dword v23, v15, s[0:3], 0 offen offset:4
	ds_read_b128 v[16:19], v14
	v_add_nc_u32_e32 v11, 1, v11
	v_add_nc_u32_e32 v14, 16, v14
	;; [unrolled: 1-line block ×3, first 2 shown]
	v_cmp_lt_u32_e32 vcc_lo, 2, v11
	s_or_b32 s5, vcc_lo, s5
	s_waitcnt vmcnt(2) lgkmcnt(0)
	v_mul_f64 v[27:28], v[18:19], v[20:21]
	v_mul_f64 v[20:21], v[16:17], v[20:21]
	s_waitcnt vmcnt(0)
	v_fma_f64 v[16:17], v[16:17], v[22:23], -v[27:28]
	v_fma_f64 v[18:19], v[18:19], v[22:23], v[20:21]
	v_add_f64 v[3:4], v[3:4], v[16:17]
	v_add_f64 v[1:2], v[1:2], v[18:19]
	s_andn2_b32 exec_lo, exec_lo, s5
	s_cbranch_execnz .LBB45_29
; %bb.30:
	s_or_b32 exec_lo, exec_lo, s5
	v_mov_b32_e32 v11, 0
	ds_read_b128 v[14:17], v11 offset:64
	s_waitcnt lgkmcnt(0)
	v_mul_f64 v[18:19], v[1:2], v[16:17]
	v_mul_f64 v[16:17], v[3:4], v[16:17]
	v_fma_f64 v[3:4], v[3:4], v[14:15], -v[18:19]
	v_fma_f64 v[1:2], v[1:2], v[14:15], v[16:17]
	buffer_store_dword v4, off, s[0:3], 0 offset:84
	buffer_store_dword v3, off, s[0:3], 0 offset:80
	buffer_store_dword v2, off, s[0:3], 0 offset:92
	buffer_store_dword v1, off, s[0:3], 0 offset:88
.LBB45_31:
	s_or_b32 exec_lo, exec_lo, s4
	v_mov_b32_e32 v4, s44
	s_waitcnt_vscnt null, 0x0
	s_barrier
	buffer_gl0_inv
	s_mov_b32 s4, exec_lo
	s_clause 0x3
	buffer_load_dword v1, v4, s[0:3], 0 offen
	buffer_load_dword v2, v4, s[0:3], 0 offen offset:4
	buffer_load_dword v3, v4, s[0:3], 0 offen offset:8
	buffer_load_dword v4, v4, s[0:3], 0 offen offset:12
	s_waitcnt vmcnt(0)
	ds_write_b128 v9, v[1:4]
	s_waitcnt lgkmcnt(0)
	s_barrier
	buffer_gl0_inv
	v_cmpx_gt_u32_e32 5, v0
	s_cbranch_execz .LBB45_35
; %bb.32:
	v_mov_b32_e32 v1, 0
	v_mov_b32_e32 v3, 0
	v_add_nc_u32_e32 v11, -1, v0
	v_add_nc_u32_e32 v14, 0x2e0, v153
	v_mov_b32_e32 v2, 0
	v_mov_b32_e32 v4, 0
	v_add_nc_u32_e32 v15, 16, v153
	s_mov_b32 s5, 0
	.p2align	6
.LBB45_33:                              ; =>This Inner Loop Header: Depth=1
	s_clause 0x3
	buffer_load_dword v20, v15, s[0:3], 0 offen offset:8
	buffer_load_dword v21, v15, s[0:3], 0 offen offset:12
	buffer_load_dword v22, v15, s[0:3], 0 offen
	buffer_load_dword v23, v15, s[0:3], 0 offen offset:4
	ds_read_b128 v[16:19], v14
	v_add_nc_u32_e32 v11, 1, v11
	v_add_nc_u32_e32 v14, 16, v14
	;; [unrolled: 1-line block ×3, first 2 shown]
	v_cmp_lt_u32_e32 vcc_lo, 3, v11
	s_or_b32 s5, vcc_lo, s5
	s_waitcnt vmcnt(2) lgkmcnt(0)
	v_mul_f64 v[27:28], v[18:19], v[20:21]
	v_mul_f64 v[20:21], v[16:17], v[20:21]
	s_waitcnt vmcnt(0)
	v_fma_f64 v[16:17], v[16:17], v[22:23], -v[27:28]
	v_fma_f64 v[18:19], v[18:19], v[22:23], v[20:21]
	v_add_f64 v[3:4], v[3:4], v[16:17]
	v_add_f64 v[1:2], v[1:2], v[18:19]
	s_andn2_b32 exec_lo, exec_lo, s5
	s_cbranch_execnz .LBB45_33
; %bb.34:
	s_or_b32 exec_lo, exec_lo, s5
	v_mov_b32_e32 v11, 0
	ds_read_b128 v[14:17], v11 offset:80
	s_waitcnt lgkmcnt(0)
	v_mul_f64 v[18:19], v[1:2], v[16:17]
	v_mul_f64 v[16:17], v[3:4], v[16:17]
	v_fma_f64 v[3:4], v[3:4], v[14:15], -v[18:19]
	v_fma_f64 v[1:2], v[1:2], v[14:15], v[16:17]
	buffer_store_dword v4, off, s[0:3], 0 offset:100
	buffer_store_dword v3, off, s[0:3], 0 offset:96
	;; [unrolled: 1-line block ×4, first 2 shown]
.LBB45_35:
	s_or_b32 exec_lo, exec_lo, s4
	v_mov_b32_e32 v4, s42
	s_waitcnt_vscnt null, 0x0
	s_barrier
	buffer_gl0_inv
	s_mov_b32 s4, exec_lo
	s_clause 0x3
	buffer_load_dword v1, v4, s[0:3], 0 offen
	buffer_load_dword v2, v4, s[0:3], 0 offen offset:4
	buffer_load_dword v3, v4, s[0:3], 0 offen offset:8
	;; [unrolled: 1-line block ×3, first 2 shown]
	s_waitcnt vmcnt(0)
	ds_write_b128 v9, v[1:4]
	s_waitcnt lgkmcnt(0)
	s_barrier
	buffer_gl0_inv
	v_cmpx_gt_u32_e32 6, v0
	s_cbranch_execz .LBB45_39
; %bb.36:
	v_mov_b32_e32 v1, 0
	v_mov_b32_e32 v3, 0
	v_add_nc_u32_e32 v11, -1, v0
	v_add_nc_u32_e32 v14, 0x2e0, v153
	v_mov_b32_e32 v2, 0
	v_mov_b32_e32 v4, 0
	v_add_nc_u32_e32 v15, 16, v153
	s_mov_b32 s5, 0
	.p2align	6
.LBB45_37:                              ; =>This Inner Loop Header: Depth=1
	s_clause 0x3
	buffer_load_dword v20, v15, s[0:3], 0 offen offset:8
	buffer_load_dword v21, v15, s[0:3], 0 offen offset:12
	buffer_load_dword v22, v15, s[0:3], 0 offen
	buffer_load_dword v23, v15, s[0:3], 0 offen offset:4
	ds_read_b128 v[16:19], v14
	v_add_nc_u32_e32 v11, 1, v11
	v_add_nc_u32_e32 v14, 16, v14
	v_add_nc_u32_e32 v15, 16, v15
	v_cmp_lt_u32_e32 vcc_lo, 4, v11
	s_or_b32 s5, vcc_lo, s5
	s_waitcnt vmcnt(2) lgkmcnt(0)
	v_mul_f64 v[27:28], v[18:19], v[20:21]
	v_mul_f64 v[20:21], v[16:17], v[20:21]
	s_waitcnt vmcnt(0)
	v_fma_f64 v[16:17], v[16:17], v[22:23], -v[27:28]
	v_fma_f64 v[18:19], v[18:19], v[22:23], v[20:21]
	v_add_f64 v[3:4], v[3:4], v[16:17]
	v_add_f64 v[1:2], v[1:2], v[18:19]
	s_andn2_b32 exec_lo, exec_lo, s5
	s_cbranch_execnz .LBB45_37
; %bb.38:
	s_or_b32 exec_lo, exec_lo, s5
	v_mov_b32_e32 v11, 0
	ds_read_b128 v[14:17], v11 offset:96
	s_waitcnt lgkmcnt(0)
	v_mul_f64 v[18:19], v[1:2], v[16:17]
	v_mul_f64 v[16:17], v[3:4], v[16:17]
	v_fma_f64 v[3:4], v[3:4], v[14:15], -v[18:19]
	v_fma_f64 v[1:2], v[1:2], v[14:15], v[16:17]
	buffer_store_dword v4, off, s[0:3], 0 offset:116
	buffer_store_dword v3, off, s[0:3], 0 offset:112
	buffer_store_dword v2, off, s[0:3], 0 offset:124
	buffer_store_dword v1, off, s[0:3], 0 offset:120
.LBB45_39:
	s_or_b32 exec_lo, exec_lo, s4
	v_mov_b32_e32 v4, s40
	s_waitcnt_vscnt null, 0x0
	s_barrier
	buffer_gl0_inv
	s_mov_b32 s4, exec_lo
	s_clause 0x3
	buffer_load_dword v1, v4, s[0:3], 0 offen
	buffer_load_dword v2, v4, s[0:3], 0 offen offset:4
	buffer_load_dword v3, v4, s[0:3], 0 offen offset:8
	;; [unrolled: 1-line block ×3, first 2 shown]
	s_waitcnt vmcnt(0)
	ds_write_b128 v9, v[1:4]
	s_waitcnt lgkmcnt(0)
	s_barrier
	buffer_gl0_inv
	v_cmpx_gt_u32_e32 7, v0
	s_cbranch_execz .LBB45_43
; %bb.40:
	v_mov_b32_e32 v1, 0
	v_mov_b32_e32 v3, 0
	v_add_nc_u32_e32 v11, -1, v0
	v_add_nc_u32_e32 v14, 0x2e0, v153
	v_mov_b32_e32 v2, 0
	v_mov_b32_e32 v4, 0
	v_add_nc_u32_e32 v15, 16, v153
	s_mov_b32 s5, 0
	.p2align	6
.LBB45_41:                              ; =>This Inner Loop Header: Depth=1
	s_clause 0x3
	buffer_load_dword v20, v15, s[0:3], 0 offen offset:8
	buffer_load_dword v21, v15, s[0:3], 0 offen offset:12
	buffer_load_dword v22, v15, s[0:3], 0 offen
	buffer_load_dword v23, v15, s[0:3], 0 offen offset:4
	ds_read_b128 v[16:19], v14
	v_add_nc_u32_e32 v11, 1, v11
	v_add_nc_u32_e32 v14, 16, v14
	;; [unrolled: 1-line block ×3, first 2 shown]
	v_cmp_lt_u32_e32 vcc_lo, 5, v11
	s_or_b32 s5, vcc_lo, s5
	s_waitcnt vmcnt(2) lgkmcnt(0)
	v_mul_f64 v[27:28], v[18:19], v[20:21]
	v_mul_f64 v[20:21], v[16:17], v[20:21]
	s_waitcnt vmcnt(0)
	v_fma_f64 v[16:17], v[16:17], v[22:23], -v[27:28]
	v_fma_f64 v[18:19], v[18:19], v[22:23], v[20:21]
	v_add_f64 v[3:4], v[3:4], v[16:17]
	v_add_f64 v[1:2], v[1:2], v[18:19]
	s_andn2_b32 exec_lo, exec_lo, s5
	s_cbranch_execnz .LBB45_41
; %bb.42:
	s_or_b32 exec_lo, exec_lo, s5
	v_mov_b32_e32 v11, 0
	ds_read_b128 v[14:17], v11 offset:112
	s_waitcnt lgkmcnt(0)
	v_mul_f64 v[18:19], v[1:2], v[16:17]
	v_mul_f64 v[16:17], v[3:4], v[16:17]
	v_fma_f64 v[3:4], v[3:4], v[14:15], -v[18:19]
	v_fma_f64 v[1:2], v[1:2], v[14:15], v[16:17]
	buffer_store_dword v4, off, s[0:3], 0 offset:132
	buffer_store_dword v3, off, s[0:3], 0 offset:128
	;; [unrolled: 1-line block ×4, first 2 shown]
.LBB45_43:
	s_or_b32 exec_lo, exec_lo, s4
	v_mov_b32_e32 v4, s57
	s_waitcnt_vscnt null, 0x0
	s_barrier
	buffer_gl0_inv
	s_mov_b32 s4, exec_lo
	s_clause 0x3
	buffer_load_dword v1, v4, s[0:3], 0 offen
	buffer_load_dword v2, v4, s[0:3], 0 offen offset:4
	buffer_load_dword v3, v4, s[0:3], 0 offen offset:8
	;; [unrolled: 1-line block ×3, first 2 shown]
	s_waitcnt vmcnt(0)
	ds_write_b128 v9, v[1:4]
	s_waitcnt lgkmcnt(0)
	s_barrier
	buffer_gl0_inv
	v_cmpx_gt_u32_e32 8, v0
	s_cbranch_execz .LBB45_47
; %bb.44:
	v_mov_b32_e32 v1, 0
	v_mov_b32_e32 v3, 0
	v_add_nc_u32_e32 v11, -1, v0
	v_add_nc_u32_e32 v14, 0x2e0, v153
	v_mov_b32_e32 v2, 0
	v_mov_b32_e32 v4, 0
	v_add_nc_u32_e32 v15, 16, v153
	s_mov_b32 s5, 0
	.p2align	6
.LBB45_45:                              ; =>This Inner Loop Header: Depth=1
	s_clause 0x3
	buffer_load_dword v20, v15, s[0:3], 0 offen offset:8
	buffer_load_dword v21, v15, s[0:3], 0 offen offset:12
	buffer_load_dword v22, v15, s[0:3], 0 offen
	buffer_load_dword v23, v15, s[0:3], 0 offen offset:4
	ds_read_b128 v[16:19], v14
	v_add_nc_u32_e32 v11, 1, v11
	v_add_nc_u32_e32 v14, 16, v14
	;; [unrolled: 1-line block ×3, first 2 shown]
	v_cmp_lt_u32_e32 vcc_lo, 6, v11
	s_or_b32 s5, vcc_lo, s5
	s_waitcnt vmcnt(2) lgkmcnt(0)
	v_mul_f64 v[27:28], v[18:19], v[20:21]
	v_mul_f64 v[20:21], v[16:17], v[20:21]
	s_waitcnt vmcnt(0)
	v_fma_f64 v[16:17], v[16:17], v[22:23], -v[27:28]
	v_fma_f64 v[18:19], v[18:19], v[22:23], v[20:21]
	v_add_f64 v[3:4], v[3:4], v[16:17]
	v_add_f64 v[1:2], v[1:2], v[18:19]
	s_andn2_b32 exec_lo, exec_lo, s5
	s_cbranch_execnz .LBB45_45
; %bb.46:
	s_or_b32 exec_lo, exec_lo, s5
	v_mov_b32_e32 v11, 0
	ds_read_b128 v[14:17], v11 offset:128
	s_waitcnt lgkmcnt(0)
	v_mul_f64 v[18:19], v[1:2], v[16:17]
	v_mul_f64 v[16:17], v[3:4], v[16:17]
	v_fma_f64 v[3:4], v[3:4], v[14:15], -v[18:19]
	v_fma_f64 v[1:2], v[1:2], v[14:15], v[16:17]
	buffer_store_dword v4, off, s[0:3], 0 offset:148
	buffer_store_dword v3, off, s[0:3], 0 offset:144
	;; [unrolled: 1-line block ×4, first 2 shown]
.LBB45_47:
	s_or_b32 exec_lo, exec_lo, s4
	v_mov_b32_e32 v4, s56
	s_waitcnt_vscnt null, 0x0
	s_barrier
	buffer_gl0_inv
	s_mov_b32 s4, exec_lo
	s_clause 0x3
	buffer_load_dword v1, v4, s[0:3], 0 offen
	buffer_load_dword v2, v4, s[0:3], 0 offen offset:4
	buffer_load_dword v3, v4, s[0:3], 0 offen offset:8
	;; [unrolled: 1-line block ×3, first 2 shown]
	s_waitcnt vmcnt(0)
	ds_write_b128 v9, v[1:4]
	s_waitcnt lgkmcnt(0)
	s_barrier
	buffer_gl0_inv
	v_cmpx_gt_u32_e32 9, v0
	s_cbranch_execz .LBB45_51
; %bb.48:
	v_mov_b32_e32 v1, 0
	v_mov_b32_e32 v3, 0
	v_add_nc_u32_e32 v11, -1, v0
	v_add_nc_u32_e32 v14, 0x2e0, v153
	v_mov_b32_e32 v2, 0
	v_mov_b32_e32 v4, 0
	v_add_nc_u32_e32 v15, 16, v153
	s_mov_b32 s5, 0
	.p2align	6
.LBB45_49:                              ; =>This Inner Loop Header: Depth=1
	s_clause 0x3
	buffer_load_dword v20, v15, s[0:3], 0 offen offset:8
	buffer_load_dword v21, v15, s[0:3], 0 offen offset:12
	buffer_load_dword v22, v15, s[0:3], 0 offen
	buffer_load_dword v23, v15, s[0:3], 0 offen offset:4
	ds_read_b128 v[16:19], v14
	v_add_nc_u32_e32 v11, 1, v11
	v_add_nc_u32_e32 v14, 16, v14
	;; [unrolled: 1-line block ×3, first 2 shown]
	v_cmp_lt_u32_e32 vcc_lo, 7, v11
	s_or_b32 s5, vcc_lo, s5
	s_waitcnt vmcnt(2) lgkmcnt(0)
	v_mul_f64 v[27:28], v[18:19], v[20:21]
	v_mul_f64 v[20:21], v[16:17], v[20:21]
	s_waitcnt vmcnt(0)
	v_fma_f64 v[16:17], v[16:17], v[22:23], -v[27:28]
	v_fma_f64 v[18:19], v[18:19], v[22:23], v[20:21]
	v_add_f64 v[3:4], v[3:4], v[16:17]
	v_add_f64 v[1:2], v[1:2], v[18:19]
	s_andn2_b32 exec_lo, exec_lo, s5
	s_cbranch_execnz .LBB45_49
; %bb.50:
	s_or_b32 exec_lo, exec_lo, s5
	v_mov_b32_e32 v11, 0
	ds_read_b128 v[14:17], v11 offset:144
	s_waitcnt lgkmcnt(0)
	v_mul_f64 v[18:19], v[1:2], v[16:17]
	v_mul_f64 v[16:17], v[3:4], v[16:17]
	v_fma_f64 v[3:4], v[3:4], v[14:15], -v[18:19]
	v_fma_f64 v[1:2], v[1:2], v[14:15], v[16:17]
	buffer_store_dword v4, off, s[0:3], 0 offset:164
	buffer_store_dword v3, off, s[0:3], 0 offset:160
	;; [unrolled: 1-line block ×4, first 2 shown]
.LBB45_51:
	s_or_b32 exec_lo, exec_lo, s4
	v_mov_b32_e32 v4, s55
	s_waitcnt_vscnt null, 0x0
	s_barrier
	buffer_gl0_inv
	s_mov_b32 s4, exec_lo
	s_clause 0x3
	buffer_load_dword v1, v4, s[0:3], 0 offen
	buffer_load_dword v2, v4, s[0:3], 0 offen offset:4
	buffer_load_dword v3, v4, s[0:3], 0 offen offset:8
	;; [unrolled: 1-line block ×3, first 2 shown]
	s_waitcnt vmcnt(0)
	ds_write_b128 v9, v[1:4]
	s_waitcnt lgkmcnt(0)
	s_barrier
	buffer_gl0_inv
	v_cmpx_gt_u32_e32 10, v0
	s_cbranch_execz .LBB45_55
; %bb.52:
	v_mov_b32_e32 v1, 0
	v_mov_b32_e32 v3, 0
	v_add_nc_u32_e32 v11, -1, v0
	v_add_nc_u32_e32 v14, 0x2e0, v153
	v_mov_b32_e32 v2, 0
	v_mov_b32_e32 v4, 0
	v_add_nc_u32_e32 v15, 16, v153
	s_mov_b32 s5, 0
	.p2align	6
.LBB45_53:                              ; =>This Inner Loop Header: Depth=1
	s_clause 0x3
	buffer_load_dword v20, v15, s[0:3], 0 offen offset:8
	buffer_load_dword v21, v15, s[0:3], 0 offen offset:12
	buffer_load_dword v22, v15, s[0:3], 0 offen
	buffer_load_dword v23, v15, s[0:3], 0 offen offset:4
	ds_read_b128 v[16:19], v14
	v_add_nc_u32_e32 v11, 1, v11
	v_add_nc_u32_e32 v14, 16, v14
	;; [unrolled: 1-line block ×3, first 2 shown]
	v_cmp_lt_u32_e32 vcc_lo, 8, v11
	s_or_b32 s5, vcc_lo, s5
	s_waitcnt vmcnt(2) lgkmcnt(0)
	v_mul_f64 v[27:28], v[18:19], v[20:21]
	v_mul_f64 v[20:21], v[16:17], v[20:21]
	s_waitcnt vmcnt(0)
	v_fma_f64 v[16:17], v[16:17], v[22:23], -v[27:28]
	v_fma_f64 v[18:19], v[18:19], v[22:23], v[20:21]
	v_add_f64 v[3:4], v[3:4], v[16:17]
	v_add_f64 v[1:2], v[1:2], v[18:19]
	s_andn2_b32 exec_lo, exec_lo, s5
	s_cbranch_execnz .LBB45_53
; %bb.54:
	s_or_b32 exec_lo, exec_lo, s5
	v_mov_b32_e32 v11, 0
	ds_read_b128 v[14:17], v11 offset:160
	s_waitcnt lgkmcnt(0)
	v_mul_f64 v[18:19], v[1:2], v[16:17]
	v_mul_f64 v[16:17], v[3:4], v[16:17]
	v_fma_f64 v[3:4], v[3:4], v[14:15], -v[18:19]
	v_fma_f64 v[1:2], v[1:2], v[14:15], v[16:17]
	buffer_store_dword v4, off, s[0:3], 0 offset:180
	buffer_store_dword v3, off, s[0:3], 0 offset:176
	;; [unrolled: 1-line block ×4, first 2 shown]
.LBB45_55:
	s_or_b32 exec_lo, exec_lo, s4
	v_mov_b32_e32 v4, s54
	s_waitcnt_vscnt null, 0x0
	s_barrier
	buffer_gl0_inv
	s_mov_b32 s4, exec_lo
	s_clause 0x3
	buffer_load_dword v1, v4, s[0:3], 0 offen
	buffer_load_dword v2, v4, s[0:3], 0 offen offset:4
	buffer_load_dword v3, v4, s[0:3], 0 offen offset:8
	;; [unrolled: 1-line block ×3, first 2 shown]
	s_waitcnt vmcnt(0)
	ds_write_b128 v9, v[1:4]
	s_waitcnt lgkmcnt(0)
	s_barrier
	buffer_gl0_inv
	v_cmpx_gt_u32_e32 11, v0
	s_cbranch_execz .LBB45_59
; %bb.56:
	v_mov_b32_e32 v1, 0
	v_mov_b32_e32 v3, 0
	v_add_nc_u32_e32 v11, -1, v0
	v_add_nc_u32_e32 v14, 0x2e0, v153
	v_mov_b32_e32 v2, 0
	v_mov_b32_e32 v4, 0
	v_add_nc_u32_e32 v15, 16, v153
	s_mov_b32 s5, 0
	.p2align	6
.LBB45_57:                              ; =>This Inner Loop Header: Depth=1
	s_clause 0x3
	buffer_load_dword v20, v15, s[0:3], 0 offen offset:8
	buffer_load_dword v21, v15, s[0:3], 0 offen offset:12
	buffer_load_dword v22, v15, s[0:3], 0 offen
	buffer_load_dword v23, v15, s[0:3], 0 offen offset:4
	ds_read_b128 v[16:19], v14
	v_add_nc_u32_e32 v11, 1, v11
	v_add_nc_u32_e32 v14, 16, v14
	;; [unrolled: 1-line block ×3, first 2 shown]
	v_cmp_lt_u32_e32 vcc_lo, 9, v11
	s_or_b32 s5, vcc_lo, s5
	s_waitcnt vmcnt(2) lgkmcnt(0)
	v_mul_f64 v[27:28], v[18:19], v[20:21]
	v_mul_f64 v[20:21], v[16:17], v[20:21]
	s_waitcnt vmcnt(0)
	v_fma_f64 v[16:17], v[16:17], v[22:23], -v[27:28]
	v_fma_f64 v[18:19], v[18:19], v[22:23], v[20:21]
	v_add_f64 v[3:4], v[3:4], v[16:17]
	v_add_f64 v[1:2], v[1:2], v[18:19]
	s_andn2_b32 exec_lo, exec_lo, s5
	s_cbranch_execnz .LBB45_57
; %bb.58:
	s_or_b32 exec_lo, exec_lo, s5
	v_mov_b32_e32 v11, 0
	ds_read_b128 v[14:17], v11 offset:176
	s_waitcnt lgkmcnt(0)
	v_mul_f64 v[18:19], v[1:2], v[16:17]
	v_mul_f64 v[16:17], v[3:4], v[16:17]
	v_fma_f64 v[3:4], v[3:4], v[14:15], -v[18:19]
	v_fma_f64 v[1:2], v[1:2], v[14:15], v[16:17]
	buffer_store_dword v4, off, s[0:3], 0 offset:196
	buffer_store_dword v3, off, s[0:3], 0 offset:192
	;; [unrolled: 1-line block ×4, first 2 shown]
.LBB45_59:
	s_or_b32 exec_lo, exec_lo, s4
	v_mov_b32_e32 v4, s52
	s_waitcnt_vscnt null, 0x0
	s_barrier
	buffer_gl0_inv
	s_mov_b32 s4, exec_lo
	s_clause 0x3
	buffer_load_dword v1, v4, s[0:3], 0 offen
	buffer_load_dword v2, v4, s[0:3], 0 offen offset:4
	buffer_load_dword v3, v4, s[0:3], 0 offen offset:8
	;; [unrolled: 1-line block ×3, first 2 shown]
	s_waitcnt vmcnt(0)
	ds_write_b128 v9, v[1:4]
	s_waitcnt lgkmcnt(0)
	s_barrier
	buffer_gl0_inv
	v_cmpx_gt_u32_e32 12, v0
	s_cbranch_execz .LBB45_63
; %bb.60:
	v_mov_b32_e32 v1, 0
	v_mov_b32_e32 v3, 0
	v_add_nc_u32_e32 v11, -1, v0
	v_add_nc_u32_e32 v14, 0x2e0, v153
	v_mov_b32_e32 v2, 0
	v_mov_b32_e32 v4, 0
	v_add_nc_u32_e32 v15, 16, v153
	s_mov_b32 s5, 0
	.p2align	6
.LBB45_61:                              ; =>This Inner Loop Header: Depth=1
	s_clause 0x3
	buffer_load_dword v20, v15, s[0:3], 0 offen offset:8
	buffer_load_dword v21, v15, s[0:3], 0 offen offset:12
	buffer_load_dword v22, v15, s[0:3], 0 offen
	buffer_load_dword v23, v15, s[0:3], 0 offen offset:4
	ds_read_b128 v[16:19], v14
	v_add_nc_u32_e32 v11, 1, v11
	v_add_nc_u32_e32 v14, 16, v14
	;; [unrolled: 1-line block ×3, first 2 shown]
	v_cmp_lt_u32_e32 vcc_lo, 10, v11
	s_or_b32 s5, vcc_lo, s5
	s_waitcnt vmcnt(2) lgkmcnt(0)
	v_mul_f64 v[27:28], v[18:19], v[20:21]
	v_mul_f64 v[20:21], v[16:17], v[20:21]
	s_waitcnt vmcnt(0)
	v_fma_f64 v[16:17], v[16:17], v[22:23], -v[27:28]
	v_fma_f64 v[18:19], v[18:19], v[22:23], v[20:21]
	v_add_f64 v[3:4], v[3:4], v[16:17]
	v_add_f64 v[1:2], v[1:2], v[18:19]
	s_andn2_b32 exec_lo, exec_lo, s5
	s_cbranch_execnz .LBB45_61
; %bb.62:
	s_or_b32 exec_lo, exec_lo, s5
	v_mov_b32_e32 v11, 0
	ds_read_b128 v[14:17], v11 offset:192
	s_waitcnt lgkmcnt(0)
	v_mul_f64 v[18:19], v[1:2], v[16:17]
	v_mul_f64 v[16:17], v[3:4], v[16:17]
	v_fma_f64 v[3:4], v[3:4], v[14:15], -v[18:19]
	v_fma_f64 v[1:2], v[1:2], v[14:15], v[16:17]
	buffer_store_dword v4, off, s[0:3], 0 offset:212
	buffer_store_dword v3, off, s[0:3], 0 offset:208
	;; [unrolled: 1-line block ×4, first 2 shown]
.LBB45_63:
	s_or_b32 exec_lo, exec_lo, s4
	v_mov_b32_e32 v4, s50
	s_waitcnt_vscnt null, 0x0
	s_barrier
	buffer_gl0_inv
	s_mov_b32 s4, exec_lo
	s_clause 0x3
	buffer_load_dword v1, v4, s[0:3], 0 offen
	buffer_load_dword v2, v4, s[0:3], 0 offen offset:4
	buffer_load_dword v3, v4, s[0:3], 0 offen offset:8
	;; [unrolled: 1-line block ×3, first 2 shown]
	s_waitcnt vmcnt(0)
	ds_write_b128 v9, v[1:4]
	s_waitcnt lgkmcnt(0)
	s_barrier
	buffer_gl0_inv
	v_cmpx_gt_u32_e32 13, v0
	s_cbranch_execz .LBB45_67
; %bb.64:
	v_mov_b32_e32 v1, 0
	v_mov_b32_e32 v3, 0
	v_add_nc_u32_e32 v11, -1, v0
	v_add_nc_u32_e32 v14, 0x2e0, v153
	v_mov_b32_e32 v2, 0
	v_mov_b32_e32 v4, 0
	v_add_nc_u32_e32 v15, 16, v153
	s_mov_b32 s5, 0
	.p2align	6
.LBB45_65:                              ; =>This Inner Loop Header: Depth=1
	s_clause 0x3
	buffer_load_dword v20, v15, s[0:3], 0 offen offset:8
	buffer_load_dword v21, v15, s[0:3], 0 offen offset:12
	buffer_load_dword v22, v15, s[0:3], 0 offen
	buffer_load_dword v23, v15, s[0:3], 0 offen offset:4
	ds_read_b128 v[16:19], v14
	v_add_nc_u32_e32 v11, 1, v11
	v_add_nc_u32_e32 v14, 16, v14
	;; [unrolled: 1-line block ×3, first 2 shown]
	v_cmp_lt_u32_e32 vcc_lo, 11, v11
	s_or_b32 s5, vcc_lo, s5
	s_waitcnt vmcnt(2) lgkmcnt(0)
	v_mul_f64 v[27:28], v[18:19], v[20:21]
	v_mul_f64 v[20:21], v[16:17], v[20:21]
	s_waitcnt vmcnt(0)
	v_fma_f64 v[16:17], v[16:17], v[22:23], -v[27:28]
	v_fma_f64 v[18:19], v[18:19], v[22:23], v[20:21]
	v_add_f64 v[3:4], v[3:4], v[16:17]
	v_add_f64 v[1:2], v[1:2], v[18:19]
	s_andn2_b32 exec_lo, exec_lo, s5
	s_cbranch_execnz .LBB45_65
; %bb.66:
	s_or_b32 exec_lo, exec_lo, s5
	v_mov_b32_e32 v11, 0
	ds_read_b128 v[14:17], v11 offset:208
	s_waitcnt lgkmcnt(0)
	v_mul_f64 v[18:19], v[1:2], v[16:17]
	v_mul_f64 v[16:17], v[3:4], v[16:17]
	v_fma_f64 v[3:4], v[3:4], v[14:15], -v[18:19]
	v_fma_f64 v[1:2], v[1:2], v[14:15], v[16:17]
	buffer_store_dword v4, off, s[0:3], 0 offset:228
	buffer_store_dword v3, off, s[0:3], 0 offset:224
	;; [unrolled: 1-line block ×4, first 2 shown]
.LBB45_67:
	s_or_b32 exec_lo, exec_lo, s4
	v_mov_b32_e32 v4, s48
	s_waitcnt_vscnt null, 0x0
	s_barrier
	buffer_gl0_inv
	s_mov_b32 s4, exec_lo
	s_clause 0x3
	buffer_load_dword v1, v4, s[0:3], 0 offen
	buffer_load_dword v2, v4, s[0:3], 0 offen offset:4
	buffer_load_dword v3, v4, s[0:3], 0 offen offset:8
	;; [unrolled: 1-line block ×3, first 2 shown]
	s_waitcnt vmcnt(0)
	ds_write_b128 v9, v[1:4]
	s_waitcnt lgkmcnt(0)
	s_barrier
	buffer_gl0_inv
	v_cmpx_gt_u32_e32 14, v0
	s_cbranch_execz .LBB45_71
; %bb.68:
	v_mov_b32_e32 v1, 0
	v_mov_b32_e32 v3, 0
	v_add_nc_u32_e32 v11, -1, v0
	v_add_nc_u32_e32 v14, 0x2e0, v153
	v_mov_b32_e32 v2, 0
	v_mov_b32_e32 v4, 0
	v_add_nc_u32_e32 v15, 16, v153
	s_mov_b32 s5, 0
	.p2align	6
.LBB45_69:                              ; =>This Inner Loop Header: Depth=1
	s_clause 0x3
	buffer_load_dword v20, v15, s[0:3], 0 offen offset:8
	buffer_load_dword v21, v15, s[0:3], 0 offen offset:12
	buffer_load_dword v22, v15, s[0:3], 0 offen
	buffer_load_dword v23, v15, s[0:3], 0 offen offset:4
	ds_read_b128 v[16:19], v14
	v_add_nc_u32_e32 v11, 1, v11
	v_add_nc_u32_e32 v14, 16, v14
	;; [unrolled: 1-line block ×3, first 2 shown]
	v_cmp_lt_u32_e32 vcc_lo, 12, v11
	s_or_b32 s5, vcc_lo, s5
	s_waitcnt vmcnt(2) lgkmcnt(0)
	v_mul_f64 v[27:28], v[18:19], v[20:21]
	v_mul_f64 v[20:21], v[16:17], v[20:21]
	s_waitcnt vmcnt(0)
	v_fma_f64 v[16:17], v[16:17], v[22:23], -v[27:28]
	v_fma_f64 v[18:19], v[18:19], v[22:23], v[20:21]
	v_add_f64 v[3:4], v[3:4], v[16:17]
	v_add_f64 v[1:2], v[1:2], v[18:19]
	s_andn2_b32 exec_lo, exec_lo, s5
	s_cbranch_execnz .LBB45_69
; %bb.70:
	s_or_b32 exec_lo, exec_lo, s5
	v_mov_b32_e32 v11, 0
	ds_read_b128 v[14:17], v11 offset:224
	s_waitcnt lgkmcnt(0)
	v_mul_f64 v[18:19], v[1:2], v[16:17]
	v_mul_f64 v[16:17], v[3:4], v[16:17]
	v_fma_f64 v[3:4], v[3:4], v[14:15], -v[18:19]
	v_fma_f64 v[1:2], v[1:2], v[14:15], v[16:17]
	buffer_store_dword v4, off, s[0:3], 0 offset:244
	buffer_store_dword v3, off, s[0:3], 0 offset:240
	;; [unrolled: 1-line block ×4, first 2 shown]
.LBB45_71:
	s_or_b32 exec_lo, exec_lo, s4
	v_mov_b32_e32 v4, s46
	s_waitcnt_vscnt null, 0x0
	s_barrier
	buffer_gl0_inv
	s_mov_b32 s4, exec_lo
	s_clause 0x3
	buffer_load_dword v1, v4, s[0:3], 0 offen
	buffer_load_dword v2, v4, s[0:3], 0 offen offset:4
	buffer_load_dword v3, v4, s[0:3], 0 offen offset:8
	;; [unrolled: 1-line block ×3, first 2 shown]
	s_waitcnt vmcnt(0)
	ds_write_b128 v9, v[1:4]
	s_waitcnt lgkmcnt(0)
	s_barrier
	buffer_gl0_inv
	v_cmpx_gt_u32_e32 15, v0
	s_cbranch_execz .LBB45_75
; %bb.72:
	v_mov_b32_e32 v1, 0
	v_mov_b32_e32 v3, 0
	v_add_nc_u32_e32 v11, -1, v0
	v_add_nc_u32_e32 v14, 0x2e0, v153
	v_mov_b32_e32 v2, 0
	v_mov_b32_e32 v4, 0
	v_add_nc_u32_e32 v15, 16, v153
	s_mov_b32 s5, 0
	.p2align	6
.LBB45_73:                              ; =>This Inner Loop Header: Depth=1
	s_clause 0x3
	buffer_load_dword v20, v15, s[0:3], 0 offen offset:8
	buffer_load_dword v21, v15, s[0:3], 0 offen offset:12
	buffer_load_dword v22, v15, s[0:3], 0 offen
	buffer_load_dword v23, v15, s[0:3], 0 offen offset:4
	ds_read_b128 v[16:19], v14
	v_add_nc_u32_e32 v11, 1, v11
	v_add_nc_u32_e32 v14, 16, v14
	;; [unrolled: 1-line block ×3, first 2 shown]
	v_cmp_lt_u32_e32 vcc_lo, 13, v11
	s_or_b32 s5, vcc_lo, s5
	s_waitcnt vmcnt(2) lgkmcnt(0)
	v_mul_f64 v[27:28], v[18:19], v[20:21]
	v_mul_f64 v[20:21], v[16:17], v[20:21]
	s_waitcnt vmcnt(0)
	v_fma_f64 v[16:17], v[16:17], v[22:23], -v[27:28]
	v_fma_f64 v[18:19], v[18:19], v[22:23], v[20:21]
	v_add_f64 v[3:4], v[3:4], v[16:17]
	v_add_f64 v[1:2], v[1:2], v[18:19]
	s_andn2_b32 exec_lo, exec_lo, s5
	s_cbranch_execnz .LBB45_73
; %bb.74:
	s_or_b32 exec_lo, exec_lo, s5
	v_mov_b32_e32 v11, 0
	ds_read_b128 v[14:17], v11 offset:240
	s_waitcnt lgkmcnt(0)
	v_mul_f64 v[18:19], v[1:2], v[16:17]
	v_mul_f64 v[16:17], v[3:4], v[16:17]
	v_fma_f64 v[3:4], v[3:4], v[14:15], -v[18:19]
	v_fma_f64 v[1:2], v[1:2], v[14:15], v[16:17]
	buffer_store_dword v4, off, s[0:3], 0 offset:260
	buffer_store_dword v3, off, s[0:3], 0 offset:256
	;; [unrolled: 1-line block ×4, first 2 shown]
.LBB45_75:
	s_or_b32 exec_lo, exec_lo, s4
	v_mov_b32_e32 v4, s45
	s_waitcnt_vscnt null, 0x0
	s_barrier
	buffer_gl0_inv
	s_mov_b32 s4, exec_lo
	s_clause 0x3
	buffer_load_dword v1, v4, s[0:3], 0 offen
	buffer_load_dword v2, v4, s[0:3], 0 offen offset:4
	buffer_load_dword v3, v4, s[0:3], 0 offen offset:8
	;; [unrolled: 1-line block ×3, first 2 shown]
	s_waitcnt vmcnt(0)
	ds_write_b128 v9, v[1:4]
	s_waitcnt lgkmcnt(0)
	s_barrier
	buffer_gl0_inv
	v_cmpx_gt_u32_e32 16, v0
	s_cbranch_execz .LBB45_79
; %bb.76:
	v_mov_b32_e32 v1, 0
	v_mov_b32_e32 v3, 0
	v_add_nc_u32_e32 v11, -1, v0
	v_add_nc_u32_e32 v14, 0x2e0, v153
	v_mov_b32_e32 v2, 0
	v_mov_b32_e32 v4, 0
	v_add_nc_u32_e32 v15, 16, v153
	s_mov_b32 s5, 0
	.p2align	6
.LBB45_77:                              ; =>This Inner Loop Header: Depth=1
	s_clause 0x3
	buffer_load_dword v20, v15, s[0:3], 0 offen offset:8
	buffer_load_dword v21, v15, s[0:3], 0 offen offset:12
	buffer_load_dword v22, v15, s[0:3], 0 offen
	buffer_load_dword v23, v15, s[0:3], 0 offen offset:4
	ds_read_b128 v[16:19], v14
	v_add_nc_u32_e32 v11, 1, v11
	v_add_nc_u32_e32 v14, 16, v14
	v_add_nc_u32_e32 v15, 16, v15
	v_cmp_lt_u32_e32 vcc_lo, 14, v11
	s_or_b32 s5, vcc_lo, s5
	s_waitcnt vmcnt(2) lgkmcnt(0)
	v_mul_f64 v[27:28], v[18:19], v[20:21]
	v_mul_f64 v[20:21], v[16:17], v[20:21]
	s_waitcnt vmcnt(0)
	v_fma_f64 v[16:17], v[16:17], v[22:23], -v[27:28]
	v_fma_f64 v[18:19], v[18:19], v[22:23], v[20:21]
	v_add_f64 v[3:4], v[3:4], v[16:17]
	v_add_f64 v[1:2], v[1:2], v[18:19]
	s_andn2_b32 exec_lo, exec_lo, s5
	s_cbranch_execnz .LBB45_77
; %bb.78:
	s_or_b32 exec_lo, exec_lo, s5
	v_mov_b32_e32 v11, 0
	ds_read_b128 v[14:17], v11 offset:256
	s_waitcnt lgkmcnt(0)
	v_mul_f64 v[18:19], v[1:2], v[16:17]
	v_mul_f64 v[16:17], v[3:4], v[16:17]
	v_fma_f64 v[3:4], v[3:4], v[14:15], -v[18:19]
	v_fma_f64 v[1:2], v[1:2], v[14:15], v[16:17]
	buffer_store_dword v4, off, s[0:3], 0 offset:276
	buffer_store_dword v3, off, s[0:3], 0 offset:272
	;; [unrolled: 1-line block ×4, first 2 shown]
.LBB45_79:
	s_or_b32 exec_lo, exec_lo, s4
	v_mov_b32_e32 v4, s43
	s_waitcnt_vscnt null, 0x0
	s_barrier
	buffer_gl0_inv
	s_mov_b32 s4, exec_lo
	s_clause 0x3
	buffer_load_dword v1, v4, s[0:3], 0 offen
	buffer_load_dword v2, v4, s[0:3], 0 offen offset:4
	buffer_load_dword v3, v4, s[0:3], 0 offen offset:8
	;; [unrolled: 1-line block ×3, first 2 shown]
	s_waitcnt vmcnt(0)
	ds_write_b128 v9, v[1:4]
	s_waitcnt lgkmcnt(0)
	s_barrier
	buffer_gl0_inv
	v_cmpx_gt_u32_e32 17, v0
	s_cbranch_execz .LBB45_83
; %bb.80:
	v_mov_b32_e32 v1, 0
	v_mov_b32_e32 v3, 0
	v_add_nc_u32_e32 v11, -1, v0
	v_add_nc_u32_e32 v14, 0x2e0, v153
	v_mov_b32_e32 v2, 0
	v_mov_b32_e32 v4, 0
	v_add_nc_u32_e32 v15, 16, v153
	s_mov_b32 s5, 0
	.p2align	6
.LBB45_81:                              ; =>This Inner Loop Header: Depth=1
	s_clause 0x3
	buffer_load_dword v20, v15, s[0:3], 0 offen offset:8
	buffer_load_dword v21, v15, s[0:3], 0 offen offset:12
	buffer_load_dword v22, v15, s[0:3], 0 offen
	buffer_load_dword v23, v15, s[0:3], 0 offen offset:4
	ds_read_b128 v[16:19], v14
	v_add_nc_u32_e32 v11, 1, v11
	v_add_nc_u32_e32 v14, 16, v14
	;; [unrolled: 1-line block ×3, first 2 shown]
	v_cmp_lt_u32_e32 vcc_lo, 15, v11
	s_or_b32 s5, vcc_lo, s5
	s_waitcnt vmcnt(2) lgkmcnt(0)
	v_mul_f64 v[27:28], v[18:19], v[20:21]
	v_mul_f64 v[20:21], v[16:17], v[20:21]
	s_waitcnt vmcnt(0)
	v_fma_f64 v[16:17], v[16:17], v[22:23], -v[27:28]
	v_fma_f64 v[18:19], v[18:19], v[22:23], v[20:21]
	v_add_f64 v[3:4], v[3:4], v[16:17]
	v_add_f64 v[1:2], v[1:2], v[18:19]
	s_andn2_b32 exec_lo, exec_lo, s5
	s_cbranch_execnz .LBB45_81
; %bb.82:
	s_or_b32 exec_lo, exec_lo, s5
	v_mov_b32_e32 v11, 0
	ds_read_b128 v[14:17], v11 offset:272
	s_waitcnt lgkmcnt(0)
	v_mul_f64 v[18:19], v[1:2], v[16:17]
	v_mul_f64 v[16:17], v[3:4], v[16:17]
	v_fma_f64 v[3:4], v[3:4], v[14:15], -v[18:19]
	v_fma_f64 v[1:2], v[1:2], v[14:15], v[16:17]
	buffer_store_dword v4, off, s[0:3], 0 offset:292
	buffer_store_dword v3, off, s[0:3], 0 offset:288
	;; [unrolled: 1-line block ×4, first 2 shown]
.LBB45_83:
	s_or_b32 exec_lo, exec_lo, s4
	v_mov_b32_e32 v4, s41
	s_waitcnt_vscnt null, 0x0
	s_barrier
	buffer_gl0_inv
	s_mov_b32 s4, exec_lo
	s_clause 0x3
	buffer_load_dword v1, v4, s[0:3], 0 offen
	buffer_load_dword v2, v4, s[0:3], 0 offen offset:4
	buffer_load_dword v3, v4, s[0:3], 0 offen offset:8
	;; [unrolled: 1-line block ×3, first 2 shown]
	s_waitcnt vmcnt(0)
	ds_write_b128 v9, v[1:4]
	s_waitcnt lgkmcnt(0)
	s_barrier
	buffer_gl0_inv
	v_cmpx_gt_u32_e32 18, v0
	s_cbranch_execz .LBB45_87
; %bb.84:
	v_mov_b32_e32 v1, 0
	v_mov_b32_e32 v3, 0
	v_add_nc_u32_e32 v11, -1, v0
	v_add_nc_u32_e32 v14, 0x2e0, v153
	v_mov_b32_e32 v2, 0
	v_mov_b32_e32 v4, 0
	v_add_nc_u32_e32 v15, 16, v153
	s_mov_b32 s5, 0
	.p2align	6
.LBB45_85:                              ; =>This Inner Loop Header: Depth=1
	s_clause 0x3
	buffer_load_dword v20, v15, s[0:3], 0 offen offset:8
	buffer_load_dword v21, v15, s[0:3], 0 offen offset:12
	buffer_load_dword v22, v15, s[0:3], 0 offen
	buffer_load_dword v23, v15, s[0:3], 0 offen offset:4
	ds_read_b128 v[16:19], v14
	v_add_nc_u32_e32 v11, 1, v11
	v_add_nc_u32_e32 v14, 16, v14
	;; [unrolled: 1-line block ×3, first 2 shown]
	v_cmp_lt_u32_e32 vcc_lo, 16, v11
	s_or_b32 s5, vcc_lo, s5
	s_waitcnt vmcnt(2) lgkmcnt(0)
	v_mul_f64 v[27:28], v[18:19], v[20:21]
	v_mul_f64 v[20:21], v[16:17], v[20:21]
	s_waitcnt vmcnt(0)
	v_fma_f64 v[16:17], v[16:17], v[22:23], -v[27:28]
	v_fma_f64 v[18:19], v[18:19], v[22:23], v[20:21]
	v_add_f64 v[3:4], v[3:4], v[16:17]
	v_add_f64 v[1:2], v[1:2], v[18:19]
	s_andn2_b32 exec_lo, exec_lo, s5
	s_cbranch_execnz .LBB45_85
; %bb.86:
	s_or_b32 exec_lo, exec_lo, s5
	v_mov_b32_e32 v11, 0
	ds_read_b128 v[14:17], v11 offset:288
	s_waitcnt lgkmcnt(0)
	v_mul_f64 v[18:19], v[1:2], v[16:17]
	v_mul_f64 v[16:17], v[3:4], v[16:17]
	v_fma_f64 v[3:4], v[3:4], v[14:15], -v[18:19]
	v_fma_f64 v[1:2], v[1:2], v[14:15], v[16:17]
	buffer_store_dword v4, off, s[0:3], 0 offset:308
	buffer_store_dword v3, off, s[0:3], 0 offset:304
	;; [unrolled: 1-line block ×4, first 2 shown]
.LBB45_87:
	s_or_b32 exec_lo, exec_lo, s4
	v_mov_b32_e32 v4, s39
	s_waitcnt_vscnt null, 0x0
	s_barrier
	buffer_gl0_inv
	s_mov_b32 s4, exec_lo
	s_clause 0x3
	buffer_load_dword v1, v4, s[0:3], 0 offen
	buffer_load_dword v2, v4, s[0:3], 0 offen offset:4
	buffer_load_dword v3, v4, s[0:3], 0 offen offset:8
	;; [unrolled: 1-line block ×3, first 2 shown]
	s_waitcnt vmcnt(0)
	ds_write_b128 v9, v[1:4]
	s_waitcnt lgkmcnt(0)
	s_barrier
	buffer_gl0_inv
	v_cmpx_gt_u32_e32 19, v0
	s_cbranch_execz .LBB45_91
; %bb.88:
	v_mov_b32_e32 v1, 0
	v_mov_b32_e32 v3, 0
	v_add_nc_u32_e32 v11, -1, v0
	v_add_nc_u32_e32 v14, 0x2e0, v153
	v_mov_b32_e32 v2, 0
	v_mov_b32_e32 v4, 0
	v_add_nc_u32_e32 v15, 16, v153
	s_mov_b32 s5, 0
	.p2align	6
.LBB45_89:                              ; =>This Inner Loop Header: Depth=1
	s_clause 0x3
	buffer_load_dword v20, v15, s[0:3], 0 offen offset:8
	buffer_load_dword v21, v15, s[0:3], 0 offen offset:12
	buffer_load_dword v22, v15, s[0:3], 0 offen
	buffer_load_dword v23, v15, s[0:3], 0 offen offset:4
	ds_read_b128 v[16:19], v14
	v_add_nc_u32_e32 v11, 1, v11
	v_add_nc_u32_e32 v14, 16, v14
	;; [unrolled: 1-line block ×3, first 2 shown]
	v_cmp_lt_u32_e32 vcc_lo, 17, v11
	s_or_b32 s5, vcc_lo, s5
	s_waitcnt vmcnt(2) lgkmcnt(0)
	v_mul_f64 v[27:28], v[18:19], v[20:21]
	v_mul_f64 v[20:21], v[16:17], v[20:21]
	s_waitcnt vmcnt(0)
	v_fma_f64 v[16:17], v[16:17], v[22:23], -v[27:28]
	v_fma_f64 v[18:19], v[18:19], v[22:23], v[20:21]
	v_add_f64 v[3:4], v[3:4], v[16:17]
	v_add_f64 v[1:2], v[1:2], v[18:19]
	s_andn2_b32 exec_lo, exec_lo, s5
	s_cbranch_execnz .LBB45_89
; %bb.90:
	s_or_b32 exec_lo, exec_lo, s5
	v_mov_b32_e32 v11, 0
	ds_read_b128 v[14:17], v11 offset:304
	s_waitcnt lgkmcnt(0)
	v_mul_f64 v[18:19], v[1:2], v[16:17]
	v_mul_f64 v[16:17], v[3:4], v[16:17]
	v_fma_f64 v[3:4], v[3:4], v[14:15], -v[18:19]
	v_fma_f64 v[1:2], v[1:2], v[14:15], v[16:17]
	buffer_store_dword v4, off, s[0:3], 0 offset:324
	buffer_store_dword v3, off, s[0:3], 0 offset:320
	;; [unrolled: 1-line block ×4, first 2 shown]
.LBB45_91:
	s_or_b32 exec_lo, exec_lo, s4
	v_mov_b32_e32 v4, s38
	s_waitcnt_vscnt null, 0x0
	s_barrier
	buffer_gl0_inv
	s_mov_b32 s4, exec_lo
	s_clause 0x3
	buffer_load_dword v1, v4, s[0:3], 0 offen
	buffer_load_dword v2, v4, s[0:3], 0 offen offset:4
	buffer_load_dword v3, v4, s[0:3], 0 offen offset:8
	;; [unrolled: 1-line block ×3, first 2 shown]
	s_waitcnt vmcnt(0)
	ds_write_b128 v9, v[1:4]
	s_waitcnt lgkmcnt(0)
	s_barrier
	buffer_gl0_inv
	v_cmpx_gt_u32_e32 20, v0
	s_cbranch_execz .LBB45_95
; %bb.92:
	v_mov_b32_e32 v1, 0
	v_mov_b32_e32 v3, 0
	v_add_nc_u32_e32 v11, -1, v0
	v_add_nc_u32_e32 v14, 0x2e0, v153
	v_mov_b32_e32 v2, 0
	v_mov_b32_e32 v4, 0
	v_add_nc_u32_e32 v15, 16, v153
	s_mov_b32 s5, 0
	.p2align	6
.LBB45_93:                              ; =>This Inner Loop Header: Depth=1
	s_clause 0x3
	buffer_load_dword v20, v15, s[0:3], 0 offen offset:8
	buffer_load_dword v21, v15, s[0:3], 0 offen offset:12
	buffer_load_dword v22, v15, s[0:3], 0 offen
	buffer_load_dword v23, v15, s[0:3], 0 offen offset:4
	ds_read_b128 v[16:19], v14
	v_add_nc_u32_e32 v11, 1, v11
	v_add_nc_u32_e32 v14, 16, v14
	;; [unrolled: 1-line block ×3, first 2 shown]
	v_cmp_lt_u32_e32 vcc_lo, 18, v11
	s_or_b32 s5, vcc_lo, s5
	s_waitcnt vmcnt(2) lgkmcnt(0)
	v_mul_f64 v[27:28], v[18:19], v[20:21]
	v_mul_f64 v[20:21], v[16:17], v[20:21]
	s_waitcnt vmcnt(0)
	v_fma_f64 v[16:17], v[16:17], v[22:23], -v[27:28]
	v_fma_f64 v[18:19], v[18:19], v[22:23], v[20:21]
	v_add_f64 v[3:4], v[3:4], v[16:17]
	v_add_f64 v[1:2], v[1:2], v[18:19]
	s_andn2_b32 exec_lo, exec_lo, s5
	s_cbranch_execnz .LBB45_93
; %bb.94:
	s_or_b32 exec_lo, exec_lo, s5
	v_mov_b32_e32 v11, 0
	ds_read_b128 v[14:17], v11 offset:320
	s_waitcnt lgkmcnt(0)
	v_mul_f64 v[18:19], v[1:2], v[16:17]
	v_mul_f64 v[16:17], v[3:4], v[16:17]
	v_fma_f64 v[3:4], v[3:4], v[14:15], -v[18:19]
	v_fma_f64 v[1:2], v[1:2], v[14:15], v[16:17]
	buffer_store_dword v4, off, s[0:3], 0 offset:340
	buffer_store_dword v3, off, s[0:3], 0 offset:336
	;; [unrolled: 1-line block ×4, first 2 shown]
.LBB45_95:
	s_or_b32 exec_lo, exec_lo, s4
	v_mov_b32_e32 v4, s37
	s_waitcnt_vscnt null, 0x0
	s_barrier
	buffer_gl0_inv
	s_mov_b32 s4, exec_lo
	s_clause 0x3
	buffer_load_dword v1, v4, s[0:3], 0 offen
	buffer_load_dword v2, v4, s[0:3], 0 offen offset:4
	buffer_load_dword v3, v4, s[0:3], 0 offen offset:8
	buffer_load_dword v4, v4, s[0:3], 0 offen offset:12
	s_waitcnt vmcnt(0)
	ds_write_b128 v9, v[1:4]
	s_waitcnt lgkmcnt(0)
	s_barrier
	buffer_gl0_inv
	v_cmpx_gt_u32_e32 21, v0
	s_cbranch_execz .LBB45_99
; %bb.96:
	v_mov_b32_e32 v1, 0
	v_mov_b32_e32 v3, 0
	v_add_nc_u32_e32 v11, -1, v0
	v_add_nc_u32_e32 v14, 0x2e0, v153
	v_mov_b32_e32 v2, 0
	v_mov_b32_e32 v4, 0
	v_add_nc_u32_e32 v15, 16, v153
	s_mov_b32 s5, 0
	.p2align	6
.LBB45_97:                              ; =>This Inner Loop Header: Depth=1
	s_clause 0x3
	buffer_load_dword v20, v15, s[0:3], 0 offen offset:8
	buffer_load_dword v21, v15, s[0:3], 0 offen offset:12
	buffer_load_dword v22, v15, s[0:3], 0 offen
	buffer_load_dword v23, v15, s[0:3], 0 offen offset:4
	ds_read_b128 v[16:19], v14
	v_add_nc_u32_e32 v11, 1, v11
	v_add_nc_u32_e32 v14, 16, v14
	;; [unrolled: 1-line block ×3, first 2 shown]
	v_cmp_lt_u32_e32 vcc_lo, 19, v11
	s_or_b32 s5, vcc_lo, s5
	s_waitcnt vmcnt(2) lgkmcnt(0)
	v_mul_f64 v[27:28], v[18:19], v[20:21]
	v_mul_f64 v[20:21], v[16:17], v[20:21]
	s_waitcnt vmcnt(0)
	v_fma_f64 v[16:17], v[16:17], v[22:23], -v[27:28]
	v_fma_f64 v[18:19], v[18:19], v[22:23], v[20:21]
	v_add_f64 v[3:4], v[3:4], v[16:17]
	v_add_f64 v[1:2], v[1:2], v[18:19]
	s_andn2_b32 exec_lo, exec_lo, s5
	s_cbranch_execnz .LBB45_97
; %bb.98:
	s_or_b32 exec_lo, exec_lo, s5
	v_mov_b32_e32 v11, 0
	ds_read_b128 v[14:17], v11 offset:336
	s_waitcnt lgkmcnt(0)
	v_mul_f64 v[18:19], v[1:2], v[16:17]
	v_mul_f64 v[16:17], v[3:4], v[16:17]
	v_fma_f64 v[3:4], v[3:4], v[14:15], -v[18:19]
	v_fma_f64 v[1:2], v[1:2], v[14:15], v[16:17]
	buffer_store_dword v4, off, s[0:3], 0 offset:356
	buffer_store_dword v3, off, s[0:3], 0 offset:352
	;; [unrolled: 1-line block ×4, first 2 shown]
.LBB45_99:
	s_or_b32 exec_lo, exec_lo, s4
	v_mov_b32_e32 v4, s36
	s_waitcnt_vscnt null, 0x0
	s_barrier
	buffer_gl0_inv
	s_mov_b32 s4, exec_lo
	s_clause 0x3
	buffer_load_dword v1, v4, s[0:3], 0 offen
	buffer_load_dword v2, v4, s[0:3], 0 offen offset:4
	buffer_load_dword v3, v4, s[0:3], 0 offen offset:8
	;; [unrolled: 1-line block ×3, first 2 shown]
	s_waitcnt vmcnt(0)
	ds_write_b128 v9, v[1:4]
	s_waitcnt lgkmcnt(0)
	s_barrier
	buffer_gl0_inv
	v_cmpx_gt_u32_e32 22, v0
	s_cbranch_execz .LBB45_103
; %bb.100:
	v_mov_b32_e32 v1, 0
	v_mov_b32_e32 v3, 0
	v_add_nc_u32_e32 v11, -1, v0
	v_add_nc_u32_e32 v14, 0x2e0, v153
	v_mov_b32_e32 v2, 0
	v_mov_b32_e32 v4, 0
	v_add_nc_u32_e32 v15, 16, v153
	s_mov_b32 s5, 0
	.p2align	6
.LBB45_101:                             ; =>This Inner Loop Header: Depth=1
	s_clause 0x3
	buffer_load_dword v20, v15, s[0:3], 0 offen offset:8
	buffer_load_dword v21, v15, s[0:3], 0 offen offset:12
	buffer_load_dword v22, v15, s[0:3], 0 offen
	buffer_load_dword v23, v15, s[0:3], 0 offen offset:4
	ds_read_b128 v[16:19], v14
	v_add_nc_u32_e32 v11, 1, v11
	v_add_nc_u32_e32 v14, 16, v14
	;; [unrolled: 1-line block ×3, first 2 shown]
	v_cmp_lt_u32_e32 vcc_lo, 20, v11
	s_or_b32 s5, vcc_lo, s5
	s_waitcnt vmcnt(2) lgkmcnt(0)
	v_mul_f64 v[27:28], v[18:19], v[20:21]
	v_mul_f64 v[20:21], v[16:17], v[20:21]
	s_waitcnt vmcnt(0)
	v_fma_f64 v[16:17], v[16:17], v[22:23], -v[27:28]
	v_fma_f64 v[18:19], v[18:19], v[22:23], v[20:21]
	v_add_f64 v[3:4], v[3:4], v[16:17]
	v_add_f64 v[1:2], v[1:2], v[18:19]
	s_andn2_b32 exec_lo, exec_lo, s5
	s_cbranch_execnz .LBB45_101
; %bb.102:
	s_or_b32 exec_lo, exec_lo, s5
	v_mov_b32_e32 v11, 0
	ds_read_b128 v[14:17], v11 offset:352
	s_waitcnt lgkmcnt(0)
	v_mul_f64 v[18:19], v[1:2], v[16:17]
	v_mul_f64 v[16:17], v[3:4], v[16:17]
	v_fma_f64 v[3:4], v[3:4], v[14:15], -v[18:19]
	v_fma_f64 v[1:2], v[1:2], v[14:15], v[16:17]
	buffer_store_dword v4, off, s[0:3], 0 offset:372
	buffer_store_dword v3, off, s[0:3], 0 offset:368
	;; [unrolled: 1-line block ×4, first 2 shown]
.LBB45_103:
	s_or_b32 exec_lo, exec_lo, s4
	v_mov_b32_e32 v4, s35
	s_waitcnt_vscnt null, 0x0
	s_barrier
	buffer_gl0_inv
	s_mov_b32 s4, exec_lo
	s_clause 0x3
	buffer_load_dword v1, v4, s[0:3], 0 offen
	buffer_load_dword v2, v4, s[0:3], 0 offen offset:4
	buffer_load_dword v3, v4, s[0:3], 0 offen offset:8
	;; [unrolled: 1-line block ×3, first 2 shown]
	s_waitcnt vmcnt(0)
	ds_write_b128 v9, v[1:4]
	s_waitcnt lgkmcnt(0)
	s_barrier
	buffer_gl0_inv
	v_cmpx_gt_u32_e32 23, v0
	s_cbranch_execz .LBB45_107
; %bb.104:
	v_mov_b32_e32 v1, 0
	v_mov_b32_e32 v3, 0
	v_add_nc_u32_e32 v11, -1, v0
	v_add_nc_u32_e32 v14, 0x2e0, v153
	v_mov_b32_e32 v2, 0
	v_mov_b32_e32 v4, 0
	v_add_nc_u32_e32 v15, 16, v153
	s_mov_b32 s5, 0
	.p2align	6
.LBB45_105:                             ; =>This Inner Loop Header: Depth=1
	s_clause 0x3
	buffer_load_dword v20, v15, s[0:3], 0 offen offset:8
	buffer_load_dword v21, v15, s[0:3], 0 offen offset:12
	buffer_load_dword v22, v15, s[0:3], 0 offen
	buffer_load_dword v23, v15, s[0:3], 0 offen offset:4
	ds_read_b128 v[16:19], v14
	v_add_nc_u32_e32 v11, 1, v11
	v_add_nc_u32_e32 v14, 16, v14
	;; [unrolled: 1-line block ×3, first 2 shown]
	v_cmp_lt_u32_e32 vcc_lo, 21, v11
	s_or_b32 s5, vcc_lo, s5
	s_waitcnt vmcnt(2) lgkmcnt(0)
	v_mul_f64 v[27:28], v[18:19], v[20:21]
	v_mul_f64 v[20:21], v[16:17], v[20:21]
	s_waitcnt vmcnt(0)
	v_fma_f64 v[16:17], v[16:17], v[22:23], -v[27:28]
	v_fma_f64 v[18:19], v[18:19], v[22:23], v[20:21]
	v_add_f64 v[3:4], v[3:4], v[16:17]
	v_add_f64 v[1:2], v[1:2], v[18:19]
	s_andn2_b32 exec_lo, exec_lo, s5
	s_cbranch_execnz .LBB45_105
; %bb.106:
	s_or_b32 exec_lo, exec_lo, s5
	v_mov_b32_e32 v11, 0
	ds_read_b128 v[14:17], v11 offset:368
	s_waitcnt lgkmcnt(0)
	v_mul_f64 v[18:19], v[1:2], v[16:17]
	v_mul_f64 v[16:17], v[3:4], v[16:17]
	v_fma_f64 v[3:4], v[3:4], v[14:15], -v[18:19]
	v_fma_f64 v[1:2], v[1:2], v[14:15], v[16:17]
	buffer_store_dword v4, off, s[0:3], 0 offset:388
	buffer_store_dword v3, off, s[0:3], 0 offset:384
	;; [unrolled: 1-line block ×4, first 2 shown]
.LBB45_107:
	s_or_b32 exec_lo, exec_lo, s4
	v_mov_b32_e32 v4, s34
	s_waitcnt_vscnt null, 0x0
	s_barrier
	buffer_gl0_inv
	s_mov_b32 s4, exec_lo
	s_clause 0x3
	buffer_load_dword v1, v4, s[0:3], 0 offen
	buffer_load_dword v2, v4, s[0:3], 0 offen offset:4
	buffer_load_dword v3, v4, s[0:3], 0 offen offset:8
	;; [unrolled: 1-line block ×3, first 2 shown]
	s_waitcnt vmcnt(0)
	ds_write_b128 v9, v[1:4]
	s_waitcnt lgkmcnt(0)
	s_barrier
	buffer_gl0_inv
	v_cmpx_gt_u32_e32 24, v0
	s_cbranch_execz .LBB45_111
; %bb.108:
	v_mov_b32_e32 v1, 0
	v_mov_b32_e32 v3, 0
	v_add_nc_u32_e32 v11, -1, v0
	v_add_nc_u32_e32 v14, 0x2e0, v153
	v_mov_b32_e32 v2, 0
	v_mov_b32_e32 v4, 0
	v_add_nc_u32_e32 v15, 16, v153
	s_mov_b32 s5, 0
	.p2align	6
.LBB45_109:                             ; =>This Inner Loop Header: Depth=1
	s_clause 0x3
	buffer_load_dword v20, v15, s[0:3], 0 offen offset:8
	buffer_load_dword v21, v15, s[0:3], 0 offen offset:12
	buffer_load_dword v22, v15, s[0:3], 0 offen
	buffer_load_dword v23, v15, s[0:3], 0 offen offset:4
	ds_read_b128 v[16:19], v14
	v_add_nc_u32_e32 v11, 1, v11
	v_add_nc_u32_e32 v14, 16, v14
	;; [unrolled: 1-line block ×3, first 2 shown]
	v_cmp_lt_u32_e32 vcc_lo, 22, v11
	s_or_b32 s5, vcc_lo, s5
	s_waitcnt vmcnt(2) lgkmcnt(0)
	v_mul_f64 v[27:28], v[18:19], v[20:21]
	v_mul_f64 v[20:21], v[16:17], v[20:21]
	s_waitcnt vmcnt(0)
	v_fma_f64 v[16:17], v[16:17], v[22:23], -v[27:28]
	v_fma_f64 v[18:19], v[18:19], v[22:23], v[20:21]
	v_add_f64 v[3:4], v[3:4], v[16:17]
	v_add_f64 v[1:2], v[1:2], v[18:19]
	s_andn2_b32 exec_lo, exec_lo, s5
	s_cbranch_execnz .LBB45_109
; %bb.110:
	s_or_b32 exec_lo, exec_lo, s5
	v_mov_b32_e32 v11, 0
	ds_read_b128 v[14:17], v11 offset:384
	s_waitcnt lgkmcnt(0)
	v_mul_f64 v[18:19], v[1:2], v[16:17]
	v_mul_f64 v[16:17], v[3:4], v[16:17]
	v_fma_f64 v[3:4], v[3:4], v[14:15], -v[18:19]
	v_fma_f64 v[1:2], v[1:2], v[14:15], v[16:17]
	buffer_store_dword v4, off, s[0:3], 0 offset:404
	buffer_store_dword v3, off, s[0:3], 0 offset:400
	;; [unrolled: 1-line block ×4, first 2 shown]
.LBB45_111:
	s_or_b32 exec_lo, exec_lo, s4
	v_mov_b32_e32 v4, s33
	s_waitcnt_vscnt null, 0x0
	s_barrier
	buffer_gl0_inv
	s_mov_b32 s4, exec_lo
	s_clause 0x3
	buffer_load_dword v1, v4, s[0:3], 0 offen
	buffer_load_dword v2, v4, s[0:3], 0 offen offset:4
	buffer_load_dword v3, v4, s[0:3], 0 offen offset:8
	;; [unrolled: 1-line block ×3, first 2 shown]
	s_waitcnt vmcnt(0)
	ds_write_b128 v9, v[1:4]
	s_waitcnt lgkmcnt(0)
	s_barrier
	buffer_gl0_inv
	v_cmpx_gt_u32_e32 25, v0
	s_cbranch_execz .LBB45_115
; %bb.112:
	v_mov_b32_e32 v1, 0
	v_mov_b32_e32 v3, 0
	v_add_nc_u32_e32 v11, -1, v0
	v_add_nc_u32_e32 v14, 0x2e0, v153
	v_mov_b32_e32 v2, 0
	v_mov_b32_e32 v4, 0
	v_add_nc_u32_e32 v15, 16, v153
	s_mov_b32 s5, 0
	.p2align	6
.LBB45_113:                             ; =>This Inner Loop Header: Depth=1
	s_clause 0x3
	buffer_load_dword v20, v15, s[0:3], 0 offen offset:8
	buffer_load_dword v21, v15, s[0:3], 0 offen offset:12
	buffer_load_dword v22, v15, s[0:3], 0 offen
	buffer_load_dword v23, v15, s[0:3], 0 offen offset:4
	ds_read_b128 v[16:19], v14
	v_add_nc_u32_e32 v11, 1, v11
	v_add_nc_u32_e32 v14, 16, v14
	v_add_nc_u32_e32 v15, 16, v15
	v_cmp_lt_u32_e32 vcc_lo, 23, v11
	s_or_b32 s5, vcc_lo, s5
	s_waitcnt vmcnt(2) lgkmcnt(0)
	v_mul_f64 v[27:28], v[18:19], v[20:21]
	v_mul_f64 v[20:21], v[16:17], v[20:21]
	s_waitcnt vmcnt(0)
	v_fma_f64 v[16:17], v[16:17], v[22:23], -v[27:28]
	v_fma_f64 v[18:19], v[18:19], v[22:23], v[20:21]
	v_add_f64 v[3:4], v[3:4], v[16:17]
	v_add_f64 v[1:2], v[1:2], v[18:19]
	s_andn2_b32 exec_lo, exec_lo, s5
	s_cbranch_execnz .LBB45_113
; %bb.114:
	s_or_b32 exec_lo, exec_lo, s5
	v_mov_b32_e32 v11, 0
	ds_read_b128 v[14:17], v11 offset:400
	s_waitcnt lgkmcnt(0)
	v_mul_f64 v[18:19], v[1:2], v[16:17]
	v_mul_f64 v[16:17], v[3:4], v[16:17]
	v_fma_f64 v[3:4], v[3:4], v[14:15], -v[18:19]
	v_fma_f64 v[1:2], v[1:2], v[14:15], v[16:17]
	buffer_store_dword v4, off, s[0:3], 0 offset:420
	buffer_store_dword v3, off, s[0:3], 0 offset:416
	buffer_store_dword v2, off, s[0:3], 0 offset:428
	buffer_store_dword v1, off, s[0:3], 0 offset:424
.LBB45_115:
	s_or_b32 exec_lo, exec_lo, s4
	v_mov_b32_e32 v4, s31
	s_waitcnt_vscnt null, 0x0
	s_barrier
	buffer_gl0_inv
	s_mov_b32 s4, exec_lo
	s_clause 0x3
	buffer_load_dword v1, v4, s[0:3], 0 offen
	buffer_load_dword v2, v4, s[0:3], 0 offen offset:4
	buffer_load_dword v3, v4, s[0:3], 0 offen offset:8
	buffer_load_dword v4, v4, s[0:3], 0 offen offset:12
	s_waitcnt vmcnt(0)
	ds_write_b128 v9, v[1:4]
	s_waitcnt lgkmcnt(0)
	s_barrier
	buffer_gl0_inv
	v_cmpx_gt_u32_e32 26, v0
	s_cbranch_execz .LBB45_119
; %bb.116:
	v_mov_b32_e32 v1, 0
	v_mov_b32_e32 v3, 0
	v_add_nc_u32_e32 v11, -1, v0
	v_add_nc_u32_e32 v14, 0x2e0, v153
	v_mov_b32_e32 v2, 0
	v_mov_b32_e32 v4, 0
	v_add_nc_u32_e32 v15, 16, v153
	s_mov_b32 s5, 0
	.p2align	6
.LBB45_117:                             ; =>This Inner Loop Header: Depth=1
	s_clause 0x3
	buffer_load_dword v20, v15, s[0:3], 0 offen offset:8
	buffer_load_dword v21, v15, s[0:3], 0 offen offset:12
	buffer_load_dword v22, v15, s[0:3], 0 offen
	buffer_load_dword v23, v15, s[0:3], 0 offen offset:4
	ds_read_b128 v[16:19], v14
	v_add_nc_u32_e32 v11, 1, v11
	v_add_nc_u32_e32 v14, 16, v14
	;; [unrolled: 1-line block ×3, first 2 shown]
	v_cmp_lt_u32_e32 vcc_lo, 24, v11
	s_or_b32 s5, vcc_lo, s5
	s_waitcnt vmcnt(2) lgkmcnt(0)
	v_mul_f64 v[27:28], v[18:19], v[20:21]
	v_mul_f64 v[20:21], v[16:17], v[20:21]
	s_waitcnt vmcnt(0)
	v_fma_f64 v[16:17], v[16:17], v[22:23], -v[27:28]
	v_fma_f64 v[18:19], v[18:19], v[22:23], v[20:21]
	v_add_f64 v[3:4], v[3:4], v[16:17]
	v_add_f64 v[1:2], v[1:2], v[18:19]
	s_andn2_b32 exec_lo, exec_lo, s5
	s_cbranch_execnz .LBB45_117
; %bb.118:
	s_or_b32 exec_lo, exec_lo, s5
	v_mov_b32_e32 v11, 0
	ds_read_b128 v[14:17], v11 offset:416
	s_waitcnt lgkmcnt(0)
	v_mul_f64 v[18:19], v[1:2], v[16:17]
	v_mul_f64 v[16:17], v[3:4], v[16:17]
	v_fma_f64 v[3:4], v[3:4], v[14:15], -v[18:19]
	v_fma_f64 v[1:2], v[1:2], v[14:15], v[16:17]
	buffer_store_dword v4, off, s[0:3], 0 offset:436
	buffer_store_dword v3, off, s[0:3], 0 offset:432
	;; [unrolled: 1-line block ×4, first 2 shown]
.LBB45_119:
	s_or_b32 exec_lo, exec_lo, s4
	v_mov_b32_e32 v4, s30
	s_waitcnt_vscnt null, 0x0
	s_barrier
	buffer_gl0_inv
	s_mov_b32 s4, exec_lo
	s_clause 0x3
	buffer_load_dword v1, v4, s[0:3], 0 offen
	buffer_load_dword v2, v4, s[0:3], 0 offen offset:4
	buffer_load_dword v3, v4, s[0:3], 0 offen offset:8
	;; [unrolled: 1-line block ×3, first 2 shown]
	s_waitcnt vmcnt(0)
	ds_write_b128 v9, v[1:4]
	s_waitcnt lgkmcnt(0)
	s_barrier
	buffer_gl0_inv
	v_cmpx_gt_u32_e32 27, v0
	s_cbranch_execz .LBB45_123
; %bb.120:
	v_mov_b32_e32 v1, 0
	v_mov_b32_e32 v3, 0
	v_add_nc_u32_e32 v11, -1, v0
	v_add_nc_u32_e32 v14, 0x2e0, v153
	v_mov_b32_e32 v2, 0
	v_mov_b32_e32 v4, 0
	v_add_nc_u32_e32 v15, 16, v153
	s_mov_b32 s5, 0
	.p2align	6
.LBB45_121:                             ; =>This Inner Loop Header: Depth=1
	s_clause 0x3
	buffer_load_dword v20, v15, s[0:3], 0 offen offset:8
	buffer_load_dword v21, v15, s[0:3], 0 offen offset:12
	buffer_load_dword v22, v15, s[0:3], 0 offen
	buffer_load_dword v23, v15, s[0:3], 0 offen offset:4
	ds_read_b128 v[16:19], v14
	v_add_nc_u32_e32 v11, 1, v11
	v_add_nc_u32_e32 v14, 16, v14
	;; [unrolled: 1-line block ×3, first 2 shown]
	v_cmp_lt_u32_e32 vcc_lo, 25, v11
	s_or_b32 s5, vcc_lo, s5
	s_waitcnt vmcnt(2) lgkmcnt(0)
	v_mul_f64 v[27:28], v[18:19], v[20:21]
	v_mul_f64 v[20:21], v[16:17], v[20:21]
	s_waitcnt vmcnt(0)
	v_fma_f64 v[16:17], v[16:17], v[22:23], -v[27:28]
	v_fma_f64 v[18:19], v[18:19], v[22:23], v[20:21]
	v_add_f64 v[3:4], v[3:4], v[16:17]
	v_add_f64 v[1:2], v[1:2], v[18:19]
	s_andn2_b32 exec_lo, exec_lo, s5
	s_cbranch_execnz .LBB45_121
; %bb.122:
	s_or_b32 exec_lo, exec_lo, s5
	v_mov_b32_e32 v11, 0
	ds_read_b128 v[14:17], v11 offset:432
	s_waitcnt lgkmcnt(0)
	v_mul_f64 v[18:19], v[1:2], v[16:17]
	v_mul_f64 v[16:17], v[3:4], v[16:17]
	v_fma_f64 v[3:4], v[3:4], v[14:15], -v[18:19]
	v_fma_f64 v[1:2], v[1:2], v[14:15], v[16:17]
	buffer_store_dword v4, off, s[0:3], 0 offset:452
	buffer_store_dword v3, off, s[0:3], 0 offset:448
	;; [unrolled: 1-line block ×4, first 2 shown]
.LBB45_123:
	s_or_b32 exec_lo, exec_lo, s4
	v_mov_b32_e32 v4, s29
	s_waitcnt_vscnt null, 0x0
	s_barrier
	buffer_gl0_inv
	s_mov_b32 s4, exec_lo
	s_clause 0x3
	buffer_load_dword v1, v4, s[0:3], 0 offen
	buffer_load_dword v2, v4, s[0:3], 0 offen offset:4
	buffer_load_dword v3, v4, s[0:3], 0 offen offset:8
	;; [unrolled: 1-line block ×3, first 2 shown]
	s_waitcnt vmcnt(0)
	ds_write_b128 v9, v[1:4]
	s_waitcnt lgkmcnt(0)
	s_barrier
	buffer_gl0_inv
	v_cmpx_gt_u32_e32 28, v0
	s_cbranch_execz .LBB45_127
; %bb.124:
	v_mov_b32_e32 v1, 0
	v_mov_b32_e32 v3, 0
	v_add_nc_u32_e32 v11, -1, v0
	v_add_nc_u32_e32 v14, 0x2e0, v153
	v_mov_b32_e32 v2, 0
	v_mov_b32_e32 v4, 0
	v_add_nc_u32_e32 v15, 16, v153
	s_mov_b32 s5, 0
	.p2align	6
.LBB45_125:                             ; =>This Inner Loop Header: Depth=1
	s_clause 0x3
	buffer_load_dword v20, v15, s[0:3], 0 offen offset:8
	buffer_load_dword v21, v15, s[0:3], 0 offen offset:12
	buffer_load_dword v22, v15, s[0:3], 0 offen
	buffer_load_dword v23, v15, s[0:3], 0 offen offset:4
	ds_read_b128 v[16:19], v14
	v_add_nc_u32_e32 v11, 1, v11
	v_add_nc_u32_e32 v14, 16, v14
	;; [unrolled: 1-line block ×3, first 2 shown]
	v_cmp_lt_u32_e32 vcc_lo, 26, v11
	s_or_b32 s5, vcc_lo, s5
	s_waitcnt vmcnt(2) lgkmcnt(0)
	v_mul_f64 v[27:28], v[18:19], v[20:21]
	v_mul_f64 v[20:21], v[16:17], v[20:21]
	s_waitcnt vmcnt(0)
	v_fma_f64 v[16:17], v[16:17], v[22:23], -v[27:28]
	v_fma_f64 v[18:19], v[18:19], v[22:23], v[20:21]
	v_add_f64 v[3:4], v[3:4], v[16:17]
	v_add_f64 v[1:2], v[1:2], v[18:19]
	s_andn2_b32 exec_lo, exec_lo, s5
	s_cbranch_execnz .LBB45_125
; %bb.126:
	s_or_b32 exec_lo, exec_lo, s5
	v_mov_b32_e32 v11, 0
	ds_read_b128 v[14:17], v11 offset:448
	s_waitcnt lgkmcnt(0)
	v_mul_f64 v[18:19], v[1:2], v[16:17]
	v_mul_f64 v[16:17], v[3:4], v[16:17]
	v_fma_f64 v[3:4], v[3:4], v[14:15], -v[18:19]
	v_fma_f64 v[1:2], v[1:2], v[14:15], v[16:17]
	buffer_store_dword v4, off, s[0:3], 0 offset:468
	buffer_store_dword v3, off, s[0:3], 0 offset:464
	;; [unrolled: 1-line block ×4, first 2 shown]
.LBB45_127:
	s_or_b32 exec_lo, exec_lo, s4
	v_mov_b32_e32 v4, s28
	s_waitcnt_vscnt null, 0x0
	s_barrier
	buffer_gl0_inv
	s_mov_b32 s4, exec_lo
	s_clause 0x3
	buffer_load_dword v1, v4, s[0:3], 0 offen
	buffer_load_dword v2, v4, s[0:3], 0 offen offset:4
	buffer_load_dword v3, v4, s[0:3], 0 offen offset:8
	;; [unrolled: 1-line block ×3, first 2 shown]
	s_waitcnt vmcnt(0)
	ds_write_b128 v9, v[1:4]
	s_waitcnt lgkmcnt(0)
	s_barrier
	buffer_gl0_inv
	v_cmpx_gt_u32_e32 29, v0
	s_cbranch_execz .LBB45_131
; %bb.128:
	v_mov_b32_e32 v1, 0
	v_mov_b32_e32 v3, 0
	v_add_nc_u32_e32 v11, -1, v0
	v_add_nc_u32_e32 v14, 0x2e0, v153
	v_mov_b32_e32 v2, 0
	v_mov_b32_e32 v4, 0
	v_add_nc_u32_e32 v15, 16, v153
	s_mov_b32 s5, 0
	.p2align	6
.LBB45_129:                             ; =>This Inner Loop Header: Depth=1
	s_clause 0x3
	buffer_load_dword v20, v15, s[0:3], 0 offen offset:8
	buffer_load_dword v21, v15, s[0:3], 0 offen offset:12
	buffer_load_dword v22, v15, s[0:3], 0 offen
	buffer_load_dword v23, v15, s[0:3], 0 offen offset:4
	ds_read_b128 v[16:19], v14
	v_add_nc_u32_e32 v11, 1, v11
	v_add_nc_u32_e32 v14, 16, v14
	;; [unrolled: 1-line block ×3, first 2 shown]
	v_cmp_lt_u32_e32 vcc_lo, 27, v11
	s_or_b32 s5, vcc_lo, s5
	s_waitcnt vmcnt(2) lgkmcnt(0)
	v_mul_f64 v[27:28], v[18:19], v[20:21]
	v_mul_f64 v[20:21], v[16:17], v[20:21]
	s_waitcnt vmcnt(0)
	v_fma_f64 v[16:17], v[16:17], v[22:23], -v[27:28]
	v_fma_f64 v[18:19], v[18:19], v[22:23], v[20:21]
	v_add_f64 v[3:4], v[3:4], v[16:17]
	v_add_f64 v[1:2], v[1:2], v[18:19]
	s_andn2_b32 exec_lo, exec_lo, s5
	s_cbranch_execnz .LBB45_129
; %bb.130:
	s_or_b32 exec_lo, exec_lo, s5
	v_mov_b32_e32 v11, 0
	ds_read_b128 v[14:17], v11 offset:464
	s_waitcnt lgkmcnt(0)
	v_mul_f64 v[18:19], v[1:2], v[16:17]
	v_mul_f64 v[16:17], v[3:4], v[16:17]
	v_fma_f64 v[3:4], v[3:4], v[14:15], -v[18:19]
	v_fma_f64 v[1:2], v[1:2], v[14:15], v[16:17]
	buffer_store_dword v4, off, s[0:3], 0 offset:484
	buffer_store_dword v3, off, s[0:3], 0 offset:480
	;; [unrolled: 1-line block ×4, first 2 shown]
.LBB45_131:
	s_or_b32 exec_lo, exec_lo, s4
	v_mov_b32_e32 v4, s27
	s_waitcnt_vscnt null, 0x0
	s_barrier
	buffer_gl0_inv
	s_mov_b32 s4, exec_lo
	s_clause 0x3
	buffer_load_dword v1, v4, s[0:3], 0 offen
	buffer_load_dword v2, v4, s[0:3], 0 offen offset:4
	buffer_load_dword v3, v4, s[0:3], 0 offen offset:8
	;; [unrolled: 1-line block ×3, first 2 shown]
	s_waitcnt vmcnt(0)
	ds_write_b128 v9, v[1:4]
	s_waitcnt lgkmcnt(0)
	s_barrier
	buffer_gl0_inv
	v_cmpx_gt_u32_e32 30, v0
	s_cbranch_execz .LBB45_135
; %bb.132:
	v_mov_b32_e32 v1, 0
	v_mov_b32_e32 v3, 0
	v_add_nc_u32_e32 v11, -1, v0
	v_add_nc_u32_e32 v14, 0x2e0, v153
	v_mov_b32_e32 v2, 0
	v_mov_b32_e32 v4, 0
	v_add_nc_u32_e32 v15, 16, v153
	s_mov_b32 s5, 0
	.p2align	6
.LBB45_133:                             ; =>This Inner Loop Header: Depth=1
	s_clause 0x3
	buffer_load_dword v20, v15, s[0:3], 0 offen offset:8
	buffer_load_dword v21, v15, s[0:3], 0 offen offset:12
	buffer_load_dword v22, v15, s[0:3], 0 offen
	buffer_load_dword v23, v15, s[0:3], 0 offen offset:4
	ds_read_b128 v[16:19], v14
	v_add_nc_u32_e32 v11, 1, v11
	v_add_nc_u32_e32 v14, 16, v14
	v_add_nc_u32_e32 v15, 16, v15
	v_cmp_lt_u32_e32 vcc_lo, 28, v11
	s_or_b32 s5, vcc_lo, s5
	s_waitcnt vmcnt(2) lgkmcnt(0)
	v_mul_f64 v[27:28], v[18:19], v[20:21]
	v_mul_f64 v[20:21], v[16:17], v[20:21]
	s_waitcnt vmcnt(0)
	v_fma_f64 v[16:17], v[16:17], v[22:23], -v[27:28]
	v_fma_f64 v[18:19], v[18:19], v[22:23], v[20:21]
	v_add_f64 v[3:4], v[3:4], v[16:17]
	v_add_f64 v[1:2], v[1:2], v[18:19]
	s_andn2_b32 exec_lo, exec_lo, s5
	s_cbranch_execnz .LBB45_133
; %bb.134:
	s_or_b32 exec_lo, exec_lo, s5
	v_mov_b32_e32 v11, 0
	ds_read_b128 v[14:17], v11 offset:480
	s_waitcnt lgkmcnt(0)
	v_mul_f64 v[18:19], v[1:2], v[16:17]
	v_mul_f64 v[16:17], v[3:4], v[16:17]
	v_fma_f64 v[3:4], v[3:4], v[14:15], -v[18:19]
	v_fma_f64 v[1:2], v[1:2], v[14:15], v[16:17]
	buffer_store_dword v4, off, s[0:3], 0 offset:500
	buffer_store_dword v3, off, s[0:3], 0 offset:496
	;; [unrolled: 1-line block ×4, first 2 shown]
.LBB45_135:
	s_or_b32 exec_lo, exec_lo, s4
	v_mov_b32_e32 v4, s26
	s_waitcnt_vscnt null, 0x0
	s_barrier
	buffer_gl0_inv
	s_mov_b32 s4, exec_lo
	s_clause 0x3
	buffer_load_dword v1, v4, s[0:3], 0 offen
	buffer_load_dword v2, v4, s[0:3], 0 offen offset:4
	buffer_load_dword v3, v4, s[0:3], 0 offen offset:8
	;; [unrolled: 1-line block ×3, first 2 shown]
	s_waitcnt vmcnt(0)
	ds_write_b128 v9, v[1:4]
	s_waitcnt lgkmcnt(0)
	s_barrier
	buffer_gl0_inv
	v_cmpx_gt_u32_e32 31, v0
	s_cbranch_execz .LBB45_139
; %bb.136:
	v_mov_b32_e32 v1, 0
	v_mov_b32_e32 v3, 0
	v_add_nc_u32_e32 v11, -1, v0
	v_add_nc_u32_e32 v14, 0x2e0, v153
	v_mov_b32_e32 v2, 0
	v_mov_b32_e32 v4, 0
	v_add_nc_u32_e32 v15, 16, v153
	s_mov_b32 s5, 0
	.p2align	6
.LBB45_137:                             ; =>This Inner Loop Header: Depth=1
	s_clause 0x3
	buffer_load_dword v20, v15, s[0:3], 0 offen offset:8
	buffer_load_dword v21, v15, s[0:3], 0 offen offset:12
	buffer_load_dword v22, v15, s[0:3], 0 offen
	buffer_load_dword v23, v15, s[0:3], 0 offen offset:4
	ds_read_b128 v[16:19], v14
	v_add_nc_u32_e32 v11, 1, v11
	v_add_nc_u32_e32 v14, 16, v14
	;; [unrolled: 1-line block ×3, first 2 shown]
	v_cmp_lt_u32_e32 vcc_lo, 29, v11
	s_or_b32 s5, vcc_lo, s5
	s_waitcnt vmcnt(2) lgkmcnt(0)
	v_mul_f64 v[27:28], v[18:19], v[20:21]
	v_mul_f64 v[20:21], v[16:17], v[20:21]
	s_waitcnt vmcnt(0)
	v_fma_f64 v[16:17], v[16:17], v[22:23], -v[27:28]
	v_fma_f64 v[18:19], v[18:19], v[22:23], v[20:21]
	v_add_f64 v[3:4], v[3:4], v[16:17]
	v_add_f64 v[1:2], v[1:2], v[18:19]
	s_andn2_b32 exec_lo, exec_lo, s5
	s_cbranch_execnz .LBB45_137
; %bb.138:
	s_or_b32 exec_lo, exec_lo, s5
	v_mov_b32_e32 v11, 0
	ds_read_b128 v[14:17], v11 offset:496
	s_waitcnt lgkmcnt(0)
	v_mul_f64 v[18:19], v[1:2], v[16:17]
	v_mul_f64 v[16:17], v[3:4], v[16:17]
	v_fma_f64 v[3:4], v[3:4], v[14:15], -v[18:19]
	v_fma_f64 v[1:2], v[1:2], v[14:15], v[16:17]
	buffer_store_dword v4, off, s[0:3], 0 offset:516
	buffer_store_dword v3, off, s[0:3], 0 offset:512
	;; [unrolled: 1-line block ×4, first 2 shown]
.LBB45_139:
	s_or_b32 exec_lo, exec_lo, s4
	v_mov_b32_e32 v4, s25
	s_waitcnt_vscnt null, 0x0
	s_barrier
	buffer_gl0_inv
	s_mov_b32 s4, exec_lo
	s_clause 0x3
	buffer_load_dword v1, v4, s[0:3], 0 offen
	buffer_load_dword v2, v4, s[0:3], 0 offen offset:4
	buffer_load_dword v3, v4, s[0:3], 0 offen offset:8
	buffer_load_dword v4, v4, s[0:3], 0 offen offset:12
	s_waitcnt vmcnt(0)
	ds_write_b128 v9, v[1:4]
	s_waitcnt lgkmcnt(0)
	s_barrier
	buffer_gl0_inv
	v_cmpx_gt_u32_e32 32, v0
	s_cbranch_execz .LBB45_143
; %bb.140:
	v_mov_b32_e32 v1, 0
	v_mov_b32_e32 v3, 0
	v_add_nc_u32_e32 v11, -1, v0
	v_add_nc_u32_e32 v14, 0x2e0, v153
	v_mov_b32_e32 v2, 0
	v_mov_b32_e32 v4, 0
	v_add_nc_u32_e32 v15, 16, v153
	s_mov_b32 s5, 0
	.p2align	6
.LBB45_141:                             ; =>This Inner Loop Header: Depth=1
	s_clause 0x3
	buffer_load_dword v20, v15, s[0:3], 0 offen offset:8
	buffer_load_dword v21, v15, s[0:3], 0 offen offset:12
	buffer_load_dword v22, v15, s[0:3], 0 offen
	buffer_load_dword v23, v15, s[0:3], 0 offen offset:4
	ds_read_b128 v[16:19], v14
	v_add_nc_u32_e32 v11, 1, v11
	v_add_nc_u32_e32 v14, 16, v14
	;; [unrolled: 1-line block ×3, first 2 shown]
	v_cmp_lt_u32_e32 vcc_lo, 30, v11
	s_or_b32 s5, vcc_lo, s5
	s_waitcnt vmcnt(2) lgkmcnt(0)
	v_mul_f64 v[27:28], v[18:19], v[20:21]
	v_mul_f64 v[20:21], v[16:17], v[20:21]
	s_waitcnt vmcnt(0)
	v_fma_f64 v[16:17], v[16:17], v[22:23], -v[27:28]
	v_fma_f64 v[18:19], v[18:19], v[22:23], v[20:21]
	v_add_f64 v[3:4], v[3:4], v[16:17]
	v_add_f64 v[1:2], v[1:2], v[18:19]
	s_andn2_b32 exec_lo, exec_lo, s5
	s_cbranch_execnz .LBB45_141
; %bb.142:
	s_or_b32 exec_lo, exec_lo, s5
	v_mov_b32_e32 v11, 0
	ds_read_b128 v[14:17], v11 offset:512
	s_waitcnt lgkmcnt(0)
	v_mul_f64 v[18:19], v[1:2], v[16:17]
	v_mul_f64 v[16:17], v[3:4], v[16:17]
	v_fma_f64 v[3:4], v[3:4], v[14:15], -v[18:19]
	v_fma_f64 v[1:2], v[1:2], v[14:15], v[16:17]
	buffer_store_dword v4, off, s[0:3], 0 offset:532
	buffer_store_dword v3, off, s[0:3], 0 offset:528
	;; [unrolled: 1-line block ×4, first 2 shown]
.LBB45_143:
	s_or_b32 exec_lo, exec_lo, s4
	v_mov_b32_e32 v4, s24
	s_waitcnt_vscnt null, 0x0
	s_barrier
	buffer_gl0_inv
	s_mov_b32 s4, exec_lo
	s_clause 0x3
	buffer_load_dword v1, v4, s[0:3], 0 offen
	buffer_load_dword v2, v4, s[0:3], 0 offen offset:4
	buffer_load_dword v3, v4, s[0:3], 0 offen offset:8
	;; [unrolled: 1-line block ×3, first 2 shown]
	s_waitcnt vmcnt(0)
	ds_write_b128 v9, v[1:4]
	s_waitcnt lgkmcnt(0)
	s_barrier
	buffer_gl0_inv
	v_cmpx_gt_u32_e32 33, v0
	s_cbranch_execz .LBB45_147
; %bb.144:
	v_mov_b32_e32 v1, 0
	v_mov_b32_e32 v3, 0
	v_add_nc_u32_e32 v11, -1, v0
	v_add_nc_u32_e32 v14, 0x2e0, v153
	v_mov_b32_e32 v2, 0
	v_mov_b32_e32 v4, 0
	v_add_nc_u32_e32 v15, 16, v153
	s_mov_b32 s5, 0
	.p2align	6
.LBB45_145:                             ; =>This Inner Loop Header: Depth=1
	s_clause 0x3
	buffer_load_dword v20, v15, s[0:3], 0 offen offset:8
	buffer_load_dword v21, v15, s[0:3], 0 offen offset:12
	buffer_load_dword v22, v15, s[0:3], 0 offen
	buffer_load_dword v23, v15, s[0:3], 0 offen offset:4
	ds_read_b128 v[16:19], v14
	v_add_nc_u32_e32 v11, 1, v11
	v_add_nc_u32_e32 v14, 16, v14
	;; [unrolled: 1-line block ×3, first 2 shown]
	v_cmp_lt_u32_e32 vcc_lo, 31, v11
	s_or_b32 s5, vcc_lo, s5
	s_waitcnt vmcnt(2) lgkmcnt(0)
	v_mul_f64 v[27:28], v[18:19], v[20:21]
	v_mul_f64 v[20:21], v[16:17], v[20:21]
	s_waitcnt vmcnt(0)
	v_fma_f64 v[16:17], v[16:17], v[22:23], -v[27:28]
	v_fma_f64 v[18:19], v[18:19], v[22:23], v[20:21]
	v_add_f64 v[3:4], v[3:4], v[16:17]
	v_add_f64 v[1:2], v[1:2], v[18:19]
	s_andn2_b32 exec_lo, exec_lo, s5
	s_cbranch_execnz .LBB45_145
; %bb.146:
	s_or_b32 exec_lo, exec_lo, s5
	v_mov_b32_e32 v11, 0
	ds_read_b128 v[14:17], v11 offset:528
	s_waitcnt lgkmcnt(0)
	v_mul_f64 v[18:19], v[1:2], v[16:17]
	v_mul_f64 v[16:17], v[3:4], v[16:17]
	v_fma_f64 v[3:4], v[3:4], v[14:15], -v[18:19]
	v_fma_f64 v[1:2], v[1:2], v[14:15], v[16:17]
	buffer_store_dword v4, off, s[0:3], 0 offset:548
	buffer_store_dword v3, off, s[0:3], 0 offset:544
	;; [unrolled: 1-line block ×4, first 2 shown]
.LBB45_147:
	s_or_b32 exec_lo, exec_lo, s4
	v_mov_b32_e32 v4, s23
	s_waitcnt_vscnt null, 0x0
	s_barrier
	buffer_gl0_inv
	s_mov_b32 s4, exec_lo
	s_clause 0x3
	buffer_load_dword v1, v4, s[0:3], 0 offen
	buffer_load_dword v2, v4, s[0:3], 0 offen offset:4
	buffer_load_dword v3, v4, s[0:3], 0 offen offset:8
	;; [unrolled: 1-line block ×3, first 2 shown]
	s_waitcnt vmcnt(0)
	ds_write_b128 v9, v[1:4]
	s_waitcnt lgkmcnt(0)
	s_barrier
	buffer_gl0_inv
	v_cmpx_gt_u32_e32 34, v0
	s_cbranch_execz .LBB45_151
; %bb.148:
	v_mov_b32_e32 v1, 0
	v_mov_b32_e32 v3, 0
	v_add_nc_u32_e32 v11, -1, v0
	v_add_nc_u32_e32 v14, 0x2e0, v153
	v_mov_b32_e32 v2, 0
	v_mov_b32_e32 v4, 0
	v_add_nc_u32_e32 v15, 16, v153
	s_mov_b32 s5, 0
	.p2align	6
.LBB45_149:                             ; =>This Inner Loop Header: Depth=1
	s_clause 0x3
	buffer_load_dword v20, v15, s[0:3], 0 offen offset:8
	buffer_load_dword v21, v15, s[0:3], 0 offen offset:12
	buffer_load_dword v22, v15, s[0:3], 0 offen
	buffer_load_dword v23, v15, s[0:3], 0 offen offset:4
	ds_read_b128 v[16:19], v14
	v_add_nc_u32_e32 v11, 1, v11
	v_add_nc_u32_e32 v14, 16, v14
	;; [unrolled: 1-line block ×3, first 2 shown]
	v_cmp_lt_u32_e32 vcc_lo, 32, v11
	s_or_b32 s5, vcc_lo, s5
	s_waitcnt vmcnt(2) lgkmcnt(0)
	v_mul_f64 v[27:28], v[18:19], v[20:21]
	v_mul_f64 v[20:21], v[16:17], v[20:21]
	s_waitcnt vmcnt(0)
	v_fma_f64 v[16:17], v[16:17], v[22:23], -v[27:28]
	v_fma_f64 v[18:19], v[18:19], v[22:23], v[20:21]
	v_add_f64 v[3:4], v[3:4], v[16:17]
	v_add_f64 v[1:2], v[1:2], v[18:19]
	s_andn2_b32 exec_lo, exec_lo, s5
	s_cbranch_execnz .LBB45_149
; %bb.150:
	s_or_b32 exec_lo, exec_lo, s5
	v_mov_b32_e32 v11, 0
	ds_read_b128 v[14:17], v11 offset:544
	s_waitcnt lgkmcnt(0)
	v_mul_f64 v[18:19], v[1:2], v[16:17]
	v_mul_f64 v[16:17], v[3:4], v[16:17]
	v_fma_f64 v[3:4], v[3:4], v[14:15], -v[18:19]
	v_fma_f64 v[1:2], v[1:2], v[14:15], v[16:17]
	buffer_store_dword v4, off, s[0:3], 0 offset:564
	buffer_store_dword v3, off, s[0:3], 0 offset:560
	;; [unrolled: 1-line block ×4, first 2 shown]
.LBB45_151:
	s_or_b32 exec_lo, exec_lo, s4
	v_mov_b32_e32 v4, s22
	s_waitcnt_vscnt null, 0x0
	s_barrier
	buffer_gl0_inv
	s_mov_b32 s4, exec_lo
	s_clause 0x3
	buffer_load_dword v1, v4, s[0:3], 0 offen
	buffer_load_dword v2, v4, s[0:3], 0 offen offset:4
	buffer_load_dword v3, v4, s[0:3], 0 offen offset:8
	;; [unrolled: 1-line block ×3, first 2 shown]
	s_waitcnt vmcnt(0)
	ds_write_b128 v9, v[1:4]
	s_waitcnt lgkmcnt(0)
	s_barrier
	buffer_gl0_inv
	v_cmpx_gt_u32_e32 35, v0
	s_cbranch_execz .LBB45_155
; %bb.152:
	v_mov_b32_e32 v1, 0
	v_mov_b32_e32 v3, 0
	v_add_nc_u32_e32 v11, -1, v0
	v_add_nc_u32_e32 v14, 0x2e0, v153
	v_mov_b32_e32 v2, 0
	v_mov_b32_e32 v4, 0
	v_add_nc_u32_e32 v15, 16, v153
	s_mov_b32 s5, 0
	.p2align	6
.LBB45_153:                             ; =>This Inner Loop Header: Depth=1
	s_clause 0x3
	buffer_load_dword v20, v15, s[0:3], 0 offen offset:8
	buffer_load_dword v21, v15, s[0:3], 0 offen offset:12
	buffer_load_dword v22, v15, s[0:3], 0 offen
	buffer_load_dword v23, v15, s[0:3], 0 offen offset:4
	ds_read_b128 v[16:19], v14
	v_add_nc_u32_e32 v11, 1, v11
	v_add_nc_u32_e32 v14, 16, v14
	v_add_nc_u32_e32 v15, 16, v15
	v_cmp_lt_u32_e32 vcc_lo, 33, v11
	s_or_b32 s5, vcc_lo, s5
	s_waitcnt vmcnt(2) lgkmcnt(0)
	v_mul_f64 v[27:28], v[18:19], v[20:21]
	v_mul_f64 v[20:21], v[16:17], v[20:21]
	s_waitcnt vmcnt(0)
	v_fma_f64 v[16:17], v[16:17], v[22:23], -v[27:28]
	v_fma_f64 v[18:19], v[18:19], v[22:23], v[20:21]
	v_add_f64 v[3:4], v[3:4], v[16:17]
	v_add_f64 v[1:2], v[1:2], v[18:19]
	s_andn2_b32 exec_lo, exec_lo, s5
	s_cbranch_execnz .LBB45_153
; %bb.154:
	s_or_b32 exec_lo, exec_lo, s5
	v_mov_b32_e32 v11, 0
	ds_read_b128 v[14:17], v11 offset:560
	s_waitcnt lgkmcnt(0)
	v_mul_f64 v[18:19], v[1:2], v[16:17]
	v_mul_f64 v[16:17], v[3:4], v[16:17]
	v_fma_f64 v[3:4], v[3:4], v[14:15], -v[18:19]
	v_fma_f64 v[1:2], v[1:2], v[14:15], v[16:17]
	buffer_store_dword v4, off, s[0:3], 0 offset:580
	buffer_store_dword v3, off, s[0:3], 0 offset:576
	;; [unrolled: 1-line block ×4, first 2 shown]
.LBB45_155:
	s_or_b32 exec_lo, exec_lo, s4
	v_mov_b32_e32 v4, s19
	s_waitcnt_vscnt null, 0x0
	s_barrier
	buffer_gl0_inv
	s_mov_b32 s4, exec_lo
	s_clause 0x3
	buffer_load_dword v1, v4, s[0:3], 0 offen
	buffer_load_dword v2, v4, s[0:3], 0 offen offset:4
	buffer_load_dword v3, v4, s[0:3], 0 offen offset:8
	;; [unrolled: 1-line block ×3, first 2 shown]
	s_waitcnt vmcnt(0)
	ds_write_b128 v9, v[1:4]
	s_waitcnt lgkmcnt(0)
	s_barrier
	buffer_gl0_inv
	v_cmpx_gt_u32_e32 36, v0
	s_cbranch_execz .LBB45_159
; %bb.156:
	v_mov_b32_e32 v1, 0
	v_mov_b32_e32 v3, 0
	v_add_nc_u32_e32 v11, -1, v0
	v_add_nc_u32_e32 v14, 0x2e0, v153
	v_mov_b32_e32 v2, 0
	v_mov_b32_e32 v4, 0
	v_add_nc_u32_e32 v15, 16, v153
	s_mov_b32 s5, 0
	.p2align	6
.LBB45_157:                             ; =>This Inner Loop Header: Depth=1
	s_clause 0x3
	buffer_load_dword v20, v15, s[0:3], 0 offen offset:8
	buffer_load_dword v21, v15, s[0:3], 0 offen offset:12
	buffer_load_dword v22, v15, s[0:3], 0 offen
	buffer_load_dword v23, v15, s[0:3], 0 offen offset:4
	ds_read_b128 v[16:19], v14
	v_add_nc_u32_e32 v11, 1, v11
	v_add_nc_u32_e32 v14, 16, v14
	;; [unrolled: 1-line block ×3, first 2 shown]
	v_cmp_lt_u32_e32 vcc_lo, 34, v11
	s_or_b32 s5, vcc_lo, s5
	s_waitcnt vmcnt(2) lgkmcnt(0)
	v_mul_f64 v[27:28], v[18:19], v[20:21]
	v_mul_f64 v[20:21], v[16:17], v[20:21]
	s_waitcnt vmcnt(0)
	v_fma_f64 v[16:17], v[16:17], v[22:23], -v[27:28]
	v_fma_f64 v[18:19], v[18:19], v[22:23], v[20:21]
	v_add_f64 v[3:4], v[3:4], v[16:17]
	v_add_f64 v[1:2], v[1:2], v[18:19]
	s_andn2_b32 exec_lo, exec_lo, s5
	s_cbranch_execnz .LBB45_157
; %bb.158:
	s_or_b32 exec_lo, exec_lo, s5
	v_mov_b32_e32 v11, 0
	ds_read_b128 v[14:17], v11 offset:576
	s_waitcnt lgkmcnt(0)
	v_mul_f64 v[18:19], v[1:2], v[16:17]
	v_mul_f64 v[16:17], v[3:4], v[16:17]
	v_fma_f64 v[3:4], v[3:4], v[14:15], -v[18:19]
	v_fma_f64 v[1:2], v[1:2], v[14:15], v[16:17]
	buffer_store_dword v4, off, s[0:3], 0 offset:596
	buffer_store_dword v3, off, s[0:3], 0 offset:592
	;; [unrolled: 1-line block ×4, first 2 shown]
.LBB45_159:
	s_or_b32 exec_lo, exec_lo, s4
	v_mov_b32_e32 v4, s18
	s_waitcnt_vscnt null, 0x0
	s_barrier
	buffer_gl0_inv
	s_mov_b32 s4, exec_lo
	s_clause 0x3
	buffer_load_dword v1, v4, s[0:3], 0 offen
	buffer_load_dword v2, v4, s[0:3], 0 offen offset:4
	buffer_load_dword v3, v4, s[0:3], 0 offen offset:8
	;; [unrolled: 1-line block ×3, first 2 shown]
	s_waitcnt vmcnt(0)
	ds_write_b128 v9, v[1:4]
	s_waitcnt lgkmcnt(0)
	s_barrier
	buffer_gl0_inv
	v_cmpx_gt_u32_e32 37, v0
	s_cbranch_execz .LBB45_163
; %bb.160:
	v_mov_b32_e32 v1, 0
	v_mov_b32_e32 v3, 0
	v_add_nc_u32_e32 v11, -1, v0
	v_add_nc_u32_e32 v14, 0x2e0, v153
	v_mov_b32_e32 v2, 0
	v_mov_b32_e32 v4, 0
	v_add_nc_u32_e32 v15, 16, v153
	s_mov_b32 s5, 0
	.p2align	6
.LBB45_161:                             ; =>This Inner Loop Header: Depth=1
	s_clause 0x3
	buffer_load_dword v20, v15, s[0:3], 0 offen offset:8
	buffer_load_dword v21, v15, s[0:3], 0 offen offset:12
	buffer_load_dword v22, v15, s[0:3], 0 offen
	buffer_load_dword v23, v15, s[0:3], 0 offen offset:4
	ds_read_b128 v[16:19], v14
	v_add_nc_u32_e32 v11, 1, v11
	v_add_nc_u32_e32 v14, 16, v14
	v_add_nc_u32_e32 v15, 16, v15
	v_cmp_lt_u32_e32 vcc_lo, 35, v11
	s_or_b32 s5, vcc_lo, s5
	s_waitcnt vmcnt(2) lgkmcnt(0)
	v_mul_f64 v[27:28], v[18:19], v[20:21]
	v_mul_f64 v[20:21], v[16:17], v[20:21]
	s_waitcnt vmcnt(0)
	v_fma_f64 v[16:17], v[16:17], v[22:23], -v[27:28]
	v_fma_f64 v[18:19], v[18:19], v[22:23], v[20:21]
	v_add_f64 v[3:4], v[3:4], v[16:17]
	v_add_f64 v[1:2], v[1:2], v[18:19]
	s_andn2_b32 exec_lo, exec_lo, s5
	s_cbranch_execnz .LBB45_161
; %bb.162:
	s_or_b32 exec_lo, exec_lo, s5
	v_mov_b32_e32 v11, 0
	ds_read_b128 v[14:17], v11 offset:592
	s_waitcnt lgkmcnt(0)
	v_mul_f64 v[18:19], v[1:2], v[16:17]
	v_mul_f64 v[16:17], v[3:4], v[16:17]
	v_fma_f64 v[3:4], v[3:4], v[14:15], -v[18:19]
	v_fma_f64 v[1:2], v[1:2], v[14:15], v[16:17]
	buffer_store_dword v4, off, s[0:3], 0 offset:612
	buffer_store_dword v3, off, s[0:3], 0 offset:608
	;; [unrolled: 1-line block ×4, first 2 shown]
.LBB45_163:
	s_or_b32 exec_lo, exec_lo, s4
	v_mov_b32_e32 v4, s17
	s_waitcnt_vscnt null, 0x0
	s_barrier
	buffer_gl0_inv
	s_mov_b32 s4, exec_lo
	s_clause 0x3
	buffer_load_dword v1, v4, s[0:3], 0 offen
	buffer_load_dword v2, v4, s[0:3], 0 offen offset:4
	buffer_load_dword v3, v4, s[0:3], 0 offen offset:8
	buffer_load_dword v4, v4, s[0:3], 0 offen offset:12
	s_waitcnt vmcnt(0)
	ds_write_b128 v9, v[1:4]
	s_waitcnt lgkmcnt(0)
	s_barrier
	buffer_gl0_inv
	v_cmpx_gt_u32_e32 38, v0
	s_cbranch_execz .LBB45_167
; %bb.164:
	v_mov_b32_e32 v1, 0
	v_mov_b32_e32 v3, 0
	v_add_nc_u32_e32 v11, -1, v0
	v_add_nc_u32_e32 v14, 0x2e0, v153
	v_mov_b32_e32 v2, 0
	v_mov_b32_e32 v4, 0
	v_add_nc_u32_e32 v15, 16, v153
	s_mov_b32 s5, 0
	.p2align	6
.LBB45_165:                             ; =>This Inner Loop Header: Depth=1
	s_clause 0x3
	buffer_load_dword v20, v15, s[0:3], 0 offen offset:8
	buffer_load_dword v21, v15, s[0:3], 0 offen offset:12
	buffer_load_dword v22, v15, s[0:3], 0 offen
	buffer_load_dword v23, v15, s[0:3], 0 offen offset:4
	ds_read_b128 v[16:19], v14
	v_add_nc_u32_e32 v11, 1, v11
	v_add_nc_u32_e32 v14, 16, v14
	;; [unrolled: 1-line block ×3, first 2 shown]
	v_cmp_lt_u32_e32 vcc_lo, 36, v11
	s_or_b32 s5, vcc_lo, s5
	s_waitcnt vmcnt(2) lgkmcnt(0)
	v_mul_f64 v[27:28], v[18:19], v[20:21]
	v_mul_f64 v[20:21], v[16:17], v[20:21]
	s_waitcnt vmcnt(0)
	v_fma_f64 v[16:17], v[16:17], v[22:23], -v[27:28]
	v_fma_f64 v[18:19], v[18:19], v[22:23], v[20:21]
	v_add_f64 v[3:4], v[3:4], v[16:17]
	v_add_f64 v[1:2], v[1:2], v[18:19]
	s_andn2_b32 exec_lo, exec_lo, s5
	s_cbranch_execnz .LBB45_165
; %bb.166:
	s_or_b32 exec_lo, exec_lo, s5
	v_mov_b32_e32 v11, 0
	ds_read_b128 v[14:17], v11 offset:608
	s_waitcnt lgkmcnt(0)
	v_mul_f64 v[18:19], v[1:2], v[16:17]
	v_mul_f64 v[16:17], v[3:4], v[16:17]
	v_fma_f64 v[3:4], v[3:4], v[14:15], -v[18:19]
	v_fma_f64 v[1:2], v[1:2], v[14:15], v[16:17]
	buffer_store_dword v4, off, s[0:3], 0 offset:628
	buffer_store_dword v3, off, s[0:3], 0 offset:624
	;; [unrolled: 1-line block ×4, first 2 shown]
.LBB45_167:
	s_or_b32 exec_lo, exec_lo, s4
	v_mov_b32_e32 v4, s16
	s_waitcnt_vscnt null, 0x0
	s_barrier
	buffer_gl0_inv
	s_mov_b32 s4, exec_lo
	s_clause 0x3
	buffer_load_dword v1, v4, s[0:3], 0 offen
	buffer_load_dword v2, v4, s[0:3], 0 offen offset:4
	buffer_load_dword v3, v4, s[0:3], 0 offen offset:8
	;; [unrolled: 1-line block ×3, first 2 shown]
	s_waitcnt vmcnt(0)
	ds_write_b128 v9, v[1:4]
	s_waitcnt lgkmcnt(0)
	s_barrier
	buffer_gl0_inv
	v_cmpx_gt_u32_e32 39, v0
	s_cbranch_execz .LBB45_171
; %bb.168:
	v_mov_b32_e32 v1, 0
	v_mov_b32_e32 v3, 0
	v_add_nc_u32_e32 v11, -1, v0
	v_add_nc_u32_e32 v14, 0x2e0, v153
	v_mov_b32_e32 v2, 0
	v_mov_b32_e32 v4, 0
	v_add_nc_u32_e32 v15, 16, v153
	s_mov_b32 s5, 0
	.p2align	6
.LBB45_169:                             ; =>This Inner Loop Header: Depth=1
	s_clause 0x3
	buffer_load_dword v20, v15, s[0:3], 0 offen offset:8
	buffer_load_dword v21, v15, s[0:3], 0 offen offset:12
	buffer_load_dword v22, v15, s[0:3], 0 offen
	buffer_load_dword v23, v15, s[0:3], 0 offen offset:4
	ds_read_b128 v[16:19], v14
	v_add_nc_u32_e32 v11, 1, v11
	v_add_nc_u32_e32 v14, 16, v14
	;; [unrolled: 1-line block ×3, first 2 shown]
	v_cmp_lt_u32_e32 vcc_lo, 37, v11
	s_or_b32 s5, vcc_lo, s5
	s_waitcnt vmcnt(2) lgkmcnt(0)
	v_mul_f64 v[27:28], v[18:19], v[20:21]
	v_mul_f64 v[20:21], v[16:17], v[20:21]
	s_waitcnt vmcnt(0)
	v_fma_f64 v[16:17], v[16:17], v[22:23], -v[27:28]
	v_fma_f64 v[18:19], v[18:19], v[22:23], v[20:21]
	v_add_f64 v[3:4], v[3:4], v[16:17]
	v_add_f64 v[1:2], v[1:2], v[18:19]
	s_andn2_b32 exec_lo, exec_lo, s5
	s_cbranch_execnz .LBB45_169
; %bb.170:
	s_or_b32 exec_lo, exec_lo, s5
	v_mov_b32_e32 v11, 0
	ds_read_b128 v[14:17], v11 offset:624
	s_waitcnt lgkmcnt(0)
	v_mul_f64 v[18:19], v[1:2], v[16:17]
	v_mul_f64 v[16:17], v[3:4], v[16:17]
	v_fma_f64 v[3:4], v[3:4], v[14:15], -v[18:19]
	v_fma_f64 v[1:2], v[1:2], v[14:15], v[16:17]
	buffer_store_dword v4, off, s[0:3], 0 offset:644
	buffer_store_dword v3, off, s[0:3], 0 offset:640
	buffer_store_dword v2, off, s[0:3], 0 offset:652
	buffer_store_dword v1, off, s[0:3], 0 offset:648
.LBB45_171:
	s_or_b32 exec_lo, exec_lo, s4
	v_mov_b32_e32 v4, s15
	s_waitcnt_vscnt null, 0x0
	s_barrier
	buffer_gl0_inv
	s_mov_b32 s4, exec_lo
	s_clause 0x3
	buffer_load_dword v1, v4, s[0:3], 0 offen
	buffer_load_dword v2, v4, s[0:3], 0 offen offset:4
	buffer_load_dword v3, v4, s[0:3], 0 offen offset:8
	;; [unrolled: 1-line block ×3, first 2 shown]
	s_waitcnt vmcnt(0)
	ds_write_b128 v9, v[1:4]
	s_waitcnt lgkmcnt(0)
	s_barrier
	buffer_gl0_inv
	v_cmpx_gt_u32_e32 40, v0
	s_cbranch_execz .LBB45_175
; %bb.172:
	v_mov_b32_e32 v1, 0
	v_mov_b32_e32 v3, 0
	v_add_nc_u32_e32 v11, -1, v0
	v_add_nc_u32_e32 v14, 0x2e0, v153
	v_mov_b32_e32 v2, 0
	v_mov_b32_e32 v4, 0
	v_add_nc_u32_e32 v15, 16, v153
	s_mov_b32 s5, 0
	.p2align	6
.LBB45_173:                             ; =>This Inner Loop Header: Depth=1
	s_clause 0x3
	buffer_load_dword v20, v15, s[0:3], 0 offen offset:8
	buffer_load_dword v21, v15, s[0:3], 0 offen offset:12
	buffer_load_dword v22, v15, s[0:3], 0 offen
	buffer_load_dword v23, v15, s[0:3], 0 offen offset:4
	ds_read_b128 v[16:19], v14
	v_add_nc_u32_e32 v11, 1, v11
	v_add_nc_u32_e32 v14, 16, v14
	;; [unrolled: 1-line block ×3, first 2 shown]
	v_cmp_lt_u32_e32 vcc_lo, 38, v11
	s_or_b32 s5, vcc_lo, s5
	s_waitcnt vmcnt(2) lgkmcnt(0)
	v_mul_f64 v[27:28], v[18:19], v[20:21]
	v_mul_f64 v[20:21], v[16:17], v[20:21]
	s_waitcnt vmcnt(0)
	v_fma_f64 v[16:17], v[16:17], v[22:23], -v[27:28]
	v_fma_f64 v[18:19], v[18:19], v[22:23], v[20:21]
	v_add_f64 v[3:4], v[3:4], v[16:17]
	v_add_f64 v[1:2], v[1:2], v[18:19]
	s_andn2_b32 exec_lo, exec_lo, s5
	s_cbranch_execnz .LBB45_173
; %bb.174:
	s_or_b32 exec_lo, exec_lo, s5
	v_mov_b32_e32 v11, 0
	ds_read_b128 v[14:17], v11 offset:640
	s_waitcnt lgkmcnt(0)
	v_mul_f64 v[18:19], v[1:2], v[16:17]
	v_mul_f64 v[16:17], v[3:4], v[16:17]
	v_fma_f64 v[3:4], v[3:4], v[14:15], -v[18:19]
	v_fma_f64 v[1:2], v[1:2], v[14:15], v[16:17]
	buffer_store_dword v4, off, s[0:3], 0 offset:660
	buffer_store_dword v3, off, s[0:3], 0 offset:656
	;; [unrolled: 1-line block ×4, first 2 shown]
.LBB45_175:
	s_or_b32 exec_lo, exec_lo, s4
	v_mov_b32_e32 v4, s14
	s_waitcnt_vscnt null, 0x0
	s_barrier
	buffer_gl0_inv
	s_mov_b32 s4, exec_lo
	s_clause 0x3
	buffer_load_dword v1, v4, s[0:3], 0 offen
	buffer_load_dword v2, v4, s[0:3], 0 offen offset:4
	buffer_load_dword v3, v4, s[0:3], 0 offen offset:8
	;; [unrolled: 1-line block ×3, first 2 shown]
	s_waitcnt vmcnt(0)
	ds_write_b128 v9, v[1:4]
	s_waitcnt lgkmcnt(0)
	s_barrier
	buffer_gl0_inv
	v_cmpx_gt_u32_e32 41, v0
	s_cbranch_execz .LBB45_179
; %bb.176:
	v_mov_b32_e32 v1, 0
	v_mov_b32_e32 v3, 0
	v_add_nc_u32_e32 v11, -1, v0
	v_add_nc_u32_e32 v14, 0x2e0, v153
	v_mov_b32_e32 v2, 0
	v_mov_b32_e32 v4, 0
	v_add_nc_u32_e32 v15, 16, v153
	s_mov_b32 s5, 0
	.p2align	6
.LBB45_177:                             ; =>This Inner Loop Header: Depth=1
	s_clause 0x3
	buffer_load_dword v20, v15, s[0:3], 0 offen offset:8
	buffer_load_dword v21, v15, s[0:3], 0 offen offset:12
	buffer_load_dword v22, v15, s[0:3], 0 offen
	buffer_load_dword v23, v15, s[0:3], 0 offen offset:4
	ds_read_b128 v[16:19], v14
	v_add_nc_u32_e32 v11, 1, v11
	v_add_nc_u32_e32 v14, 16, v14
	;; [unrolled: 1-line block ×3, first 2 shown]
	v_cmp_lt_u32_e32 vcc_lo, 39, v11
	s_or_b32 s5, vcc_lo, s5
	s_waitcnt vmcnt(2) lgkmcnt(0)
	v_mul_f64 v[27:28], v[18:19], v[20:21]
	v_mul_f64 v[20:21], v[16:17], v[20:21]
	s_waitcnt vmcnt(0)
	v_fma_f64 v[16:17], v[16:17], v[22:23], -v[27:28]
	v_fma_f64 v[18:19], v[18:19], v[22:23], v[20:21]
	v_add_f64 v[3:4], v[3:4], v[16:17]
	v_add_f64 v[1:2], v[1:2], v[18:19]
	s_andn2_b32 exec_lo, exec_lo, s5
	s_cbranch_execnz .LBB45_177
; %bb.178:
	s_or_b32 exec_lo, exec_lo, s5
	v_mov_b32_e32 v11, 0
	ds_read_b128 v[14:17], v11 offset:656
	s_waitcnt lgkmcnt(0)
	v_mul_f64 v[18:19], v[1:2], v[16:17]
	v_mul_f64 v[16:17], v[3:4], v[16:17]
	v_fma_f64 v[3:4], v[3:4], v[14:15], -v[18:19]
	v_fma_f64 v[1:2], v[1:2], v[14:15], v[16:17]
	buffer_store_dword v4, off, s[0:3], 0 offset:676
	buffer_store_dword v3, off, s[0:3], 0 offset:672
	;; [unrolled: 1-line block ×4, first 2 shown]
.LBB45_179:
	s_or_b32 exec_lo, exec_lo, s4
	v_mov_b32_e32 v4, s13
	s_waitcnt_vscnt null, 0x0
	s_barrier
	buffer_gl0_inv
	s_mov_b32 s4, exec_lo
	s_clause 0x3
	buffer_load_dword v1, v4, s[0:3], 0 offen
	buffer_load_dword v2, v4, s[0:3], 0 offen offset:4
	buffer_load_dword v3, v4, s[0:3], 0 offen offset:8
	;; [unrolled: 1-line block ×3, first 2 shown]
	s_waitcnt vmcnt(0)
	ds_write_b128 v9, v[1:4]
	s_waitcnt lgkmcnt(0)
	s_barrier
	buffer_gl0_inv
	v_cmpx_gt_u32_e32 42, v0
	s_cbranch_execz .LBB45_183
; %bb.180:
	v_mov_b32_e32 v1, 0
	v_mov_b32_e32 v3, 0
	v_add_nc_u32_e32 v11, -1, v0
	v_add_nc_u32_e32 v14, 0x2e0, v153
	v_mov_b32_e32 v2, 0
	v_mov_b32_e32 v4, 0
	v_add_nc_u32_e32 v15, 16, v153
	s_mov_b32 s5, 0
	.p2align	6
.LBB45_181:                             ; =>This Inner Loop Header: Depth=1
	s_clause 0x3
	buffer_load_dword v20, v15, s[0:3], 0 offen offset:8
	buffer_load_dword v21, v15, s[0:3], 0 offen offset:12
	buffer_load_dword v22, v15, s[0:3], 0 offen
	buffer_load_dword v23, v15, s[0:3], 0 offen offset:4
	ds_read_b128 v[16:19], v14
	v_add_nc_u32_e32 v11, 1, v11
	v_add_nc_u32_e32 v14, 16, v14
	;; [unrolled: 1-line block ×3, first 2 shown]
	v_cmp_lt_u32_e32 vcc_lo, 40, v11
	s_or_b32 s5, vcc_lo, s5
	s_waitcnt vmcnt(2) lgkmcnt(0)
	v_mul_f64 v[27:28], v[18:19], v[20:21]
	v_mul_f64 v[20:21], v[16:17], v[20:21]
	s_waitcnt vmcnt(0)
	v_fma_f64 v[16:17], v[16:17], v[22:23], -v[27:28]
	v_fma_f64 v[18:19], v[18:19], v[22:23], v[20:21]
	v_add_f64 v[3:4], v[3:4], v[16:17]
	v_add_f64 v[1:2], v[1:2], v[18:19]
	s_andn2_b32 exec_lo, exec_lo, s5
	s_cbranch_execnz .LBB45_181
; %bb.182:
	s_or_b32 exec_lo, exec_lo, s5
	v_mov_b32_e32 v11, 0
	ds_read_b128 v[14:17], v11 offset:672
	s_waitcnt lgkmcnt(0)
	v_mul_f64 v[18:19], v[1:2], v[16:17]
	v_mul_f64 v[16:17], v[3:4], v[16:17]
	v_fma_f64 v[3:4], v[3:4], v[14:15], -v[18:19]
	v_fma_f64 v[1:2], v[1:2], v[14:15], v[16:17]
	buffer_store_dword v4, off, s[0:3], 0 offset:692
	buffer_store_dword v3, off, s[0:3], 0 offset:688
	;; [unrolled: 1-line block ×4, first 2 shown]
.LBB45_183:
	s_or_b32 exec_lo, exec_lo, s4
	v_mov_b32_e32 v4, s12
	s_waitcnt_vscnt null, 0x0
	s_barrier
	buffer_gl0_inv
	s_mov_b32 s4, exec_lo
	s_clause 0x3
	buffer_load_dword v1, v4, s[0:3], 0 offen
	buffer_load_dword v2, v4, s[0:3], 0 offen offset:4
	buffer_load_dword v3, v4, s[0:3], 0 offen offset:8
	;; [unrolled: 1-line block ×3, first 2 shown]
	s_waitcnt vmcnt(0)
	ds_write_b128 v9, v[1:4]
	s_waitcnt lgkmcnt(0)
	s_barrier
	buffer_gl0_inv
	v_cmpx_gt_u32_e32 43, v0
	s_cbranch_execz .LBB45_187
; %bb.184:
	v_mov_b32_e32 v1, 0
	v_mov_b32_e32 v3, 0
	v_add_nc_u32_e32 v11, -1, v0
	v_add_nc_u32_e32 v14, 0x2e0, v153
	v_mov_b32_e32 v2, 0
	v_mov_b32_e32 v4, 0
	v_add_nc_u32_e32 v15, 16, v153
	s_mov_b32 s5, 0
	.p2align	6
.LBB45_185:                             ; =>This Inner Loop Header: Depth=1
	s_clause 0x3
	buffer_load_dword v20, v15, s[0:3], 0 offen offset:8
	buffer_load_dword v21, v15, s[0:3], 0 offen offset:12
	buffer_load_dword v22, v15, s[0:3], 0 offen
	buffer_load_dword v23, v15, s[0:3], 0 offen offset:4
	ds_read_b128 v[16:19], v14
	v_add_nc_u32_e32 v11, 1, v11
	v_add_nc_u32_e32 v14, 16, v14
	;; [unrolled: 1-line block ×3, first 2 shown]
	v_cmp_lt_u32_e32 vcc_lo, 41, v11
	s_or_b32 s5, vcc_lo, s5
	s_waitcnt vmcnt(2) lgkmcnt(0)
	v_mul_f64 v[27:28], v[18:19], v[20:21]
	v_mul_f64 v[20:21], v[16:17], v[20:21]
	s_waitcnt vmcnt(0)
	v_fma_f64 v[16:17], v[16:17], v[22:23], -v[27:28]
	v_fma_f64 v[18:19], v[18:19], v[22:23], v[20:21]
	v_add_f64 v[3:4], v[3:4], v[16:17]
	v_add_f64 v[1:2], v[1:2], v[18:19]
	s_andn2_b32 exec_lo, exec_lo, s5
	s_cbranch_execnz .LBB45_185
; %bb.186:
	s_or_b32 exec_lo, exec_lo, s5
	v_mov_b32_e32 v11, 0
	ds_read_b128 v[14:17], v11 offset:688
	s_waitcnt lgkmcnt(0)
	v_mul_f64 v[18:19], v[1:2], v[16:17]
	v_mul_f64 v[16:17], v[3:4], v[16:17]
	v_fma_f64 v[3:4], v[3:4], v[14:15], -v[18:19]
	v_fma_f64 v[1:2], v[1:2], v[14:15], v[16:17]
	buffer_store_dword v4, off, s[0:3], 0 offset:708
	buffer_store_dword v3, off, s[0:3], 0 offset:704
	;; [unrolled: 1-line block ×4, first 2 shown]
.LBB45_187:
	s_or_b32 exec_lo, exec_lo, s4
	v_mov_b32_e32 v4, s9
	s_waitcnt_vscnt null, 0x0
	s_barrier
	buffer_gl0_inv
	s_mov_b32 s4, exec_lo
	s_clause 0x3
	buffer_load_dword v1, v4, s[0:3], 0 offen
	buffer_load_dword v2, v4, s[0:3], 0 offen offset:4
	buffer_load_dword v3, v4, s[0:3], 0 offen offset:8
	;; [unrolled: 1-line block ×3, first 2 shown]
	s_waitcnt vmcnt(0)
	ds_write_b128 v9, v[1:4]
	s_waitcnt lgkmcnt(0)
	s_barrier
	buffer_gl0_inv
	v_cmpx_gt_u32_e32 44, v0
	s_cbranch_execz .LBB45_191
; %bb.188:
	v_mov_b32_e32 v1, 0
	v_mov_b32_e32 v3, 0
	v_add_nc_u32_e32 v11, -1, v0
	v_add_nc_u32_e32 v14, 0x2e0, v153
	v_mov_b32_e32 v2, 0
	v_mov_b32_e32 v4, 0
	v_add_nc_u32_e32 v15, 16, v153
	s_mov_b32 s5, 0
	.p2align	6
.LBB45_189:                             ; =>This Inner Loop Header: Depth=1
	s_clause 0x3
	buffer_load_dword v20, v15, s[0:3], 0 offen offset:8
	buffer_load_dword v21, v15, s[0:3], 0 offen offset:12
	buffer_load_dword v22, v15, s[0:3], 0 offen
	buffer_load_dword v23, v15, s[0:3], 0 offen offset:4
	ds_read_b128 v[16:19], v14
	v_add_nc_u32_e32 v11, 1, v11
	v_add_nc_u32_e32 v14, 16, v14
	;; [unrolled: 1-line block ×3, first 2 shown]
	v_cmp_lt_u32_e32 vcc_lo, 42, v11
	s_or_b32 s5, vcc_lo, s5
	s_waitcnt vmcnt(2) lgkmcnt(0)
	v_mul_f64 v[27:28], v[18:19], v[20:21]
	v_mul_f64 v[20:21], v[16:17], v[20:21]
	s_waitcnt vmcnt(0)
	v_fma_f64 v[16:17], v[16:17], v[22:23], -v[27:28]
	v_fma_f64 v[18:19], v[18:19], v[22:23], v[20:21]
	v_add_f64 v[3:4], v[3:4], v[16:17]
	v_add_f64 v[1:2], v[1:2], v[18:19]
	s_andn2_b32 exec_lo, exec_lo, s5
	s_cbranch_execnz .LBB45_189
; %bb.190:
	s_or_b32 exec_lo, exec_lo, s5
	v_mov_b32_e32 v11, 0
	ds_read_b128 v[14:17], v11 offset:704
	s_waitcnt lgkmcnt(0)
	v_mul_f64 v[18:19], v[1:2], v[16:17]
	v_mul_f64 v[16:17], v[3:4], v[16:17]
	v_fma_f64 v[3:4], v[3:4], v[14:15], -v[18:19]
	v_fma_f64 v[1:2], v[1:2], v[14:15], v[16:17]
	buffer_store_dword v4, off, s[0:3], 0 offset:724
	buffer_store_dword v3, off, s[0:3], 0 offset:720
	;; [unrolled: 1-line block ×4, first 2 shown]
.LBB45_191:
	s_or_b32 exec_lo, exec_lo, s4
	v_mov_b32_e32 v4, s8
	s_waitcnt_vscnt null, 0x0
	s_barrier
	buffer_gl0_inv
	s_mov_b32 s4, exec_lo
	s_clause 0x3
	buffer_load_dword v1, v4, s[0:3], 0 offen
	buffer_load_dword v2, v4, s[0:3], 0 offen offset:4
	buffer_load_dword v3, v4, s[0:3], 0 offen offset:8
	;; [unrolled: 1-line block ×3, first 2 shown]
	s_waitcnt vmcnt(0)
	ds_write_b128 v9, v[1:4]
	s_waitcnt lgkmcnt(0)
	s_barrier
	buffer_gl0_inv
	v_cmpx_ne_u32_e32 45, v0
	s_cbranch_execz .LBB45_195
; %bb.192:
	v_mov_b32_e32 v1, 0
	v_mov_b32_e32 v3, 0
	;; [unrolled: 1-line block ×4, first 2 shown]
	v_add_nc_u32_e32 v11, 16, v153
	s_mov_b32 s5, 0
	.p2align	6
.LBB45_193:                             ; =>This Inner Loop Header: Depth=1
	s_clause 0x3
	buffer_load_dword v18, v11, s[0:3], 0 offen offset:8
	buffer_load_dword v19, v11, s[0:3], 0 offen offset:12
	buffer_load_dword v20, v11, s[0:3], 0 offen
	buffer_load_dword v21, v11, s[0:3], 0 offen offset:4
	ds_read_b128 v[14:17], v9
	v_add_nc_u32_e32 v10, 1, v10
	v_add_nc_u32_e32 v9, 16, v9
	v_add_nc_u32_e32 v11, 16, v11
	v_cmp_lt_u32_e32 vcc_lo, 43, v10
	s_or_b32 s5, vcc_lo, s5
	s_waitcnt vmcnt(2) lgkmcnt(0)
	v_mul_f64 v[22:23], v[16:17], v[18:19]
	v_mul_f64 v[18:19], v[14:15], v[18:19]
	s_waitcnt vmcnt(0)
	v_fma_f64 v[14:15], v[14:15], v[20:21], -v[22:23]
	v_fma_f64 v[16:17], v[16:17], v[20:21], v[18:19]
	v_add_f64 v[3:4], v[3:4], v[14:15]
	v_add_f64 v[1:2], v[1:2], v[16:17]
	s_andn2_b32 exec_lo, exec_lo, s5
	s_cbranch_execnz .LBB45_193
; %bb.194:
	s_or_b32 exec_lo, exec_lo, s5
	v_mov_b32_e32 v9, 0
	ds_read_b128 v[14:17], v9 offset:720
	s_waitcnt lgkmcnt(0)
	v_mul_f64 v[9:10], v[1:2], v[16:17]
	v_mul_f64 v[16:17], v[3:4], v[16:17]
	v_fma_f64 v[3:4], v[3:4], v[14:15], -v[9:10]
	v_fma_f64 v[1:2], v[1:2], v[14:15], v[16:17]
	buffer_store_dword v4, off, s[0:3], 0 offset:740
	buffer_store_dword v3, off, s[0:3], 0 offset:736
	;; [unrolled: 1-line block ×4, first 2 shown]
.LBB45_195:
	s_or_b32 exec_lo, exec_lo, s4
	s_mov_b32 s5, -1
	s_waitcnt_vscnt null, 0x0
	s_barrier
	buffer_gl0_inv
.LBB45_196:
	s_and_b32 vcc_lo, exec_lo, s5
	s_cbranch_vccz .LBB45_198
; %bb.197:
	s_lshl_b64 s[4:5], s[6:7], 2
	v_mov_b32_e32 v1, 0
	s_add_u32 s4, s10, s4
	s_addc_u32 s5, s11, s5
	global_load_dword v1, v1, s[4:5]
	s_waitcnt vmcnt(0)
	v_cmp_ne_u32_e32 vcc_lo, 0, v1
	s_cbranch_vccz .LBB45_199
.LBB45_198:
	s_endpgm
.LBB45_199:
	v_lshl_add_u32 v11, v0, 4, 0x2e0
	s_mov_b32 s4, exec_lo
	v_cmpx_eq_u32_e32 45, v0
	s_cbranch_execz .LBB45_201
; %bb.200:
	v_mov_b32_e32 v4, s9
	v_mov_b32_e32 v9, 0
	s_clause 0x3
	buffer_load_dword v1, v4, s[0:3], 0 offen
	buffer_load_dword v2, v4, s[0:3], 0 offen offset:4
	buffer_load_dword v3, v4, s[0:3], 0 offen offset:8
	;; [unrolled: 1-line block ×3, first 2 shown]
	buffer_store_dword v9, off, s[0:3], 0 offset:720
	buffer_store_dword v9, off, s[0:3], 0 offset:724
	;; [unrolled: 1-line block ×4, first 2 shown]
	s_waitcnt vmcnt(0)
	ds_write_b128 v11, v[1:4]
.LBB45_201:
	s_or_b32 exec_lo, exec_lo, s4
	s_waitcnt lgkmcnt(0)
	s_waitcnt_vscnt null, 0x0
	s_barrier
	buffer_gl0_inv
	s_clause 0x7
	buffer_load_dword v2, off, s[0:3], 0 offset:744
	buffer_load_dword v3, off, s[0:3], 0 offset:748
	;; [unrolled: 1-line block ×8, first 2 shown]
	v_mov_b32_e32 v1, 0
	s_mov_b32 s4, exec_lo
	ds_read_b128 v[14:17], v1 offset:1456
	s_waitcnt vmcnt(6) lgkmcnt(0)
	v_mul_f64 v[22:23], v[16:17], v[2:3]
	v_mul_f64 v[2:3], v[14:15], v[2:3]
	s_waitcnt vmcnt(4)
	v_fma_f64 v[14:15], v[14:15], v[9:10], -v[22:23]
	v_fma_f64 v[2:3], v[16:17], v[9:10], v[2:3]
	v_add_f64 v[9:10], v[14:15], 0
	v_add_f64 v[2:3], v[2:3], 0
	s_waitcnt vmcnt(2)
	v_add_f64 v[9:10], v[18:19], -v[9:10]
	s_waitcnt vmcnt(0)
	v_add_f64 v[2:3], v[20:21], -v[2:3]
	buffer_store_dword v9, off, s[0:3], 0 offset:720
	buffer_store_dword v10, off, s[0:3], 0 offset:724
	buffer_store_dword v2, off, s[0:3], 0 offset:728
	buffer_store_dword v3, off, s[0:3], 0 offset:732
	v_cmpx_lt_u32_e32 43, v0
	s_cbranch_execz .LBB45_203
; %bb.202:
	v_mov_b32_e32 v2, s12
	s_clause 0x3
	buffer_load_dword v14, v2, s[0:3], 0 offen
	buffer_load_dword v15, v2, s[0:3], 0 offen offset:4
	buffer_load_dword v16, v2, s[0:3], 0 offen offset:8
	;; [unrolled: 1-line block ×3, first 2 shown]
	buffer_store_dword v1, off, s[0:3], 0 offset:704
	buffer_store_dword v1, off, s[0:3], 0 offset:708
	;; [unrolled: 1-line block ×4, first 2 shown]
	s_waitcnt vmcnt(0)
	ds_write_b128 v11, v[14:17]
.LBB45_203:
	s_or_b32 exec_lo, exec_lo, s4
	s_waitcnt lgkmcnt(0)
	s_waitcnt_vscnt null, 0x0
	s_barrier
	buffer_gl0_inv
	s_clause 0xb
	buffer_load_dword v9, off, s[0:3], 0 offset:728
	buffer_load_dword v10, off, s[0:3], 0 offset:732
	;; [unrolled: 1-line block ×12, first 2 shown]
	ds_read_b128 v[14:17], v1 offset:1440
	ds_read_b128 v[1:4], v1 offset:1456
	s_mov_b32 s4, exec_lo
	s_waitcnt vmcnt(10) lgkmcnt(1)
	v_mul_f64 v[31:32], v[16:17], v[9:10]
	v_mul_f64 v[9:10], v[14:15], v[9:10]
	s_waitcnt vmcnt(8) lgkmcnt(0)
	v_mul_f64 v[33:34], v[3:4], v[18:19]
	v_mul_f64 v[18:19], v[1:2], v[18:19]
	s_waitcnt vmcnt(6)
	v_fma_f64 v[14:15], v[14:15], v[20:21], -v[31:32]
	v_fma_f64 v[9:10], v[16:17], v[20:21], v[9:10]
	s_waitcnt vmcnt(4)
	v_fma_f64 v[1:2], v[1:2], v[22:23], -v[33:34]
	v_fma_f64 v[3:4], v[3:4], v[22:23], v[18:19]
	v_add_f64 v[14:15], v[14:15], 0
	v_add_f64 v[9:10], v[9:10], 0
	;; [unrolled: 1-line block ×4, first 2 shown]
	s_waitcnt vmcnt(2)
	v_add_f64 v[1:2], v[27:28], -v[1:2]
	s_waitcnt vmcnt(0)
	v_add_f64 v[3:4], v[29:30], -v[3:4]
	buffer_store_dword v1, off, s[0:3], 0 offset:704
	buffer_store_dword v2, off, s[0:3], 0 offset:708
	;; [unrolled: 1-line block ×4, first 2 shown]
	v_cmpx_lt_u32_e32 42, v0
	s_cbranch_execz .LBB45_205
; %bb.204:
	v_mov_b32_e32 v4, s13
	v_mov_b32_e32 v9, 0
	s_clause 0x3
	buffer_load_dword v1, v4, s[0:3], 0 offen
	buffer_load_dword v2, v4, s[0:3], 0 offen offset:4
	buffer_load_dword v3, v4, s[0:3], 0 offen offset:8
	;; [unrolled: 1-line block ×3, first 2 shown]
	buffer_store_dword v9, off, s[0:3], 0 offset:688
	buffer_store_dword v9, off, s[0:3], 0 offset:692
	;; [unrolled: 1-line block ×4, first 2 shown]
	s_waitcnt vmcnt(0)
	ds_write_b128 v11, v[1:4]
.LBB45_205:
	s_or_b32 exec_lo, exec_lo, s4
	s_waitcnt lgkmcnt(0)
	s_waitcnt_vscnt null, 0x0
	s_barrier
	buffer_gl0_inv
	s_clause 0xf
	buffer_load_dword v2, off, s[0:3], 0 offset:712
	buffer_load_dword v3, off, s[0:3], 0 offset:716
	;; [unrolled: 1-line block ×16, first 2 shown]
	v_mov_b32_e32 v1, 0
	ds_read_b128 v[14:17], v1 offset:1424
	ds_read_b128 v[18:21], v1 offset:1440
	;; [unrolled: 1-line block ×3, first 2 shown]
	s_mov_b32 s4, exec_lo
	s_waitcnt vmcnt(14) lgkmcnt(2)
	v_mul_f64 v[45:46], v[16:17], v[2:3]
	v_mul_f64 v[2:3], v[14:15], v[2:3]
	s_waitcnt vmcnt(12) lgkmcnt(1)
	v_mul_f64 v[47:48], v[20:21], v[9:10]
	v_mul_f64 v[9:10], v[18:19], v[9:10]
	s_waitcnt vmcnt(10)
	v_fma_f64 v[14:15], v[14:15], v[22:23], -v[45:46]
	v_fma_f64 v[2:3], v[16:17], v[22:23], v[2:3]
	s_waitcnt vmcnt(8) lgkmcnt(0)
	v_mul_f64 v[22:23], v[29:30], v[31:32]
	s_waitcnt vmcnt(6)
	v_fma_f64 v[18:19], v[18:19], v[33:34], -v[47:48]
	v_mul_f64 v[16:17], v[27:28], v[31:32]
	v_fma_f64 v[9:10], v[20:21], v[33:34], v[9:10]
	v_add_f64 v[14:15], v[14:15], 0
	v_add_f64 v[2:3], v[2:3], 0
	s_waitcnt vmcnt(4)
	v_fma_f64 v[20:21], v[27:28], v[35:36], -v[22:23]
	v_fma_f64 v[16:17], v[29:30], v[35:36], v[16:17]
	v_add_f64 v[14:15], v[14:15], v[18:19]
	v_add_f64 v[2:3], v[2:3], v[9:10]
	v_add_f64 v[9:10], v[14:15], v[20:21]
	v_add_f64 v[2:3], v[2:3], v[16:17]
	s_waitcnt vmcnt(2)
	v_add_f64 v[9:10], v[41:42], -v[9:10]
	s_waitcnt vmcnt(0)
	v_add_f64 v[2:3], v[43:44], -v[2:3]
	buffer_store_dword v9, off, s[0:3], 0 offset:688
	buffer_store_dword v10, off, s[0:3], 0 offset:692
	;; [unrolled: 1-line block ×4, first 2 shown]
	v_cmpx_lt_u32_e32 41, v0
	s_cbranch_execz .LBB45_207
; %bb.206:
	v_mov_b32_e32 v2, s14
	s_clause 0x3
	buffer_load_dword v14, v2, s[0:3], 0 offen
	buffer_load_dword v15, v2, s[0:3], 0 offen offset:4
	buffer_load_dword v16, v2, s[0:3], 0 offen offset:8
	;; [unrolled: 1-line block ×3, first 2 shown]
	buffer_store_dword v1, off, s[0:3], 0 offset:672
	buffer_store_dword v1, off, s[0:3], 0 offset:676
	;; [unrolled: 1-line block ×4, first 2 shown]
	s_waitcnt vmcnt(0)
	ds_write_b128 v11, v[14:17]
.LBB45_207:
	s_or_b32 exec_lo, exec_lo, s4
	s_waitcnt lgkmcnt(0)
	s_waitcnt_vscnt null, 0x0
	s_barrier
	buffer_gl0_inv
	s_clause 0x13
	buffer_load_dword v2, off, s[0:3], 0 offset:696
	buffer_load_dword v3, off, s[0:3], 0 offset:700
	;; [unrolled: 1-line block ×20, first 2 shown]
	ds_read_b128 v[14:17], v1 offset:1408
	ds_read_b128 v[18:21], v1 offset:1424
	;; [unrolled: 1-line block ×3, first 2 shown]
	s_mov_b32 s4, exec_lo
	s_waitcnt vmcnt(18) lgkmcnt(2)
	v_mul_f64 v[53:54], v[16:17], v[2:3]
	v_mul_f64 v[2:3], v[14:15], v[2:3]
	s_waitcnt vmcnt(16) lgkmcnt(1)
	v_mul_f64 v[55:56], v[20:21], v[9:10]
	v_mul_f64 v[9:10], v[18:19], v[9:10]
	s_waitcnt vmcnt(14)
	v_fma_f64 v[14:15], v[14:15], v[22:23], -v[53:54]
	v_fma_f64 v[16:17], v[16:17], v[22:23], v[2:3]
	s_waitcnt vmcnt(12) lgkmcnt(0)
	v_mul_f64 v[22:23], v[27:28], v[31:32]
	v_mul_f64 v[31:32], v[29:30], v[31:32]
	s_waitcnt vmcnt(10)
	v_fma_f64 v[18:19], v[18:19], v[33:34], -v[55:56]
	ds_read_b128 v[1:4], v1 offset:1456
	v_fma_f64 v[9:10], v[20:21], v[33:34], v[9:10]
	v_add_f64 v[14:15], v[14:15], 0
	v_add_f64 v[16:17], v[16:17], 0
	s_waitcnt vmcnt(8) lgkmcnt(0)
	v_mul_f64 v[33:34], v[3:4], v[35:36]
	s_waitcnt vmcnt(6)
	v_fma_f64 v[27:28], v[27:28], v[41:42], -v[31:32]
	v_mul_f64 v[20:21], v[1:2], v[35:36]
	v_add_f64 v[14:15], v[14:15], v[18:19]
	v_fma_f64 v[18:19], v[29:30], v[41:42], v[22:23]
	v_add_f64 v[9:10], v[16:17], v[9:10]
	s_waitcnt vmcnt(4)
	v_fma_f64 v[1:2], v[1:2], v[43:44], -v[33:34]
	v_fma_f64 v[3:4], v[3:4], v[43:44], v[20:21]
	v_add_f64 v[14:15], v[14:15], v[27:28]
	v_add_f64 v[9:10], v[9:10], v[18:19]
	;; [unrolled: 1-line block ×4, first 2 shown]
	s_waitcnt vmcnt(2)
	v_add_f64 v[1:2], v[45:46], -v[1:2]
	s_waitcnt vmcnt(0)
	v_add_f64 v[3:4], v[47:48], -v[3:4]
	buffer_store_dword v1, off, s[0:3], 0 offset:672
	buffer_store_dword v2, off, s[0:3], 0 offset:676
	;; [unrolled: 1-line block ×4, first 2 shown]
	v_cmpx_lt_u32_e32 40, v0
	s_cbranch_execz .LBB45_209
; %bb.208:
	v_mov_b32_e32 v4, s15
	v_mov_b32_e32 v9, 0
	s_clause 0x3
	buffer_load_dword v1, v4, s[0:3], 0 offen
	buffer_load_dword v2, v4, s[0:3], 0 offen offset:4
	buffer_load_dword v3, v4, s[0:3], 0 offen offset:8
	;; [unrolled: 1-line block ×3, first 2 shown]
	buffer_store_dword v9, off, s[0:3], 0 offset:656
	buffer_store_dword v9, off, s[0:3], 0 offset:660
	;; [unrolled: 1-line block ×4, first 2 shown]
	s_waitcnt vmcnt(0)
	ds_write_b128 v11, v[1:4]
.LBB45_209:
	s_or_b32 exec_lo, exec_lo, s4
	s_waitcnt lgkmcnt(0)
	s_waitcnt_vscnt null, 0x0
	s_barrier
	buffer_gl0_inv
	s_clause 0x17
	buffer_load_dword v2, off, s[0:3], 0 offset:680
	buffer_load_dword v3, off, s[0:3], 0 offset:684
	;; [unrolled: 1-line block ×24, first 2 shown]
	v_mov_b32_e32 v1, 0
	ds_read_b128 v[14:17], v1 offset:1392
	ds_read_b128 v[18:21], v1 offset:1408
	ds_read_b128 v[27:30], v1 offset:1424
	s_mov_b32 s4, exec_lo
	s_waitcnt vmcnt(22) lgkmcnt(2)
	v_mul_f64 v[57:58], v[16:17], v[2:3]
	v_mul_f64 v[2:3], v[14:15], v[2:3]
	s_waitcnt vmcnt(20) lgkmcnt(1)
	v_mul_f64 v[59:60], v[20:21], v[9:10]
	v_mul_f64 v[9:10], v[18:19], v[9:10]
	s_waitcnt vmcnt(18)
	v_fma_f64 v[57:58], v[14:15], v[22:23], -v[57:58]
	v_fma_f64 v[2:3], v[16:17], v[22:23], v[2:3]
	ds_read_b128 v[14:17], v1 offset:1440
	s_waitcnt vmcnt(16) lgkmcnt(1)
	v_mul_f64 v[22:23], v[27:28], v[31:32]
	v_mul_f64 v[31:32], v[29:30], v[31:32]
	s_waitcnt vmcnt(14)
	v_fma_f64 v[59:60], v[18:19], v[33:34], -v[59:60]
	v_fma_f64 v[9:10], v[20:21], v[33:34], v[9:10]
	ds_read_b128 v[18:21], v1 offset:1456
	s_waitcnt vmcnt(10) lgkmcnt(1)
	v_mul_f64 v[33:34], v[14:15], v[35:36]
	v_add_f64 v[57:58], v[57:58], 0
	v_add_f64 v[2:3], v[2:3], 0
	v_mul_f64 v[35:36], v[16:17], v[35:36]
	s_waitcnt vmcnt(8)
	v_fma_f64 v[27:28], v[27:28], v[45:46], -v[31:32]
	v_fma_f64 v[22:23], v[29:30], v[45:46], v[22:23]
	s_waitcnt vmcnt(7) lgkmcnt(0)
	v_mul_f64 v[29:30], v[20:21], v[41:42]
	s_waitcnt vmcnt(5)
	v_fma_f64 v[16:17], v[16:17], v[47:48], v[33:34]
	v_add_f64 v[31:32], v[57:58], v[59:60]
	v_add_f64 v[2:3], v[2:3], v[9:10]
	v_fma_f64 v[14:15], v[14:15], v[47:48], -v[35:36]
	v_mul_f64 v[9:10], v[18:19], v[41:42]
	s_waitcnt vmcnt(4)
	v_fma_f64 v[18:19], v[18:19], v[43:44], -v[29:30]
	v_add_f64 v[27:28], v[31:32], v[27:28]
	v_add_f64 v[2:3], v[2:3], v[22:23]
	v_fma_f64 v[9:10], v[20:21], v[43:44], v[9:10]
	v_add_f64 v[14:15], v[27:28], v[14:15]
	v_add_f64 v[2:3], v[2:3], v[16:17]
	;; [unrolled: 1-line block ×4, first 2 shown]
	s_waitcnt vmcnt(2)
	v_add_f64 v[9:10], v[53:54], -v[14:15]
	s_waitcnt vmcnt(0)
	v_add_f64 v[2:3], v[55:56], -v[2:3]
	buffer_store_dword v10, off, s[0:3], 0 offset:660
	buffer_store_dword v9, off, s[0:3], 0 offset:656
	;; [unrolled: 1-line block ×4, first 2 shown]
	v_cmpx_lt_u32_e32 39, v0
	s_cbranch_execz .LBB45_211
; %bb.210:
	v_mov_b32_e32 v2, s16
	s_clause 0x3
	buffer_load_dword v14, v2, s[0:3], 0 offen
	buffer_load_dword v15, v2, s[0:3], 0 offen offset:4
	buffer_load_dword v16, v2, s[0:3], 0 offen offset:8
	buffer_load_dword v17, v2, s[0:3], 0 offen offset:12
	buffer_store_dword v1, off, s[0:3], 0 offset:640
	buffer_store_dword v1, off, s[0:3], 0 offset:644
	buffer_store_dword v1, off, s[0:3], 0 offset:648
	buffer_store_dword v1, off, s[0:3], 0 offset:652
	s_waitcnt vmcnt(0)
	ds_write_b128 v11, v[14:17]
.LBB45_211:
	s_or_b32 exec_lo, exec_lo, s4
	s_waitcnt lgkmcnt(0)
	s_waitcnt_vscnt null, 0x0
	s_barrier
	buffer_gl0_inv
	s_clause 0x1b
	buffer_load_dword v2, off, s[0:3], 0 offset:664
	buffer_load_dword v3, off, s[0:3], 0 offset:668
	buffer_load_dword v9, off, s[0:3], 0 offset:680
	buffer_load_dword v10, off, s[0:3], 0 offset:684
	buffer_load_dword v22, off, s[0:3], 0 offset:656
	buffer_load_dword v23, off, s[0:3], 0 offset:660
	buffer_load_dword v31, off, s[0:3], 0 offset:696
	buffer_load_dword v32, off, s[0:3], 0 offset:700
	buffer_load_dword v33, off, s[0:3], 0 offset:672
	buffer_load_dword v34, off, s[0:3], 0 offset:676
	buffer_load_dword v36, off, s[0:3], 0 offset:716
	buffer_load_dword v41, off, s[0:3], 0 offset:728
	buffer_load_dword v43, off, s[0:3], 0 offset:720
	buffer_load_dword v35, off, s[0:3], 0 offset:712
	buffer_load_dword v45, off, s[0:3], 0 offset:688
	buffer_load_dword v46, off, s[0:3], 0 offset:692
	buffer_load_dword v42, off, s[0:3], 0 offset:732
	buffer_load_dword v48, off, s[0:3], 0 offset:708
	buffer_load_dword v47, off, s[0:3], 0 offset:704
	buffer_load_dword v54, off, s[0:3], 0 offset:748
	buffer_load_dword v53, off, s[0:3], 0 offset:744
	buffer_load_dword v44, off, s[0:3], 0 offset:724
	buffer_load_dword v56, off, s[0:3], 0 offset:740
	buffer_load_dword v55, off, s[0:3], 0 offset:736
	buffer_load_dword v57, off, s[0:3], 0 offset:640
	buffer_load_dword v58, off, s[0:3], 0 offset:644
	buffer_load_dword v59, off, s[0:3], 0 offset:648
	buffer_load_dword v60, off, s[0:3], 0 offset:652
	ds_read_b128 v[14:17], v1 offset:1376
	ds_read_b128 v[18:21], v1 offset:1392
	;; [unrolled: 1-line block ×3, first 2 shown]
	s_mov_b32 s4, exec_lo
	s_waitcnt vmcnt(26) lgkmcnt(2)
	v_mul_f64 v[61:62], v[16:17], v[2:3]
	v_mul_f64 v[2:3], v[14:15], v[2:3]
	s_waitcnt vmcnt(24) lgkmcnt(1)
	v_mul_f64 v[63:64], v[20:21], v[9:10]
	v_mul_f64 v[9:10], v[18:19], v[9:10]
	s_waitcnt vmcnt(22)
	v_fma_f64 v[61:62], v[14:15], v[22:23], -v[61:62]
	v_fma_f64 v[2:3], v[16:17], v[22:23], v[2:3]
	ds_read_b128 v[14:17], v1 offset:1424
	s_waitcnt vmcnt(20) lgkmcnt(1)
	v_mul_f64 v[22:23], v[27:28], v[31:32]
	v_mul_f64 v[31:32], v[29:30], v[31:32]
	s_waitcnt vmcnt(18)
	v_fma_f64 v[63:64], v[18:19], v[33:34], -v[63:64]
	v_fma_f64 v[9:10], v[20:21], v[33:34], v[9:10]
	ds_read_b128 v[18:21], v1 offset:1440
	s_waitcnt vmcnt(14) lgkmcnt(1)
	v_mul_f64 v[33:34], v[14:15], v[35:36]
	v_add_f64 v[61:62], v[61:62], 0
	v_add_f64 v[2:3], v[2:3], 0
	v_mul_f64 v[35:36], v[16:17], v[35:36]
	s_waitcnt vmcnt(12)
	v_fma_f64 v[27:28], v[27:28], v[45:46], -v[31:32]
	v_fma_f64 v[22:23], v[29:30], v[45:46], v[22:23]
	s_waitcnt vmcnt(11) lgkmcnt(0)
	v_mul_f64 v[29:30], v[18:19], v[41:42]
	v_mul_f64 v[41:42], v[20:21], v[41:42]
	s_waitcnt vmcnt(9)
	v_fma_f64 v[16:17], v[16:17], v[47:48], v[33:34]
	v_add_f64 v[31:32], v[61:62], v[63:64]
	v_add_f64 v[9:10], v[2:3], v[9:10]
	v_fma_f64 v[14:15], v[14:15], v[47:48], -v[35:36]
	ds_read_b128 v[1:4], v1 offset:1456
	s_waitcnt vmcnt(6)
	v_fma_f64 v[20:21], v[20:21], v[43:44], v[29:30]
	v_fma_f64 v[18:19], v[18:19], v[43:44], -v[41:42]
	v_add_f64 v[27:28], v[31:32], v[27:28]
	v_add_f64 v[9:10], v[9:10], v[22:23]
	s_waitcnt lgkmcnt(0)
	v_mul_f64 v[31:32], v[3:4], v[53:54]
	v_mul_f64 v[22:23], v[1:2], v[53:54]
	v_add_f64 v[14:15], v[27:28], v[14:15]
	v_add_f64 v[9:10], v[9:10], v[16:17]
	s_waitcnt vmcnt(4)
	v_fma_f64 v[1:2], v[1:2], v[55:56], -v[31:32]
	v_fma_f64 v[3:4], v[3:4], v[55:56], v[22:23]
	v_add_f64 v[14:15], v[14:15], v[18:19]
	v_add_f64 v[9:10], v[9:10], v[20:21]
	;; [unrolled: 1-line block ×4, first 2 shown]
	s_waitcnt vmcnt(2)
	v_add_f64 v[1:2], v[57:58], -v[1:2]
	s_waitcnt vmcnt(0)
	v_add_f64 v[3:4], v[59:60], -v[3:4]
	buffer_store_dword v2, off, s[0:3], 0 offset:644
	buffer_store_dword v1, off, s[0:3], 0 offset:640
	;; [unrolled: 1-line block ×4, first 2 shown]
	v_cmpx_lt_u32_e32 38, v0
	s_cbranch_execz .LBB45_213
; %bb.212:
	v_mov_b32_e32 v4, s17
	v_mov_b32_e32 v9, 0
	s_clause 0x3
	buffer_load_dword v1, v4, s[0:3], 0 offen
	buffer_load_dword v2, v4, s[0:3], 0 offen offset:4
	buffer_load_dword v3, v4, s[0:3], 0 offen offset:8
	;; [unrolled: 1-line block ×3, first 2 shown]
	buffer_store_dword v9, off, s[0:3], 0 offset:624
	buffer_store_dword v9, off, s[0:3], 0 offset:628
	;; [unrolled: 1-line block ×4, first 2 shown]
	s_waitcnt vmcnt(0)
	ds_write_b128 v11, v[1:4]
.LBB45_213:
	s_or_b32 exec_lo, exec_lo, s4
	s_waitcnt lgkmcnt(0)
	s_waitcnt_vscnt null, 0x0
	s_barrier
	buffer_gl0_inv
	s_clause 0x1f
	buffer_load_dword v2, off, s[0:3], 0 offset:648
	buffer_load_dword v3, off, s[0:3], 0 offset:652
	buffer_load_dword v9, off, s[0:3], 0 offset:664
	buffer_load_dword v10, off, s[0:3], 0 offset:668
	buffer_load_dword v22, off, s[0:3], 0 offset:640
	buffer_load_dword v23, off, s[0:3], 0 offset:644
	buffer_load_dword v31, off, s[0:3], 0 offset:680
	buffer_load_dword v32, off, s[0:3], 0 offset:684
	buffer_load_dword v33, off, s[0:3], 0 offset:656
	buffer_load_dword v34, off, s[0:3], 0 offset:660
	buffer_load_dword v36, off, s[0:3], 0 offset:700
	buffer_load_dword v41, off, s[0:3], 0 offset:712
	buffer_load_dword v43, off, s[0:3], 0 offset:704
	buffer_load_dword v35, off, s[0:3], 0 offset:696
	buffer_load_dword v45, off, s[0:3], 0 offset:672
	buffer_load_dword v46, off, s[0:3], 0 offset:676
	buffer_load_dword v42, off, s[0:3], 0 offset:716
	buffer_load_dword v48, off, s[0:3], 0 offset:692
	buffer_load_dword v47, off, s[0:3], 0 offset:688
	buffer_load_dword v54, off, s[0:3], 0 offset:732
	buffer_load_dword v55, off, s[0:3], 0 offset:744
	buffer_load_dword v57, off, s[0:3], 0 offset:736
	buffer_load_dword v53, off, s[0:3], 0 offset:728
	buffer_load_dword v44, off, s[0:3], 0 offset:708
	buffer_load_dword v56, off, s[0:3], 0 offset:748
	buffer_load_dword v60, off, s[0:3], 0 offset:724
	buffer_load_dword v59, off, s[0:3], 0 offset:720
	buffer_load_dword v58, off, s[0:3], 0 offset:740
	buffer_load_dword v61, off, s[0:3], 0 offset:624
	buffer_load_dword v62, off, s[0:3], 0 offset:628
	buffer_load_dword v63, off, s[0:3], 0 offset:632
	buffer_load_dword v64, off, s[0:3], 0 offset:636
	v_mov_b32_e32 v1, 0
	ds_read_b128 v[14:17], v1 offset:1360
	ds_read_b128 v[18:21], v1 offset:1376
	;; [unrolled: 1-line block ×3, first 2 shown]
	s_mov_b32 s4, exec_lo
	s_waitcnt vmcnt(30) lgkmcnt(2)
	v_mul_f64 v[65:66], v[16:17], v[2:3]
	v_mul_f64 v[2:3], v[14:15], v[2:3]
	s_waitcnt vmcnt(28) lgkmcnt(1)
	v_mul_f64 v[67:68], v[20:21], v[9:10]
	v_mul_f64 v[9:10], v[18:19], v[9:10]
	s_waitcnt vmcnt(26)
	v_fma_f64 v[65:66], v[14:15], v[22:23], -v[65:66]
	v_fma_f64 v[2:3], v[16:17], v[22:23], v[2:3]
	ds_read_b128 v[14:17], v1 offset:1408
	s_waitcnt vmcnt(24) lgkmcnt(1)
	v_mul_f64 v[22:23], v[27:28], v[31:32]
	v_mul_f64 v[31:32], v[29:30], v[31:32]
	s_waitcnt vmcnt(22)
	v_fma_f64 v[67:68], v[18:19], v[33:34], -v[67:68]
	v_fma_f64 v[9:10], v[20:21], v[33:34], v[9:10]
	ds_read_b128 v[18:21], v1 offset:1424
	s_waitcnt vmcnt(18) lgkmcnt(1)
	v_mul_f64 v[33:34], v[14:15], v[35:36]
	v_add_f64 v[65:66], v[65:66], 0
	v_add_f64 v[2:3], v[2:3], 0
	v_mul_f64 v[35:36], v[16:17], v[35:36]
	s_waitcnt vmcnt(16)
	v_fma_f64 v[31:32], v[27:28], v[45:46], -v[31:32]
	v_fma_f64 v[22:23], v[29:30], v[45:46], v[22:23]
	ds_read_b128 v[27:30], v1 offset:1440
	s_waitcnt vmcnt(13)
	v_fma_f64 v[33:34], v[16:17], v[47:48], v[33:34]
	v_add_f64 v[65:66], v[65:66], v[67:68]
	v_add_f64 v[2:3], v[2:3], v[9:10]
	s_waitcnt lgkmcnt(1)
	v_mul_f64 v[9:10], v[18:19], v[41:42]
	v_mul_f64 v[41:42], v[20:21], v[41:42]
	v_fma_f64 v[35:36], v[14:15], v[47:48], -v[35:36]
	s_waitcnt vmcnt(9) lgkmcnt(0)
	v_mul_f64 v[45:46], v[29:30], v[53:54]
	ds_read_b128 v[14:17], v1 offset:1456
	v_add_f64 v[31:32], v[65:66], v[31:32]
	v_add_f64 v[2:3], v[2:3], v[22:23]
	v_mul_f64 v[22:23], v[27:28], v[53:54]
	s_waitcnt vmcnt(8)
	v_fma_f64 v[18:19], v[18:19], v[43:44], -v[41:42]
	v_fma_f64 v[9:10], v[20:21], v[43:44], v[9:10]
	s_waitcnt vmcnt(5)
	v_fma_f64 v[27:28], v[27:28], v[59:60], -v[45:46]
	s_waitcnt lgkmcnt(0)
	v_mul_f64 v[20:21], v[14:15], v[55:56]
	v_add_f64 v[31:32], v[31:32], v[35:36]
	v_add_f64 v[2:3], v[2:3], v[33:34]
	v_mul_f64 v[33:34], v[16:17], v[55:56]
	v_fma_f64 v[22:23], v[29:30], v[59:60], v[22:23]
	s_waitcnt vmcnt(4)
	v_fma_f64 v[16:17], v[16:17], v[57:58], v[20:21]
	v_add_f64 v[18:19], v[31:32], v[18:19]
	v_add_f64 v[2:3], v[2:3], v[9:10]
	v_fma_f64 v[9:10], v[14:15], v[57:58], -v[33:34]
	v_add_f64 v[14:15], v[18:19], v[27:28]
	v_add_f64 v[2:3], v[2:3], v[22:23]
	;; [unrolled: 1-line block ×4, first 2 shown]
	s_waitcnt vmcnt(2)
	v_add_f64 v[9:10], v[61:62], -v[9:10]
	s_waitcnt vmcnt(0)
	v_add_f64 v[2:3], v[63:64], -v[2:3]
	buffer_store_dword v10, off, s[0:3], 0 offset:628
	buffer_store_dword v9, off, s[0:3], 0 offset:624
	;; [unrolled: 1-line block ×4, first 2 shown]
	v_cmpx_lt_u32_e32 37, v0
	s_cbranch_execz .LBB45_215
; %bb.214:
	v_mov_b32_e32 v2, s18
	s_clause 0x3
	buffer_load_dword v14, v2, s[0:3], 0 offen
	buffer_load_dword v15, v2, s[0:3], 0 offen offset:4
	buffer_load_dword v16, v2, s[0:3], 0 offen offset:8
	;; [unrolled: 1-line block ×3, first 2 shown]
	buffer_store_dword v1, off, s[0:3], 0 offset:608
	buffer_store_dword v1, off, s[0:3], 0 offset:612
	;; [unrolled: 1-line block ×4, first 2 shown]
	s_waitcnt vmcnt(0)
	ds_write_b128 v11, v[14:17]
.LBB45_215:
	s_or_b32 exec_lo, exec_lo, s4
	s_waitcnt lgkmcnt(0)
	s_waitcnt_vscnt null, 0x0
	s_barrier
	buffer_gl0_inv
	s_clause 0x23
	buffer_load_dword v2, off, s[0:3], 0 offset:632
	buffer_load_dword v3, off, s[0:3], 0 offset:636
	;; [unrolled: 1-line block ×36, first 2 shown]
	ds_read_b128 v[14:17], v1 offset:1344
	ds_read_b128 v[18:21], v1 offset:1360
	;; [unrolled: 1-line block ×3, first 2 shown]
	s_mov_b32 s4, exec_lo
	s_waitcnt vmcnt(34) lgkmcnt(2)
	v_mul_f64 v[73:74], v[16:17], v[2:3]
	v_mul_f64 v[2:3], v[14:15], v[2:3]
	s_waitcnt vmcnt(32) lgkmcnt(1)
	v_mul_f64 v[75:76], v[20:21], v[9:10]
	v_mul_f64 v[9:10], v[18:19], v[9:10]
	s_waitcnt vmcnt(30)
	v_fma_f64 v[73:74], v[14:15], v[22:23], -v[73:74]
	v_fma_f64 v[2:3], v[16:17], v[22:23], v[2:3]
	ds_read_b128 v[14:17], v1 offset:1392
	s_waitcnt vmcnt(28) lgkmcnt(1)
	v_mul_f64 v[22:23], v[27:28], v[31:32]
	v_mul_f64 v[31:32], v[29:30], v[31:32]
	s_waitcnt vmcnt(26)
	v_fma_f64 v[75:76], v[18:19], v[33:34], -v[75:76]
	v_fma_f64 v[9:10], v[20:21], v[33:34], v[9:10]
	ds_read_b128 v[18:21], v1 offset:1408
	s_waitcnt vmcnt(22) lgkmcnt(1)
	v_mul_f64 v[33:34], v[14:15], v[35:36]
	v_add_f64 v[73:74], v[73:74], 0
	v_add_f64 v[2:3], v[2:3], 0
	v_mul_f64 v[35:36], v[16:17], v[35:36]
	s_waitcnt vmcnt(20)
	v_fma_f64 v[31:32], v[27:28], v[45:46], -v[31:32]
	v_fma_f64 v[22:23], v[29:30], v[45:46], v[22:23]
	ds_read_b128 v[27:30], v1 offset:1424
	s_waitcnt vmcnt(17)
	v_fma_f64 v[33:34], v[16:17], v[47:48], v[33:34]
	v_add_f64 v[73:74], v[73:74], v[75:76]
	v_add_f64 v[2:3], v[2:3], v[9:10]
	s_waitcnt lgkmcnt(1)
	v_mul_f64 v[9:10], v[18:19], v[41:42]
	v_mul_f64 v[41:42], v[20:21], v[41:42]
	v_fma_f64 v[35:36], v[14:15], v[47:48], -v[35:36]
	s_waitcnt vmcnt(13) lgkmcnt(0)
	v_mul_f64 v[45:46], v[29:30], v[53:54]
	ds_read_b128 v[14:17], v1 offset:1440
	v_add_f64 v[31:32], v[73:74], v[31:32]
	v_add_f64 v[2:3], v[2:3], v[22:23]
	v_mul_f64 v[22:23], v[27:28], v[53:54]
	s_waitcnt vmcnt(12)
	v_fma_f64 v[18:19], v[18:19], v[43:44], -v[41:42]
	v_fma_f64 v[9:10], v[20:21], v[43:44], v[9:10]
	s_waitcnt vmcnt(9)
	v_fma_f64 v[27:28], v[27:28], v[59:60], -v[45:46]
	v_add_f64 v[31:32], v[31:32], v[35:36]
	v_add_f64 v[20:21], v[2:3], v[33:34]
	s_waitcnt lgkmcnt(0)
	v_mul_f64 v[35:36], v[16:17], v[55:56]
	ds_read_b128 v[1:4], v1 offset:1456
	v_mul_f64 v[33:34], v[14:15], v[55:56]
	v_fma_f64 v[22:23], v[29:30], v[59:60], v[22:23]
	v_add_f64 v[18:19], v[31:32], v[18:19]
	v_add_f64 v[9:10], v[20:21], v[9:10]
	s_waitcnt vmcnt(7) lgkmcnt(0)
	v_mul_f64 v[29:30], v[3:4], v[61:62]
	s_waitcnt vmcnt(6)
	v_fma_f64 v[14:15], v[14:15], v[57:58], -v[35:36]
	v_mul_f64 v[20:21], v[1:2], v[61:62]
	v_fma_f64 v[16:17], v[16:17], v[57:58], v[33:34]
	v_add_f64 v[18:19], v[18:19], v[27:28]
	v_add_f64 v[9:10], v[9:10], v[22:23]
	s_waitcnt vmcnt(4)
	v_fma_f64 v[1:2], v[1:2], v[63:64], -v[29:30]
	v_fma_f64 v[3:4], v[3:4], v[63:64], v[20:21]
	v_add_f64 v[14:15], v[18:19], v[14:15]
	v_add_f64 v[9:10], v[9:10], v[16:17]
	;; [unrolled: 1-line block ×4, first 2 shown]
	s_waitcnt vmcnt(2)
	v_add_f64 v[1:2], v[65:66], -v[1:2]
	s_waitcnt vmcnt(0)
	v_add_f64 v[3:4], v[67:68], -v[3:4]
	buffer_store_dword v2, off, s[0:3], 0 offset:612
	buffer_store_dword v1, off, s[0:3], 0 offset:608
	;; [unrolled: 1-line block ×4, first 2 shown]
	v_cmpx_lt_u32_e32 36, v0
	s_cbranch_execz .LBB45_217
; %bb.216:
	v_mov_b32_e32 v4, s19
	v_mov_b32_e32 v9, 0
	s_clause 0x3
	buffer_load_dword v1, v4, s[0:3], 0 offen
	buffer_load_dword v2, v4, s[0:3], 0 offen offset:4
	buffer_load_dword v3, v4, s[0:3], 0 offen offset:8
	;; [unrolled: 1-line block ×3, first 2 shown]
	buffer_store_dword v9, off, s[0:3], 0 offset:592
	buffer_store_dword v9, off, s[0:3], 0 offset:596
	;; [unrolled: 1-line block ×4, first 2 shown]
	s_waitcnt vmcnt(0)
	ds_write_b128 v11, v[1:4]
.LBB45_217:
	s_or_b32 exec_lo, exec_lo, s4
	s_waitcnt lgkmcnt(0)
	s_waitcnt_vscnt null, 0x0
	s_barrier
	buffer_gl0_inv
	s_clause 0x27
	buffer_load_dword v2, off, s[0:3], 0 offset:616
	buffer_load_dword v3, off, s[0:3], 0 offset:620
	;; [unrolled: 1-line block ×40, first 2 shown]
	v_mov_b32_e32 v1, 0
	ds_read_b128 v[14:17], v1 offset:1328
	ds_read_b128 v[18:21], v1 offset:1344
	;; [unrolled: 1-line block ×3, first 2 shown]
	s_mov_b32 s4, exec_lo
	s_waitcnt vmcnt(38) lgkmcnt(2)
	v_mul_f64 v[77:78], v[16:17], v[2:3]
	v_mul_f64 v[2:3], v[14:15], v[2:3]
	s_waitcnt vmcnt(36) lgkmcnt(1)
	v_mul_f64 v[79:80], v[20:21], v[9:10]
	v_mul_f64 v[9:10], v[18:19], v[9:10]
	s_waitcnt vmcnt(34)
	v_fma_f64 v[77:78], v[14:15], v[22:23], -v[77:78]
	v_fma_f64 v[2:3], v[16:17], v[22:23], v[2:3]
	ds_read_b128 v[14:17], v1 offset:1376
	s_waitcnt vmcnt(32) lgkmcnt(1)
	v_mul_f64 v[22:23], v[27:28], v[31:32]
	v_mul_f64 v[31:32], v[29:30], v[31:32]
	s_waitcnt vmcnt(30)
	v_fma_f64 v[79:80], v[18:19], v[33:34], -v[79:80]
	v_fma_f64 v[9:10], v[20:21], v[33:34], v[9:10]
	ds_read_b128 v[18:21], v1 offset:1392
	s_waitcnt vmcnt(26) lgkmcnt(1)
	v_mul_f64 v[33:34], v[14:15], v[35:36]
	v_add_f64 v[77:78], v[77:78], 0
	v_add_f64 v[2:3], v[2:3], 0
	v_mul_f64 v[35:36], v[16:17], v[35:36]
	s_waitcnt vmcnt(24)
	v_fma_f64 v[31:32], v[27:28], v[45:46], -v[31:32]
	v_fma_f64 v[22:23], v[29:30], v[45:46], v[22:23]
	ds_read_b128 v[27:30], v1 offset:1408
	s_waitcnt vmcnt(21)
	v_fma_f64 v[33:34], v[16:17], v[47:48], v[33:34]
	v_add_f64 v[77:78], v[77:78], v[79:80]
	v_add_f64 v[2:3], v[2:3], v[9:10]
	s_waitcnt lgkmcnt(1)
	v_mul_f64 v[9:10], v[18:19], v[41:42]
	v_mul_f64 v[41:42], v[20:21], v[41:42]
	v_fma_f64 v[35:36], v[14:15], v[47:48], -v[35:36]
	s_waitcnt vmcnt(17) lgkmcnt(0)
	v_mul_f64 v[45:46], v[29:30], v[53:54]
	ds_read_b128 v[14:17], v1 offset:1424
	v_add_f64 v[31:32], v[77:78], v[31:32]
	v_add_f64 v[2:3], v[2:3], v[22:23]
	v_mul_f64 v[22:23], v[27:28], v[53:54]
	s_waitcnt vmcnt(16)
	v_fma_f64 v[41:42], v[18:19], v[43:44], -v[41:42]
	v_fma_f64 v[9:10], v[20:21], v[43:44], v[9:10]
	ds_read_b128 v[18:21], v1 offset:1440
	s_waitcnt vmcnt(13)
	v_fma_f64 v[43:44], v[27:28], v[59:60], -v[45:46]
	v_add_f64 v[31:32], v[31:32], v[35:36]
	v_add_f64 v[2:3], v[2:3], v[33:34]
	s_waitcnt lgkmcnt(1)
	v_mul_f64 v[35:36], v[16:17], v[55:56]
	v_mul_f64 v[33:34], v[14:15], v[55:56]
	v_fma_f64 v[22:23], v[29:30], v[59:60], v[22:23]
	ds_read_b128 v[27:30], v1 offset:1456
	v_add_f64 v[31:32], v[31:32], v[41:42]
	v_add_f64 v[2:3], v[2:3], v[9:10]
	s_waitcnt vmcnt(9) lgkmcnt(1)
	v_mul_f64 v[41:42], v[20:21], v[61:62]
	s_waitcnt vmcnt(8)
	v_fma_f64 v[14:15], v[14:15], v[57:58], -v[35:36]
	v_mul_f64 v[9:10], v[18:19], v[61:62]
	v_fma_f64 v[16:17], v[16:17], v[57:58], v[33:34]
	s_waitcnt vmcnt(7) lgkmcnt(0)
	v_mul_f64 v[33:34], v[29:30], v[63:64]
	v_add_f64 v[31:32], v[31:32], v[43:44]
	v_add_f64 v[2:3], v[2:3], v[22:23]
	s_waitcnt vmcnt(5)
	v_fma_f64 v[18:19], v[18:19], v[67:68], -v[41:42]
	v_mul_f64 v[22:23], v[27:28], v[63:64]
	v_fma_f64 v[9:10], v[20:21], v[67:68], v[9:10]
	v_add_f64 v[14:15], v[31:32], v[14:15]
	v_add_f64 v[2:3], v[2:3], v[16:17]
	s_waitcnt vmcnt(4)
	v_fma_f64 v[16:17], v[27:28], v[65:66], -v[33:34]
	v_add_f64 v[14:15], v[14:15], v[18:19]
	v_fma_f64 v[18:19], v[29:30], v[65:66], v[22:23]
	v_add_f64 v[2:3], v[2:3], v[9:10]
	v_add_f64 v[9:10], v[14:15], v[16:17]
	;; [unrolled: 1-line block ×3, first 2 shown]
	s_waitcnt vmcnt(2)
	v_add_f64 v[9:10], v[73:74], -v[9:10]
	s_waitcnt vmcnt(0)
	v_add_f64 v[2:3], v[75:76], -v[2:3]
	buffer_store_dword v10, off, s[0:3], 0 offset:596
	buffer_store_dword v9, off, s[0:3], 0 offset:592
	;; [unrolled: 1-line block ×4, first 2 shown]
	v_cmpx_lt_u32_e32 35, v0
	s_cbranch_execz .LBB45_219
; %bb.218:
	v_mov_b32_e32 v2, s22
	s_clause 0x3
	buffer_load_dword v14, v2, s[0:3], 0 offen
	buffer_load_dword v15, v2, s[0:3], 0 offen offset:4
	buffer_load_dword v16, v2, s[0:3], 0 offen offset:8
	;; [unrolled: 1-line block ×3, first 2 shown]
	buffer_store_dword v1, off, s[0:3], 0 offset:576
	buffer_store_dword v1, off, s[0:3], 0 offset:580
	;; [unrolled: 1-line block ×4, first 2 shown]
	s_waitcnt vmcnt(0)
	ds_write_b128 v11, v[14:17]
.LBB45_219:
	s_or_b32 exec_lo, exec_lo, s4
	s_waitcnt lgkmcnt(0)
	s_waitcnt_vscnt null, 0x0
	s_barrier
	buffer_gl0_inv
	s_clause 0x2b
	buffer_load_dword v2, off, s[0:3], 0 offset:600
	buffer_load_dword v3, off, s[0:3], 0 offset:604
	buffer_load_dword v9, off, s[0:3], 0 offset:616
	buffer_load_dword v10, off, s[0:3], 0 offset:620
	buffer_load_dword v22, off, s[0:3], 0 offset:592
	buffer_load_dword v23, off, s[0:3], 0 offset:596
	buffer_load_dword v31, off, s[0:3], 0 offset:632
	buffer_load_dword v32, off, s[0:3], 0 offset:636
	buffer_load_dword v33, off, s[0:3], 0 offset:608
	buffer_load_dword v34, off, s[0:3], 0 offset:612
	buffer_load_dword v36, off, s[0:3], 0 offset:652
	buffer_load_dword v41, off, s[0:3], 0 offset:664
	buffer_load_dword v43, off, s[0:3], 0 offset:656
	buffer_load_dword v35, off, s[0:3], 0 offset:648
	buffer_load_dword v45, off, s[0:3], 0 offset:624
	buffer_load_dword v46, off, s[0:3], 0 offset:628
	buffer_load_dword v42, off, s[0:3], 0 offset:668
	buffer_load_dword v48, off, s[0:3], 0 offset:644
	buffer_load_dword v47, off, s[0:3], 0 offset:640
	buffer_load_dword v54, off, s[0:3], 0 offset:684
	buffer_load_dword v55, off, s[0:3], 0 offset:696
	buffer_load_dword v57, off, s[0:3], 0 offset:688
	buffer_load_dword v53, off, s[0:3], 0 offset:680
	buffer_load_dword v44, off, s[0:3], 0 offset:660
	buffer_load_dword v56, off, s[0:3], 0 offset:700
	buffer_load_dword v60, off, s[0:3], 0 offset:676
	buffer_load_dword v59, off, s[0:3], 0 offset:672
	buffer_load_dword v62, off, s[0:3], 0 offset:716
	buffer_load_dword v63, off, s[0:3], 0 offset:728
	buffer_load_dword v65, off, s[0:3], 0 offset:720
	buffer_load_dword v61, off, s[0:3], 0 offset:712
	buffer_load_dword v58, off, s[0:3], 0 offset:692
	buffer_load_dword v64, off, s[0:3], 0 offset:732
	buffer_load_dword v68, off, s[0:3], 0 offset:708
	buffer_load_dword v67, off, s[0:3], 0 offset:704
	buffer_load_dword v74, off, s[0:3], 0 offset:748
	buffer_load_dword v73, off, s[0:3], 0 offset:744
	buffer_load_dword v66, off, s[0:3], 0 offset:724
	buffer_load_dword v76, off, s[0:3], 0 offset:740
	buffer_load_dword v75, off, s[0:3], 0 offset:736
	buffer_load_dword v77, off, s[0:3], 0 offset:576
	buffer_load_dword v78, off, s[0:3], 0 offset:580
	buffer_load_dword v79, off, s[0:3], 0 offset:584
	buffer_load_dword v80, off, s[0:3], 0 offset:588
	ds_read_b128 v[14:17], v1 offset:1312
	ds_read_b128 v[18:21], v1 offset:1328
	;; [unrolled: 1-line block ×3, first 2 shown]
	s_mov_b32 s4, exec_lo
	s_waitcnt vmcnt(42) lgkmcnt(2)
	v_mul_f64 v[153:154], v[16:17], v[2:3]
	v_mul_f64 v[2:3], v[14:15], v[2:3]
	s_waitcnt vmcnt(40) lgkmcnt(1)
	v_mul_f64 v[155:156], v[20:21], v[9:10]
	v_mul_f64 v[9:10], v[18:19], v[9:10]
	s_waitcnt vmcnt(38)
	v_fma_f64 v[153:154], v[14:15], v[22:23], -v[153:154]
	v_fma_f64 v[2:3], v[16:17], v[22:23], v[2:3]
	ds_read_b128 v[14:17], v1 offset:1360
	s_waitcnt vmcnt(36) lgkmcnt(1)
	v_mul_f64 v[22:23], v[27:28], v[31:32]
	v_mul_f64 v[31:32], v[29:30], v[31:32]
	s_waitcnt vmcnt(34)
	v_fma_f64 v[155:156], v[18:19], v[33:34], -v[155:156]
	v_fma_f64 v[9:10], v[20:21], v[33:34], v[9:10]
	ds_read_b128 v[18:21], v1 offset:1376
	s_waitcnt vmcnt(30) lgkmcnt(1)
	v_mul_f64 v[33:34], v[14:15], v[35:36]
	v_add_f64 v[153:154], v[153:154], 0
	v_add_f64 v[2:3], v[2:3], 0
	v_mul_f64 v[35:36], v[16:17], v[35:36]
	s_waitcnt vmcnt(28)
	v_fma_f64 v[31:32], v[27:28], v[45:46], -v[31:32]
	v_fma_f64 v[22:23], v[29:30], v[45:46], v[22:23]
	ds_read_b128 v[27:30], v1 offset:1392
	s_waitcnt vmcnt(25)
	v_fma_f64 v[33:34], v[16:17], v[47:48], v[33:34]
	v_add_f64 v[153:154], v[153:154], v[155:156]
	v_add_f64 v[2:3], v[2:3], v[9:10]
	s_waitcnt lgkmcnt(1)
	v_mul_f64 v[9:10], v[18:19], v[41:42]
	v_mul_f64 v[41:42], v[20:21], v[41:42]
	v_fma_f64 v[35:36], v[14:15], v[47:48], -v[35:36]
	s_waitcnt vmcnt(21) lgkmcnt(0)
	v_mul_f64 v[45:46], v[29:30], v[53:54]
	ds_read_b128 v[14:17], v1 offset:1408
	v_add_f64 v[31:32], v[153:154], v[31:32]
	v_add_f64 v[2:3], v[2:3], v[22:23]
	v_mul_f64 v[22:23], v[27:28], v[53:54]
	s_waitcnt vmcnt(20)
	v_fma_f64 v[41:42], v[18:19], v[43:44], -v[41:42]
	v_fma_f64 v[9:10], v[20:21], v[43:44], v[9:10]
	ds_read_b128 v[18:21], v1 offset:1424
	s_waitcnt vmcnt(17)
	v_fma_f64 v[43:44], v[27:28], v[59:60], -v[45:46]
	v_add_f64 v[31:32], v[31:32], v[35:36]
	v_add_f64 v[2:3], v[2:3], v[33:34]
	s_waitcnt lgkmcnt(1)
	v_mul_f64 v[35:36], v[16:17], v[55:56]
	v_mul_f64 v[33:34], v[14:15], v[55:56]
	v_fma_f64 v[22:23], v[29:30], v[59:60], v[22:23]
	ds_read_b128 v[27:30], v1 offset:1440
	v_add_f64 v[31:32], v[31:32], v[41:42]
	v_add_f64 v[2:3], v[2:3], v[9:10]
	s_waitcnt vmcnt(13) lgkmcnt(1)
	v_mul_f64 v[41:42], v[20:21], v[61:62]
	s_waitcnt vmcnt(12)
	v_fma_f64 v[14:15], v[14:15], v[57:58], -v[35:36]
	v_mul_f64 v[9:10], v[18:19], v[61:62]
	v_fma_f64 v[16:17], v[16:17], v[57:58], v[33:34]
	s_waitcnt vmcnt(11) lgkmcnt(0)
	v_mul_f64 v[35:36], v[29:30], v[63:64]
	v_mul_f64 v[33:34], v[27:28], v[63:64]
	v_add_f64 v[31:32], v[31:32], v[43:44]
	v_add_f64 v[22:23], v[2:3], v[22:23]
	s_waitcnt vmcnt(9)
	v_fma_f64 v[18:19], v[18:19], v[67:68], -v[41:42]
	ds_read_b128 v[1:4], v1 offset:1456
	v_fma_f64 v[9:10], v[20:21], v[67:68], v[9:10]
	s_waitcnt vmcnt(6)
	v_fma_f64 v[27:28], v[27:28], v[65:66], -v[35:36]
	v_add_f64 v[14:15], v[31:32], v[14:15]
	v_add_f64 v[16:17], v[22:23], v[16:17]
	s_waitcnt lgkmcnt(0)
	v_mul_f64 v[22:23], v[3:4], v[73:74]
	v_mul_f64 v[20:21], v[1:2], v[73:74]
	v_add_f64 v[14:15], v[14:15], v[18:19]
	v_fma_f64 v[18:19], v[29:30], v[65:66], v[33:34]
	v_add_f64 v[9:10], v[16:17], v[9:10]
	s_waitcnt vmcnt(4)
	v_fma_f64 v[1:2], v[1:2], v[75:76], -v[22:23]
	v_fma_f64 v[3:4], v[3:4], v[75:76], v[20:21]
	v_add_f64 v[14:15], v[14:15], v[27:28]
	v_add_f64 v[9:10], v[9:10], v[18:19]
	;; [unrolled: 1-line block ×4, first 2 shown]
	s_waitcnt vmcnt(2)
	v_add_f64 v[1:2], v[77:78], -v[1:2]
	s_waitcnt vmcnt(0)
	v_add_f64 v[3:4], v[79:80], -v[3:4]
	buffer_store_dword v2, off, s[0:3], 0 offset:580
	buffer_store_dword v1, off, s[0:3], 0 offset:576
	;; [unrolled: 1-line block ×4, first 2 shown]
	v_cmpx_lt_u32_e32 34, v0
	s_cbranch_execz .LBB45_221
; %bb.220:
	v_mov_b32_e32 v4, s23
	v_mov_b32_e32 v9, 0
	s_clause 0x3
	buffer_load_dword v1, v4, s[0:3], 0 offen
	buffer_load_dword v2, v4, s[0:3], 0 offen offset:4
	buffer_load_dword v3, v4, s[0:3], 0 offen offset:8
	;; [unrolled: 1-line block ×3, first 2 shown]
	buffer_store_dword v9, off, s[0:3], 0 offset:560
	buffer_store_dword v9, off, s[0:3], 0 offset:564
	;; [unrolled: 1-line block ×4, first 2 shown]
	s_waitcnt vmcnt(0)
	ds_write_b128 v11, v[1:4]
.LBB45_221:
	s_or_b32 exec_lo, exec_lo, s4
	s_waitcnt lgkmcnt(0)
	s_waitcnt_vscnt null, 0x0
	s_barrier
	buffer_gl0_inv
	s_clause 0x2f
	buffer_load_dword v2, off, s[0:3], 0 offset:584
	buffer_load_dword v3, off, s[0:3], 0 offset:588
	;; [unrolled: 1-line block ×48, first 2 shown]
	v_mov_b32_e32 v1, 0
	s_mov_b32 s4, exec_lo
	ds_read_b128 v[14:17], v1 offset:1296
	ds_read_b128 v[18:21], v1 offset:1312
	;; [unrolled: 1-line block ×3, first 2 shown]
	s_waitcnt vmcnt(46) lgkmcnt(2)
	v_mul_f64 v[157:158], v[16:17], v[2:3]
	v_mul_f64 v[2:3], v[14:15], v[2:3]
	s_waitcnt vmcnt(44) lgkmcnt(1)
	v_mul_f64 v[159:160], v[20:21], v[9:10]
	v_mul_f64 v[9:10], v[18:19], v[9:10]
	s_waitcnt vmcnt(42)
	v_fma_f64 v[157:158], v[14:15], v[22:23], -v[157:158]
	v_fma_f64 v[2:3], v[16:17], v[22:23], v[2:3]
	ds_read_b128 v[14:17], v1 offset:1344
	s_waitcnt vmcnt(40) lgkmcnt(1)
	v_mul_f64 v[22:23], v[27:28], v[31:32]
	v_mul_f64 v[31:32], v[29:30], v[31:32]
	s_waitcnt vmcnt(38)
	v_fma_f64 v[159:160], v[18:19], v[33:34], -v[159:160]
	v_fma_f64 v[9:10], v[20:21], v[33:34], v[9:10]
	ds_read_b128 v[18:21], v1 offset:1360
	s_waitcnt vmcnt(36) lgkmcnt(1)
	v_mul_f64 v[33:34], v[14:15], v[35:36]
	v_add_f64 v[157:158], v[157:158], 0
	v_add_f64 v[2:3], v[2:3], 0
	v_mul_f64 v[35:36], v[16:17], v[35:36]
	s_waitcnt vmcnt(34)
	v_fma_f64 v[31:32], v[27:28], v[41:42], -v[31:32]
	v_fma_f64 v[22:23], v[29:30], v[41:42], v[22:23]
	ds_read_b128 v[27:30], v1 offset:1376
	s_waitcnt vmcnt(32) lgkmcnt(1)
	v_mul_f64 v[41:42], v[20:21], v[43:44]
	s_waitcnt vmcnt(30)
	v_fma_f64 v[33:34], v[16:17], v[45:46], v[33:34]
	v_add_f64 v[157:158], v[157:158], v[159:160]
	v_add_f64 v[2:3], v[2:3], v[9:10]
	v_fma_f64 v[35:36], v[14:15], v[45:46], -v[35:36]
	v_mul_f64 v[9:10], v[18:19], v[43:44]
	s_waitcnt vmcnt(28) lgkmcnt(0)
	v_mul_f64 v[43:44], v[29:30], v[47:48]
	ds_read_b128 v[14:17], v1 offset:1392
	s_waitcnt vmcnt(26)
	v_fma_f64 v[41:42], v[18:19], v[53:54], -v[41:42]
	v_add_f64 v[31:32], v[157:158], v[31:32]
	v_add_f64 v[2:3], v[2:3], v[22:23]
	v_mul_f64 v[22:23], v[27:28], v[47:48]
	v_fma_f64 v[9:10], v[20:21], v[53:54], v[9:10]
	ds_read_b128 v[18:21], v1 offset:1408
	s_waitcnt vmcnt(22)
	v_fma_f64 v[43:44], v[27:28], v[57:58], -v[43:44]
	v_add_f64 v[31:32], v[31:32], v[35:36]
	v_add_f64 v[2:3], v[2:3], v[33:34]
	s_waitcnt lgkmcnt(1)
	v_mul_f64 v[35:36], v[16:17], v[55:56]
	v_mul_f64 v[33:34], v[14:15], v[55:56]
	v_fma_f64 v[22:23], v[29:30], v[57:58], v[22:23]
	ds_read_b128 v[27:30], v1 offset:1424
	v_add_f64 v[31:32], v[31:32], v[41:42]
	v_add_f64 v[2:3], v[2:3], v[9:10]
	s_waitcnt vmcnt(20) lgkmcnt(1)
	v_mul_f64 v[41:42], v[20:21], v[59:60]
	s_waitcnt vmcnt(18)
	v_fma_f64 v[35:36], v[14:15], v[61:62], -v[35:36]
	v_mul_f64 v[9:10], v[18:19], v[59:60]
	v_fma_f64 v[33:34], v[16:17], v[61:62], v[33:34]
	ds_read_b128 v[14:17], v1 offset:1440
	v_add_f64 v[31:32], v[31:32], v[43:44]
	v_add_f64 v[2:3], v[2:3], v[22:23]
	s_waitcnt vmcnt(16) lgkmcnt(1)
	v_mul_f64 v[43:44], v[29:30], v[63:64]
	s_waitcnt vmcnt(14)
	v_fma_f64 v[41:42], v[18:19], v[65:66], -v[41:42]
	;; [unrolled: 9-line block ×3, first 2 shown]
	v_mul_f64 v[33:34], v[14:15], v[67:68]
	v_fma_f64 v[22:23], v[29:30], v[73:74], v[22:23]
	s_waitcnt vmcnt(8) lgkmcnt(0)
	v_mul_f64 v[29:30], v[20:21], v[75:76]
	v_add_f64 v[31:32], v[31:32], v[41:42]
	v_add_f64 v[2:3], v[2:3], v[9:10]
	s_waitcnt vmcnt(6)
	v_fma_f64 v[14:15], v[14:15], v[77:78], -v[35:36]
	v_mul_f64 v[9:10], v[18:19], v[75:76]
	v_fma_f64 v[16:17], v[16:17], v[77:78], v[33:34]
	s_waitcnt vmcnt(4)
	v_fma_f64 v[18:19], v[18:19], v[79:80], -v[29:30]
	v_add_f64 v[27:28], v[31:32], v[27:28]
	v_add_f64 v[2:3], v[2:3], v[22:23]
	v_fma_f64 v[9:10], v[20:21], v[79:80], v[9:10]
	v_add_f64 v[14:15], v[27:28], v[14:15]
	v_add_f64 v[2:3], v[2:3], v[16:17]
	;; [unrolled: 1-line block ×4, first 2 shown]
	s_waitcnt vmcnt(2)
	v_add_f64 v[9:10], v[153:154], -v[14:15]
	s_waitcnt vmcnt(0)
	v_add_f64 v[2:3], v[155:156], -v[2:3]
	buffer_store_dword v10, off, s[0:3], 0 offset:564
	buffer_store_dword v9, off, s[0:3], 0 offset:560
	;; [unrolled: 1-line block ×4, first 2 shown]
	v_cmpx_lt_u32_e32 33, v0
	s_cbranch_execz .LBB45_223
; %bb.222:
	v_mov_b32_e32 v2, s24
	s_clause 0x3
	buffer_load_dword v14, v2, s[0:3], 0 offen
	buffer_load_dword v15, v2, s[0:3], 0 offen offset:4
	buffer_load_dword v16, v2, s[0:3], 0 offen offset:8
	;; [unrolled: 1-line block ×3, first 2 shown]
	buffer_store_dword v1, off, s[0:3], 0 offset:544
	buffer_store_dword v1, off, s[0:3], 0 offset:548
	;; [unrolled: 1-line block ×4, first 2 shown]
	s_waitcnt vmcnt(0)
	ds_write_b128 v11, v[14:17]
.LBB45_223:
	s_or_b32 exec_lo, exec_lo, s4
	s_waitcnt lgkmcnt(0)
	s_waitcnt_vscnt null, 0x0
	s_barrier
	buffer_gl0_inv
	s_clause 0x2f
	buffer_load_dword v2, off, s[0:3], 0 offset:568
	buffer_load_dword v3, off, s[0:3], 0 offset:572
	;; [unrolled: 1-line block ×48, first 2 shown]
	ds_read_b128 v[14:17], v1 offset:1280
	s_clause 0x3
	buffer_load_dword v157, off, s[0:3], 0 offset:544
	buffer_load_dword v158, off, s[0:3], 0 offset:548
	;; [unrolled: 1-line block ×4, first 2 shown]
	ds_read_b128 v[18:21], v1 offset:1296
	ds_read_b128 v[27:30], v1 offset:1312
	s_mov_b32 s4, exec_lo
	s_waitcnt vmcnt(50) lgkmcnt(2)
	v_mul_f64 v[161:162], v[16:17], v[2:3]
	v_mul_f64 v[2:3], v[14:15], v[2:3]
	s_waitcnt vmcnt(48) lgkmcnt(1)
	v_mul_f64 v[163:164], v[20:21], v[9:10]
	v_mul_f64 v[9:10], v[18:19], v[9:10]
	s_waitcnt vmcnt(46)
	v_fma_f64 v[161:162], v[14:15], v[22:23], -v[161:162]
	v_fma_f64 v[2:3], v[16:17], v[22:23], v[2:3]
	s_waitcnt vmcnt(44) lgkmcnt(0)
	v_mul_f64 v[22:23], v[27:28], v[31:32]
	v_mul_f64 v[31:32], v[29:30], v[31:32]
	s_waitcnt vmcnt(42)
	v_fma_f64 v[163:164], v[18:19], v[33:34], -v[163:164]
	ds_read_b128 v[14:17], v1 offset:1328
	v_fma_f64 v[9:10], v[20:21], v[33:34], v[9:10]
	ds_read_b128 v[18:21], v1 offset:1344
	v_add_f64 v[161:162], v[161:162], 0
	v_add_f64 v[2:3], v[2:3], 0
	s_waitcnt vmcnt(36)
	v_fma_f64 v[22:23], v[29:30], v[45:46], v[22:23]
	s_waitcnt lgkmcnt(1)
	v_mul_f64 v[33:34], v[14:15], v[35:36]
	v_mul_f64 v[35:36], v[16:17], v[35:36]
	v_fma_f64 v[31:32], v[27:28], v[45:46], -v[31:32]
	ds_read_b128 v[27:30], v1 offset:1360
	v_add_f64 v[161:162], v[161:162], v[163:164]
	v_add_f64 v[2:3], v[2:3], v[9:10]
	s_waitcnt vmcnt(35) lgkmcnt(1)
	v_mul_f64 v[9:10], v[18:19], v[41:42]
	v_mul_f64 v[41:42], v[20:21], v[41:42]
	s_waitcnt vmcnt(33)
	v_fma_f64 v[35:36], v[14:15], v[47:48], -v[35:36]
	v_fma_f64 v[33:34], v[16:17], v[47:48], v[33:34]
	ds_read_b128 v[14:17], v1 offset:1376
	s_waitcnt vmcnt(29) lgkmcnt(1)
	v_mul_f64 v[45:46], v[29:30], v[53:54]
	v_add_f64 v[31:32], v[161:162], v[31:32]
	v_add_f64 v[2:3], v[2:3], v[22:23]
	v_mul_f64 v[22:23], v[27:28], v[53:54]
	s_waitcnt vmcnt(28)
	v_fma_f64 v[41:42], v[18:19], v[43:44], -v[41:42]
	v_fma_f64 v[9:10], v[20:21], v[43:44], v[9:10]
	ds_read_b128 v[18:21], v1 offset:1392
	s_waitcnt vmcnt(25)
	v_fma_f64 v[43:44], v[27:28], v[59:60], -v[45:46]
	v_add_f64 v[31:32], v[31:32], v[35:36]
	v_add_f64 v[2:3], v[2:3], v[33:34]
	s_waitcnt lgkmcnt(1)
	v_mul_f64 v[35:36], v[16:17], v[55:56]
	v_mul_f64 v[33:34], v[14:15], v[55:56]
	v_fma_f64 v[22:23], v[29:30], v[59:60], v[22:23]
	ds_read_b128 v[27:30], v1 offset:1408
	v_add_f64 v[31:32], v[31:32], v[41:42]
	v_add_f64 v[2:3], v[2:3], v[9:10]
	s_waitcnt vmcnt(21) lgkmcnt(1)
	v_mul_f64 v[41:42], v[20:21], v[61:62]
	s_waitcnt vmcnt(20)
	v_fma_f64 v[35:36], v[14:15], v[57:58], -v[35:36]
	v_mul_f64 v[9:10], v[18:19], v[61:62]
	v_fma_f64 v[33:34], v[16:17], v[57:58], v[33:34]
	ds_read_b128 v[14:17], v1 offset:1424
	v_add_f64 v[31:32], v[31:32], v[43:44]
	v_add_f64 v[2:3], v[2:3], v[22:23]
	s_waitcnt vmcnt(19) lgkmcnt(1)
	v_mul_f64 v[43:44], v[29:30], v[63:64]
	s_waitcnt vmcnt(17)
	v_fma_f64 v[41:42], v[18:19], v[67:68], -v[41:42]
	;; [unrolled: 9-line block ×3, first 2 shown]
	v_mul_f64 v[33:34], v[14:15], v[73:74]
	v_fma_f64 v[22:23], v[29:30], v[65:66], v[22:23]
	s_waitcnt vmcnt(11) lgkmcnt(0)
	v_mul_f64 v[29:30], v[18:19], v[75:76]
	v_add_f64 v[31:32], v[31:32], v[41:42]
	v_add_f64 v[9:10], v[2:3], v[9:10]
	v_mul_f64 v[41:42], v[20:21], v[75:76]
	s_waitcnt vmcnt(9)
	v_fma_f64 v[14:15], v[14:15], v[79:80], -v[35:36]
	ds_read_b128 v[1:4], v1 offset:1456
	v_fma_f64 v[16:17], v[16:17], v[79:80], v[33:34]
	s_waitcnt vmcnt(6)
	v_fma_f64 v[20:21], v[20:21], v[77:78], v[29:30]
	v_add_f64 v[27:28], v[31:32], v[27:28]
	v_add_f64 v[9:10], v[9:10], v[22:23]
	s_waitcnt lgkmcnt(0)
	v_mul_f64 v[31:32], v[3:4], v[153:154]
	v_fma_f64 v[18:19], v[18:19], v[77:78], -v[41:42]
	v_mul_f64 v[22:23], v[1:2], v[153:154]
	v_add_f64 v[14:15], v[27:28], v[14:15]
	v_add_f64 v[9:10], v[9:10], v[16:17]
	s_waitcnt vmcnt(4)
	v_fma_f64 v[1:2], v[1:2], v[155:156], -v[31:32]
	v_fma_f64 v[3:4], v[3:4], v[155:156], v[22:23]
	v_add_f64 v[14:15], v[14:15], v[18:19]
	v_add_f64 v[9:10], v[9:10], v[20:21]
	;; [unrolled: 1-line block ×4, first 2 shown]
	s_waitcnt vmcnt(2)
	v_add_f64 v[1:2], v[157:158], -v[1:2]
	s_waitcnt vmcnt(0)
	v_add_f64 v[3:4], v[159:160], -v[3:4]
	buffer_store_dword v2, off, s[0:3], 0 offset:548
	buffer_store_dword v1, off, s[0:3], 0 offset:544
	;; [unrolled: 1-line block ×4, first 2 shown]
	v_cmpx_lt_u32_e32 32, v0
	s_cbranch_execz .LBB45_225
; %bb.224:
	v_mov_b32_e32 v4, s25
	v_mov_b32_e32 v9, 0
	s_clause 0x3
	buffer_load_dword v1, v4, s[0:3], 0 offen
	buffer_load_dword v2, v4, s[0:3], 0 offen offset:4
	buffer_load_dword v3, v4, s[0:3], 0 offen offset:8
	;; [unrolled: 1-line block ×3, first 2 shown]
	buffer_store_dword v9, off, s[0:3], 0 offset:528
	buffer_store_dword v9, off, s[0:3], 0 offset:532
	;; [unrolled: 1-line block ×4, first 2 shown]
	s_waitcnt vmcnt(0)
	ds_write_b128 v11, v[1:4]
.LBB45_225:
	s_or_b32 exec_lo, exec_lo, s4
	s_waitcnt lgkmcnt(0)
	s_waitcnt_vscnt null, 0x0
	s_barrier
	buffer_gl0_inv
	s_clause 0x33
	buffer_load_dword v2, off, s[0:3], 0 offset:552
	buffer_load_dword v3, off, s[0:3], 0 offset:556
	;; [unrolled: 1-line block ×52, first 2 shown]
	v_mov_b32_e32 v1, 0
	ds_read_b128 v[14:17], v1 offset:1264
	ds_read_b128 v[18:21], v1 offset:1280
	s_clause 0x3
	buffer_load_dword v163, off, s[0:3], 0 offset:528
	buffer_load_dword v164, off, s[0:3], 0 offset:532
	;; [unrolled: 1-line block ×4, first 2 shown]
	ds_read_b128 v[27:30], v1 offset:1296
	s_mov_b32 s4, exec_lo
	s_waitcnt vmcnt(54) lgkmcnt(2)
	v_mul_f64 v[161:162], v[16:17], v[2:3]
	v_mul_f64 v[2:3], v[14:15], v[2:3]
	s_waitcnt vmcnt(52) lgkmcnt(1)
	v_mul_f64 v[167:168], v[20:21], v[9:10]
	v_mul_f64 v[9:10], v[18:19], v[9:10]
	s_waitcnt vmcnt(50)
	v_fma_f64 v[161:162], v[14:15], v[22:23], -v[161:162]
	v_fma_f64 v[2:3], v[16:17], v[22:23], v[2:3]
	ds_read_b128 v[14:17], v1 offset:1312
	s_waitcnt vmcnt(48) lgkmcnt(1)
	v_mul_f64 v[22:23], v[27:28], v[31:32]
	v_mul_f64 v[31:32], v[29:30], v[31:32]
	s_waitcnt vmcnt(46)
	v_fma_f64 v[167:168], v[18:19], v[33:34], -v[167:168]
	v_fma_f64 v[9:10], v[20:21], v[33:34], v[9:10]
	ds_read_b128 v[18:21], v1 offset:1328
	s_waitcnt vmcnt(42) lgkmcnt(1)
	v_mul_f64 v[33:34], v[14:15], v[35:36]
	v_add_f64 v[161:162], v[161:162], 0
	v_add_f64 v[2:3], v[2:3], 0
	v_mul_f64 v[35:36], v[16:17], v[35:36]
	s_waitcnt vmcnt(40)
	v_fma_f64 v[31:32], v[27:28], v[45:46], -v[31:32]
	v_fma_f64 v[22:23], v[29:30], v[45:46], v[22:23]
	ds_read_b128 v[27:30], v1 offset:1344
	s_waitcnt vmcnt(37)
	v_fma_f64 v[33:34], v[16:17], v[47:48], v[33:34]
	v_add_f64 v[161:162], v[161:162], v[167:168]
	v_add_f64 v[2:3], v[2:3], v[9:10]
	s_waitcnt lgkmcnt(1)
	v_mul_f64 v[9:10], v[18:19], v[41:42]
	v_mul_f64 v[41:42], v[20:21], v[41:42]
	v_fma_f64 v[35:36], v[14:15], v[47:48], -v[35:36]
	s_waitcnt vmcnt(33) lgkmcnt(0)
	v_mul_f64 v[45:46], v[29:30], v[53:54]
	ds_read_b128 v[14:17], v1 offset:1360
	v_add_f64 v[31:32], v[161:162], v[31:32]
	v_add_f64 v[2:3], v[2:3], v[22:23]
	v_mul_f64 v[22:23], v[27:28], v[53:54]
	s_waitcnt vmcnt(32)
	v_fma_f64 v[41:42], v[18:19], v[43:44], -v[41:42]
	v_fma_f64 v[9:10], v[20:21], v[43:44], v[9:10]
	ds_read_b128 v[18:21], v1 offset:1376
	s_waitcnt vmcnt(29)
	v_fma_f64 v[43:44], v[27:28], v[59:60], -v[45:46]
	v_add_f64 v[31:32], v[31:32], v[35:36]
	v_add_f64 v[2:3], v[2:3], v[33:34]
	s_waitcnt lgkmcnt(1)
	v_mul_f64 v[35:36], v[16:17], v[55:56]
	v_mul_f64 v[33:34], v[14:15], v[55:56]
	v_fma_f64 v[22:23], v[29:30], v[59:60], v[22:23]
	ds_read_b128 v[27:30], v1 offset:1392
	v_add_f64 v[31:32], v[31:32], v[41:42]
	v_add_f64 v[2:3], v[2:3], v[9:10]
	s_waitcnt vmcnt(25) lgkmcnt(1)
	v_mul_f64 v[41:42], v[20:21], v[61:62]
	s_waitcnt vmcnt(24)
	v_fma_f64 v[35:36], v[14:15], v[57:58], -v[35:36]
	v_mul_f64 v[9:10], v[18:19], v[61:62]
	v_fma_f64 v[33:34], v[16:17], v[57:58], v[33:34]
	ds_read_b128 v[14:17], v1 offset:1408
	v_add_f64 v[31:32], v[31:32], v[43:44]
	v_add_f64 v[2:3], v[2:3], v[22:23]
	s_waitcnt vmcnt(23) lgkmcnt(1)
	v_mul_f64 v[43:44], v[29:30], v[63:64]
	s_waitcnt vmcnt(21)
	v_fma_f64 v[41:42], v[18:19], v[67:68], -v[41:42]
	;; [unrolled: 9-line block ×5, first 2 shown]
	v_mul_f64 v[22:23], v[27:28], v[153:154]
	v_fma_f64 v[9:10], v[20:21], v[77:78], v[9:10]
	s_waitcnt vmcnt(7) lgkmcnt(0)
	v_mul_f64 v[20:21], v[14:15], v[155:156]
	v_add_f64 v[31:32], v[31:32], v[35:36]
	v_add_f64 v[2:3], v[2:3], v[33:34]
	v_mul_f64 v[33:34], v[16:17], v[155:156]
	s_waitcnt vmcnt(5)
	v_fma_f64 v[27:28], v[27:28], v[159:160], -v[43:44]
	v_fma_f64 v[22:23], v[29:30], v[159:160], v[22:23]
	s_waitcnt vmcnt(4)
	v_fma_f64 v[16:17], v[16:17], v[157:158], v[20:21]
	v_add_f64 v[18:19], v[31:32], v[18:19]
	v_add_f64 v[2:3], v[2:3], v[9:10]
	v_fma_f64 v[9:10], v[14:15], v[157:158], -v[33:34]
	v_add_f64 v[14:15], v[18:19], v[27:28]
	v_add_f64 v[2:3], v[2:3], v[22:23]
	;; [unrolled: 1-line block ×4, first 2 shown]
	s_waitcnt vmcnt(2)
	v_add_f64 v[9:10], v[163:164], -v[9:10]
	s_waitcnt vmcnt(0)
	v_add_f64 v[2:3], v[165:166], -v[2:3]
	buffer_store_dword v10, off, s[0:3], 0 offset:532
	buffer_store_dword v9, off, s[0:3], 0 offset:528
	buffer_store_dword v3, off, s[0:3], 0 offset:540
	buffer_store_dword v2, off, s[0:3], 0 offset:536
	v_cmpx_lt_u32_e32 31, v0
	s_cbranch_execz .LBB45_227
; %bb.226:
	v_mov_b32_e32 v2, s26
	s_clause 0x3
	buffer_load_dword v14, v2, s[0:3], 0 offen
	buffer_load_dword v15, v2, s[0:3], 0 offen offset:4
	buffer_load_dword v16, v2, s[0:3], 0 offen offset:8
	;; [unrolled: 1-line block ×3, first 2 shown]
	buffer_store_dword v1, off, s[0:3], 0 offset:512
	buffer_store_dword v1, off, s[0:3], 0 offset:516
	;; [unrolled: 1-line block ×4, first 2 shown]
	s_waitcnt vmcnt(0)
	ds_write_b128 v11, v[14:17]
.LBB45_227:
	s_or_b32 exec_lo, exec_lo, s4
	s_waitcnt lgkmcnt(0)
	s_waitcnt_vscnt null, 0x0
	s_barrier
	buffer_gl0_inv
	s_clause 0x35
	buffer_load_dword v2, off, s[0:3], 0 offset:536
	buffer_load_dword v3, off, s[0:3], 0 offset:540
	;; [unrolled: 1-line block ×54, first 2 shown]
	ds_read_b128 v[14:17], v1 offset:1248
	s_clause 0x1
	buffer_load_dword v164, off, s[0:3], 0 offset:740
	buffer_load_dword v163, off, s[0:3], 0 offset:736
	ds_read_b128 v[18:21], v1 offset:1264
	ds_read_b128 v[27:30], v1 offset:1280
	s_mov_b32 s4, exec_lo
	s_waitcnt vmcnt(54) lgkmcnt(2)
	v_mul_f64 v[165:166], v[16:17], v[2:3]
	v_mul_f64 v[2:3], v[14:15], v[2:3]
	s_waitcnt vmcnt(52) lgkmcnt(1)
	v_mul_f64 v[167:168], v[20:21], v[9:10]
	v_mul_f64 v[9:10], v[18:19], v[9:10]
	;; [unrolled: 3-line block ×3, first 2 shown]
	v_fma_f64 v[165:166], v[14:15], v[22:23], -v[165:166]
	v_fma_f64 v[2:3], v[16:17], v[22:23], v[2:3]
	s_clause 0x3
	buffer_load_dword v22, off, s[0:3], 0 offset:512
	buffer_load_dword v23, off, s[0:3], 0 offset:516
	;; [unrolled: 1-line block ×4, first 2 shown]
	s_waitcnt vmcnt(50)
	v_fma_f64 v[167:168], v[18:19], v[33:34], -v[167:168]
	ds_read_b128 v[14:17], v1 offset:1296
	v_fma_f64 v[9:10], v[20:21], v[33:34], v[9:10]
	ds_read_b128 v[18:21], v1 offset:1312
	s_waitcnt vmcnt(44)
	v_fma_f64 v[31:32], v[27:28], v[45:46], -v[31:32]
	v_fma_f64 v[45:46], v[29:30], v[45:46], v[171:172]
	ds_read_b128 v[27:30], v1 offset:1328
	v_add_f64 v[165:166], v[165:166], 0
	v_add_f64 v[2:3], v[2:3], 0
	s_waitcnt lgkmcnt(2)
	v_mul_f64 v[33:34], v[14:15], v[35:36]
	v_mul_f64 v[35:36], v[16:17], v[35:36]
	v_add_f64 v[165:166], v[165:166], v[167:168]
	v_add_f64 v[2:3], v[2:3], v[9:10]
	s_waitcnt vmcnt(43) lgkmcnt(1)
	v_mul_f64 v[9:10], v[18:19], v[41:42]
	v_mul_f64 v[41:42], v[20:21], v[41:42]
	s_waitcnt vmcnt(41)
	v_fma_f64 v[35:36], v[14:15], v[47:48], -v[35:36]
	v_fma_f64 v[33:34], v[16:17], v[47:48], v[33:34]
	ds_read_b128 v[14:17], v1 offset:1344
	s_waitcnt vmcnt(37) lgkmcnt(1)
	v_mul_f64 v[47:48], v[29:30], v[53:54]
	v_add_f64 v[31:32], v[165:166], v[31:32]
	v_add_f64 v[2:3], v[2:3], v[45:46]
	v_mul_f64 v[45:46], v[27:28], v[53:54]
	s_waitcnt vmcnt(36)
	v_fma_f64 v[41:42], v[18:19], v[43:44], -v[41:42]
	v_fma_f64 v[9:10], v[20:21], v[43:44], v[9:10]
	ds_read_b128 v[18:21], v1 offset:1360
	s_waitcnt vmcnt(33)
	v_fma_f64 v[43:44], v[27:28], v[59:60], -v[47:48]
	v_add_f64 v[31:32], v[31:32], v[35:36]
	v_add_f64 v[2:3], v[2:3], v[33:34]
	s_waitcnt lgkmcnt(1)
	v_mul_f64 v[35:36], v[16:17], v[55:56]
	v_mul_f64 v[33:34], v[14:15], v[55:56]
	v_add_f64 v[31:32], v[31:32], v[41:42]
	v_fma_f64 v[41:42], v[29:30], v[59:60], v[45:46]
	v_add_f64 v[2:3], v[2:3], v[9:10]
	ds_read_b128 v[27:30], v1 offset:1376
	s_waitcnt vmcnt(29) lgkmcnt(1)
	v_mul_f64 v[45:46], v[20:21], v[61:62]
	s_waitcnt vmcnt(28)
	v_fma_f64 v[35:36], v[14:15], v[57:58], -v[35:36]
	v_mul_f64 v[9:10], v[18:19], v[61:62]
	v_fma_f64 v[33:34], v[16:17], v[57:58], v[33:34]
	ds_read_b128 v[14:17], v1 offset:1392
	v_add_f64 v[31:32], v[31:32], v[43:44]
	s_waitcnt vmcnt(27) lgkmcnt(1)
	v_mul_f64 v[43:44], v[29:30], v[63:64]
	v_add_f64 v[2:3], v[2:3], v[41:42]
	v_mul_f64 v[41:42], v[27:28], v[63:64]
	s_waitcnt vmcnt(25)
	v_fma_f64 v[45:46], v[18:19], v[67:68], -v[45:46]
	v_fma_f64 v[9:10], v[20:21], v[67:68], v[9:10]
	ds_read_b128 v[18:21], v1 offset:1408
	v_add_f64 v[31:32], v[31:32], v[35:36]
	s_waitcnt vmcnt(21) lgkmcnt(1)
	v_mul_f64 v[35:36], v[16:17], v[73:74]
	v_add_f64 v[2:3], v[2:3], v[33:34]
	s_waitcnt vmcnt(20)
	v_fma_f64 v[43:44], v[27:28], v[65:66], -v[43:44]
	v_mul_f64 v[33:34], v[14:15], v[73:74]
	v_fma_f64 v[41:42], v[29:30], v[65:66], v[41:42]
	ds_read_b128 v[27:30], v1 offset:1424
	v_add_f64 v[31:32], v[31:32], v[45:46]
	s_waitcnt vmcnt(19) lgkmcnt(1)
	v_mul_f64 v[45:46], v[20:21], v[75:76]
	v_add_f64 v[2:3], v[2:3], v[9:10]
	s_waitcnt vmcnt(17)
	v_fma_f64 v[35:36], v[14:15], v[79:80], -v[35:36]
	v_mul_f64 v[9:10], v[18:19], v[75:76]
	;; [unrolled: 9-line block ×3, first 2 shown]
	v_fma_f64 v[9:10], v[20:21], v[77:78], v[9:10]
	v_add_f64 v[31:32], v[31:32], v[35:36]
	s_waitcnt vmcnt(11) lgkmcnt(0)
	v_mul_f64 v[35:36], v[16:17], v[155:156]
	v_add_f64 v[20:21], v[2:3], v[33:34]
	s_waitcnt vmcnt(9)
	v_fma_f64 v[27:28], v[27:28], v[159:160], -v[43:44]
	ds_read_b128 v[1:4], v1 offset:1456
	v_mul_f64 v[33:34], v[14:15], v[155:156]
	v_fma_f64 v[29:30], v[29:30], v[159:160], v[41:42]
	v_add_f64 v[18:19], v[31:32], v[18:19]
	s_waitcnt vmcnt(6)
	v_fma_f64 v[14:15], v[14:15], v[157:158], -v[35:36]
	v_add_f64 v[9:10], v[20:21], v[9:10]
	s_waitcnt lgkmcnt(0)
	v_mul_f64 v[31:32], v[3:4], v[161:162]
	v_mul_f64 v[20:21], v[1:2], v[161:162]
	v_fma_f64 v[16:17], v[16:17], v[157:158], v[33:34]
	v_add_f64 v[18:19], v[18:19], v[27:28]
	v_add_f64 v[9:10], v[9:10], v[29:30]
	s_waitcnt vmcnt(4)
	v_fma_f64 v[1:2], v[1:2], v[163:164], -v[31:32]
	v_fma_f64 v[3:4], v[3:4], v[163:164], v[20:21]
	v_add_f64 v[14:15], v[18:19], v[14:15]
	v_add_f64 v[9:10], v[9:10], v[16:17]
	v_add_f64 v[1:2], v[14:15], v[1:2]
	v_add_f64 v[3:4], v[9:10], v[3:4]
	s_waitcnt vmcnt(2)
	v_add_f64 v[1:2], v[22:23], -v[1:2]
	s_waitcnt vmcnt(0)
	v_add_f64 v[3:4], v[169:170], -v[3:4]
	buffer_store_dword v2, off, s[0:3], 0 offset:516
	buffer_store_dword v1, off, s[0:3], 0 offset:512
	;; [unrolled: 1-line block ×4, first 2 shown]
	v_cmpx_lt_u32_e32 30, v0
	s_cbranch_execz .LBB45_229
; %bb.228:
	v_mov_b32_e32 v4, s27
	v_mov_b32_e32 v9, 0
	s_clause 0x3
	buffer_load_dword v1, v4, s[0:3], 0 offen
	buffer_load_dword v2, v4, s[0:3], 0 offen offset:4
	buffer_load_dword v3, v4, s[0:3], 0 offen offset:8
	;; [unrolled: 1-line block ×3, first 2 shown]
	buffer_store_dword v9, off, s[0:3], 0 offset:496
	buffer_store_dword v9, off, s[0:3], 0 offset:500
	;; [unrolled: 1-line block ×4, first 2 shown]
	s_waitcnt vmcnt(0)
	ds_write_b128 v11, v[1:4]
.LBB45_229:
	s_or_b32 exec_lo, exec_lo, s4
	s_waitcnt lgkmcnt(0)
	s_waitcnt_vscnt null, 0x0
	s_barrier
	buffer_gl0_inv
	s_clause 0x37
	buffer_load_dword v2, off, s[0:3], 0 offset:520
	buffer_load_dword v3, off, s[0:3], 0 offset:524
	;; [unrolled: 1-line block ×56, first 2 shown]
	v_mov_b32_e32 v1, 0
	s_mov_b32 s4, exec_lo
	ds_read_b128 v[14:17], v1 offset:1232
	s_clause 0x2
	buffer_load_dword v164, off, s[0:3], 0 offset:748
	buffer_load_dword v168, off, s[0:3], 0 offset:724
	;; [unrolled: 1-line block ×3, first 2 shown]
	ds_read_b128 v[18:21], v1 offset:1248
	ds_read_b128 v[27:30], v1 offset:1264
	buffer_load_dword v166, off, s[0:3], 0 offset:740
	s_waitcnt vmcnt(58) lgkmcnt(2)
	v_mul_f64 v[169:170], v[16:17], v[2:3]
	v_mul_f64 v[2:3], v[14:15], v[2:3]
	s_waitcnt vmcnt(56) lgkmcnt(1)
	v_mul_f64 v[171:172], v[20:21], v[9:10]
	v_mul_f64 v[9:10], v[18:19], v[9:10]
	s_waitcnt vmcnt(54)
	v_fma_f64 v[169:170], v[14:15], v[22:23], -v[169:170]
	v_fma_f64 v[2:3], v[16:17], v[22:23], v[2:3]
	s_waitcnt vmcnt(52) lgkmcnt(0)
	v_mul_f64 v[22:23], v[27:28], v[31:32]
	v_mul_f64 v[31:32], v[29:30], v[31:32]
	s_waitcnt vmcnt(50)
	v_fma_f64 v[171:172], v[18:19], v[33:34], -v[171:172]
	ds_read_b128 v[14:17], v1 offset:1280
	v_fma_f64 v[9:10], v[20:21], v[33:34], v[9:10]
	s_clause 0x3
	buffer_load_dword v33, off, s[0:3], 0 offset:496
	buffer_load_dword v34, off, s[0:3], 0 offset:500
	;; [unrolled: 1-line block ×4, first 2 shown]
	ds_read_b128 v[18:21], v1 offset:1296
	v_add_f64 v[169:170], v[169:170], 0
	v_add_f64 v[2:3], v[2:3], 0
	s_waitcnt vmcnt(48)
	v_fma_f64 v[22:23], v[29:30], v[45:46], v[22:23]
	s_waitcnt lgkmcnt(1)
	v_mul_f64 v[175:176], v[14:15], v[35:36]
	v_mul_f64 v[35:36], v[16:17], v[35:36]
	v_fma_f64 v[31:32], v[27:28], v[45:46], -v[31:32]
	ds_read_b128 v[27:30], v1 offset:1312
	v_add_f64 v[169:170], v[169:170], v[171:172]
	v_add_f64 v[2:3], v[2:3], v[9:10]
	s_waitcnt vmcnt(47) lgkmcnt(1)
	v_mul_f64 v[9:10], v[18:19], v[41:42]
	v_mul_f64 v[41:42], v[20:21], v[41:42]
	s_waitcnt vmcnt(45)
	v_fma_f64 v[35:36], v[14:15], v[47:48], -v[35:36]
	v_fma_f64 v[45:46], v[16:17], v[47:48], v[175:176]
	s_waitcnt vmcnt(41) lgkmcnt(0)
	v_mul_f64 v[47:48], v[29:30], v[53:54]
	ds_read_b128 v[14:17], v1 offset:1328
	v_add_f64 v[31:32], v[169:170], v[31:32]
	v_add_f64 v[2:3], v[2:3], v[22:23]
	v_mul_f64 v[22:23], v[27:28], v[53:54]
	s_waitcnt vmcnt(40)
	v_fma_f64 v[41:42], v[18:19], v[43:44], -v[41:42]
	v_fma_f64 v[9:10], v[20:21], v[43:44], v[9:10]
	ds_read_b128 v[18:21], v1 offset:1344
	s_waitcnt vmcnt(39) lgkmcnt(1)
	v_mul_f64 v[43:44], v[16:17], v[55:56]
	v_add_f64 v[31:32], v[31:32], v[35:36]
	v_add_f64 v[2:3], v[2:3], v[45:46]
	s_waitcnt vmcnt(37)
	v_fma_f64 v[45:46], v[27:28], v[59:60], -v[47:48]
	v_mul_f64 v[35:36], v[14:15], v[55:56]
	v_fma_f64 v[22:23], v[29:30], v[59:60], v[22:23]
	ds_read_b128 v[27:30], v1 offset:1360
	s_waitcnt vmcnt(32)
	v_fma_f64 v[43:44], v[14:15], v[57:58], -v[43:44]
	v_add_f64 v[31:32], v[31:32], v[41:42]
	v_add_f64 v[2:3], v[2:3], v[9:10]
	s_waitcnt lgkmcnt(1)
	v_mul_f64 v[41:42], v[20:21], v[61:62]
	v_mul_f64 v[9:10], v[18:19], v[61:62]
	v_fma_f64 v[35:36], v[16:17], v[57:58], v[35:36]
	ds_read_b128 v[14:17], v1 offset:1376
	v_add_f64 v[31:32], v[31:32], v[45:46]
	v_add_f64 v[2:3], v[2:3], v[22:23]
	s_waitcnt vmcnt(31) lgkmcnt(1)
	v_mul_f64 v[45:46], v[29:30], v[63:64]
	s_waitcnt vmcnt(29)
	v_fma_f64 v[41:42], v[18:19], v[67:68], -v[41:42]
	v_mul_f64 v[22:23], v[27:28], v[63:64]
	v_fma_f64 v[9:10], v[20:21], v[67:68], v[9:10]
	ds_read_b128 v[18:21], v1 offset:1392
	v_add_f64 v[31:32], v[31:32], v[43:44]
	v_add_f64 v[2:3], v[2:3], v[35:36]
	s_waitcnt vmcnt(25) lgkmcnt(1)
	v_mul_f64 v[43:44], v[16:17], v[73:74]
	s_waitcnt vmcnt(24)
	v_fma_f64 v[45:46], v[27:28], v[65:66], -v[45:46]
	;; [unrolled: 9-line block ×6, first 2 shown]
	v_mul_f64 v[9:10], v[18:19], v[161:162]
	v_fma_f64 v[16:17], v[16:17], v[157:158], v[35:36]
	s_waitcnt vmcnt(7) lgkmcnt(0)
	v_mul_f64 v[35:36], v[29:30], v[163:164]
	v_add_f64 v[31:32], v[31:32], v[45:46]
	v_add_f64 v[2:3], v[2:3], v[22:23]
	s_waitcnt vmcnt(5)
	v_fma_f64 v[18:19], v[18:19], v[167:168], -v[41:42]
	v_mul_f64 v[22:23], v[27:28], v[163:164]
	v_fma_f64 v[9:10], v[20:21], v[167:168], v[9:10]
	v_add_f64 v[14:15], v[31:32], v[14:15]
	v_add_f64 v[2:3], v[2:3], v[16:17]
	s_waitcnt vmcnt(4)
	v_fma_f64 v[16:17], v[27:28], v[165:166], -v[35:36]
	v_add_f64 v[14:15], v[14:15], v[18:19]
	v_fma_f64 v[18:19], v[29:30], v[165:166], v[22:23]
	v_add_f64 v[2:3], v[2:3], v[9:10]
	v_add_f64 v[9:10], v[14:15], v[16:17]
	;; [unrolled: 1-line block ×3, first 2 shown]
	s_waitcnt vmcnt(2)
	v_add_f64 v[9:10], v[33:34], -v[9:10]
	s_waitcnt vmcnt(0)
	v_add_f64 v[2:3], v[173:174], -v[2:3]
	buffer_store_dword v10, off, s[0:3], 0 offset:500
	buffer_store_dword v9, off, s[0:3], 0 offset:496
	;; [unrolled: 1-line block ×4, first 2 shown]
	v_cmpx_lt_u32_e32 29, v0
	s_cbranch_execz .LBB45_231
; %bb.230:
	v_mov_b32_e32 v2, s28
	s_clause 0x3
	buffer_load_dword v14, v2, s[0:3], 0 offen
	buffer_load_dword v15, v2, s[0:3], 0 offen offset:4
	buffer_load_dword v16, v2, s[0:3], 0 offen offset:8
	;; [unrolled: 1-line block ×3, first 2 shown]
	buffer_store_dword v1, off, s[0:3], 0 offset:480
	buffer_store_dword v1, off, s[0:3], 0 offset:484
	;; [unrolled: 1-line block ×4, first 2 shown]
	s_waitcnt vmcnt(0)
	ds_write_b128 v11, v[14:17]
.LBB45_231:
	s_or_b32 exec_lo, exec_lo, s4
	s_waitcnt lgkmcnt(0)
	s_waitcnt_vscnt null, 0x0
	s_barrier
	buffer_gl0_inv
	s_clause 0x37
	buffer_load_dword v2, off, s[0:3], 0 offset:504
	buffer_load_dword v3, off, s[0:3], 0 offset:508
	;; [unrolled: 1-line block ×56, first 2 shown]
	ds_read_b128 v[14:17], v1 offset:1216
	s_clause 0x2
	buffer_load_dword v164, off, s[0:3], 0 offset:732
	buffer_load_dword v168, off, s[0:3], 0 offset:708
	;; [unrolled: 1-line block ×3, first 2 shown]
	ds_read_b128 v[18:21], v1 offset:1232
	s_clause 0x2
	buffer_load_dword v172, off, s[0:3], 0 offset:748
	buffer_load_dword v171, off, s[0:3], 0 offset:744
	;; [unrolled: 1-line block ×3, first 2 shown]
	ds_read_b128 v[27:30], v1 offset:1248
	s_mov_b32 s4, exec_lo
	s_waitcnt vmcnt(60) lgkmcnt(2)
	v_mul_f64 v[169:170], v[16:17], v[2:3]
	v_mul_f64 v[2:3], v[14:15], v[2:3]
	s_waitcnt vmcnt(58) lgkmcnt(1)
	v_mul_f64 v[173:174], v[20:21], v[9:10]
	v_mul_f64 v[9:10], v[18:19], v[9:10]
	;; [unrolled: 3-line block ×3, first 2 shown]
	v_fma_f64 v[169:170], v[14:15], v[22:23], -v[169:170]
	v_fma_f64 v[2:3], v[16:17], v[22:23], v[2:3]
	s_clause 0x1
	buffer_load_dword v23, off, s[0:3], 0 offset:740
	buffer_load_dword v22, off, s[0:3], 0 offset:736
	s_waitcnt vmcnt(54)
	v_fma_f64 v[173:174], v[18:19], v[33:34], -v[173:174]
	ds_read_b128 v[14:17], v1 offset:1264
	v_fma_f64 v[9:10], v[20:21], v[33:34], v[9:10]
	ds_read_b128 v[18:21], v1 offset:1280
	s_waitcnt vmcnt(48)
	v_fma_f64 v[31:32], v[27:28], v[45:46], -v[31:32]
	v_fma_f64 v[45:46], v[29:30], v[45:46], v[175:176]
	v_add_f64 v[169:170], v[169:170], 0
	v_add_f64 v[2:3], v[2:3], 0
	s_waitcnt lgkmcnt(1)
	v_mul_f64 v[33:34], v[14:15], v[35:36]
	v_mul_f64 v[35:36], v[16:17], v[35:36]
	s_waitcnt vmcnt(47) lgkmcnt(0)
	v_mul_f64 v[175:176], v[18:19], v[41:42]
	v_mul_f64 v[41:42], v[20:21], v[41:42]
	v_add_f64 v[169:170], v[169:170], v[173:174]
	v_add_f64 v[2:3], v[2:3], v[9:10]
	s_clause 0x3
	buffer_load_dword v9, off, s[0:3], 0 offset:480
	buffer_load_dword v10, off, s[0:3], 0 offset:484
	;; [unrolled: 1-line block ×4, first 2 shown]
	s_waitcnt vmcnt(49)
	v_fma_f64 v[35:36], v[14:15], v[47:48], -v[35:36]
	ds_read_b128 v[27:30], v1 offset:1296
	v_fma_f64 v[33:34], v[16:17], v[47:48], v[33:34]
	ds_read_b128 v[14:17], v1 offset:1312
	s_waitcnt vmcnt(44)
	v_fma_f64 v[41:42], v[18:19], v[43:44], -v[41:42]
	v_add_f64 v[31:32], v[169:170], v[31:32]
	v_add_f64 v[2:3], v[2:3], v[45:46]
	s_waitcnt lgkmcnt(1)
	v_mul_f64 v[47:48], v[29:30], v[53:54]
	v_mul_f64 v[45:46], v[27:28], v[53:54]
	v_add_f64 v[31:32], v[31:32], v[35:36]
	v_fma_f64 v[35:36], v[20:21], v[43:44], v[175:176]
	v_add_f64 v[2:3], v[2:3], v[33:34]
	s_waitcnt vmcnt(43) lgkmcnt(0)
	v_mul_f64 v[43:44], v[16:17], v[55:56]
	s_waitcnt vmcnt(41)
	v_fma_f64 v[47:48], v[27:28], v[59:60], -v[47:48]
	ds_read_b128 v[18:21], v1 offset:1328
	v_mul_f64 v[33:34], v[14:15], v[55:56]
	v_add_f64 v[31:32], v[31:32], v[41:42]
	v_fma_f64 v[41:42], v[29:30], v[59:60], v[45:46]
	v_add_f64 v[2:3], v[2:3], v[35:36]
	ds_read_b128 v[27:30], v1 offset:1344
	s_waitcnt vmcnt(37) lgkmcnt(1)
	v_mul_f64 v[45:46], v[20:21], v[61:62]
	s_waitcnt vmcnt(36)
	v_fma_f64 v[43:44], v[14:15], v[57:58], -v[43:44]
	v_mul_f64 v[35:36], v[18:19], v[61:62]
	v_fma_f64 v[33:34], v[16:17], v[57:58], v[33:34]
	ds_read_b128 v[14:17], v1 offset:1360
	v_add_f64 v[31:32], v[31:32], v[47:48]
	s_waitcnt vmcnt(35) lgkmcnt(1)
	v_mul_f64 v[47:48], v[29:30], v[63:64]
	v_add_f64 v[2:3], v[2:3], v[41:42]
	v_mul_f64 v[41:42], v[27:28], v[63:64]
	s_waitcnt vmcnt(33)
	v_fma_f64 v[45:46], v[18:19], v[67:68], -v[45:46]
	v_fma_f64 v[35:36], v[20:21], v[67:68], v[35:36]
	ds_read_b128 v[18:21], v1 offset:1376
	v_add_f64 v[31:32], v[31:32], v[43:44]
	s_waitcnt vmcnt(29) lgkmcnt(1)
	v_mul_f64 v[43:44], v[16:17], v[73:74]
	v_add_f64 v[2:3], v[2:3], v[33:34]
	s_waitcnt vmcnt(28)
	v_fma_f64 v[47:48], v[27:28], v[65:66], -v[47:48]
	v_mul_f64 v[33:34], v[14:15], v[73:74]
	v_fma_f64 v[41:42], v[29:30], v[65:66], v[41:42]
	ds_read_b128 v[27:30], v1 offset:1392
	v_add_f64 v[31:32], v[31:32], v[45:46]
	s_waitcnt vmcnt(27) lgkmcnt(1)
	v_mul_f64 v[45:46], v[20:21], v[75:76]
	v_add_f64 v[2:3], v[2:3], v[35:36]
	s_waitcnt vmcnt(25)
	v_fma_f64 v[43:44], v[14:15], v[79:80], -v[43:44]
	v_mul_f64 v[35:36], v[18:19], v[75:76]
	;; [unrolled: 9-line block ×5, first 2 shown]
	v_fma_f64 v[16:17], v[16:17], v[157:158], v[33:34]
	s_waitcnt vmcnt(11) lgkmcnt(0)
	v_mul_f64 v[43:44], v[29:30], v[163:164]
	v_add_f64 v[31:32], v[31:32], v[47:48]
	s_waitcnt vmcnt(9)
	v_fma_f64 v[18:19], v[18:19], v[167:168], -v[45:46]
	v_add_f64 v[33:34], v[2:3], v[41:42]
	ds_read_b128 v[1:4], v1 offset:1456
	v_mul_f64 v[41:42], v[27:28], v[163:164]
	v_fma_f64 v[20:21], v[20:21], v[167:168], v[35:36]
	s_waitcnt vmcnt(6)
	v_fma_f64 v[27:28], v[27:28], v[165:166], -v[43:44]
	v_add_f64 v[14:15], v[31:32], v[14:15]
	s_waitcnt lgkmcnt(0)
	v_mul_f64 v[31:32], v[1:2], v[171:172]
	v_add_f64 v[16:17], v[33:34], v[16:17]
	v_mul_f64 v[33:34], v[3:4], v[171:172]
	v_add_f64 v[14:15], v[14:15], v[18:19]
	v_fma_f64 v[18:19], v[29:30], v[165:166], v[41:42]
	v_add_f64 v[16:17], v[16:17], v[20:21]
	s_waitcnt vmcnt(4)
	v_fma_f64 v[1:2], v[1:2], v[22:23], -v[33:34]
	v_fma_f64 v[3:4], v[3:4], v[22:23], v[31:32]
	v_add_f64 v[14:15], v[14:15], v[27:28]
	v_add_f64 v[16:17], v[16:17], v[18:19]
	;; [unrolled: 1-line block ×4, first 2 shown]
	s_waitcnt vmcnt(2)
	v_add_f64 v[1:2], v[9:10], -v[1:2]
	s_waitcnt vmcnt(0)
	v_add_f64 v[3:4], v[173:174], -v[3:4]
	buffer_store_dword v2, off, s[0:3], 0 offset:484
	buffer_store_dword v1, off, s[0:3], 0 offset:480
	;; [unrolled: 1-line block ×4, first 2 shown]
	v_cmpx_lt_u32_e32 28, v0
	s_cbranch_execz .LBB45_233
; %bb.232:
	v_mov_b32_e32 v4, s29
	v_mov_b32_e32 v9, 0
	s_clause 0x3
	buffer_load_dword v1, v4, s[0:3], 0 offen
	buffer_load_dword v2, v4, s[0:3], 0 offen offset:4
	buffer_load_dword v3, v4, s[0:3], 0 offen offset:8
	;; [unrolled: 1-line block ×3, first 2 shown]
	buffer_store_dword v9, off, s[0:3], 0 offset:464
	buffer_store_dword v9, off, s[0:3], 0 offset:468
	;; [unrolled: 1-line block ×4, first 2 shown]
	s_waitcnt vmcnt(0)
	ds_write_b128 v11, v[1:4]
.LBB45_233:
	s_or_b32 exec_lo, exec_lo, s4
	s_waitcnt lgkmcnt(0)
	s_waitcnt_vscnt null, 0x0
	s_barrier
	buffer_gl0_inv
	s_clause 0x37
	buffer_load_dword v2, off, s[0:3], 0 offset:488
	buffer_load_dword v3, off, s[0:3], 0 offset:492
	;; [unrolled: 1-line block ×56, first 2 shown]
	v_mov_b32_e32 v1, 0
	s_mov_b32 s4, exec_lo
	ds_read_b128 v[14:17], v1 offset:1200
	s_clause 0x2
	buffer_load_dword v164, off, s[0:3], 0 offset:716
	buffer_load_dword v168, off, s[0:3], 0 offset:692
	;; [unrolled: 1-line block ×3, first 2 shown]
	ds_read_b128 v[18:21], v1 offset:1216
	s_clause 0x4
	buffer_load_dword v172, off, s[0:3], 0 offset:732
	buffer_load_dword v173, off, s[0:3], 0 offset:744
	;; [unrolled: 1-line block ×5, first 2 shown]
	ds_read_b128 v[27:30], v1 offset:1232
	s_waitcnt vmcnt(62) lgkmcnt(2)
	v_mul_f64 v[169:170], v[16:17], v[2:3]
	v_mul_f64 v[2:3], v[14:15], v[2:3]
	s_waitcnt vmcnt(60) lgkmcnt(1)
	v_mul_f64 v[176:177], v[20:21], v[9:10]
	v_mul_f64 v[9:10], v[18:19], v[9:10]
	;; [unrolled: 3-line block ×3, first 2 shown]
	v_fma_f64 v[169:170], v[14:15], v[22:23], -v[169:170]
	v_fma_f64 v[2:3], v[16:17], v[22:23], v[2:3]
	s_clause 0x2
	buffer_load_dword v174, off, s[0:3], 0 offset:748
	buffer_load_dword v23, off, s[0:3], 0 offset:724
	;; [unrolled: 1-line block ×3, first 2 shown]
	s_waitcnt vmcnt(57)
	v_fma_f64 v[180:181], v[18:19], v[33:34], -v[176:177]
	ds_read_b128 v[14:17], v1 offset:1248
	v_fma_f64 v[9:10], v[20:21], v[33:34], v[9:10]
	buffer_load_dword v176, off, s[0:3], 0 offset:740
	ds_read_b128 v[18:21], v1 offset:1264
	s_waitcnt vmcnt(52)
	v_fma_f64 v[31:32], v[27:28], v[45:46], -v[31:32]
	v_fma_f64 v[45:46], v[29:30], v[45:46], v[178:179]
	ds_read_b128 v[27:30], v1 offset:1280
	v_add_f64 v[169:170], v[169:170], 0
	v_add_f64 v[2:3], v[2:3], 0
	s_waitcnt lgkmcnt(2)
	v_mul_f64 v[33:34], v[14:15], v[35:36]
	v_mul_f64 v[35:36], v[16:17], v[35:36]
	v_add_f64 v[169:170], v[169:170], v[180:181]
	v_add_f64 v[2:3], v[2:3], v[9:10]
	s_waitcnt vmcnt(51) lgkmcnt(1)
	v_mul_f64 v[9:10], v[18:19], v[41:42]
	v_mul_f64 v[41:42], v[20:21], v[41:42]
	s_waitcnt vmcnt(49)
	v_fma_f64 v[35:36], v[14:15], v[47:48], -v[35:36]
	v_fma_f64 v[33:34], v[16:17], v[47:48], v[33:34]
	v_add_f64 v[31:32], v[169:170], v[31:32]
	v_add_f64 v[2:3], v[2:3], v[45:46]
	s_clause 0x3
	buffer_load_dword v45, off, s[0:3], 0 offset:464
	buffer_load_dword v46, off, s[0:3], 0 offset:468
	;; [unrolled: 1-line block ×4, first 2 shown]
	s_waitcnt vmcnt(49) lgkmcnt(0)
	v_mul_f64 v[169:170], v[27:28], v[53:54]
	v_mul_f64 v[53:54], v[29:30], v[53:54]
	s_waitcnt vmcnt(48)
	v_fma_f64 v[41:42], v[18:19], v[43:44], -v[41:42]
	ds_read_b128 v[14:17], v1 offset:1296
	v_fma_f64 v[9:10], v[20:21], v[43:44], v[9:10]
	ds_read_b128 v[18:21], v1 offset:1312
	v_add_f64 v[31:32], v[31:32], v[35:36]
	v_add_f64 v[2:3], v[2:3], v[33:34]
	s_waitcnt vmcnt(47) lgkmcnt(1)
	v_mul_f64 v[35:36], v[16:17], v[55:56]
	s_waitcnt vmcnt(45)
	v_fma_f64 v[43:44], v[27:28], v[59:60], -v[53:54]
	v_mul_f64 v[33:34], v[14:15], v[55:56]
	s_waitcnt vmcnt(41) lgkmcnt(0)
	v_mul_f64 v[53:54], v[20:21], v[61:62]
	v_add_f64 v[31:32], v[31:32], v[41:42]
	v_fma_f64 v[41:42], v[29:30], v[59:60], v[169:170]
	v_add_f64 v[2:3], v[2:3], v[9:10]
	ds_read_b128 v[27:30], v1 offset:1328
	s_waitcnt vmcnt(40)
	v_fma_f64 v[35:36], v[14:15], v[57:58], -v[35:36]
	v_mul_f64 v[9:10], v[18:19], v[61:62]
	v_fma_f64 v[33:34], v[16:17], v[57:58], v[33:34]
	ds_read_b128 v[14:17], v1 offset:1344
	s_waitcnt vmcnt(37)
	v_fma_f64 v[53:54], v[18:19], v[67:68], -v[53:54]
	v_add_f64 v[31:32], v[31:32], v[43:44]
	s_waitcnt lgkmcnt(1)
	v_mul_f64 v[43:44], v[29:30], v[63:64]
	v_add_f64 v[2:3], v[2:3], v[41:42]
	v_mul_f64 v[41:42], v[27:28], v[63:64]
	v_fma_f64 v[9:10], v[20:21], v[67:68], v[9:10]
	ds_read_b128 v[18:21], v1 offset:1360
	v_add_f64 v[31:32], v[31:32], v[35:36]
	s_waitcnt vmcnt(33) lgkmcnt(1)
	v_mul_f64 v[35:36], v[16:17], v[73:74]
	v_add_f64 v[2:3], v[2:3], v[33:34]
	s_waitcnt vmcnt(32)
	v_fma_f64 v[43:44], v[27:28], v[65:66], -v[43:44]
	v_mul_f64 v[33:34], v[14:15], v[73:74]
	v_fma_f64 v[41:42], v[29:30], v[65:66], v[41:42]
	ds_read_b128 v[27:30], v1 offset:1376
	v_add_f64 v[31:32], v[31:32], v[53:54]
	s_waitcnt vmcnt(31) lgkmcnt(1)
	v_mul_f64 v[53:54], v[20:21], v[75:76]
	v_add_f64 v[2:3], v[2:3], v[9:10]
	s_waitcnt vmcnt(29)
	v_fma_f64 v[35:36], v[14:15], v[79:80], -v[35:36]
	;; [unrolled: 9-line block ×7, first 2 shown]
	v_mul_f64 v[33:34], v[14:15], v[171:172]
	v_fma_f64 v[29:30], v[29:30], v[165:166], v[41:42]
	v_add_f64 v[31:32], v[31:32], v[53:54]
	v_add_f64 v[2:3], v[2:3], v[9:10]
	s_waitcnt vmcnt(7) lgkmcnt(0)
	v_mul_f64 v[41:42], v[20:21], v[173:174]
	v_mul_f64 v[9:10], v[18:19], v[173:174]
	s_waitcnt vmcnt(5)
	v_fma_f64 v[14:15], v[14:15], v[22:23], -v[35:36]
	v_fma_f64 v[16:17], v[16:17], v[22:23], v[33:34]
	v_add_f64 v[27:28], v[31:32], v[27:28]
	v_add_f64 v[2:3], v[2:3], v[29:30]
	s_waitcnt vmcnt(4)
	v_fma_f64 v[18:19], v[18:19], v[175:176], -v[41:42]
	v_fma_f64 v[9:10], v[20:21], v[175:176], v[9:10]
	v_add_f64 v[14:15], v[27:28], v[14:15]
	v_add_f64 v[2:3], v[2:3], v[16:17]
	;; [unrolled: 1-line block ×4, first 2 shown]
	s_waitcnt vmcnt(2)
	v_add_f64 v[9:10], v[45:46], -v[14:15]
	s_waitcnt vmcnt(0)
	v_add_f64 v[2:3], v[47:48], -v[2:3]
	buffer_store_dword v10, off, s[0:3], 0 offset:468
	buffer_store_dword v9, off, s[0:3], 0 offset:464
	buffer_store_dword v3, off, s[0:3], 0 offset:476
	buffer_store_dword v2, off, s[0:3], 0 offset:472
	v_cmpx_lt_u32_e32 27, v0
	s_cbranch_execz .LBB45_235
; %bb.234:
	v_mov_b32_e32 v2, s30
	s_clause 0x3
	buffer_load_dword v14, v2, s[0:3], 0 offen
	buffer_load_dword v15, v2, s[0:3], 0 offen offset:4
	buffer_load_dword v16, v2, s[0:3], 0 offen offset:8
	;; [unrolled: 1-line block ×3, first 2 shown]
	buffer_store_dword v1, off, s[0:3], 0 offset:448
	buffer_store_dword v1, off, s[0:3], 0 offset:452
	;; [unrolled: 1-line block ×4, first 2 shown]
	s_waitcnt vmcnt(0)
	ds_write_b128 v11, v[14:17]
.LBB45_235:
	s_or_b32 exec_lo, exec_lo, s4
	s_waitcnt lgkmcnt(0)
	s_waitcnt_vscnt null, 0x0
	s_barrier
	buffer_gl0_inv
	s_clause 0x37
	buffer_load_dword v2, off, s[0:3], 0 offset:472
	buffer_load_dword v3, off, s[0:3], 0 offset:476
	;; [unrolled: 1-line block ×56, first 2 shown]
	ds_read_b128 v[14:17], v1 offset:1184
	s_clause 0x2
	buffer_load_dword v164, off, s[0:3], 0 offset:700
	buffer_load_dword v168, off, s[0:3], 0 offset:676
	;; [unrolled: 1-line block ×3, first 2 shown]
	ds_read_b128 v[18:21], v1 offset:1200
	s_clause 0x4
	buffer_load_dword v172, off, s[0:3], 0 offset:716
	buffer_load_dword v173, off, s[0:3], 0 offset:728
	;; [unrolled: 1-line block ×5, first 2 shown]
	ds_read_b128 v[27:30], v1 offset:1216
	s_mov_b32 s4, exec_lo
	s_waitcnt vmcnt(62) lgkmcnt(2)
	v_mul_f64 v[169:170], v[16:17], v[2:3]
	v_mul_f64 v[2:3], v[14:15], v[2:3]
	s_waitcnt vmcnt(60) lgkmcnt(1)
	v_mul_f64 v[176:177], v[20:21], v[9:10]
	v_mul_f64 v[9:10], v[18:19], v[9:10]
	;; [unrolled: 3-line block ×3, first 2 shown]
	v_fma_f64 v[169:170], v[14:15], v[22:23], -v[169:170]
	v_fma_f64 v[2:3], v[16:17], v[22:23], v[2:3]
	s_clause 0x2
	buffer_load_dword v174, off, s[0:3], 0 offset:732
	buffer_load_dword v23, off, s[0:3], 0 offset:708
	;; [unrolled: 1-line block ×3, first 2 shown]
	s_waitcnt vmcnt(57)
	v_fma_f64 v[180:181], v[18:19], v[33:34], -v[176:177]
	ds_read_b128 v[14:17], v1 offset:1232
	v_fma_f64 v[9:10], v[20:21], v[33:34], v[9:10]
	s_clause 0x2
	buffer_load_dword v34, off, s[0:3], 0 offset:748
	buffer_load_dword v33, off, s[0:3], 0 offset:744
	;; [unrolled: 1-line block ×3, first 2 shown]
	s_waitcnt vmcnt(54)
	v_fma_f64 v[31:32], v[27:28], v[45:46], -v[31:32]
	ds_read_b128 v[18:21], v1 offset:1248
	v_fma_f64 v[45:46], v[29:30], v[45:46], v[178:179]
	v_add_f64 v[169:170], v[169:170], 0
	v_add_f64 v[2:3], v[2:3], 0
	s_waitcnt lgkmcnt(1)
	v_mul_f64 v[182:183], v[14:15], v[35:36]
	v_mul_f64 v[35:36], v[16:17], v[35:36]
	s_waitcnt vmcnt(53) lgkmcnt(0)
	v_mul_f64 v[177:178], v[18:19], v[41:42]
	v_mul_f64 v[41:42], v[20:21], v[41:42]
	v_add_f64 v[169:170], v[169:170], v[180:181]
	v_add_f64 v[2:3], v[2:3], v[9:10]
	s_clause 0x1
	buffer_load_dword v10, off, s[0:3], 0 offset:740
	buffer_load_dword v9, off, s[0:3], 0 offset:736
	s_waitcnt vmcnt(53)
	v_fma_f64 v[35:36], v[14:15], v[47:48], -v[35:36]
	ds_read_b128 v[27:30], v1 offset:1264
	v_fma_f64 v[47:48], v[16:17], v[47:48], v[182:183]
	ds_read_b128 v[14:17], v1 offset:1280
	s_waitcnt vmcnt(48)
	v_fma_f64 v[41:42], v[18:19], v[43:44], -v[41:42]
	v_add_f64 v[31:32], v[169:170], v[31:32]
	v_add_f64 v[2:3], v[2:3], v[45:46]
	s_waitcnt lgkmcnt(1)
	v_mul_f64 v[45:46], v[27:28], v[53:54]
	v_mul_f64 v[53:54], v[29:30], v[53:54]
	s_waitcnt vmcnt(47) lgkmcnt(0)
	v_mul_f64 v[169:170], v[14:15], v[55:56]
	v_mul_f64 v[55:56], v[16:17], v[55:56]
	v_add_f64 v[31:32], v[31:32], v[35:36]
	v_fma_f64 v[35:36], v[20:21], v[43:44], v[177:178]
	v_add_f64 v[2:3], v[2:3], v[47:48]
	s_clause 0x3
	buffer_load_dword v43, off, s[0:3], 0 offset:448
	buffer_load_dword v44, off, s[0:3], 0 offset:452
	;; [unrolled: 1-line block ×4, first 2 shown]
	s_waitcnt vmcnt(49)
	v_fma_f64 v[53:54], v[27:28], v[59:60], -v[53:54]
	ds_read_b128 v[18:21], v1 offset:1296
	s_waitcnt vmcnt(44)
	v_fma_f64 v[55:56], v[14:15], v[57:58], -v[55:56]
	v_add_f64 v[31:32], v[31:32], v[41:42]
	v_fma_f64 v[41:42], v[29:30], v[59:60], v[45:46]
	v_add_f64 v[2:3], v[2:3], v[35:36]
	ds_read_b128 v[27:30], v1 offset:1312
	s_waitcnt lgkmcnt(1)
	v_mul_f64 v[45:46], v[20:21], v[61:62]
	v_mul_f64 v[35:36], v[18:19], v[61:62]
	v_add_f64 v[31:32], v[31:32], v[53:54]
	v_fma_f64 v[53:54], v[16:17], v[57:58], v[169:170]
	v_add_f64 v[2:3], v[2:3], v[41:42]
	s_waitcnt vmcnt(43) lgkmcnt(0)
	v_mul_f64 v[57:58], v[29:30], v[63:64]
	s_waitcnt vmcnt(41)
	v_fma_f64 v[45:46], v[18:19], v[67:68], -v[45:46]
	ds_read_b128 v[14:17], v1 offset:1328
	v_mul_f64 v[41:42], v[27:28], v[63:64]
	v_fma_f64 v[35:36], v[20:21], v[67:68], v[35:36]
	ds_read_b128 v[18:21], v1 offset:1344
	v_add_f64 v[31:32], v[31:32], v[55:56]
	v_add_f64 v[2:3], v[2:3], v[53:54]
	s_waitcnt vmcnt(37) lgkmcnt(1)
	v_mul_f64 v[55:56], v[16:17], v[73:74]
	s_waitcnt vmcnt(36)
	v_fma_f64 v[57:58], v[27:28], v[65:66], -v[57:58]
	v_mul_f64 v[53:54], v[14:15], v[73:74]
	v_fma_f64 v[41:42], v[29:30], v[65:66], v[41:42]
	ds_read_b128 v[27:30], v1 offset:1360
	v_add_f64 v[31:32], v[31:32], v[45:46]
	s_waitcnt vmcnt(35) lgkmcnt(1)
	v_mul_f64 v[45:46], v[20:21], v[75:76]
	v_add_f64 v[2:3], v[2:3], v[35:36]
	s_waitcnt vmcnt(33)
	v_fma_f64 v[55:56], v[14:15], v[79:80], -v[55:56]
	v_mul_f64 v[35:36], v[18:19], v[75:76]
	v_fma_f64 v[53:54], v[16:17], v[79:80], v[53:54]
	ds_read_b128 v[14:17], v1 offset:1376
	v_add_f64 v[31:32], v[31:32], v[57:58]
	s_waitcnt vmcnt(29) lgkmcnt(1)
	v_mul_f64 v[57:58], v[29:30], v[153:154]
	v_add_f64 v[2:3], v[2:3], v[41:42]
	;; [unrolled: 9-line block ×6, first 2 shown]
	s_waitcnt vmcnt(12)
	v_fma_f64 v[27:28], v[27:28], v[165:166], -v[57:58]
	v_mul_f64 v[53:54], v[14:15], v[171:172]
	v_fma_f64 v[29:30], v[29:30], v[165:166], v[41:42]
	v_add_f64 v[31:32], v[31:32], v[45:46]
	v_add_f64 v[35:36], v[2:3], v[35:36]
	ds_read_b128 v[1:4], v1 offset:1456
	s_waitcnt vmcnt(11) lgkmcnt(1)
	v_mul_f64 v[45:46], v[20:21], v[173:174]
	v_mul_f64 v[41:42], v[18:19], v[173:174]
	s_waitcnt vmcnt(9)
	v_fma_f64 v[14:15], v[14:15], v[22:23], -v[55:56]
	v_fma_f64 v[16:17], v[16:17], v[22:23], v[53:54]
	v_add_f64 v[27:28], v[31:32], v[27:28]
	s_waitcnt vmcnt(7) lgkmcnt(0)
	v_mul_f64 v[31:32], v[3:4], v[33:34]
	v_add_f64 v[22:23], v[35:36], v[29:30]
	v_mul_f64 v[29:30], v[1:2], v[33:34]
	s_waitcnt vmcnt(6)
	v_fma_f64 v[18:19], v[18:19], v[175:176], -v[45:46]
	v_fma_f64 v[20:21], v[20:21], v[175:176], v[41:42]
	v_add_f64 v[14:15], v[27:28], v[14:15]
	v_add_f64 v[16:17], v[22:23], v[16:17]
	s_waitcnt vmcnt(4)
	v_fma_f64 v[1:2], v[1:2], v[9:10], -v[31:32]
	v_fma_f64 v[3:4], v[3:4], v[9:10], v[29:30]
	v_add_f64 v[14:15], v[14:15], v[18:19]
	v_add_f64 v[9:10], v[16:17], v[20:21]
	;; [unrolled: 1-line block ×4, first 2 shown]
	s_waitcnt vmcnt(2)
	v_add_f64 v[1:2], v[43:44], -v[1:2]
	s_waitcnt vmcnt(0)
	v_add_f64 v[3:4], v[47:48], -v[3:4]
	buffer_store_dword v2, off, s[0:3], 0 offset:452
	buffer_store_dword v1, off, s[0:3], 0 offset:448
	;; [unrolled: 1-line block ×4, first 2 shown]
	v_cmpx_lt_u32_e32 26, v0
	s_cbranch_execz .LBB45_237
; %bb.236:
	v_mov_b32_e32 v4, s31
	v_mov_b32_e32 v9, 0
	s_clause 0x3
	buffer_load_dword v1, v4, s[0:3], 0 offen
	buffer_load_dword v2, v4, s[0:3], 0 offen offset:4
	buffer_load_dword v3, v4, s[0:3], 0 offen offset:8
	;; [unrolled: 1-line block ×3, first 2 shown]
	buffer_store_dword v9, off, s[0:3], 0 offset:432
	buffer_store_dword v9, off, s[0:3], 0 offset:436
	;; [unrolled: 1-line block ×4, first 2 shown]
	s_waitcnt vmcnt(0)
	ds_write_b128 v11, v[1:4]
.LBB45_237:
	s_or_b32 exec_lo, exec_lo, s4
	s_waitcnt lgkmcnt(0)
	s_waitcnt_vscnt null, 0x0
	s_barrier
	buffer_gl0_inv
	s_clause 0x37
	buffer_load_dword v2, off, s[0:3], 0 offset:456
	buffer_load_dword v3, off, s[0:3], 0 offset:460
	;; [unrolled: 1-line block ×56, first 2 shown]
	v_mov_b32_e32 v1, 0
	s_mov_b32 s4, exec_lo
	ds_read_b128 v[14:17], v1 offset:1168
	s_clause 0x2
	buffer_load_dword v164, off, s[0:3], 0 offset:684
	buffer_load_dword v168, off, s[0:3], 0 offset:660
	;; [unrolled: 1-line block ×3, first 2 shown]
	ds_read_b128 v[18:21], v1 offset:1184
	s_clause 0x4
	buffer_load_dword v172, off, s[0:3], 0 offset:700
	buffer_load_dword v173, off, s[0:3], 0 offset:712
	;; [unrolled: 1-line block ×5, first 2 shown]
	ds_read_b128 v[27:30], v1 offset:1200
	s_waitcnt vmcnt(62) lgkmcnt(2)
	v_mul_f64 v[169:170], v[16:17], v[2:3]
	v_mul_f64 v[2:3], v[14:15], v[2:3]
	s_waitcnt vmcnt(60) lgkmcnt(1)
	v_mul_f64 v[176:177], v[20:21], v[9:10]
	v_mul_f64 v[9:10], v[18:19], v[9:10]
	;; [unrolled: 3-line block ×3, first 2 shown]
	v_fma_f64 v[169:170], v[14:15], v[22:23], -v[169:170]
	v_fma_f64 v[2:3], v[16:17], v[22:23], v[2:3]
	s_clause 0x2
	buffer_load_dword v174, off, s[0:3], 0 offset:716
	buffer_load_dword v23, off, s[0:3], 0 offset:692
	;; [unrolled: 1-line block ×3, first 2 shown]
	s_waitcnt vmcnt(57)
	v_fma_f64 v[180:181], v[18:19], v[33:34], -v[176:177]
	ds_read_b128 v[14:17], v1 offset:1216
	v_fma_f64 v[9:10], v[20:21], v[33:34], v[9:10]
	s_clause 0x4
	buffer_load_dword v34, off, s[0:3], 0 offset:732
	buffer_load_dword v177, off, s[0:3], 0 offset:744
	;; [unrolled: 1-line block ×5, first 2 shown]
	s_waitcnt vmcnt(56)
	v_fma_f64 v[31:32], v[27:28], v[45:46], -v[31:32]
	ds_read_b128 v[18:21], v1 offset:1232
	v_fma_f64 v[45:46], v[29:30], v[45:46], v[178:179]
	v_add_f64 v[169:170], v[169:170], 0
	v_add_f64 v[2:3], v[2:3], 0
	s_waitcnt lgkmcnt(1)
	v_mul_f64 v[183:184], v[14:15], v[35:36]
	v_mul_f64 v[35:36], v[16:17], v[35:36]
	v_add_f64 v[169:170], v[169:170], v[180:181]
	v_add_f64 v[2:3], v[2:3], v[9:10]
	s_clause 0x2
	buffer_load_dword v178, off, s[0:3], 0 offset:748
	buffer_load_dword v10, off, s[0:3], 0 offset:724
	;; [unrolled: 1-line block ×3, first 2 shown]
	s_waitcnt vmcnt(58) lgkmcnt(0)
	v_mul_f64 v[179:180], v[18:19], v[41:42]
	v_mul_f64 v[41:42], v[20:21], v[41:42]
	s_waitcnt vmcnt(56)
	v_fma_f64 v[35:36], v[14:15], v[47:48], -v[35:36]
	ds_read_b128 v[27:30], v1 offset:1248
	v_fma_f64 v[47:48], v[16:17], v[47:48], v[183:184]
	buffer_load_dword v183, off, s[0:3], 0 offset:740
	ds_read_b128 v[14:17], v1 offset:1264
	v_add_f64 v[31:32], v[169:170], v[31:32]
	v_add_f64 v[2:3], v[2:3], v[45:46]
	s_waitcnt vmcnt(53) lgkmcnt(1)
	v_mul_f64 v[45:46], v[27:28], v[53:54]
	v_mul_f64 v[53:54], v[29:30], v[53:54]
	s_waitcnt vmcnt(52)
	v_fma_f64 v[41:42], v[18:19], v[43:44], -v[41:42]
	v_add_f64 v[31:32], v[31:32], v[35:36]
	v_fma_f64 v[35:36], v[20:21], v[43:44], v[179:180]
	v_add_f64 v[2:3], v[2:3], v[47:48]
	s_waitcnt vmcnt(51) lgkmcnt(0)
	v_mul_f64 v[47:48], v[16:17], v[55:56]
	ds_read_b128 v[18:21], v1 offset:1280
	s_waitcnt vmcnt(49)
	v_fma_f64 v[53:54], v[27:28], v[59:60], -v[53:54]
	v_mul_f64 v[43:44], v[14:15], v[55:56]
	v_add_f64 v[31:32], v[31:32], v[41:42]
	v_fma_f64 v[41:42], v[29:30], v[59:60], v[45:46]
	v_add_f64 v[2:3], v[2:3], v[35:36]
	s_clause 0x3
	buffer_load_dword v35, off, s[0:3], 0 offset:432
	buffer_load_dword v36, off, s[0:3], 0 offset:436
	;; [unrolled: 1-line block ×4, first 2 shown]
	s_waitcnt vmcnt(49) lgkmcnt(0)
	v_mul_f64 v[59:60], v[20:21], v[61:62]
	s_waitcnt vmcnt(48)
	v_fma_f64 v[47:48], v[14:15], v[57:58], -v[47:48]
	ds_read_b128 v[27:30], v1 offset:1296
	v_mul_f64 v[55:56], v[18:19], v[61:62]
	v_fma_f64 v[43:44], v[16:17], v[57:58], v[43:44]
	ds_read_b128 v[14:17], v1 offset:1312
	v_add_f64 v[31:32], v[31:32], v[53:54]
	v_add_f64 v[2:3], v[2:3], v[41:42]
	s_waitcnt vmcnt(47) lgkmcnt(1)
	v_mul_f64 v[53:54], v[29:30], v[63:64]
	s_waitcnt vmcnt(45)
	v_fma_f64 v[57:58], v[18:19], v[67:68], -v[59:60]
	v_mul_f64 v[41:42], v[27:28], v[63:64]
	v_add_f64 v[31:32], v[31:32], v[47:48]
	v_fma_f64 v[47:48], v[20:21], v[67:68], v[55:56]
	v_add_f64 v[2:3], v[2:3], v[43:44]
	s_waitcnt vmcnt(41) lgkmcnt(0)
	v_mul_f64 v[55:56], v[16:17], v[73:74]
	s_waitcnt vmcnt(40)
	v_fma_f64 v[53:54], v[27:28], v[65:66], -v[53:54]
	ds_read_b128 v[18:21], v1 offset:1328
	v_mul_f64 v[43:44], v[14:15], v[73:74]
	v_fma_f64 v[41:42], v[29:30], v[65:66], v[41:42]
	ds_read_b128 v[27:30], v1 offset:1344
	v_add_f64 v[31:32], v[31:32], v[57:58]
	v_add_f64 v[2:3], v[2:3], v[47:48]
	s_waitcnt vmcnt(39) lgkmcnt(1)
	v_mul_f64 v[57:58], v[20:21], v[75:76]
	s_waitcnt vmcnt(37)
	v_fma_f64 v[55:56], v[14:15], v[79:80], -v[55:56]
	v_mul_f64 v[47:48], v[18:19], v[75:76]
	v_fma_f64 v[43:44], v[16:17], v[79:80], v[43:44]
	ds_read_b128 v[14:17], v1 offset:1360
	v_add_f64 v[31:32], v[31:32], v[53:54]
	s_waitcnt vmcnt(33) lgkmcnt(1)
	v_mul_f64 v[53:54], v[29:30], v[153:154]
	v_add_f64 v[2:3], v[2:3], v[41:42]
	s_waitcnt vmcnt(32)
	v_fma_f64 v[57:58], v[18:19], v[77:78], -v[57:58]
	v_mul_f64 v[41:42], v[27:28], v[153:154]
	v_fma_f64 v[47:48], v[20:21], v[77:78], v[47:48]
	ds_read_b128 v[18:21], v1 offset:1376
	v_add_f64 v[31:32], v[31:32], v[55:56]
	s_waitcnt vmcnt(31) lgkmcnt(1)
	v_mul_f64 v[55:56], v[16:17], v[155:156]
	v_add_f64 v[2:3], v[2:3], v[43:44]
	;; [unrolled: 9-line block ×5, first 2 shown]
	s_waitcnt vmcnt(16)
	v_fma_f64 v[53:54], v[27:28], v[165:166], -v[53:54]
	v_mul_f64 v[43:44], v[14:15], v[171:172]
	v_fma_f64 v[41:42], v[29:30], v[165:166], v[41:42]
	ds_read_b128 v[27:30], v1 offset:1440
	v_add_f64 v[31:32], v[31:32], v[57:58]
	v_add_f64 v[2:3], v[2:3], v[47:48]
	s_waitcnt vmcnt(15) lgkmcnt(1)
	v_mul_f64 v[57:58], v[20:21], v[173:174]
	v_mul_f64 v[47:48], v[18:19], v[173:174]
	s_waitcnt vmcnt(13)
	v_fma_f64 v[55:56], v[14:15], v[22:23], -v[55:56]
	v_fma_f64 v[22:23], v[16:17], v[22:23], v[43:44]
	ds_read_b128 v[14:17], v1 offset:1456
	v_add_f64 v[31:32], v[31:32], v[53:54]
	v_add_f64 v[2:3], v[2:3], v[41:42]
	s_waitcnt vmcnt(9) lgkmcnt(1)
	v_mul_f64 v[41:42], v[27:28], v[33:34]
	v_mul_f64 v[33:34], v[29:30], v[33:34]
	s_waitcnt vmcnt(8)
	v_fma_f64 v[18:19], v[18:19], v[175:176], -v[57:58]
	v_fma_f64 v[20:21], v[20:21], v[175:176], v[47:48]
	v_add_f64 v[31:32], v[31:32], v[55:56]
	v_add_f64 v[2:3], v[2:3], v[22:23]
	s_waitcnt vmcnt(7) lgkmcnt(0)
	v_mul_f64 v[43:44], v[16:17], v[177:178]
	v_mul_f64 v[22:23], v[14:15], v[177:178]
	s_waitcnt vmcnt(5)
	v_fma_f64 v[27:28], v[27:28], v[9:10], -v[33:34]
	v_fma_f64 v[9:10], v[29:30], v[9:10], v[41:42]
	v_add_f64 v[18:19], v[31:32], v[18:19]
	v_add_f64 v[2:3], v[2:3], v[20:21]
	s_waitcnt vmcnt(4)
	v_fma_f64 v[14:15], v[14:15], v[182:183], -v[43:44]
	v_fma_f64 v[16:17], v[16:17], v[182:183], v[22:23]
	v_add_f64 v[18:19], v[18:19], v[27:28]
	v_add_f64 v[2:3], v[2:3], v[9:10]
	;; [unrolled: 1-line block ×4, first 2 shown]
	s_waitcnt vmcnt(2)
	v_add_f64 v[9:10], v[35:36], -v[9:10]
	s_waitcnt vmcnt(0)
	v_add_f64 v[2:3], v[45:46], -v[2:3]
	buffer_store_dword v10, off, s[0:3], 0 offset:436
	buffer_store_dword v9, off, s[0:3], 0 offset:432
	;; [unrolled: 1-line block ×4, first 2 shown]
	v_cmpx_lt_u32_e32 25, v0
	s_cbranch_execz .LBB45_239
; %bb.238:
	v_mov_b32_e32 v2, s33
	s_clause 0x3
	buffer_load_dword v14, v2, s[0:3], 0 offen
	buffer_load_dword v15, v2, s[0:3], 0 offen offset:4
	buffer_load_dword v16, v2, s[0:3], 0 offen offset:8
	;; [unrolled: 1-line block ×3, first 2 shown]
	buffer_store_dword v1, off, s[0:3], 0 offset:416
	buffer_store_dword v1, off, s[0:3], 0 offset:420
	;; [unrolled: 1-line block ×4, first 2 shown]
	s_waitcnt vmcnt(0)
	ds_write_b128 v11, v[14:17]
.LBB45_239:
	s_or_b32 exec_lo, exec_lo, s4
	s_waitcnt lgkmcnt(0)
	s_waitcnt_vscnt null, 0x0
	s_barrier
	buffer_gl0_inv
	s_clause 0x37
	buffer_load_dword v2, off, s[0:3], 0 offset:440
	buffer_load_dword v3, off, s[0:3], 0 offset:444
	;; [unrolled: 1-line block ×56, first 2 shown]
	ds_read_b128 v[14:17], v1 offset:1152
	s_clause 0x2
	buffer_load_dword v164, off, s[0:3], 0 offset:668
	buffer_load_dword v168, off, s[0:3], 0 offset:644
	;; [unrolled: 1-line block ×3, first 2 shown]
	ds_read_b128 v[18:21], v1 offset:1168
	s_clause 0x4
	buffer_load_dword v172, off, s[0:3], 0 offset:684
	buffer_load_dword v173, off, s[0:3], 0 offset:696
	;; [unrolled: 1-line block ×5, first 2 shown]
	ds_read_b128 v[27:30], v1 offset:1184
	s_mov_b32 s4, exec_lo
	s_waitcnt vmcnt(62) lgkmcnt(2)
	v_mul_f64 v[169:170], v[16:17], v[2:3]
	v_mul_f64 v[2:3], v[14:15], v[2:3]
	s_waitcnt vmcnt(60) lgkmcnt(1)
	v_mul_f64 v[176:177], v[20:21], v[9:10]
	v_mul_f64 v[9:10], v[18:19], v[9:10]
	;; [unrolled: 3-line block ×3, first 2 shown]
	v_fma_f64 v[169:170], v[14:15], v[22:23], -v[169:170]
	v_fma_f64 v[2:3], v[16:17], v[22:23], v[2:3]
	s_clause 0x2
	buffer_load_dword v174, off, s[0:3], 0 offset:700
	buffer_load_dword v23, off, s[0:3], 0 offset:676
	;; [unrolled: 1-line block ×3, first 2 shown]
	s_waitcnt vmcnt(57)
	v_fma_f64 v[180:181], v[18:19], v[33:34], -v[176:177]
	ds_read_b128 v[14:17], v1 offset:1200
	v_fma_f64 v[9:10], v[20:21], v[33:34], v[9:10]
	s_clause 0x4
	buffer_load_dword v34, off, s[0:3], 0 offset:716
	buffer_load_dword v177, off, s[0:3], 0 offset:728
	;; [unrolled: 1-line block ×5, first 2 shown]
	s_waitcnt vmcnt(56)
	v_fma_f64 v[31:32], v[27:28], v[45:46], -v[31:32]
	ds_read_b128 v[18:21], v1 offset:1216
	v_fma_f64 v[45:46], v[29:30], v[45:46], v[178:179]
	v_add_f64 v[169:170], v[169:170], 0
	v_add_f64 v[2:3], v[2:3], 0
	s_waitcnt lgkmcnt(1)
	v_mul_f64 v[183:184], v[14:15], v[35:36]
	v_mul_f64 v[35:36], v[16:17], v[35:36]
	v_add_f64 v[169:170], v[169:170], v[180:181]
	v_add_f64 v[2:3], v[2:3], v[9:10]
	s_clause 0x2
	buffer_load_dword v178, off, s[0:3], 0 offset:732
	buffer_load_dword v10, off, s[0:3], 0 offset:708
	;; [unrolled: 1-line block ×3, first 2 shown]
	s_waitcnt vmcnt(58) lgkmcnt(0)
	v_mul_f64 v[179:180], v[18:19], v[41:42]
	v_mul_f64 v[41:42], v[20:21], v[41:42]
	s_waitcnt vmcnt(56)
	v_fma_f64 v[35:36], v[14:15], v[47:48], -v[35:36]
	ds_read_b128 v[27:30], v1 offset:1232
	v_fma_f64 v[47:48], v[16:17], v[47:48], v[183:184]
	v_add_f64 v[31:32], v[169:170], v[31:32]
	v_add_f64 v[2:3], v[2:3], v[45:46]
	s_clause 0x2
	buffer_load_dword v46, off, s[0:3], 0 offset:748
	buffer_load_dword v45, off, s[0:3], 0 offset:744
	;; [unrolled: 1-line block ×3, first 2 shown]
	ds_read_b128 v[14:17], v1 offset:1248
	s_waitcnt vmcnt(55) lgkmcnt(1)
	v_mul_f64 v[169:170], v[27:28], v[53:54]
	v_mul_f64 v[53:54], v[29:30], v[53:54]
	s_waitcnt vmcnt(54)
	v_fma_f64 v[41:42], v[18:19], v[43:44], -v[41:42]
	v_add_f64 v[31:32], v[31:32], v[35:36]
	v_fma_f64 v[35:36], v[20:21], v[43:44], v[179:180]
	v_add_f64 v[2:3], v[2:3], v[47:48]
	s_clause 0x1
	buffer_load_dword v44, off, s[0:3], 0 offset:740
	buffer_load_dword v43, off, s[0:3], 0 offset:736
	s_waitcnt vmcnt(55) lgkmcnt(0)
	v_mul_f64 v[47:48], v[14:15], v[55:56]
	v_mul_f64 v[55:56], v[16:17], v[55:56]
	s_waitcnt vmcnt(53)
	v_fma_f64 v[53:54], v[27:28], v[59:60], -v[53:54]
	ds_read_b128 v[18:21], v1 offset:1264
	v_add_f64 v[31:32], v[31:32], v[41:42]
	v_fma_f64 v[41:42], v[29:30], v[59:60], v[169:170]
	v_add_f64 v[2:3], v[2:3], v[35:36]
	ds_read_b128 v[27:30], v1 offset:1280
	s_waitcnt vmcnt(48)
	v_fma_f64 v[47:48], v[16:17], v[57:58], v[47:48]
	s_waitcnt lgkmcnt(1)
	v_mul_f64 v[59:60], v[20:21], v[61:62]
	v_fma_f64 v[55:56], v[14:15], v[57:58], -v[55:56]
	v_mul_f64 v[35:36], v[18:19], v[61:62]
	v_add_f64 v[31:32], v[31:32], v[53:54]
	s_waitcnt vmcnt(47) lgkmcnt(0)
	v_mul_f64 v[61:62], v[29:30], v[63:64]
	v_add_f64 v[2:3], v[2:3], v[41:42]
	s_clause 0x3
	buffer_load_dword v41, off, s[0:3], 0 offset:416
	buffer_load_dword v42, off, s[0:3], 0 offset:420
	;; [unrolled: 1-line block ×4, first 2 shown]
	ds_read_b128 v[14:17], v1 offset:1296
	s_waitcnt vmcnt(49)
	v_fma_f64 v[59:60], v[18:19], v[67:68], -v[59:60]
	v_mul_f64 v[57:58], v[27:28], v[63:64]
	v_fma_f64 v[35:36], v[20:21], v[67:68], v[35:36]
	ds_read_b128 v[18:21], v1 offset:1312
	v_add_f64 v[31:32], v[31:32], v[55:56]
	s_waitcnt vmcnt(44)
	v_fma_f64 v[61:62], v[27:28], v[65:66], -v[61:62]
	v_add_f64 v[2:3], v[2:3], v[47:48]
	s_waitcnt lgkmcnt(1)
	v_mul_f64 v[55:56], v[16:17], v[73:74]
	v_mul_f64 v[47:48], v[14:15], v[73:74]
	v_fma_f64 v[57:58], v[29:30], v[65:66], v[57:58]
	ds_read_b128 v[27:30], v1 offset:1328
	v_add_f64 v[31:32], v[31:32], v[59:60]
	s_waitcnt vmcnt(43) lgkmcnt(1)
	v_mul_f64 v[59:60], v[20:21], v[75:76]
	v_add_f64 v[2:3], v[2:3], v[35:36]
	s_waitcnt vmcnt(41)
	v_fma_f64 v[55:56], v[14:15], v[79:80], -v[55:56]
	v_mul_f64 v[35:36], v[18:19], v[75:76]
	v_fma_f64 v[47:48], v[16:17], v[79:80], v[47:48]
	ds_read_b128 v[14:17], v1 offset:1344
	v_add_f64 v[31:32], v[31:32], v[61:62]
	s_waitcnt vmcnt(37) lgkmcnt(1)
	v_mul_f64 v[61:62], v[29:30], v[153:154]
	v_add_f64 v[2:3], v[2:3], v[57:58]
	s_waitcnt vmcnt(36)
	v_fma_f64 v[59:60], v[18:19], v[77:78], -v[59:60]
	;; [unrolled: 9-line block ×6, first 2 shown]
	v_mul_f64 v[47:48], v[14:15], v[171:172]
	v_fma_f64 v[57:58], v[29:30], v[165:166], v[57:58]
	ds_read_b128 v[27:30], v1 offset:1424
	v_add_f64 v[31:32], v[31:32], v[59:60]
	v_add_f64 v[2:3], v[2:3], v[35:36]
	s_waitcnt vmcnt(19) lgkmcnt(1)
	v_mul_f64 v[59:60], v[20:21], v[173:174]
	v_mul_f64 v[35:36], v[18:19], v[173:174]
	s_waitcnt vmcnt(17)
	v_fma_f64 v[55:56], v[14:15], v[22:23], -v[55:56]
	v_fma_f64 v[22:23], v[16:17], v[22:23], v[47:48]
	ds_read_b128 v[14:17], v1 offset:1440
	s_waitcnt vmcnt(13) lgkmcnt(1)
	v_mul_f64 v[47:48], v[27:28], v[33:34]
	v_mul_f64 v[33:34], v[29:30], v[33:34]
	v_add_f64 v[31:32], v[31:32], v[61:62]
	v_add_f64 v[2:3], v[2:3], v[57:58]
	s_waitcnt vmcnt(12)
	v_fma_f64 v[18:19], v[18:19], v[175:176], -v[59:60]
	v_fma_f64 v[20:21], v[20:21], v[175:176], v[35:36]
	v_add_f64 v[31:32], v[31:32], v[55:56]
	v_add_f64 v[22:23], v[2:3], v[22:23]
	ds_read_b128 v[1:4], v1 offset:1456
	s_waitcnt vmcnt(11) lgkmcnt(1)
	v_mul_f64 v[55:56], v[16:17], v[177:178]
	v_mul_f64 v[35:36], v[14:15], v[177:178]
	s_waitcnt vmcnt(9)
	v_fma_f64 v[27:28], v[27:28], v[9:10], -v[33:34]
	v_fma_f64 v[9:10], v[29:30], v[9:10], v[47:48]
	v_add_f64 v[18:19], v[31:32], v[18:19]
	v_add_f64 v[20:21], v[22:23], v[20:21]
	s_waitcnt vmcnt(7) lgkmcnt(0)
	v_mul_f64 v[29:30], v[3:4], v[45:46]
	s_waitcnt vmcnt(6)
	v_fma_f64 v[14:15], v[14:15], v[182:183], -v[55:56]
	v_mul_f64 v[22:23], v[1:2], v[45:46]
	v_fma_f64 v[16:17], v[16:17], v[182:183], v[35:36]
	v_add_f64 v[18:19], v[18:19], v[27:28]
	v_add_f64 v[9:10], v[20:21], v[9:10]
	s_waitcnt vmcnt(4)
	v_fma_f64 v[1:2], v[1:2], v[43:44], -v[29:30]
	v_fma_f64 v[3:4], v[3:4], v[43:44], v[22:23]
	v_add_f64 v[14:15], v[18:19], v[14:15]
	v_add_f64 v[9:10], v[9:10], v[16:17]
	v_add_f64 v[1:2], v[14:15], v[1:2]
	v_add_f64 v[3:4], v[9:10], v[3:4]
	s_waitcnt vmcnt(2)
	v_add_f64 v[1:2], v[41:42], -v[1:2]
	s_waitcnt vmcnt(0)
	v_add_f64 v[3:4], v[53:54], -v[3:4]
	buffer_store_dword v2, off, s[0:3], 0 offset:420
	buffer_store_dword v1, off, s[0:3], 0 offset:416
	;; [unrolled: 1-line block ×4, first 2 shown]
	v_cmpx_lt_u32_e32 24, v0
	s_cbranch_execz .LBB45_241
; %bb.240:
	v_mov_b32_e32 v4, s34
	v_mov_b32_e32 v9, 0
	s_clause 0x3
	buffer_load_dword v1, v4, s[0:3], 0 offen
	buffer_load_dword v2, v4, s[0:3], 0 offen offset:4
	buffer_load_dword v3, v4, s[0:3], 0 offen offset:8
	;; [unrolled: 1-line block ×3, first 2 shown]
	buffer_store_dword v9, off, s[0:3], 0 offset:400
	buffer_store_dword v9, off, s[0:3], 0 offset:404
	;; [unrolled: 1-line block ×4, first 2 shown]
	s_waitcnt vmcnt(0)
	ds_write_b128 v11, v[1:4]
.LBB45_241:
	s_or_b32 exec_lo, exec_lo, s4
	s_waitcnt lgkmcnt(0)
	s_waitcnt_vscnt null, 0x0
	s_barrier
	buffer_gl0_inv
	s_clause 0x37
	buffer_load_dword v2, off, s[0:3], 0 offset:424
	buffer_load_dword v3, off, s[0:3], 0 offset:428
	;; [unrolled: 1-line block ×56, first 2 shown]
	v_mov_b32_e32 v1, 0
	s_mov_b32 s4, exec_lo
	ds_read_b128 v[14:17], v1 offset:1136
	s_clause 0x2
	buffer_load_dword v164, off, s[0:3], 0 offset:652
	buffer_load_dword v168, off, s[0:3], 0 offset:628
	;; [unrolled: 1-line block ×3, first 2 shown]
	ds_read_b128 v[18:21], v1 offset:1152
	s_clause 0x4
	buffer_load_dword v172, off, s[0:3], 0 offset:668
	buffer_load_dword v173, off, s[0:3], 0 offset:680
	;; [unrolled: 1-line block ×5, first 2 shown]
	ds_read_b128 v[27:30], v1 offset:1168
	s_waitcnt vmcnt(62) lgkmcnt(2)
	v_mul_f64 v[169:170], v[16:17], v[2:3]
	v_mul_f64 v[2:3], v[14:15], v[2:3]
	s_waitcnt vmcnt(60) lgkmcnt(1)
	v_mul_f64 v[176:177], v[20:21], v[9:10]
	v_mul_f64 v[9:10], v[18:19], v[9:10]
	;; [unrolled: 3-line block ×3, first 2 shown]
	v_fma_f64 v[169:170], v[14:15], v[22:23], -v[169:170]
	v_fma_f64 v[2:3], v[16:17], v[22:23], v[2:3]
	s_clause 0x2
	buffer_load_dword v174, off, s[0:3], 0 offset:684
	buffer_load_dword v23, off, s[0:3], 0 offset:660
	;; [unrolled: 1-line block ×3, first 2 shown]
	s_waitcnt vmcnt(57)
	v_fma_f64 v[180:181], v[18:19], v[33:34], -v[176:177]
	ds_read_b128 v[14:17], v1 offset:1184
	v_fma_f64 v[9:10], v[20:21], v[33:34], v[9:10]
	s_clause 0x4
	buffer_load_dword v34, off, s[0:3], 0 offset:700
	buffer_load_dword v177, off, s[0:3], 0 offset:712
	;; [unrolled: 1-line block ×5, first 2 shown]
	s_waitcnt vmcnt(56)
	v_fma_f64 v[31:32], v[27:28], v[45:46], -v[31:32]
	ds_read_b128 v[18:21], v1 offset:1200
	v_fma_f64 v[45:46], v[29:30], v[45:46], v[178:179]
	v_add_f64 v[169:170], v[169:170], 0
	v_add_f64 v[2:3], v[2:3], 0
	s_waitcnt lgkmcnt(1)
	v_mul_f64 v[183:184], v[14:15], v[35:36]
	v_mul_f64 v[35:36], v[16:17], v[35:36]
	v_add_f64 v[169:170], v[169:170], v[180:181]
	v_add_f64 v[2:3], v[2:3], v[9:10]
	s_clause 0x2
	buffer_load_dword v178, off, s[0:3], 0 offset:716
	buffer_load_dword v10, off, s[0:3], 0 offset:692
	;; [unrolled: 1-line block ×3, first 2 shown]
	s_waitcnt vmcnt(58) lgkmcnt(0)
	v_mul_f64 v[179:180], v[18:19], v[41:42]
	v_mul_f64 v[41:42], v[20:21], v[41:42]
	s_waitcnt vmcnt(56)
	v_fma_f64 v[35:36], v[14:15], v[47:48], -v[35:36]
	ds_read_b128 v[27:30], v1 offset:1216
	v_fma_f64 v[47:48], v[16:17], v[47:48], v[183:184]
	v_add_f64 v[31:32], v[169:170], v[31:32]
	v_add_f64 v[2:3], v[2:3], v[45:46]
	s_clause 0x4
	buffer_load_dword v46, off, s[0:3], 0 offset:732
	buffer_load_dword v169, off, s[0:3], 0 offset:744
	;; [unrolled: 1-line block ×5, first 2 shown]
	ds_read_b128 v[14:17], v1 offset:1232
	s_waitcnt vmcnt(57) lgkmcnt(1)
	v_mul_f64 v[185:186], v[27:28], v[53:54]
	v_mul_f64 v[53:54], v[29:30], v[53:54]
	s_waitcnt vmcnt(56)
	v_fma_f64 v[41:42], v[18:19], v[43:44], -v[41:42]
	v_add_f64 v[31:32], v[31:32], v[35:36]
	v_fma_f64 v[35:36], v[20:21], v[43:44], v[179:180]
	v_add_f64 v[2:3], v[2:3], v[47:48]
	s_clause 0x2
	buffer_load_dword v170, off, s[0:3], 0 offset:748
	buffer_load_dword v44, off, s[0:3], 0 offset:724
	buffer_load_dword v43, off, s[0:3], 0 offset:720
	s_waitcnt vmcnt(58) lgkmcnt(0)
	v_mul_f64 v[47:48], v[14:15], v[55:56]
	v_mul_f64 v[55:56], v[16:17], v[55:56]
	s_waitcnt vmcnt(56)
	v_fma_f64 v[53:54], v[27:28], v[59:60], -v[53:54]
	ds_read_b128 v[18:21], v1 offset:1248
	v_add_f64 v[31:32], v[31:32], v[41:42]
	v_fma_f64 v[41:42], v[29:30], v[59:60], v[185:186]
	v_add_f64 v[2:3], v[2:3], v[35:36]
	buffer_load_dword v185, off, s[0:3], 0 offset:740
	ds_read_b128 v[27:30], v1 offset:1264
	s_waitcnt vmcnt(53) lgkmcnt(1)
	v_mul_f64 v[59:60], v[20:21], v[61:62]
	s_waitcnt vmcnt(52)
	v_fma_f64 v[55:56], v[14:15], v[57:58], -v[55:56]
	v_mul_f64 v[35:36], v[18:19], v[61:62]
	v_fma_f64 v[47:48], v[16:17], v[57:58], v[47:48]
	ds_read_b128 v[14:17], v1 offset:1280
	v_add_f64 v[31:32], v[31:32], v[53:54]
	v_add_f64 v[2:3], v[2:3], v[41:42]
	s_waitcnt vmcnt(51) lgkmcnt(1)
	v_mul_f64 v[53:54], v[29:30], v[63:64]
	v_mul_f64 v[41:42], v[27:28], v[63:64]
	s_waitcnt vmcnt(49)
	v_fma_f64 v[57:58], v[18:19], v[67:68], -v[59:60]
	v_fma_f64 v[35:36], v[20:21], v[67:68], v[35:36]
	s_waitcnt vmcnt(45) lgkmcnt(0)
	v_mul_f64 v[61:62], v[16:17], v[73:74]
	v_mul_f64 v[59:60], v[14:15], v[73:74]
	v_add_f64 v[31:32], v[31:32], v[55:56]
	v_add_f64 v[2:3], v[2:3], v[47:48]
	s_clause 0x3
	buffer_load_dword v47, off, s[0:3], 0 offset:400
	buffer_load_dword v48, off, s[0:3], 0 offset:404
	;; [unrolled: 1-line block ×4, first 2 shown]
	s_waitcnt vmcnt(48)
	v_fma_f64 v[53:54], v[27:28], v[65:66], -v[53:54]
	ds_read_b128 v[18:21], v1 offset:1296
	v_fma_f64 v[41:42], v[29:30], v[65:66], v[41:42]
	ds_read_b128 v[27:30], v1 offset:1312
	s_waitcnt vmcnt(45)
	v_fma_f64 v[61:62], v[14:15], v[79:80], -v[61:62]
	v_add_f64 v[31:32], v[31:32], v[57:58]
	v_add_f64 v[2:3], v[2:3], v[35:36]
	s_waitcnt lgkmcnt(1)
	v_mul_f64 v[57:58], v[20:21], v[75:76]
	v_mul_f64 v[35:36], v[18:19], v[75:76]
	v_add_f64 v[31:32], v[31:32], v[53:54]
	v_fma_f64 v[53:54], v[16:17], v[79:80], v[59:60]
	v_add_f64 v[2:3], v[2:3], v[41:42]
	s_waitcnt vmcnt(41) lgkmcnt(0)
	v_mul_f64 v[59:60], v[29:30], v[153:154]
	s_waitcnt vmcnt(40)
	v_fma_f64 v[57:58], v[18:19], v[77:78], -v[57:58]
	ds_read_b128 v[14:17], v1 offset:1328
	v_mul_f64 v[41:42], v[27:28], v[153:154]
	v_fma_f64 v[35:36], v[20:21], v[77:78], v[35:36]
	ds_read_b128 v[18:21], v1 offset:1344
	v_add_f64 v[31:32], v[31:32], v[61:62]
	v_add_f64 v[2:3], v[2:3], v[53:54]
	s_waitcnt vmcnt(39) lgkmcnt(1)
	v_mul_f64 v[61:62], v[16:17], v[155:156]
	s_waitcnt vmcnt(37)
	v_fma_f64 v[59:60], v[27:28], v[159:160], -v[59:60]
	v_mul_f64 v[53:54], v[14:15], v[155:156]
	v_fma_f64 v[41:42], v[29:30], v[159:160], v[41:42]
	ds_read_b128 v[27:30], v1 offset:1360
	v_add_f64 v[31:32], v[31:32], v[57:58]
	s_waitcnt vmcnt(33) lgkmcnt(1)
	v_mul_f64 v[57:58], v[20:21], v[161:162]
	v_add_f64 v[2:3], v[2:3], v[35:36]
	s_waitcnt vmcnt(32)
	v_fma_f64 v[61:62], v[14:15], v[157:158], -v[61:62]
	v_mul_f64 v[35:36], v[18:19], v[161:162]
	v_fma_f64 v[53:54], v[16:17], v[157:158], v[53:54]
	ds_read_b128 v[14:17], v1 offset:1376
	v_add_f64 v[31:32], v[31:32], v[59:60]
	s_waitcnt vmcnt(31) lgkmcnt(1)
	v_mul_f64 v[59:60], v[29:30], v[163:164]
	v_add_f64 v[2:3], v[2:3], v[41:42]
	;; [unrolled: 9-line block ×3, first 2 shown]
	s_waitcnt vmcnt(24)
	v_fma_f64 v[59:60], v[27:28], v[165:166], -v[59:60]
	v_mul_f64 v[53:54], v[14:15], v[171:172]
	v_fma_f64 v[41:42], v[29:30], v[165:166], v[41:42]
	ds_read_b128 v[27:30], v1 offset:1408
	v_add_f64 v[31:32], v[31:32], v[57:58]
	v_add_f64 v[2:3], v[2:3], v[35:36]
	s_waitcnt vmcnt(23) lgkmcnt(1)
	v_mul_f64 v[57:58], v[20:21], v[173:174]
	v_mul_f64 v[35:36], v[18:19], v[173:174]
	s_waitcnt vmcnt(21)
	v_fma_f64 v[61:62], v[14:15], v[22:23], -v[61:62]
	v_fma_f64 v[22:23], v[16:17], v[22:23], v[53:54]
	ds_read_b128 v[14:17], v1 offset:1424
	v_add_f64 v[31:32], v[31:32], v[59:60]
	v_add_f64 v[2:3], v[2:3], v[41:42]
	s_waitcnt vmcnt(17) lgkmcnt(1)
	v_mul_f64 v[41:42], v[27:28], v[33:34]
	v_mul_f64 v[33:34], v[29:30], v[33:34]
	s_waitcnt vmcnt(16)
	v_fma_f64 v[53:54], v[18:19], v[175:176], -v[57:58]
	v_fma_f64 v[35:36], v[20:21], v[175:176], v[35:36]
	ds_read_b128 v[18:21], v1 offset:1440
	v_add_f64 v[31:32], v[31:32], v[61:62]
	v_add_f64 v[2:3], v[2:3], v[22:23]
	s_waitcnt vmcnt(15) lgkmcnt(1)
	v_mul_f64 v[57:58], v[16:17], v[177:178]
	v_mul_f64 v[22:23], v[14:15], v[177:178]
	s_waitcnt vmcnt(13)
	v_fma_f64 v[33:34], v[27:28], v[9:10], -v[33:34]
	v_fma_f64 v[9:10], v[29:30], v[9:10], v[41:42]
	ds_read_b128 v[27:30], v1 offset:1456
	v_add_f64 v[31:32], v[31:32], v[53:54]
	v_add_f64 v[2:3], v[2:3], v[35:36]
	s_waitcnt vmcnt(9) lgkmcnt(1)
	v_mul_f64 v[41:42], v[20:21], v[45:46]
	s_waitcnt vmcnt(8)
	v_fma_f64 v[14:15], v[14:15], v[182:183], -v[57:58]
	v_mul_f64 v[35:36], v[18:19], v[45:46]
	v_fma_f64 v[16:17], v[16:17], v[182:183], v[22:23]
	v_add_f64 v[31:32], v[31:32], v[33:34]
	v_add_f64 v[2:3], v[2:3], v[9:10]
	s_waitcnt vmcnt(7) lgkmcnt(0)
	v_mul_f64 v[22:23], v[29:30], v[169:170]
	v_mul_f64 v[9:10], v[27:28], v[169:170]
	s_waitcnt vmcnt(5)
	v_fma_f64 v[18:19], v[18:19], v[43:44], -v[41:42]
	v_fma_f64 v[20:21], v[20:21], v[43:44], v[35:36]
	v_add_f64 v[14:15], v[31:32], v[14:15]
	v_add_f64 v[2:3], v[2:3], v[16:17]
	s_waitcnt vmcnt(4)
	v_fma_f64 v[16:17], v[27:28], v[184:185], -v[22:23]
	v_fma_f64 v[9:10], v[29:30], v[184:185], v[9:10]
	v_add_f64 v[14:15], v[14:15], v[18:19]
	v_add_f64 v[2:3], v[2:3], v[20:21]
	;; [unrolled: 1-line block ×4, first 2 shown]
	s_waitcnt vmcnt(2)
	v_add_f64 v[9:10], v[47:48], -v[14:15]
	s_waitcnt vmcnt(0)
	v_add_f64 v[2:3], v[55:56], -v[2:3]
	buffer_store_dword v10, off, s[0:3], 0 offset:404
	buffer_store_dword v9, off, s[0:3], 0 offset:400
	;; [unrolled: 1-line block ×4, first 2 shown]
	v_cmpx_lt_u32_e32 23, v0
	s_cbranch_execz .LBB45_243
; %bb.242:
	v_mov_b32_e32 v2, s35
	s_clause 0x3
	buffer_load_dword v14, v2, s[0:3], 0 offen
	buffer_load_dword v15, v2, s[0:3], 0 offen offset:4
	buffer_load_dword v16, v2, s[0:3], 0 offen offset:8
	;; [unrolled: 1-line block ×3, first 2 shown]
	buffer_store_dword v1, off, s[0:3], 0 offset:384
	buffer_store_dword v1, off, s[0:3], 0 offset:388
	;; [unrolled: 1-line block ×4, first 2 shown]
	s_waitcnt vmcnt(0)
	ds_write_b128 v11, v[14:17]
.LBB45_243:
	s_or_b32 exec_lo, exec_lo, s4
	s_waitcnt lgkmcnt(0)
	s_waitcnt_vscnt null, 0x0
	s_barrier
	buffer_gl0_inv
	s_clause 0x37
	buffer_load_dword v2, off, s[0:3], 0 offset:408
	buffer_load_dword v3, off, s[0:3], 0 offset:412
	;; [unrolled: 1-line block ×56, first 2 shown]
	ds_read_b128 v[14:17], v1 offset:1120
	s_clause 0x2
	buffer_load_dword v164, off, s[0:3], 0 offset:636
	buffer_load_dword v168, off, s[0:3], 0 offset:612
	buffer_load_dword v167, off, s[0:3], 0 offset:608
	ds_read_b128 v[18:21], v1 offset:1136
	s_clause 0x4
	buffer_load_dword v172, off, s[0:3], 0 offset:652
	buffer_load_dword v173, off, s[0:3], 0 offset:664
	;; [unrolled: 1-line block ×5, first 2 shown]
	ds_read_b128 v[27:30], v1 offset:1152
	s_mov_b32 s4, exec_lo
	s_waitcnt vmcnt(62) lgkmcnt(2)
	v_mul_f64 v[169:170], v[16:17], v[2:3]
	v_mul_f64 v[2:3], v[14:15], v[2:3]
	s_waitcnt vmcnt(60) lgkmcnt(1)
	v_mul_f64 v[176:177], v[20:21], v[9:10]
	v_mul_f64 v[9:10], v[18:19], v[9:10]
	;; [unrolled: 3-line block ×3, first 2 shown]
	v_fma_f64 v[169:170], v[14:15], v[22:23], -v[169:170]
	v_fma_f64 v[2:3], v[16:17], v[22:23], v[2:3]
	s_clause 0x2
	buffer_load_dword v174, off, s[0:3], 0 offset:668
	buffer_load_dword v23, off, s[0:3], 0 offset:644
	buffer_load_dword v22, off, s[0:3], 0 offset:640
	s_waitcnt vmcnt(57)
	v_fma_f64 v[180:181], v[18:19], v[33:34], -v[176:177]
	ds_read_b128 v[14:17], v1 offset:1168
	v_fma_f64 v[9:10], v[20:21], v[33:34], v[9:10]
	s_clause 0x4
	buffer_load_dword v34, off, s[0:3], 0 offset:684
	buffer_load_dword v177, off, s[0:3], 0 offset:696
	;; [unrolled: 1-line block ×5, first 2 shown]
	s_waitcnt vmcnt(56)
	v_fma_f64 v[31:32], v[27:28], v[45:46], -v[31:32]
	ds_read_b128 v[18:21], v1 offset:1184
	v_fma_f64 v[45:46], v[29:30], v[45:46], v[178:179]
	v_add_f64 v[169:170], v[169:170], 0
	v_add_f64 v[2:3], v[2:3], 0
	s_waitcnt lgkmcnt(1)
	v_mul_f64 v[183:184], v[14:15], v[35:36]
	v_mul_f64 v[35:36], v[16:17], v[35:36]
	v_add_f64 v[169:170], v[169:170], v[180:181]
	v_add_f64 v[2:3], v[2:3], v[9:10]
	s_clause 0x2
	buffer_load_dword v178, off, s[0:3], 0 offset:700
	buffer_load_dword v10, off, s[0:3], 0 offset:676
	;; [unrolled: 1-line block ×3, first 2 shown]
	s_waitcnt vmcnt(58) lgkmcnt(0)
	v_mul_f64 v[179:180], v[18:19], v[41:42]
	v_mul_f64 v[41:42], v[20:21], v[41:42]
	s_waitcnt vmcnt(56)
	v_fma_f64 v[35:36], v[14:15], v[47:48], -v[35:36]
	ds_read_b128 v[27:30], v1 offset:1200
	v_fma_f64 v[47:48], v[16:17], v[47:48], v[183:184]
	v_add_f64 v[31:32], v[169:170], v[31:32]
	v_add_f64 v[2:3], v[2:3], v[45:46]
	s_clause 0x4
	buffer_load_dword v46, off, s[0:3], 0 offset:716
	buffer_load_dword v169, off, s[0:3], 0 offset:728
	;; [unrolled: 1-line block ×5, first 2 shown]
	ds_read_b128 v[14:17], v1 offset:1216
	s_waitcnt vmcnt(57) lgkmcnt(1)
	v_mul_f64 v[185:186], v[27:28], v[53:54]
	v_mul_f64 v[53:54], v[29:30], v[53:54]
	s_waitcnt vmcnt(56)
	v_fma_f64 v[41:42], v[18:19], v[43:44], -v[41:42]
	v_add_f64 v[31:32], v[31:32], v[35:36]
	v_fma_f64 v[35:36], v[20:21], v[43:44], v[179:180]
	v_add_f64 v[2:3], v[2:3], v[47:48]
	s_clause 0x2
	buffer_load_dword v170, off, s[0:3], 0 offset:732
	buffer_load_dword v44, off, s[0:3], 0 offset:708
	;; [unrolled: 1-line block ×3, first 2 shown]
	s_waitcnt vmcnt(58) lgkmcnt(0)
	v_mul_f64 v[47:48], v[14:15], v[55:56]
	v_mul_f64 v[55:56], v[16:17], v[55:56]
	s_waitcnt vmcnt(56)
	v_fma_f64 v[53:54], v[27:28], v[59:60], -v[53:54]
	ds_read_b128 v[18:21], v1 offset:1232
	v_add_f64 v[31:32], v[31:32], v[41:42]
	v_fma_f64 v[41:42], v[29:30], v[59:60], v[185:186]
	v_add_f64 v[2:3], v[2:3], v[35:36]
	s_clause 0x2
	buffer_load_dword v36, off, s[0:3], 0 offset:748
	buffer_load_dword v35, off, s[0:3], 0 offset:744
	;; [unrolled: 1-line block ×3, first 2 shown]
	ds_read_b128 v[27:30], v1 offset:1248
	s_waitcnt vmcnt(55) lgkmcnt(1)
	v_mul_f64 v[59:60], v[18:19], v[61:62]
	v_mul_f64 v[61:62], v[20:21], v[61:62]
	s_waitcnt vmcnt(54)
	v_fma_f64 v[55:56], v[14:15], v[57:58], -v[55:56]
	v_fma_f64 v[47:48], v[16:17], v[57:58], v[47:48]
	v_add_f64 v[31:32], v[31:32], v[53:54]
	v_add_f64 v[2:3], v[2:3], v[41:42]
	s_clause 0x1
	buffer_load_dword v42, off, s[0:3], 0 offset:740
	buffer_load_dword v41, off, s[0:3], 0 offset:736
	s_waitcnt vmcnt(55) lgkmcnt(0)
	v_mul_f64 v[57:58], v[29:30], v[63:64]
	ds_read_b128 v[14:17], v1 offset:1264
	s_waitcnt vmcnt(53)
	v_fma_f64 v[61:62], v[18:19], v[67:68], -v[61:62]
	v_mul_f64 v[53:54], v[27:28], v[63:64]
	v_add_f64 v[31:32], v[31:32], v[55:56]
	v_fma_f64 v[55:56], v[20:21], v[67:68], v[59:60]
	v_add_f64 v[2:3], v[2:3], v[47:48]
	ds_read_b128 v[18:21], v1 offset:1280
	s_waitcnt vmcnt(49) lgkmcnt(1)
	v_mul_f64 v[59:60], v[16:17], v[73:74]
	s_waitcnt vmcnt(48)
	v_fma_f64 v[57:58], v[27:28], v[65:66], -v[57:58]
	v_mul_f64 v[47:48], v[14:15], v[73:74]
	v_fma_f64 v[53:54], v[29:30], v[65:66], v[53:54]
	v_add_f64 v[31:32], v[31:32], v[61:62]
	s_waitcnt vmcnt(47) lgkmcnt(0)
	v_mul_f64 v[65:66], v[20:21], v[75:76]
	v_add_f64 v[2:3], v[2:3], v[55:56]
	s_clause 0x3
	buffer_load_dword v55, off, s[0:3], 0 offset:384
	buffer_load_dword v56, off, s[0:3], 0 offset:388
	;; [unrolled: 1-line block ×4, first 2 shown]
	s_waitcnt vmcnt(49)
	v_fma_f64 v[59:60], v[14:15], v[79:80], -v[59:60]
	ds_read_b128 v[27:30], v1 offset:1296
	v_mul_f64 v[63:64], v[18:19], v[75:76]
	v_fma_f64 v[47:48], v[16:17], v[79:80], v[47:48]
	ds_read_b128 v[14:17], v1 offset:1312
	v_add_f64 v[31:32], v[31:32], v[57:58]
	s_waitcnt vmcnt(44)
	v_fma_f64 v[65:66], v[18:19], v[77:78], -v[65:66]
	v_add_f64 v[2:3], v[2:3], v[53:54]
	s_waitcnt lgkmcnt(1)
	v_mul_f64 v[57:58], v[29:30], v[153:154]
	v_mul_f64 v[53:54], v[27:28], v[153:154]
	v_add_f64 v[31:32], v[31:32], v[59:60]
	v_fma_f64 v[59:60], v[20:21], v[77:78], v[63:64]
	v_add_f64 v[2:3], v[2:3], v[47:48]
	s_waitcnt vmcnt(43) lgkmcnt(0)
	v_mul_f64 v[63:64], v[16:17], v[155:156]
	s_waitcnt vmcnt(41)
	v_fma_f64 v[57:58], v[27:28], v[159:160], -v[57:58]
	ds_read_b128 v[18:21], v1 offset:1328
	v_mul_f64 v[47:48], v[14:15], v[155:156]
	v_fma_f64 v[53:54], v[29:30], v[159:160], v[53:54]
	ds_read_b128 v[27:30], v1 offset:1344
	v_add_f64 v[31:32], v[31:32], v[65:66]
	v_add_f64 v[2:3], v[2:3], v[59:60]
	s_waitcnt vmcnt(37) lgkmcnt(1)
	v_mul_f64 v[65:66], v[20:21], v[161:162]
	s_waitcnt vmcnt(36)
	v_fma_f64 v[63:64], v[14:15], v[157:158], -v[63:64]
	v_mul_f64 v[59:60], v[18:19], v[161:162]
	v_fma_f64 v[47:48], v[16:17], v[157:158], v[47:48]
	ds_read_b128 v[14:17], v1 offset:1360
	v_add_f64 v[31:32], v[31:32], v[57:58]
	s_waitcnt vmcnt(35) lgkmcnt(1)
	v_mul_f64 v[57:58], v[29:30], v[163:164]
	v_add_f64 v[2:3], v[2:3], v[53:54]
	s_waitcnt vmcnt(33)
	v_fma_f64 v[65:66], v[18:19], v[167:168], -v[65:66]
	v_mul_f64 v[53:54], v[27:28], v[163:164]
	v_fma_f64 v[59:60], v[20:21], v[167:168], v[59:60]
	ds_read_b128 v[18:21], v1 offset:1376
	v_add_f64 v[31:32], v[31:32], v[63:64]
	s_waitcnt vmcnt(29) lgkmcnt(1)
	v_mul_f64 v[63:64], v[16:17], v[171:172]
	v_add_f64 v[2:3], v[2:3], v[47:48]
	s_waitcnt vmcnt(28)
	v_fma_f64 v[57:58], v[27:28], v[165:166], -v[57:58]
	v_mul_f64 v[47:48], v[14:15], v[171:172]
	v_fma_f64 v[53:54], v[29:30], v[165:166], v[53:54]
	ds_read_b128 v[27:30], v1 offset:1392
	v_add_f64 v[31:32], v[31:32], v[65:66]
	v_add_f64 v[2:3], v[2:3], v[59:60]
	s_waitcnt vmcnt(27) lgkmcnt(1)
	v_mul_f64 v[65:66], v[20:21], v[173:174]
	v_mul_f64 v[59:60], v[18:19], v[173:174]
	s_waitcnt vmcnt(25)
	v_fma_f64 v[63:64], v[14:15], v[22:23], -v[63:64]
	v_fma_f64 v[22:23], v[16:17], v[22:23], v[47:48]
	ds_read_b128 v[14:17], v1 offset:1408
	s_waitcnt vmcnt(21) lgkmcnt(1)
	v_mul_f64 v[47:48], v[27:28], v[33:34]
	v_mul_f64 v[33:34], v[29:30], v[33:34]
	v_add_f64 v[31:32], v[31:32], v[57:58]
	v_add_f64 v[2:3], v[2:3], v[53:54]
	s_waitcnt vmcnt(20)
	v_fma_f64 v[53:54], v[18:19], v[175:176], -v[65:66]
	v_fma_f64 v[57:58], v[20:21], v[175:176], v[59:60]
	ds_read_b128 v[18:21], v1 offset:1424
	v_add_f64 v[31:32], v[31:32], v[63:64]
	v_add_f64 v[2:3], v[2:3], v[22:23]
	s_waitcnt vmcnt(19) lgkmcnt(1)
	v_mul_f64 v[59:60], v[16:17], v[177:178]
	v_mul_f64 v[22:23], v[14:15], v[177:178]
	s_waitcnt vmcnt(17)
	v_fma_f64 v[33:34], v[27:28], v[9:10], -v[33:34]
	v_fma_f64 v[9:10], v[29:30], v[9:10], v[47:48]
	ds_read_b128 v[27:30], v1 offset:1440
	v_add_f64 v[31:32], v[31:32], v[53:54]
	v_add_f64 v[2:3], v[2:3], v[57:58]
	s_waitcnt vmcnt(13) lgkmcnt(1)
	v_mul_f64 v[47:48], v[18:19], v[45:46]
	v_mul_f64 v[45:46], v[20:21], v[45:46]
	s_waitcnt vmcnt(12)
	v_fma_f64 v[14:15], v[14:15], v[182:183], -v[59:60]
	v_fma_f64 v[16:17], v[16:17], v[182:183], v[22:23]
	v_add_f64 v[31:32], v[31:32], v[33:34]
	v_add_f64 v[9:10], v[2:3], v[9:10]
	ds_read_b128 v[1:4], v1 offset:1456
	s_waitcnt vmcnt(11) lgkmcnt(1)
	v_mul_f64 v[33:34], v[29:30], v[169:170]
	v_mul_f64 v[22:23], v[27:28], v[169:170]
	s_waitcnt vmcnt(9)
	v_fma_f64 v[18:19], v[18:19], v[43:44], -v[45:46]
	v_fma_f64 v[20:21], v[20:21], v[43:44], v[47:48]
	v_add_f64 v[14:15], v[31:32], v[14:15]
	v_add_f64 v[9:10], v[9:10], v[16:17]
	s_waitcnt vmcnt(7) lgkmcnt(0)
	v_mul_f64 v[31:32], v[3:4], v[35:36]
	s_waitcnt vmcnt(6)
	v_fma_f64 v[27:28], v[27:28], v[184:185], -v[33:34]
	v_mul_f64 v[16:17], v[1:2], v[35:36]
	v_add_f64 v[14:15], v[14:15], v[18:19]
	v_fma_f64 v[18:19], v[29:30], v[184:185], v[22:23]
	v_add_f64 v[9:10], v[9:10], v[20:21]
	s_waitcnt vmcnt(4)
	v_fma_f64 v[1:2], v[1:2], v[41:42], -v[31:32]
	v_fma_f64 v[3:4], v[3:4], v[41:42], v[16:17]
	v_add_f64 v[14:15], v[14:15], v[27:28]
	v_add_f64 v[9:10], v[9:10], v[18:19]
	;; [unrolled: 1-line block ×4, first 2 shown]
	s_waitcnt vmcnt(2)
	v_add_f64 v[1:2], v[55:56], -v[1:2]
	s_waitcnt vmcnt(0)
	v_add_f64 v[3:4], v[61:62], -v[3:4]
	buffer_store_dword v2, off, s[0:3], 0 offset:388
	buffer_store_dword v1, off, s[0:3], 0 offset:384
	;; [unrolled: 1-line block ×4, first 2 shown]
	v_cmpx_lt_u32_e32 22, v0
	s_cbranch_execz .LBB45_245
; %bb.244:
	v_mov_b32_e32 v4, s36
	v_mov_b32_e32 v9, 0
	s_clause 0x3
	buffer_load_dword v1, v4, s[0:3], 0 offen
	buffer_load_dword v2, v4, s[0:3], 0 offen offset:4
	buffer_load_dword v3, v4, s[0:3], 0 offen offset:8
	;; [unrolled: 1-line block ×3, first 2 shown]
	buffer_store_dword v9, off, s[0:3], 0 offset:368
	buffer_store_dword v9, off, s[0:3], 0 offset:372
	;; [unrolled: 1-line block ×4, first 2 shown]
	s_waitcnt vmcnt(0)
	ds_write_b128 v11, v[1:4]
.LBB45_245:
	s_or_b32 exec_lo, exec_lo, s4
	s_waitcnt lgkmcnt(0)
	s_waitcnt_vscnt null, 0x0
	s_barrier
	buffer_gl0_inv
	s_clause 0x37
	buffer_load_dword v2, off, s[0:3], 0 offset:392
	buffer_load_dword v3, off, s[0:3], 0 offset:396
	;; [unrolled: 1-line block ×56, first 2 shown]
	v_mov_b32_e32 v1, 0
	s_mov_b32 s4, exec_lo
	ds_read_b128 v[14:17], v1 offset:1104
	s_clause 0x2
	buffer_load_dword v164, off, s[0:3], 0 offset:620
	buffer_load_dword v168, off, s[0:3], 0 offset:596
	;; [unrolled: 1-line block ×3, first 2 shown]
	ds_read_b128 v[18:21], v1 offset:1120
	s_clause 0x4
	buffer_load_dword v172, off, s[0:3], 0 offset:636
	buffer_load_dword v173, off, s[0:3], 0 offset:648
	;; [unrolled: 1-line block ×5, first 2 shown]
	ds_read_b128 v[27:30], v1 offset:1136
	s_waitcnt vmcnt(62) lgkmcnt(2)
	v_mul_f64 v[169:170], v[16:17], v[2:3]
	v_mul_f64 v[2:3], v[14:15], v[2:3]
	s_waitcnt vmcnt(60) lgkmcnt(1)
	v_mul_f64 v[176:177], v[20:21], v[9:10]
	v_mul_f64 v[9:10], v[18:19], v[9:10]
	;; [unrolled: 3-line block ×3, first 2 shown]
	v_fma_f64 v[169:170], v[14:15], v[22:23], -v[169:170]
	v_fma_f64 v[2:3], v[16:17], v[22:23], v[2:3]
	s_clause 0x2
	buffer_load_dword v174, off, s[0:3], 0 offset:652
	buffer_load_dword v23, off, s[0:3], 0 offset:628
	;; [unrolled: 1-line block ×3, first 2 shown]
	s_waitcnt vmcnt(57)
	v_fma_f64 v[180:181], v[18:19], v[33:34], -v[176:177]
	ds_read_b128 v[14:17], v1 offset:1152
	v_fma_f64 v[9:10], v[20:21], v[33:34], v[9:10]
	s_clause 0x4
	buffer_load_dword v34, off, s[0:3], 0 offset:668
	buffer_load_dword v177, off, s[0:3], 0 offset:680
	;; [unrolled: 1-line block ×5, first 2 shown]
	s_waitcnt vmcnt(56)
	v_fma_f64 v[31:32], v[27:28], v[45:46], -v[31:32]
	ds_read_b128 v[18:21], v1 offset:1168
	v_fma_f64 v[45:46], v[29:30], v[45:46], v[178:179]
	v_add_f64 v[169:170], v[169:170], 0
	v_add_f64 v[2:3], v[2:3], 0
	s_waitcnt lgkmcnt(1)
	v_mul_f64 v[183:184], v[14:15], v[35:36]
	v_mul_f64 v[35:36], v[16:17], v[35:36]
	v_add_f64 v[169:170], v[169:170], v[180:181]
	v_add_f64 v[2:3], v[2:3], v[9:10]
	s_clause 0x2
	buffer_load_dword v178, off, s[0:3], 0 offset:684
	buffer_load_dword v10, off, s[0:3], 0 offset:660
	;; [unrolled: 1-line block ×3, first 2 shown]
	s_waitcnt vmcnt(58) lgkmcnt(0)
	v_mul_f64 v[179:180], v[18:19], v[41:42]
	v_mul_f64 v[41:42], v[20:21], v[41:42]
	s_waitcnt vmcnt(56)
	v_fma_f64 v[35:36], v[14:15], v[47:48], -v[35:36]
	ds_read_b128 v[27:30], v1 offset:1184
	v_fma_f64 v[47:48], v[16:17], v[47:48], v[183:184]
	v_add_f64 v[31:32], v[169:170], v[31:32]
	v_add_f64 v[2:3], v[2:3], v[45:46]
	s_clause 0x4
	buffer_load_dword v46, off, s[0:3], 0 offset:700
	buffer_load_dword v169, off, s[0:3], 0 offset:712
	buffer_load_dword v184, off, s[0:3], 0 offset:704
	buffer_load_dword v45, off, s[0:3], 0 offset:696
	buffer_load_dword v183, off, s[0:3], 0 offset:676
	ds_read_b128 v[14:17], v1 offset:1200
	s_waitcnt vmcnt(57) lgkmcnt(1)
	v_mul_f64 v[185:186], v[27:28], v[53:54]
	v_mul_f64 v[53:54], v[29:30], v[53:54]
	s_waitcnt vmcnt(56)
	v_fma_f64 v[41:42], v[18:19], v[43:44], -v[41:42]
	v_add_f64 v[31:32], v[31:32], v[35:36]
	v_fma_f64 v[35:36], v[20:21], v[43:44], v[179:180]
	v_add_f64 v[2:3], v[2:3], v[47:48]
	s_clause 0x2
	buffer_load_dword v170, off, s[0:3], 0 offset:716
	buffer_load_dword v44, off, s[0:3], 0 offset:692
	;; [unrolled: 1-line block ×3, first 2 shown]
	s_waitcnt vmcnt(58) lgkmcnt(0)
	v_mul_f64 v[47:48], v[14:15], v[55:56]
	v_mul_f64 v[55:56], v[16:17], v[55:56]
	s_waitcnt vmcnt(56)
	v_fma_f64 v[53:54], v[27:28], v[59:60], -v[53:54]
	ds_read_b128 v[18:21], v1 offset:1216
	v_add_f64 v[31:32], v[31:32], v[41:42]
	v_fma_f64 v[41:42], v[29:30], v[59:60], v[185:186]
	v_add_f64 v[2:3], v[2:3], v[35:36]
	s_clause 0x4
	buffer_load_dword v36, off, s[0:3], 0 offset:732
	buffer_load_dword v59, off, s[0:3], 0 offset:744
	;; [unrolled: 1-line block ×5, first 2 shown]
	ds_read_b128 v[27:30], v1 offset:1232
	s_waitcnt vmcnt(57) lgkmcnt(1)
	v_mul_f64 v[180:181], v[18:19], v[61:62]
	v_mul_f64 v[61:62], v[20:21], v[61:62]
	s_waitcnt vmcnt(56)
	v_fma_f64 v[55:56], v[14:15], v[57:58], -v[55:56]
	v_fma_f64 v[47:48], v[16:17], v[57:58], v[47:48]
	v_add_f64 v[31:32], v[31:32], v[53:54]
	v_add_f64 v[2:3], v[2:3], v[41:42]
	s_clause 0x2
	buffer_load_dword v60, off, s[0:3], 0 offset:748
	buffer_load_dword v42, off, s[0:3], 0 offset:724
	;; [unrolled: 1-line block ×3, first 2 shown]
	s_waitcnt vmcnt(58) lgkmcnt(0)
	v_mul_f64 v[57:58], v[29:30], v[63:64]
	ds_read_b128 v[14:17], v1 offset:1248
	s_waitcnt vmcnt(56)
	v_fma_f64 v[61:62], v[18:19], v[67:68], -v[61:62]
	v_mul_f64 v[53:54], v[27:28], v[63:64]
	v_add_f64 v[31:32], v[31:32], v[55:56]
	v_fma_f64 v[55:56], v[20:21], v[67:68], v[180:181]
	v_add_f64 v[2:3], v[2:3], v[47:48]
	buffer_load_dword v180, off, s[0:3], 0 offset:740
	ds_read_b128 v[18:21], v1 offset:1264
	s_waitcnt vmcnt(53) lgkmcnt(1)
	v_mul_f64 v[63:64], v[16:17], v[73:74]
	s_waitcnt vmcnt(52)
	v_fma_f64 v[57:58], v[27:28], v[65:66], -v[57:58]
	v_mul_f64 v[47:48], v[14:15], v[73:74]
	v_fma_f64 v[53:54], v[29:30], v[65:66], v[53:54]
	ds_read_b128 v[27:30], v1 offset:1280
	v_add_f64 v[31:32], v[31:32], v[61:62]
	v_add_f64 v[2:3], v[2:3], v[55:56]
	s_waitcnt vmcnt(51) lgkmcnt(1)
	v_mul_f64 v[61:62], v[20:21], v[75:76]
	v_mul_f64 v[55:56], v[18:19], v[75:76]
	s_waitcnt vmcnt(49)
	v_fma_f64 v[63:64], v[14:15], v[79:80], -v[63:64]
	v_fma_f64 v[47:48], v[16:17], v[79:80], v[47:48]
	s_waitcnt vmcnt(45) lgkmcnt(0)
	v_mul_f64 v[67:68], v[29:30], v[153:154]
	v_mul_f64 v[65:66], v[27:28], v[153:154]
	v_add_f64 v[31:32], v[31:32], v[57:58]
	v_add_f64 v[2:3], v[2:3], v[53:54]
	s_clause 0x3
	buffer_load_dword v53, off, s[0:3], 0 offset:368
	buffer_load_dword v54, off, s[0:3], 0 offset:372
	;; [unrolled: 1-line block ×4, first 2 shown]
	s_waitcnt vmcnt(48)
	v_fma_f64 v[61:62], v[18:19], v[77:78], -v[61:62]
	ds_read_b128 v[14:17], v1 offset:1296
	v_fma_f64 v[55:56], v[20:21], v[77:78], v[55:56]
	ds_read_b128 v[18:21], v1 offset:1312
	s_waitcnt vmcnt(45)
	v_fma_f64 v[67:68], v[27:28], v[159:160], -v[67:68]
	v_add_f64 v[31:32], v[31:32], v[63:64]
	v_add_f64 v[2:3], v[2:3], v[47:48]
	s_waitcnt lgkmcnt(1)
	v_mul_f64 v[63:64], v[16:17], v[155:156]
	v_mul_f64 v[47:48], v[14:15], v[155:156]
	v_add_f64 v[31:32], v[31:32], v[61:62]
	v_fma_f64 v[61:62], v[29:30], v[159:160], v[65:66]
	v_add_f64 v[2:3], v[2:3], v[55:56]
	s_waitcnt vmcnt(41) lgkmcnt(0)
	v_mul_f64 v[65:66], v[20:21], v[161:162]
	s_waitcnt vmcnt(40)
	v_fma_f64 v[63:64], v[14:15], v[157:158], -v[63:64]
	ds_read_b128 v[27:30], v1 offset:1328
	v_mul_f64 v[55:56], v[18:19], v[161:162]
	v_fma_f64 v[47:48], v[16:17], v[157:158], v[47:48]
	ds_read_b128 v[14:17], v1 offset:1344
	v_add_f64 v[31:32], v[31:32], v[67:68]
	v_add_f64 v[2:3], v[2:3], v[61:62]
	s_waitcnt vmcnt(39) lgkmcnt(1)
	v_mul_f64 v[67:68], v[29:30], v[163:164]
	s_waitcnt vmcnt(37)
	v_fma_f64 v[65:66], v[18:19], v[167:168], -v[65:66]
	v_mul_f64 v[61:62], v[27:28], v[163:164]
	v_fma_f64 v[55:56], v[20:21], v[167:168], v[55:56]
	ds_read_b128 v[18:21], v1 offset:1360
	v_add_f64 v[31:32], v[31:32], v[63:64]
	s_waitcnt vmcnt(33) lgkmcnt(1)
	v_mul_f64 v[63:64], v[16:17], v[171:172]
	v_add_f64 v[2:3], v[2:3], v[47:48]
	s_waitcnt vmcnt(32)
	v_fma_f64 v[67:68], v[27:28], v[165:166], -v[67:68]
	v_mul_f64 v[47:48], v[14:15], v[171:172]
	v_fma_f64 v[61:62], v[29:30], v[165:166], v[61:62]
	ds_read_b128 v[27:30], v1 offset:1376
	v_add_f64 v[31:32], v[31:32], v[65:66]
	v_add_f64 v[2:3], v[2:3], v[55:56]
	s_waitcnt vmcnt(31) lgkmcnt(1)
	v_mul_f64 v[65:66], v[20:21], v[173:174]
	v_mul_f64 v[55:56], v[18:19], v[173:174]
	s_waitcnt vmcnt(29)
	v_fma_f64 v[63:64], v[14:15], v[22:23], -v[63:64]
	v_fma_f64 v[22:23], v[16:17], v[22:23], v[47:48]
	ds_read_b128 v[14:17], v1 offset:1392
	s_waitcnt vmcnt(25) lgkmcnt(1)
	v_mul_f64 v[47:48], v[27:28], v[33:34]
	v_mul_f64 v[33:34], v[29:30], v[33:34]
	v_add_f64 v[31:32], v[31:32], v[67:68]
	v_add_f64 v[2:3], v[2:3], v[61:62]
	s_waitcnt vmcnt(24)
	v_fma_f64 v[61:62], v[18:19], v[175:176], -v[65:66]
	v_fma_f64 v[55:56], v[20:21], v[175:176], v[55:56]
	ds_read_b128 v[18:21], v1 offset:1408
	v_add_f64 v[31:32], v[31:32], v[63:64]
	v_add_f64 v[2:3], v[2:3], v[22:23]
	s_waitcnt vmcnt(23) lgkmcnt(1)
	v_mul_f64 v[63:64], v[16:17], v[177:178]
	v_mul_f64 v[22:23], v[14:15], v[177:178]
	s_waitcnt vmcnt(21)
	v_fma_f64 v[33:34], v[27:28], v[9:10], -v[33:34]
	v_fma_f64 v[9:10], v[29:30], v[9:10], v[47:48]
	ds_read_b128 v[27:30], v1 offset:1424
	v_add_f64 v[31:32], v[31:32], v[61:62]
	v_add_f64 v[2:3], v[2:3], v[55:56]
	s_waitcnt vmcnt(17) lgkmcnt(1)
	v_mul_f64 v[47:48], v[18:19], v[45:46]
	v_mul_f64 v[45:46], v[20:21], v[45:46]
	;; [unrolled: 9-line block ×4, first 2 shown]
	s_waitcnt vmcnt(8)
	v_fma_f64 v[27:28], v[27:28], v[184:185], -v[33:34]
	v_fma_f64 v[9:10], v[29:30], v[184:185], v[9:10]
	v_add_f64 v[31:32], v[31:32], v[45:46]
	v_add_f64 v[2:3], v[2:3], v[43:44]
	s_waitcnt vmcnt(7) lgkmcnt(0)
	v_mul_f64 v[33:34], v[20:21], v[59:60]
	v_mul_f64 v[29:30], v[18:19], v[59:60]
	s_waitcnt vmcnt(5)
	v_fma_f64 v[14:15], v[14:15], v[41:42], -v[35:36]
	v_fma_f64 v[16:17], v[16:17], v[41:42], v[22:23]
	v_add_f64 v[27:28], v[31:32], v[27:28]
	v_add_f64 v[2:3], v[2:3], v[9:10]
	s_waitcnt vmcnt(4)
	v_fma_f64 v[9:10], v[18:19], v[179:180], -v[33:34]
	v_fma_f64 v[18:19], v[20:21], v[179:180], v[29:30]
	v_add_f64 v[14:15], v[27:28], v[14:15]
	v_add_f64 v[2:3], v[2:3], v[16:17]
	;; [unrolled: 1-line block ×4, first 2 shown]
	s_waitcnt vmcnt(2)
	v_add_f64 v[9:10], v[53:54], -v[9:10]
	s_waitcnt vmcnt(0)
	v_add_f64 v[2:3], v[57:58], -v[2:3]
	buffer_store_dword v10, off, s[0:3], 0 offset:372
	buffer_store_dword v9, off, s[0:3], 0 offset:368
	;; [unrolled: 1-line block ×4, first 2 shown]
	v_cmpx_lt_u32_e32 21, v0
	s_cbranch_execz .LBB45_247
; %bb.246:
	v_mov_b32_e32 v2, s37
	s_clause 0x3
	buffer_load_dword v14, v2, s[0:3], 0 offen
	buffer_load_dword v15, v2, s[0:3], 0 offen offset:4
	buffer_load_dword v16, v2, s[0:3], 0 offen offset:8
	;; [unrolled: 1-line block ×3, first 2 shown]
	buffer_store_dword v1, off, s[0:3], 0 offset:352
	buffer_store_dword v1, off, s[0:3], 0 offset:356
	buffer_store_dword v1, off, s[0:3], 0 offset:360
	buffer_store_dword v1, off, s[0:3], 0 offset:364
	s_waitcnt vmcnt(0)
	ds_write_b128 v11, v[14:17]
.LBB45_247:
	s_or_b32 exec_lo, exec_lo, s4
	s_waitcnt lgkmcnt(0)
	s_waitcnt_vscnt null, 0x0
	s_barrier
	buffer_gl0_inv
	s_clause 0x37
	buffer_load_dword v2, off, s[0:3], 0 offset:376
	buffer_load_dword v3, off, s[0:3], 0 offset:380
	;; [unrolled: 1-line block ×56, first 2 shown]
	ds_read_b128 v[14:17], v1 offset:1088
	s_clause 0x2
	buffer_load_dword v164, off, s[0:3], 0 offset:604
	buffer_load_dword v168, off, s[0:3], 0 offset:580
	;; [unrolled: 1-line block ×3, first 2 shown]
	ds_read_b128 v[18:21], v1 offset:1104
	s_clause 0x4
	buffer_load_dword v172, off, s[0:3], 0 offset:620
	buffer_load_dword v173, off, s[0:3], 0 offset:632
	;; [unrolled: 1-line block ×5, first 2 shown]
	ds_read_b128 v[27:30], v1 offset:1120
	s_mov_b32 s4, exec_lo
	s_waitcnt vmcnt(62) lgkmcnt(2)
	v_mul_f64 v[169:170], v[16:17], v[2:3]
	v_mul_f64 v[2:3], v[14:15], v[2:3]
	s_waitcnt vmcnt(60) lgkmcnt(1)
	v_mul_f64 v[176:177], v[20:21], v[9:10]
	v_mul_f64 v[9:10], v[18:19], v[9:10]
	;; [unrolled: 3-line block ×3, first 2 shown]
	v_fma_f64 v[169:170], v[14:15], v[22:23], -v[169:170]
	v_fma_f64 v[2:3], v[16:17], v[22:23], v[2:3]
	s_clause 0x2
	buffer_load_dword v174, off, s[0:3], 0 offset:636
	buffer_load_dword v23, off, s[0:3], 0 offset:612
	;; [unrolled: 1-line block ×3, first 2 shown]
	s_waitcnt vmcnt(57)
	v_fma_f64 v[180:181], v[18:19], v[33:34], -v[176:177]
	ds_read_b128 v[14:17], v1 offset:1136
	v_fma_f64 v[9:10], v[20:21], v[33:34], v[9:10]
	s_clause 0x4
	buffer_load_dword v34, off, s[0:3], 0 offset:652
	buffer_load_dword v177, off, s[0:3], 0 offset:664
	;; [unrolled: 1-line block ×5, first 2 shown]
	s_waitcnt vmcnt(56)
	v_fma_f64 v[31:32], v[27:28], v[45:46], -v[31:32]
	ds_read_b128 v[18:21], v1 offset:1152
	v_fma_f64 v[45:46], v[29:30], v[45:46], v[178:179]
	v_add_f64 v[169:170], v[169:170], 0
	v_add_f64 v[2:3], v[2:3], 0
	s_waitcnt lgkmcnt(1)
	v_mul_f64 v[183:184], v[14:15], v[35:36]
	v_mul_f64 v[35:36], v[16:17], v[35:36]
	v_add_f64 v[169:170], v[169:170], v[180:181]
	v_add_f64 v[2:3], v[2:3], v[9:10]
	s_clause 0x2
	buffer_load_dword v178, off, s[0:3], 0 offset:668
	buffer_load_dword v10, off, s[0:3], 0 offset:644
	;; [unrolled: 1-line block ×3, first 2 shown]
	s_waitcnt vmcnt(58) lgkmcnt(0)
	v_mul_f64 v[179:180], v[18:19], v[41:42]
	v_mul_f64 v[41:42], v[20:21], v[41:42]
	s_waitcnt vmcnt(56)
	v_fma_f64 v[35:36], v[14:15], v[47:48], -v[35:36]
	ds_read_b128 v[27:30], v1 offset:1168
	v_fma_f64 v[47:48], v[16:17], v[47:48], v[183:184]
	v_add_f64 v[31:32], v[169:170], v[31:32]
	v_add_f64 v[2:3], v[2:3], v[45:46]
	s_clause 0x4
	buffer_load_dword v46, off, s[0:3], 0 offset:684
	buffer_load_dword v169, off, s[0:3], 0 offset:696
	;; [unrolled: 1-line block ×5, first 2 shown]
	ds_read_b128 v[14:17], v1 offset:1184
	s_waitcnt vmcnt(57) lgkmcnt(1)
	v_mul_f64 v[185:186], v[27:28], v[53:54]
	v_mul_f64 v[53:54], v[29:30], v[53:54]
	s_waitcnt vmcnt(56)
	v_fma_f64 v[41:42], v[18:19], v[43:44], -v[41:42]
	v_add_f64 v[31:32], v[31:32], v[35:36]
	v_fma_f64 v[35:36], v[20:21], v[43:44], v[179:180]
	v_add_f64 v[2:3], v[2:3], v[47:48]
	s_clause 0x2
	buffer_load_dword v170, off, s[0:3], 0 offset:700
	buffer_load_dword v44, off, s[0:3], 0 offset:676
	;; [unrolled: 1-line block ×3, first 2 shown]
	s_waitcnt vmcnt(58) lgkmcnt(0)
	v_mul_f64 v[47:48], v[14:15], v[55:56]
	v_mul_f64 v[55:56], v[16:17], v[55:56]
	s_waitcnt vmcnt(56)
	v_fma_f64 v[53:54], v[27:28], v[59:60], -v[53:54]
	ds_read_b128 v[18:21], v1 offset:1200
	v_add_f64 v[31:32], v[31:32], v[41:42]
	v_fma_f64 v[41:42], v[29:30], v[59:60], v[185:186]
	v_add_f64 v[2:3], v[2:3], v[35:36]
	s_clause 0x4
	buffer_load_dword v36, off, s[0:3], 0 offset:716
	buffer_load_dword v59, off, s[0:3], 0 offset:728
	;; [unrolled: 1-line block ×5, first 2 shown]
	ds_read_b128 v[27:30], v1 offset:1216
	s_waitcnt vmcnt(57) lgkmcnt(1)
	v_mul_f64 v[180:181], v[18:19], v[61:62]
	v_mul_f64 v[61:62], v[20:21], v[61:62]
	s_waitcnt vmcnt(56)
	v_fma_f64 v[55:56], v[14:15], v[57:58], -v[55:56]
	v_fma_f64 v[47:48], v[16:17], v[57:58], v[47:48]
	v_add_f64 v[31:32], v[31:32], v[53:54]
	v_add_f64 v[2:3], v[2:3], v[41:42]
	s_clause 0x2
	buffer_load_dword v60, off, s[0:3], 0 offset:732
	buffer_load_dword v42, off, s[0:3], 0 offset:708
	;; [unrolled: 1-line block ×3, first 2 shown]
	s_waitcnt vmcnt(58) lgkmcnt(0)
	v_mul_f64 v[57:58], v[29:30], v[63:64]
	ds_read_b128 v[14:17], v1 offset:1232
	s_waitcnt vmcnt(56)
	v_fma_f64 v[61:62], v[18:19], v[67:68], -v[61:62]
	v_mul_f64 v[53:54], v[27:28], v[63:64]
	v_add_f64 v[31:32], v[31:32], v[55:56]
	v_fma_f64 v[55:56], v[20:21], v[67:68], v[180:181]
	v_add_f64 v[2:3], v[2:3], v[47:48]
	s_clause 0x2
	buffer_load_dword v48, off, s[0:3], 0 offset:748
	buffer_load_dword v47, off, s[0:3], 0 offset:744
	;; [unrolled: 1-line block ×3, first 2 shown]
	s_waitcnt vmcnt(55) lgkmcnt(0)
	v_mul_f64 v[67:68], v[16:17], v[73:74]
	s_waitcnt vmcnt(54)
	v_fma_f64 v[57:58], v[27:28], v[65:66], -v[57:58]
	ds_read_b128 v[18:21], v1 offset:1248
	v_mul_f64 v[63:64], v[14:15], v[73:74]
	v_fma_f64 v[53:54], v[29:30], v[65:66], v[53:54]
	v_add_f64 v[31:32], v[31:32], v[61:62]
	v_add_f64 v[2:3], v[2:3], v[55:56]
	s_clause 0x1
	buffer_load_dword v56, off, s[0:3], 0 offset:740
	buffer_load_dword v55, off, s[0:3], 0 offset:736
	s_waitcnt vmcnt(55) lgkmcnt(0)
	v_mul_f64 v[65:66], v[20:21], v[75:76]
	s_waitcnt vmcnt(53)
	v_fma_f64 v[67:68], v[14:15], v[79:80], -v[67:68]
	ds_read_b128 v[27:30], v1 offset:1264
	v_mul_f64 v[61:62], v[18:19], v[75:76]
	v_add_f64 v[31:32], v[31:32], v[57:58]
	v_fma_f64 v[57:58], v[16:17], v[79:80], v[63:64]
	v_add_f64 v[2:3], v[2:3], v[53:54]
	ds_read_b128 v[14:17], v1 offset:1280
	s_waitcnt vmcnt(49) lgkmcnt(1)
	v_mul_f64 v[63:64], v[29:30], v[153:154]
	s_waitcnt vmcnt(48)
	v_fma_f64 v[65:66], v[18:19], v[77:78], -v[65:66]
	v_mul_f64 v[53:54], v[27:28], v[153:154]
	v_fma_f64 v[61:62], v[20:21], v[77:78], v[61:62]
	v_add_f64 v[31:32], v[31:32], v[67:68]
	s_waitcnt vmcnt(47) lgkmcnt(0)
	v_mul_f64 v[75:76], v[16:17], v[155:156]
	v_add_f64 v[2:3], v[2:3], v[57:58]
	s_clause 0x3
	buffer_load_dword v57, off, s[0:3], 0 offset:352
	buffer_load_dword v58, off, s[0:3], 0 offset:356
	;; [unrolled: 1-line block ×4, first 2 shown]
	s_waitcnt vmcnt(49)
	v_fma_f64 v[63:64], v[27:28], v[159:160], -v[63:64]
	ds_read_b128 v[18:21], v1 offset:1296
	v_mul_f64 v[73:74], v[14:15], v[155:156]
	v_fma_f64 v[53:54], v[29:30], v[159:160], v[53:54]
	ds_read_b128 v[27:30], v1 offset:1312
	v_add_f64 v[31:32], v[31:32], v[65:66]
	s_waitcnt vmcnt(44)
	v_fma_f64 v[75:76], v[14:15], v[157:158], -v[75:76]
	v_add_f64 v[2:3], v[2:3], v[61:62]
	s_waitcnt lgkmcnt(1)
	v_mul_f64 v[65:66], v[20:21], v[161:162]
	v_mul_f64 v[61:62], v[18:19], v[161:162]
	v_add_f64 v[31:32], v[31:32], v[63:64]
	v_fma_f64 v[63:64], v[16:17], v[157:158], v[73:74]
	v_add_f64 v[2:3], v[2:3], v[53:54]
	s_waitcnt vmcnt(43) lgkmcnt(0)
	v_mul_f64 v[73:74], v[29:30], v[163:164]
	s_waitcnt vmcnt(41)
	v_fma_f64 v[65:66], v[18:19], v[167:168], -v[65:66]
	ds_read_b128 v[14:17], v1 offset:1328
	v_mul_f64 v[53:54], v[27:28], v[163:164]
	v_fma_f64 v[61:62], v[20:21], v[167:168], v[61:62]
	ds_read_b128 v[18:21], v1 offset:1344
	v_add_f64 v[31:32], v[31:32], v[75:76]
	v_add_f64 v[2:3], v[2:3], v[63:64]
	s_waitcnt vmcnt(37) lgkmcnt(1)
	v_mul_f64 v[75:76], v[16:17], v[171:172]
	s_waitcnt vmcnt(36)
	v_fma_f64 v[73:74], v[27:28], v[165:166], -v[73:74]
	v_mul_f64 v[63:64], v[14:15], v[171:172]
	v_fma_f64 v[53:54], v[29:30], v[165:166], v[53:54]
	ds_read_b128 v[27:30], v1 offset:1360
	v_add_f64 v[31:32], v[31:32], v[65:66]
	v_add_f64 v[2:3], v[2:3], v[61:62]
	s_waitcnt vmcnt(35) lgkmcnt(1)
	v_mul_f64 v[65:66], v[20:21], v[173:174]
	v_mul_f64 v[61:62], v[18:19], v[173:174]
	s_waitcnt vmcnt(33)
	v_fma_f64 v[75:76], v[14:15], v[22:23], -v[75:76]
	v_fma_f64 v[22:23], v[16:17], v[22:23], v[63:64]
	ds_read_b128 v[14:17], v1 offset:1376
	v_add_f64 v[31:32], v[31:32], v[73:74]
	v_add_f64 v[2:3], v[2:3], v[53:54]
	s_waitcnt vmcnt(29) lgkmcnt(1)
	v_mul_f64 v[53:54], v[27:28], v[33:34]
	v_mul_f64 v[33:34], v[29:30], v[33:34]
	s_waitcnt vmcnt(28)
	v_fma_f64 v[63:64], v[18:19], v[175:176], -v[65:66]
	;; [unrolled: 9-line block ×6, first 2 shown]
	v_fma_f64 v[9:10], v[29:30], v[184:185], v[9:10]
	v_add_f64 v[31:32], v[31:32], v[45:46]
	v_add_f64 v[29:30], v[2:3], v[43:44]
	ds_read_b128 v[1:4], v1 offset:1456
	s_waitcnt vmcnt(11) lgkmcnt(1)
	v_mul_f64 v[43:44], v[20:21], v[59:60]
	v_mul_f64 v[33:34], v[18:19], v[59:60]
	s_waitcnt vmcnt(9)
	v_fma_f64 v[14:15], v[14:15], v[41:42], -v[35:36]
	v_fma_f64 v[16:17], v[16:17], v[41:42], v[22:23]
	v_add_f64 v[27:28], v[31:32], v[27:28]
	v_add_f64 v[9:10], v[29:30], v[9:10]
	s_waitcnt vmcnt(7) lgkmcnt(0)
	v_mul_f64 v[29:30], v[3:4], v[47:48]
	s_waitcnt vmcnt(6)
	v_fma_f64 v[18:19], v[18:19], v[179:180], -v[43:44]
	v_mul_f64 v[22:23], v[1:2], v[47:48]
	v_fma_f64 v[20:21], v[20:21], v[179:180], v[33:34]
	v_add_f64 v[14:15], v[27:28], v[14:15]
	v_add_f64 v[9:10], v[9:10], v[16:17]
	s_waitcnt vmcnt(4)
	v_fma_f64 v[1:2], v[1:2], v[55:56], -v[29:30]
	v_fma_f64 v[3:4], v[3:4], v[55:56], v[22:23]
	v_add_f64 v[14:15], v[14:15], v[18:19]
	v_add_f64 v[9:10], v[9:10], v[20:21]
	;; [unrolled: 1-line block ×4, first 2 shown]
	s_waitcnt vmcnt(2)
	v_add_f64 v[1:2], v[57:58], -v[1:2]
	s_waitcnt vmcnt(0)
	v_add_f64 v[3:4], v[67:68], -v[3:4]
	buffer_store_dword v2, off, s[0:3], 0 offset:356
	buffer_store_dword v1, off, s[0:3], 0 offset:352
	;; [unrolled: 1-line block ×4, first 2 shown]
	v_cmpx_lt_u32_e32 20, v0
	s_cbranch_execz .LBB45_249
; %bb.248:
	v_mov_b32_e32 v4, s38
	v_mov_b32_e32 v9, 0
	s_clause 0x3
	buffer_load_dword v1, v4, s[0:3], 0 offen
	buffer_load_dword v2, v4, s[0:3], 0 offen offset:4
	buffer_load_dword v3, v4, s[0:3], 0 offen offset:8
	;; [unrolled: 1-line block ×3, first 2 shown]
	buffer_store_dword v9, off, s[0:3], 0 offset:336
	buffer_store_dword v9, off, s[0:3], 0 offset:340
	;; [unrolled: 1-line block ×4, first 2 shown]
	s_waitcnt vmcnt(0)
	ds_write_b128 v11, v[1:4]
.LBB45_249:
	s_or_b32 exec_lo, exec_lo, s4
	s_waitcnt lgkmcnt(0)
	s_waitcnt_vscnt null, 0x0
	s_barrier
	buffer_gl0_inv
	s_clause 0x37
	buffer_load_dword v2, off, s[0:3], 0 offset:360
	buffer_load_dword v3, off, s[0:3], 0 offset:364
	;; [unrolled: 1-line block ×56, first 2 shown]
	v_mov_b32_e32 v1, 0
	s_mov_b32 s4, exec_lo
	ds_read_b128 v[14:17], v1 offset:1072
	s_clause 0x2
	buffer_load_dword v164, off, s[0:3], 0 offset:588
	buffer_load_dword v168, off, s[0:3], 0 offset:564
	;; [unrolled: 1-line block ×3, first 2 shown]
	ds_read_b128 v[18:21], v1 offset:1088
	s_clause 0x4
	buffer_load_dword v172, off, s[0:3], 0 offset:604
	buffer_load_dword v173, off, s[0:3], 0 offset:616
	buffer_load_dword v175, off, s[0:3], 0 offset:608
	buffer_load_dword v171, off, s[0:3], 0 offset:600
	buffer_load_dword v166, off, s[0:3], 0 offset:580
	ds_read_b128 v[27:30], v1 offset:1104
	s_waitcnt vmcnt(62) lgkmcnt(2)
	v_mul_f64 v[169:170], v[16:17], v[2:3]
	v_mul_f64 v[2:3], v[14:15], v[2:3]
	s_waitcnt vmcnt(60) lgkmcnt(1)
	v_mul_f64 v[176:177], v[20:21], v[9:10]
	v_mul_f64 v[9:10], v[18:19], v[9:10]
	s_waitcnt vmcnt(56) lgkmcnt(0)
	v_mul_f64 v[178:179], v[27:28], v[31:32]
	v_mul_f64 v[31:32], v[29:30], v[31:32]
	v_fma_f64 v[169:170], v[14:15], v[22:23], -v[169:170]
	v_fma_f64 v[2:3], v[16:17], v[22:23], v[2:3]
	s_clause 0x2
	buffer_load_dword v174, off, s[0:3], 0 offset:620
	buffer_load_dword v23, off, s[0:3], 0 offset:596
	;; [unrolled: 1-line block ×3, first 2 shown]
	s_waitcnt vmcnt(57)
	v_fma_f64 v[180:181], v[18:19], v[33:34], -v[176:177]
	ds_read_b128 v[14:17], v1 offset:1120
	v_fma_f64 v[9:10], v[20:21], v[33:34], v[9:10]
	s_clause 0x4
	buffer_load_dword v34, off, s[0:3], 0 offset:636
	buffer_load_dword v177, off, s[0:3], 0 offset:648
	;; [unrolled: 1-line block ×5, first 2 shown]
	s_waitcnt vmcnt(56)
	v_fma_f64 v[31:32], v[27:28], v[45:46], -v[31:32]
	ds_read_b128 v[18:21], v1 offset:1136
	v_fma_f64 v[45:46], v[29:30], v[45:46], v[178:179]
	v_add_f64 v[169:170], v[169:170], 0
	v_add_f64 v[2:3], v[2:3], 0
	s_waitcnt lgkmcnt(1)
	v_mul_f64 v[183:184], v[14:15], v[35:36]
	v_mul_f64 v[35:36], v[16:17], v[35:36]
	v_add_f64 v[169:170], v[169:170], v[180:181]
	v_add_f64 v[2:3], v[2:3], v[9:10]
	s_clause 0x2
	buffer_load_dword v178, off, s[0:3], 0 offset:652
	buffer_load_dword v10, off, s[0:3], 0 offset:628
	;; [unrolled: 1-line block ×3, first 2 shown]
	s_waitcnt vmcnt(58) lgkmcnt(0)
	v_mul_f64 v[179:180], v[18:19], v[41:42]
	v_mul_f64 v[41:42], v[20:21], v[41:42]
	s_waitcnt vmcnt(56)
	v_fma_f64 v[35:36], v[14:15], v[47:48], -v[35:36]
	ds_read_b128 v[27:30], v1 offset:1152
	v_fma_f64 v[47:48], v[16:17], v[47:48], v[183:184]
	v_add_f64 v[31:32], v[169:170], v[31:32]
	v_add_f64 v[2:3], v[2:3], v[45:46]
	s_clause 0x4
	buffer_load_dword v46, off, s[0:3], 0 offset:668
	buffer_load_dword v169, off, s[0:3], 0 offset:680
	;; [unrolled: 1-line block ×5, first 2 shown]
	ds_read_b128 v[14:17], v1 offset:1168
	s_waitcnt vmcnt(57) lgkmcnt(1)
	v_mul_f64 v[185:186], v[27:28], v[53:54]
	v_mul_f64 v[53:54], v[29:30], v[53:54]
	s_waitcnt vmcnt(56)
	v_fma_f64 v[41:42], v[18:19], v[43:44], -v[41:42]
	v_add_f64 v[31:32], v[31:32], v[35:36]
	v_fma_f64 v[35:36], v[20:21], v[43:44], v[179:180]
	v_add_f64 v[2:3], v[2:3], v[47:48]
	s_clause 0x2
	buffer_load_dword v170, off, s[0:3], 0 offset:684
	buffer_load_dword v44, off, s[0:3], 0 offset:660
	;; [unrolled: 1-line block ×3, first 2 shown]
	s_waitcnt vmcnt(58) lgkmcnt(0)
	v_mul_f64 v[47:48], v[14:15], v[55:56]
	v_mul_f64 v[55:56], v[16:17], v[55:56]
	s_waitcnt vmcnt(56)
	v_fma_f64 v[53:54], v[27:28], v[59:60], -v[53:54]
	ds_read_b128 v[18:21], v1 offset:1184
	v_add_f64 v[31:32], v[31:32], v[41:42]
	v_fma_f64 v[41:42], v[29:30], v[59:60], v[185:186]
	v_add_f64 v[2:3], v[2:3], v[35:36]
	s_clause 0x4
	buffer_load_dword v36, off, s[0:3], 0 offset:700
	buffer_load_dword v59, off, s[0:3], 0 offset:712
	;; [unrolled: 1-line block ×5, first 2 shown]
	ds_read_b128 v[27:30], v1 offset:1200
	s_waitcnt vmcnt(57) lgkmcnt(1)
	v_mul_f64 v[180:181], v[18:19], v[61:62]
	v_mul_f64 v[61:62], v[20:21], v[61:62]
	s_waitcnt vmcnt(56)
	v_fma_f64 v[55:56], v[14:15], v[57:58], -v[55:56]
	v_fma_f64 v[47:48], v[16:17], v[57:58], v[47:48]
	v_add_f64 v[31:32], v[31:32], v[53:54]
	v_add_f64 v[2:3], v[2:3], v[41:42]
	s_clause 0x2
	buffer_load_dword v60, off, s[0:3], 0 offset:716
	buffer_load_dword v42, off, s[0:3], 0 offset:692
	;; [unrolled: 1-line block ×3, first 2 shown]
	s_waitcnt vmcnt(58) lgkmcnt(0)
	v_mul_f64 v[57:58], v[29:30], v[63:64]
	ds_read_b128 v[14:17], v1 offset:1216
	s_waitcnt vmcnt(56)
	v_fma_f64 v[61:62], v[18:19], v[67:68], -v[61:62]
	v_mul_f64 v[53:54], v[27:28], v[63:64]
	v_add_f64 v[31:32], v[31:32], v[55:56]
	v_fma_f64 v[55:56], v[20:21], v[67:68], v[180:181]
	v_add_f64 v[2:3], v[2:3], v[47:48]
	s_clause 0x4
	buffer_load_dword v48, off, s[0:3], 0 offset:732
	buffer_load_dword v63, off, s[0:3], 0 offset:744
	;; [unrolled: 1-line block ×5, first 2 shown]
	s_waitcnt vmcnt(57) lgkmcnt(0)
	v_mul_f64 v[186:187], v[14:15], v[73:74]
	v_mul_f64 v[73:74], v[16:17], v[73:74]
	s_waitcnt vmcnt(56)
	v_fma_f64 v[57:58], v[27:28], v[65:66], -v[57:58]
	ds_read_b128 v[18:21], v1 offset:1232
	v_fma_f64 v[53:54], v[29:30], v[65:66], v[53:54]
	v_add_f64 v[31:32], v[31:32], v[61:62]
	v_add_f64 v[2:3], v[2:3], v[55:56]
	s_clause 0x2
	buffer_load_dword v64, off, s[0:3], 0 offset:748
	buffer_load_dword v56, off, s[0:3], 0 offset:724
	;; [unrolled: 1-line block ×3, first 2 shown]
	ds_read_b128 v[27:30], v1 offset:1248
	s_waitcnt vmcnt(58) lgkmcnt(1)
	v_mul_f64 v[65:66], v[20:21], v[75:76]
	s_waitcnt vmcnt(56)
	v_fma_f64 v[73:74], v[14:15], v[79:80], -v[73:74]
	v_mul_f64 v[61:62], v[18:19], v[75:76]
	buffer_load_dword v68, off, s[0:3], 0 offset:740
	v_add_f64 v[31:32], v[31:32], v[57:58]
	v_fma_f64 v[57:58], v[16:17], v[79:80], v[186:187]
	v_add_f64 v[2:3], v[2:3], v[53:54]
	ds_read_b128 v[14:17], v1 offset:1264
	s_waitcnt vmcnt(53) lgkmcnt(1)
	v_mul_f64 v[75:76], v[29:30], v[153:154]
	s_waitcnt vmcnt(52)
	v_fma_f64 v[65:66], v[18:19], v[77:78], -v[65:66]
	v_mul_f64 v[53:54], v[27:28], v[153:154]
	v_fma_f64 v[61:62], v[20:21], v[77:78], v[61:62]
	ds_read_b128 v[18:21], v1 offset:1280
	v_add_f64 v[31:32], v[31:32], v[73:74]
	s_waitcnt vmcnt(51) lgkmcnt(1)
	v_mul_f64 v[73:74], v[16:17], v[155:156]
	v_add_f64 v[2:3], v[2:3], v[57:58]
	v_mul_f64 v[57:58], v[14:15], v[155:156]
	s_waitcnt vmcnt(49)
	v_fma_f64 v[75:76], v[27:28], v[159:160], -v[75:76]
	v_fma_f64 v[53:54], v[29:30], v[159:160], v[53:54]
	s_waitcnt vmcnt(45) lgkmcnt(0)
	v_mul_f64 v[79:80], v[20:21], v[161:162]
	v_mul_f64 v[77:78], v[18:19], v[161:162]
	v_add_f64 v[31:32], v[31:32], v[65:66]
	s_waitcnt vmcnt(44)
	v_fma_f64 v[73:74], v[14:15], v[157:158], -v[73:74]
	v_add_f64 v[2:3], v[2:3], v[61:62]
	s_clause 0x3
	buffer_load_dword v61, off, s[0:3], 0 offset:336
	buffer_load_dword v62, off, s[0:3], 0 offset:340
	;; [unrolled: 1-line block ×4, first 2 shown]
	ds_read_b128 v[27:30], v1 offset:1296
	v_fma_f64 v[57:58], v[16:17], v[157:158], v[57:58]
	ds_read_b128 v[14:17], v1 offset:1312
	s_waitcnt vmcnt(45)
	v_fma_f64 v[79:80], v[18:19], v[167:168], -v[79:80]
	v_add_f64 v[31:32], v[31:32], v[75:76]
	v_add_f64 v[2:3], v[2:3], v[53:54]
	s_waitcnt lgkmcnt(1)
	v_mul_f64 v[75:76], v[29:30], v[163:164]
	v_mul_f64 v[53:54], v[27:28], v[163:164]
	v_add_f64 v[31:32], v[31:32], v[73:74]
	v_fma_f64 v[73:74], v[20:21], v[167:168], v[77:78]
	v_add_f64 v[2:3], v[2:3], v[57:58]
	s_waitcnt vmcnt(41) lgkmcnt(0)
	v_mul_f64 v[77:78], v[16:17], v[171:172]
	s_waitcnt vmcnt(40)
	v_fma_f64 v[75:76], v[27:28], v[165:166], -v[75:76]
	ds_read_b128 v[18:21], v1 offset:1328
	v_mul_f64 v[57:58], v[14:15], v[171:172]
	v_fma_f64 v[53:54], v[29:30], v[165:166], v[53:54]
	ds_read_b128 v[27:30], v1 offset:1344
	v_add_f64 v[31:32], v[31:32], v[79:80]
	v_add_f64 v[2:3], v[2:3], v[73:74]
	s_waitcnt vmcnt(39) lgkmcnt(1)
	v_mul_f64 v[79:80], v[20:21], v[173:174]
	v_mul_f64 v[73:74], v[18:19], v[173:174]
	s_waitcnt vmcnt(37)
	v_fma_f64 v[77:78], v[14:15], v[22:23], -v[77:78]
	v_fma_f64 v[22:23], v[16:17], v[22:23], v[57:58]
	ds_read_b128 v[14:17], v1 offset:1360
	v_add_f64 v[31:32], v[31:32], v[75:76]
	v_add_f64 v[2:3], v[2:3], v[53:54]
	s_waitcnt vmcnt(33) lgkmcnt(1)
	v_mul_f64 v[53:54], v[27:28], v[33:34]
	v_mul_f64 v[33:34], v[29:30], v[33:34]
	s_waitcnt vmcnt(32)
	v_fma_f64 v[57:58], v[18:19], v[175:176], -v[79:80]
	;; [unrolled: 9-line block ×7, first 2 shown]
	v_fma_f64 v[22:23], v[16:17], v[41:42], v[22:23]
	ds_read_b128 v[14:17], v1 offset:1456
	v_add_f64 v[31:32], v[31:32], v[33:34]
	v_add_f64 v[2:3], v[2:3], v[9:10]
	s_waitcnt vmcnt(9) lgkmcnt(1)
	v_mul_f64 v[33:34], v[29:30], v[47:48]
	s_waitcnt vmcnt(8)
	v_fma_f64 v[18:19], v[18:19], v[179:180], -v[45:46]
	v_mul_f64 v[9:10], v[27:28], v[47:48]
	v_fma_f64 v[20:21], v[20:21], v[179:180], v[43:44]
	v_add_f64 v[31:32], v[31:32], v[35:36]
	v_add_f64 v[2:3], v[2:3], v[22:23]
	s_waitcnt vmcnt(7) lgkmcnt(0)
	v_mul_f64 v[35:36], v[16:17], v[63:64]
	v_mul_f64 v[22:23], v[14:15], v[63:64]
	s_waitcnt vmcnt(5)
	v_fma_f64 v[27:28], v[27:28], v[55:56], -v[33:34]
	v_fma_f64 v[9:10], v[29:30], v[55:56], v[9:10]
	v_add_f64 v[18:19], v[31:32], v[18:19]
	v_add_f64 v[2:3], v[2:3], v[20:21]
	s_waitcnt vmcnt(4)
	v_fma_f64 v[14:15], v[14:15], v[67:68], -v[35:36]
	v_fma_f64 v[16:17], v[16:17], v[67:68], v[22:23]
	v_add_f64 v[18:19], v[18:19], v[27:28]
	v_add_f64 v[2:3], v[2:3], v[9:10]
	;; [unrolled: 1-line block ×4, first 2 shown]
	s_waitcnt vmcnt(2)
	v_add_f64 v[9:10], v[61:62], -v[9:10]
	s_waitcnt vmcnt(0)
	v_add_f64 v[2:3], v[65:66], -v[2:3]
	buffer_store_dword v10, off, s[0:3], 0 offset:340
	buffer_store_dword v9, off, s[0:3], 0 offset:336
	;; [unrolled: 1-line block ×4, first 2 shown]
	v_cmpx_lt_u32_e32 19, v0
	s_cbranch_execz .LBB45_251
; %bb.250:
	v_mov_b32_e32 v2, s39
	s_clause 0x3
	buffer_load_dword v14, v2, s[0:3], 0 offen
	buffer_load_dword v15, v2, s[0:3], 0 offen offset:4
	buffer_load_dword v16, v2, s[0:3], 0 offen offset:8
	;; [unrolled: 1-line block ×3, first 2 shown]
	buffer_store_dword v1, off, s[0:3], 0 offset:320
	buffer_store_dword v1, off, s[0:3], 0 offset:324
	;; [unrolled: 1-line block ×4, first 2 shown]
	s_waitcnt vmcnt(0)
	ds_write_b128 v11, v[14:17]
.LBB45_251:
	s_or_b32 exec_lo, exec_lo, s4
	s_waitcnt lgkmcnt(0)
	s_waitcnt_vscnt null, 0x0
	s_barrier
	buffer_gl0_inv
	s_clause 0x37
	buffer_load_dword v2, off, s[0:3], 0 offset:344
	buffer_load_dword v3, off, s[0:3], 0 offset:348
	;; [unrolled: 1-line block ×56, first 2 shown]
	ds_read_b128 v[14:17], v1 offset:1056
	s_clause 0x2
	buffer_load_dword v164, off, s[0:3], 0 offset:572
	buffer_load_dword v168, off, s[0:3], 0 offset:548
	;; [unrolled: 1-line block ×3, first 2 shown]
	ds_read_b128 v[18:21], v1 offset:1072
	s_clause 0x4
	buffer_load_dword v172, off, s[0:3], 0 offset:588
	buffer_load_dword v173, off, s[0:3], 0 offset:600
	buffer_load_dword v175, off, s[0:3], 0 offset:592
	buffer_load_dword v171, off, s[0:3], 0 offset:584
	buffer_load_dword v166, off, s[0:3], 0 offset:564
	ds_read_b128 v[27:30], v1 offset:1088
	s_mov_b32 s4, exec_lo
	s_waitcnt vmcnt(62) lgkmcnt(2)
	v_mul_f64 v[169:170], v[16:17], v[2:3]
	v_mul_f64 v[2:3], v[14:15], v[2:3]
	s_waitcnt vmcnt(60) lgkmcnt(1)
	v_mul_f64 v[176:177], v[20:21], v[9:10]
	v_mul_f64 v[9:10], v[18:19], v[9:10]
	;; [unrolled: 3-line block ×3, first 2 shown]
	v_fma_f64 v[169:170], v[14:15], v[22:23], -v[169:170]
	v_fma_f64 v[2:3], v[16:17], v[22:23], v[2:3]
	s_clause 0x2
	buffer_load_dword v174, off, s[0:3], 0 offset:604
	buffer_load_dword v23, off, s[0:3], 0 offset:580
	;; [unrolled: 1-line block ×3, first 2 shown]
	s_waitcnt vmcnt(57)
	v_fma_f64 v[180:181], v[18:19], v[33:34], -v[176:177]
	ds_read_b128 v[14:17], v1 offset:1104
	v_fma_f64 v[9:10], v[20:21], v[33:34], v[9:10]
	s_clause 0x4
	buffer_load_dword v34, off, s[0:3], 0 offset:620
	buffer_load_dword v177, off, s[0:3], 0 offset:632
	buffer_load_dword v182, off, s[0:3], 0 offset:624
	buffer_load_dword v33, off, s[0:3], 0 offset:616
	buffer_load_dword v176, off, s[0:3], 0 offset:596
	s_waitcnt vmcnt(56)
	v_fma_f64 v[31:32], v[27:28], v[45:46], -v[31:32]
	ds_read_b128 v[18:21], v1 offset:1120
	v_fma_f64 v[45:46], v[29:30], v[45:46], v[178:179]
	v_add_f64 v[169:170], v[169:170], 0
	v_add_f64 v[2:3], v[2:3], 0
	s_waitcnt lgkmcnt(1)
	v_mul_f64 v[183:184], v[14:15], v[35:36]
	v_mul_f64 v[35:36], v[16:17], v[35:36]
	v_add_f64 v[169:170], v[169:170], v[180:181]
	v_add_f64 v[2:3], v[2:3], v[9:10]
	s_clause 0x2
	buffer_load_dword v178, off, s[0:3], 0 offset:636
	buffer_load_dword v10, off, s[0:3], 0 offset:612
	;; [unrolled: 1-line block ×3, first 2 shown]
	s_waitcnt vmcnt(58) lgkmcnt(0)
	v_mul_f64 v[179:180], v[18:19], v[41:42]
	v_mul_f64 v[41:42], v[20:21], v[41:42]
	s_waitcnt vmcnt(56)
	v_fma_f64 v[35:36], v[14:15], v[47:48], -v[35:36]
	ds_read_b128 v[27:30], v1 offset:1136
	v_fma_f64 v[47:48], v[16:17], v[47:48], v[183:184]
	v_add_f64 v[31:32], v[169:170], v[31:32]
	v_add_f64 v[2:3], v[2:3], v[45:46]
	s_clause 0x4
	buffer_load_dword v46, off, s[0:3], 0 offset:652
	buffer_load_dword v169, off, s[0:3], 0 offset:664
	;; [unrolled: 1-line block ×5, first 2 shown]
	ds_read_b128 v[14:17], v1 offset:1152
	s_waitcnt vmcnt(57) lgkmcnt(1)
	v_mul_f64 v[185:186], v[27:28], v[53:54]
	v_mul_f64 v[53:54], v[29:30], v[53:54]
	s_waitcnt vmcnt(56)
	v_fma_f64 v[41:42], v[18:19], v[43:44], -v[41:42]
	v_add_f64 v[31:32], v[31:32], v[35:36]
	v_fma_f64 v[35:36], v[20:21], v[43:44], v[179:180]
	v_add_f64 v[2:3], v[2:3], v[47:48]
	s_clause 0x2
	buffer_load_dword v170, off, s[0:3], 0 offset:668
	buffer_load_dword v44, off, s[0:3], 0 offset:644
	;; [unrolled: 1-line block ×3, first 2 shown]
	s_waitcnt vmcnt(58) lgkmcnt(0)
	v_mul_f64 v[47:48], v[14:15], v[55:56]
	v_mul_f64 v[55:56], v[16:17], v[55:56]
	s_waitcnt vmcnt(56)
	v_fma_f64 v[53:54], v[27:28], v[59:60], -v[53:54]
	ds_read_b128 v[18:21], v1 offset:1168
	v_add_f64 v[31:32], v[31:32], v[41:42]
	v_fma_f64 v[41:42], v[29:30], v[59:60], v[185:186]
	v_add_f64 v[2:3], v[2:3], v[35:36]
	s_clause 0x4
	buffer_load_dword v36, off, s[0:3], 0 offset:684
	buffer_load_dword v59, off, s[0:3], 0 offset:696
	;; [unrolled: 1-line block ×5, first 2 shown]
	ds_read_b128 v[27:30], v1 offset:1184
	s_waitcnt vmcnt(57) lgkmcnt(1)
	v_mul_f64 v[180:181], v[18:19], v[61:62]
	v_mul_f64 v[61:62], v[20:21], v[61:62]
	s_waitcnt vmcnt(56)
	v_fma_f64 v[55:56], v[14:15], v[57:58], -v[55:56]
	v_fma_f64 v[47:48], v[16:17], v[57:58], v[47:48]
	v_add_f64 v[31:32], v[31:32], v[53:54]
	v_add_f64 v[2:3], v[2:3], v[41:42]
	s_clause 0x2
	buffer_load_dword v60, off, s[0:3], 0 offset:700
	buffer_load_dword v42, off, s[0:3], 0 offset:676
	buffer_load_dword v41, off, s[0:3], 0 offset:672
	s_waitcnt vmcnt(58) lgkmcnt(0)
	v_mul_f64 v[57:58], v[29:30], v[63:64]
	ds_read_b128 v[14:17], v1 offset:1200
	s_waitcnt vmcnt(56)
	v_fma_f64 v[61:62], v[18:19], v[67:68], -v[61:62]
	v_mul_f64 v[53:54], v[27:28], v[63:64]
	v_add_f64 v[31:32], v[31:32], v[55:56]
	v_fma_f64 v[55:56], v[20:21], v[67:68], v[180:181]
	v_add_f64 v[2:3], v[2:3], v[47:48]
	s_clause 0x4
	buffer_load_dword v48, off, s[0:3], 0 offset:716
	buffer_load_dword v63, off, s[0:3], 0 offset:728
	;; [unrolled: 1-line block ×5, first 2 shown]
	s_waitcnt vmcnt(57) lgkmcnt(0)
	v_mul_f64 v[186:187], v[14:15], v[73:74]
	v_mul_f64 v[73:74], v[16:17], v[73:74]
	s_waitcnt vmcnt(56)
	v_fma_f64 v[57:58], v[27:28], v[65:66], -v[57:58]
	ds_read_b128 v[18:21], v1 offset:1216
	v_fma_f64 v[53:54], v[29:30], v[65:66], v[53:54]
	v_add_f64 v[31:32], v[31:32], v[61:62]
	v_add_f64 v[2:3], v[2:3], v[55:56]
	s_clause 0x2
	buffer_load_dword v64, off, s[0:3], 0 offset:732
	buffer_load_dword v56, off, s[0:3], 0 offset:708
	;; [unrolled: 1-line block ×3, first 2 shown]
	ds_read_b128 v[27:30], v1 offset:1232
	s_waitcnt vmcnt(58) lgkmcnt(1)
	v_mul_f64 v[65:66], v[20:21], v[75:76]
	s_waitcnt vmcnt(56)
	v_fma_f64 v[73:74], v[14:15], v[79:80], -v[73:74]
	v_mul_f64 v[61:62], v[18:19], v[75:76]
	v_add_f64 v[31:32], v[31:32], v[57:58]
	v_fma_f64 v[57:58], v[16:17], v[79:80], v[186:187]
	v_add_f64 v[2:3], v[2:3], v[53:54]
	s_clause 0x2
	buffer_load_dword v54, off, s[0:3], 0 offset:748
	buffer_load_dword v53, off, s[0:3], 0 offset:744
	buffer_load_dword v68, off, s[0:3], 0 offset:724
	s_waitcnt vmcnt(55) lgkmcnt(0)
	v_mul_f64 v[79:80], v[29:30], v[153:154]
	s_waitcnt vmcnt(54)
	v_fma_f64 v[65:66], v[18:19], v[77:78], -v[65:66]
	ds_read_b128 v[14:17], v1 offset:1248
	v_mul_f64 v[75:76], v[27:28], v[153:154]
	v_fma_f64 v[61:62], v[20:21], v[77:78], v[61:62]
	v_add_f64 v[31:32], v[31:32], v[73:74]
	v_add_f64 v[2:3], v[2:3], v[57:58]
	s_clause 0x1
	buffer_load_dword v58, off, s[0:3], 0 offset:740
	buffer_load_dword v57, off, s[0:3], 0 offset:736
	s_waitcnt vmcnt(55) lgkmcnt(0)
	v_mul_f64 v[77:78], v[16:17], v[155:156]
	s_waitcnt vmcnt(53)
	v_fma_f64 v[79:80], v[27:28], v[159:160], -v[79:80]
	ds_read_b128 v[18:21], v1 offset:1264
	v_mul_f64 v[73:74], v[14:15], v[155:156]
	v_add_f64 v[31:32], v[31:32], v[65:66]
	v_fma_f64 v[65:66], v[29:30], v[159:160], v[75:76]
	v_add_f64 v[2:3], v[2:3], v[61:62]
	ds_read_b128 v[27:30], v1 offset:1280
	s_waitcnt vmcnt(49) lgkmcnt(1)
	v_mul_f64 v[75:76], v[20:21], v[161:162]
	s_waitcnt vmcnt(48)
	v_fma_f64 v[77:78], v[14:15], v[157:158], -v[77:78]
	v_mul_f64 v[61:62], v[18:19], v[161:162]
	v_fma_f64 v[73:74], v[16:17], v[157:158], v[73:74]
	v_add_f64 v[31:32], v[31:32], v[79:80]
	s_waitcnt vmcnt(47) lgkmcnt(0)
	v_mul_f64 v[155:156], v[29:30], v[163:164]
	v_add_f64 v[2:3], v[2:3], v[65:66]
	s_clause 0x3
	buffer_load_dword v65, off, s[0:3], 0 offset:320
	buffer_load_dword v66, off, s[0:3], 0 offset:324
	;; [unrolled: 1-line block ×4, first 2 shown]
	s_waitcnt vmcnt(49)
	v_fma_f64 v[75:76], v[18:19], v[167:168], -v[75:76]
	ds_read_b128 v[14:17], v1 offset:1296
	v_mul_f64 v[153:154], v[27:28], v[163:164]
	v_fma_f64 v[61:62], v[20:21], v[167:168], v[61:62]
	ds_read_b128 v[18:21], v1 offset:1312
	v_add_f64 v[31:32], v[31:32], v[77:78]
	s_waitcnt vmcnt(44)
	v_fma_f64 v[155:156], v[27:28], v[165:166], -v[155:156]
	v_add_f64 v[2:3], v[2:3], v[73:74]
	s_waitcnt lgkmcnt(1)
	v_mul_f64 v[77:78], v[16:17], v[171:172]
	v_mul_f64 v[73:74], v[14:15], v[171:172]
	v_add_f64 v[31:32], v[31:32], v[75:76]
	v_fma_f64 v[75:76], v[29:30], v[165:166], v[153:154]
	v_add_f64 v[2:3], v[2:3], v[61:62]
	ds_read_b128 v[27:30], v1 offset:1328
	s_waitcnt vmcnt(43) lgkmcnt(1)
	v_mul_f64 v[153:154], v[20:21], v[173:174]
	v_mul_f64 v[61:62], v[18:19], v[173:174]
	s_waitcnt vmcnt(41)
	v_fma_f64 v[77:78], v[14:15], v[22:23], -v[77:78]
	v_fma_f64 v[22:23], v[16:17], v[22:23], v[73:74]
	ds_read_b128 v[14:17], v1 offset:1344
	v_add_f64 v[31:32], v[31:32], v[155:156]
	s_waitcnt vmcnt(37) lgkmcnt(1)
	v_mul_f64 v[73:74], v[27:28], v[33:34]
	v_add_f64 v[2:3], v[2:3], v[75:76]
	v_mul_f64 v[33:34], v[29:30], v[33:34]
	s_waitcnt vmcnt(36)
	v_fma_f64 v[75:76], v[18:19], v[175:176], -v[153:154]
	v_fma_f64 v[61:62], v[20:21], v[175:176], v[61:62]
	ds_read_b128 v[18:21], v1 offset:1360
	v_add_f64 v[31:32], v[31:32], v[77:78]
	v_add_f64 v[2:3], v[2:3], v[22:23]
	s_waitcnt vmcnt(35) lgkmcnt(1)
	v_mul_f64 v[77:78], v[16:17], v[177:178]
	v_mul_f64 v[22:23], v[14:15], v[177:178]
	s_waitcnt vmcnt(33)
	v_fma_f64 v[33:34], v[27:28], v[9:10], -v[33:34]
	v_fma_f64 v[9:10], v[29:30], v[9:10], v[73:74]
	ds_read_b128 v[27:30], v1 offset:1376
	v_add_f64 v[31:32], v[31:32], v[75:76]
	v_add_f64 v[2:3], v[2:3], v[61:62]
	s_waitcnt vmcnt(29) lgkmcnt(1)
	v_mul_f64 v[61:62], v[18:19], v[45:46]
	;; [unrolled: 9-line block ×6, first 2 shown]
	s_waitcnt vmcnt(12)
	v_fma_f64 v[18:19], v[18:19], v[179:180], -v[45:46]
	v_mul_f64 v[9:10], v[27:28], v[47:48]
	v_fma_f64 v[20:21], v[20:21], v[179:180], v[43:44]
	v_add_f64 v[31:32], v[31:32], v[35:36]
	v_add_f64 v[22:23], v[2:3], v[22:23]
	ds_read_b128 v[1:4], v1 offset:1456
	s_waitcnt vmcnt(11) lgkmcnt(1)
	v_mul_f64 v[41:42], v[16:17], v[63:64]
	v_mul_f64 v[35:36], v[14:15], v[63:64]
	s_waitcnt vmcnt(9)
	v_fma_f64 v[27:28], v[27:28], v[55:56], -v[33:34]
	v_fma_f64 v[9:10], v[29:30], v[55:56], v[9:10]
	v_add_f64 v[18:19], v[31:32], v[18:19]
	v_add_f64 v[20:21], v[22:23], v[20:21]
	s_waitcnt vmcnt(7) lgkmcnt(0)
	v_mul_f64 v[29:30], v[3:4], v[53:54]
	s_waitcnt vmcnt(6)
	v_fma_f64 v[14:15], v[14:15], v[67:68], -v[41:42]
	v_mul_f64 v[22:23], v[1:2], v[53:54]
	v_fma_f64 v[16:17], v[16:17], v[67:68], v[35:36]
	v_add_f64 v[18:19], v[18:19], v[27:28]
	v_add_f64 v[9:10], v[20:21], v[9:10]
	s_waitcnt vmcnt(4)
	v_fma_f64 v[1:2], v[1:2], v[57:58], -v[29:30]
	v_fma_f64 v[3:4], v[3:4], v[57:58], v[22:23]
	v_add_f64 v[14:15], v[18:19], v[14:15]
	v_add_f64 v[9:10], v[9:10], v[16:17]
	;; [unrolled: 1-line block ×4, first 2 shown]
	s_waitcnt vmcnt(2)
	v_add_f64 v[1:2], v[65:66], -v[1:2]
	s_waitcnt vmcnt(0)
	v_add_f64 v[3:4], v[79:80], -v[3:4]
	buffer_store_dword v2, off, s[0:3], 0 offset:324
	buffer_store_dword v1, off, s[0:3], 0 offset:320
	;; [unrolled: 1-line block ×4, first 2 shown]
	v_cmpx_lt_u32_e32 18, v0
	s_cbranch_execz .LBB45_253
; %bb.252:
	v_mov_b32_e32 v4, s41
	v_mov_b32_e32 v9, 0
	s_clause 0x3
	buffer_load_dword v1, v4, s[0:3], 0 offen
	buffer_load_dword v2, v4, s[0:3], 0 offen offset:4
	buffer_load_dword v3, v4, s[0:3], 0 offen offset:8
	;; [unrolled: 1-line block ×3, first 2 shown]
	buffer_store_dword v9, off, s[0:3], 0 offset:304
	buffer_store_dword v9, off, s[0:3], 0 offset:308
	;; [unrolled: 1-line block ×4, first 2 shown]
	s_waitcnt vmcnt(0)
	ds_write_b128 v11, v[1:4]
.LBB45_253:
	s_or_b32 exec_lo, exec_lo, s4
	s_waitcnt lgkmcnt(0)
	s_waitcnt_vscnt null, 0x0
	s_barrier
	buffer_gl0_inv
	s_clause 0x37
	buffer_load_dword v2, off, s[0:3], 0 offset:328
	buffer_load_dword v3, off, s[0:3], 0 offset:332
	;; [unrolled: 1-line block ×56, first 2 shown]
	v_mov_b32_e32 v1, 0
	s_mov_b32 s4, exec_lo
	ds_read_b128 v[14:17], v1 offset:1040
	s_clause 0x2
	buffer_load_dword v164, off, s[0:3], 0 offset:556
	buffer_load_dword v168, off, s[0:3], 0 offset:532
	;; [unrolled: 1-line block ×3, first 2 shown]
	ds_read_b128 v[18:21], v1 offset:1056
	s_clause 0x4
	buffer_load_dword v172, off, s[0:3], 0 offset:572
	buffer_load_dword v173, off, s[0:3], 0 offset:584
	;; [unrolled: 1-line block ×5, first 2 shown]
	ds_read_b128 v[27:30], v1 offset:1072
	s_waitcnt vmcnt(62) lgkmcnt(2)
	v_mul_f64 v[169:170], v[16:17], v[2:3]
	v_mul_f64 v[2:3], v[14:15], v[2:3]
	s_waitcnt vmcnt(60) lgkmcnt(1)
	v_mul_f64 v[176:177], v[20:21], v[9:10]
	v_mul_f64 v[9:10], v[18:19], v[9:10]
	;; [unrolled: 3-line block ×3, first 2 shown]
	v_fma_f64 v[169:170], v[14:15], v[22:23], -v[169:170]
	v_fma_f64 v[2:3], v[16:17], v[22:23], v[2:3]
	s_clause 0x2
	buffer_load_dword v174, off, s[0:3], 0 offset:588
	buffer_load_dword v23, off, s[0:3], 0 offset:564
	;; [unrolled: 1-line block ×3, first 2 shown]
	s_waitcnt vmcnt(57)
	v_fma_f64 v[180:181], v[18:19], v[33:34], -v[176:177]
	ds_read_b128 v[14:17], v1 offset:1088
	v_fma_f64 v[9:10], v[20:21], v[33:34], v[9:10]
	s_clause 0x4
	buffer_load_dword v34, off, s[0:3], 0 offset:604
	buffer_load_dword v177, off, s[0:3], 0 offset:616
	;; [unrolled: 1-line block ×5, first 2 shown]
	s_waitcnt vmcnt(56)
	v_fma_f64 v[31:32], v[27:28], v[45:46], -v[31:32]
	ds_read_b128 v[18:21], v1 offset:1104
	v_fma_f64 v[45:46], v[29:30], v[45:46], v[178:179]
	v_add_f64 v[169:170], v[169:170], 0
	v_add_f64 v[2:3], v[2:3], 0
	s_waitcnt lgkmcnt(1)
	v_mul_f64 v[183:184], v[14:15], v[35:36]
	v_mul_f64 v[35:36], v[16:17], v[35:36]
	v_add_f64 v[169:170], v[169:170], v[180:181]
	v_add_f64 v[2:3], v[2:3], v[9:10]
	s_clause 0x2
	buffer_load_dword v178, off, s[0:3], 0 offset:620
	buffer_load_dword v10, off, s[0:3], 0 offset:596
	buffer_load_dword v9, off, s[0:3], 0 offset:592
	s_waitcnt vmcnt(58) lgkmcnt(0)
	v_mul_f64 v[179:180], v[18:19], v[41:42]
	v_mul_f64 v[41:42], v[20:21], v[41:42]
	s_waitcnt vmcnt(56)
	v_fma_f64 v[35:36], v[14:15], v[47:48], -v[35:36]
	ds_read_b128 v[27:30], v1 offset:1120
	v_fma_f64 v[47:48], v[16:17], v[47:48], v[183:184]
	v_add_f64 v[31:32], v[169:170], v[31:32]
	v_add_f64 v[2:3], v[2:3], v[45:46]
	s_clause 0x4
	buffer_load_dword v46, off, s[0:3], 0 offset:636
	buffer_load_dword v169, off, s[0:3], 0 offset:648
	;; [unrolled: 1-line block ×5, first 2 shown]
	ds_read_b128 v[14:17], v1 offset:1136
	s_waitcnt vmcnt(57) lgkmcnt(1)
	v_mul_f64 v[185:186], v[27:28], v[53:54]
	v_mul_f64 v[53:54], v[29:30], v[53:54]
	s_waitcnt vmcnt(56)
	v_fma_f64 v[41:42], v[18:19], v[43:44], -v[41:42]
	v_add_f64 v[31:32], v[31:32], v[35:36]
	v_fma_f64 v[35:36], v[20:21], v[43:44], v[179:180]
	v_add_f64 v[2:3], v[2:3], v[47:48]
	s_clause 0x2
	buffer_load_dword v170, off, s[0:3], 0 offset:652
	buffer_load_dword v44, off, s[0:3], 0 offset:628
	;; [unrolled: 1-line block ×3, first 2 shown]
	s_waitcnt vmcnt(58) lgkmcnt(0)
	v_mul_f64 v[47:48], v[14:15], v[55:56]
	v_mul_f64 v[55:56], v[16:17], v[55:56]
	s_waitcnt vmcnt(56)
	v_fma_f64 v[53:54], v[27:28], v[59:60], -v[53:54]
	ds_read_b128 v[18:21], v1 offset:1152
	v_add_f64 v[31:32], v[31:32], v[41:42]
	v_fma_f64 v[41:42], v[29:30], v[59:60], v[185:186]
	v_add_f64 v[2:3], v[2:3], v[35:36]
	s_clause 0x4
	buffer_load_dword v36, off, s[0:3], 0 offset:668
	buffer_load_dword v59, off, s[0:3], 0 offset:680
	;; [unrolled: 1-line block ×5, first 2 shown]
	ds_read_b128 v[27:30], v1 offset:1168
	s_waitcnt vmcnt(57) lgkmcnt(1)
	v_mul_f64 v[180:181], v[18:19], v[61:62]
	v_mul_f64 v[61:62], v[20:21], v[61:62]
	s_waitcnt vmcnt(56)
	v_fma_f64 v[55:56], v[14:15], v[57:58], -v[55:56]
	v_fma_f64 v[47:48], v[16:17], v[57:58], v[47:48]
	v_add_f64 v[31:32], v[31:32], v[53:54]
	v_add_f64 v[2:3], v[2:3], v[41:42]
	s_clause 0x2
	buffer_load_dword v60, off, s[0:3], 0 offset:684
	buffer_load_dword v42, off, s[0:3], 0 offset:660
	;; [unrolled: 1-line block ×3, first 2 shown]
	s_waitcnt vmcnt(58) lgkmcnt(0)
	v_mul_f64 v[57:58], v[29:30], v[63:64]
	ds_read_b128 v[14:17], v1 offset:1184
	s_waitcnt vmcnt(56)
	v_fma_f64 v[61:62], v[18:19], v[67:68], -v[61:62]
	v_mul_f64 v[53:54], v[27:28], v[63:64]
	v_add_f64 v[31:32], v[31:32], v[55:56]
	v_fma_f64 v[55:56], v[20:21], v[67:68], v[180:181]
	v_add_f64 v[2:3], v[2:3], v[47:48]
	s_clause 0x4
	buffer_load_dword v48, off, s[0:3], 0 offset:700
	buffer_load_dword v63, off, s[0:3], 0 offset:712
	buffer_load_dword v67, off, s[0:3], 0 offset:704
	buffer_load_dword v47, off, s[0:3], 0 offset:696
	buffer_load_dword v180, off, s[0:3], 0 offset:676
	s_waitcnt vmcnt(57) lgkmcnt(0)
	v_mul_f64 v[186:187], v[14:15], v[73:74]
	v_mul_f64 v[73:74], v[16:17], v[73:74]
	s_waitcnt vmcnt(56)
	v_fma_f64 v[57:58], v[27:28], v[65:66], -v[57:58]
	ds_read_b128 v[18:21], v1 offset:1200
	v_fma_f64 v[53:54], v[29:30], v[65:66], v[53:54]
	v_add_f64 v[31:32], v[31:32], v[61:62]
	v_add_f64 v[2:3], v[2:3], v[55:56]
	s_clause 0x2
	buffer_load_dword v64, off, s[0:3], 0 offset:716
	buffer_load_dword v56, off, s[0:3], 0 offset:692
	;; [unrolled: 1-line block ×3, first 2 shown]
	ds_read_b128 v[27:30], v1 offset:1216
	s_waitcnt vmcnt(58) lgkmcnt(1)
	v_mul_f64 v[65:66], v[20:21], v[75:76]
	s_waitcnt vmcnt(56)
	v_fma_f64 v[73:74], v[14:15], v[79:80], -v[73:74]
	v_mul_f64 v[61:62], v[18:19], v[75:76]
	v_add_f64 v[31:32], v[31:32], v[57:58]
	v_fma_f64 v[57:58], v[16:17], v[79:80], v[186:187]
	v_add_f64 v[2:3], v[2:3], v[53:54]
	s_clause 0x4
	buffer_load_dword v54, off, s[0:3], 0 offset:732
	buffer_load_dword v75, off, s[0:3], 0 offset:744
	;; [unrolled: 1-line block ×5, first 2 shown]
	s_waitcnt vmcnt(57) lgkmcnt(0)
	v_mul_f64 v[186:187], v[27:28], v[153:154]
	v_mul_f64 v[153:154], v[29:30], v[153:154]
	s_waitcnt vmcnt(56)
	v_fma_f64 v[65:66], v[18:19], v[77:78], -v[65:66]
	ds_read_b128 v[14:17], v1 offset:1232
	v_fma_f64 v[61:62], v[20:21], v[77:78], v[61:62]
	v_add_f64 v[31:32], v[31:32], v[73:74]
	v_add_f64 v[2:3], v[2:3], v[57:58]
	s_clause 0x2
	buffer_load_dword v76, off, s[0:3], 0 offset:748
	buffer_load_dword v58, off, s[0:3], 0 offset:724
	;; [unrolled: 1-line block ×3, first 2 shown]
	ds_read_b128 v[18:21], v1 offset:1248
	s_waitcnt vmcnt(58) lgkmcnt(1)
	v_mul_f64 v[77:78], v[16:17], v[155:156]
	s_waitcnt vmcnt(56)
	v_fma_f64 v[153:154], v[27:28], v[159:160], -v[153:154]
	v_mul_f64 v[73:74], v[14:15], v[155:156]
	buffer_load_dword v80, off, s[0:3], 0 offset:740
	v_add_f64 v[31:32], v[31:32], v[65:66]
	v_fma_f64 v[65:66], v[29:30], v[159:160], v[186:187]
	v_add_f64 v[2:3], v[2:3], v[61:62]
	ds_read_b128 v[27:30], v1 offset:1264
	s_waitcnt vmcnt(53) lgkmcnt(1)
	v_mul_f64 v[155:156], v[20:21], v[161:162]
	s_waitcnt vmcnt(52)
	v_fma_f64 v[77:78], v[14:15], v[157:158], -v[77:78]
	v_mul_f64 v[61:62], v[18:19], v[161:162]
	v_fma_f64 v[73:74], v[16:17], v[157:158], v[73:74]
	ds_read_b128 v[14:17], v1 offset:1280
	v_add_f64 v[31:32], v[31:32], v[153:154]
	s_waitcnt vmcnt(51) lgkmcnt(1)
	v_mul_f64 v[153:154], v[29:30], v[163:164]
	v_add_f64 v[2:3], v[2:3], v[65:66]
	v_mul_f64 v[65:66], v[27:28], v[163:164]
	s_waitcnt vmcnt(49)
	v_fma_f64 v[155:156], v[18:19], v[167:168], -v[155:156]
	v_fma_f64 v[61:62], v[20:21], v[167:168], v[61:62]
	s_waitcnt vmcnt(45) lgkmcnt(0)
	v_mul_f64 v[159:160], v[16:17], v[171:172]
	v_mul_f64 v[157:158], v[14:15], v[171:172]
	v_add_f64 v[31:32], v[31:32], v[77:78]
	s_waitcnt vmcnt(44)
	v_fma_f64 v[153:154], v[27:28], v[165:166], -v[153:154]
	v_add_f64 v[2:3], v[2:3], v[73:74]
	s_clause 0x3
	buffer_load_dword v73, off, s[0:3], 0 offset:304
	buffer_load_dword v74, off, s[0:3], 0 offset:308
	buffer_load_dword v77, off, s[0:3], 0 offset:312
	buffer_load_dword v78, off, s[0:3], 0 offset:316
	ds_read_b128 v[18:21], v1 offset:1296
	v_fma_f64 v[65:66], v[29:30], v[165:166], v[65:66]
	ds_read_b128 v[27:30], v1 offset:1312
	v_add_f64 v[31:32], v[31:32], v[155:156]
	v_add_f64 v[2:3], v[2:3], v[61:62]
	s_waitcnt vmcnt(47) lgkmcnt(1)
	v_mul_f64 v[155:156], v[20:21], v[173:174]
	v_mul_f64 v[61:62], v[18:19], v[173:174]
	s_waitcnt vmcnt(45)
	v_fma_f64 v[159:160], v[14:15], v[22:23], -v[159:160]
	v_fma_f64 v[22:23], v[16:17], v[22:23], v[157:158]
	ds_read_b128 v[14:17], v1 offset:1328
	v_add_f64 v[31:32], v[31:32], v[153:154]
	v_add_f64 v[2:3], v[2:3], v[65:66]
	s_waitcnt vmcnt(41) lgkmcnt(1)
	v_mul_f64 v[65:66], v[27:28], v[33:34]
	v_mul_f64 v[33:34], v[29:30], v[33:34]
	s_waitcnt vmcnt(40)
	v_fma_f64 v[153:154], v[18:19], v[175:176], -v[155:156]
	;; [unrolled: 9-line block ×7, first 2 shown]
	v_fma_f64 v[22:23], v[16:17], v[41:42], v[22:23]
	ds_read_b128 v[14:17], v1 offset:1424
	v_add_f64 v[31:32], v[31:32], v[33:34]
	v_add_f64 v[2:3], v[2:3], v[9:10]
	s_waitcnt vmcnt(17) lgkmcnt(1)
	v_mul_f64 v[33:34], v[29:30], v[47:48]
	s_waitcnt vmcnt(16)
	v_fma_f64 v[41:42], v[18:19], v[179:180], -v[45:46]
	v_mul_f64 v[9:10], v[27:28], v[47:48]
	v_add_f64 v[31:32], v[31:32], v[35:36]
	v_fma_f64 v[35:36], v[20:21], v[179:180], v[43:44]
	v_add_f64 v[2:3], v[2:3], v[22:23]
	ds_read_b128 v[18:21], v1 offset:1440
	s_waitcnt vmcnt(15) lgkmcnt(1)
	v_mul_f64 v[43:44], v[16:17], v[63:64]
	v_mul_f64 v[22:23], v[14:15], v[63:64]
	s_waitcnt vmcnt(13)
	v_fma_f64 v[33:34], v[27:28], v[55:56], -v[33:34]
	v_fma_f64 v[9:10], v[29:30], v[55:56], v[9:10]
	ds_read_b128 v[27:30], v1 offset:1456
	v_add_f64 v[31:32], v[31:32], v[41:42]
	v_add_f64 v[2:3], v[2:3], v[35:36]
	s_waitcnt vmcnt(9) lgkmcnt(1)
	v_mul_f64 v[41:42], v[20:21], v[53:54]
	s_waitcnt vmcnt(8)
	v_fma_f64 v[14:15], v[14:15], v[67:68], -v[43:44]
	v_mul_f64 v[35:36], v[18:19], v[53:54]
	v_fma_f64 v[16:17], v[16:17], v[67:68], v[22:23]
	v_add_f64 v[31:32], v[31:32], v[33:34]
	v_add_f64 v[2:3], v[2:3], v[9:10]
	s_waitcnt vmcnt(7) lgkmcnt(0)
	v_mul_f64 v[22:23], v[29:30], v[75:76]
	v_mul_f64 v[9:10], v[27:28], v[75:76]
	s_waitcnt vmcnt(5)
	v_fma_f64 v[18:19], v[18:19], v[57:58], -v[41:42]
	v_fma_f64 v[20:21], v[20:21], v[57:58], v[35:36]
	v_add_f64 v[14:15], v[31:32], v[14:15]
	v_add_f64 v[2:3], v[2:3], v[16:17]
	s_waitcnt vmcnt(4)
	v_fma_f64 v[16:17], v[27:28], v[79:80], -v[22:23]
	v_fma_f64 v[9:10], v[29:30], v[79:80], v[9:10]
	v_add_f64 v[14:15], v[14:15], v[18:19]
	v_add_f64 v[2:3], v[2:3], v[20:21]
	;; [unrolled: 1-line block ×4, first 2 shown]
	s_waitcnt vmcnt(2)
	v_add_f64 v[9:10], v[73:74], -v[14:15]
	s_waitcnt vmcnt(0)
	v_add_f64 v[2:3], v[77:78], -v[2:3]
	buffer_store_dword v10, off, s[0:3], 0 offset:308
	buffer_store_dword v9, off, s[0:3], 0 offset:304
	buffer_store_dword v3, off, s[0:3], 0 offset:316
	buffer_store_dword v2, off, s[0:3], 0 offset:312
	v_cmpx_lt_u32_e32 17, v0
	s_cbranch_execz .LBB45_255
; %bb.254:
	v_mov_b32_e32 v2, s43
	s_clause 0x3
	buffer_load_dword v14, v2, s[0:3], 0 offen
	buffer_load_dword v15, v2, s[0:3], 0 offen offset:4
	buffer_load_dword v16, v2, s[0:3], 0 offen offset:8
	;; [unrolled: 1-line block ×3, first 2 shown]
	buffer_store_dword v1, off, s[0:3], 0 offset:288
	buffer_store_dword v1, off, s[0:3], 0 offset:292
	;; [unrolled: 1-line block ×4, first 2 shown]
	s_waitcnt vmcnt(0)
	ds_write_b128 v11, v[14:17]
.LBB45_255:
	s_or_b32 exec_lo, exec_lo, s4
	s_waitcnt lgkmcnt(0)
	s_waitcnt_vscnt null, 0x0
	s_barrier
	buffer_gl0_inv
	s_clause 0x37
	buffer_load_dword v2, off, s[0:3], 0 offset:312
	buffer_load_dword v3, off, s[0:3], 0 offset:316
	;; [unrolled: 1-line block ×56, first 2 shown]
	ds_read_b128 v[14:17], v1 offset:1024
	s_clause 0x2
	buffer_load_dword v164, off, s[0:3], 0 offset:540
	buffer_load_dword v168, off, s[0:3], 0 offset:516
	;; [unrolled: 1-line block ×3, first 2 shown]
	ds_read_b128 v[18:21], v1 offset:1040
	s_clause 0x4
	buffer_load_dword v172, off, s[0:3], 0 offset:556
	buffer_load_dword v173, off, s[0:3], 0 offset:568
	buffer_load_dword v175, off, s[0:3], 0 offset:560
	buffer_load_dword v171, off, s[0:3], 0 offset:552
	buffer_load_dword v166, off, s[0:3], 0 offset:532
	ds_read_b128 v[27:30], v1 offset:1056
	s_mov_b32 s4, exec_lo
	s_waitcnt vmcnt(62) lgkmcnt(2)
	v_mul_f64 v[169:170], v[16:17], v[2:3]
	v_mul_f64 v[2:3], v[14:15], v[2:3]
	s_waitcnt vmcnt(60) lgkmcnt(1)
	v_mul_f64 v[176:177], v[20:21], v[9:10]
	v_mul_f64 v[9:10], v[18:19], v[9:10]
	;; [unrolled: 3-line block ×3, first 2 shown]
	v_fma_f64 v[169:170], v[14:15], v[22:23], -v[169:170]
	v_fma_f64 v[2:3], v[16:17], v[22:23], v[2:3]
	s_clause 0x2
	buffer_load_dword v174, off, s[0:3], 0 offset:572
	buffer_load_dword v23, off, s[0:3], 0 offset:548
	;; [unrolled: 1-line block ×3, first 2 shown]
	s_waitcnt vmcnt(57)
	v_fma_f64 v[180:181], v[18:19], v[33:34], -v[176:177]
	ds_read_b128 v[14:17], v1 offset:1072
	v_fma_f64 v[9:10], v[20:21], v[33:34], v[9:10]
	s_clause 0x4
	buffer_load_dword v34, off, s[0:3], 0 offset:588
	buffer_load_dword v177, off, s[0:3], 0 offset:600
	;; [unrolled: 1-line block ×5, first 2 shown]
	s_waitcnt vmcnt(56)
	v_fma_f64 v[31:32], v[27:28], v[45:46], -v[31:32]
	ds_read_b128 v[18:21], v1 offset:1088
	v_fma_f64 v[45:46], v[29:30], v[45:46], v[178:179]
	v_add_f64 v[169:170], v[169:170], 0
	v_add_f64 v[2:3], v[2:3], 0
	s_waitcnt lgkmcnt(1)
	v_mul_f64 v[183:184], v[14:15], v[35:36]
	v_mul_f64 v[35:36], v[16:17], v[35:36]
	v_add_f64 v[169:170], v[169:170], v[180:181]
	v_add_f64 v[2:3], v[2:3], v[9:10]
	s_clause 0x2
	buffer_load_dword v178, off, s[0:3], 0 offset:604
	buffer_load_dword v10, off, s[0:3], 0 offset:580
	;; [unrolled: 1-line block ×3, first 2 shown]
	s_waitcnt vmcnt(58) lgkmcnt(0)
	v_mul_f64 v[179:180], v[18:19], v[41:42]
	v_mul_f64 v[41:42], v[20:21], v[41:42]
	s_waitcnt vmcnt(56)
	v_fma_f64 v[35:36], v[14:15], v[47:48], -v[35:36]
	ds_read_b128 v[27:30], v1 offset:1104
	v_fma_f64 v[47:48], v[16:17], v[47:48], v[183:184]
	v_add_f64 v[31:32], v[169:170], v[31:32]
	v_add_f64 v[2:3], v[2:3], v[45:46]
	s_clause 0x4
	buffer_load_dword v46, off, s[0:3], 0 offset:620
	buffer_load_dword v169, off, s[0:3], 0 offset:632
	;; [unrolled: 1-line block ×5, first 2 shown]
	ds_read_b128 v[14:17], v1 offset:1120
	s_waitcnt vmcnt(57) lgkmcnt(1)
	v_mul_f64 v[185:186], v[27:28], v[53:54]
	v_mul_f64 v[53:54], v[29:30], v[53:54]
	s_waitcnt vmcnt(56)
	v_fma_f64 v[41:42], v[18:19], v[43:44], -v[41:42]
	v_add_f64 v[31:32], v[31:32], v[35:36]
	v_fma_f64 v[35:36], v[20:21], v[43:44], v[179:180]
	v_add_f64 v[2:3], v[2:3], v[47:48]
	s_clause 0x2
	buffer_load_dword v170, off, s[0:3], 0 offset:636
	buffer_load_dword v44, off, s[0:3], 0 offset:612
	;; [unrolled: 1-line block ×3, first 2 shown]
	s_waitcnt vmcnt(58) lgkmcnt(0)
	v_mul_f64 v[47:48], v[14:15], v[55:56]
	v_mul_f64 v[55:56], v[16:17], v[55:56]
	s_waitcnt vmcnt(56)
	v_fma_f64 v[53:54], v[27:28], v[59:60], -v[53:54]
	ds_read_b128 v[18:21], v1 offset:1136
	v_add_f64 v[31:32], v[31:32], v[41:42]
	v_fma_f64 v[41:42], v[29:30], v[59:60], v[185:186]
	v_add_f64 v[2:3], v[2:3], v[35:36]
	s_clause 0x4
	buffer_load_dword v36, off, s[0:3], 0 offset:652
	buffer_load_dword v59, off, s[0:3], 0 offset:664
	;; [unrolled: 1-line block ×5, first 2 shown]
	ds_read_b128 v[27:30], v1 offset:1152
	s_waitcnt vmcnt(57) lgkmcnt(1)
	v_mul_f64 v[180:181], v[18:19], v[61:62]
	v_mul_f64 v[61:62], v[20:21], v[61:62]
	s_waitcnt vmcnt(56)
	v_fma_f64 v[55:56], v[14:15], v[57:58], -v[55:56]
	v_fma_f64 v[47:48], v[16:17], v[57:58], v[47:48]
	v_add_f64 v[31:32], v[31:32], v[53:54]
	v_add_f64 v[2:3], v[2:3], v[41:42]
	s_clause 0x2
	buffer_load_dword v60, off, s[0:3], 0 offset:668
	buffer_load_dword v42, off, s[0:3], 0 offset:644
	;; [unrolled: 1-line block ×3, first 2 shown]
	s_waitcnt vmcnt(58) lgkmcnt(0)
	v_mul_f64 v[57:58], v[29:30], v[63:64]
	ds_read_b128 v[14:17], v1 offset:1168
	s_waitcnt vmcnt(56)
	v_fma_f64 v[61:62], v[18:19], v[67:68], -v[61:62]
	v_mul_f64 v[53:54], v[27:28], v[63:64]
	v_add_f64 v[31:32], v[31:32], v[55:56]
	v_fma_f64 v[55:56], v[20:21], v[67:68], v[180:181]
	v_add_f64 v[2:3], v[2:3], v[47:48]
	s_clause 0x4
	buffer_load_dword v48, off, s[0:3], 0 offset:684
	buffer_load_dword v63, off, s[0:3], 0 offset:696
	;; [unrolled: 1-line block ×5, first 2 shown]
	s_waitcnt vmcnt(57) lgkmcnt(0)
	v_mul_f64 v[186:187], v[14:15], v[73:74]
	v_mul_f64 v[73:74], v[16:17], v[73:74]
	s_waitcnt vmcnt(56)
	v_fma_f64 v[57:58], v[27:28], v[65:66], -v[57:58]
	ds_read_b128 v[18:21], v1 offset:1184
	v_fma_f64 v[53:54], v[29:30], v[65:66], v[53:54]
	v_add_f64 v[31:32], v[31:32], v[61:62]
	v_add_f64 v[2:3], v[2:3], v[55:56]
	s_clause 0x2
	buffer_load_dword v64, off, s[0:3], 0 offset:700
	buffer_load_dword v56, off, s[0:3], 0 offset:676
	buffer_load_dword v55, off, s[0:3], 0 offset:672
	ds_read_b128 v[27:30], v1 offset:1200
	s_waitcnt vmcnt(58) lgkmcnt(1)
	v_mul_f64 v[65:66], v[20:21], v[75:76]
	s_waitcnt vmcnt(56)
	v_fma_f64 v[73:74], v[14:15], v[79:80], -v[73:74]
	v_mul_f64 v[61:62], v[18:19], v[75:76]
	v_add_f64 v[31:32], v[31:32], v[57:58]
	v_fma_f64 v[57:58], v[16:17], v[79:80], v[186:187]
	v_add_f64 v[2:3], v[2:3], v[53:54]
	s_clause 0x4
	buffer_load_dword v54, off, s[0:3], 0 offset:716
	buffer_load_dword v75, off, s[0:3], 0 offset:728
	;; [unrolled: 1-line block ×5, first 2 shown]
	s_waitcnt vmcnt(57) lgkmcnt(0)
	v_mul_f64 v[186:187], v[27:28], v[153:154]
	v_mul_f64 v[153:154], v[29:30], v[153:154]
	s_waitcnt vmcnt(56)
	v_fma_f64 v[65:66], v[18:19], v[77:78], -v[65:66]
	ds_read_b128 v[14:17], v1 offset:1216
	v_fma_f64 v[61:62], v[20:21], v[77:78], v[61:62]
	v_add_f64 v[31:32], v[31:32], v[73:74]
	v_add_f64 v[2:3], v[2:3], v[57:58]
	s_clause 0x2
	buffer_load_dword v76, off, s[0:3], 0 offset:732
	buffer_load_dword v58, off, s[0:3], 0 offset:708
	;; [unrolled: 1-line block ×3, first 2 shown]
	ds_read_b128 v[18:21], v1 offset:1232
	s_waitcnt vmcnt(58) lgkmcnt(1)
	v_mul_f64 v[77:78], v[16:17], v[155:156]
	s_waitcnt vmcnt(56)
	v_fma_f64 v[153:154], v[27:28], v[159:160], -v[153:154]
	v_mul_f64 v[73:74], v[14:15], v[155:156]
	v_add_f64 v[31:32], v[31:32], v[65:66]
	v_fma_f64 v[65:66], v[29:30], v[159:160], v[186:187]
	v_add_f64 v[2:3], v[2:3], v[61:62]
	s_clause 0x2
	buffer_load_dword v62, off, s[0:3], 0 offset:748
	buffer_load_dword v61, off, s[0:3], 0 offset:744
	;; [unrolled: 1-line block ×3, first 2 shown]
	s_waitcnt vmcnt(55) lgkmcnt(0)
	v_mul_f64 v[159:160], v[20:21], v[161:162]
	s_waitcnt vmcnt(54)
	v_fma_f64 v[77:78], v[14:15], v[157:158], -v[77:78]
	ds_read_b128 v[27:30], v1 offset:1248
	v_mul_f64 v[155:156], v[18:19], v[161:162]
	v_fma_f64 v[73:74], v[16:17], v[157:158], v[73:74]
	v_add_f64 v[31:32], v[31:32], v[153:154]
	v_add_f64 v[2:3], v[2:3], v[65:66]
	s_clause 0x1
	buffer_load_dword v66, off, s[0:3], 0 offset:740
	buffer_load_dword v65, off, s[0:3], 0 offset:736
	s_waitcnt vmcnt(55) lgkmcnt(0)
	v_mul_f64 v[157:158], v[29:30], v[163:164]
	s_waitcnt vmcnt(53)
	v_fma_f64 v[159:160], v[18:19], v[167:168], -v[159:160]
	ds_read_b128 v[14:17], v1 offset:1264
	v_mul_f64 v[153:154], v[27:28], v[163:164]
	v_add_f64 v[31:32], v[31:32], v[77:78]
	v_fma_f64 v[77:78], v[20:21], v[167:168], v[155:156]
	v_add_f64 v[2:3], v[2:3], v[73:74]
	ds_read_b128 v[18:21], v1 offset:1280
	s_waitcnt vmcnt(49) lgkmcnt(1)
	v_mul_f64 v[155:156], v[16:17], v[171:172]
	s_waitcnt vmcnt(48)
	v_fma_f64 v[157:158], v[27:28], v[165:166], -v[157:158]
	v_mul_f64 v[73:74], v[14:15], v[171:172]
	v_fma_f64 v[153:154], v[29:30], v[165:166], v[153:154]
	v_add_f64 v[31:32], v[31:32], v[159:160]
	v_add_f64 v[2:3], v[2:3], v[77:78]
	s_clause 0x3
	buffer_load_dword v77, off, s[0:3], 0 offset:288
	buffer_load_dword v78, off, s[0:3], 0 offset:292
	;; [unrolled: 1-line block ×4, first 2 shown]
	ds_read_b128 v[27:30], v1 offset:1296
	s_waitcnt vmcnt(51) lgkmcnt(1)
	v_mul_f64 v[163:164], v[20:21], v[173:174]
	v_mul_f64 v[161:162], v[18:19], v[173:174]
	s_waitcnt vmcnt(49)
	v_fma_f64 v[155:156], v[14:15], v[22:23], -v[155:156]
	v_fma_f64 v[22:23], v[16:17], v[22:23], v[73:74]
	ds_read_b128 v[14:17], v1 offset:1312
	v_add_f64 v[31:32], v[31:32], v[157:158]
	v_add_f64 v[2:3], v[2:3], v[153:154]
	s_waitcnt vmcnt(45) lgkmcnt(1)
	v_mul_f64 v[73:74], v[27:28], v[33:34]
	v_mul_f64 v[33:34], v[29:30], v[33:34]
	s_waitcnt vmcnt(44)
	v_fma_f64 v[153:154], v[18:19], v[175:176], -v[163:164]
	v_add_f64 v[31:32], v[31:32], v[155:156]
	v_fma_f64 v[155:156], v[20:21], v[175:176], v[161:162]
	v_add_f64 v[2:3], v[2:3], v[22:23]
	ds_read_b128 v[18:21], v1 offset:1328
	s_waitcnt vmcnt(43) lgkmcnt(1)
	v_mul_f64 v[157:158], v[16:17], v[177:178]
	v_mul_f64 v[22:23], v[14:15], v[177:178]
	s_waitcnt vmcnt(41)
	v_fma_f64 v[33:34], v[27:28], v[9:10], -v[33:34]
	v_fma_f64 v[9:10], v[29:30], v[9:10], v[73:74]
	ds_read_b128 v[27:30], v1 offset:1344
	v_add_f64 v[31:32], v[31:32], v[153:154]
	v_add_f64 v[2:3], v[2:3], v[155:156]
	s_waitcnt vmcnt(37) lgkmcnt(1)
	v_mul_f64 v[73:74], v[18:19], v[45:46]
	v_mul_f64 v[45:46], v[20:21], v[45:46]
	s_waitcnt vmcnt(36)
	v_fma_f64 v[153:154], v[14:15], v[182:183], -v[157:158]
	v_fma_f64 v[22:23], v[16:17], v[182:183], v[22:23]
	ds_read_b128 v[14:17], v1 offset:1360
	v_add_f64 v[31:32], v[31:32], v[33:34]
	v_add_f64 v[2:3], v[2:3], v[9:10]
	;; [unrolled: 9-line block ×5, first 2 shown]
	s_waitcnt vmcnt(21) lgkmcnt(1)
	v_mul_f64 v[33:34], v[29:30], v[47:48]
	s_waitcnt vmcnt(20)
	v_fma_f64 v[41:42], v[18:19], v[179:180], -v[45:46]
	v_mul_f64 v[9:10], v[27:28], v[47:48]
	v_add_f64 v[31:32], v[31:32], v[35:36]
	v_fma_f64 v[35:36], v[20:21], v[179:180], v[43:44]
	v_add_f64 v[2:3], v[2:3], v[22:23]
	ds_read_b128 v[18:21], v1 offset:1424
	s_waitcnt vmcnt(19) lgkmcnt(1)
	v_mul_f64 v[43:44], v[16:17], v[63:64]
	v_mul_f64 v[22:23], v[14:15], v[63:64]
	s_waitcnt vmcnt(17)
	v_fma_f64 v[33:34], v[27:28], v[55:56], -v[33:34]
	v_fma_f64 v[9:10], v[29:30], v[55:56], v[9:10]
	ds_read_b128 v[27:30], v1 offset:1440
	v_add_f64 v[31:32], v[31:32], v[41:42]
	v_add_f64 v[2:3], v[2:3], v[35:36]
	s_waitcnt vmcnt(13) lgkmcnt(1)
	v_mul_f64 v[41:42], v[20:21], v[53:54]
	s_waitcnt vmcnt(12)
	v_fma_f64 v[14:15], v[14:15], v[67:68], -v[43:44]
	v_mul_f64 v[35:36], v[18:19], v[53:54]
	v_fma_f64 v[16:17], v[16:17], v[67:68], v[22:23]
	v_add_f64 v[31:32], v[31:32], v[33:34]
	v_add_f64 v[9:10], v[2:3], v[9:10]
	ds_read_b128 v[1:4], v1 offset:1456
	s_waitcnt vmcnt(11) lgkmcnt(1)
	v_mul_f64 v[33:34], v[29:30], v[75:76]
	v_mul_f64 v[22:23], v[27:28], v[75:76]
	s_waitcnt vmcnt(9)
	v_fma_f64 v[18:19], v[18:19], v[57:58], -v[41:42]
	v_fma_f64 v[20:21], v[20:21], v[57:58], v[35:36]
	v_add_f64 v[14:15], v[31:32], v[14:15]
	v_add_f64 v[9:10], v[9:10], v[16:17]
	s_waitcnt vmcnt(7) lgkmcnt(0)
	v_mul_f64 v[31:32], v[3:4], v[61:62]
	s_waitcnt vmcnt(6)
	v_fma_f64 v[27:28], v[27:28], v[79:80], -v[33:34]
	v_mul_f64 v[16:17], v[1:2], v[61:62]
	v_add_f64 v[14:15], v[14:15], v[18:19]
	v_fma_f64 v[18:19], v[29:30], v[79:80], v[22:23]
	v_add_f64 v[9:10], v[9:10], v[20:21]
	s_waitcnt vmcnt(4)
	v_fma_f64 v[1:2], v[1:2], v[65:66], -v[31:32]
	v_fma_f64 v[3:4], v[3:4], v[65:66], v[16:17]
	v_add_f64 v[14:15], v[14:15], v[27:28]
	v_add_f64 v[9:10], v[9:10], v[18:19]
	;; [unrolled: 1-line block ×4, first 2 shown]
	s_waitcnt vmcnt(2)
	v_add_f64 v[1:2], v[77:78], -v[1:2]
	s_waitcnt vmcnt(0)
	v_add_f64 v[3:4], v[159:160], -v[3:4]
	buffer_store_dword v2, off, s[0:3], 0 offset:292
	buffer_store_dword v1, off, s[0:3], 0 offset:288
	;; [unrolled: 1-line block ×4, first 2 shown]
	v_cmpx_lt_u32_e32 16, v0
	s_cbranch_execz .LBB45_257
; %bb.256:
	v_mov_b32_e32 v4, s45
	v_mov_b32_e32 v9, 0
	s_clause 0x3
	buffer_load_dword v1, v4, s[0:3], 0 offen
	buffer_load_dword v2, v4, s[0:3], 0 offen offset:4
	buffer_load_dword v3, v4, s[0:3], 0 offen offset:8
	;; [unrolled: 1-line block ×3, first 2 shown]
	buffer_store_dword v9, off, s[0:3], 0 offset:272
	buffer_store_dword v9, off, s[0:3], 0 offset:276
	;; [unrolled: 1-line block ×4, first 2 shown]
	s_waitcnt vmcnt(0)
	ds_write_b128 v11, v[1:4]
.LBB45_257:
	s_or_b32 exec_lo, exec_lo, s4
	s_waitcnt lgkmcnt(0)
	s_waitcnt_vscnt null, 0x0
	s_barrier
	buffer_gl0_inv
	s_clause 0x37
	buffer_load_dword v9, off, s[0:3], 0 offset:296
	buffer_load_dword v10, off, s[0:3], 0 offset:300
	;; [unrolled: 1-line block ×56, first 2 shown]
	v_mov_b32_e32 v18, 0
	s_mov_b32 s4, exec_lo
	ds_read_b128 v[14:17], v18 offset:1008
	s_clause 0x2
	buffer_load_dword v162, off, s[0:3], 0 offset:524
	buffer_load_dword v166, off, s[0:3], 0 offset:500
	;; [unrolled: 1-line block ×3, first 2 shown]
	ds_read_b128 v[19:22], v18 offset:1024
	s_clause 0x4
	buffer_load_dword v170, off, s[0:3], 0 offset:540
	buffer_load_dword v171, off, s[0:3], 0 offset:552
	;; [unrolled: 1-line block ×5, first 2 shown]
	ds_read_b128 v[27:30], v18 offset:1040
	s_waitcnt vmcnt(62) lgkmcnt(2)
	v_mul_f64 v[167:168], v[16:17], v[9:10]
	v_mul_f64 v[9:10], v[14:15], v[9:10]
	s_waitcnt vmcnt(60) lgkmcnt(1)
	v_mul_f64 v[174:175], v[21:22], v[23:24]
	v_mul_f64 v[23:24], v[19:20], v[23:24]
	s_waitcnt vmcnt(56) lgkmcnt(0)
	v_mul_f64 v[178:179], v[29:30], v[3:4]
	v_mul_f64 v[176:177], v[27:28], v[3:4]
	v_fma_f64 v[167:168], v[14:15], v[31:32], -v[167:168]
	v_fma_f64 v[9:10], v[16:17], v[31:32], v[9:10]
	s_clause 0x2
	buffer_load_dword v172, off, s[0:3], 0 offset:556
	buffer_load_dword v32, off, s[0:3], 0 offset:532
	;; [unrolled: 1-line block ×3, first 2 shown]
	s_waitcnt vmcnt(57)
	v_fma_f64 v[19:20], v[19:20], v[1:2], -v[174:175]
	ds_read_b128 v[14:17], v18 offset:1056
	v_fma_f64 v[21:22], v[21:22], v[1:2], v[23:24]
	s_clause 0x4
	buffer_load_dword v24, off, s[0:3], 0 offset:572
	buffer_load_dword v175, off, s[0:3], 0 offset:584
	;; [unrolled: 1-line block ×5, first 2 shown]
	s_waitcnt vmcnt(56)
	v_fma_f64 v[27:28], v[27:28], v[43:44], -v[178:179]
	ds_read_b128 v[1:4], v18 offset:1072
	v_fma_f64 v[29:30], v[29:30], v[43:44], v[176:177]
	s_clause 0x2
	buffer_load_dword v176, off, s[0:3], 0 offset:588
	buffer_load_dword v44, off, s[0:3], 0 offset:564
	;; [unrolled: 1-line block ×3, first 2 shown]
	v_add_f64 v[167:168], v[167:168], 0
	v_add_f64 v[9:10], v[9:10], 0
	s_waitcnt lgkmcnt(1)
	v_mul_f64 v[181:182], v[14:15], v[33:34]
	v_mul_f64 v[33:34], v[16:17], v[33:34]
	s_waitcnt vmcnt(58) lgkmcnt(0)
	v_mul_f64 v[177:178], v[1:2], v[35:36]
	v_mul_f64 v[35:36], v[3:4], v[35:36]
	v_add_f64 v[167:168], v[167:168], v[19:20]
	v_add_f64 v[9:10], v[9:10], v[21:22]
	ds_read_b128 v[19:22], v18 offset:1088
	s_waitcnt vmcnt(56)
	v_fma_f64 v[33:34], v[14:15], v[45:46], -v[33:34]
	v_fma_f64 v[45:46], v[16:17], v[45:46], v[181:182]
	s_waitcnt vmcnt(51)
	v_fma_f64 v[35:36], v[1:2], v[41:42], -v[35:36]
	s_waitcnt lgkmcnt(0)
	v_mul_f64 v[183:184], v[19:20], v[47:48]
	v_add_f64 v[27:28], v[167:168], v[27:28]
	v_add_f64 v[9:10], v[9:10], v[29:30]
	s_clause 0x4
	buffer_load_dword v30, off, s[0:3], 0 offset:604
	buffer_load_dword v167, off, s[0:3], 0 offset:616
	buffer_load_dword v182, off, s[0:3], 0 offset:608
	buffer_load_dword v29, off, s[0:3], 0 offset:600
	buffer_load_dword v181, off, s[0:3], 0 offset:580
	v_mul_f64 v[47:48], v[21:22], v[47:48]
	ds_read_b128 v[14:17], v18 offset:1104
	v_add_f64 v[27:28], v[27:28], v[33:34]
	v_fma_f64 v[33:34], v[3:4], v[41:42], v[177:178]
	v_add_f64 v[9:10], v[9:10], v[45:46]
	s_clause 0x2
	buffer_load_dword v168, off, s[0:3], 0 offset:620
	buffer_load_dword v42, off, s[0:3], 0 offset:596
	;; [unrolled: 1-line block ×3, first 2 shown]
	s_waitcnt vmcnt(58) lgkmcnt(0)
	v_mul_f64 v[45:46], v[14:15], v[53:54]
	v_mul_f64 v[53:54], v[16:17], v[53:54]
	s_waitcnt vmcnt(56)
	v_fma_f64 v[47:48], v[19:20], v[57:58], -v[47:48]
	ds_read_b128 v[1:4], v18 offset:1120
	v_add_f64 v[27:28], v[27:28], v[35:36]
	v_fma_f64 v[35:36], v[21:22], v[57:58], v[183:184]
	v_add_f64 v[9:10], v[9:10], v[33:34]
	s_clause 0x4
	buffer_load_dword v34, off, s[0:3], 0 offset:636
	buffer_load_dword v57, off, s[0:3], 0 offset:648
	;; [unrolled: 1-line block ×5, first 2 shown]
	ds_read_b128 v[19:22], v18 offset:1136
	s_waitcnt vmcnt(57) lgkmcnt(1)
	v_mul_f64 v[178:179], v[1:2], v[59:60]
	v_mul_f64 v[59:60], v[3:4], v[59:60]
	s_waitcnt vmcnt(56)
	v_fma_f64 v[53:54], v[14:15], v[55:56], -v[53:54]
	v_fma_f64 v[45:46], v[16:17], v[55:56], v[45:46]
	v_add_f64 v[27:28], v[27:28], v[47:48]
	v_add_f64 v[9:10], v[9:10], v[35:36]
	s_clause 0x2
	buffer_load_dword v58, off, s[0:3], 0 offset:652
	buffer_load_dword v36, off, s[0:3], 0 offset:628
	;; [unrolled: 1-line block ×3, first 2 shown]
	s_waitcnt vmcnt(58) lgkmcnt(0)
	v_mul_f64 v[55:56], v[21:22], v[61:62]
	ds_read_b128 v[14:17], v18 offset:1152
	s_waitcnt vmcnt(56)
	v_fma_f64 v[59:60], v[1:2], v[65:66], -v[59:60]
	v_mul_f64 v[47:48], v[19:20], v[61:62]
	v_add_f64 v[27:28], v[27:28], v[53:54]
	v_fma_f64 v[53:54], v[3:4], v[65:66], v[178:179]
	v_add_f64 v[9:10], v[9:10], v[45:46]
	s_clause 0x4
	buffer_load_dword v46, off, s[0:3], 0 offset:668
	buffer_load_dword v61, off, s[0:3], 0 offset:680
	buffer_load_dword v65, off, s[0:3], 0 offset:672
	buffer_load_dword v45, off, s[0:3], 0 offset:664
	buffer_load_dword v178, off, s[0:3], 0 offset:644
	s_waitcnt vmcnt(57) lgkmcnt(0)
	v_mul_f64 v[184:185], v[14:15], v[67:68]
	v_mul_f64 v[66:67], v[16:17], v[67:68]
	s_waitcnt vmcnt(56)
	v_fma_f64 v[55:56], v[19:20], v[63:64], -v[55:56]
	ds_read_b128 v[1:4], v18 offset:1168
	v_fma_f64 v[47:48], v[21:22], v[63:64], v[47:48]
	v_add_f64 v[27:28], v[27:28], v[59:60]
	v_add_f64 v[9:10], v[9:10], v[53:54]
	s_clause 0x2
	buffer_load_dword v62, off, s[0:3], 0 offset:684
	buffer_load_dword v54, off, s[0:3], 0 offset:660
	buffer_load_dword v53, off, s[0:3], 0 offset:656
	ds_read_b128 v[19:22], v18 offset:1184
	s_waitcnt vmcnt(58) lgkmcnt(1)
	v_mul_f64 v[63:64], v[3:4], v[73:74]
	s_waitcnt vmcnt(56)
	v_fma_f64 v[67:68], v[14:15], v[77:78], -v[66:67]
	v_mul_f64 v[59:60], v[1:2], v[73:74]
	v_add_f64 v[27:28], v[27:28], v[55:56]
	v_fma_f64 v[55:56], v[16:17], v[77:78], v[184:185]
	v_add_f64 v[9:10], v[9:10], v[47:48]
	s_clause 0x4
	buffer_load_dword v48, off, s[0:3], 0 offset:700
	buffer_load_dword v73, off, s[0:3], 0 offset:712
	buffer_load_dword v77, off, s[0:3], 0 offset:704
	buffer_load_dword v47, off, s[0:3], 0 offset:696
	buffer_load_dword v66, off, s[0:3], 0 offset:676
	s_waitcnt vmcnt(57) lgkmcnt(0)
	v_mul_f64 v[184:185], v[19:20], v[79:80]
	v_mul_f64 v[78:79], v[21:22], v[79:80]
	s_waitcnt vmcnt(56)
	v_fma_f64 v[63:64], v[1:2], v[75:76], -v[63:64]
	ds_read_b128 v[14:17], v18 offset:1200
	v_fma_f64 v[59:60], v[3:4], v[75:76], v[59:60]
	v_add_f64 v[27:28], v[27:28], v[67:68]
	v_add_f64 v[9:10], v[9:10], v[55:56]
	s_clause 0x2
	buffer_load_dword v74, off, s[0:3], 0 offset:716
	buffer_load_dword v56, off, s[0:3], 0 offset:692
	buffer_load_dword v55, off, s[0:3], 0 offset:688
	ds_read_b128 v[1:4], v18 offset:1216
	s_waitcnt vmcnt(58) lgkmcnt(1)
	v_mul_f64 v[75:76], v[16:17], v[153:154]
	;; [unrolled: 28-line block ×3, first 2 shown]
	s_waitcnt vmcnt(56)
	v_fma_f64 v[159:160], v[1:2], v[165:166], -v[158:159]
	v_mul_f64 v[79:80], v[19:20], v[161:162]
	buffer_load_dword v158, off, s[0:3], 0 offset:740
	v_add_f64 v[27:28], v[27:28], v[75:76]
	v_fma_f64 v[75:76], v[3:4], v[165:166], v[184:185]
	v_add_f64 v[9:10], v[9:10], v[67:68]
	ds_read_b128 v[1:4], v18 offset:1264
	s_waitcnt vmcnt(53) lgkmcnt(1)
	v_mul_f64 v[161:162], v[16:17], v[169:170]
	s_waitcnt vmcnt(52)
	v_fma_f64 v[155:156], v[19:20], v[163:164], -v[155:156]
	v_mul_f64 v[67:68], v[14:15], v[169:170]
	v_fma_f64 v[79:80], v[21:22], v[163:164], v[79:80]
	ds_read_b128 v[19:22], v18 offset:1280
	v_add_f64 v[27:28], v[27:28], v[159:160]
	v_add_f64 v[9:10], v[9:10], v[75:76]
	s_waitcnt vmcnt(51) lgkmcnt(1)
	v_mul_f64 v[159:160], v[3:4], v[171:172]
	v_mul_f64 v[75:76], v[1:2], v[171:172]
	s_waitcnt vmcnt(49)
	v_fma_f64 v[161:162], v[14:15], v[31:32], -v[161:162]
	v_fma_f64 v[31:32], v[16:17], v[31:32], v[67:68]
	v_add_f64 v[27:28], v[27:28], v[155:156]
	s_waitcnt vmcnt(45) lgkmcnt(0)
	v_mul_f64 v[155:156], v[19:20], v[23:24]
	v_add_f64 v[9:10], v[9:10], v[79:80]
	s_clause 0x3
	buffer_load_dword v67, off, s[0:3], 0 offset:272
	buffer_load_dword v68, off, s[0:3], 0 offset:276
	;; [unrolled: 1-line block ×4, first 2 shown]
	v_mul_f64 v[23:24], v[21:22], v[23:24]
	ds_read_b128 v[14:17], v18 offset:1296
	s_waitcnt vmcnt(48)
	v_fma_f64 v[159:160], v[1:2], v[173:174], -v[159:160]
	v_fma_f64 v[75:76], v[3:4], v[173:174], v[75:76]
	ds_read_b128 v[1:4], v18 offset:1312
	v_add_f64 v[27:28], v[27:28], v[161:162]
	v_add_f64 v[9:10], v[9:10], v[31:32]
	s_waitcnt vmcnt(47) lgkmcnt(1)
	v_mul_f64 v[161:162], v[16:17], v[175:176]
	s_waitcnt vmcnt(45)
	v_fma_f64 v[23:24], v[19:20], v[43:44], -v[23:24]
	v_mul_f64 v[31:32], v[14:15], v[175:176]
	v_fma_f64 v[43:44], v[21:22], v[43:44], v[155:156]
	ds_read_b128 v[19:22], v18 offset:1328
	v_add_f64 v[27:28], v[27:28], v[159:160]
	v_add_f64 v[9:10], v[9:10], v[75:76]
	s_waitcnt vmcnt(41) lgkmcnt(1)
	v_mul_f64 v[75:76], v[1:2], v[29:30]
	v_mul_f64 v[29:30], v[3:4], v[29:30]
	s_waitcnt vmcnt(40)
	v_fma_f64 v[155:156], v[14:15], v[180:181], -v[161:162]
	v_add_f64 v[23:24], v[27:28], v[23:24]
	v_fma_f64 v[27:28], v[16:17], v[180:181], v[31:32]
	v_add_f64 v[9:10], v[9:10], v[43:44]
	ds_read_b128 v[14:17], v18 offset:1344
	s_waitcnt vmcnt(39) lgkmcnt(1)
	v_mul_f64 v[43:44], v[21:22], v[167:168]
	v_mul_f64 v[31:32], v[19:20], v[167:168]
	s_waitcnt vmcnt(37)
	v_fma_f64 v[29:30], v[1:2], v[41:42], -v[29:30]
	v_fma_f64 v[41:42], v[3:4], v[41:42], v[75:76]
	ds_read_b128 v[1:4], v18 offset:1360
	v_add_f64 v[23:24], v[23:24], v[155:156]
	v_add_f64 v[9:10], v[9:10], v[27:28]
	s_waitcnt vmcnt(33) lgkmcnt(1)
	v_mul_f64 v[27:28], v[14:15], v[33:34]
	v_mul_f64 v[33:34], v[16:17], v[33:34]
	s_waitcnt vmcnt(32)
	v_fma_f64 v[43:44], v[19:20], v[182:183], -v[43:44]
	v_add_f64 v[23:24], v[23:24], v[29:30]
	v_fma_f64 v[29:30], v[21:22], v[182:183], v[31:32]
	v_add_f64 v[9:10], v[9:10], v[41:42]
	ds_read_b128 v[19:22], v18 offset:1376
	s_waitcnt vmcnt(31) lgkmcnt(1)
	v_mul_f64 v[41:42], v[3:4], v[57:58]
	v_mul_f64 v[31:32], v[1:2], v[57:58]
	s_waitcnt vmcnt(29)
	v_fma_f64 v[33:34], v[14:15], v[35:36], -v[33:34]
	v_fma_f64 v[27:28], v[16:17], v[35:36], v[27:28]
	ds_read_b128 v[14:17], v18 offset:1392
	v_add_f64 v[23:24], v[23:24], v[43:44]
	v_add_f64 v[9:10], v[9:10], v[29:30]
	s_waitcnt vmcnt(25) lgkmcnt(1)
	v_mul_f64 v[35:36], v[21:22], v[45:46]
	s_waitcnt vmcnt(24)
	v_fma_f64 v[41:42], v[1:2], v[177:178], -v[41:42]
	v_mul_f64 v[29:30], v[19:20], v[45:46]
	v_fma_f64 v[31:32], v[3:4], v[177:178], v[31:32]
	ds_read_b128 v[1:4], v18 offset:1408
	v_add_f64 v[23:24], v[23:24], v[33:34]
	v_add_f64 v[9:10], v[9:10], v[27:28]
	s_waitcnt vmcnt(23) lgkmcnt(1)
	v_mul_f64 v[33:34], v[16:17], v[61:62]
	v_mul_f64 v[27:28], v[14:15], v[61:62]
	s_waitcnt vmcnt(21)
	v_fma_f64 v[35:36], v[19:20], v[53:54], -v[35:36]
	v_fma_f64 v[29:30], v[21:22], v[53:54], v[29:30]
	ds_read_b128 v[19:22], v18 offset:1424
	v_add_f64 v[23:24], v[23:24], v[41:42]
	v_add_f64 v[9:10], v[9:10], v[31:32]
	s_waitcnt vmcnt(17) lgkmcnt(1)
	v_mul_f64 v[41:42], v[3:4], v[47:48]
	s_waitcnt vmcnt(16)
	v_fma_f64 v[33:34], v[14:15], v[65:66], -v[33:34]
	v_mul_f64 v[31:32], v[1:2], v[47:48]
	v_fma_f64 v[27:28], v[16:17], v[65:66], v[27:28]
	ds_read_b128 v[14:17], v18 offset:1440
	v_add_f64 v[23:24], v[23:24], v[35:36]
	v_add_f64 v[9:10], v[9:10], v[29:30]
	s_waitcnt vmcnt(15) lgkmcnt(1)
	v_mul_f64 v[35:36], v[21:22], v[73:74]
	v_mul_f64 v[29:30], v[19:20], v[73:74]
	s_waitcnt vmcnt(13)
	v_fma_f64 v[41:42], v[1:2], v[55:56], -v[41:42]
	v_fma_f64 v[31:32], v[3:4], v[55:56], v[31:32]
	ds_read_b128 v[1:4], v18 offset:1456
	v_add_f64 v[23:24], v[23:24], v[33:34]
	v_add_f64 v[9:10], v[9:10], v[27:28]
	s_waitcnt vmcnt(9) lgkmcnt(1)
	v_mul_f64 v[33:34], v[16:17], v[59:60]
	s_waitcnt vmcnt(8)
	v_fma_f64 v[19:20], v[19:20], v[77:78], -v[35:36]
	v_mul_f64 v[27:28], v[14:15], v[59:60]
	v_fma_f64 v[21:22], v[21:22], v[77:78], v[29:30]
	v_add_f64 v[23:24], v[23:24], v[41:42]
	v_add_f64 v[9:10], v[9:10], v[31:32]
	s_waitcnt vmcnt(7) lgkmcnt(0)
	v_mul_f64 v[31:32], v[3:4], v[153:154]
	v_mul_f64 v[29:30], v[1:2], v[153:154]
	s_waitcnt vmcnt(5)
	v_fma_f64 v[14:15], v[14:15], v[63:64], -v[33:34]
	v_fma_f64 v[16:17], v[16:17], v[63:64], v[27:28]
	v_add_f64 v[19:20], v[23:24], v[19:20]
	v_add_f64 v[9:10], v[9:10], v[21:22]
	s_waitcnt vmcnt(4)
	v_fma_f64 v[1:2], v[1:2], v[157:158], -v[31:32]
	v_fma_f64 v[3:4], v[3:4], v[157:158], v[29:30]
	v_add_f64 v[14:15], v[19:20], v[14:15]
	v_add_f64 v[9:10], v[9:10], v[16:17]
	;; [unrolled: 1-line block ×4, first 2 shown]
	s_waitcnt vmcnt(2)
	v_add_f64 v[1:2], v[67:68], -v[1:2]
	s_waitcnt vmcnt(0)
	v_add_f64 v[3:4], v[79:80], -v[3:4]
	buffer_store_dword v2, off, s[0:3], 0 offset:276
	buffer_store_dword v1, off, s[0:3], 0 offset:272
	;; [unrolled: 1-line block ×4, first 2 shown]
	v_cmpx_lt_u32_e32 15, v0
	s_cbranch_execz .LBB45_259
; %bb.258:
	v_mov_b32_e32 v4, s46
	s_clause 0x3
	buffer_load_dword v1, v4, s[0:3], 0 offen
	buffer_load_dword v2, v4, s[0:3], 0 offen offset:4
	buffer_load_dword v3, v4, s[0:3], 0 offen offset:8
	;; [unrolled: 1-line block ×3, first 2 shown]
	buffer_store_dword v18, off, s[0:3], 0 offset:256
	buffer_store_dword v18, off, s[0:3], 0 offset:260
	;; [unrolled: 1-line block ×4, first 2 shown]
	s_waitcnt vmcnt(0)
	ds_write_b128 v11, v[1:4]
.LBB45_259:
	s_or_b32 exec_lo, exec_lo, s4
	s_waitcnt lgkmcnt(0)
	s_waitcnt_vscnt null, 0x0
	s_barrier
	buffer_gl0_inv
	s_clause 0x37
	buffer_load_dword v16, off, s[0:3], 0 offset:280
	buffer_load_dword v17, off, s[0:3], 0 offset:284
	;; [unrolled: 1-line block ×56, first 2 shown]
	ds_read_b128 v[19:22], v18 offset:992
	s_clause 0x2
	buffer_load_dword v162, off, s[0:3], 0 offset:508
	buffer_load_dword v166, off, s[0:3], 0 offset:484
	;; [unrolled: 1-line block ×3, first 2 shown]
	ds_read_b128 v[27:30], v18 offset:1008
	s_clause 0x4
	buffer_load_dword v170, off, s[0:3], 0 offset:524
	buffer_load_dword v171, off, s[0:3], 0 offset:536
	buffer_load_dword v173, off, s[0:3], 0 offset:528
	buffer_load_dword v169, off, s[0:3], 0 offset:520
	buffer_load_dword v164, off, s[0:3], 0 offset:500
	ds_read_b128 v[31:34], v18 offset:1024
	s_mov_b32 s4, exec_lo
	s_waitcnt vmcnt(62) lgkmcnt(2)
	v_mul_f64 v[167:168], v[21:22], v[16:17]
	v_mul_f64 v[16:17], v[19:20], v[16:17]
	s_waitcnt vmcnt(60) lgkmcnt(1)
	v_mul_f64 v[174:175], v[29:30], v[9:10]
	v_mul_f64 v[9:10], v[27:28], v[9:10]
	;; [unrolled: 3-line block ×3, first 2 shown]
	v_fma_f64 v[19:20], v[19:20], v[14:15], -v[167:168]
	v_fma_f64 v[21:22], v[21:22], v[14:15], v[16:17]
	s_clause 0x2
	buffer_load_dword v172, off, s[0:3], 0 offset:540
	buffer_load_dword v168, off, s[0:3], 0 offset:516
	buffer_load_dword v167, off, s[0:3], 0 offset:512
	s_waitcnt vmcnt(57)
	v_fma_f64 v[27:28], v[27:28], v[1:2], -v[174:175]
	ds_read_b128 v[14:17], v18 offset:1040
	v_fma_f64 v[9:10], v[29:30], v[1:2], v[9:10]
	s_clause 0x4
	buffer_load_dword v30, off, s[0:3], 0 offset:556
	buffer_load_dword v175, off, s[0:3], 0 offset:568
	;; [unrolled: 1-line block ×5, first 2 shown]
	s_waitcnt vmcnt(56)
	v_fma_f64 v[31:32], v[31:32], v[43:44], -v[178:179]
	ds_read_b128 v[1:4], v18 offset:1056
	v_fma_f64 v[33:34], v[33:34], v[43:44], v[176:177]
	s_clause 0x2
	buffer_load_dword v176, off, s[0:3], 0 offset:572
	buffer_load_dword v44, off, s[0:3], 0 offset:548
	;; [unrolled: 1-line block ×3, first 2 shown]
	v_add_f64 v[19:20], v[19:20], 0
	v_add_f64 v[21:22], v[21:22], 0
	s_waitcnt lgkmcnt(1)
	v_mul_f64 v[181:182], v[14:15], v[23:24]
	v_mul_f64 v[23:24], v[16:17], v[23:24]
	s_waitcnt vmcnt(58) lgkmcnt(0)
	v_mul_f64 v[177:178], v[1:2], v[35:36]
	v_mul_f64 v[35:36], v[3:4], v[35:36]
	v_add_f64 v[27:28], v[19:20], v[27:28]
	v_add_f64 v[9:10], v[21:22], v[9:10]
	ds_read_b128 v[19:22], v18 offset:1072
	s_waitcnt vmcnt(56)
	v_fma_f64 v[23:24], v[14:15], v[45:46], -v[23:24]
	s_waitcnt vmcnt(51)
	v_fma_f64 v[35:36], v[1:2], v[41:42], -v[35:36]
	s_waitcnt lgkmcnt(0)
	v_mul_f64 v[183:184], v[19:20], v[47:48]
	v_add_f64 v[27:28], v[27:28], v[31:32]
	v_fma_f64 v[31:32], v[16:17], v[45:46], v[181:182]
	v_add_f64 v[9:10], v[9:10], v[33:34]
	s_clause 0x4
	buffer_load_dword v34, off, s[0:3], 0 offset:588
	buffer_load_dword v45, off, s[0:3], 0 offset:600
	;; [unrolled: 1-line block ×5, first 2 shown]
	v_mul_f64 v[47:48], v[21:22], v[47:48]
	ds_read_b128 v[14:17], v18 offset:1088
	v_add_f64 v[23:24], v[27:28], v[23:24]
	v_fma_f64 v[27:28], v[3:4], v[41:42], v[177:178]
	v_add_f64 v[9:10], v[9:10], v[31:32]
	s_clause 0x2
	buffer_load_dword v46, off, s[0:3], 0 offset:604
	buffer_load_dword v32, off, s[0:3], 0 offset:580
	;; [unrolled: 1-line block ×3, first 2 shown]
	s_waitcnt vmcnt(58) lgkmcnt(0)
	v_mul_f64 v[41:42], v[14:15], v[53:54]
	v_mul_f64 v[53:54], v[16:17], v[53:54]
	s_waitcnt vmcnt(56)
	v_fma_f64 v[47:48], v[19:20], v[57:58], -v[47:48]
	ds_read_b128 v[1:4], v18 offset:1104
	v_add_f64 v[23:24], v[23:24], v[35:36]
	v_fma_f64 v[35:36], v[21:22], v[57:58], v[183:184]
	v_add_f64 v[9:10], v[9:10], v[27:28]
	s_clause 0x4
	buffer_load_dword v28, off, s[0:3], 0 offset:620
	buffer_load_dword v57, off, s[0:3], 0 offset:632
	;; [unrolled: 1-line block ×5, first 2 shown]
	ds_read_b128 v[19:22], v18 offset:1120
	s_waitcnt vmcnt(57) lgkmcnt(1)
	v_mul_f64 v[178:179], v[1:2], v[59:60]
	v_mul_f64 v[59:60], v[3:4], v[59:60]
	s_waitcnt vmcnt(56)
	v_fma_f64 v[53:54], v[14:15], v[55:56], -v[53:54]
	v_fma_f64 v[41:42], v[16:17], v[55:56], v[41:42]
	v_add_f64 v[23:24], v[23:24], v[47:48]
	v_add_f64 v[9:10], v[9:10], v[35:36]
	s_clause 0x2
	buffer_load_dword v58, off, s[0:3], 0 offset:636
	buffer_load_dword v36, off, s[0:3], 0 offset:612
	;; [unrolled: 1-line block ×3, first 2 shown]
	s_waitcnt vmcnt(58) lgkmcnt(0)
	v_mul_f64 v[55:56], v[21:22], v[61:62]
	ds_read_b128 v[14:17], v18 offset:1136
	s_waitcnt vmcnt(56)
	v_fma_f64 v[59:60], v[1:2], v[65:66], -v[59:60]
	v_mul_f64 v[47:48], v[19:20], v[61:62]
	v_add_f64 v[23:24], v[23:24], v[53:54]
	v_fma_f64 v[53:54], v[3:4], v[65:66], v[178:179]
	v_add_f64 v[9:10], v[9:10], v[41:42]
	s_clause 0x4
	buffer_load_dword v42, off, s[0:3], 0 offset:652
	buffer_load_dword v61, off, s[0:3], 0 offset:664
	buffer_load_dword v65, off, s[0:3], 0 offset:656
	buffer_load_dword v41, off, s[0:3], 0 offset:648
	buffer_load_dword v178, off, s[0:3], 0 offset:628
	s_waitcnt vmcnt(57) lgkmcnt(0)
	v_mul_f64 v[184:185], v[14:15], v[67:68]
	v_mul_f64 v[66:67], v[16:17], v[67:68]
	s_waitcnt vmcnt(56)
	v_fma_f64 v[55:56], v[19:20], v[63:64], -v[55:56]
	ds_read_b128 v[1:4], v18 offset:1152
	v_fma_f64 v[47:48], v[21:22], v[63:64], v[47:48]
	v_add_f64 v[23:24], v[23:24], v[59:60]
	v_add_f64 v[9:10], v[9:10], v[53:54]
	s_clause 0x2
	buffer_load_dword v62, off, s[0:3], 0 offset:668
	buffer_load_dword v54, off, s[0:3], 0 offset:644
	buffer_load_dword v53, off, s[0:3], 0 offset:640
	ds_read_b128 v[19:22], v18 offset:1168
	s_waitcnt vmcnt(58) lgkmcnt(1)
	v_mul_f64 v[63:64], v[3:4], v[73:74]
	s_waitcnt vmcnt(56)
	v_fma_f64 v[67:68], v[14:15], v[77:78], -v[66:67]
	v_mul_f64 v[59:60], v[1:2], v[73:74]
	v_add_f64 v[23:24], v[23:24], v[55:56]
	v_fma_f64 v[55:56], v[16:17], v[77:78], v[184:185]
	v_add_f64 v[9:10], v[9:10], v[47:48]
	s_clause 0x4
	buffer_load_dword v48, off, s[0:3], 0 offset:684
	buffer_load_dword v73, off, s[0:3], 0 offset:696
	buffer_load_dword v77, off, s[0:3], 0 offset:688
	buffer_load_dword v47, off, s[0:3], 0 offset:680
	buffer_load_dword v66, off, s[0:3], 0 offset:660
	s_waitcnt vmcnt(57) lgkmcnt(0)
	v_mul_f64 v[184:185], v[19:20], v[79:80]
	v_mul_f64 v[78:79], v[21:22], v[79:80]
	s_waitcnt vmcnt(56)
	v_fma_f64 v[63:64], v[1:2], v[75:76], -v[63:64]
	ds_read_b128 v[14:17], v18 offset:1184
	v_fma_f64 v[59:60], v[3:4], v[75:76], v[59:60]
	v_add_f64 v[23:24], v[23:24], v[67:68]
	v_add_f64 v[9:10], v[9:10], v[55:56]
	s_clause 0x2
	buffer_load_dword v74, off, s[0:3], 0 offset:700
	buffer_load_dword v56, off, s[0:3], 0 offset:676
	buffer_load_dword v55, off, s[0:3], 0 offset:672
	ds_read_b128 v[1:4], v18 offset:1200
	s_waitcnt vmcnt(58) lgkmcnt(1)
	v_mul_f64 v[75:76], v[16:17], v[153:154]
	;; [unrolled: 28-line block ×3, first 2 shown]
	s_waitcnt vmcnt(56)
	v_fma_f64 v[159:160], v[1:2], v[165:166], -v[158:159]
	v_mul_f64 v[79:80], v[19:20], v[161:162]
	v_add_f64 v[23:24], v[23:24], v[75:76]
	v_fma_f64 v[75:76], v[3:4], v[165:166], v[184:185]
	v_add_f64 v[9:10], v[9:10], v[67:68]
	s_clause 0x2
	buffer_load_dword v68, off, s[0:3], 0 offset:748
	buffer_load_dword v67, off, s[0:3], 0 offset:744
	;; [unrolled: 1-line block ×3, first 2 shown]
	s_waitcnt vmcnt(55) lgkmcnt(0)
	v_mul_f64 v[165:166], v[16:17], v[169:170]
	s_waitcnt vmcnt(54)
	v_fma_f64 v[155:156], v[19:20], v[163:164], -v[155:156]
	ds_read_b128 v[1:4], v18 offset:1248
	v_mul_f64 v[161:162], v[14:15], v[169:170]
	v_fma_f64 v[79:80], v[21:22], v[163:164], v[79:80]
	v_add_f64 v[23:24], v[23:24], v[159:160]
	v_add_f64 v[9:10], v[9:10], v[75:76]
	s_clause 0x1
	buffer_load_dword v76, off, s[0:3], 0 offset:740
	buffer_load_dword v75, off, s[0:3], 0 offset:736
	ds_read_b128 v[19:22], v18 offset:1264
	s_waitcnt vmcnt(55) lgkmcnt(1)
	v_mul_f64 v[163:164], v[3:4], v[171:172]
	v_mul_f64 v[159:160], v[1:2], v[171:172]
	s_waitcnt vmcnt(53)
	v_fma_f64 v[165:166], v[14:15], v[167:168], -v[165:166]
	v_add_f64 v[23:24], v[23:24], v[155:156]
	v_fma_f64 v[155:156], v[16:17], v[167:168], v[161:162]
	v_add_f64 v[9:10], v[9:10], v[79:80]
	ds_read_b128 v[14:17], v18 offset:1280
	s_waitcnt vmcnt(49) lgkmcnt(1)
	v_mul_f64 v[79:80], v[19:20], v[29:30]
	v_mul_f64 v[29:30], v[21:22], v[29:30]
	s_waitcnt vmcnt(48)
	v_fma_f64 v[161:162], v[1:2], v[173:174], -v[163:164]
	v_fma_f64 v[159:160], v[3:4], v[173:174], v[159:160]
	v_add_f64 v[23:24], v[23:24], v[165:166]
	s_waitcnt vmcnt(47) lgkmcnt(0)
	v_mul_f64 v[167:168], v[16:17], v[175:176]
	v_add_f64 v[9:10], v[9:10], v[155:156]
	s_clause 0x3
	buffer_load_dword v155, off, s[0:3], 0 offset:256
	buffer_load_dword v156, off, s[0:3], 0 offset:260
	;; [unrolled: 1-line block ×4, first 2 shown]
	ds_read_b128 v[1:4], v18 offset:1296
	s_waitcnt vmcnt(49)
	v_fma_f64 v[29:30], v[19:20], v[43:44], -v[29:30]
	v_mul_f64 v[165:166], v[14:15], v[175:176]
	v_fma_f64 v[43:44], v[21:22], v[43:44], v[79:80]
	ds_read_b128 v[19:22], v18 offset:1312
	v_add_f64 v[23:24], v[23:24], v[161:162]
	v_add_f64 v[9:10], v[9:10], v[159:160]
	s_waitcnt vmcnt(45) lgkmcnt(1)
	v_mul_f64 v[79:80], v[1:2], v[33:34]
	v_mul_f64 v[33:34], v[3:4], v[33:34]
	s_waitcnt vmcnt(44)
	v_fma_f64 v[159:160], v[14:15], v[180:181], -v[167:168]
	v_add_f64 v[23:24], v[23:24], v[29:30]
	v_fma_f64 v[29:30], v[16:17], v[180:181], v[165:166]
	v_add_f64 v[9:10], v[9:10], v[43:44]
	ds_read_b128 v[14:17], v18 offset:1328
	s_waitcnt vmcnt(43) lgkmcnt(1)
	v_mul_f64 v[43:44], v[19:20], v[45:46]
	v_mul_f64 v[45:46], v[21:22], v[45:46]
	s_waitcnt vmcnt(41)
	v_fma_f64 v[33:34], v[1:2], v[31:32], -v[33:34]
	v_fma_f64 v[31:32], v[3:4], v[31:32], v[79:80]
	ds_read_b128 v[1:4], v18 offset:1344
	v_add_f64 v[23:24], v[23:24], v[159:160]
	v_add_f64 v[9:10], v[9:10], v[29:30]
	s_waitcnt vmcnt(37) lgkmcnt(1)
	v_mul_f64 v[29:30], v[14:15], v[27:28]
	v_mul_f64 v[27:28], v[16:17], v[27:28]
	s_waitcnt vmcnt(36)
	v_fma_f64 v[45:46], v[19:20], v[182:183], -v[45:46]
	v_add_f64 v[23:24], v[23:24], v[33:34]
	v_fma_f64 v[33:34], v[21:22], v[182:183], v[43:44]
	v_add_f64 v[9:10], v[9:10], v[31:32]
	ds_read_b128 v[19:22], v18 offset:1360
	s_waitcnt vmcnt(35) lgkmcnt(1)
	v_mul_f64 v[43:44], v[3:4], v[57:58]
	v_mul_f64 v[31:32], v[1:2], v[57:58]
	s_waitcnt vmcnt(33)
	v_fma_f64 v[27:28], v[14:15], v[35:36], -v[27:28]
	;; [unrolled: 18-line block ×3, first 2 shown]
	v_fma_f64 v[33:34], v[21:22], v[53:54], v[33:34]
	ds_read_b128 v[19:22], v18 offset:1408
	v_add_f64 v[23:24], v[23:24], v[41:42]
	v_add_f64 v[9:10], v[9:10], v[27:28]
	s_waitcnt vmcnt(21) lgkmcnt(1)
	v_mul_f64 v[41:42], v[3:4], v[47:48]
	s_waitcnt vmcnt(20)
	v_fma_f64 v[31:32], v[14:15], v[65:66], -v[31:32]
	v_mul_f64 v[27:28], v[1:2], v[47:48]
	v_fma_f64 v[29:30], v[16:17], v[65:66], v[29:30]
	ds_read_b128 v[14:17], v18 offset:1424
	v_add_f64 v[23:24], v[23:24], v[35:36]
	v_add_f64 v[9:10], v[9:10], v[33:34]
	s_waitcnt vmcnt(19) lgkmcnt(1)
	v_mul_f64 v[35:36], v[21:22], v[73:74]
	v_mul_f64 v[33:34], v[19:20], v[73:74]
	s_waitcnt vmcnt(17)
	v_fma_f64 v[41:42], v[1:2], v[55:56], -v[41:42]
	v_fma_f64 v[27:28], v[3:4], v[55:56], v[27:28]
	ds_read_b128 v[1:4], v18 offset:1440
	v_add_f64 v[23:24], v[23:24], v[31:32]
	v_add_f64 v[9:10], v[9:10], v[29:30]
	s_waitcnt vmcnt(13) lgkmcnt(1)
	v_mul_f64 v[31:32], v[16:17], v[59:60]
	s_waitcnt vmcnt(12)
	v_fma_f64 v[35:36], v[19:20], v[77:78], -v[35:36]
	v_mul_f64 v[29:30], v[14:15], v[59:60]
	v_fma_f64 v[33:34], v[21:22], v[77:78], v[33:34]
	ds_read_b128 v[18:21], v18 offset:1456
	v_add_f64 v[23:24], v[23:24], v[41:42]
	v_add_f64 v[9:10], v[9:10], v[27:28]
	s_waitcnt vmcnt(11) lgkmcnt(1)
	v_mul_f64 v[41:42], v[3:4], v[153:154]
	v_mul_f64 v[27:28], v[1:2], v[153:154]
	s_waitcnt vmcnt(9)
	v_fma_f64 v[14:15], v[14:15], v[63:64], -v[31:32]
	v_fma_f64 v[16:17], v[16:17], v[63:64], v[29:30]
	v_add_f64 v[22:23], v[23:24], v[35:36]
	v_add_f64 v[9:10], v[9:10], v[33:34]
	s_waitcnt vmcnt(7) lgkmcnt(0)
	v_mul_f64 v[31:32], v[20:21], v[67:68]
	s_waitcnt vmcnt(6)
	v_fma_f64 v[1:2], v[1:2], v[157:158], -v[41:42]
	v_mul_f64 v[29:30], v[18:19], v[67:68]
	v_fma_f64 v[3:4], v[3:4], v[157:158], v[27:28]
	v_add_f64 v[14:15], v[22:23], v[14:15]
	v_add_f64 v[9:10], v[9:10], v[16:17]
	s_waitcnt vmcnt(4)
	v_fma_f64 v[16:17], v[18:19], v[75:76], -v[31:32]
	v_add_f64 v[1:2], v[14:15], v[1:2]
	v_fma_f64 v[14:15], v[20:21], v[75:76], v[29:30]
	v_add_f64 v[3:4], v[9:10], v[3:4]
	v_add_f64 v[1:2], v[1:2], v[16:17]
	;; [unrolled: 1-line block ×3, first 2 shown]
	s_waitcnt vmcnt(2)
	v_add_f64 v[1:2], v[155:156], -v[1:2]
	s_waitcnt vmcnt(0)
	v_add_f64 v[3:4], v[163:164], -v[3:4]
	buffer_store_dword v2, off, s[0:3], 0 offset:260
	buffer_store_dword v1, off, s[0:3], 0 offset:256
	;; [unrolled: 1-line block ×4, first 2 shown]
	v_cmpx_lt_u32_e32 14, v0
	s_cbranch_execz .LBB45_261
; %bb.260:
	v_mov_b32_e32 v4, s48
	v_mov_b32_e32 v9, 0
	s_clause 0x3
	buffer_load_dword v1, v4, s[0:3], 0 offen
	buffer_load_dword v2, v4, s[0:3], 0 offen offset:4
	buffer_load_dword v3, v4, s[0:3], 0 offen offset:8
	;; [unrolled: 1-line block ×3, first 2 shown]
	buffer_store_dword v9, off, s[0:3], 0 offset:240
	buffer_store_dword v9, off, s[0:3], 0 offset:244
	;; [unrolled: 1-line block ×4, first 2 shown]
	s_waitcnt vmcnt(0)
	ds_write_b128 v11, v[1:4]
.LBB45_261:
	s_or_b32 exec_lo, exec_lo, s4
	s_waitcnt lgkmcnt(0)
	s_waitcnt_vscnt null, 0x0
	s_barrier
	buffer_gl0_inv
	s_clause 0x37
	buffer_load_dword v16, off, s[0:3], 0 offset:264
	buffer_load_dword v17, off, s[0:3], 0 offset:268
	;; [unrolled: 1-line block ×56, first 2 shown]
	v_mov_b32_e32 v24, 0
	s_mov_b32 s4, exec_lo
	ds_read_b128 v[27:30], v24 offset:976
	s_clause 0x2
	buffer_load_dword v162, off, s[0:3], 0 offset:492
	buffer_load_dword v166, off, s[0:3], 0 offset:468
	;; [unrolled: 1-line block ×3, first 2 shown]
	ds_read_b128 v[31:34], v24 offset:992
	s_clause 0x4
	buffer_load_dword v170, off, s[0:3], 0 offset:508
	buffer_load_dword v171, off, s[0:3], 0 offset:520
	;; [unrolled: 1-line block ×5, first 2 shown]
	ds_read_b128 v[41:44], v24 offset:1008
	s_waitcnt vmcnt(62) lgkmcnt(2)
	v_mul_f64 v[167:168], v[29:30], v[16:17]
	v_mul_f64 v[16:17], v[27:28], v[16:17]
	s_waitcnt vmcnt(60) lgkmcnt(1)
	v_mul_f64 v[174:175], v[33:34], v[9:10]
	v_mul_f64 v[9:10], v[31:32], v[9:10]
	;; [unrolled: 3-line block ×3, first 2 shown]
	v_fma_f64 v[27:28], v[27:28], v[14:15], -v[167:168]
	v_fma_f64 v[29:30], v[29:30], v[14:15], v[16:17]
	s_clause 0x2
	buffer_load_dword v172, off, s[0:3], 0 offset:524
	buffer_load_dword v168, off, s[0:3], 0 offset:500
	;; [unrolled: 1-line block ×3, first 2 shown]
	s_waitcnt vmcnt(57)
	v_fma_f64 v[31:32], v[31:32], v[1:2], -v[174:175]
	ds_read_b128 v[14:17], v24 offset:1024
	v_fma_f64 v[9:10], v[33:34], v[1:2], v[9:10]
	s_clause 0x4
	buffer_load_dword v34, off, s[0:3], 0 offset:540
	buffer_load_dword v175, off, s[0:3], 0 offset:552
	;; [unrolled: 1-line block ×5, first 2 shown]
	s_waitcnt vmcnt(56)
	v_fma_f64 v[41:42], v[41:42], v[45:46], -v[178:179]
	ds_read_b128 v[1:4], v24 offset:1040
	v_fma_f64 v[43:44], v[43:44], v[45:46], v[176:177]
	s_clause 0x2
	buffer_load_dword v176, off, s[0:3], 0 offset:556
	buffer_load_dword v46, off, s[0:3], 0 offset:532
	;; [unrolled: 1-line block ×3, first 2 shown]
	v_add_f64 v[27:28], v[27:28], 0
	v_add_f64 v[29:30], v[29:30], 0
	s_waitcnt lgkmcnt(1)
	v_mul_f64 v[181:182], v[14:15], v[20:21]
	v_mul_f64 v[20:21], v[16:17], v[20:21]
	s_waitcnt vmcnt(58) lgkmcnt(0)
	v_mul_f64 v[177:178], v[1:2], v[35:36]
	v_mul_f64 v[35:36], v[3:4], v[35:36]
	v_add_f64 v[31:32], v[27:28], v[31:32]
	v_add_f64 v[9:10], v[29:30], v[9:10]
	ds_read_b128 v[27:30], v24 offset:1056
	s_waitcnt vmcnt(56)
	v_fma_f64 v[20:21], v[14:15], v[47:48], -v[20:21]
	s_waitcnt vmcnt(51)
	v_fma_f64 v[35:36], v[1:2], v[18:19], -v[35:36]
	v_fma_f64 v[18:19], v[3:4], v[18:19], v[177:178]
	s_waitcnt lgkmcnt(0)
	v_mul_f64 v[183:184], v[27:28], v[53:54]
	v_add_f64 v[31:32], v[31:32], v[41:42]
	v_fma_f64 v[41:42], v[16:17], v[47:48], v[181:182]
	v_add_f64 v[9:10], v[9:10], v[43:44]
	s_clause 0x4
	buffer_load_dword v44, off, s[0:3], 0 offset:572
	buffer_load_dword v47, off, s[0:3], 0 offset:584
	buffer_load_dword v182, off, s[0:3], 0 offset:576
	buffer_load_dword v43, off, s[0:3], 0 offset:568
	buffer_load_dword v181, off, s[0:3], 0 offset:548
	v_mul_f64 v[53:54], v[29:30], v[53:54]
	ds_read_b128 v[14:17], v24 offset:1072
	s_waitcnt vmcnt(53)
	v_fma_f64 v[29:30], v[29:30], v[57:58], v[183:184]
	v_add_f64 v[20:21], v[31:32], v[20:21]
	s_clause 0x2
	buffer_load_dword v48, off, s[0:3], 0 offset:588
	buffer_load_dword v32, off, s[0:3], 0 offset:564
	;; [unrolled: 1-line block ×3, first 2 shown]
	v_add_f64 v[9:10], v[9:10], v[41:42]
	s_waitcnt lgkmcnt(0)
	v_mul_f64 v[41:42], v[14:15], v[55:56]
	v_mul_f64 v[55:56], v[16:17], v[55:56]
	v_fma_f64 v[27:28], v[27:28], v[57:58], -v[53:54]
	ds_read_b128 v[1:4], v24 offset:1088
	s_clause 0x4
	buffer_load_dword v54, off, s[0:3], 0 offset:604
	buffer_load_dword v57, off, s[0:3], 0 offset:616
	;; [unrolled: 1-line block ×5, first 2 shown]
	v_add_f64 v[35:36], v[20:21], v[35:36]
	v_add_f64 v[9:10], v[9:10], v[18:19]
	ds_read_b128 v[18:21], v24 offset:1104
	s_waitcnt vmcnt(57) lgkmcnt(1)
	v_mul_f64 v[178:179], v[1:2], v[59:60]
	v_mul_f64 v[59:60], v[3:4], v[59:60]
	s_waitcnt vmcnt(56)
	v_fma_f64 v[55:56], v[14:15], v[22:23], -v[55:56]
	v_fma_f64 v[22:23], v[16:17], v[22:23], v[41:42]
	v_add_f64 v[27:28], v[35:36], v[27:28]
	s_waitcnt vmcnt(55) lgkmcnt(0)
	v_mul_f64 v[41:42], v[20:21], v[61:62]
	v_add_f64 v[9:10], v[9:10], v[29:30]
	s_clause 0x2
	buffer_load_dword v58, off, s[0:3], 0 offset:620
	buffer_load_dword v30, off, s[0:3], 0 offset:596
	buffer_load_dword v29, off, s[0:3], 0 offset:592
	ds_read_b128 v[14:17], v24 offset:1120
	s_waitcnt vmcnt(56)
	v_fma_f64 v[59:60], v[1:2], v[65:66], -v[59:60]
	v_mul_f64 v[35:36], v[18:19], v[61:62]
	v_add_f64 v[27:28], v[27:28], v[55:56]
	v_fma_f64 v[55:56], v[3:4], v[65:66], v[178:179]
	v_add_f64 v[9:10], v[9:10], v[22:23]
	s_clause 0x4
	buffer_load_dword v23, off, s[0:3], 0 offset:636
	buffer_load_dword v61, off, s[0:3], 0 offset:648
	buffer_load_dword v65, off, s[0:3], 0 offset:640
	buffer_load_dword v22, off, s[0:3], 0 offset:632
	buffer_load_dword v178, off, s[0:3], 0 offset:612
	s_waitcnt vmcnt(57) lgkmcnt(0)
	v_mul_f64 v[184:185], v[14:15], v[67:68]
	v_mul_f64 v[66:67], v[16:17], v[67:68]
	s_waitcnt vmcnt(56)
	v_fma_f64 v[41:42], v[18:19], v[63:64], -v[41:42]
	ds_read_b128 v[1:4], v24 offset:1136
	v_fma_f64 v[35:36], v[20:21], v[63:64], v[35:36]
	v_add_f64 v[27:28], v[27:28], v[59:60]
	v_add_f64 v[9:10], v[9:10], v[55:56]
	s_clause 0x2
	buffer_load_dword v62, off, s[0:3], 0 offset:652
	buffer_load_dword v56, off, s[0:3], 0 offset:628
	buffer_load_dword v55, off, s[0:3], 0 offset:624
	ds_read_b128 v[18:21], v24 offset:1152
	s_waitcnt vmcnt(58) lgkmcnt(1)
	v_mul_f64 v[63:64], v[3:4], v[73:74]
	s_waitcnt vmcnt(56)
	v_fma_f64 v[67:68], v[14:15], v[77:78], -v[66:67]
	v_mul_f64 v[59:60], v[1:2], v[73:74]
	v_add_f64 v[27:28], v[27:28], v[41:42]
	v_fma_f64 v[41:42], v[16:17], v[77:78], v[184:185]
	v_add_f64 v[9:10], v[9:10], v[35:36]
	s_clause 0x4
	buffer_load_dword v36, off, s[0:3], 0 offset:668
	buffer_load_dword v73, off, s[0:3], 0 offset:680
	buffer_load_dword v77, off, s[0:3], 0 offset:672
	buffer_load_dword v35, off, s[0:3], 0 offset:664
	buffer_load_dword v66, off, s[0:3], 0 offset:644
	s_waitcnt vmcnt(57) lgkmcnt(0)
	v_mul_f64 v[184:185], v[18:19], v[79:80]
	v_mul_f64 v[78:79], v[20:21], v[79:80]
	s_waitcnt vmcnt(56)
	v_fma_f64 v[63:64], v[1:2], v[75:76], -v[63:64]
	ds_read_b128 v[14:17], v24 offset:1168
	v_fma_f64 v[59:60], v[3:4], v[75:76], v[59:60]
	v_add_f64 v[27:28], v[27:28], v[67:68]
	v_add_f64 v[9:10], v[9:10], v[41:42]
	s_clause 0x2
	buffer_load_dword v74, off, s[0:3], 0 offset:684
	buffer_load_dword v42, off, s[0:3], 0 offset:660
	buffer_load_dword v41, off, s[0:3], 0 offset:656
	ds_read_b128 v[1:4], v24 offset:1184
	s_waitcnt vmcnt(58) lgkmcnt(1)
	v_mul_f64 v[75:76], v[16:17], v[153:154]
	;; [unrolled: 28-line block ×3, first 2 shown]
	s_waitcnt vmcnt(56)
	v_fma_f64 v[159:160], v[1:2], v[165:166], -v[158:159]
	v_mul_f64 v[79:80], v[18:19], v[161:162]
	v_add_f64 v[27:28], v[27:28], v[75:76]
	v_fma_f64 v[75:76], v[3:4], v[165:166], v[184:185]
	v_add_f64 v[9:10], v[9:10], v[67:68]
	s_clause 0x4
	buffer_load_dword v68, off, s[0:3], 0 offset:732
	buffer_load_dword v161, off, s[0:3], 0 offset:744
	buffer_load_dword v165, off, s[0:3], 0 offset:736
	buffer_load_dword v67, off, s[0:3], 0 offset:728
	buffer_load_dword v158, off, s[0:3], 0 offset:708
	s_waitcnt vmcnt(57) lgkmcnt(0)
	v_mul_f64 v[184:185], v[14:15], v[169:170]
	v_mul_f64 v[169:170], v[16:17], v[169:170]
	s_waitcnt vmcnt(56)
	v_fma_f64 v[155:156], v[18:19], v[163:164], -v[155:156]
	ds_read_b128 v[1:4], v24 offset:1232
	v_fma_f64 v[79:80], v[20:21], v[163:164], v[79:80]
	v_add_f64 v[27:28], v[27:28], v[159:160]
	v_add_f64 v[9:10], v[9:10], v[75:76]
	s_clause 0x2
	buffer_load_dword v162, off, s[0:3], 0 offset:748
	buffer_load_dword v76, off, s[0:3], 0 offset:724
	;; [unrolled: 1-line block ×3, first 2 shown]
	ds_read_b128 v[18:21], v24 offset:1248
	buffer_load_dword v166, off, s[0:3], 0 offset:740
	s_waitcnt vmcnt(59) lgkmcnt(1)
	v_mul_f64 v[163:164], v[3:4], v[171:172]
	v_mul_f64 v[159:160], v[1:2], v[171:172]
	s_waitcnt vmcnt(57)
	v_fma_f64 v[169:170], v[14:15], v[167:168], -v[169:170]
	v_add_f64 v[27:28], v[27:28], v[155:156]
	v_fma_f64 v[155:156], v[16:17], v[167:168], v[184:185]
	v_add_f64 v[9:10], v[9:10], v[79:80]
	ds_read_b128 v[14:17], v24 offset:1264
	s_waitcnt vmcnt(53) lgkmcnt(1)
	v_mul_f64 v[79:80], v[18:19], v[33:34]
	v_mul_f64 v[33:34], v[20:21], v[33:34]
	s_waitcnt vmcnt(52)
	v_fma_f64 v[163:164], v[1:2], v[173:174], -v[163:164]
	v_fma_f64 v[159:160], v[3:4], v[173:174], v[159:160]
	ds_read_b128 v[1:4], v24 offset:1280
	v_add_f64 v[27:28], v[27:28], v[169:170]
	s_waitcnt vmcnt(51) lgkmcnt(1)
	v_mul_f64 v[167:168], v[16:17], v[175:176]
	v_add_f64 v[9:10], v[9:10], v[155:156]
	v_mul_f64 v[155:156], v[14:15], v[175:176]
	s_waitcnt vmcnt(49)
	v_fma_f64 v[33:34], v[18:19], v[45:46], -v[33:34]
	v_fma_f64 v[45:46], v[20:21], v[45:46], v[79:80]
	v_add_f64 v[27:28], v[27:28], v[163:164]
	v_add_f64 v[9:10], v[9:10], v[159:160]
	s_clause 0x3
	buffer_load_dword v79, off, s[0:3], 0 offset:240
	buffer_load_dword v80, off, s[0:3], 0 offset:244
	buffer_load_dword v159, off, s[0:3], 0 offset:248
	buffer_load_dword v160, off, s[0:3], 0 offset:252
	ds_read_b128 v[18:21], v24 offset:1296
	s_waitcnt vmcnt(49) lgkmcnt(1)
	v_mul_f64 v[163:164], v[1:2], v[43:44]
	v_mul_f64 v[43:44], v[3:4], v[43:44]
	s_waitcnt vmcnt(48)
	v_fma_f64 v[167:168], v[14:15], v[180:181], -v[167:168]
	v_add_f64 v[27:28], v[27:28], v[33:34]
	v_fma_f64 v[33:34], v[16:17], v[180:181], v[155:156]
	v_add_f64 v[9:10], v[9:10], v[45:46]
	ds_read_b128 v[14:17], v24 offset:1312
	s_waitcnt vmcnt(47) lgkmcnt(1)
	v_mul_f64 v[45:46], v[18:19], v[47:48]
	v_mul_f64 v[47:48], v[20:21], v[47:48]
	s_waitcnt vmcnt(45)
	v_fma_f64 v[43:44], v[1:2], v[31:32], -v[43:44]
	v_fma_f64 v[31:32], v[3:4], v[31:32], v[163:164]
	ds_read_b128 v[1:4], v24 offset:1328
	v_add_f64 v[27:28], v[27:28], v[167:168]
	v_add_f64 v[9:10], v[9:10], v[33:34]
	s_waitcnt vmcnt(41) lgkmcnt(1)
	v_mul_f64 v[33:34], v[14:15], v[53:54]
	v_mul_f64 v[53:54], v[16:17], v[53:54]
	s_waitcnt vmcnt(40)
	v_fma_f64 v[47:48], v[18:19], v[182:183], -v[47:48]
	v_add_f64 v[27:28], v[27:28], v[43:44]
	v_fma_f64 v[43:44], v[20:21], v[182:183], v[45:46]
	v_add_f64 v[9:10], v[9:10], v[31:32]
	ds_read_b128 v[18:21], v24 offset:1344
	s_waitcnt vmcnt(39) lgkmcnt(1)
	v_mul_f64 v[45:46], v[3:4], v[57:58]
	v_mul_f64 v[31:32], v[1:2], v[57:58]
	s_waitcnt vmcnt(37)
	v_fma_f64 v[53:54], v[14:15], v[29:30], -v[53:54]
	v_fma_f64 v[29:30], v[16:17], v[29:30], v[33:34]
	ds_read_b128 v[14:17], v24 offset:1360
	v_add_f64 v[27:28], v[27:28], v[47:48]
	v_add_f64 v[9:10], v[9:10], v[43:44]
	s_waitcnt vmcnt(33) lgkmcnt(1)
	v_mul_f64 v[33:34], v[18:19], v[22:23]
	v_mul_f64 v[22:23], v[20:21], v[22:23]
	s_waitcnt vmcnt(32)
	v_fma_f64 v[43:44], v[1:2], v[177:178], -v[45:46]
	v_fma_f64 v[31:32], v[3:4], v[177:178], v[31:32]
	ds_read_b128 v[1:4], v24 offset:1376
	v_add_f64 v[27:28], v[27:28], v[53:54]
	v_add_f64 v[9:10], v[9:10], v[29:30]
	;; [unrolled: 9-line block ×3, first 2 shown]
	s_waitcnt vmcnt(25) lgkmcnt(1)
	v_mul_f64 v[31:32], v[1:2], v[35:36]
	v_mul_f64 v[35:36], v[3:4], v[35:36]
	s_waitcnt vmcnt(24)
	v_fma_f64 v[43:44], v[14:15], v[65:66], -v[45:46]
	v_add_f64 v[22:23], v[27:28], v[22:23]
	v_fma_f64 v[27:28], v[16:17], v[65:66], v[29:30]
	v_add_f64 v[9:10], v[9:10], v[33:34]
	ds_read_b128 v[14:17], v24 offset:1408
	s_waitcnt vmcnt(23) lgkmcnt(1)
	v_mul_f64 v[33:34], v[20:21], v[73:74]
	v_mul_f64 v[29:30], v[18:19], v[73:74]
	s_waitcnt vmcnt(21)
	v_fma_f64 v[35:36], v[1:2], v[41:42], -v[35:36]
	v_fma_f64 v[31:32], v[3:4], v[41:42], v[31:32]
	ds_read_b128 v[1:4], v24 offset:1424
	v_add_f64 v[22:23], v[22:23], v[43:44]
	v_add_f64 v[9:10], v[9:10], v[27:28]
	s_waitcnt vmcnt(17) lgkmcnt(1)
	v_mul_f64 v[41:42], v[16:17], v[59:60]
	s_waitcnt vmcnt(16)
	v_fma_f64 v[33:34], v[18:19], v[77:78], -v[33:34]
	v_mul_f64 v[27:28], v[14:15], v[59:60]
	v_fma_f64 v[29:30], v[20:21], v[77:78], v[29:30]
	ds_read_b128 v[18:21], v24 offset:1440
	v_add_f64 v[22:23], v[22:23], v[35:36]
	v_add_f64 v[9:10], v[9:10], v[31:32]
	s_waitcnt vmcnt(15) lgkmcnt(1)
	v_mul_f64 v[35:36], v[3:4], v[153:154]
	v_mul_f64 v[31:32], v[1:2], v[153:154]
	s_waitcnt vmcnt(13)
	v_fma_f64 v[41:42], v[14:15], v[63:64], -v[41:42]
	v_fma_f64 v[27:28], v[16:17], v[63:64], v[27:28]
	ds_read_b128 v[14:17], v24 offset:1456
	v_add_f64 v[22:23], v[22:23], v[33:34]
	v_add_f64 v[9:10], v[9:10], v[29:30]
	s_waitcnt vmcnt(9) lgkmcnt(1)
	v_mul_f64 v[33:34], v[20:21], v[67:68]
	s_waitcnt vmcnt(8)
	v_fma_f64 v[1:2], v[1:2], v[157:158], -v[35:36]
	v_mul_f64 v[29:30], v[18:19], v[67:68]
	v_fma_f64 v[3:4], v[3:4], v[157:158], v[31:32]
	v_add_f64 v[22:23], v[22:23], v[41:42]
	v_add_f64 v[9:10], v[9:10], v[27:28]
	s_waitcnt vmcnt(7) lgkmcnt(0)
	v_mul_f64 v[31:32], v[16:17], v[161:162]
	v_mul_f64 v[27:28], v[14:15], v[161:162]
	s_waitcnt vmcnt(5)
	v_fma_f64 v[18:19], v[18:19], v[75:76], -v[33:34]
	v_fma_f64 v[20:21], v[20:21], v[75:76], v[29:30]
	v_add_f64 v[1:2], v[22:23], v[1:2]
	v_add_f64 v[3:4], v[9:10], v[3:4]
	s_waitcnt vmcnt(4)
	v_fma_f64 v[9:10], v[14:15], v[165:166], -v[31:32]
	v_fma_f64 v[14:15], v[16:17], v[165:166], v[27:28]
	v_add_f64 v[1:2], v[1:2], v[18:19]
	v_add_f64 v[3:4], v[3:4], v[20:21]
	;; [unrolled: 1-line block ×4, first 2 shown]
	s_waitcnt vmcnt(2)
	v_add_f64 v[1:2], v[79:80], -v[1:2]
	s_waitcnt vmcnt(0)
	v_add_f64 v[3:4], v[159:160], -v[3:4]
	buffer_store_dword v2, off, s[0:3], 0 offset:244
	buffer_store_dword v1, off, s[0:3], 0 offset:240
	;; [unrolled: 1-line block ×4, first 2 shown]
	v_cmpx_lt_u32_e32 13, v0
	s_cbranch_execz .LBB45_263
; %bb.262:
	v_mov_b32_e32 v4, s50
	s_clause 0x3
	buffer_load_dword v1, v4, s[0:3], 0 offen
	buffer_load_dword v2, v4, s[0:3], 0 offen offset:4
	buffer_load_dword v3, v4, s[0:3], 0 offen offset:8
	;; [unrolled: 1-line block ×3, first 2 shown]
	buffer_store_dword v24, off, s[0:3], 0 offset:224
	buffer_store_dword v24, off, s[0:3], 0 offset:228
	buffer_store_dword v24, off, s[0:3], 0 offset:232
	buffer_store_dword v24, off, s[0:3], 0 offset:236
	s_waitcnt vmcnt(0)
	ds_write_b128 v11, v[1:4]
.LBB45_263:
	s_or_b32 exec_lo, exec_lo, s4
	s_waitcnt lgkmcnt(0)
	s_waitcnt_vscnt null, 0x0
	s_barrier
	buffer_gl0_inv
	s_clause 0x37
	buffer_load_dword v16, off, s[0:3], 0 offset:248
	buffer_load_dword v17, off, s[0:3], 0 offset:252
	;; [unrolled: 1-line block ×56, first 2 shown]
	ds_read_b128 v[43:46], v24 offset:960
	s_clause 0x2
	buffer_load_dword v162, off, s[0:3], 0 offset:476
	buffer_load_dword v166, off, s[0:3], 0 offset:452
	;; [unrolled: 1-line block ×3, first 2 shown]
	ds_read_b128 v[53:56], v24 offset:976
	s_clause 0x4
	buffer_load_dword v170, off, s[0:3], 0 offset:492
	buffer_load_dword v171, off, s[0:3], 0 offset:504
	;; [unrolled: 1-line block ×5, first 2 shown]
	ds_read_b128 v[57:60], v24 offset:992
	s_mov_b32 s4, exec_lo
	s_waitcnt vmcnt(62) lgkmcnt(2)
	v_mul_f64 v[167:168], v[45:46], v[16:17]
	v_mul_f64 v[16:17], v[43:44], v[16:17]
	s_waitcnt vmcnt(60) lgkmcnt(1)
	v_mul_f64 v[174:175], v[55:56], v[9:10]
	v_mul_f64 v[9:10], v[53:54], v[9:10]
	;; [unrolled: 3-line block ×3, first 2 shown]
	v_fma_f64 v[43:44], v[43:44], v[14:15], -v[167:168]
	v_fma_f64 v[45:46], v[45:46], v[14:15], v[16:17]
	s_clause 0x2
	buffer_load_dword v172, off, s[0:3], 0 offset:508
	buffer_load_dword v168, off, s[0:3], 0 offset:484
	;; [unrolled: 1-line block ×3, first 2 shown]
	s_waitcnt vmcnt(57)
	v_fma_f64 v[53:54], v[53:54], v[1:2], -v[174:175]
	ds_read_b128 v[14:17], v24 offset:1008
	v_fma_f64 v[9:10], v[55:56], v[1:2], v[9:10]
	s_clause 0x4
	buffer_load_dword v56, off, s[0:3], 0 offset:524
	buffer_load_dword v175, off, s[0:3], 0 offset:536
	;; [unrolled: 1-line block ×5, first 2 shown]
	s_waitcnt vmcnt(56)
	v_fma_f64 v[57:58], v[57:58], v[35:36], -v[178:179]
	ds_read_b128 v[1:4], v24 offset:1024
	v_fma_f64 v[35:36], v[59:60], v[35:36], v[176:177]
	s_clause 0x2
	buffer_load_dword v176, off, s[0:3], 0 offset:540
	buffer_load_dword v60, off, s[0:3], 0 offset:516
	buffer_load_dword v59, off, s[0:3], 0 offset:512
	v_add_f64 v[43:44], v[43:44], 0
	v_add_f64 v[45:46], v[45:46], 0
	s_waitcnt lgkmcnt(1)
	v_mul_f64 v[181:182], v[14:15], v[20:21]
	v_mul_f64 v[20:21], v[16:17], v[20:21]
	s_waitcnt vmcnt(58) lgkmcnt(0)
	v_mul_f64 v[177:178], v[1:2], v[27:28]
	v_mul_f64 v[27:28], v[3:4], v[27:28]
	v_add_f64 v[53:54], v[43:44], v[53:54]
	v_add_f64 v[9:10], v[45:46], v[9:10]
	ds_read_b128 v[43:46], v24 offset:1040
	s_waitcnt vmcnt(56)
	v_fma_f64 v[20:21], v[14:15], v[29:30], -v[20:21]
	v_fma_f64 v[29:30], v[16:17], v[29:30], v[181:182]
	s_waitcnt vmcnt(51)
	v_fma_f64 v[27:28], v[1:2], v[18:19], -v[27:28]
	v_fma_f64 v[18:19], v[3:4], v[18:19], v[177:178]
	s_waitcnt lgkmcnt(0)
	v_mul_f64 v[183:184], v[43:44], v[31:32]
	v_add_f64 v[53:54], v[53:54], v[57:58]
	v_add_f64 v[9:10], v[9:10], v[35:36]
	s_clause 0x4
	buffer_load_dword v36, off, s[0:3], 0 offset:556
	buffer_load_dword v57, off, s[0:3], 0 offset:568
	;; [unrolled: 1-line block ×5, first 2 shown]
	v_mul_f64 v[31:32], v[45:46], v[31:32]
	ds_read_b128 v[14:17], v24 offset:1056
	v_add_f64 v[20:21], v[53:54], v[20:21]
	v_add_f64 v[9:10], v[9:10], v[29:30]
	s_clause 0x2
	buffer_load_dword v58, off, s[0:3], 0 offset:572
	buffer_load_dword v30, off, s[0:3], 0 offset:548
	;; [unrolled: 1-line block ×3, first 2 shown]
	s_waitcnt vmcnt(58) lgkmcnt(0)
	v_mul_f64 v[53:54], v[14:15], v[41:42]
	v_mul_f64 v[41:42], v[16:17], v[41:42]
	s_waitcnt vmcnt(56)
	v_fma_f64 v[31:32], v[43:44], v[47:48], -v[31:32]
	ds_read_b128 v[1:4], v24 offset:1072
	v_fma_f64 v[43:44], v[45:46], v[47:48], v[183:184]
	s_clause 0x4
	buffer_load_dword v46, off, s[0:3], 0 offset:588
	buffer_load_dword v47, off, s[0:3], 0 offset:600
	;; [unrolled: 1-line block ×5, first 2 shown]
	v_add_f64 v[27:28], v[20:21], v[27:28]
	v_add_f64 v[9:10], v[9:10], v[18:19]
	ds_read_b128 v[18:21], v24 offset:1088
	s_waitcnt vmcnt(57) lgkmcnt(1)
	v_mul_f64 v[178:179], v[1:2], v[61:62]
	v_mul_f64 v[61:62], v[3:4], v[61:62]
	s_waitcnt vmcnt(56)
	v_fma_f64 v[41:42], v[14:15], v[22:23], -v[41:42]
	v_fma_f64 v[22:23], v[16:17], v[22:23], v[53:54]
	s_waitcnt vmcnt(55) lgkmcnt(0)
	v_mul_f64 v[53:54], v[20:21], v[63:64]
	v_add_f64 v[27:28], v[27:28], v[31:32]
	v_add_f64 v[9:10], v[9:10], v[43:44]
	s_clause 0x2
	buffer_load_dword v48, off, s[0:3], 0 offset:604
	buffer_load_dword v32, off, s[0:3], 0 offset:580
	;; [unrolled: 1-line block ×3, first 2 shown]
	ds_read_b128 v[14:17], v24 offset:1104
	s_waitcnt vmcnt(56)
	v_fma_f64 v[61:62], v[1:2], v[65:66], -v[61:62]
	v_mul_f64 v[43:44], v[18:19], v[63:64]
	s_waitcnt vmcnt(51)
	v_fma_f64 v[53:54], v[18:19], v[33:34], -v[53:54]
	v_add_f64 v[27:28], v[27:28], v[41:42]
	v_fma_f64 v[41:42], v[3:4], v[65:66], v[178:179]
	v_add_f64 v[9:10], v[9:10], v[22:23]
	s_clause 0x4
	buffer_load_dword v23, off, s[0:3], 0 offset:620
	buffer_load_dword v63, off, s[0:3], 0 offset:632
	;; [unrolled: 1-line block ×5, first 2 shown]
	s_waitcnt lgkmcnt(0)
	v_mul_f64 v[184:185], v[14:15], v[67:68]
	v_mul_f64 v[66:67], v[16:17], v[67:68]
	ds_read_b128 v[1:4], v24 offset:1120
	v_fma_f64 v[33:34], v[20:21], v[33:34], v[43:44]
	v_add_f64 v[27:28], v[27:28], v[61:62]
	v_add_f64 v[9:10], v[9:10], v[41:42]
	s_clause 0x2
	buffer_load_dword v64, off, s[0:3], 0 offset:636
	buffer_load_dword v42, off, s[0:3], 0 offset:612
	;; [unrolled: 1-line block ×3, first 2 shown]
	s_waitcnt vmcnt(58) lgkmcnt(0)
	v_mul_f64 v[61:62], v[3:4], v[73:74]
	s_waitcnt vmcnt(56)
	v_fma_f64 v[67:68], v[14:15], v[77:78], -v[66:67]
	ds_read_b128 v[18:21], v24 offset:1136
	v_mul_f64 v[43:44], v[1:2], v[73:74]
	v_add_f64 v[27:28], v[27:28], v[53:54]
	v_fma_f64 v[53:54], v[16:17], v[77:78], v[184:185]
	v_add_f64 v[9:10], v[9:10], v[33:34]
	s_clause 0x4
	buffer_load_dword v34, off, s[0:3], 0 offset:652
	buffer_load_dword v73, off, s[0:3], 0 offset:664
	;; [unrolled: 1-line block ×5, first 2 shown]
	s_waitcnt vmcnt(57) lgkmcnt(0)
	v_mul_f64 v[184:185], v[18:19], v[79:80]
	v_mul_f64 v[78:79], v[20:21], v[79:80]
	s_waitcnt vmcnt(56)
	v_fma_f64 v[61:62], v[1:2], v[75:76], -v[61:62]
	ds_read_b128 v[14:17], v24 offset:1152
	v_fma_f64 v[43:44], v[3:4], v[75:76], v[43:44]
	v_add_f64 v[27:28], v[27:28], v[67:68]
	v_add_f64 v[9:10], v[9:10], v[53:54]
	s_clause 0x2
	buffer_load_dword v74, off, s[0:3], 0 offset:668
	buffer_load_dword v54, off, s[0:3], 0 offset:644
	;; [unrolled: 1-line block ×3, first 2 shown]
	ds_read_b128 v[1:4], v24 offset:1168
	s_waitcnt vmcnt(58) lgkmcnt(1)
	v_mul_f64 v[75:76], v[16:17], v[153:154]
	s_waitcnt vmcnt(56)
	v_fma_f64 v[79:80], v[18:19], v[157:158], -v[78:79]
	v_mul_f64 v[67:68], v[14:15], v[153:154]
	v_add_f64 v[27:28], v[27:28], v[61:62]
	v_fma_f64 v[61:62], v[20:21], v[157:158], v[184:185]
	v_add_f64 v[9:10], v[9:10], v[43:44]
	s_clause 0x4
	buffer_load_dword v44, off, s[0:3], 0 offset:684
	buffer_load_dword v153, off, s[0:3], 0 offset:696
	;; [unrolled: 1-line block ×5, first 2 shown]
	s_waitcnt vmcnt(57) lgkmcnt(0)
	v_mul_f64 v[184:185], v[1:2], v[159:160]
	v_mul_f64 v[158:159], v[3:4], v[159:160]
	s_waitcnt vmcnt(56)
	v_fma_f64 v[75:76], v[14:15], v[155:156], -v[75:76]
	ds_read_b128 v[18:21], v24 offset:1184
	v_fma_f64 v[67:68], v[16:17], v[155:156], v[67:68]
	v_add_f64 v[27:28], v[27:28], v[79:80]
	v_add_f64 v[9:10], v[9:10], v[61:62]
	s_clause 0x2
	buffer_load_dword v154, off, s[0:3], 0 offset:700
	buffer_load_dword v62, off, s[0:3], 0 offset:676
	;; [unrolled: 1-line block ×3, first 2 shown]
	ds_read_b128 v[14:17], v24 offset:1200
	s_waitcnt vmcnt(58) lgkmcnt(1)
	v_mul_f64 v[155:156], v[20:21], v[161:162]
	s_waitcnt vmcnt(56)
	v_fma_f64 v[159:160], v[1:2], v[165:166], -v[158:159]
	v_mul_f64 v[79:80], v[18:19], v[161:162]
	v_add_f64 v[27:28], v[27:28], v[75:76]
	v_fma_f64 v[75:76], v[3:4], v[165:166], v[184:185]
	v_add_f64 v[9:10], v[9:10], v[67:68]
	s_clause 0x4
	buffer_load_dword v68, off, s[0:3], 0 offset:716
	buffer_load_dword v161, off, s[0:3], 0 offset:728
	;; [unrolled: 1-line block ×5, first 2 shown]
	s_waitcnt vmcnt(57) lgkmcnt(0)
	v_mul_f64 v[184:185], v[14:15], v[169:170]
	v_mul_f64 v[169:170], v[16:17], v[169:170]
	s_waitcnt vmcnt(56)
	v_fma_f64 v[155:156], v[18:19], v[163:164], -v[155:156]
	ds_read_b128 v[1:4], v24 offset:1216
	v_fma_f64 v[79:80], v[20:21], v[163:164], v[79:80]
	v_add_f64 v[27:28], v[27:28], v[159:160]
	v_add_f64 v[9:10], v[9:10], v[75:76]
	s_clause 0x2
	buffer_load_dword v162, off, s[0:3], 0 offset:732
	buffer_load_dword v76, off, s[0:3], 0 offset:708
	;; [unrolled: 1-line block ×3, first 2 shown]
	ds_read_b128 v[18:21], v24 offset:1232
	s_waitcnt vmcnt(58) lgkmcnt(1)
	v_mul_f64 v[163:164], v[3:4], v[171:172]
	v_mul_f64 v[159:160], v[1:2], v[171:172]
	s_waitcnt vmcnt(56)
	v_fma_f64 v[169:170], v[14:15], v[167:168], -v[169:170]
	v_add_f64 v[27:28], v[27:28], v[155:156]
	v_fma_f64 v[155:156], v[16:17], v[167:168], v[184:185]
	v_add_f64 v[9:10], v[9:10], v[79:80]
	s_clause 0x2
	buffer_load_dword v80, off, s[0:3], 0 offset:748
	buffer_load_dword v79, off, s[0:3], 0 offset:744
	;; [unrolled: 1-line block ×3, first 2 shown]
	s_waitcnt vmcnt(55) lgkmcnt(0)
	v_mul_f64 v[167:168], v[18:19], v[55:56]
	v_mul_f64 v[55:56], v[20:21], v[55:56]
	ds_read_b128 v[14:17], v24 offset:1248
	s_waitcnt vmcnt(54)
	v_fma_f64 v[163:164], v[1:2], v[173:174], -v[163:164]
	v_fma_f64 v[159:160], v[3:4], v[173:174], v[159:160]
	v_add_f64 v[27:28], v[27:28], v[169:170]
	v_add_f64 v[9:10], v[9:10], v[155:156]
	s_clause 0x1
	buffer_load_dword v156, off, s[0:3], 0 offset:740
	buffer_load_dword v155, off, s[0:3], 0 offset:736
	s_waitcnt vmcnt(55) lgkmcnt(0)
	v_mul_f64 v[171:172], v[16:17], v[175:176]
	s_waitcnt vmcnt(53)
	v_fma_f64 v[55:56], v[18:19], v[59:60], -v[55:56]
	ds_read_b128 v[1:4], v24 offset:1264
	v_mul_f64 v[169:170], v[14:15], v[175:176]
	v_fma_f64 v[59:60], v[20:21], v[59:60], v[167:168]
	ds_read_b128 v[18:21], v24 offset:1280
	v_add_f64 v[27:28], v[27:28], v[163:164]
	v_add_f64 v[9:10], v[9:10], v[159:160]
	s_waitcnt vmcnt(49) lgkmcnt(1)
	v_mul_f64 v[159:160], v[1:2], v[35:36]
	v_mul_f64 v[35:36], v[3:4], v[35:36]
	s_waitcnt vmcnt(48)
	v_fma_f64 v[163:164], v[14:15], v[180:181], -v[171:172]
	v_add_f64 v[27:28], v[27:28], v[55:56]
	v_fma_f64 v[55:56], v[16:17], v[180:181], v[169:170]
	v_add_f64 v[9:10], v[9:10], v[59:60]
	s_clause 0x3
	buffer_load_dword v59, off, s[0:3], 0 offset:224
	buffer_load_dword v60, off, s[0:3], 0 offset:228
	;; [unrolled: 1-line block ×4, first 2 shown]
	ds_read_b128 v[14:17], v24 offset:1296
	s_waitcnt vmcnt(51) lgkmcnt(1)
	v_mul_f64 v[169:170], v[18:19], v[57:58]
	v_mul_f64 v[57:58], v[20:21], v[57:58]
	s_waitcnt vmcnt(49)
	v_fma_f64 v[35:36], v[1:2], v[29:30], -v[35:36]
	v_fma_f64 v[29:30], v[3:4], v[29:30], v[159:160]
	ds_read_b128 v[1:4], v24 offset:1312
	v_add_f64 v[27:28], v[27:28], v[163:164]
	v_add_f64 v[9:10], v[9:10], v[55:56]
	s_waitcnt vmcnt(45) lgkmcnt(1)
	v_mul_f64 v[55:56], v[14:15], v[45:46]
	v_mul_f64 v[45:46], v[16:17], v[45:46]
	s_waitcnt vmcnt(44)
	v_fma_f64 v[57:58], v[18:19], v[182:183], -v[57:58]
	v_add_f64 v[27:28], v[27:28], v[35:36]
	v_fma_f64 v[35:36], v[20:21], v[182:183], v[169:170]
	v_add_f64 v[9:10], v[9:10], v[29:30]
	ds_read_b128 v[18:21], v24 offset:1328
	s_waitcnt vmcnt(43) lgkmcnt(1)
	v_mul_f64 v[29:30], v[1:2], v[47:48]
	v_mul_f64 v[47:48], v[3:4], v[47:48]
	s_waitcnt vmcnt(41)
	v_fma_f64 v[45:46], v[14:15], v[31:32], -v[45:46]
	v_fma_f64 v[31:32], v[16:17], v[31:32], v[55:56]
	ds_read_b128 v[14:17], v24 offset:1344
	v_add_f64 v[27:28], v[27:28], v[57:58]
	v_add_f64 v[9:10], v[9:10], v[35:36]
	s_waitcnt vmcnt(37) lgkmcnt(1)
	v_mul_f64 v[35:36], v[18:19], v[22:23]
	v_mul_f64 v[22:23], v[20:21], v[22:23]
	s_waitcnt vmcnt(36)
	v_fma_f64 v[47:48], v[1:2], v[177:178], -v[47:48]
	v_fma_f64 v[29:30], v[3:4], v[177:178], v[29:30]
	ds_read_b128 v[1:4], v24 offset:1360
	v_add_f64 v[27:28], v[27:28], v[45:46]
	v_add_f64 v[9:10], v[9:10], v[31:32]
	s_waitcnt vmcnt(35) lgkmcnt(1)
	v_mul_f64 v[45:46], v[16:17], v[63:64]
	v_mul_f64 v[31:32], v[14:15], v[63:64]
	s_waitcnt vmcnt(33)
	v_fma_f64 v[22:23], v[18:19], v[41:42], -v[22:23]
	v_fma_f64 v[35:36], v[20:21], v[41:42], v[35:36]
	ds_read_b128 v[18:21], v24 offset:1376
	v_add_f64 v[27:28], v[27:28], v[47:48]
	v_add_f64 v[9:10], v[9:10], v[29:30]
	s_waitcnt vmcnt(29) lgkmcnt(1)
	v_mul_f64 v[29:30], v[1:2], v[33:34]
	v_mul_f64 v[33:34], v[3:4], v[33:34]
	s_waitcnt vmcnt(28)
	v_fma_f64 v[41:42], v[14:15], v[65:66], -v[45:46]
	v_add_f64 v[22:23], v[27:28], v[22:23]
	v_fma_f64 v[27:28], v[16:17], v[65:66], v[31:32]
	v_add_f64 v[9:10], v[9:10], v[35:36]
	ds_read_b128 v[14:17], v24 offset:1392
	s_waitcnt vmcnt(27) lgkmcnt(1)
	v_mul_f64 v[35:36], v[20:21], v[73:74]
	v_mul_f64 v[31:32], v[18:19], v[73:74]
	s_waitcnt vmcnt(25)
	v_fma_f64 v[33:34], v[1:2], v[53:54], -v[33:34]
	v_fma_f64 v[29:30], v[3:4], v[53:54], v[29:30]
	ds_read_b128 v[1:4], v24 offset:1408
	v_add_f64 v[22:23], v[22:23], v[41:42]
	v_add_f64 v[9:10], v[9:10], v[27:28]
	s_waitcnt vmcnt(21) lgkmcnt(1)
	v_mul_f64 v[41:42], v[16:17], v[43:44]
	s_waitcnt vmcnt(20)
	v_fma_f64 v[35:36], v[18:19], v[77:78], -v[35:36]
	v_mul_f64 v[27:28], v[14:15], v[43:44]
	v_fma_f64 v[31:32], v[20:21], v[77:78], v[31:32]
	ds_read_b128 v[18:21], v24 offset:1424
	v_add_f64 v[22:23], v[22:23], v[33:34]
	v_add_f64 v[9:10], v[9:10], v[29:30]
	s_waitcnt vmcnt(19) lgkmcnt(1)
	v_mul_f64 v[33:34], v[3:4], v[153:154]
	v_mul_f64 v[29:30], v[1:2], v[153:154]
	s_waitcnt vmcnt(17)
	v_fma_f64 v[41:42], v[14:15], v[61:62], -v[41:42]
	v_fma_f64 v[27:28], v[16:17], v[61:62], v[27:28]
	ds_read_b128 v[14:17], v24 offset:1440
	v_add_f64 v[22:23], v[22:23], v[35:36]
	v_add_f64 v[9:10], v[9:10], v[31:32]
	s_waitcnt vmcnt(13) lgkmcnt(1)
	v_mul_f64 v[35:36], v[20:21], v[67:68]
	s_waitcnt vmcnt(12)
	v_fma_f64 v[33:34], v[1:2], v[157:158], -v[33:34]
	v_mul_f64 v[31:32], v[18:19], v[67:68]
	v_fma_f64 v[29:30], v[3:4], v[157:158], v[29:30]
	ds_read_b128 v[1:4], v24 offset:1456
	v_add_f64 v[22:23], v[22:23], v[41:42]
	v_add_f64 v[9:10], v[9:10], v[27:28]
	s_waitcnt vmcnt(11) lgkmcnt(1)
	v_mul_f64 v[41:42], v[16:17], v[161:162]
	v_mul_f64 v[27:28], v[14:15], v[161:162]
	s_waitcnt vmcnt(9)
	v_fma_f64 v[18:19], v[18:19], v[75:76], -v[35:36]
	v_fma_f64 v[20:21], v[20:21], v[75:76], v[31:32]
	v_add_f64 v[22:23], v[22:23], v[33:34]
	v_add_f64 v[9:10], v[9:10], v[29:30]
	s_waitcnt vmcnt(7) lgkmcnt(0)
	v_mul_f64 v[31:32], v[3:4], v[79:80]
	s_waitcnt vmcnt(6)
	v_fma_f64 v[14:15], v[14:15], v[165:166], -v[41:42]
	v_mul_f64 v[29:30], v[1:2], v[79:80]
	v_fma_f64 v[16:17], v[16:17], v[165:166], v[27:28]
	v_add_f64 v[18:19], v[22:23], v[18:19]
	v_add_f64 v[9:10], v[9:10], v[20:21]
	s_waitcnt vmcnt(4)
	v_fma_f64 v[1:2], v[1:2], v[155:156], -v[31:32]
	v_fma_f64 v[3:4], v[3:4], v[155:156], v[29:30]
	v_add_f64 v[14:15], v[18:19], v[14:15]
	v_add_f64 v[9:10], v[9:10], v[16:17]
	;; [unrolled: 1-line block ×4, first 2 shown]
	s_waitcnt vmcnt(2)
	v_add_f64 v[1:2], v[59:60], -v[1:2]
	s_waitcnt vmcnt(0)
	v_add_f64 v[3:4], v[167:168], -v[3:4]
	buffer_store_dword v2, off, s[0:3], 0 offset:228
	buffer_store_dword v1, off, s[0:3], 0 offset:224
	;; [unrolled: 1-line block ×4, first 2 shown]
	v_cmpx_lt_u32_e32 12, v0
	s_cbranch_execz .LBB45_265
; %bb.264:
	v_mov_b32_e32 v4, s52
	v_mov_b32_e32 v9, 0
	s_clause 0x3
	buffer_load_dword v1, v4, s[0:3], 0 offen
	buffer_load_dword v2, v4, s[0:3], 0 offen offset:4
	buffer_load_dword v3, v4, s[0:3], 0 offen offset:8
	;; [unrolled: 1-line block ×3, first 2 shown]
	buffer_store_dword v9, off, s[0:3], 0 offset:208
	buffer_store_dword v9, off, s[0:3], 0 offset:212
	;; [unrolled: 1-line block ×4, first 2 shown]
	s_waitcnt vmcnt(0)
	ds_write_b128 v11, v[1:4]
.LBB45_265:
	s_or_b32 exec_lo, exec_lo, s4
	s_waitcnt lgkmcnt(0)
	s_waitcnt_vscnt null, 0x0
	s_barrier
	buffer_gl0_inv
	s_clause 0x37
	buffer_load_dword v16, off, s[0:3], 0 offset:232
	buffer_load_dword v17, off, s[0:3], 0 offset:236
	;; [unrolled: 1-line block ×56, first 2 shown]
	v_mov_b32_e32 v24, 0
	s_mov_b32 s4, exec_lo
	ds_read_b128 v[57:60], v24 offset:944
	s_clause 0x2
	buffer_load_dword v162, off, s[0:3], 0 offset:460
	buffer_load_dword v166, off, s[0:3], 0 offset:436
	;; [unrolled: 1-line block ×3, first 2 shown]
	ds_read_b128 v[61:64], v24 offset:960
	s_clause 0x4
	buffer_load_dword v170, off, s[0:3], 0 offset:476
	buffer_load_dword v171, off, s[0:3], 0 offset:488
	;; [unrolled: 1-line block ×5, first 2 shown]
	ds_read_b128 v[65:68], v24 offset:976
	s_waitcnt vmcnt(62) lgkmcnt(2)
	v_mul_f64 v[167:168], v[59:60], v[16:17]
	v_mul_f64 v[16:17], v[57:58], v[16:17]
	s_waitcnt vmcnt(60) lgkmcnt(1)
	v_mul_f64 v[174:175], v[63:64], v[9:10]
	v_mul_f64 v[9:10], v[61:62], v[9:10]
	;; [unrolled: 3-line block ×3, first 2 shown]
	v_fma_f64 v[57:58], v[57:58], v[14:15], -v[167:168]
	v_fma_f64 v[59:60], v[59:60], v[14:15], v[16:17]
	s_clause 0x2
	buffer_load_dword v172, off, s[0:3], 0 offset:492
	buffer_load_dword v168, off, s[0:3], 0 offset:468
	;; [unrolled: 1-line block ×3, first 2 shown]
	s_waitcnt vmcnt(57)
	v_fma_f64 v[61:62], v[61:62], v[1:2], -v[174:175]
	ds_read_b128 v[14:17], v24 offset:992
	v_fma_f64 v[9:10], v[63:64], v[1:2], v[9:10]
	s_clause 0x4
	buffer_load_dword v64, off, s[0:3], 0 offset:508
	buffer_load_dword v175, off, s[0:3], 0 offset:520
	;; [unrolled: 1-line block ×5, first 2 shown]
	s_waitcnt vmcnt(56)
	v_fma_f64 v[65:66], v[65:66], v[35:36], -v[178:179]
	ds_read_b128 v[1:4], v24 offset:1008
	v_fma_f64 v[35:36], v[67:68], v[35:36], v[176:177]
	s_clause 0x2
	buffer_load_dword v176, off, s[0:3], 0 offset:524
	buffer_load_dword v68, off, s[0:3], 0 offset:500
	;; [unrolled: 1-line block ×3, first 2 shown]
	v_add_f64 v[57:58], v[57:58], 0
	v_add_f64 v[59:60], v[59:60], 0
	s_waitcnt lgkmcnt(1)
	v_mul_f64 v[181:182], v[14:15], v[20:21]
	v_mul_f64 v[20:21], v[16:17], v[20:21]
	s_waitcnt vmcnt(58) lgkmcnt(0)
	v_mul_f64 v[177:178], v[1:2], v[27:28]
	v_mul_f64 v[27:28], v[3:4], v[27:28]
	v_add_f64 v[61:62], v[57:58], v[61:62]
	v_add_f64 v[9:10], v[59:60], v[9:10]
	ds_read_b128 v[57:60], v24 offset:1024
	s_waitcnt vmcnt(56)
	v_fma_f64 v[20:21], v[14:15], v[29:30], -v[20:21]
	v_fma_f64 v[29:30], v[16:17], v[29:30], v[181:182]
	s_waitcnt vmcnt(51)
	v_fma_f64 v[27:28], v[1:2], v[18:19], -v[27:28]
	v_fma_f64 v[18:19], v[3:4], v[18:19], v[177:178]
	s_waitcnt lgkmcnt(0)
	v_mul_f64 v[183:184], v[57:58], v[31:32]
	v_add_f64 v[61:62], v[61:62], v[65:66]
	v_add_f64 v[9:10], v[9:10], v[35:36]
	s_clause 0x4
	buffer_load_dword v36, off, s[0:3], 0 offset:540
	buffer_load_dword v65, off, s[0:3], 0 offset:552
	;; [unrolled: 1-line block ×5, first 2 shown]
	v_mul_f64 v[31:32], v[59:60], v[31:32]
	ds_read_b128 v[14:17], v24 offset:1040
	v_add_f64 v[20:21], v[61:62], v[20:21]
	v_add_f64 v[9:10], v[9:10], v[29:30]
	s_clause 0x2
	buffer_load_dword v66, off, s[0:3], 0 offset:556
	buffer_load_dword v30, off, s[0:3], 0 offset:532
	;; [unrolled: 1-line block ×3, first 2 shown]
	s_waitcnt vmcnt(58) lgkmcnt(0)
	v_mul_f64 v[61:62], v[14:15], v[41:42]
	v_mul_f64 v[41:42], v[16:17], v[41:42]
	s_waitcnt vmcnt(56)
	v_fma_f64 v[31:32], v[57:58], v[43:44], -v[31:32]
	ds_read_b128 v[1:4], v24 offset:1056
	v_fma_f64 v[43:44], v[59:60], v[43:44], v[183:184]
	s_clause 0x4
	buffer_load_dword v58, off, s[0:3], 0 offset:572
	buffer_load_dword v59, off, s[0:3], 0 offset:584
	;; [unrolled: 1-line block ×5, first 2 shown]
	v_add_f64 v[27:28], v[20:21], v[27:28]
	v_add_f64 v[9:10], v[9:10], v[18:19]
	ds_read_b128 v[18:21], v24 offset:1072
	s_waitcnt vmcnt(57) lgkmcnt(1)
	v_mul_f64 v[178:179], v[1:2], v[45:46]
	v_mul_f64 v[45:46], v[3:4], v[45:46]
	s_waitcnt vmcnt(56)
	v_fma_f64 v[41:42], v[14:15], v[22:23], -v[41:42]
	v_fma_f64 v[22:23], v[16:17], v[22:23], v[61:62]
	v_add_f64 v[27:28], v[27:28], v[31:32]
	v_add_f64 v[9:10], v[9:10], v[43:44]
	s_clause 0x2
	buffer_load_dword v60, off, s[0:3], 0 offset:588
	buffer_load_dword v32, off, s[0:3], 0 offset:564
	;; [unrolled: 1-line block ×3, first 2 shown]
	s_waitcnt vmcnt(58) lgkmcnt(0)
	v_mul_f64 v[43:44], v[18:19], v[53:54]
	v_mul_f64 v[53:54], v[20:21], v[53:54]
	s_waitcnt vmcnt(56)
	v_fma_f64 v[45:46], v[1:2], v[55:56], -v[45:46]
	ds_read_b128 v[14:17], v24 offset:1088
	v_add_f64 v[27:28], v[27:28], v[41:42]
	v_fma_f64 v[41:42], v[3:4], v[55:56], v[178:179]
	v_add_f64 v[9:10], v[9:10], v[22:23]
	s_clause 0x4
	buffer_load_dword v23, off, s[0:3], 0 offset:604
	buffer_load_dword v55, off, s[0:3], 0 offset:616
	;; [unrolled: 1-line block ×5, first 2 shown]
	s_waitcnt vmcnt(57) lgkmcnt(0)
	v_mul_f64 v[184:185], v[14:15], v[73:74]
	v_mul_f64 v[73:74], v[16:17], v[73:74]
	s_waitcnt vmcnt(56)
	v_fma_f64 v[53:54], v[18:19], v[33:34], -v[53:54]
	ds_read_b128 v[1:4], v24 offset:1104
	v_fma_f64 v[33:34], v[20:21], v[33:34], v[43:44]
	v_add_f64 v[27:28], v[27:28], v[45:46]
	v_add_f64 v[9:10], v[9:10], v[41:42]
	s_clause 0x2
	buffer_load_dword v56, off, s[0:3], 0 offset:620
	buffer_load_dword v42, off, s[0:3], 0 offset:596
	buffer_load_dword v41, off, s[0:3], 0 offset:592
	ds_read_b128 v[18:21], v24 offset:1120
	s_waitcnt vmcnt(58) lgkmcnt(1)
	v_mul_f64 v[45:46], v[3:4], v[75:76]
	s_waitcnt vmcnt(56)
	v_fma_f64 v[73:74], v[14:15], v[77:78], -v[73:74]
	v_mul_f64 v[43:44], v[1:2], v[75:76]
	v_add_f64 v[27:28], v[27:28], v[53:54]
	v_fma_f64 v[53:54], v[16:17], v[77:78], v[184:185]
	v_add_f64 v[9:10], v[9:10], v[33:34]
	s_clause 0x4
	buffer_load_dword v34, off, s[0:3], 0 offset:636
	buffer_load_dword v75, off, s[0:3], 0 offset:648
	;; [unrolled: 1-line block ×5, first 2 shown]
	s_waitcnt vmcnt(57) lgkmcnt(0)
	v_mul_f64 v[184:185], v[18:19], v[79:80]
	v_mul_f64 v[78:79], v[20:21], v[79:80]
	s_waitcnt vmcnt(56)
	v_fma_f64 v[45:46], v[1:2], v[47:48], -v[45:46]
	ds_read_b128 v[14:17], v24 offset:1136
	v_fma_f64 v[43:44], v[3:4], v[47:48], v[43:44]
	s_clause 0x2
	buffer_load_dword v76, off, s[0:3], 0 offset:652
	buffer_load_dword v48, off, s[0:3], 0 offset:628
	;; [unrolled: 1-line block ×3, first 2 shown]
	ds_read_b128 v[1:4], v24 offset:1152
	v_add_f64 v[27:28], v[27:28], v[73:74]
	v_add_f64 v[9:10], v[9:10], v[53:54]
	s_waitcnt vmcnt(58) lgkmcnt(1)
	v_mul_f64 v[73:74], v[16:17], v[153:154]
	s_waitcnt vmcnt(56)
	v_fma_f64 v[79:80], v[18:19], v[157:158], -v[78:79]
	v_mul_f64 v[53:54], v[14:15], v[153:154]
	v_add_f64 v[27:28], v[27:28], v[45:46]
	v_fma_f64 v[45:46], v[20:21], v[157:158], v[184:185]
	v_add_f64 v[9:10], v[9:10], v[43:44]
	s_clause 0x4
	buffer_load_dword v44, off, s[0:3], 0 offset:668
	buffer_load_dword v153, off, s[0:3], 0 offset:680
	;; [unrolled: 1-line block ×5, first 2 shown]
	s_waitcnt vmcnt(57) lgkmcnt(0)
	v_mul_f64 v[184:185], v[1:2], v[159:160]
	v_mul_f64 v[158:159], v[3:4], v[159:160]
	s_waitcnt vmcnt(56)
	v_fma_f64 v[73:74], v[14:15], v[155:156], -v[73:74]
	ds_read_b128 v[18:21], v24 offset:1168
	v_fma_f64 v[53:54], v[16:17], v[155:156], v[53:54]
	v_add_f64 v[27:28], v[27:28], v[79:80]
	v_add_f64 v[9:10], v[9:10], v[45:46]
	s_clause 0x2
	buffer_load_dword v154, off, s[0:3], 0 offset:684
	buffer_load_dword v46, off, s[0:3], 0 offset:660
	;; [unrolled: 1-line block ×3, first 2 shown]
	ds_read_b128 v[14:17], v24 offset:1184
	s_waitcnt vmcnt(58) lgkmcnt(1)
	v_mul_f64 v[155:156], v[20:21], v[161:162]
	s_waitcnt vmcnt(56)
	v_fma_f64 v[159:160], v[1:2], v[165:166], -v[158:159]
	v_mul_f64 v[79:80], v[18:19], v[161:162]
	v_add_f64 v[27:28], v[27:28], v[73:74]
	v_fma_f64 v[73:74], v[3:4], v[165:166], v[184:185]
	v_add_f64 v[9:10], v[9:10], v[53:54]
	s_clause 0x4
	buffer_load_dword v54, off, s[0:3], 0 offset:700
	buffer_load_dword v161, off, s[0:3], 0 offset:712
	;; [unrolled: 1-line block ×5, first 2 shown]
	s_waitcnt vmcnt(57) lgkmcnt(0)
	v_mul_f64 v[184:185], v[14:15], v[169:170]
	v_mul_f64 v[169:170], v[16:17], v[169:170]
	s_waitcnt vmcnt(56)
	v_fma_f64 v[155:156], v[18:19], v[163:164], -v[155:156]
	ds_read_b128 v[1:4], v24 offset:1200
	v_fma_f64 v[79:80], v[20:21], v[163:164], v[79:80]
	v_add_f64 v[27:28], v[27:28], v[159:160]
	v_add_f64 v[9:10], v[9:10], v[73:74]
	s_clause 0x2
	buffer_load_dword v162, off, s[0:3], 0 offset:716
	buffer_load_dword v74, off, s[0:3], 0 offset:692
	buffer_load_dword v73, off, s[0:3], 0 offset:688
	ds_read_b128 v[18:21], v24 offset:1216
	s_waitcnt vmcnt(58) lgkmcnt(1)
	v_mul_f64 v[163:164], v[3:4], v[171:172]
	v_mul_f64 v[159:160], v[1:2], v[171:172]
	s_waitcnt vmcnt(56)
	v_fma_f64 v[169:170], v[14:15], v[167:168], -v[169:170]
	v_add_f64 v[27:28], v[27:28], v[155:156]
	v_fma_f64 v[155:156], v[16:17], v[167:168], v[184:185]
	v_add_f64 v[9:10], v[9:10], v[79:80]
	s_clause 0x4
	buffer_load_dword v80, off, s[0:3], 0 offset:732
	buffer_load_dword v167, off, s[0:3], 0 offset:744
	;; [unrolled: 1-line block ×5, first 2 shown]
	s_waitcnt vmcnt(57) lgkmcnt(0)
	v_mul_f64 v[184:185], v[18:19], v[63:64]
	v_mul_f64 v[63:64], v[20:21], v[63:64]
	ds_read_b128 v[14:17], v24 offset:1232
	s_waitcnt vmcnt(56)
	v_fma_f64 v[163:164], v[1:2], v[173:174], -v[163:164]
	v_fma_f64 v[159:160], v[3:4], v[173:174], v[159:160]
	v_add_f64 v[27:28], v[27:28], v[169:170]
	v_add_f64 v[9:10], v[9:10], v[155:156]
	s_clause 0x2
	buffer_load_dword v168, off, s[0:3], 0 offset:748
	buffer_load_dword v156, off, s[0:3], 0 offset:724
	buffer_load_dword v155, off, s[0:3], 0 offset:720
	s_waitcnt vmcnt(58) lgkmcnt(0)
	v_mul_f64 v[173:174], v[16:17], v[175:176]
	s_waitcnt vmcnt(56)
	v_fma_f64 v[63:64], v[18:19], v[67:68], -v[63:64]
	ds_read_b128 v[1:4], v24 offset:1248
	v_mul_f64 v[169:170], v[14:15], v[175:176]
	v_fma_f64 v[67:68], v[20:21], v[67:68], v[184:185]
	buffer_load_dword v172, off, s[0:3], 0 offset:740
	ds_read_b128 v[18:21], v24 offset:1264
	v_add_f64 v[27:28], v[27:28], v[163:164]
	v_add_f64 v[9:10], v[9:10], v[159:160]
	s_waitcnt vmcnt(53) lgkmcnt(1)
	v_mul_f64 v[159:160], v[1:2], v[35:36]
	v_mul_f64 v[35:36], v[3:4], v[35:36]
	s_waitcnt vmcnt(52)
	v_fma_f64 v[163:164], v[14:15], v[180:181], -v[173:174]
	v_add_f64 v[27:28], v[27:28], v[63:64]
	v_fma_f64 v[63:64], v[16:17], v[180:181], v[169:170]
	v_add_f64 v[9:10], v[9:10], v[67:68]
	ds_read_b128 v[14:17], v24 offset:1280
	s_waitcnt vmcnt(51) lgkmcnt(1)
	v_mul_f64 v[67:68], v[18:19], v[65:66]
	v_mul_f64 v[65:66], v[20:21], v[65:66]
	s_waitcnt vmcnt(49)
	v_fma_f64 v[35:36], v[1:2], v[29:30], -v[35:36]
	v_fma_f64 v[29:30], v[3:4], v[29:30], v[159:160]
	v_add_f64 v[27:28], v[27:28], v[163:164]
	s_waitcnt vmcnt(45) lgkmcnt(0)
	v_mul_f64 v[163:164], v[14:15], v[57:58]
	v_add_f64 v[9:10], v[9:10], v[63:64]
	s_clause 0x3
	buffer_load_dword v63, off, s[0:3], 0 offset:208
	buffer_load_dword v64, off, s[0:3], 0 offset:212
	;; [unrolled: 1-line block ×4, first 2 shown]
	v_mul_f64 v[57:58], v[16:17], v[57:58]
	ds_read_b128 v[1:4], v24 offset:1296
	s_waitcnt vmcnt(48)
	v_fma_f64 v[65:66], v[18:19], v[182:183], -v[65:66]
	v_add_f64 v[27:28], v[27:28], v[35:36]
	v_fma_f64 v[35:36], v[20:21], v[182:183], v[67:68]
	v_add_f64 v[9:10], v[9:10], v[29:30]
	ds_read_b128 v[18:21], v24 offset:1312
	s_waitcnt vmcnt(47) lgkmcnt(1)
	v_mul_f64 v[29:30], v[1:2], v[59:60]
	v_mul_f64 v[59:60], v[3:4], v[59:60]
	s_waitcnt vmcnt(45)
	v_fma_f64 v[57:58], v[14:15], v[31:32], -v[57:58]
	v_fma_f64 v[31:32], v[16:17], v[31:32], v[163:164]
	ds_read_b128 v[14:17], v24 offset:1328
	v_add_f64 v[27:28], v[27:28], v[65:66]
	v_add_f64 v[9:10], v[9:10], v[35:36]
	s_waitcnt vmcnt(41) lgkmcnt(1)
	v_mul_f64 v[35:36], v[18:19], v[22:23]
	v_mul_f64 v[22:23], v[20:21], v[22:23]
	s_waitcnt vmcnt(40)
	v_fma_f64 v[59:60], v[1:2], v[177:178], -v[59:60]
	v_fma_f64 v[29:30], v[3:4], v[177:178], v[29:30]
	ds_read_b128 v[1:4], v24 offset:1344
	v_add_f64 v[27:28], v[27:28], v[57:58]
	v_add_f64 v[9:10], v[9:10], v[31:32]
	s_waitcnt vmcnt(39) lgkmcnt(1)
	v_mul_f64 v[31:32], v[14:15], v[55:56]
	v_mul_f64 v[55:56], v[16:17], v[55:56]
	s_waitcnt vmcnt(37)
	v_fma_f64 v[22:23], v[18:19], v[41:42], -v[22:23]
	v_fma_f64 v[35:36], v[20:21], v[41:42], v[35:36]
	ds_read_b128 v[18:21], v24 offset:1360
	v_add_f64 v[27:28], v[27:28], v[59:60]
	v_add_f64 v[9:10], v[9:10], v[29:30]
	s_waitcnt vmcnt(33) lgkmcnt(1)
	v_mul_f64 v[29:30], v[1:2], v[33:34]
	v_mul_f64 v[33:34], v[3:4], v[33:34]
	s_waitcnt vmcnt(32)
	v_fma_f64 v[41:42], v[14:15], v[61:62], -v[55:56]
	v_add_f64 v[22:23], v[27:28], v[22:23]
	v_fma_f64 v[27:28], v[16:17], v[61:62], v[31:32]
	v_add_f64 v[9:10], v[9:10], v[35:36]
	ds_read_b128 v[14:17], v24 offset:1376
	s_waitcnt vmcnt(31) lgkmcnt(1)
	v_mul_f64 v[35:36], v[20:21], v[75:76]
	v_mul_f64 v[31:32], v[18:19], v[75:76]
	s_waitcnt vmcnt(29)
	v_fma_f64 v[29:30], v[3:4], v[47:48], v[29:30]
	v_fma_f64 v[33:34], v[1:2], v[47:48], -v[33:34]
	ds_read_b128 v[1:4], v24 offset:1392
	v_add_f64 v[22:23], v[22:23], v[41:42]
	v_add_f64 v[9:10], v[9:10], v[27:28]
	s_waitcnt vmcnt(25) lgkmcnt(1)
	v_mul_f64 v[41:42], v[16:17], v[43:44]
	s_waitcnt vmcnt(24)
	v_fma_f64 v[35:36], v[18:19], v[77:78], -v[35:36]
	v_mul_f64 v[27:28], v[14:15], v[43:44]
	v_fma_f64 v[31:32], v[20:21], v[77:78], v[31:32]
	ds_read_b128 v[18:21], v24 offset:1408
	v_add_f64 v[22:23], v[22:23], v[33:34]
	v_add_f64 v[9:10], v[9:10], v[29:30]
	s_waitcnt vmcnt(23) lgkmcnt(1)
	v_mul_f64 v[33:34], v[3:4], v[153:154]
	v_mul_f64 v[29:30], v[1:2], v[153:154]
	s_waitcnt vmcnt(21)
	v_fma_f64 v[41:42], v[14:15], v[45:46], -v[41:42]
	v_fma_f64 v[27:28], v[16:17], v[45:46], v[27:28]
	ds_read_b128 v[14:17], v24 offset:1424
	v_add_f64 v[22:23], v[22:23], v[35:36]
	v_add_f64 v[9:10], v[9:10], v[31:32]
	s_waitcnt vmcnt(17) lgkmcnt(1)
	v_mul_f64 v[35:36], v[20:21], v[53:54]
	s_waitcnt vmcnt(16)
	v_fma_f64 v[33:34], v[1:2], v[157:158], -v[33:34]
	v_mul_f64 v[31:32], v[18:19], v[53:54]
	v_fma_f64 v[29:30], v[3:4], v[157:158], v[29:30]
	ds_read_b128 v[1:4], v24 offset:1440
	v_add_f64 v[22:23], v[22:23], v[41:42]
	v_add_f64 v[9:10], v[9:10], v[27:28]
	s_waitcnt vmcnt(15) lgkmcnt(1)
	v_mul_f64 v[41:42], v[16:17], v[161:162]
	v_mul_f64 v[27:28], v[14:15], v[161:162]
	s_waitcnt vmcnt(13)
	v_fma_f64 v[35:36], v[18:19], v[73:74], -v[35:36]
	v_fma_f64 v[31:32], v[20:21], v[73:74], v[31:32]
	ds_read_b128 v[18:21], v24 offset:1456
	v_add_f64 v[22:23], v[22:23], v[33:34]
	v_add_f64 v[9:10], v[9:10], v[29:30]
	s_waitcnt vmcnt(9) lgkmcnt(1)
	v_mul_f64 v[33:34], v[3:4], v[79:80]
	s_waitcnt vmcnt(8)
	v_fma_f64 v[14:15], v[14:15], v[165:166], -v[41:42]
	v_mul_f64 v[29:30], v[1:2], v[79:80]
	v_fma_f64 v[16:17], v[16:17], v[165:166], v[27:28]
	v_add_f64 v[22:23], v[22:23], v[35:36]
	v_add_f64 v[9:10], v[9:10], v[31:32]
	s_waitcnt vmcnt(7) lgkmcnt(0)
	v_mul_f64 v[31:32], v[20:21], v[167:168]
	v_mul_f64 v[27:28], v[18:19], v[167:168]
	s_waitcnt vmcnt(5)
	v_fma_f64 v[1:2], v[1:2], v[155:156], -v[33:34]
	v_fma_f64 v[3:4], v[3:4], v[155:156], v[29:30]
	v_add_f64 v[14:15], v[22:23], v[14:15]
	v_add_f64 v[9:10], v[9:10], v[16:17]
	s_waitcnt vmcnt(4)
	v_fma_f64 v[16:17], v[18:19], v[171:172], -v[31:32]
	v_add_f64 v[1:2], v[14:15], v[1:2]
	v_fma_f64 v[14:15], v[20:21], v[171:172], v[27:28]
	v_add_f64 v[3:4], v[9:10], v[3:4]
	v_add_f64 v[1:2], v[1:2], v[16:17]
	;; [unrolled: 1-line block ×3, first 2 shown]
	s_waitcnt vmcnt(2)
	v_add_f64 v[1:2], v[63:64], -v[1:2]
	s_waitcnt vmcnt(0)
	v_add_f64 v[3:4], v[159:160], -v[3:4]
	buffer_store_dword v2, off, s[0:3], 0 offset:212
	buffer_store_dword v1, off, s[0:3], 0 offset:208
	;; [unrolled: 1-line block ×4, first 2 shown]
	v_cmpx_lt_u32_e32 11, v0
	s_cbranch_execz .LBB45_267
; %bb.266:
	v_mov_b32_e32 v4, s54
	s_clause 0x3
	buffer_load_dword v1, v4, s[0:3], 0 offen
	buffer_load_dword v2, v4, s[0:3], 0 offen offset:4
	buffer_load_dword v3, v4, s[0:3], 0 offen offset:8
	;; [unrolled: 1-line block ×3, first 2 shown]
	buffer_store_dword v24, off, s[0:3], 0 offset:192
	buffer_store_dword v24, off, s[0:3], 0 offset:196
	;; [unrolled: 1-line block ×4, first 2 shown]
	s_waitcnt vmcnt(0)
	ds_write_b128 v11, v[1:4]
.LBB45_267:
	s_or_b32 exec_lo, exec_lo, s4
	s_waitcnt lgkmcnt(0)
	s_waitcnt_vscnt null, 0x0
	s_barrier
	buffer_gl0_inv
	s_clause 0x37
	buffer_load_dword v16, off, s[0:3], 0 offset:216
	buffer_load_dword v17, off, s[0:3], 0 offset:220
	;; [unrolled: 1-line block ×56, first 2 shown]
	ds_read_b128 v[73:76], v24 offset:928
	s_clause 0x2
	buffer_load_dword v164, off, s[0:3], 0 offset:444
	buffer_load_dword v166, off, s[0:3], 0 offset:420
	;; [unrolled: 1-line block ×3, first 2 shown]
	ds_read_b128 v[77:80], v24 offset:944
	s_clause 0x4
	buffer_load_dword v170, off, s[0:3], 0 offset:460
	buffer_load_dword v171, off, s[0:3], 0 offset:472
	;; [unrolled: 1-line block ×5, first 2 shown]
	ds_read_b128 v[153:156], v24 offset:960
	s_mov_b32 s4, exec_lo
	s_waitcnt vmcnt(62) lgkmcnt(2)
	v_mul_f64 v[167:168], v[75:76], v[16:17]
	v_mul_f64 v[16:17], v[73:74], v[16:17]
	s_waitcnt vmcnt(60) lgkmcnt(1)
	v_mul_f64 v[174:175], v[79:80], v[9:10]
	v_mul_f64 v[9:10], v[77:78], v[9:10]
	;; [unrolled: 3-line block ×3, first 2 shown]
	v_fma_f64 v[73:74], v[73:74], v[14:15], -v[167:168]
	v_fma_f64 v[75:76], v[75:76], v[14:15], v[16:17]
	s_clause 0x2
	buffer_load_dword v172, off, s[0:3], 0 offset:476
	buffer_load_dword v168, off, s[0:3], 0 offset:452
	;; [unrolled: 1-line block ×3, first 2 shown]
	s_waitcnt vmcnt(57)
	v_fma_f64 v[77:78], v[77:78], v[1:2], -v[174:175]
	ds_read_b128 v[14:17], v24 offset:976
	v_fma_f64 v[9:10], v[79:80], v[1:2], v[9:10]
	s_clause 0x4
	buffer_load_dword v80, off, s[0:3], 0 offset:492
	buffer_load_dword v175, off, s[0:3], 0 offset:504
	;; [unrolled: 1-line block ×5, first 2 shown]
	s_waitcnt vmcnt(56)
	v_fma_f64 v[153:154], v[153:154], v[35:36], -v[178:179]
	ds_read_b128 v[1:4], v24 offset:992
	v_fma_f64 v[35:36], v[155:156], v[35:36], v[176:177]
	s_clause 0x2
	buffer_load_dword v176, off, s[0:3], 0 offset:508
	buffer_load_dword v156, off, s[0:3], 0 offset:484
	;; [unrolled: 1-line block ×3, first 2 shown]
	v_add_f64 v[73:74], v[73:74], 0
	v_add_f64 v[75:76], v[75:76], 0
	s_waitcnt lgkmcnt(1)
	v_mul_f64 v[181:182], v[14:15], v[20:21]
	v_mul_f64 v[20:21], v[16:17], v[20:21]
	s_waitcnt vmcnt(58) lgkmcnt(0)
	v_mul_f64 v[177:178], v[1:2], v[27:28]
	v_mul_f64 v[27:28], v[3:4], v[27:28]
	v_add_f64 v[77:78], v[73:74], v[77:78]
	v_add_f64 v[9:10], v[75:76], v[9:10]
	ds_read_b128 v[73:76], v24 offset:1008
	s_waitcnt vmcnt(56)
	v_fma_f64 v[20:21], v[14:15], v[29:30], -v[20:21]
	v_fma_f64 v[29:30], v[16:17], v[29:30], v[181:182]
	s_waitcnt vmcnt(51)
	v_fma_f64 v[27:28], v[1:2], v[18:19], -v[27:28]
	v_fma_f64 v[18:19], v[3:4], v[18:19], v[177:178]
	s_waitcnt lgkmcnt(0)
	v_mul_f64 v[183:184], v[73:74], v[31:32]
	v_add_f64 v[77:78], v[77:78], v[153:154]
	v_add_f64 v[9:10], v[9:10], v[35:36]
	s_clause 0x4
	buffer_load_dword v36, off, s[0:3], 0 offset:524
	buffer_load_dword v153, off, s[0:3], 0 offset:536
	;; [unrolled: 1-line block ×5, first 2 shown]
	v_mul_f64 v[31:32], v[75:76], v[31:32]
	ds_read_b128 v[14:17], v24 offset:1024
	v_add_f64 v[20:21], v[77:78], v[20:21]
	v_add_f64 v[9:10], v[9:10], v[29:30]
	s_clause 0x2
	buffer_load_dword v154, off, s[0:3], 0 offset:540
	buffer_load_dword v30, off, s[0:3], 0 offset:516
	buffer_load_dword v29, off, s[0:3], 0 offset:512
	s_waitcnt vmcnt(58) lgkmcnt(0)
	v_mul_f64 v[77:78], v[14:15], v[41:42]
	v_mul_f64 v[41:42], v[16:17], v[41:42]
	s_waitcnt vmcnt(56)
	v_fma_f64 v[31:32], v[73:74], v[43:44], -v[31:32]
	ds_read_b128 v[1:4], v24 offset:1040
	v_fma_f64 v[43:44], v[75:76], v[43:44], v[183:184]
	s_clause 0x4
	buffer_load_dword v74, off, s[0:3], 0 offset:556
	buffer_load_dword v75, off, s[0:3], 0 offset:568
	buffer_load_dword v177, off, s[0:3], 0 offset:560
	buffer_load_dword v73, off, s[0:3], 0 offset:552
	buffer_load_dword v183, off, s[0:3], 0 offset:532
	v_add_f64 v[27:28], v[20:21], v[27:28]
	v_add_f64 v[9:10], v[9:10], v[18:19]
	ds_read_b128 v[18:21], v24 offset:1056
	s_waitcnt vmcnt(57) lgkmcnt(1)
	v_mul_f64 v[178:179], v[1:2], v[45:46]
	v_mul_f64 v[45:46], v[3:4], v[45:46]
	s_waitcnt vmcnt(56)
	v_fma_f64 v[41:42], v[14:15], v[22:23], -v[41:42]
	v_fma_f64 v[22:23], v[16:17], v[22:23], v[77:78]
	v_add_f64 v[27:28], v[27:28], v[31:32]
	v_add_f64 v[9:10], v[9:10], v[43:44]
	s_clause 0x2
	buffer_load_dword v76, off, s[0:3], 0 offset:572
	buffer_load_dword v32, off, s[0:3], 0 offset:548
	;; [unrolled: 1-line block ×3, first 2 shown]
	s_waitcnt vmcnt(58) lgkmcnt(0)
	v_mul_f64 v[43:44], v[18:19], v[53:54]
	v_mul_f64 v[53:54], v[20:21], v[53:54]
	s_waitcnt vmcnt(56)
	v_fma_f64 v[45:46], v[1:2], v[55:56], -v[45:46]
	ds_read_b128 v[14:17], v24 offset:1072
	v_add_f64 v[27:28], v[27:28], v[41:42]
	v_fma_f64 v[41:42], v[3:4], v[55:56], v[178:179]
	v_add_f64 v[9:10], v[9:10], v[22:23]
	s_clause 0x4
	buffer_load_dword v23, off, s[0:3], 0 offset:588
	buffer_load_dword v55, off, s[0:3], 0 offset:600
	;; [unrolled: 1-line block ×5, first 2 shown]
	s_waitcnt vmcnt(57) lgkmcnt(0)
	v_mul_f64 v[184:185], v[14:15], v[57:58]
	v_mul_f64 v[57:58], v[16:17], v[57:58]
	s_waitcnt vmcnt(56)
	v_fma_f64 v[53:54], v[18:19], v[33:34], -v[53:54]
	ds_read_b128 v[1:4], v24 offset:1088
	v_fma_f64 v[33:34], v[20:21], v[33:34], v[43:44]
	v_add_f64 v[27:28], v[27:28], v[45:46]
	v_add_f64 v[9:10], v[9:10], v[41:42]
	s_clause 0x2
	buffer_load_dword v56, off, s[0:3], 0 offset:604
	buffer_load_dword v42, off, s[0:3], 0 offset:580
	;; [unrolled: 1-line block ×3, first 2 shown]
	ds_read_b128 v[18:21], v24 offset:1104
	s_waitcnt vmcnt(58) lgkmcnt(1)
	v_mul_f64 v[45:46], v[3:4], v[61:62]
	s_waitcnt vmcnt(56)
	v_fma_f64 v[57:58], v[14:15], v[63:64], -v[57:58]
	v_mul_f64 v[43:44], v[1:2], v[61:62]
	v_add_f64 v[27:28], v[27:28], v[53:54]
	v_fma_f64 v[53:54], v[16:17], v[63:64], v[184:185]
	v_add_f64 v[9:10], v[9:10], v[33:34]
	s_clause 0x4
	buffer_load_dword v34, off, s[0:3], 0 offset:620
	buffer_load_dword v61, off, s[0:3], 0 offset:632
	;; [unrolled: 1-line block ×5, first 2 shown]
	s_waitcnt vmcnt(57) lgkmcnt(0)
	v_mul_f64 v[184:185], v[18:19], v[65:66]
	v_mul_f64 v[64:65], v[20:21], v[65:66]
	s_waitcnt vmcnt(56)
	v_fma_f64 v[45:46], v[1:2], v[47:48], -v[45:46]
	ds_read_b128 v[14:17], v24 offset:1120
	v_fma_f64 v[43:44], v[3:4], v[47:48], v[43:44]
	s_clause 0x2
	buffer_load_dword v62, off, s[0:3], 0 offset:636
	buffer_load_dword v48, off, s[0:3], 0 offset:612
	;; [unrolled: 1-line block ×3, first 2 shown]
	ds_read_b128 v[1:4], v24 offset:1136
	v_add_f64 v[27:28], v[27:28], v[57:58]
	v_add_f64 v[9:10], v[9:10], v[53:54]
	s_waitcnt vmcnt(58) lgkmcnt(1)
	v_mul_f64 v[57:58], v[16:17], v[157:158]
	s_waitcnt vmcnt(56)
	v_fma_f64 v[65:66], v[18:19], v[159:160], -v[64:65]
	v_mul_f64 v[53:54], v[14:15], v[157:158]
	v_add_f64 v[27:28], v[27:28], v[45:46]
	v_fma_f64 v[45:46], v[20:21], v[159:160], v[184:185]
	v_add_f64 v[9:10], v[9:10], v[43:44]
	s_clause 0x4
	buffer_load_dword v44, off, s[0:3], 0 offset:652
	buffer_load_dword v157, off, s[0:3], 0 offset:664
	;; [unrolled: 1-line block ×5, first 2 shown]
	s_waitcnt vmcnt(57) lgkmcnt(0)
	v_mul_f64 v[184:185], v[1:2], v[161:162]
	v_mul_f64 v[160:161], v[3:4], v[161:162]
	s_waitcnt vmcnt(56)
	v_fma_f64 v[57:58], v[14:15], v[59:60], -v[57:58]
	ds_read_b128 v[18:21], v24 offset:1152
	v_fma_f64 v[53:54], v[16:17], v[59:60], v[53:54]
	v_add_f64 v[27:28], v[27:28], v[65:66]
	v_add_f64 v[9:10], v[9:10], v[45:46]
	s_clause 0x2
	buffer_load_dword v158, off, s[0:3], 0 offset:668
	buffer_load_dword v46, off, s[0:3], 0 offset:644
	;; [unrolled: 1-line block ×3, first 2 shown]
	ds_read_b128 v[14:17], v24 offset:1168
	s_waitcnt vmcnt(58) lgkmcnt(1)
	v_mul_f64 v[65:66], v[20:21], v[163:164]
	s_waitcnt vmcnt(56)
	v_fma_f64 v[161:162], v[1:2], v[165:166], -v[160:161]
	v_mul_f64 v[59:60], v[18:19], v[163:164]
	v_add_f64 v[27:28], v[27:28], v[57:58]
	v_fma_f64 v[57:58], v[3:4], v[165:166], v[184:185]
	v_add_f64 v[9:10], v[9:10], v[53:54]
	s_clause 0x4
	buffer_load_dword v54, off, s[0:3], 0 offset:684
	buffer_load_dword v163, off, s[0:3], 0 offset:696
	;; [unrolled: 1-line block ×5, first 2 shown]
	s_waitcnt vmcnt(57) lgkmcnt(0)
	v_mul_f64 v[184:185], v[14:15], v[169:170]
	v_mul_f64 v[169:170], v[16:17], v[169:170]
	s_waitcnt vmcnt(56)
	v_fma_f64 v[65:66], v[18:19], v[67:68], -v[65:66]
	ds_read_b128 v[1:4], v24 offset:1184
	v_fma_f64 v[59:60], v[20:21], v[67:68], v[59:60]
	v_add_f64 v[27:28], v[27:28], v[161:162]
	v_add_f64 v[9:10], v[9:10], v[57:58]
	s_clause 0x2
	buffer_load_dword v164, off, s[0:3], 0 offset:700
	buffer_load_dword v58, off, s[0:3], 0 offset:676
	;; [unrolled: 1-line block ×3, first 2 shown]
	ds_read_b128 v[18:21], v24 offset:1200
	s_waitcnt vmcnt(58) lgkmcnt(1)
	v_mul_f64 v[161:162], v[3:4], v[171:172]
	v_mul_f64 v[67:68], v[1:2], v[171:172]
	s_waitcnt vmcnt(56)
	v_fma_f64 v[169:170], v[14:15], v[167:168], -v[169:170]
	v_add_f64 v[27:28], v[27:28], v[65:66]
	v_fma_f64 v[65:66], v[16:17], v[167:168], v[184:185]
	v_add_f64 v[9:10], v[9:10], v[59:60]
	s_clause 0x4
	buffer_load_dword v60, off, s[0:3], 0 offset:716
	buffer_load_dword v167, off, s[0:3], 0 offset:728
	buffer_load_dword v171, off, s[0:3], 0 offset:720
	buffer_load_dword v59, off, s[0:3], 0 offset:712
	buffer_load_dword v166, off, s[0:3], 0 offset:692
	s_waitcnt vmcnt(57) lgkmcnt(0)
	v_mul_f64 v[184:185], v[18:19], v[79:80]
	v_mul_f64 v[79:80], v[20:21], v[79:80]
	ds_read_b128 v[14:17], v24 offset:1216
	s_waitcnt vmcnt(56)
	v_fma_f64 v[161:162], v[1:2], v[173:174], -v[161:162]
	v_fma_f64 v[67:68], v[3:4], v[173:174], v[67:68]
	v_add_f64 v[27:28], v[27:28], v[169:170]
	v_add_f64 v[9:10], v[9:10], v[65:66]
	s_clause 0x2
	buffer_load_dword v168, off, s[0:3], 0 offset:732
	buffer_load_dword v66, off, s[0:3], 0 offset:708
	;; [unrolled: 1-line block ×3, first 2 shown]
	s_waitcnt vmcnt(58) lgkmcnt(0)
	v_mul_f64 v[173:174], v[16:17], v[175:176]
	s_waitcnt vmcnt(56)
	v_fma_f64 v[79:80], v[18:19], v[155:156], -v[79:80]
	ds_read_b128 v[1:4], v24 offset:1232
	v_mul_f64 v[169:170], v[14:15], v[175:176]
	v_fma_f64 v[155:156], v[20:21], v[155:156], v[184:185]
	v_add_f64 v[27:28], v[27:28], v[161:162]
	v_add_f64 v[9:10], v[9:10], v[67:68]
	s_clause 0x2
	buffer_load_dword v68, off, s[0:3], 0 offset:748
	buffer_load_dword v67, off, s[0:3], 0 offset:744
	;; [unrolled: 1-line block ×3, first 2 shown]
	ds_read_b128 v[18:21], v24 offset:1248
	s_waitcnt vmcnt(55) lgkmcnt(1)
	v_mul_f64 v[161:162], v[1:2], v[35:36]
	v_mul_f64 v[35:36], v[3:4], v[35:36]
	s_waitcnt vmcnt(54)
	v_fma_f64 v[173:174], v[14:15], v[180:181], -v[173:174]
	v_add_f64 v[27:28], v[27:28], v[79:80]
	v_fma_f64 v[79:80], v[16:17], v[180:181], v[169:170]
	v_add_f64 v[9:10], v[9:10], v[155:156]
	s_clause 0x1
	buffer_load_dword v156, off, s[0:3], 0 offset:740
	buffer_load_dword v155, off, s[0:3], 0 offset:736
	ds_read_b128 v[14:17], v24 offset:1264
	s_waitcnt vmcnt(55) lgkmcnt(1)
	v_mul_f64 v[169:170], v[18:19], v[153:154]
	v_mul_f64 v[153:154], v[20:21], v[153:154]
	s_waitcnt vmcnt(53)
	v_fma_f64 v[35:36], v[1:2], v[29:30], -v[35:36]
	v_fma_f64 v[29:30], v[3:4], v[29:30], v[161:162]
	ds_read_b128 v[1:4], v24 offset:1280
	v_add_f64 v[27:28], v[27:28], v[173:174]
	v_add_f64 v[9:10], v[9:10], v[79:80]
	s_waitcnt vmcnt(49) lgkmcnt(1)
	v_mul_f64 v[79:80], v[14:15], v[73:74]
	v_mul_f64 v[73:74], v[16:17], v[73:74]
	s_waitcnt vmcnt(48)
	v_fma_f64 v[153:154], v[18:19], v[182:183], -v[153:154]
	v_add_f64 v[27:28], v[27:28], v[35:36]
	v_fma_f64 v[35:36], v[20:21], v[182:183], v[169:170]
	v_add_f64 v[9:10], v[9:10], v[29:30]
	s_clause 0x3
	buffer_load_dword v29, off, s[0:3], 0 offset:192
	buffer_load_dword v30, off, s[0:3], 0 offset:196
	;; [unrolled: 1-line block ×4, first 2 shown]
	ds_read_b128 v[18:21], v24 offset:1296
	s_waitcnt vmcnt(51) lgkmcnt(1)
	v_mul_f64 v[169:170], v[1:2], v[75:76]
	v_mul_f64 v[75:76], v[3:4], v[75:76]
	s_waitcnt vmcnt(49)
	v_fma_f64 v[73:74], v[14:15], v[31:32], -v[73:74]
	v_fma_f64 v[31:32], v[16:17], v[31:32], v[79:80]
	ds_read_b128 v[14:17], v24 offset:1312
	v_add_f64 v[27:28], v[27:28], v[153:154]
	v_add_f64 v[9:10], v[9:10], v[35:36]
	s_waitcnt vmcnt(45) lgkmcnt(1)
	v_mul_f64 v[35:36], v[18:19], v[22:23]
	v_mul_f64 v[22:23], v[20:21], v[22:23]
	s_waitcnt vmcnt(44)
	v_fma_f64 v[75:76], v[1:2], v[177:178], -v[75:76]
	v_add_f64 v[27:28], v[27:28], v[73:74]
	v_fma_f64 v[73:74], v[3:4], v[177:178], v[169:170]
	v_add_f64 v[9:10], v[9:10], v[31:32]
	ds_read_b128 v[1:4], v24 offset:1328
	s_waitcnt vmcnt(43) lgkmcnt(1)
	v_mul_f64 v[31:32], v[14:15], v[55:56]
	v_mul_f64 v[55:56], v[16:17], v[55:56]
	s_waitcnt vmcnt(41)
	v_fma_f64 v[22:23], v[18:19], v[41:42], -v[22:23]
	v_fma_f64 v[35:36], v[20:21], v[41:42], v[35:36]
	ds_read_b128 v[18:21], v24 offset:1344
	v_add_f64 v[27:28], v[27:28], v[75:76]
	v_add_f64 v[9:10], v[9:10], v[73:74]
	s_waitcnt vmcnt(37) lgkmcnt(1)
	v_mul_f64 v[41:42], v[1:2], v[33:34]
	v_mul_f64 v[33:34], v[3:4], v[33:34]
	s_waitcnt vmcnt(36)
	v_fma_f64 v[55:56], v[14:15], v[77:78], -v[55:56]
	v_add_f64 v[22:23], v[27:28], v[22:23]
	v_fma_f64 v[27:28], v[16:17], v[77:78], v[31:32]
	v_add_f64 v[9:10], v[9:10], v[35:36]
	s_waitcnt vmcnt(35) lgkmcnt(0)
	v_mul_f64 v[35:36], v[20:21], v[61:62]
	ds_read_b128 v[14:17], v24 offset:1360
	v_mul_f64 v[31:32], v[18:19], v[61:62]
	s_waitcnt vmcnt(33)
	v_fma_f64 v[41:42], v[3:4], v[47:48], v[41:42]
	v_fma_f64 v[33:34], v[1:2], v[47:48], -v[33:34]
	ds_read_b128 v[1:4], v24 offset:1376
	v_add_f64 v[22:23], v[22:23], v[55:56]
	v_add_f64 v[9:10], v[9:10], v[27:28]
	s_waitcnt vmcnt(29) lgkmcnt(1)
	v_mul_f64 v[27:28], v[14:15], v[43:44]
	v_mul_f64 v[43:44], v[16:17], v[43:44]
	s_waitcnt vmcnt(28)
	v_fma_f64 v[35:36], v[18:19], v[63:64], -v[35:36]
	v_fma_f64 v[31:32], v[20:21], v[63:64], v[31:32]
	ds_read_b128 v[18:21], v24 offset:1392
	v_add_f64 v[22:23], v[22:23], v[33:34]
	v_add_f64 v[9:10], v[9:10], v[41:42]
	s_waitcnt vmcnt(27) lgkmcnt(1)
	v_mul_f64 v[41:42], v[3:4], v[157:158]
	v_mul_f64 v[33:34], v[1:2], v[157:158]
	s_waitcnt vmcnt(25)
	v_fma_f64 v[43:44], v[14:15], v[45:46], -v[43:44]
	v_fma_f64 v[27:28], v[16:17], v[45:46], v[27:28]
	ds_read_b128 v[14:17], v24 offset:1408
	v_add_f64 v[22:23], v[22:23], v[35:36]
	v_add_f64 v[9:10], v[9:10], v[31:32]
	s_waitcnt vmcnt(21) lgkmcnt(1)
	v_mul_f64 v[35:36], v[20:21], v[53:54]
	s_waitcnt vmcnt(20)
	v_fma_f64 v[41:42], v[1:2], v[159:160], -v[41:42]
	v_mul_f64 v[31:32], v[18:19], v[53:54]
	v_fma_f64 v[33:34], v[3:4], v[159:160], v[33:34]
	ds_read_b128 v[1:4], v24 offset:1424
	v_add_f64 v[22:23], v[22:23], v[43:44]
	v_add_f64 v[9:10], v[9:10], v[27:28]
	s_waitcnt vmcnt(19) lgkmcnt(1)
	v_mul_f64 v[43:44], v[16:17], v[163:164]
	v_mul_f64 v[27:28], v[14:15], v[163:164]
	s_waitcnt vmcnt(17)
	v_fma_f64 v[35:36], v[18:19], v[57:58], -v[35:36]
	v_fma_f64 v[31:32], v[20:21], v[57:58], v[31:32]
	ds_read_b128 v[18:21], v24 offset:1440
	v_add_f64 v[22:23], v[22:23], v[41:42]
	v_add_f64 v[9:10], v[9:10], v[33:34]
	s_waitcnt vmcnt(13) lgkmcnt(1)
	v_mul_f64 v[41:42], v[3:4], v[59:60]
	s_waitcnt vmcnt(12)
	v_fma_f64 v[43:44], v[14:15], v[165:166], -v[43:44]
	v_mul_f64 v[33:34], v[1:2], v[59:60]
	v_fma_f64 v[27:28], v[16:17], v[165:166], v[27:28]
	ds_read_b128 v[14:17], v24 offset:1456
	v_add_f64 v[22:23], v[22:23], v[35:36]
	v_add_f64 v[9:10], v[9:10], v[31:32]
	s_waitcnt vmcnt(11) lgkmcnt(1)
	v_mul_f64 v[35:36], v[20:21], v[167:168]
	v_mul_f64 v[31:32], v[18:19], v[167:168]
	s_waitcnt vmcnt(9)
	v_fma_f64 v[1:2], v[1:2], v[65:66], -v[41:42]
	v_fma_f64 v[3:4], v[3:4], v[65:66], v[33:34]
	v_add_f64 v[22:23], v[22:23], v[43:44]
	v_add_f64 v[9:10], v[9:10], v[27:28]
	s_waitcnt vmcnt(7) lgkmcnt(0)
	v_mul_f64 v[33:34], v[16:17], v[67:68]
	s_waitcnt vmcnt(6)
	v_fma_f64 v[18:19], v[18:19], v[171:172], -v[35:36]
	v_mul_f64 v[27:28], v[14:15], v[67:68]
	v_fma_f64 v[20:21], v[20:21], v[171:172], v[31:32]
	v_add_f64 v[1:2], v[22:23], v[1:2]
	v_add_f64 v[3:4], v[9:10], v[3:4]
	s_waitcnt vmcnt(4)
	v_fma_f64 v[9:10], v[14:15], v[155:156], -v[33:34]
	v_fma_f64 v[14:15], v[16:17], v[155:156], v[27:28]
	v_add_f64 v[1:2], v[1:2], v[18:19]
	v_add_f64 v[3:4], v[3:4], v[20:21]
	;; [unrolled: 1-line block ×4, first 2 shown]
	s_waitcnt vmcnt(2)
	v_add_f64 v[1:2], v[29:30], -v[1:2]
	s_waitcnt vmcnt(0)
	v_add_f64 v[3:4], v[161:162], -v[3:4]
	buffer_store_dword v2, off, s[0:3], 0 offset:196
	buffer_store_dword v1, off, s[0:3], 0 offset:192
	;; [unrolled: 1-line block ×4, first 2 shown]
	v_cmpx_lt_u32_e32 10, v0
	s_cbranch_execz .LBB45_269
; %bb.268:
	v_mov_b32_e32 v4, s55
	v_mov_b32_e32 v9, 0
	s_clause 0x3
	buffer_load_dword v1, v4, s[0:3], 0 offen
	buffer_load_dword v2, v4, s[0:3], 0 offen offset:4
	buffer_load_dword v3, v4, s[0:3], 0 offen offset:8
	;; [unrolled: 1-line block ×3, first 2 shown]
	buffer_store_dword v9, off, s[0:3], 0 offset:176
	buffer_store_dword v9, off, s[0:3], 0 offset:180
	;; [unrolled: 1-line block ×4, first 2 shown]
	s_waitcnt vmcnt(0)
	ds_write_b128 v11, v[1:4]
.LBB45_269:
	s_or_b32 exec_lo, exec_lo, s4
	s_waitcnt lgkmcnt(0)
	s_waitcnt_vscnt null, 0x0
	s_barrier
	buffer_gl0_inv
	s_clause 0x37
	buffer_load_dword v16, off, s[0:3], 0 offset:200
	buffer_load_dword v17, off, s[0:3], 0 offset:204
	;; [unrolled: 1-line block ×56, first 2 shown]
	v_mov_b32_e32 v24, 0
	s_mov_b32 s4, exec_lo
	ds_read_b128 v[153:156], v24 offset:912
	s_clause 0x2
	buffer_load_dword v80, off, s[0:3], 0 offset:428
	buffer_load_dword v166, off, s[0:3], 0 offset:404
	buffer_load_dword v165, off, s[0:3], 0 offset:400
	ds_read_b128 v[157:160], v24 offset:928
	s_clause 0x4
	buffer_load_dword v170, off, s[0:3], 0 offset:444
	buffer_load_dword v171, off, s[0:3], 0 offset:456
	;; [unrolled: 1-line block ×5, first 2 shown]
	ds_read_b128 v[161:164], v24 offset:944
	s_waitcnt vmcnt(62) lgkmcnt(2)
	v_mul_f64 v[167:168], v[155:156], v[16:17]
	v_mul_f64 v[16:17], v[153:154], v[16:17]
	s_waitcnt vmcnt(60) lgkmcnt(1)
	v_mul_f64 v[174:175], v[159:160], v[9:10]
	v_mul_f64 v[9:10], v[157:158], v[9:10]
	;; [unrolled: 3-line block ×3, first 2 shown]
	v_fma_f64 v[153:154], v[153:154], v[14:15], -v[167:168]
	v_fma_f64 v[155:156], v[155:156], v[14:15], v[16:17]
	s_clause 0x2
	buffer_load_dword v172, off, s[0:3], 0 offset:460
	buffer_load_dword v168, off, s[0:3], 0 offset:436
	;; [unrolled: 1-line block ×3, first 2 shown]
	s_waitcnt vmcnt(57)
	v_fma_f64 v[157:158], v[157:158], v[1:2], -v[174:175]
	ds_read_b128 v[14:17], v24 offset:960
	v_fma_f64 v[9:10], v[159:160], v[1:2], v[9:10]
	s_clause 0x4
	buffer_load_dword v160, off, s[0:3], 0 offset:476
	buffer_load_dword v175, off, s[0:3], 0 offset:488
	;; [unrolled: 1-line block ×5, first 2 shown]
	s_waitcnt vmcnt(56)
	v_fma_f64 v[161:162], v[161:162], v[35:36], -v[178:179]
	ds_read_b128 v[1:4], v24 offset:976
	v_fma_f64 v[35:36], v[163:164], v[35:36], v[176:177]
	s_clause 0x2
	buffer_load_dword v176, off, s[0:3], 0 offset:492
	buffer_load_dword v164, off, s[0:3], 0 offset:468
	;; [unrolled: 1-line block ×3, first 2 shown]
	v_add_f64 v[153:154], v[153:154], 0
	v_add_f64 v[155:156], v[155:156], 0
	s_waitcnt lgkmcnt(1)
	v_mul_f64 v[181:182], v[14:15], v[20:21]
	v_mul_f64 v[20:21], v[16:17], v[20:21]
	s_waitcnt vmcnt(58) lgkmcnt(0)
	v_mul_f64 v[177:178], v[1:2], v[27:28]
	v_mul_f64 v[27:28], v[3:4], v[27:28]
	v_add_f64 v[157:158], v[153:154], v[157:158]
	v_add_f64 v[9:10], v[155:156], v[9:10]
	ds_read_b128 v[153:156], v24 offset:992
	s_waitcnt vmcnt(56)
	v_fma_f64 v[20:21], v[14:15], v[29:30], -v[20:21]
	v_fma_f64 v[29:30], v[16:17], v[29:30], v[181:182]
	s_waitcnt vmcnt(51)
	v_fma_f64 v[27:28], v[1:2], v[18:19], -v[27:28]
	v_fma_f64 v[18:19], v[3:4], v[18:19], v[177:178]
	s_waitcnt lgkmcnt(0)
	v_mul_f64 v[183:184], v[153:154], v[31:32]
	v_add_f64 v[157:158], v[157:158], v[161:162]
	v_add_f64 v[9:10], v[9:10], v[35:36]
	s_clause 0x4
	buffer_load_dword v36, off, s[0:3], 0 offset:508
	buffer_load_dword v161, off, s[0:3], 0 offset:520
	;; [unrolled: 1-line block ×5, first 2 shown]
	v_mul_f64 v[31:32], v[155:156], v[31:32]
	ds_read_b128 v[14:17], v24 offset:1008
	v_add_f64 v[20:21], v[157:158], v[20:21]
	v_add_f64 v[9:10], v[9:10], v[29:30]
	s_clause 0x2
	buffer_load_dword v162, off, s[0:3], 0 offset:524
	buffer_load_dword v30, off, s[0:3], 0 offset:500
	;; [unrolled: 1-line block ×3, first 2 shown]
	s_waitcnt vmcnt(58) lgkmcnt(0)
	v_mul_f64 v[157:158], v[14:15], v[41:42]
	v_mul_f64 v[41:42], v[16:17], v[41:42]
	s_waitcnt vmcnt(56)
	v_fma_f64 v[31:32], v[153:154], v[43:44], -v[31:32]
	ds_read_b128 v[1:4], v24 offset:1024
	v_fma_f64 v[43:44], v[155:156], v[43:44], v[183:184]
	s_clause 0x4
	buffer_load_dword v154, off, s[0:3], 0 offset:540
	buffer_load_dword v155, off, s[0:3], 0 offset:552
	;; [unrolled: 1-line block ×5, first 2 shown]
	v_add_f64 v[27:28], v[20:21], v[27:28]
	v_add_f64 v[9:10], v[9:10], v[18:19]
	ds_read_b128 v[18:21], v24 offset:1040
	s_waitcnt vmcnt(57) lgkmcnt(1)
	v_mul_f64 v[178:179], v[1:2], v[45:46]
	v_mul_f64 v[45:46], v[3:4], v[45:46]
	s_waitcnt vmcnt(56)
	v_fma_f64 v[41:42], v[14:15], v[22:23], -v[41:42]
	v_fma_f64 v[22:23], v[16:17], v[22:23], v[157:158]
	v_add_f64 v[27:28], v[27:28], v[31:32]
	v_add_f64 v[9:10], v[9:10], v[43:44]
	s_clause 0x2
	buffer_load_dword v156, off, s[0:3], 0 offset:556
	buffer_load_dword v32, off, s[0:3], 0 offset:532
	buffer_load_dword v31, off, s[0:3], 0 offset:528
	s_waitcnt vmcnt(58) lgkmcnt(0)
	v_mul_f64 v[43:44], v[18:19], v[53:54]
	v_mul_f64 v[53:54], v[20:21], v[53:54]
	s_waitcnt vmcnt(56)
	v_fma_f64 v[45:46], v[1:2], v[55:56], -v[45:46]
	ds_read_b128 v[14:17], v24 offset:1056
	v_add_f64 v[27:28], v[27:28], v[41:42]
	v_fma_f64 v[41:42], v[3:4], v[55:56], v[178:179]
	v_add_f64 v[9:10], v[9:10], v[22:23]
	s_clause 0x4
	buffer_load_dword v23, off, s[0:3], 0 offset:572
	buffer_load_dword v55, off, s[0:3], 0 offset:584
	;; [unrolled: 1-line block ×5, first 2 shown]
	s_waitcnt vmcnt(57) lgkmcnt(0)
	v_mul_f64 v[184:185], v[14:15], v[57:58]
	v_mul_f64 v[57:58], v[16:17], v[57:58]
	s_waitcnt vmcnt(56)
	v_fma_f64 v[53:54], v[18:19], v[33:34], -v[53:54]
	ds_read_b128 v[1:4], v24 offset:1072
	v_fma_f64 v[33:34], v[20:21], v[33:34], v[43:44]
	v_add_f64 v[27:28], v[27:28], v[45:46]
	v_add_f64 v[9:10], v[9:10], v[41:42]
	s_clause 0x2
	buffer_load_dword v56, off, s[0:3], 0 offset:588
	buffer_load_dword v42, off, s[0:3], 0 offset:564
	;; [unrolled: 1-line block ×3, first 2 shown]
	ds_read_b128 v[18:21], v24 offset:1088
	s_waitcnt vmcnt(58) lgkmcnt(1)
	v_mul_f64 v[45:46], v[3:4], v[61:62]
	s_waitcnt vmcnt(56)
	v_fma_f64 v[57:58], v[14:15], v[63:64], -v[57:58]
	v_mul_f64 v[43:44], v[1:2], v[61:62]
	v_add_f64 v[27:28], v[27:28], v[53:54]
	v_fma_f64 v[53:54], v[16:17], v[63:64], v[184:185]
	v_add_f64 v[9:10], v[9:10], v[33:34]
	s_clause 0x4
	buffer_load_dword v34, off, s[0:3], 0 offset:604
	buffer_load_dword v61, off, s[0:3], 0 offset:616
	;; [unrolled: 1-line block ×5, first 2 shown]
	s_waitcnt vmcnt(57) lgkmcnt(0)
	v_mul_f64 v[184:185], v[18:19], v[65:66]
	v_mul_f64 v[64:65], v[20:21], v[65:66]
	s_waitcnt vmcnt(56)
	v_fma_f64 v[45:46], v[1:2], v[47:48], -v[45:46]
	ds_read_b128 v[14:17], v24 offset:1104
	v_fma_f64 v[43:44], v[3:4], v[47:48], v[43:44]
	s_clause 0x2
	buffer_load_dword v62, off, s[0:3], 0 offset:620
	buffer_load_dword v48, off, s[0:3], 0 offset:596
	;; [unrolled: 1-line block ×3, first 2 shown]
	ds_read_b128 v[1:4], v24 offset:1120
	v_add_f64 v[27:28], v[27:28], v[57:58]
	v_add_f64 v[9:10], v[9:10], v[53:54]
	s_waitcnt vmcnt(58) lgkmcnt(1)
	v_mul_f64 v[57:58], v[16:17], v[73:74]
	s_waitcnt vmcnt(56)
	v_fma_f64 v[65:66], v[18:19], v[75:76], -v[64:65]
	v_mul_f64 v[53:54], v[14:15], v[73:74]
	v_add_f64 v[27:28], v[27:28], v[45:46]
	v_fma_f64 v[45:46], v[20:21], v[75:76], v[184:185]
	v_add_f64 v[9:10], v[9:10], v[43:44]
	s_clause 0x4
	buffer_load_dword v44, off, s[0:3], 0 offset:636
	buffer_load_dword v73, off, s[0:3], 0 offset:648
	;; [unrolled: 1-line block ×5, first 2 shown]
	s_waitcnt vmcnt(57) lgkmcnt(0)
	v_mul_f64 v[184:185], v[1:2], v[77:78]
	v_mul_f64 v[76:77], v[3:4], v[77:78]
	s_waitcnt vmcnt(56)
	v_fma_f64 v[57:58], v[14:15], v[59:60], -v[57:58]
	ds_read_b128 v[18:21], v24 offset:1136
	v_fma_f64 v[53:54], v[16:17], v[59:60], v[53:54]
	v_add_f64 v[27:28], v[27:28], v[65:66]
	v_add_f64 v[9:10], v[9:10], v[45:46]
	s_clause 0x2
	buffer_load_dword v74, off, s[0:3], 0 offset:652
	buffer_load_dword v46, off, s[0:3], 0 offset:628
	buffer_load_dword v45, off, s[0:3], 0 offset:624
	ds_read_b128 v[14:17], v24 offset:1152
	s_waitcnt vmcnt(58) lgkmcnt(1)
	v_mul_f64 v[65:66], v[20:21], v[79:80]
	s_waitcnt vmcnt(56)
	v_fma_f64 v[77:78], v[1:2], v[165:166], -v[76:77]
	v_mul_f64 v[59:60], v[18:19], v[79:80]
	v_add_f64 v[27:28], v[27:28], v[57:58]
	v_fma_f64 v[57:58], v[3:4], v[165:166], v[184:185]
	v_add_f64 v[9:10], v[9:10], v[53:54]
	s_clause 0x4
	buffer_load_dword v54, off, s[0:3], 0 offset:668
	buffer_load_dword v79, off, s[0:3], 0 offset:680
	;; [unrolled: 1-line block ×5, first 2 shown]
	s_waitcnt vmcnt(57) lgkmcnt(0)
	v_mul_f64 v[184:185], v[14:15], v[169:170]
	v_mul_f64 v[169:170], v[16:17], v[169:170]
	s_waitcnt vmcnt(56)
	v_fma_f64 v[65:66], v[18:19], v[67:68], -v[65:66]
	ds_read_b128 v[1:4], v24 offset:1168
	v_fma_f64 v[59:60], v[20:21], v[67:68], v[59:60]
	v_add_f64 v[27:28], v[27:28], v[77:78]
	v_add_f64 v[9:10], v[9:10], v[57:58]
	s_clause 0x2
	buffer_load_dword v80, off, s[0:3], 0 offset:684
	buffer_load_dword v58, off, s[0:3], 0 offset:660
	;; [unrolled: 1-line block ×3, first 2 shown]
	ds_read_b128 v[18:21], v24 offset:1184
	s_waitcnt vmcnt(58) lgkmcnt(1)
	v_mul_f64 v[77:78], v[3:4], v[171:172]
	v_mul_f64 v[67:68], v[1:2], v[171:172]
	s_waitcnt vmcnt(56)
	v_fma_f64 v[169:170], v[14:15], v[167:168], -v[169:170]
	v_add_f64 v[27:28], v[27:28], v[65:66]
	v_fma_f64 v[65:66], v[16:17], v[167:168], v[184:185]
	v_add_f64 v[9:10], v[9:10], v[59:60]
	s_clause 0x4
	buffer_load_dword v60, off, s[0:3], 0 offset:700
	buffer_load_dword v167, off, s[0:3], 0 offset:712
	;; [unrolled: 1-line block ×5, first 2 shown]
	s_waitcnt vmcnt(57) lgkmcnt(0)
	v_mul_f64 v[184:185], v[18:19], v[159:160]
	v_mul_f64 v[159:160], v[20:21], v[159:160]
	ds_read_b128 v[14:17], v24 offset:1200
	s_waitcnt vmcnt(56)
	v_fma_f64 v[77:78], v[1:2], v[173:174], -v[77:78]
	v_fma_f64 v[67:68], v[3:4], v[173:174], v[67:68]
	v_add_f64 v[27:28], v[27:28], v[169:170]
	v_add_f64 v[9:10], v[9:10], v[65:66]
	s_clause 0x2
	buffer_load_dword v168, off, s[0:3], 0 offset:716
	buffer_load_dword v66, off, s[0:3], 0 offset:692
	buffer_load_dword v65, off, s[0:3], 0 offset:688
	s_waitcnt vmcnt(58) lgkmcnt(0)
	v_mul_f64 v[173:174], v[16:17], v[175:176]
	s_waitcnt vmcnt(56)
	v_fma_f64 v[159:160], v[18:19], v[163:164], -v[159:160]
	ds_read_b128 v[1:4], v24 offset:1216
	v_mul_f64 v[169:170], v[14:15], v[175:176]
	v_add_f64 v[27:28], v[27:28], v[77:78]
	v_fma_f64 v[77:78], v[20:21], v[163:164], v[184:185]
	v_add_f64 v[9:10], v[9:10], v[67:68]
	s_clause 0x4
	buffer_load_dword v68, off, s[0:3], 0 offset:732
	buffer_load_dword v163, off, s[0:3], 0 offset:744
	;; [unrolled: 1-line block ×5, first 2 shown]
	ds_read_b128 v[18:21], v24 offset:1232
	s_waitcnt vmcnt(57) lgkmcnt(1)
	v_mul_f64 v[184:185], v[1:2], v[35:36]
	v_mul_f64 v[35:36], v[3:4], v[35:36]
	s_waitcnt vmcnt(56)
	v_fma_f64 v[173:174], v[14:15], v[180:181], -v[173:174]
	v_add_f64 v[27:28], v[27:28], v[159:160]
	v_fma_f64 v[159:160], v[16:17], v[180:181], v[169:170]
	v_add_f64 v[9:10], v[9:10], v[77:78]
	s_clause 0x2
	buffer_load_dword v164, off, s[0:3], 0 offset:748
	buffer_load_dword v78, off, s[0:3], 0 offset:724
	;; [unrolled: 1-line block ×3, first 2 shown]
	ds_read_b128 v[14:17], v24 offset:1248
	buffer_load_dword v176, off, s[0:3], 0 offset:740
	s_waitcnt vmcnt(59) lgkmcnt(1)
	v_mul_f64 v[169:170], v[18:19], v[161:162]
	v_mul_f64 v[161:162], v[20:21], v[161:162]
	s_waitcnt vmcnt(57)
	v_fma_f64 v[35:36], v[1:2], v[29:30], -v[35:36]
	v_fma_f64 v[29:30], v[3:4], v[29:30], v[184:185]
	ds_read_b128 v[1:4], v24 offset:1264
	v_add_f64 v[27:28], v[27:28], v[173:174]
	v_add_f64 v[9:10], v[9:10], v[159:160]
	s_waitcnt vmcnt(53) lgkmcnt(1)
	v_mul_f64 v[159:160], v[14:15], v[153:154]
	v_mul_f64 v[153:154], v[16:17], v[153:154]
	s_waitcnt vmcnt(52)
	v_fma_f64 v[161:162], v[18:19], v[182:183], -v[161:162]
	v_add_f64 v[27:28], v[27:28], v[35:36]
	v_fma_f64 v[35:36], v[20:21], v[182:183], v[169:170]
	v_add_f64 v[9:10], v[9:10], v[29:30]
	ds_read_b128 v[18:21], v24 offset:1280
	s_waitcnt vmcnt(51) lgkmcnt(1)
	v_mul_f64 v[29:30], v[1:2], v[155:156]
	v_mul_f64 v[155:156], v[3:4], v[155:156]
	s_waitcnt vmcnt(49)
	v_fma_f64 v[153:154], v[14:15], v[31:32], -v[153:154]
	v_fma_f64 v[31:32], v[16:17], v[31:32], v[159:160]
	v_add_f64 v[27:28], v[27:28], v[161:162]
	v_add_f64 v[9:10], v[9:10], v[35:36]
	s_clause 0x3
	buffer_load_dword v35, off, s[0:3], 0 offset:176
	buffer_load_dword v36, off, s[0:3], 0 offset:180
	;; [unrolled: 1-line block ×4, first 2 shown]
	ds_read_b128 v[14:17], v24 offset:1296
	s_waitcnt vmcnt(49) lgkmcnt(1)
	v_mul_f64 v[161:162], v[18:19], v[22:23]
	v_mul_f64 v[22:23], v[20:21], v[22:23]
	s_waitcnt vmcnt(48)
	v_fma_f64 v[155:156], v[1:2], v[177:178], -v[155:156]
	v_fma_f64 v[29:30], v[3:4], v[177:178], v[29:30]
	ds_read_b128 v[1:4], v24 offset:1312
	v_add_f64 v[27:28], v[27:28], v[153:154]
	v_add_f64 v[9:10], v[9:10], v[31:32]
	s_waitcnt vmcnt(47) lgkmcnt(1)
	v_mul_f64 v[31:32], v[14:15], v[55:56]
	v_mul_f64 v[55:56], v[16:17], v[55:56]
	s_waitcnt vmcnt(45)
	v_fma_f64 v[22:23], v[18:19], v[41:42], -v[22:23]
	v_fma_f64 v[41:42], v[20:21], v[41:42], v[161:162]
	ds_read_b128 v[18:21], v24 offset:1328
	v_add_f64 v[27:28], v[27:28], v[155:156]
	v_add_f64 v[9:10], v[9:10], v[29:30]
	s_waitcnt vmcnt(41) lgkmcnt(1)
	v_mul_f64 v[29:30], v[1:2], v[33:34]
	v_mul_f64 v[33:34], v[3:4], v[33:34]
	s_waitcnt vmcnt(40)
	v_fma_f64 v[55:56], v[14:15], v[157:158], -v[55:56]
	v_add_f64 v[22:23], v[27:28], v[22:23]
	v_fma_f64 v[27:28], v[16:17], v[157:158], v[31:32]
	v_add_f64 v[9:10], v[9:10], v[41:42]
	ds_read_b128 v[14:17], v24 offset:1344
	s_waitcnt vmcnt(39) lgkmcnt(1)
	v_mul_f64 v[41:42], v[20:21], v[61:62]
	v_mul_f64 v[31:32], v[18:19], v[61:62]
	s_waitcnt vmcnt(37)
	v_fma_f64 v[29:30], v[3:4], v[47:48], v[29:30]
	v_fma_f64 v[33:34], v[1:2], v[47:48], -v[33:34]
	ds_read_b128 v[1:4], v24 offset:1360
	v_add_f64 v[22:23], v[22:23], v[55:56]
	v_add_f64 v[9:10], v[9:10], v[27:28]
	s_waitcnt vmcnt(33) lgkmcnt(1)
	v_mul_f64 v[27:28], v[14:15], v[43:44]
	v_mul_f64 v[43:44], v[16:17], v[43:44]
	s_waitcnt vmcnt(32)
	v_fma_f64 v[41:42], v[18:19], v[63:64], -v[41:42]
	v_fma_f64 v[31:32], v[20:21], v[63:64], v[31:32]
	ds_read_b128 v[18:21], v24 offset:1376
	v_add_f64 v[22:23], v[22:23], v[33:34]
	v_add_f64 v[9:10], v[9:10], v[29:30]
	s_waitcnt vmcnt(31) lgkmcnt(1)
	v_mul_f64 v[33:34], v[3:4], v[73:74]
	v_mul_f64 v[29:30], v[1:2], v[73:74]
	s_waitcnt vmcnt(29)
	v_fma_f64 v[43:44], v[14:15], v[45:46], -v[43:44]
	v_fma_f64 v[27:28], v[16:17], v[45:46], v[27:28]
	ds_read_b128 v[14:17], v24 offset:1392
	v_add_f64 v[22:23], v[22:23], v[41:42]
	v_add_f64 v[9:10], v[9:10], v[31:32]
	s_waitcnt vmcnt(25) lgkmcnt(1)
	v_mul_f64 v[41:42], v[20:21], v[53:54]
	s_waitcnt vmcnt(24)
	v_fma_f64 v[33:34], v[1:2], v[75:76], -v[33:34]
	v_mul_f64 v[31:32], v[18:19], v[53:54]
	v_fma_f64 v[29:30], v[3:4], v[75:76], v[29:30]
	ds_read_b128 v[1:4], v24 offset:1408
	v_add_f64 v[22:23], v[22:23], v[43:44]
	v_add_f64 v[9:10], v[9:10], v[27:28]
	s_waitcnt vmcnt(23) lgkmcnt(1)
	v_mul_f64 v[43:44], v[16:17], v[79:80]
	v_mul_f64 v[27:28], v[14:15], v[79:80]
	s_waitcnt vmcnt(21)
	v_fma_f64 v[41:42], v[18:19], v[57:58], -v[41:42]
	v_fma_f64 v[31:32], v[20:21], v[57:58], v[31:32]
	ds_read_b128 v[18:21], v24 offset:1424
	v_add_f64 v[22:23], v[22:23], v[33:34]
	v_add_f64 v[9:10], v[9:10], v[29:30]
	s_waitcnt vmcnt(17) lgkmcnt(1)
	v_mul_f64 v[33:34], v[3:4], v[59:60]
	s_waitcnt vmcnt(16)
	v_fma_f64 v[43:44], v[14:15], v[165:166], -v[43:44]
	v_mul_f64 v[29:30], v[1:2], v[59:60]
	;; [unrolled: 18-line block ×3, first 2 shown]
	v_fma_f64 v[20:21], v[20:21], v[171:172], v[31:32]
	v_add_f64 v[22:23], v[22:23], v[33:34]
	v_add_f64 v[9:10], v[9:10], v[29:30]
	s_waitcnt vmcnt(7) lgkmcnt(0)
	v_mul_f64 v[31:32], v[3:4], v[163:164]
	v_mul_f64 v[29:30], v[1:2], v[163:164]
	s_waitcnt vmcnt(5)
	v_fma_f64 v[14:15], v[14:15], v[77:78], -v[43:44]
	v_fma_f64 v[16:17], v[16:17], v[77:78], v[27:28]
	v_add_f64 v[18:19], v[22:23], v[18:19]
	v_add_f64 v[9:10], v[9:10], v[20:21]
	s_waitcnt vmcnt(4)
	v_fma_f64 v[1:2], v[1:2], v[175:176], -v[31:32]
	v_fma_f64 v[3:4], v[3:4], v[175:176], v[29:30]
	v_add_f64 v[14:15], v[18:19], v[14:15]
	v_add_f64 v[9:10], v[9:10], v[16:17]
	;; [unrolled: 1-line block ×4, first 2 shown]
	s_waitcnt vmcnt(2)
	v_add_f64 v[1:2], v[35:36], -v[1:2]
	s_waitcnt vmcnt(0)
	v_add_f64 v[3:4], v[159:160], -v[3:4]
	buffer_store_dword v2, off, s[0:3], 0 offset:180
	buffer_store_dword v1, off, s[0:3], 0 offset:176
	;; [unrolled: 1-line block ×4, first 2 shown]
	v_cmpx_lt_u32_e32 9, v0
	s_cbranch_execz .LBB45_271
; %bb.270:
	v_mov_b32_e32 v4, s56
	s_clause 0x3
	buffer_load_dword v1, v4, s[0:3], 0 offen
	buffer_load_dword v2, v4, s[0:3], 0 offen offset:4
	buffer_load_dword v3, v4, s[0:3], 0 offen offset:8
	;; [unrolled: 1-line block ×3, first 2 shown]
	buffer_store_dword v24, off, s[0:3], 0 offset:160
	buffer_store_dword v24, off, s[0:3], 0 offset:164
	;; [unrolled: 1-line block ×4, first 2 shown]
	s_waitcnt vmcnt(0)
	ds_write_b128 v11, v[1:4]
.LBB45_271:
	s_or_b32 exec_lo, exec_lo, s4
	s_waitcnt lgkmcnt(0)
	s_waitcnt_vscnt null, 0x0
	s_barrier
	buffer_gl0_inv
	s_clause 0x37
	buffer_load_dword v16, off, s[0:3], 0 offset:184
	buffer_load_dword v17, off, s[0:3], 0 offset:188
	buffer_load_dword v9, off, s[0:3], 0 offset:200
	buffer_load_dword v10, off, s[0:3], 0 offset:204
	buffer_load_dword v14, off, s[0:3], 0 offset:176
	buffer_load_dword v15, off, s[0:3], 0 offset:180
	buffer_load_dword v3, off, s[0:3], 0 offset:216
	buffer_load_dword v4, off, s[0:3], 0 offset:220
	buffer_load_dword v1, off, s[0:3], 0 offset:192
	buffer_load_dword v2, off, s[0:3], 0 offset:196
	buffer_load_dword v21, off, s[0:3], 0 offset:236
	buffer_load_dword v27, off, s[0:3], 0 offset:248
	buffer_load_dword v18, off, s[0:3], 0 offset:240
	buffer_load_dword v20, off, s[0:3], 0 offset:232
	buffer_load_dword v35, off, s[0:3], 0 offset:208
	buffer_load_dword v36, off, s[0:3], 0 offset:212
	buffer_load_dword v28, off, s[0:3], 0 offset:252
	buffer_load_dword v30, off, s[0:3], 0 offset:228
	buffer_load_dword v29, off, s[0:3], 0 offset:224
	buffer_load_dword v32, off, s[0:3], 0 offset:268
	buffer_load_dword v41, off, s[0:3], 0 offset:280
	buffer_load_dword v22, off, s[0:3], 0 offset:272
	buffer_load_dword v31, off, s[0:3], 0 offset:264
	buffer_load_dword v19, off, s[0:3], 0 offset:244
	buffer_load_dword v42, off, s[0:3], 0 offset:284
	buffer_load_dword v44, off, s[0:3], 0 offset:260
	buffer_load_dword v43, off, s[0:3], 0 offset:256
	buffer_load_dword v46, off, s[0:3], 0 offset:300
	buffer_load_dword v53, off, s[0:3], 0 offset:312
	buffer_load_dword v33, off, s[0:3], 0 offset:304
	buffer_load_dword v45, off, s[0:3], 0 offset:296
	buffer_load_dword v23, off, s[0:3], 0 offset:276
	buffer_load_dword v54, off, s[0:3], 0 offset:316
	buffer_load_dword v56, off, s[0:3], 0 offset:292
	buffer_load_dword v55, off, s[0:3], 0 offset:288
	buffer_load_dword v58, off, s[0:3], 0 offset:332
	buffer_load_dword v61, off, s[0:3], 0 offset:344
	buffer_load_dword v47, off, s[0:3], 0 offset:336
	buffer_load_dword v57, off, s[0:3], 0 offset:328
	buffer_load_dword v34, off, s[0:3], 0 offset:308
	buffer_load_dword v62, off, s[0:3], 0 offset:348
	buffer_load_dword v64, off, s[0:3], 0 offset:324
	buffer_load_dword v63, off, s[0:3], 0 offset:320
	buffer_load_dword v66, off, s[0:3], 0 offset:364
	buffer_load_dword v73, off, s[0:3], 0 offset:376
	buffer_load_dword v59, off, s[0:3], 0 offset:368
	buffer_load_dword v65, off, s[0:3], 0 offset:360
	buffer_load_dword v48, off, s[0:3], 0 offset:340
	buffer_load_dword v74, off, s[0:3], 0 offset:380
	buffer_load_dword v76, off, s[0:3], 0 offset:356
	buffer_load_dword v75, off, s[0:3], 0 offset:352
	buffer_load_dword v78, off, s[0:3], 0 offset:396
	buffer_load_dword v79, off, s[0:3], 0 offset:408
	buffer_load_dword v67, off, s[0:3], 0 offset:400
	buffer_load_dword v77, off, s[0:3], 0 offset:392
	buffer_load_dword v60, off, s[0:3], 0 offset:372
	ds_read_b128 v[155:158], v24 offset:896
	s_clause 0x2
	buffer_load_dword v80, off, s[0:3], 0 offset:412
	buffer_load_dword v154, off, s[0:3], 0 offset:388
	;; [unrolled: 1-line block ×3, first 2 shown]
	ds_read_b128 v[159:162], v24 offset:912
	s_clause 0x4
	buffer_load_dword v170, off, s[0:3], 0 offset:428
	buffer_load_dword v171, off, s[0:3], 0 offset:440
	buffer_load_dword v173, off, s[0:3], 0 offset:432
	buffer_load_dword v169, off, s[0:3], 0 offset:424
	buffer_load_dword v68, off, s[0:3], 0 offset:404
	ds_read_b128 v[163:166], v24 offset:928
	s_mov_b32 s4, exec_lo
	s_waitcnt vmcnt(62) lgkmcnt(2)
	v_mul_f64 v[167:168], v[157:158], v[16:17]
	v_mul_f64 v[16:17], v[155:156], v[16:17]
	s_waitcnt vmcnt(60) lgkmcnt(1)
	v_mul_f64 v[174:175], v[161:162], v[9:10]
	v_mul_f64 v[9:10], v[159:160], v[9:10]
	;; [unrolled: 3-line block ×3, first 2 shown]
	v_fma_f64 v[155:156], v[155:156], v[14:15], -v[167:168]
	v_fma_f64 v[157:158], v[157:158], v[14:15], v[16:17]
	s_clause 0x2
	buffer_load_dword v172, off, s[0:3], 0 offset:444
	buffer_load_dword v168, off, s[0:3], 0 offset:420
	;; [unrolled: 1-line block ×3, first 2 shown]
	s_waitcnt vmcnt(57)
	v_fma_f64 v[159:160], v[159:160], v[1:2], -v[174:175]
	ds_read_b128 v[14:17], v24 offset:944
	v_fma_f64 v[9:10], v[161:162], v[1:2], v[9:10]
	s_clause 0x4
	buffer_load_dword v162, off, s[0:3], 0 offset:460
	buffer_load_dword v175, off, s[0:3], 0 offset:472
	buffer_load_dword v180, off, s[0:3], 0 offset:464
	buffer_load_dword v161, off, s[0:3], 0 offset:456
	buffer_load_dword v174, off, s[0:3], 0 offset:436
	s_waitcnt vmcnt(56)
	v_fma_f64 v[163:164], v[163:164], v[35:36], -v[178:179]
	ds_read_b128 v[1:4], v24 offset:960
	v_fma_f64 v[35:36], v[165:166], v[35:36], v[176:177]
	s_clause 0x2
	buffer_load_dword v176, off, s[0:3], 0 offset:476
	buffer_load_dword v166, off, s[0:3], 0 offset:452
	;; [unrolled: 1-line block ×3, first 2 shown]
	v_add_f64 v[155:156], v[155:156], 0
	v_add_f64 v[157:158], v[157:158], 0
	s_waitcnt lgkmcnt(1)
	v_mul_f64 v[181:182], v[14:15], v[20:21]
	v_mul_f64 v[20:21], v[16:17], v[20:21]
	s_waitcnt vmcnt(58) lgkmcnt(0)
	v_mul_f64 v[177:178], v[1:2], v[27:28]
	v_mul_f64 v[27:28], v[3:4], v[27:28]
	v_add_f64 v[159:160], v[155:156], v[159:160]
	v_add_f64 v[9:10], v[157:158], v[9:10]
	ds_read_b128 v[155:158], v24 offset:976
	s_waitcnt vmcnt(56)
	v_fma_f64 v[20:21], v[14:15], v[29:30], -v[20:21]
	v_fma_f64 v[29:30], v[16:17], v[29:30], v[181:182]
	s_waitcnt vmcnt(51)
	v_fma_f64 v[27:28], v[1:2], v[18:19], -v[27:28]
	v_fma_f64 v[18:19], v[3:4], v[18:19], v[177:178]
	s_waitcnt lgkmcnt(0)
	v_mul_f64 v[183:184], v[155:156], v[31:32]
	v_add_f64 v[159:160], v[159:160], v[163:164]
	v_add_f64 v[9:10], v[9:10], v[35:36]
	s_clause 0x4
	buffer_load_dword v36, off, s[0:3], 0 offset:492
	buffer_load_dword v163, off, s[0:3], 0 offset:504
	;; [unrolled: 1-line block ×5, first 2 shown]
	v_mul_f64 v[31:32], v[157:158], v[31:32]
	ds_read_b128 v[14:17], v24 offset:992
	v_add_f64 v[20:21], v[159:160], v[20:21]
	v_add_f64 v[9:10], v[9:10], v[29:30]
	s_clause 0x2
	buffer_load_dword v164, off, s[0:3], 0 offset:508
	buffer_load_dword v30, off, s[0:3], 0 offset:484
	;; [unrolled: 1-line block ×3, first 2 shown]
	s_waitcnt vmcnt(58) lgkmcnt(0)
	v_mul_f64 v[159:160], v[14:15], v[41:42]
	v_mul_f64 v[41:42], v[16:17], v[41:42]
	s_waitcnt vmcnt(56)
	v_fma_f64 v[31:32], v[155:156], v[43:44], -v[31:32]
	ds_read_b128 v[1:4], v24 offset:1008
	v_fma_f64 v[43:44], v[157:158], v[43:44], v[183:184]
	s_clause 0x4
	buffer_load_dword v156, off, s[0:3], 0 offset:524
	buffer_load_dword v157, off, s[0:3], 0 offset:536
	;; [unrolled: 1-line block ×5, first 2 shown]
	v_add_f64 v[27:28], v[20:21], v[27:28]
	v_add_f64 v[9:10], v[9:10], v[18:19]
	ds_read_b128 v[18:21], v24 offset:1024
	s_waitcnt vmcnt(57) lgkmcnt(1)
	v_mul_f64 v[178:179], v[1:2], v[45:46]
	v_mul_f64 v[45:46], v[3:4], v[45:46]
	s_waitcnt vmcnt(56)
	v_fma_f64 v[41:42], v[14:15], v[22:23], -v[41:42]
	v_fma_f64 v[22:23], v[16:17], v[22:23], v[159:160]
	v_add_f64 v[27:28], v[27:28], v[31:32]
	v_add_f64 v[9:10], v[9:10], v[43:44]
	s_clause 0x2
	buffer_load_dword v158, off, s[0:3], 0 offset:540
	buffer_load_dword v32, off, s[0:3], 0 offset:516
	;; [unrolled: 1-line block ×3, first 2 shown]
	s_waitcnt vmcnt(58) lgkmcnt(0)
	v_mul_f64 v[43:44], v[18:19], v[53:54]
	v_mul_f64 v[53:54], v[20:21], v[53:54]
	s_waitcnt vmcnt(56)
	v_fma_f64 v[45:46], v[1:2], v[55:56], -v[45:46]
	ds_read_b128 v[14:17], v24 offset:1040
	v_add_f64 v[27:28], v[27:28], v[41:42]
	v_fma_f64 v[41:42], v[3:4], v[55:56], v[178:179]
	v_add_f64 v[9:10], v[9:10], v[22:23]
	s_clause 0x4
	buffer_load_dword v23, off, s[0:3], 0 offset:556
	buffer_load_dword v55, off, s[0:3], 0 offset:568
	;; [unrolled: 1-line block ×5, first 2 shown]
	s_waitcnt vmcnt(57) lgkmcnt(0)
	v_mul_f64 v[184:185], v[14:15], v[57:58]
	v_mul_f64 v[57:58], v[16:17], v[57:58]
	s_waitcnt vmcnt(56)
	v_fma_f64 v[53:54], v[18:19], v[33:34], -v[53:54]
	ds_read_b128 v[1:4], v24 offset:1056
	v_fma_f64 v[33:34], v[20:21], v[33:34], v[43:44]
	v_add_f64 v[27:28], v[27:28], v[45:46]
	v_add_f64 v[9:10], v[9:10], v[41:42]
	s_clause 0x2
	buffer_load_dword v56, off, s[0:3], 0 offset:572
	buffer_load_dword v42, off, s[0:3], 0 offset:548
	;; [unrolled: 1-line block ×3, first 2 shown]
	ds_read_b128 v[18:21], v24 offset:1072
	s_waitcnt vmcnt(58) lgkmcnt(1)
	v_mul_f64 v[45:46], v[3:4], v[61:62]
	s_waitcnt vmcnt(56)
	v_fma_f64 v[57:58], v[14:15], v[63:64], -v[57:58]
	v_mul_f64 v[43:44], v[1:2], v[61:62]
	v_add_f64 v[27:28], v[27:28], v[53:54]
	v_fma_f64 v[53:54], v[16:17], v[63:64], v[184:185]
	v_add_f64 v[9:10], v[9:10], v[33:34]
	s_clause 0x4
	buffer_load_dword v34, off, s[0:3], 0 offset:588
	buffer_load_dword v61, off, s[0:3], 0 offset:600
	;; [unrolled: 1-line block ×5, first 2 shown]
	s_waitcnt vmcnt(57) lgkmcnt(0)
	v_mul_f64 v[184:185], v[18:19], v[65:66]
	v_mul_f64 v[64:65], v[20:21], v[65:66]
	s_waitcnt vmcnt(56)
	v_fma_f64 v[45:46], v[1:2], v[47:48], -v[45:46]
	ds_read_b128 v[14:17], v24 offset:1088
	v_fma_f64 v[43:44], v[3:4], v[47:48], v[43:44]
	s_clause 0x2
	buffer_load_dword v62, off, s[0:3], 0 offset:604
	buffer_load_dword v48, off, s[0:3], 0 offset:580
	;; [unrolled: 1-line block ×3, first 2 shown]
	ds_read_b128 v[1:4], v24 offset:1104
	v_add_f64 v[27:28], v[27:28], v[57:58]
	v_add_f64 v[9:10], v[9:10], v[53:54]
	s_waitcnt vmcnt(58) lgkmcnt(1)
	v_mul_f64 v[57:58], v[16:17], v[73:74]
	s_waitcnt vmcnt(56)
	v_fma_f64 v[65:66], v[18:19], v[75:76], -v[64:65]
	v_mul_f64 v[53:54], v[14:15], v[73:74]
	v_add_f64 v[27:28], v[27:28], v[45:46]
	v_fma_f64 v[45:46], v[20:21], v[75:76], v[184:185]
	v_add_f64 v[9:10], v[9:10], v[43:44]
	s_clause 0x4
	buffer_load_dword v44, off, s[0:3], 0 offset:620
	buffer_load_dword v73, off, s[0:3], 0 offset:632
	;; [unrolled: 1-line block ×5, first 2 shown]
	s_waitcnt vmcnt(57) lgkmcnt(0)
	v_mul_f64 v[184:185], v[1:2], v[77:78]
	v_mul_f64 v[76:77], v[3:4], v[77:78]
	s_waitcnt vmcnt(56)
	v_fma_f64 v[57:58], v[14:15], v[59:60], -v[57:58]
	ds_read_b128 v[18:21], v24 offset:1120
	v_fma_f64 v[53:54], v[16:17], v[59:60], v[53:54]
	v_add_f64 v[27:28], v[27:28], v[65:66]
	v_add_f64 v[9:10], v[9:10], v[45:46]
	s_clause 0x2
	buffer_load_dword v74, off, s[0:3], 0 offset:636
	buffer_load_dword v46, off, s[0:3], 0 offset:612
	;; [unrolled: 1-line block ×3, first 2 shown]
	ds_read_b128 v[14:17], v24 offset:1136
	s_waitcnt vmcnt(58) lgkmcnt(1)
	v_mul_f64 v[65:66], v[20:21], v[79:80]
	s_waitcnt vmcnt(56)
	v_fma_f64 v[77:78], v[1:2], v[153:154], -v[76:77]
	v_mul_f64 v[59:60], v[18:19], v[79:80]
	v_add_f64 v[27:28], v[27:28], v[57:58]
	v_fma_f64 v[57:58], v[3:4], v[153:154], v[184:185]
	v_add_f64 v[9:10], v[9:10], v[53:54]
	s_clause 0x4
	buffer_load_dword v54, off, s[0:3], 0 offset:652
	buffer_load_dword v79, off, s[0:3], 0 offset:664
	;; [unrolled: 1-line block ×5, first 2 shown]
	s_waitcnt vmcnt(57) lgkmcnt(0)
	v_mul_f64 v[184:185], v[14:15], v[169:170]
	v_mul_f64 v[169:170], v[16:17], v[169:170]
	s_waitcnt vmcnt(56)
	v_fma_f64 v[65:66], v[18:19], v[67:68], -v[65:66]
	ds_read_b128 v[1:4], v24 offset:1152
	v_fma_f64 v[59:60], v[20:21], v[67:68], v[59:60]
	v_add_f64 v[27:28], v[27:28], v[77:78]
	v_add_f64 v[9:10], v[9:10], v[57:58]
	s_clause 0x2
	buffer_load_dword v80, off, s[0:3], 0 offset:668
	buffer_load_dword v58, off, s[0:3], 0 offset:644
	;; [unrolled: 1-line block ×3, first 2 shown]
	ds_read_b128 v[18:21], v24 offset:1168
	s_waitcnt vmcnt(58) lgkmcnt(1)
	v_mul_f64 v[77:78], v[3:4], v[171:172]
	v_mul_f64 v[67:68], v[1:2], v[171:172]
	s_waitcnt vmcnt(56)
	v_fma_f64 v[169:170], v[14:15], v[167:168], -v[169:170]
	v_add_f64 v[27:28], v[27:28], v[65:66]
	v_fma_f64 v[65:66], v[16:17], v[167:168], v[184:185]
	v_add_f64 v[9:10], v[9:10], v[59:60]
	s_clause 0x4
	buffer_load_dword v60, off, s[0:3], 0 offset:684
	buffer_load_dword v167, off, s[0:3], 0 offset:696
	;; [unrolled: 1-line block ×5, first 2 shown]
	s_waitcnt vmcnt(57) lgkmcnt(0)
	v_mul_f64 v[184:185], v[18:19], v[161:162]
	v_mul_f64 v[161:162], v[20:21], v[161:162]
	ds_read_b128 v[14:17], v24 offset:1184
	s_waitcnt vmcnt(56)
	v_fma_f64 v[77:78], v[1:2], v[173:174], -v[77:78]
	v_fma_f64 v[67:68], v[3:4], v[173:174], v[67:68]
	v_add_f64 v[27:28], v[27:28], v[169:170]
	v_add_f64 v[9:10], v[9:10], v[65:66]
	s_clause 0x2
	buffer_load_dword v168, off, s[0:3], 0 offset:700
	buffer_load_dword v66, off, s[0:3], 0 offset:676
	buffer_load_dword v65, off, s[0:3], 0 offset:672
	s_waitcnt vmcnt(58) lgkmcnt(0)
	v_mul_f64 v[173:174], v[16:17], v[175:176]
	s_waitcnt vmcnt(56)
	v_fma_f64 v[161:162], v[18:19], v[165:166], -v[161:162]
	ds_read_b128 v[1:4], v24 offset:1200
	v_mul_f64 v[169:170], v[14:15], v[175:176]
	v_add_f64 v[27:28], v[27:28], v[77:78]
	v_fma_f64 v[77:78], v[20:21], v[165:166], v[184:185]
	v_add_f64 v[9:10], v[9:10], v[67:68]
	s_clause 0x4
	buffer_load_dword v68, off, s[0:3], 0 offset:716
	buffer_load_dword v165, off, s[0:3], 0 offset:728
	buffer_load_dword v175, off, s[0:3], 0 offset:720
	buffer_load_dword v67, off, s[0:3], 0 offset:712
	buffer_load_dword v172, off, s[0:3], 0 offset:692
	ds_read_b128 v[18:21], v24 offset:1216
	s_waitcnt vmcnt(57) lgkmcnt(1)
	v_mul_f64 v[184:185], v[1:2], v[35:36]
	v_mul_f64 v[35:36], v[3:4], v[35:36]
	s_waitcnt vmcnt(56)
	v_fma_f64 v[173:174], v[14:15], v[180:181], -v[173:174]
	v_add_f64 v[27:28], v[27:28], v[161:162]
	v_fma_f64 v[161:162], v[16:17], v[180:181], v[169:170]
	v_add_f64 v[9:10], v[9:10], v[77:78]
	s_clause 0x2
	buffer_load_dword v166, off, s[0:3], 0 offset:732
	buffer_load_dword v78, off, s[0:3], 0 offset:708
	;; [unrolled: 1-line block ×3, first 2 shown]
	ds_read_b128 v[14:17], v24 offset:1232
	s_waitcnt vmcnt(58) lgkmcnt(1)
	v_mul_f64 v[169:170], v[18:19], v[163:164]
	v_mul_f64 v[163:164], v[20:21], v[163:164]
	s_waitcnt vmcnt(56)
	v_fma_f64 v[35:36], v[1:2], v[29:30], -v[35:36]
	v_fma_f64 v[29:30], v[3:4], v[29:30], v[184:185]
	v_add_f64 v[27:28], v[27:28], v[173:174]
	v_add_f64 v[9:10], v[9:10], v[161:162]
	s_clause 0x2
	buffer_load_dword v162, off, s[0:3], 0 offset:748
	buffer_load_dword v161, off, s[0:3], 0 offset:744
	;; [unrolled: 1-line block ×3, first 2 shown]
	s_waitcnt vmcnt(55) lgkmcnt(0)
	v_mul_f64 v[173:174], v[14:15], v[155:156]
	v_mul_f64 v[155:156], v[16:17], v[155:156]
	ds_read_b128 v[1:4], v24 offset:1248
	s_waitcnt vmcnt(54)
	v_fma_f64 v[163:164], v[18:19], v[182:183], -v[163:164]
	v_add_f64 v[27:28], v[27:28], v[35:36]
	v_fma_f64 v[35:36], v[20:21], v[182:183], v[169:170]
	v_add_f64 v[9:10], v[9:10], v[29:30]
	s_clause 0x1
	buffer_load_dword v30, off, s[0:3], 0 offset:740
	buffer_load_dword v29, off, s[0:3], 0 offset:736
	ds_read_b128 v[18:21], v24 offset:1264
	s_waitcnt vmcnt(55) lgkmcnt(1)
	v_mul_f64 v[169:170], v[1:2], v[157:158]
	v_mul_f64 v[157:158], v[3:4], v[157:158]
	s_waitcnt vmcnt(53)
	v_fma_f64 v[155:156], v[14:15], v[31:32], -v[155:156]
	v_fma_f64 v[31:32], v[16:17], v[31:32], v[173:174]
	ds_read_b128 v[14:17], v24 offset:1280
	v_add_f64 v[27:28], v[27:28], v[163:164]
	v_add_f64 v[9:10], v[9:10], v[35:36]
	s_waitcnt vmcnt(49) lgkmcnt(1)
	v_mul_f64 v[35:36], v[18:19], v[22:23]
	v_mul_f64 v[22:23], v[20:21], v[22:23]
	s_waitcnt vmcnt(48)
	v_fma_f64 v[157:158], v[1:2], v[177:178], -v[157:158]
	v_add_f64 v[27:28], v[27:28], v[155:156]
	v_fma_f64 v[155:156], v[3:4], v[177:178], v[169:170]
	v_add_f64 v[9:10], v[9:10], v[31:32]
	s_clause 0x3
	buffer_load_dword v31, off, s[0:3], 0 offset:160
	buffer_load_dword v32, off, s[0:3], 0 offset:164
	;; [unrolled: 1-line block ×4, first 2 shown]
	ds_read_b128 v[1:4], v24 offset:1296
	s_waitcnt vmcnt(51) lgkmcnt(1)
	v_mul_f64 v[169:170], v[14:15], v[55:56]
	v_mul_f64 v[55:56], v[16:17], v[55:56]
	s_waitcnt vmcnt(49)
	v_fma_f64 v[22:23], v[18:19], v[41:42], -v[22:23]
	v_fma_f64 v[35:36], v[20:21], v[41:42], v[35:36]
	ds_read_b128 v[18:21], v24 offset:1312
	v_add_f64 v[27:28], v[27:28], v[157:158]
	v_add_f64 v[9:10], v[9:10], v[155:156]
	s_waitcnt vmcnt(45) lgkmcnt(1)
	v_mul_f64 v[41:42], v[1:2], v[33:34]
	v_mul_f64 v[33:34], v[3:4], v[33:34]
	s_waitcnt vmcnt(44)
	v_fma_f64 v[55:56], v[14:15], v[159:160], -v[55:56]
	v_add_f64 v[22:23], v[27:28], v[22:23]
	v_fma_f64 v[27:28], v[16:17], v[159:160], v[169:170]
	v_add_f64 v[9:10], v[9:10], v[35:36]
	s_waitcnt vmcnt(43) lgkmcnt(0)
	v_mul_f64 v[35:36], v[18:19], v[61:62]
	v_mul_f64 v[61:62], v[20:21], v[61:62]
	ds_read_b128 v[14:17], v24 offset:1328
	s_waitcnt vmcnt(41)
	v_fma_f64 v[41:42], v[3:4], v[47:48], v[41:42]
	v_fma_f64 v[33:34], v[1:2], v[47:48], -v[33:34]
	ds_read_b128 v[1:4], v24 offset:1344
	v_add_f64 v[22:23], v[22:23], v[55:56]
	v_add_f64 v[9:10], v[9:10], v[27:28]
	s_waitcnt vmcnt(37) lgkmcnt(1)
	v_mul_f64 v[27:28], v[14:15], v[43:44]
	v_mul_f64 v[43:44], v[16:17], v[43:44]
	s_waitcnt vmcnt(36)
	v_fma_f64 v[47:48], v[18:19], v[63:64], -v[61:62]
	v_add_f64 v[22:23], v[22:23], v[33:34]
	v_fma_f64 v[33:34], v[20:21], v[63:64], v[35:36]
	v_add_f64 v[9:10], v[9:10], v[41:42]
	ds_read_b128 v[18:21], v24 offset:1360
	s_waitcnt vmcnt(35) lgkmcnt(1)
	v_mul_f64 v[41:42], v[3:4], v[73:74]
	v_mul_f64 v[35:36], v[1:2], v[73:74]
	s_waitcnt vmcnt(33)
	v_fma_f64 v[43:44], v[14:15], v[45:46], -v[43:44]
	v_fma_f64 v[27:28], v[16:17], v[45:46], v[27:28]
	ds_read_b128 v[14:17], v24 offset:1376
	v_add_f64 v[22:23], v[22:23], v[47:48]
	v_add_f64 v[9:10], v[9:10], v[33:34]
	s_waitcnt vmcnt(29) lgkmcnt(1)
	v_mul_f64 v[45:46], v[20:21], v[53:54]
	s_waitcnt vmcnt(28)
	v_fma_f64 v[41:42], v[1:2], v[75:76], -v[41:42]
	v_mul_f64 v[33:34], v[18:19], v[53:54]
	v_fma_f64 v[35:36], v[3:4], v[75:76], v[35:36]
	ds_read_b128 v[1:4], v24 offset:1392
	v_add_f64 v[22:23], v[22:23], v[43:44]
	v_add_f64 v[9:10], v[9:10], v[27:28]
	s_waitcnt vmcnt(27) lgkmcnt(1)
	v_mul_f64 v[43:44], v[16:17], v[79:80]
	v_mul_f64 v[27:28], v[14:15], v[79:80]
	s_waitcnt vmcnt(25)
	v_fma_f64 v[45:46], v[18:19], v[57:58], -v[45:46]
	v_fma_f64 v[33:34], v[20:21], v[57:58], v[33:34]
	ds_read_b128 v[18:21], v24 offset:1408
	v_add_f64 v[22:23], v[22:23], v[41:42]
	v_add_f64 v[9:10], v[9:10], v[35:36]
	s_waitcnt vmcnt(21) lgkmcnt(1)
	v_mul_f64 v[41:42], v[3:4], v[59:60]
	s_waitcnt vmcnt(20)
	v_fma_f64 v[43:44], v[14:15], v[153:154], -v[43:44]
	v_mul_f64 v[35:36], v[1:2], v[59:60]
	v_fma_f64 v[27:28], v[16:17], v[153:154], v[27:28]
	ds_read_b128 v[14:17], v24 offset:1424
	v_add_f64 v[22:23], v[22:23], v[45:46]
	v_add_f64 v[9:10], v[9:10], v[33:34]
	;; [unrolled: 18-line block ×3, first 2 shown]
	s_waitcnt vmcnt(11) lgkmcnt(1)
	v_mul_f64 v[41:42], v[3:4], v[165:166]
	v_mul_f64 v[35:36], v[1:2], v[165:166]
	s_waitcnt vmcnt(9)
	v_fma_f64 v[14:15], v[14:15], v[77:78], -v[43:44]
	v_fma_f64 v[16:17], v[16:17], v[77:78], v[27:28]
	v_add_f64 v[22:23], v[22:23], v[45:46]
	v_add_f64 v[9:10], v[9:10], v[33:34]
	s_waitcnt vmcnt(7) lgkmcnt(0)
	v_mul_f64 v[33:34], v[20:21], v[161:162]
	s_waitcnt vmcnt(6)
	v_fma_f64 v[1:2], v[1:2], v[175:176], -v[41:42]
	v_mul_f64 v[27:28], v[18:19], v[161:162]
	v_fma_f64 v[3:4], v[3:4], v[175:176], v[35:36]
	v_add_f64 v[14:15], v[22:23], v[14:15]
	v_add_f64 v[9:10], v[9:10], v[16:17]
	s_waitcnt vmcnt(4)
	v_fma_f64 v[16:17], v[18:19], v[29:30], -v[33:34]
	v_add_f64 v[1:2], v[14:15], v[1:2]
	v_fma_f64 v[14:15], v[20:21], v[29:30], v[27:28]
	v_add_f64 v[3:4], v[9:10], v[3:4]
	v_add_f64 v[1:2], v[1:2], v[16:17]
	;; [unrolled: 1-line block ×3, first 2 shown]
	s_waitcnt vmcnt(2)
	v_add_f64 v[1:2], v[31:32], -v[1:2]
	s_waitcnt vmcnt(0)
	v_add_f64 v[3:4], v[163:164], -v[3:4]
	buffer_store_dword v2, off, s[0:3], 0 offset:164
	buffer_store_dword v1, off, s[0:3], 0 offset:160
	;; [unrolled: 1-line block ×4, first 2 shown]
	v_cmpx_lt_u32_e32 8, v0
	s_cbranch_execz .LBB45_273
; %bb.272:
	v_mov_b32_e32 v4, s57
	v_mov_b32_e32 v9, 0
	s_clause 0x3
	buffer_load_dword v1, v4, s[0:3], 0 offen
	buffer_load_dword v2, v4, s[0:3], 0 offen offset:4
	buffer_load_dword v3, v4, s[0:3], 0 offen offset:8
	;; [unrolled: 1-line block ×3, first 2 shown]
	buffer_store_dword v9, off, s[0:3], 0 offset:144
	buffer_store_dword v9, off, s[0:3], 0 offset:148
	;; [unrolled: 1-line block ×4, first 2 shown]
	s_waitcnt vmcnt(0)
	ds_write_b128 v11, v[1:4]
.LBB45_273:
	s_or_b32 exec_lo, exec_lo, s4
	s_waitcnt lgkmcnt(0)
	s_waitcnt_vscnt null, 0x0
	s_barrier
	buffer_gl0_inv
	s_clause 0x37
	buffer_load_dword v16, off, s[0:3], 0 offset:168
	buffer_load_dword v17, off, s[0:3], 0 offset:172
	;; [unrolled: 1-line block ×56, first 2 shown]
	v_mov_b32_e32 v24, 0
	s_mov_b32 s4, exec_lo
	ds_read_b128 v[155:158], v24 offset:880
	s_clause 0x2
	buffer_load_dword v80, off, s[0:3], 0 offset:396
	buffer_load_dword v154, off, s[0:3], 0 offset:372
	;; [unrolled: 1-line block ×3, first 2 shown]
	ds_read_b128 v[159:162], v24 offset:896
	s_clause 0x4
	buffer_load_dword v170, off, s[0:3], 0 offset:412
	buffer_load_dword v171, off, s[0:3], 0 offset:424
	;; [unrolled: 1-line block ×5, first 2 shown]
	ds_read_b128 v[163:166], v24 offset:912
	s_waitcnt vmcnt(62) lgkmcnt(2)
	v_mul_f64 v[167:168], v[157:158], v[16:17]
	v_mul_f64 v[16:17], v[155:156], v[16:17]
	s_waitcnt vmcnt(60) lgkmcnt(1)
	v_mul_f64 v[174:175], v[161:162], v[9:10]
	v_mul_f64 v[9:10], v[159:160], v[9:10]
	;; [unrolled: 3-line block ×3, first 2 shown]
	v_fma_f64 v[155:156], v[155:156], v[14:15], -v[167:168]
	v_fma_f64 v[157:158], v[157:158], v[14:15], v[16:17]
	s_clause 0x2
	buffer_load_dword v172, off, s[0:3], 0 offset:428
	buffer_load_dword v168, off, s[0:3], 0 offset:404
	;; [unrolled: 1-line block ×3, first 2 shown]
	s_waitcnt vmcnt(57)
	v_fma_f64 v[159:160], v[159:160], v[1:2], -v[174:175]
	ds_read_b128 v[14:17], v24 offset:928
	v_fma_f64 v[9:10], v[161:162], v[1:2], v[9:10]
	s_clause 0x4
	buffer_load_dword v162, off, s[0:3], 0 offset:444
	buffer_load_dword v175, off, s[0:3], 0 offset:456
	;; [unrolled: 1-line block ×5, first 2 shown]
	s_waitcnt vmcnt(56)
	v_fma_f64 v[163:164], v[163:164], v[35:36], -v[178:179]
	ds_read_b128 v[1:4], v24 offset:944
	v_fma_f64 v[35:36], v[165:166], v[35:36], v[176:177]
	s_clause 0x2
	buffer_load_dword v176, off, s[0:3], 0 offset:460
	buffer_load_dword v166, off, s[0:3], 0 offset:436
	;; [unrolled: 1-line block ×3, first 2 shown]
	v_add_f64 v[155:156], v[155:156], 0
	v_add_f64 v[157:158], v[157:158], 0
	s_waitcnt lgkmcnt(1)
	v_mul_f64 v[181:182], v[14:15], v[20:21]
	v_mul_f64 v[20:21], v[16:17], v[20:21]
	s_waitcnt vmcnt(58) lgkmcnt(0)
	v_mul_f64 v[177:178], v[1:2], v[27:28]
	v_mul_f64 v[27:28], v[3:4], v[27:28]
	v_add_f64 v[159:160], v[155:156], v[159:160]
	v_add_f64 v[9:10], v[157:158], v[9:10]
	ds_read_b128 v[155:158], v24 offset:960
	s_waitcnt vmcnt(56)
	v_fma_f64 v[20:21], v[14:15], v[29:30], -v[20:21]
	v_fma_f64 v[29:30], v[16:17], v[29:30], v[181:182]
	s_waitcnt vmcnt(51)
	v_fma_f64 v[27:28], v[1:2], v[18:19], -v[27:28]
	v_fma_f64 v[18:19], v[3:4], v[18:19], v[177:178]
	s_waitcnt lgkmcnt(0)
	v_mul_f64 v[183:184], v[155:156], v[31:32]
	v_add_f64 v[159:160], v[159:160], v[163:164]
	v_add_f64 v[9:10], v[9:10], v[35:36]
	s_clause 0x4
	buffer_load_dword v36, off, s[0:3], 0 offset:476
	buffer_load_dword v163, off, s[0:3], 0 offset:488
	;; [unrolled: 1-line block ×5, first 2 shown]
	v_mul_f64 v[31:32], v[157:158], v[31:32]
	ds_read_b128 v[14:17], v24 offset:976
	v_add_f64 v[20:21], v[159:160], v[20:21]
	v_add_f64 v[9:10], v[9:10], v[29:30]
	s_clause 0x2
	buffer_load_dword v164, off, s[0:3], 0 offset:492
	buffer_load_dword v30, off, s[0:3], 0 offset:468
	;; [unrolled: 1-line block ×3, first 2 shown]
	s_waitcnt vmcnt(58) lgkmcnt(0)
	v_mul_f64 v[159:160], v[14:15], v[41:42]
	v_mul_f64 v[41:42], v[16:17], v[41:42]
	s_waitcnt vmcnt(56)
	v_fma_f64 v[31:32], v[155:156], v[43:44], -v[31:32]
	ds_read_b128 v[1:4], v24 offset:992
	v_fma_f64 v[43:44], v[157:158], v[43:44], v[183:184]
	s_clause 0x4
	buffer_load_dword v156, off, s[0:3], 0 offset:508
	buffer_load_dword v157, off, s[0:3], 0 offset:520
	;; [unrolled: 1-line block ×5, first 2 shown]
	v_add_f64 v[27:28], v[20:21], v[27:28]
	v_add_f64 v[9:10], v[9:10], v[18:19]
	ds_read_b128 v[18:21], v24 offset:1008
	s_waitcnt vmcnt(57) lgkmcnt(1)
	v_mul_f64 v[178:179], v[1:2], v[45:46]
	v_mul_f64 v[45:46], v[3:4], v[45:46]
	s_waitcnt vmcnt(56)
	v_fma_f64 v[41:42], v[14:15], v[22:23], -v[41:42]
	v_fma_f64 v[22:23], v[16:17], v[22:23], v[159:160]
	v_add_f64 v[27:28], v[27:28], v[31:32]
	v_add_f64 v[9:10], v[9:10], v[43:44]
	s_clause 0x2
	buffer_load_dword v158, off, s[0:3], 0 offset:524
	buffer_load_dword v32, off, s[0:3], 0 offset:500
	;; [unrolled: 1-line block ×3, first 2 shown]
	s_waitcnt vmcnt(58) lgkmcnt(0)
	v_mul_f64 v[43:44], v[18:19], v[53:54]
	v_mul_f64 v[53:54], v[20:21], v[53:54]
	s_waitcnt vmcnt(56)
	v_fma_f64 v[45:46], v[1:2], v[55:56], -v[45:46]
	ds_read_b128 v[14:17], v24 offset:1024
	v_add_f64 v[27:28], v[27:28], v[41:42]
	v_fma_f64 v[41:42], v[3:4], v[55:56], v[178:179]
	v_add_f64 v[9:10], v[9:10], v[22:23]
	s_clause 0x4
	buffer_load_dword v23, off, s[0:3], 0 offset:540
	buffer_load_dword v55, off, s[0:3], 0 offset:552
	;; [unrolled: 1-line block ×5, first 2 shown]
	s_waitcnt vmcnt(57) lgkmcnt(0)
	v_mul_f64 v[184:185], v[14:15], v[57:58]
	v_mul_f64 v[57:58], v[16:17], v[57:58]
	s_waitcnt vmcnt(56)
	v_fma_f64 v[53:54], v[18:19], v[33:34], -v[53:54]
	ds_read_b128 v[1:4], v24 offset:1040
	v_fma_f64 v[33:34], v[20:21], v[33:34], v[43:44]
	v_add_f64 v[27:28], v[27:28], v[45:46]
	v_add_f64 v[9:10], v[9:10], v[41:42]
	s_clause 0x2
	buffer_load_dword v56, off, s[0:3], 0 offset:556
	buffer_load_dword v42, off, s[0:3], 0 offset:532
	;; [unrolled: 1-line block ×3, first 2 shown]
	ds_read_b128 v[18:21], v24 offset:1056
	s_waitcnt vmcnt(58) lgkmcnt(1)
	v_mul_f64 v[45:46], v[3:4], v[61:62]
	s_waitcnt vmcnt(56)
	v_fma_f64 v[57:58], v[14:15], v[63:64], -v[57:58]
	v_mul_f64 v[43:44], v[1:2], v[61:62]
	v_add_f64 v[27:28], v[27:28], v[53:54]
	v_fma_f64 v[53:54], v[16:17], v[63:64], v[184:185]
	v_add_f64 v[9:10], v[9:10], v[33:34]
	s_clause 0x4
	buffer_load_dword v34, off, s[0:3], 0 offset:572
	buffer_load_dword v61, off, s[0:3], 0 offset:584
	;; [unrolled: 1-line block ×5, first 2 shown]
	s_waitcnt vmcnt(57) lgkmcnt(0)
	v_mul_f64 v[184:185], v[18:19], v[65:66]
	v_mul_f64 v[64:65], v[20:21], v[65:66]
	s_waitcnt vmcnt(56)
	v_fma_f64 v[45:46], v[1:2], v[47:48], -v[45:46]
	ds_read_b128 v[14:17], v24 offset:1072
	v_fma_f64 v[43:44], v[3:4], v[47:48], v[43:44]
	s_clause 0x2
	buffer_load_dword v62, off, s[0:3], 0 offset:588
	buffer_load_dword v48, off, s[0:3], 0 offset:564
	;; [unrolled: 1-line block ×3, first 2 shown]
	ds_read_b128 v[1:4], v24 offset:1088
	v_add_f64 v[27:28], v[27:28], v[57:58]
	v_add_f64 v[9:10], v[9:10], v[53:54]
	s_waitcnt vmcnt(58) lgkmcnt(1)
	v_mul_f64 v[57:58], v[16:17], v[73:74]
	s_waitcnt vmcnt(56)
	v_fma_f64 v[65:66], v[18:19], v[75:76], -v[64:65]
	v_mul_f64 v[53:54], v[14:15], v[73:74]
	v_add_f64 v[27:28], v[27:28], v[45:46]
	v_fma_f64 v[45:46], v[20:21], v[75:76], v[184:185]
	v_add_f64 v[9:10], v[9:10], v[43:44]
	s_clause 0x4
	buffer_load_dword v44, off, s[0:3], 0 offset:604
	buffer_load_dword v73, off, s[0:3], 0 offset:616
	buffer_load_dword v75, off, s[0:3], 0 offset:608
	buffer_load_dword v43, off, s[0:3], 0 offset:600
	buffer_load_dword v64, off, s[0:3], 0 offset:580
	s_waitcnt vmcnt(57) lgkmcnt(0)
	v_mul_f64 v[184:185], v[1:2], v[77:78]
	v_mul_f64 v[76:77], v[3:4], v[77:78]
	s_waitcnt vmcnt(56)
	v_fma_f64 v[57:58], v[14:15], v[59:60], -v[57:58]
	ds_read_b128 v[18:21], v24 offset:1104
	v_fma_f64 v[53:54], v[16:17], v[59:60], v[53:54]
	v_add_f64 v[27:28], v[27:28], v[65:66]
	v_add_f64 v[9:10], v[9:10], v[45:46]
	s_clause 0x2
	buffer_load_dword v74, off, s[0:3], 0 offset:620
	buffer_load_dword v46, off, s[0:3], 0 offset:596
	;; [unrolled: 1-line block ×3, first 2 shown]
	ds_read_b128 v[14:17], v24 offset:1120
	s_waitcnt vmcnt(58) lgkmcnt(1)
	v_mul_f64 v[65:66], v[20:21], v[79:80]
	s_waitcnt vmcnt(56)
	v_fma_f64 v[77:78], v[1:2], v[153:154], -v[76:77]
	v_mul_f64 v[59:60], v[18:19], v[79:80]
	v_add_f64 v[27:28], v[27:28], v[57:58]
	v_fma_f64 v[57:58], v[3:4], v[153:154], v[184:185]
	v_add_f64 v[9:10], v[9:10], v[53:54]
	s_clause 0x4
	buffer_load_dword v54, off, s[0:3], 0 offset:636
	buffer_load_dword v79, off, s[0:3], 0 offset:648
	;; [unrolled: 1-line block ×5, first 2 shown]
	s_waitcnt vmcnt(57) lgkmcnt(0)
	v_mul_f64 v[184:185], v[14:15], v[169:170]
	v_mul_f64 v[169:170], v[16:17], v[169:170]
	s_waitcnt vmcnt(56)
	v_fma_f64 v[65:66], v[18:19], v[67:68], -v[65:66]
	ds_read_b128 v[1:4], v24 offset:1136
	v_fma_f64 v[59:60], v[20:21], v[67:68], v[59:60]
	v_add_f64 v[27:28], v[27:28], v[77:78]
	v_add_f64 v[9:10], v[9:10], v[57:58]
	s_clause 0x2
	buffer_load_dword v80, off, s[0:3], 0 offset:652
	buffer_load_dword v58, off, s[0:3], 0 offset:628
	;; [unrolled: 1-line block ×3, first 2 shown]
	ds_read_b128 v[18:21], v24 offset:1152
	s_waitcnt vmcnt(58) lgkmcnt(1)
	v_mul_f64 v[77:78], v[3:4], v[171:172]
	v_mul_f64 v[67:68], v[1:2], v[171:172]
	s_waitcnt vmcnt(56)
	v_fma_f64 v[169:170], v[14:15], v[167:168], -v[169:170]
	v_add_f64 v[27:28], v[27:28], v[65:66]
	v_fma_f64 v[65:66], v[16:17], v[167:168], v[184:185]
	v_add_f64 v[9:10], v[9:10], v[59:60]
	s_clause 0x4
	buffer_load_dword v60, off, s[0:3], 0 offset:668
	buffer_load_dword v167, off, s[0:3], 0 offset:680
	;; [unrolled: 1-line block ×5, first 2 shown]
	s_waitcnt vmcnt(57) lgkmcnt(0)
	v_mul_f64 v[184:185], v[18:19], v[161:162]
	v_mul_f64 v[161:162], v[20:21], v[161:162]
	ds_read_b128 v[14:17], v24 offset:1168
	s_waitcnt vmcnt(56)
	v_fma_f64 v[77:78], v[1:2], v[173:174], -v[77:78]
	v_fma_f64 v[67:68], v[3:4], v[173:174], v[67:68]
	v_add_f64 v[27:28], v[27:28], v[169:170]
	v_add_f64 v[9:10], v[9:10], v[65:66]
	s_clause 0x2
	buffer_load_dword v168, off, s[0:3], 0 offset:684
	buffer_load_dword v66, off, s[0:3], 0 offset:660
	;; [unrolled: 1-line block ×3, first 2 shown]
	s_waitcnt vmcnt(58) lgkmcnt(0)
	v_mul_f64 v[173:174], v[16:17], v[175:176]
	s_waitcnt vmcnt(56)
	v_fma_f64 v[161:162], v[18:19], v[165:166], -v[161:162]
	ds_read_b128 v[1:4], v24 offset:1184
	v_mul_f64 v[169:170], v[14:15], v[175:176]
	v_add_f64 v[27:28], v[27:28], v[77:78]
	v_fma_f64 v[77:78], v[20:21], v[165:166], v[184:185]
	v_add_f64 v[9:10], v[9:10], v[67:68]
	s_clause 0x4
	buffer_load_dword v68, off, s[0:3], 0 offset:700
	buffer_load_dword v165, off, s[0:3], 0 offset:712
	;; [unrolled: 1-line block ×5, first 2 shown]
	ds_read_b128 v[18:21], v24 offset:1200
	s_waitcnt vmcnt(57) lgkmcnt(1)
	v_mul_f64 v[184:185], v[1:2], v[35:36]
	v_mul_f64 v[35:36], v[3:4], v[35:36]
	s_waitcnt vmcnt(56)
	v_fma_f64 v[173:174], v[14:15], v[180:181], -v[173:174]
	v_add_f64 v[27:28], v[27:28], v[161:162]
	v_fma_f64 v[161:162], v[16:17], v[180:181], v[169:170]
	v_add_f64 v[9:10], v[9:10], v[77:78]
	s_clause 0x2
	buffer_load_dword v166, off, s[0:3], 0 offset:716
	buffer_load_dword v78, off, s[0:3], 0 offset:692
	;; [unrolled: 1-line block ×3, first 2 shown]
	ds_read_b128 v[14:17], v24 offset:1216
	s_waitcnt vmcnt(58) lgkmcnt(1)
	v_mul_f64 v[169:170], v[18:19], v[163:164]
	v_mul_f64 v[163:164], v[20:21], v[163:164]
	s_waitcnt vmcnt(56)
	v_fma_f64 v[35:36], v[1:2], v[29:30], -v[35:36]
	v_fma_f64 v[29:30], v[3:4], v[29:30], v[184:185]
	v_add_f64 v[27:28], v[27:28], v[173:174]
	v_add_f64 v[9:10], v[9:10], v[161:162]
	s_clause 0x4
	buffer_load_dword v162, off, s[0:3], 0 offset:732
	buffer_load_dword v173, off, s[0:3], 0 offset:744
	;; [unrolled: 1-line block ×5, first 2 shown]
	s_waitcnt vmcnt(57) lgkmcnt(0)
	v_mul_f64 v[180:181], v[14:15], v[155:156]
	v_mul_f64 v[155:156], v[16:17], v[155:156]
	ds_read_b128 v[1:4], v24 offset:1232
	s_waitcnt vmcnt(56)
	v_fma_f64 v[163:164], v[18:19], v[182:183], -v[163:164]
	v_add_f64 v[27:28], v[27:28], v[35:36]
	v_fma_f64 v[35:36], v[20:21], v[182:183], v[169:170]
	v_add_f64 v[9:10], v[9:10], v[29:30]
	s_clause 0x2
	buffer_load_dword v174, off, s[0:3], 0 offset:748
	buffer_load_dword v30, off, s[0:3], 0 offset:724
	;; [unrolled: 1-line block ×3, first 2 shown]
	ds_read_b128 v[18:21], v24 offset:1248
	s_waitcnt vmcnt(58) lgkmcnt(1)
	v_mul_f64 v[169:170], v[1:2], v[157:158]
	v_mul_f64 v[157:158], v[3:4], v[157:158]
	s_waitcnt vmcnt(56)
	v_fma_f64 v[155:156], v[14:15], v[31:32], -v[155:156]
	v_fma_f64 v[31:32], v[16:17], v[31:32], v[180:181]
	buffer_load_dword v180, off, s[0:3], 0 offset:740
	ds_read_b128 v[14:17], v24 offset:1264
	v_add_f64 v[27:28], v[27:28], v[163:164]
	v_add_f64 v[9:10], v[9:10], v[35:36]
	s_waitcnt vmcnt(53) lgkmcnt(1)
	v_mul_f64 v[35:36], v[18:19], v[22:23]
	v_mul_f64 v[22:23], v[20:21], v[22:23]
	s_waitcnt vmcnt(52)
	v_fma_f64 v[157:158], v[1:2], v[177:178], -v[157:158]
	v_add_f64 v[27:28], v[27:28], v[155:156]
	v_fma_f64 v[155:156], v[3:4], v[177:178], v[169:170]
	v_add_f64 v[9:10], v[9:10], v[31:32]
	ds_read_b128 v[1:4], v24 offset:1280
	s_waitcnt vmcnt(51) lgkmcnt(1)
	v_mul_f64 v[31:32], v[14:15], v[55:56]
	v_mul_f64 v[55:56], v[16:17], v[55:56]
	s_waitcnt vmcnt(49)
	v_fma_f64 v[22:23], v[18:19], v[41:42], -v[22:23]
	v_fma_f64 v[35:36], v[20:21], v[41:42], v[35:36]
	v_add_f64 v[27:28], v[27:28], v[157:158]
	v_add_f64 v[9:10], v[9:10], v[155:156]
	s_clause 0x3
	buffer_load_dword v41, off, s[0:3], 0 offset:144
	buffer_load_dword v42, off, s[0:3], 0 offset:148
	;; [unrolled: 1-line block ×4, first 2 shown]
	ds_read_b128 v[18:21], v24 offset:1296
	s_waitcnt vmcnt(49) lgkmcnt(1)
	v_mul_f64 v[157:158], v[1:2], v[33:34]
	v_mul_f64 v[33:34], v[3:4], v[33:34]
	s_waitcnt vmcnt(48)
	v_fma_f64 v[55:56], v[14:15], v[159:160], -v[55:56]
	v_add_f64 v[22:23], v[27:28], v[22:23]
	v_fma_f64 v[27:28], v[16:17], v[159:160], v[31:32]
	v_add_f64 v[9:10], v[9:10], v[35:36]
	ds_read_b128 v[14:17], v24 offset:1312
	s_waitcnt vmcnt(47) lgkmcnt(1)
	v_mul_f64 v[35:36], v[20:21], v[61:62]
	v_mul_f64 v[31:32], v[18:19], v[61:62]
	s_waitcnt vmcnt(45)
	v_fma_f64 v[33:34], v[1:2], v[47:48], -v[33:34]
	v_fma_f64 v[47:48], v[3:4], v[47:48], v[157:158]
	ds_read_b128 v[1:4], v24 offset:1328
	v_add_f64 v[22:23], v[22:23], v[55:56]
	v_add_f64 v[9:10], v[9:10], v[27:28]
	s_waitcnt vmcnt(41) lgkmcnt(1)
	v_mul_f64 v[27:28], v[14:15], v[43:44]
	v_mul_f64 v[43:44], v[16:17], v[43:44]
	s_waitcnt vmcnt(40)
	v_fma_f64 v[35:36], v[18:19], v[63:64], -v[35:36]
	v_fma_f64 v[31:32], v[20:21], v[63:64], v[31:32]
	ds_read_b128 v[18:21], v24 offset:1344
	v_add_f64 v[22:23], v[22:23], v[33:34]
	v_add_f64 v[9:10], v[9:10], v[47:48]
	;; [unrolled: 9-line block ×3, first 2 shown]
	s_waitcnt vmcnt(33) lgkmcnt(1)
	v_mul_f64 v[35:36], v[20:21], v[53:54]
	s_waitcnt vmcnt(32)
	v_fma_f64 v[45:46], v[1:2], v[75:76], -v[47:48]
	v_mul_f64 v[31:32], v[18:19], v[53:54]
	v_fma_f64 v[33:34], v[3:4], v[75:76], v[33:34]
	ds_read_b128 v[1:4], v24 offset:1376
	v_add_f64 v[22:23], v[22:23], v[43:44]
	v_add_f64 v[9:10], v[9:10], v[27:28]
	s_waitcnt vmcnt(31) lgkmcnt(1)
	v_mul_f64 v[43:44], v[16:17], v[79:80]
	v_mul_f64 v[27:28], v[14:15], v[79:80]
	s_waitcnt vmcnt(29)
	v_fma_f64 v[35:36], v[18:19], v[57:58], -v[35:36]
	v_fma_f64 v[31:32], v[20:21], v[57:58], v[31:32]
	ds_read_b128 v[18:21], v24 offset:1392
	v_add_f64 v[22:23], v[22:23], v[45:46]
	v_add_f64 v[9:10], v[9:10], v[33:34]
	s_waitcnt vmcnt(25) lgkmcnt(1)
	v_mul_f64 v[45:46], v[3:4], v[59:60]
	s_waitcnt vmcnt(24)
	v_fma_f64 v[43:44], v[14:15], v[153:154], -v[43:44]
	v_mul_f64 v[33:34], v[1:2], v[59:60]
	v_fma_f64 v[27:28], v[16:17], v[153:154], v[27:28]
	ds_read_b128 v[14:17], v24 offset:1408
	v_add_f64 v[22:23], v[22:23], v[35:36]
	v_add_f64 v[9:10], v[9:10], v[31:32]
	s_waitcnt vmcnt(23) lgkmcnt(1)
	v_mul_f64 v[35:36], v[20:21], v[167:168]
	v_mul_f64 v[31:32], v[18:19], v[167:168]
	s_waitcnt vmcnt(21)
	v_fma_f64 v[45:46], v[1:2], v[65:66], -v[45:46]
	v_fma_f64 v[33:34], v[3:4], v[65:66], v[33:34]
	ds_read_b128 v[1:4], v24 offset:1424
	v_add_f64 v[22:23], v[22:23], v[43:44]
	v_add_f64 v[9:10], v[9:10], v[27:28]
	;; [unrolled: 18-line block ×3, first 2 shown]
	s_waitcnt vmcnt(9) lgkmcnt(1)
	v_mul_f64 v[35:36], v[20:21], v[161:162]
	s_waitcnt vmcnt(8)
	v_fma_f64 v[1:2], v[1:2], v[175:176], -v[45:46]
	v_mul_f64 v[31:32], v[18:19], v[161:162]
	v_fma_f64 v[3:4], v[3:4], v[175:176], v[33:34]
	v_add_f64 v[22:23], v[22:23], v[43:44]
	v_add_f64 v[9:10], v[9:10], v[27:28]
	s_waitcnt vmcnt(7) lgkmcnt(0)
	v_mul_f64 v[33:34], v[16:17], v[173:174]
	v_mul_f64 v[27:28], v[14:15], v[173:174]
	s_waitcnt vmcnt(5)
	v_fma_f64 v[18:19], v[18:19], v[29:30], -v[35:36]
	v_fma_f64 v[20:21], v[20:21], v[29:30], v[31:32]
	v_add_f64 v[1:2], v[22:23], v[1:2]
	v_add_f64 v[3:4], v[9:10], v[3:4]
	s_waitcnt vmcnt(4)
	v_fma_f64 v[9:10], v[14:15], v[179:180], -v[33:34]
	v_fma_f64 v[14:15], v[16:17], v[179:180], v[27:28]
	v_add_f64 v[1:2], v[1:2], v[18:19]
	v_add_f64 v[3:4], v[3:4], v[20:21]
	;; [unrolled: 1-line block ×4, first 2 shown]
	s_waitcnt vmcnt(2)
	v_add_f64 v[1:2], v[41:42], -v[1:2]
	s_waitcnt vmcnt(0)
	v_add_f64 v[3:4], v[155:156], -v[3:4]
	buffer_store_dword v2, off, s[0:3], 0 offset:148
	buffer_store_dword v1, off, s[0:3], 0 offset:144
	;; [unrolled: 1-line block ×4, first 2 shown]
	v_cmpx_lt_u32_e32 7, v0
	s_cbranch_execz .LBB45_275
; %bb.274:
	v_mov_b32_e32 v4, s40
	s_clause 0x3
	buffer_load_dword v1, v4, s[0:3], 0 offen
	buffer_load_dword v2, v4, s[0:3], 0 offen offset:4
	buffer_load_dword v3, v4, s[0:3], 0 offen offset:8
	;; [unrolled: 1-line block ×3, first 2 shown]
	buffer_store_dword v24, off, s[0:3], 0 offset:128
	buffer_store_dword v24, off, s[0:3], 0 offset:132
	;; [unrolled: 1-line block ×4, first 2 shown]
	s_waitcnt vmcnt(0)
	ds_write_b128 v11, v[1:4]
.LBB45_275:
	s_or_b32 exec_lo, exec_lo, s4
	s_waitcnt lgkmcnt(0)
	s_waitcnt_vscnt null, 0x0
	s_barrier
	buffer_gl0_inv
	s_clause 0x37
	buffer_load_dword v16, off, s[0:3], 0 offset:152
	buffer_load_dword v17, off, s[0:3], 0 offset:156
	;; [unrolled: 1-line block ×56, first 2 shown]
	ds_read_b128 v[155:158], v24 offset:864
	s_clause 0x2
	buffer_load_dword v80, off, s[0:3], 0 offset:380
	buffer_load_dword v154, off, s[0:3], 0 offset:356
	buffer_load_dword v153, off, s[0:3], 0 offset:352
	ds_read_b128 v[159:162], v24 offset:880
	s_clause 0x4
	buffer_load_dword v170, off, s[0:3], 0 offset:396
	buffer_load_dword v171, off, s[0:3], 0 offset:408
	buffer_load_dword v173, off, s[0:3], 0 offset:400
	buffer_load_dword v169, off, s[0:3], 0 offset:392
	buffer_load_dword v68, off, s[0:3], 0 offset:372
	ds_read_b128 v[163:166], v24 offset:896
	s_mov_b32 s4, exec_lo
	s_waitcnt vmcnt(62) lgkmcnt(2)
	v_mul_f64 v[167:168], v[157:158], v[16:17]
	v_mul_f64 v[16:17], v[155:156], v[16:17]
	s_waitcnt vmcnt(60) lgkmcnt(1)
	v_mul_f64 v[174:175], v[161:162], v[9:10]
	v_mul_f64 v[9:10], v[159:160], v[9:10]
	;; [unrolled: 3-line block ×3, first 2 shown]
	v_fma_f64 v[155:156], v[155:156], v[14:15], -v[167:168]
	v_fma_f64 v[157:158], v[157:158], v[14:15], v[16:17]
	s_clause 0x2
	buffer_load_dword v172, off, s[0:3], 0 offset:412
	buffer_load_dword v168, off, s[0:3], 0 offset:388
	;; [unrolled: 1-line block ×3, first 2 shown]
	s_waitcnt vmcnt(57)
	v_fma_f64 v[159:160], v[159:160], v[1:2], -v[174:175]
	ds_read_b128 v[14:17], v24 offset:912
	v_fma_f64 v[9:10], v[161:162], v[1:2], v[9:10]
	s_clause 0x4
	buffer_load_dword v162, off, s[0:3], 0 offset:428
	buffer_load_dword v175, off, s[0:3], 0 offset:440
	buffer_load_dword v180, off, s[0:3], 0 offset:432
	buffer_load_dword v161, off, s[0:3], 0 offset:424
	buffer_load_dword v174, off, s[0:3], 0 offset:404
	s_waitcnt vmcnt(56)
	v_fma_f64 v[163:164], v[163:164], v[35:36], -v[178:179]
	ds_read_b128 v[1:4], v24 offset:928
	v_fma_f64 v[35:36], v[165:166], v[35:36], v[176:177]
	s_clause 0x2
	buffer_load_dword v176, off, s[0:3], 0 offset:444
	buffer_load_dword v166, off, s[0:3], 0 offset:420
	buffer_load_dword v165, off, s[0:3], 0 offset:416
	v_add_f64 v[155:156], v[155:156], 0
	v_add_f64 v[157:158], v[157:158], 0
	s_waitcnt lgkmcnt(1)
	v_mul_f64 v[181:182], v[14:15], v[20:21]
	v_mul_f64 v[20:21], v[16:17], v[20:21]
	s_waitcnt vmcnt(58) lgkmcnt(0)
	v_mul_f64 v[177:178], v[1:2], v[27:28]
	v_mul_f64 v[27:28], v[3:4], v[27:28]
	v_add_f64 v[159:160], v[155:156], v[159:160]
	v_add_f64 v[9:10], v[157:158], v[9:10]
	ds_read_b128 v[155:158], v24 offset:944
	s_waitcnt vmcnt(56)
	v_fma_f64 v[20:21], v[14:15], v[29:30], -v[20:21]
	v_fma_f64 v[29:30], v[16:17], v[29:30], v[181:182]
	s_waitcnt vmcnt(51)
	v_fma_f64 v[27:28], v[1:2], v[18:19], -v[27:28]
	v_fma_f64 v[18:19], v[3:4], v[18:19], v[177:178]
	s_waitcnt lgkmcnt(0)
	v_mul_f64 v[183:184], v[155:156], v[31:32]
	v_add_f64 v[159:160], v[159:160], v[163:164]
	v_add_f64 v[9:10], v[9:10], v[35:36]
	s_clause 0x4
	buffer_load_dword v36, off, s[0:3], 0 offset:460
	buffer_load_dword v163, off, s[0:3], 0 offset:472
	;; [unrolled: 1-line block ×5, first 2 shown]
	v_mul_f64 v[31:32], v[157:158], v[31:32]
	ds_read_b128 v[14:17], v24 offset:960
	v_add_f64 v[20:21], v[159:160], v[20:21]
	v_add_f64 v[9:10], v[9:10], v[29:30]
	s_clause 0x2
	buffer_load_dword v164, off, s[0:3], 0 offset:476
	buffer_load_dword v30, off, s[0:3], 0 offset:452
	;; [unrolled: 1-line block ×3, first 2 shown]
	s_waitcnt vmcnt(58) lgkmcnt(0)
	v_mul_f64 v[159:160], v[14:15], v[41:42]
	v_mul_f64 v[41:42], v[16:17], v[41:42]
	s_waitcnt vmcnt(56)
	v_fma_f64 v[31:32], v[155:156], v[43:44], -v[31:32]
	ds_read_b128 v[1:4], v24 offset:976
	v_fma_f64 v[43:44], v[157:158], v[43:44], v[183:184]
	s_clause 0x4
	buffer_load_dword v156, off, s[0:3], 0 offset:492
	buffer_load_dword v157, off, s[0:3], 0 offset:504
	;; [unrolled: 1-line block ×5, first 2 shown]
	v_add_f64 v[27:28], v[20:21], v[27:28]
	v_add_f64 v[9:10], v[9:10], v[18:19]
	ds_read_b128 v[18:21], v24 offset:992
	s_waitcnt vmcnt(57) lgkmcnt(1)
	v_mul_f64 v[178:179], v[1:2], v[45:46]
	v_mul_f64 v[45:46], v[3:4], v[45:46]
	s_waitcnt vmcnt(56)
	v_fma_f64 v[41:42], v[14:15], v[22:23], -v[41:42]
	v_fma_f64 v[22:23], v[16:17], v[22:23], v[159:160]
	v_add_f64 v[27:28], v[27:28], v[31:32]
	v_add_f64 v[9:10], v[9:10], v[43:44]
	s_clause 0x2
	buffer_load_dword v158, off, s[0:3], 0 offset:508
	buffer_load_dword v32, off, s[0:3], 0 offset:484
	;; [unrolled: 1-line block ×3, first 2 shown]
	s_waitcnt vmcnt(58) lgkmcnt(0)
	v_mul_f64 v[43:44], v[18:19], v[53:54]
	v_mul_f64 v[53:54], v[20:21], v[53:54]
	s_waitcnt vmcnt(56)
	v_fma_f64 v[45:46], v[1:2], v[55:56], -v[45:46]
	ds_read_b128 v[14:17], v24 offset:1008
	v_add_f64 v[27:28], v[27:28], v[41:42]
	v_fma_f64 v[41:42], v[3:4], v[55:56], v[178:179]
	v_add_f64 v[9:10], v[9:10], v[22:23]
	s_clause 0x4
	buffer_load_dword v23, off, s[0:3], 0 offset:524
	buffer_load_dword v55, off, s[0:3], 0 offset:536
	;; [unrolled: 1-line block ×5, first 2 shown]
	s_waitcnt vmcnt(57) lgkmcnt(0)
	v_mul_f64 v[184:185], v[14:15], v[57:58]
	v_mul_f64 v[57:58], v[16:17], v[57:58]
	s_waitcnt vmcnt(56)
	v_fma_f64 v[53:54], v[18:19], v[33:34], -v[53:54]
	ds_read_b128 v[1:4], v24 offset:1024
	v_fma_f64 v[33:34], v[20:21], v[33:34], v[43:44]
	v_add_f64 v[27:28], v[27:28], v[45:46]
	v_add_f64 v[9:10], v[9:10], v[41:42]
	s_clause 0x2
	buffer_load_dword v56, off, s[0:3], 0 offset:540
	buffer_load_dword v42, off, s[0:3], 0 offset:516
	;; [unrolled: 1-line block ×3, first 2 shown]
	ds_read_b128 v[18:21], v24 offset:1040
	s_waitcnt vmcnt(58) lgkmcnt(1)
	v_mul_f64 v[45:46], v[3:4], v[61:62]
	s_waitcnt vmcnt(56)
	v_fma_f64 v[57:58], v[14:15], v[63:64], -v[57:58]
	v_mul_f64 v[43:44], v[1:2], v[61:62]
	v_add_f64 v[27:28], v[27:28], v[53:54]
	v_fma_f64 v[53:54], v[16:17], v[63:64], v[184:185]
	v_add_f64 v[9:10], v[9:10], v[33:34]
	s_clause 0x4
	buffer_load_dword v34, off, s[0:3], 0 offset:556
	buffer_load_dword v61, off, s[0:3], 0 offset:568
	buffer_load_dword v63, off, s[0:3], 0 offset:560
	buffer_load_dword v33, off, s[0:3], 0 offset:552
	buffer_load_dword v160, off, s[0:3], 0 offset:532
	s_waitcnt vmcnt(57) lgkmcnt(0)
	v_mul_f64 v[184:185], v[18:19], v[65:66]
	v_mul_f64 v[64:65], v[20:21], v[65:66]
	s_waitcnt vmcnt(56)
	v_fma_f64 v[45:46], v[1:2], v[47:48], -v[45:46]
	ds_read_b128 v[14:17], v24 offset:1056
	v_fma_f64 v[43:44], v[3:4], v[47:48], v[43:44]
	s_clause 0x2
	buffer_load_dword v62, off, s[0:3], 0 offset:572
	buffer_load_dword v48, off, s[0:3], 0 offset:548
	;; [unrolled: 1-line block ×3, first 2 shown]
	ds_read_b128 v[1:4], v24 offset:1072
	v_add_f64 v[27:28], v[27:28], v[57:58]
	v_add_f64 v[9:10], v[9:10], v[53:54]
	s_waitcnt vmcnt(58) lgkmcnt(1)
	v_mul_f64 v[57:58], v[16:17], v[73:74]
	s_waitcnt vmcnt(56)
	v_fma_f64 v[65:66], v[18:19], v[75:76], -v[64:65]
	v_mul_f64 v[53:54], v[14:15], v[73:74]
	v_add_f64 v[27:28], v[27:28], v[45:46]
	v_fma_f64 v[45:46], v[20:21], v[75:76], v[184:185]
	v_add_f64 v[9:10], v[9:10], v[43:44]
	s_clause 0x4
	buffer_load_dword v44, off, s[0:3], 0 offset:588
	buffer_load_dword v73, off, s[0:3], 0 offset:600
	;; [unrolled: 1-line block ×5, first 2 shown]
	s_waitcnt vmcnt(57) lgkmcnt(0)
	v_mul_f64 v[184:185], v[1:2], v[77:78]
	v_mul_f64 v[76:77], v[3:4], v[77:78]
	s_waitcnt vmcnt(56)
	v_fma_f64 v[57:58], v[14:15], v[59:60], -v[57:58]
	ds_read_b128 v[18:21], v24 offset:1088
	v_fma_f64 v[53:54], v[16:17], v[59:60], v[53:54]
	v_add_f64 v[27:28], v[27:28], v[65:66]
	v_add_f64 v[9:10], v[9:10], v[45:46]
	s_clause 0x2
	buffer_load_dword v74, off, s[0:3], 0 offset:604
	buffer_load_dword v46, off, s[0:3], 0 offset:580
	;; [unrolled: 1-line block ×3, first 2 shown]
	ds_read_b128 v[14:17], v24 offset:1104
	s_waitcnt vmcnt(58) lgkmcnt(1)
	v_mul_f64 v[65:66], v[20:21], v[79:80]
	s_waitcnt vmcnt(56)
	v_fma_f64 v[77:78], v[1:2], v[153:154], -v[76:77]
	v_mul_f64 v[59:60], v[18:19], v[79:80]
	v_add_f64 v[27:28], v[27:28], v[57:58]
	v_fma_f64 v[57:58], v[3:4], v[153:154], v[184:185]
	v_add_f64 v[9:10], v[9:10], v[53:54]
	s_clause 0x4
	buffer_load_dword v54, off, s[0:3], 0 offset:620
	buffer_load_dword v79, off, s[0:3], 0 offset:632
	;; [unrolled: 1-line block ×5, first 2 shown]
	s_waitcnt vmcnt(57) lgkmcnt(0)
	v_mul_f64 v[184:185], v[14:15], v[169:170]
	v_mul_f64 v[169:170], v[16:17], v[169:170]
	s_waitcnt vmcnt(56)
	v_fma_f64 v[65:66], v[18:19], v[67:68], -v[65:66]
	ds_read_b128 v[1:4], v24 offset:1120
	v_fma_f64 v[59:60], v[20:21], v[67:68], v[59:60]
	v_add_f64 v[27:28], v[27:28], v[77:78]
	v_add_f64 v[9:10], v[9:10], v[57:58]
	s_clause 0x2
	buffer_load_dword v80, off, s[0:3], 0 offset:636
	buffer_load_dword v58, off, s[0:3], 0 offset:612
	buffer_load_dword v57, off, s[0:3], 0 offset:608
	ds_read_b128 v[18:21], v24 offset:1136
	s_waitcnt vmcnt(58) lgkmcnt(1)
	v_mul_f64 v[77:78], v[3:4], v[171:172]
	v_mul_f64 v[67:68], v[1:2], v[171:172]
	s_waitcnt vmcnt(56)
	v_fma_f64 v[169:170], v[14:15], v[167:168], -v[169:170]
	v_add_f64 v[27:28], v[27:28], v[65:66]
	v_fma_f64 v[65:66], v[16:17], v[167:168], v[184:185]
	v_add_f64 v[9:10], v[9:10], v[59:60]
	s_clause 0x4
	buffer_load_dword v60, off, s[0:3], 0 offset:652
	buffer_load_dword v167, off, s[0:3], 0 offset:664
	;; [unrolled: 1-line block ×5, first 2 shown]
	s_waitcnt vmcnt(57) lgkmcnt(0)
	v_mul_f64 v[184:185], v[18:19], v[161:162]
	v_mul_f64 v[161:162], v[20:21], v[161:162]
	ds_read_b128 v[14:17], v24 offset:1152
	s_waitcnt vmcnt(56)
	v_fma_f64 v[77:78], v[1:2], v[173:174], -v[77:78]
	v_fma_f64 v[67:68], v[3:4], v[173:174], v[67:68]
	v_add_f64 v[27:28], v[27:28], v[169:170]
	v_add_f64 v[9:10], v[9:10], v[65:66]
	s_clause 0x2
	buffer_load_dword v168, off, s[0:3], 0 offset:668
	buffer_load_dword v66, off, s[0:3], 0 offset:644
	;; [unrolled: 1-line block ×3, first 2 shown]
	s_waitcnt vmcnt(58) lgkmcnt(0)
	v_mul_f64 v[173:174], v[16:17], v[175:176]
	s_waitcnt vmcnt(56)
	v_fma_f64 v[161:162], v[18:19], v[165:166], -v[161:162]
	ds_read_b128 v[1:4], v24 offset:1168
	v_mul_f64 v[169:170], v[14:15], v[175:176]
	v_add_f64 v[27:28], v[27:28], v[77:78]
	v_fma_f64 v[77:78], v[20:21], v[165:166], v[184:185]
	v_add_f64 v[9:10], v[9:10], v[67:68]
	s_clause 0x4
	buffer_load_dword v68, off, s[0:3], 0 offset:684
	buffer_load_dword v165, off, s[0:3], 0 offset:696
	buffer_load_dword v175, off, s[0:3], 0 offset:688
	buffer_load_dword v67, off, s[0:3], 0 offset:680
	buffer_load_dword v172, off, s[0:3], 0 offset:660
	ds_read_b128 v[18:21], v24 offset:1184
	s_waitcnt vmcnt(57) lgkmcnt(1)
	v_mul_f64 v[184:185], v[1:2], v[35:36]
	v_mul_f64 v[35:36], v[3:4], v[35:36]
	s_waitcnt vmcnt(56)
	v_fma_f64 v[173:174], v[14:15], v[180:181], -v[173:174]
	v_add_f64 v[27:28], v[27:28], v[161:162]
	v_fma_f64 v[161:162], v[16:17], v[180:181], v[169:170]
	v_add_f64 v[9:10], v[9:10], v[77:78]
	s_clause 0x2
	buffer_load_dword v166, off, s[0:3], 0 offset:700
	buffer_load_dword v78, off, s[0:3], 0 offset:676
	;; [unrolled: 1-line block ×3, first 2 shown]
	ds_read_b128 v[14:17], v24 offset:1200
	s_waitcnt vmcnt(58) lgkmcnt(1)
	v_mul_f64 v[169:170], v[18:19], v[163:164]
	v_mul_f64 v[163:164], v[20:21], v[163:164]
	s_waitcnt vmcnt(56)
	v_fma_f64 v[35:36], v[1:2], v[29:30], -v[35:36]
	v_fma_f64 v[29:30], v[3:4], v[29:30], v[184:185]
	v_add_f64 v[27:28], v[27:28], v[173:174]
	v_add_f64 v[9:10], v[9:10], v[161:162]
	s_clause 0x4
	buffer_load_dword v162, off, s[0:3], 0 offset:716
	buffer_load_dword v173, off, s[0:3], 0 offset:728
	buffer_load_dword v179, off, s[0:3], 0 offset:720
	buffer_load_dword v161, off, s[0:3], 0 offset:712
	buffer_load_dword v176, off, s[0:3], 0 offset:692
	s_waitcnt vmcnt(57) lgkmcnt(0)
	v_mul_f64 v[180:181], v[14:15], v[155:156]
	v_mul_f64 v[155:156], v[16:17], v[155:156]
	ds_read_b128 v[1:4], v24 offset:1216
	s_waitcnt vmcnt(56)
	v_fma_f64 v[163:164], v[18:19], v[182:183], -v[163:164]
	v_add_f64 v[27:28], v[27:28], v[35:36]
	v_fma_f64 v[35:36], v[20:21], v[182:183], v[169:170]
	v_add_f64 v[9:10], v[9:10], v[29:30]
	s_clause 0x2
	buffer_load_dword v174, off, s[0:3], 0 offset:732
	buffer_load_dword v30, off, s[0:3], 0 offset:708
	;; [unrolled: 1-line block ×3, first 2 shown]
	ds_read_b128 v[18:21], v24 offset:1232
	s_waitcnt vmcnt(58) lgkmcnt(1)
	v_mul_f64 v[169:170], v[1:2], v[157:158]
	v_mul_f64 v[157:158], v[3:4], v[157:158]
	s_waitcnt vmcnt(56)
	v_fma_f64 v[155:156], v[14:15], v[31:32], -v[155:156]
	v_fma_f64 v[31:32], v[16:17], v[31:32], v[180:181]
	v_add_f64 v[27:28], v[27:28], v[163:164]
	v_add_f64 v[9:10], v[9:10], v[35:36]
	s_clause 0x2
	buffer_load_dword v36, off, s[0:3], 0 offset:748
	buffer_load_dword v35, off, s[0:3], 0 offset:744
	;; [unrolled: 1-line block ×3, first 2 shown]
	ds_read_b128 v[14:17], v24 offset:1248
	s_waitcnt vmcnt(55) lgkmcnt(1)
	v_mul_f64 v[163:164], v[18:19], v[22:23]
	v_mul_f64 v[22:23], v[20:21], v[22:23]
	s_waitcnt vmcnt(54)
	v_fma_f64 v[157:158], v[1:2], v[177:178], -v[157:158]
	v_add_f64 v[27:28], v[27:28], v[155:156]
	v_fma_f64 v[155:156], v[3:4], v[177:178], v[169:170]
	v_add_f64 v[9:10], v[9:10], v[31:32]
	s_clause 0x1
	buffer_load_dword v32, off, s[0:3], 0 offset:740
	buffer_load_dword v31, off, s[0:3], 0 offset:736
	ds_read_b128 v[1:4], v24 offset:1264
	s_waitcnt vmcnt(55) lgkmcnt(1)
	v_mul_f64 v[169:170], v[14:15], v[55:56]
	v_mul_f64 v[55:56], v[16:17], v[55:56]
	s_waitcnt vmcnt(53)
	v_fma_f64 v[22:23], v[18:19], v[41:42], -v[22:23]
	v_fma_f64 v[41:42], v[20:21], v[41:42], v[163:164]
	ds_read_b128 v[18:21], v24 offset:1280
	v_add_f64 v[27:28], v[27:28], v[157:158]
	v_add_f64 v[9:10], v[9:10], v[155:156]
	s_waitcnt vmcnt(49) lgkmcnt(1)
	v_mul_f64 v[155:156], v[1:2], v[33:34]
	v_mul_f64 v[33:34], v[3:4], v[33:34]
	s_waitcnt vmcnt(48)
	v_fma_f64 v[55:56], v[14:15], v[159:160], -v[55:56]
	v_add_f64 v[22:23], v[27:28], v[22:23]
	v_fma_f64 v[27:28], v[16:17], v[159:160], v[169:170]
	v_add_f64 v[9:10], v[9:10], v[41:42]
	s_clause 0x3
	buffer_load_dword v41, off, s[0:3], 0 offset:128
	buffer_load_dword v42, off, s[0:3], 0 offset:132
	;; [unrolled: 1-line block ×4, first 2 shown]
	s_waitcnt vmcnt(51) lgkmcnt(0)
	v_mul_f64 v[159:160], v[18:19], v[61:62]
	v_mul_f64 v[61:62], v[20:21], v[61:62]
	ds_read_b128 v[14:17], v24 offset:1296
	s_waitcnt vmcnt(49)
	v_fma_f64 v[33:34], v[1:2], v[47:48], -v[33:34]
	v_fma_f64 v[47:48], v[3:4], v[47:48], v[155:156]
	ds_read_b128 v[1:4], v24 offset:1312
	v_add_f64 v[22:23], v[22:23], v[55:56]
	v_add_f64 v[9:10], v[9:10], v[27:28]
	s_waitcnt vmcnt(45) lgkmcnt(1)
	v_mul_f64 v[27:28], v[14:15], v[43:44]
	v_mul_f64 v[43:44], v[16:17], v[43:44]
	s_waitcnt vmcnt(44)
	v_fma_f64 v[55:56], v[18:19], v[63:64], -v[61:62]
	v_add_f64 v[22:23], v[22:23], v[33:34]
	v_fma_f64 v[33:34], v[20:21], v[63:64], v[159:160]
	v_add_f64 v[9:10], v[9:10], v[47:48]
	ds_read_b128 v[18:21], v24 offset:1328
	s_waitcnt vmcnt(43) lgkmcnt(1)
	v_mul_f64 v[61:62], v[3:4], v[73:74]
	v_mul_f64 v[47:48], v[1:2], v[73:74]
	s_waitcnt vmcnt(41)
	v_fma_f64 v[43:44], v[14:15], v[45:46], -v[43:44]
	v_fma_f64 v[27:28], v[16:17], v[45:46], v[27:28]
	ds_read_b128 v[14:17], v24 offset:1344
	v_add_f64 v[22:23], v[22:23], v[55:56]
	v_add_f64 v[9:10], v[9:10], v[33:34]
	s_waitcnt vmcnt(37) lgkmcnt(1)
	v_mul_f64 v[33:34], v[18:19], v[53:54]
	v_mul_f64 v[45:46], v[20:21], v[53:54]
	s_waitcnt vmcnt(36)
	v_fma_f64 v[53:54], v[1:2], v[75:76], -v[61:62]
	v_add_f64 v[22:23], v[22:23], v[43:44]
	v_fma_f64 v[43:44], v[3:4], v[75:76], v[47:48]
	v_add_f64 v[9:10], v[9:10], v[27:28]
	ds_read_b128 v[1:4], v24 offset:1360
	s_waitcnt vmcnt(35) lgkmcnt(1)
	v_mul_f64 v[47:48], v[16:17], v[79:80]
	v_mul_f64 v[27:28], v[14:15], v[79:80]
	s_waitcnt vmcnt(33)
	v_fma_f64 v[45:46], v[18:19], v[57:58], -v[45:46]
	v_fma_f64 v[33:34], v[20:21], v[57:58], v[33:34]
	ds_read_b128 v[18:21], v24 offset:1376
	v_add_f64 v[22:23], v[22:23], v[53:54]
	v_add_f64 v[9:10], v[9:10], v[43:44]
	s_waitcnt vmcnt(29) lgkmcnt(1)
	v_mul_f64 v[53:54], v[3:4], v[59:60]
	s_waitcnt vmcnt(28)
	v_fma_f64 v[47:48], v[14:15], v[153:154], -v[47:48]
	v_mul_f64 v[43:44], v[1:2], v[59:60]
	v_fma_f64 v[27:28], v[16:17], v[153:154], v[27:28]
	ds_read_b128 v[14:17], v24 offset:1392
	v_add_f64 v[22:23], v[22:23], v[45:46]
	v_add_f64 v[9:10], v[9:10], v[33:34]
	s_waitcnt vmcnt(27) lgkmcnt(1)
	v_mul_f64 v[45:46], v[20:21], v[167:168]
	v_mul_f64 v[33:34], v[18:19], v[167:168]
	s_waitcnt vmcnt(25)
	v_fma_f64 v[53:54], v[1:2], v[65:66], -v[53:54]
	v_fma_f64 v[43:44], v[3:4], v[65:66], v[43:44]
	ds_read_b128 v[1:4], v24 offset:1408
	v_add_f64 v[22:23], v[22:23], v[47:48]
	v_add_f64 v[9:10], v[9:10], v[27:28]
	s_waitcnt vmcnt(21) lgkmcnt(1)
	v_mul_f64 v[47:48], v[16:17], v[67:68]
	s_waitcnt vmcnt(20)
	v_fma_f64 v[45:46], v[18:19], v[171:172], -v[45:46]
	v_mul_f64 v[27:28], v[14:15], v[67:68]
	v_fma_f64 v[33:34], v[20:21], v[171:172], v[33:34]
	ds_read_b128 v[18:21], v24 offset:1424
	v_add_f64 v[22:23], v[22:23], v[53:54]
	v_add_f64 v[9:10], v[9:10], v[43:44]
	;; [unrolled: 18-line block ×3, first 2 shown]
	s_waitcnt vmcnt(11) lgkmcnt(1)
	v_mul_f64 v[47:48], v[16:17], v[173:174]
	v_mul_f64 v[27:28], v[14:15], v[173:174]
	s_waitcnt vmcnt(9)
	v_fma_f64 v[18:19], v[18:19], v[29:30], -v[45:46]
	v_fma_f64 v[20:21], v[20:21], v[29:30], v[33:34]
	v_add_f64 v[22:23], v[22:23], v[53:54]
	v_add_f64 v[9:10], v[9:10], v[43:44]
	s_waitcnt vmcnt(7) lgkmcnt(0)
	v_mul_f64 v[33:34], v[3:4], v[35:36]
	s_waitcnt vmcnt(6)
	v_fma_f64 v[14:15], v[14:15], v[179:180], -v[47:48]
	v_mul_f64 v[29:30], v[1:2], v[35:36]
	v_fma_f64 v[16:17], v[16:17], v[179:180], v[27:28]
	v_add_f64 v[18:19], v[22:23], v[18:19]
	v_add_f64 v[9:10], v[9:10], v[20:21]
	s_waitcnt vmcnt(4)
	v_fma_f64 v[1:2], v[1:2], v[31:32], -v[33:34]
	v_fma_f64 v[3:4], v[3:4], v[31:32], v[29:30]
	v_add_f64 v[14:15], v[18:19], v[14:15]
	v_add_f64 v[9:10], v[9:10], v[16:17]
	;; [unrolled: 1-line block ×4, first 2 shown]
	s_waitcnt vmcnt(2)
	v_add_f64 v[1:2], v[41:42], -v[1:2]
	s_waitcnt vmcnt(0)
	v_add_f64 v[3:4], v[157:158], -v[3:4]
	buffer_store_dword v2, off, s[0:3], 0 offset:132
	buffer_store_dword v1, off, s[0:3], 0 offset:128
	;; [unrolled: 1-line block ×4, first 2 shown]
	v_cmpx_lt_u32_e32 6, v0
	s_cbranch_execz .LBB45_277
; %bb.276:
	v_mov_b32_e32 v4, s42
	v_mov_b32_e32 v9, 0
	s_clause 0x3
	buffer_load_dword v1, v4, s[0:3], 0 offen
	buffer_load_dword v2, v4, s[0:3], 0 offen offset:4
	buffer_load_dword v3, v4, s[0:3], 0 offen offset:8
	;; [unrolled: 1-line block ×3, first 2 shown]
	buffer_store_dword v9, off, s[0:3], 0 offset:112
	buffer_store_dword v9, off, s[0:3], 0 offset:116
	;; [unrolled: 1-line block ×4, first 2 shown]
	s_waitcnt vmcnt(0)
	ds_write_b128 v11, v[1:4]
.LBB45_277:
	s_or_b32 exec_lo, exec_lo, s4
	s_waitcnt lgkmcnt(0)
	s_waitcnt_vscnt null, 0x0
	s_barrier
	buffer_gl0_inv
	s_clause 0x37
	buffer_load_dword v16, off, s[0:3], 0 offset:136
	buffer_load_dword v17, off, s[0:3], 0 offset:140
	;; [unrolled: 1-line block ×56, first 2 shown]
	v_mov_b32_e32 v24, 0
	s_mov_b32 s4, exec_lo
	ds_read_b128 v[155:158], v24 offset:848
	s_clause 0x2
	buffer_load_dword v80, off, s[0:3], 0 offset:364
	buffer_load_dword v154, off, s[0:3], 0 offset:340
	buffer_load_dword v153, off, s[0:3], 0 offset:336
	ds_read_b128 v[159:162], v24 offset:864
	s_clause 0x4
	buffer_load_dword v170, off, s[0:3], 0 offset:380
	buffer_load_dword v171, off, s[0:3], 0 offset:392
	;; [unrolled: 1-line block ×5, first 2 shown]
	ds_read_b128 v[163:166], v24 offset:880
	s_waitcnt vmcnt(62) lgkmcnt(2)
	v_mul_f64 v[167:168], v[157:158], v[16:17]
	v_mul_f64 v[16:17], v[155:156], v[16:17]
	s_waitcnt vmcnt(60) lgkmcnt(1)
	v_mul_f64 v[174:175], v[161:162], v[9:10]
	v_mul_f64 v[9:10], v[159:160], v[9:10]
	;; [unrolled: 3-line block ×3, first 2 shown]
	v_fma_f64 v[155:156], v[155:156], v[14:15], -v[167:168]
	v_fma_f64 v[157:158], v[157:158], v[14:15], v[16:17]
	s_clause 0x2
	buffer_load_dword v172, off, s[0:3], 0 offset:396
	buffer_load_dword v168, off, s[0:3], 0 offset:372
	;; [unrolled: 1-line block ×3, first 2 shown]
	s_waitcnt vmcnt(57)
	v_fma_f64 v[159:160], v[159:160], v[1:2], -v[174:175]
	ds_read_b128 v[14:17], v24 offset:896
	v_fma_f64 v[9:10], v[161:162], v[1:2], v[9:10]
	s_clause 0x4
	buffer_load_dword v162, off, s[0:3], 0 offset:412
	buffer_load_dword v175, off, s[0:3], 0 offset:424
	buffer_load_dword v180, off, s[0:3], 0 offset:416
	buffer_load_dword v161, off, s[0:3], 0 offset:408
	buffer_load_dword v174, off, s[0:3], 0 offset:388
	s_waitcnt vmcnt(56)
	v_fma_f64 v[163:164], v[163:164], v[35:36], -v[178:179]
	ds_read_b128 v[1:4], v24 offset:912
	v_fma_f64 v[35:36], v[165:166], v[35:36], v[176:177]
	s_clause 0x2
	buffer_load_dword v176, off, s[0:3], 0 offset:428
	buffer_load_dword v166, off, s[0:3], 0 offset:404
	;; [unrolled: 1-line block ×3, first 2 shown]
	v_add_f64 v[155:156], v[155:156], 0
	v_add_f64 v[157:158], v[157:158], 0
	s_waitcnt lgkmcnt(1)
	v_mul_f64 v[181:182], v[14:15], v[20:21]
	v_mul_f64 v[20:21], v[16:17], v[20:21]
	s_waitcnt vmcnt(58) lgkmcnt(0)
	v_mul_f64 v[177:178], v[1:2], v[27:28]
	v_mul_f64 v[27:28], v[3:4], v[27:28]
	v_add_f64 v[159:160], v[155:156], v[159:160]
	v_add_f64 v[9:10], v[157:158], v[9:10]
	ds_read_b128 v[155:158], v24 offset:928
	s_waitcnt vmcnt(56)
	v_fma_f64 v[20:21], v[14:15], v[29:30], -v[20:21]
	v_fma_f64 v[29:30], v[16:17], v[29:30], v[181:182]
	s_waitcnt vmcnt(51)
	v_fma_f64 v[27:28], v[1:2], v[18:19], -v[27:28]
	v_fma_f64 v[18:19], v[3:4], v[18:19], v[177:178]
	s_waitcnt lgkmcnt(0)
	v_mul_f64 v[183:184], v[155:156], v[31:32]
	v_add_f64 v[159:160], v[159:160], v[163:164]
	v_add_f64 v[9:10], v[9:10], v[35:36]
	s_clause 0x4
	buffer_load_dword v36, off, s[0:3], 0 offset:444
	buffer_load_dword v163, off, s[0:3], 0 offset:456
	;; [unrolled: 1-line block ×5, first 2 shown]
	v_mul_f64 v[31:32], v[157:158], v[31:32]
	ds_read_b128 v[14:17], v24 offset:944
	v_add_f64 v[20:21], v[159:160], v[20:21]
	v_add_f64 v[9:10], v[9:10], v[29:30]
	s_clause 0x2
	buffer_load_dword v164, off, s[0:3], 0 offset:460
	buffer_load_dword v30, off, s[0:3], 0 offset:436
	;; [unrolled: 1-line block ×3, first 2 shown]
	s_waitcnt vmcnt(58) lgkmcnt(0)
	v_mul_f64 v[159:160], v[14:15], v[41:42]
	v_mul_f64 v[41:42], v[16:17], v[41:42]
	s_waitcnt vmcnt(56)
	v_fma_f64 v[31:32], v[155:156], v[43:44], -v[31:32]
	ds_read_b128 v[1:4], v24 offset:960
	v_fma_f64 v[43:44], v[157:158], v[43:44], v[183:184]
	s_clause 0x4
	buffer_load_dword v156, off, s[0:3], 0 offset:476
	buffer_load_dword v157, off, s[0:3], 0 offset:488
	;; [unrolled: 1-line block ×5, first 2 shown]
	v_add_f64 v[27:28], v[20:21], v[27:28]
	v_add_f64 v[9:10], v[9:10], v[18:19]
	ds_read_b128 v[18:21], v24 offset:976
	s_waitcnt vmcnt(57) lgkmcnt(1)
	v_mul_f64 v[178:179], v[1:2], v[45:46]
	v_mul_f64 v[45:46], v[3:4], v[45:46]
	s_waitcnt vmcnt(56)
	v_fma_f64 v[41:42], v[14:15], v[22:23], -v[41:42]
	v_fma_f64 v[22:23], v[16:17], v[22:23], v[159:160]
	v_add_f64 v[27:28], v[27:28], v[31:32]
	v_add_f64 v[9:10], v[9:10], v[43:44]
	s_clause 0x2
	buffer_load_dword v158, off, s[0:3], 0 offset:492
	buffer_load_dword v32, off, s[0:3], 0 offset:468
	;; [unrolled: 1-line block ×3, first 2 shown]
	s_waitcnt vmcnt(58) lgkmcnt(0)
	v_mul_f64 v[43:44], v[18:19], v[53:54]
	v_mul_f64 v[53:54], v[20:21], v[53:54]
	s_waitcnt vmcnt(56)
	v_fma_f64 v[45:46], v[1:2], v[55:56], -v[45:46]
	ds_read_b128 v[14:17], v24 offset:992
	v_add_f64 v[27:28], v[27:28], v[41:42]
	v_fma_f64 v[41:42], v[3:4], v[55:56], v[178:179]
	v_add_f64 v[9:10], v[9:10], v[22:23]
	s_clause 0x4
	buffer_load_dword v23, off, s[0:3], 0 offset:508
	buffer_load_dword v55, off, s[0:3], 0 offset:520
	buffer_load_dword v159, off, s[0:3], 0 offset:512
	buffer_load_dword v22, off, s[0:3], 0 offset:504
	buffer_load_dword v178, off, s[0:3], 0 offset:484
	s_waitcnt vmcnt(57) lgkmcnt(0)
	v_mul_f64 v[184:185], v[14:15], v[57:58]
	v_mul_f64 v[57:58], v[16:17], v[57:58]
	s_waitcnt vmcnt(56)
	v_fma_f64 v[53:54], v[18:19], v[33:34], -v[53:54]
	ds_read_b128 v[1:4], v24 offset:1008
	v_fma_f64 v[33:34], v[20:21], v[33:34], v[43:44]
	v_add_f64 v[27:28], v[27:28], v[45:46]
	v_add_f64 v[9:10], v[9:10], v[41:42]
	s_clause 0x2
	buffer_load_dword v56, off, s[0:3], 0 offset:524
	buffer_load_dword v42, off, s[0:3], 0 offset:500
	;; [unrolled: 1-line block ×3, first 2 shown]
	ds_read_b128 v[18:21], v24 offset:1024
	s_waitcnt vmcnt(58) lgkmcnt(1)
	v_mul_f64 v[45:46], v[3:4], v[61:62]
	s_waitcnt vmcnt(56)
	v_fma_f64 v[57:58], v[14:15], v[63:64], -v[57:58]
	v_mul_f64 v[43:44], v[1:2], v[61:62]
	v_add_f64 v[27:28], v[27:28], v[53:54]
	v_fma_f64 v[53:54], v[16:17], v[63:64], v[184:185]
	v_add_f64 v[9:10], v[9:10], v[33:34]
	s_clause 0x4
	buffer_load_dword v34, off, s[0:3], 0 offset:540
	buffer_load_dword v61, off, s[0:3], 0 offset:552
	;; [unrolled: 1-line block ×5, first 2 shown]
	s_waitcnt vmcnt(57) lgkmcnt(0)
	v_mul_f64 v[184:185], v[18:19], v[65:66]
	v_mul_f64 v[64:65], v[20:21], v[65:66]
	s_waitcnt vmcnt(56)
	v_fma_f64 v[45:46], v[1:2], v[47:48], -v[45:46]
	ds_read_b128 v[14:17], v24 offset:1040
	v_fma_f64 v[43:44], v[3:4], v[47:48], v[43:44]
	s_clause 0x2
	buffer_load_dword v62, off, s[0:3], 0 offset:556
	buffer_load_dword v48, off, s[0:3], 0 offset:532
	;; [unrolled: 1-line block ×3, first 2 shown]
	ds_read_b128 v[1:4], v24 offset:1056
	v_add_f64 v[27:28], v[27:28], v[57:58]
	v_add_f64 v[9:10], v[9:10], v[53:54]
	s_waitcnt vmcnt(58) lgkmcnt(1)
	v_mul_f64 v[57:58], v[16:17], v[73:74]
	s_waitcnt vmcnt(56)
	v_fma_f64 v[65:66], v[18:19], v[75:76], -v[64:65]
	v_mul_f64 v[53:54], v[14:15], v[73:74]
	v_add_f64 v[27:28], v[27:28], v[45:46]
	v_fma_f64 v[45:46], v[20:21], v[75:76], v[184:185]
	v_add_f64 v[9:10], v[9:10], v[43:44]
	s_clause 0x4
	buffer_load_dword v44, off, s[0:3], 0 offset:572
	buffer_load_dword v73, off, s[0:3], 0 offset:584
	;; [unrolled: 1-line block ×5, first 2 shown]
	s_waitcnt vmcnt(57) lgkmcnt(0)
	v_mul_f64 v[184:185], v[1:2], v[77:78]
	v_mul_f64 v[76:77], v[3:4], v[77:78]
	s_waitcnt vmcnt(56)
	v_fma_f64 v[57:58], v[14:15], v[59:60], -v[57:58]
	ds_read_b128 v[18:21], v24 offset:1072
	v_fma_f64 v[53:54], v[16:17], v[59:60], v[53:54]
	v_add_f64 v[27:28], v[27:28], v[65:66]
	v_add_f64 v[9:10], v[9:10], v[45:46]
	s_clause 0x2
	buffer_load_dword v74, off, s[0:3], 0 offset:588
	buffer_load_dword v46, off, s[0:3], 0 offset:564
	;; [unrolled: 1-line block ×3, first 2 shown]
	ds_read_b128 v[14:17], v24 offset:1088
	s_waitcnt vmcnt(58) lgkmcnt(1)
	v_mul_f64 v[65:66], v[20:21], v[79:80]
	s_waitcnt vmcnt(56)
	v_fma_f64 v[77:78], v[1:2], v[153:154], -v[76:77]
	v_mul_f64 v[59:60], v[18:19], v[79:80]
	v_add_f64 v[27:28], v[27:28], v[57:58]
	v_fma_f64 v[57:58], v[3:4], v[153:154], v[184:185]
	v_add_f64 v[9:10], v[9:10], v[53:54]
	s_clause 0x4
	buffer_load_dword v54, off, s[0:3], 0 offset:604
	buffer_load_dword v79, off, s[0:3], 0 offset:616
	;; [unrolled: 1-line block ×5, first 2 shown]
	s_waitcnt vmcnt(57) lgkmcnt(0)
	v_mul_f64 v[184:185], v[14:15], v[169:170]
	v_mul_f64 v[169:170], v[16:17], v[169:170]
	s_waitcnt vmcnt(56)
	v_fma_f64 v[65:66], v[18:19], v[67:68], -v[65:66]
	ds_read_b128 v[1:4], v24 offset:1104
	v_fma_f64 v[59:60], v[20:21], v[67:68], v[59:60]
	v_add_f64 v[27:28], v[27:28], v[77:78]
	v_add_f64 v[9:10], v[9:10], v[57:58]
	s_clause 0x2
	buffer_load_dword v80, off, s[0:3], 0 offset:620
	buffer_load_dword v58, off, s[0:3], 0 offset:596
	;; [unrolled: 1-line block ×3, first 2 shown]
	ds_read_b128 v[18:21], v24 offset:1120
	s_waitcnt vmcnt(58) lgkmcnt(1)
	v_mul_f64 v[77:78], v[3:4], v[171:172]
	v_mul_f64 v[67:68], v[1:2], v[171:172]
	s_waitcnt vmcnt(56)
	v_fma_f64 v[169:170], v[14:15], v[167:168], -v[169:170]
	v_add_f64 v[27:28], v[27:28], v[65:66]
	v_fma_f64 v[65:66], v[16:17], v[167:168], v[184:185]
	v_add_f64 v[9:10], v[9:10], v[59:60]
	s_clause 0x4
	buffer_load_dword v60, off, s[0:3], 0 offset:636
	buffer_load_dword v167, off, s[0:3], 0 offset:648
	buffer_load_dword v171, off, s[0:3], 0 offset:640
	buffer_load_dword v59, off, s[0:3], 0 offset:632
	buffer_load_dword v154, off, s[0:3], 0 offset:612
	s_waitcnt vmcnt(57) lgkmcnt(0)
	v_mul_f64 v[184:185], v[18:19], v[161:162]
	v_mul_f64 v[161:162], v[20:21], v[161:162]
	ds_read_b128 v[14:17], v24 offset:1136
	s_waitcnt vmcnt(56)
	v_fma_f64 v[77:78], v[1:2], v[173:174], -v[77:78]
	v_fma_f64 v[67:68], v[3:4], v[173:174], v[67:68]
	v_add_f64 v[27:28], v[27:28], v[169:170]
	v_add_f64 v[9:10], v[9:10], v[65:66]
	s_clause 0x2
	buffer_load_dword v168, off, s[0:3], 0 offset:652
	buffer_load_dword v66, off, s[0:3], 0 offset:628
	;; [unrolled: 1-line block ×3, first 2 shown]
	s_waitcnt vmcnt(58) lgkmcnt(0)
	v_mul_f64 v[173:174], v[16:17], v[175:176]
	s_waitcnt vmcnt(56)
	v_fma_f64 v[161:162], v[18:19], v[165:166], -v[161:162]
	ds_read_b128 v[1:4], v24 offset:1152
	v_mul_f64 v[169:170], v[14:15], v[175:176]
	v_add_f64 v[27:28], v[27:28], v[77:78]
	v_fma_f64 v[77:78], v[20:21], v[165:166], v[184:185]
	v_add_f64 v[9:10], v[9:10], v[67:68]
	s_clause 0x4
	buffer_load_dword v68, off, s[0:3], 0 offset:668
	buffer_load_dword v165, off, s[0:3], 0 offset:680
	;; [unrolled: 1-line block ×5, first 2 shown]
	ds_read_b128 v[18:21], v24 offset:1168
	s_waitcnt vmcnt(57) lgkmcnt(1)
	v_mul_f64 v[184:185], v[1:2], v[35:36]
	v_mul_f64 v[35:36], v[3:4], v[35:36]
	s_waitcnt vmcnt(56)
	v_fma_f64 v[173:174], v[14:15], v[180:181], -v[173:174]
	v_add_f64 v[27:28], v[27:28], v[161:162]
	v_fma_f64 v[161:162], v[16:17], v[180:181], v[169:170]
	v_add_f64 v[9:10], v[9:10], v[77:78]
	s_clause 0x2
	buffer_load_dword v166, off, s[0:3], 0 offset:684
	buffer_load_dword v78, off, s[0:3], 0 offset:660
	;; [unrolled: 1-line block ×3, first 2 shown]
	ds_read_b128 v[14:17], v24 offset:1184
	s_waitcnt vmcnt(58) lgkmcnt(1)
	v_mul_f64 v[169:170], v[18:19], v[163:164]
	v_mul_f64 v[163:164], v[20:21], v[163:164]
	s_waitcnt vmcnt(56)
	v_fma_f64 v[35:36], v[1:2], v[29:30], -v[35:36]
	v_fma_f64 v[29:30], v[3:4], v[29:30], v[184:185]
	v_add_f64 v[27:28], v[27:28], v[173:174]
	v_add_f64 v[9:10], v[9:10], v[161:162]
	s_clause 0x4
	buffer_load_dword v162, off, s[0:3], 0 offset:700
	buffer_load_dword v173, off, s[0:3], 0 offset:712
	;; [unrolled: 1-line block ×5, first 2 shown]
	s_waitcnt vmcnt(57) lgkmcnt(0)
	v_mul_f64 v[180:181], v[14:15], v[155:156]
	v_mul_f64 v[155:156], v[16:17], v[155:156]
	ds_read_b128 v[1:4], v24 offset:1200
	s_waitcnt vmcnt(56)
	v_fma_f64 v[163:164], v[18:19], v[182:183], -v[163:164]
	v_add_f64 v[27:28], v[27:28], v[35:36]
	v_fma_f64 v[35:36], v[20:21], v[182:183], v[169:170]
	v_add_f64 v[9:10], v[9:10], v[29:30]
	s_clause 0x2
	buffer_load_dword v174, off, s[0:3], 0 offset:716
	buffer_load_dword v30, off, s[0:3], 0 offset:692
	;; [unrolled: 1-line block ×3, first 2 shown]
	ds_read_b128 v[18:21], v24 offset:1216
	s_waitcnt vmcnt(58) lgkmcnt(1)
	v_mul_f64 v[169:170], v[1:2], v[157:158]
	v_mul_f64 v[157:158], v[3:4], v[157:158]
	s_waitcnt vmcnt(56)
	v_fma_f64 v[155:156], v[14:15], v[31:32], -v[155:156]
	v_fma_f64 v[31:32], v[16:17], v[31:32], v[180:181]
	v_add_f64 v[27:28], v[27:28], v[163:164]
	v_add_f64 v[9:10], v[9:10], v[35:36]
	s_clause 0x4
	buffer_load_dword v36, off, s[0:3], 0 offset:732
	buffer_load_dword v163, off, s[0:3], 0 offset:744
	;; [unrolled: 1-line block ×5, first 2 shown]
	ds_read_b128 v[14:17], v24 offset:1232
	s_waitcnt vmcnt(57) lgkmcnt(1)
	v_mul_f64 v[182:183], v[18:19], v[22:23]
	v_mul_f64 v[22:23], v[20:21], v[22:23]
	s_waitcnt vmcnt(56)
	v_fma_f64 v[157:158], v[1:2], v[177:178], -v[157:158]
	v_add_f64 v[27:28], v[27:28], v[155:156]
	v_fma_f64 v[155:156], v[3:4], v[177:178], v[169:170]
	v_add_f64 v[9:10], v[9:10], v[31:32]
	s_clause 0x2
	buffer_load_dword v164, off, s[0:3], 0 offset:748
	buffer_load_dword v32, off, s[0:3], 0 offset:724
	;; [unrolled: 1-line block ×3, first 2 shown]
	ds_read_b128 v[1:4], v24 offset:1248
	s_waitcnt vmcnt(58) lgkmcnt(1)
	v_mul_f64 v[169:170], v[14:15], v[55:56]
	v_mul_f64 v[55:56], v[16:17], v[55:56]
	s_waitcnt vmcnt(56)
	v_fma_f64 v[22:23], v[18:19], v[41:42], -v[22:23]
	v_fma_f64 v[41:42], v[20:21], v[41:42], v[182:183]
	buffer_load_dword v182, off, s[0:3], 0 offset:740
	ds_read_b128 v[18:21], v24 offset:1264
	v_add_f64 v[27:28], v[27:28], v[157:158]
	v_add_f64 v[9:10], v[9:10], v[155:156]
	s_waitcnt vmcnt(53) lgkmcnt(1)
	v_mul_f64 v[155:156], v[1:2], v[33:34]
	v_mul_f64 v[33:34], v[3:4], v[33:34]
	s_waitcnt vmcnt(52)
	v_fma_f64 v[55:56], v[14:15], v[159:160], -v[55:56]
	v_add_f64 v[22:23], v[27:28], v[22:23]
	v_fma_f64 v[27:28], v[16:17], v[159:160], v[169:170]
	v_add_f64 v[9:10], v[9:10], v[41:42]
	s_waitcnt vmcnt(51) lgkmcnt(0)
	v_mul_f64 v[41:42], v[18:19], v[61:62]
	v_mul_f64 v[61:62], v[20:21], v[61:62]
	ds_read_b128 v[14:17], v24 offset:1280
	s_waitcnt vmcnt(49)
	v_fma_f64 v[33:34], v[1:2], v[47:48], -v[33:34]
	v_fma_f64 v[47:48], v[3:4], v[47:48], v[155:156]
	v_add_f64 v[22:23], v[22:23], v[55:56]
	v_add_f64 v[9:10], v[9:10], v[27:28]
	s_clause 0x3
	buffer_load_dword v27, off, s[0:3], 0 offset:112
	buffer_load_dword v28, off, s[0:3], 0 offset:116
	;; [unrolled: 1-line block ×4, first 2 shown]
	ds_read_b128 v[1:4], v24 offset:1296
	s_waitcnt vmcnt(49) lgkmcnt(1)
	v_mul_f64 v[155:156], v[14:15], v[43:44]
	v_mul_f64 v[43:44], v[16:17], v[43:44]
	s_waitcnt vmcnt(48)
	v_fma_f64 v[61:62], v[18:19], v[63:64], -v[61:62]
	v_add_f64 v[22:23], v[22:23], v[33:34]
	v_fma_f64 v[33:34], v[20:21], v[63:64], v[41:42]
	v_add_f64 v[9:10], v[9:10], v[47:48]
	ds_read_b128 v[18:21], v24 offset:1312
	s_waitcnt vmcnt(47) lgkmcnt(1)
	v_mul_f64 v[47:48], v[3:4], v[73:74]
	v_mul_f64 v[41:42], v[1:2], v[73:74]
	s_waitcnt vmcnt(45)
	v_fma_f64 v[43:44], v[14:15], v[45:46], -v[43:44]
	v_fma_f64 v[45:46], v[16:17], v[45:46], v[155:156]
	ds_read_b128 v[14:17], v24 offset:1328
	v_add_f64 v[22:23], v[22:23], v[61:62]
	v_add_f64 v[9:10], v[9:10], v[33:34]
	s_waitcnt vmcnt(41) lgkmcnt(1)
	v_mul_f64 v[33:34], v[18:19], v[53:54]
	v_mul_f64 v[53:54], v[20:21], v[53:54]
	s_waitcnt vmcnt(40)
	v_fma_f64 v[47:48], v[1:2], v[75:76], -v[47:48]
	v_fma_f64 v[41:42], v[3:4], v[75:76], v[41:42]
	ds_read_b128 v[1:4], v24 offset:1344
	v_add_f64 v[22:23], v[22:23], v[43:44]
	v_add_f64 v[9:10], v[9:10], v[45:46]
	;; [unrolled: 9-line block ×3, first 2 shown]
	s_waitcnt vmcnt(33) lgkmcnt(1)
	v_mul_f64 v[47:48], v[3:4], v[59:60]
	s_waitcnt vmcnt(32)
	v_fma_f64 v[45:46], v[14:15], v[153:154], -v[45:46]
	v_mul_f64 v[41:42], v[1:2], v[59:60]
	v_fma_f64 v[43:44], v[16:17], v[153:154], v[43:44]
	ds_read_b128 v[14:17], v24 offset:1376
	v_add_f64 v[22:23], v[22:23], v[53:54]
	v_add_f64 v[9:10], v[9:10], v[33:34]
	s_waitcnt vmcnt(31) lgkmcnt(1)
	v_mul_f64 v[53:54], v[20:21], v[167:168]
	v_mul_f64 v[33:34], v[18:19], v[167:168]
	s_waitcnt vmcnt(29)
	v_fma_f64 v[47:48], v[1:2], v[65:66], -v[47:48]
	v_fma_f64 v[41:42], v[3:4], v[65:66], v[41:42]
	ds_read_b128 v[1:4], v24 offset:1392
	v_add_f64 v[22:23], v[22:23], v[45:46]
	v_add_f64 v[9:10], v[9:10], v[43:44]
	s_waitcnt vmcnt(25) lgkmcnt(1)
	v_mul_f64 v[45:46], v[16:17], v[67:68]
	s_waitcnt vmcnt(24)
	v_fma_f64 v[53:54], v[18:19], v[171:172], -v[53:54]
	v_mul_f64 v[43:44], v[14:15], v[67:68]
	v_fma_f64 v[33:34], v[20:21], v[171:172], v[33:34]
	ds_read_b128 v[18:21], v24 offset:1408
	v_add_f64 v[22:23], v[22:23], v[47:48]
	v_add_f64 v[9:10], v[9:10], v[41:42]
	s_waitcnt vmcnt(23) lgkmcnt(1)
	v_mul_f64 v[47:48], v[3:4], v[165:166]
	v_mul_f64 v[41:42], v[1:2], v[165:166]
	s_waitcnt vmcnt(21)
	v_fma_f64 v[45:46], v[14:15], v[77:78], -v[45:46]
	v_fma_f64 v[43:44], v[16:17], v[77:78], v[43:44]
	ds_read_b128 v[14:17], v24 offset:1424
	v_add_f64 v[22:23], v[22:23], v[53:54]
	v_add_f64 v[9:10], v[9:10], v[33:34]
	;; [unrolled: 18-line block ×3, first 2 shown]
	s_waitcnt vmcnt(9) lgkmcnt(1)
	v_mul_f64 v[33:34], v[1:2], v[35:36]
	v_mul_f64 v[35:36], v[3:4], v[35:36]
	s_waitcnt vmcnt(8)
	v_fma_f64 v[14:15], v[14:15], v[179:180], -v[45:46]
	v_fma_f64 v[16:17], v[16:17], v[179:180], v[43:44]
	v_add_f64 v[22:23], v[22:23], v[53:54]
	v_add_f64 v[9:10], v[9:10], v[29:30]
	s_waitcnt vmcnt(7) lgkmcnt(0)
	v_mul_f64 v[41:42], v[20:21], v[163:164]
	v_mul_f64 v[29:30], v[18:19], v[163:164]
	s_waitcnt vmcnt(5)
	v_fma_f64 v[1:2], v[1:2], v[31:32], -v[35:36]
	v_fma_f64 v[3:4], v[3:4], v[31:32], v[33:34]
	v_add_f64 v[14:15], v[22:23], v[14:15]
	v_add_f64 v[9:10], v[9:10], v[16:17]
	s_waitcnt vmcnt(4)
	v_fma_f64 v[16:17], v[18:19], v[181:182], -v[41:42]
	v_add_f64 v[1:2], v[14:15], v[1:2]
	v_fma_f64 v[14:15], v[20:21], v[181:182], v[29:30]
	v_add_f64 v[3:4], v[9:10], v[3:4]
	v_add_f64 v[1:2], v[1:2], v[16:17]
	;; [unrolled: 1-line block ×3, first 2 shown]
	s_waitcnt vmcnt(2)
	v_add_f64 v[1:2], v[27:28], -v[1:2]
	s_waitcnt vmcnt(0)
	v_add_f64 v[3:4], v[55:56], -v[3:4]
	buffer_store_dword v2, off, s[0:3], 0 offset:116
	buffer_store_dword v1, off, s[0:3], 0 offset:112
	;; [unrolled: 1-line block ×4, first 2 shown]
	v_cmpx_lt_u32_e32 5, v0
	s_cbranch_execz .LBB45_279
; %bb.278:
	v_mov_b32_e32 v4, s44
	s_clause 0x3
	buffer_load_dword v1, v4, s[0:3], 0 offen
	buffer_load_dword v2, v4, s[0:3], 0 offen offset:4
	buffer_load_dword v3, v4, s[0:3], 0 offen offset:8
	;; [unrolled: 1-line block ×3, first 2 shown]
	buffer_store_dword v24, off, s[0:3], 0 offset:96
	buffer_store_dword v24, off, s[0:3], 0 offset:100
	;; [unrolled: 1-line block ×4, first 2 shown]
	s_waitcnt vmcnt(0)
	ds_write_b128 v11, v[1:4]
.LBB45_279:
	s_or_b32 exec_lo, exec_lo, s4
	s_waitcnt lgkmcnt(0)
	s_waitcnt_vscnt null, 0x0
	s_barrier
	buffer_gl0_inv
	s_clause 0x37
	buffer_load_dword v16, off, s[0:3], 0 offset:120
	buffer_load_dword v17, off, s[0:3], 0 offset:124
	;; [unrolled: 1-line block ×56, first 2 shown]
	ds_read_b128 v[155:158], v24 offset:832
	s_clause 0x2
	buffer_load_dword v80, off, s[0:3], 0 offset:348
	buffer_load_dword v154, off, s[0:3], 0 offset:324
	;; [unrolled: 1-line block ×3, first 2 shown]
	ds_read_b128 v[159:162], v24 offset:848
	s_clause 0x4
	buffer_load_dword v170, off, s[0:3], 0 offset:364
	buffer_load_dword v171, off, s[0:3], 0 offset:376
	;; [unrolled: 1-line block ×5, first 2 shown]
	ds_read_b128 v[163:166], v24 offset:864
	s_mov_b32 s4, exec_lo
	s_waitcnt vmcnt(62) lgkmcnt(2)
	v_mul_f64 v[167:168], v[157:158], v[16:17]
	v_mul_f64 v[16:17], v[155:156], v[16:17]
	s_waitcnt vmcnt(60) lgkmcnt(1)
	v_mul_f64 v[174:175], v[161:162], v[9:10]
	v_mul_f64 v[9:10], v[159:160], v[9:10]
	;; [unrolled: 3-line block ×3, first 2 shown]
	v_fma_f64 v[155:156], v[155:156], v[14:15], -v[167:168]
	v_fma_f64 v[157:158], v[157:158], v[14:15], v[16:17]
	s_clause 0x2
	buffer_load_dword v172, off, s[0:3], 0 offset:380
	buffer_load_dword v168, off, s[0:3], 0 offset:356
	;; [unrolled: 1-line block ×3, first 2 shown]
	s_waitcnt vmcnt(57)
	v_fma_f64 v[159:160], v[159:160], v[1:2], -v[174:175]
	ds_read_b128 v[14:17], v24 offset:880
	v_fma_f64 v[9:10], v[161:162], v[1:2], v[9:10]
	s_clause 0x4
	buffer_load_dword v162, off, s[0:3], 0 offset:396
	buffer_load_dword v175, off, s[0:3], 0 offset:408
	;; [unrolled: 1-line block ×5, first 2 shown]
	s_waitcnt vmcnt(56)
	v_fma_f64 v[163:164], v[163:164], v[35:36], -v[178:179]
	ds_read_b128 v[1:4], v24 offset:896
	v_fma_f64 v[35:36], v[165:166], v[35:36], v[176:177]
	s_clause 0x2
	buffer_load_dword v176, off, s[0:3], 0 offset:412
	buffer_load_dword v166, off, s[0:3], 0 offset:388
	buffer_load_dword v165, off, s[0:3], 0 offset:384
	v_add_f64 v[155:156], v[155:156], 0
	v_add_f64 v[157:158], v[157:158], 0
	s_waitcnt lgkmcnt(1)
	v_mul_f64 v[181:182], v[14:15], v[20:21]
	v_mul_f64 v[20:21], v[16:17], v[20:21]
	s_waitcnt vmcnt(58) lgkmcnt(0)
	v_mul_f64 v[177:178], v[1:2], v[27:28]
	v_mul_f64 v[27:28], v[3:4], v[27:28]
	v_add_f64 v[159:160], v[155:156], v[159:160]
	v_add_f64 v[9:10], v[157:158], v[9:10]
	ds_read_b128 v[155:158], v24 offset:912
	s_waitcnt vmcnt(56)
	v_fma_f64 v[20:21], v[14:15], v[29:30], -v[20:21]
	v_fma_f64 v[29:30], v[16:17], v[29:30], v[181:182]
	s_waitcnt vmcnt(51)
	v_fma_f64 v[27:28], v[1:2], v[18:19], -v[27:28]
	v_fma_f64 v[18:19], v[3:4], v[18:19], v[177:178]
	s_waitcnt lgkmcnt(0)
	v_mul_f64 v[183:184], v[155:156], v[31:32]
	v_add_f64 v[159:160], v[159:160], v[163:164]
	v_add_f64 v[9:10], v[9:10], v[35:36]
	s_clause 0x4
	buffer_load_dword v36, off, s[0:3], 0 offset:428
	buffer_load_dword v163, off, s[0:3], 0 offset:440
	;; [unrolled: 1-line block ×5, first 2 shown]
	v_mul_f64 v[31:32], v[157:158], v[31:32]
	ds_read_b128 v[14:17], v24 offset:928
	v_add_f64 v[20:21], v[159:160], v[20:21]
	v_add_f64 v[9:10], v[9:10], v[29:30]
	s_clause 0x2
	buffer_load_dword v164, off, s[0:3], 0 offset:444
	buffer_load_dword v30, off, s[0:3], 0 offset:420
	;; [unrolled: 1-line block ×3, first 2 shown]
	s_waitcnt vmcnt(58) lgkmcnt(0)
	v_mul_f64 v[159:160], v[14:15], v[41:42]
	v_mul_f64 v[41:42], v[16:17], v[41:42]
	s_waitcnt vmcnt(56)
	v_fma_f64 v[31:32], v[155:156], v[43:44], -v[31:32]
	ds_read_b128 v[1:4], v24 offset:944
	v_fma_f64 v[43:44], v[157:158], v[43:44], v[183:184]
	s_clause 0x4
	buffer_load_dword v156, off, s[0:3], 0 offset:460
	buffer_load_dword v157, off, s[0:3], 0 offset:472
	;; [unrolled: 1-line block ×5, first 2 shown]
	v_add_f64 v[27:28], v[20:21], v[27:28]
	v_add_f64 v[9:10], v[9:10], v[18:19]
	ds_read_b128 v[18:21], v24 offset:960
	s_waitcnt vmcnt(57) lgkmcnt(1)
	v_mul_f64 v[178:179], v[1:2], v[45:46]
	v_mul_f64 v[45:46], v[3:4], v[45:46]
	s_waitcnt vmcnt(56)
	v_fma_f64 v[41:42], v[14:15], v[22:23], -v[41:42]
	v_fma_f64 v[22:23], v[16:17], v[22:23], v[159:160]
	v_add_f64 v[27:28], v[27:28], v[31:32]
	v_add_f64 v[9:10], v[9:10], v[43:44]
	s_clause 0x2
	buffer_load_dword v158, off, s[0:3], 0 offset:476
	buffer_load_dword v32, off, s[0:3], 0 offset:452
	buffer_load_dword v31, off, s[0:3], 0 offset:448
	s_waitcnt vmcnt(58) lgkmcnt(0)
	v_mul_f64 v[43:44], v[18:19], v[53:54]
	v_mul_f64 v[53:54], v[20:21], v[53:54]
	s_waitcnt vmcnt(56)
	v_fma_f64 v[45:46], v[1:2], v[55:56], -v[45:46]
	ds_read_b128 v[14:17], v24 offset:976
	v_add_f64 v[27:28], v[27:28], v[41:42]
	v_fma_f64 v[41:42], v[3:4], v[55:56], v[178:179]
	v_add_f64 v[9:10], v[9:10], v[22:23]
	s_clause 0x4
	buffer_load_dword v23, off, s[0:3], 0 offset:492
	buffer_load_dword v55, off, s[0:3], 0 offset:504
	buffer_load_dword v159, off, s[0:3], 0 offset:496
	buffer_load_dword v22, off, s[0:3], 0 offset:488
	buffer_load_dword v178, off, s[0:3], 0 offset:468
	s_waitcnt vmcnt(57) lgkmcnt(0)
	v_mul_f64 v[184:185], v[14:15], v[57:58]
	v_mul_f64 v[57:58], v[16:17], v[57:58]
	s_waitcnt vmcnt(56)
	v_fma_f64 v[53:54], v[18:19], v[33:34], -v[53:54]
	ds_read_b128 v[1:4], v24 offset:992
	v_fma_f64 v[33:34], v[20:21], v[33:34], v[43:44]
	v_add_f64 v[27:28], v[27:28], v[45:46]
	v_add_f64 v[9:10], v[9:10], v[41:42]
	s_clause 0x2
	buffer_load_dword v56, off, s[0:3], 0 offset:508
	buffer_load_dword v42, off, s[0:3], 0 offset:484
	;; [unrolled: 1-line block ×3, first 2 shown]
	ds_read_b128 v[18:21], v24 offset:1008
	s_waitcnt vmcnt(58) lgkmcnt(1)
	v_mul_f64 v[45:46], v[3:4], v[61:62]
	s_waitcnt vmcnt(56)
	v_fma_f64 v[57:58], v[14:15], v[63:64], -v[57:58]
	v_mul_f64 v[43:44], v[1:2], v[61:62]
	v_add_f64 v[27:28], v[27:28], v[53:54]
	v_fma_f64 v[53:54], v[16:17], v[63:64], v[184:185]
	v_add_f64 v[9:10], v[9:10], v[33:34]
	s_clause 0x4
	buffer_load_dword v34, off, s[0:3], 0 offset:524
	buffer_load_dword v61, off, s[0:3], 0 offset:536
	;; [unrolled: 1-line block ×5, first 2 shown]
	s_waitcnt vmcnt(57) lgkmcnt(0)
	v_mul_f64 v[184:185], v[18:19], v[65:66]
	v_mul_f64 v[64:65], v[20:21], v[65:66]
	s_waitcnt vmcnt(56)
	v_fma_f64 v[45:46], v[1:2], v[47:48], -v[45:46]
	ds_read_b128 v[14:17], v24 offset:1024
	v_fma_f64 v[43:44], v[3:4], v[47:48], v[43:44]
	s_clause 0x2
	buffer_load_dword v62, off, s[0:3], 0 offset:540
	buffer_load_dword v48, off, s[0:3], 0 offset:516
	;; [unrolled: 1-line block ×3, first 2 shown]
	ds_read_b128 v[1:4], v24 offset:1040
	v_add_f64 v[27:28], v[27:28], v[57:58]
	v_add_f64 v[9:10], v[9:10], v[53:54]
	s_waitcnt vmcnt(58) lgkmcnt(1)
	v_mul_f64 v[57:58], v[16:17], v[73:74]
	s_waitcnt vmcnt(56)
	v_fma_f64 v[65:66], v[18:19], v[75:76], -v[64:65]
	v_mul_f64 v[53:54], v[14:15], v[73:74]
	v_add_f64 v[27:28], v[27:28], v[45:46]
	v_fma_f64 v[45:46], v[20:21], v[75:76], v[184:185]
	v_add_f64 v[9:10], v[9:10], v[43:44]
	s_clause 0x4
	buffer_load_dword v44, off, s[0:3], 0 offset:556
	buffer_load_dword v73, off, s[0:3], 0 offset:568
	;; [unrolled: 1-line block ×5, first 2 shown]
	s_waitcnt vmcnt(57) lgkmcnt(0)
	v_mul_f64 v[184:185], v[1:2], v[77:78]
	v_mul_f64 v[76:77], v[3:4], v[77:78]
	s_waitcnt vmcnt(56)
	v_fma_f64 v[57:58], v[14:15], v[59:60], -v[57:58]
	ds_read_b128 v[18:21], v24 offset:1056
	v_fma_f64 v[53:54], v[16:17], v[59:60], v[53:54]
	v_add_f64 v[27:28], v[27:28], v[65:66]
	v_add_f64 v[9:10], v[9:10], v[45:46]
	s_clause 0x2
	buffer_load_dword v74, off, s[0:3], 0 offset:572
	buffer_load_dword v46, off, s[0:3], 0 offset:548
	;; [unrolled: 1-line block ×3, first 2 shown]
	ds_read_b128 v[14:17], v24 offset:1072
	s_waitcnt vmcnt(58) lgkmcnt(1)
	v_mul_f64 v[65:66], v[20:21], v[79:80]
	s_waitcnt vmcnt(56)
	v_fma_f64 v[77:78], v[1:2], v[153:154], -v[76:77]
	v_mul_f64 v[59:60], v[18:19], v[79:80]
	v_add_f64 v[27:28], v[27:28], v[57:58]
	v_fma_f64 v[57:58], v[3:4], v[153:154], v[184:185]
	v_add_f64 v[9:10], v[9:10], v[53:54]
	s_clause 0x4
	buffer_load_dword v54, off, s[0:3], 0 offset:588
	buffer_load_dword v79, off, s[0:3], 0 offset:600
	;; [unrolled: 1-line block ×5, first 2 shown]
	s_waitcnt vmcnt(57) lgkmcnt(0)
	v_mul_f64 v[184:185], v[14:15], v[169:170]
	v_mul_f64 v[169:170], v[16:17], v[169:170]
	s_waitcnt vmcnt(56)
	v_fma_f64 v[65:66], v[18:19], v[67:68], -v[65:66]
	ds_read_b128 v[1:4], v24 offset:1088
	v_fma_f64 v[59:60], v[20:21], v[67:68], v[59:60]
	v_add_f64 v[27:28], v[27:28], v[77:78]
	v_add_f64 v[9:10], v[9:10], v[57:58]
	s_clause 0x2
	buffer_load_dword v80, off, s[0:3], 0 offset:604
	buffer_load_dword v58, off, s[0:3], 0 offset:580
	;; [unrolled: 1-line block ×3, first 2 shown]
	ds_read_b128 v[18:21], v24 offset:1104
	s_waitcnt vmcnt(58) lgkmcnt(1)
	v_mul_f64 v[77:78], v[3:4], v[171:172]
	v_mul_f64 v[67:68], v[1:2], v[171:172]
	s_waitcnt vmcnt(56)
	v_fma_f64 v[169:170], v[14:15], v[167:168], -v[169:170]
	v_add_f64 v[27:28], v[27:28], v[65:66]
	v_fma_f64 v[65:66], v[16:17], v[167:168], v[184:185]
	v_add_f64 v[9:10], v[9:10], v[59:60]
	s_clause 0x4
	buffer_load_dword v60, off, s[0:3], 0 offset:620
	buffer_load_dword v167, off, s[0:3], 0 offset:632
	;; [unrolled: 1-line block ×5, first 2 shown]
	s_waitcnt vmcnt(57) lgkmcnt(0)
	v_mul_f64 v[184:185], v[18:19], v[161:162]
	v_mul_f64 v[161:162], v[20:21], v[161:162]
	ds_read_b128 v[14:17], v24 offset:1120
	s_waitcnt vmcnt(56)
	v_fma_f64 v[77:78], v[1:2], v[173:174], -v[77:78]
	v_fma_f64 v[67:68], v[3:4], v[173:174], v[67:68]
	v_add_f64 v[27:28], v[27:28], v[169:170]
	v_add_f64 v[9:10], v[9:10], v[65:66]
	s_clause 0x2
	buffer_load_dword v168, off, s[0:3], 0 offset:636
	buffer_load_dword v66, off, s[0:3], 0 offset:612
	buffer_load_dword v65, off, s[0:3], 0 offset:608
	s_waitcnt vmcnt(58) lgkmcnt(0)
	v_mul_f64 v[173:174], v[16:17], v[175:176]
	s_waitcnt vmcnt(56)
	v_fma_f64 v[161:162], v[18:19], v[165:166], -v[161:162]
	ds_read_b128 v[1:4], v24 offset:1136
	v_mul_f64 v[169:170], v[14:15], v[175:176]
	v_add_f64 v[27:28], v[27:28], v[77:78]
	v_fma_f64 v[77:78], v[20:21], v[165:166], v[184:185]
	v_add_f64 v[9:10], v[9:10], v[67:68]
	s_clause 0x4
	buffer_load_dword v68, off, s[0:3], 0 offset:652
	buffer_load_dword v165, off, s[0:3], 0 offset:664
	;; [unrolled: 1-line block ×5, first 2 shown]
	ds_read_b128 v[18:21], v24 offset:1152
	s_waitcnt vmcnt(57) lgkmcnt(1)
	v_mul_f64 v[184:185], v[1:2], v[35:36]
	v_mul_f64 v[35:36], v[3:4], v[35:36]
	s_waitcnt vmcnt(56)
	v_fma_f64 v[173:174], v[14:15], v[180:181], -v[173:174]
	v_add_f64 v[27:28], v[27:28], v[161:162]
	v_fma_f64 v[161:162], v[16:17], v[180:181], v[169:170]
	v_add_f64 v[9:10], v[9:10], v[77:78]
	s_clause 0x2
	buffer_load_dword v166, off, s[0:3], 0 offset:668
	buffer_load_dword v78, off, s[0:3], 0 offset:644
	;; [unrolled: 1-line block ×3, first 2 shown]
	ds_read_b128 v[14:17], v24 offset:1168
	s_waitcnt vmcnt(58) lgkmcnt(1)
	v_mul_f64 v[169:170], v[18:19], v[163:164]
	v_mul_f64 v[163:164], v[20:21], v[163:164]
	s_waitcnt vmcnt(56)
	v_fma_f64 v[35:36], v[1:2], v[29:30], -v[35:36]
	v_fma_f64 v[29:30], v[3:4], v[29:30], v[184:185]
	v_add_f64 v[27:28], v[27:28], v[173:174]
	v_add_f64 v[9:10], v[9:10], v[161:162]
	s_clause 0x4
	buffer_load_dword v162, off, s[0:3], 0 offset:684
	buffer_load_dword v173, off, s[0:3], 0 offset:696
	;; [unrolled: 1-line block ×5, first 2 shown]
	s_waitcnt vmcnt(57) lgkmcnt(0)
	v_mul_f64 v[180:181], v[14:15], v[155:156]
	v_mul_f64 v[155:156], v[16:17], v[155:156]
	ds_read_b128 v[1:4], v24 offset:1184
	s_waitcnt vmcnt(56)
	v_fma_f64 v[163:164], v[18:19], v[182:183], -v[163:164]
	v_add_f64 v[27:28], v[27:28], v[35:36]
	v_fma_f64 v[35:36], v[20:21], v[182:183], v[169:170]
	v_add_f64 v[9:10], v[9:10], v[29:30]
	s_clause 0x2
	buffer_load_dword v174, off, s[0:3], 0 offset:700
	buffer_load_dword v30, off, s[0:3], 0 offset:676
	;; [unrolled: 1-line block ×3, first 2 shown]
	ds_read_b128 v[18:21], v24 offset:1200
	s_waitcnt vmcnt(58) lgkmcnt(1)
	v_mul_f64 v[169:170], v[1:2], v[157:158]
	v_mul_f64 v[157:158], v[3:4], v[157:158]
	s_waitcnt vmcnt(56)
	v_fma_f64 v[155:156], v[14:15], v[31:32], -v[155:156]
	v_fma_f64 v[31:32], v[16:17], v[31:32], v[180:181]
	v_add_f64 v[27:28], v[27:28], v[163:164]
	v_add_f64 v[9:10], v[9:10], v[35:36]
	s_clause 0x4
	buffer_load_dword v36, off, s[0:3], 0 offset:716
	buffer_load_dword v163, off, s[0:3], 0 offset:728
	;; [unrolled: 1-line block ×5, first 2 shown]
	ds_read_b128 v[14:17], v24 offset:1216
	s_waitcnt vmcnt(57) lgkmcnt(1)
	v_mul_f64 v[182:183], v[18:19], v[22:23]
	v_mul_f64 v[22:23], v[20:21], v[22:23]
	s_waitcnt vmcnt(56)
	v_fma_f64 v[157:158], v[1:2], v[177:178], -v[157:158]
	v_add_f64 v[27:28], v[27:28], v[155:156]
	v_fma_f64 v[155:156], v[3:4], v[177:178], v[169:170]
	v_add_f64 v[9:10], v[9:10], v[31:32]
	s_clause 0x2
	buffer_load_dword v164, off, s[0:3], 0 offset:732
	buffer_load_dword v32, off, s[0:3], 0 offset:708
	;; [unrolled: 1-line block ×3, first 2 shown]
	ds_read_b128 v[1:4], v24 offset:1232
	s_waitcnt vmcnt(58) lgkmcnt(1)
	v_mul_f64 v[169:170], v[14:15], v[55:56]
	v_mul_f64 v[55:56], v[16:17], v[55:56]
	s_waitcnt vmcnt(56)
	v_fma_f64 v[22:23], v[18:19], v[41:42], -v[22:23]
	v_fma_f64 v[41:42], v[20:21], v[41:42], v[182:183]
	v_add_f64 v[27:28], v[27:28], v[157:158]
	v_add_f64 v[9:10], v[9:10], v[155:156]
	s_clause 0x2
	buffer_load_dword v156, off, s[0:3], 0 offset:748
	buffer_load_dword v155, off, s[0:3], 0 offset:744
	;; [unrolled: 1-line block ×3, first 2 shown]
	ds_read_b128 v[18:21], v24 offset:1248
	s_waitcnt vmcnt(55) lgkmcnt(1)
	v_mul_f64 v[157:158], v[1:2], v[33:34]
	v_mul_f64 v[33:34], v[3:4], v[33:34]
	s_waitcnt vmcnt(54)
	v_fma_f64 v[55:56], v[14:15], v[159:160], -v[55:56]
	v_add_f64 v[22:23], v[27:28], v[22:23]
	v_fma_f64 v[27:28], v[16:17], v[159:160], v[169:170]
	v_add_f64 v[9:10], v[9:10], v[41:42]
	s_clause 0x1
	buffer_load_dword v42, off, s[0:3], 0 offset:740
	buffer_load_dword v41, off, s[0:3], 0 offset:736
	s_waitcnt vmcnt(55) lgkmcnt(0)
	v_mul_f64 v[159:160], v[18:19], v[61:62]
	v_mul_f64 v[61:62], v[20:21], v[61:62]
	ds_read_b128 v[14:17], v24 offset:1264
	s_waitcnt vmcnt(53)
	v_fma_f64 v[33:34], v[1:2], v[47:48], -v[33:34]
	v_fma_f64 v[47:48], v[3:4], v[47:48], v[157:158]
	ds_read_b128 v[1:4], v24 offset:1280
	v_add_f64 v[22:23], v[22:23], v[55:56]
	v_add_f64 v[9:10], v[9:10], v[27:28]
	s_waitcnt vmcnt(49) lgkmcnt(1)
	v_mul_f64 v[27:28], v[14:15], v[43:44]
	v_mul_f64 v[43:44], v[16:17], v[43:44]
	s_waitcnt vmcnt(48)
	v_fma_f64 v[55:56], v[18:19], v[63:64], -v[61:62]
	v_add_f64 v[22:23], v[22:23], v[33:34]
	v_fma_f64 v[33:34], v[20:21], v[63:64], v[159:160]
	v_add_f64 v[9:10], v[9:10], v[47:48]
	s_clause 0x3
	buffer_load_dword v47, off, s[0:3], 0 offset:96
	buffer_load_dword v48, off, s[0:3], 0 offset:100
	;; [unrolled: 1-line block ×4, first 2 shown]
	ds_read_b128 v[18:21], v24 offset:1296
	s_waitcnt vmcnt(51) lgkmcnt(1)
	v_mul_f64 v[63:64], v[1:2], v[73:74]
	v_mul_f64 v[73:74], v[3:4], v[73:74]
	s_waitcnt vmcnt(49)
	v_fma_f64 v[43:44], v[14:15], v[45:46], -v[43:44]
	v_fma_f64 v[27:28], v[16:17], v[45:46], v[27:28]
	ds_read_b128 v[14:17], v24 offset:1312
	v_add_f64 v[22:23], v[22:23], v[55:56]
	v_add_f64 v[9:10], v[9:10], v[33:34]
	s_waitcnt vmcnt(45) lgkmcnt(1)
	v_mul_f64 v[33:34], v[18:19], v[53:54]
	v_mul_f64 v[45:46], v[20:21], v[53:54]
	s_waitcnt vmcnt(44)
	v_fma_f64 v[53:54], v[1:2], v[75:76], -v[73:74]
	v_add_f64 v[22:23], v[22:23], v[43:44]
	v_fma_f64 v[43:44], v[3:4], v[75:76], v[63:64]
	v_add_f64 v[9:10], v[9:10], v[27:28]
	ds_read_b128 v[1:4], v24 offset:1328
	s_waitcnt vmcnt(43) lgkmcnt(1)
	v_mul_f64 v[55:56], v[16:17], v[79:80]
	v_mul_f64 v[27:28], v[14:15], v[79:80]
	s_waitcnt vmcnt(41)
	v_fma_f64 v[45:46], v[18:19], v[57:58], -v[45:46]
	v_fma_f64 v[33:34], v[20:21], v[57:58], v[33:34]
	ds_read_b128 v[18:21], v24 offset:1344
	v_add_f64 v[22:23], v[22:23], v[53:54]
	v_add_f64 v[9:10], v[9:10], v[43:44]
	s_waitcnt vmcnt(37) lgkmcnt(1)
	v_mul_f64 v[53:54], v[3:4], v[59:60]
	s_waitcnt vmcnt(36)
	v_fma_f64 v[55:56], v[14:15], v[153:154], -v[55:56]
	v_mul_f64 v[43:44], v[1:2], v[59:60]
	v_fma_f64 v[27:28], v[16:17], v[153:154], v[27:28]
	ds_read_b128 v[14:17], v24 offset:1360
	v_add_f64 v[22:23], v[22:23], v[45:46]
	v_add_f64 v[9:10], v[9:10], v[33:34]
	s_waitcnt vmcnt(35) lgkmcnt(1)
	v_mul_f64 v[45:46], v[20:21], v[167:168]
	v_mul_f64 v[33:34], v[18:19], v[167:168]
	s_waitcnt vmcnt(33)
	v_fma_f64 v[53:54], v[1:2], v[65:66], -v[53:54]
	v_fma_f64 v[43:44], v[3:4], v[65:66], v[43:44]
	ds_read_b128 v[1:4], v24 offset:1376
	v_add_f64 v[22:23], v[22:23], v[55:56]
	v_add_f64 v[9:10], v[9:10], v[27:28]
	s_waitcnt vmcnt(29) lgkmcnt(1)
	v_mul_f64 v[55:56], v[16:17], v[67:68]
	s_waitcnt vmcnt(28)
	v_fma_f64 v[45:46], v[18:19], v[171:172], -v[45:46]
	v_mul_f64 v[27:28], v[14:15], v[67:68]
	v_fma_f64 v[33:34], v[20:21], v[171:172], v[33:34]
	ds_read_b128 v[18:21], v24 offset:1392
	v_add_f64 v[22:23], v[22:23], v[53:54]
	v_add_f64 v[9:10], v[9:10], v[43:44]
	;; [unrolled: 18-line block ×3, first 2 shown]
	s_waitcnt vmcnt(19) lgkmcnt(1)
	v_mul_f64 v[55:56], v[16:17], v[173:174]
	v_mul_f64 v[27:28], v[14:15], v[173:174]
	s_waitcnt vmcnt(17)
	v_fma_f64 v[45:46], v[18:19], v[29:30], -v[45:46]
	v_fma_f64 v[29:30], v[20:21], v[29:30], v[33:34]
	ds_read_b128 v[18:21], v24 offset:1440
	v_add_f64 v[22:23], v[22:23], v[53:54]
	v_add_f64 v[9:10], v[9:10], v[43:44]
	s_waitcnt vmcnt(13) lgkmcnt(1)
	v_mul_f64 v[33:34], v[1:2], v[35:36]
	v_mul_f64 v[35:36], v[3:4], v[35:36]
	s_waitcnt vmcnt(12)
	v_fma_f64 v[43:44], v[14:15], v[179:180], -v[55:56]
	v_fma_f64 v[27:28], v[16:17], v[179:180], v[27:28]
	ds_read_b128 v[14:17], v24 offset:1456
	v_add_f64 v[22:23], v[22:23], v[45:46]
	v_add_f64 v[9:10], v[9:10], v[29:30]
	s_waitcnt vmcnt(11) lgkmcnt(1)
	v_mul_f64 v[45:46], v[20:21], v[163:164]
	v_mul_f64 v[29:30], v[18:19], v[163:164]
	s_waitcnt vmcnt(9)
	v_fma_f64 v[1:2], v[1:2], v[31:32], -v[35:36]
	v_fma_f64 v[3:4], v[3:4], v[31:32], v[33:34]
	v_add_f64 v[22:23], v[22:23], v[43:44]
	v_add_f64 v[9:10], v[9:10], v[27:28]
	s_waitcnt vmcnt(7) lgkmcnt(0)
	v_mul_f64 v[31:32], v[16:17], v[155:156]
	s_waitcnt vmcnt(6)
	v_fma_f64 v[18:19], v[18:19], v[181:182], -v[45:46]
	v_mul_f64 v[27:28], v[14:15], v[155:156]
	v_fma_f64 v[20:21], v[20:21], v[181:182], v[29:30]
	v_add_f64 v[1:2], v[22:23], v[1:2]
	v_add_f64 v[3:4], v[9:10], v[3:4]
	s_waitcnt vmcnt(4)
	v_fma_f64 v[9:10], v[14:15], v[41:42], -v[31:32]
	v_fma_f64 v[14:15], v[16:17], v[41:42], v[27:28]
	v_add_f64 v[1:2], v[1:2], v[18:19]
	v_add_f64 v[3:4], v[3:4], v[20:21]
	;; [unrolled: 1-line block ×4, first 2 shown]
	s_waitcnt vmcnt(2)
	v_add_f64 v[1:2], v[47:48], -v[1:2]
	s_waitcnt vmcnt(0)
	v_add_f64 v[3:4], v[61:62], -v[3:4]
	buffer_store_dword v2, off, s[0:3], 0 offset:100
	buffer_store_dword v1, off, s[0:3], 0 offset:96
	;; [unrolled: 1-line block ×4, first 2 shown]
	v_cmpx_lt_u32_e32 4, v0
	s_cbranch_execz .LBB45_281
; %bb.280:
	v_mov_b32_e32 v4, s47
	v_mov_b32_e32 v9, 0
	s_clause 0x3
	buffer_load_dword v1, v4, s[0:3], 0 offen
	buffer_load_dword v2, v4, s[0:3], 0 offen offset:4
	buffer_load_dword v3, v4, s[0:3], 0 offen offset:8
	;; [unrolled: 1-line block ×3, first 2 shown]
	buffer_store_dword v9, off, s[0:3], 0 offset:80
	buffer_store_dword v9, off, s[0:3], 0 offset:84
	;; [unrolled: 1-line block ×4, first 2 shown]
	s_waitcnt vmcnt(0)
	ds_write_b128 v11, v[1:4]
.LBB45_281:
	s_or_b32 exec_lo, exec_lo, s4
	s_waitcnt lgkmcnt(0)
	s_waitcnt_vscnt null, 0x0
	s_barrier
	buffer_gl0_inv
	s_clause 0x37
	buffer_load_dword v16, off, s[0:3], 0 offset:104
	buffer_load_dword v17, off, s[0:3], 0 offset:108
	;; [unrolled: 1-line block ×56, first 2 shown]
	v_mov_b32_e32 v24, 0
	s_mov_b32 s4, exec_lo
	ds_read_b128 v[155:158], v24 offset:816
	s_clause 0x2
	buffer_load_dword v80, off, s[0:3], 0 offset:332
	buffer_load_dword v154, off, s[0:3], 0 offset:308
	buffer_load_dword v153, off, s[0:3], 0 offset:304
	ds_read_b128 v[159:162], v24 offset:832
	s_clause 0x4
	buffer_load_dword v170, off, s[0:3], 0 offset:348
	buffer_load_dword v171, off, s[0:3], 0 offset:360
	;; [unrolled: 1-line block ×5, first 2 shown]
	ds_read_b128 v[163:166], v24 offset:848
	s_waitcnt vmcnt(62) lgkmcnt(2)
	v_mul_f64 v[167:168], v[157:158], v[16:17]
	v_mul_f64 v[16:17], v[155:156], v[16:17]
	s_waitcnt vmcnt(60) lgkmcnt(1)
	v_mul_f64 v[174:175], v[161:162], v[9:10]
	v_mul_f64 v[9:10], v[159:160], v[9:10]
	s_waitcnt vmcnt(56) lgkmcnt(0)
	v_mul_f64 v[178:179], v[165:166], v[3:4]
	v_mul_f64 v[176:177], v[163:164], v[3:4]
	v_fma_f64 v[155:156], v[155:156], v[14:15], -v[167:168]
	v_fma_f64 v[157:158], v[157:158], v[14:15], v[16:17]
	s_clause 0x2
	buffer_load_dword v172, off, s[0:3], 0 offset:364
	buffer_load_dword v168, off, s[0:3], 0 offset:340
	;; [unrolled: 1-line block ×3, first 2 shown]
	s_waitcnt vmcnt(57)
	v_fma_f64 v[159:160], v[159:160], v[1:2], -v[174:175]
	ds_read_b128 v[14:17], v24 offset:864
	v_fma_f64 v[9:10], v[161:162], v[1:2], v[9:10]
	s_clause 0x4
	buffer_load_dword v162, off, s[0:3], 0 offset:380
	buffer_load_dword v175, off, s[0:3], 0 offset:392
	;; [unrolled: 1-line block ×5, first 2 shown]
	s_waitcnt vmcnt(56)
	v_fma_f64 v[163:164], v[163:164], v[35:36], -v[178:179]
	ds_read_b128 v[1:4], v24 offset:880
	v_fma_f64 v[35:36], v[165:166], v[35:36], v[176:177]
	s_clause 0x2
	buffer_load_dword v176, off, s[0:3], 0 offset:396
	buffer_load_dword v166, off, s[0:3], 0 offset:372
	;; [unrolled: 1-line block ×3, first 2 shown]
	v_add_f64 v[155:156], v[155:156], 0
	v_add_f64 v[157:158], v[157:158], 0
	s_waitcnt lgkmcnt(1)
	v_mul_f64 v[181:182], v[14:15], v[20:21]
	v_mul_f64 v[20:21], v[16:17], v[20:21]
	s_waitcnt vmcnt(58) lgkmcnt(0)
	v_mul_f64 v[177:178], v[1:2], v[27:28]
	v_mul_f64 v[27:28], v[3:4], v[27:28]
	v_add_f64 v[159:160], v[155:156], v[159:160]
	v_add_f64 v[9:10], v[157:158], v[9:10]
	ds_read_b128 v[155:158], v24 offset:896
	s_waitcnt vmcnt(56)
	v_fma_f64 v[20:21], v[14:15], v[29:30], -v[20:21]
	v_fma_f64 v[29:30], v[16:17], v[29:30], v[181:182]
	s_waitcnt vmcnt(51)
	v_fma_f64 v[27:28], v[1:2], v[18:19], -v[27:28]
	v_fma_f64 v[18:19], v[3:4], v[18:19], v[177:178]
	s_waitcnt lgkmcnt(0)
	v_mul_f64 v[183:184], v[155:156], v[31:32]
	v_add_f64 v[159:160], v[159:160], v[163:164]
	v_add_f64 v[9:10], v[9:10], v[35:36]
	s_clause 0x4
	buffer_load_dword v36, off, s[0:3], 0 offset:412
	buffer_load_dword v163, off, s[0:3], 0 offset:424
	buffer_load_dword v182, off, s[0:3], 0 offset:416
	buffer_load_dword v35, off, s[0:3], 0 offset:408
	buffer_load_dword v181, off, s[0:3], 0 offset:388
	v_mul_f64 v[31:32], v[157:158], v[31:32]
	ds_read_b128 v[14:17], v24 offset:912
	v_add_f64 v[20:21], v[159:160], v[20:21]
	v_add_f64 v[9:10], v[9:10], v[29:30]
	s_clause 0x2
	buffer_load_dword v164, off, s[0:3], 0 offset:428
	buffer_load_dword v30, off, s[0:3], 0 offset:404
	;; [unrolled: 1-line block ×3, first 2 shown]
	s_waitcnt vmcnt(58) lgkmcnt(0)
	v_mul_f64 v[159:160], v[14:15], v[41:42]
	v_mul_f64 v[41:42], v[16:17], v[41:42]
	s_waitcnt vmcnt(56)
	v_fma_f64 v[31:32], v[155:156], v[43:44], -v[31:32]
	ds_read_b128 v[1:4], v24 offset:928
	v_fma_f64 v[43:44], v[157:158], v[43:44], v[183:184]
	s_clause 0x4
	buffer_load_dword v156, off, s[0:3], 0 offset:444
	buffer_load_dword v157, off, s[0:3], 0 offset:456
	;; [unrolled: 1-line block ×5, first 2 shown]
	v_add_f64 v[27:28], v[20:21], v[27:28]
	v_add_f64 v[9:10], v[9:10], v[18:19]
	ds_read_b128 v[18:21], v24 offset:944
	s_waitcnt vmcnt(57) lgkmcnt(1)
	v_mul_f64 v[178:179], v[1:2], v[45:46]
	v_mul_f64 v[45:46], v[3:4], v[45:46]
	s_waitcnt vmcnt(56)
	v_fma_f64 v[41:42], v[14:15], v[22:23], -v[41:42]
	v_fma_f64 v[22:23], v[16:17], v[22:23], v[159:160]
	v_add_f64 v[27:28], v[27:28], v[31:32]
	v_add_f64 v[9:10], v[9:10], v[43:44]
	s_clause 0x2
	buffer_load_dword v158, off, s[0:3], 0 offset:460
	buffer_load_dword v32, off, s[0:3], 0 offset:436
	;; [unrolled: 1-line block ×3, first 2 shown]
	s_waitcnt vmcnt(58) lgkmcnt(0)
	v_mul_f64 v[43:44], v[18:19], v[53:54]
	v_mul_f64 v[53:54], v[20:21], v[53:54]
	s_waitcnt vmcnt(56)
	v_fma_f64 v[45:46], v[1:2], v[55:56], -v[45:46]
	ds_read_b128 v[14:17], v24 offset:960
	v_add_f64 v[27:28], v[27:28], v[41:42]
	v_fma_f64 v[41:42], v[3:4], v[55:56], v[178:179]
	v_add_f64 v[9:10], v[9:10], v[22:23]
	s_clause 0x4
	buffer_load_dword v23, off, s[0:3], 0 offset:476
	buffer_load_dword v55, off, s[0:3], 0 offset:488
	;; [unrolled: 1-line block ×5, first 2 shown]
	s_waitcnt vmcnt(57) lgkmcnt(0)
	v_mul_f64 v[184:185], v[14:15], v[57:58]
	v_mul_f64 v[57:58], v[16:17], v[57:58]
	s_waitcnt vmcnt(56)
	v_fma_f64 v[53:54], v[18:19], v[33:34], -v[53:54]
	ds_read_b128 v[1:4], v24 offset:976
	v_fma_f64 v[33:34], v[20:21], v[33:34], v[43:44]
	v_add_f64 v[27:28], v[27:28], v[45:46]
	v_add_f64 v[9:10], v[9:10], v[41:42]
	s_clause 0x2
	buffer_load_dword v56, off, s[0:3], 0 offset:492
	buffer_load_dword v42, off, s[0:3], 0 offset:468
	;; [unrolled: 1-line block ×3, first 2 shown]
	ds_read_b128 v[18:21], v24 offset:992
	s_waitcnt vmcnt(58) lgkmcnt(1)
	v_mul_f64 v[45:46], v[3:4], v[61:62]
	s_waitcnt vmcnt(56)
	v_fma_f64 v[57:58], v[14:15], v[63:64], -v[57:58]
	v_mul_f64 v[43:44], v[1:2], v[61:62]
	v_add_f64 v[27:28], v[27:28], v[53:54]
	v_fma_f64 v[53:54], v[16:17], v[63:64], v[184:185]
	v_add_f64 v[9:10], v[9:10], v[33:34]
	s_clause 0x4
	buffer_load_dword v34, off, s[0:3], 0 offset:508
	buffer_load_dword v61, off, s[0:3], 0 offset:520
	;; [unrolled: 1-line block ×5, first 2 shown]
	s_waitcnt vmcnt(57) lgkmcnt(0)
	v_mul_f64 v[184:185], v[18:19], v[65:66]
	v_mul_f64 v[64:65], v[20:21], v[65:66]
	s_waitcnt vmcnt(56)
	v_fma_f64 v[45:46], v[1:2], v[47:48], -v[45:46]
	ds_read_b128 v[14:17], v24 offset:1008
	v_fma_f64 v[43:44], v[3:4], v[47:48], v[43:44]
	s_clause 0x2
	buffer_load_dword v62, off, s[0:3], 0 offset:524
	buffer_load_dword v48, off, s[0:3], 0 offset:500
	;; [unrolled: 1-line block ×3, first 2 shown]
	ds_read_b128 v[1:4], v24 offset:1024
	v_add_f64 v[27:28], v[27:28], v[57:58]
	v_add_f64 v[9:10], v[9:10], v[53:54]
	s_waitcnt vmcnt(58) lgkmcnt(1)
	v_mul_f64 v[57:58], v[16:17], v[73:74]
	s_waitcnt vmcnt(56)
	v_fma_f64 v[65:66], v[18:19], v[75:76], -v[64:65]
	v_mul_f64 v[53:54], v[14:15], v[73:74]
	v_add_f64 v[27:28], v[27:28], v[45:46]
	v_fma_f64 v[45:46], v[20:21], v[75:76], v[184:185]
	v_add_f64 v[9:10], v[9:10], v[43:44]
	s_clause 0x4
	buffer_load_dword v44, off, s[0:3], 0 offset:540
	buffer_load_dword v73, off, s[0:3], 0 offset:552
	;; [unrolled: 1-line block ×5, first 2 shown]
	s_waitcnt vmcnt(57) lgkmcnt(0)
	v_mul_f64 v[184:185], v[1:2], v[77:78]
	v_mul_f64 v[76:77], v[3:4], v[77:78]
	s_waitcnt vmcnt(56)
	v_fma_f64 v[57:58], v[14:15], v[59:60], -v[57:58]
	ds_read_b128 v[18:21], v24 offset:1040
	v_fma_f64 v[53:54], v[16:17], v[59:60], v[53:54]
	v_add_f64 v[27:28], v[27:28], v[65:66]
	v_add_f64 v[9:10], v[9:10], v[45:46]
	s_clause 0x2
	buffer_load_dword v74, off, s[0:3], 0 offset:556
	buffer_load_dword v46, off, s[0:3], 0 offset:532
	;; [unrolled: 1-line block ×3, first 2 shown]
	ds_read_b128 v[14:17], v24 offset:1056
	s_waitcnt vmcnt(58) lgkmcnt(1)
	v_mul_f64 v[65:66], v[20:21], v[79:80]
	s_waitcnt vmcnt(56)
	v_fma_f64 v[77:78], v[1:2], v[153:154], -v[76:77]
	v_mul_f64 v[59:60], v[18:19], v[79:80]
	v_add_f64 v[27:28], v[27:28], v[57:58]
	v_fma_f64 v[57:58], v[3:4], v[153:154], v[184:185]
	v_add_f64 v[9:10], v[9:10], v[53:54]
	s_clause 0x4
	buffer_load_dword v54, off, s[0:3], 0 offset:572
	buffer_load_dword v79, off, s[0:3], 0 offset:584
	buffer_load_dword v153, off, s[0:3], 0 offset:576
	buffer_load_dword v53, off, s[0:3], 0 offset:568
	buffer_load_dword v76, off, s[0:3], 0 offset:548
	s_waitcnt vmcnt(57) lgkmcnt(0)
	v_mul_f64 v[184:185], v[14:15], v[169:170]
	v_mul_f64 v[169:170], v[16:17], v[169:170]
	s_waitcnt vmcnt(56)
	v_fma_f64 v[65:66], v[18:19], v[67:68], -v[65:66]
	ds_read_b128 v[1:4], v24 offset:1072
	v_fma_f64 v[59:60], v[20:21], v[67:68], v[59:60]
	v_add_f64 v[27:28], v[27:28], v[77:78]
	v_add_f64 v[9:10], v[9:10], v[57:58]
	s_clause 0x2
	buffer_load_dword v80, off, s[0:3], 0 offset:588
	buffer_load_dword v58, off, s[0:3], 0 offset:564
	;; [unrolled: 1-line block ×3, first 2 shown]
	ds_read_b128 v[18:21], v24 offset:1088
	s_waitcnt vmcnt(58) lgkmcnt(1)
	v_mul_f64 v[77:78], v[3:4], v[171:172]
	v_mul_f64 v[67:68], v[1:2], v[171:172]
	s_waitcnt vmcnt(56)
	v_fma_f64 v[169:170], v[14:15], v[167:168], -v[169:170]
	v_add_f64 v[27:28], v[27:28], v[65:66]
	v_fma_f64 v[65:66], v[16:17], v[167:168], v[184:185]
	v_add_f64 v[9:10], v[9:10], v[59:60]
	s_clause 0x4
	buffer_load_dword v60, off, s[0:3], 0 offset:604
	buffer_load_dword v167, off, s[0:3], 0 offset:616
	;; [unrolled: 1-line block ×5, first 2 shown]
	s_waitcnt vmcnt(57) lgkmcnt(0)
	v_mul_f64 v[184:185], v[18:19], v[161:162]
	v_mul_f64 v[161:162], v[20:21], v[161:162]
	ds_read_b128 v[14:17], v24 offset:1104
	s_waitcnt vmcnt(56)
	v_fma_f64 v[77:78], v[1:2], v[173:174], -v[77:78]
	v_fma_f64 v[67:68], v[3:4], v[173:174], v[67:68]
	v_add_f64 v[27:28], v[27:28], v[169:170]
	v_add_f64 v[9:10], v[9:10], v[65:66]
	s_clause 0x2
	buffer_load_dword v168, off, s[0:3], 0 offset:620
	buffer_load_dword v66, off, s[0:3], 0 offset:596
	;; [unrolled: 1-line block ×3, first 2 shown]
	s_waitcnt vmcnt(58) lgkmcnt(0)
	v_mul_f64 v[173:174], v[16:17], v[175:176]
	s_waitcnt vmcnt(56)
	v_fma_f64 v[161:162], v[18:19], v[165:166], -v[161:162]
	ds_read_b128 v[1:4], v24 offset:1120
	v_mul_f64 v[169:170], v[14:15], v[175:176]
	v_add_f64 v[27:28], v[27:28], v[77:78]
	v_fma_f64 v[77:78], v[20:21], v[165:166], v[184:185]
	v_add_f64 v[9:10], v[9:10], v[67:68]
	s_clause 0x4
	buffer_load_dword v68, off, s[0:3], 0 offset:636
	buffer_load_dword v165, off, s[0:3], 0 offset:648
	;; [unrolled: 1-line block ×5, first 2 shown]
	ds_read_b128 v[18:21], v24 offset:1136
	s_waitcnt vmcnt(57) lgkmcnt(1)
	v_mul_f64 v[184:185], v[1:2], v[35:36]
	v_mul_f64 v[35:36], v[3:4], v[35:36]
	s_waitcnt vmcnt(56)
	v_fma_f64 v[173:174], v[14:15], v[180:181], -v[173:174]
	v_add_f64 v[27:28], v[27:28], v[161:162]
	v_fma_f64 v[161:162], v[16:17], v[180:181], v[169:170]
	v_add_f64 v[9:10], v[9:10], v[77:78]
	s_clause 0x2
	buffer_load_dword v166, off, s[0:3], 0 offset:652
	buffer_load_dword v78, off, s[0:3], 0 offset:628
	;; [unrolled: 1-line block ×3, first 2 shown]
	ds_read_b128 v[14:17], v24 offset:1152
	s_waitcnt vmcnt(58) lgkmcnt(1)
	v_mul_f64 v[169:170], v[18:19], v[163:164]
	v_mul_f64 v[163:164], v[20:21], v[163:164]
	s_waitcnt vmcnt(56)
	v_fma_f64 v[35:36], v[1:2], v[29:30], -v[35:36]
	v_fma_f64 v[29:30], v[3:4], v[29:30], v[184:185]
	v_add_f64 v[27:28], v[27:28], v[173:174]
	v_add_f64 v[9:10], v[9:10], v[161:162]
	s_clause 0x4
	buffer_load_dword v162, off, s[0:3], 0 offset:668
	buffer_load_dword v173, off, s[0:3], 0 offset:680
	;; [unrolled: 1-line block ×5, first 2 shown]
	s_waitcnt vmcnt(57) lgkmcnt(0)
	v_mul_f64 v[180:181], v[14:15], v[155:156]
	v_mul_f64 v[155:156], v[16:17], v[155:156]
	ds_read_b128 v[1:4], v24 offset:1168
	s_waitcnt vmcnt(56)
	v_fma_f64 v[163:164], v[18:19], v[182:183], -v[163:164]
	v_add_f64 v[27:28], v[27:28], v[35:36]
	v_fma_f64 v[35:36], v[20:21], v[182:183], v[169:170]
	v_add_f64 v[9:10], v[9:10], v[29:30]
	s_clause 0x2
	buffer_load_dword v174, off, s[0:3], 0 offset:684
	buffer_load_dword v30, off, s[0:3], 0 offset:660
	;; [unrolled: 1-line block ×3, first 2 shown]
	ds_read_b128 v[18:21], v24 offset:1184
	s_waitcnt vmcnt(58) lgkmcnt(1)
	v_mul_f64 v[169:170], v[1:2], v[157:158]
	v_mul_f64 v[157:158], v[3:4], v[157:158]
	s_waitcnt vmcnt(56)
	v_fma_f64 v[155:156], v[14:15], v[31:32], -v[155:156]
	v_fma_f64 v[31:32], v[16:17], v[31:32], v[180:181]
	v_add_f64 v[27:28], v[27:28], v[163:164]
	v_add_f64 v[9:10], v[9:10], v[35:36]
	s_clause 0x4
	buffer_load_dword v36, off, s[0:3], 0 offset:700
	buffer_load_dword v163, off, s[0:3], 0 offset:712
	buffer_load_dword v181, off, s[0:3], 0 offset:704
	buffer_load_dword v35, off, s[0:3], 0 offset:696
	buffer_load_dword v180, off, s[0:3], 0 offset:676
	ds_read_b128 v[14:17], v24 offset:1200
	s_waitcnt vmcnt(57) lgkmcnt(1)
	v_mul_f64 v[182:183], v[18:19], v[22:23]
	v_mul_f64 v[22:23], v[20:21], v[22:23]
	s_waitcnt vmcnt(56)
	v_fma_f64 v[157:158], v[1:2], v[177:178], -v[157:158]
	v_add_f64 v[27:28], v[27:28], v[155:156]
	v_fma_f64 v[155:156], v[3:4], v[177:178], v[169:170]
	v_add_f64 v[9:10], v[9:10], v[31:32]
	s_clause 0x2
	buffer_load_dword v164, off, s[0:3], 0 offset:716
	buffer_load_dword v32, off, s[0:3], 0 offset:692
	;; [unrolled: 1-line block ×3, first 2 shown]
	ds_read_b128 v[1:4], v24 offset:1216
	s_waitcnt vmcnt(58) lgkmcnt(1)
	v_mul_f64 v[169:170], v[14:15], v[55:56]
	v_mul_f64 v[55:56], v[16:17], v[55:56]
	s_waitcnt vmcnt(56)
	v_fma_f64 v[22:23], v[18:19], v[41:42], -v[22:23]
	v_fma_f64 v[41:42], v[20:21], v[41:42], v[182:183]
	v_add_f64 v[27:28], v[27:28], v[157:158]
	v_add_f64 v[9:10], v[9:10], v[155:156]
	s_clause 0x4
	buffer_load_dword v156, off, s[0:3], 0 offset:732
	buffer_load_dword v157, off, s[0:3], 0 offset:744
	;; [unrolled: 1-line block ×5, first 2 shown]
	ds_read_b128 v[18:21], v24 offset:1232
	s_waitcnt vmcnt(57) lgkmcnt(1)
	v_mul_f64 v[183:184], v[1:2], v[33:34]
	v_mul_f64 v[33:34], v[3:4], v[33:34]
	s_waitcnt vmcnt(56)
	v_fma_f64 v[55:56], v[14:15], v[159:160], -v[55:56]
	v_add_f64 v[22:23], v[27:28], v[22:23]
	v_fma_f64 v[27:28], v[16:17], v[159:160], v[169:170]
	v_add_f64 v[9:10], v[9:10], v[41:42]
	s_clause 0x2
	buffer_load_dword v158, off, s[0:3], 0 offset:748
	buffer_load_dword v42, off, s[0:3], 0 offset:724
	;; [unrolled: 1-line block ×3, first 2 shown]
	s_waitcnt vmcnt(58) lgkmcnt(0)
	v_mul_f64 v[159:160], v[18:19], v[61:62]
	v_mul_f64 v[61:62], v[20:21], v[61:62]
	ds_read_b128 v[14:17], v24 offset:1248
	buffer_load_dword v178, off, s[0:3], 0 offset:740
	s_waitcnt vmcnt(57)
	v_fma_f64 v[33:34], v[1:2], v[47:48], -v[33:34]
	v_fma_f64 v[47:48], v[3:4], v[47:48], v[183:184]
	ds_read_b128 v[1:4], v24 offset:1264
	v_add_f64 v[22:23], v[22:23], v[55:56]
	v_add_f64 v[9:10], v[9:10], v[27:28]
	s_waitcnt vmcnt(53) lgkmcnt(1)
	v_mul_f64 v[27:28], v[14:15], v[43:44]
	v_mul_f64 v[43:44], v[16:17], v[43:44]
	s_waitcnt vmcnt(52)
	v_fma_f64 v[55:56], v[18:19], v[63:64], -v[61:62]
	v_add_f64 v[22:23], v[22:23], v[33:34]
	v_fma_f64 v[33:34], v[20:21], v[63:64], v[159:160]
	v_add_f64 v[9:10], v[9:10], v[47:48]
	ds_read_b128 v[18:21], v24 offset:1280
	s_waitcnt vmcnt(51) lgkmcnt(1)
	v_mul_f64 v[61:62], v[3:4], v[73:74]
	v_mul_f64 v[47:48], v[1:2], v[73:74]
	s_waitcnt vmcnt(49)
	v_fma_f64 v[43:44], v[14:15], v[45:46], -v[43:44]
	v_fma_f64 v[27:28], v[16:17], v[45:46], v[27:28]
	v_add_f64 v[22:23], v[22:23], v[55:56]
	v_add_f64 v[9:10], v[9:10], v[33:34]
	s_clause 0x3
	buffer_load_dword v33, off, s[0:3], 0 offset:80
	buffer_load_dword v34, off, s[0:3], 0 offset:84
	;; [unrolled: 1-line block ×4, first 2 shown]
	ds_read_b128 v[14:17], v24 offset:1296
	s_waitcnt vmcnt(49) lgkmcnt(1)
	v_mul_f64 v[55:56], v[18:19], v[53:54]
	v_mul_f64 v[53:54], v[20:21], v[53:54]
	s_waitcnt vmcnt(48)
	v_fma_f64 v[61:62], v[1:2], v[75:76], -v[61:62]
	v_add_f64 v[22:23], v[22:23], v[43:44]
	v_fma_f64 v[43:44], v[3:4], v[75:76], v[47:48]
	v_add_f64 v[9:10], v[9:10], v[27:28]
	ds_read_b128 v[1:4], v24 offset:1312
	s_waitcnt vmcnt(47) lgkmcnt(1)
	v_mul_f64 v[47:48], v[16:17], v[79:80]
	v_mul_f64 v[27:28], v[14:15], v[79:80]
	s_waitcnt vmcnt(45)
	v_fma_f64 v[53:54], v[18:19], v[57:58], -v[53:54]
	v_fma_f64 v[55:56], v[20:21], v[57:58], v[55:56]
	ds_read_b128 v[18:21], v24 offset:1328
	v_add_f64 v[22:23], v[22:23], v[61:62]
	v_add_f64 v[9:10], v[9:10], v[43:44]
	s_waitcnt vmcnt(41) lgkmcnt(1)
	v_mul_f64 v[57:58], v[3:4], v[59:60]
	s_waitcnt vmcnt(40)
	v_fma_f64 v[47:48], v[14:15], v[153:154], -v[47:48]
	v_mul_f64 v[43:44], v[1:2], v[59:60]
	v_fma_f64 v[27:28], v[16:17], v[153:154], v[27:28]
	ds_read_b128 v[14:17], v24 offset:1344
	v_add_f64 v[22:23], v[22:23], v[53:54]
	v_add_f64 v[9:10], v[9:10], v[55:56]
	s_waitcnt vmcnt(39) lgkmcnt(1)
	v_mul_f64 v[55:56], v[20:21], v[167:168]
	v_mul_f64 v[53:54], v[18:19], v[167:168]
	s_waitcnt vmcnt(37)
	v_fma_f64 v[57:58], v[1:2], v[65:66], -v[57:58]
	v_fma_f64 v[43:44], v[3:4], v[65:66], v[43:44]
	ds_read_b128 v[1:4], v24 offset:1360
	v_add_f64 v[22:23], v[22:23], v[47:48]
	v_add_f64 v[9:10], v[9:10], v[27:28]
	s_waitcnt vmcnt(33) lgkmcnt(1)
	v_mul_f64 v[47:48], v[16:17], v[67:68]
	s_waitcnt vmcnt(32)
	v_fma_f64 v[55:56], v[18:19], v[171:172], -v[55:56]
	v_mul_f64 v[27:28], v[14:15], v[67:68]
	v_fma_f64 v[53:54], v[20:21], v[171:172], v[53:54]
	ds_read_b128 v[18:21], v24 offset:1376
	v_add_f64 v[22:23], v[22:23], v[57:58]
	v_add_f64 v[9:10], v[9:10], v[43:44]
	;; [unrolled: 18-line block ×3, first 2 shown]
	s_waitcnt vmcnt(23) lgkmcnt(1)
	v_mul_f64 v[47:48], v[16:17], v[173:174]
	v_mul_f64 v[27:28], v[14:15], v[173:174]
	s_waitcnt vmcnt(21)
	v_fma_f64 v[55:56], v[18:19], v[29:30], -v[55:56]
	v_fma_f64 v[29:30], v[20:21], v[29:30], v[53:54]
	ds_read_b128 v[18:21], v24 offset:1424
	v_add_f64 v[22:23], v[22:23], v[57:58]
	v_add_f64 v[9:10], v[9:10], v[43:44]
	s_waitcnt vmcnt(17) lgkmcnt(1)
	v_mul_f64 v[43:44], v[1:2], v[35:36]
	v_mul_f64 v[35:36], v[3:4], v[35:36]
	s_waitcnt vmcnt(16)
	v_fma_f64 v[47:48], v[14:15], v[179:180], -v[47:48]
	v_fma_f64 v[27:28], v[16:17], v[179:180], v[27:28]
	ds_read_b128 v[14:17], v24 offset:1440
	v_add_f64 v[22:23], v[22:23], v[55:56]
	v_add_f64 v[9:10], v[9:10], v[29:30]
	;; [unrolled: 9-line block ×3, first 2 shown]
	s_waitcnt vmcnt(9) lgkmcnt(1)
	v_mul_f64 v[43:44], v[16:17], v[155:156]
	s_waitcnt vmcnt(8)
	v_fma_f64 v[18:19], v[18:19], v[181:182], -v[53:54]
	v_mul_f64 v[27:28], v[14:15], v[155:156]
	v_fma_f64 v[20:21], v[20:21], v[181:182], v[29:30]
	v_add_f64 v[22:23], v[22:23], v[35:36]
	v_add_f64 v[9:10], v[9:10], v[31:32]
	s_waitcnt vmcnt(7) lgkmcnt(0)
	v_mul_f64 v[31:32], v[3:4], v[157:158]
	v_mul_f64 v[29:30], v[1:2], v[157:158]
	s_waitcnt vmcnt(5)
	v_fma_f64 v[14:15], v[14:15], v[41:42], -v[43:44]
	v_fma_f64 v[16:17], v[16:17], v[41:42], v[27:28]
	v_add_f64 v[18:19], v[22:23], v[18:19]
	v_add_f64 v[9:10], v[9:10], v[20:21]
	s_waitcnt vmcnt(4)
	v_fma_f64 v[1:2], v[1:2], v[177:178], -v[31:32]
	v_fma_f64 v[3:4], v[3:4], v[177:178], v[29:30]
	v_add_f64 v[14:15], v[18:19], v[14:15]
	v_add_f64 v[9:10], v[9:10], v[16:17]
	;; [unrolled: 1-line block ×4, first 2 shown]
	s_waitcnt vmcnt(2)
	v_add_f64 v[1:2], v[33:34], -v[1:2]
	s_waitcnt vmcnt(0)
	v_add_f64 v[3:4], v[45:46], -v[3:4]
	buffer_store_dword v2, off, s[0:3], 0 offset:84
	buffer_store_dword v1, off, s[0:3], 0 offset:80
	;; [unrolled: 1-line block ×4, first 2 shown]
	v_cmpx_lt_u32_e32 3, v0
	s_cbranch_execz .LBB45_283
; %bb.282:
	v_mov_b32_e32 v4, s49
	s_clause 0x3
	buffer_load_dword v1, v4, s[0:3], 0 offen
	buffer_load_dword v2, v4, s[0:3], 0 offen offset:4
	buffer_load_dword v3, v4, s[0:3], 0 offen offset:8
	;; [unrolled: 1-line block ×3, first 2 shown]
	buffer_store_dword v24, off, s[0:3], 0 offset:64
	buffer_store_dword v24, off, s[0:3], 0 offset:68
	;; [unrolled: 1-line block ×4, first 2 shown]
	s_waitcnt vmcnt(0)
	ds_write_b128 v11, v[1:4]
.LBB45_283:
	s_or_b32 exec_lo, exec_lo, s4
	s_waitcnt lgkmcnt(0)
	s_waitcnt_vscnt null, 0x0
	s_barrier
	buffer_gl0_inv
	s_clause 0x37
	buffer_load_dword v16, off, s[0:3], 0 offset:88
	buffer_load_dword v17, off, s[0:3], 0 offset:92
	;; [unrolled: 1-line block ×56, first 2 shown]
	ds_read_b128 v[155:158], v24 offset:800
	s_clause 0x2
	buffer_load_dword v80, off, s[0:3], 0 offset:316
	buffer_load_dword v154, off, s[0:3], 0 offset:292
	;; [unrolled: 1-line block ×3, first 2 shown]
	ds_read_b128 v[159:162], v24 offset:816
	s_clause 0x4
	buffer_load_dword v170, off, s[0:3], 0 offset:332
	buffer_load_dword v171, off, s[0:3], 0 offset:344
	;; [unrolled: 1-line block ×5, first 2 shown]
	ds_read_b128 v[163:166], v24 offset:832
	s_mov_b32 s4, exec_lo
	s_waitcnt vmcnt(62) lgkmcnt(2)
	v_mul_f64 v[167:168], v[157:158], v[16:17]
	v_mul_f64 v[16:17], v[155:156], v[16:17]
	s_waitcnt vmcnt(60) lgkmcnt(1)
	v_mul_f64 v[174:175], v[161:162], v[9:10]
	v_mul_f64 v[9:10], v[159:160], v[9:10]
	;; [unrolled: 3-line block ×3, first 2 shown]
	v_fma_f64 v[155:156], v[155:156], v[14:15], -v[167:168]
	v_fma_f64 v[157:158], v[157:158], v[14:15], v[16:17]
	s_clause 0x2
	buffer_load_dword v172, off, s[0:3], 0 offset:348
	buffer_load_dword v168, off, s[0:3], 0 offset:324
	;; [unrolled: 1-line block ×3, first 2 shown]
	s_waitcnt vmcnt(57)
	v_fma_f64 v[159:160], v[159:160], v[1:2], -v[174:175]
	ds_read_b128 v[14:17], v24 offset:848
	v_fma_f64 v[9:10], v[161:162], v[1:2], v[9:10]
	s_clause 0x4
	buffer_load_dword v162, off, s[0:3], 0 offset:364
	buffer_load_dword v175, off, s[0:3], 0 offset:376
	;; [unrolled: 1-line block ×5, first 2 shown]
	s_waitcnt vmcnt(56)
	v_fma_f64 v[163:164], v[163:164], v[35:36], -v[178:179]
	ds_read_b128 v[1:4], v24 offset:864
	v_fma_f64 v[35:36], v[165:166], v[35:36], v[176:177]
	s_clause 0x2
	buffer_load_dword v176, off, s[0:3], 0 offset:380
	buffer_load_dword v166, off, s[0:3], 0 offset:356
	;; [unrolled: 1-line block ×3, first 2 shown]
	v_add_f64 v[155:156], v[155:156], 0
	v_add_f64 v[157:158], v[157:158], 0
	s_waitcnt lgkmcnt(1)
	v_mul_f64 v[181:182], v[14:15], v[20:21]
	v_mul_f64 v[20:21], v[16:17], v[20:21]
	s_waitcnt vmcnt(58) lgkmcnt(0)
	v_mul_f64 v[177:178], v[1:2], v[27:28]
	v_mul_f64 v[27:28], v[3:4], v[27:28]
	v_add_f64 v[159:160], v[155:156], v[159:160]
	v_add_f64 v[9:10], v[157:158], v[9:10]
	ds_read_b128 v[155:158], v24 offset:880
	s_waitcnt vmcnt(56)
	v_fma_f64 v[20:21], v[14:15], v[29:30], -v[20:21]
	v_fma_f64 v[29:30], v[16:17], v[29:30], v[181:182]
	s_waitcnt vmcnt(51)
	v_fma_f64 v[27:28], v[1:2], v[18:19], -v[27:28]
	v_fma_f64 v[18:19], v[3:4], v[18:19], v[177:178]
	s_waitcnt lgkmcnt(0)
	v_mul_f64 v[183:184], v[155:156], v[31:32]
	v_add_f64 v[159:160], v[159:160], v[163:164]
	v_add_f64 v[9:10], v[9:10], v[35:36]
	s_clause 0x4
	buffer_load_dword v36, off, s[0:3], 0 offset:396
	buffer_load_dword v163, off, s[0:3], 0 offset:408
	;; [unrolled: 1-line block ×5, first 2 shown]
	v_mul_f64 v[31:32], v[157:158], v[31:32]
	ds_read_b128 v[14:17], v24 offset:896
	v_add_f64 v[20:21], v[159:160], v[20:21]
	v_add_f64 v[9:10], v[9:10], v[29:30]
	s_clause 0x2
	buffer_load_dword v164, off, s[0:3], 0 offset:412
	buffer_load_dword v30, off, s[0:3], 0 offset:388
	;; [unrolled: 1-line block ×3, first 2 shown]
	s_waitcnt vmcnt(58) lgkmcnt(0)
	v_mul_f64 v[159:160], v[14:15], v[41:42]
	v_mul_f64 v[41:42], v[16:17], v[41:42]
	s_waitcnt vmcnt(56)
	v_fma_f64 v[31:32], v[155:156], v[43:44], -v[31:32]
	ds_read_b128 v[1:4], v24 offset:912
	v_fma_f64 v[43:44], v[157:158], v[43:44], v[183:184]
	s_clause 0x4
	buffer_load_dword v156, off, s[0:3], 0 offset:428
	buffer_load_dword v157, off, s[0:3], 0 offset:440
	buffer_load_dword v177, off, s[0:3], 0 offset:432
	buffer_load_dword v155, off, s[0:3], 0 offset:424
	buffer_load_dword v183, off, s[0:3], 0 offset:404
	v_add_f64 v[27:28], v[20:21], v[27:28]
	v_add_f64 v[9:10], v[9:10], v[18:19]
	ds_read_b128 v[18:21], v24 offset:928
	s_waitcnt vmcnt(57) lgkmcnt(1)
	v_mul_f64 v[178:179], v[1:2], v[45:46]
	v_mul_f64 v[45:46], v[3:4], v[45:46]
	s_waitcnt vmcnt(56)
	v_fma_f64 v[41:42], v[14:15], v[22:23], -v[41:42]
	v_fma_f64 v[22:23], v[16:17], v[22:23], v[159:160]
	v_add_f64 v[27:28], v[27:28], v[31:32]
	v_add_f64 v[9:10], v[9:10], v[43:44]
	s_clause 0x2
	buffer_load_dword v158, off, s[0:3], 0 offset:444
	buffer_load_dword v32, off, s[0:3], 0 offset:420
	;; [unrolled: 1-line block ×3, first 2 shown]
	s_waitcnt vmcnt(58) lgkmcnt(0)
	v_mul_f64 v[43:44], v[18:19], v[53:54]
	v_mul_f64 v[53:54], v[20:21], v[53:54]
	s_waitcnt vmcnt(56)
	v_fma_f64 v[45:46], v[1:2], v[55:56], -v[45:46]
	ds_read_b128 v[14:17], v24 offset:944
	v_add_f64 v[27:28], v[27:28], v[41:42]
	v_fma_f64 v[41:42], v[3:4], v[55:56], v[178:179]
	v_add_f64 v[9:10], v[9:10], v[22:23]
	s_clause 0x4
	buffer_load_dword v23, off, s[0:3], 0 offset:460
	buffer_load_dword v55, off, s[0:3], 0 offset:472
	;; [unrolled: 1-line block ×5, first 2 shown]
	s_waitcnt vmcnt(57) lgkmcnt(0)
	v_mul_f64 v[184:185], v[14:15], v[57:58]
	v_mul_f64 v[57:58], v[16:17], v[57:58]
	s_waitcnt vmcnt(56)
	v_fma_f64 v[53:54], v[18:19], v[33:34], -v[53:54]
	ds_read_b128 v[1:4], v24 offset:960
	v_fma_f64 v[33:34], v[20:21], v[33:34], v[43:44]
	v_add_f64 v[27:28], v[27:28], v[45:46]
	v_add_f64 v[9:10], v[9:10], v[41:42]
	s_clause 0x2
	buffer_load_dword v56, off, s[0:3], 0 offset:476
	buffer_load_dword v42, off, s[0:3], 0 offset:452
	;; [unrolled: 1-line block ×3, first 2 shown]
	ds_read_b128 v[18:21], v24 offset:976
	s_waitcnt vmcnt(58) lgkmcnt(1)
	v_mul_f64 v[45:46], v[3:4], v[61:62]
	s_waitcnt vmcnt(56)
	v_fma_f64 v[57:58], v[14:15], v[63:64], -v[57:58]
	v_mul_f64 v[43:44], v[1:2], v[61:62]
	v_add_f64 v[27:28], v[27:28], v[53:54]
	v_fma_f64 v[53:54], v[16:17], v[63:64], v[184:185]
	v_add_f64 v[9:10], v[9:10], v[33:34]
	s_clause 0x4
	buffer_load_dword v34, off, s[0:3], 0 offset:492
	buffer_load_dword v61, off, s[0:3], 0 offset:504
	;; [unrolled: 1-line block ×5, first 2 shown]
	s_waitcnt vmcnt(57) lgkmcnt(0)
	v_mul_f64 v[184:185], v[18:19], v[65:66]
	v_mul_f64 v[64:65], v[20:21], v[65:66]
	s_waitcnt vmcnt(56)
	v_fma_f64 v[45:46], v[1:2], v[47:48], -v[45:46]
	ds_read_b128 v[14:17], v24 offset:992
	v_fma_f64 v[43:44], v[3:4], v[47:48], v[43:44]
	s_clause 0x2
	buffer_load_dword v62, off, s[0:3], 0 offset:508
	buffer_load_dword v48, off, s[0:3], 0 offset:484
	buffer_load_dword v47, off, s[0:3], 0 offset:480
	ds_read_b128 v[1:4], v24 offset:1008
	v_add_f64 v[27:28], v[27:28], v[57:58]
	v_add_f64 v[9:10], v[9:10], v[53:54]
	s_waitcnt vmcnt(58) lgkmcnt(1)
	v_mul_f64 v[57:58], v[16:17], v[73:74]
	s_waitcnt vmcnt(56)
	v_fma_f64 v[65:66], v[18:19], v[75:76], -v[64:65]
	v_mul_f64 v[53:54], v[14:15], v[73:74]
	v_add_f64 v[27:28], v[27:28], v[45:46]
	v_fma_f64 v[45:46], v[20:21], v[75:76], v[184:185]
	v_add_f64 v[9:10], v[9:10], v[43:44]
	s_clause 0x4
	buffer_load_dword v44, off, s[0:3], 0 offset:524
	buffer_load_dword v73, off, s[0:3], 0 offset:536
	;; [unrolled: 1-line block ×5, first 2 shown]
	s_waitcnt vmcnt(57) lgkmcnt(0)
	v_mul_f64 v[184:185], v[1:2], v[77:78]
	v_mul_f64 v[76:77], v[3:4], v[77:78]
	s_waitcnt vmcnt(56)
	v_fma_f64 v[57:58], v[14:15], v[59:60], -v[57:58]
	ds_read_b128 v[18:21], v24 offset:1024
	v_fma_f64 v[53:54], v[16:17], v[59:60], v[53:54]
	v_add_f64 v[27:28], v[27:28], v[65:66]
	v_add_f64 v[9:10], v[9:10], v[45:46]
	s_clause 0x2
	buffer_load_dword v74, off, s[0:3], 0 offset:540
	buffer_load_dword v46, off, s[0:3], 0 offset:516
	buffer_load_dword v45, off, s[0:3], 0 offset:512
	ds_read_b128 v[14:17], v24 offset:1040
	s_waitcnt vmcnt(58) lgkmcnt(1)
	v_mul_f64 v[65:66], v[20:21], v[79:80]
	s_waitcnt vmcnt(56)
	v_fma_f64 v[77:78], v[1:2], v[153:154], -v[76:77]
	v_mul_f64 v[59:60], v[18:19], v[79:80]
	v_add_f64 v[27:28], v[27:28], v[57:58]
	v_fma_f64 v[57:58], v[3:4], v[153:154], v[184:185]
	v_add_f64 v[9:10], v[9:10], v[53:54]
	s_clause 0x4
	buffer_load_dword v54, off, s[0:3], 0 offset:556
	buffer_load_dword v79, off, s[0:3], 0 offset:568
	;; [unrolled: 1-line block ×5, first 2 shown]
	s_waitcnt vmcnt(57) lgkmcnt(0)
	v_mul_f64 v[184:185], v[14:15], v[169:170]
	v_mul_f64 v[169:170], v[16:17], v[169:170]
	s_waitcnt vmcnt(56)
	v_fma_f64 v[65:66], v[18:19], v[67:68], -v[65:66]
	ds_read_b128 v[1:4], v24 offset:1056
	v_fma_f64 v[59:60], v[20:21], v[67:68], v[59:60]
	v_add_f64 v[27:28], v[27:28], v[77:78]
	v_add_f64 v[9:10], v[9:10], v[57:58]
	s_clause 0x2
	buffer_load_dword v80, off, s[0:3], 0 offset:572
	buffer_load_dword v58, off, s[0:3], 0 offset:548
	;; [unrolled: 1-line block ×3, first 2 shown]
	ds_read_b128 v[18:21], v24 offset:1072
	s_waitcnt vmcnt(58) lgkmcnt(1)
	v_mul_f64 v[77:78], v[3:4], v[171:172]
	v_mul_f64 v[67:68], v[1:2], v[171:172]
	s_waitcnt vmcnt(56)
	v_fma_f64 v[169:170], v[14:15], v[167:168], -v[169:170]
	v_add_f64 v[27:28], v[27:28], v[65:66]
	v_fma_f64 v[65:66], v[16:17], v[167:168], v[184:185]
	v_add_f64 v[9:10], v[9:10], v[59:60]
	s_clause 0x4
	buffer_load_dword v60, off, s[0:3], 0 offset:588
	buffer_load_dword v167, off, s[0:3], 0 offset:600
	;; [unrolled: 1-line block ×5, first 2 shown]
	s_waitcnt vmcnt(57) lgkmcnt(0)
	v_mul_f64 v[184:185], v[18:19], v[161:162]
	v_mul_f64 v[161:162], v[20:21], v[161:162]
	ds_read_b128 v[14:17], v24 offset:1088
	s_waitcnt vmcnt(56)
	v_fma_f64 v[77:78], v[1:2], v[173:174], -v[77:78]
	v_fma_f64 v[67:68], v[3:4], v[173:174], v[67:68]
	v_add_f64 v[27:28], v[27:28], v[169:170]
	v_add_f64 v[9:10], v[9:10], v[65:66]
	s_clause 0x2
	buffer_load_dword v168, off, s[0:3], 0 offset:604
	buffer_load_dword v66, off, s[0:3], 0 offset:580
	;; [unrolled: 1-line block ×3, first 2 shown]
	s_waitcnt vmcnt(58) lgkmcnt(0)
	v_mul_f64 v[173:174], v[16:17], v[175:176]
	s_waitcnt vmcnt(56)
	v_fma_f64 v[161:162], v[18:19], v[165:166], -v[161:162]
	ds_read_b128 v[1:4], v24 offset:1104
	v_mul_f64 v[169:170], v[14:15], v[175:176]
	v_add_f64 v[27:28], v[27:28], v[77:78]
	v_fma_f64 v[77:78], v[20:21], v[165:166], v[184:185]
	v_add_f64 v[9:10], v[9:10], v[67:68]
	s_clause 0x4
	buffer_load_dword v68, off, s[0:3], 0 offset:620
	buffer_load_dword v165, off, s[0:3], 0 offset:632
	;; [unrolled: 1-line block ×5, first 2 shown]
	ds_read_b128 v[18:21], v24 offset:1120
	s_waitcnt vmcnt(57) lgkmcnt(1)
	v_mul_f64 v[184:185], v[1:2], v[35:36]
	v_mul_f64 v[35:36], v[3:4], v[35:36]
	s_waitcnt vmcnt(56)
	v_fma_f64 v[173:174], v[14:15], v[180:181], -v[173:174]
	v_add_f64 v[27:28], v[27:28], v[161:162]
	v_fma_f64 v[161:162], v[16:17], v[180:181], v[169:170]
	v_add_f64 v[9:10], v[9:10], v[77:78]
	s_clause 0x2
	buffer_load_dword v166, off, s[0:3], 0 offset:636
	buffer_load_dword v78, off, s[0:3], 0 offset:612
	buffer_load_dword v77, off, s[0:3], 0 offset:608
	ds_read_b128 v[14:17], v24 offset:1136
	s_waitcnt vmcnt(58) lgkmcnt(1)
	v_mul_f64 v[169:170], v[18:19], v[163:164]
	v_mul_f64 v[163:164], v[20:21], v[163:164]
	s_waitcnt vmcnt(56)
	v_fma_f64 v[35:36], v[1:2], v[29:30], -v[35:36]
	v_fma_f64 v[29:30], v[3:4], v[29:30], v[184:185]
	v_add_f64 v[27:28], v[27:28], v[173:174]
	v_add_f64 v[9:10], v[9:10], v[161:162]
	s_clause 0x4
	buffer_load_dword v162, off, s[0:3], 0 offset:652
	buffer_load_dword v173, off, s[0:3], 0 offset:664
	;; [unrolled: 1-line block ×5, first 2 shown]
	s_waitcnt vmcnt(57) lgkmcnt(0)
	v_mul_f64 v[180:181], v[14:15], v[155:156]
	v_mul_f64 v[155:156], v[16:17], v[155:156]
	ds_read_b128 v[1:4], v24 offset:1152
	s_waitcnt vmcnt(56)
	v_fma_f64 v[163:164], v[18:19], v[182:183], -v[163:164]
	v_add_f64 v[27:28], v[27:28], v[35:36]
	v_fma_f64 v[35:36], v[20:21], v[182:183], v[169:170]
	v_add_f64 v[9:10], v[9:10], v[29:30]
	s_clause 0x2
	buffer_load_dword v174, off, s[0:3], 0 offset:668
	buffer_load_dword v30, off, s[0:3], 0 offset:644
	;; [unrolled: 1-line block ×3, first 2 shown]
	ds_read_b128 v[18:21], v24 offset:1168
	s_waitcnt vmcnt(58) lgkmcnt(1)
	v_mul_f64 v[169:170], v[1:2], v[157:158]
	v_mul_f64 v[157:158], v[3:4], v[157:158]
	s_waitcnt vmcnt(56)
	v_fma_f64 v[155:156], v[14:15], v[31:32], -v[155:156]
	v_fma_f64 v[31:32], v[16:17], v[31:32], v[180:181]
	v_add_f64 v[27:28], v[27:28], v[163:164]
	v_add_f64 v[9:10], v[9:10], v[35:36]
	s_clause 0x4
	buffer_load_dword v36, off, s[0:3], 0 offset:684
	buffer_load_dword v163, off, s[0:3], 0 offset:696
	;; [unrolled: 1-line block ×5, first 2 shown]
	ds_read_b128 v[14:17], v24 offset:1184
	s_waitcnt vmcnt(57) lgkmcnt(1)
	v_mul_f64 v[182:183], v[18:19], v[22:23]
	v_mul_f64 v[22:23], v[20:21], v[22:23]
	s_waitcnt vmcnt(56)
	v_fma_f64 v[157:158], v[1:2], v[177:178], -v[157:158]
	v_add_f64 v[27:28], v[27:28], v[155:156]
	v_fma_f64 v[155:156], v[3:4], v[177:178], v[169:170]
	v_add_f64 v[9:10], v[9:10], v[31:32]
	s_clause 0x2
	buffer_load_dword v164, off, s[0:3], 0 offset:700
	buffer_load_dword v32, off, s[0:3], 0 offset:676
	;; [unrolled: 1-line block ×3, first 2 shown]
	ds_read_b128 v[1:4], v24 offset:1200
	s_waitcnt vmcnt(58) lgkmcnt(1)
	v_mul_f64 v[169:170], v[14:15], v[55:56]
	v_mul_f64 v[55:56], v[16:17], v[55:56]
	s_waitcnt vmcnt(56)
	v_fma_f64 v[22:23], v[18:19], v[41:42], -v[22:23]
	v_fma_f64 v[41:42], v[20:21], v[41:42], v[182:183]
	v_add_f64 v[27:28], v[27:28], v[157:158]
	v_add_f64 v[9:10], v[9:10], v[155:156]
	s_clause 0x4
	buffer_load_dword v156, off, s[0:3], 0 offset:716
	buffer_load_dword v157, off, s[0:3], 0 offset:728
	;; [unrolled: 1-line block ×5, first 2 shown]
	ds_read_b128 v[18:21], v24 offset:1216
	s_waitcnt vmcnt(57) lgkmcnt(1)
	v_mul_f64 v[183:184], v[1:2], v[33:34]
	v_mul_f64 v[33:34], v[3:4], v[33:34]
	s_waitcnt vmcnt(56)
	v_fma_f64 v[55:56], v[14:15], v[159:160], -v[55:56]
	v_add_f64 v[22:23], v[27:28], v[22:23]
	v_fma_f64 v[27:28], v[16:17], v[159:160], v[169:170]
	v_add_f64 v[9:10], v[9:10], v[41:42]
	s_clause 0x2
	buffer_load_dword v158, off, s[0:3], 0 offset:732
	buffer_load_dword v42, off, s[0:3], 0 offset:708
	;; [unrolled: 1-line block ×3, first 2 shown]
	s_waitcnt vmcnt(58) lgkmcnt(0)
	v_mul_f64 v[159:160], v[18:19], v[61:62]
	v_mul_f64 v[61:62], v[20:21], v[61:62]
	ds_read_b128 v[14:17], v24 offset:1232
	s_waitcnt vmcnt(56)
	v_fma_f64 v[33:34], v[1:2], v[47:48], -v[33:34]
	v_fma_f64 v[47:48], v[3:4], v[47:48], v[183:184]
	v_add_f64 v[22:23], v[22:23], v[55:56]
	v_add_f64 v[9:10], v[9:10], v[27:28]
	s_clause 0x2
	buffer_load_dword v28, off, s[0:3], 0 offset:748
	buffer_load_dword v27, off, s[0:3], 0 offset:744
	;; [unrolled: 1-line block ×3, first 2 shown]
	ds_read_b128 v[1:4], v24 offset:1248
	s_waitcnt vmcnt(55) lgkmcnt(1)
	v_mul_f64 v[55:56], v[14:15], v[43:44]
	v_mul_f64 v[43:44], v[16:17], v[43:44]
	s_waitcnt vmcnt(54)
	v_fma_f64 v[61:62], v[18:19], v[63:64], -v[61:62]
	v_add_f64 v[22:23], v[22:23], v[33:34]
	v_fma_f64 v[33:34], v[20:21], v[63:64], v[159:160]
	v_add_f64 v[9:10], v[9:10], v[47:48]
	s_clause 0x1
	buffer_load_dword v48, off, s[0:3], 0 offset:740
	buffer_load_dword v47, off, s[0:3], 0 offset:736
	ds_read_b128 v[18:21], v24 offset:1264
	s_waitcnt vmcnt(55) lgkmcnt(1)
	v_mul_f64 v[63:64], v[1:2], v[73:74]
	v_mul_f64 v[73:74], v[3:4], v[73:74]
	s_waitcnt vmcnt(53)
	v_fma_f64 v[43:44], v[14:15], v[45:46], -v[43:44]
	v_fma_f64 v[45:46], v[16:17], v[45:46], v[55:56]
	ds_read_b128 v[14:17], v24 offset:1280
	v_add_f64 v[22:23], v[22:23], v[61:62]
	v_add_f64 v[9:10], v[9:10], v[33:34]
	s_waitcnt vmcnt(49) lgkmcnt(1)
	v_mul_f64 v[33:34], v[18:19], v[53:54]
	v_mul_f64 v[53:54], v[20:21], v[53:54]
	s_waitcnt vmcnt(48)
	v_fma_f64 v[55:56], v[1:2], v[75:76], -v[73:74]
	v_add_f64 v[22:23], v[22:23], v[43:44]
	v_fma_f64 v[43:44], v[3:4], v[75:76], v[63:64]
	v_add_f64 v[9:10], v[9:10], v[45:46]
	s_clause 0x3
	buffer_load_dword v45, off, s[0:3], 0 offset:64
	buffer_load_dword v46, off, s[0:3], 0 offset:68
	;; [unrolled: 1-line block ×4, first 2 shown]
	ds_read_b128 v[1:4], v24 offset:1296
	s_waitcnt vmcnt(51) lgkmcnt(1)
	v_mul_f64 v[73:74], v[16:17], v[79:80]
	v_mul_f64 v[63:64], v[14:15], v[79:80]
	s_waitcnt vmcnt(49)
	v_fma_f64 v[53:54], v[18:19], v[57:58], -v[53:54]
	v_fma_f64 v[33:34], v[20:21], v[57:58], v[33:34]
	ds_read_b128 v[18:21], v24 offset:1312
	v_add_f64 v[22:23], v[22:23], v[55:56]
	v_add_f64 v[9:10], v[9:10], v[43:44]
	s_waitcnt vmcnt(45) lgkmcnt(1)
	v_mul_f64 v[55:56], v[3:4], v[59:60]
	s_waitcnt vmcnt(44)
	v_fma_f64 v[57:58], v[14:15], v[153:154], -v[73:74]
	v_mul_f64 v[43:44], v[1:2], v[59:60]
	v_add_f64 v[22:23], v[22:23], v[53:54]
	v_fma_f64 v[53:54], v[16:17], v[153:154], v[63:64]
	v_add_f64 v[9:10], v[9:10], v[33:34]
	ds_read_b128 v[14:17], v24 offset:1328
	s_waitcnt vmcnt(43) lgkmcnt(1)
	v_mul_f64 v[59:60], v[20:21], v[167:168]
	v_mul_f64 v[33:34], v[18:19], v[167:168]
	s_waitcnt vmcnt(41)
	v_fma_f64 v[55:56], v[1:2], v[65:66], -v[55:56]
	v_fma_f64 v[43:44], v[3:4], v[65:66], v[43:44]
	ds_read_b128 v[1:4], v24 offset:1344
	v_add_f64 v[22:23], v[22:23], v[57:58]
	v_add_f64 v[9:10], v[9:10], v[53:54]
	s_waitcnt vmcnt(37) lgkmcnt(1)
	v_mul_f64 v[57:58], v[16:17], v[67:68]
	s_waitcnt vmcnt(36)
	v_fma_f64 v[59:60], v[18:19], v[171:172], -v[59:60]
	v_mul_f64 v[53:54], v[14:15], v[67:68]
	v_fma_f64 v[33:34], v[20:21], v[171:172], v[33:34]
	ds_read_b128 v[18:21], v24 offset:1360
	v_add_f64 v[22:23], v[22:23], v[55:56]
	v_add_f64 v[9:10], v[9:10], v[43:44]
	s_waitcnt vmcnt(35) lgkmcnt(1)
	v_mul_f64 v[55:56], v[3:4], v[165:166]
	v_mul_f64 v[43:44], v[1:2], v[165:166]
	s_waitcnt vmcnt(33)
	v_fma_f64 v[57:58], v[14:15], v[77:78], -v[57:58]
	v_fma_f64 v[53:54], v[16:17], v[77:78], v[53:54]
	ds_read_b128 v[14:17], v24 offset:1376
	v_add_f64 v[22:23], v[22:23], v[59:60]
	v_add_f64 v[9:10], v[9:10], v[33:34]
	s_waitcnt vmcnt(29) lgkmcnt(1)
	v_mul_f64 v[59:60], v[20:21], v[161:162]
	s_waitcnt vmcnt(28)
	v_fma_f64 v[55:56], v[1:2], v[175:176], -v[55:56]
	v_mul_f64 v[33:34], v[18:19], v[161:162]
	v_fma_f64 v[43:44], v[3:4], v[175:176], v[43:44]
	ds_read_b128 v[1:4], v24 offset:1392
	v_add_f64 v[22:23], v[22:23], v[57:58]
	v_add_f64 v[9:10], v[9:10], v[53:54]
	s_waitcnt vmcnt(27) lgkmcnt(1)
	v_mul_f64 v[57:58], v[16:17], v[173:174]
	v_mul_f64 v[53:54], v[14:15], v[173:174]
	s_waitcnt vmcnt(25)
	v_fma_f64 v[59:60], v[18:19], v[29:30], -v[59:60]
	v_fma_f64 v[29:30], v[20:21], v[29:30], v[33:34]
	ds_read_b128 v[18:21], v24 offset:1408
	v_add_f64 v[22:23], v[22:23], v[55:56]
	v_add_f64 v[9:10], v[9:10], v[43:44]
	s_waitcnt vmcnt(21) lgkmcnt(1)
	v_mul_f64 v[33:34], v[1:2], v[35:36]
	v_mul_f64 v[35:36], v[3:4], v[35:36]
	s_waitcnt vmcnt(20)
	v_fma_f64 v[43:44], v[14:15], v[179:180], -v[57:58]
	;; [unrolled: 9-line block ×3, first 2 shown]
	v_fma_f64 v[31:32], v[3:4], v[31:32], v[33:34]
	ds_read_b128 v[1:4], v24 offset:1440
	v_add_f64 v[22:23], v[22:23], v[43:44]
	v_add_f64 v[9:10], v[9:10], v[53:54]
	s_waitcnt vmcnt(13) lgkmcnt(1)
	v_mul_f64 v[43:44], v[16:17], v[155:156]
	s_waitcnt vmcnt(12)
	v_fma_f64 v[53:54], v[18:19], v[181:182], -v[55:56]
	v_mul_f64 v[33:34], v[14:15], v[155:156]
	v_fma_f64 v[29:30], v[20:21], v[181:182], v[29:30]
	ds_read_b128 v[18:21], v24 offset:1456
	v_add_f64 v[22:23], v[22:23], v[35:36]
	v_add_f64 v[9:10], v[9:10], v[31:32]
	s_waitcnt vmcnt(11) lgkmcnt(1)
	v_mul_f64 v[35:36], v[3:4], v[157:158]
	v_mul_f64 v[31:32], v[1:2], v[157:158]
	s_waitcnt vmcnt(9)
	v_fma_f64 v[14:15], v[14:15], v[41:42], -v[43:44]
	v_fma_f64 v[16:17], v[16:17], v[41:42], v[33:34]
	v_add_f64 v[22:23], v[22:23], v[53:54]
	v_add_f64 v[9:10], v[9:10], v[29:30]
	s_waitcnt vmcnt(7) lgkmcnt(0)
	v_mul_f64 v[29:30], v[18:19], v[27:28]
	v_mul_f64 v[27:28], v[20:21], v[27:28]
	s_waitcnt vmcnt(6)
	v_fma_f64 v[1:2], v[1:2], v[177:178], -v[35:36]
	v_fma_f64 v[3:4], v[3:4], v[177:178], v[31:32]
	v_add_f64 v[14:15], v[22:23], v[14:15]
	v_add_f64 v[9:10], v[9:10], v[16:17]
	s_waitcnt vmcnt(4)
	v_fma_f64 v[16:17], v[18:19], v[47:48], -v[27:28]
	v_add_f64 v[1:2], v[14:15], v[1:2]
	v_fma_f64 v[14:15], v[20:21], v[47:48], v[29:30]
	v_add_f64 v[3:4], v[9:10], v[3:4]
	v_add_f64 v[1:2], v[1:2], v[16:17]
	;; [unrolled: 1-line block ×3, first 2 shown]
	s_waitcnt vmcnt(2)
	v_add_f64 v[1:2], v[45:46], -v[1:2]
	s_waitcnt vmcnt(0)
	v_add_f64 v[3:4], v[61:62], -v[3:4]
	buffer_store_dword v2, off, s[0:3], 0 offset:68
	buffer_store_dword v1, off, s[0:3], 0 offset:64
	buffer_store_dword v4, off, s[0:3], 0 offset:76
	buffer_store_dword v3, off, s[0:3], 0 offset:72
	v_cmpx_lt_u32_e32 2, v0
	s_cbranch_execz .LBB45_285
; %bb.284:
	v_mov_b32_e32 v4, s51
	v_mov_b32_e32 v9, 0
	s_clause 0x3
	buffer_load_dword v1, v4, s[0:3], 0 offen
	buffer_load_dword v2, v4, s[0:3], 0 offen offset:4
	buffer_load_dword v3, v4, s[0:3], 0 offen offset:8
	buffer_load_dword v4, v4, s[0:3], 0 offen offset:12
	buffer_store_dword v9, off, s[0:3], 0 offset:48
	buffer_store_dword v9, off, s[0:3], 0 offset:52
	;; [unrolled: 1-line block ×4, first 2 shown]
	s_waitcnt vmcnt(0)
	ds_write_b128 v11, v[1:4]
.LBB45_285:
	s_or_b32 exec_lo, exec_lo, s4
	s_waitcnt lgkmcnt(0)
	s_waitcnt_vscnt null, 0x0
	s_barrier
	buffer_gl0_inv
	s_clause 0x37
	buffer_load_dword v16, off, s[0:3], 0 offset:72
	buffer_load_dword v17, off, s[0:3], 0 offset:76
	;; [unrolled: 1-line block ×56, first 2 shown]
	v_mov_b32_e32 v24, 0
	s_mov_b32 s4, exec_lo
	ds_read_b128 v[155:158], v24 offset:784
	s_clause 0x2
	buffer_load_dword v80, off, s[0:3], 0 offset:300
	buffer_load_dword v154, off, s[0:3], 0 offset:276
	buffer_load_dword v153, off, s[0:3], 0 offset:272
	ds_read_b128 v[159:162], v24 offset:800
	s_clause 0x4
	buffer_load_dword v170, off, s[0:3], 0 offset:316
	buffer_load_dword v171, off, s[0:3], 0 offset:328
	;; [unrolled: 1-line block ×5, first 2 shown]
	ds_read_b128 v[163:166], v24 offset:816
	s_waitcnt vmcnt(62) lgkmcnt(2)
	v_mul_f64 v[167:168], v[157:158], v[16:17]
	v_mul_f64 v[16:17], v[155:156], v[16:17]
	s_waitcnt vmcnt(60) lgkmcnt(1)
	v_mul_f64 v[174:175], v[161:162], v[9:10]
	v_mul_f64 v[9:10], v[159:160], v[9:10]
	;; [unrolled: 3-line block ×3, first 2 shown]
	v_fma_f64 v[155:156], v[155:156], v[14:15], -v[167:168]
	v_fma_f64 v[157:158], v[157:158], v[14:15], v[16:17]
	s_clause 0x2
	buffer_load_dword v172, off, s[0:3], 0 offset:332
	buffer_load_dword v168, off, s[0:3], 0 offset:308
	;; [unrolled: 1-line block ×3, first 2 shown]
	s_waitcnt vmcnt(57)
	v_fma_f64 v[159:160], v[159:160], v[1:2], -v[174:175]
	ds_read_b128 v[14:17], v24 offset:832
	v_fma_f64 v[9:10], v[161:162], v[1:2], v[9:10]
	s_clause 0x4
	buffer_load_dword v162, off, s[0:3], 0 offset:348
	buffer_load_dword v175, off, s[0:3], 0 offset:360
	;; [unrolled: 1-line block ×5, first 2 shown]
	s_waitcnt vmcnt(56)
	v_fma_f64 v[163:164], v[163:164], v[35:36], -v[178:179]
	ds_read_b128 v[1:4], v24 offset:848
	v_fma_f64 v[35:36], v[165:166], v[35:36], v[176:177]
	s_clause 0x2
	buffer_load_dword v176, off, s[0:3], 0 offset:364
	buffer_load_dword v166, off, s[0:3], 0 offset:340
	;; [unrolled: 1-line block ×3, first 2 shown]
	v_add_f64 v[155:156], v[155:156], 0
	v_add_f64 v[157:158], v[157:158], 0
	s_waitcnt lgkmcnt(1)
	v_mul_f64 v[181:182], v[14:15], v[20:21]
	v_mul_f64 v[20:21], v[16:17], v[20:21]
	s_waitcnt vmcnt(58) lgkmcnt(0)
	v_mul_f64 v[177:178], v[1:2], v[27:28]
	v_mul_f64 v[27:28], v[3:4], v[27:28]
	v_add_f64 v[159:160], v[155:156], v[159:160]
	v_add_f64 v[9:10], v[157:158], v[9:10]
	ds_read_b128 v[155:158], v24 offset:864
	s_waitcnt vmcnt(56)
	v_fma_f64 v[20:21], v[14:15], v[29:30], -v[20:21]
	v_fma_f64 v[29:30], v[16:17], v[29:30], v[181:182]
	s_waitcnt vmcnt(51)
	v_fma_f64 v[27:28], v[1:2], v[18:19], -v[27:28]
	v_fma_f64 v[18:19], v[3:4], v[18:19], v[177:178]
	s_waitcnt lgkmcnt(0)
	v_mul_f64 v[183:184], v[155:156], v[31:32]
	v_add_f64 v[159:160], v[159:160], v[163:164]
	v_add_f64 v[9:10], v[9:10], v[35:36]
	s_clause 0x4
	buffer_load_dword v36, off, s[0:3], 0 offset:380
	buffer_load_dword v163, off, s[0:3], 0 offset:392
	;; [unrolled: 1-line block ×5, first 2 shown]
	v_mul_f64 v[31:32], v[157:158], v[31:32]
	ds_read_b128 v[14:17], v24 offset:880
	v_add_f64 v[20:21], v[159:160], v[20:21]
	v_add_f64 v[9:10], v[9:10], v[29:30]
	s_clause 0x2
	buffer_load_dword v164, off, s[0:3], 0 offset:396
	buffer_load_dword v30, off, s[0:3], 0 offset:372
	;; [unrolled: 1-line block ×3, first 2 shown]
	s_waitcnt vmcnt(58) lgkmcnt(0)
	v_mul_f64 v[159:160], v[14:15], v[41:42]
	v_mul_f64 v[41:42], v[16:17], v[41:42]
	s_waitcnt vmcnt(56)
	v_fma_f64 v[31:32], v[155:156], v[43:44], -v[31:32]
	ds_read_b128 v[1:4], v24 offset:896
	v_fma_f64 v[43:44], v[157:158], v[43:44], v[183:184]
	s_clause 0x4
	buffer_load_dword v156, off, s[0:3], 0 offset:412
	buffer_load_dword v157, off, s[0:3], 0 offset:424
	;; [unrolled: 1-line block ×5, first 2 shown]
	v_add_f64 v[27:28], v[20:21], v[27:28]
	v_add_f64 v[9:10], v[9:10], v[18:19]
	ds_read_b128 v[18:21], v24 offset:912
	s_waitcnt vmcnt(57) lgkmcnt(1)
	v_mul_f64 v[178:179], v[1:2], v[45:46]
	v_mul_f64 v[45:46], v[3:4], v[45:46]
	s_waitcnt vmcnt(56)
	v_fma_f64 v[41:42], v[14:15], v[22:23], -v[41:42]
	v_fma_f64 v[22:23], v[16:17], v[22:23], v[159:160]
	v_add_f64 v[27:28], v[27:28], v[31:32]
	v_add_f64 v[9:10], v[9:10], v[43:44]
	s_clause 0x2
	buffer_load_dword v158, off, s[0:3], 0 offset:428
	buffer_load_dword v32, off, s[0:3], 0 offset:404
	;; [unrolled: 1-line block ×3, first 2 shown]
	s_waitcnt vmcnt(58) lgkmcnt(0)
	v_mul_f64 v[43:44], v[18:19], v[53:54]
	v_mul_f64 v[53:54], v[20:21], v[53:54]
	s_waitcnt vmcnt(56)
	v_fma_f64 v[45:46], v[1:2], v[55:56], -v[45:46]
	ds_read_b128 v[14:17], v24 offset:928
	v_add_f64 v[27:28], v[27:28], v[41:42]
	v_fma_f64 v[41:42], v[3:4], v[55:56], v[178:179]
	v_add_f64 v[9:10], v[9:10], v[22:23]
	s_clause 0x4
	buffer_load_dword v23, off, s[0:3], 0 offset:444
	buffer_load_dword v55, off, s[0:3], 0 offset:456
	;; [unrolled: 1-line block ×5, first 2 shown]
	s_waitcnt vmcnt(57) lgkmcnt(0)
	v_mul_f64 v[184:185], v[14:15], v[57:58]
	v_mul_f64 v[57:58], v[16:17], v[57:58]
	s_waitcnt vmcnt(56)
	v_fma_f64 v[53:54], v[18:19], v[33:34], -v[53:54]
	ds_read_b128 v[1:4], v24 offset:944
	v_fma_f64 v[33:34], v[20:21], v[33:34], v[43:44]
	v_add_f64 v[27:28], v[27:28], v[45:46]
	v_add_f64 v[9:10], v[9:10], v[41:42]
	s_clause 0x2
	buffer_load_dword v56, off, s[0:3], 0 offset:460
	buffer_load_dword v42, off, s[0:3], 0 offset:436
	;; [unrolled: 1-line block ×3, first 2 shown]
	ds_read_b128 v[18:21], v24 offset:960
	s_waitcnt vmcnt(58) lgkmcnt(1)
	v_mul_f64 v[45:46], v[3:4], v[61:62]
	s_waitcnt vmcnt(56)
	v_fma_f64 v[57:58], v[14:15], v[63:64], -v[57:58]
	v_mul_f64 v[43:44], v[1:2], v[61:62]
	v_add_f64 v[27:28], v[27:28], v[53:54]
	v_fma_f64 v[53:54], v[16:17], v[63:64], v[184:185]
	v_add_f64 v[9:10], v[9:10], v[33:34]
	s_clause 0x4
	buffer_load_dword v34, off, s[0:3], 0 offset:476
	buffer_load_dword v61, off, s[0:3], 0 offset:488
	buffer_load_dword v63, off, s[0:3], 0 offset:480
	buffer_load_dword v33, off, s[0:3], 0 offset:472
	buffer_load_dword v160, off, s[0:3], 0 offset:452
	s_waitcnt vmcnt(57) lgkmcnt(0)
	v_mul_f64 v[184:185], v[18:19], v[65:66]
	v_mul_f64 v[64:65], v[20:21], v[65:66]
	s_waitcnt vmcnt(56)
	v_fma_f64 v[45:46], v[1:2], v[47:48], -v[45:46]
	ds_read_b128 v[14:17], v24 offset:976
	v_fma_f64 v[43:44], v[3:4], v[47:48], v[43:44]
	s_clause 0x2
	buffer_load_dword v62, off, s[0:3], 0 offset:492
	buffer_load_dword v48, off, s[0:3], 0 offset:468
	;; [unrolled: 1-line block ×3, first 2 shown]
	ds_read_b128 v[1:4], v24 offset:992
	v_add_f64 v[27:28], v[27:28], v[57:58]
	v_add_f64 v[9:10], v[9:10], v[53:54]
	s_waitcnt vmcnt(58) lgkmcnt(1)
	v_mul_f64 v[57:58], v[16:17], v[73:74]
	s_waitcnt vmcnt(56)
	v_fma_f64 v[65:66], v[18:19], v[75:76], -v[64:65]
	v_mul_f64 v[53:54], v[14:15], v[73:74]
	v_add_f64 v[27:28], v[27:28], v[45:46]
	v_fma_f64 v[45:46], v[20:21], v[75:76], v[184:185]
	v_add_f64 v[9:10], v[9:10], v[43:44]
	s_clause 0x4
	buffer_load_dword v44, off, s[0:3], 0 offset:508
	buffer_load_dword v73, off, s[0:3], 0 offset:520
	;; [unrolled: 1-line block ×5, first 2 shown]
	s_waitcnt vmcnt(57) lgkmcnt(0)
	v_mul_f64 v[184:185], v[1:2], v[77:78]
	v_mul_f64 v[76:77], v[3:4], v[77:78]
	s_waitcnt vmcnt(56)
	v_fma_f64 v[57:58], v[14:15], v[59:60], -v[57:58]
	ds_read_b128 v[18:21], v24 offset:1008
	v_fma_f64 v[53:54], v[16:17], v[59:60], v[53:54]
	v_add_f64 v[27:28], v[27:28], v[65:66]
	v_add_f64 v[9:10], v[9:10], v[45:46]
	s_clause 0x2
	buffer_load_dword v74, off, s[0:3], 0 offset:524
	buffer_load_dword v46, off, s[0:3], 0 offset:500
	buffer_load_dword v45, off, s[0:3], 0 offset:496
	ds_read_b128 v[14:17], v24 offset:1024
	s_waitcnt vmcnt(58) lgkmcnt(1)
	v_mul_f64 v[65:66], v[20:21], v[79:80]
	s_waitcnt vmcnt(56)
	v_fma_f64 v[77:78], v[1:2], v[153:154], -v[76:77]
	v_mul_f64 v[59:60], v[18:19], v[79:80]
	v_add_f64 v[27:28], v[27:28], v[57:58]
	v_fma_f64 v[57:58], v[3:4], v[153:154], v[184:185]
	v_add_f64 v[9:10], v[9:10], v[53:54]
	s_clause 0x4
	buffer_load_dword v54, off, s[0:3], 0 offset:540
	buffer_load_dword v79, off, s[0:3], 0 offset:552
	;; [unrolled: 1-line block ×5, first 2 shown]
	s_waitcnt vmcnt(57) lgkmcnt(0)
	v_mul_f64 v[184:185], v[14:15], v[169:170]
	v_mul_f64 v[169:170], v[16:17], v[169:170]
	s_waitcnt vmcnt(56)
	v_fma_f64 v[65:66], v[18:19], v[67:68], -v[65:66]
	ds_read_b128 v[1:4], v24 offset:1040
	v_fma_f64 v[59:60], v[20:21], v[67:68], v[59:60]
	v_add_f64 v[27:28], v[27:28], v[77:78]
	v_add_f64 v[9:10], v[9:10], v[57:58]
	s_clause 0x2
	buffer_load_dword v80, off, s[0:3], 0 offset:556
	buffer_load_dword v58, off, s[0:3], 0 offset:532
	;; [unrolled: 1-line block ×3, first 2 shown]
	ds_read_b128 v[18:21], v24 offset:1056
	s_waitcnt vmcnt(58) lgkmcnt(1)
	v_mul_f64 v[77:78], v[3:4], v[171:172]
	v_mul_f64 v[67:68], v[1:2], v[171:172]
	s_waitcnt vmcnt(56)
	v_fma_f64 v[169:170], v[14:15], v[167:168], -v[169:170]
	v_add_f64 v[27:28], v[27:28], v[65:66]
	v_fma_f64 v[65:66], v[16:17], v[167:168], v[184:185]
	v_add_f64 v[9:10], v[9:10], v[59:60]
	s_clause 0x4
	buffer_load_dword v60, off, s[0:3], 0 offset:572
	buffer_load_dword v167, off, s[0:3], 0 offset:584
	;; [unrolled: 1-line block ×5, first 2 shown]
	s_waitcnt vmcnt(57) lgkmcnt(0)
	v_mul_f64 v[184:185], v[18:19], v[161:162]
	v_mul_f64 v[161:162], v[20:21], v[161:162]
	ds_read_b128 v[14:17], v24 offset:1072
	s_waitcnt vmcnt(56)
	v_fma_f64 v[77:78], v[1:2], v[173:174], -v[77:78]
	v_fma_f64 v[67:68], v[3:4], v[173:174], v[67:68]
	v_add_f64 v[27:28], v[27:28], v[169:170]
	v_add_f64 v[9:10], v[9:10], v[65:66]
	s_clause 0x2
	buffer_load_dword v168, off, s[0:3], 0 offset:588
	buffer_load_dword v66, off, s[0:3], 0 offset:564
	;; [unrolled: 1-line block ×3, first 2 shown]
	s_waitcnt vmcnt(58) lgkmcnt(0)
	v_mul_f64 v[173:174], v[16:17], v[175:176]
	s_waitcnt vmcnt(56)
	v_fma_f64 v[161:162], v[18:19], v[165:166], -v[161:162]
	ds_read_b128 v[1:4], v24 offset:1088
	v_mul_f64 v[169:170], v[14:15], v[175:176]
	v_add_f64 v[27:28], v[27:28], v[77:78]
	v_fma_f64 v[77:78], v[20:21], v[165:166], v[184:185]
	v_add_f64 v[9:10], v[9:10], v[67:68]
	s_clause 0x4
	buffer_load_dword v68, off, s[0:3], 0 offset:604
	buffer_load_dword v165, off, s[0:3], 0 offset:616
	;; [unrolled: 1-line block ×5, first 2 shown]
	ds_read_b128 v[18:21], v24 offset:1104
	s_waitcnt vmcnt(57) lgkmcnt(1)
	v_mul_f64 v[184:185], v[1:2], v[35:36]
	v_mul_f64 v[35:36], v[3:4], v[35:36]
	s_waitcnt vmcnt(56)
	v_fma_f64 v[173:174], v[14:15], v[180:181], -v[173:174]
	v_add_f64 v[27:28], v[27:28], v[161:162]
	v_fma_f64 v[161:162], v[16:17], v[180:181], v[169:170]
	v_add_f64 v[9:10], v[9:10], v[77:78]
	s_clause 0x2
	buffer_load_dword v166, off, s[0:3], 0 offset:620
	buffer_load_dword v78, off, s[0:3], 0 offset:596
	buffer_load_dword v77, off, s[0:3], 0 offset:592
	ds_read_b128 v[14:17], v24 offset:1120
	s_waitcnt vmcnt(58) lgkmcnt(1)
	v_mul_f64 v[169:170], v[18:19], v[163:164]
	v_mul_f64 v[163:164], v[20:21], v[163:164]
	s_waitcnt vmcnt(56)
	v_fma_f64 v[35:36], v[1:2], v[29:30], -v[35:36]
	v_fma_f64 v[29:30], v[3:4], v[29:30], v[184:185]
	v_add_f64 v[27:28], v[27:28], v[173:174]
	v_add_f64 v[9:10], v[9:10], v[161:162]
	s_clause 0x4
	buffer_load_dword v162, off, s[0:3], 0 offset:636
	buffer_load_dword v173, off, s[0:3], 0 offset:648
	;; [unrolled: 1-line block ×5, first 2 shown]
	s_waitcnt vmcnt(57) lgkmcnt(0)
	v_mul_f64 v[180:181], v[14:15], v[155:156]
	v_mul_f64 v[155:156], v[16:17], v[155:156]
	ds_read_b128 v[1:4], v24 offset:1136
	s_waitcnt vmcnt(56)
	v_fma_f64 v[163:164], v[18:19], v[182:183], -v[163:164]
	v_add_f64 v[27:28], v[27:28], v[35:36]
	v_fma_f64 v[35:36], v[20:21], v[182:183], v[169:170]
	v_add_f64 v[9:10], v[9:10], v[29:30]
	s_clause 0x2
	buffer_load_dword v174, off, s[0:3], 0 offset:652
	buffer_load_dword v30, off, s[0:3], 0 offset:628
	;; [unrolled: 1-line block ×3, first 2 shown]
	ds_read_b128 v[18:21], v24 offset:1152
	s_waitcnt vmcnt(58) lgkmcnt(1)
	v_mul_f64 v[169:170], v[1:2], v[157:158]
	v_mul_f64 v[157:158], v[3:4], v[157:158]
	s_waitcnt vmcnt(56)
	v_fma_f64 v[155:156], v[14:15], v[31:32], -v[155:156]
	v_fma_f64 v[31:32], v[16:17], v[31:32], v[180:181]
	v_add_f64 v[27:28], v[27:28], v[163:164]
	v_add_f64 v[9:10], v[9:10], v[35:36]
	s_clause 0x4
	buffer_load_dword v36, off, s[0:3], 0 offset:668
	buffer_load_dword v163, off, s[0:3], 0 offset:680
	;; [unrolled: 1-line block ×5, first 2 shown]
	ds_read_b128 v[14:17], v24 offset:1168
	s_waitcnt vmcnt(57) lgkmcnt(1)
	v_mul_f64 v[182:183], v[18:19], v[22:23]
	v_mul_f64 v[22:23], v[20:21], v[22:23]
	s_waitcnt vmcnt(56)
	v_fma_f64 v[157:158], v[1:2], v[177:178], -v[157:158]
	v_add_f64 v[27:28], v[27:28], v[155:156]
	v_fma_f64 v[155:156], v[3:4], v[177:178], v[169:170]
	v_add_f64 v[9:10], v[9:10], v[31:32]
	s_clause 0x2
	buffer_load_dword v164, off, s[0:3], 0 offset:684
	buffer_load_dword v32, off, s[0:3], 0 offset:660
	;; [unrolled: 1-line block ×3, first 2 shown]
	ds_read_b128 v[1:4], v24 offset:1184
	s_waitcnt vmcnt(58) lgkmcnt(1)
	v_mul_f64 v[169:170], v[14:15], v[55:56]
	v_mul_f64 v[55:56], v[16:17], v[55:56]
	s_waitcnt vmcnt(56)
	v_fma_f64 v[22:23], v[18:19], v[41:42], -v[22:23]
	v_fma_f64 v[41:42], v[20:21], v[41:42], v[182:183]
	v_add_f64 v[27:28], v[27:28], v[157:158]
	v_add_f64 v[9:10], v[9:10], v[155:156]
	s_clause 0x4
	buffer_load_dword v156, off, s[0:3], 0 offset:700
	buffer_load_dword v157, off, s[0:3], 0 offset:712
	buffer_load_dword v177, off, s[0:3], 0 offset:704
	buffer_load_dword v155, off, s[0:3], 0 offset:696
	buffer_load_dword v182, off, s[0:3], 0 offset:676
	ds_read_b128 v[18:21], v24 offset:1200
	s_waitcnt vmcnt(57) lgkmcnt(1)
	v_mul_f64 v[183:184], v[1:2], v[33:34]
	v_mul_f64 v[33:34], v[3:4], v[33:34]
	s_waitcnt vmcnt(56)
	v_fma_f64 v[55:56], v[14:15], v[159:160], -v[55:56]
	v_add_f64 v[22:23], v[27:28], v[22:23]
	v_fma_f64 v[27:28], v[16:17], v[159:160], v[169:170]
	v_add_f64 v[9:10], v[9:10], v[41:42]
	s_clause 0x2
	buffer_load_dword v158, off, s[0:3], 0 offset:716
	buffer_load_dword v42, off, s[0:3], 0 offset:692
	;; [unrolled: 1-line block ×3, first 2 shown]
	s_waitcnt vmcnt(58) lgkmcnt(0)
	v_mul_f64 v[159:160], v[18:19], v[61:62]
	v_mul_f64 v[61:62], v[20:21], v[61:62]
	ds_read_b128 v[14:17], v24 offset:1216
	s_waitcnt vmcnt(56)
	v_fma_f64 v[33:34], v[1:2], v[47:48], -v[33:34]
	v_fma_f64 v[47:48], v[3:4], v[47:48], v[183:184]
	v_add_f64 v[22:23], v[22:23], v[55:56]
	v_add_f64 v[9:10], v[9:10], v[27:28]
	s_clause 0x4
	buffer_load_dword v28, off, s[0:3], 0 offset:732
	buffer_load_dword v55, off, s[0:3], 0 offset:744
	;; [unrolled: 1-line block ×5, first 2 shown]
	ds_read_b128 v[1:4], v24 offset:1232
	s_waitcnt vmcnt(57) lgkmcnt(1)
	v_mul_f64 v[183:184], v[14:15], v[43:44]
	v_mul_f64 v[43:44], v[16:17], v[43:44]
	s_waitcnt vmcnt(56)
	v_fma_f64 v[61:62], v[18:19], v[63:64], -v[61:62]
	v_add_f64 v[22:23], v[22:23], v[33:34]
	v_fma_f64 v[33:34], v[20:21], v[63:64], v[159:160]
	v_add_f64 v[9:10], v[9:10], v[47:48]
	s_clause 0x2
	buffer_load_dword v56, off, s[0:3], 0 offset:748
	buffer_load_dword v48, off, s[0:3], 0 offset:724
	;; [unrolled: 1-line block ×3, first 2 shown]
	ds_read_b128 v[18:21], v24 offset:1248
	buffer_load_dword v170, off, s[0:3], 0 offset:740
	s_waitcnt vmcnt(59) lgkmcnt(1)
	v_mul_f64 v[63:64], v[1:2], v[73:74]
	v_mul_f64 v[73:74], v[3:4], v[73:74]
	s_waitcnt vmcnt(57)
	v_fma_f64 v[43:44], v[14:15], v[45:46], -v[43:44]
	v_fma_f64 v[45:46], v[16:17], v[45:46], v[183:184]
	ds_read_b128 v[14:17], v24 offset:1264
	v_add_f64 v[22:23], v[22:23], v[61:62]
	v_add_f64 v[9:10], v[9:10], v[33:34]
	s_waitcnt vmcnt(53) lgkmcnt(1)
	v_mul_f64 v[33:34], v[18:19], v[53:54]
	v_mul_f64 v[53:54], v[20:21], v[53:54]
	s_waitcnt vmcnt(52)
	v_fma_f64 v[61:62], v[1:2], v[75:76], -v[73:74]
	v_add_f64 v[22:23], v[22:23], v[43:44]
	v_fma_f64 v[43:44], v[3:4], v[75:76], v[63:64]
	v_add_f64 v[9:10], v[9:10], v[45:46]
	ds_read_b128 v[1:4], v24 offset:1280
	s_waitcnt vmcnt(51) lgkmcnt(1)
	v_mul_f64 v[63:64], v[16:17], v[79:80]
	v_mul_f64 v[45:46], v[14:15], v[79:80]
	s_waitcnt vmcnt(49)
	v_fma_f64 v[53:54], v[18:19], v[57:58], -v[53:54]
	v_fma_f64 v[33:34], v[20:21], v[57:58], v[33:34]
	v_add_f64 v[22:23], v[22:23], v[61:62]
	v_add_f64 v[9:10], v[9:10], v[43:44]
	s_clause 0x3
	buffer_load_dword v43, off, s[0:3], 0 offset:48
	buffer_load_dword v44, off, s[0:3], 0 offset:52
	;; [unrolled: 1-line block ×4, first 2 shown]
	ds_read_b128 v[18:21], v24 offset:1296
	s_waitcnt vmcnt(49) lgkmcnt(1)
	v_mul_f64 v[61:62], v[1:2], v[59:60]
	v_mul_f64 v[59:60], v[3:4], v[59:60]
	s_waitcnt vmcnt(48)
	v_fma_f64 v[63:64], v[14:15], v[153:154], -v[63:64]
	v_fma_f64 v[45:46], v[16:17], v[153:154], v[45:46]
	ds_read_b128 v[14:17], v24 offset:1312
	v_add_f64 v[22:23], v[22:23], v[53:54]
	v_add_f64 v[9:10], v[9:10], v[33:34]
	s_waitcnt vmcnt(47) lgkmcnt(1)
	v_mul_f64 v[53:54], v[20:21], v[167:168]
	v_mul_f64 v[33:34], v[18:19], v[167:168]
	s_waitcnt vmcnt(45)
	v_fma_f64 v[59:60], v[1:2], v[65:66], -v[59:60]
	v_fma_f64 v[61:62], v[3:4], v[65:66], v[61:62]
	ds_read_b128 v[1:4], v24 offset:1328
	v_add_f64 v[22:23], v[22:23], v[63:64]
	v_add_f64 v[9:10], v[9:10], v[45:46]
	s_waitcnt vmcnt(41) lgkmcnt(1)
	v_mul_f64 v[63:64], v[16:17], v[67:68]
	s_waitcnt vmcnt(40)
	v_fma_f64 v[53:54], v[18:19], v[171:172], -v[53:54]
	v_mul_f64 v[45:46], v[14:15], v[67:68]
	v_fma_f64 v[33:34], v[20:21], v[171:172], v[33:34]
	ds_read_b128 v[18:21], v24 offset:1344
	v_add_f64 v[22:23], v[22:23], v[59:60]
	v_add_f64 v[9:10], v[9:10], v[61:62]
	s_waitcnt vmcnt(39) lgkmcnt(1)
	v_mul_f64 v[61:62], v[3:4], v[165:166]
	v_mul_f64 v[59:60], v[1:2], v[165:166]
	s_waitcnt vmcnt(37)
	v_fma_f64 v[63:64], v[14:15], v[77:78], -v[63:64]
	v_fma_f64 v[45:46], v[16:17], v[77:78], v[45:46]
	ds_read_b128 v[14:17], v24 offset:1360
	v_add_f64 v[22:23], v[22:23], v[53:54]
	v_add_f64 v[9:10], v[9:10], v[33:34]
	s_waitcnt vmcnt(33) lgkmcnt(1)
	v_mul_f64 v[53:54], v[20:21], v[161:162]
	s_waitcnt vmcnt(32)
	v_fma_f64 v[61:62], v[1:2], v[175:176], -v[61:62]
	v_mul_f64 v[33:34], v[18:19], v[161:162]
	v_fma_f64 v[59:60], v[3:4], v[175:176], v[59:60]
	ds_read_b128 v[1:4], v24 offset:1376
	v_add_f64 v[22:23], v[22:23], v[63:64]
	v_add_f64 v[9:10], v[9:10], v[45:46]
	s_waitcnt vmcnt(31) lgkmcnt(1)
	v_mul_f64 v[63:64], v[16:17], v[173:174]
	v_mul_f64 v[45:46], v[14:15], v[173:174]
	s_waitcnt vmcnt(29)
	v_fma_f64 v[53:54], v[18:19], v[29:30], -v[53:54]
	v_fma_f64 v[29:30], v[20:21], v[29:30], v[33:34]
	ds_read_b128 v[18:21], v24 offset:1392
	v_add_f64 v[22:23], v[22:23], v[61:62]
	v_add_f64 v[9:10], v[9:10], v[59:60]
	s_waitcnt vmcnt(25) lgkmcnt(1)
	v_mul_f64 v[33:34], v[1:2], v[35:36]
	v_mul_f64 v[35:36], v[3:4], v[35:36]
	s_waitcnt vmcnt(24)
	v_fma_f64 v[59:60], v[14:15], v[179:180], -v[63:64]
	;; [unrolled: 9-line block ×3, first 2 shown]
	v_fma_f64 v[31:32], v[3:4], v[31:32], v[33:34]
	ds_read_b128 v[1:4], v24 offset:1424
	v_add_f64 v[22:23], v[22:23], v[59:60]
	v_add_f64 v[9:10], v[9:10], v[45:46]
	s_waitcnt vmcnt(17) lgkmcnt(1)
	v_mul_f64 v[45:46], v[16:17], v[155:156]
	s_waitcnt vmcnt(16)
	v_fma_f64 v[53:54], v[18:19], v[181:182], -v[53:54]
	v_mul_f64 v[33:34], v[14:15], v[155:156]
	v_fma_f64 v[29:30], v[20:21], v[181:182], v[29:30]
	ds_read_b128 v[18:21], v24 offset:1440
	v_add_f64 v[22:23], v[22:23], v[35:36]
	v_add_f64 v[9:10], v[9:10], v[31:32]
	s_waitcnt vmcnt(15) lgkmcnt(1)
	v_mul_f64 v[35:36], v[3:4], v[157:158]
	v_mul_f64 v[31:32], v[1:2], v[157:158]
	s_waitcnt vmcnt(13)
	v_fma_f64 v[45:46], v[14:15], v[41:42], -v[45:46]
	v_fma_f64 v[33:34], v[16:17], v[41:42], v[33:34]
	ds_read_b128 v[14:17], v24 offset:1456
	v_add_f64 v[22:23], v[22:23], v[53:54]
	v_add_f64 v[9:10], v[9:10], v[29:30]
	s_waitcnt vmcnt(9) lgkmcnt(1)
	v_mul_f64 v[29:30], v[18:19], v[27:28]
	v_mul_f64 v[27:28], v[20:21], v[27:28]
	s_waitcnt vmcnt(8)
	v_fma_f64 v[1:2], v[1:2], v[177:178], -v[35:36]
	v_fma_f64 v[3:4], v[3:4], v[177:178], v[31:32]
	v_add_f64 v[22:23], v[22:23], v[45:46]
	v_add_f64 v[9:10], v[9:10], v[33:34]
	s_waitcnt vmcnt(7) lgkmcnt(0)
	v_mul_f64 v[33:34], v[16:17], v[55:56]
	v_mul_f64 v[31:32], v[14:15], v[55:56]
	s_waitcnt vmcnt(5)
	v_fma_f64 v[18:19], v[18:19], v[47:48], -v[27:28]
	v_fma_f64 v[20:21], v[20:21], v[47:48], v[29:30]
	v_add_f64 v[1:2], v[22:23], v[1:2]
	v_add_f64 v[3:4], v[9:10], v[3:4]
	s_waitcnt vmcnt(4)
	v_fma_f64 v[9:10], v[14:15], v[169:170], -v[33:34]
	v_fma_f64 v[14:15], v[16:17], v[169:170], v[31:32]
	v_add_f64 v[1:2], v[1:2], v[18:19]
	v_add_f64 v[3:4], v[3:4], v[20:21]
	;; [unrolled: 1-line block ×4, first 2 shown]
	s_waitcnt vmcnt(2)
	v_add_f64 v[1:2], v[43:44], -v[1:2]
	s_waitcnt vmcnt(0)
	v_add_f64 v[3:4], v[57:58], -v[3:4]
	buffer_store_dword v2, off, s[0:3], 0 offset:52
	buffer_store_dword v1, off, s[0:3], 0 offset:48
	;; [unrolled: 1-line block ×4, first 2 shown]
	v_cmpx_lt_u32_e32 1, v0
	s_cbranch_execz .LBB45_287
; %bb.286:
	v_mov_b32_e32 v4, s53
	s_clause 0x3
	buffer_load_dword v1, v4, s[0:3], 0 offen
	buffer_load_dword v2, v4, s[0:3], 0 offen offset:4
	buffer_load_dword v3, v4, s[0:3], 0 offen offset:8
	;; [unrolled: 1-line block ×3, first 2 shown]
	buffer_store_dword v24, off, s[0:3], 0 offset:32
	buffer_store_dword v24, off, s[0:3], 0 offset:36
	;; [unrolled: 1-line block ×4, first 2 shown]
	s_waitcnt vmcnt(0)
	ds_write_b128 v11, v[1:4]
.LBB45_287:
	s_or_b32 exec_lo, exec_lo, s4
	s_waitcnt lgkmcnt(0)
	s_waitcnt_vscnt null, 0x0
	s_barrier
	buffer_gl0_inv
	s_clause 0x37
	buffer_load_dword v16, off, s[0:3], 0 offset:56
	buffer_load_dword v17, off, s[0:3], 0 offset:60
	buffer_load_dword v9, off, s[0:3], 0 offset:72
	buffer_load_dword v10, off, s[0:3], 0 offset:76
	buffer_load_dword v14, off, s[0:3], 0 offset:48
	buffer_load_dword v15, off, s[0:3], 0 offset:52
	buffer_load_dword v3, off, s[0:3], 0 offset:88
	buffer_load_dword v4, off, s[0:3], 0 offset:92
	buffer_load_dword v1, off, s[0:3], 0 offset:64
	buffer_load_dword v2, off, s[0:3], 0 offset:68
	buffer_load_dword v21, off, s[0:3], 0 offset:108
	buffer_load_dword v27, off, s[0:3], 0 offset:120
	buffer_load_dword v18, off, s[0:3], 0 offset:112
	buffer_load_dword v20, off, s[0:3], 0 offset:104
	buffer_load_dword v35, off, s[0:3], 0 offset:80
	buffer_load_dword v36, off, s[0:3], 0 offset:84
	buffer_load_dword v28, off, s[0:3], 0 offset:124
	buffer_load_dword v30, off, s[0:3], 0 offset:100
	buffer_load_dword v29, off, s[0:3], 0 offset:96
	buffer_load_dword v32, off, s[0:3], 0 offset:140
	buffer_load_dword v41, off, s[0:3], 0 offset:152
	buffer_load_dword v22, off, s[0:3], 0 offset:144
	buffer_load_dword v31, off, s[0:3], 0 offset:136
	buffer_load_dword v19, off, s[0:3], 0 offset:116
	buffer_load_dword v42, off, s[0:3], 0 offset:156
	buffer_load_dword v44, off, s[0:3], 0 offset:132
	buffer_load_dword v43, off, s[0:3], 0 offset:128
	buffer_load_dword v46, off, s[0:3], 0 offset:172
	buffer_load_dword v53, off, s[0:3], 0 offset:184
	buffer_load_dword v33, off, s[0:3], 0 offset:176
	buffer_load_dword v45, off, s[0:3], 0 offset:168
	buffer_load_dword v23, off, s[0:3], 0 offset:148
	buffer_load_dword v54, off, s[0:3], 0 offset:188
	buffer_load_dword v56, off, s[0:3], 0 offset:164
	buffer_load_dword v55, off, s[0:3], 0 offset:160
	buffer_load_dword v58, off, s[0:3], 0 offset:204
	buffer_load_dword v61, off, s[0:3], 0 offset:216
	buffer_load_dword v47, off, s[0:3], 0 offset:208
	buffer_load_dword v57, off, s[0:3], 0 offset:200
	buffer_load_dword v34, off, s[0:3], 0 offset:180
	buffer_load_dword v62, off, s[0:3], 0 offset:220
	buffer_load_dword v64, off, s[0:3], 0 offset:196
	buffer_load_dword v63, off, s[0:3], 0 offset:192
	buffer_load_dword v66, off, s[0:3], 0 offset:236
	buffer_load_dword v73, off, s[0:3], 0 offset:248
	buffer_load_dword v59, off, s[0:3], 0 offset:240
	buffer_load_dword v65, off, s[0:3], 0 offset:232
	buffer_load_dword v48, off, s[0:3], 0 offset:212
	buffer_load_dword v74, off, s[0:3], 0 offset:252
	buffer_load_dword v76, off, s[0:3], 0 offset:228
	buffer_load_dword v75, off, s[0:3], 0 offset:224
	buffer_load_dword v78, off, s[0:3], 0 offset:268
	buffer_load_dword v79, off, s[0:3], 0 offset:280
	buffer_load_dword v67, off, s[0:3], 0 offset:272
	buffer_load_dword v77, off, s[0:3], 0 offset:264
	buffer_load_dword v60, off, s[0:3], 0 offset:244
	ds_read_b128 v[155:158], v24 offset:768
	s_clause 0x2
	buffer_load_dword v80, off, s[0:3], 0 offset:284
	buffer_load_dword v154, off, s[0:3], 0 offset:260
	;; [unrolled: 1-line block ×3, first 2 shown]
	ds_read_b128 v[159:162], v24 offset:784
	s_clause 0x4
	buffer_load_dword v170, off, s[0:3], 0 offset:300
	buffer_load_dword v171, off, s[0:3], 0 offset:312
	;; [unrolled: 1-line block ×5, first 2 shown]
	ds_read_b128 v[163:166], v24 offset:800
	s_mov_b32 s4, exec_lo
	s_waitcnt vmcnt(62) lgkmcnt(2)
	v_mul_f64 v[167:168], v[157:158], v[16:17]
	v_mul_f64 v[16:17], v[155:156], v[16:17]
	s_waitcnt vmcnt(60) lgkmcnt(1)
	v_mul_f64 v[174:175], v[161:162], v[9:10]
	v_mul_f64 v[9:10], v[159:160], v[9:10]
	;; [unrolled: 3-line block ×3, first 2 shown]
	v_fma_f64 v[155:156], v[155:156], v[14:15], -v[167:168]
	v_fma_f64 v[157:158], v[157:158], v[14:15], v[16:17]
	s_clause 0x2
	buffer_load_dword v172, off, s[0:3], 0 offset:316
	buffer_load_dword v168, off, s[0:3], 0 offset:292
	buffer_load_dword v167, off, s[0:3], 0 offset:288
	s_waitcnt vmcnt(57)
	v_fma_f64 v[159:160], v[159:160], v[1:2], -v[174:175]
	ds_read_b128 v[14:17], v24 offset:816
	v_fma_f64 v[9:10], v[161:162], v[1:2], v[9:10]
	s_clause 0x4
	buffer_load_dword v162, off, s[0:3], 0 offset:332
	buffer_load_dword v175, off, s[0:3], 0 offset:344
	buffer_load_dword v180, off, s[0:3], 0 offset:336
	buffer_load_dword v161, off, s[0:3], 0 offset:328
	buffer_load_dword v174, off, s[0:3], 0 offset:308
	s_waitcnt vmcnt(56)
	v_fma_f64 v[163:164], v[163:164], v[35:36], -v[178:179]
	ds_read_b128 v[1:4], v24 offset:832
	v_fma_f64 v[35:36], v[165:166], v[35:36], v[176:177]
	s_clause 0x2
	buffer_load_dword v176, off, s[0:3], 0 offset:348
	buffer_load_dword v166, off, s[0:3], 0 offset:324
	;; [unrolled: 1-line block ×3, first 2 shown]
	v_add_f64 v[155:156], v[155:156], 0
	v_add_f64 v[157:158], v[157:158], 0
	s_waitcnt lgkmcnt(1)
	v_mul_f64 v[181:182], v[14:15], v[20:21]
	v_mul_f64 v[20:21], v[16:17], v[20:21]
	s_waitcnt vmcnt(58) lgkmcnt(0)
	v_mul_f64 v[177:178], v[1:2], v[27:28]
	v_mul_f64 v[27:28], v[3:4], v[27:28]
	v_add_f64 v[159:160], v[155:156], v[159:160]
	v_add_f64 v[9:10], v[157:158], v[9:10]
	ds_read_b128 v[155:158], v24 offset:848
	s_waitcnt vmcnt(56)
	v_fma_f64 v[20:21], v[14:15], v[29:30], -v[20:21]
	v_fma_f64 v[29:30], v[16:17], v[29:30], v[181:182]
	s_waitcnt vmcnt(51)
	v_fma_f64 v[27:28], v[1:2], v[18:19], -v[27:28]
	v_fma_f64 v[18:19], v[3:4], v[18:19], v[177:178]
	s_waitcnt lgkmcnt(0)
	v_mul_f64 v[183:184], v[155:156], v[31:32]
	v_add_f64 v[159:160], v[159:160], v[163:164]
	v_add_f64 v[9:10], v[9:10], v[35:36]
	s_clause 0x4
	buffer_load_dword v36, off, s[0:3], 0 offset:364
	buffer_load_dword v163, off, s[0:3], 0 offset:376
	;; [unrolled: 1-line block ×5, first 2 shown]
	v_mul_f64 v[31:32], v[157:158], v[31:32]
	ds_read_b128 v[14:17], v24 offset:864
	v_add_f64 v[20:21], v[159:160], v[20:21]
	v_add_f64 v[9:10], v[9:10], v[29:30]
	s_clause 0x2
	buffer_load_dword v164, off, s[0:3], 0 offset:380
	buffer_load_dword v30, off, s[0:3], 0 offset:356
	;; [unrolled: 1-line block ×3, first 2 shown]
	s_waitcnt vmcnt(58) lgkmcnt(0)
	v_mul_f64 v[159:160], v[14:15], v[41:42]
	v_mul_f64 v[41:42], v[16:17], v[41:42]
	s_waitcnt vmcnt(56)
	v_fma_f64 v[31:32], v[155:156], v[43:44], -v[31:32]
	ds_read_b128 v[1:4], v24 offset:880
	v_fma_f64 v[43:44], v[157:158], v[43:44], v[183:184]
	s_clause 0x4
	buffer_load_dword v156, off, s[0:3], 0 offset:396
	buffer_load_dword v157, off, s[0:3], 0 offset:408
	;; [unrolled: 1-line block ×5, first 2 shown]
	v_add_f64 v[27:28], v[20:21], v[27:28]
	v_add_f64 v[9:10], v[9:10], v[18:19]
	ds_read_b128 v[18:21], v24 offset:896
	s_waitcnt vmcnt(57) lgkmcnt(1)
	v_mul_f64 v[178:179], v[1:2], v[45:46]
	v_mul_f64 v[45:46], v[3:4], v[45:46]
	s_waitcnt vmcnt(56)
	v_fma_f64 v[41:42], v[14:15], v[22:23], -v[41:42]
	v_fma_f64 v[22:23], v[16:17], v[22:23], v[159:160]
	v_add_f64 v[27:28], v[27:28], v[31:32]
	v_add_f64 v[9:10], v[9:10], v[43:44]
	s_clause 0x2
	buffer_load_dword v158, off, s[0:3], 0 offset:412
	buffer_load_dword v32, off, s[0:3], 0 offset:388
	;; [unrolled: 1-line block ×3, first 2 shown]
	s_waitcnt vmcnt(58) lgkmcnt(0)
	v_mul_f64 v[43:44], v[18:19], v[53:54]
	v_mul_f64 v[53:54], v[20:21], v[53:54]
	s_waitcnt vmcnt(56)
	v_fma_f64 v[45:46], v[1:2], v[55:56], -v[45:46]
	ds_read_b128 v[14:17], v24 offset:912
	v_add_f64 v[27:28], v[27:28], v[41:42]
	v_fma_f64 v[41:42], v[3:4], v[55:56], v[178:179]
	v_add_f64 v[9:10], v[9:10], v[22:23]
	s_clause 0x4
	buffer_load_dword v23, off, s[0:3], 0 offset:428
	buffer_load_dword v55, off, s[0:3], 0 offset:440
	;; [unrolled: 1-line block ×5, first 2 shown]
	s_waitcnt vmcnt(57) lgkmcnt(0)
	v_mul_f64 v[184:185], v[14:15], v[57:58]
	v_mul_f64 v[57:58], v[16:17], v[57:58]
	s_waitcnt vmcnt(56)
	v_fma_f64 v[53:54], v[18:19], v[33:34], -v[53:54]
	ds_read_b128 v[1:4], v24 offset:928
	v_fma_f64 v[33:34], v[20:21], v[33:34], v[43:44]
	v_add_f64 v[27:28], v[27:28], v[45:46]
	v_add_f64 v[9:10], v[9:10], v[41:42]
	s_clause 0x2
	buffer_load_dword v56, off, s[0:3], 0 offset:444
	buffer_load_dword v42, off, s[0:3], 0 offset:420
	;; [unrolled: 1-line block ×3, first 2 shown]
	ds_read_b128 v[18:21], v24 offset:944
	s_waitcnt vmcnt(58) lgkmcnt(1)
	v_mul_f64 v[45:46], v[3:4], v[61:62]
	s_waitcnt vmcnt(56)
	v_fma_f64 v[57:58], v[14:15], v[63:64], -v[57:58]
	v_mul_f64 v[43:44], v[1:2], v[61:62]
	v_add_f64 v[27:28], v[27:28], v[53:54]
	v_fma_f64 v[53:54], v[16:17], v[63:64], v[184:185]
	v_add_f64 v[9:10], v[9:10], v[33:34]
	s_clause 0x4
	buffer_load_dword v34, off, s[0:3], 0 offset:460
	buffer_load_dword v61, off, s[0:3], 0 offset:472
	;; [unrolled: 1-line block ×5, first 2 shown]
	s_waitcnt vmcnt(57) lgkmcnt(0)
	v_mul_f64 v[184:185], v[18:19], v[65:66]
	v_mul_f64 v[64:65], v[20:21], v[65:66]
	s_waitcnt vmcnt(56)
	v_fma_f64 v[45:46], v[1:2], v[47:48], -v[45:46]
	ds_read_b128 v[14:17], v24 offset:960
	v_fma_f64 v[43:44], v[3:4], v[47:48], v[43:44]
	s_clause 0x2
	buffer_load_dword v62, off, s[0:3], 0 offset:476
	buffer_load_dword v48, off, s[0:3], 0 offset:452
	;; [unrolled: 1-line block ×3, first 2 shown]
	ds_read_b128 v[1:4], v24 offset:976
	v_add_f64 v[27:28], v[27:28], v[57:58]
	v_add_f64 v[9:10], v[9:10], v[53:54]
	s_waitcnt vmcnt(58) lgkmcnt(1)
	v_mul_f64 v[57:58], v[16:17], v[73:74]
	s_waitcnt vmcnt(56)
	v_fma_f64 v[65:66], v[18:19], v[75:76], -v[64:65]
	v_mul_f64 v[53:54], v[14:15], v[73:74]
	v_add_f64 v[27:28], v[27:28], v[45:46]
	v_fma_f64 v[45:46], v[20:21], v[75:76], v[184:185]
	v_add_f64 v[9:10], v[9:10], v[43:44]
	s_clause 0x4
	buffer_load_dword v44, off, s[0:3], 0 offset:492
	buffer_load_dword v73, off, s[0:3], 0 offset:504
	;; [unrolled: 1-line block ×5, first 2 shown]
	s_waitcnt vmcnt(57) lgkmcnt(0)
	v_mul_f64 v[184:185], v[1:2], v[77:78]
	v_mul_f64 v[76:77], v[3:4], v[77:78]
	s_waitcnt vmcnt(56)
	v_fma_f64 v[57:58], v[14:15], v[59:60], -v[57:58]
	ds_read_b128 v[18:21], v24 offset:992
	v_fma_f64 v[53:54], v[16:17], v[59:60], v[53:54]
	v_add_f64 v[27:28], v[27:28], v[65:66]
	v_add_f64 v[9:10], v[9:10], v[45:46]
	s_clause 0x2
	buffer_load_dword v74, off, s[0:3], 0 offset:508
	buffer_load_dword v46, off, s[0:3], 0 offset:484
	;; [unrolled: 1-line block ×3, first 2 shown]
	ds_read_b128 v[14:17], v24 offset:1008
	s_waitcnt vmcnt(58) lgkmcnt(1)
	v_mul_f64 v[65:66], v[20:21], v[79:80]
	s_waitcnt vmcnt(56)
	v_fma_f64 v[77:78], v[1:2], v[153:154], -v[76:77]
	v_mul_f64 v[59:60], v[18:19], v[79:80]
	v_add_f64 v[27:28], v[27:28], v[57:58]
	v_fma_f64 v[57:58], v[3:4], v[153:154], v[184:185]
	v_add_f64 v[9:10], v[9:10], v[53:54]
	s_clause 0x4
	buffer_load_dword v54, off, s[0:3], 0 offset:524
	buffer_load_dword v79, off, s[0:3], 0 offset:536
	;; [unrolled: 1-line block ×5, first 2 shown]
	s_waitcnt vmcnt(57) lgkmcnt(0)
	v_mul_f64 v[184:185], v[14:15], v[169:170]
	v_mul_f64 v[169:170], v[16:17], v[169:170]
	s_waitcnt vmcnt(56)
	v_fma_f64 v[65:66], v[18:19], v[67:68], -v[65:66]
	ds_read_b128 v[1:4], v24 offset:1024
	v_fma_f64 v[59:60], v[20:21], v[67:68], v[59:60]
	v_add_f64 v[27:28], v[27:28], v[77:78]
	v_add_f64 v[9:10], v[9:10], v[57:58]
	s_clause 0x2
	buffer_load_dword v80, off, s[0:3], 0 offset:540
	buffer_load_dword v58, off, s[0:3], 0 offset:516
	;; [unrolled: 1-line block ×3, first 2 shown]
	ds_read_b128 v[18:21], v24 offset:1040
	s_waitcnt vmcnt(58) lgkmcnt(1)
	v_mul_f64 v[77:78], v[3:4], v[171:172]
	v_mul_f64 v[67:68], v[1:2], v[171:172]
	s_waitcnt vmcnt(56)
	v_fma_f64 v[169:170], v[14:15], v[167:168], -v[169:170]
	v_add_f64 v[27:28], v[27:28], v[65:66]
	v_fma_f64 v[65:66], v[16:17], v[167:168], v[184:185]
	v_add_f64 v[9:10], v[9:10], v[59:60]
	s_clause 0x4
	buffer_load_dword v60, off, s[0:3], 0 offset:556
	buffer_load_dword v167, off, s[0:3], 0 offset:568
	;; [unrolled: 1-line block ×5, first 2 shown]
	s_waitcnt vmcnt(57) lgkmcnt(0)
	v_mul_f64 v[184:185], v[18:19], v[161:162]
	v_mul_f64 v[161:162], v[20:21], v[161:162]
	ds_read_b128 v[14:17], v24 offset:1056
	s_waitcnt vmcnt(56)
	v_fma_f64 v[77:78], v[1:2], v[173:174], -v[77:78]
	v_fma_f64 v[67:68], v[3:4], v[173:174], v[67:68]
	v_add_f64 v[27:28], v[27:28], v[169:170]
	v_add_f64 v[9:10], v[9:10], v[65:66]
	s_clause 0x2
	buffer_load_dword v168, off, s[0:3], 0 offset:572
	buffer_load_dword v66, off, s[0:3], 0 offset:548
	;; [unrolled: 1-line block ×3, first 2 shown]
	s_waitcnt vmcnt(58) lgkmcnt(0)
	v_mul_f64 v[173:174], v[16:17], v[175:176]
	s_waitcnt vmcnt(56)
	v_fma_f64 v[161:162], v[18:19], v[165:166], -v[161:162]
	ds_read_b128 v[1:4], v24 offset:1072
	v_mul_f64 v[169:170], v[14:15], v[175:176]
	v_add_f64 v[27:28], v[27:28], v[77:78]
	v_fma_f64 v[77:78], v[20:21], v[165:166], v[184:185]
	v_add_f64 v[9:10], v[9:10], v[67:68]
	s_clause 0x4
	buffer_load_dword v68, off, s[0:3], 0 offset:588
	buffer_load_dword v165, off, s[0:3], 0 offset:600
	;; [unrolled: 1-line block ×5, first 2 shown]
	ds_read_b128 v[18:21], v24 offset:1088
	s_waitcnt vmcnt(57) lgkmcnt(1)
	v_mul_f64 v[184:185], v[1:2], v[35:36]
	v_mul_f64 v[35:36], v[3:4], v[35:36]
	s_waitcnt vmcnt(56)
	v_fma_f64 v[173:174], v[14:15], v[180:181], -v[173:174]
	v_add_f64 v[27:28], v[27:28], v[161:162]
	v_fma_f64 v[161:162], v[16:17], v[180:181], v[169:170]
	v_add_f64 v[9:10], v[9:10], v[77:78]
	s_clause 0x2
	buffer_load_dword v166, off, s[0:3], 0 offset:604
	buffer_load_dword v78, off, s[0:3], 0 offset:580
	;; [unrolled: 1-line block ×3, first 2 shown]
	ds_read_b128 v[14:17], v24 offset:1104
	s_waitcnt vmcnt(58) lgkmcnt(1)
	v_mul_f64 v[169:170], v[18:19], v[163:164]
	v_mul_f64 v[163:164], v[20:21], v[163:164]
	s_waitcnt vmcnt(56)
	v_fma_f64 v[35:36], v[1:2], v[29:30], -v[35:36]
	v_fma_f64 v[29:30], v[3:4], v[29:30], v[184:185]
	v_add_f64 v[27:28], v[27:28], v[173:174]
	v_add_f64 v[9:10], v[9:10], v[161:162]
	s_clause 0x4
	buffer_load_dword v162, off, s[0:3], 0 offset:620
	buffer_load_dword v173, off, s[0:3], 0 offset:632
	;; [unrolled: 1-line block ×5, first 2 shown]
	s_waitcnt vmcnt(57) lgkmcnt(0)
	v_mul_f64 v[180:181], v[14:15], v[155:156]
	v_mul_f64 v[155:156], v[16:17], v[155:156]
	ds_read_b128 v[1:4], v24 offset:1120
	s_waitcnt vmcnt(56)
	v_fma_f64 v[163:164], v[18:19], v[182:183], -v[163:164]
	v_add_f64 v[27:28], v[27:28], v[35:36]
	v_fma_f64 v[35:36], v[20:21], v[182:183], v[169:170]
	v_add_f64 v[9:10], v[9:10], v[29:30]
	s_clause 0x2
	buffer_load_dword v174, off, s[0:3], 0 offset:636
	buffer_load_dword v30, off, s[0:3], 0 offset:612
	;; [unrolled: 1-line block ×3, first 2 shown]
	ds_read_b128 v[18:21], v24 offset:1136
	s_waitcnt vmcnt(58) lgkmcnt(1)
	v_mul_f64 v[169:170], v[1:2], v[157:158]
	v_mul_f64 v[157:158], v[3:4], v[157:158]
	s_waitcnt vmcnt(56)
	v_fma_f64 v[155:156], v[14:15], v[31:32], -v[155:156]
	v_fma_f64 v[31:32], v[16:17], v[31:32], v[180:181]
	v_add_f64 v[27:28], v[27:28], v[163:164]
	v_add_f64 v[9:10], v[9:10], v[35:36]
	s_clause 0x4
	buffer_load_dword v36, off, s[0:3], 0 offset:652
	buffer_load_dword v163, off, s[0:3], 0 offset:664
	;; [unrolled: 1-line block ×5, first 2 shown]
	ds_read_b128 v[14:17], v24 offset:1152
	s_waitcnt vmcnt(57) lgkmcnt(1)
	v_mul_f64 v[182:183], v[18:19], v[22:23]
	v_mul_f64 v[22:23], v[20:21], v[22:23]
	s_waitcnt vmcnt(56)
	v_fma_f64 v[157:158], v[1:2], v[177:178], -v[157:158]
	v_add_f64 v[27:28], v[27:28], v[155:156]
	v_fma_f64 v[155:156], v[3:4], v[177:178], v[169:170]
	v_add_f64 v[9:10], v[9:10], v[31:32]
	s_clause 0x2
	buffer_load_dword v164, off, s[0:3], 0 offset:668
	buffer_load_dword v32, off, s[0:3], 0 offset:644
	;; [unrolled: 1-line block ×3, first 2 shown]
	ds_read_b128 v[1:4], v24 offset:1168
	s_waitcnt vmcnt(58) lgkmcnt(1)
	v_mul_f64 v[169:170], v[14:15], v[55:56]
	v_mul_f64 v[55:56], v[16:17], v[55:56]
	s_waitcnt vmcnt(56)
	v_fma_f64 v[22:23], v[18:19], v[41:42], -v[22:23]
	v_fma_f64 v[41:42], v[20:21], v[41:42], v[182:183]
	v_add_f64 v[27:28], v[27:28], v[157:158]
	v_add_f64 v[9:10], v[9:10], v[155:156]
	s_clause 0x4
	buffer_load_dword v156, off, s[0:3], 0 offset:684
	buffer_load_dword v157, off, s[0:3], 0 offset:696
	;; [unrolled: 1-line block ×5, first 2 shown]
	ds_read_b128 v[18:21], v24 offset:1184
	s_waitcnt vmcnt(57) lgkmcnt(1)
	v_mul_f64 v[183:184], v[1:2], v[33:34]
	v_mul_f64 v[33:34], v[3:4], v[33:34]
	s_waitcnt vmcnt(56)
	v_fma_f64 v[55:56], v[14:15], v[159:160], -v[55:56]
	v_add_f64 v[22:23], v[27:28], v[22:23]
	v_fma_f64 v[27:28], v[16:17], v[159:160], v[169:170]
	v_add_f64 v[9:10], v[9:10], v[41:42]
	s_clause 0x2
	buffer_load_dword v158, off, s[0:3], 0 offset:700
	buffer_load_dword v42, off, s[0:3], 0 offset:676
	;; [unrolled: 1-line block ×3, first 2 shown]
	s_waitcnt vmcnt(58) lgkmcnt(0)
	v_mul_f64 v[159:160], v[18:19], v[61:62]
	v_mul_f64 v[61:62], v[20:21], v[61:62]
	ds_read_b128 v[14:17], v24 offset:1200
	s_waitcnt vmcnt(56)
	v_fma_f64 v[33:34], v[1:2], v[47:48], -v[33:34]
	v_fma_f64 v[47:48], v[3:4], v[47:48], v[183:184]
	v_add_f64 v[22:23], v[22:23], v[55:56]
	v_add_f64 v[9:10], v[9:10], v[27:28]
	s_clause 0x4
	buffer_load_dword v28, off, s[0:3], 0 offset:716
	buffer_load_dword v55, off, s[0:3], 0 offset:728
	;; [unrolled: 1-line block ×5, first 2 shown]
	ds_read_b128 v[1:4], v24 offset:1216
	s_waitcnt vmcnt(57) lgkmcnt(1)
	v_mul_f64 v[183:184], v[14:15], v[43:44]
	v_mul_f64 v[43:44], v[16:17], v[43:44]
	s_waitcnt vmcnt(56)
	v_fma_f64 v[61:62], v[18:19], v[63:64], -v[61:62]
	v_add_f64 v[22:23], v[22:23], v[33:34]
	v_fma_f64 v[33:34], v[20:21], v[63:64], v[159:160]
	v_add_f64 v[9:10], v[9:10], v[47:48]
	s_clause 0x2
	buffer_load_dword v56, off, s[0:3], 0 offset:732
	buffer_load_dword v48, off, s[0:3], 0 offset:708
	;; [unrolled: 1-line block ×3, first 2 shown]
	ds_read_b128 v[18:21], v24 offset:1232
	s_waitcnt vmcnt(58) lgkmcnt(1)
	v_mul_f64 v[63:64], v[1:2], v[73:74]
	v_mul_f64 v[73:74], v[3:4], v[73:74]
	s_waitcnt vmcnt(56)
	v_fma_f64 v[43:44], v[14:15], v[45:46], -v[43:44]
	v_fma_f64 v[45:46], v[16:17], v[45:46], v[183:184]
	v_add_f64 v[22:23], v[22:23], v[61:62]
	v_add_f64 v[9:10], v[9:10], v[33:34]
	s_clause 0x2
	buffer_load_dword v34, off, s[0:3], 0 offset:748
	buffer_load_dword v33, off, s[0:3], 0 offset:744
	;; [unrolled: 1-line block ×3, first 2 shown]
	ds_read_b128 v[14:17], v24 offset:1248
	s_waitcnt vmcnt(55) lgkmcnt(1)
	v_mul_f64 v[61:62], v[18:19], v[53:54]
	v_mul_f64 v[53:54], v[20:21], v[53:54]
	s_waitcnt vmcnt(54)
	v_fma_f64 v[73:74], v[1:2], v[75:76], -v[73:74]
	v_add_f64 v[22:23], v[22:23], v[43:44]
	v_fma_f64 v[43:44], v[3:4], v[75:76], v[63:64]
	v_add_f64 v[9:10], v[9:10], v[45:46]
	s_clause 0x1
	buffer_load_dword v46, off, s[0:3], 0 offset:740
	buffer_load_dword v45, off, s[0:3], 0 offset:736
	ds_read_b128 v[1:4], v24 offset:1264
	s_waitcnt vmcnt(55) lgkmcnt(1)
	v_mul_f64 v[75:76], v[16:17], v[79:80]
	v_mul_f64 v[63:64], v[14:15], v[79:80]
	s_waitcnt vmcnt(53)
	v_fma_f64 v[53:54], v[18:19], v[57:58], -v[53:54]
	v_fma_f64 v[57:58], v[20:21], v[57:58], v[61:62]
	ds_read_b128 v[18:21], v24 offset:1280
	v_add_f64 v[22:23], v[22:23], v[73:74]
	v_add_f64 v[9:10], v[9:10], v[43:44]
	s_waitcnt vmcnt(49) lgkmcnt(1)
	v_mul_f64 v[43:44], v[1:2], v[59:60]
	v_mul_f64 v[59:60], v[3:4], v[59:60]
	s_waitcnt vmcnt(48)
	v_fma_f64 v[61:62], v[14:15], v[153:154], -v[75:76]
	v_add_f64 v[22:23], v[22:23], v[53:54]
	v_fma_f64 v[53:54], v[16:17], v[153:154], v[63:64]
	v_add_f64 v[9:10], v[9:10], v[57:58]
	s_clause 0x3
	buffer_load_dword v57, off, s[0:3], 0 offset:32
	buffer_load_dword v58, off, s[0:3], 0 offset:36
	;; [unrolled: 1-line block ×4, first 2 shown]
	ds_read_b128 v[14:17], v24 offset:1296
	s_waitcnt vmcnt(51) lgkmcnt(1)
	v_mul_f64 v[75:76], v[20:21], v[167:168]
	v_mul_f64 v[73:74], v[18:19], v[167:168]
	s_waitcnt vmcnt(49)
	v_fma_f64 v[59:60], v[1:2], v[65:66], -v[59:60]
	v_fma_f64 v[43:44], v[3:4], v[65:66], v[43:44]
	ds_read_b128 v[1:4], v24 offset:1312
	v_add_f64 v[22:23], v[22:23], v[61:62]
	v_add_f64 v[9:10], v[9:10], v[53:54]
	s_waitcnt vmcnt(45) lgkmcnt(1)
	v_mul_f64 v[61:62], v[16:17], v[67:68]
	s_waitcnt vmcnt(44)
	v_fma_f64 v[65:66], v[18:19], v[171:172], -v[75:76]
	v_mul_f64 v[53:54], v[14:15], v[67:68]
	v_add_f64 v[22:23], v[22:23], v[59:60]
	v_fma_f64 v[59:60], v[20:21], v[171:172], v[73:74]
	v_add_f64 v[9:10], v[9:10], v[43:44]
	ds_read_b128 v[18:21], v24 offset:1328
	s_waitcnt vmcnt(43) lgkmcnt(1)
	v_mul_f64 v[67:68], v[3:4], v[165:166]
	v_mul_f64 v[43:44], v[1:2], v[165:166]
	s_waitcnt vmcnt(41)
	v_fma_f64 v[61:62], v[14:15], v[77:78], -v[61:62]
	v_fma_f64 v[53:54], v[16:17], v[77:78], v[53:54]
	ds_read_b128 v[14:17], v24 offset:1344
	v_add_f64 v[22:23], v[22:23], v[65:66]
	v_add_f64 v[9:10], v[9:10], v[59:60]
	s_waitcnt vmcnt(37) lgkmcnt(1)
	v_mul_f64 v[65:66], v[20:21], v[161:162]
	s_waitcnt vmcnt(36)
	v_fma_f64 v[67:68], v[1:2], v[175:176], -v[67:68]
	v_mul_f64 v[59:60], v[18:19], v[161:162]
	v_fma_f64 v[43:44], v[3:4], v[175:176], v[43:44]
	ds_read_b128 v[1:4], v24 offset:1360
	v_add_f64 v[22:23], v[22:23], v[61:62]
	v_add_f64 v[9:10], v[9:10], v[53:54]
	s_waitcnt vmcnt(35) lgkmcnt(1)
	v_mul_f64 v[61:62], v[16:17], v[173:174]
	v_mul_f64 v[53:54], v[14:15], v[173:174]
	s_waitcnt vmcnt(33)
	v_fma_f64 v[65:66], v[18:19], v[29:30], -v[65:66]
	v_fma_f64 v[29:30], v[20:21], v[29:30], v[59:60]
	ds_read_b128 v[18:21], v24 offset:1376
	v_add_f64 v[22:23], v[22:23], v[67:68]
	v_add_f64 v[9:10], v[9:10], v[43:44]
	s_waitcnt vmcnt(29) lgkmcnt(1)
	v_mul_f64 v[43:44], v[1:2], v[35:36]
	v_mul_f64 v[35:36], v[3:4], v[35:36]
	s_waitcnt vmcnt(28)
	v_fma_f64 v[59:60], v[14:15], v[179:180], -v[61:62]
	;; [unrolled: 9-line block ×3, first 2 shown]
	v_fma_f64 v[31:32], v[3:4], v[31:32], v[43:44]
	ds_read_b128 v[1:4], v24 offset:1408
	v_add_f64 v[22:23], v[22:23], v[59:60]
	v_add_f64 v[9:10], v[9:10], v[53:54]
	s_waitcnt vmcnt(21) lgkmcnt(1)
	v_mul_f64 v[53:54], v[16:17], v[155:156]
	s_waitcnt vmcnt(20)
	v_fma_f64 v[59:60], v[18:19], v[181:182], -v[61:62]
	v_mul_f64 v[43:44], v[14:15], v[155:156]
	v_fma_f64 v[29:30], v[20:21], v[181:182], v[29:30]
	ds_read_b128 v[18:21], v24 offset:1424
	v_add_f64 v[22:23], v[22:23], v[35:36]
	v_add_f64 v[9:10], v[9:10], v[31:32]
	s_waitcnt vmcnt(19) lgkmcnt(1)
	v_mul_f64 v[35:36], v[3:4], v[157:158]
	v_mul_f64 v[31:32], v[1:2], v[157:158]
	s_waitcnt vmcnt(17)
	v_fma_f64 v[53:54], v[14:15], v[41:42], -v[53:54]
	v_fma_f64 v[41:42], v[16:17], v[41:42], v[43:44]
	ds_read_b128 v[14:17], v24 offset:1440
	v_add_f64 v[22:23], v[22:23], v[59:60]
	v_add_f64 v[9:10], v[9:10], v[29:30]
	s_waitcnt vmcnt(13) lgkmcnt(1)
	v_mul_f64 v[29:30], v[18:19], v[27:28]
	v_mul_f64 v[27:28], v[20:21], v[27:28]
	s_waitcnt vmcnt(12)
	v_fma_f64 v[35:36], v[1:2], v[177:178], -v[35:36]
	;; [unrolled: 9-line block ×3, first 2 shown]
	v_fma_f64 v[20:21], v[20:21], v[47:48], v[29:30]
	v_add_f64 v[22:23], v[22:23], v[35:36]
	v_add_f64 v[9:10], v[9:10], v[31:32]
	s_waitcnt vmcnt(7) lgkmcnt(0)
	v_mul_f64 v[29:30], v[3:4], v[33:34]
	s_waitcnt vmcnt(6)
	v_fma_f64 v[14:15], v[14:15], v[169:170], -v[43:44]
	v_mul_f64 v[27:28], v[1:2], v[33:34]
	v_fma_f64 v[16:17], v[16:17], v[169:170], v[41:42]
	v_add_f64 v[18:19], v[22:23], v[18:19]
	v_add_f64 v[9:10], v[9:10], v[20:21]
	s_waitcnt vmcnt(4)
	v_fma_f64 v[1:2], v[1:2], v[45:46], -v[29:30]
	v_fma_f64 v[3:4], v[3:4], v[45:46], v[27:28]
	v_add_f64 v[14:15], v[18:19], v[14:15]
	v_add_f64 v[9:10], v[9:10], v[16:17]
	v_add_f64 v[1:2], v[14:15], v[1:2]
	v_add_f64 v[3:4], v[9:10], v[3:4]
	s_waitcnt vmcnt(2)
	v_add_f64 v[1:2], v[57:58], -v[1:2]
	s_waitcnt vmcnt(0)
	v_add_f64 v[3:4], v[63:64], -v[3:4]
	buffer_store_dword v2, off, s[0:3], 0 offset:36
	buffer_store_dword v1, off, s[0:3], 0 offset:32
	;; [unrolled: 1-line block ×4, first 2 shown]
	v_cmpx_ne_u32_e32 0, v0
	s_cbranch_execz .LBB45_289
; %bb.288:
	s_clause 0x3
	buffer_load_dword v0, off, s[0:3], 0 offset:16
	buffer_load_dword v1, off, s[0:3], 0 offset:20
	;; [unrolled: 1-line block ×4, first 2 shown]
	v_mov_b32_e32 v4, 0
	buffer_store_dword v4, off, s[0:3], 0 offset:16
	buffer_store_dword v4, off, s[0:3], 0 offset:20
	;; [unrolled: 1-line block ×4, first 2 shown]
	s_waitcnt vmcnt(0)
	ds_write_b128 v11, v[0:3]
.LBB45_289:
	s_or_b32 exec_lo, exec_lo, s4
	s_waitcnt lgkmcnt(0)
	s_waitcnt_vscnt null, 0x0
	s_barrier
	buffer_gl0_inv
	s_clause 0x37
	buffer_load_dword v20, off, s[0:3], 0 offset:40
	buffer_load_dword v21, off, s[0:3], 0 offset:44
	;; [unrolled: 1-line block ×56, first 2 shown]
	v_mov_b32_e32 v4, 0
	s_and_b32 vcc_lo, exec_lo, s58
	ds_read_b128 v[159:162], v4 offset:752
	s_clause 0x2
	buffer_load_dword v156, off, s[0:3], 0 offset:268
	buffer_load_dword v158, off, s[0:3], 0 offset:244
	buffer_load_dword v157, off, s[0:3], 0 offset:240
	ds_read_b128 v[0:3], v4 offset:768
	s_clause 0x4
	buffer_load_dword v170, off, s[0:3], 0 offset:284
	buffer_load_dword v171, off, s[0:3], 0 offset:296
	;; [unrolled: 1-line block ×5, first 2 shown]
	ds_read_b128 v[163:166], v4 offset:784
	s_clause 0x2
	buffer_load_dword v172, off, s[0:3], 0 offset:300
	buffer_load_dword v177, off, s[0:3], 0 offset:276
	;; [unrolled: 1-line block ×3, first 2 shown]
	s_waitcnt vmcnt(62) lgkmcnt(2)
	v_mul_f64 v[167:168], v[161:162], v[20:21]
	v_mul_f64 v[20:21], v[159:160], v[20:21]
	s_waitcnt lgkmcnt(1)
	v_mul_f64 v[174:175], v[2:3], v[16:17]
	s_waitcnt vmcnt(61)
	v_fma_f64 v[159:160], v[159:160], v[18:19], -v[167:168]
	v_mul_f64 v[167:168], v[0:1], v[16:17]
	v_fma_f64 v[20:21], v[161:162], v[18:19], v[20:21]
	s_waitcnt vmcnt(59) lgkmcnt(0)
	v_mul_f64 v[161:162], v[163:164], v[14:15]
	v_mul_f64 v[14:15], v[165:166], v[14:15]
	s_waitcnt vmcnt(57)
	v_fma_f64 v[178:179], v[0:1], v[9:10], -v[174:175]
	ds_read_b128 v[16:19], v4 offset:800
	v_add_f64 v[159:160], v[159:160], 0
	v_fma_f64 v[9:10], v[2:3], v[9:10], v[167:168]
	v_add_f64 v[20:21], v[20:21], 0
	s_clause 0x4
	buffer_load_dword v168, off, s[0:3], 0 offset:316
	buffer_load_dword v180, off, s[0:3], 0 offset:328
	;; [unrolled: 1-line block ×5, first 2 shown]
	s_waitcnt vmcnt(58) lgkmcnt(0)
	v_mul_f64 v[183:184], v[16:17], v[27:28]
	v_mul_f64 v[27:28], v[18:19], v[27:28]
	s_waitcnt vmcnt(56)
	v_fma_f64 v[14:15], v[163:164], v[43:44], -v[14:15]
	ds_read_b128 v[0:3], v4 offset:816
	v_fma_f64 v[43:44], v[165:166], v[43:44], v[161:162]
	s_clause 0x2
	buffer_load_dword v181, off, s[0:3], 0 offset:332
	buffer_load_dword v166, off, s[0:3], 0 offset:308
	;; [unrolled: 1-line block ×3, first 2 shown]
	v_add_f64 v[163:164], v[159:160], v[178:179]
	ds_read_b128 v[159:162], v4 offset:832
	v_add_f64 v[9:10], v[20:21], v[9:10]
	s_waitcnt vmcnt(56)
	v_fma_f64 v[18:19], v[18:19], v[33:34], v[183:184]
	s_waitcnt lgkmcnt(1)
	v_mul_f64 v[20:21], v[0:1], v[31:32]
	v_mul_f64 v[31:32], v[2:3], v[31:32]
	v_fma_f64 v[27:28], v[16:17], v[33:34], -v[27:28]
	s_waitcnt vmcnt(52) lgkmcnt(0)
	v_mul_f64 v[184:185], v[159:160], v[35:36]
	v_add_f64 v[163:164], v[163:164], v[14:15]
	v_mul_f64 v[35:36], v[161:162], v[35:36]
	v_add_f64 v[9:10], v[9:10], v[43:44]
	s_clause 0x4
	buffer_load_dword v34, off, s[0:3], 0 offset:348
	buffer_load_dword v43, off, s[0:3], 0 offset:360
	;; [unrolled: 1-line block ×5, first 2 shown]
	ds_read_b128 v[14:17], v4 offset:848
	s_waitcnt vmcnt(56)
	v_fma_f64 v[20:21], v[2:3], v[22:23], v[20:21]
	v_fma_f64 v[31:32], v[0:1], v[22:23], -v[31:32]
	s_clause 0x2
	buffer_load_dword v44, off, s[0:3], 0 offset:364
	buffer_load_dword v23, off, s[0:3], 0 offset:340
	;; [unrolled: 1-line block ×3, first 2 shown]
	ds_read_b128 v[0:3], v4 offset:864
	v_add_f64 v[27:28], v[163:164], v[27:28]
	s_waitcnt vmcnt(56)
	v_fma_f64 v[35:36], v[159:160], v[47:48], -v[35:36]
	v_add_f64 v[9:10], v[9:10], v[18:19]
	s_waitcnt lgkmcnt(1)
	v_mul_f64 v[163:164], v[14:15], v[45:46]
	v_mul_f64 v[45:46], v[16:17], v[45:46]
	v_add_f64 v[27:28], v[27:28], v[31:32]
	v_fma_f64 v[31:32], v[161:162], v[47:48], v[184:185]
	v_add_f64 v[9:10], v[9:10], v[20:21]
	s_clause 0x4
	buffer_load_dword v48, off, s[0:3], 0 offset:380
	buffer_load_dword v159, off, s[0:3], 0 offset:392
	;; [unrolled: 1-line block ×5, first 2 shown]
	s_waitcnt vmcnt(57) lgkmcnt(0)
	v_mul_f64 v[184:185], v[0:1], v[53:54]
	v_mul_f64 v[53:54], v[2:3], v[53:54]
	s_waitcnt vmcnt(56)
	v_fma_f64 v[45:46], v[14:15], v[29:30], -v[45:46]
	ds_read_b128 v[18:21], v4 offset:880
	v_fma_f64 v[29:30], v[16:17], v[29:30], v[163:164]
	v_add_f64 v[27:28], v[27:28], v[35:36]
	v_add_f64 v[9:10], v[9:10], v[31:32]
	s_clause 0x2
	buffer_load_dword v160, off, s[0:3], 0 offset:396
	buffer_load_dword v32, off, s[0:3], 0 offset:372
	;; [unrolled: 1-line block ×3, first 2 shown]
	ds_read_b128 v[14:17], v4 offset:896
	s_waitcnt vmcnt(58) lgkmcnt(1)
	v_mul_f64 v[35:36], v[18:19], v[57:58]
	v_mul_f64 v[57:58], v[20:21], v[57:58]
	s_waitcnt vmcnt(56)
	v_fma_f64 v[53:54], v[0:1], v[59:60], -v[53:54]
	v_add_f64 v[27:28], v[27:28], v[45:46]
	v_fma_f64 v[45:46], v[2:3], v[59:60], v[184:185]
	v_add_f64 v[9:10], v[9:10], v[29:30]
	s_clause 0x4
	buffer_load_dword v30, off, s[0:3], 0 offset:412
	buffer_load_dword v59, off, s[0:3], 0 offset:424
	;; [unrolled: 1-line block ×5, first 2 shown]
	s_waitcnt vmcnt(57) lgkmcnt(0)
	v_mul_f64 v[184:185], v[14:15], v[61:62]
	v_mul_f64 v[61:62], v[16:17], v[61:62]
	s_waitcnt vmcnt(56)
	v_fma_f64 v[57:58], v[18:19], v[41:42], -v[57:58]
	ds_read_b128 v[0:3], v4 offset:912
	v_fma_f64 v[35:36], v[20:21], v[41:42], v[35:36]
	s_clause 0x2
	buffer_load_dword v60, off, s[0:3], 0 offset:428
	buffer_load_dword v42, off, s[0:3], 0 offset:404
	;; [unrolled: 1-line block ×3, first 2 shown]
	ds_read_b128 v[18:21], v4 offset:928
	v_add_f64 v[27:28], v[27:28], v[53:54]
	v_add_f64 v[9:10], v[9:10], v[45:46]
	s_waitcnt vmcnt(58) lgkmcnt(1)
	v_mul_f64 v[53:54], v[2:3], v[65:66]
	s_waitcnt vmcnt(56)
	v_fma_f64 v[61:62], v[14:15], v[67:68], -v[61:62]
	v_mul_f64 v[45:46], v[0:1], v[65:66]
	v_add_f64 v[27:28], v[27:28], v[57:58]
	v_fma_f64 v[57:58], v[16:17], v[67:68], v[184:185]
	v_add_f64 v[9:10], v[9:10], v[35:36]
	s_clause 0x4
	buffer_load_dword v36, off, s[0:3], 0 offset:444
	buffer_load_dword v65, off, s[0:3], 0 offset:456
	;; [unrolled: 1-line block ×5, first 2 shown]
	s_waitcnt vmcnt(57) lgkmcnt(0)
	v_mul_f64 v[184:185], v[18:19], v[73:74]
	v_mul_f64 v[73:74], v[20:21], v[73:74]
	s_waitcnt vmcnt(56)
	v_fma_f64 v[53:54], v[0:1], v[55:56], -v[53:54]
	ds_read_b128 v[14:17], v4 offset:944
	v_fma_f64 v[45:46], v[2:3], v[55:56], v[45:46]
	s_clause 0x2
	buffer_load_dword v66, off, s[0:3], 0 offset:460
	buffer_load_dword v56, off, s[0:3], 0 offset:436
	;; [unrolled: 1-line block ×3, first 2 shown]
	ds_read_b128 v[0:3], v4 offset:960
	v_add_f64 v[27:28], v[27:28], v[61:62]
	v_add_f64 v[9:10], v[9:10], v[57:58]
	s_waitcnt vmcnt(58) lgkmcnt(1)
	v_mul_f64 v[61:62], v[16:17], v[77:78]
	s_waitcnt vmcnt(56)
	v_fma_f64 v[73:74], v[18:19], v[79:80], -v[73:74]
	v_mul_f64 v[57:58], v[14:15], v[77:78]
	v_add_f64 v[27:28], v[27:28], v[53:54]
	v_fma_f64 v[53:54], v[20:21], v[79:80], v[184:185]
	v_add_f64 v[9:10], v[9:10], v[45:46]
	s_clause 0x4
	buffer_load_dword v46, off, s[0:3], 0 offset:476
	buffer_load_dword v77, off, s[0:3], 0 offset:488
	buffer_load_dword v79, off, s[0:3], 0 offset:480
	buffer_load_dword v45, off, s[0:3], 0 offset:472
	buffer_load_dword v68, off, s[0:3], 0 offset:452
	s_waitcnt vmcnt(57) lgkmcnt(0)
	v_mul_f64 v[184:185], v[0:1], v[153:154]
	v_mul_f64 v[153:154], v[2:3], v[153:154]
	s_waitcnt vmcnt(56)
	v_fma_f64 v[61:62], v[14:15], v[63:64], -v[61:62]
	ds_read_b128 v[18:21], v4 offset:976
	v_fma_f64 v[57:58], v[16:17], v[63:64], v[57:58]
	v_add_f64 v[27:28], v[27:28], v[73:74]
	v_add_f64 v[9:10], v[9:10], v[53:54]
	s_clause 0x2
	buffer_load_dword v78, off, s[0:3], 0 offset:492
	buffer_load_dword v54, off, s[0:3], 0 offset:468
	;; [unrolled: 1-line block ×3, first 2 shown]
	ds_read_b128 v[14:17], v4 offset:992
	s_waitcnt vmcnt(58) lgkmcnt(1)
	v_mul_f64 v[73:74], v[20:21], v[155:156]
	s_waitcnt vmcnt(56)
	v_fma_f64 v[153:154], v[0:1], v[157:158], -v[153:154]
	v_mul_f64 v[63:64], v[18:19], v[155:156]
	v_add_f64 v[27:28], v[27:28], v[61:62]
	v_fma_f64 v[61:62], v[2:3], v[157:158], v[184:185]
	v_add_f64 v[9:10], v[9:10], v[57:58]
	s_clause 0x4
	buffer_load_dword v58, off, s[0:3], 0 offset:508
	buffer_load_dword v155, off, s[0:3], 0 offset:520
	;; [unrolled: 1-line block ×5, first 2 shown]
	s_waitcnt vmcnt(57) lgkmcnt(0)
	v_mul_f64 v[184:185], v[14:15], v[169:170]
	v_mul_f64 v[169:170], v[16:17], v[169:170]
	s_waitcnt vmcnt(56)
	v_fma_f64 v[73:74], v[18:19], v[75:76], -v[73:74]
	ds_read_b128 v[0:3], v4 offset:1008
	v_fma_f64 v[63:64], v[20:21], v[75:76], v[63:64]
	v_add_f64 v[27:28], v[27:28], v[153:154]
	v_add_f64 v[9:10], v[9:10], v[61:62]
	s_clause 0x2
	buffer_load_dword v156, off, s[0:3], 0 offset:524
	buffer_load_dword v62, off, s[0:3], 0 offset:500
	;; [unrolled: 1-line block ×3, first 2 shown]
	ds_read_b128 v[18:21], v4 offset:1024
	s_waitcnt vmcnt(58) lgkmcnt(1)
	v_mul_f64 v[153:154], v[2:3], v[171:172]
	s_waitcnt vmcnt(56)
	v_fma_f64 v[169:170], v[14:15], v[176:177], -v[169:170]
	v_mul_f64 v[75:76], v[0:1], v[171:172]
	v_add_f64 v[27:28], v[27:28], v[73:74]
	v_fma_f64 v[73:74], v[16:17], v[176:177], v[184:185]
	v_add_f64 v[9:10], v[9:10], v[63:64]
	s_clause 0x4
	buffer_load_dword v64, off, s[0:3], 0 offset:540
	buffer_load_dword v171, off, s[0:3], 0 offset:552
	;; [unrolled: 1-line block ×5, first 2 shown]
	ds_read_b128 v[14:17], v4 offset:1040
	s_waitcnt vmcnt(57) lgkmcnt(1)
	v_mul_f64 v[176:177], v[18:19], v[167:168]
	v_mul_f64 v[167:168], v[20:21], v[167:168]
	s_waitcnt vmcnt(56)
	v_fma_f64 v[153:154], v[0:1], v[173:174], -v[153:154]
	v_fma_f64 v[75:76], v[2:3], v[173:174], v[75:76]
	v_add_f64 v[27:28], v[27:28], v[169:170]
	v_add_f64 v[9:10], v[9:10], v[73:74]
	s_clause 0x2
	buffer_load_dword v172, off, s[0:3], 0 offset:556
	buffer_load_dword v74, off, s[0:3], 0 offset:532
	;; [unrolled: 1-line block ×3, first 2 shown]
	s_waitcnt vmcnt(58) lgkmcnt(0)
	v_mul_f64 v[173:174], v[16:17], v[180:181]
	ds_read_b128 v[0:3], v4 offset:1056
	v_mul_f64 v[169:170], v[14:15], v[180:181]
	s_waitcnt vmcnt(56)
	v_fma_f64 v[167:168], v[18:19], v[165:166], -v[167:168]
	v_add_f64 v[27:28], v[27:28], v[153:154]
	v_fma_f64 v[153:154], v[20:21], v[165:166], v[176:177]
	v_add_f64 v[9:10], v[9:10], v[75:76]
	s_clause 0x4
	buffer_load_dword v76, off, s[0:3], 0 offset:572
	buffer_load_dword v165, off, s[0:3], 0 offset:584
	;; [unrolled: 1-line block ×5, first 2 shown]
	ds_read_b128 v[18:21], v4 offset:1072
	s_waitcnt vmcnt(57) lgkmcnt(1)
	v_mul_f64 v[184:185], v[0:1], v[33:34]
	v_mul_f64 v[33:34], v[2:3], v[33:34]
	s_waitcnt vmcnt(56)
	v_fma_f64 v[173:174], v[14:15], v[182:183], -v[173:174]
	v_add_f64 v[27:28], v[27:28], v[167:168]
	v_fma_f64 v[167:168], v[16:17], v[182:183], v[169:170]
	v_add_f64 v[9:10], v[9:10], v[153:154]
	s_clause 0x2
	buffer_load_dword v166, off, s[0:3], 0 offset:588
	buffer_load_dword v154, off, s[0:3], 0 offset:564
	;; [unrolled: 1-line block ×3, first 2 shown]
	s_waitcnt vmcnt(58) lgkmcnt(0)
	v_mul_f64 v[169:170], v[18:19], v[43:44]
	v_mul_f64 v[43:44], v[20:21], v[43:44]
	ds_read_b128 v[14:17], v4 offset:1088
	s_waitcnt vmcnt(56)
	v_fma_f64 v[33:34], v[0:1], v[22:23], -v[33:34]
	v_fma_f64 v[22:23], v[2:3], v[22:23], v[184:185]
	v_add_f64 v[27:28], v[27:28], v[173:174]
	v_add_f64 v[9:10], v[9:10], v[167:168]
	s_clause 0x4
	buffer_load_dword v168, off, s[0:3], 0 offset:604
	buffer_load_dword v173, off, s[0:3], 0 offset:616
	;; [unrolled: 1-line block ×5, first 2 shown]
	ds_read_b128 v[0:3], v4 offset:1104
	s_waitcnt vmcnt(57) lgkmcnt(1)
	v_mul_f64 v[182:183], v[14:15], v[47:48]
	v_mul_f64 v[47:48], v[16:17], v[47:48]
	s_waitcnt vmcnt(56)
	v_fma_f64 v[43:44], v[18:19], v[178:179], -v[43:44]
	v_add_f64 v[27:28], v[27:28], v[33:34]
	v_fma_f64 v[33:34], v[20:21], v[178:179], v[169:170]
	v_add_f64 v[9:10], v[9:10], v[22:23]
	s_clause 0x2
	buffer_load_dword v174, off, s[0:3], 0 offset:620
	buffer_load_dword v23, off, s[0:3], 0 offset:596
	;; [unrolled: 1-line block ×3, first 2 shown]
	ds_read_b128 v[18:21], v4 offset:1120
	s_waitcnt vmcnt(58) lgkmcnt(1)
	v_mul_f64 v[169:170], v[0:1], v[159:160]
	v_mul_f64 v[159:160], v[2:3], v[159:160]
	s_waitcnt vmcnt(56)
	v_fma_f64 v[47:48], v[14:15], v[31:32], -v[47:48]
	v_fma_f64 v[31:32], v[16:17], v[31:32], v[182:183]
	v_add_f64 v[27:28], v[27:28], v[43:44]
	v_add_f64 v[9:10], v[9:10], v[33:34]
	s_clause 0x4
	buffer_load_dword v34, off, s[0:3], 0 offset:636
	buffer_load_dword v43, off, s[0:3], 0 offset:648
	;; [unrolled: 1-line block ×5, first 2 shown]
	ds_read_b128 v[14:17], v4 offset:1136
	s_waitcnt vmcnt(57) lgkmcnt(1)
	v_mul_f64 v[183:184], v[18:19], v[29:30]
	v_mul_f64 v[29:30], v[20:21], v[29:30]
	s_waitcnt vmcnt(56)
	v_fma_f64 v[159:160], v[0:1], v[161:162], -v[159:160]
	v_add_f64 v[27:28], v[27:28], v[47:48]
	v_fma_f64 v[47:48], v[2:3], v[161:162], v[169:170]
	v_add_f64 v[9:10], v[9:10], v[31:32]
	s_clause 0x2
	buffer_load_dword v44, off, s[0:3], 0 offset:652
	buffer_load_dword v32, off, s[0:3], 0 offset:628
	buffer_load_dword v31, off, s[0:3], 0 offset:624
	s_waitcnt vmcnt(58) lgkmcnt(0)
	v_mul_f64 v[161:162], v[14:15], v[59:60]
	v_mul_f64 v[59:60], v[16:17], v[59:60]
	ds_read_b128 v[0:3], v4 offset:1152
	s_waitcnt vmcnt(56)
	v_fma_f64 v[29:30], v[18:19], v[41:42], -v[29:30]
	v_fma_f64 v[41:42], v[20:21], v[41:42], v[183:184]
	v_add_f64 v[27:28], v[27:28], v[159:160]
	v_add_f64 v[9:10], v[9:10], v[47:48]
	s_clause 0x4
	buffer_load_dword v48, off, s[0:3], 0 offset:668
	buffer_load_dword v159, off, s[0:3], 0 offset:680
	buffer_load_dword v169, off, s[0:3], 0 offset:672
	buffer_load_dword v47, off, s[0:3], 0 offset:664
	buffer_load_dword v183, off, s[0:3], 0 offset:644
	ds_read_b128 v[18:21], v4 offset:1168
	s_waitcnt vmcnt(57) lgkmcnt(1)
	v_mul_f64 v[184:185], v[0:1], v[35:36]
	v_mul_f64 v[35:36], v[2:3], v[35:36]
	s_waitcnt vmcnt(56)
	v_fma_f64 v[59:60], v[14:15], v[163:164], -v[59:60]
	v_add_f64 v[27:28], v[27:28], v[29:30]
	v_fma_f64 v[29:30], v[16:17], v[163:164], v[161:162]
	v_add_f64 v[9:10], v[9:10], v[41:42]
	s_clause 0x2
	buffer_load_dword v160, off, s[0:3], 0 offset:684
	buffer_load_dword v42, off, s[0:3], 0 offset:660
	;; [unrolled: 1-line block ×3, first 2 shown]
	s_waitcnt vmcnt(58) lgkmcnt(0)
	v_mul_f64 v[161:162], v[18:19], v[65:66]
	v_mul_f64 v[65:66], v[20:21], v[65:66]
	ds_read_b128 v[14:17], v4 offset:1184
	s_waitcnt vmcnt(56)
	v_fma_f64 v[35:36], v[0:1], v[55:56], -v[35:36]
	v_fma_f64 v[55:56], v[2:3], v[55:56], v[184:185]
	v_add_f64 v[27:28], v[27:28], v[59:60]
	v_add_f64 v[9:10], v[9:10], v[29:30]
	s_clause 0x4
	buffer_load_dword v30, off, s[0:3], 0 offset:700
	buffer_load_dword v59, off, s[0:3], 0 offset:712
	;; [unrolled: 1-line block ×5, first 2 shown]
	ds_read_b128 v[0:3], v4 offset:1200
	s_waitcnt vmcnt(57) lgkmcnt(1)
	v_mul_f64 v[184:185], v[14:15], v[45:46]
	v_mul_f64 v[45:46], v[16:17], v[45:46]
	s_waitcnt vmcnt(56)
	v_fma_f64 v[65:66], v[18:19], v[67:68], -v[65:66]
	v_add_f64 v[27:28], v[27:28], v[35:36]
	v_fma_f64 v[35:36], v[20:21], v[67:68], v[161:162]
	v_add_f64 v[9:10], v[9:10], v[55:56]
	s_clause 0x2
	buffer_load_dword v60, off, s[0:3], 0 offset:716
	buffer_load_dword v56, off, s[0:3], 0 offset:692
	;; [unrolled: 1-line block ×3, first 2 shown]
	ds_read_b128 v[18:21], v4 offset:1216
	s_waitcnt vmcnt(58) lgkmcnt(1)
	v_mul_f64 v[67:68], v[0:1], v[77:78]
	v_mul_f64 v[77:78], v[2:3], v[77:78]
	s_waitcnt vmcnt(56)
	v_fma_f64 v[45:46], v[14:15], v[53:54], -v[45:46]
	v_fma_f64 v[53:54], v[16:17], v[53:54], v[184:185]
	v_add_f64 v[27:28], v[27:28], v[65:66]
	v_add_f64 v[9:10], v[9:10], v[35:36]
	s_clause 0x4
	buffer_load_dword v36, off, s[0:3], 0 offset:732
	buffer_load_dword v65, off, s[0:3], 0 offset:744
	;; [unrolled: 1-line block ×5, first 2 shown]
	ds_read_b128 v[14:17], v4 offset:1232
	s_waitcnt vmcnt(57) lgkmcnt(1)
	v_mul_f64 v[184:185], v[18:19], v[57:58]
	v_mul_f64 v[57:58], v[20:21], v[57:58]
	s_waitcnt vmcnt(56)
	v_fma_f64 v[77:78], v[0:1], v[79:80], -v[77:78]
	v_add_f64 v[27:28], v[27:28], v[45:46]
	v_fma_f64 v[45:46], v[2:3], v[79:80], v[67:68]
	v_add_f64 v[9:10], v[9:10], v[53:54]
	s_clause 0x2
	buffer_load_dword v66, off, s[0:3], 0 offset:748
	buffer_load_dword v54, off, s[0:3], 0 offset:724
	;; [unrolled: 1-line block ×3, first 2 shown]
	ds_read_b128 v[0:3], v4 offset:1248
	buffer_load_dword v162, off, s[0:3], 0 offset:740
	s_waitcnt vmcnt(59) lgkmcnt(1)
	v_mul_f64 v[79:80], v[16:17], v[155:156]
	v_mul_f64 v[67:68], v[14:15], v[155:156]
	s_waitcnt vmcnt(57)
	v_fma_f64 v[57:58], v[18:19], v[61:62], -v[57:58]
	v_fma_f64 v[61:62], v[20:21], v[61:62], v[184:185]
	ds_read_b128 v[18:21], v4 offset:1264
	v_add_f64 v[27:28], v[27:28], v[77:78]
	v_add_f64 v[9:10], v[9:10], v[45:46]
	s_waitcnt vmcnt(53) lgkmcnt(1)
	v_mul_f64 v[45:46], v[0:1], v[63:64]
	v_mul_f64 v[63:64], v[2:3], v[63:64]
	s_waitcnt vmcnt(52)
	v_fma_f64 v[77:78], v[14:15], v[157:158], -v[79:80]
	v_add_f64 v[27:28], v[27:28], v[57:58]
	v_fma_f64 v[57:58], v[16:17], v[157:158], v[67:68]
	v_add_f64 v[9:10], v[9:10], v[61:62]
	ds_read_b128 v[14:17], v4 offset:1280
	s_waitcnt vmcnt(51) lgkmcnt(1)
	v_mul_f64 v[67:68], v[20:21], v[171:172]
	v_mul_f64 v[61:62], v[18:19], v[171:172]
	s_waitcnt vmcnt(49)
	v_fma_f64 v[63:64], v[0:1], v[73:74], -v[63:64]
	v_fma_f64 v[45:46], v[2:3], v[73:74], v[45:46]
	v_add_f64 v[27:28], v[27:28], v[77:78]
	v_add_f64 v[9:10], v[9:10], v[57:58]
	s_clause 0x3
	buffer_load_dword v57, off, s[0:3], 0 offset:16
	buffer_load_dword v58, off, s[0:3], 0 offset:20
	;; [unrolled: 1-line block ×4, first 2 shown]
	ds_read_b128 v[0:3], v4 offset:1296
	s_waitcnt vmcnt(49) lgkmcnt(1)
	v_mul_f64 v[77:78], v[14:15], v[75:76]
	v_mul_f64 v[75:76], v[16:17], v[75:76]
	s_waitcnt vmcnt(48)
	v_fma_f64 v[67:68], v[18:19], v[175:176], -v[67:68]
	v_fma_f64 v[61:62], v[20:21], v[175:176], v[61:62]
	ds_read_b128 v[18:21], v4 offset:1312
	v_add_f64 v[27:28], v[27:28], v[63:64]
	v_add_f64 v[9:10], v[9:10], v[45:46]
	s_waitcnt vmcnt(47) lgkmcnt(1)
	v_mul_f64 v[63:64], v[2:3], v[165:166]
	v_mul_f64 v[45:46], v[0:1], v[165:166]
	s_waitcnt vmcnt(45)
	v_fma_f64 v[75:76], v[14:15], v[153:154], -v[75:76]
	v_add_f64 v[27:28], v[27:28], v[67:68]
	v_fma_f64 v[67:68], v[16:17], v[153:154], v[77:78]
	v_add_f64 v[9:10], v[9:10], v[61:62]
	ds_read_b128 v[14:17], v4 offset:1328
	s_waitcnt vmcnt(41) lgkmcnt(1)
	v_mul_f64 v[77:78], v[20:21], v[167:168]
	s_waitcnt vmcnt(40)
	v_fma_f64 v[63:64], v[0:1], v[180:181], -v[63:64]
	v_mul_f64 v[61:62], v[18:19], v[167:168]
	v_fma_f64 v[45:46], v[2:3], v[180:181], v[45:46]
	ds_read_b128 v[0:3], v4 offset:1344
	v_add_f64 v[27:28], v[27:28], v[75:76]
	v_add_f64 v[9:10], v[9:10], v[67:68]
	s_waitcnt vmcnt(39) lgkmcnt(1)
	v_mul_f64 v[75:76], v[16:17], v[173:174]
	v_mul_f64 v[67:68], v[14:15], v[173:174]
	s_waitcnt vmcnt(37)
	v_fma_f64 v[77:78], v[18:19], v[22:23], -v[77:78]
	v_fma_f64 v[22:23], v[20:21], v[22:23], v[61:62]
	ds_read_b128 v[18:21], v4 offset:1360
	v_add_f64 v[27:28], v[27:28], v[63:64]
	v_add_f64 v[9:10], v[9:10], v[45:46]
	s_waitcnt vmcnt(33) lgkmcnt(1)
	v_mul_f64 v[45:46], v[0:1], v[33:34]
	v_mul_f64 v[33:34], v[2:3], v[33:34]
	s_waitcnt vmcnt(32)
	v_fma_f64 v[61:62], v[14:15], v[177:178], -v[75:76]
	;; [unrolled: 9-line block ×7, first 2 shown]
	v_fma_f64 v[22:23], v[20:21], v[55:56], v[22:23]
	ds_read_b128 v[18:21], v4 offset:1456
	v_add_f64 v[27:28], v[27:28], v[33:34]
	v_add_f64 v[9:10], v[9:10], v[31:32]
	s_waitcnt vmcnt(9) lgkmcnt(1)
	v_mul_f64 v[33:34], v[2:3], v[35:36]
	s_waitcnt vmcnt(8)
	v_fma_f64 v[14:15], v[14:15], v[163:164], -v[43:44]
	v_mul_f64 v[31:32], v[0:1], v[35:36]
	v_fma_f64 v[16:17], v[16:17], v[163:164], v[41:42]
	v_add_f64 v[27:28], v[27:28], v[29:30]
	v_add_f64 v[9:10], v[9:10], v[22:23]
	s_waitcnt vmcnt(7) lgkmcnt(0)
	v_mul_f64 v[29:30], v[20:21], v[65:66]
	v_mul_f64 v[22:23], v[18:19], v[65:66]
	s_waitcnt vmcnt(5)
	v_fma_f64 v[0:1], v[0:1], v[53:54], -v[33:34]
	v_fma_f64 v[2:3], v[2:3], v[53:54], v[31:32]
	v_add_f64 v[14:15], v[27:28], v[14:15]
	v_add_f64 v[9:10], v[9:10], v[16:17]
	s_waitcnt vmcnt(4)
	v_fma_f64 v[16:17], v[18:19], v[161:162], -v[29:30]
	v_add_f64 v[0:1], v[14:15], v[0:1]
	v_fma_f64 v[14:15], v[20:21], v[161:162], v[22:23]
	v_add_f64 v[2:3], v[9:10], v[2:3]
	v_add_f64 v[0:1], v[0:1], v[16:17]
	;; [unrolled: 1-line block ×3, first 2 shown]
	s_waitcnt vmcnt(2)
	v_add_f64 v[0:1], v[57:58], -v[0:1]
	s_waitcnt vmcnt(0)
	v_add_f64 v[2:3], v[73:74], -v[2:3]
	buffer_store_dword v1, off, s[0:3], 0 offset:20
	buffer_store_dword v0, off, s[0:3], 0 offset:16
	;; [unrolled: 1-line block ×4, first 2 shown]
	s_cbranch_vccz .LBB45_380
; %bb.290:
	global_load_dword v0, v4, s[20:21] offset:176
	s_waitcnt vmcnt(0)
	v_add_nc_u32_e32 v0, -1, v0
	v_cmp_ne_u32_e32 vcc_lo, 44, v0
	s_cbranch_vccz .LBB45_292
; %bb.291:
	v_lshlrev_b32_e32 v0, 4, v0
	v_mov_b32_e32 v1, s9
	v_add_nc_u32_e32 v0, 16, v0
	s_clause 0x7
	buffer_load_dword v2, v0, s[0:3], 0 offen
	buffer_load_dword v3, v0, s[0:3], 0 offen offset:4
	buffer_load_dword v4, v0, s[0:3], 0 offen offset:8
	;; [unrolled: 1-line block ×6, first 2 shown]
	buffer_load_dword v15, v1, s[0:3], 0 offen
	s_waitcnt vmcnt(7)
	buffer_store_dword v2, v1, s[0:3], 0 offen
	s_waitcnt vmcnt(6)
	buffer_store_dword v3, v1, s[0:3], 0 offen offset:4
	s_waitcnt vmcnt(5)
	buffer_store_dword v4, v1, s[0:3], 0 offen offset:8
	;; [unrolled: 2-line block ×6, first 2 shown]
	s_waitcnt vmcnt(0)
	buffer_store_dword v15, v0, s[0:3], 0 offen
.LBB45_292:
	v_mov_b32_e32 v0, 0
	global_load_dword v1, v0, s[20:21] offset:172
	s_waitcnt vmcnt(0)
	v_add_nc_u32_e32 v1, -1, v1
	v_cmp_eq_u32_e32 vcc_lo, 43, v1
	s_cbranch_vccnz .LBB45_294
; %bb.293:
	v_lshlrev_b32_e32 v1, 4, v1
	v_mov_b32_e32 v2, s12
	v_add_nc_u32_e32 v1, 16, v1
	s_clause 0x7
	buffer_load_dword v3, v1, s[0:3], 0 offen
	buffer_load_dword v4, v1, s[0:3], 0 offen offset:4
	buffer_load_dword v9, v1, s[0:3], 0 offen offset:8
	;; [unrolled: 1-line block ×6, first 2 shown]
	buffer_load_dword v16, v2, s[0:3], 0 offen
	s_waitcnt vmcnt(7)
	buffer_store_dword v3, v2, s[0:3], 0 offen
	s_waitcnt vmcnt(6)
	buffer_store_dword v4, v2, s[0:3], 0 offen offset:4
	s_waitcnt vmcnt(5)
	buffer_store_dword v9, v2, s[0:3], 0 offen offset:8
	;; [unrolled: 2-line block ×6, first 2 shown]
	s_waitcnt vmcnt(0)
	buffer_store_dword v16, v1, s[0:3], 0 offen
.LBB45_294:
	global_load_dword v0, v0, s[20:21] offset:168
	s_waitcnt vmcnt(0)
	v_add_nc_u32_e32 v0, -1, v0
	v_cmp_eq_u32_e32 vcc_lo, 42, v0
	s_cbranch_vccnz .LBB45_296
; %bb.295:
	v_lshlrev_b32_e32 v0, 4, v0
	v_mov_b32_e32 v1, s13
	v_add_nc_u32_e32 v0, 16, v0
	s_clause 0x7
	buffer_load_dword v2, v0, s[0:3], 0 offen
	buffer_load_dword v3, v0, s[0:3], 0 offen offset:4
	buffer_load_dword v4, v0, s[0:3], 0 offen offset:8
	buffer_load_dword v9, v0, s[0:3], 0 offen offset:12
	buffer_load_dword v10, v1, s[0:3], 0 offen offset:12
	buffer_load_dword v11, v1, s[0:3], 0 offen offset:8
	buffer_load_dword v14, v1, s[0:3], 0 offen offset:4
	buffer_load_dword v15, v1, s[0:3], 0 offen
	s_waitcnt vmcnt(7)
	buffer_store_dword v2, v1, s[0:3], 0 offen
	s_waitcnt vmcnt(6)
	buffer_store_dword v3, v1, s[0:3], 0 offen offset:4
	s_waitcnt vmcnt(5)
	buffer_store_dword v4, v1, s[0:3], 0 offen offset:8
	;; [unrolled: 2-line block ×6, first 2 shown]
	s_waitcnt vmcnt(0)
	buffer_store_dword v15, v0, s[0:3], 0 offen
.LBB45_296:
	v_mov_b32_e32 v0, 0
	global_load_dword v1, v0, s[20:21] offset:164
	s_waitcnt vmcnt(0)
	v_add_nc_u32_e32 v1, -1, v1
	v_cmp_eq_u32_e32 vcc_lo, 41, v1
	s_cbranch_vccnz .LBB45_298
; %bb.297:
	v_lshlrev_b32_e32 v1, 4, v1
	v_mov_b32_e32 v2, s14
	v_add_nc_u32_e32 v1, 16, v1
	s_clause 0x7
	buffer_load_dword v3, v1, s[0:3], 0 offen
	buffer_load_dword v4, v1, s[0:3], 0 offen offset:4
	buffer_load_dword v9, v1, s[0:3], 0 offen offset:8
	;; [unrolled: 1-line block ×6, first 2 shown]
	buffer_load_dword v16, v2, s[0:3], 0 offen
	s_waitcnt vmcnt(7)
	buffer_store_dword v3, v2, s[0:3], 0 offen
	s_waitcnt vmcnt(6)
	buffer_store_dword v4, v2, s[0:3], 0 offen offset:4
	s_waitcnt vmcnt(5)
	buffer_store_dword v9, v2, s[0:3], 0 offen offset:8
	;; [unrolled: 2-line block ×6, first 2 shown]
	s_waitcnt vmcnt(0)
	buffer_store_dword v16, v1, s[0:3], 0 offen
.LBB45_298:
	global_load_dword v0, v0, s[20:21] offset:160
	s_waitcnt vmcnt(0)
	v_add_nc_u32_e32 v0, -1, v0
	v_cmp_eq_u32_e32 vcc_lo, 40, v0
	s_cbranch_vccnz .LBB45_300
; %bb.299:
	v_lshlrev_b32_e32 v0, 4, v0
	v_mov_b32_e32 v1, s15
	v_add_nc_u32_e32 v0, 16, v0
	s_clause 0x7
	buffer_load_dword v2, v0, s[0:3], 0 offen
	buffer_load_dword v3, v0, s[0:3], 0 offen offset:4
	buffer_load_dword v4, v0, s[0:3], 0 offen offset:8
	;; [unrolled: 1-line block ×6, first 2 shown]
	buffer_load_dword v15, v1, s[0:3], 0 offen
	s_waitcnt vmcnt(7)
	buffer_store_dword v2, v1, s[0:3], 0 offen
	s_waitcnt vmcnt(6)
	buffer_store_dword v3, v1, s[0:3], 0 offen offset:4
	s_waitcnt vmcnt(5)
	buffer_store_dword v4, v1, s[0:3], 0 offen offset:8
	s_waitcnt vmcnt(4)
	buffer_store_dword v9, v1, s[0:3], 0 offen offset:12
	s_waitcnt vmcnt(3)
	buffer_store_dword v10, v0, s[0:3], 0 offen offset:12
	s_waitcnt vmcnt(2)
	buffer_store_dword v11, v0, s[0:3], 0 offen offset:8
	s_waitcnt vmcnt(1)
	buffer_store_dword v14, v0, s[0:3], 0 offen offset:4
	s_waitcnt vmcnt(0)
	buffer_store_dword v15, v0, s[0:3], 0 offen
.LBB45_300:
	v_mov_b32_e32 v0, 0
	global_load_dword v1, v0, s[20:21] offset:156
	s_waitcnt vmcnt(0)
	v_add_nc_u32_e32 v1, -1, v1
	v_cmp_eq_u32_e32 vcc_lo, 39, v1
	s_cbranch_vccnz .LBB45_302
; %bb.301:
	v_lshlrev_b32_e32 v1, 4, v1
	v_mov_b32_e32 v2, s16
	v_add_nc_u32_e32 v1, 16, v1
	s_clause 0x7
	buffer_load_dword v3, v1, s[0:3], 0 offen
	buffer_load_dword v4, v1, s[0:3], 0 offen offset:4
	buffer_load_dword v9, v1, s[0:3], 0 offen offset:8
	;; [unrolled: 1-line block ×6, first 2 shown]
	buffer_load_dword v16, v2, s[0:3], 0 offen
	s_waitcnt vmcnt(7)
	buffer_store_dword v3, v2, s[0:3], 0 offen
	s_waitcnt vmcnt(6)
	buffer_store_dword v4, v2, s[0:3], 0 offen offset:4
	s_waitcnt vmcnt(5)
	buffer_store_dword v9, v2, s[0:3], 0 offen offset:8
	;; [unrolled: 2-line block ×6, first 2 shown]
	s_waitcnt vmcnt(0)
	buffer_store_dword v16, v1, s[0:3], 0 offen
.LBB45_302:
	global_load_dword v0, v0, s[20:21] offset:152
	s_waitcnt vmcnt(0)
	v_add_nc_u32_e32 v0, -1, v0
	v_cmp_eq_u32_e32 vcc_lo, 38, v0
	s_cbranch_vccnz .LBB45_304
; %bb.303:
	v_lshlrev_b32_e32 v0, 4, v0
	v_mov_b32_e32 v1, s17
	v_add_nc_u32_e32 v0, 16, v0
	s_clause 0x7
	buffer_load_dword v2, v0, s[0:3], 0 offen
	buffer_load_dword v3, v0, s[0:3], 0 offen offset:4
	buffer_load_dword v4, v0, s[0:3], 0 offen offset:8
	;; [unrolled: 1-line block ×6, first 2 shown]
	buffer_load_dword v15, v1, s[0:3], 0 offen
	s_waitcnt vmcnt(7)
	buffer_store_dword v2, v1, s[0:3], 0 offen
	s_waitcnt vmcnt(6)
	buffer_store_dword v3, v1, s[0:3], 0 offen offset:4
	s_waitcnt vmcnt(5)
	buffer_store_dword v4, v1, s[0:3], 0 offen offset:8
	;; [unrolled: 2-line block ×6, first 2 shown]
	s_waitcnt vmcnt(0)
	buffer_store_dword v15, v0, s[0:3], 0 offen
.LBB45_304:
	v_mov_b32_e32 v0, 0
	global_load_dword v1, v0, s[20:21] offset:148
	s_waitcnt vmcnt(0)
	v_add_nc_u32_e32 v1, -1, v1
	v_cmp_eq_u32_e32 vcc_lo, 37, v1
	s_cbranch_vccnz .LBB45_306
; %bb.305:
	v_lshlrev_b32_e32 v1, 4, v1
	v_mov_b32_e32 v2, s18
	v_add_nc_u32_e32 v1, 16, v1
	s_clause 0x7
	buffer_load_dword v3, v1, s[0:3], 0 offen
	buffer_load_dword v4, v1, s[0:3], 0 offen offset:4
	buffer_load_dword v9, v1, s[0:3], 0 offen offset:8
	;; [unrolled: 1-line block ×6, first 2 shown]
	buffer_load_dword v16, v2, s[0:3], 0 offen
	s_waitcnt vmcnt(7)
	buffer_store_dword v3, v2, s[0:3], 0 offen
	s_waitcnt vmcnt(6)
	buffer_store_dword v4, v2, s[0:3], 0 offen offset:4
	s_waitcnt vmcnt(5)
	buffer_store_dword v9, v2, s[0:3], 0 offen offset:8
	;; [unrolled: 2-line block ×6, first 2 shown]
	s_waitcnt vmcnt(0)
	buffer_store_dword v16, v1, s[0:3], 0 offen
.LBB45_306:
	global_load_dword v0, v0, s[20:21] offset:144
	s_waitcnt vmcnt(0)
	v_add_nc_u32_e32 v0, -1, v0
	v_cmp_eq_u32_e32 vcc_lo, 36, v0
	s_cbranch_vccnz .LBB45_308
; %bb.307:
	v_lshlrev_b32_e32 v0, 4, v0
	v_mov_b32_e32 v1, s19
	v_add_nc_u32_e32 v0, 16, v0
	s_clause 0x7
	buffer_load_dword v2, v0, s[0:3], 0 offen
	buffer_load_dword v3, v0, s[0:3], 0 offen offset:4
	buffer_load_dword v4, v0, s[0:3], 0 offen offset:8
	;; [unrolled: 1-line block ×6, first 2 shown]
	buffer_load_dword v15, v1, s[0:3], 0 offen
	s_waitcnt vmcnt(7)
	buffer_store_dword v2, v1, s[0:3], 0 offen
	s_waitcnt vmcnt(6)
	buffer_store_dword v3, v1, s[0:3], 0 offen offset:4
	s_waitcnt vmcnt(5)
	buffer_store_dword v4, v1, s[0:3], 0 offen offset:8
	;; [unrolled: 2-line block ×6, first 2 shown]
	s_waitcnt vmcnt(0)
	buffer_store_dword v15, v0, s[0:3], 0 offen
.LBB45_308:
	v_mov_b32_e32 v0, 0
	global_load_dword v1, v0, s[20:21] offset:140
	s_waitcnt vmcnt(0)
	v_add_nc_u32_e32 v1, -1, v1
	v_cmp_eq_u32_e32 vcc_lo, 35, v1
	s_cbranch_vccnz .LBB45_310
; %bb.309:
	v_lshlrev_b32_e32 v1, 4, v1
	v_mov_b32_e32 v2, s22
	v_add_nc_u32_e32 v1, 16, v1
	s_clause 0x7
	buffer_load_dword v3, v1, s[0:3], 0 offen
	buffer_load_dword v4, v1, s[0:3], 0 offen offset:4
	buffer_load_dword v9, v1, s[0:3], 0 offen offset:8
	;; [unrolled: 1-line block ×6, first 2 shown]
	buffer_load_dword v16, v2, s[0:3], 0 offen
	s_waitcnt vmcnt(7)
	buffer_store_dword v3, v2, s[0:3], 0 offen
	s_waitcnt vmcnt(6)
	buffer_store_dword v4, v2, s[0:3], 0 offen offset:4
	s_waitcnt vmcnt(5)
	buffer_store_dword v9, v2, s[0:3], 0 offen offset:8
	;; [unrolled: 2-line block ×6, first 2 shown]
	s_waitcnt vmcnt(0)
	buffer_store_dword v16, v1, s[0:3], 0 offen
.LBB45_310:
	global_load_dword v0, v0, s[20:21] offset:136
	s_waitcnt vmcnt(0)
	v_add_nc_u32_e32 v0, -1, v0
	v_cmp_eq_u32_e32 vcc_lo, 34, v0
	s_cbranch_vccnz .LBB45_312
; %bb.311:
	v_lshlrev_b32_e32 v0, 4, v0
	v_mov_b32_e32 v1, s23
	v_add_nc_u32_e32 v0, 16, v0
	s_clause 0x7
	buffer_load_dword v2, v0, s[0:3], 0 offen
	buffer_load_dword v3, v0, s[0:3], 0 offen offset:4
	buffer_load_dword v4, v0, s[0:3], 0 offen offset:8
	;; [unrolled: 1-line block ×6, first 2 shown]
	buffer_load_dword v15, v1, s[0:3], 0 offen
	s_waitcnt vmcnt(7)
	buffer_store_dword v2, v1, s[0:3], 0 offen
	s_waitcnt vmcnt(6)
	buffer_store_dword v3, v1, s[0:3], 0 offen offset:4
	s_waitcnt vmcnt(5)
	buffer_store_dword v4, v1, s[0:3], 0 offen offset:8
	;; [unrolled: 2-line block ×6, first 2 shown]
	s_waitcnt vmcnt(0)
	buffer_store_dword v15, v0, s[0:3], 0 offen
.LBB45_312:
	v_mov_b32_e32 v0, 0
	global_load_dword v1, v0, s[20:21] offset:132
	s_waitcnt vmcnt(0)
	v_add_nc_u32_e32 v1, -1, v1
	v_cmp_eq_u32_e32 vcc_lo, 33, v1
	s_cbranch_vccnz .LBB45_314
; %bb.313:
	v_lshlrev_b32_e32 v1, 4, v1
	v_mov_b32_e32 v2, s24
	v_add_nc_u32_e32 v1, 16, v1
	s_clause 0x7
	buffer_load_dword v3, v1, s[0:3], 0 offen
	buffer_load_dword v4, v1, s[0:3], 0 offen offset:4
	buffer_load_dword v9, v1, s[0:3], 0 offen offset:8
	;; [unrolled: 1-line block ×6, first 2 shown]
	buffer_load_dword v16, v2, s[0:3], 0 offen
	s_waitcnt vmcnt(7)
	buffer_store_dword v3, v2, s[0:3], 0 offen
	s_waitcnt vmcnt(6)
	buffer_store_dword v4, v2, s[0:3], 0 offen offset:4
	s_waitcnt vmcnt(5)
	buffer_store_dword v9, v2, s[0:3], 0 offen offset:8
	;; [unrolled: 2-line block ×6, first 2 shown]
	s_waitcnt vmcnt(0)
	buffer_store_dword v16, v1, s[0:3], 0 offen
.LBB45_314:
	global_load_dword v0, v0, s[20:21] offset:128
	s_waitcnt vmcnt(0)
	v_add_nc_u32_e32 v0, -1, v0
	v_cmp_eq_u32_e32 vcc_lo, 32, v0
	s_cbranch_vccnz .LBB45_316
; %bb.315:
	v_lshlrev_b32_e32 v0, 4, v0
	v_mov_b32_e32 v1, s25
	v_add_nc_u32_e32 v0, 16, v0
	s_clause 0x7
	buffer_load_dword v2, v0, s[0:3], 0 offen
	buffer_load_dword v3, v0, s[0:3], 0 offen offset:4
	buffer_load_dword v4, v0, s[0:3], 0 offen offset:8
	;; [unrolled: 1-line block ×6, first 2 shown]
	buffer_load_dword v15, v1, s[0:3], 0 offen
	s_waitcnt vmcnt(7)
	buffer_store_dword v2, v1, s[0:3], 0 offen
	s_waitcnt vmcnt(6)
	buffer_store_dword v3, v1, s[0:3], 0 offen offset:4
	s_waitcnt vmcnt(5)
	buffer_store_dword v4, v1, s[0:3], 0 offen offset:8
	;; [unrolled: 2-line block ×6, first 2 shown]
	s_waitcnt vmcnt(0)
	buffer_store_dword v15, v0, s[0:3], 0 offen
.LBB45_316:
	v_mov_b32_e32 v0, 0
	global_load_dword v1, v0, s[20:21] offset:124
	s_waitcnt vmcnt(0)
	v_add_nc_u32_e32 v1, -1, v1
	v_cmp_eq_u32_e32 vcc_lo, 31, v1
	s_cbranch_vccnz .LBB45_318
; %bb.317:
	v_lshlrev_b32_e32 v1, 4, v1
	v_mov_b32_e32 v2, s26
	v_add_nc_u32_e32 v1, 16, v1
	s_clause 0x7
	buffer_load_dword v3, v1, s[0:3], 0 offen
	buffer_load_dword v4, v1, s[0:3], 0 offen offset:4
	buffer_load_dword v9, v1, s[0:3], 0 offen offset:8
	;; [unrolled: 1-line block ×6, first 2 shown]
	buffer_load_dword v16, v2, s[0:3], 0 offen
	s_waitcnt vmcnt(7)
	buffer_store_dword v3, v2, s[0:3], 0 offen
	s_waitcnt vmcnt(6)
	buffer_store_dword v4, v2, s[0:3], 0 offen offset:4
	s_waitcnt vmcnt(5)
	buffer_store_dword v9, v2, s[0:3], 0 offen offset:8
	;; [unrolled: 2-line block ×6, first 2 shown]
	s_waitcnt vmcnt(0)
	buffer_store_dword v16, v1, s[0:3], 0 offen
.LBB45_318:
	global_load_dword v0, v0, s[20:21] offset:120
	s_waitcnt vmcnt(0)
	v_add_nc_u32_e32 v0, -1, v0
	v_cmp_eq_u32_e32 vcc_lo, 30, v0
	s_cbranch_vccnz .LBB45_320
; %bb.319:
	v_lshlrev_b32_e32 v0, 4, v0
	v_mov_b32_e32 v1, s27
	v_add_nc_u32_e32 v0, 16, v0
	s_clause 0x7
	buffer_load_dword v2, v0, s[0:3], 0 offen
	buffer_load_dword v3, v0, s[0:3], 0 offen offset:4
	buffer_load_dword v4, v0, s[0:3], 0 offen offset:8
	;; [unrolled: 1-line block ×6, first 2 shown]
	buffer_load_dword v15, v1, s[0:3], 0 offen
	s_waitcnt vmcnt(7)
	buffer_store_dword v2, v1, s[0:3], 0 offen
	s_waitcnt vmcnt(6)
	buffer_store_dword v3, v1, s[0:3], 0 offen offset:4
	s_waitcnt vmcnt(5)
	buffer_store_dword v4, v1, s[0:3], 0 offen offset:8
	s_waitcnt vmcnt(4)
	buffer_store_dword v9, v1, s[0:3], 0 offen offset:12
	s_waitcnt vmcnt(3)
	buffer_store_dword v10, v0, s[0:3], 0 offen offset:12
	s_waitcnt vmcnt(2)
	buffer_store_dword v11, v0, s[0:3], 0 offen offset:8
	s_waitcnt vmcnt(1)
	buffer_store_dword v14, v0, s[0:3], 0 offen offset:4
	s_waitcnt vmcnt(0)
	buffer_store_dword v15, v0, s[0:3], 0 offen
.LBB45_320:
	v_mov_b32_e32 v0, 0
	global_load_dword v1, v0, s[20:21] offset:116
	s_waitcnt vmcnt(0)
	v_add_nc_u32_e32 v1, -1, v1
	v_cmp_eq_u32_e32 vcc_lo, 29, v1
	s_cbranch_vccnz .LBB45_322
; %bb.321:
	v_lshlrev_b32_e32 v1, 4, v1
	v_mov_b32_e32 v2, s28
	v_add_nc_u32_e32 v1, 16, v1
	s_clause 0x7
	buffer_load_dword v3, v1, s[0:3], 0 offen
	buffer_load_dword v4, v1, s[0:3], 0 offen offset:4
	buffer_load_dword v9, v1, s[0:3], 0 offen offset:8
	;; [unrolled: 1-line block ×6, first 2 shown]
	buffer_load_dword v16, v2, s[0:3], 0 offen
	s_waitcnt vmcnt(7)
	buffer_store_dword v3, v2, s[0:3], 0 offen
	s_waitcnt vmcnt(6)
	buffer_store_dword v4, v2, s[0:3], 0 offen offset:4
	s_waitcnt vmcnt(5)
	buffer_store_dword v9, v2, s[0:3], 0 offen offset:8
	;; [unrolled: 2-line block ×6, first 2 shown]
	s_waitcnt vmcnt(0)
	buffer_store_dword v16, v1, s[0:3], 0 offen
.LBB45_322:
	global_load_dword v0, v0, s[20:21] offset:112
	s_waitcnt vmcnt(0)
	v_add_nc_u32_e32 v0, -1, v0
	v_cmp_eq_u32_e32 vcc_lo, 28, v0
	s_cbranch_vccnz .LBB45_324
; %bb.323:
	v_lshlrev_b32_e32 v0, 4, v0
	v_mov_b32_e32 v1, s29
	v_add_nc_u32_e32 v0, 16, v0
	s_clause 0x7
	buffer_load_dword v2, v0, s[0:3], 0 offen
	buffer_load_dword v3, v0, s[0:3], 0 offen offset:4
	buffer_load_dword v4, v0, s[0:3], 0 offen offset:8
	;; [unrolled: 1-line block ×6, first 2 shown]
	buffer_load_dword v15, v1, s[0:3], 0 offen
	s_waitcnt vmcnt(7)
	buffer_store_dword v2, v1, s[0:3], 0 offen
	s_waitcnt vmcnt(6)
	buffer_store_dword v3, v1, s[0:3], 0 offen offset:4
	s_waitcnt vmcnt(5)
	buffer_store_dword v4, v1, s[0:3], 0 offen offset:8
	;; [unrolled: 2-line block ×6, first 2 shown]
	s_waitcnt vmcnt(0)
	buffer_store_dword v15, v0, s[0:3], 0 offen
.LBB45_324:
	v_mov_b32_e32 v0, 0
	global_load_dword v1, v0, s[20:21] offset:108
	s_waitcnt vmcnt(0)
	v_add_nc_u32_e32 v1, -1, v1
	v_cmp_eq_u32_e32 vcc_lo, 27, v1
	s_cbranch_vccnz .LBB45_326
; %bb.325:
	v_lshlrev_b32_e32 v1, 4, v1
	v_mov_b32_e32 v2, s30
	v_add_nc_u32_e32 v1, 16, v1
	s_clause 0x7
	buffer_load_dword v3, v1, s[0:3], 0 offen
	buffer_load_dword v4, v1, s[0:3], 0 offen offset:4
	buffer_load_dword v9, v1, s[0:3], 0 offen offset:8
	;; [unrolled: 1-line block ×6, first 2 shown]
	buffer_load_dword v16, v2, s[0:3], 0 offen
	s_waitcnt vmcnt(7)
	buffer_store_dword v3, v2, s[0:3], 0 offen
	s_waitcnt vmcnt(6)
	buffer_store_dword v4, v2, s[0:3], 0 offen offset:4
	s_waitcnt vmcnt(5)
	buffer_store_dword v9, v2, s[0:3], 0 offen offset:8
	;; [unrolled: 2-line block ×6, first 2 shown]
	s_waitcnt vmcnt(0)
	buffer_store_dword v16, v1, s[0:3], 0 offen
.LBB45_326:
	global_load_dword v0, v0, s[20:21] offset:104
	s_waitcnt vmcnt(0)
	v_add_nc_u32_e32 v0, -1, v0
	v_cmp_eq_u32_e32 vcc_lo, 26, v0
	s_cbranch_vccnz .LBB45_328
; %bb.327:
	v_lshlrev_b32_e32 v0, 4, v0
	v_mov_b32_e32 v1, s31
	v_add_nc_u32_e32 v0, 16, v0
	s_clause 0x7
	buffer_load_dword v2, v0, s[0:3], 0 offen
	buffer_load_dword v3, v0, s[0:3], 0 offen offset:4
	buffer_load_dword v4, v0, s[0:3], 0 offen offset:8
	buffer_load_dword v9, v0, s[0:3], 0 offen offset:12
	buffer_load_dword v10, v1, s[0:3], 0 offen offset:12
	buffer_load_dword v11, v1, s[0:3], 0 offen offset:8
	buffer_load_dword v14, v1, s[0:3], 0 offen offset:4
	buffer_load_dword v15, v1, s[0:3], 0 offen
	s_waitcnt vmcnt(7)
	buffer_store_dword v2, v1, s[0:3], 0 offen
	s_waitcnt vmcnt(6)
	buffer_store_dword v3, v1, s[0:3], 0 offen offset:4
	s_waitcnt vmcnt(5)
	buffer_store_dword v4, v1, s[0:3], 0 offen offset:8
	;; [unrolled: 2-line block ×6, first 2 shown]
	s_waitcnt vmcnt(0)
	buffer_store_dword v15, v0, s[0:3], 0 offen
.LBB45_328:
	v_mov_b32_e32 v0, 0
	global_load_dword v1, v0, s[20:21] offset:100
	s_waitcnt vmcnt(0)
	v_add_nc_u32_e32 v1, -1, v1
	v_cmp_eq_u32_e32 vcc_lo, 25, v1
	s_cbranch_vccnz .LBB45_330
; %bb.329:
	v_lshlrev_b32_e32 v1, 4, v1
	v_mov_b32_e32 v2, s33
	v_add_nc_u32_e32 v1, 16, v1
	s_clause 0x7
	buffer_load_dword v3, v1, s[0:3], 0 offen
	buffer_load_dword v4, v1, s[0:3], 0 offen offset:4
	buffer_load_dword v9, v1, s[0:3], 0 offen offset:8
	;; [unrolled: 1-line block ×6, first 2 shown]
	buffer_load_dword v16, v2, s[0:3], 0 offen
	s_waitcnt vmcnt(7)
	buffer_store_dword v3, v2, s[0:3], 0 offen
	s_waitcnt vmcnt(6)
	buffer_store_dword v4, v2, s[0:3], 0 offen offset:4
	s_waitcnt vmcnt(5)
	buffer_store_dword v9, v2, s[0:3], 0 offen offset:8
	s_waitcnt vmcnt(4)
	buffer_store_dword v10, v2, s[0:3], 0 offen offset:12
	s_waitcnt vmcnt(3)
	buffer_store_dword v11, v1, s[0:3], 0 offen offset:12
	s_waitcnt vmcnt(2)
	buffer_store_dword v14, v1, s[0:3], 0 offen offset:8
	s_waitcnt vmcnt(1)
	buffer_store_dword v15, v1, s[0:3], 0 offen offset:4
	s_waitcnt vmcnt(0)
	buffer_store_dword v16, v1, s[0:3], 0 offen
.LBB45_330:
	global_load_dword v0, v0, s[20:21] offset:96
	s_waitcnt vmcnt(0)
	v_add_nc_u32_e32 v0, -1, v0
	v_cmp_eq_u32_e32 vcc_lo, 24, v0
	s_cbranch_vccnz .LBB45_332
; %bb.331:
	v_lshlrev_b32_e32 v0, 4, v0
	v_mov_b32_e32 v1, s34
	v_add_nc_u32_e32 v0, 16, v0
	s_clause 0x7
	buffer_load_dword v2, v0, s[0:3], 0 offen
	buffer_load_dword v3, v0, s[0:3], 0 offen offset:4
	buffer_load_dword v4, v0, s[0:3], 0 offen offset:8
	;; [unrolled: 1-line block ×6, first 2 shown]
	buffer_load_dword v15, v1, s[0:3], 0 offen
	s_waitcnt vmcnt(7)
	buffer_store_dword v2, v1, s[0:3], 0 offen
	s_waitcnt vmcnt(6)
	buffer_store_dword v3, v1, s[0:3], 0 offen offset:4
	s_waitcnt vmcnt(5)
	buffer_store_dword v4, v1, s[0:3], 0 offen offset:8
	;; [unrolled: 2-line block ×6, first 2 shown]
	s_waitcnt vmcnt(0)
	buffer_store_dword v15, v0, s[0:3], 0 offen
.LBB45_332:
	v_mov_b32_e32 v0, 0
	global_load_dword v1, v0, s[20:21] offset:92
	s_waitcnt vmcnt(0)
	v_add_nc_u32_e32 v1, -1, v1
	v_cmp_eq_u32_e32 vcc_lo, 23, v1
	s_cbranch_vccnz .LBB45_334
; %bb.333:
	v_lshlrev_b32_e32 v1, 4, v1
	v_mov_b32_e32 v2, s35
	v_add_nc_u32_e32 v1, 16, v1
	s_clause 0x7
	buffer_load_dword v3, v1, s[0:3], 0 offen
	buffer_load_dword v4, v1, s[0:3], 0 offen offset:4
	buffer_load_dword v9, v1, s[0:3], 0 offen offset:8
	;; [unrolled: 1-line block ×6, first 2 shown]
	buffer_load_dword v16, v2, s[0:3], 0 offen
	s_waitcnt vmcnt(7)
	buffer_store_dword v3, v2, s[0:3], 0 offen
	s_waitcnt vmcnt(6)
	buffer_store_dword v4, v2, s[0:3], 0 offen offset:4
	s_waitcnt vmcnt(5)
	buffer_store_dword v9, v2, s[0:3], 0 offen offset:8
	;; [unrolled: 2-line block ×6, first 2 shown]
	s_waitcnt vmcnt(0)
	buffer_store_dword v16, v1, s[0:3], 0 offen
.LBB45_334:
	global_load_dword v0, v0, s[20:21] offset:88
	s_waitcnt vmcnt(0)
	v_add_nc_u32_e32 v0, -1, v0
	v_cmp_eq_u32_e32 vcc_lo, 22, v0
	s_cbranch_vccnz .LBB45_336
; %bb.335:
	v_lshlrev_b32_e32 v0, 4, v0
	v_mov_b32_e32 v1, s36
	v_add_nc_u32_e32 v0, 16, v0
	s_clause 0x7
	buffer_load_dword v2, v0, s[0:3], 0 offen
	buffer_load_dword v3, v0, s[0:3], 0 offen offset:4
	buffer_load_dword v4, v0, s[0:3], 0 offen offset:8
	;; [unrolled: 1-line block ×6, first 2 shown]
	buffer_load_dword v15, v1, s[0:3], 0 offen
	s_waitcnt vmcnt(7)
	buffer_store_dword v2, v1, s[0:3], 0 offen
	s_waitcnt vmcnt(6)
	buffer_store_dword v3, v1, s[0:3], 0 offen offset:4
	s_waitcnt vmcnt(5)
	buffer_store_dword v4, v1, s[0:3], 0 offen offset:8
	;; [unrolled: 2-line block ×6, first 2 shown]
	s_waitcnt vmcnt(0)
	buffer_store_dword v15, v0, s[0:3], 0 offen
.LBB45_336:
	v_mov_b32_e32 v0, 0
	global_load_dword v1, v0, s[20:21] offset:84
	s_waitcnt vmcnt(0)
	v_add_nc_u32_e32 v1, -1, v1
	v_cmp_eq_u32_e32 vcc_lo, 21, v1
	s_cbranch_vccnz .LBB45_338
; %bb.337:
	v_lshlrev_b32_e32 v1, 4, v1
	v_mov_b32_e32 v2, s37
	v_add_nc_u32_e32 v1, 16, v1
	s_clause 0x7
	buffer_load_dword v3, v1, s[0:3], 0 offen
	buffer_load_dword v4, v1, s[0:3], 0 offen offset:4
	buffer_load_dword v9, v1, s[0:3], 0 offen offset:8
	;; [unrolled: 1-line block ×6, first 2 shown]
	buffer_load_dword v16, v2, s[0:3], 0 offen
	s_waitcnt vmcnt(7)
	buffer_store_dword v3, v2, s[0:3], 0 offen
	s_waitcnt vmcnt(6)
	buffer_store_dword v4, v2, s[0:3], 0 offen offset:4
	s_waitcnt vmcnt(5)
	buffer_store_dword v9, v2, s[0:3], 0 offen offset:8
	;; [unrolled: 2-line block ×6, first 2 shown]
	s_waitcnt vmcnt(0)
	buffer_store_dword v16, v1, s[0:3], 0 offen
.LBB45_338:
	global_load_dword v0, v0, s[20:21] offset:80
	s_waitcnt vmcnt(0)
	v_add_nc_u32_e32 v0, -1, v0
	v_cmp_eq_u32_e32 vcc_lo, 20, v0
	s_cbranch_vccnz .LBB45_340
; %bb.339:
	v_lshlrev_b32_e32 v0, 4, v0
	v_mov_b32_e32 v1, s38
	v_add_nc_u32_e32 v0, 16, v0
	s_clause 0x7
	buffer_load_dword v2, v0, s[0:3], 0 offen
	buffer_load_dword v3, v0, s[0:3], 0 offen offset:4
	buffer_load_dword v4, v0, s[0:3], 0 offen offset:8
	;; [unrolled: 1-line block ×6, first 2 shown]
	buffer_load_dword v15, v1, s[0:3], 0 offen
	s_waitcnt vmcnt(7)
	buffer_store_dword v2, v1, s[0:3], 0 offen
	s_waitcnt vmcnt(6)
	buffer_store_dword v3, v1, s[0:3], 0 offen offset:4
	s_waitcnt vmcnt(5)
	buffer_store_dword v4, v1, s[0:3], 0 offen offset:8
	;; [unrolled: 2-line block ×6, first 2 shown]
	s_waitcnt vmcnt(0)
	buffer_store_dword v15, v0, s[0:3], 0 offen
.LBB45_340:
	v_mov_b32_e32 v0, 0
	global_load_dword v1, v0, s[20:21] offset:76
	s_waitcnt vmcnt(0)
	v_add_nc_u32_e32 v1, -1, v1
	v_cmp_eq_u32_e32 vcc_lo, 19, v1
	s_cbranch_vccnz .LBB45_342
; %bb.341:
	v_lshlrev_b32_e32 v1, 4, v1
	v_mov_b32_e32 v2, s39
	v_add_nc_u32_e32 v1, 16, v1
	s_clause 0x7
	buffer_load_dword v3, v1, s[0:3], 0 offen
	buffer_load_dword v4, v1, s[0:3], 0 offen offset:4
	buffer_load_dword v9, v1, s[0:3], 0 offen offset:8
	;; [unrolled: 1-line block ×6, first 2 shown]
	buffer_load_dword v16, v2, s[0:3], 0 offen
	s_waitcnt vmcnt(7)
	buffer_store_dword v3, v2, s[0:3], 0 offen
	s_waitcnt vmcnt(6)
	buffer_store_dword v4, v2, s[0:3], 0 offen offset:4
	s_waitcnt vmcnt(5)
	buffer_store_dword v9, v2, s[0:3], 0 offen offset:8
	;; [unrolled: 2-line block ×6, first 2 shown]
	s_waitcnt vmcnt(0)
	buffer_store_dword v16, v1, s[0:3], 0 offen
.LBB45_342:
	global_load_dword v0, v0, s[20:21] offset:72
	s_waitcnt vmcnt(0)
	v_add_nc_u32_e32 v0, -1, v0
	v_cmp_eq_u32_e32 vcc_lo, 18, v0
	s_cbranch_vccnz .LBB45_344
; %bb.343:
	v_lshlrev_b32_e32 v0, 4, v0
	v_mov_b32_e32 v1, s41
	v_add_nc_u32_e32 v0, 16, v0
	s_clause 0x7
	buffer_load_dword v2, v0, s[0:3], 0 offen
	buffer_load_dword v3, v0, s[0:3], 0 offen offset:4
	buffer_load_dword v4, v0, s[0:3], 0 offen offset:8
	;; [unrolled: 1-line block ×6, first 2 shown]
	buffer_load_dword v15, v1, s[0:3], 0 offen
	s_waitcnt vmcnt(7)
	buffer_store_dword v2, v1, s[0:3], 0 offen
	s_waitcnt vmcnt(6)
	buffer_store_dword v3, v1, s[0:3], 0 offen offset:4
	s_waitcnt vmcnt(5)
	buffer_store_dword v4, v1, s[0:3], 0 offen offset:8
	;; [unrolled: 2-line block ×6, first 2 shown]
	s_waitcnt vmcnt(0)
	buffer_store_dword v15, v0, s[0:3], 0 offen
.LBB45_344:
	v_mov_b32_e32 v0, 0
	global_load_dword v1, v0, s[20:21] offset:68
	s_waitcnt vmcnt(0)
	v_add_nc_u32_e32 v1, -1, v1
	v_cmp_eq_u32_e32 vcc_lo, 17, v1
	s_cbranch_vccnz .LBB45_346
; %bb.345:
	v_lshlrev_b32_e32 v1, 4, v1
	v_mov_b32_e32 v2, s43
	v_add_nc_u32_e32 v1, 16, v1
	s_clause 0x7
	buffer_load_dword v3, v1, s[0:3], 0 offen
	buffer_load_dword v4, v1, s[0:3], 0 offen offset:4
	buffer_load_dword v9, v1, s[0:3], 0 offen offset:8
	;; [unrolled: 1-line block ×6, first 2 shown]
	buffer_load_dword v16, v2, s[0:3], 0 offen
	s_waitcnt vmcnt(7)
	buffer_store_dword v3, v2, s[0:3], 0 offen
	s_waitcnt vmcnt(6)
	buffer_store_dword v4, v2, s[0:3], 0 offen offset:4
	s_waitcnt vmcnt(5)
	buffer_store_dword v9, v2, s[0:3], 0 offen offset:8
	;; [unrolled: 2-line block ×6, first 2 shown]
	s_waitcnt vmcnt(0)
	buffer_store_dword v16, v1, s[0:3], 0 offen
.LBB45_346:
	global_load_dword v0, v0, s[20:21] offset:64
	s_waitcnt vmcnt(0)
	v_add_nc_u32_e32 v0, -1, v0
	v_cmp_eq_u32_e32 vcc_lo, 16, v0
	s_cbranch_vccnz .LBB45_348
; %bb.347:
	v_lshlrev_b32_e32 v0, 4, v0
	v_mov_b32_e32 v1, s45
	v_add_nc_u32_e32 v0, 16, v0
	s_clause 0x7
	buffer_load_dword v2, v0, s[0:3], 0 offen
	buffer_load_dword v3, v0, s[0:3], 0 offen offset:4
	buffer_load_dword v4, v0, s[0:3], 0 offen offset:8
	;; [unrolled: 1-line block ×6, first 2 shown]
	buffer_load_dword v15, v1, s[0:3], 0 offen
	s_waitcnt vmcnt(7)
	buffer_store_dword v2, v1, s[0:3], 0 offen
	s_waitcnt vmcnt(6)
	buffer_store_dword v3, v1, s[0:3], 0 offen offset:4
	s_waitcnt vmcnt(5)
	buffer_store_dword v4, v1, s[0:3], 0 offen offset:8
	;; [unrolled: 2-line block ×6, first 2 shown]
	s_waitcnt vmcnt(0)
	buffer_store_dword v15, v0, s[0:3], 0 offen
.LBB45_348:
	v_mov_b32_e32 v0, 0
	global_load_dword v1, v0, s[20:21] offset:60
	s_waitcnt vmcnt(0)
	v_add_nc_u32_e32 v1, -1, v1
	v_cmp_eq_u32_e32 vcc_lo, 15, v1
	s_cbranch_vccnz .LBB45_350
; %bb.349:
	v_lshlrev_b32_e32 v1, 4, v1
	v_mov_b32_e32 v2, s46
	v_add_nc_u32_e32 v1, 16, v1
	s_clause 0x7
	buffer_load_dword v3, v1, s[0:3], 0 offen
	buffer_load_dword v4, v1, s[0:3], 0 offen offset:4
	buffer_load_dword v9, v1, s[0:3], 0 offen offset:8
	;; [unrolled: 1-line block ×6, first 2 shown]
	buffer_load_dword v16, v2, s[0:3], 0 offen
	s_waitcnt vmcnt(7)
	buffer_store_dword v3, v2, s[0:3], 0 offen
	s_waitcnt vmcnt(6)
	buffer_store_dword v4, v2, s[0:3], 0 offen offset:4
	s_waitcnt vmcnt(5)
	buffer_store_dword v9, v2, s[0:3], 0 offen offset:8
	;; [unrolled: 2-line block ×6, first 2 shown]
	s_waitcnt vmcnt(0)
	buffer_store_dword v16, v1, s[0:3], 0 offen
.LBB45_350:
	global_load_dword v0, v0, s[20:21] offset:56
	s_waitcnt vmcnt(0)
	v_add_nc_u32_e32 v0, -1, v0
	v_cmp_eq_u32_e32 vcc_lo, 14, v0
	s_cbranch_vccnz .LBB45_352
; %bb.351:
	v_lshlrev_b32_e32 v0, 4, v0
	v_mov_b32_e32 v1, s48
	v_add_nc_u32_e32 v0, 16, v0
	s_clause 0x7
	buffer_load_dword v2, v0, s[0:3], 0 offen
	buffer_load_dword v3, v0, s[0:3], 0 offen offset:4
	buffer_load_dword v4, v0, s[0:3], 0 offen offset:8
	buffer_load_dword v9, v0, s[0:3], 0 offen offset:12
	buffer_load_dword v10, v1, s[0:3], 0 offen offset:12
	buffer_load_dword v11, v1, s[0:3], 0 offen offset:8
	buffer_load_dword v14, v1, s[0:3], 0 offen offset:4
	buffer_load_dword v15, v1, s[0:3], 0 offen
	s_waitcnt vmcnt(7)
	buffer_store_dword v2, v1, s[0:3], 0 offen
	s_waitcnt vmcnt(6)
	buffer_store_dword v3, v1, s[0:3], 0 offen offset:4
	s_waitcnt vmcnt(5)
	buffer_store_dword v4, v1, s[0:3], 0 offen offset:8
	;; [unrolled: 2-line block ×6, first 2 shown]
	s_waitcnt vmcnt(0)
	buffer_store_dword v15, v0, s[0:3], 0 offen
.LBB45_352:
	v_mov_b32_e32 v0, 0
	global_load_dword v1, v0, s[20:21] offset:52
	s_waitcnt vmcnt(0)
	v_add_nc_u32_e32 v1, -1, v1
	v_cmp_eq_u32_e32 vcc_lo, 13, v1
	s_cbranch_vccnz .LBB45_354
; %bb.353:
	v_lshlrev_b32_e32 v1, 4, v1
	v_mov_b32_e32 v2, s50
	v_add_nc_u32_e32 v1, 16, v1
	s_clause 0x7
	buffer_load_dword v3, v1, s[0:3], 0 offen
	buffer_load_dword v4, v1, s[0:3], 0 offen offset:4
	buffer_load_dword v9, v1, s[0:3], 0 offen offset:8
	;; [unrolled: 1-line block ×6, first 2 shown]
	buffer_load_dword v16, v2, s[0:3], 0 offen
	s_waitcnt vmcnt(7)
	buffer_store_dword v3, v2, s[0:3], 0 offen
	s_waitcnt vmcnt(6)
	buffer_store_dword v4, v2, s[0:3], 0 offen offset:4
	s_waitcnt vmcnt(5)
	buffer_store_dword v9, v2, s[0:3], 0 offen offset:8
	;; [unrolled: 2-line block ×6, first 2 shown]
	s_waitcnt vmcnt(0)
	buffer_store_dword v16, v1, s[0:3], 0 offen
.LBB45_354:
	global_load_dword v0, v0, s[20:21] offset:48
	s_waitcnt vmcnt(0)
	v_add_nc_u32_e32 v0, -1, v0
	v_cmp_eq_u32_e32 vcc_lo, 12, v0
	s_cbranch_vccnz .LBB45_356
; %bb.355:
	v_lshlrev_b32_e32 v0, 4, v0
	v_mov_b32_e32 v1, s52
	v_add_nc_u32_e32 v0, 16, v0
	s_clause 0x7
	buffer_load_dword v2, v0, s[0:3], 0 offen
	buffer_load_dword v3, v0, s[0:3], 0 offen offset:4
	buffer_load_dword v4, v0, s[0:3], 0 offen offset:8
	;; [unrolled: 1-line block ×6, first 2 shown]
	buffer_load_dword v15, v1, s[0:3], 0 offen
	s_waitcnt vmcnt(7)
	buffer_store_dword v2, v1, s[0:3], 0 offen
	s_waitcnt vmcnt(6)
	buffer_store_dword v3, v1, s[0:3], 0 offen offset:4
	s_waitcnt vmcnt(5)
	buffer_store_dword v4, v1, s[0:3], 0 offen offset:8
	;; [unrolled: 2-line block ×6, first 2 shown]
	s_waitcnt vmcnt(0)
	buffer_store_dword v15, v0, s[0:3], 0 offen
.LBB45_356:
	v_mov_b32_e32 v0, 0
	global_load_dword v1, v0, s[20:21] offset:44
	s_waitcnt vmcnt(0)
	v_add_nc_u32_e32 v1, -1, v1
	v_cmp_eq_u32_e32 vcc_lo, 11, v1
	s_cbranch_vccnz .LBB45_358
; %bb.357:
	v_lshlrev_b32_e32 v1, 4, v1
	v_mov_b32_e32 v2, s54
	v_add_nc_u32_e32 v1, 16, v1
	s_clause 0x7
	buffer_load_dword v3, v1, s[0:3], 0 offen
	buffer_load_dword v4, v1, s[0:3], 0 offen offset:4
	buffer_load_dword v9, v1, s[0:3], 0 offen offset:8
	;; [unrolled: 1-line block ×6, first 2 shown]
	buffer_load_dword v16, v2, s[0:3], 0 offen
	s_waitcnt vmcnt(7)
	buffer_store_dword v3, v2, s[0:3], 0 offen
	s_waitcnt vmcnt(6)
	buffer_store_dword v4, v2, s[0:3], 0 offen offset:4
	s_waitcnt vmcnt(5)
	buffer_store_dword v9, v2, s[0:3], 0 offen offset:8
	;; [unrolled: 2-line block ×6, first 2 shown]
	s_waitcnt vmcnt(0)
	buffer_store_dword v16, v1, s[0:3], 0 offen
.LBB45_358:
	global_load_dword v0, v0, s[20:21] offset:40
	s_waitcnt vmcnt(0)
	v_add_nc_u32_e32 v0, -1, v0
	v_cmp_eq_u32_e32 vcc_lo, 10, v0
	s_cbranch_vccnz .LBB45_360
; %bb.359:
	v_lshlrev_b32_e32 v0, 4, v0
	v_mov_b32_e32 v1, s55
	v_add_nc_u32_e32 v0, 16, v0
	s_clause 0x7
	buffer_load_dword v2, v0, s[0:3], 0 offen
	buffer_load_dword v3, v0, s[0:3], 0 offen offset:4
	buffer_load_dword v4, v0, s[0:3], 0 offen offset:8
	;; [unrolled: 1-line block ×6, first 2 shown]
	buffer_load_dword v15, v1, s[0:3], 0 offen
	s_waitcnt vmcnt(7)
	buffer_store_dword v2, v1, s[0:3], 0 offen
	s_waitcnt vmcnt(6)
	buffer_store_dword v3, v1, s[0:3], 0 offen offset:4
	s_waitcnt vmcnt(5)
	buffer_store_dword v4, v1, s[0:3], 0 offen offset:8
	s_waitcnt vmcnt(4)
	buffer_store_dword v9, v1, s[0:3], 0 offen offset:12
	s_waitcnt vmcnt(3)
	buffer_store_dword v10, v0, s[0:3], 0 offen offset:12
	s_waitcnt vmcnt(2)
	buffer_store_dword v11, v0, s[0:3], 0 offen offset:8
	s_waitcnt vmcnt(1)
	buffer_store_dword v14, v0, s[0:3], 0 offen offset:4
	s_waitcnt vmcnt(0)
	buffer_store_dword v15, v0, s[0:3], 0 offen
.LBB45_360:
	v_mov_b32_e32 v0, 0
	global_load_dword v1, v0, s[20:21] offset:36
	s_waitcnt vmcnt(0)
	v_add_nc_u32_e32 v1, -1, v1
	v_cmp_eq_u32_e32 vcc_lo, 9, v1
	s_cbranch_vccnz .LBB45_362
; %bb.361:
	v_lshlrev_b32_e32 v1, 4, v1
	v_mov_b32_e32 v2, s56
	v_add_nc_u32_e32 v1, 16, v1
	s_clause 0x7
	buffer_load_dword v3, v1, s[0:3], 0 offen
	buffer_load_dword v4, v1, s[0:3], 0 offen offset:4
	buffer_load_dword v9, v1, s[0:3], 0 offen offset:8
	;; [unrolled: 1-line block ×6, first 2 shown]
	buffer_load_dword v16, v2, s[0:3], 0 offen
	s_waitcnt vmcnt(7)
	buffer_store_dword v3, v2, s[0:3], 0 offen
	s_waitcnt vmcnt(6)
	buffer_store_dword v4, v2, s[0:3], 0 offen offset:4
	s_waitcnt vmcnt(5)
	buffer_store_dword v9, v2, s[0:3], 0 offen offset:8
	s_waitcnt vmcnt(4)
	buffer_store_dword v10, v2, s[0:3], 0 offen offset:12
	s_waitcnt vmcnt(3)
	buffer_store_dword v11, v1, s[0:3], 0 offen offset:12
	s_waitcnt vmcnt(2)
	buffer_store_dword v14, v1, s[0:3], 0 offen offset:8
	s_waitcnt vmcnt(1)
	buffer_store_dword v15, v1, s[0:3], 0 offen offset:4
	s_waitcnt vmcnt(0)
	buffer_store_dword v16, v1, s[0:3], 0 offen
.LBB45_362:
	global_load_dword v0, v0, s[20:21] offset:32
	s_waitcnt vmcnt(0)
	v_add_nc_u32_e32 v0, -1, v0
	v_cmp_eq_u32_e32 vcc_lo, 8, v0
	s_cbranch_vccnz .LBB45_364
; %bb.363:
	v_lshlrev_b32_e32 v0, 4, v0
	v_mov_b32_e32 v1, s57
	v_add_nc_u32_e32 v0, 16, v0
	s_clause 0x7
	buffer_load_dword v2, v0, s[0:3], 0 offen
	buffer_load_dword v3, v0, s[0:3], 0 offen offset:4
	buffer_load_dword v4, v0, s[0:3], 0 offen offset:8
	;; [unrolled: 1-line block ×6, first 2 shown]
	buffer_load_dword v15, v1, s[0:3], 0 offen
	s_waitcnt vmcnt(7)
	buffer_store_dword v2, v1, s[0:3], 0 offen
	s_waitcnt vmcnt(6)
	buffer_store_dword v3, v1, s[0:3], 0 offen offset:4
	s_waitcnt vmcnt(5)
	buffer_store_dword v4, v1, s[0:3], 0 offen offset:8
	;; [unrolled: 2-line block ×6, first 2 shown]
	s_waitcnt vmcnt(0)
	buffer_store_dword v15, v0, s[0:3], 0 offen
.LBB45_364:
	v_mov_b32_e32 v0, 0
	global_load_dword v1, v0, s[20:21] offset:28
	s_waitcnt vmcnt(0)
	v_add_nc_u32_e32 v1, -1, v1
	v_cmp_eq_u32_e32 vcc_lo, 7, v1
	s_cbranch_vccnz .LBB45_366
; %bb.365:
	v_lshlrev_b32_e32 v1, 4, v1
	v_mov_b32_e32 v2, s40
	v_add_nc_u32_e32 v1, 16, v1
	s_clause 0x7
	buffer_load_dword v3, v1, s[0:3], 0 offen
	buffer_load_dword v4, v1, s[0:3], 0 offen offset:4
	buffer_load_dword v9, v1, s[0:3], 0 offen offset:8
	;; [unrolled: 1-line block ×6, first 2 shown]
	buffer_load_dword v16, v2, s[0:3], 0 offen
	s_waitcnt vmcnt(7)
	buffer_store_dword v3, v2, s[0:3], 0 offen
	s_waitcnt vmcnt(6)
	buffer_store_dword v4, v2, s[0:3], 0 offen offset:4
	s_waitcnt vmcnt(5)
	buffer_store_dword v9, v2, s[0:3], 0 offen offset:8
	;; [unrolled: 2-line block ×6, first 2 shown]
	s_waitcnt vmcnt(0)
	buffer_store_dword v16, v1, s[0:3], 0 offen
.LBB45_366:
	global_load_dword v0, v0, s[20:21] offset:24
	s_waitcnt vmcnt(0)
	v_add_nc_u32_e32 v0, -1, v0
	v_cmp_eq_u32_e32 vcc_lo, 6, v0
	s_cbranch_vccnz .LBB45_368
; %bb.367:
	v_lshlrev_b32_e32 v0, 4, v0
	v_mov_b32_e32 v1, s42
	v_add_nc_u32_e32 v0, 16, v0
	s_clause 0x7
	buffer_load_dword v2, v0, s[0:3], 0 offen
	buffer_load_dword v3, v0, s[0:3], 0 offen offset:4
	buffer_load_dword v4, v0, s[0:3], 0 offen offset:8
	buffer_load_dword v9, v0, s[0:3], 0 offen offset:12
	buffer_load_dword v10, v1, s[0:3], 0 offen offset:12
	buffer_load_dword v11, v1, s[0:3], 0 offen offset:8
	buffer_load_dword v14, v1, s[0:3], 0 offen offset:4
	buffer_load_dword v15, v1, s[0:3], 0 offen
	s_waitcnt vmcnt(7)
	buffer_store_dword v2, v1, s[0:3], 0 offen
	s_waitcnt vmcnt(6)
	buffer_store_dword v3, v1, s[0:3], 0 offen offset:4
	s_waitcnt vmcnt(5)
	buffer_store_dword v4, v1, s[0:3], 0 offen offset:8
	;; [unrolled: 2-line block ×6, first 2 shown]
	s_waitcnt vmcnt(0)
	buffer_store_dword v15, v0, s[0:3], 0 offen
.LBB45_368:
	v_mov_b32_e32 v0, 0
	global_load_dword v1, v0, s[20:21] offset:20
	s_waitcnt vmcnt(0)
	v_add_nc_u32_e32 v1, -1, v1
	v_cmp_eq_u32_e32 vcc_lo, 5, v1
	s_cbranch_vccnz .LBB45_370
; %bb.369:
	v_lshlrev_b32_e32 v1, 4, v1
	v_mov_b32_e32 v2, s44
	v_add_nc_u32_e32 v1, 16, v1
	s_clause 0x7
	buffer_load_dword v3, v1, s[0:3], 0 offen
	buffer_load_dword v4, v1, s[0:3], 0 offen offset:4
	buffer_load_dword v9, v1, s[0:3], 0 offen offset:8
	buffer_load_dword v10, v1, s[0:3], 0 offen offset:12
	buffer_load_dword v11, v2, s[0:3], 0 offen offset:12
	buffer_load_dword v14, v2, s[0:3], 0 offen offset:8
	buffer_load_dword v15, v2, s[0:3], 0 offen offset:4
	buffer_load_dword v16, v2, s[0:3], 0 offen
	s_waitcnt vmcnt(7)
	buffer_store_dword v3, v2, s[0:3], 0 offen
	s_waitcnt vmcnt(6)
	buffer_store_dword v4, v2, s[0:3], 0 offen offset:4
	s_waitcnt vmcnt(5)
	buffer_store_dword v9, v2, s[0:3], 0 offen offset:8
	;; [unrolled: 2-line block ×6, first 2 shown]
	s_waitcnt vmcnt(0)
	buffer_store_dword v16, v1, s[0:3], 0 offen
.LBB45_370:
	global_load_dword v0, v0, s[20:21] offset:16
	s_waitcnt vmcnt(0)
	v_add_nc_u32_e32 v0, -1, v0
	v_cmp_eq_u32_e32 vcc_lo, 4, v0
	s_cbranch_vccnz .LBB45_372
; %bb.371:
	v_lshlrev_b32_e32 v0, 4, v0
	v_mov_b32_e32 v1, s47
	v_add_nc_u32_e32 v0, 16, v0
	s_clause 0x7
	buffer_load_dword v2, v0, s[0:3], 0 offen
	buffer_load_dword v3, v0, s[0:3], 0 offen offset:4
	buffer_load_dword v4, v0, s[0:3], 0 offen offset:8
	;; [unrolled: 1-line block ×6, first 2 shown]
	buffer_load_dword v15, v1, s[0:3], 0 offen
	s_waitcnt vmcnt(7)
	buffer_store_dword v2, v1, s[0:3], 0 offen
	s_waitcnt vmcnt(6)
	buffer_store_dword v3, v1, s[0:3], 0 offen offset:4
	s_waitcnt vmcnt(5)
	buffer_store_dword v4, v1, s[0:3], 0 offen offset:8
	;; [unrolled: 2-line block ×6, first 2 shown]
	s_waitcnt vmcnt(0)
	buffer_store_dword v15, v0, s[0:3], 0 offen
.LBB45_372:
	v_mov_b32_e32 v0, 0
	global_load_dword v1, v0, s[20:21] offset:12
	s_waitcnt vmcnt(0)
	v_add_nc_u32_e32 v1, -1, v1
	v_cmp_eq_u32_e32 vcc_lo, 3, v1
	s_cbranch_vccnz .LBB45_374
; %bb.373:
	v_lshlrev_b32_e32 v1, 4, v1
	v_mov_b32_e32 v2, s49
	v_add_nc_u32_e32 v1, 16, v1
	s_clause 0x7
	buffer_load_dword v3, v1, s[0:3], 0 offen
	buffer_load_dword v4, v1, s[0:3], 0 offen offset:4
	buffer_load_dword v9, v1, s[0:3], 0 offen offset:8
	;; [unrolled: 1-line block ×6, first 2 shown]
	buffer_load_dword v16, v2, s[0:3], 0 offen
	s_waitcnt vmcnt(7)
	buffer_store_dword v3, v2, s[0:3], 0 offen
	s_waitcnt vmcnt(6)
	buffer_store_dword v4, v2, s[0:3], 0 offen offset:4
	s_waitcnt vmcnt(5)
	buffer_store_dword v9, v2, s[0:3], 0 offen offset:8
	;; [unrolled: 2-line block ×6, first 2 shown]
	s_waitcnt vmcnt(0)
	buffer_store_dword v16, v1, s[0:3], 0 offen
.LBB45_374:
	global_load_dword v0, v0, s[20:21] offset:8
	s_waitcnt vmcnt(0)
	v_add_nc_u32_e32 v0, -1, v0
	v_cmp_eq_u32_e32 vcc_lo, 2, v0
	s_cbranch_vccnz .LBB45_376
; %bb.375:
	v_lshlrev_b32_e32 v0, 4, v0
	v_mov_b32_e32 v1, s51
	v_add_nc_u32_e32 v0, 16, v0
	s_clause 0x7
	buffer_load_dword v2, v0, s[0:3], 0 offen
	buffer_load_dword v3, v0, s[0:3], 0 offen offset:4
	buffer_load_dword v4, v0, s[0:3], 0 offen offset:8
	;; [unrolled: 1-line block ×6, first 2 shown]
	buffer_load_dword v15, v1, s[0:3], 0 offen
	s_waitcnt vmcnt(7)
	buffer_store_dword v2, v1, s[0:3], 0 offen
	s_waitcnt vmcnt(6)
	buffer_store_dword v3, v1, s[0:3], 0 offen offset:4
	s_waitcnt vmcnt(5)
	buffer_store_dword v4, v1, s[0:3], 0 offen offset:8
	;; [unrolled: 2-line block ×6, first 2 shown]
	s_waitcnt vmcnt(0)
	buffer_store_dword v15, v0, s[0:3], 0 offen
.LBB45_376:
	v_mov_b32_e32 v0, 0
	global_load_dword v1, v0, s[20:21] offset:4
	s_waitcnt vmcnt(0)
	v_add_nc_u32_e32 v1, -1, v1
	v_cmp_eq_u32_e32 vcc_lo, 1, v1
	s_cbranch_vccnz .LBB45_378
; %bb.377:
	v_lshlrev_b32_e32 v1, 4, v1
	v_mov_b32_e32 v2, s53
	v_add_nc_u32_e32 v1, 16, v1
	s_clause 0x7
	buffer_load_dword v3, v1, s[0:3], 0 offen
	buffer_load_dword v4, v1, s[0:3], 0 offen offset:4
	buffer_load_dword v9, v1, s[0:3], 0 offen offset:8
	;; [unrolled: 1-line block ×6, first 2 shown]
	buffer_load_dword v16, v2, s[0:3], 0 offen
	s_waitcnt vmcnt(7)
	buffer_store_dword v3, v2, s[0:3], 0 offen
	s_waitcnt vmcnt(6)
	buffer_store_dword v4, v2, s[0:3], 0 offen offset:4
	s_waitcnt vmcnt(5)
	buffer_store_dword v9, v2, s[0:3], 0 offen offset:8
	;; [unrolled: 2-line block ×6, first 2 shown]
	s_waitcnt vmcnt(0)
	buffer_store_dword v16, v1, s[0:3], 0 offen
.LBB45_378:
	global_load_dword v0, v0, s[20:21]
	s_waitcnt vmcnt(0)
	v_add_nc_u32_e32 v0, -1, v0
	v_cmp_eq_u32_e32 vcc_lo, 0, v0
	s_cbranch_vccnz .LBB45_380
; %bb.379:
	v_lshlrev_b32_e32 v0, 4, v0
	v_add_nc_u32_e32 v0, 16, v0
	s_clause 0x7
	buffer_load_dword v1, v0, s[0:3], 0 offen
	buffer_load_dword v2, v0, s[0:3], 0 offen offset:4
	buffer_load_dword v3, v0, s[0:3], 0 offen offset:8
	;; [unrolled: 1-line block ×3, first 2 shown]
	buffer_load_dword v9, off, s[0:3], 0 offset:28
	buffer_load_dword v10, off, s[0:3], 0 offset:24
	;; [unrolled: 1-line block ×4, first 2 shown]
	s_waitcnt vmcnt(7)
	buffer_store_dword v1, off, s[0:3], 0 offset:16
	s_waitcnt vmcnt(6)
	buffer_store_dword v2, off, s[0:3], 0 offset:20
	s_waitcnt vmcnt(5)
	buffer_store_dword v3, off, s[0:3], 0 offset:24
	s_waitcnt vmcnt(4)
	buffer_store_dword v4, off, s[0:3], 0 offset:28
	s_waitcnt vmcnt(3)
	buffer_store_dword v9, v0, s[0:3], 0 offen offset:12
	s_waitcnt vmcnt(2)
	buffer_store_dword v10, v0, s[0:3], 0 offen offset:8
	;; [unrolled: 2-line block ×3, first 2 shown]
	s_waitcnt vmcnt(0)
	buffer_store_dword v14, v0, s[0:3], 0 offen
.LBB45_380:
	v_mov_b32_e32 v4, s53
	s_clause 0x3
	buffer_load_dword v0, off, s[0:3], 0 offset:16
	buffer_load_dword v1, off, s[0:3], 0 offset:20
	;; [unrolled: 1-line block ×4, first 2 shown]
	v_mov_b32_e32 v9, s45
	v_mov_b32_e32 v11, s41
	v_mov_b32_e32 v23, s38
	s_clause 0x3
	buffer_load_dword v14, v4, s[0:3], 0 offen
	buffer_load_dword v15, v4, s[0:3], 0 offen offset:4
	buffer_load_dword v16, v4, s[0:3], 0 offen offset:8
	;; [unrolled: 1-line block ×3, first 2 shown]
	v_mov_b32_e32 v4, s51
	v_mov_b32_e32 v35, s36
	;; [unrolled: 1-line block ×4, first 2 shown]
	s_clause 0x3
	buffer_load_dword v18, v4, s[0:3], 0 offen
	buffer_load_dword v19, v4, s[0:3], 0 offen offset:4
	buffer_load_dword v20, v4, s[0:3], 0 offen offset:8
	;; [unrolled: 1-line block ×3, first 2 shown]
	v_mov_b32_e32 v4, s49
	v_mov_b32_e32 v22, s39
	v_mov_b32_e32 v179, s31
	s_clause 0x3
	buffer_load_dword v27, v4, s[0:3], 0 offen
	buffer_load_dword v28, v4, s[0:3], 0 offen offset:4
	buffer_load_dword v29, v4, s[0:3], 0 offen offset:8
	;; [unrolled: 1-line block ×3, first 2 shown]
	v_mov_b32_e32 v4, s47
	v_mov_b32_e32 v24, s37
	s_clause 0x3
	buffer_load_dword v31, v4, s[0:3], 0 offen
	buffer_load_dword v32, v4, s[0:3], 0 offen offset:4
	buffer_load_dword v33, v4, s[0:3], 0 offen offset:8
	buffer_load_dword v34, v4, s[0:3], 0 offen offset:12
	v_mov_b32_e32 v4, s44
	s_clause 0x3
	buffer_load_dword v41, v4, s[0:3], 0 offen
	buffer_load_dword v42, v4, s[0:3], 0 offen offset:4
	buffer_load_dword v43, v4, s[0:3], 0 offen offset:8
	buffer_load_dword v44, v4, s[0:3], 0 offen offset:12
	;; [unrolled: 6-line block ×12, first 2 shown]
	v_mov_b32_e32 v181, s29
	v_mov_b32_e32 v36, s35
	;; [unrolled: 1-line block ×21, first 2 shown]
	s_waitcnt vmcnt(60)
	global_store_dwordx4 v[81:82], v[0:3], off
	s_clause 0x7
	buffer_load_dword v0, v9, s[0:3], 0 offen
	buffer_load_dword v1, v9, s[0:3], 0 offen offset:4
	buffer_load_dword v2, v9, s[0:3], 0 offen offset:8
	buffer_load_dword v3, v9, s[0:3], 0 offen offset:12
	buffer_load_dword v165, v10, s[0:3], 0 offen
	buffer_load_dword v166, v10, s[0:3], 0 offen offset:4
	buffer_load_dword v167, v10, s[0:3], 0 offen offset:8
	buffer_load_dword v168, v10, s[0:3], 0 offen offset:12
	s_waitcnt vmcnt(62)
	global_store_dwordx4 v[83:84], v[14:17], off
	s_clause 0x7
	buffer_load_dword v14, v11, s[0:3], 0 offen
	buffer_load_dword v15, v11, s[0:3], 0 offen offset:4
	buffer_load_dword v16, v11, s[0:3], 0 offen offset:8
	buffer_load_dword v17, v11, s[0:3], 0 offen offset:12
	buffer_load_dword v81, v22, s[0:3], 0 offen
	buffer_load_dword v82, v22, s[0:3], 0 offen offset:4
	buffer_load_dword v83, v22, s[0:3], 0 offen offset:8
	buffer_load_dword v84, v22, s[0:3], 0 offen offset:12
	;; [unrolled: 11-line block ×3, first 2 shown]
	global_store_dwordx4 v[95:96], v[27:30], off
	s_clause 0x7
	buffer_load_dword v27, v35, s[0:3], 0 offen
	buffer_load_dword v28, v35, s[0:3], 0 offen offset:4
	buffer_load_dword v29, v35, s[0:3], 0 offen offset:8
	;; [unrolled: 1-line block ×3, first 2 shown]
	buffer_load_dword v173, v36, s[0:3], 0 offen
	buffer_load_dword v174, v36, s[0:3], 0 offen offset:4
	buffer_load_dword v175, v36, s[0:3], 0 offen offset:8
	;; [unrolled: 1-line block ×3, first 2 shown]
	s_waitcnt vmcnt(62)
	global_store_dwordx4 v[85:86], v[31:34], off
	s_clause 0x7
	buffer_load_dword v31, v177, s[0:3], 0 offen
	buffer_load_dword v32, v177, s[0:3], 0 offen offset:4
	buffer_load_dword v33, v177, s[0:3], 0 offen offset:8
	buffer_load_dword v34, v177, s[0:3], 0 offen offset:12
	buffer_load_dword v85, v178, s[0:3], 0 offen
	buffer_load_dword v86, v178, s[0:3], 0 offen offset:4
	buffer_load_dword v87, v178, s[0:3], 0 offen offset:8
	buffer_load_dword v88, v178, s[0:3], 0 offen offset:12
	global_store_dwordx4 v[91:92], v[41:44], off
	s_clause 0x7
	buffer_load_dword v41, v179, s[0:3], 0 offen
	buffer_load_dword v42, v179, s[0:3], 0 offen offset:4
	buffer_load_dword v43, v179, s[0:3], 0 offen offset:8
	buffer_load_dword v44, v179, s[0:3], 0 offen offset:12
	buffer_load_dword v177, v180, s[0:3], 0 offen
	buffer_load_dword v178, v180, s[0:3], 0 offen offset:4
	buffer_load_dword v179, v180, s[0:3], 0 offen offset:8
	buffer_load_dword v180, v180, s[0:3], 0 offen offset:12
	;; [unrolled: 10-line block ×4, first 2 shown]
	s_waitcnt vmcnt(62)
	global_store_dwordx4 v[97:98], v[57:60], off
	s_clause 0x7
	buffer_load_dword v57, v187, s[0:3], 0 offen
	buffer_load_dword v58, v187, s[0:3], 0 offen offset:4
	buffer_load_dword v59, v187, s[0:3], 0 offen offset:8
	buffer_load_dword v60, v187, s[0:3], 0 offen offset:12
	buffer_load_dword v95, v188, s[0:3], 0 offen
	buffer_load_dword v96, v188, s[0:3], 0 offen offset:4
	buffer_load_dword v97, v188, s[0:3], 0 offen offset:8
	buffer_load_dword v98, v188, s[0:3], 0 offen offset:12
	global_store_dwordx4 v[105:106], v[61:64], off
	s_clause 0x7
	buffer_load_dword v61, v189, s[0:3], 0 offen
	buffer_load_dword v62, v189, s[0:3], 0 offen offset:4
	buffer_load_dword v63, v189, s[0:3], 0 offen offset:8
	buffer_load_dword v64, v189, s[0:3], 0 offen offset:12
	buffer_load_dword v185, v190, s[0:3], 0 offen
	buffer_load_dword v186, v190, s[0:3], 0 offen offset:4
	buffer_load_dword v187, v190, s[0:3], 0 offen offset:8
	buffer_load_dword v188, v190, s[0:3], 0 offen offset:12
	;; [unrolled: 10-line block ×7, first 2 shown]
	global_store_dwordx4 v[111:112], v[161:164], off
	s_waitcnt vmcnt(62)
	global_store_dwordx4 v[113:114], v[0:3], off
	global_store_dwordx4 v[115:116], v[165:168], off
	;; [unrolled: 1-line block ×14, first 2 shown]
	s_waitcnt vmcnt(60)
	global_store_dwordx4 v[141:142], v[53:56], off
	s_waitcnt vmcnt(56)
	global_store_dwordx4 v[143:144], v[89:92], off
	;; [unrolled: 2-line block ×16, first 2 shown]
	s_endpgm
	.section	.rodata,"a",@progbits
	.p2align	6, 0x0
	.amdhsa_kernel _ZN9rocsolver6v33100L18getri_kernel_smallILi46E19rocblas_complex_numIdEPS3_EEvT1_iilPiilS6_bb
		.amdhsa_group_segment_fixed_size 1480
		.amdhsa_private_segment_fixed_size 768
		.amdhsa_kernarg_size 60
		.amdhsa_user_sgpr_count 6
		.amdhsa_user_sgpr_private_segment_buffer 1
		.amdhsa_user_sgpr_dispatch_ptr 0
		.amdhsa_user_sgpr_queue_ptr 0
		.amdhsa_user_sgpr_kernarg_segment_ptr 1
		.amdhsa_user_sgpr_dispatch_id 0
		.amdhsa_user_sgpr_flat_scratch_init 0
		.amdhsa_user_sgpr_private_segment_size 0
		.amdhsa_wavefront_size32 1
		.amdhsa_uses_dynamic_stack 0
		.amdhsa_system_sgpr_private_segment_wavefront_offset 1
		.amdhsa_system_sgpr_workgroup_id_x 1
		.amdhsa_system_sgpr_workgroup_id_y 0
		.amdhsa_system_sgpr_workgroup_id_z 0
		.amdhsa_system_sgpr_workgroup_info 0
		.amdhsa_system_vgpr_workitem_id 0
		.amdhsa_next_free_vgpr 203
		.amdhsa_next_free_sgpr 62
		.amdhsa_reserve_vcc 1
		.amdhsa_reserve_flat_scratch 0
		.amdhsa_float_round_mode_32 0
		.amdhsa_float_round_mode_16_64 0
		.amdhsa_float_denorm_mode_32 3
		.amdhsa_float_denorm_mode_16_64 3
		.amdhsa_dx10_clamp 1
		.amdhsa_ieee_mode 1
		.amdhsa_fp16_overflow 0
		.amdhsa_workgroup_processor_mode 1
		.amdhsa_memory_ordered 1
		.amdhsa_forward_progress 1
		.amdhsa_shared_vgpr_count 0
		.amdhsa_exception_fp_ieee_invalid_op 0
		.amdhsa_exception_fp_denorm_src 0
		.amdhsa_exception_fp_ieee_div_zero 0
		.amdhsa_exception_fp_ieee_overflow 0
		.amdhsa_exception_fp_ieee_underflow 0
		.amdhsa_exception_fp_ieee_inexact 0
		.amdhsa_exception_int_div_zero 0
	.end_amdhsa_kernel
	.section	.text._ZN9rocsolver6v33100L18getri_kernel_smallILi46E19rocblas_complex_numIdEPS3_EEvT1_iilPiilS6_bb,"axG",@progbits,_ZN9rocsolver6v33100L18getri_kernel_smallILi46E19rocblas_complex_numIdEPS3_EEvT1_iilPiilS6_bb,comdat
.Lfunc_end45:
	.size	_ZN9rocsolver6v33100L18getri_kernel_smallILi46E19rocblas_complex_numIdEPS3_EEvT1_iilPiilS6_bb, .Lfunc_end45-_ZN9rocsolver6v33100L18getri_kernel_smallILi46E19rocblas_complex_numIdEPS3_EEvT1_iilPiilS6_bb
                                        ; -- End function
	.set _ZN9rocsolver6v33100L18getri_kernel_smallILi46E19rocblas_complex_numIdEPS3_EEvT1_iilPiilS6_bb.num_vgpr, 203
	.set _ZN9rocsolver6v33100L18getri_kernel_smallILi46E19rocblas_complex_numIdEPS3_EEvT1_iilPiilS6_bb.num_agpr, 0
	.set _ZN9rocsolver6v33100L18getri_kernel_smallILi46E19rocblas_complex_numIdEPS3_EEvT1_iilPiilS6_bb.numbered_sgpr, 62
	.set _ZN9rocsolver6v33100L18getri_kernel_smallILi46E19rocblas_complex_numIdEPS3_EEvT1_iilPiilS6_bb.num_named_barrier, 0
	.set _ZN9rocsolver6v33100L18getri_kernel_smallILi46E19rocblas_complex_numIdEPS3_EEvT1_iilPiilS6_bb.private_seg_size, 768
	.set _ZN9rocsolver6v33100L18getri_kernel_smallILi46E19rocblas_complex_numIdEPS3_EEvT1_iilPiilS6_bb.uses_vcc, 1
	.set _ZN9rocsolver6v33100L18getri_kernel_smallILi46E19rocblas_complex_numIdEPS3_EEvT1_iilPiilS6_bb.uses_flat_scratch, 0
	.set _ZN9rocsolver6v33100L18getri_kernel_smallILi46E19rocblas_complex_numIdEPS3_EEvT1_iilPiilS6_bb.has_dyn_sized_stack, 0
	.set _ZN9rocsolver6v33100L18getri_kernel_smallILi46E19rocblas_complex_numIdEPS3_EEvT1_iilPiilS6_bb.has_recursion, 0
	.set _ZN9rocsolver6v33100L18getri_kernel_smallILi46E19rocblas_complex_numIdEPS3_EEvT1_iilPiilS6_bb.has_indirect_call, 0
	.section	.AMDGPU.csdata,"",@progbits
; Kernel info:
; codeLenInByte = 144656
; TotalNumSgprs: 64
; NumVgprs: 203
; ScratchSize: 768
; MemoryBound: 0
; FloatMode: 240
; IeeeMode: 1
; LDSByteSize: 1480 bytes/workgroup (compile time only)
; SGPRBlocks: 0
; VGPRBlocks: 25
; NumSGPRsForWavesPerEU: 64
; NumVGPRsForWavesPerEU: 203
; Occupancy: 4
; WaveLimiterHint : 1
; COMPUTE_PGM_RSRC2:SCRATCH_EN: 1
; COMPUTE_PGM_RSRC2:USER_SGPR: 6
; COMPUTE_PGM_RSRC2:TRAP_HANDLER: 0
; COMPUTE_PGM_RSRC2:TGID_X_EN: 1
; COMPUTE_PGM_RSRC2:TGID_Y_EN: 0
; COMPUTE_PGM_RSRC2:TGID_Z_EN: 0
; COMPUTE_PGM_RSRC2:TIDIG_COMP_CNT: 0
	.section	.text._ZN9rocsolver6v33100L18getri_kernel_smallILi47E19rocblas_complex_numIdEPS3_EEvT1_iilPiilS6_bb,"axG",@progbits,_ZN9rocsolver6v33100L18getri_kernel_smallILi47E19rocblas_complex_numIdEPS3_EEvT1_iilPiilS6_bb,comdat
	.globl	_ZN9rocsolver6v33100L18getri_kernel_smallILi47E19rocblas_complex_numIdEPS3_EEvT1_iilPiilS6_bb ; -- Begin function _ZN9rocsolver6v33100L18getri_kernel_smallILi47E19rocblas_complex_numIdEPS3_EEvT1_iilPiilS6_bb
	.p2align	8
	.type	_ZN9rocsolver6v33100L18getri_kernel_smallILi47E19rocblas_complex_numIdEPS3_EEvT1_iilPiilS6_bb,@function
_ZN9rocsolver6v33100L18getri_kernel_smallILi47E19rocblas_complex_numIdEPS3_EEvT1_iilPiilS6_bb: ; @_ZN9rocsolver6v33100L18getri_kernel_smallILi47E19rocblas_complex_numIdEPS3_EEvT1_iilPiilS6_bb
; %bb.0:
	s_add_u32 s0, s0, s7
	s_addc_u32 s1, s1, 0
	s_mov_b32 s7, exec_lo
	v_cmpx_gt_u32_e32 47, v0
	s_cbranch_execz .LBB46_202
; %bb.1:
	s_clause 0x2
	s_load_dword s7, s[4:5], 0x38
	s_load_dwordx4 s[16:19], s[4:5], 0x10
	s_load_dwordx4 s[8:11], s[4:5], 0x28
                                        ; implicit-def: $sgpr20_sgpr21
	s_waitcnt lgkmcnt(0)
	s_bitcmp1_b32 s7, 8
	s_cselect_b32 s59, -1, 0
	s_bfe_u32 s12, s7, 0x10008
	s_ashr_i32 s7, s6, 31
	s_cmp_eq_u32 s12, 0
	s_cbranch_scc1 .LBB46_3
; %bb.2:
	s_load_dword s12, s[4:5], 0x20
	s_mul_i32 s13, s8, s7
	s_mul_hi_u32 s14, s8, s6
	s_mul_i32 s9, s9, s6
	s_add_i32 s13, s14, s13
	s_mul_i32 s8, s8, s6
	s_add_i32 s9, s13, s9
	s_lshl_b64 s[8:9], s[8:9], 2
	s_waitcnt lgkmcnt(0)
	s_ashr_i32 s13, s12, 31
	s_add_u32 s14, s18, s8
	s_addc_u32 s15, s19, s9
	s_lshl_b64 s[8:9], s[12:13], 2
	s_add_u32 s20, s14, s8
	s_addc_u32 s21, s15, s9
.LBB46_3:
	s_clause 0x1
	s_load_dwordx4 s[12:15], s[4:5], 0x0
	s_load_dword s60, s[4:5], 0x38
	s_mul_i32 s4, s16, s7
	s_mul_hi_u32 s5, s16, s6
	s_mul_i32 s8, s17, s6
	s_add_i32 s5, s5, s4
	s_mul_i32 s4, s16, s6
	s_add_i32 s5, s5, s8
	v_lshlrev_b32_e32 v153, 4, v0
	s_lshl_b64 s[4:5], s[4:5], 4
	s_mov_b32 s51, 32
	s_mov_b32 s48, 48
	;; [unrolled: 1-line block ×3, first 2 shown]
	s_movk_i32 s44, 0x50
	s_waitcnt lgkmcnt(0)
	v_add3_u32 v1, s15, s15, v0
	s_ashr_i32 s9, s14, 31
	s_mov_b32 s8, s14
	s_add_u32 s12, s12, s4
	s_addc_u32 s13, s13, s5
	s_lshl_b64 s[4:5], s[8:9], 4
	v_ashrrev_i32_e32 v2, 31, v1
	s_add_u32 s4, s12, s4
	s_addc_u32 s5, s13, s5
	v_add_nc_u32_e32 v5, s15, v1
	v_add_co_u32 v81, s12, s4, v153
	s_mov_b32 s8, s15
	s_ashr_i32 s9, s15, 31
	v_lshlrev_b64 v[6:7], 4, v[1:2]
	v_add_co_ci_u32_e64 v82, null, s5, 0, s12
	s_lshl_b64 s[8:9], s[8:9], 4
	v_add_nc_u32_e32 v8, s15, v5
	v_add_co_u32 v83, vcc_lo, v81, s8
	v_add_co_ci_u32_e64 v84, null, s9, v82, vcc_lo
	v_add_co_u32 v87, vcc_lo, s4, v6
	v_ashrrev_i32_e32 v6, 31, v5
	v_add_co_ci_u32_e64 v88, null, s5, v7, vcc_lo
	v_ashrrev_i32_e32 v9, 31, v8
	v_add_nc_u32_e32 v7, s15, v8
	v_lshlrev_b64 v[5:6], 4, v[5:6]
	s_clause 0x1
	global_load_dwordx4 v[1:4], v153, s[4:5]
	global_load_dwordx4 v[145:148], v[83:84], off
	v_lshlrev_b64 v[9:10], 4, v[8:9]
	v_ashrrev_i32_e32 v8, 31, v7
	v_add_nc_u32_e32 v11, s15, v7
	v_add_co_u32 v95, vcc_lo, s4, v5
	v_add_co_ci_u32_e64 v96, null, s5, v6, vcc_lo
	v_lshlrev_b64 v[5:6], 4, v[7:8]
	v_add_nc_u32_e32 v7, s15, v11
	v_add_co_u32 v85, vcc_lo, s4, v9
	v_ashrrev_i32_e32 v12, 31, v11
	v_add_co_ci_u32_e64 v86, null, s5, v10, vcc_lo
	v_add_co_u32 v91, vcc_lo, s4, v5
	v_ashrrev_i32_e32 v8, 31, v7
	v_add_nc_u32_e32 v5, s15, v7
	v_lshlrev_b64 v[9:10], 4, v[11:12]
	v_add_co_ci_u32_e64 v92, null, s5, v6, vcc_lo
	v_lshlrev_b64 v[7:8], 4, v[7:8]
	v_ashrrev_i32_e32 v6, 31, v5
	v_add_nc_u32_e32 v11, s15, v5
	v_add_co_u32 v103, vcc_lo, s4, v9
	v_add_co_ci_u32_e64 v104, null, s5, v10, vcc_lo
	v_lshlrev_b64 v[5:6], 4, v[5:6]
	v_add_co_u32 v89, vcc_lo, s4, v7
	v_add_nc_u32_e32 v7, s15, v11
	v_ashrrev_i32_e32 v12, 31, v11
	v_add_co_ci_u32_e64 v90, null, s5, v8, vcc_lo
	v_add_co_u32 v97, vcc_lo, s4, v5
	v_ashrrev_i32_e32 v8, 31, v7
	v_add_nc_u32_e32 v5, s15, v7
	v_lshlrev_b64 v[9:10], 4, v[11:12]
	v_add_co_ci_u32_e64 v98, null, s5, v6, vcc_lo
	v_lshlrev_b64 v[7:8], 4, v[7:8]
	v_ashrrev_i32_e32 v6, 31, v5
	v_add_nc_u32_e32 v11, s15, v5
	v_add_co_u32 v107, vcc_lo, s4, v9
	v_add_co_ci_u32_e64 v108, null, s5, v10, vcc_lo
	v_lshlrev_b64 v[5:6], 4, v[5:6]
	v_add_co_u32 v93, vcc_lo, s4, v7
	v_add_nc_u32_e32 v7, s15, v11
	v_ashrrev_i32_e32 v12, 31, v11
	v_add_co_ci_u32_e64 v94, null, s5, v8, vcc_lo
	v_add_co_u32 v105, vcc_lo, s4, v5
	v_ashrrev_i32_e32 v8, 31, v7
	v_add_nc_u32_e32 v5, s15, v7
	v_lshlrev_b64 v[9:10], 4, v[11:12]
	s_clause 0x1
	global_load_dwordx4 v[149:152], v[87:88], off
	global_load_dwordx4 v[158:161], v[85:86], off
	v_add_co_ci_u32_e64 v106, null, s5, v6, vcc_lo
	v_lshlrev_b64 v[7:8], 4, v[7:8]
	v_ashrrev_i32_e32 v6, 31, v5
	v_add_nc_u32_e32 v11, s15, v5
	v_add_co_u32 v111, vcc_lo, s4, v9
	v_add_co_ci_u32_e64 v112, null, s5, v10, vcc_lo
	v_lshlrev_b64 v[5:6], 4, v[5:6]
	v_add_co_u32 v99, vcc_lo, s4, v7
	v_add_nc_u32_e32 v7, s15, v11
	v_add_co_ci_u32_e64 v100, null, s5, v8, vcc_lo
	v_ashrrev_i32_e32 v12, 31, v11
	v_add_co_u32 v109, vcc_lo, s4, v5
	v_add_nc_u32_e32 v5, s15, v7
	v_ashrrev_i32_e32 v8, 31, v7
	v_add_co_ci_u32_e64 v110, null, s5, v6, vcc_lo
	v_lshlrev_b64 v[9:10], 4, v[11:12]
	v_ashrrev_i32_e32 v6, 31, v5
	v_add_nc_u32_e32 v11, s15, v5
	s_clause 0x1
	global_load_dwordx4 v[154:157], v[95:96], off
	global_load_dwordx4 v[61:64], v[93:94], off
	v_lshlrev_b64 v[7:8], 4, v[7:8]
	s_clause 0x3
	global_load_dwordx4 v[162:165], v[91:92], off
	global_load_dwordx4 v[73:76], v[89:90], off
	;; [unrolled: 1-line block ×4, first 2 shown]
	v_lshlrev_b64 v[5:6], 4, v[5:6]
	v_add_co_u32 v113, vcc_lo, s4, v9
	v_add_nc_u32_e32 v9, s15, v11
	v_ashrrev_i32_e32 v12, 31, v11
	v_add_co_ci_u32_e64 v114, null, s5, v10, vcc_lo
	v_add_co_u32 v101, vcc_lo, s4, v7
	v_add_co_ci_u32_e64 v102, null, s5, v8, vcc_lo
	v_add_nc_u32_e32 v7, s15, v9
	v_add_co_u32 v115, vcc_lo, s4, v5
	v_add_co_ci_u32_e64 v116, null, s5, v6, vcc_lo
	v_lshlrev_b64 v[5:6], 4, v[11:12]
	s_clause 0x3
	global_load_dwordx4 v[77:80], v[97:98], off
	global_load_dwordx4 v[45:48], v[99:100], off
	;; [unrolled: 1-line block ×4, first 2 shown]
	v_ashrrev_i32_e32 v10, 31, v9
	v_add_nc_u32_e32 v11, s15, v7
	v_add_co_u32 v117, vcc_lo, s4, v5
	v_add_co_ci_u32_e64 v118, null, s5, v6, vcc_lo
	v_lshlrev_b64 v[5:6], 4, v[9:10]
	v_add_nc_u32_e32 v9, s15, v11
	global_load_dwordx4 v[41:44], v[111:112], off
	v_ashrrev_i32_e32 v8, 31, v7
	v_ashrrev_i32_e32 v12, 31, v11
	s_clause 0x1
	global_load_dwordx4 v[29:32], v[113:114], off
	global_load_dwordx4 v[33:36], v[101:102], off
	v_add_nc_u32_e32 v57, s15, v9
	v_ashrrev_i32_e32 v10, 31, v9
	v_lshlrev_b64 v[7:8], 4, v[7:8]
	v_add_co_u32 v119, vcc_lo, s4, v5
	v_ashrrev_i32_e32 v58, 31, v57
	v_add_co_ci_u32_e64 v120, null, s5, v6, vcc_lo
	v_lshlrev_b64 v[5:6], 4, v[11:12]
	v_lshlrev_b64 v[13:14], 4, v[9:10]
	s_clause 0x1
	global_load_dwordx4 v[37:40], v[115:116], off
	global_load_dwordx4 v[25:28], v[117:118], off
	v_add_co_u32 v121, vcc_lo, s4, v7
	v_lshlrev_b64 v[17:18], 4, v[57:58]
	v_add_co_ci_u32_e64 v122, null, s5, v8, vcc_lo
	v_add_co_u32 v123, vcc_lo, s4, v5
	v_add_co_ci_u32_e64 v124, null, s5, v6, vcc_lo
	v_add_co_u32 v125, vcc_lo, s4, v13
	v_add_co_ci_u32_e64 v126, null, s5, v14, vcc_lo
	v_add_co_u32 v127, vcc_lo, s4, v17
	v_add_co_ci_u32_e64 v128, null, s5, v18, vcc_lo
	s_clause 0x4
	global_load_dwordx4 v[5:8], v[119:120], off
	global_load_dwordx4 v[9:12], v[121:122], off
	;; [unrolled: 1-line block ×5, first 2 shown]
	v_add_nc_u32_e32 v57, s15, v57
	v_add_nc_u32_e32 v59, s15, v57
	v_ashrrev_i32_e32 v58, 31, v57
	v_add_nc_u32_e32 v131, s15, v59
	v_ashrrev_i32_e32 v60, 31, v59
	v_lshlrev_b64 v[57:58], 4, v[57:58]
	v_add_nc_u32_e32 v133, s15, v131
	v_ashrrev_i32_e32 v132, 31, v131
	v_lshlrev_b64 v[135:136], 4, v[59:60]
	v_add_co_u32 v129, vcc_lo, s4, v57
	v_add_nc_u32_e32 v139, s15, v133
	v_lshlrev_b64 v[137:138], 4, v[131:132]
	v_ashrrev_i32_e32 v134, 31, v133
	v_add_co_ci_u32_e64 v130, null, s5, v58, vcc_lo
	v_ashrrev_i32_e32 v140, 31, v139
	v_add_nc_u32_e32 v141, s15, v139
	v_add_co_u32 v131, vcc_lo, s4, v135
	v_add_co_ci_u32_e64 v132, null, s5, v136, vcc_lo
	v_lshlrev_b64 v[135:136], 4, v[133:134]
	v_add_co_u32 v133, vcc_lo, s4, v137
	v_add_co_ci_u32_e64 v134, null, s5, v138, vcc_lo
	v_lshlrev_b64 v[137:138], 4, v[139:140]
	v_add_nc_u32_e32 v139, s15, v141
	v_ashrrev_i32_e32 v142, 31, v141
	v_add_co_u32 v135, vcc_lo, s4, v135
	v_add_co_ci_u32_e64 v136, null, s5, v136, vcc_lo
	v_add_nc_u32_e32 v143, s15, v139
	v_ashrrev_i32_e32 v140, 31, v139
	v_lshlrev_b64 v[141:142], 4, v[141:142]
	v_add_co_u32 v137, vcc_lo, s4, v137
	v_add_nc_u32_e32 v184, s15, v143
	v_lshlrev_b64 v[182:183], 4, v[139:140]
	v_add_co_ci_u32_e64 v138, null, s5, v138, vcc_lo
	v_add_co_u32 v139, vcc_lo, s4, v141
	v_add_nc_u32_e32 v186, s15, v184
	v_add_co_ci_u32_e64 v140, null, s5, v142, vcc_lo
	v_add_co_u32 v141, vcc_lo, s4, v182
	v_ashrrev_i32_e32 v144, 31, v143
	v_ashrrev_i32_e32 v185, 31, v184
	v_add_nc_u32_e32 v190, s15, v186
	v_add_co_ci_u32_e64 v142, null, s5, v183, vcc_lo
	s_clause 0x4
	global_load_dwordx4 v[57:60], v[129:130], off
	global_load_dwordx4 v[166:169], v[131:132], off
	;; [unrolled: 1-line block ×5, first 2 shown]
	v_lshlrev_b64 v[143:144], 4, v[143:144]
	v_lshlrev_b64 v[188:189], 4, v[184:185]
	v_ashrrev_i32_e32 v187, 31, v186
	v_ashrrev_i32_e32 v191, 31, v190
	s_waitcnt vmcnt(28)
	buffer_store_dword v4, off, s[0:3], 0 offset:28
	buffer_store_dword v3, off, s[0:3], 0 offset:24
	buffer_store_dword v2, off, s[0:3], 0 offset:20
	buffer_store_dword v1, off, s[0:3], 0 offset:16
	s_waitcnt vmcnt(27)
	buffer_store_dword v148, off, s[0:3], 0 offset:44
	buffer_store_dword v147, off, s[0:3], 0 offset:40
	;; [unrolled: 1-line block ×4, first 2 shown]
	s_clause 0x1
	global_load_dwordx4 v[1:4], v[139:140], off
	global_load_dwordx4 v[182:185], v[141:142], off
	s_waitcnt vmcnt(28)
	buffer_store_dword v152, off, s[0:3], 0 offset:60
	buffer_store_dword v151, off, s[0:3], 0 offset:56
	;; [unrolled: 1-line block ×4, first 2 shown]
	v_add_nc_u32_e32 v149, s15, v190
	v_add_co_u32 v143, vcc_lo, s4, v143
	v_lshlrev_b64 v[147:148], 4, v[186:187]
	v_add_co_ci_u32_e64 v144, null, s5, v144, vcc_lo
	v_ashrrev_i32_e32 v150, 31, v149
	v_add_nc_u32_e32 v186, s15, v149
	v_add_co_u32 v145, vcc_lo, s4, v188
	v_lshlrev_b64 v[151:152], 4, v[190:191]
	v_add_co_ci_u32_e64 v146, null, s5, v189, vcc_lo
	v_lshlrev_b64 v[188:189], 4, v[149:150]
	v_add_nc_u32_e32 v190, s15, v186
	v_add_co_u32 v147, vcc_lo, s4, v147
	v_ashrrev_i32_e32 v187, 31, v186
	v_add_co_ci_u32_e64 v148, null, s5, v148, vcc_lo
	v_add_co_u32 v149, vcc_lo, s4, v151
	v_add_co_ci_u32_e64 v150, null, s5, v152, vcc_lo
	v_ashrrev_i32_e32 v191, 31, v190
	v_add_co_u32 v151, vcc_lo, s4, v188
	v_add_nc_u32_e32 v188, s15, v190
	v_lshlrev_b64 v[186:187], 4, v[186:187]
	s_waitcnt vmcnt(26)
	buffer_store_dword v157, off, s[0:3], 0 offset:76
	buffer_store_dword v156, off, s[0:3], 0 offset:72
	;; [unrolled: 1-line block ×8, first 2 shown]
	s_clause 0x1
	global_load_dwordx4 v[154:157], v[143:144], off
	global_load_dwordx4 v[158:161], v[145:146], off
	s_waitcnt vmcnt(26)
	buffer_store_dword v165, off, s[0:3], 0 offset:108
	buffer_store_dword v164, off, s[0:3], 0 offset:104
	;; [unrolled: 1-line block ×4, first 2 shown]
	v_add_co_ci_u32_e64 v152, null, s5, v189, vcc_lo
	s_waitcnt vmcnt(24)
	buffer_store_dword v72, off, s[0:3], 0 offset:124
	buffer_store_dword v71, off, s[0:3], 0 offset:120
	buffer_store_dword v70, off, s[0:3], 0 offset:116
	buffer_store_dword v69, off, s[0:3], 0 offset:112
	buffer_store_dword v76, off, s[0:3], 0 offset:140
	buffer_store_dword v75, off, s[0:3], 0 offset:136
	buffer_store_dword v74, off, s[0:3], 0 offset:132
	buffer_store_dword v73, off, s[0:3], 0 offset:128
	v_lshlrev_b64 v[71:72], 4, v[190:191]
	v_ashrrev_i32_e32 v189, 31, v188
	v_add_nc_u32_e32 v190, s15, v188
	v_add_co_u32 v69, vcc_lo, s4, v186
	v_add_co_ci_u32_e64 v70, null, s5, v187, vcc_lo
	v_lshlrev_b64 v[186:187], 4, v[188:189]
	v_ashrrev_i32_e32 v191, 31, v190
	v_add_nc_u32_e32 v188, s15, v190
	s_clause 0x1
	global_load_dwordx4 v[73:76], v[147:148], off
	global_load_dwordx4 v[162:165], v[149:150], off
	s_waitcnt vmcnt(24)
	buffer_store_dword v80, off, s[0:3], 0 offset:156
	buffer_store_dword v79, off, s[0:3], 0 offset:152
	;; [unrolled: 1-line block ×4, first 2 shown]
	s_waitcnt vmcnt(22)
	buffer_store_dword v53, off, s[0:3], 0 offset:160
	buffer_store_dword v54, off, s[0:3], 0 offset:164
	;; [unrolled: 1-line block ×8, first 2 shown]
	v_lshlrev_b64 v[55:56], 4, v[190:191]
	v_ashrrev_i32_e32 v189, 31, v188
	v_add_nc_u32_e32 v190, s15, v188
	v_add_co_u32 v71, vcc_lo, s4, v71
	v_add_co_ci_u32_e64 v72, null, s5, v72, vcc_lo
	v_add_co_u32 v53, vcc_lo, s4, v186
	v_add_co_ci_u32_e64 v54, null, s5, v187, vcc_lo
	v_lshlrev_b64 v[186:187], 4, v[188:189]
	v_ashrrev_i32_e32 v191, 31, v190
	v_add_nc_u32_e32 v188, s15, v190
	s_clause 0x1
	global_load_dwordx4 v[61:64], v[151:152], off
	global_load_dwordx4 v[77:80], v[69:70], off
	buffer_store_dword v65, off, s[0:3], 0 offset:192
	buffer_store_dword v66, off, s[0:3], 0 offset:196
	;; [unrolled: 1-line block ×4, first 2 shown]
	s_waitcnt vmcnt(22)
	buffer_store_dword v44, off, s[0:3], 0 offset:220
	buffer_store_dword v43, off, s[0:3], 0 offset:216
	;; [unrolled: 1-line block ×8, first 2 shown]
	v_lshlrev_b64 v[43:44], 4, v[190:191]
	v_add_nc_u32_e32 v190, s15, v188
	v_ashrrev_i32_e32 v189, 31, v188
	v_add_co_u32 v55, vcc_lo, s4, v55
	v_add_co_ci_u32_e64 v56, null, s5, v56, vcc_lo
	v_add_co_u32 v41, vcc_lo, s4, v186
	v_ashrrev_i32_e32 v191, 31, v190
	v_add_co_ci_u32_e64 v42, null, s5, v187, vcc_lo
	v_lshlrev_b64 v[186:187], 4, v[188:189]
	v_add_nc_u32_e32 v188, s15, v190
	s_clause 0x1
	global_load_dwordx4 v[45:48], v[71:72], off
	global_load_dwordx4 v[65:68], v[53:54], off
	buffer_store_dword v52, off, s[0:3], 0 offset:252
	buffer_store_dword v51, off, s[0:3], 0 offset:248
	;; [unrolled: 1-line block ×4, first 2 shown]
	s_waitcnt vmcnt(23)
	buffer_store_dword v32, off, s[0:3], 0 offset:268
	buffer_store_dword v31, off, s[0:3], 0 offset:264
	;; [unrolled: 1-line block ×4, first 2 shown]
	s_waitcnt vmcnt(22)
	buffer_store_dword v36, off, s[0:3], 0 offset:284
	buffer_store_dword v35, off, s[0:3], 0 offset:280
	;; [unrolled: 1-line block ×4, first 2 shown]
	v_lshlrev_b64 v[190:191], 4, v[190:191]
	s_clause 0x1
	global_load_dwordx4 v[31:34], v[55:56], off
	global_load_dwordx4 v[49:52], v[41:42], off
	s_waitcnt vmcnt(23)
	buffer_store_dword v40, off, s[0:3], 0 offset:300
	buffer_store_dword v39, off, s[0:3], 0 offset:296
	;; [unrolled: 1-line block ×4, first 2 shown]
	v_add_nc_u32_e32 v39, s15, v188
	v_add_co_u32 v43, vcc_lo, s4, v43
	v_add_co_ci_u32_e64 v44, null, s5, v44, vcc_lo
	v_add_co_u32 v29, vcc_lo, s4, v186
	v_add_co_ci_u32_e64 v30, null, s5, v187, vcc_lo
	s_waitcnt vmcnt(22)
	buffer_store_dword v28, off, s[0:3], 0 offset:316
	buffer_store_dword v27, off, s[0:3], 0 offset:312
	;; [unrolled: 1-line block ×4, first 2 shown]
	v_add_co_u32 v25, vcc_lo, s4, v190
	v_add_nc_u32_e32 v190, s15, v39
	v_ashrrev_i32_e32 v189, 31, v188
	v_ashrrev_i32_e32 v40, 31, v39
	v_add_co_ci_u32_e64 v26, null, s5, v191, vcc_lo
	v_ashrrev_i32_e32 v191, 31, v190
	v_lshlrev_b64 v[27:28], 4, v[188:189]
	global_load_dwordx4 v[35:38], v[43:44], off
	s_waitcnt vmcnt(22)
	buffer_store_dword v8, off, s[0:3], 0 offset:332
	buffer_store_dword v7, off, s[0:3], 0 offset:328
	buffer_store_dword v6, off, s[0:3], 0 offset:324
	buffer_store_dword v5, off, s[0:3], 0 offset:320
	s_waitcnt vmcnt(21)
	buffer_store_dword v12, off, s[0:3], 0 offset:348
	buffer_store_dword v11, off, s[0:3], 0 offset:344
	buffer_store_dword v10, off, s[0:3], 0 offset:340
	buffer_store_dword v9, off, s[0:3], 0 offset:336
	;; [unrolled: 5-line block ×4, first 2 shown]
	s_waitcnt vmcnt(18)
	buffer_store_dword v20, off, s[0:3], 0 offset:396
	v_lshlrev_b64 v[5:6], 4, v[39:40]
	v_lshlrev_b64 v[8:9], 4, v[190:191]
	v_add_co_u32 v27, vcc_lo, s4, v27
	v_add_co_ci_u32_e64 v28, null, s5, v28, vcc_lo
	v_add_co_u32 v10, vcc_lo, s4, v5
	v_add_co_ci_u32_e64 v11, null, s5, v6, vcc_lo
	;; [unrolled: 2-line block ×3, first 2 shown]
	s_clause 0x3
	global_load_dwordx4 v[12:15], v[29:30], off
	global_load_dwordx4 v[20:23], v[25:26], off
	;; [unrolled: 1-line block ×4, first 2 shown]
	buffer_store_dword v19, off, s[0:3], 0 offset:392
	buffer_store_dword v18, off, s[0:3], 0 offset:388
	;; [unrolled: 1-line block ×3, first 2 shown]
	global_load_dwordx4 v[16:19], v[8:9], off
	s_movk_i32 s4, 0x50
	s_movk_i32 s5, 0x60
	s_add_i32 s58, s4, 16
	s_add_i32 s57, s5, 16
	s_movk_i32 s4, 0x70
	s_movk_i32 s5, 0x80
	s_add_i32 s56, s4, 16
	s_add_i32 s55, s5, 16
	;; [unrolled: 4-line block ×21, first 2 shown]
	s_bitcmp0_b32 s60, 0
	s_mov_b32 s5, -1
	s_waitcnt vmcnt(22)
	buffer_store_dword v60, off, s[0:3], 0 offset:412
	buffer_store_dword v59, off, s[0:3], 0 offset:408
	buffer_store_dword v58, off, s[0:3], 0 offset:404
	buffer_store_dword v57, off, s[0:3], 0 offset:400
	s_waitcnt vmcnt(21)
	buffer_store_dword v169, off, s[0:3], 0 offset:428
	buffer_store_dword v168, off, s[0:3], 0 offset:424
	buffer_store_dword v167, off, s[0:3], 0 offset:420
	buffer_store_dword v166, off, s[0:3], 0 offset:416
	;; [unrolled: 5-line block ×23, first 2 shown]
	s_cbranch_scc1 .LBB46_200
; %bb.4:
	v_cmp_eq_u32_e64 s4, 0, v0
	s_and_saveexec_b32 s5, s4
; %bb.5:
	v_mov_b32_e32 v1, 0
	ds_write_b32 v1, v1 offset:1504
; %bb.6:
	s_or_b32 exec_lo, exec_lo, s5
	v_lshl_add_u32 v7, v0, 4, 16
	s_waitcnt lgkmcnt(0)
	s_waitcnt_vscnt null, 0x0
	s_barrier
	buffer_gl0_inv
	s_clause 0x3
	buffer_load_dword v1, v7, s[0:3], 0 offen
	buffer_load_dword v2, v7, s[0:3], 0 offen offset:4
	buffer_load_dword v3, v7, s[0:3], 0 offen offset:8
	;; [unrolled: 1-line block ×3, first 2 shown]
	s_waitcnt vmcnt(2)
	v_cmp_eq_f64_e32 vcc_lo, 0, v[1:2]
	s_waitcnt vmcnt(0)
	v_cmp_eq_f64_e64 s5, 0, v[3:4]
	s_and_b32 s5, vcc_lo, s5
	s_and_saveexec_b32 s60, s5
	s_cbranch_execz .LBB46_10
; %bb.7:
	v_mov_b32_e32 v1, 0
	s_mov_b32 s61, 0
	ds_read_b32 v2, v1 offset:1504
	s_waitcnt lgkmcnt(0)
	v_readfirstlane_b32 s5, v2
	v_add_nc_u32_e32 v2, 1, v0
	s_cmp_eq_u32 s5, 0
	v_cmp_gt_i32_e32 vcc_lo, s5, v2
	s_cselect_b32 s62, -1, 0
	s_or_b32 s62, s62, vcc_lo
	s_and_b32 exec_lo, exec_lo, s62
	s_cbranch_execz .LBB46_10
; %bb.8:
	v_mov_b32_e32 v3, s5
.LBB46_9:                               ; =>This Inner Loop Header: Depth=1
	ds_cmpst_rtn_b32 v3, v1, v3, v2 offset:1504
	s_waitcnt lgkmcnt(0)
	v_cmp_ne_u32_e32 vcc_lo, 0, v3
	v_cmp_le_i32_e64 s5, v3, v2
	s_and_b32 s5, vcc_lo, s5
	s_and_b32 s5, exec_lo, s5
	s_or_b32 s61, s5, s61
	s_andn2_b32 exec_lo, exec_lo, s61
	s_cbranch_execnz .LBB46_9
.LBB46_10:
	s_or_b32 exec_lo, exec_lo, s60
	v_mov_b32_e32 v1, 0
	s_barrier
	buffer_gl0_inv
	ds_read_b32 v2, v1 offset:1504
	s_and_saveexec_b32 s5, s4
	s_cbranch_execz .LBB46_12
; %bb.11:
	s_lshl_b64 s[60:61], s[6:7], 2
	s_add_u32 s60, s10, s60
	s_addc_u32 s61, s11, s61
	s_waitcnt lgkmcnt(0)
	global_store_dword v1, v2, s[60:61]
.LBB46_12:
	s_or_b32 exec_lo, exec_lo, s5
	s_waitcnt lgkmcnt(0)
	v_cmp_ne_u32_e32 vcc_lo, 0, v2
	s_mov_b32 s5, 0
	s_cbranch_vccnz .LBB46_200
; %bb.13:
	s_clause 0x3
	buffer_load_dword v12, v7, s[0:3], 0 offen
	buffer_load_dword v13, v7, s[0:3], 0 offen offset:4
	buffer_load_dword v14, v7, s[0:3], 0 offen offset:8
	;; [unrolled: 1-line block ×3, first 2 shown]
                                        ; implicit-def: $vgpr5_vgpr6
                                        ; implicit-def: $vgpr3_vgpr4
	s_waitcnt vmcnt(0)
	v_cmp_ngt_f64_e64 s5, |v[12:13]|, |v[14:15]|
	s_and_saveexec_b32 s60, s5
	s_xor_b32 s5, exec_lo, s60
	s_cbranch_execz .LBB46_15
; %bb.14:
	v_div_scale_f64 v[1:2], null, v[14:15], v[14:15], v[12:13]
	v_div_scale_f64 v[16:17], vcc_lo, v[12:13], v[14:15], v[12:13]
	v_rcp_f64_e32 v[3:4], v[1:2]
	v_fma_f64 v[5:6], -v[1:2], v[3:4], 1.0
	v_fma_f64 v[3:4], v[3:4], v[5:6], v[3:4]
	v_fma_f64 v[5:6], -v[1:2], v[3:4], 1.0
	v_fma_f64 v[3:4], v[3:4], v[5:6], v[3:4]
	v_mul_f64 v[5:6], v[16:17], v[3:4]
	v_fma_f64 v[1:2], -v[1:2], v[5:6], v[16:17]
	v_div_fmas_f64 v[1:2], v[1:2], v[3:4], v[5:6]
	v_div_fixup_f64 v[1:2], v[1:2], v[14:15], v[12:13]
	v_fma_f64 v[3:4], v[12:13], v[1:2], v[14:15]
	v_div_scale_f64 v[5:6], null, v[3:4], v[3:4], 1.0
	v_div_scale_f64 v[16:17], vcc_lo, 1.0, v[3:4], 1.0
	v_rcp_f64_e32 v[12:13], v[5:6]
	v_fma_f64 v[14:15], -v[5:6], v[12:13], 1.0
	v_fma_f64 v[12:13], v[12:13], v[14:15], v[12:13]
	v_fma_f64 v[14:15], -v[5:6], v[12:13], 1.0
	v_fma_f64 v[12:13], v[12:13], v[14:15], v[12:13]
	v_mul_f64 v[14:15], v[16:17], v[12:13]
	v_fma_f64 v[5:6], -v[5:6], v[14:15], v[16:17]
	v_div_fmas_f64 v[5:6], v[5:6], v[12:13], v[14:15]
                                        ; implicit-def: $vgpr12_vgpr13
                                        ; implicit-def: $vgpr14_vgpr15
	v_div_fixup_f64 v[3:4], v[5:6], v[3:4], 1.0
	v_mul_f64 v[5:6], v[1:2], v[3:4]
	v_xor_b32_e32 v4, 0x80000000, v4
	v_xor_b32_e32 v2, 0x80000000, v6
	v_mov_b32_e32 v1, v5
.LBB46_15:
	s_andn2_saveexec_b32 s5, s5
	s_cbranch_execz .LBB46_17
; %bb.16:
	v_div_scale_f64 v[1:2], null, v[12:13], v[12:13], v[14:15]
	v_div_scale_f64 v[16:17], vcc_lo, v[14:15], v[12:13], v[14:15]
	v_rcp_f64_e32 v[3:4], v[1:2]
	v_fma_f64 v[5:6], -v[1:2], v[3:4], 1.0
	v_fma_f64 v[3:4], v[3:4], v[5:6], v[3:4]
	v_fma_f64 v[5:6], -v[1:2], v[3:4], 1.0
	v_fma_f64 v[3:4], v[3:4], v[5:6], v[3:4]
	v_mul_f64 v[5:6], v[16:17], v[3:4]
	v_fma_f64 v[1:2], -v[1:2], v[5:6], v[16:17]
	v_div_fmas_f64 v[1:2], v[1:2], v[3:4], v[5:6]
	v_div_fixup_f64 v[1:2], v[1:2], v[12:13], v[14:15]
	v_fma_f64 v[3:4], v[14:15], v[1:2], v[12:13]
	v_div_scale_f64 v[5:6], null, v[3:4], v[3:4], 1.0
	v_rcp_f64_e32 v[12:13], v[5:6]
	v_fma_f64 v[14:15], -v[5:6], v[12:13], 1.0
	v_fma_f64 v[12:13], v[12:13], v[14:15], v[12:13]
	v_fma_f64 v[14:15], -v[5:6], v[12:13], 1.0
	v_fma_f64 v[12:13], v[12:13], v[14:15], v[12:13]
	v_div_scale_f64 v[14:15], vcc_lo, 1.0, v[3:4], 1.0
	v_mul_f64 v[16:17], v[14:15], v[12:13]
	v_fma_f64 v[5:6], -v[5:6], v[16:17], v[14:15]
	v_div_fmas_f64 v[5:6], v[5:6], v[12:13], v[16:17]
	v_div_fixup_f64 v[5:6], v[5:6], v[3:4], 1.0
	v_mul_f64 v[3:4], v[1:2], -v[5:6]
	v_xor_b32_e32 v2, 0x80000000, v6
	v_mov_b32_e32 v1, v5
.LBB46_17:
	s_or_b32 exec_lo, exec_lo, s5
	v_mov_b32_e32 v12, s51
	buffer_store_dword v6, v7, s[0:3], 0 offen offset:4
	buffer_store_dword v5, v7, s[0:3], 0 offen
	buffer_store_dword v4, v7, s[0:3], 0 offen offset:12
	buffer_store_dword v3, v7, s[0:3], 0 offen offset:8
	v_xor_b32_e32 v4, 0x80000000, v4
	v_add_nc_u32_e32 v5, 0x2f0, v153
	s_clause 0x3
	buffer_load_dword v15, v12, s[0:3], 0 offen offset:12
	buffer_load_dword v14, v12, s[0:3], 0 offen offset:8
	;; [unrolled: 1-line block ×3, first 2 shown]
	buffer_load_dword v12, v12, s[0:3], 0 offen
	ds_write_b128 v153, v[1:4]
	s_waitcnt vmcnt(0)
	ds_write_b128 v153, v[12:15] offset:752
	s_waitcnt lgkmcnt(0)
	s_waitcnt_vscnt null, 0x0
	s_barrier
	buffer_gl0_inv
	s_and_saveexec_b32 s5, s4
	s_cbranch_execz .LBB46_19
; %bb.18:
	s_clause 0x3
	buffer_load_dword v16, v7, s[0:3], 0 offen offset:8
	buffer_load_dword v17, v7, s[0:3], 0 offen offset:12
	buffer_load_dword v18, v7, s[0:3], 0 offen
	buffer_load_dword v19, v7, s[0:3], 0 offen offset:4
	ds_read_b128 v[1:4], v5
	v_mov_b32_e32 v6, 0
	ds_read_b128 v[12:15], v6 offset:16
	s_waitcnt vmcnt(2) lgkmcnt(1)
	v_mul_f64 v[20:21], v[1:2], v[16:17]
	v_mul_f64 v[16:17], v[3:4], v[16:17]
	s_waitcnt vmcnt(0)
	v_fma_f64 v[3:4], v[3:4], v[18:19], v[20:21]
	v_fma_f64 v[1:2], v[1:2], v[18:19], -v[16:17]
	v_add_f64 v[3:4], v[3:4], 0
	v_add_f64 v[1:2], v[1:2], 0
	s_waitcnt lgkmcnt(0)
	v_mul_f64 v[16:17], v[3:4], v[14:15]
	v_mul_f64 v[14:15], v[1:2], v[14:15]
	v_fma_f64 v[1:2], v[1:2], v[12:13], -v[16:17]
	v_fma_f64 v[3:4], v[3:4], v[12:13], v[14:15]
	buffer_store_dword v1, off, s[0:3], 0 offset:32
	buffer_store_dword v2, off, s[0:3], 0 offset:36
	;; [unrolled: 1-line block ×4, first 2 shown]
.LBB46_19:
	s_or_b32 exec_lo, exec_lo, s5
	v_mov_b32_e32 v4, s48
	s_waitcnt_vscnt null, 0x0
	s_barrier
	buffer_gl0_inv
	s_mov_b32 s5, exec_lo
	s_clause 0x3
	buffer_load_dword v1, v4, s[0:3], 0 offen
	buffer_load_dword v2, v4, s[0:3], 0 offen offset:4
	buffer_load_dword v3, v4, s[0:3], 0 offen offset:8
	;; [unrolled: 1-line block ×3, first 2 shown]
	s_waitcnt vmcnt(0)
	ds_write_b128 v5, v[1:4]
	s_waitcnt lgkmcnt(0)
	s_barrier
	buffer_gl0_inv
	v_cmpx_gt_u32_e32 2, v0
	s_cbranch_execz .LBB46_23
; %bb.20:
	s_clause 0x3
	buffer_load_dword v12, v7, s[0:3], 0 offen offset:8
	buffer_load_dword v13, v7, s[0:3], 0 offen offset:12
	buffer_load_dword v6, v7, s[0:3], 0 offen
	buffer_load_dword v7, v7, s[0:3], 0 offen offset:4
	ds_read_b128 v[1:4], v5
	s_waitcnt vmcnt(2) lgkmcnt(0)
	v_mul_f64 v[14:15], v[3:4], v[12:13]
	v_mul_f64 v[12:13], v[1:2], v[12:13]
	s_waitcnt vmcnt(0)
	v_fma_f64 v[1:2], v[1:2], v[6:7], -v[14:15]
	v_fma_f64 v[3:4], v[3:4], v[6:7], v[12:13]
	v_add_f64 v[1:2], v[1:2], 0
	v_add_f64 v[3:4], v[3:4], 0
	s_and_saveexec_b32 s60, s4
	s_cbranch_execz .LBB46_22
; %bb.21:
	s_clause 0x3
	buffer_load_dword v6, off, s[0:3], 0 offset:40
	buffer_load_dword v7, off, s[0:3], 0 offset:44
	;; [unrolled: 1-line block ×4, first 2 shown]
	v_mov_b32_e32 v12, 0
	ds_read_b128 v[12:15], v12 offset:768
	s_waitcnt vmcnt(2) lgkmcnt(0)
	v_mul_f64 v[18:19], v[12:13], v[6:7]
	v_mul_f64 v[6:7], v[14:15], v[6:7]
	s_waitcnt vmcnt(0)
	v_fma_f64 v[14:15], v[14:15], v[16:17], v[18:19]
	v_fma_f64 v[6:7], v[12:13], v[16:17], -v[6:7]
	v_add_f64 v[3:4], v[3:4], v[14:15]
	v_add_f64 v[1:2], v[1:2], v[6:7]
.LBB46_22:
	s_or_b32 exec_lo, exec_lo, s60
	v_mov_b32_e32 v6, 0
	ds_read_b128 v[12:15], v6 offset:32
	s_waitcnt lgkmcnt(0)
	v_mul_f64 v[6:7], v[3:4], v[14:15]
	v_mul_f64 v[14:15], v[1:2], v[14:15]
	v_fma_f64 v[1:2], v[1:2], v[12:13], -v[6:7]
	v_fma_f64 v[3:4], v[3:4], v[12:13], v[14:15]
	buffer_store_dword v2, off, s[0:3], 0 offset:52
	buffer_store_dword v1, off, s[0:3], 0 offset:48
	;; [unrolled: 1-line block ×4, first 2 shown]
.LBB46_23:
	s_or_b32 exec_lo, exec_lo, s5
	v_mov_b32_e32 v4, s46
	s_waitcnt_vscnt null, 0x0
	s_barrier
	buffer_gl0_inv
	v_add_nc_u32_e32 v6, -1, v0
	s_clause 0x3
	buffer_load_dword v1, v4, s[0:3], 0 offen
	buffer_load_dword v2, v4, s[0:3], 0 offen offset:4
	buffer_load_dword v3, v4, s[0:3], 0 offen offset:8
	buffer_load_dword v4, v4, s[0:3], 0 offen offset:12
	s_mov_b32 s4, exec_lo
	s_waitcnt vmcnt(0)
	ds_write_b128 v5, v[1:4]
	s_waitcnt lgkmcnt(0)
	s_barrier
	buffer_gl0_inv
	v_cmpx_gt_u32_e32 3, v0
	s_cbranch_execz .LBB46_27
; %bb.24:
	v_mov_b32_e32 v1, 0
	v_mov_b32_e32 v3, 0
	v_add_nc_u32_e32 v7, -1, v0
	v_add_nc_u32_e32 v12, 0x2f0, v153
	v_mov_b32_e32 v2, 0
	v_mov_b32_e32 v4, 0
	v_add_nc_u32_e32 v13, 16, v153
	s_mov_b32 s5, 0
	.p2align	6
.LBB46_25:                              ; =>This Inner Loop Header: Depth=1
	s_clause 0x3
	buffer_load_dword v18, v13, s[0:3], 0 offen offset:8
	buffer_load_dword v19, v13, s[0:3], 0 offen offset:12
	buffer_load_dword v20, v13, s[0:3], 0 offen
	buffer_load_dword v21, v13, s[0:3], 0 offen offset:4
	ds_read_b128 v[14:17], v12
	v_add_nc_u32_e32 v7, 1, v7
	v_add_nc_u32_e32 v12, 16, v12
	;; [unrolled: 1-line block ×3, first 2 shown]
	v_cmp_lt_u32_e32 vcc_lo, 1, v7
	s_or_b32 s5, vcc_lo, s5
	s_waitcnt vmcnt(2) lgkmcnt(0)
	v_mul_f64 v[22:23], v[16:17], v[18:19]
	v_mul_f64 v[18:19], v[14:15], v[18:19]
	s_waitcnt vmcnt(0)
	v_fma_f64 v[14:15], v[14:15], v[20:21], -v[22:23]
	v_fma_f64 v[16:17], v[16:17], v[20:21], v[18:19]
	v_add_f64 v[3:4], v[3:4], v[14:15]
	v_add_f64 v[1:2], v[1:2], v[16:17]
	s_andn2_b32 exec_lo, exec_lo, s5
	s_cbranch_execnz .LBB46_25
; %bb.26:
	s_or_b32 exec_lo, exec_lo, s5
	v_mov_b32_e32 v7, 0
	ds_read_b128 v[12:15], v7 offset:48
	s_waitcnt lgkmcnt(0)
	v_mul_f64 v[16:17], v[1:2], v[14:15]
	v_mul_f64 v[14:15], v[3:4], v[14:15]
	v_fma_f64 v[3:4], v[3:4], v[12:13], -v[16:17]
	v_fma_f64 v[1:2], v[1:2], v[12:13], v[14:15]
	buffer_store_dword v4, off, s[0:3], 0 offset:68
	buffer_store_dword v3, off, s[0:3], 0 offset:64
	;; [unrolled: 1-line block ×4, first 2 shown]
.LBB46_27:
	s_or_b32 exec_lo, exec_lo, s4
	v_mov_b32_e32 v4, s44
	s_waitcnt_vscnt null, 0x0
	s_barrier
	buffer_gl0_inv
	s_mov_b32 s4, exec_lo
	s_clause 0x3
	buffer_load_dword v1, v4, s[0:3], 0 offen
	buffer_load_dword v2, v4, s[0:3], 0 offen offset:4
	buffer_load_dword v3, v4, s[0:3], 0 offen offset:8
	;; [unrolled: 1-line block ×3, first 2 shown]
	s_waitcnt vmcnt(0)
	ds_write_b128 v5, v[1:4]
	s_waitcnt lgkmcnt(0)
	s_barrier
	buffer_gl0_inv
	v_cmpx_gt_u32_e32 4, v0
	s_cbranch_execz .LBB46_31
; %bb.28:
	v_mov_b32_e32 v1, 0
	v_mov_b32_e32 v3, 0
	v_add_nc_u32_e32 v7, -1, v0
	v_add_nc_u32_e32 v12, 0x2f0, v153
	v_mov_b32_e32 v2, 0
	v_mov_b32_e32 v4, 0
	v_add_nc_u32_e32 v13, 16, v153
	s_mov_b32 s5, 0
	.p2align	6
.LBB46_29:                              ; =>This Inner Loop Header: Depth=1
	s_clause 0x3
	buffer_load_dword v18, v13, s[0:3], 0 offen offset:8
	buffer_load_dword v19, v13, s[0:3], 0 offen offset:12
	buffer_load_dword v20, v13, s[0:3], 0 offen
	buffer_load_dword v21, v13, s[0:3], 0 offen offset:4
	ds_read_b128 v[14:17], v12
	v_add_nc_u32_e32 v7, 1, v7
	v_add_nc_u32_e32 v12, 16, v12
	;; [unrolled: 1-line block ×3, first 2 shown]
	v_cmp_lt_u32_e32 vcc_lo, 2, v7
	s_or_b32 s5, vcc_lo, s5
	s_waitcnt vmcnt(2) lgkmcnt(0)
	v_mul_f64 v[22:23], v[16:17], v[18:19]
	v_mul_f64 v[18:19], v[14:15], v[18:19]
	s_waitcnt vmcnt(0)
	v_fma_f64 v[14:15], v[14:15], v[20:21], -v[22:23]
	v_fma_f64 v[16:17], v[16:17], v[20:21], v[18:19]
	v_add_f64 v[3:4], v[3:4], v[14:15]
	v_add_f64 v[1:2], v[1:2], v[16:17]
	s_andn2_b32 exec_lo, exec_lo, s5
	s_cbranch_execnz .LBB46_29
; %bb.30:
	s_or_b32 exec_lo, exec_lo, s5
	v_mov_b32_e32 v7, 0
	ds_read_b128 v[12:15], v7 offset:64
	s_waitcnt lgkmcnt(0)
	v_mul_f64 v[16:17], v[1:2], v[14:15]
	v_mul_f64 v[14:15], v[3:4], v[14:15]
	v_fma_f64 v[3:4], v[3:4], v[12:13], -v[16:17]
	v_fma_f64 v[1:2], v[1:2], v[12:13], v[14:15]
	buffer_store_dword v4, off, s[0:3], 0 offset:84
	buffer_store_dword v3, off, s[0:3], 0 offset:80
	;; [unrolled: 1-line block ×4, first 2 shown]
.LBB46_31:
	s_or_b32 exec_lo, exec_lo, s4
	v_mov_b32_e32 v4, s58
	s_waitcnt_vscnt null, 0x0
	s_barrier
	buffer_gl0_inv
	s_mov_b32 s4, exec_lo
	s_clause 0x3
	buffer_load_dword v1, v4, s[0:3], 0 offen
	buffer_load_dword v2, v4, s[0:3], 0 offen offset:4
	buffer_load_dword v3, v4, s[0:3], 0 offen offset:8
	buffer_load_dword v4, v4, s[0:3], 0 offen offset:12
	s_waitcnt vmcnt(0)
	ds_write_b128 v5, v[1:4]
	s_waitcnt lgkmcnt(0)
	s_barrier
	buffer_gl0_inv
	v_cmpx_gt_u32_e32 5, v0
	s_cbranch_execz .LBB46_35
; %bb.32:
	v_mov_b32_e32 v1, 0
	v_mov_b32_e32 v3, 0
	v_add_nc_u32_e32 v7, -1, v0
	v_add_nc_u32_e32 v12, 0x2f0, v153
	v_mov_b32_e32 v2, 0
	v_mov_b32_e32 v4, 0
	v_add_nc_u32_e32 v13, 16, v153
	s_mov_b32 s5, 0
	.p2align	6
.LBB46_33:                              ; =>This Inner Loop Header: Depth=1
	s_clause 0x3
	buffer_load_dword v18, v13, s[0:3], 0 offen offset:8
	buffer_load_dword v19, v13, s[0:3], 0 offen offset:12
	buffer_load_dword v20, v13, s[0:3], 0 offen
	buffer_load_dword v21, v13, s[0:3], 0 offen offset:4
	ds_read_b128 v[14:17], v12
	v_add_nc_u32_e32 v7, 1, v7
	v_add_nc_u32_e32 v12, 16, v12
	;; [unrolled: 1-line block ×3, first 2 shown]
	v_cmp_lt_u32_e32 vcc_lo, 3, v7
	s_or_b32 s5, vcc_lo, s5
	s_waitcnt vmcnt(2) lgkmcnt(0)
	v_mul_f64 v[22:23], v[16:17], v[18:19]
	v_mul_f64 v[18:19], v[14:15], v[18:19]
	s_waitcnt vmcnt(0)
	v_fma_f64 v[14:15], v[14:15], v[20:21], -v[22:23]
	v_fma_f64 v[16:17], v[16:17], v[20:21], v[18:19]
	v_add_f64 v[3:4], v[3:4], v[14:15]
	v_add_f64 v[1:2], v[1:2], v[16:17]
	s_andn2_b32 exec_lo, exec_lo, s5
	s_cbranch_execnz .LBB46_33
; %bb.34:
	s_or_b32 exec_lo, exec_lo, s5
	v_mov_b32_e32 v7, 0
	ds_read_b128 v[12:15], v7 offset:80
	s_waitcnt lgkmcnt(0)
	v_mul_f64 v[16:17], v[1:2], v[14:15]
	v_mul_f64 v[14:15], v[3:4], v[14:15]
	v_fma_f64 v[3:4], v[3:4], v[12:13], -v[16:17]
	v_fma_f64 v[1:2], v[1:2], v[12:13], v[14:15]
	buffer_store_dword v4, off, s[0:3], 0 offset:100
	buffer_store_dword v3, off, s[0:3], 0 offset:96
	;; [unrolled: 1-line block ×4, first 2 shown]
.LBB46_35:
	s_or_b32 exec_lo, exec_lo, s4
	v_mov_b32_e32 v4, s57
	s_waitcnt_vscnt null, 0x0
	s_barrier
	buffer_gl0_inv
	s_mov_b32 s4, exec_lo
	s_clause 0x3
	buffer_load_dword v1, v4, s[0:3], 0 offen
	buffer_load_dword v2, v4, s[0:3], 0 offen offset:4
	buffer_load_dword v3, v4, s[0:3], 0 offen offset:8
	;; [unrolled: 1-line block ×3, first 2 shown]
	s_waitcnt vmcnt(0)
	ds_write_b128 v5, v[1:4]
	s_waitcnt lgkmcnt(0)
	s_barrier
	buffer_gl0_inv
	v_cmpx_gt_u32_e32 6, v0
	s_cbranch_execz .LBB46_39
; %bb.36:
	v_mov_b32_e32 v1, 0
	v_mov_b32_e32 v3, 0
	v_add_nc_u32_e32 v7, -1, v0
	v_add_nc_u32_e32 v12, 0x2f0, v153
	v_mov_b32_e32 v2, 0
	v_mov_b32_e32 v4, 0
	v_add_nc_u32_e32 v13, 16, v153
	s_mov_b32 s5, 0
	.p2align	6
.LBB46_37:                              ; =>This Inner Loop Header: Depth=1
	s_clause 0x3
	buffer_load_dword v18, v13, s[0:3], 0 offen offset:8
	buffer_load_dword v19, v13, s[0:3], 0 offen offset:12
	buffer_load_dword v20, v13, s[0:3], 0 offen
	buffer_load_dword v21, v13, s[0:3], 0 offen offset:4
	ds_read_b128 v[14:17], v12
	v_add_nc_u32_e32 v7, 1, v7
	v_add_nc_u32_e32 v12, 16, v12
	;; [unrolled: 1-line block ×3, first 2 shown]
	v_cmp_lt_u32_e32 vcc_lo, 4, v7
	s_or_b32 s5, vcc_lo, s5
	s_waitcnt vmcnt(2) lgkmcnt(0)
	v_mul_f64 v[22:23], v[16:17], v[18:19]
	v_mul_f64 v[18:19], v[14:15], v[18:19]
	s_waitcnt vmcnt(0)
	v_fma_f64 v[14:15], v[14:15], v[20:21], -v[22:23]
	v_fma_f64 v[16:17], v[16:17], v[20:21], v[18:19]
	v_add_f64 v[3:4], v[3:4], v[14:15]
	v_add_f64 v[1:2], v[1:2], v[16:17]
	s_andn2_b32 exec_lo, exec_lo, s5
	s_cbranch_execnz .LBB46_37
; %bb.38:
	s_or_b32 exec_lo, exec_lo, s5
	v_mov_b32_e32 v7, 0
	ds_read_b128 v[12:15], v7 offset:96
	s_waitcnt lgkmcnt(0)
	v_mul_f64 v[16:17], v[1:2], v[14:15]
	v_mul_f64 v[14:15], v[3:4], v[14:15]
	v_fma_f64 v[3:4], v[3:4], v[12:13], -v[16:17]
	v_fma_f64 v[1:2], v[1:2], v[12:13], v[14:15]
	buffer_store_dword v4, off, s[0:3], 0 offset:116
	buffer_store_dword v3, off, s[0:3], 0 offset:112
	;; [unrolled: 1-line block ×4, first 2 shown]
.LBB46_39:
	s_or_b32 exec_lo, exec_lo, s4
	v_mov_b32_e32 v4, s56
	s_waitcnt_vscnt null, 0x0
	s_barrier
	buffer_gl0_inv
	s_mov_b32 s4, exec_lo
	s_clause 0x3
	buffer_load_dword v1, v4, s[0:3], 0 offen
	buffer_load_dword v2, v4, s[0:3], 0 offen offset:4
	buffer_load_dword v3, v4, s[0:3], 0 offen offset:8
	;; [unrolled: 1-line block ×3, first 2 shown]
	s_waitcnt vmcnt(0)
	ds_write_b128 v5, v[1:4]
	s_waitcnt lgkmcnt(0)
	s_barrier
	buffer_gl0_inv
	v_cmpx_gt_u32_e32 7, v0
	s_cbranch_execz .LBB46_43
; %bb.40:
	v_mov_b32_e32 v1, 0
	v_mov_b32_e32 v3, 0
	v_add_nc_u32_e32 v7, -1, v0
	v_add_nc_u32_e32 v12, 0x2f0, v153
	v_mov_b32_e32 v2, 0
	v_mov_b32_e32 v4, 0
	v_add_nc_u32_e32 v13, 16, v153
	s_mov_b32 s5, 0
	.p2align	6
.LBB46_41:                              ; =>This Inner Loop Header: Depth=1
	s_clause 0x3
	buffer_load_dword v18, v13, s[0:3], 0 offen offset:8
	buffer_load_dword v19, v13, s[0:3], 0 offen offset:12
	buffer_load_dword v20, v13, s[0:3], 0 offen
	buffer_load_dword v21, v13, s[0:3], 0 offen offset:4
	ds_read_b128 v[14:17], v12
	v_add_nc_u32_e32 v7, 1, v7
	v_add_nc_u32_e32 v12, 16, v12
	v_add_nc_u32_e32 v13, 16, v13
	v_cmp_lt_u32_e32 vcc_lo, 5, v7
	s_or_b32 s5, vcc_lo, s5
	s_waitcnt vmcnt(2) lgkmcnt(0)
	v_mul_f64 v[22:23], v[16:17], v[18:19]
	v_mul_f64 v[18:19], v[14:15], v[18:19]
	s_waitcnt vmcnt(0)
	v_fma_f64 v[14:15], v[14:15], v[20:21], -v[22:23]
	v_fma_f64 v[16:17], v[16:17], v[20:21], v[18:19]
	v_add_f64 v[3:4], v[3:4], v[14:15]
	v_add_f64 v[1:2], v[1:2], v[16:17]
	s_andn2_b32 exec_lo, exec_lo, s5
	s_cbranch_execnz .LBB46_41
; %bb.42:
	s_or_b32 exec_lo, exec_lo, s5
	v_mov_b32_e32 v7, 0
	ds_read_b128 v[12:15], v7 offset:112
	s_waitcnt lgkmcnt(0)
	v_mul_f64 v[16:17], v[1:2], v[14:15]
	v_mul_f64 v[14:15], v[3:4], v[14:15]
	v_fma_f64 v[3:4], v[3:4], v[12:13], -v[16:17]
	v_fma_f64 v[1:2], v[1:2], v[12:13], v[14:15]
	buffer_store_dword v4, off, s[0:3], 0 offset:132
	buffer_store_dword v3, off, s[0:3], 0 offset:128
	;; [unrolled: 1-line block ×4, first 2 shown]
.LBB46_43:
	s_or_b32 exec_lo, exec_lo, s4
	v_mov_b32_e32 v4, s55
	s_waitcnt_vscnt null, 0x0
	s_barrier
	buffer_gl0_inv
	s_mov_b32 s4, exec_lo
	s_clause 0x3
	buffer_load_dword v1, v4, s[0:3], 0 offen
	buffer_load_dword v2, v4, s[0:3], 0 offen offset:4
	buffer_load_dword v3, v4, s[0:3], 0 offen offset:8
	buffer_load_dword v4, v4, s[0:3], 0 offen offset:12
	s_waitcnt vmcnt(0)
	ds_write_b128 v5, v[1:4]
	s_waitcnt lgkmcnt(0)
	s_barrier
	buffer_gl0_inv
	v_cmpx_gt_u32_e32 8, v0
	s_cbranch_execz .LBB46_47
; %bb.44:
	v_mov_b32_e32 v1, 0
	v_mov_b32_e32 v3, 0
	v_add_nc_u32_e32 v7, -1, v0
	v_add_nc_u32_e32 v12, 0x2f0, v153
	v_mov_b32_e32 v2, 0
	v_mov_b32_e32 v4, 0
	v_add_nc_u32_e32 v13, 16, v153
	s_mov_b32 s5, 0
	.p2align	6
.LBB46_45:                              ; =>This Inner Loop Header: Depth=1
	s_clause 0x3
	buffer_load_dword v18, v13, s[0:3], 0 offen offset:8
	buffer_load_dword v19, v13, s[0:3], 0 offen offset:12
	buffer_load_dword v20, v13, s[0:3], 0 offen
	buffer_load_dword v21, v13, s[0:3], 0 offen offset:4
	ds_read_b128 v[14:17], v12
	v_add_nc_u32_e32 v7, 1, v7
	v_add_nc_u32_e32 v12, 16, v12
	;; [unrolled: 1-line block ×3, first 2 shown]
	v_cmp_lt_u32_e32 vcc_lo, 6, v7
	s_or_b32 s5, vcc_lo, s5
	s_waitcnt vmcnt(2) lgkmcnt(0)
	v_mul_f64 v[22:23], v[16:17], v[18:19]
	v_mul_f64 v[18:19], v[14:15], v[18:19]
	s_waitcnt vmcnt(0)
	v_fma_f64 v[14:15], v[14:15], v[20:21], -v[22:23]
	v_fma_f64 v[16:17], v[16:17], v[20:21], v[18:19]
	v_add_f64 v[3:4], v[3:4], v[14:15]
	v_add_f64 v[1:2], v[1:2], v[16:17]
	s_andn2_b32 exec_lo, exec_lo, s5
	s_cbranch_execnz .LBB46_45
; %bb.46:
	s_or_b32 exec_lo, exec_lo, s5
	v_mov_b32_e32 v7, 0
	ds_read_b128 v[12:15], v7 offset:128
	s_waitcnt lgkmcnt(0)
	v_mul_f64 v[16:17], v[1:2], v[14:15]
	v_mul_f64 v[14:15], v[3:4], v[14:15]
	v_fma_f64 v[3:4], v[3:4], v[12:13], -v[16:17]
	v_fma_f64 v[1:2], v[1:2], v[12:13], v[14:15]
	buffer_store_dword v4, off, s[0:3], 0 offset:148
	buffer_store_dword v3, off, s[0:3], 0 offset:144
	;; [unrolled: 1-line block ×4, first 2 shown]
.LBB46_47:
	s_or_b32 exec_lo, exec_lo, s4
	v_mov_b32_e32 v4, s54
	s_waitcnt_vscnt null, 0x0
	s_barrier
	buffer_gl0_inv
	s_mov_b32 s4, exec_lo
	s_clause 0x3
	buffer_load_dword v1, v4, s[0:3], 0 offen
	buffer_load_dword v2, v4, s[0:3], 0 offen offset:4
	buffer_load_dword v3, v4, s[0:3], 0 offen offset:8
	;; [unrolled: 1-line block ×3, first 2 shown]
	s_waitcnt vmcnt(0)
	ds_write_b128 v5, v[1:4]
	s_waitcnt lgkmcnt(0)
	s_barrier
	buffer_gl0_inv
	v_cmpx_gt_u32_e32 9, v0
	s_cbranch_execz .LBB46_51
; %bb.48:
	v_mov_b32_e32 v1, 0
	v_mov_b32_e32 v3, 0
	v_add_nc_u32_e32 v7, -1, v0
	v_add_nc_u32_e32 v12, 0x2f0, v153
	v_mov_b32_e32 v2, 0
	v_mov_b32_e32 v4, 0
	v_add_nc_u32_e32 v13, 16, v153
	s_mov_b32 s5, 0
	.p2align	6
.LBB46_49:                              ; =>This Inner Loop Header: Depth=1
	s_clause 0x3
	buffer_load_dword v18, v13, s[0:3], 0 offen offset:8
	buffer_load_dword v19, v13, s[0:3], 0 offen offset:12
	buffer_load_dword v20, v13, s[0:3], 0 offen
	buffer_load_dword v21, v13, s[0:3], 0 offen offset:4
	ds_read_b128 v[14:17], v12
	v_add_nc_u32_e32 v7, 1, v7
	v_add_nc_u32_e32 v12, 16, v12
	;; [unrolled: 1-line block ×3, first 2 shown]
	v_cmp_lt_u32_e32 vcc_lo, 7, v7
	s_or_b32 s5, vcc_lo, s5
	s_waitcnt vmcnt(2) lgkmcnt(0)
	v_mul_f64 v[22:23], v[16:17], v[18:19]
	v_mul_f64 v[18:19], v[14:15], v[18:19]
	s_waitcnt vmcnt(0)
	v_fma_f64 v[14:15], v[14:15], v[20:21], -v[22:23]
	v_fma_f64 v[16:17], v[16:17], v[20:21], v[18:19]
	v_add_f64 v[3:4], v[3:4], v[14:15]
	v_add_f64 v[1:2], v[1:2], v[16:17]
	s_andn2_b32 exec_lo, exec_lo, s5
	s_cbranch_execnz .LBB46_49
; %bb.50:
	s_or_b32 exec_lo, exec_lo, s5
	v_mov_b32_e32 v7, 0
	ds_read_b128 v[12:15], v7 offset:144
	s_waitcnt lgkmcnt(0)
	v_mul_f64 v[16:17], v[1:2], v[14:15]
	v_mul_f64 v[14:15], v[3:4], v[14:15]
	v_fma_f64 v[3:4], v[3:4], v[12:13], -v[16:17]
	v_fma_f64 v[1:2], v[1:2], v[12:13], v[14:15]
	buffer_store_dword v4, off, s[0:3], 0 offset:164
	buffer_store_dword v3, off, s[0:3], 0 offset:160
	;; [unrolled: 1-line block ×4, first 2 shown]
.LBB46_51:
	s_or_b32 exec_lo, exec_lo, s4
	v_mov_b32_e32 v4, s53
	s_waitcnt_vscnt null, 0x0
	s_barrier
	buffer_gl0_inv
	s_mov_b32 s4, exec_lo
	s_clause 0x3
	buffer_load_dword v1, v4, s[0:3], 0 offen
	buffer_load_dword v2, v4, s[0:3], 0 offen offset:4
	buffer_load_dword v3, v4, s[0:3], 0 offen offset:8
	;; [unrolled: 1-line block ×3, first 2 shown]
	s_waitcnt vmcnt(0)
	ds_write_b128 v5, v[1:4]
	s_waitcnt lgkmcnt(0)
	s_barrier
	buffer_gl0_inv
	v_cmpx_gt_u32_e32 10, v0
	s_cbranch_execz .LBB46_55
; %bb.52:
	v_mov_b32_e32 v1, 0
	v_mov_b32_e32 v3, 0
	v_add_nc_u32_e32 v7, -1, v0
	v_add_nc_u32_e32 v12, 0x2f0, v153
	v_mov_b32_e32 v2, 0
	v_mov_b32_e32 v4, 0
	v_add_nc_u32_e32 v13, 16, v153
	s_mov_b32 s5, 0
	.p2align	6
.LBB46_53:                              ; =>This Inner Loop Header: Depth=1
	s_clause 0x3
	buffer_load_dword v18, v13, s[0:3], 0 offen offset:8
	buffer_load_dword v19, v13, s[0:3], 0 offen offset:12
	buffer_load_dword v20, v13, s[0:3], 0 offen
	buffer_load_dword v21, v13, s[0:3], 0 offen offset:4
	ds_read_b128 v[14:17], v12
	v_add_nc_u32_e32 v7, 1, v7
	v_add_nc_u32_e32 v12, 16, v12
	;; [unrolled: 1-line block ×3, first 2 shown]
	v_cmp_lt_u32_e32 vcc_lo, 8, v7
	s_or_b32 s5, vcc_lo, s5
	s_waitcnt vmcnt(2) lgkmcnt(0)
	v_mul_f64 v[22:23], v[16:17], v[18:19]
	v_mul_f64 v[18:19], v[14:15], v[18:19]
	s_waitcnt vmcnt(0)
	v_fma_f64 v[14:15], v[14:15], v[20:21], -v[22:23]
	v_fma_f64 v[16:17], v[16:17], v[20:21], v[18:19]
	v_add_f64 v[3:4], v[3:4], v[14:15]
	v_add_f64 v[1:2], v[1:2], v[16:17]
	s_andn2_b32 exec_lo, exec_lo, s5
	s_cbranch_execnz .LBB46_53
; %bb.54:
	s_or_b32 exec_lo, exec_lo, s5
	v_mov_b32_e32 v7, 0
	ds_read_b128 v[12:15], v7 offset:160
	s_waitcnt lgkmcnt(0)
	v_mul_f64 v[16:17], v[1:2], v[14:15]
	v_mul_f64 v[14:15], v[3:4], v[14:15]
	v_fma_f64 v[3:4], v[3:4], v[12:13], -v[16:17]
	v_fma_f64 v[1:2], v[1:2], v[12:13], v[14:15]
	buffer_store_dword v4, off, s[0:3], 0 offset:180
	buffer_store_dword v3, off, s[0:3], 0 offset:176
	buffer_store_dword v2, off, s[0:3], 0 offset:188
	buffer_store_dword v1, off, s[0:3], 0 offset:184
.LBB46_55:
	s_or_b32 exec_lo, exec_lo, s4
	v_mov_b32_e32 v4, s52
	s_waitcnt_vscnt null, 0x0
	s_barrier
	buffer_gl0_inv
	s_mov_b32 s4, exec_lo
	s_clause 0x3
	buffer_load_dword v1, v4, s[0:3], 0 offen
	buffer_load_dword v2, v4, s[0:3], 0 offen offset:4
	buffer_load_dword v3, v4, s[0:3], 0 offen offset:8
	;; [unrolled: 1-line block ×3, first 2 shown]
	s_waitcnt vmcnt(0)
	ds_write_b128 v5, v[1:4]
	s_waitcnt lgkmcnt(0)
	s_barrier
	buffer_gl0_inv
	v_cmpx_gt_u32_e32 11, v0
	s_cbranch_execz .LBB46_59
; %bb.56:
	v_mov_b32_e32 v1, 0
	v_mov_b32_e32 v3, 0
	v_add_nc_u32_e32 v7, -1, v0
	v_add_nc_u32_e32 v12, 0x2f0, v153
	v_mov_b32_e32 v2, 0
	v_mov_b32_e32 v4, 0
	v_add_nc_u32_e32 v13, 16, v153
	s_mov_b32 s5, 0
	.p2align	6
.LBB46_57:                              ; =>This Inner Loop Header: Depth=1
	s_clause 0x3
	buffer_load_dword v18, v13, s[0:3], 0 offen offset:8
	buffer_load_dword v19, v13, s[0:3], 0 offen offset:12
	buffer_load_dword v20, v13, s[0:3], 0 offen
	buffer_load_dword v21, v13, s[0:3], 0 offen offset:4
	ds_read_b128 v[14:17], v12
	v_add_nc_u32_e32 v7, 1, v7
	v_add_nc_u32_e32 v12, 16, v12
	;; [unrolled: 1-line block ×3, first 2 shown]
	v_cmp_lt_u32_e32 vcc_lo, 9, v7
	s_or_b32 s5, vcc_lo, s5
	s_waitcnt vmcnt(2) lgkmcnt(0)
	v_mul_f64 v[22:23], v[16:17], v[18:19]
	v_mul_f64 v[18:19], v[14:15], v[18:19]
	s_waitcnt vmcnt(0)
	v_fma_f64 v[14:15], v[14:15], v[20:21], -v[22:23]
	v_fma_f64 v[16:17], v[16:17], v[20:21], v[18:19]
	v_add_f64 v[3:4], v[3:4], v[14:15]
	v_add_f64 v[1:2], v[1:2], v[16:17]
	s_andn2_b32 exec_lo, exec_lo, s5
	s_cbranch_execnz .LBB46_57
; %bb.58:
	s_or_b32 exec_lo, exec_lo, s5
	v_mov_b32_e32 v7, 0
	ds_read_b128 v[12:15], v7 offset:176
	s_waitcnt lgkmcnt(0)
	v_mul_f64 v[16:17], v[1:2], v[14:15]
	v_mul_f64 v[14:15], v[3:4], v[14:15]
	v_fma_f64 v[3:4], v[3:4], v[12:13], -v[16:17]
	v_fma_f64 v[1:2], v[1:2], v[12:13], v[14:15]
	buffer_store_dword v4, off, s[0:3], 0 offset:196
	buffer_store_dword v3, off, s[0:3], 0 offset:192
	;; [unrolled: 1-line block ×4, first 2 shown]
.LBB46_59:
	s_or_b32 exec_lo, exec_lo, s4
	v_mov_b32_e32 v4, s50
	s_waitcnt_vscnt null, 0x0
	s_barrier
	buffer_gl0_inv
	s_mov_b32 s4, exec_lo
	s_clause 0x3
	buffer_load_dword v1, v4, s[0:3], 0 offen
	buffer_load_dword v2, v4, s[0:3], 0 offen offset:4
	buffer_load_dword v3, v4, s[0:3], 0 offen offset:8
	;; [unrolled: 1-line block ×3, first 2 shown]
	s_waitcnt vmcnt(0)
	ds_write_b128 v5, v[1:4]
	s_waitcnt lgkmcnt(0)
	s_barrier
	buffer_gl0_inv
	v_cmpx_gt_u32_e32 12, v0
	s_cbranch_execz .LBB46_63
; %bb.60:
	v_mov_b32_e32 v1, 0
	v_mov_b32_e32 v3, 0
	v_add_nc_u32_e32 v7, -1, v0
	v_add_nc_u32_e32 v12, 0x2f0, v153
	v_mov_b32_e32 v2, 0
	v_mov_b32_e32 v4, 0
	v_add_nc_u32_e32 v13, 16, v153
	s_mov_b32 s5, 0
	.p2align	6
.LBB46_61:                              ; =>This Inner Loop Header: Depth=1
	s_clause 0x3
	buffer_load_dword v18, v13, s[0:3], 0 offen offset:8
	buffer_load_dword v19, v13, s[0:3], 0 offen offset:12
	buffer_load_dword v20, v13, s[0:3], 0 offen
	buffer_load_dword v21, v13, s[0:3], 0 offen offset:4
	ds_read_b128 v[14:17], v12
	v_add_nc_u32_e32 v7, 1, v7
	v_add_nc_u32_e32 v12, 16, v12
	;; [unrolled: 1-line block ×3, first 2 shown]
	v_cmp_lt_u32_e32 vcc_lo, 10, v7
	s_or_b32 s5, vcc_lo, s5
	s_waitcnt vmcnt(2) lgkmcnt(0)
	v_mul_f64 v[22:23], v[16:17], v[18:19]
	v_mul_f64 v[18:19], v[14:15], v[18:19]
	s_waitcnt vmcnt(0)
	v_fma_f64 v[14:15], v[14:15], v[20:21], -v[22:23]
	v_fma_f64 v[16:17], v[16:17], v[20:21], v[18:19]
	v_add_f64 v[3:4], v[3:4], v[14:15]
	v_add_f64 v[1:2], v[1:2], v[16:17]
	s_andn2_b32 exec_lo, exec_lo, s5
	s_cbranch_execnz .LBB46_61
; %bb.62:
	s_or_b32 exec_lo, exec_lo, s5
	v_mov_b32_e32 v7, 0
	ds_read_b128 v[12:15], v7 offset:192
	s_waitcnt lgkmcnt(0)
	v_mul_f64 v[16:17], v[1:2], v[14:15]
	v_mul_f64 v[14:15], v[3:4], v[14:15]
	v_fma_f64 v[3:4], v[3:4], v[12:13], -v[16:17]
	v_fma_f64 v[1:2], v[1:2], v[12:13], v[14:15]
	buffer_store_dword v4, off, s[0:3], 0 offset:212
	buffer_store_dword v3, off, s[0:3], 0 offset:208
	;; [unrolled: 1-line block ×4, first 2 shown]
.LBB46_63:
	s_or_b32 exec_lo, exec_lo, s4
	v_mov_b32_e32 v4, s49
	s_waitcnt_vscnt null, 0x0
	s_barrier
	buffer_gl0_inv
	s_mov_b32 s4, exec_lo
	s_clause 0x3
	buffer_load_dword v1, v4, s[0:3], 0 offen
	buffer_load_dword v2, v4, s[0:3], 0 offen offset:4
	buffer_load_dword v3, v4, s[0:3], 0 offen offset:8
	;; [unrolled: 1-line block ×3, first 2 shown]
	s_waitcnt vmcnt(0)
	ds_write_b128 v5, v[1:4]
	s_waitcnt lgkmcnt(0)
	s_barrier
	buffer_gl0_inv
	v_cmpx_gt_u32_e32 13, v0
	s_cbranch_execz .LBB46_67
; %bb.64:
	v_mov_b32_e32 v1, 0
	v_mov_b32_e32 v3, 0
	v_add_nc_u32_e32 v7, -1, v0
	v_add_nc_u32_e32 v12, 0x2f0, v153
	v_mov_b32_e32 v2, 0
	v_mov_b32_e32 v4, 0
	v_add_nc_u32_e32 v13, 16, v153
	s_mov_b32 s5, 0
	.p2align	6
.LBB46_65:                              ; =>This Inner Loop Header: Depth=1
	s_clause 0x3
	buffer_load_dword v18, v13, s[0:3], 0 offen offset:8
	buffer_load_dword v19, v13, s[0:3], 0 offen offset:12
	buffer_load_dword v20, v13, s[0:3], 0 offen
	buffer_load_dword v21, v13, s[0:3], 0 offen offset:4
	ds_read_b128 v[14:17], v12
	v_add_nc_u32_e32 v7, 1, v7
	v_add_nc_u32_e32 v12, 16, v12
	v_add_nc_u32_e32 v13, 16, v13
	v_cmp_lt_u32_e32 vcc_lo, 11, v7
	s_or_b32 s5, vcc_lo, s5
	s_waitcnt vmcnt(2) lgkmcnt(0)
	v_mul_f64 v[22:23], v[16:17], v[18:19]
	v_mul_f64 v[18:19], v[14:15], v[18:19]
	s_waitcnt vmcnt(0)
	v_fma_f64 v[14:15], v[14:15], v[20:21], -v[22:23]
	v_fma_f64 v[16:17], v[16:17], v[20:21], v[18:19]
	v_add_f64 v[3:4], v[3:4], v[14:15]
	v_add_f64 v[1:2], v[1:2], v[16:17]
	s_andn2_b32 exec_lo, exec_lo, s5
	s_cbranch_execnz .LBB46_65
; %bb.66:
	s_or_b32 exec_lo, exec_lo, s5
	v_mov_b32_e32 v7, 0
	ds_read_b128 v[12:15], v7 offset:208
	s_waitcnt lgkmcnt(0)
	v_mul_f64 v[16:17], v[1:2], v[14:15]
	v_mul_f64 v[14:15], v[3:4], v[14:15]
	v_fma_f64 v[3:4], v[3:4], v[12:13], -v[16:17]
	v_fma_f64 v[1:2], v[1:2], v[12:13], v[14:15]
	buffer_store_dword v4, off, s[0:3], 0 offset:228
	buffer_store_dword v3, off, s[0:3], 0 offset:224
	;; [unrolled: 1-line block ×4, first 2 shown]
.LBB46_67:
	s_or_b32 exec_lo, exec_lo, s4
	v_mov_b32_e32 v4, s47
	s_waitcnt_vscnt null, 0x0
	s_barrier
	buffer_gl0_inv
	s_mov_b32 s4, exec_lo
	s_clause 0x3
	buffer_load_dword v1, v4, s[0:3], 0 offen
	buffer_load_dword v2, v4, s[0:3], 0 offen offset:4
	buffer_load_dword v3, v4, s[0:3], 0 offen offset:8
	;; [unrolled: 1-line block ×3, first 2 shown]
	s_waitcnt vmcnt(0)
	ds_write_b128 v5, v[1:4]
	s_waitcnt lgkmcnt(0)
	s_barrier
	buffer_gl0_inv
	v_cmpx_gt_u32_e32 14, v0
	s_cbranch_execz .LBB46_71
; %bb.68:
	v_mov_b32_e32 v1, 0
	v_mov_b32_e32 v3, 0
	v_add_nc_u32_e32 v7, -1, v0
	v_add_nc_u32_e32 v12, 0x2f0, v153
	v_mov_b32_e32 v2, 0
	v_mov_b32_e32 v4, 0
	v_add_nc_u32_e32 v13, 16, v153
	s_mov_b32 s5, 0
	.p2align	6
.LBB46_69:                              ; =>This Inner Loop Header: Depth=1
	s_clause 0x3
	buffer_load_dword v18, v13, s[0:3], 0 offen offset:8
	buffer_load_dword v19, v13, s[0:3], 0 offen offset:12
	buffer_load_dword v20, v13, s[0:3], 0 offen
	buffer_load_dword v21, v13, s[0:3], 0 offen offset:4
	ds_read_b128 v[14:17], v12
	v_add_nc_u32_e32 v7, 1, v7
	v_add_nc_u32_e32 v12, 16, v12
	;; [unrolled: 1-line block ×3, first 2 shown]
	v_cmp_lt_u32_e32 vcc_lo, 12, v7
	s_or_b32 s5, vcc_lo, s5
	s_waitcnt vmcnt(2) lgkmcnt(0)
	v_mul_f64 v[22:23], v[16:17], v[18:19]
	v_mul_f64 v[18:19], v[14:15], v[18:19]
	s_waitcnt vmcnt(0)
	v_fma_f64 v[14:15], v[14:15], v[20:21], -v[22:23]
	v_fma_f64 v[16:17], v[16:17], v[20:21], v[18:19]
	v_add_f64 v[3:4], v[3:4], v[14:15]
	v_add_f64 v[1:2], v[1:2], v[16:17]
	s_andn2_b32 exec_lo, exec_lo, s5
	s_cbranch_execnz .LBB46_69
; %bb.70:
	s_or_b32 exec_lo, exec_lo, s5
	v_mov_b32_e32 v7, 0
	ds_read_b128 v[12:15], v7 offset:224
	s_waitcnt lgkmcnt(0)
	v_mul_f64 v[16:17], v[1:2], v[14:15]
	v_mul_f64 v[14:15], v[3:4], v[14:15]
	v_fma_f64 v[3:4], v[3:4], v[12:13], -v[16:17]
	v_fma_f64 v[1:2], v[1:2], v[12:13], v[14:15]
	buffer_store_dword v4, off, s[0:3], 0 offset:244
	buffer_store_dword v3, off, s[0:3], 0 offset:240
	;; [unrolled: 1-line block ×4, first 2 shown]
.LBB46_71:
	s_or_b32 exec_lo, exec_lo, s4
	v_mov_b32_e32 v4, s45
	s_waitcnt_vscnt null, 0x0
	s_barrier
	buffer_gl0_inv
	s_mov_b32 s4, exec_lo
	s_clause 0x3
	buffer_load_dword v1, v4, s[0:3], 0 offen
	buffer_load_dword v2, v4, s[0:3], 0 offen offset:4
	buffer_load_dword v3, v4, s[0:3], 0 offen offset:8
	;; [unrolled: 1-line block ×3, first 2 shown]
	s_waitcnt vmcnt(0)
	ds_write_b128 v5, v[1:4]
	s_waitcnt lgkmcnt(0)
	s_barrier
	buffer_gl0_inv
	v_cmpx_gt_u32_e32 15, v0
	s_cbranch_execz .LBB46_75
; %bb.72:
	v_mov_b32_e32 v1, 0
	v_mov_b32_e32 v3, 0
	v_add_nc_u32_e32 v7, -1, v0
	v_add_nc_u32_e32 v12, 0x2f0, v153
	v_mov_b32_e32 v2, 0
	v_mov_b32_e32 v4, 0
	v_add_nc_u32_e32 v13, 16, v153
	s_mov_b32 s5, 0
	.p2align	6
.LBB46_73:                              ; =>This Inner Loop Header: Depth=1
	s_clause 0x3
	buffer_load_dword v18, v13, s[0:3], 0 offen offset:8
	buffer_load_dword v19, v13, s[0:3], 0 offen offset:12
	buffer_load_dword v20, v13, s[0:3], 0 offen
	buffer_load_dword v21, v13, s[0:3], 0 offen offset:4
	ds_read_b128 v[14:17], v12
	v_add_nc_u32_e32 v7, 1, v7
	v_add_nc_u32_e32 v12, 16, v12
	;; [unrolled: 1-line block ×3, first 2 shown]
	v_cmp_lt_u32_e32 vcc_lo, 13, v7
	s_or_b32 s5, vcc_lo, s5
	s_waitcnt vmcnt(2) lgkmcnt(0)
	v_mul_f64 v[22:23], v[16:17], v[18:19]
	v_mul_f64 v[18:19], v[14:15], v[18:19]
	s_waitcnt vmcnt(0)
	v_fma_f64 v[14:15], v[14:15], v[20:21], -v[22:23]
	v_fma_f64 v[16:17], v[16:17], v[20:21], v[18:19]
	v_add_f64 v[3:4], v[3:4], v[14:15]
	v_add_f64 v[1:2], v[1:2], v[16:17]
	s_andn2_b32 exec_lo, exec_lo, s5
	s_cbranch_execnz .LBB46_73
; %bb.74:
	s_or_b32 exec_lo, exec_lo, s5
	v_mov_b32_e32 v7, 0
	ds_read_b128 v[12:15], v7 offset:240
	s_waitcnt lgkmcnt(0)
	v_mul_f64 v[16:17], v[1:2], v[14:15]
	v_mul_f64 v[14:15], v[3:4], v[14:15]
	v_fma_f64 v[3:4], v[3:4], v[12:13], -v[16:17]
	v_fma_f64 v[1:2], v[1:2], v[12:13], v[14:15]
	buffer_store_dword v4, off, s[0:3], 0 offset:260
	buffer_store_dword v3, off, s[0:3], 0 offset:256
	;; [unrolled: 1-line block ×4, first 2 shown]
.LBB46_75:
	s_or_b32 exec_lo, exec_lo, s4
	v_mov_b32_e32 v4, s43
	s_waitcnt_vscnt null, 0x0
	s_barrier
	buffer_gl0_inv
	s_mov_b32 s4, exec_lo
	s_clause 0x3
	buffer_load_dword v1, v4, s[0:3], 0 offen
	buffer_load_dword v2, v4, s[0:3], 0 offen offset:4
	buffer_load_dword v3, v4, s[0:3], 0 offen offset:8
	;; [unrolled: 1-line block ×3, first 2 shown]
	s_waitcnt vmcnt(0)
	ds_write_b128 v5, v[1:4]
	s_waitcnt lgkmcnt(0)
	s_barrier
	buffer_gl0_inv
	v_cmpx_gt_u32_e32 16, v0
	s_cbranch_execz .LBB46_79
; %bb.76:
	v_mov_b32_e32 v1, 0
	v_mov_b32_e32 v3, 0
	v_add_nc_u32_e32 v7, -1, v0
	v_add_nc_u32_e32 v12, 0x2f0, v153
	v_mov_b32_e32 v2, 0
	v_mov_b32_e32 v4, 0
	v_add_nc_u32_e32 v13, 16, v153
	s_mov_b32 s5, 0
	.p2align	6
.LBB46_77:                              ; =>This Inner Loop Header: Depth=1
	s_clause 0x3
	buffer_load_dword v18, v13, s[0:3], 0 offen offset:8
	buffer_load_dword v19, v13, s[0:3], 0 offen offset:12
	buffer_load_dword v20, v13, s[0:3], 0 offen
	buffer_load_dword v21, v13, s[0:3], 0 offen offset:4
	ds_read_b128 v[14:17], v12
	v_add_nc_u32_e32 v7, 1, v7
	v_add_nc_u32_e32 v12, 16, v12
	;; [unrolled: 1-line block ×3, first 2 shown]
	v_cmp_lt_u32_e32 vcc_lo, 14, v7
	s_or_b32 s5, vcc_lo, s5
	s_waitcnt vmcnt(2) lgkmcnt(0)
	v_mul_f64 v[22:23], v[16:17], v[18:19]
	v_mul_f64 v[18:19], v[14:15], v[18:19]
	s_waitcnt vmcnt(0)
	v_fma_f64 v[14:15], v[14:15], v[20:21], -v[22:23]
	v_fma_f64 v[16:17], v[16:17], v[20:21], v[18:19]
	v_add_f64 v[3:4], v[3:4], v[14:15]
	v_add_f64 v[1:2], v[1:2], v[16:17]
	s_andn2_b32 exec_lo, exec_lo, s5
	s_cbranch_execnz .LBB46_77
; %bb.78:
	s_or_b32 exec_lo, exec_lo, s5
	v_mov_b32_e32 v7, 0
	ds_read_b128 v[12:15], v7 offset:256
	s_waitcnt lgkmcnt(0)
	v_mul_f64 v[16:17], v[1:2], v[14:15]
	v_mul_f64 v[14:15], v[3:4], v[14:15]
	v_fma_f64 v[3:4], v[3:4], v[12:13], -v[16:17]
	v_fma_f64 v[1:2], v[1:2], v[12:13], v[14:15]
	buffer_store_dword v4, off, s[0:3], 0 offset:276
	buffer_store_dword v3, off, s[0:3], 0 offset:272
	;; [unrolled: 1-line block ×4, first 2 shown]
.LBB46_79:
	s_or_b32 exec_lo, exec_lo, s4
	v_mov_b32_e32 v4, s42
	s_waitcnt_vscnt null, 0x0
	s_barrier
	buffer_gl0_inv
	s_mov_b32 s4, exec_lo
	s_clause 0x3
	buffer_load_dword v1, v4, s[0:3], 0 offen
	buffer_load_dword v2, v4, s[0:3], 0 offen offset:4
	buffer_load_dword v3, v4, s[0:3], 0 offen offset:8
	;; [unrolled: 1-line block ×3, first 2 shown]
	s_waitcnt vmcnt(0)
	ds_write_b128 v5, v[1:4]
	s_waitcnt lgkmcnt(0)
	s_barrier
	buffer_gl0_inv
	v_cmpx_gt_u32_e32 17, v0
	s_cbranch_execz .LBB46_83
; %bb.80:
	v_mov_b32_e32 v1, 0
	v_mov_b32_e32 v3, 0
	v_add_nc_u32_e32 v7, -1, v0
	v_add_nc_u32_e32 v12, 0x2f0, v153
	v_mov_b32_e32 v2, 0
	v_mov_b32_e32 v4, 0
	v_add_nc_u32_e32 v13, 16, v153
	s_mov_b32 s5, 0
	.p2align	6
.LBB46_81:                              ; =>This Inner Loop Header: Depth=1
	s_clause 0x3
	buffer_load_dword v18, v13, s[0:3], 0 offen offset:8
	buffer_load_dword v19, v13, s[0:3], 0 offen offset:12
	buffer_load_dword v20, v13, s[0:3], 0 offen
	buffer_load_dword v21, v13, s[0:3], 0 offen offset:4
	ds_read_b128 v[14:17], v12
	v_add_nc_u32_e32 v7, 1, v7
	v_add_nc_u32_e32 v12, 16, v12
	;; [unrolled: 1-line block ×3, first 2 shown]
	v_cmp_lt_u32_e32 vcc_lo, 15, v7
	s_or_b32 s5, vcc_lo, s5
	s_waitcnt vmcnt(2) lgkmcnt(0)
	v_mul_f64 v[22:23], v[16:17], v[18:19]
	v_mul_f64 v[18:19], v[14:15], v[18:19]
	s_waitcnt vmcnt(0)
	v_fma_f64 v[14:15], v[14:15], v[20:21], -v[22:23]
	v_fma_f64 v[16:17], v[16:17], v[20:21], v[18:19]
	v_add_f64 v[3:4], v[3:4], v[14:15]
	v_add_f64 v[1:2], v[1:2], v[16:17]
	s_andn2_b32 exec_lo, exec_lo, s5
	s_cbranch_execnz .LBB46_81
; %bb.82:
	s_or_b32 exec_lo, exec_lo, s5
	v_mov_b32_e32 v7, 0
	ds_read_b128 v[12:15], v7 offset:272
	s_waitcnt lgkmcnt(0)
	v_mul_f64 v[16:17], v[1:2], v[14:15]
	v_mul_f64 v[14:15], v[3:4], v[14:15]
	v_fma_f64 v[3:4], v[3:4], v[12:13], -v[16:17]
	v_fma_f64 v[1:2], v[1:2], v[12:13], v[14:15]
	buffer_store_dword v4, off, s[0:3], 0 offset:292
	buffer_store_dword v3, off, s[0:3], 0 offset:288
	;; [unrolled: 1-line block ×4, first 2 shown]
.LBB46_83:
	s_or_b32 exec_lo, exec_lo, s4
	v_mov_b32_e32 v4, s41
	s_waitcnt_vscnt null, 0x0
	s_barrier
	buffer_gl0_inv
	s_mov_b32 s4, exec_lo
	s_clause 0x3
	buffer_load_dword v1, v4, s[0:3], 0 offen
	buffer_load_dword v2, v4, s[0:3], 0 offen offset:4
	buffer_load_dword v3, v4, s[0:3], 0 offen offset:8
	;; [unrolled: 1-line block ×3, first 2 shown]
	s_waitcnt vmcnt(0)
	ds_write_b128 v5, v[1:4]
	s_waitcnt lgkmcnt(0)
	s_barrier
	buffer_gl0_inv
	v_cmpx_gt_u32_e32 18, v0
	s_cbranch_execz .LBB46_87
; %bb.84:
	v_mov_b32_e32 v1, 0
	v_mov_b32_e32 v3, 0
	v_add_nc_u32_e32 v7, -1, v0
	v_add_nc_u32_e32 v12, 0x2f0, v153
	v_mov_b32_e32 v2, 0
	v_mov_b32_e32 v4, 0
	v_add_nc_u32_e32 v13, 16, v153
	s_mov_b32 s5, 0
	.p2align	6
.LBB46_85:                              ; =>This Inner Loop Header: Depth=1
	s_clause 0x3
	buffer_load_dword v18, v13, s[0:3], 0 offen offset:8
	buffer_load_dword v19, v13, s[0:3], 0 offen offset:12
	buffer_load_dword v20, v13, s[0:3], 0 offen
	buffer_load_dword v21, v13, s[0:3], 0 offen offset:4
	ds_read_b128 v[14:17], v12
	v_add_nc_u32_e32 v7, 1, v7
	v_add_nc_u32_e32 v12, 16, v12
	;; [unrolled: 1-line block ×3, first 2 shown]
	v_cmp_lt_u32_e32 vcc_lo, 16, v7
	s_or_b32 s5, vcc_lo, s5
	s_waitcnt vmcnt(2) lgkmcnt(0)
	v_mul_f64 v[22:23], v[16:17], v[18:19]
	v_mul_f64 v[18:19], v[14:15], v[18:19]
	s_waitcnt vmcnt(0)
	v_fma_f64 v[14:15], v[14:15], v[20:21], -v[22:23]
	v_fma_f64 v[16:17], v[16:17], v[20:21], v[18:19]
	v_add_f64 v[3:4], v[3:4], v[14:15]
	v_add_f64 v[1:2], v[1:2], v[16:17]
	s_andn2_b32 exec_lo, exec_lo, s5
	s_cbranch_execnz .LBB46_85
; %bb.86:
	s_or_b32 exec_lo, exec_lo, s5
	v_mov_b32_e32 v7, 0
	ds_read_b128 v[12:15], v7 offset:288
	s_waitcnt lgkmcnt(0)
	v_mul_f64 v[16:17], v[1:2], v[14:15]
	v_mul_f64 v[14:15], v[3:4], v[14:15]
	v_fma_f64 v[3:4], v[3:4], v[12:13], -v[16:17]
	v_fma_f64 v[1:2], v[1:2], v[12:13], v[14:15]
	buffer_store_dword v4, off, s[0:3], 0 offset:308
	buffer_store_dword v3, off, s[0:3], 0 offset:304
	buffer_store_dword v2, off, s[0:3], 0 offset:316
	buffer_store_dword v1, off, s[0:3], 0 offset:312
.LBB46_87:
	s_or_b32 exec_lo, exec_lo, s4
	v_mov_b32_e32 v4, s40
	s_waitcnt_vscnt null, 0x0
	s_barrier
	buffer_gl0_inv
	s_mov_b32 s4, exec_lo
	s_clause 0x3
	buffer_load_dword v1, v4, s[0:3], 0 offen
	buffer_load_dword v2, v4, s[0:3], 0 offen offset:4
	buffer_load_dword v3, v4, s[0:3], 0 offen offset:8
	;; [unrolled: 1-line block ×3, first 2 shown]
	s_waitcnt vmcnt(0)
	ds_write_b128 v5, v[1:4]
	s_waitcnt lgkmcnt(0)
	s_barrier
	buffer_gl0_inv
	v_cmpx_gt_u32_e32 19, v0
	s_cbranch_execz .LBB46_91
; %bb.88:
	v_mov_b32_e32 v1, 0
	v_mov_b32_e32 v3, 0
	v_add_nc_u32_e32 v7, -1, v0
	v_add_nc_u32_e32 v12, 0x2f0, v153
	v_mov_b32_e32 v2, 0
	v_mov_b32_e32 v4, 0
	v_add_nc_u32_e32 v13, 16, v153
	s_mov_b32 s5, 0
	.p2align	6
.LBB46_89:                              ; =>This Inner Loop Header: Depth=1
	s_clause 0x3
	buffer_load_dword v18, v13, s[0:3], 0 offen offset:8
	buffer_load_dword v19, v13, s[0:3], 0 offen offset:12
	buffer_load_dword v20, v13, s[0:3], 0 offen
	buffer_load_dword v21, v13, s[0:3], 0 offen offset:4
	ds_read_b128 v[14:17], v12
	v_add_nc_u32_e32 v7, 1, v7
	v_add_nc_u32_e32 v12, 16, v12
	;; [unrolled: 1-line block ×3, first 2 shown]
	v_cmp_lt_u32_e32 vcc_lo, 17, v7
	s_or_b32 s5, vcc_lo, s5
	s_waitcnt vmcnt(2) lgkmcnt(0)
	v_mul_f64 v[22:23], v[16:17], v[18:19]
	v_mul_f64 v[18:19], v[14:15], v[18:19]
	s_waitcnt vmcnt(0)
	v_fma_f64 v[14:15], v[14:15], v[20:21], -v[22:23]
	v_fma_f64 v[16:17], v[16:17], v[20:21], v[18:19]
	v_add_f64 v[3:4], v[3:4], v[14:15]
	v_add_f64 v[1:2], v[1:2], v[16:17]
	s_andn2_b32 exec_lo, exec_lo, s5
	s_cbranch_execnz .LBB46_89
; %bb.90:
	s_or_b32 exec_lo, exec_lo, s5
	v_mov_b32_e32 v7, 0
	ds_read_b128 v[12:15], v7 offset:304
	s_waitcnt lgkmcnt(0)
	v_mul_f64 v[16:17], v[1:2], v[14:15]
	v_mul_f64 v[14:15], v[3:4], v[14:15]
	v_fma_f64 v[3:4], v[3:4], v[12:13], -v[16:17]
	v_fma_f64 v[1:2], v[1:2], v[12:13], v[14:15]
	buffer_store_dword v4, off, s[0:3], 0 offset:324
	buffer_store_dword v3, off, s[0:3], 0 offset:320
	;; [unrolled: 1-line block ×4, first 2 shown]
.LBB46_91:
	s_or_b32 exec_lo, exec_lo, s4
	v_mov_b32_e32 v4, s39
	s_waitcnt_vscnt null, 0x0
	s_barrier
	buffer_gl0_inv
	s_mov_b32 s4, exec_lo
	s_clause 0x3
	buffer_load_dword v1, v4, s[0:3], 0 offen
	buffer_load_dword v2, v4, s[0:3], 0 offen offset:4
	buffer_load_dword v3, v4, s[0:3], 0 offen offset:8
	;; [unrolled: 1-line block ×3, first 2 shown]
	s_waitcnt vmcnt(0)
	ds_write_b128 v5, v[1:4]
	s_waitcnt lgkmcnt(0)
	s_barrier
	buffer_gl0_inv
	v_cmpx_gt_u32_e32 20, v0
	s_cbranch_execz .LBB46_95
; %bb.92:
	v_mov_b32_e32 v1, 0
	v_mov_b32_e32 v3, 0
	v_add_nc_u32_e32 v7, -1, v0
	v_add_nc_u32_e32 v12, 0x2f0, v153
	v_mov_b32_e32 v2, 0
	v_mov_b32_e32 v4, 0
	v_add_nc_u32_e32 v13, 16, v153
	s_mov_b32 s5, 0
	.p2align	6
.LBB46_93:                              ; =>This Inner Loop Header: Depth=1
	s_clause 0x3
	buffer_load_dword v18, v13, s[0:3], 0 offen offset:8
	buffer_load_dword v19, v13, s[0:3], 0 offen offset:12
	buffer_load_dword v20, v13, s[0:3], 0 offen
	buffer_load_dword v21, v13, s[0:3], 0 offen offset:4
	ds_read_b128 v[14:17], v12
	v_add_nc_u32_e32 v7, 1, v7
	v_add_nc_u32_e32 v12, 16, v12
	;; [unrolled: 1-line block ×3, first 2 shown]
	v_cmp_lt_u32_e32 vcc_lo, 18, v7
	s_or_b32 s5, vcc_lo, s5
	s_waitcnt vmcnt(2) lgkmcnt(0)
	v_mul_f64 v[22:23], v[16:17], v[18:19]
	v_mul_f64 v[18:19], v[14:15], v[18:19]
	s_waitcnt vmcnt(0)
	v_fma_f64 v[14:15], v[14:15], v[20:21], -v[22:23]
	v_fma_f64 v[16:17], v[16:17], v[20:21], v[18:19]
	v_add_f64 v[3:4], v[3:4], v[14:15]
	v_add_f64 v[1:2], v[1:2], v[16:17]
	s_andn2_b32 exec_lo, exec_lo, s5
	s_cbranch_execnz .LBB46_93
; %bb.94:
	s_or_b32 exec_lo, exec_lo, s5
	v_mov_b32_e32 v7, 0
	ds_read_b128 v[12:15], v7 offset:320
	s_waitcnt lgkmcnt(0)
	v_mul_f64 v[16:17], v[1:2], v[14:15]
	v_mul_f64 v[14:15], v[3:4], v[14:15]
	v_fma_f64 v[3:4], v[3:4], v[12:13], -v[16:17]
	v_fma_f64 v[1:2], v[1:2], v[12:13], v[14:15]
	buffer_store_dword v4, off, s[0:3], 0 offset:340
	buffer_store_dword v3, off, s[0:3], 0 offset:336
	;; [unrolled: 1-line block ×4, first 2 shown]
.LBB46_95:
	s_or_b32 exec_lo, exec_lo, s4
	v_mov_b32_e32 v4, s38
	s_waitcnt_vscnt null, 0x0
	s_barrier
	buffer_gl0_inv
	s_mov_b32 s4, exec_lo
	s_clause 0x3
	buffer_load_dword v1, v4, s[0:3], 0 offen
	buffer_load_dword v2, v4, s[0:3], 0 offen offset:4
	buffer_load_dword v3, v4, s[0:3], 0 offen offset:8
	;; [unrolled: 1-line block ×3, first 2 shown]
	s_waitcnt vmcnt(0)
	ds_write_b128 v5, v[1:4]
	s_waitcnt lgkmcnt(0)
	s_barrier
	buffer_gl0_inv
	v_cmpx_gt_u32_e32 21, v0
	s_cbranch_execz .LBB46_99
; %bb.96:
	v_mov_b32_e32 v1, 0
	v_mov_b32_e32 v3, 0
	v_add_nc_u32_e32 v7, -1, v0
	v_add_nc_u32_e32 v12, 0x2f0, v153
	v_mov_b32_e32 v2, 0
	v_mov_b32_e32 v4, 0
	v_add_nc_u32_e32 v13, 16, v153
	s_mov_b32 s5, 0
	.p2align	6
.LBB46_97:                              ; =>This Inner Loop Header: Depth=1
	s_clause 0x3
	buffer_load_dword v18, v13, s[0:3], 0 offen offset:8
	buffer_load_dword v19, v13, s[0:3], 0 offen offset:12
	buffer_load_dword v20, v13, s[0:3], 0 offen
	buffer_load_dword v21, v13, s[0:3], 0 offen offset:4
	ds_read_b128 v[14:17], v12
	v_add_nc_u32_e32 v7, 1, v7
	v_add_nc_u32_e32 v12, 16, v12
	v_add_nc_u32_e32 v13, 16, v13
	v_cmp_lt_u32_e32 vcc_lo, 19, v7
	s_or_b32 s5, vcc_lo, s5
	s_waitcnt vmcnt(2) lgkmcnt(0)
	v_mul_f64 v[22:23], v[16:17], v[18:19]
	v_mul_f64 v[18:19], v[14:15], v[18:19]
	s_waitcnt vmcnt(0)
	v_fma_f64 v[14:15], v[14:15], v[20:21], -v[22:23]
	v_fma_f64 v[16:17], v[16:17], v[20:21], v[18:19]
	v_add_f64 v[3:4], v[3:4], v[14:15]
	v_add_f64 v[1:2], v[1:2], v[16:17]
	s_andn2_b32 exec_lo, exec_lo, s5
	s_cbranch_execnz .LBB46_97
; %bb.98:
	s_or_b32 exec_lo, exec_lo, s5
	v_mov_b32_e32 v7, 0
	ds_read_b128 v[12:15], v7 offset:336
	s_waitcnt lgkmcnt(0)
	v_mul_f64 v[16:17], v[1:2], v[14:15]
	v_mul_f64 v[14:15], v[3:4], v[14:15]
	v_fma_f64 v[3:4], v[3:4], v[12:13], -v[16:17]
	v_fma_f64 v[1:2], v[1:2], v[12:13], v[14:15]
	buffer_store_dword v4, off, s[0:3], 0 offset:356
	buffer_store_dword v3, off, s[0:3], 0 offset:352
	;; [unrolled: 1-line block ×4, first 2 shown]
.LBB46_99:
	s_or_b32 exec_lo, exec_lo, s4
	v_mov_b32_e32 v4, s37
	s_waitcnt_vscnt null, 0x0
	s_barrier
	buffer_gl0_inv
	s_mov_b32 s4, exec_lo
	s_clause 0x3
	buffer_load_dword v1, v4, s[0:3], 0 offen
	buffer_load_dword v2, v4, s[0:3], 0 offen offset:4
	buffer_load_dword v3, v4, s[0:3], 0 offen offset:8
	;; [unrolled: 1-line block ×3, first 2 shown]
	s_waitcnt vmcnt(0)
	ds_write_b128 v5, v[1:4]
	s_waitcnt lgkmcnt(0)
	s_barrier
	buffer_gl0_inv
	v_cmpx_gt_u32_e32 22, v0
	s_cbranch_execz .LBB46_103
; %bb.100:
	v_mov_b32_e32 v1, 0
	v_mov_b32_e32 v3, 0
	v_add_nc_u32_e32 v7, -1, v0
	v_add_nc_u32_e32 v12, 0x2f0, v153
	v_mov_b32_e32 v2, 0
	v_mov_b32_e32 v4, 0
	v_add_nc_u32_e32 v13, 16, v153
	s_mov_b32 s5, 0
	.p2align	6
.LBB46_101:                             ; =>This Inner Loop Header: Depth=1
	s_clause 0x3
	buffer_load_dword v18, v13, s[0:3], 0 offen offset:8
	buffer_load_dword v19, v13, s[0:3], 0 offen offset:12
	buffer_load_dword v20, v13, s[0:3], 0 offen
	buffer_load_dword v21, v13, s[0:3], 0 offen offset:4
	ds_read_b128 v[14:17], v12
	v_add_nc_u32_e32 v7, 1, v7
	v_add_nc_u32_e32 v12, 16, v12
	;; [unrolled: 1-line block ×3, first 2 shown]
	v_cmp_lt_u32_e32 vcc_lo, 20, v7
	s_or_b32 s5, vcc_lo, s5
	s_waitcnt vmcnt(2) lgkmcnt(0)
	v_mul_f64 v[22:23], v[16:17], v[18:19]
	v_mul_f64 v[18:19], v[14:15], v[18:19]
	s_waitcnt vmcnt(0)
	v_fma_f64 v[14:15], v[14:15], v[20:21], -v[22:23]
	v_fma_f64 v[16:17], v[16:17], v[20:21], v[18:19]
	v_add_f64 v[3:4], v[3:4], v[14:15]
	v_add_f64 v[1:2], v[1:2], v[16:17]
	s_andn2_b32 exec_lo, exec_lo, s5
	s_cbranch_execnz .LBB46_101
; %bb.102:
	s_or_b32 exec_lo, exec_lo, s5
	v_mov_b32_e32 v7, 0
	ds_read_b128 v[12:15], v7 offset:352
	s_waitcnt lgkmcnt(0)
	v_mul_f64 v[16:17], v[1:2], v[14:15]
	v_mul_f64 v[14:15], v[3:4], v[14:15]
	v_fma_f64 v[3:4], v[3:4], v[12:13], -v[16:17]
	v_fma_f64 v[1:2], v[1:2], v[12:13], v[14:15]
	buffer_store_dword v4, off, s[0:3], 0 offset:372
	buffer_store_dword v3, off, s[0:3], 0 offset:368
	;; [unrolled: 1-line block ×4, first 2 shown]
.LBB46_103:
	s_or_b32 exec_lo, exec_lo, s4
	v_mov_b32_e32 v4, s36
	s_waitcnt_vscnt null, 0x0
	s_barrier
	buffer_gl0_inv
	s_mov_b32 s4, exec_lo
	s_clause 0x3
	buffer_load_dword v1, v4, s[0:3], 0 offen
	buffer_load_dword v2, v4, s[0:3], 0 offen offset:4
	buffer_load_dword v3, v4, s[0:3], 0 offen offset:8
	;; [unrolled: 1-line block ×3, first 2 shown]
	s_waitcnt vmcnt(0)
	ds_write_b128 v5, v[1:4]
	s_waitcnt lgkmcnt(0)
	s_barrier
	buffer_gl0_inv
	v_cmpx_gt_u32_e32 23, v0
	s_cbranch_execz .LBB46_107
; %bb.104:
	v_mov_b32_e32 v1, 0
	v_mov_b32_e32 v3, 0
	v_add_nc_u32_e32 v7, -1, v0
	v_add_nc_u32_e32 v12, 0x2f0, v153
	v_mov_b32_e32 v2, 0
	v_mov_b32_e32 v4, 0
	v_add_nc_u32_e32 v13, 16, v153
	s_mov_b32 s5, 0
	.p2align	6
.LBB46_105:                             ; =>This Inner Loop Header: Depth=1
	s_clause 0x3
	buffer_load_dword v18, v13, s[0:3], 0 offen offset:8
	buffer_load_dword v19, v13, s[0:3], 0 offen offset:12
	buffer_load_dword v20, v13, s[0:3], 0 offen
	buffer_load_dword v21, v13, s[0:3], 0 offen offset:4
	ds_read_b128 v[14:17], v12
	v_add_nc_u32_e32 v7, 1, v7
	v_add_nc_u32_e32 v12, 16, v12
	;; [unrolled: 1-line block ×3, first 2 shown]
	v_cmp_lt_u32_e32 vcc_lo, 21, v7
	s_or_b32 s5, vcc_lo, s5
	s_waitcnt vmcnt(2) lgkmcnt(0)
	v_mul_f64 v[22:23], v[16:17], v[18:19]
	v_mul_f64 v[18:19], v[14:15], v[18:19]
	s_waitcnt vmcnt(0)
	v_fma_f64 v[14:15], v[14:15], v[20:21], -v[22:23]
	v_fma_f64 v[16:17], v[16:17], v[20:21], v[18:19]
	v_add_f64 v[3:4], v[3:4], v[14:15]
	v_add_f64 v[1:2], v[1:2], v[16:17]
	s_andn2_b32 exec_lo, exec_lo, s5
	s_cbranch_execnz .LBB46_105
; %bb.106:
	s_or_b32 exec_lo, exec_lo, s5
	v_mov_b32_e32 v7, 0
	ds_read_b128 v[12:15], v7 offset:368
	s_waitcnt lgkmcnt(0)
	v_mul_f64 v[16:17], v[1:2], v[14:15]
	v_mul_f64 v[14:15], v[3:4], v[14:15]
	v_fma_f64 v[3:4], v[3:4], v[12:13], -v[16:17]
	v_fma_f64 v[1:2], v[1:2], v[12:13], v[14:15]
	buffer_store_dword v4, off, s[0:3], 0 offset:388
	buffer_store_dword v3, off, s[0:3], 0 offset:384
	;; [unrolled: 1-line block ×4, first 2 shown]
.LBB46_107:
	s_or_b32 exec_lo, exec_lo, s4
	v_mov_b32_e32 v4, s35
	s_waitcnt_vscnt null, 0x0
	s_barrier
	buffer_gl0_inv
	s_mov_b32 s4, exec_lo
	s_clause 0x3
	buffer_load_dword v1, v4, s[0:3], 0 offen
	buffer_load_dword v2, v4, s[0:3], 0 offen offset:4
	buffer_load_dword v3, v4, s[0:3], 0 offen offset:8
	buffer_load_dword v4, v4, s[0:3], 0 offen offset:12
	s_waitcnt vmcnt(0)
	ds_write_b128 v5, v[1:4]
	s_waitcnt lgkmcnt(0)
	s_barrier
	buffer_gl0_inv
	v_cmpx_gt_u32_e32 24, v0
	s_cbranch_execz .LBB46_111
; %bb.108:
	v_mov_b32_e32 v1, 0
	v_mov_b32_e32 v3, 0
	v_add_nc_u32_e32 v7, -1, v0
	v_add_nc_u32_e32 v12, 0x2f0, v153
	v_mov_b32_e32 v2, 0
	v_mov_b32_e32 v4, 0
	v_add_nc_u32_e32 v13, 16, v153
	s_mov_b32 s5, 0
	.p2align	6
.LBB46_109:                             ; =>This Inner Loop Header: Depth=1
	s_clause 0x3
	buffer_load_dword v18, v13, s[0:3], 0 offen offset:8
	buffer_load_dword v19, v13, s[0:3], 0 offen offset:12
	buffer_load_dword v20, v13, s[0:3], 0 offen
	buffer_load_dword v21, v13, s[0:3], 0 offen offset:4
	ds_read_b128 v[14:17], v12
	v_add_nc_u32_e32 v7, 1, v7
	v_add_nc_u32_e32 v12, 16, v12
	v_add_nc_u32_e32 v13, 16, v13
	v_cmp_lt_u32_e32 vcc_lo, 22, v7
	s_or_b32 s5, vcc_lo, s5
	s_waitcnt vmcnt(2) lgkmcnt(0)
	v_mul_f64 v[22:23], v[16:17], v[18:19]
	v_mul_f64 v[18:19], v[14:15], v[18:19]
	s_waitcnt vmcnt(0)
	v_fma_f64 v[14:15], v[14:15], v[20:21], -v[22:23]
	v_fma_f64 v[16:17], v[16:17], v[20:21], v[18:19]
	v_add_f64 v[3:4], v[3:4], v[14:15]
	v_add_f64 v[1:2], v[1:2], v[16:17]
	s_andn2_b32 exec_lo, exec_lo, s5
	s_cbranch_execnz .LBB46_109
; %bb.110:
	s_or_b32 exec_lo, exec_lo, s5
	v_mov_b32_e32 v7, 0
	ds_read_b128 v[12:15], v7 offset:384
	s_waitcnt lgkmcnt(0)
	v_mul_f64 v[16:17], v[1:2], v[14:15]
	v_mul_f64 v[14:15], v[3:4], v[14:15]
	v_fma_f64 v[3:4], v[3:4], v[12:13], -v[16:17]
	v_fma_f64 v[1:2], v[1:2], v[12:13], v[14:15]
	buffer_store_dword v4, off, s[0:3], 0 offset:404
	buffer_store_dword v3, off, s[0:3], 0 offset:400
	;; [unrolled: 1-line block ×4, first 2 shown]
.LBB46_111:
	s_or_b32 exec_lo, exec_lo, s4
	v_mov_b32_e32 v4, s34
	s_waitcnt_vscnt null, 0x0
	s_barrier
	buffer_gl0_inv
	s_mov_b32 s4, exec_lo
	s_clause 0x3
	buffer_load_dword v1, v4, s[0:3], 0 offen
	buffer_load_dword v2, v4, s[0:3], 0 offen offset:4
	buffer_load_dword v3, v4, s[0:3], 0 offen offset:8
	;; [unrolled: 1-line block ×3, first 2 shown]
	s_waitcnt vmcnt(0)
	ds_write_b128 v5, v[1:4]
	s_waitcnt lgkmcnt(0)
	s_barrier
	buffer_gl0_inv
	v_cmpx_gt_u32_e32 25, v0
	s_cbranch_execz .LBB46_115
; %bb.112:
	v_mov_b32_e32 v1, 0
	v_mov_b32_e32 v3, 0
	v_add_nc_u32_e32 v7, -1, v0
	v_add_nc_u32_e32 v12, 0x2f0, v153
	v_mov_b32_e32 v2, 0
	v_mov_b32_e32 v4, 0
	v_add_nc_u32_e32 v13, 16, v153
	s_mov_b32 s5, 0
	.p2align	6
.LBB46_113:                             ; =>This Inner Loop Header: Depth=1
	s_clause 0x3
	buffer_load_dword v18, v13, s[0:3], 0 offen offset:8
	buffer_load_dword v19, v13, s[0:3], 0 offen offset:12
	buffer_load_dword v20, v13, s[0:3], 0 offen
	buffer_load_dword v21, v13, s[0:3], 0 offen offset:4
	ds_read_b128 v[14:17], v12
	v_add_nc_u32_e32 v7, 1, v7
	v_add_nc_u32_e32 v12, 16, v12
	;; [unrolled: 1-line block ×3, first 2 shown]
	v_cmp_lt_u32_e32 vcc_lo, 23, v7
	s_or_b32 s5, vcc_lo, s5
	s_waitcnt vmcnt(2) lgkmcnt(0)
	v_mul_f64 v[22:23], v[16:17], v[18:19]
	v_mul_f64 v[18:19], v[14:15], v[18:19]
	s_waitcnt vmcnt(0)
	v_fma_f64 v[14:15], v[14:15], v[20:21], -v[22:23]
	v_fma_f64 v[16:17], v[16:17], v[20:21], v[18:19]
	v_add_f64 v[3:4], v[3:4], v[14:15]
	v_add_f64 v[1:2], v[1:2], v[16:17]
	s_andn2_b32 exec_lo, exec_lo, s5
	s_cbranch_execnz .LBB46_113
; %bb.114:
	s_or_b32 exec_lo, exec_lo, s5
	v_mov_b32_e32 v7, 0
	ds_read_b128 v[12:15], v7 offset:400
	s_waitcnt lgkmcnt(0)
	v_mul_f64 v[16:17], v[1:2], v[14:15]
	v_mul_f64 v[14:15], v[3:4], v[14:15]
	v_fma_f64 v[3:4], v[3:4], v[12:13], -v[16:17]
	v_fma_f64 v[1:2], v[1:2], v[12:13], v[14:15]
	buffer_store_dword v4, off, s[0:3], 0 offset:420
	buffer_store_dword v3, off, s[0:3], 0 offset:416
	;; [unrolled: 1-line block ×4, first 2 shown]
.LBB46_115:
	s_or_b32 exec_lo, exec_lo, s4
	v_mov_b32_e32 v4, s33
	s_waitcnt_vscnt null, 0x0
	s_barrier
	buffer_gl0_inv
	s_mov_b32 s4, exec_lo
	s_clause 0x3
	buffer_load_dword v1, v4, s[0:3], 0 offen
	buffer_load_dword v2, v4, s[0:3], 0 offen offset:4
	buffer_load_dword v3, v4, s[0:3], 0 offen offset:8
	;; [unrolled: 1-line block ×3, first 2 shown]
	s_waitcnt vmcnt(0)
	ds_write_b128 v5, v[1:4]
	s_waitcnt lgkmcnt(0)
	s_barrier
	buffer_gl0_inv
	v_cmpx_gt_u32_e32 26, v0
	s_cbranch_execz .LBB46_119
; %bb.116:
	v_mov_b32_e32 v1, 0
	v_mov_b32_e32 v3, 0
	v_add_nc_u32_e32 v7, -1, v0
	v_add_nc_u32_e32 v12, 0x2f0, v153
	v_mov_b32_e32 v2, 0
	v_mov_b32_e32 v4, 0
	v_add_nc_u32_e32 v13, 16, v153
	s_mov_b32 s5, 0
	.p2align	6
.LBB46_117:                             ; =>This Inner Loop Header: Depth=1
	s_clause 0x3
	buffer_load_dword v18, v13, s[0:3], 0 offen offset:8
	buffer_load_dword v19, v13, s[0:3], 0 offen offset:12
	buffer_load_dword v20, v13, s[0:3], 0 offen
	buffer_load_dword v21, v13, s[0:3], 0 offen offset:4
	ds_read_b128 v[14:17], v12
	v_add_nc_u32_e32 v7, 1, v7
	v_add_nc_u32_e32 v12, 16, v12
	;; [unrolled: 1-line block ×3, first 2 shown]
	v_cmp_lt_u32_e32 vcc_lo, 24, v7
	s_or_b32 s5, vcc_lo, s5
	s_waitcnt vmcnt(2) lgkmcnt(0)
	v_mul_f64 v[22:23], v[16:17], v[18:19]
	v_mul_f64 v[18:19], v[14:15], v[18:19]
	s_waitcnt vmcnt(0)
	v_fma_f64 v[14:15], v[14:15], v[20:21], -v[22:23]
	v_fma_f64 v[16:17], v[16:17], v[20:21], v[18:19]
	v_add_f64 v[3:4], v[3:4], v[14:15]
	v_add_f64 v[1:2], v[1:2], v[16:17]
	s_andn2_b32 exec_lo, exec_lo, s5
	s_cbranch_execnz .LBB46_117
; %bb.118:
	s_or_b32 exec_lo, exec_lo, s5
	v_mov_b32_e32 v7, 0
	ds_read_b128 v[12:15], v7 offset:416
	s_waitcnt lgkmcnt(0)
	v_mul_f64 v[16:17], v[1:2], v[14:15]
	v_mul_f64 v[14:15], v[3:4], v[14:15]
	v_fma_f64 v[3:4], v[3:4], v[12:13], -v[16:17]
	v_fma_f64 v[1:2], v[1:2], v[12:13], v[14:15]
	buffer_store_dword v4, off, s[0:3], 0 offset:436
	buffer_store_dword v3, off, s[0:3], 0 offset:432
	;; [unrolled: 1-line block ×4, first 2 shown]
.LBB46_119:
	s_or_b32 exec_lo, exec_lo, s4
	v_mov_b32_e32 v4, s31
	s_waitcnt_vscnt null, 0x0
	s_barrier
	buffer_gl0_inv
	s_mov_b32 s4, exec_lo
	s_clause 0x3
	buffer_load_dword v1, v4, s[0:3], 0 offen
	buffer_load_dword v2, v4, s[0:3], 0 offen offset:4
	buffer_load_dword v3, v4, s[0:3], 0 offen offset:8
	;; [unrolled: 1-line block ×3, first 2 shown]
	s_waitcnt vmcnt(0)
	ds_write_b128 v5, v[1:4]
	s_waitcnt lgkmcnt(0)
	s_barrier
	buffer_gl0_inv
	v_cmpx_gt_u32_e32 27, v0
	s_cbranch_execz .LBB46_123
; %bb.120:
	v_mov_b32_e32 v1, 0
	v_mov_b32_e32 v3, 0
	v_add_nc_u32_e32 v7, -1, v0
	v_add_nc_u32_e32 v12, 0x2f0, v153
	v_mov_b32_e32 v2, 0
	v_mov_b32_e32 v4, 0
	v_add_nc_u32_e32 v13, 16, v153
	s_mov_b32 s5, 0
	.p2align	6
.LBB46_121:                             ; =>This Inner Loop Header: Depth=1
	s_clause 0x3
	buffer_load_dword v18, v13, s[0:3], 0 offen offset:8
	buffer_load_dword v19, v13, s[0:3], 0 offen offset:12
	buffer_load_dword v20, v13, s[0:3], 0 offen
	buffer_load_dword v21, v13, s[0:3], 0 offen offset:4
	ds_read_b128 v[14:17], v12
	v_add_nc_u32_e32 v7, 1, v7
	v_add_nc_u32_e32 v12, 16, v12
	v_add_nc_u32_e32 v13, 16, v13
	v_cmp_lt_u32_e32 vcc_lo, 25, v7
	s_or_b32 s5, vcc_lo, s5
	s_waitcnt vmcnt(2) lgkmcnt(0)
	v_mul_f64 v[22:23], v[16:17], v[18:19]
	v_mul_f64 v[18:19], v[14:15], v[18:19]
	s_waitcnt vmcnt(0)
	v_fma_f64 v[14:15], v[14:15], v[20:21], -v[22:23]
	v_fma_f64 v[16:17], v[16:17], v[20:21], v[18:19]
	v_add_f64 v[3:4], v[3:4], v[14:15]
	v_add_f64 v[1:2], v[1:2], v[16:17]
	s_andn2_b32 exec_lo, exec_lo, s5
	s_cbranch_execnz .LBB46_121
; %bb.122:
	s_or_b32 exec_lo, exec_lo, s5
	v_mov_b32_e32 v7, 0
	ds_read_b128 v[12:15], v7 offset:432
	s_waitcnt lgkmcnt(0)
	v_mul_f64 v[16:17], v[1:2], v[14:15]
	v_mul_f64 v[14:15], v[3:4], v[14:15]
	v_fma_f64 v[3:4], v[3:4], v[12:13], -v[16:17]
	v_fma_f64 v[1:2], v[1:2], v[12:13], v[14:15]
	buffer_store_dword v4, off, s[0:3], 0 offset:452
	buffer_store_dword v3, off, s[0:3], 0 offset:448
	;; [unrolled: 1-line block ×4, first 2 shown]
.LBB46_123:
	s_or_b32 exec_lo, exec_lo, s4
	v_mov_b32_e32 v4, s30
	s_waitcnt_vscnt null, 0x0
	s_barrier
	buffer_gl0_inv
	s_mov_b32 s4, exec_lo
	s_clause 0x3
	buffer_load_dword v1, v4, s[0:3], 0 offen
	buffer_load_dword v2, v4, s[0:3], 0 offen offset:4
	buffer_load_dword v3, v4, s[0:3], 0 offen offset:8
	;; [unrolled: 1-line block ×3, first 2 shown]
	s_waitcnt vmcnt(0)
	ds_write_b128 v5, v[1:4]
	s_waitcnt lgkmcnt(0)
	s_barrier
	buffer_gl0_inv
	v_cmpx_gt_u32_e32 28, v0
	s_cbranch_execz .LBB46_127
; %bb.124:
	v_mov_b32_e32 v1, 0
	v_mov_b32_e32 v3, 0
	v_add_nc_u32_e32 v7, -1, v0
	v_add_nc_u32_e32 v12, 0x2f0, v153
	v_mov_b32_e32 v2, 0
	v_mov_b32_e32 v4, 0
	v_add_nc_u32_e32 v13, 16, v153
	s_mov_b32 s5, 0
	.p2align	6
.LBB46_125:                             ; =>This Inner Loop Header: Depth=1
	s_clause 0x3
	buffer_load_dword v18, v13, s[0:3], 0 offen offset:8
	buffer_load_dword v19, v13, s[0:3], 0 offen offset:12
	buffer_load_dword v20, v13, s[0:3], 0 offen
	buffer_load_dword v21, v13, s[0:3], 0 offen offset:4
	ds_read_b128 v[14:17], v12
	v_add_nc_u32_e32 v7, 1, v7
	v_add_nc_u32_e32 v12, 16, v12
	;; [unrolled: 1-line block ×3, first 2 shown]
	v_cmp_lt_u32_e32 vcc_lo, 26, v7
	s_or_b32 s5, vcc_lo, s5
	s_waitcnt vmcnt(2) lgkmcnt(0)
	v_mul_f64 v[22:23], v[16:17], v[18:19]
	v_mul_f64 v[18:19], v[14:15], v[18:19]
	s_waitcnt vmcnt(0)
	v_fma_f64 v[14:15], v[14:15], v[20:21], -v[22:23]
	v_fma_f64 v[16:17], v[16:17], v[20:21], v[18:19]
	v_add_f64 v[3:4], v[3:4], v[14:15]
	v_add_f64 v[1:2], v[1:2], v[16:17]
	s_andn2_b32 exec_lo, exec_lo, s5
	s_cbranch_execnz .LBB46_125
; %bb.126:
	s_or_b32 exec_lo, exec_lo, s5
	v_mov_b32_e32 v7, 0
	ds_read_b128 v[12:15], v7 offset:448
	s_waitcnt lgkmcnt(0)
	v_mul_f64 v[16:17], v[1:2], v[14:15]
	v_mul_f64 v[14:15], v[3:4], v[14:15]
	v_fma_f64 v[3:4], v[3:4], v[12:13], -v[16:17]
	v_fma_f64 v[1:2], v[1:2], v[12:13], v[14:15]
	buffer_store_dword v4, off, s[0:3], 0 offset:468
	buffer_store_dword v3, off, s[0:3], 0 offset:464
	buffer_store_dword v2, off, s[0:3], 0 offset:476
	buffer_store_dword v1, off, s[0:3], 0 offset:472
.LBB46_127:
	s_or_b32 exec_lo, exec_lo, s4
	v_mov_b32_e32 v4, s29
	s_waitcnt_vscnt null, 0x0
	s_barrier
	buffer_gl0_inv
	s_mov_b32 s4, exec_lo
	s_clause 0x3
	buffer_load_dword v1, v4, s[0:3], 0 offen
	buffer_load_dword v2, v4, s[0:3], 0 offen offset:4
	buffer_load_dword v3, v4, s[0:3], 0 offen offset:8
	;; [unrolled: 1-line block ×3, first 2 shown]
	s_waitcnt vmcnt(0)
	ds_write_b128 v5, v[1:4]
	s_waitcnt lgkmcnt(0)
	s_barrier
	buffer_gl0_inv
	v_cmpx_gt_u32_e32 29, v0
	s_cbranch_execz .LBB46_131
; %bb.128:
	v_mov_b32_e32 v1, 0
	v_mov_b32_e32 v3, 0
	v_add_nc_u32_e32 v7, -1, v0
	v_add_nc_u32_e32 v12, 0x2f0, v153
	v_mov_b32_e32 v2, 0
	v_mov_b32_e32 v4, 0
	v_add_nc_u32_e32 v13, 16, v153
	s_mov_b32 s5, 0
	.p2align	6
.LBB46_129:                             ; =>This Inner Loop Header: Depth=1
	s_clause 0x3
	buffer_load_dword v18, v13, s[0:3], 0 offen offset:8
	buffer_load_dword v19, v13, s[0:3], 0 offen offset:12
	buffer_load_dword v20, v13, s[0:3], 0 offen
	buffer_load_dword v21, v13, s[0:3], 0 offen offset:4
	ds_read_b128 v[14:17], v12
	v_add_nc_u32_e32 v7, 1, v7
	v_add_nc_u32_e32 v12, 16, v12
	;; [unrolled: 1-line block ×3, first 2 shown]
	v_cmp_lt_u32_e32 vcc_lo, 27, v7
	s_or_b32 s5, vcc_lo, s5
	s_waitcnt vmcnt(2) lgkmcnt(0)
	v_mul_f64 v[22:23], v[16:17], v[18:19]
	v_mul_f64 v[18:19], v[14:15], v[18:19]
	s_waitcnt vmcnt(0)
	v_fma_f64 v[14:15], v[14:15], v[20:21], -v[22:23]
	v_fma_f64 v[16:17], v[16:17], v[20:21], v[18:19]
	v_add_f64 v[3:4], v[3:4], v[14:15]
	v_add_f64 v[1:2], v[1:2], v[16:17]
	s_andn2_b32 exec_lo, exec_lo, s5
	s_cbranch_execnz .LBB46_129
; %bb.130:
	s_or_b32 exec_lo, exec_lo, s5
	v_mov_b32_e32 v7, 0
	ds_read_b128 v[12:15], v7 offset:464
	s_waitcnt lgkmcnt(0)
	v_mul_f64 v[16:17], v[1:2], v[14:15]
	v_mul_f64 v[14:15], v[3:4], v[14:15]
	v_fma_f64 v[3:4], v[3:4], v[12:13], -v[16:17]
	v_fma_f64 v[1:2], v[1:2], v[12:13], v[14:15]
	buffer_store_dword v4, off, s[0:3], 0 offset:484
	buffer_store_dword v3, off, s[0:3], 0 offset:480
	;; [unrolled: 1-line block ×4, first 2 shown]
.LBB46_131:
	s_or_b32 exec_lo, exec_lo, s4
	v_mov_b32_e32 v4, s28
	s_waitcnt_vscnt null, 0x0
	s_barrier
	buffer_gl0_inv
	s_mov_b32 s4, exec_lo
	s_clause 0x3
	buffer_load_dword v1, v4, s[0:3], 0 offen
	buffer_load_dword v2, v4, s[0:3], 0 offen offset:4
	buffer_load_dword v3, v4, s[0:3], 0 offen offset:8
	;; [unrolled: 1-line block ×3, first 2 shown]
	s_waitcnt vmcnt(0)
	ds_write_b128 v5, v[1:4]
	s_waitcnt lgkmcnt(0)
	s_barrier
	buffer_gl0_inv
	v_cmpx_gt_u32_e32 30, v0
	s_cbranch_execz .LBB46_135
; %bb.132:
	v_mov_b32_e32 v1, 0
	v_mov_b32_e32 v3, 0
	v_add_nc_u32_e32 v7, -1, v0
	v_add_nc_u32_e32 v12, 0x2f0, v153
	v_mov_b32_e32 v2, 0
	v_mov_b32_e32 v4, 0
	v_add_nc_u32_e32 v13, 16, v153
	s_mov_b32 s5, 0
	.p2align	6
.LBB46_133:                             ; =>This Inner Loop Header: Depth=1
	s_clause 0x3
	buffer_load_dword v18, v13, s[0:3], 0 offen offset:8
	buffer_load_dword v19, v13, s[0:3], 0 offen offset:12
	buffer_load_dword v20, v13, s[0:3], 0 offen
	buffer_load_dword v21, v13, s[0:3], 0 offen offset:4
	ds_read_b128 v[14:17], v12
	v_add_nc_u32_e32 v7, 1, v7
	v_add_nc_u32_e32 v12, 16, v12
	;; [unrolled: 1-line block ×3, first 2 shown]
	v_cmp_lt_u32_e32 vcc_lo, 28, v7
	s_or_b32 s5, vcc_lo, s5
	s_waitcnt vmcnt(2) lgkmcnt(0)
	v_mul_f64 v[22:23], v[16:17], v[18:19]
	v_mul_f64 v[18:19], v[14:15], v[18:19]
	s_waitcnt vmcnt(0)
	v_fma_f64 v[14:15], v[14:15], v[20:21], -v[22:23]
	v_fma_f64 v[16:17], v[16:17], v[20:21], v[18:19]
	v_add_f64 v[3:4], v[3:4], v[14:15]
	v_add_f64 v[1:2], v[1:2], v[16:17]
	s_andn2_b32 exec_lo, exec_lo, s5
	s_cbranch_execnz .LBB46_133
; %bb.134:
	s_or_b32 exec_lo, exec_lo, s5
	v_mov_b32_e32 v7, 0
	ds_read_b128 v[12:15], v7 offset:480
	s_waitcnt lgkmcnt(0)
	v_mul_f64 v[16:17], v[1:2], v[14:15]
	v_mul_f64 v[14:15], v[3:4], v[14:15]
	v_fma_f64 v[3:4], v[3:4], v[12:13], -v[16:17]
	v_fma_f64 v[1:2], v[1:2], v[12:13], v[14:15]
	buffer_store_dword v4, off, s[0:3], 0 offset:500
	buffer_store_dword v3, off, s[0:3], 0 offset:496
	;; [unrolled: 1-line block ×4, first 2 shown]
.LBB46_135:
	s_or_b32 exec_lo, exec_lo, s4
	v_mov_b32_e32 v4, s27
	s_waitcnt_vscnt null, 0x0
	s_barrier
	buffer_gl0_inv
	s_mov_b32 s4, exec_lo
	s_clause 0x3
	buffer_load_dword v1, v4, s[0:3], 0 offen
	buffer_load_dword v2, v4, s[0:3], 0 offen offset:4
	buffer_load_dword v3, v4, s[0:3], 0 offen offset:8
	;; [unrolled: 1-line block ×3, first 2 shown]
	s_waitcnt vmcnt(0)
	ds_write_b128 v5, v[1:4]
	s_waitcnt lgkmcnt(0)
	s_barrier
	buffer_gl0_inv
	v_cmpx_gt_u32_e32 31, v0
	s_cbranch_execz .LBB46_139
; %bb.136:
	v_mov_b32_e32 v1, 0
	v_mov_b32_e32 v3, 0
	v_add_nc_u32_e32 v7, -1, v0
	v_add_nc_u32_e32 v12, 0x2f0, v153
	v_mov_b32_e32 v2, 0
	v_mov_b32_e32 v4, 0
	v_add_nc_u32_e32 v13, 16, v153
	s_mov_b32 s5, 0
	.p2align	6
.LBB46_137:                             ; =>This Inner Loop Header: Depth=1
	s_clause 0x3
	buffer_load_dword v18, v13, s[0:3], 0 offen offset:8
	buffer_load_dword v19, v13, s[0:3], 0 offen offset:12
	buffer_load_dword v20, v13, s[0:3], 0 offen
	buffer_load_dword v21, v13, s[0:3], 0 offen offset:4
	ds_read_b128 v[14:17], v12
	v_add_nc_u32_e32 v7, 1, v7
	v_add_nc_u32_e32 v12, 16, v12
	;; [unrolled: 1-line block ×3, first 2 shown]
	v_cmp_lt_u32_e32 vcc_lo, 29, v7
	s_or_b32 s5, vcc_lo, s5
	s_waitcnt vmcnt(2) lgkmcnt(0)
	v_mul_f64 v[22:23], v[16:17], v[18:19]
	v_mul_f64 v[18:19], v[14:15], v[18:19]
	s_waitcnt vmcnt(0)
	v_fma_f64 v[14:15], v[14:15], v[20:21], -v[22:23]
	v_fma_f64 v[16:17], v[16:17], v[20:21], v[18:19]
	v_add_f64 v[3:4], v[3:4], v[14:15]
	v_add_f64 v[1:2], v[1:2], v[16:17]
	s_andn2_b32 exec_lo, exec_lo, s5
	s_cbranch_execnz .LBB46_137
; %bb.138:
	s_or_b32 exec_lo, exec_lo, s5
	v_mov_b32_e32 v7, 0
	ds_read_b128 v[12:15], v7 offset:496
	s_waitcnt lgkmcnt(0)
	v_mul_f64 v[16:17], v[1:2], v[14:15]
	v_mul_f64 v[14:15], v[3:4], v[14:15]
	v_fma_f64 v[3:4], v[3:4], v[12:13], -v[16:17]
	v_fma_f64 v[1:2], v[1:2], v[12:13], v[14:15]
	buffer_store_dword v4, off, s[0:3], 0 offset:516
	buffer_store_dword v3, off, s[0:3], 0 offset:512
	;; [unrolled: 1-line block ×4, first 2 shown]
.LBB46_139:
	s_or_b32 exec_lo, exec_lo, s4
	v_mov_b32_e32 v4, s26
	s_waitcnt_vscnt null, 0x0
	s_barrier
	buffer_gl0_inv
	s_mov_b32 s4, exec_lo
	s_clause 0x3
	buffer_load_dword v1, v4, s[0:3], 0 offen
	buffer_load_dword v2, v4, s[0:3], 0 offen offset:4
	buffer_load_dword v3, v4, s[0:3], 0 offen offset:8
	;; [unrolled: 1-line block ×3, first 2 shown]
	s_waitcnt vmcnt(0)
	ds_write_b128 v5, v[1:4]
	s_waitcnt lgkmcnt(0)
	s_barrier
	buffer_gl0_inv
	v_cmpx_gt_u32_e32 32, v0
	s_cbranch_execz .LBB46_143
; %bb.140:
	v_mov_b32_e32 v1, 0
	v_mov_b32_e32 v3, 0
	v_add_nc_u32_e32 v7, -1, v0
	v_add_nc_u32_e32 v12, 0x2f0, v153
	v_mov_b32_e32 v2, 0
	v_mov_b32_e32 v4, 0
	v_add_nc_u32_e32 v13, 16, v153
	s_mov_b32 s5, 0
	.p2align	6
.LBB46_141:                             ; =>This Inner Loop Header: Depth=1
	s_clause 0x3
	buffer_load_dword v18, v13, s[0:3], 0 offen offset:8
	buffer_load_dword v19, v13, s[0:3], 0 offen offset:12
	buffer_load_dword v20, v13, s[0:3], 0 offen
	buffer_load_dword v21, v13, s[0:3], 0 offen offset:4
	ds_read_b128 v[14:17], v12
	v_add_nc_u32_e32 v7, 1, v7
	v_add_nc_u32_e32 v12, 16, v12
	;; [unrolled: 1-line block ×3, first 2 shown]
	v_cmp_lt_u32_e32 vcc_lo, 30, v7
	s_or_b32 s5, vcc_lo, s5
	s_waitcnt vmcnt(2) lgkmcnt(0)
	v_mul_f64 v[22:23], v[16:17], v[18:19]
	v_mul_f64 v[18:19], v[14:15], v[18:19]
	s_waitcnt vmcnt(0)
	v_fma_f64 v[14:15], v[14:15], v[20:21], -v[22:23]
	v_fma_f64 v[16:17], v[16:17], v[20:21], v[18:19]
	v_add_f64 v[3:4], v[3:4], v[14:15]
	v_add_f64 v[1:2], v[1:2], v[16:17]
	s_andn2_b32 exec_lo, exec_lo, s5
	s_cbranch_execnz .LBB46_141
; %bb.142:
	s_or_b32 exec_lo, exec_lo, s5
	v_mov_b32_e32 v7, 0
	ds_read_b128 v[12:15], v7 offset:512
	s_waitcnt lgkmcnt(0)
	v_mul_f64 v[16:17], v[1:2], v[14:15]
	v_mul_f64 v[14:15], v[3:4], v[14:15]
	v_fma_f64 v[3:4], v[3:4], v[12:13], -v[16:17]
	v_fma_f64 v[1:2], v[1:2], v[12:13], v[14:15]
	buffer_store_dword v4, off, s[0:3], 0 offset:532
	buffer_store_dword v3, off, s[0:3], 0 offset:528
	buffer_store_dword v2, off, s[0:3], 0 offset:540
	buffer_store_dword v1, off, s[0:3], 0 offset:536
.LBB46_143:
	s_or_b32 exec_lo, exec_lo, s4
	v_mov_b32_e32 v4, s25
	s_waitcnt_vscnt null, 0x0
	s_barrier
	buffer_gl0_inv
	s_mov_b32 s4, exec_lo
	s_clause 0x3
	buffer_load_dword v1, v4, s[0:3], 0 offen
	buffer_load_dword v2, v4, s[0:3], 0 offen offset:4
	buffer_load_dword v3, v4, s[0:3], 0 offen offset:8
	;; [unrolled: 1-line block ×3, first 2 shown]
	s_waitcnt vmcnt(0)
	ds_write_b128 v5, v[1:4]
	s_waitcnt lgkmcnt(0)
	s_barrier
	buffer_gl0_inv
	v_cmpx_gt_u32_e32 33, v0
	s_cbranch_execz .LBB46_147
; %bb.144:
	v_mov_b32_e32 v1, 0
	v_mov_b32_e32 v3, 0
	v_add_nc_u32_e32 v7, -1, v0
	v_add_nc_u32_e32 v12, 0x2f0, v153
	v_mov_b32_e32 v2, 0
	v_mov_b32_e32 v4, 0
	v_add_nc_u32_e32 v13, 16, v153
	s_mov_b32 s5, 0
	.p2align	6
.LBB46_145:                             ; =>This Inner Loop Header: Depth=1
	s_clause 0x3
	buffer_load_dword v18, v13, s[0:3], 0 offen offset:8
	buffer_load_dword v19, v13, s[0:3], 0 offen offset:12
	buffer_load_dword v20, v13, s[0:3], 0 offen
	buffer_load_dword v21, v13, s[0:3], 0 offen offset:4
	ds_read_b128 v[14:17], v12
	v_add_nc_u32_e32 v7, 1, v7
	v_add_nc_u32_e32 v12, 16, v12
	;; [unrolled: 1-line block ×3, first 2 shown]
	v_cmp_lt_u32_e32 vcc_lo, 31, v7
	s_or_b32 s5, vcc_lo, s5
	s_waitcnt vmcnt(2) lgkmcnt(0)
	v_mul_f64 v[22:23], v[16:17], v[18:19]
	v_mul_f64 v[18:19], v[14:15], v[18:19]
	s_waitcnt vmcnt(0)
	v_fma_f64 v[14:15], v[14:15], v[20:21], -v[22:23]
	v_fma_f64 v[16:17], v[16:17], v[20:21], v[18:19]
	v_add_f64 v[3:4], v[3:4], v[14:15]
	v_add_f64 v[1:2], v[1:2], v[16:17]
	s_andn2_b32 exec_lo, exec_lo, s5
	s_cbranch_execnz .LBB46_145
; %bb.146:
	s_or_b32 exec_lo, exec_lo, s5
	v_mov_b32_e32 v7, 0
	ds_read_b128 v[12:15], v7 offset:528
	s_waitcnt lgkmcnt(0)
	v_mul_f64 v[16:17], v[1:2], v[14:15]
	v_mul_f64 v[14:15], v[3:4], v[14:15]
	v_fma_f64 v[3:4], v[3:4], v[12:13], -v[16:17]
	v_fma_f64 v[1:2], v[1:2], v[12:13], v[14:15]
	buffer_store_dword v4, off, s[0:3], 0 offset:548
	buffer_store_dword v3, off, s[0:3], 0 offset:544
	buffer_store_dword v2, off, s[0:3], 0 offset:556
	buffer_store_dword v1, off, s[0:3], 0 offset:552
.LBB46_147:
	s_or_b32 exec_lo, exec_lo, s4
	v_mov_b32_e32 v4, s24
	s_waitcnt_vscnt null, 0x0
	s_barrier
	buffer_gl0_inv
	s_mov_b32 s4, exec_lo
	s_clause 0x3
	buffer_load_dword v1, v4, s[0:3], 0 offen
	buffer_load_dword v2, v4, s[0:3], 0 offen offset:4
	buffer_load_dword v3, v4, s[0:3], 0 offen offset:8
	buffer_load_dword v4, v4, s[0:3], 0 offen offset:12
	s_waitcnt vmcnt(0)
	ds_write_b128 v5, v[1:4]
	s_waitcnt lgkmcnt(0)
	s_barrier
	buffer_gl0_inv
	v_cmpx_gt_u32_e32 34, v0
	s_cbranch_execz .LBB46_151
; %bb.148:
	v_mov_b32_e32 v1, 0
	v_mov_b32_e32 v3, 0
	v_add_nc_u32_e32 v7, -1, v0
	v_add_nc_u32_e32 v12, 0x2f0, v153
	v_mov_b32_e32 v2, 0
	v_mov_b32_e32 v4, 0
	v_add_nc_u32_e32 v13, 16, v153
	s_mov_b32 s5, 0
	.p2align	6
.LBB46_149:                             ; =>This Inner Loop Header: Depth=1
	s_clause 0x3
	buffer_load_dword v18, v13, s[0:3], 0 offen offset:8
	buffer_load_dword v19, v13, s[0:3], 0 offen offset:12
	buffer_load_dword v20, v13, s[0:3], 0 offen
	buffer_load_dword v21, v13, s[0:3], 0 offen offset:4
	ds_read_b128 v[14:17], v12
	v_add_nc_u32_e32 v7, 1, v7
	v_add_nc_u32_e32 v12, 16, v12
	;; [unrolled: 1-line block ×3, first 2 shown]
	v_cmp_lt_u32_e32 vcc_lo, 32, v7
	s_or_b32 s5, vcc_lo, s5
	s_waitcnt vmcnt(2) lgkmcnt(0)
	v_mul_f64 v[22:23], v[16:17], v[18:19]
	v_mul_f64 v[18:19], v[14:15], v[18:19]
	s_waitcnt vmcnt(0)
	v_fma_f64 v[14:15], v[14:15], v[20:21], -v[22:23]
	v_fma_f64 v[16:17], v[16:17], v[20:21], v[18:19]
	v_add_f64 v[3:4], v[3:4], v[14:15]
	v_add_f64 v[1:2], v[1:2], v[16:17]
	s_andn2_b32 exec_lo, exec_lo, s5
	s_cbranch_execnz .LBB46_149
; %bb.150:
	s_or_b32 exec_lo, exec_lo, s5
	v_mov_b32_e32 v7, 0
	ds_read_b128 v[12:15], v7 offset:544
	s_waitcnt lgkmcnt(0)
	v_mul_f64 v[16:17], v[1:2], v[14:15]
	v_mul_f64 v[14:15], v[3:4], v[14:15]
	v_fma_f64 v[3:4], v[3:4], v[12:13], -v[16:17]
	v_fma_f64 v[1:2], v[1:2], v[12:13], v[14:15]
	buffer_store_dword v4, off, s[0:3], 0 offset:564
	buffer_store_dword v3, off, s[0:3], 0 offset:560
	;; [unrolled: 1-line block ×4, first 2 shown]
.LBB46_151:
	s_or_b32 exec_lo, exec_lo, s4
	v_mov_b32_e32 v4, s23
	s_waitcnt_vscnt null, 0x0
	s_barrier
	buffer_gl0_inv
	s_mov_b32 s4, exec_lo
	s_clause 0x3
	buffer_load_dword v1, v4, s[0:3], 0 offen
	buffer_load_dword v2, v4, s[0:3], 0 offen offset:4
	buffer_load_dword v3, v4, s[0:3], 0 offen offset:8
	;; [unrolled: 1-line block ×3, first 2 shown]
	s_waitcnt vmcnt(0)
	ds_write_b128 v5, v[1:4]
	s_waitcnt lgkmcnt(0)
	s_barrier
	buffer_gl0_inv
	v_cmpx_gt_u32_e32 35, v0
	s_cbranch_execz .LBB46_155
; %bb.152:
	v_mov_b32_e32 v1, 0
	v_mov_b32_e32 v3, 0
	v_add_nc_u32_e32 v7, -1, v0
	v_add_nc_u32_e32 v12, 0x2f0, v153
	v_mov_b32_e32 v2, 0
	v_mov_b32_e32 v4, 0
	v_add_nc_u32_e32 v13, 16, v153
	s_mov_b32 s5, 0
	.p2align	6
.LBB46_153:                             ; =>This Inner Loop Header: Depth=1
	s_clause 0x3
	buffer_load_dword v18, v13, s[0:3], 0 offen offset:8
	buffer_load_dword v19, v13, s[0:3], 0 offen offset:12
	buffer_load_dword v20, v13, s[0:3], 0 offen
	buffer_load_dword v21, v13, s[0:3], 0 offen offset:4
	ds_read_b128 v[14:17], v12
	v_add_nc_u32_e32 v7, 1, v7
	v_add_nc_u32_e32 v12, 16, v12
	;; [unrolled: 1-line block ×3, first 2 shown]
	v_cmp_lt_u32_e32 vcc_lo, 33, v7
	s_or_b32 s5, vcc_lo, s5
	s_waitcnt vmcnt(2) lgkmcnt(0)
	v_mul_f64 v[22:23], v[16:17], v[18:19]
	v_mul_f64 v[18:19], v[14:15], v[18:19]
	s_waitcnt vmcnt(0)
	v_fma_f64 v[14:15], v[14:15], v[20:21], -v[22:23]
	v_fma_f64 v[16:17], v[16:17], v[20:21], v[18:19]
	v_add_f64 v[3:4], v[3:4], v[14:15]
	v_add_f64 v[1:2], v[1:2], v[16:17]
	s_andn2_b32 exec_lo, exec_lo, s5
	s_cbranch_execnz .LBB46_153
; %bb.154:
	s_or_b32 exec_lo, exec_lo, s5
	v_mov_b32_e32 v7, 0
	ds_read_b128 v[12:15], v7 offset:560
	s_waitcnt lgkmcnt(0)
	v_mul_f64 v[16:17], v[1:2], v[14:15]
	v_mul_f64 v[14:15], v[3:4], v[14:15]
	v_fma_f64 v[3:4], v[3:4], v[12:13], -v[16:17]
	v_fma_f64 v[1:2], v[1:2], v[12:13], v[14:15]
	buffer_store_dword v4, off, s[0:3], 0 offset:580
	buffer_store_dword v3, off, s[0:3], 0 offset:576
	;; [unrolled: 1-line block ×4, first 2 shown]
.LBB46_155:
	s_or_b32 exec_lo, exec_lo, s4
	v_mov_b32_e32 v4, s22
	s_waitcnt_vscnt null, 0x0
	s_barrier
	buffer_gl0_inv
	s_mov_b32 s4, exec_lo
	s_clause 0x3
	buffer_load_dword v1, v4, s[0:3], 0 offen
	buffer_load_dword v2, v4, s[0:3], 0 offen offset:4
	buffer_load_dword v3, v4, s[0:3], 0 offen offset:8
	;; [unrolled: 1-line block ×3, first 2 shown]
	s_waitcnt vmcnt(0)
	ds_write_b128 v5, v[1:4]
	s_waitcnt lgkmcnt(0)
	s_barrier
	buffer_gl0_inv
	v_cmpx_gt_u32_e32 36, v0
	s_cbranch_execz .LBB46_159
; %bb.156:
	v_mov_b32_e32 v1, 0
	v_mov_b32_e32 v3, 0
	v_add_nc_u32_e32 v7, -1, v0
	v_add_nc_u32_e32 v12, 0x2f0, v153
	v_mov_b32_e32 v2, 0
	v_mov_b32_e32 v4, 0
	v_add_nc_u32_e32 v13, 16, v153
	s_mov_b32 s5, 0
	.p2align	6
.LBB46_157:                             ; =>This Inner Loop Header: Depth=1
	s_clause 0x3
	buffer_load_dword v18, v13, s[0:3], 0 offen offset:8
	buffer_load_dword v19, v13, s[0:3], 0 offen offset:12
	buffer_load_dword v20, v13, s[0:3], 0 offen
	buffer_load_dword v21, v13, s[0:3], 0 offen offset:4
	ds_read_b128 v[14:17], v12
	v_add_nc_u32_e32 v7, 1, v7
	v_add_nc_u32_e32 v12, 16, v12
	;; [unrolled: 1-line block ×3, first 2 shown]
	v_cmp_lt_u32_e32 vcc_lo, 34, v7
	s_or_b32 s5, vcc_lo, s5
	s_waitcnt vmcnt(2) lgkmcnt(0)
	v_mul_f64 v[22:23], v[16:17], v[18:19]
	v_mul_f64 v[18:19], v[14:15], v[18:19]
	s_waitcnt vmcnt(0)
	v_fma_f64 v[14:15], v[14:15], v[20:21], -v[22:23]
	v_fma_f64 v[16:17], v[16:17], v[20:21], v[18:19]
	v_add_f64 v[3:4], v[3:4], v[14:15]
	v_add_f64 v[1:2], v[1:2], v[16:17]
	s_andn2_b32 exec_lo, exec_lo, s5
	s_cbranch_execnz .LBB46_157
; %bb.158:
	s_or_b32 exec_lo, exec_lo, s5
	v_mov_b32_e32 v7, 0
	ds_read_b128 v[12:15], v7 offset:576
	s_waitcnt lgkmcnt(0)
	v_mul_f64 v[16:17], v[1:2], v[14:15]
	v_mul_f64 v[14:15], v[3:4], v[14:15]
	v_fma_f64 v[3:4], v[3:4], v[12:13], -v[16:17]
	v_fma_f64 v[1:2], v[1:2], v[12:13], v[14:15]
	buffer_store_dword v4, off, s[0:3], 0 offset:596
	buffer_store_dword v3, off, s[0:3], 0 offset:592
	;; [unrolled: 1-line block ×4, first 2 shown]
.LBB46_159:
	s_or_b32 exec_lo, exec_lo, s4
	v_mov_b32_e32 v4, s19
	s_waitcnt_vscnt null, 0x0
	s_barrier
	buffer_gl0_inv
	s_mov_b32 s4, exec_lo
	s_clause 0x3
	buffer_load_dword v1, v4, s[0:3], 0 offen
	buffer_load_dword v2, v4, s[0:3], 0 offen offset:4
	buffer_load_dword v3, v4, s[0:3], 0 offen offset:8
	buffer_load_dword v4, v4, s[0:3], 0 offen offset:12
	s_waitcnt vmcnt(0)
	ds_write_b128 v5, v[1:4]
	s_waitcnt lgkmcnt(0)
	s_barrier
	buffer_gl0_inv
	v_cmpx_gt_u32_e32 37, v0
	s_cbranch_execz .LBB46_163
; %bb.160:
	v_mov_b32_e32 v1, 0
	v_mov_b32_e32 v3, 0
	v_add_nc_u32_e32 v7, -1, v0
	v_add_nc_u32_e32 v12, 0x2f0, v153
	v_mov_b32_e32 v2, 0
	v_mov_b32_e32 v4, 0
	v_add_nc_u32_e32 v13, 16, v153
	s_mov_b32 s5, 0
	.p2align	6
.LBB46_161:                             ; =>This Inner Loop Header: Depth=1
	s_clause 0x3
	buffer_load_dword v18, v13, s[0:3], 0 offen offset:8
	buffer_load_dword v19, v13, s[0:3], 0 offen offset:12
	buffer_load_dword v20, v13, s[0:3], 0 offen
	buffer_load_dword v21, v13, s[0:3], 0 offen offset:4
	ds_read_b128 v[14:17], v12
	v_add_nc_u32_e32 v7, 1, v7
	v_add_nc_u32_e32 v12, 16, v12
	;; [unrolled: 1-line block ×3, first 2 shown]
	v_cmp_lt_u32_e32 vcc_lo, 35, v7
	s_or_b32 s5, vcc_lo, s5
	s_waitcnt vmcnt(2) lgkmcnt(0)
	v_mul_f64 v[22:23], v[16:17], v[18:19]
	v_mul_f64 v[18:19], v[14:15], v[18:19]
	s_waitcnt vmcnt(0)
	v_fma_f64 v[14:15], v[14:15], v[20:21], -v[22:23]
	v_fma_f64 v[16:17], v[16:17], v[20:21], v[18:19]
	v_add_f64 v[3:4], v[3:4], v[14:15]
	v_add_f64 v[1:2], v[1:2], v[16:17]
	s_andn2_b32 exec_lo, exec_lo, s5
	s_cbranch_execnz .LBB46_161
; %bb.162:
	s_or_b32 exec_lo, exec_lo, s5
	v_mov_b32_e32 v7, 0
	ds_read_b128 v[12:15], v7 offset:592
	s_waitcnt lgkmcnt(0)
	v_mul_f64 v[16:17], v[1:2], v[14:15]
	v_mul_f64 v[14:15], v[3:4], v[14:15]
	v_fma_f64 v[3:4], v[3:4], v[12:13], -v[16:17]
	v_fma_f64 v[1:2], v[1:2], v[12:13], v[14:15]
	buffer_store_dword v4, off, s[0:3], 0 offset:612
	buffer_store_dword v3, off, s[0:3], 0 offset:608
	;; [unrolled: 1-line block ×4, first 2 shown]
.LBB46_163:
	s_or_b32 exec_lo, exec_lo, s4
	v_mov_b32_e32 v4, s18
	s_waitcnt_vscnt null, 0x0
	s_barrier
	buffer_gl0_inv
	s_mov_b32 s4, exec_lo
	s_clause 0x3
	buffer_load_dword v1, v4, s[0:3], 0 offen
	buffer_load_dword v2, v4, s[0:3], 0 offen offset:4
	buffer_load_dword v3, v4, s[0:3], 0 offen offset:8
	;; [unrolled: 1-line block ×3, first 2 shown]
	s_waitcnt vmcnt(0)
	ds_write_b128 v5, v[1:4]
	s_waitcnt lgkmcnt(0)
	s_barrier
	buffer_gl0_inv
	v_cmpx_gt_u32_e32 38, v0
	s_cbranch_execz .LBB46_167
; %bb.164:
	v_mov_b32_e32 v1, 0
	v_mov_b32_e32 v3, 0
	v_add_nc_u32_e32 v7, -1, v0
	v_add_nc_u32_e32 v12, 0x2f0, v153
	v_mov_b32_e32 v2, 0
	v_mov_b32_e32 v4, 0
	v_add_nc_u32_e32 v13, 16, v153
	s_mov_b32 s5, 0
	.p2align	6
.LBB46_165:                             ; =>This Inner Loop Header: Depth=1
	s_clause 0x3
	buffer_load_dword v18, v13, s[0:3], 0 offen offset:8
	buffer_load_dword v19, v13, s[0:3], 0 offen offset:12
	buffer_load_dword v20, v13, s[0:3], 0 offen
	buffer_load_dword v21, v13, s[0:3], 0 offen offset:4
	ds_read_b128 v[14:17], v12
	v_add_nc_u32_e32 v7, 1, v7
	v_add_nc_u32_e32 v12, 16, v12
	;; [unrolled: 1-line block ×3, first 2 shown]
	v_cmp_lt_u32_e32 vcc_lo, 36, v7
	s_or_b32 s5, vcc_lo, s5
	s_waitcnt vmcnt(2) lgkmcnt(0)
	v_mul_f64 v[22:23], v[16:17], v[18:19]
	v_mul_f64 v[18:19], v[14:15], v[18:19]
	s_waitcnt vmcnt(0)
	v_fma_f64 v[14:15], v[14:15], v[20:21], -v[22:23]
	v_fma_f64 v[16:17], v[16:17], v[20:21], v[18:19]
	v_add_f64 v[3:4], v[3:4], v[14:15]
	v_add_f64 v[1:2], v[1:2], v[16:17]
	s_andn2_b32 exec_lo, exec_lo, s5
	s_cbranch_execnz .LBB46_165
; %bb.166:
	s_or_b32 exec_lo, exec_lo, s5
	v_mov_b32_e32 v7, 0
	ds_read_b128 v[12:15], v7 offset:608
	s_waitcnt lgkmcnt(0)
	v_mul_f64 v[16:17], v[1:2], v[14:15]
	v_mul_f64 v[14:15], v[3:4], v[14:15]
	v_fma_f64 v[3:4], v[3:4], v[12:13], -v[16:17]
	v_fma_f64 v[1:2], v[1:2], v[12:13], v[14:15]
	buffer_store_dword v4, off, s[0:3], 0 offset:628
	buffer_store_dword v3, off, s[0:3], 0 offset:624
	;; [unrolled: 1-line block ×4, first 2 shown]
.LBB46_167:
	s_or_b32 exec_lo, exec_lo, s4
	v_mov_b32_e32 v4, s17
	s_waitcnt_vscnt null, 0x0
	s_barrier
	buffer_gl0_inv
	s_mov_b32 s4, exec_lo
	s_clause 0x3
	buffer_load_dword v1, v4, s[0:3], 0 offen
	buffer_load_dword v2, v4, s[0:3], 0 offen offset:4
	buffer_load_dword v3, v4, s[0:3], 0 offen offset:8
	;; [unrolled: 1-line block ×3, first 2 shown]
	s_waitcnt vmcnt(0)
	ds_write_b128 v5, v[1:4]
	s_waitcnt lgkmcnt(0)
	s_barrier
	buffer_gl0_inv
	v_cmpx_gt_u32_e32 39, v0
	s_cbranch_execz .LBB46_171
; %bb.168:
	v_mov_b32_e32 v1, 0
	v_mov_b32_e32 v3, 0
	v_add_nc_u32_e32 v7, -1, v0
	v_add_nc_u32_e32 v12, 0x2f0, v153
	v_mov_b32_e32 v2, 0
	v_mov_b32_e32 v4, 0
	v_add_nc_u32_e32 v13, 16, v153
	s_mov_b32 s5, 0
	.p2align	6
.LBB46_169:                             ; =>This Inner Loop Header: Depth=1
	s_clause 0x3
	buffer_load_dword v18, v13, s[0:3], 0 offen offset:8
	buffer_load_dword v19, v13, s[0:3], 0 offen offset:12
	buffer_load_dword v20, v13, s[0:3], 0 offen
	buffer_load_dword v21, v13, s[0:3], 0 offen offset:4
	ds_read_b128 v[14:17], v12
	v_add_nc_u32_e32 v7, 1, v7
	v_add_nc_u32_e32 v12, 16, v12
	;; [unrolled: 1-line block ×3, first 2 shown]
	v_cmp_lt_u32_e32 vcc_lo, 37, v7
	s_or_b32 s5, vcc_lo, s5
	s_waitcnt vmcnt(2) lgkmcnt(0)
	v_mul_f64 v[22:23], v[16:17], v[18:19]
	v_mul_f64 v[18:19], v[14:15], v[18:19]
	s_waitcnt vmcnt(0)
	v_fma_f64 v[14:15], v[14:15], v[20:21], -v[22:23]
	v_fma_f64 v[16:17], v[16:17], v[20:21], v[18:19]
	v_add_f64 v[3:4], v[3:4], v[14:15]
	v_add_f64 v[1:2], v[1:2], v[16:17]
	s_andn2_b32 exec_lo, exec_lo, s5
	s_cbranch_execnz .LBB46_169
; %bb.170:
	s_or_b32 exec_lo, exec_lo, s5
	v_mov_b32_e32 v7, 0
	ds_read_b128 v[12:15], v7 offset:624
	s_waitcnt lgkmcnt(0)
	v_mul_f64 v[16:17], v[1:2], v[14:15]
	v_mul_f64 v[14:15], v[3:4], v[14:15]
	v_fma_f64 v[3:4], v[3:4], v[12:13], -v[16:17]
	v_fma_f64 v[1:2], v[1:2], v[12:13], v[14:15]
	buffer_store_dword v4, off, s[0:3], 0 offset:644
	buffer_store_dword v3, off, s[0:3], 0 offset:640
	;; [unrolled: 1-line block ×4, first 2 shown]
.LBB46_171:
	s_or_b32 exec_lo, exec_lo, s4
	v_mov_b32_e32 v4, s16
	s_waitcnt_vscnt null, 0x0
	s_barrier
	buffer_gl0_inv
	s_mov_b32 s4, exec_lo
	s_clause 0x3
	buffer_load_dword v1, v4, s[0:3], 0 offen
	buffer_load_dword v2, v4, s[0:3], 0 offen offset:4
	buffer_load_dword v3, v4, s[0:3], 0 offen offset:8
	;; [unrolled: 1-line block ×3, first 2 shown]
	s_waitcnt vmcnt(0)
	ds_write_b128 v5, v[1:4]
	s_waitcnt lgkmcnt(0)
	s_barrier
	buffer_gl0_inv
	v_cmpx_gt_u32_e32 40, v0
	s_cbranch_execz .LBB46_175
; %bb.172:
	v_mov_b32_e32 v1, 0
	v_mov_b32_e32 v3, 0
	v_add_nc_u32_e32 v7, -1, v0
	v_add_nc_u32_e32 v12, 0x2f0, v153
	v_mov_b32_e32 v2, 0
	v_mov_b32_e32 v4, 0
	v_add_nc_u32_e32 v13, 16, v153
	s_mov_b32 s5, 0
	.p2align	6
.LBB46_173:                             ; =>This Inner Loop Header: Depth=1
	s_clause 0x3
	buffer_load_dword v18, v13, s[0:3], 0 offen offset:8
	buffer_load_dword v19, v13, s[0:3], 0 offen offset:12
	buffer_load_dword v20, v13, s[0:3], 0 offen
	buffer_load_dword v21, v13, s[0:3], 0 offen offset:4
	ds_read_b128 v[14:17], v12
	v_add_nc_u32_e32 v7, 1, v7
	v_add_nc_u32_e32 v12, 16, v12
	;; [unrolled: 1-line block ×3, first 2 shown]
	v_cmp_lt_u32_e32 vcc_lo, 38, v7
	s_or_b32 s5, vcc_lo, s5
	s_waitcnt vmcnt(2) lgkmcnt(0)
	v_mul_f64 v[22:23], v[16:17], v[18:19]
	v_mul_f64 v[18:19], v[14:15], v[18:19]
	s_waitcnt vmcnt(0)
	v_fma_f64 v[14:15], v[14:15], v[20:21], -v[22:23]
	v_fma_f64 v[16:17], v[16:17], v[20:21], v[18:19]
	v_add_f64 v[3:4], v[3:4], v[14:15]
	v_add_f64 v[1:2], v[1:2], v[16:17]
	s_andn2_b32 exec_lo, exec_lo, s5
	s_cbranch_execnz .LBB46_173
; %bb.174:
	s_or_b32 exec_lo, exec_lo, s5
	v_mov_b32_e32 v7, 0
	ds_read_b128 v[12:15], v7 offset:640
	s_waitcnt lgkmcnt(0)
	v_mul_f64 v[16:17], v[1:2], v[14:15]
	v_mul_f64 v[14:15], v[3:4], v[14:15]
	v_fma_f64 v[3:4], v[3:4], v[12:13], -v[16:17]
	v_fma_f64 v[1:2], v[1:2], v[12:13], v[14:15]
	buffer_store_dword v4, off, s[0:3], 0 offset:660
	buffer_store_dword v3, off, s[0:3], 0 offset:656
	;; [unrolled: 1-line block ×4, first 2 shown]
.LBB46_175:
	s_or_b32 exec_lo, exec_lo, s4
	v_mov_b32_e32 v4, s15
	s_waitcnt_vscnt null, 0x0
	s_barrier
	buffer_gl0_inv
	s_mov_b32 s4, exec_lo
	s_clause 0x3
	buffer_load_dword v1, v4, s[0:3], 0 offen
	buffer_load_dword v2, v4, s[0:3], 0 offen offset:4
	buffer_load_dword v3, v4, s[0:3], 0 offen offset:8
	;; [unrolled: 1-line block ×3, first 2 shown]
	s_waitcnt vmcnt(0)
	ds_write_b128 v5, v[1:4]
	s_waitcnt lgkmcnt(0)
	s_barrier
	buffer_gl0_inv
	v_cmpx_gt_u32_e32 41, v0
	s_cbranch_execz .LBB46_179
; %bb.176:
	v_mov_b32_e32 v1, 0
	v_mov_b32_e32 v3, 0
	v_add_nc_u32_e32 v7, -1, v0
	v_add_nc_u32_e32 v12, 0x2f0, v153
	v_mov_b32_e32 v2, 0
	v_mov_b32_e32 v4, 0
	v_add_nc_u32_e32 v13, 16, v153
	s_mov_b32 s5, 0
	.p2align	6
.LBB46_177:                             ; =>This Inner Loop Header: Depth=1
	s_clause 0x3
	buffer_load_dword v18, v13, s[0:3], 0 offen offset:8
	buffer_load_dword v19, v13, s[0:3], 0 offen offset:12
	buffer_load_dword v20, v13, s[0:3], 0 offen
	buffer_load_dword v21, v13, s[0:3], 0 offen offset:4
	ds_read_b128 v[14:17], v12
	v_add_nc_u32_e32 v7, 1, v7
	v_add_nc_u32_e32 v12, 16, v12
	;; [unrolled: 1-line block ×3, first 2 shown]
	v_cmp_lt_u32_e32 vcc_lo, 39, v7
	s_or_b32 s5, vcc_lo, s5
	s_waitcnt vmcnt(2) lgkmcnt(0)
	v_mul_f64 v[22:23], v[16:17], v[18:19]
	v_mul_f64 v[18:19], v[14:15], v[18:19]
	s_waitcnt vmcnt(0)
	v_fma_f64 v[14:15], v[14:15], v[20:21], -v[22:23]
	v_fma_f64 v[16:17], v[16:17], v[20:21], v[18:19]
	v_add_f64 v[3:4], v[3:4], v[14:15]
	v_add_f64 v[1:2], v[1:2], v[16:17]
	s_andn2_b32 exec_lo, exec_lo, s5
	s_cbranch_execnz .LBB46_177
; %bb.178:
	s_or_b32 exec_lo, exec_lo, s5
	v_mov_b32_e32 v7, 0
	ds_read_b128 v[12:15], v7 offset:656
	s_waitcnt lgkmcnt(0)
	v_mul_f64 v[16:17], v[1:2], v[14:15]
	v_mul_f64 v[14:15], v[3:4], v[14:15]
	v_fma_f64 v[3:4], v[3:4], v[12:13], -v[16:17]
	v_fma_f64 v[1:2], v[1:2], v[12:13], v[14:15]
	buffer_store_dword v4, off, s[0:3], 0 offset:676
	buffer_store_dword v3, off, s[0:3], 0 offset:672
	;; [unrolled: 1-line block ×4, first 2 shown]
.LBB46_179:
	s_or_b32 exec_lo, exec_lo, s4
	v_mov_b32_e32 v4, s14
	s_waitcnt_vscnt null, 0x0
	s_barrier
	buffer_gl0_inv
	s_mov_b32 s4, exec_lo
	s_clause 0x3
	buffer_load_dword v1, v4, s[0:3], 0 offen
	buffer_load_dword v2, v4, s[0:3], 0 offen offset:4
	buffer_load_dword v3, v4, s[0:3], 0 offen offset:8
	;; [unrolled: 1-line block ×3, first 2 shown]
	s_waitcnt vmcnt(0)
	ds_write_b128 v5, v[1:4]
	s_waitcnt lgkmcnt(0)
	s_barrier
	buffer_gl0_inv
	v_cmpx_gt_u32_e32 42, v0
	s_cbranch_execz .LBB46_183
; %bb.180:
	v_mov_b32_e32 v1, 0
	v_mov_b32_e32 v3, 0
	v_add_nc_u32_e32 v7, -1, v0
	v_add_nc_u32_e32 v12, 0x2f0, v153
	v_mov_b32_e32 v2, 0
	v_mov_b32_e32 v4, 0
	v_add_nc_u32_e32 v13, 16, v153
	s_mov_b32 s5, 0
	.p2align	6
.LBB46_181:                             ; =>This Inner Loop Header: Depth=1
	s_clause 0x3
	buffer_load_dword v18, v13, s[0:3], 0 offen offset:8
	buffer_load_dword v19, v13, s[0:3], 0 offen offset:12
	buffer_load_dword v20, v13, s[0:3], 0 offen
	buffer_load_dword v21, v13, s[0:3], 0 offen offset:4
	ds_read_b128 v[14:17], v12
	v_add_nc_u32_e32 v7, 1, v7
	v_add_nc_u32_e32 v12, 16, v12
	;; [unrolled: 1-line block ×3, first 2 shown]
	v_cmp_lt_u32_e32 vcc_lo, 40, v7
	s_or_b32 s5, vcc_lo, s5
	s_waitcnt vmcnt(2) lgkmcnt(0)
	v_mul_f64 v[22:23], v[16:17], v[18:19]
	v_mul_f64 v[18:19], v[14:15], v[18:19]
	s_waitcnt vmcnt(0)
	v_fma_f64 v[14:15], v[14:15], v[20:21], -v[22:23]
	v_fma_f64 v[16:17], v[16:17], v[20:21], v[18:19]
	v_add_f64 v[3:4], v[3:4], v[14:15]
	v_add_f64 v[1:2], v[1:2], v[16:17]
	s_andn2_b32 exec_lo, exec_lo, s5
	s_cbranch_execnz .LBB46_181
; %bb.182:
	s_or_b32 exec_lo, exec_lo, s5
	v_mov_b32_e32 v7, 0
	ds_read_b128 v[12:15], v7 offset:672
	s_waitcnt lgkmcnt(0)
	v_mul_f64 v[16:17], v[1:2], v[14:15]
	v_mul_f64 v[14:15], v[3:4], v[14:15]
	v_fma_f64 v[3:4], v[3:4], v[12:13], -v[16:17]
	v_fma_f64 v[1:2], v[1:2], v[12:13], v[14:15]
	buffer_store_dword v4, off, s[0:3], 0 offset:692
	buffer_store_dword v3, off, s[0:3], 0 offset:688
	;; [unrolled: 1-line block ×4, first 2 shown]
.LBB46_183:
	s_or_b32 exec_lo, exec_lo, s4
	v_mov_b32_e32 v4, s13
	s_waitcnt_vscnt null, 0x0
	s_barrier
	buffer_gl0_inv
	s_mov_b32 s4, exec_lo
	s_clause 0x3
	buffer_load_dword v1, v4, s[0:3], 0 offen
	buffer_load_dword v2, v4, s[0:3], 0 offen offset:4
	buffer_load_dword v3, v4, s[0:3], 0 offen offset:8
	;; [unrolled: 1-line block ×3, first 2 shown]
	s_waitcnt vmcnt(0)
	ds_write_b128 v5, v[1:4]
	s_waitcnt lgkmcnt(0)
	s_barrier
	buffer_gl0_inv
	v_cmpx_gt_u32_e32 43, v0
	s_cbranch_execz .LBB46_187
; %bb.184:
	v_mov_b32_e32 v1, 0
	v_mov_b32_e32 v3, 0
	v_add_nc_u32_e32 v7, -1, v0
	v_add_nc_u32_e32 v12, 0x2f0, v153
	v_mov_b32_e32 v2, 0
	v_mov_b32_e32 v4, 0
	v_add_nc_u32_e32 v13, 16, v153
	s_mov_b32 s5, 0
	.p2align	6
.LBB46_185:                             ; =>This Inner Loop Header: Depth=1
	s_clause 0x3
	buffer_load_dword v18, v13, s[0:3], 0 offen offset:8
	buffer_load_dword v19, v13, s[0:3], 0 offen offset:12
	buffer_load_dword v20, v13, s[0:3], 0 offen
	buffer_load_dword v21, v13, s[0:3], 0 offen offset:4
	ds_read_b128 v[14:17], v12
	v_add_nc_u32_e32 v7, 1, v7
	v_add_nc_u32_e32 v12, 16, v12
	;; [unrolled: 1-line block ×3, first 2 shown]
	v_cmp_lt_u32_e32 vcc_lo, 41, v7
	s_or_b32 s5, vcc_lo, s5
	s_waitcnt vmcnt(2) lgkmcnt(0)
	v_mul_f64 v[22:23], v[16:17], v[18:19]
	v_mul_f64 v[18:19], v[14:15], v[18:19]
	s_waitcnt vmcnt(0)
	v_fma_f64 v[14:15], v[14:15], v[20:21], -v[22:23]
	v_fma_f64 v[16:17], v[16:17], v[20:21], v[18:19]
	v_add_f64 v[3:4], v[3:4], v[14:15]
	v_add_f64 v[1:2], v[1:2], v[16:17]
	s_andn2_b32 exec_lo, exec_lo, s5
	s_cbranch_execnz .LBB46_185
; %bb.186:
	s_or_b32 exec_lo, exec_lo, s5
	v_mov_b32_e32 v7, 0
	ds_read_b128 v[12:15], v7 offset:688
	s_waitcnt lgkmcnt(0)
	v_mul_f64 v[16:17], v[1:2], v[14:15]
	v_mul_f64 v[14:15], v[3:4], v[14:15]
	v_fma_f64 v[3:4], v[3:4], v[12:13], -v[16:17]
	v_fma_f64 v[1:2], v[1:2], v[12:13], v[14:15]
	buffer_store_dword v4, off, s[0:3], 0 offset:708
	buffer_store_dword v3, off, s[0:3], 0 offset:704
	;; [unrolled: 1-line block ×4, first 2 shown]
.LBB46_187:
	s_or_b32 exec_lo, exec_lo, s4
	v_mov_b32_e32 v4, s12
	s_waitcnt_vscnt null, 0x0
	s_barrier
	buffer_gl0_inv
	s_mov_b32 s4, exec_lo
	s_clause 0x3
	buffer_load_dword v1, v4, s[0:3], 0 offen
	buffer_load_dword v2, v4, s[0:3], 0 offen offset:4
	buffer_load_dword v3, v4, s[0:3], 0 offen offset:8
	;; [unrolled: 1-line block ×3, first 2 shown]
	s_waitcnt vmcnt(0)
	ds_write_b128 v5, v[1:4]
	s_waitcnt lgkmcnt(0)
	s_barrier
	buffer_gl0_inv
	v_cmpx_gt_u32_e32 44, v0
	s_cbranch_execz .LBB46_191
; %bb.188:
	v_mov_b32_e32 v1, 0
	v_mov_b32_e32 v3, 0
	v_add_nc_u32_e32 v7, -1, v0
	v_add_nc_u32_e32 v12, 0x2f0, v153
	v_mov_b32_e32 v2, 0
	v_mov_b32_e32 v4, 0
	v_add_nc_u32_e32 v13, 16, v153
	s_mov_b32 s5, 0
	.p2align	6
.LBB46_189:                             ; =>This Inner Loop Header: Depth=1
	s_clause 0x3
	buffer_load_dword v18, v13, s[0:3], 0 offen offset:8
	buffer_load_dword v19, v13, s[0:3], 0 offen offset:12
	buffer_load_dword v20, v13, s[0:3], 0 offen
	buffer_load_dword v21, v13, s[0:3], 0 offen offset:4
	ds_read_b128 v[14:17], v12
	v_add_nc_u32_e32 v7, 1, v7
	v_add_nc_u32_e32 v12, 16, v12
	;; [unrolled: 1-line block ×3, first 2 shown]
	v_cmp_lt_u32_e32 vcc_lo, 42, v7
	s_or_b32 s5, vcc_lo, s5
	s_waitcnt vmcnt(2) lgkmcnt(0)
	v_mul_f64 v[22:23], v[16:17], v[18:19]
	v_mul_f64 v[18:19], v[14:15], v[18:19]
	s_waitcnt vmcnt(0)
	v_fma_f64 v[14:15], v[14:15], v[20:21], -v[22:23]
	v_fma_f64 v[16:17], v[16:17], v[20:21], v[18:19]
	v_add_f64 v[3:4], v[3:4], v[14:15]
	v_add_f64 v[1:2], v[1:2], v[16:17]
	s_andn2_b32 exec_lo, exec_lo, s5
	s_cbranch_execnz .LBB46_189
; %bb.190:
	s_or_b32 exec_lo, exec_lo, s5
	v_mov_b32_e32 v7, 0
	ds_read_b128 v[12:15], v7 offset:704
	s_waitcnt lgkmcnt(0)
	v_mul_f64 v[16:17], v[1:2], v[14:15]
	v_mul_f64 v[14:15], v[3:4], v[14:15]
	v_fma_f64 v[3:4], v[3:4], v[12:13], -v[16:17]
	v_fma_f64 v[1:2], v[1:2], v[12:13], v[14:15]
	buffer_store_dword v4, off, s[0:3], 0 offset:724
	buffer_store_dword v3, off, s[0:3], 0 offset:720
	buffer_store_dword v2, off, s[0:3], 0 offset:732
	buffer_store_dword v1, off, s[0:3], 0 offset:728
.LBB46_191:
	s_or_b32 exec_lo, exec_lo, s4
	v_mov_b32_e32 v4, s9
	s_waitcnt_vscnt null, 0x0
	s_barrier
	buffer_gl0_inv
	s_mov_b32 s4, exec_lo
	s_clause 0x3
	buffer_load_dword v1, v4, s[0:3], 0 offen
	buffer_load_dword v2, v4, s[0:3], 0 offen offset:4
	buffer_load_dword v3, v4, s[0:3], 0 offen offset:8
	;; [unrolled: 1-line block ×3, first 2 shown]
	s_waitcnt vmcnt(0)
	ds_write_b128 v5, v[1:4]
	s_waitcnt lgkmcnt(0)
	s_barrier
	buffer_gl0_inv
	v_cmpx_gt_u32_e32 45, v0
	s_cbranch_execz .LBB46_195
; %bb.192:
	v_mov_b32_e32 v1, 0
	v_mov_b32_e32 v3, 0
	v_add_nc_u32_e32 v7, -1, v0
	v_add_nc_u32_e32 v12, 0x2f0, v153
	v_mov_b32_e32 v2, 0
	v_mov_b32_e32 v4, 0
	v_add_nc_u32_e32 v13, 16, v153
	s_mov_b32 s5, 0
	.p2align	6
.LBB46_193:                             ; =>This Inner Loop Header: Depth=1
	s_clause 0x3
	buffer_load_dword v18, v13, s[0:3], 0 offen offset:8
	buffer_load_dword v19, v13, s[0:3], 0 offen offset:12
	buffer_load_dword v20, v13, s[0:3], 0 offen
	buffer_load_dword v21, v13, s[0:3], 0 offen offset:4
	ds_read_b128 v[14:17], v12
	v_add_nc_u32_e32 v7, 1, v7
	v_add_nc_u32_e32 v12, 16, v12
	v_add_nc_u32_e32 v13, 16, v13
	v_cmp_lt_u32_e32 vcc_lo, 43, v7
	s_or_b32 s5, vcc_lo, s5
	s_waitcnt vmcnt(2) lgkmcnt(0)
	v_mul_f64 v[22:23], v[16:17], v[18:19]
	v_mul_f64 v[18:19], v[14:15], v[18:19]
	s_waitcnt vmcnt(0)
	v_fma_f64 v[14:15], v[14:15], v[20:21], -v[22:23]
	v_fma_f64 v[16:17], v[16:17], v[20:21], v[18:19]
	v_add_f64 v[3:4], v[3:4], v[14:15]
	v_add_f64 v[1:2], v[1:2], v[16:17]
	s_andn2_b32 exec_lo, exec_lo, s5
	s_cbranch_execnz .LBB46_193
; %bb.194:
	s_or_b32 exec_lo, exec_lo, s5
	v_mov_b32_e32 v7, 0
	ds_read_b128 v[12:15], v7 offset:720
	s_waitcnt lgkmcnt(0)
	v_mul_f64 v[16:17], v[1:2], v[14:15]
	v_mul_f64 v[14:15], v[3:4], v[14:15]
	v_fma_f64 v[3:4], v[3:4], v[12:13], -v[16:17]
	v_fma_f64 v[1:2], v[1:2], v[12:13], v[14:15]
	buffer_store_dword v4, off, s[0:3], 0 offset:740
	buffer_store_dword v3, off, s[0:3], 0 offset:736
	;; [unrolled: 1-line block ×4, first 2 shown]
.LBB46_195:
	s_or_b32 exec_lo, exec_lo, s4
	v_mov_b32_e32 v4, s8
	s_waitcnt_vscnt null, 0x0
	s_barrier
	buffer_gl0_inv
	s_mov_b32 s4, exec_lo
	s_clause 0x3
	buffer_load_dword v1, v4, s[0:3], 0 offen
	buffer_load_dword v2, v4, s[0:3], 0 offen offset:4
	buffer_load_dword v3, v4, s[0:3], 0 offen offset:8
	buffer_load_dword v4, v4, s[0:3], 0 offen offset:12
	s_waitcnt vmcnt(0)
	ds_write_b128 v5, v[1:4]
	s_waitcnt lgkmcnt(0)
	s_barrier
	buffer_gl0_inv
	v_cmpx_ne_u32_e32 46, v0
	s_cbranch_execz .LBB46_199
; %bb.196:
	v_mov_b32_e32 v1, 0
	v_mov_b32_e32 v3, 0
	;; [unrolled: 1-line block ×4, first 2 shown]
	v_add_nc_u32_e32 v7, 16, v153
	s_mov_b32 s5, 0
	.p2align	6
.LBB46_197:                             ; =>This Inner Loop Header: Depth=1
	s_clause 0x3
	buffer_load_dword v16, v7, s[0:3], 0 offen offset:8
	buffer_load_dword v17, v7, s[0:3], 0 offen offset:12
	buffer_load_dword v18, v7, s[0:3], 0 offen
	buffer_load_dword v19, v7, s[0:3], 0 offen offset:4
	ds_read_b128 v[12:15], v5
	v_add_nc_u32_e32 v6, 1, v6
	v_add_nc_u32_e32 v5, 16, v5
	;; [unrolled: 1-line block ×3, first 2 shown]
	v_cmp_lt_u32_e32 vcc_lo, 44, v6
	s_or_b32 s5, vcc_lo, s5
	s_waitcnt vmcnt(2) lgkmcnt(0)
	v_mul_f64 v[20:21], v[14:15], v[16:17]
	v_mul_f64 v[16:17], v[12:13], v[16:17]
	s_waitcnt vmcnt(0)
	v_fma_f64 v[12:13], v[12:13], v[18:19], -v[20:21]
	v_fma_f64 v[14:15], v[14:15], v[18:19], v[16:17]
	v_add_f64 v[3:4], v[3:4], v[12:13]
	v_add_f64 v[1:2], v[1:2], v[14:15]
	s_andn2_b32 exec_lo, exec_lo, s5
	s_cbranch_execnz .LBB46_197
; %bb.198:
	s_or_b32 exec_lo, exec_lo, s5
	v_mov_b32_e32 v5, 0
	ds_read_b128 v[12:15], v5 offset:736
	s_waitcnt lgkmcnt(0)
	v_mul_f64 v[5:6], v[1:2], v[14:15]
	v_mul_f64 v[14:15], v[3:4], v[14:15]
	v_fma_f64 v[3:4], v[3:4], v[12:13], -v[5:6]
	v_fma_f64 v[1:2], v[1:2], v[12:13], v[14:15]
	buffer_store_dword v4, off, s[0:3], 0 offset:756
	buffer_store_dword v3, off, s[0:3], 0 offset:752
	;; [unrolled: 1-line block ×4, first 2 shown]
.LBB46_199:
	s_or_b32 exec_lo, exec_lo, s4
	s_mov_b32 s5, -1
	s_waitcnt_vscnt null, 0x0
	s_barrier
	buffer_gl0_inv
.LBB46_200:
	s_and_b32 vcc_lo, exec_lo, s5
	s_cbranch_vccz .LBB46_202
; %bb.201:
	s_lshl_b64 s[4:5], s[6:7], 2
	v_mov_b32_e32 v1, 0
	s_add_u32 s4, s10, s4
	s_addc_u32 s5, s11, s5
	global_load_dword v1, v1, s[4:5]
	s_waitcnt vmcnt(0)
	v_cmp_ne_u32_e32 vcc_lo, 0, v1
	s_cbranch_vccz .LBB46_203
.LBB46_202:
	s_endpgm
.LBB46_203:
	v_lshl_add_u32 v7, v0, 4, 0x2f0
	s_mov_b32 s4, exec_lo
	v_cmpx_eq_u32_e32 46, v0
	s_cbranch_execz .LBB46_205
; %bb.204:
	v_mov_b32_e32 v4, s9
	v_mov_b32_e32 v5, 0
	s_clause 0x3
	buffer_load_dword v1, v4, s[0:3], 0 offen
	buffer_load_dword v2, v4, s[0:3], 0 offen offset:4
	buffer_load_dword v3, v4, s[0:3], 0 offen offset:8
	;; [unrolled: 1-line block ×3, first 2 shown]
	buffer_store_dword v5, off, s[0:3], 0 offset:736
	buffer_store_dword v5, off, s[0:3], 0 offset:740
	;; [unrolled: 1-line block ×4, first 2 shown]
	s_waitcnt vmcnt(0)
	ds_write_b128 v7, v[1:4]
.LBB46_205:
	s_or_b32 exec_lo, exec_lo, s4
	s_waitcnt lgkmcnt(0)
	s_waitcnt_vscnt null, 0x0
	s_barrier
	buffer_gl0_inv
	s_clause 0x7
	buffer_load_dword v12, off, s[0:3], 0 offset:760
	buffer_load_dword v13, off, s[0:3], 0 offset:764
	buffer_load_dword v14, off, s[0:3], 0 offset:752
	buffer_load_dword v15, off, s[0:3], 0 offset:756
	buffer_load_dword v16, off, s[0:3], 0 offset:736
	buffer_load_dword v17, off, s[0:3], 0 offset:740
	buffer_load_dword v18, off, s[0:3], 0 offset:744
	buffer_load_dword v19, off, s[0:3], 0 offset:748
	v_mov_b32_e32 v1, 0
	s_mov_b32 s4, exec_lo
	ds_read_b128 v[2:5], v1 offset:1488
	s_waitcnt vmcnt(6) lgkmcnt(0)
	v_mul_f64 v[20:21], v[4:5], v[12:13]
	v_mul_f64 v[12:13], v[2:3], v[12:13]
	s_waitcnt vmcnt(4)
	v_fma_f64 v[2:3], v[2:3], v[14:15], -v[20:21]
	v_fma_f64 v[4:5], v[4:5], v[14:15], v[12:13]
	v_add_f64 v[2:3], v[2:3], 0
	v_add_f64 v[4:5], v[4:5], 0
	s_waitcnt vmcnt(2)
	v_add_f64 v[2:3], v[16:17], -v[2:3]
	s_waitcnt vmcnt(0)
	v_add_f64 v[4:5], v[18:19], -v[4:5]
	buffer_store_dword v2, off, s[0:3], 0 offset:736
	buffer_store_dword v3, off, s[0:3], 0 offset:740
	;; [unrolled: 1-line block ×4, first 2 shown]
	v_cmpx_lt_u32_e32 44, v0
	s_cbranch_execz .LBB46_207
; %bb.206:
	v_mov_b32_e32 v5, s12
	s_clause 0x3
	buffer_load_dword v2, v5, s[0:3], 0 offen
	buffer_load_dword v3, v5, s[0:3], 0 offen offset:4
	buffer_load_dword v4, v5, s[0:3], 0 offen offset:8
	;; [unrolled: 1-line block ×3, first 2 shown]
	buffer_store_dword v1, off, s[0:3], 0 offset:720
	buffer_store_dword v1, off, s[0:3], 0 offset:724
	;; [unrolled: 1-line block ×4, first 2 shown]
	s_waitcnt vmcnt(0)
	ds_write_b128 v7, v[2:5]
.LBB46_207:
	s_or_b32 exec_lo, exec_lo, s4
	s_waitcnt lgkmcnt(0)
	s_waitcnt_vscnt null, 0x0
	s_barrier
	buffer_gl0_inv
	s_clause 0xb
	buffer_load_dword v16, off, s[0:3], 0 offset:744
	buffer_load_dword v17, off, s[0:3], 0 offset:748
	;; [unrolled: 1-line block ×12, first 2 shown]
	ds_read_b128 v[2:5], v1 offset:1472
	ds_read_b128 v[12:15], v1 offset:1488
	s_mov_b32 s4, exec_lo
	s_waitcnt vmcnt(10) lgkmcnt(1)
	v_mul_f64 v[35:36], v[4:5], v[16:17]
	v_mul_f64 v[16:17], v[2:3], v[16:17]
	s_waitcnt vmcnt(8) lgkmcnt(0)
	v_mul_f64 v[37:38], v[14:15], v[18:19]
	v_mul_f64 v[18:19], v[12:13], v[18:19]
	s_waitcnt vmcnt(6)
	v_fma_f64 v[1:2], v[2:3], v[20:21], -v[35:36]
	v_fma_f64 v[3:4], v[4:5], v[20:21], v[16:17]
	s_waitcnt vmcnt(4)
	v_fma_f64 v[5:6], v[12:13], v[22:23], -v[37:38]
	v_fma_f64 v[12:13], v[14:15], v[22:23], v[18:19]
	v_add_f64 v[1:2], v[1:2], 0
	v_add_f64 v[3:4], v[3:4], 0
	v_add_f64 v[1:2], v[1:2], v[5:6]
	v_add_f64 v[3:4], v[3:4], v[12:13]
	s_waitcnt vmcnt(2)
	v_add_f64 v[1:2], v[31:32], -v[1:2]
	s_waitcnt vmcnt(0)
	v_add_f64 v[3:4], v[33:34], -v[3:4]
	buffer_store_dword v1, off, s[0:3], 0 offset:720
	buffer_store_dword v2, off, s[0:3], 0 offset:724
	;; [unrolled: 1-line block ×4, first 2 shown]
	v_cmpx_lt_u32_e32 43, v0
	s_cbranch_execz .LBB46_209
; %bb.208:
	v_mov_b32_e32 v4, s13
	v_mov_b32_e32 v5, 0
	s_clause 0x3
	buffer_load_dword v1, v4, s[0:3], 0 offen
	buffer_load_dword v2, v4, s[0:3], 0 offen offset:4
	buffer_load_dword v3, v4, s[0:3], 0 offen offset:8
	;; [unrolled: 1-line block ×3, first 2 shown]
	buffer_store_dword v5, off, s[0:3], 0 offset:704
	buffer_store_dword v5, off, s[0:3], 0 offset:708
	;; [unrolled: 1-line block ×4, first 2 shown]
	s_waitcnt vmcnt(0)
	ds_write_b128 v7, v[1:4]
.LBB46_209:
	s_or_b32 exec_lo, exec_lo, s4
	s_waitcnt lgkmcnt(0)
	s_waitcnt_vscnt null, 0x0
	s_barrier
	buffer_gl0_inv
	s_clause 0xf
	buffer_load_dword v16, off, s[0:3], 0 offset:728
	buffer_load_dword v17, off, s[0:3], 0 offset:732
	;; [unrolled: 1-line block ×16, first 2 shown]
	v_mov_b32_e32 v1, 0
	ds_read_b128 v[2:5], v1 offset:1456
	ds_read_b128 v[12:15], v1 offset:1472
	s_mov_b32 s4, exec_lo
	s_waitcnt vmcnt(14) lgkmcnt(1)
	v_mul_f64 v[45:46], v[4:5], v[16:17]
	v_mul_f64 v[47:48], v[2:3], v[16:17]
	s_waitcnt vmcnt(12) lgkmcnt(0)
	v_mul_f64 v[49:50], v[14:15], v[20:21]
	ds_read_b128 v[16:19], v1 offset:1488
	v_mul_f64 v[20:21], v[12:13], v[20:21]
	s_waitcnt vmcnt(10)
	v_fma_f64 v[2:3], v[2:3], v[22:23], -v[45:46]
	v_fma_f64 v[4:5], v[4:5], v[22:23], v[47:48]
	s_waitcnt vmcnt(8) lgkmcnt(0)
	v_mul_f64 v[22:23], v[16:17], v[31:32]
	v_mul_f64 v[31:32], v[18:19], v[31:32]
	s_waitcnt vmcnt(6)
	v_fma_f64 v[12:13], v[12:13], v[33:34], -v[49:50]
	v_fma_f64 v[14:15], v[14:15], v[33:34], v[20:21]
	v_add_f64 v[2:3], v[2:3], 0
	v_add_f64 v[4:5], v[4:5], 0
	s_waitcnt vmcnt(4)
	v_fma_f64 v[16:17], v[16:17], v[35:36], -v[31:32]
	v_add_f64 v[2:3], v[2:3], v[12:13]
	v_fma_f64 v[12:13], v[18:19], v[35:36], v[22:23]
	v_add_f64 v[4:5], v[4:5], v[14:15]
	v_add_f64 v[2:3], v[2:3], v[16:17]
	v_add_f64 v[4:5], v[4:5], v[12:13]
	s_waitcnt vmcnt(2)
	v_add_f64 v[2:3], v[37:38], -v[2:3]
	s_waitcnt vmcnt(0)
	v_add_f64 v[4:5], v[39:40], -v[4:5]
	buffer_store_dword v2, off, s[0:3], 0 offset:704
	buffer_store_dword v3, off, s[0:3], 0 offset:708
	buffer_store_dword v4, off, s[0:3], 0 offset:712
	buffer_store_dword v5, off, s[0:3], 0 offset:716
	v_cmpx_lt_u32_e32 42, v0
	s_cbranch_execz .LBB46_211
; %bb.210:
	v_mov_b32_e32 v5, s14
	s_clause 0x3
	buffer_load_dword v2, v5, s[0:3], 0 offen
	buffer_load_dword v3, v5, s[0:3], 0 offen offset:4
	buffer_load_dword v4, v5, s[0:3], 0 offen offset:8
	;; [unrolled: 1-line block ×3, first 2 shown]
	buffer_store_dword v1, off, s[0:3], 0 offset:688
	buffer_store_dword v1, off, s[0:3], 0 offset:692
	;; [unrolled: 1-line block ×4, first 2 shown]
	s_waitcnt vmcnt(0)
	ds_write_b128 v7, v[2:5]
.LBB46_211:
	s_or_b32 exec_lo, exec_lo, s4
	s_waitcnt lgkmcnt(0)
	s_waitcnt_vscnt null, 0x0
	s_barrier
	buffer_gl0_inv
	s_clause 0x13
	buffer_load_dword v16, off, s[0:3], 0 offset:712
	buffer_load_dword v17, off, s[0:3], 0 offset:716
	buffer_load_dword v20, off, s[0:3], 0 offset:728
	buffer_load_dword v21, off, s[0:3], 0 offset:732
	buffer_load_dword v22, off, s[0:3], 0 offset:704
	buffer_load_dword v23, off, s[0:3], 0 offset:708
	buffer_load_dword v31, off, s[0:3], 0 offset:744
	buffer_load_dword v32, off, s[0:3], 0 offset:748
	buffer_load_dword v33, off, s[0:3], 0 offset:720
	buffer_load_dword v34, off, s[0:3], 0 offset:724
	buffer_load_dword v36, off, s[0:3], 0 offset:764
	buffer_load_dword v35, off, s[0:3], 0 offset:760
	buffer_load_dword v37, off, s[0:3], 0 offset:736
	buffer_load_dword v38, off, s[0:3], 0 offset:740
	buffer_load_dword v40, off, s[0:3], 0 offset:756
	buffer_load_dword v39, off, s[0:3], 0 offset:752
	buffer_load_dword v45, off, s[0:3], 0 offset:688
	buffer_load_dword v46, off, s[0:3], 0 offset:692
	buffer_load_dword v47, off, s[0:3], 0 offset:696
	buffer_load_dword v48, off, s[0:3], 0 offset:700
	ds_read_b128 v[2:5], v1 offset:1440
	ds_read_b128 v[12:15], v1 offset:1456
	s_mov_b32 s4, exec_lo
	s_waitcnt vmcnt(18) lgkmcnt(1)
	v_mul_f64 v[49:50], v[4:5], v[16:17]
	v_mul_f64 v[51:52], v[2:3], v[16:17]
	s_waitcnt vmcnt(16) lgkmcnt(0)
	v_mul_f64 v[57:58], v[14:15], v[20:21]
	ds_read_b128 v[16:19], v1 offset:1472
	v_mul_f64 v[20:21], v[12:13], v[20:21]
	s_waitcnt vmcnt(14)
	v_fma_f64 v[49:50], v[2:3], v[22:23], -v[49:50]
	v_fma_f64 v[5:6], v[4:5], v[22:23], v[51:52]
	s_waitcnt vmcnt(12) lgkmcnt(0)
	v_mul_f64 v[22:23], v[16:17], v[31:32]
	v_mul_f64 v[31:32], v[18:19], v[31:32]
	s_waitcnt vmcnt(10)
	v_fma_f64 v[12:13], v[12:13], v[33:34], -v[57:58]
	ds_read_b128 v[1:4], v1 offset:1488
	v_fma_f64 v[14:15], v[14:15], v[33:34], v[20:21]
	v_add_f64 v[49:50], v[49:50], 0
	v_add_f64 v[5:6], v[5:6], 0
	s_waitcnt vmcnt(6)
	v_fma_f64 v[18:19], v[18:19], v[37:38], v[22:23]
	s_waitcnt lgkmcnt(0)
	v_mul_f64 v[33:34], v[3:4], v[35:36]
	v_fma_f64 v[16:17], v[16:17], v[37:38], -v[31:32]
	v_mul_f64 v[20:21], v[1:2], v[35:36]
	v_add_f64 v[12:13], v[49:50], v[12:13]
	v_add_f64 v[5:6], v[5:6], v[14:15]
	s_waitcnt vmcnt(4)
	v_fma_f64 v[1:2], v[1:2], v[39:40], -v[33:34]
	v_fma_f64 v[3:4], v[3:4], v[39:40], v[20:21]
	v_add_f64 v[12:13], v[12:13], v[16:17]
	v_add_f64 v[5:6], v[5:6], v[18:19]
	;; [unrolled: 1-line block ×4, first 2 shown]
	s_waitcnt vmcnt(2)
	v_add_f64 v[1:2], v[45:46], -v[1:2]
	s_waitcnt vmcnt(0)
	v_add_f64 v[3:4], v[47:48], -v[3:4]
	buffer_store_dword v1, off, s[0:3], 0 offset:688
	buffer_store_dword v2, off, s[0:3], 0 offset:692
	;; [unrolled: 1-line block ×4, first 2 shown]
	v_cmpx_lt_u32_e32 41, v0
	s_cbranch_execz .LBB46_213
; %bb.212:
	v_mov_b32_e32 v4, s15
	v_mov_b32_e32 v5, 0
	s_clause 0x3
	buffer_load_dword v1, v4, s[0:3], 0 offen
	buffer_load_dword v2, v4, s[0:3], 0 offen offset:4
	buffer_load_dword v3, v4, s[0:3], 0 offen offset:8
	;; [unrolled: 1-line block ×3, first 2 shown]
	buffer_store_dword v5, off, s[0:3], 0 offset:672
	buffer_store_dword v5, off, s[0:3], 0 offset:676
	;; [unrolled: 1-line block ×4, first 2 shown]
	s_waitcnt vmcnt(0)
	ds_write_b128 v7, v[1:4]
.LBB46_213:
	s_or_b32 exec_lo, exec_lo, s4
	s_waitcnt lgkmcnt(0)
	s_waitcnt_vscnt null, 0x0
	s_barrier
	buffer_gl0_inv
	s_clause 0x17
	buffer_load_dword v16, off, s[0:3], 0 offset:696
	buffer_load_dword v17, off, s[0:3], 0 offset:700
	;; [unrolled: 1-line block ×24, first 2 shown]
	v_mov_b32_e32 v1, 0
	ds_read_b128 v[2:5], v1 offset:1424
	ds_read_b128 v[12:15], v1 offset:1440
	s_mov_b32 s4, exec_lo
	s_waitcnt vmcnt(22) lgkmcnt(1)
	v_mul_f64 v[57:58], v[4:5], v[16:17]
	v_mul_f64 v[59:60], v[2:3], v[16:17]
	s_waitcnt vmcnt(20) lgkmcnt(0)
	v_mul_f64 v[61:62], v[14:15], v[20:21]
	ds_read_b128 v[16:19], v1 offset:1456
	v_mul_f64 v[20:21], v[12:13], v[20:21]
	s_waitcnt vmcnt(18)
	v_fma_f64 v[57:58], v[2:3], v[22:23], -v[57:58]
	v_fma_f64 v[22:23], v[4:5], v[22:23], v[59:60]
	ds_read_b128 v[2:5], v1 offset:1472
	s_waitcnt vmcnt(16) lgkmcnt(1)
	v_mul_f64 v[59:60], v[16:17], v[31:32]
	v_mul_f64 v[31:32], v[18:19], v[31:32]
	s_waitcnt vmcnt(14)
	v_fma_f64 v[61:62], v[12:13], v[33:34], -v[61:62]
	v_fma_f64 v[20:21], v[14:15], v[33:34], v[20:21]
	ds_read_b128 v[12:15], v1 offset:1488
	s_waitcnt vmcnt(10) lgkmcnt(1)
	v_mul_f64 v[33:34], v[2:3], v[35:36]
	v_add_f64 v[57:58], v[57:58], 0
	v_add_f64 v[22:23], v[22:23], 0
	v_mul_f64 v[35:36], v[4:5], v[35:36]
	s_waitcnt vmcnt(8)
	v_fma_f64 v[16:17], v[16:17], v[45:46], -v[31:32]
	v_fma_f64 v[18:19], v[18:19], v[45:46], v[59:60]
	s_waitcnt vmcnt(5)
	v_fma_f64 v[4:5], v[4:5], v[47:48], v[33:34]
	v_add_f64 v[31:32], v[57:58], v[61:62]
	v_add_f64 v[20:21], v[22:23], v[20:21]
	s_waitcnt lgkmcnt(0)
	v_mul_f64 v[22:23], v[12:13], v[37:38]
	v_mul_f64 v[37:38], v[14:15], v[37:38]
	v_fma_f64 v[2:3], v[2:3], v[47:48], -v[35:36]
	v_add_f64 v[16:17], v[31:32], v[16:17]
	v_add_f64 v[18:19], v[20:21], v[18:19]
	s_waitcnt vmcnt(4)
	v_fma_f64 v[14:15], v[14:15], v[39:40], v[22:23]
	v_fma_f64 v[12:13], v[12:13], v[39:40], -v[37:38]
	v_add_f64 v[2:3], v[16:17], v[2:3]
	v_add_f64 v[4:5], v[18:19], v[4:5]
	;; [unrolled: 1-line block ×4, first 2 shown]
	s_waitcnt vmcnt(2)
	v_add_f64 v[2:3], v[49:50], -v[2:3]
	s_waitcnt vmcnt(0)
	v_add_f64 v[4:5], v[51:52], -v[4:5]
	buffer_store_dword v3, off, s[0:3], 0 offset:676
	buffer_store_dword v2, off, s[0:3], 0 offset:672
	;; [unrolled: 1-line block ×4, first 2 shown]
	v_cmpx_lt_u32_e32 40, v0
	s_cbranch_execz .LBB46_215
; %bb.214:
	v_mov_b32_e32 v5, s16
	s_clause 0x3
	buffer_load_dword v2, v5, s[0:3], 0 offen
	buffer_load_dword v3, v5, s[0:3], 0 offen offset:4
	buffer_load_dword v4, v5, s[0:3], 0 offen offset:8
	;; [unrolled: 1-line block ×3, first 2 shown]
	buffer_store_dword v1, off, s[0:3], 0 offset:656
	buffer_store_dword v1, off, s[0:3], 0 offset:660
	;; [unrolled: 1-line block ×4, first 2 shown]
	s_waitcnt vmcnt(0)
	ds_write_b128 v7, v[2:5]
.LBB46_215:
	s_or_b32 exec_lo, exec_lo, s4
	s_waitcnt lgkmcnt(0)
	s_waitcnt_vscnt null, 0x0
	s_barrier
	buffer_gl0_inv
	s_clause 0x1b
	buffer_load_dword v16, off, s[0:3], 0 offset:680
	buffer_load_dword v17, off, s[0:3], 0 offset:684
	;; [unrolled: 1-line block ×28, first 2 shown]
	ds_read_b128 v[2:5], v1 offset:1408
	ds_read_b128 v[12:15], v1 offset:1424
	s_mov_b32 s4, exec_lo
	s_waitcnt vmcnt(26) lgkmcnt(1)
	v_mul_f64 v[61:62], v[4:5], v[16:17]
	v_mul_f64 v[63:64], v[2:3], v[16:17]
	s_waitcnt vmcnt(24) lgkmcnt(0)
	v_mul_f64 v[65:66], v[14:15], v[20:21]
	ds_read_b128 v[16:19], v1 offset:1440
	v_mul_f64 v[20:21], v[12:13], v[20:21]
	s_waitcnt vmcnt(22)
	v_fma_f64 v[61:62], v[2:3], v[22:23], -v[61:62]
	v_fma_f64 v[22:23], v[4:5], v[22:23], v[63:64]
	ds_read_b128 v[2:5], v1 offset:1456
	s_waitcnt vmcnt(20) lgkmcnt(1)
	v_mul_f64 v[63:64], v[16:17], v[31:32]
	v_mul_f64 v[31:32], v[18:19], v[31:32]
	s_waitcnt vmcnt(18)
	v_fma_f64 v[65:66], v[12:13], v[33:34], -v[65:66]
	v_fma_f64 v[20:21], v[14:15], v[33:34], v[20:21]
	ds_read_b128 v[12:15], v1 offset:1472
	s_waitcnt vmcnt(14) lgkmcnt(1)
	v_mul_f64 v[33:34], v[2:3], v[35:36]
	v_add_f64 v[61:62], v[61:62], 0
	v_add_f64 v[22:23], v[22:23], 0
	v_mul_f64 v[35:36], v[4:5], v[35:36]
	s_waitcnt vmcnt(12)
	v_fma_f64 v[31:32], v[16:17], v[45:46], -v[31:32]
	v_fma_f64 v[45:46], v[18:19], v[45:46], v[63:64]
	ds_read_b128 v[16:19], v1 offset:1488
	v_add_f64 v[61:62], v[61:62], v[65:66]
	v_add_f64 v[20:21], v[22:23], v[20:21]
	s_waitcnt vmcnt(11) lgkmcnt(1)
	v_mul_f64 v[22:23], v[12:13], v[37:38]
	v_mul_f64 v[37:38], v[14:15], v[37:38]
	s_waitcnt vmcnt(9)
	v_fma_f64 v[1:2], v[2:3], v[47:48], -v[35:36]
	v_fma_f64 v[3:4], v[4:5], v[47:48], v[33:34]
	s_waitcnt vmcnt(7) lgkmcnt(0)
	v_mul_f64 v[33:34], v[18:19], v[49:50]
	v_add_f64 v[31:32], v[61:62], v[31:32]
	v_add_f64 v[5:6], v[20:21], v[45:46]
	v_mul_f64 v[20:21], v[16:17], v[49:50]
	s_waitcnt vmcnt(6)
	v_fma_f64 v[12:13], v[12:13], v[39:40], -v[37:38]
	v_fma_f64 v[14:15], v[14:15], v[39:40], v[22:23]
	v_add_f64 v[1:2], v[31:32], v[1:2]
	v_add_f64 v[3:4], v[5:6], v[3:4]
	s_waitcnt vmcnt(4)
	v_fma_f64 v[5:6], v[16:17], v[51:52], -v[33:34]
	v_add_f64 v[1:2], v[1:2], v[12:13]
	v_fma_f64 v[12:13], v[18:19], v[51:52], v[20:21]
	v_add_f64 v[3:4], v[3:4], v[14:15]
	v_add_f64 v[1:2], v[1:2], v[5:6]
	;; [unrolled: 1-line block ×3, first 2 shown]
	s_waitcnt vmcnt(2)
	v_add_f64 v[1:2], v[57:58], -v[1:2]
	s_waitcnt vmcnt(0)
	v_add_f64 v[3:4], v[59:60], -v[3:4]
	buffer_store_dword v2, off, s[0:3], 0 offset:660
	buffer_store_dword v1, off, s[0:3], 0 offset:656
	;; [unrolled: 1-line block ×4, first 2 shown]
	v_cmpx_lt_u32_e32 39, v0
	s_cbranch_execz .LBB46_217
; %bb.216:
	v_mov_b32_e32 v4, s17
	v_mov_b32_e32 v5, 0
	s_clause 0x3
	buffer_load_dword v1, v4, s[0:3], 0 offen
	buffer_load_dword v2, v4, s[0:3], 0 offen offset:4
	buffer_load_dword v3, v4, s[0:3], 0 offen offset:8
	;; [unrolled: 1-line block ×3, first 2 shown]
	buffer_store_dword v5, off, s[0:3], 0 offset:640
	buffer_store_dword v5, off, s[0:3], 0 offset:644
	;; [unrolled: 1-line block ×4, first 2 shown]
	s_waitcnt vmcnt(0)
	ds_write_b128 v7, v[1:4]
.LBB46_217:
	s_or_b32 exec_lo, exec_lo, s4
	s_waitcnt lgkmcnt(0)
	s_waitcnt_vscnt null, 0x0
	s_barrier
	buffer_gl0_inv
	s_clause 0x1f
	buffer_load_dword v16, off, s[0:3], 0 offset:664
	buffer_load_dword v17, off, s[0:3], 0 offset:668
	;; [unrolled: 1-line block ×32, first 2 shown]
	v_mov_b32_e32 v1, 0
	ds_read_b128 v[2:5], v1 offset:1392
	ds_read_b128 v[12:15], v1 offset:1408
	s_mov_b32 s4, exec_lo
	s_waitcnt vmcnt(30) lgkmcnt(1)
	v_mul_f64 v[65:66], v[4:5], v[16:17]
	v_mul_f64 v[67:68], v[2:3], v[16:17]
	s_waitcnt vmcnt(28) lgkmcnt(0)
	v_mul_f64 v[73:74], v[14:15], v[20:21]
	ds_read_b128 v[16:19], v1 offset:1424
	v_mul_f64 v[20:21], v[12:13], v[20:21]
	s_waitcnt vmcnt(26)
	v_fma_f64 v[65:66], v[2:3], v[22:23], -v[65:66]
	v_fma_f64 v[22:23], v[4:5], v[22:23], v[67:68]
	ds_read_b128 v[2:5], v1 offset:1440
	s_waitcnt vmcnt(24) lgkmcnt(1)
	v_mul_f64 v[67:68], v[16:17], v[31:32]
	v_mul_f64 v[31:32], v[18:19], v[31:32]
	s_waitcnt vmcnt(22)
	v_fma_f64 v[73:74], v[12:13], v[33:34], -v[73:74]
	v_fma_f64 v[20:21], v[14:15], v[33:34], v[20:21]
	ds_read_b128 v[12:15], v1 offset:1456
	s_waitcnt vmcnt(18) lgkmcnt(1)
	v_mul_f64 v[33:34], v[2:3], v[35:36]
	v_add_f64 v[65:66], v[65:66], 0
	v_add_f64 v[22:23], v[22:23], 0
	v_mul_f64 v[35:36], v[4:5], v[35:36]
	s_waitcnt vmcnt(16)
	v_fma_f64 v[31:32], v[16:17], v[45:46], -v[31:32]
	v_fma_f64 v[45:46], v[18:19], v[45:46], v[67:68]
	ds_read_b128 v[16:19], v1 offset:1472
	s_waitcnt vmcnt(13)
	v_fma_f64 v[33:34], v[4:5], v[47:48], v[33:34]
	v_add_f64 v[65:66], v[65:66], v[73:74]
	v_add_f64 v[20:21], v[22:23], v[20:21]
	s_waitcnt lgkmcnt(1)
	v_mul_f64 v[22:23], v[12:13], v[37:38]
	v_mul_f64 v[37:38], v[14:15], v[37:38]
	v_fma_f64 v[35:36], v[2:3], v[47:48], -v[35:36]
	s_waitcnt vmcnt(9) lgkmcnt(0)
	v_mul_f64 v[47:48], v[18:19], v[49:50]
	ds_read_b128 v[2:5], v1 offset:1488
	v_add_f64 v[31:32], v[65:66], v[31:32]
	v_add_f64 v[20:21], v[20:21], v[45:46]
	v_mul_f64 v[45:46], v[16:17], v[49:50]
	s_waitcnt vmcnt(8)
	v_fma_f64 v[12:13], v[12:13], v[39:40], -v[37:38]
	v_fma_f64 v[14:15], v[14:15], v[39:40], v[22:23]
	s_waitcnt vmcnt(5)
	v_fma_f64 v[16:17], v[16:17], v[59:60], -v[47:48]
	s_waitcnt lgkmcnt(0)
	v_mul_f64 v[22:23], v[2:3], v[51:52]
	v_add_f64 v[31:32], v[31:32], v[35:36]
	v_add_f64 v[20:21], v[20:21], v[33:34]
	v_mul_f64 v[33:34], v[4:5], v[51:52]
	v_fma_f64 v[18:19], v[18:19], v[59:60], v[45:46]
	s_waitcnt vmcnt(4)
	v_fma_f64 v[4:5], v[4:5], v[57:58], v[22:23]
	v_add_f64 v[12:13], v[31:32], v[12:13]
	v_add_f64 v[14:15], v[20:21], v[14:15]
	v_fma_f64 v[2:3], v[2:3], v[57:58], -v[33:34]
	v_add_f64 v[12:13], v[12:13], v[16:17]
	v_add_f64 v[14:15], v[14:15], v[18:19]
	;; [unrolled: 1-line block ×4, first 2 shown]
	s_waitcnt vmcnt(2)
	v_add_f64 v[2:3], v[61:62], -v[2:3]
	s_waitcnt vmcnt(0)
	v_add_f64 v[4:5], v[63:64], -v[4:5]
	buffer_store_dword v3, off, s[0:3], 0 offset:644
	buffer_store_dword v2, off, s[0:3], 0 offset:640
	buffer_store_dword v5, off, s[0:3], 0 offset:652
	buffer_store_dword v4, off, s[0:3], 0 offset:648
	v_cmpx_lt_u32_e32 38, v0
	s_cbranch_execz .LBB46_219
; %bb.218:
	v_mov_b32_e32 v5, s18
	s_clause 0x3
	buffer_load_dword v2, v5, s[0:3], 0 offen
	buffer_load_dword v3, v5, s[0:3], 0 offen offset:4
	buffer_load_dword v4, v5, s[0:3], 0 offen offset:8
	;; [unrolled: 1-line block ×3, first 2 shown]
	buffer_store_dword v1, off, s[0:3], 0 offset:624
	buffer_store_dword v1, off, s[0:3], 0 offset:628
	;; [unrolled: 1-line block ×4, first 2 shown]
	s_waitcnt vmcnt(0)
	ds_write_b128 v7, v[2:5]
.LBB46_219:
	s_or_b32 exec_lo, exec_lo, s4
	s_waitcnt lgkmcnt(0)
	s_waitcnt_vscnt null, 0x0
	s_barrier
	buffer_gl0_inv
	s_clause 0x23
	buffer_load_dword v16, off, s[0:3], 0 offset:648
	buffer_load_dword v17, off, s[0:3], 0 offset:652
	;; [unrolled: 1-line block ×36, first 2 shown]
	ds_read_b128 v[2:5], v1 offset:1376
	ds_read_b128 v[12:15], v1 offset:1392
	s_mov_b32 s4, exec_lo
	s_waitcnt vmcnt(34) lgkmcnt(1)
	v_mul_f64 v[73:74], v[4:5], v[16:17]
	v_mul_f64 v[75:76], v[2:3], v[16:17]
	s_waitcnt vmcnt(32) lgkmcnt(0)
	v_mul_f64 v[77:78], v[14:15], v[20:21]
	ds_read_b128 v[16:19], v1 offset:1408
	v_mul_f64 v[20:21], v[12:13], v[20:21]
	s_waitcnt vmcnt(30)
	v_fma_f64 v[73:74], v[2:3], v[22:23], -v[73:74]
	v_fma_f64 v[22:23], v[4:5], v[22:23], v[75:76]
	ds_read_b128 v[2:5], v1 offset:1424
	s_waitcnt vmcnt(28) lgkmcnt(1)
	v_mul_f64 v[75:76], v[16:17], v[31:32]
	v_mul_f64 v[31:32], v[18:19], v[31:32]
	s_waitcnt vmcnt(26)
	v_fma_f64 v[77:78], v[12:13], v[33:34], -v[77:78]
	v_fma_f64 v[20:21], v[14:15], v[33:34], v[20:21]
	ds_read_b128 v[12:15], v1 offset:1440
	s_waitcnt vmcnt(22) lgkmcnt(1)
	v_mul_f64 v[33:34], v[2:3], v[35:36]
	v_add_f64 v[73:74], v[73:74], 0
	v_add_f64 v[22:23], v[22:23], 0
	v_mul_f64 v[35:36], v[4:5], v[35:36]
	s_waitcnt vmcnt(20)
	v_fma_f64 v[31:32], v[16:17], v[45:46], -v[31:32]
	v_fma_f64 v[45:46], v[18:19], v[45:46], v[75:76]
	ds_read_b128 v[16:19], v1 offset:1456
	s_waitcnt vmcnt(17)
	v_fma_f64 v[33:34], v[4:5], v[47:48], v[33:34]
	v_add_f64 v[73:74], v[73:74], v[77:78]
	v_add_f64 v[20:21], v[22:23], v[20:21]
	s_waitcnt lgkmcnt(1)
	v_mul_f64 v[22:23], v[12:13], v[37:38]
	v_mul_f64 v[37:38], v[14:15], v[37:38]
	v_fma_f64 v[35:36], v[2:3], v[47:48], -v[35:36]
	s_waitcnt vmcnt(13) lgkmcnt(0)
	v_mul_f64 v[47:48], v[18:19], v[49:50]
	ds_read_b128 v[2:5], v1 offset:1472
	v_add_f64 v[31:32], v[73:74], v[31:32]
	v_add_f64 v[20:21], v[20:21], v[45:46]
	v_mul_f64 v[45:46], v[16:17], v[49:50]
	s_waitcnt vmcnt(12)
	v_fma_f64 v[37:38], v[12:13], v[39:40], -v[37:38]
	v_fma_f64 v[22:23], v[14:15], v[39:40], v[22:23]
	ds_read_b128 v[12:15], v1 offset:1488
	s_waitcnt vmcnt(9)
	v_fma_f64 v[16:17], v[16:17], v[59:60], -v[47:48]
	v_add_f64 v[31:32], v[31:32], v[35:36]
	v_add_f64 v[20:21], v[20:21], v[33:34]
	s_waitcnt lgkmcnt(1)
	v_mul_f64 v[35:36], v[4:5], v[51:52]
	v_mul_f64 v[33:34], v[2:3], v[51:52]
	v_fma_f64 v[18:19], v[18:19], v[59:60], v[45:46]
	v_add_f64 v[31:32], v[31:32], v[37:38]
	v_add_f64 v[20:21], v[20:21], v[22:23]
	s_waitcnt vmcnt(7) lgkmcnt(0)
	v_mul_f64 v[37:38], v[14:15], v[61:62]
	s_waitcnt vmcnt(6)
	v_fma_f64 v[1:2], v[2:3], v[57:58], -v[35:36]
	v_mul_f64 v[22:23], v[12:13], v[61:62]
	v_fma_f64 v[3:4], v[4:5], v[57:58], v[33:34]
	v_add_f64 v[16:17], v[31:32], v[16:17]
	v_add_f64 v[5:6], v[20:21], v[18:19]
	s_waitcnt vmcnt(4)
	v_fma_f64 v[12:13], v[12:13], v[63:64], -v[37:38]
	v_fma_f64 v[14:15], v[14:15], v[63:64], v[22:23]
	v_add_f64 v[1:2], v[16:17], v[1:2]
	v_add_f64 v[3:4], v[5:6], v[3:4]
	;; [unrolled: 1-line block ×4, first 2 shown]
	s_waitcnt vmcnt(2)
	v_add_f64 v[1:2], v[65:66], -v[1:2]
	s_waitcnt vmcnt(0)
	v_add_f64 v[3:4], v[67:68], -v[3:4]
	buffer_store_dword v2, off, s[0:3], 0 offset:628
	buffer_store_dword v1, off, s[0:3], 0 offset:624
	;; [unrolled: 1-line block ×4, first 2 shown]
	v_cmpx_lt_u32_e32 37, v0
	s_cbranch_execz .LBB46_221
; %bb.220:
	v_mov_b32_e32 v4, s19
	v_mov_b32_e32 v5, 0
	s_clause 0x3
	buffer_load_dword v1, v4, s[0:3], 0 offen
	buffer_load_dword v2, v4, s[0:3], 0 offen offset:4
	buffer_load_dword v3, v4, s[0:3], 0 offen offset:8
	;; [unrolled: 1-line block ×3, first 2 shown]
	buffer_store_dword v5, off, s[0:3], 0 offset:608
	buffer_store_dword v5, off, s[0:3], 0 offset:612
	;; [unrolled: 1-line block ×4, first 2 shown]
	s_waitcnt vmcnt(0)
	ds_write_b128 v7, v[1:4]
.LBB46_221:
	s_or_b32 exec_lo, exec_lo, s4
	s_waitcnt lgkmcnt(0)
	s_waitcnt_vscnt null, 0x0
	s_barrier
	buffer_gl0_inv
	s_clause 0x27
	buffer_load_dword v16, off, s[0:3], 0 offset:632
	buffer_load_dword v17, off, s[0:3], 0 offset:636
	;; [unrolled: 1-line block ×40, first 2 shown]
	v_mov_b32_e32 v1, 0
	ds_read_b128 v[2:5], v1 offset:1360
	ds_read_b128 v[12:15], v1 offset:1376
	s_mov_b32 s4, exec_lo
	s_waitcnt vmcnt(38) lgkmcnt(1)
	v_mul_f64 v[77:78], v[4:5], v[16:17]
	v_mul_f64 v[79:80], v[2:3], v[16:17]
	s_waitcnt vmcnt(36) lgkmcnt(0)
	v_mul_f64 v[153:154], v[14:15], v[20:21]
	ds_read_b128 v[16:19], v1 offset:1392
	v_mul_f64 v[20:21], v[12:13], v[20:21]
	s_waitcnt vmcnt(34)
	v_fma_f64 v[77:78], v[2:3], v[22:23], -v[77:78]
	v_fma_f64 v[22:23], v[4:5], v[22:23], v[79:80]
	ds_read_b128 v[2:5], v1 offset:1408
	s_waitcnt vmcnt(32) lgkmcnt(1)
	v_mul_f64 v[79:80], v[16:17], v[31:32]
	v_mul_f64 v[31:32], v[18:19], v[31:32]
	s_waitcnt vmcnt(30)
	v_fma_f64 v[153:154], v[12:13], v[33:34], -v[153:154]
	v_fma_f64 v[20:21], v[14:15], v[33:34], v[20:21]
	ds_read_b128 v[12:15], v1 offset:1424
	s_waitcnt vmcnt(26) lgkmcnt(1)
	v_mul_f64 v[33:34], v[2:3], v[35:36]
	v_add_f64 v[77:78], v[77:78], 0
	v_add_f64 v[22:23], v[22:23], 0
	v_mul_f64 v[35:36], v[4:5], v[35:36]
	s_waitcnt vmcnt(24)
	v_fma_f64 v[31:32], v[16:17], v[45:46], -v[31:32]
	v_fma_f64 v[45:46], v[18:19], v[45:46], v[79:80]
	ds_read_b128 v[16:19], v1 offset:1440
	s_waitcnt vmcnt(21)
	v_fma_f64 v[33:34], v[4:5], v[47:48], v[33:34]
	v_add_f64 v[77:78], v[77:78], v[153:154]
	v_add_f64 v[20:21], v[22:23], v[20:21]
	s_waitcnt lgkmcnt(1)
	v_mul_f64 v[22:23], v[12:13], v[37:38]
	v_mul_f64 v[37:38], v[14:15], v[37:38]
	v_fma_f64 v[35:36], v[2:3], v[47:48], -v[35:36]
	s_waitcnt vmcnt(17) lgkmcnt(0)
	v_mul_f64 v[47:48], v[18:19], v[49:50]
	ds_read_b128 v[2:5], v1 offset:1456
	v_add_f64 v[31:32], v[77:78], v[31:32]
	v_add_f64 v[20:21], v[20:21], v[45:46]
	v_mul_f64 v[45:46], v[16:17], v[49:50]
	s_waitcnt vmcnt(16)
	v_fma_f64 v[37:38], v[12:13], v[39:40], -v[37:38]
	v_fma_f64 v[22:23], v[14:15], v[39:40], v[22:23]
	ds_read_b128 v[12:15], v1 offset:1472
	s_waitcnt vmcnt(13)
	v_fma_f64 v[39:40], v[16:17], v[59:60], -v[47:48]
	v_add_f64 v[31:32], v[31:32], v[35:36]
	v_add_f64 v[20:21], v[20:21], v[33:34]
	s_waitcnt lgkmcnt(1)
	v_mul_f64 v[35:36], v[4:5], v[51:52]
	v_mul_f64 v[33:34], v[2:3], v[51:52]
	v_add_f64 v[31:32], v[31:32], v[37:38]
	v_fma_f64 v[37:38], v[18:19], v[59:60], v[45:46]
	v_add_f64 v[20:21], v[20:21], v[22:23]
	s_waitcnt vmcnt(9) lgkmcnt(0)
	v_mul_f64 v[45:46], v[14:15], v[61:62]
	s_waitcnt vmcnt(8)
	v_fma_f64 v[2:3], v[2:3], v[57:58], -v[35:36]
	ds_read_b128 v[16:19], v1 offset:1488
	v_mul_f64 v[22:23], v[12:13], v[61:62]
	v_fma_f64 v[4:5], v[4:5], v[57:58], v[33:34]
	v_add_f64 v[31:32], v[31:32], v[39:40]
	v_add_f64 v[20:21], v[20:21], v[37:38]
	s_waitcnt vmcnt(7) lgkmcnt(0)
	v_mul_f64 v[35:36], v[18:19], v[63:64]
	s_waitcnt vmcnt(5)
	v_fma_f64 v[12:13], v[12:13], v[67:68], -v[45:46]
	v_mul_f64 v[33:34], v[16:17], v[63:64]
	v_fma_f64 v[14:15], v[14:15], v[67:68], v[22:23]
	v_add_f64 v[2:3], v[31:32], v[2:3]
	v_add_f64 v[4:5], v[20:21], v[4:5]
	s_waitcnt vmcnt(4)
	v_fma_f64 v[16:17], v[16:17], v[65:66], -v[35:36]
	v_add_f64 v[2:3], v[2:3], v[12:13]
	v_fma_f64 v[12:13], v[18:19], v[65:66], v[33:34]
	v_add_f64 v[4:5], v[4:5], v[14:15]
	v_add_f64 v[2:3], v[2:3], v[16:17]
	;; [unrolled: 1-line block ×3, first 2 shown]
	s_waitcnt vmcnt(2)
	v_add_f64 v[2:3], v[73:74], -v[2:3]
	s_waitcnt vmcnt(0)
	v_add_f64 v[4:5], v[75:76], -v[4:5]
	buffer_store_dword v3, off, s[0:3], 0 offset:612
	buffer_store_dword v2, off, s[0:3], 0 offset:608
	;; [unrolled: 1-line block ×4, first 2 shown]
	v_cmpx_lt_u32_e32 36, v0
	s_cbranch_execz .LBB46_223
; %bb.222:
	v_mov_b32_e32 v5, s22
	s_clause 0x3
	buffer_load_dword v2, v5, s[0:3], 0 offen
	buffer_load_dword v3, v5, s[0:3], 0 offen offset:4
	buffer_load_dword v4, v5, s[0:3], 0 offen offset:8
	;; [unrolled: 1-line block ×3, first 2 shown]
	buffer_store_dword v1, off, s[0:3], 0 offset:592
	buffer_store_dword v1, off, s[0:3], 0 offset:596
	;; [unrolled: 1-line block ×4, first 2 shown]
	s_waitcnt vmcnt(0)
	ds_write_b128 v7, v[2:5]
.LBB46_223:
	s_or_b32 exec_lo, exec_lo, s4
	s_waitcnt lgkmcnt(0)
	s_waitcnt_vscnt null, 0x0
	s_barrier
	buffer_gl0_inv
	s_clause 0x2b
	buffer_load_dword v16, off, s[0:3], 0 offset:616
	buffer_load_dword v17, off, s[0:3], 0 offset:620
	;; [unrolled: 1-line block ×44, first 2 shown]
	ds_read_b128 v[2:5], v1 offset:1344
	ds_read_b128 v[12:15], v1 offset:1360
	s_mov_b32 s4, exec_lo
	s_waitcnt vmcnt(42) lgkmcnt(1)
	v_mul_f64 v[153:154], v[4:5], v[16:17]
	v_mul_f64 v[155:156], v[2:3], v[16:17]
	s_waitcnt vmcnt(40) lgkmcnt(0)
	v_mul_f64 v[157:158], v[14:15], v[20:21]
	ds_read_b128 v[16:19], v1 offset:1376
	v_mul_f64 v[20:21], v[12:13], v[20:21]
	s_waitcnt vmcnt(38)
	v_fma_f64 v[153:154], v[2:3], v[22:23], -v[153:154]
	v_fma_f64 v[22:23], v[4:5], v[22:23], v[155:156]
	ds_read_b128 v[2:5], v1 offset:1392
	s_waitcnt vmcnt(36) lgkmcnt(1)
	v_mul_f64 v[155:156], v[16:17], v[31:32]
	v_mul_f64 v[31:32], v[18:19], v[31:32]
	s_waitcnt vmcnt(34)
	v_fma_f64 v[157:158], v[12:13], v[33:34], -v[157:158]
	v_fma_f64 v[20:21], v[14:15], v[33:34], v[20:21]
	ds_read_b128 v[12:15], v1 offset:1408
	s_waitcnt vmcnt(30) lgkmcnt(1)
	v_mul_f64 v[33:34], v[2:3], v[35:36]
	v_add_f64 v[153:154], v[153:154], 0
	v_add_f64 v[22:23], v[22:23], 0
	v_mul_f64 v[35:36], v[4:5], v[35:36]
	s_waitcnt vmcnt(28)
	v_fma_f64 v[31:32], v[16:17], v[45:46], -v[31:32]
	v_fma_f64 v[45:46], v[18:19], v[45:46], v[155:156]
	ds_read_b128 v[16:19], v1 offset:1424
	s_waitcnt vmcnt(25)
	v_fma_f64 v[33:34], v[4:5], v[47:48], v[33:34]
	v_add_f64 v[153:154], v[153:154], v[157:158]
	v_add_f64 v[20:21], v[22:23], v[20:21]
	s_waitcnt lgkmcnt(1)
	v_mul_f64 v[22:23], v[12:13], v[37:38]
	v_mul_f64 v[37:38], v[14:15], v[37:38]
	v_fma_f64 v[35:36], v[2:3], v[47:48], -v[35:36]
	s_waitcnt vmcnt(21) lgkmcnt(0)
	v_mul_f64 v[47:48], v[18:19], v[49:50]
	ds_read_b128 v[2:5], v1 offset:1440
	v_add_f64 v[31:32], v[153:154], v[31:32]
	v_add_f64 v[20:21], v[20:21], v[45:46]
	v_mul_f64 v[45:46], v[16:17], v[49:50]
	s_waitcnt vmcnt(20)
	v_fma_f64 v[37:38], v[12:13], v[39:40], -v[37:38]
	v_fma_f64 v[22:23], v[14:15], v[39:40], v[22:23]
	ds_read_b128 v[12:15], v1 offset:1456
	s_waitcnt vmcnt(17)
	v_fma_f64 v[39:40], v[16:17], v[59:60], -v[47:48]
	v_add_f64 v[31:32], v[31:32], v[35:36]
	v_add_f64 v[20:21], v[20:21], v[33:34]
	s_waitcnt lgkmcnt(1)
	v_mul_f64 v[35:36], v[4:5], v[51:52]
	v_mul_f64 v[33:34], v[2:3], v[51:52]
	v_add_f64 v[31:32], v[31:32], v[37:38]
	v_fma_f64 v[37:38], v[18:19], v[59:60], v[45:46]
	v_add_f64 v[20:21], v[20:21], v[22:23]
	s_waitcnt vmcnt(13) lgkmcnt(0)
	v_mul_f64 v[45:46], v[14:15], v[61:62]
	s_waitcnt vmcnt(12)
	v_fma_f64 v[35:36], v[2:3], v[57:58], -v[35:36]
	ds_read_b128 v[16:19], v1 offset:1472
	v_mul_f64 v[22:23], v[12:13], v[61:62]
	v_fma_f64 v[5:6], v[4:5], v[57:58], v[33:34]
	ds_read_b128 v[1:4], v1 offset:1488
	v_add_f64 v[31:32], v[31:32], v[39:40]
	v_add_f64 v[20:21], v[20:21], v[37:38]
	s_waitcnt vmcnt(11) lgkmcnt(1)
	v_mul_f64 v[37:38], v[18:19], v[63:64]
	s_waitcnt vmcnt(9)
	v_fma_f64 v[12:13], v[12:13], v[67:68], -v[45:46]
	v_mul_f64 v[33:34], v[16:17], v[63:64]
	v_fma_f64 v[14:15], v[14:15], v[67:68], v[22:23]
	s_waitcnt vmcnt(7) lgkmcnt(0)
	v_mul_f64 v[22:23], v[3:4], v[73:74]
	v_add_f64 v[31:32], v[31:32], v[35:36]
	v_add_f64 v[5:6], v[20:21], v[5:6]
	s_waitcnt vmcnt(6)
	v_fma_f64 v[16:17], v[16:17], v[65:66], -v[37:38]
	v_mul_f64 v[20:21], v[1:2], v[73:74]
	v_fma_f64 v[18:19], v[18:19], v[65:66], v[33:34]
	s_waitcnt vmcnt(4)
	v_fma_f64 v[1:2], v[1:2], v[75:76], -v[22:23]
	v_add_f64 v[12:13], v[31:32], v[12:13]
	v_add_f64 v[5:6], v[5:6], v[14:15]
	v_fma_f64 v[3:4], v[3:4], v[75:76], v[20:21]
	v_add_f64 v[12:13], v[12:13], v[16:17]
	v_add_f64 v[5:6], v[5:6], v[18:19]
	;; [unrolled: 1-line block ×4, first 2 shown]
	s_waitcnt vmcnt(2)
	v_add_f64 v[1:2], v[77:78], -v[1:2]
	s_waitcnt vmcnt(0)
	v_add_f64 v[3:4], v[79:80], -v[3:4]
	buffer_store_dword v2, off, s[0:3], 0 offset:596
	buffer_store_dword v1, off, s[0:3], 0 offset:592
	;; [unrolled: 1-line block ×4, first 2 shown]
	v_cmpx_lt_u32_e32 35, v0
	s_cbranch_execz .LBB46_225
; %bb.224:
	v_mov_b32_e32 v4, s23
	v_mov_b32_e32 v5, 0
	s_clause 0x3
	buffer_load_dword v1, v4, s[0:3], 0 offen
	buffer_load_dword v2, v4, s[0:3], 0 offen offset:4
	buffer_load_dword v3, v4, s[0:3], 0 offen offset:8
	;; [unrolled: 1-line block ×3, first 2 shown]
	buffer_store_dword v5, off, s[0:3], 0 offset:576
	buffer_store_dword v5, off, s[0:3], 0 offset:580
	;; [unrolled: 1-line block ×4, first 2 shown]
	s_waitcnt vmcnt(0)
	ds_write_b128 v7, v[1:4]
.LBB46_225:
	s_or_b32 exec_lo, exec_lo, s4
	s_waitcnt lgkmcnt(0)
	s_waitcnt_vscnt null, 0x0
	s_barrier
	buffer_gl0_inv
	s_clause 0x2f
	buffer_load_dword v16, off, s[0:3], 0 offset:600
	buffer_load_dword v17, off, s[0:3], 0 offset:604
	;; [unrolled: 1-line block ×48, first 2 shown]
	v_mov_b32_e32 v1, 0
	s_mov_b32 s4, exec_lo
	ds_read_b128 v[2:5], v1 offset:1328
	ds_read_b128 v[12:15], v1 offset:1344
	s_waitcnt vmcnt(46) lgkmcnt(1)
	v_mul_f64 v[157:158], v[4:5], v[16:17]
	v_mul_f64 v[159:160], v[2:3], v[16:17]
	s_waitcnt vmcnt(44) lgkmcnt(0)
	v_mul_f64 v[161:162], v[14:15], v[20:21]
	ds_read_b128 v[16:19], v1 offset:1360
	v_mul_f64 v[20:21], v[12:13], v[20:21]
	s_waitcnt vmcnt(42)
	v_fma_f64 v[157:158], v[2:3], v[22:23], -v[157:158]
	v_fma_f64 v[22:23], v[4:5], v[22:23], v[159:160]
	ds_read_b128 v[2:5], v1 offset:1376
	s_waitcnt vmcnt(40) lgkmcnt(1)
	v_mul_f64 v[159:160], v[16:17], v[31:32]
	v_mul_f64 v[31:32], v[18:19], v[31:32]
	s_waitcnt vmcnt(38)
	v_fma_f64 v[161:162], v[12:13], v[33:34], -v[161:162]
	v_fma_f64 v[20:21], v[14:15], v[33:34], v[20:21]
	ds_read_b128 v[12:15], v1 offset:1392
	s_waitcnt vmcnt(36) lgkmcnt(1)
	v_mul_f64 v[33:34], v[2:3], v[35:36]
	v_add_f64 v[157:158], v[157:158], 0
	v_add_f64 v[22:23], v[22:23], 0
	v_mul_f64 v[35:36], v[4:5], v[35:36]
	s_waitcnt vmcnt(34)
	v_fma_f64 v[31:32], v[16:17], v[37:38], -v[31:32]
	v_fma_f64 v[37:38], v[18:19], v[37:38], v[159:160]
	ds_read_b128 v[16:19], v1 offset:1408
	s_waitcnt vmcnt(30)
	v_fma_f64 v[33:34], v[4:5], v[45:46], v[33:34]
	v_add_f64 v[157:158], v[157:158], v[161:162]
	v_add_f64 v[20:21], v[22:23], v[20:21]
	s_waitcnt lgkmcnt(1)
	v_mul_f64 v[22:23], v[12:13], v[39:40]
	v_mul_f64 v[39:40], v[14:15], v[39:40]
	v_fma_f64 v[35:36], v[2:3], v[45:46], -v[35:36]
	s_waitcnt vmcnt(28) lgkmcnt(0)
	v_mul_f64 v[45:46], v[18:19], v[47:48]
	ds_read_b128 v[2:5], v1 offset:1424
	v_add_f64 v[31:32], v[157:158], v[31:32]
	v_add_f64 v[20:21], v[20:21], v[37:38]
	v_mul_f64 v[37:38], v[16:17], v[47:48]
	s_waitcnt vmcnt(26)
	v_fma_f64 v[39:40], v[12:13], v[49:50], -v[39:40]
	v_fma_f64 v[22:23], v[14:15], v[49:50], v[22:23]
	ds_read_b128 v[12:15], v1 offset:1440
	s_waitcnt vmcnt(22)
	v_fma_f64 v[45:46], v[16:17], v[57:58], -v[45:46]
	v_add_f64 v[31:32], v[31:32], v[35:36]
	v_add_f64 v[20:21], v[20:21], v[33:34]
	s_waitcnt lgkmcnt(1)
	v_mul_f64 v[35:36], v[4:5], v[51:52]
	v_mul_f64 v[33:34], v[2:3], v[51:52]
	v_fma_f64 v[37:38], v[18:19], v[57:58], v[37:38]
	ds_read_b128 v[16:19], v1 offset:1456
	v_add_f64 v[31:32], v[31:32], v[39:40]
	v_add_f64 v[20:21], v[20:21], v[22:23]
	s_waitcnt vmcnt(20) lgkmcnt(1)
	v_mul_f64 v[39:40], v[14:15], v[59:60]
	s_waitcnt vmcnt(18)
	v_fma_f64 v[35:36], v[2:3], v[61:62], -v[35:36]
	v_mul_f64 v[22:23], v[12:13], v[59:60]
	v_fma_f64 v[33:34], v[4:5], v[61:62], v[33:34]
	ds_read_b128 v[2:5], v1 offset:1472
	v_add_f64 v[31:32], v[31:32], v[45:46]
	v_add_f64 v[20:21], v[20:21], v[37:38]
	s_waitcnt vmcnt(16) lgkmcnt(1)
	v_mul_f64 v[45:46], v[18:19], v[63:64]
	s_waitcnt vmcnt(14)
	v_fma_f64 v[39:40], v[12:13], v[65:66], -v[39:40]
	;; [unrolled: 9-line block ×3, first 2 shown]
	v_mul_f64 v[33:34], v[2:3], v[67:68]
	v_fma_f64 v[18:19], v[18:19], v[73:74], v[37:38]
	s_waitcnt vmcnt(8) lgkmcnt(0)
	v_mul_f64 v[37:38], v[14:15], v[75:76]
	v_add_f64 v[31:32], v[31:32], v[39:40]
	v_add_f64 v[20:21], v[20:21], v[22:23]
	s_waitcnt vmcnt(6)
	v_fma_f64 v[2:3], v[2:3], v[77:78], -v[35:36]
	v_mul_f64 v[22:23], v[12:13], v[75:76]
	v_fma_f64 v[4:5], v[4:5], v[77:78], v[33:34]
	s_waitcnt vmcnt(4)
	v_fma_f64 v[12:13], v[12:13], v[79:80], -v[37:38]
	v_add_f64 v[16:17], v[31:32], v[16:17]
	v_add_f64 v[18:19], v[20:21], v[18:19]
	v_fma_f64 v[14:15], v[14:15], v[79:80], v[22:23]
	v_add_f64 v[2:3], v[16:17], v[2:3]
	v_add_f64 v[4:5], v[18:19], v[4:5]
	;; [unrolled: 1-line block ×4, first 2 shown]
	s_waitcnt vmcnt(2)
	v_add_f64 v[2:3], v[153:154], -v[2:3]
	s_waitcnt vmcnt(0)
	v_add_f64 v[4:5], v[155:156], -v[4:5]
	buffer_store_dword v3, off, s[0:3], 0 offset:580
	buffer_store_dword v2, off, s[0:3], 0 offset:576
	;; [unrolled: 1-line block ×4, first 2 shown]
	v_cmpx_lt_u32_e32 34, v0
	s_cbranch_execz .LBB46_227
; %bb.226:
	v_mov_b32_e32 v5, s24
	s_clause 0x3
	buffer_load_dword v2, v5, s[0:3], 0 offen
	buffer_load_dword v3, v5, s[0:3], 0 offen offset:4
	buffer_load_dword v4, v5, s[0:3], 0 offen offset:8
	;; [unrolled: 1-line block ×3, first 2 shown]
	buffer_store_dword v1, off, s[0:3], 0 offset:560
	buffer_store_dword v1, off, s[0:3], 0 offset:564
	;; [unrolled: 1-line block ×4, first 2 shown]
	s_waitcnt vmcnt(0)
	ds_write_b128 v7, v[2:5]
.LBB46_227:
	s_or_b32 exec_lo, exec_lo, s4
	s_waitcnt lgkmcnt(0)
	s_waitcnt_vscnt null, 0x0
	s_barrier
	buffer_gl0_inv
	s_clause 0x2f
	buffer_load_dword v16, off, s[0:3], 0 offset:584
	buffer_load_dword v17, off, s[0:3], 0 offset:588
	;; [unrolled: 1-line block ×48, first 2 shown]
	ds_read_b128 v[2:5], v1 offset:1312
	s_clause 0x3
	buffer_load_dword v157, off, s[0:3], 0 offset:560
	buffer_load_dword v158, off, s[0:3], 0 offset:564
	;; [unrolled: 1-line block ×4, first 2 shown]
	ds_read_b128 v[12:15], v1 offset:1328
	s_mov_b32 s4, exec_lo
	s_waitcnt vmcnt(50) lgkmcnt(1)
	v_mul_f64 v[161:162], v[4:5], v[16:17]
	v_mul_f64 v[163:164], v[2:3], v[16:17]
	ds_read_b128 v[16:19], v1 offset:1344
	s_waitcnt vmcnt(48) lgkmcnt(1)
	v_mul_f64 v[165:166], v[14:15], v[20:21]
	v_mul_f64 v[20:21], v[12:13], v[20:21]
	s_waitcnt vmcnt(46)
	v_fma_f64 v[161:162], v[2:3], v[22:23], -v[161:162]
	v_fma_f64 v[22:23], v[4:5], v[22:23], v[163:164]
	s_waitcnt vmcnt(44) lgkmcnt(0)
	v_mul_f64 v[163:164], v[16:17], v[31:32]
	v_mul_f64 v[31:32], v[18:19], v[31:32]
	s_waitcnt vmcnt(42)
	v_fma_f64 v[165:166], v[12:13], v[33:34], -v[165:166]
	ds_read_b128 v[2:5], v1 offset:1360
	v_fma_f64 v[20:21], v[14:15], v[33:34], v[20:21]
	ds_read_b128 v[12:15], v1 offset:1376
	v_add_f64 v[161:162], v[161:162], 0
	v_add_f64 v[22:23], v[22:23], 0
	s_waitcnt vmcnt(38) lgkmcnt(1)
	v_mul_f64 v[33:34], v[2:3], v[35:36]
	v_mul_f64 v[35:36], v[4:5], v[35:36]
	s_waitcnt vmcnt(36)
	v_fma_f64 v[31:32], v[16:17], v[45:46], -v[31:32]
	v_fma_f64 v[45:46], v[18:19], v[45:46], v[163:164]
	ds_read_b128 v[16:19], v1 offset:1392
	v_add_f64 v[161:162], v[161:162], v[165:166]
	v_add_f64 v[20:21], v[22:23], v[20:21]
	s_waitcnt vmcnt(35) lgkmcnt(1)
	v_mul_f64 v[22:23], v[12:13], v[37:38]
	v_mul_f64 v[37:38], v[14:15], v[37:38]
	s_waitcnt vmcnt(33)
	v_fma_f64 v[35:36], v[2:3], v[47:48], -v[35:36]
	v_fma_f64 v[33:34], v[4:5], v[47:48], v[33:34]
	ds_read_b128 v[2:5], v1 offset:1408
	s_waitcnt vmcnt(29) lgkmcnt(1)
	v_mul_f64 v[47:48], v[18:19], v[49:50]
	v_add_f64 v[31:32], v[161:162], v[31:32]
	v_add_f64 v[20:21], v[20:21], v[45:46]
	v_mul_f64 v[45:46], v[16:17], v[49:50]
	s_waitcnt vmcnt(28)
	v_fma_f64 v[37:38], v[12:13], v[39:40], -v[37:38]
	v_fma_f64 v[22:23], v[14:15], v[39:40], v[22:23]
	ds_read_b128 v[12:15], v1 offset:1424
	s_waitcnt vmcnt(25)
	v_fma_f64 v[39:40], v[16:17], v[59:60], -v[47:48]
	v_add_f64 v[31:32], v[31:32], v[35:36]
	v_add_f64 v[20:21], v[20:21], v[33:34]
	s_waitcnt lgkmcnt(1)
	v_mul_f64 v[35:36], v[4:5], v[51:52]
	v_mul_f64 v[33:34], v[2:3], v[51:52]
	v_add_f64 v[31:32], v[31:32], v[37:38]
	v_fma_f64 v[37:38], v[18:19], v[59:60], v[45:46]
	v_add_f64 v[20:21], v[20:21], v[22:23]
	ds_read_b128 v[16:19], v1 offset:1440
	s_waitcnt vmcnt(21) lgkmcnt(1)
	v_mul_f64 v[45:46], v[14:15], v[61:62]
	s_waitcnt vmcnt(20)
	v_fma_f64 v[35:36], v[2:3], v[57:58], -v[35:36]
	v_mul_f64 v[22:23], v[12:13], v[61:62]
	v_fma_f64 v[33:34], v[4:5], v[57:58], v[33:34]
	ds_read_b128 v[2:5], v1 offset:1456
	v_add_f64 v[31:32], v[31:32], v[39:40]
	s_waitcnt vmcnt(19) lgkmcnt(1)
	v_mul_f64 v[39:40], v[18:19], v[63:64]
	v_add_f64 v[20:21], v[20:21], v[37:38]
	v_mul_f64 v[37:38], v[16:17], v[63:64]
	s_waitcnt vmcnt(17)
	v_fma_f64 v[45:46], v[12:13], v[67:68], -v[45:46]
	v_fma_f64 v[22:23], v[14:15], v[67:68], v[22:23]
	ds_read_b128 v[12:15], v1 offset:1472
	v_add_f64 v[31:32], v[31:32], v[35:36]
	s_waitcnt vmcnt(13) lgkmcnt(1)
	v_mul_f64 v[35:36], v[4:5], v[73:74]
	v_add_f64 v[20:21], v[20:21], v[33:34]
	s_waitcnt vmcnt(12)
	v_fma_f64 v[39:40], v[16:17], v[65:66], -v[39:40]
	v_mul_f64 v[33:34], v[2:3], v[73:74]
	v_fma_f64 v[37:38], v[18:19], v[65:66], v[37:38]
	ds_read_b128 v[16:19], v1 offset:1488
	v_add_f64 v[31:32], v[31:32], v[45:46]
	s_waitcnt vmcnt(11) lgkmcnt(1)
	v_mul_f64 v[45:46], v[14:15], v[75:76]
	v_add_f64 v[20:21], v[20:21], v[22:23]
	s_waitcnt vmcnt(9)
	v_fma_f64 v[1:2], v[2:3], v[79:80], -v[35:36]
	v_mul_f64 v[22:23], v[12:13], v[75:76]
	v_fma_f64 v[3:4], v[4:5], v[79:80], v[33:34]
	s_waitcnt vmcnt(7) lgkmcnt(0)
	v_mul_f64 v[33:34], v[18:19], v[153:154]
	v_add_f64 v[31:32], v[31:32], v[39:40]
	s_waitcnt vmcnt(6)
	v_fma_f64 v[12:13], v[12:13], v[77:78], -v[45:46]
	v_add_f64 v[5:6], v[20:21], v[37:38]
	v_mul_f64 v[20:21], v[16:17], v[153:154]
	v_fma_f64 v[14:15], v[14:15], v[77:78], v[22:23]
	v_add_f64 v[1:2], v[31:32], v[1:2]
	v_add_f64 v[3:4], v[5:6], v[3:4]
	s_waitcnt vmcnt(4)
	v_fma_f64 v[5:6], v[16:17], v[155:156], -v[33:34]
	v_add_f64 v[1:2], v[1:2], v[12:13]
	v_fma_f64 v[12:13], v[18:19], v[155:156], v[20:21]
	v_add_f64 v[3:4], v[3:4], v[14:15]
	v_add_f64 v[1:2], v[1:2], v[5:6]
	;; [unrolled: 1-line block ×3, first 2 shown]
	s_waitcnt vmcnt(2)
	v_add_f64 v[1:2], v[157:158], -v[1:2]
	s_waitcnt vmcnt(0)
	v_add_f64 v[3:4], v[159:160], -v[3:4]
	buffer_store_dword v2, off, s[0:3], 0 offset:564
	buffer_store_dword v1, off, s[0:3], 0 offset:560
	;; [unrolled: 1-line block ×4, first 2 shown]
	v_cmpx_lt_u32_e32 33, v0
	s_cbranch_execz .LBB46_229
; %bb.228:
	v_mov_b32_e32 v4, s25
	v_mov_b32_e32 v5, 0
	s_clause 0x3
	buffer_load_dword v1, v4, s[0:3], 0 offen
	buffer_load_dword v2, v4, s[0:3], 0 offen offset:4
	buffer_load_dword v3, v4, s[0:3], 0 offen offset:8
	;; [unrolled: 1-line block ×3, first 2 shown]
	buffer_store_dword v5, off, s[0:3], 0 offset:544
	buffer_store_dword v5, off, s[0:3], 0 offset:548
	buffer_store_dword v5, off, s[0:3], 0 offset:552
	buffer_store_dword v5, off, s[0:3], 0 offset:556
	s_waitcnt vmcnt(0)
	ds_write_b128 v7, v[1:4]
.LBB46_229:
	s_or_b32 exec_lo, exec_lo, s4
	s_waitcnt lgkmcnt(0)
	s_waitcnt_vscnt null, 0x0
	s_barrier
	buffer_gl0_inv
	s_clause 0x33
	buffer_load_dword v16, off, s[0:3], 0 offset:568
	buffer_load_dword v17, off, s[0:3], 0 offset:572
	;; [unrolled: 1-line block ×52, first 2 shown]
	v_mov_b32_e32 v1, 0
	ds_read_b128 v[2:5], v1 offset:1296
	ds_read_b128 v[12:15], v1 offset:1312
	s_clause 0x3
	buffer_load_dword v165, off, s[0:3], 0 offset:544
	buffer_load_dword v166, off, s[0:3], 0 offset:548
	;; [unrolled: 1-line block ×4, first 2 shown]
	s_mov_b32 s4, exec_lo
	s_waitcnt vmcnt(54) lgkmcnt(1)
	v_mul_f64 v[161:162], v[4:5], v[16:17]
	v_mul_f64 v[163:164], v[2:3], v[16:17]
	s_waitcnt vmcnt(52) lgkmcnt(0)
	v_mul_f64 v[169:170], v[14:15], v[20:21]
	ds_read_b128 v[16:19], v1 offset:1328
	v_mul_f64 v[20:21], v[12:13], v[20:21]
	s_waitcnt vmcnt(50)
	v_fma_f64 v[161:162], v[2:3], v[22:23], -v[161:162]
	v_fma_f64 v[22:23], v[4:5], v[22:23], v[163:164]
	ds_read_b128 v[2:5], v1 offset:1344
	s_waitcnt vmcnt(48) lgkmcnt(1)
	v_mul_f64 v[163:164], v[16:17], v[31:32]
	v_mul_f64 v[31:32], v[18:19], v[31:32]
	s_waitcnt vmcnt(46)
	v_fma_f64 v[169:170], v[12:13], v[33:34], -v[169:170]
	v_fma_f64 v[20:21], v[14:15], v[33:34], v[20:21]
	ds_read_b128 v[12:15], v1 offset:1360
	s_waitcnt vmcnt(42) lgkmcnt(1)
	v_mul_f64 v[33:34], v[2:3], v[35:36]
	v_add_f64 v[161:162], v[161:162], 0
	v_add_f64 v[22:23], v[22:23], 0
	v_mul_f64 v[35:36], v[4:5], v[35:36]
	s_waitcnt vmcnt(40)
	v_fma_f64 v[31:32], v[16:17], v[45:46], -v[31:32]
	v_fma_f64 v[45:46], v[18:19], v[45:46], v[163:164]
	ds_read_b128 v[16:19], v1 offset:1376
	s_waitcnt vmcnt(37)
	v_fma_f64 v[33:34], v[4:5], v[47:48], v[33:34]
	v_add_f64 v[161:162], v[161:162], v[169:170]
	v_add_f64 v[20:21], v[22:23], v[20:21]
	s_waitcnt lgkmcnt(1)
	v_mul_f64 v[22:23], v[12:13], v[37:38]
	v_mul_f64 v[37:38], v[14:15], v[37:38]
	v_fma_f64 v[35:36], v[2:3], v[47:48], -v[35:36]
	s_waitcnt vmcnt(33) lgkmcnt(0)
	v_mul_f64 v[47:48], v[18:19], v[49:50]
	ds_read_b128 v[2:5], v1 offset:1392
	v_add_f64 v[31:32], v[161:162], v[31:32]
	v_add_f64 v[20:21], v[20:21], v[45:46]
	v_mul_f64 v[45:46], v[16:17], v[49:50]
	s_waitcnt vmcnt(32)
	v_fma_f64 v[37:38], v[12:13], v[39:40], -v[37:38]
	v_fma_f64 v[22:23], v[14:15], v[39:40], v[22:23]
	ds_read_b128 v[12:15], v1 offset:1408
	s_waitcnt vmcnt(29)
	v_fma_f64 v[39:40], v[16:17], v[59:60], -v[47:48]
	v_add_f64 v[31:32], v[31:32], v[35:36]
	v_add_f64 v[20:21], v[20:21], v[33:34]
	s_waitcnt lgkmcnt(1)
	v_mul_f64 v[35:36], v[4:5], v[51:52]
	v_mul_f64 v[33:34], v[2:3], v[51:52]
	v_add_f64 v[31:32], v[31:32], v[37:38]
	v_fma_f64 v[37:38], v[18:19], v[59:60], v[45:46]
	v_add_f64 v[20:21], v[20:21], v[22:23]
	s_waitcnt vmcnt(25) lgkmcnt(0)
	v_mul_f64 v[45:46], v[14:15], v[61:62]
	s_waitcnt vmcnt(24)
	v_fma_f64 v[35:36], v[2:3], v[57:58], -v[35:36]
	ds_read_b128 v[16:19], v1 offset:1424
	v_mul_f64 v[22:23], v[12:13], v[61:62]
	v_fma_f64 v[33:34], v[4:5], v[57:58], v[33:34]
	ds_read_b128 v[2:5], v1 offset:1440
	v_add_f64 v[31:32], v[31:32], v[39:40]
	v_add_f64 v[20:21], v[20:21], v[37:38]
	s_waitcnt vmcnt(23) lgkmcnt(1)
	v_mul_f64 v[39:40], v[18:19], v[63:64]
	s_waitcnt vmcnt(21)
	v_fma_f64 v[45:46], v[12:13], v[67:68], -v[45:46]
	v_mul_f64 v[37:38], v[16:17], v[63:64]
	v_fma_f64 v[22:23], v[14:15], v[67:68], v[22:23]
	ds_read_b128 v[12:15], v1 offset:1456
	v_add_f64 v[31:32], v[31:32], v[35:36]
	s_waitcnt vmcnt(17) lgkmcnt(1)
	v_mul_f64 v[35:36], v[4:5], v[73:74]
	v_add_f64 v[20:21], v[20:21], v[33:34]
	s_waitcnt vmcnt(16)
	v_fma_f64 v[39:40], v[16:17], v[65:66], -v[39:40]
	v_mul_f64 v[33:34], v[2:3], v[73:74]
	v_fma_f64 v[37:38], v[18:19], v[65:66], v[37:38]
	ds_read_b128 v[16:19], v1 offset:1472
	v_add_f64 v[31:32], v[31:32], v[45:46]
	s_waitcnt vmcnt(15) lgkmcnt(1)
	v_mul_f64 v[45:46], v[14:15], v[75:76]
	v_add_f64 v[20:21], v[20:21], v[22:23]
	s_waitcnt vmcnt(13)
	v_fma_f64 v[35:36], v[2:3], v[79:80], -v[35:36]
	v_mul_f64 v[22:23], v[12:13], v[75:76]
	v_fma_f64 v[33:34], v[4:5], v[79:80], v[33:34]
	ds_read_b128 v[2:5], v1 offset:1488
	v_add_f64 v[31:32], v[31:32], v[39:40]
	s_waitcnt vmcnt(9) lgkmcnt(1)
	v_mul_f64 v[39:40], v[18:19], v[153:154]
	v_add_f64 v[20:21], v[20:21], v[37:38]
	s_waitcnt vmcnt(8)
	v_fma_f64 v[12:13], v[12:13], v[77:78], -v[45:46]
	v_mul_f64 v[37:38], v[16:17], v[153:154]
	v_fma_f64 v[14:15], v[14:15], v[77:78], v[22:23]
	s_waitcnt vmcnt(7) lgkmcnt(0)
	v_mul_f64 v[22:23], v[2:3], v[155:156]
	v_add_f64 v[31:32], v[31:32], v[35:36]
	s_waitcnt vmcnt(5)
	v_fma_f64 v[16:17], v[16:17], v[159:160], -v[39:40]
	v_add_f64 v[20:21], v[20:21], v[33:34]
	v_mul_f64 v[33:34], v[4:5], v[155:156]
	v_fma_f64 v[18:19], v[18:19], v[159:160], v[37:38]
	s_waitcnt vmcnt(4)
	v_fma_f64 v[4:5], v[4:5], v[157:158], v[22:23]
	v_add_f64 v[12:13], v[31:32], v[12:13]
	v_add_f64 v[14:15], v[20:21], v[14:15]
	v_fma_f64 v[2:3], v[2:3], v[157:158], -v[33:34]
	v_add_f64 v[12:13], v[12:13], v[16:17]
	v_add_f64 v[14:15], v[14:15], v[18:19]
	;; [unrolled: 1-line block ×4, first 2 shown]
	s_waitcnt vmcnt(2)
	v_add_f64 v[2:3], v[165:166], -v[2:3]
	s_waitcnt vmcnt(0)
	v_add_f64 v[4:5], v[167:168], -v[4:5]
	buffer_store_dword v3, off, s[0:3], 0 offset:548
	buffer_store_dword v2, off, s[0:3], 0 offset:544
	;; [unrolled: 1-line block ×4, first 2 shown]
	v_cmpx_lt_u32_e32 32, v0
	s_cbranch_execz .LBB46_231
; %bb.230:
	v_mov_b32_e32 v5, s26
	s_clause 0x3
	buffer_load_dword v2, v5, s[0:3], 0 offen
	buffer_load_dword v3, v5, s[0:3], 0 offen offset:4
	buffer_load_dword v4, v5, s[0:3], 0 offen offset:8
	;; [unrolled: 1-line block ×3, first 2 shown]
	buffer_store_dword v1, off, s[0:3], 0 offset:528
	buffer_store_dword v1, off, s[0:3], 0 offset:532
	;; [unrolled: 1-line block ×4, first 2 shown]
	s_waitcnt vmcnt(0)
	ds_write_b128 v7, v[2:5]
.LBB46_231:
	s_or_b32 exec_lo, exec_lo, s4
	s_waitcnt lgkmcnt(0)
	s_waitcnt_vscnt null, 0x0
	s_barrier
	buffer_gl0_inv
	s_clause 0x35
	buffer_load_dword v16, off, s[0:3], 0 offset:552
	buffer_load_dword v17, off, s[0:3], 0 offset:556
	;; [unrolled: 1-line block ×54, first 2 shown]
	ds_read_b128 v[2:5], v1 offset:1280
	s_clause 0x1
	buffer_load_dword v164, off, s[0:3], 0 offset:756
	buffer_load_dword v163, off, s[0:3], 0 offset:752
	ds_read_b128 v[12:15], v1 offset:1296
	s_mov_b32 s4, exec_lo
	s_waitcnt vmcnt(54) lgkmcnt(1)
	v_mul_f64 v[165:166], v[4:5], v[16:17]
	v_mul_f64 v[167:168], v[2:3], v[16:17]
	ds_read_b128 v[16:19], v1 offset:1312
	s_waitcnt vmcnt(52) lgkmcnt(1)
	v_mul_f64 v[169:170], v[14:15], v[20:21]
	v_mul_f64 v[20:21], v[12:13], v[20:21]
	s_waitcnt vmcnt(48) lgkmcnt(0)
	v_mul_f64 v[173:174], v[16:17], v[31:32]
	v_fma_f64 v[165:166], v[2:3], v[22:23], -v[165:166]
	v_fma_f64 v[22:23], v[4:5], v[22:23], v[167:168]
	s_clause 0x3
	buffer_load_dword v167, off, s[0:3], 0 offset:528
	buffer_load_dword v168, off, s[0:3], 0 offset:532
	;; [unrolled: 1-line block ×4, first 2 shown]
	v_mul_f64 v[31:32], v[18:19], v[31:32]
	s_waitcnt vmcnt(50)
	v_fma_f64 v[169:170], v[12:13], v[33:34], -v[169:170]
	ds_read_b128 v[2:5], v1 offset:1328
	v_fma_f64 v[20:21], v[14:15], v[33:34], v[20:21]
	ds_read_b128 v[12:15], v1 offset:1344
	v_add_f64 v[165:166], v[165:166], 0
	v_add_f64 v[22:23], v[22:23], 0
	s_waitcnt vmcnt(46) lgkmcnt(1)
	v_mul_f64 v[33:34], v[2:3], v[35:36]
	v_mul_f64 v[35:36], v[4:5], v[35:36]
	s_waitcnt vmcnt(44)
	v_fma_f64 v[31:32], v[16:17], v[45:46], -v[31:32]
	v_fma_f64 v[45:46], v[18:19], v[45:46], v[173:174]
	ds_read_b128 v[16:19], v1 offset:1360
	v_add_f64 v[165:166], v[165:166], v[169:170]
	v_add_f64 v[20:21], v[22:23], v[20:21]
	s_waitcnt vmcnt(43) lgkmcnt(1)
	v_mul_f64 v[22:23], v[12:13], v[37:38]
	v_mul_f64 v[37:38], v[14:15], v[37:38]
	s_waitcnt vmcnt(41)
	v_fma_f64 v[35:36], v[2:3], v[47:48], -v[35:36]
	v_fma_f64 v[33:34], v[4:5], v[47:48], v[33:34]
	ds_read_b128 v[2:5], v1 offset:1376
	s_waitcnt vmcnt(37) lgkmcnt(1)
	v_mul_f64 v[47:48], v[18:19], v[49:50]
	v_add_f64 v[31:32], v[165:166], v[31:32]
	v_add_f64 v[20:21], v[20:21], v[45:46]
	v_mul_f64 v[45:46], v[16:17], v[49:50]
	s_waitcnt vmcnt(36)
	v_fma_f64 v[37:38], v[12:13], v[39:40], -v[37:38]
	v_fma_f64 v[22:23], v[14:15], v[39:40], v[22:23]
	ds_read_b128 v[12:15], v1 offset:1392
	s_waitcnt vmcnt(33)
	v_fma_f64 v[39:40], v[16:17], v[59:60], -v[47:48]
	v_add_f64 v[31:32], v[31:32], v[35:36]
	v_add_f64 v[20:21], v[20:21], v[33:34]
	s_waitcnt lgkmcnt(1)
	v_mul_f64 v[35:36], v[4:5], v[51:52]
	v_mul_f64 v[33:34], v[2:3], v[51:52]
	v_add_f64 v[31:32], v[31:32], v[37:38]
	v_fma_f64 v[37:38], v[18:19], v[59:60], v[45:46]
	v_add_f64 v[20:21], v[20:21], v[22:23]
	ds_read_b128 v[16:19], v1 offset:1408
	s_waitcnt vmcnt(29) lgkmcnt(1)
	v_mul_f64 v[45:46], v[14:15], v[61:62]
	s_waitcnt vmcnt(28)
	v_fma_f64 v[35:36], v[2:3], v[57:58], -v[35:36]
	v_mul_f64 v[22:23], v[12:13], v[61:62]
	v_fma_f64 v[33:34], v[4:5], v[57:58], v[33:34]
	ds_read_b128 v[2:5], v1 offset:1424
	v_add_f64 v[31:32], v[31:32], v[39:40]
	s_waitcnt vmcnt(27) lgkmcnt(1)
	v_mul_f64 v[39:40], v[18:19], v[63:64]
	v_add_f64 v[20:21], v[20:21], v[37:38]
	v_mul_f64 v[37:38], v[16:17], v[63:64]
	s_waitcnt vmcnt(25)
	v_fma_f64 v[45:46], v[12:13], v[67:68], -v[45:46]
	v_fma_f64 v[22:23], v[14:15], v[67:68], v[22:23]
	ds_read_b128 v[12:15], v1 offset:1440
	v_add_f64 v[31:32], v[31:32], v[35:36]
	s_waitcnt vmcnt(21) lgkmcnt(1)
	v_mul_f64 v[35:36], v[4:5], v[73:74]
	v_add_f64 v[20:21], v[20:21], v[33:34]
	s_waitcnt vmcnt(20)
	v_fma_f64 v[39:40], v[16:17], v[65:66], -v[39:40]
	v_mul_f64 v[33:34], v[2:3], v[73:74]
	v_fma_f64 v[37:38], v[18:19], v[65:66], v[37:38]
	ds_read_b128 v[16:19], v1 offset:1456
	v_add_f64 v[31:32], v[31:32], v[45:46]
	s_waitcnt vmcnt(19) lgkmcnt(1)
	v_mul_f64 v[45:46], v[14:15], v[75:76]
	v_add_f64 v[20:21], v[20:21], v[22:23]
	s_waitcnt vmcnt(17)
	v_fma_f64 v[35:36], v[2:3], v[79:80], -v[35:36]
	v_mul_f64 v[22:23], v[12:13], v[75:76]
	;; [unrolled: 9-line block ×4, first 2 shown]
	v_fma_f64 v[18:19], v[18:19], v[159:160], v[37:38]
	s_waitcnt vmcnt(7) lgkmcnt(0)
	v_mul_f64 v[37:38], v[14:15], v[161:162]
	v_add_f64 v[31:32], v[31:32], v[45:46]
	s_waitcnt vmcnt(6)
	v_fma_f64 v[1:2], v[2:3], v[157:158], -v[35:36]
	v_add_f64 v[20:21], v[20:21], v[22:23]
	v_mul_f64 v[22:23], v[12:13], v[161:162]
	v_fma_f64 v[3:4], v[4:5], v[157:158], v[33:34]
	s_waitcnt vmcnt(4)
	v_fma_f64 v[12:13], v[12:13], v[163:164], -v[37:38]
	v_add_f64 v[16:17], v[31:32], v[16:17]
	v_add_f64 v[5:6], v[20:21], v[18:19]
	v_fma_f64 v[14:15], v[14:15], v[163:164], v[22:23]
	v_add_f64 v[1:2], v[16:17], v[1:2]
	v_add_f64 v[3:4], v[5:6], v[3:4]
	;; [unrolled: 1-line block ×4, first 2 shown]
	s_waitcnt vmcnt(2)
	v_add_f64 v[1:2], v[167:168], -v[1:2]
	s_waitcnt vmcnt(0)
	v_add_f64 v[3:4], v[171:172], -v[3:4]
	buffer_store_dword v2, off, s[0:3], 0 offset:532
	buffer_store_dword v1, off, s[0:3], 0 offset:528
	;; [unrolled: 1-line block ×4, first 2 shown]
	v_cmpx_lt_u32_e32 31, v0
	s_cbranch_execz .LBB46_233
; %bb.232:
	v_mov_b32_e32 v4, s27
	v_mov_b32_e32 v5, 0
	s_clause 0x3
	buffer_load_dword v1, v4, s[0:3], 0 offen
	buffer_load_dword v2, v4, s[0:3], 0 offen offset:4
	buffer_load_dword v3, v4, s[0:3], 0 offen offset:8
	buffer_load_dword v4, v4, s[0:3], 0 offen offset:12
	buffer_store_dword v5, off, s[0:3], 0 offset:512
	buffer_store_dword v5, off, s[0:3], 0 offset:516
	;; [unrolled: 1-line block ×4, first 2 shown]
	s_waitcnt vmcnt(0)
	ds_write_b128 v7, v[1:4]
.LBB46_233:
	s_or_b32 exec_lo, exec_lo, s4
	s_waitcnt lgkmcnt(0)
	s_waitcnt_vscnt null, 0x0
	s_barrier
	buffer_gl0_inv
	s_clause 0x37
	buffer_load_dword v16, off, s[0:3], 0 offset:536
	buffer_load_dword v17, off, s[0:3], 0 offset:540
	;; [unrolled: 1-line block ×56, first 2 shown]
	v_mov_b32_e32 v1, 0
	s_mov_b32 s4, exec_lo
	ds_read_b128 v[2:5], v1 offset:1264
	s_clause 0x2
	buffer_load_dword v164, off, s[0:3], 0 offset:764
	buffer_load_dword v168, off, s[0:3], 0 offset:740
	;; [unrolled: 1-line block ×3, first 2 shown]
	ds_read_b128 v[12:15], v1 offset:1280
	buffer_load_dword v166, off, s[0:3], 0 offset:756
	s_waitcnt vmcnt(58) lgkmcnt(1)
	v_mul_f64 v[169:170], v[4:5], v[16:17]
	v_mul_f64 v[171:172], v[2:3], v[16:17]
	ds_read_b128 v[16:19], v1 offset:1296
	s_waitcnt vmcnt(56) lgkmcnt(1)
	v_mul_f64 v[173:174], v[14:15], v[20:21]
	v_mul_f64 v[20:21], v[12:13], v[20:21]
	s_waitcnt vmcnt(54)
	v_fma_f64 v[169:170], v[2:3], v[22:23], -v[169:170]
	v_fma_f64 v[22:23], v[4:5], v[22:23], v[171:172]
	s_waitcnt vmcnt(52) lgkmcnt(0)
	v_mul_f64 v[171:172], v[16:17], v[31:32]
	v_mul_f64 v[31:32], v[18:19], v[31:32]
	s_waitcnt vmcnt(50)
	v_fma_f64 v[173:174], v[12:13], v[33:34], -v[173:174]
	ds_read_b128 v[2:5], v1 offset:1312
	v_fma_f64 v[20:21], v[14:15], v[33:34], v[20:21]
	s_clause 0x3
	buffer_load_dword v33, off, s[0:3], 0 offset:512
	buffer_load_dword v34, off, s[0:3], 0 offset:516
	;; [unrolled: 1-line block ×4, first 2 shown]
	ds_read_b128 v[12:15], v1 offset:1328
	v_add_f64 v[169:170], v[169:170], 0
	v_add_f64 v[22:23], v[22:23], 0
	s_waitcnt vmcnt(50) lgkmcnt(1)
	v_mul_f64 v[177:178], v[2:3], v[35:36]
	v_mul_f64 v[35:36], v[4:5], v[35:36]
	s_waitcnt vmcnt(48)
	v_fma_f64 v[31:32], v[16:17], v[45:46], -v[31:32]
	v_fma_f64 v[45:46], v[18:19], v[45:46], v[171:172]
	ds_read_b128 v[16:19], v1 offset:1344
	v_add_f64 v[169:170], v[169:170], v[173:174]
	v_add_f64 v[20:21], v[22:23], v[20:21]
	s_waitcnt vmcnt(47) lgkmcnt(1)
	v_mul_f64 v[22:23], v[12:13], v[37:38]
	v_mul_f64 v[37:38], v[14:15], v[37:38]
	s_waitcnt vmcnt(45)
	v_fma_f64 v[35:36], v[2:3], v[47:48], -v[35:36]
	v_fma_f64 v[47:48], v[4:5], v[47:48], v[177:178]
	;; [unrolled: 9-line block ×3, first 2 shown]
	ds_read_b128 v[12:15], v1 offset:1376
	s_waitcnt vmcnt(39) lgkmcnt(1)
	v_mul_f64 v[39:40], v[4:5], v[51:52]
	v_add_f64 v[31:32], v[31:32], v[35:36]
	v_add_f64 v[20:21], v[20:21], v[47:48]
	v_mul_f64 v[35:36], v[2:3], v[51:52]
	s_waitcnt vmcnt(37)
	v_fma_f64 v[47:48], v[16:17], v[59:60], -v[49:50]
	s_waitcnt vmcnt(32)
	v_fma_f64 v[39:40], v[2:3], v[57:58], -v[39:40]
	v_add_f64 v[31:32], v[31:32], v[37:38]
	v_fma_f64 v[37:38], v[18:19], v[59:60], v[45:46]
	v_add_f64 v[20:21], v[20:21], v[22:23]
	s_waitcnt lgkmcnt(0)
	v_mul_f64 v[45:46], v[14:15], v[61:62]
	ds_read_b128 v[16:19], v1 offset:1392
	v_mul_f64 v[22:23], v[12:13], v[61:62]
	v_fma_f64 v[35:36], v[4:5], v[57:58], v[35:36]
	ds_read_b128 v[2:5], v1 offset:1408
	v_add_f64 v[31:32], v[31:32], v[47:48]
	v_add_f64 v[20:21], v[20:21], v[37:38]
	s_waitcnt vmcnt(31) lgkmcnt(1)
	v_mul_f64 v[47:48], v[18:19], v[63:64]
	s_waitcnt vmcnt(29)
	v_fma_f64 v[45:46], v[12:13], v[67:68], -v[45:46]
	v_mul_f64 v[37:38], v[16:17], v[63:64]
	v_fma_f64 v[22:23], v[14:15], v[67:68], v[22:23]
	ds_read_b128 v[12:15], v1 offset:1424
	v_add_f64 v[31:32], v[31:32], v[39:40]
	s_waitcnt vmcnt(25) lgkmcnt(1)
	v_mul_f64 v[39:40], v[4:5], v[73:74]
	v_add_f64 v[20:21], v[20:21], v[35:36]
	s_waitcnt vmcnt(24)
	v_fma_f64 v[47:48], v[16:17], v[65:66], -v[47:48]
	v_mul_f64 v[35:36], v[2:3], v[73:74]
	v_fma_f64 v[37:38], v[18:19], v[65:66], v[37:38]
	ds_read_b128 v[16:19], v1 offset:1440
	v_add_f64 v[31:32], v[31:32], v[45:46]
	s_waitcnt vmcnt(23) lgkmcnt(1)
	v_mul_f64 v[45:46], v[14:15], v[75:76]
	v_add_f64 v[20:21], v[20:21], v[22:23]
	s_waitcnt vmcnt(21)
	v_fma_f64 v[39:40], v[2:3], v[79:80], -v[39:40]
	v_mul_f64 v[22:23], v[12:13], v[75:76]
	v_fma_f64 v[35:36], v[4:5], v[79:80], v[35:36]
	ds_read_b128 v[2:5], v1 offset:1456
	v_add_f64 v[31:32], v[31:32], v[47:48]
	s_waitcnt vmcnt(17) lgkmcnt(1)
	v_mul_f64 v[47:48], v[18:19], v[153:154]
	v_add_f64 v[20:21], v[20:21], v[37:38]
	s_waitcnt vmcnt(16)
	v_fma_f64 v[45:46], v[12:13], v[77:78], -v[45:46]
	v_mul_f64 v[37:38], v[16:17], v[153:154]
	v_fma_f64 v[22:23], v[14:15], v[77:78], v[22:23]
	ds_read_b128 v[12:15], v1 offset:1472
	v_add_f64 v[31:32], v[31:32], v[39:40]
	s_waitcnt vmcnt(15) lgkmcnt(1)
	v_mul_f64 v[39:40], v[4:5], v[155:156]
	v_add_f64 v[20:21], v[20:21], v[35:36]
	s_waitcnt vmcnt(13)
	v_fma_f64 v[47:48], v[16:17], v[159:160], -v[47:48]
	v_mul_f64 v[35:36], v[2:3], v[155:156]
	v_fma_f64 v[37:38], v[18:19], v[159:160], v[37:38]
	ds_read_b128 v[16:19], v1 offset:1488
	v_add_f64 v[31:32], v[31:32], v[45:46]
	s_waitcnt vmcnt(9) lgkmcnt(1)
	v_mul_f64 v[45:46], v[14:15], v[161:162]
	v_add_f64 v[20:21], v[20:21], v[22:23]
	s_waitcnt vmcnt(8)
	v_fma_f64 v[2:3], v[2:3], v[157:158], -v[39:40]
	v_mul_f64 v[22:23], v[12:13], v[161:162]
	v_fma_f64 v[4:5], v[4:5], v[157:158], v[35:36]
	s_waitcnt vmcnt(7) lgkmcnt(0)
	v_mul_f64 v[35:36], v[16:17], v[163:164]
	v_add_f64 v[31:32], v[31:32], v[47:48]
	s_waitcnt vmcnt(5)
	v_fma_f64 v[12:13], v[12:13], v[167:168], -v[45:46]
	v_add_f64 v[20:21], v[20:21], v[37:38]
	v_mul_f64 v[37:38], v[18:19], v[163:164]
	v_fma_f64 v[14:15], v[14:15], v[167:168], v[22:23]
	v_add_f64 v[2:3], v[31:32], v[2:3]
	v_add_f64 v[4:5], v[20:21], v[4:5]
	s_waitcnt vmcnt(4)
	v_fma_f64 v[16:17], v[16:17], v[165:166], -v[37:38]
	v_add_f64 v[2:3], v[2:3], v[12:13]
	v_fma_f64 v[12:13], v[18:19], v[165:166], v[35:36]
	v_add_f64 v[4:5], v[4:5], v[14:15]
	v_add_f64 v[2:3], v[2:3], v[16:17]
	v_add_f64 v[4:5], v[4:5], v[12:13]
	s_waitcnt vmcnt(2)
	v_add_f64 v[2:3], v[33:34], -v[2:3]
	s_waitcnt vmcnt(0)
	v_add_f64 v[4:5], v[175:176], -v[4:5]
	buffer_store_dword v3, off, s[0:3], 0 offset:516
	buffer_store_dword v2, off, s[0:3], 0 offset:512
	;; [unrolled: 1-line block ×4, first 2 shown]
	v_cmpx_lt_u32_e32 30, v0
	s_cbranch_execz .LBB46_235
; %bb.234:
	v_mov_b32_e32 v5, s28
	s_clause 0x3
	buffer_load_dword v2, v5, s[0:3], 0 offen
	buffer_load_dword v3, v5, s[0:3], 0 offen offset:4
	buffer_load_dword v4, v5, s[0:3], 0 offen offset:8
	buffer_load_dword v5, v5, s[0:3], 0 offen offset:12
	buffer_store_dword v1, off, s[0:3], 0 offset:496
	buffer_store_dword v1, off, s[0:3], 0 offset:500
	;; [unrolled: 1-line block ×4, first 2 shown]
	s_waitcnt vmcnt(0)
	ds_write_b128 v7, v[2:5]
.LBB46_235:
	s_or_b32 exec_lo, exec_lo, s4
	s_waitcnt lgkmcnt(0)
	s_waitcnt_vscnt null, 0x0
	s_barrier
	buffer_gl0_inv
	s_clause 0x37
	buffer_load_dword v16, off, s[0:3], 0 offset:520
	buffer_load_dword v17, off, s[0:3], 0 offset:524
	;; [unrolled: 1-line block ×56, first 2 shown]
	ds_read_b128 v[2:5], v1 offset:1248
	s_clause 0x2
	buffer_load_dword v164, off, s[0:3], 0 offset:748
	buffer_load_dword v168, off, s[0:3], 0 offset:724
	;; [unrolled: 1-line block ×3, first 2 shown]
	ds_read_b128 v[12:15], v1 offset:1264
	s_clause 0x2
	buffer_load_dword v174, off, s[0:3], 0 offset:764
	buffer_load_dword v173, off, s[0:3], 0 offset:760
	;; [unrolled: 1-line block ×3, first 2 shown]
	s_mov_b32 s4, exec_lo
	s_waitcnt vmcnt(60) lgkmcnt(1)
	v_mul_f64 v[169:170], v[4:5], v[16:17]
	v_mul_f64 v[171:172], v[2:3], v[16:17]
	s_waitcnt vmcnt(58) lgkmcnt(0)
	v_mul_f64 v[175:176], v[14:15], v[20:21]
	ds_read_b128 v[16:19], v1 offset:1280
	v_mul_f64 v[20:21], v[12:13], v[20:21]
	s_waitcnt vmcnt(56)
	v_fma_f64 v[169:170], v[2:3], v[22:23], -v[169:170]
	v_fma_f64 v[22:23], v[4:5], v[22:23], v[171:172]
	s_clause 0x1
	buffer_load_dword v172, off, s[0:3], 0 offset:756
	buffer_load_dword v171, off, s[0:3], 0 offset:752
	s_waitcnt vmcnt(56) lgkmcnt(0)
	v_mul_f64 v[177:178], v[16:17], v[31:32]
	v_mul_f64 v[31:32], v[18:19], v[31:32]
	s_waitcnt vmcnt(54)
	v_fma_f64 v[175:176], v[12:13], v[33:34], -v[175:176]
	ds_read_b128 v[2:5], v1 offset:1296
	v_fma_f64 v[20:21], v[14:15], v[33:34], v[20:21]
	ds_read_b128 v[12:15], v1 offset:1312
	v_add_f64 v[169:170], v[169:170], 0
	v_add_f64 v[22:23], v[22:23], 0
	s_waitcnt vmcnt(50) lgkmcnt(1)
	v_mul_f64 v[33:34], v[2:3], v[35:36]
	v_mul_f64 v[35:36], v[4:5], v[35:36]
	s_waitcnt vmcnt(48)
	v_fma_f64 v[31:32], v[16:17], v[45:46], -v[31:32]
	v_fma_f64 v[45:46], v[18:19], v[45:46], v[177:178]
	s_waitcnt vmcnt(47) lgkmcnt(0)
	v_mul_f64 v[177:178], v[12:13], v[37:38]
	v_mul_f64 v[37:38], v[14:15], v[37:38]
	v_add_f64 v[169:170], v[169:170], v[175:176]
	v_add_f64 v[20:21], v[22:23], v[20:21]
	s_clause 0x3
	buffer_load_dword v22, off, s[0:3], 0 offset:496
	buffer_load_dword v23, off, s[0:3], 0 offset:500
	;; [unrolled: 1-line block ×4, first 2 shown]
	ds_read_b128 v[16:19], v1 offset:1328
	s_waitcnt vmcnt(49)
	v_fma_f64 v[33:34], v[4:5], v[47:48], v[33:34]
	v_fma_f64 v[35:36], v[2:3], v[47:48], -v[35:36]
	ds_read_b128 v[2:5], v1 offset:1344
	s_waitcnt vmcnt(44)
	v_fma_f64 v[37:38], v[12:13], v[39:40], -v[37:38]
	v_add_f64 v[31:32], v[169:170], v[31:32]
	v_add_f64 v[20:21], v[20:21], v[45:46]
	s_waitcnt lgkmcnt(1)
	v_mul_f64 v[47:48], v[18:19], v[49:50]
	v_mul_f64 v[45:46], v[16:17], v[49:50]
	v_add_f64 v[31:32], v[31:32], v[35:36]
	v_fma_f64 v[35:36], v[14:15], v[39:40], v[177:178]
	v_add_f64 v[20:21], v[20:21], v[33:34]
	s_waitcnt vmcnt(43) lgkmcnt(0)
	v_mul_f64 v[39:40], v[4:5], v[51:52]
	s_waitcnt vmcnt(41)
	v_fma_f64 v[47:48], v[16:17], v[59:60], -v[47:48]
	ds_read_b128 v[12:15], v1 offset:1360
	v_mul_f64 v[33:34], v[2:3], v[51:52]
	v_add_f64 v[31:32], v[31:32], v[37:38]
	v_fma_f64 v[37:38], v[18:19], v[59:60], v[45:46]
	v_add_f64 v[20:21], v[20:21], v[35:36]
	ds_read_b128 v[16:19], v1 offset:1376
	s_waitcnt vmcnt(37) lgkmcnt(1)
	v_mul_f64 v[45:46], v[14:15], v[61:62]
	s_waitcnt vmcnt(36)
	v_fma_f64 v[39:40], v[2:3], v[57:58], -v[39:40]
	v_mul_f64 v[35:36], v[12:13], v[61:62]
	v_fma_f64 v[33:34], v[4:5], v[57:58], v[33:34]
	ds_read_b128 v[2:5], v1 offset:1392
	v_add_f64 v[31:32], v[31:32], v[47:48]
	s_waitcnt vmcnt(35) lgkmcnt(1)
	v_mul_f64 v[47:48], v[18:19], v[63:64]
	v_add_f64 v[20:21], v[20:21], v[37:38]
	v_mul_f64 v[37:38], v[16:17], v[63:64]
	s_waitcnt vmcnt(33)
	v_fma_f64 v[45:46], v[12:13], v[67:68], -v[45:46]
	v_fma_f64 v[35:36], v[14:15], v[67:68], v[35:36]
	ds_read_b128 v[12:15], v1 offset:1408
	v_add_f64 v[31:32], v[31:32], v[39:40]
	s_waitcnt vmcnt(29) lgkmcnt(1)
	v_mul_f64 v[39:40], v[4:5], v[73:74]
	v_add_f64 v[20:21], v[20:21], v[33:34]
	s_waitcnt vmcnt(28)
	v_fma_f64 v[47:48], v[16:17], v[65:66], -v[47:48]
	v_mul_f64 v[33:34], v[2:3], v[73:74]
	v_fma_f64 v[37:38], v[18:19], v[65:66], v[37:38]
	ds_read_b128 v[16:19], v1 offset:1424
	v_add_f64 v[31:32], v[31:32], v[45:46]
	s_waitcnt vmcnt(27) lgkmcnt(1)
	v_mul_f64 v[45:46], v[14:15], v[75:76]
	v_add_f64 v[20:21], v[20:21], v[35:36]
	s_waitcnt vmcnt(25)
	v_fma_f64 v[39:40], v[2:3], v[79:80], -v[39:40]
	v_mul_f64 v[35:36], v[12:13], v[75:76]
	;; [unrolled: 9-line block ×5, first 2 shown]
	v_fma_f64 v[5:6], v[4:5], v[157:158], v[33:34]
	ds_read_b128 v[1:4], v1 offset:1488
	s_waitcnt vmcnt(11) lgkmcnt(1)
	v_mul_f64 v[33:34], v[16:17], v[163:164]
	v_add_f64 v[31:32], v[31:32], v[47:48]
	s_waitcnt vmcnt(9)
	v_fma_f64 v[12:13], v[12:13], v[167:168], -v[45:46]
	v_add_f64 v[20:21], v[20:21], v[37:38]
	v_mul_f64 v[37:38], v[18:19], v[163:164]
	v_fma_f64 v[14:15], v[14:15], v[167:168], v[35:36]
	s_waitcnt vmcnt(7) lgkmcnt(0)
	v_mul_f64 v[35:36], v[3:4], v[173:174]
	s_waitcnt vmcnt(6)
	v_fma_f64 v[18:19], v[18:19], v[165:166], v[33:34]
	v_add_f64 v[31:32], v[31:32], v[39:40]
	v_add_f64 v[5:6], v[20:21], v[5:6]
	v_fma_f64 v[16:17], v[16:17], v[165:166], -v[37:38]
	v_mul_f64 v[20:21], v[1:2], v[173:174]
	v_add_f64 v[12:13], v[31:32], v[12:13]
	v_add_f64 v[5:6], v[5:6], v[14:15]
	s_waitcnt vmcnt(4)
	v_fma_f64 v[1:2], v[1:2], v[171:172], -v[35:36]
	v_fma_f64 v[3:4], v[3:4], v[171:172], v[20:21]
	v_add_f64 v[12:13], v[12:13], v[16:17]
	v_add_f64 v[5:6], v[5:6], v[18:19]
	;; [unrolled: 1-line block ×4, first 2 shown]
	s_waitcnt vmcnt(2)
	v_add_f64 v[1:2], v[22:23], -v[1:2]
	s_waitcnt vmcnt(0)
	v_add_f64 v[3:4], v[175:176], -v[3:4]
	buffer_store_dword v2, off, s[0:3], 0 offset:500
	buffer_store_dword v1, off, s[0:3], 0 offset:496
	;; [unrolled: 1-line block ×4, first 2 shown]
	v_cmpx_lt_u32_e32 29, v0
	s_cbranch_execz .LBB46_237
; %bb.236:
	v_mov_b32_e32 v4, s29
	v_mov_b32_e32 v5, 0
	s_clause 0x3
	buffer_load_dword v1, v4, s[0:3], 0 offen
	buffer_load_dword v2, v4, s[0:3], 0 offen offset:4
	buffer_load_dword v3, v4, s[0:3], 0 offen offset:8
	;; [unrolled: 1-line block ×3, first 2 shown]
	buffer_store_dword v5, off, s[0:3], 0 offset:480
	buffer_store_dword v5, off, s[0:3], 0 offset:484
	;; [unrolled: 1-line block ×4, first 2 shown]
	s_waitcnt vmcnt(0)
	ds_write_b128 v7, v[1:4]
.LBB46_237:
	s_or_b32 exec_lo, exec_lo, s4
	s_waitcnt lgkmcnt(0)
	s_waitcnt_vscnt null, 0x0
	s_barrier
	buffer_gl0_inv
	s_clause 0x37
	buffer_load_dword v16, off, s[0:3], 0 offset:504
	buffer_load_dword v17, off, s[0:3], 0 offset:508
	;; [unrolled: 1-line block ×56, first 2 shown]
	v_mov_b32_e32 v1, 0
	s_mov_b32 s4, exec_lo
	ds_read_b128 v[2:5], v1 offset:1232
	s_clause 0x2
	buffer_load_dword v164, off, s[0:3], 0 offset:732
	buffer_load_dword v168, off, s[0:3], 0 offset:708
	buffer_load_dword v167, off, s[0:3], 0 offset:704
	ds_read_b128 v[12:15], v1 offset:1248
	s_clause 0x4
	buffer_load_dword v174, off, s[0:3], 0 offset:748
	buffer_load_dword v175, off, s[0:3], 0 offset:760
	;; [unrolled: 1-line block ×5, first 2 shown]
	s_waitcnt vmcnt(62) lgkmcnt(1)
	v_mul_f64 v[169:170], v[4:5], v[16:17]
	v_mul_f64 v[171:172], v[2:3], v[16:17]
	s_waitcnt vmcnt(60) lgkmcnt(0)
	v_mul_f64 v[178:179], v[14:15], v[20:21]
	ds_read_b128 v[16:19], v1 offset:1264
	v_mul_f64 v[20:21], v[12:13], v[20:21]
	s_waitcnt vmcnt(58)
	v_fma_f64 v[169:170], v[2:3], v[22:23], -v[169:170]
	v_fma_f64 v[22:23], v[4:5], v[22:23], v[171:172]
	s_clause 0x2
	buffer_load_dword v176, off, s[0:3], 0 offset:764
	buffer_load_dword v172, off, s[0:3], 0 offset:740
	;; [unrolled: 1-line block ×3, first 2 shown]
	s_waitcnt vmcnt(59) lgkmcnt(0)
	v_mul_f64 v[180:181], v[16:17], v[31:32]
	v_mul_f64 v[31:32], v[18:19], v[31:32]
	s_waitcnt vmcnt(57)
	v_fma_f64 v[182:183], v[12:13], v[33:34], -v[178:179]
	ds_read_b128 v[2:5], v1 offset:1280
	v_fma_f64 v[20:21], v[14:15], v[33:34], v[20:21]
	buffer_load_dword v178, off, s[0:3], 0 offset:756
	ds_read_b128 v[12:15], v1 offset:1296
	v_add_f64 v[169:170], v[169:170], 0
	v_add_f64 v[22:23], v[22:23], 0
	s_waitcnt vmcnt(54) lgkmcnt(1)
	v_mul_f64 v[33:34], v[2:3], v[35:36]
	v_mul_f64 v[35:36], v[4:5], v[35:36]
	s_waitcnt vmcnt(52)
	v_fma_f64 v[31:32], v[16:17], v[45:46], -v[31:32]
	v_fma_f64 v[45:46], v[18:19], v[45:46], v[180:181]
	ds_read_b128 v[16:19], v1 offset:1312
	v_add_f64 v[169:170], v[169:170], v[182:183]
	v_add_f64 v[20:21], v[22:23], v[20:21]
	s_waitcnt vmcnt(51) lgkmcnt(1)
	v_mul_f64 v[22:23], v[12:13], v[37:38]
	v_mul_f64 v[37:38], v[14:15], v[37:38]
	s_waitcnt vmcnt(49)
	v_fma_f64 v[33:34], v[4:5], v[47:48], v[33:34]
	v_fma_f64 v[35:36], v[2:3], v[47:48], -v[35:36]
	v_add_f64 v[31:32], v[169:170], v[31:32]
	v_add_f64 v[20:21], v[20:21], v[45:46]
	s_clause 0x3
	buffer_load_dword v45, off, s[0:3], 0 offset:480
	buffer_load_dword v46, off, s[0:3], 0 offset:484
	;; [unrolled: 1-line block ×4, first 2 shown]
	s_waitcnt vmcnt(49) lgkmcnt(0)
	v_mul_f64 v[169:170], v[16:17], v[49:50]
	v_mul_f64 v[49:50], v[18:19], v[49:50]
	s_waitcnt vmcnt(48)
	v_fma_f64 v[37:38], v[12:13], v[39:40], -v[37:38]
	ds_read_b128 v[2:5], v1 offset:1328
	v_fma_f64 v[22:23], v[14:15], v[39:40], v[22:23]
	ds_read_b128 v[12:15], v1 offset:1344
	v_add_f64 v[31:32], v[31:32], v[35:36]
	v_add_f64 v[20:21], v[20:21], v[33:34]
	s_waitcnt vmcnt(47) lgkmcnt(1)
	v_mul_f64 v[35:36], v[4:5], v[51:52]
	s_waitcnt vmcnt(45)
	v_fma_f64 v[39:40], v[16:17], v[59:60], -v[49:50]
	v_mul_f64 v[33:34], v[2:3], v[51:52]
	s_waitcnt vmcnt(41) lgkmcnt(0)
	v_mul_f64 v[49:50], v[14:15], v[61:62]
	v_add_f64 v[31:32], v[31:32], v[37:38]
	v_fma_f64 v[37:38], v[18:19], v[59:60], v[169:170]
	v_add_f64 v[20:21], v[20:21], v[22:23]
	ds_read_b128 v[16:19], v1 offset:1360
	s_waitcnt vmcnt(40)
	v_fma_f64 v[35:36], v[2:3], v[57:58], -v[35:36]
	v_mul_f64 v[22:23], v[12:13], v[61:62]
	v_fma_f64 v[33:34], v[4:5], v[57:58], v[33:34]
	ds_read_b128 v[2:5], v1 offset:1376
	s_waitcnt vmcnt(37)
	v_fma_f64 v[49:50], v[12:13], v[67:68], -v[49:50]
	v_add_f64 v[31:32], v[31:32], v[39:40]
	s_waitcnt lgkmcnt(1)
	v_mul_f64 v[39:40], v[18:19], v[63:64]
	v_add_f64 v[20:21], v[20:21], v[37:38]
	v_mul_f64 v[37:38], v[16:17], v[63:64]
	v_fma_f64 v[22:23], v[14:15], v[67:68], v[22:23]
	ds_read_b128 v[12:15], v1 offset:1392
	v_add_f64 v[31:32], v[31:32], v[35:36]
	s_waitcnt vmcnt(33) lgkmcnt(1)
	v_mul_f64 v[35:36], v[4:5], v[73:74]
	v_add_f64 v[20:21], v[20:21], v[33:34]
	s_waitcnt vmcnt(32)
	v_fma_f64 v[39:40], v[16:17], v[65:66], -v[39:40]
	v_mul_f64 v[33:34], v[2:3], v[73:74]
	v_fma_f64 v[37:38], v[18:19], v[65:66], v[37:38]
	ds_read_b128 v[16:19], v1 offset:1408
	v_add_f64 v[31:32], v[31:32], v[49:50]
	s_waitcnt vmcnt(31) lgkmcnt(1)
	v_mul_f64 v[49:50], v[14:15], v[75:76]
	v_add_f64 v[20:21], v[20:21], v[22:23]
	s_waitcnt vmcnt(29)
	v_fma_f64 v[35:36], v[2:3], v[79:80], -v[35:36]
	;; [unrolled: 9-line block ×7, first 2 shown]
	v_mul_f64 v[33:34], v[2:3], v[173:174]
	v_fma_f64 v[18:19], v[18:19], v[165:166], v[37:38]
	v_add_f64 v[31:32], v[31:32], v[49:50]
	v_add_f64 v[20:21], v[20:21], v[22:23]
	s_waitcnt vmcnt(7) lgkmcnt(0)
	v_mul_f64 v[37:38], v[14:15], v[175:176]
	v_mul_f64 v[22:23], v[12:13], v[175:176]
	s_waitcnt vmcnt(5)
	v_fma_f64 v[2:3], v[2:3], v[171:172], -v[35:36]
	v_fma_f64 v[4:5], v[4:5], v[171:172], v[33:34]
	v_add_f64 v[16:17], v[31:32], v[16:17]
	v_add_f64 v[18:19], v[20:21], v[18:19]
	s_waitcnt vmcnt(4)
	v_fma_f64 v[12:13], v[12:13], v[177:178], -v[37:38]
	v_fma_f64 v[14:15], v[14:15], v[177:178], v[22:23]
	v_add_f64 v[2:3], v[16:17], v[2:3]
	v_add_f64 v[4:5], v[18:19], v[4:5]
	;; [unrolled: 1-line block ×4, first 2 shown]
	s_waitcnt vmcnt(2)
	v_add_f64 v[2:3], v[45:46], -v[2:3]
	s_waitcnt vmcnt(0)
	v_add_f64 v[4:5], v[47:48], -v[4:5]
	buffer_store_dword v3, off, s[0:3], 0 offset:484
	buffer_store_dword v2, off, s[0:3], 0 offset:480
	;; [unrolled: 1-line block ×4, first 2 shown]
	v_cmpx_lt_u32_e32 28, v0
	s_cbranch_execz .LBB46_239
; %bb.238:
	v_mov_b32_e32 v5, s30
	s_clause 0x3
	buffer_load_dword v2, v5, s[0:3], 0 offen
	buffer_load_dword v3, v5, s[0:3], 0 offen offset:4
	buffer_load_dword v4, v5, s[0:3], 0 offen offset:8
	;; [unrolled: 1-line block ×3, first 2 shown]
	buffer_store_dword v1, off, s[0:3], 0 offset:464
	buffer_store_dword v1, off, s[0:3], 0 offset:468
	;; [unrolled: 1-line block ×4, first 2 shown]
	s_waitcnt vmcnt(0)
	ds_write_b128 v7, v[2:5]
.LBB46_239:
	s_or_b32 exec_lo, exec_lo, s4
	s_waitcnt lgkmcnt(0)
	s_waitcnt_vscnt null, 0x0
	s_barrier
	buffer_gl0_inv
	s_clause 0x37
	buffer_load_dword v16, off, s[0:3], 0 offset:488
	buffer_load_dword v17, off, s[0:3], 0 offset:492
	buffer_load_dword v20, off, s[0:3], 0 offset:504
	buffer_load_dword v21, off, s[0:3], 0 offset:508
	buffer_load_dword v22, off, s[0:3], 0 offset:480
	buffer_load_dword v23, off, s[0:3], 0 offset:484
	buffer_load_dword v31, off, s[0:3], 0 offset:520
	buffer_load_dword v32, off, s[0:3], 0 offset:524
	buffer_load_dword v33, off, s[0:3], 0 offset:496
	buffer_load_dword v34, off, s[0:3], 0 offset:500
	buffer_load_dword v36, off, s[0:3], 0 offset:540
	buffer_load_dword v37, off, s[0:3], 0 offset:552
	buffer_load_dword v39, off, s[0:3], 0 offset:544
	buffer_load_dword v35, off, s[0:3], 0 offset:536
	buffer_load_dword v45, off, s[0:3], 0 offset:512
	buffer_load_dword v46, off, s[0:3], 0 offset:516
	buffer_load_dword v38, off, s[0:3], 0 offset:556
	buffer_load_dword v48, off, s[0:3], 0 offset:532
	buffer_load_dword v47, off, s[0:3], 0 offset:528
	buffer_load_dword v50, off, s[0:3], 0 offset:572
	buffer_load_dword v51, off, s[0:3], 0 offset:584
	buffer_load_dword v57, off, s[0:3], 0 offset:576
	buffer_load_dword v49, off, s[0:3], 0 offset:568
	buffer_load_dword v40, off, s[0:3], 0 offset:548
	buffer_load_dword v52, off, s[0:3], 0 offset:588
	buffer_load_dword v60, off, s[0:3], 0 offset:564
	buffer_load_dword v59, off, s[0:3], 0 offset:560
	buffer_load_dword v62, off, s[0:3], 0 offset:604
	buffer_load_dword v63, off, s[0:3], 0 offset:616
	buffer_load_dword v65, off, s[0:3], 0 offset:608
	buffer_load_dword v61, off, s[0:3], 0 offset:600
	buffer_load_dword v58, off, s[0:3], 0 offset:580
	buffer_load_dword v64, off, s[0:3], 0 offset:620
	buffer_load_dword v68, off, s[0:3], 0 offset:596
	buffer_load_dword v67, off, s[0:3], 0 offset:592
	buffer_load_dword v74, off, s[0:3], 0 offset:636
	buffer_load_dword v75, off, s[0:3], 0 offset:648
	buffer_load_dword v77, off, s[0:3], 0 offset:640
	buffer_load_dword v73, off, s[0:3], 0 offset:632
	buffer_load_dword v66, off, s[0:3], 0 offset:612
	buffer_load_dword v76, off, s[0:3], 0 offset:652
	buffer_load_dword v80, off, s[0:3], 0 offset:628
	buffer_load_dword v79, off, s[0:3], 0 offset:624
	buffer_load_dword v154, off, s[0:3], 0 offset:668
	buffer_load_dword v155, off, s[0:3], 0 offset:680
	buffer_load_dword v157, off, s[0:3], 0 offset:672
	buffer_load_dword v153, off, s[0:3], 0 offset:664
	buffer_load_dword v78, off, s[0:3], 0 offset:644
	buffer_load_dword v156, off, s[0:3], 0 offset:684
	buffer_load_dword v160, off, s[0:3], 0 offset:660
	buffer_load_dword v159, off, s[0:3], 0 offset:656
	buffer_load_dword v162, off, s[0:3], 0 offset:700
	buffer_load_dword v163, off, s[0:3], 0 offset:712
	buffer_load_dword v165, off, s[0:3], 0 offset:704
	buffer_load_dword v161, off, s[0:3], 0 offset:696
	buffer_load_dword v158, off, s[0:3], 0 offset:676
	ds_read_b128 v[2:5], v1 offset:1216
	s_clause 0x2
	buffer_load_dword v164, off, s[0:3], 0 offset:716
	buffer_load_dword v168, off, s[0:3], 0 offset:692
	;; [unrolled: 1-line block ×3, first 2 shown]
	ds_read_b128 v[12:15], v1 offset:1232
	s_clause 0x4
	buffer_load_dword v174, off, s[0:3], 0 offset:732
	buffer_load_dword v175, off, s[0:3], 0 offset:744
	;; [unrolled: 1-line block ×5, first 2 shown]
	s_mov_b32 s4, exec_lo
	s_waitcnt vmcnt(62) lgkmcnt(1)
	v_mul_f64 v[169:170], v[4:5], v[16:17]
	v_mul_f64 v[171:172], v[2:3], v[16:17]
	s_waitcnt vmcnt(60) lgkmcnt(0)
	v_mul_f64 v[178:179], v[14:15], v[20:21]
	ds_read_b128 v[16:19], v1 offset:1248
	v_mul_f64 v[20:21], v[12:13], v[20:21]
	s_waitcnt vmcnt(58)
	v_fma_f64 v[169:170], v[2:3], v[22:23], -v[169:170]
	v_fma_f64 v[22:23], v[4:5], v[22:23], v[171:172]
	s_clause 0x2
	buffer_load_dword v176, off, s[0:3], 0 offset:748
	buffer_load_dword v172, off, s[0:3], 0 offset:724
	;; [unrolled: 1-line block ×3, first 2 shown]
	s_waitcnt vmcnt(59) lgkmcnt(0)
	v_mul_f64 v[180:181], v[16:17], v[31:32]
	v_mul_f64 v[31:32], v[18:19], v[31:32]
	s_waitcnt vmcnt(57)
	v_fma_f64 v[182:183], v[12:13], v[33:34], -v[178:179]
	ds_read_b128 v[2:5], v1 offset:1264
	v_fma_f64 v[20:21], v[14:15], v[33:34], v[20:21]
	s_clause 0x2
	buffer_load_dword v34, off, s[0:3], 0 offset:764
	buffer_load_dword v33, off, s[0:3], 0 offset:760
	buffer_load_dword v178, off, s[0:3], 0 offset:740
	ds_read_b128 v[12:15], v1 offset:1280
	v_add_f64 v[169:170], v[169:170], 0
	v_add_f64 v[22:23], v[22:23], 0
	s_waitcnt vmcnt(56) lgkmcnt(1)
	v_mul_f64 v[184:185], v[2:3], v[35:36]
	v_mul_f64 v[35:36], v[4:5], v[35:36]
	s_waitcnt vmcnt(54)
	v_fma_f64 v[31:32], v[16:17], v[45:46], -v[31:32]
	v_fma_f64 v[45:46], v[18:19], v[45:46], v[180:181]
	s_waitcnt vmcnt(53) lgkmcnt(0)
	v_mul_f64 v[179:180], v[12:13], v[37:38]
	v_mul_f64 v[37:38], v[14:15], v[37:38]
	v_add_f64 v[169:170], v[169:170], v[182:183]
	v_add_f64 v[20:21], v[22:23], v[20:21]
	s_clause 0x1
	buffer_load_dword v23, off, s[0:3], 0 offset:756
	buffer_load_dword v22, off, s[0:3], 0 offset:752
	ds_read_b128 v[16:19], v1 offset:1296
	s_waitcnt vmcnt(53)
	v_fma_f64 v[35:36], v[2:3], v[47:48], -v[35:36]
	v_fma_f64 v[47:48], v[4:5], v[47:48], v[184:185]
	ds_read_b128 v[2:5], v1 offset:1312
	s_waitcnt vmcnt(48)
	v_fma_f64 v[37:38], v[12:13], v[39:40], -v[37:38]
	v_add_f64 v[31:32], v[169:170], v[31:32]
	v_add_f64 v[20:21], v[20:21], v[45:46]
	s_waitcnt lgkmcnt(1)
	v_mul_f64 v[45:46], v[16:17], v[49:50]
	v_mul_f64 v[49:50], v[18:19], v[49:50]
	s_waitcnt vmcnt(47) lgkmcnt(0)
	v_mul_f64 v[169:170], v[2:3], v[51:52]
	v_mul_f64 v[51:52], v[4:5], v[51:52]
	v_add_f64 v[31:32], v[31:32], v[35:36]
	v_fma_f64 v[35:36], v[14:15], v[39:40], v[179:180]
	v_add_f64 v[20:21], v[20:21], v[47:48]
	s_clause 0x3
	buffer_load_dword v39, off, s[0:3], 0 offset:464
	buffer_load_dword v40, off, s[0:3], 0 offset:468
	;; [unrolled: 1-line block ×4, first 2 shown]
	s_waitcnt vmcnt(49)
	v_fma_f64 v[49:50], v[16:17], v[59:60], -v[49:50]
	ds_read_b128 v[12:15], v1 offset:1328
	s_waitcnt vmcnt(44)
	v_fma_f64 v[51:52], v[2:3], v[57:58], -v[51:52]
	v_add_f64 v[31:32], v[31:32], v[37:38]
	v_fma_f64 v[37:38], v[18:19], v[59:60], v[45:46]
	v_add_f64 v[20:21], v[20:21], v[35:36]
	ds_read_b128 v[16:19], v1 offset:1344
	s_waitcnt lgkmcnt(1)
	v_mul_f64 v[45:46], v[14:15], v[61:62]
	v_mul_f64 v[35:36], v[12:13], v[61:62]
	v_add_f64 v[31:32], v[31:32], v[49:50]
	v_fma_f64 v[49:50], v[4:5], v[57:58], v[169:170]
	v_add_f64 v[20:21], v[20:21], v[37:38]
	s_waitcnt vmcnt(43) lgkmcnt(0)
	v_mul_f64 v[57:58], v[18:19], v[63:64]
	s_waitcnt vmcnt(41)
	v_fma_f64 v[45:46], v[12:13], v[67:68], -v[45:46]
	ds_read_b128 v[2:5], v1 offset:1360
	v_mul_f64 v[37:38], v[16:17], v[63:64]
	v_fma_f64 v[35:36], v[14:15], v[67:68], v[35:36]
	ds_read_b128 v[12:15], v1 offset:1376
	v_add_f64 v[31:32], v[31:32], v[51:52]
	v_add_f64 v[20:21], v[20:21], v[49:50]
	s_waitcnt vmcnt(37) lgkmcnt(1)
	v_mul_f64 v[51:52], v[4:5], v[73:74]
	s_waitcnt vmcnt(36)
	v_fma_f64 v[57:58], v[16:17], v[65:66], -v[57:58]
	v_mul_f64 v[49:50], v[2:3], v[73:74]
	v_fma_f64 v[37:38], v[18:19], v[65:66], v[37:38]
	ds_read_b128 v[16:19], v1 offset:1392
	v_add_f64 v[31:32], v[31:32], v[45:46]
	s_waitcnt vmcnt(35) lgkmcnt(1)
	v_mul_f64 v[45:46], v[14:15], v[75:76]
	v_add_f64 v[20:21], v[20:21], v[35:36]
	s_waitcnt vmcnt(33)
	v_fma_f64 v[51:52], v[2:3], v[79:80], -v[51:52]
	v_mul_f64 v[35:36], v[12:13], v[75:76]
	v_fma_f64 v[49:50], v[4:5], v[79:80], v[49:50]
	ds_read_b128 v[2:5], v1 offset:1408
	v_add_f64 v[31:32], v[31:32], v[57:58]
	s_waitcnt vmcnt(29) lgkmcnt(1)
	v_mul_f64 v[57:58], v[18:19], v[153:154]
	v_add_f64 v[20:21], v[20:21], v[37:38]
	;; [unrolled: 9-line block ×6, first 2 shown]
	s_waitcnt vmcnt(12)
	v_fma_f64 v[57:58], v[16:17], v[165:166], -v[57:58]
	v_mul_f64 v[49:50], v[2:3], v[173:174]
	v_fma_f64 v[37:38], v[18:19], v[165:166], v[37:38]
	ds_read_b128 v[16:19], v1 offset:1488
	v_add_f64 v[31:32], v[31:32], v[45:46]
	v_add_f64 v[20:21], v[20:21], v[35:36]
	s_waitcnt vmcnt(11) lgkmcnt(1)
	v_mul_f64 v[45:46], v[14:15], v[175:176]
	v_mul_f64 v[35:36], v[12:13], v[175:176]
	s_waitcnt vmcnt(9)
	v_fma_f64 v[1:2], v[2:3], v[171:172], -v[51:52]
	v_fma_f64 v[3:4], v[4:5], v[171:172], v[49:50]
	v_add_f64 v[31:32], v[31:32], v[57:58]
	v_add_f64 v[5:6], v[20:21], v[37:38]
	s_waitcnt vmcnt(7) lgkmcnt(0)
	v_mul_f64 v[20:21], v[16:17], v[33:34]
	v_mul_f64 v[33:34], v[18:19], v[33:34]
	s_waitcnt vmcnt(6)
	v_fma_f64 v[12:13], v[12:13], v[177:178], -v[45:46]
	v_fma_f64 v[14:15], v[14:15], v[177:178], v[35:36]
	v_add_f64 v[1:2], v[31:32], v[1:2]
	v_add_f64 v[3:4], v[5:6], v[3:4]
	s_waitcnt vmcnt(4)
	v_fma_f64 v[5:6], v[16:17], v[22:23], -v[33:34]
	v_add_f64 v[1:2], v[1:2], v[12:13]
	v_fma_f64 v[12:13], v[18:19], v[22:23], v[20:21]
	v_add_f64 v[3:4], v[3:4], v[14:15]
	v_add_f64 v[1:2], v[1:2], v[5:6]
	;; [unrolled: 1-line block ×3, first 2 shown]
	s_waitcnt vmcnt(2)
	v_add_f64 v[1:2], v[39:40], -v[1:2]
	s_waitcnt vmcnt(0)
	v_add_f64 v[3:4], v[47:48], -v[3:4]
	buffer_store_dword v2, off, s[0:3], 0 offset:468
	buffer_store_dword v1, off, s[0:3], 0 offset:464
	;; [unrolled: 1-line block ×4, first 2 shown]
	v_cmpx_lt_u32_e32 27, v0
	s_cbranch_execz .LBB46_241
; %bb.240:
	v_mov_b32_e32 v4, s31
	v_mov_b32_e32 v5, 0
	s_clause 0x3
	buffer_load_dword v1, v4, s[0:3], 0 offen
	buffer_load_dword v2, v4, s[0:3], 0 offen offset:4
	buffer_load_dword v3, v4, s[0:3], 0 offen offset:8
	;; [unrolled: 1-line block ×3, first 2 shown]
	buffer_store_dword v5, off, s[0:3], 0 offset:448
	buffer_store_dword v5, off, s[0:3], 0 offset:452
	;; [unrolled: 1-line block ×4, first 2 shown]
	s_waitcnt vmcnt(0)
	ds_write_b128 v7, v[1:4]
.LBB46_241:
	s_or_b32 exec_lo, exec_lo, s4
	s_waitcnt lgkmcnt(0)
	s_waitcnt_vscnt null, 0x0
	s_barrier
	buffer_gl0_inv
	s_clause 0x37
	buffer_load_dword v16, off, s[0:3], 0 offset:472
	buffer_load_dword v17, off, s[0:3], 0 offset:476
	;; [unrolled: 1-line block ×56, first 2 shown]
	v_mov_b32_e32 v1, 0
	s_mov_b32 s4, exec_lo
	ds_read_b128 v[2:5], v1 offset:1200
	s_clause 0x2
	buffer_load_dword v164, off, s[0:3], 0 offset:700
	buffer_load_dword v168, off, s[0:3], 0 offset:676
	;; [unrolled: 1-line block ×3, first 2 shown]
	ds_read_b128 v[12:15], v1 offset:1216
	s_clause 0x4
	buffer_load_dword v174, off, s[0:3], 0 offset:716
	buffer_load_dword v175, off, s[0:3], 0 offset:728
	;; [unrolled: 1-line block ×5, first 2 shown]
	s_waitcnt vmcnt(62) lgkmcnt(1)
	v_mul_f64 v[169:170], v[4:5], v[16:17]
	v_mul_f64 v[171:172], v[2:3], v[16:17]
	s_waitcnt vmcnt(60) lgkmcnt(0)
	v_mul_f64 v[178:179], v[14:15], v[20:21]
	ds_read_b128 v[16:19], v1 offset:1232
	v_mul_f64 v[20:21], v[12:13], v[20:21]
	s_waitcnt vmcnt(58)
	v_fma_f64 v[169:170], v[2:3], v[22:23], -v[169:170]
	v_fma_f64 v[22:23], v[4:5], v[22:23], v[171:172]
	s_clause 0x2
	buffer_load_dword v176, off, s[0:3], 0 offset:732
	buffer_load_dword v172, off, s[0:3], 0 offset:708
	;; [unrolled: 1-line block ×3, first 2 shown]
	s_waitcnt vmcnt(59) lgkmcnt(0)
	v_mul_f64 v[180:181], v[16:17], v[31:32]
	v_mul_f64 v[31:32], v[18:19], v[31:32]
	s_waitcnt vmcnt(57)
	v_fma_f64 v[182:183], v[12:13], v[33:34], -v[178:179]
	ds_read_b128 v[2:5], v1 offset:1248
	v_fma_f64 v[20:21], v[14:15], v[33:34], v[20:21]
	s_clause 0x4
	buffer_load_dword v34, off, s[0:3], 0 offset:748
	buffer_load_dword v179, off, s[0:3], 0 offset:760
	;; [unrolled: 1-line block ×5, first 2 shown]
	ds_read_b128 v[12:15], v1 offset:1264
	v_add_f64 v[169:170], v[169:170], 0
	v_add_f64 v[22:23], v[22:23], 0
	s_waitcnt vmcnt(58) lgkmcnt(1)
	v_mul_f64 v[185:186], v[2:3], v[35:36]
	v_mul_f64 v[35:36], v[4:5], v[35:36]
	s_waitcnt vmcnt(56)
	v_fma_f64 v[31:32], v[16:17], v[45:46], -v[31:32]
	v_fma_f64 v[45:46], v[18:19], v[45:46], v[180:181]
	v_add_f64 v[169:170], v[169:170], v[182:183]
	v_add_f64 v[20:21], v[22:23], v[20:21]
	s_clause 0x2
	buffer_load_dword v180, off, s[0:3], 0 offset:764
	buffer_load_dword v23, off, s[0:3], 0 offset:740
	;; [unrolled: 1-line block ×3, first 2 shown]
	s_waitcnt vmcnt(58) lgkmcnt(0)
	v_mul_f64 v[181:182], v[12:13], v[37:38]
	v_mul_f64 v[37:38], v[14:15], v[37:38]
	s_waitcnt vmcnt(56)
	v_fma_f64 v[35:36], v[2:3], v[47:48], -v[35:36]
	ds_read_b128 v[16:19], v1 offset:1280
	v_fma_f64 v[47:48], v[4:5], v[47:48], v[185:186]
	buffer_load_dword v185, off, s[0:3], 0 offset:756
	ds_read_b128 v[2:5], v1 offset:1296
	v_add_f64 v[31:32], v[169:170], v[31:32]
	v_add_f64 v[20:21], v[20:21], v[45:46]
	s_waitcnt vmcnt(53) lgkmcnt(1)
	v_mul_f64 v[45:46], v[16:17], v[49:50]
	v_mul_f64 v[49:50], v[18:19], v[49:50]
	s_waitcnt vmcnt(52)
	v_fma_f64 v[37:38], v[12:13], v[39:40], -v[37:38]
	v_add_f64 v[31:32], v[31:32], v[35:36]
	v_fma_f64 v[35:36], v[14:15], v[39:40], v[181:182]
	v_add_f64 v[20:21], v[20:21], v[47:48]
	s_waitcnt vmcnt(51) lgkmcnt(0)
	v_mul_f64 v[47:48], v[4:5], v[51:52]
	ds_read_b128 v[12:15], v1 offset:1312
	s_waitcnt vmcnt(49)
	v_fma_f64 v[49:50], v[16:17], v[59:60], -v[49:50]
	v_mul_f64 v[39:40], v[2:3], v[51:52]
	v_add_f64 v[31:32], v[31:32], v[37:38]
	v_fma_f64 v[37:38], v[18:19], v[59:60], v[45:46]
	v_add_f64 v[20:21], v[20:21], v[35:36]
	s_clause 0x3
	buffer_load_dword v35, off, s[0:3], 0 offset:448
	buffer_load_dword v36, off, s[0:3], 0 offset:452
	buffer_load_dword v45, off, s[0:3], 0 offset:456
	buffer_load_dword v46, off, s[0:3], 0 offset:460
	s_waitcnt vmcnt(49) lgkmcnt(0)
	v_mul_f64 v[59:60], v[14:15], v[61:62]
	s_waitcnt vmcnt(48)
	v_fma_f64 v[47:48], v[2:3], v[57:58], -v[47:48]
	ds_read_b128 v[16:19], v1 offset:1328
	v_mul_f64 v[51:52], v[12:13], v[61:62]
	v_fma_f64 v[39:40], v[4:5], v[57:58], v[39:40]
	ds_read_b128 v[2:5], v1 offset:1344
	v_add_f64 v[31:32], v[31:32], v[49:50]
	v_add_f64 v[20:21], v[20:21], v[37:38]
	s_waitcnt vmcnt(47) lgkmcnt(1)
	v_mul_f64 v[49:50], v[18:19], v[63:64]
	s_waitcnt vmcnt(45)
	v_fma_f64 v[57:58], v[12:13], v[67:68], -v[59:60]
	v_mul_f64 v[37:38], v[16:17], v[63:64]
	v_add_f64 v[31:32], v[31:32], v[47:48]
	v_fma_f64 v[47:48], v[14:15], v[67:68], v[51:52]
	v_add_f64 v[20:21], v[20:21], v[39:40]
	s_waitcnt vmcnt(41) lgkmcnt(0)
	v_mul_f64 v[51:52], v[4:5], v[73:74]
	s_waitcnt vmcnt(40)
	v_fma_f64 v[49:50], v[16:17], v[65:66], -v[49:50]
	ds_read_b128 v[12:15], v1 offset:1360
	v_mul_f64 v[39:40], v[2:3], v[73:74]
	v_fma_f64 v[37:38], v[18:19], v[65:66], v[37:38]
	ds_read_b128 v[16:19], v1 offset:1376
	v_add_f64 v[31:32], v[31:32], v[57:58]
	v_add_f64 v[20:21], v[20:21], v[47:48]
	s_waitcnt vmcnt(39) lgkmcnt(1)
	v_mul_f64 v[57:58], v[14:15], v[75:76]
	s_waitcnt vmcnt(37)
	v_fma_f64 v[51:52], v[2:3], v[79:80], -v[51:52]
	v_mul_f64 v[47:48], v[12:13], v[75:76]
	v_fma_f64 v[39:40], v[4:5], v[79:80], v[39:40]
	ds_read_b128 v[2:5], v1 offset:1392
	v_add_f64 v[31:32], v[31:32], v[49:50]
	s_waitcnt vmcnt(33) lgkmcnt(1)
	v_mul_f64 v[49:50], v[18:19], v[153:154]
	v_add_f64 v[20:21], v[20:21], v[37:38]
	s_waitcnt vmcnt(32)
	v_fma_f64 v[57:58], v[12:13], v[77:78], -v[57:58]
	v_mul_f64 v[37:38], v[16:17], v[153:154]
	v_fma_f64 v[47:48], v[14:15], v[77:78], v[47:48]
	ds_read_b128 v[12:15], v1 offset:1408
	v_add_f64 v[31:32], v[31:32], v[51:52]
	s_waitcnt vmcnt(31) lgkmcnt(1)
	v_mul_f64 v[51:52], v[4:5], v[155:156]
	v_add_f64 v[20:21], v[20:21], v[39:40]
	;; [unrolled: 9-line block ×5, first 2 shown]
	s_waitcnt vmcnt(16)
	v_fma_f64 v[49:50], v[16:17], v[165:166], -v[49:50]
	v_mul_f64 v[39:40], v[2:3], v[173:174]
	v_fma_f64 v[37:38], v[18:19], v[165:166], v[37:38]
	ds_read_b128 v[16:19], v1 offset:1472
	v_add_f64 v[31:32], v[31:32], v[57:58]
	v_add_f64 v[20:21], v[20:21], v[47:48]
	s_waitcnt vmcnt(15) lgkmcnt(1)
	v_mul_f64 v[57:58], v[14:15], v[175:176]
	v_mul_f64 v[47:48], v[12:13], v[175:176]
	s_waitcnt vmcnt(13)
	v_fma_f64 v[51:52], v[2:3], v[171:172], -v[51:52]
	v_fma_f64 v[39:40], v[4:5], v[171:172], v[39:40]
	ds_read_b128 v[2:5], v1 offset:1488
	v_add_f64 v[31:32], v[31:32], v[49:50]
	v_add_f64 v[20:21], v[20:21], v[37:38]
	s_waitcnt vmcnt(9) lgkmcnt(1)
	v_mul_f64 v[37:38], v[16:17], v[33:34]
	v_mul_f64 v[33:34], v[18:19], v[33:34]
	s_waitcnt vmcnt(8)
	v_fma_f64 v[12:13], v[12:13], v[177:178], -v[57:58]
	v_fma_f64 v[14:15], v[14:15], v[177:178], v[47:48]
	v_add_f64 v[31:32], v[31:32], v[51:52]
	v_add_f64 v[20:21], v[20:21], v[39:40]
	s_waitcnt vmcnt(7) lgkmcnt(0)
	v_mul_f64 v[47:48], v[4:5], v[179:180]
	v_mul_f64 v[39:40], v[2:3], v[179:180]
	s_waitcnt vmcnt(5)
	v_fma_f64 v[16:17], v[16:17], v[22:23], -v[33:34]
	v_fma_f64 v[18:19], v[18:19], v[22:23], v[37:38]
	v_add_f64 v[12:13], v[31:32], v[12:13]
	v_add_f64 v[14:15], v[20:21], v[14:15]
	s_waitcnt vmcnt(4)
	v_fma_f64 v[2:3], v[2:3], v[184:185], -v[47:48]
	v_fma_f64 v[4:5], v[4:5], v[184:185], v[39:40]
	v_add_f64 v[12:13], v[12:13], v[16:17]
	v_add_f64 v[14:15], v[14:15], v[18:19]
	;; [unrolled: 1-line block ×4, first 2 shown]
	s_waitcnt vmcnt(2)
	v_add_f64 v[2:3], v[35:36], -v[2:3]
	s_waitcnt vmcnt(0)
	v_add_f64 v[4:5], v[45:46], -v[4:5]
	buffer_store_dword v3, off, s[0:3], 0 offset:452
	buffer_store_dword v2, off, s[0:3], 0 offset:448
	;; [unrolled: 1-line block ×4, first 2 shown]
	v_cmpx_lt_u32_e32 26, v0
	s_cbranch_execz .LBB46_243
; %bb.242:
	v_mov_b32_e32 v5, s33
	s_clause 0x3
	buffer_load_dword v2, v5, s[0:3], 0 offen
	buffer_load_dword v3, v5, s[0:3], 0 offen offset:4
	buffer_load_dword v4, v5, s[0:3], 0 offen offset:8
	buffer_load_dword v5, v5, s[0:3], 0 offen offset:12
	buffer_store_dword v1, off, s[0:3], 0 offset:432
	buffer_store_dword v1, off, s[0:3], 0 offset:436
	;; [unrolled: 1-line block ×4, first 2 shown]
	s_waitcnt vmcnt(0)
	ds_write_b128 v7, v[2:5]
.LBB46_243:
	s_or_b32 exec_lo, exec_lo, s4
	s_waitcnt lgkmcnt(0)
	s_waitcnt_vscnt null, 0x0
	s_barrier
	buffer_gl0_inv
	s_clause 0x37
	buffer_load_dword v16, off, s[0:3], 0 offset:456
	buffer_load_dword v17, off, s[0:3], 0 offset:460
	;; [unrolled: 1-line block ×56, first 2 shown]
	ds_read_b128 v[2:5], v1 offset:1184
	s_clause 0x2
	buffer_load_dword v164, off, s[0:3], 0 offset:684
	buffer_load_dword v168, off, s[0:3], 0 offset:660
	;; [unrolled: 1-line block ×3, first 2 shown]
	ds_read_b128 v[12:15], v1 offset:1200
	s_clause 0x4
	buffer_load_dword v174, off, s[0:3], 0 offset:700
	buffer_load_dword v175, off, s[0:3], 0 offset:712
	;; [unrolled: 1-line block ×5, first 2 shown]
	s_mov_b32 s4, exec_lo
	s_waitcnt vmcnt(62) lgkmcnt(1)
	v_mul_f64 v[169:170], v[4:5], v[16:17]
	v_mul_f64 v[171:172], v[2:3], v[16:17]
	s_waitcnt vmcnt(60) lgkmcnt(0)
	v_mul_f64 v[178:179], v[14:15], v[20:21]
	ds_read_b128 v[16:19], v1 offset:1216
	v_mul_f64 v[20:21], v[12:13], v[20:21]
	s_waitcnt vmcnt(58)
	v_fma_f64 v[169:170], v[2:3], v[22:23], -v[169:170]
	v_fma_f64 v[22:23], v[4:5], v[22:23], v[171:172]
	s_clause 0x2
	buffer_load_dword v176, off, s[0:3], 0 offset:716
	buffer_load_dword v172, off, s[0:3], 0 offset:692
	;; [unrolled: 1-line block ×3, first 2 shown]
	s_waitcnt vmcnt(59) lgkmcnt(0)
	v_mul_f64 v[180:181], v[16:17], v[31:32]
	v_mul_f64 v[31:32], v[18:19], v[31:32]
	s_waitcnt vmcnt(57)
	v_fma_f64 v[182:183], v[12:13], v[33:34], -v[178:179]
	ds_read_b128 v[2:5], v1 offset:1232
	v_fma_f64 v[20:21], v[14:15], v[33:34], v[20:21]
	s_clause 0x4
	buffer_load_dword v34, off, s[0:3], 0 offset:732
	buffer_load_dword v179, off, s[0:3], 0 offset:744
	;; [unrolled: 1-line block ×5, first 2 shown]
	ds_read_b128 v[12:15], v1 offset:1248
	v_add_f64 v[169:170], v[169:170], 0
	v_add_f64 v[22:23], v[22:23], 0
	s_waitcnt vmcnt(58) lgkmcnt(1)
	v_mul_f64 v[185:186], v[2:3], v[35:36]
	v_mul_f64 v[35:36], v[4:5], v[35:36]
	s_waitcnt vmcnt(56)
	v_fma_f64 v[31:32], v[16:17], v[45:46], -v[31:32]
	v_fma_f64 v[45:46], v[18:19], v[45:46], v[180:181]
	v_add_f64 v[169:170], v[169:170], v[182:183]
	v_add_f64 v[20:21], v[22:23], v[20:21]
	s_clause 0x2
	buffer_load_dword v180, off, s[0:3], 0 offset:748
	buffer_load_dword v23, off, s[0:3], 0 offset:724
	;; [unrolled: 1-line block ×3, first 2 shown]
	s_waitcnt vmcnt(58) lgkmcnt(0)
	v_mul_f64 v[181:182], v[12:13], v[37:38]
	v_mul_f64 v[37:38], v[14:15], v[37:38]
	s_waitcnt vmcnt(56)
	v_fma_f64 v[35:36], v[2:3], v[47:48], -v[35:36]
	ds_read_b128 v[16:19], v1 offset:1264
	v_fma_f64 v[47:48], v[4:5], v[47:48], v[185:186]
	v_add_f64 v[31:32], v[169:170], v[31:32]
	v_add_f64 v[20:21], v[20:21], v[45:46]
	s_clause 0x2
	buffer_load_dword v46, off, s[0:3], 0 offset:764
	buffer_load_dword v45, off, s[0:3], 0 offset:760
	;; [unrolled: 1-line block ×3, first 2 shown]
	ds_read_b128 v[2:5], v1 offset:1280
	s_waitcnt vmcnt(55) lgkmcnt(1)
	v_mul_f64 v[169:170], v[16:17], v[49:50]
	v_mul_f64 v[49:50], v[18:19], v[49:50]
	s_waitcnt vmcnt(54)
	v_fma_f64 v[37:38], v[12:13], v[39:40], -v[37:38]
	v_add_f64 v[31:32], v[31:32], v[35:36]
	v_fma_f64 v[35:36], v[14:15], v[39:40], v[181:182]
	v_add_f64 v[20:21], v[20:21], v[47:48]
	s_clause 0x1
	buffer_load_dword v40, off, s[0:3], 0 offset:756
	buffer_load_dword v39, off, s[0:3], 0 offset:752
	s_waitcnt vmcnt(55) lgkmcnt(0)
	v_mul_f64 v[47:48], v[2:3], v[51:52]
	v_mul_f64 v[51:52], v[4:5], v[51:52]
	s_waitcnt vmcnt(53)
	v_fma_f64 v[49:50], v[16:17], v[59:60], -v[49:50]
	ds_read_b128 v[12:15], v1 offset:1296
	v_add_f64 v[31:32], v[31:32], v[37:38]
	v_fma_f64 v[37:38], v[18:19], v[59:60], v[169:170]
	v_add_f64 v[20:21], v[20:21], v[35:36]
	ds_read_b128 v[16:19], v1 offset:1312
	s_waitcnt vmcnt(48)
	v_fma_f64 v[47:48], v[4:5], v[57:58], v[47:48]
	s_waitcnt lgkmcnt(1)
	v_mul_f64 v[59:60], v[14:15], v[61:62]
	v_fma_f64 v[51:52], v[2:3], v[57:58], -v[51:52]
	v_mul_f64 v[35:36], v[12:13], v[61:62]
	v_add_f64 v[31:32], v[31:32], v[49:50]
	s_waitcnt vmcnt(47) lgkmcnt(0)
	v_mul_f64 v[61:62], v[18:19], v[63:64]
	v_add_f64 v[20:21], v[20:21], v[37:38]
	s_clause 0x3
	buffer_load_dword v37, off, s[0:3], 0 offset:432
	buffer_load_dword v38, off, s[0:3], 0 offset:436
	buffer_load_dword v49, off, s[0:3], 0 offset:440
	buffer_load_dword v50, off, s[0:3], 0 offset:444
	ds_read_b128 v[2:5], v1 offset:1328
	s_waitcnt vmcnt(49)
	v_fma_f64 v[59:60], v[12:13], v[67:68], -v[59:60]
	v_mul_f64 v[57:58], v[16:17], v[63:64]
	v_fma_f64 v[35:36], v[14:15], v[67:68], v[35:36]
	ds_read_b128 v[12:15], v1 offset:1344
	v_add_f64 v[31:32], v[31:32], v[51:52]
	s_waitcnt vmcnt(44)
	v_fma_f64 v[61:62], v[16:17], v[65:66], -v[61:62]
	v_add_f64 v[20:21], v[20:21], v[47:48]
	s_waitcnt lgkmcnt(1)
	v_mul_f64 v[51:52], v[4:5], v[73:74]
	v_mul_f64 v[47:48], v[2:3], v[73:74]
	v_fma_f64 v[57:58], v[18:19], v[65:66], v[57:58]
	ds_read_b128 v[16:19], v1 offset:1360
	v_add_f64 v[31:32], v[31:32], v[59:60]
	s_waitcnt vmcnt(43) lgkmcnt(1)
	v_mul_f64 v[59:60], v[14:15], v[75:76]
	v_add_f64 v[20:21], v[20:21], v[35:36]
	s_waitcnt vmcnt(41)
	v_fma_f64 v[51:52], v[2:3], v[79:80], -v[51:52]
	v_mul_f64 v[35:36], v[12:13], v[75:76]
	v_fma_f64 v[47:48], v[4:5], v[79:80], v[47:48]
	ds_read_b128 v[2:5], v1 offset:1376
	v_add_f64 v[31:32], v[31:32], v[61:62]
	s_waitcnt vmcnt(37) lgkmcnt(1)
	v_mul_f64 v[61:62], v[18:19], v[153:154]
	v_add_f64 v[20:21], v[20:21], v[57:58]
	s_waitcnt vmcnt(36)
	v_fma_f64 v[59:60], v[12:13], v[77:78], -v[59:60]
	;; [unrolled: 9-line block ×6, first 2 shown]
	v_mul_f64 v[47:48], v[2:3], v[173:174]
	v_fma_f64 v[57:58], v[18:19], v[165:166], v[57:58]
	ds_read_b128 v[16:19], v1 offset:1456
	v_add_f64 v[31:32], v[31:32], v[59:60]
	v_add_f64 v[20:21], v[20:21], v[35:36]
	s_waitcnt vmcnt(19) lgkmcnt(1)
	v_mul_f64 v[59:60], v[14:15], v[175:176]
	v_mul_f64 v[35:36], v[12:13], v[175:176]
	s_waitcnt vmcnt(17)
	v_fma_f64 v[51:52], v[2:3], v[171:172], -v[51:52]
	v_fma_f64 v[47:48], v[4:5], v[171:172], v[47:48]
	ds_read_b128 v[2:5], v1 offset:1472
	v_add_f64 v[31:32], v[31:32], v[61:62]
	v_add_f64 v[20:21], v[20:21], v[57:58]
	s_waitcnt vmcnt(13) lgkmcnt(1)
	v_mul_f64 v[57:58], v[16:17], v[33:34]
	v_mul_f64 v[33:34], v[18:19], v[33:34]
	s_waitcnt vmcnt(12)
	v_fma_f64 v[59:60], v[12:13], v[177:178], -v[59:60]
	;; [unrolled: 9-line block ×3, first 2 shown]
	v_fma_f64 v[18:19], v[18:19], v[22:23], v[57:58]
	v_add_f64 v[31:32], v[31:32], v[59:60]
	v_add_f64 v[20:21], v[20:21], v[35:36]
	s_waitcnt vmcnt(7) lgkmcnt(0)
	v_mul_f64 v[33:34], v[14:15], v[45:46]
	s_waitcnt vmcnt(6)
	v_fma_f64 v[1:2], v[2:3], v[184:185], -v[51:52]
	v_mul_f64 v[22:23], v[12:13], v[45:46]
	v_fma_f64 v[3:4], v[4:5], v[184:185], v[47:48]
	v_add_f64 v[16:17], v[31:32], v[16:17]
	v_add_f64 v[5:6], v[20:21], v[18:19]
	s_waitcnt vmcnt(4)
	v_fma_f64 v[12:13], v[12:13], v[39:40], -v[33:34]
	v_fma_f64 v[14:15], v[14:15], v[39:40], v[22:23]
	v_add_f64 v[1:2], v[16:17], v[1:2]
	v_add_f64 v[3:4], v[5:6], v[3:4]
	;; [unrolled: 1-line block ×4, first 2 shown]
	s_waitcnt vmcnt(2)
	v_add_f64 v[1:2], v[37:38], -v[1:2]
	s_waitcnt vmcnt(0)
	v_add_f64 v[3:4], v[49:50], -v[3:4]
	buffer_store_dword v2, off, s[0:3], 0 offset:436
	buffer_store_dword v1, off, s[0:3], 0 offset:432
	;; [unrolled: 1-line block ×4, first 2 shown]
	v_cmpx_lt_u32_e32 25, v0
	s_cbranch_execz .LBB46_245
; %bb.244:
	v_mov_b32_e32 v4, s34
	v_mov_b32_e32 v5, 0
	s_clause 0x3
	buffer_load_dword v1, v4, s[0:3], 0 offen
	buffer_load_dword v2, v4, s[0:3], 0 offen offset:4
	buffer_load_dword v3, v4, s[0:3], 0 offen offset:8
	;; [unrolled: 1-line block ×3, first 2 shown]
	buffer_store_dword v5, off, s[0:3], 0 offset:416
	buffer_store_dword v5, off, s[0:3], 0 offset:420
	;; [unrolled: 1-line block ×4, first 2 shown]
	s_waitcnt vmcnt(0)
	ds_write_b128 v7, v[1:4]
.LBB46_245:
	s_or_b32 exec_lo, exec_lo, s4
	s_waitcnt lgkmcnt(0)
	s_waitcnt_vscnt null, 0x0
	s_barrier
	buffer_gl0_inv
	s_clause 0x37
	buffer_load_dword v16, off, s[0:3], 0 offset:440
	buffer_load_dword v17, off, s[0:3], 0 offset:444
	;; [unrolled: 1-line block ×56, first 2 shown]
	v_mov_b32_e32 v1, 0
	s_mov_b32 s4, exec_lo
	ds_read_b128 v[2:5], v1 offset:1168
	s_clause 0x2
	buffer_load_dword v164, off, s[0:3], 0 offset:668
	buffer_load_dword v168, off, s[0:3], 0 offset:644
	;; [unrolled: 1-line block ×3, first 2 shown]
	ds_read_b128 v[12:15], v1 offset:1184
	s_clause 0x4
	buffer_load_dword v174, off, s[0:3], 0 offset:684
	buffer_load_dword v175, off, s[0:3], 0 offset:696
	;; [unrolled: 1-line block ×5, first 2 shown]
	s_waitcnt vmcnt(62) lgkmcnt(1)
	v_mul_f64 v[169:170], v[4:5], v[16:17]
	v_mul_f64 v[171:172], v[2:3], v[16:17]
	s_waitcnt vmcnt(60) lgkmcnt(0)
	v_mul_f64 v[178:179], v[14:15], v[20:21]
	ds_read_b128 v[16:19], v1 offset:1200
	v_mul_f64 v[20:21], v[12:13], v[20:21]
	s_waitcnt vmcnt(58)
	v_fma_f64 v[169:170], v[2:3], v[22:23], -v[169:170]
	v_fma_f64 v[22:23], v[4:5], v[22:23], v[171:172]
	s_clause 0x2
	buffer_load_dword v176, off, s[0:3], 0 offset:700
	buffer_load_dword v172, off, s[0:3], 0 offset:676
	;; [unrolled: 1-line block ×3, first 2 shown]
	s_waitcnt vmcnt(59) lgkmcnt(0)
	v_mul_f64 v[180:181], v[16:17], v[31:32]
	v_mul_f64 v[31:32], v[18:19], v[31:32]
	s_waitcnt vmcnt(57)
	v_fma_f64 v[182:183], v[12:13], v[33:34], -v[178:179]
	ds_read_b128 v[2:5], v1 offset:1216
	v_fma_f64 v[20:21], v[14:15], v[33:34], v[20:21]
	s_clause 0x4
	buffer_load_dword v34, off, s[0:3], 0 offset:716
	buffer_load_dword v179, off, s[0:3], 0 offset:728
	;; [unrolled: 1-line block ×5, first 2 shown]
	ds_read_b128 v[12:15], v1 offset:1232
	v_add_f64 v[169:170], v[169:170], 0
	v_add_f64 v[22:23], v[22:23], 0
	s_waitcnt vmcnt(58) lgkmcnt(1)
	v_mul_f64 v[185:186], v[2:3], v[35:36]
	v_mul_f64 v[35:36], v[4:5], v[35:36]
	s_waitcnt vmcnt(56)
	v_fma_f64 v[31:32], v[16:17], v[45:46], -v[31:32]
	v_fma_f64 v[45:46], v[18:19], v[45:46], v[180:181]
	v_add_f64 v[169:170], v[169:170], v[182:183]
	v_add_f64 v[20:21], v[22:23], v[20:21]
	s_clause 0x2
	buffer_load_dword v180, off, s[0:3], 0 offset:732
	buffer_load_dword v23, off, s[0:3], 0 offset:708
	;; [unrolled: 1-line block ×3, first 2 shown]
	s_waitcnt vmcnt(58) lgkmcnt(0)
	v_mul_f64 v[181:182], v[12:13], v[37:38]
	v_mul_f64 v[37:38], v[14:15], v[37:38]
	s_waitcnt vmcnt(56)
	v_fma_f64 v[35:36], v[2:3], v[47:48], -v[35:36]
	ds_read_b128 v[16:19], v1 offset:1248
	v_fma_f64 v[47:48], v[4:5], v[47:48], v[185:186]
	v_add_f64 v[31:32], v[169:170], v[31:32]
	v_add_f64 v[20:21], v[20:21], v[45:46]
	s_clause 0x4
	buffer_load_dword v46, off, s[0:3], 0 offset:748
	buffer_load_dword v169, off, s[0:3], 0 offset:760
	;; [unrolled: 1-line block ×5, first 2 shown]
	ds_read_b128 v[2:5], v1 offset:1264
	s_waitcnt vmcnt(57) lgkmcnt(1)
	v_mul_f64 v[187:188], v[16:17], v[49:50]
	v_mul_f64 v[49:50], v[18:19], v[49:50]
	s_waitcnt vmcnt(56)
	v_fma_f64 v[37:38], v[12:13], v[39:40], -v[37:38]
	v_add_f64 v[31:32], v[31:32], v[35:36]
	v_fma_f64 v[35:36], v[14:15], v[39:40], v[181:182]
	v_add_f64 v[20:21], v[20:21], v[47:48]
	s_clause 0x2
	buffer_load_dword v170, off, s[0:3], 0 offset:764
	buffer_load_dword v40, off, s[0:3], 0 offset:740
	;; [unrolled: 1-line block ×3, first 2 shown]
	s_waitcnt vmcnt(58) lgkmcnt(0)
	v_mul_f64 v[47:48], v[2:3], v[51:52]
	v_mul_f64 v[51:52], v[4:5], v[51:52]
	s_waitcnt vmcnt(56)
	v_fma_f64 v[49:50], v[16:17], v[59:60], -v[49:50]
	ds_read_b128 v[12:15], v1 offset:1280
	v_add_f64 v[31:32], v[31:32], v[37:38]
	v_fma_f64 v[37:38], v[18:19], v[59:60], v[187:188]
	v_add_f64 v[20:21], v[20:21], v[35:36]
	buffer_load_dword v187, off, s[0:3], 0 offset:756
	ds_read_b128 v[16:19], v1 offset:1296
	s_waitcnt vmcnt(53) lgkmcnt(1)
	v_mul_f64 v[59:60], v[14:15], v[61:62]
	s_waitcnt vmcnt(52)
	v_fma_f64 v[51:52], v[2:3], v[57:58], -v[51:52]
	v_mul_f64 v[35:36], v[12:13], v[61:62]
	v_fma_f64 v[47:48], v[4:5], v[57:58], v[47:48]
	ds_read_b128 v[2:5], v1 offset:1312
	v_add_f64 v[31:32], v[31:32], v[49:50]
	v_add_f64 v[20:21], v[20:21], v[37:38]
	s_waitcnt vmcnt(51) lgkmcnt(1)
	v_mul_f64 v[49:50], v[18:19], v[63:64]
	v_mul_f64 v[37:38], v[16:17], v[63:64]
	s_waitcnt vmcnt(49)
	v_fma_f64 v[57:58], v[12:13], v[67:68], -v[59:60]
	v_fma_f64 v[35:36], v[14:15], v[67:68], v[35:36]
	s_waitcnt vmcnt(45) lgkmcnt(0)
	v_mul_f64 v[61:62], v[4:5], v[73:74]
	v_mul_f64 v[59:60], v[2:3], v[73:74]
	v_add_f64 v[31:32], v[31:32], v[51:52]
	v_add_f64 v[20:21], v[20:21], v[47:48]
	s_clause 0x3
	buffer_load_dword v47, off, s[0:3], 0 offset:416
	buffer_load_dword v48, off, s[0:3], 0 offset:420
	;; [unrolled: 1-line block ×4, first 2 shown]
	s_waitcnt vmcnt(48)
	v_fma_f64 v[49:50], v[16:17], v[65:66], -v[49:50]
	ds_read_b128 v[12:15], v1 offset:1328
	v_fma_f64 v[37:38], v[18:19], v[65:66], v[37:38]
	ds_read_b128 v[16:19], v1 offset:1344
	s_waitcnt vmcnt(45)
	v_fma_f64 v[61:62], v[2:3], v[79:80], -v[61:62]
	v_add_f64 v[31:32], v[31:32], v[57:58]
	v_add_f64 v[20:21], v[20:21], v[35:36]
	s_waitcnt lgkmcnt(1)
	v_mul_f64 v[57:58], v[14:15], v[75:76]
	v_mul_f64 v[35:36], v[12:13], v[75:76]
	v_add_f64 v[31:32], v[31:32], v[49:50]
	v_fma_f64 v[49:50], v[4:5], v[79:80], v[59:60]
	v_add_f64 v[20:21], v[20:21], v[37:38]
	s_waitcnt vmcnt(41) lgkmcnt(0)
	v_mul_f64 v[59:60], v[18:19], v[153:154]
	s_waitcnt vmcnt(40)
	v_fma_f64 v[57:58], v[12:13], v[77:78], -v[57:58]
	ds_read_b128 v[2:5], v1 offset:1360
	v_mul_f64 v[37:38], v[16:17], v[153:154]
	v_fma_f64 v[35:36], v[14:15], v[77:78], v[35:36]
	ds_read_b128 v[12:15], v1 offset:1376
	v_add_f64 v[31:32], v[31:32], v[61:62]
	v_add_f64 v[20:21], v[20:21], v[49:50]
	s_waitcnt vmcnt(39) lgkmcnt(1)
	v_mul_f64 v[61:62], v[4:5], v[155:156]
	s_waitcnt vmcnt(37)
	v_fma_f64 v[59:60], v[16:17], v[159:160], -v[59:60]
	v_mul_f64 v[49:50], v[2:3], v[155:156]
	v_fma_f64 v[37:38], v[18:19], v[159:160], v[37:38]
	ds_read_b128 v[16:19], v1 offset:1392
	v_add_f64 v[31:32], v[31:32], v[57:58]
	s_waitcnt vmcnt(33) lgkmcnt(1)
	v_mul_f64 v[57:58], v[14:15], v[161:162]
	v_add_f64 v[20:21], v[20:21], v[35:36]
	s_waitcnt vmcnt(32)
	v_fma_f64 v[61:62], v[2:3], v[157:158], -v[61:62]
	v_mul_f64 v[35:36], v[12:13], v[161:162]
	v_fma_f64 v[49:50], v[4:5], v[157:158], v[49:50]
	ds_read_b128 v[2:5], v1 offset:1408
	v_add_f64 v[31:32], v[31:32], v[59:60]
	s_waitcnt vmcnt(31) lgkmcnt(1)
	v_mul_f64 v[59:60], v[18:19], v[163:164]
	v_add_f64 v[20:21], v[20:21], v[37:38]
	;; [unrolled: 9-line block ×3, first 2 shown]
	s_waitcnt vmcnt(24)
	v_fma_f64 v[59:60], v[16:17], v[165:166], -v[59:60]
	v_mul_f64 v[49:50], v[2:3], v[173:174]
	v_fma_f64 v[37:38], v[18:19], v[165:166], v[37:38]
	ds_read_b128 v[16:19], v1 offset:1440
	v_add_f64 v[31:32], v[31:32], v[57:58]
	v_add_f64 v[20:21], v[20:21], v[35:36]
	s_waitcnt vmcnt(23) lgkmcnt(1)
	v_mul_f64 v[57:58], v[14:15], v[175:176]
	v_mul_f64 v[35:36], v[12:13], v[175:176]
	s_waitcnt vmcnt(21)
	v_fma_f64 v[61:62], v[2:3], v[171:172], -v[61:62]
	v_fma_f64 v[49:50], v[4:5], v[171:172], v[49:50]
	ds_read_b128 v[2:5], v1 offset:1456
	v_add_f64 v[31:32], v[31:32], v[59:60]
	v_add_f64 v[20:21], v[20:21], v[37:38]
	s_waitcnt vmcnt(17) lgkmcnt(1)
	v_mul_f64 v[37:38], v[16:17], v[33:34]
	v_mul_f64 v[33:34], v[18:19], v[33:34]
	s_waitcnt vmcnt(16)
	v_fma_f64 v[57:58], v[12:13], v[177:178], -v[57:58]
	;; [unrolled: 9-line block ×3, first 2 shown]
	v_fma_f64 v[22:23], v[18:19], v[22:23], v[37:38]
	ds_read_b128 v[16:19], v1 offset:1488
	v_add_f64 v[31:32], v[31:32], v[57:58]
	v_add_f64 v[20:21], v[20:21], v[35:36]
	s_waitcnt vmcnt(9) lgkmcnt(1)
	v_mul_f64 v[37:38], v[14:15], v[45:46]
	s_waitcnt vmcnt(8)
	v_fma_f64 v[2:3], v[2:3], v[184:185], -v[59:60]
	v_mul_f64 v[35:36], v[12:13], v[45:46]
	v_fma_f64 v[4:5], v[4:5], v[184:185], v[49:50]
	v_add_f64 v[31:32], v[31:32], v[33:34]
	v_add_f64 v[20:21], v[20:21], v[22:23]
	s_waitcnt vmcnt(7) lgkmcnt(0)
	v_mul_f64 v[33:34], v[18:19], v[169:170]
	v_mul_f64 v[22:23], v[16:17], v[169:170]
	s_waitcnt vmcnt(5)
	v_fma_f64 v[12:13], v[12:13], v[39:40], -v[37:38]
	v_fma_f64 v[14:15], v[14:15], v[39:40], v[35:36]
	v_add_f64 v[2:3], v[31:32], v[2:3]
	v_add_f64 v[4:5], v[20:21], v[4:5]
	s_waitcnt vmcnt(4)
	v_fma_f64 v[16:17], v[16:17], v[186:187], -v[33:34]
	v_add_f64 v[2:3], v[2:3], v[12:13]
	v_fma_f64 v[12:13], v[18:19], v[186:187], v[22:23]
	v_add_f64 v[4:5], v[4:5], v[14:15]
	v_add_f64 v[2:3], v[2:3], v[16:17]
	;; [unrolled: 1-line block ×3, first 2 shown]
	s_waitcnt vmcnt(2)
	v_add_f64 v[2:3], v[47:48], -v[2:3]
	s_waitcnt vmcnt(0)
	v_add_f64 v[4:5], v[51:52], -v[4:5]
	buffer_store_dword v3, off, s[0:3], 0 offset:420
	buffer_store_dword v2, off, s[0:3], 0 offset:416
	;; [unrolled: 1-line block ×4, first 2 shown]
	v_cmpx_lt_u32_e32 24, v0
	s_cbranch_execz .LBB46_247
; %bb.246:
	v_mov_b32_e32 v5, s35
	s_clause 0x3
	buffer_load_dword v2, v5, s[0:3], 0 offen
	buffer_load_dword v3, v5, s[0:3], 0 offen offset:4
	buffer_load_dword v4, v5, s[0:3], 0 offen offset:8
	;; [unrolled: 1-line block ×3, first 2 shown]
	buffer_store_dword v1, off, s[0:3], 0 offset:400
	buffer_store_dword v1, off, s[0:3], 0 offset:404
	;; [unrolled: 1-line block ×4, first 2 shown]
	s_waitcnt vmcnt(0)
	ds_write_b128 v7, v[2:5]
.LBB46_247:
	s_or_b32 exec_lo, exec_lo, s4
	s_waitcnt lgkmcnt(0)
	s_waitcnt_vscnt null, 0x0
	s_barrier
	buffer_gl0_inv
	s_clause 0x37
	buffer_load_dword v16, off, s[0:3], 0 offset:424
	buffer_load_dword v17, off, s[0:3], 0 offset:428
	;; [unrolled: 1-line block ×56, first 2 shown]
	ds_read_b128 v[2:5], v1 offset:1152
	s_clause 0x2
	buffer_load_dword v164, off, s[0:3], 0 offset:652
	buffer_load_dword v168, off, s[0:3], 0 offset:628
	;; [unrolled: 1-line block ×3, first 2 shown]
	ds_read_b128 v[12:15], v1 offset:1168
	s_clause 0x4
	buffer_load_dword v174, off, s[0:3], 0 offset:668
	buffer_load_dword v175, off, s[0:3], 0 offset:680
	buffer_load_dword v177, off, s[0:3], 0 offset:672
	buffer_load_dword v173, off, s[0:3], 0 offset:664
	buffer_load_dword v166, off, s[0:3], 0 offset:644
	s_mov_b32 s4, exec_lo
	s_waitcnt vmcnt(62) lgkmcnt(1)
	v_mul_f64 v[169:170], v[4:5], v[16:17]
	v_mul_f64 v[171:172], v[2:3], v[16:17]
	s_waitcnt vmcnt(60) lgkmcnt(0)
	v_mul_f64 v[178:179], v[14:15], v[20:21]
	ds_read_b128 v[16:19], v1 offset:1184
	v_mul_f64 v[20:21], v[12:13], v[20:21]
	s_waitcnt vmcnt(58)
	v_fma_f64 v[169:170], v[2:3], v[22:23], -v[169:170]
	v_fma_f64 v[22:23], v[4:5], v[22:23], v[171:172]
	s_clause 0x2
	buffer_load_dword v176, off, s[0:3], 0 offset:684
	buffer_load_dword v172, off, s[0:3], 0 offset:660
	;; [unrolled: 1-line block ×3, first 2 shown]
	s_waitcnt vmcnt(59) lgkmcnt(0)
	v_mul_f64 v[180:181], v[16:17], v[31:32]
	v_mul_f64 v[31:32], v[18:19], v[31:32]
	s_waitcnt vmcnt(57)
	v_fma_f64 v[182:183], v[12:13], v[33:34], -v[178:179]
	ds_read_b128 v[2:5], v1 offset:1200
	v_fma_f64 v[20:21], v[14:15], v[33:34], v[20:21]
	s_clause 0x4
	buffer_load_dword v34, off, s[0:3], 0 offset:700
	buffer_load_dword v179, off, s[0:3], 0 offset:712
	;; [unrolled: 1-line block ×5, first 2 shown]
	ds_read_b128 v[12:15], v1 offset:1216
	v_add_f64 v[169:170], v[169:170], 0
	v_add_f64 v[22:23], v[22:23], 0
	s_waitcnt vmcnt(58) lgkmcnt(1)
	v_mul_f64 v[185:186], v[2:3], v[35:36]
	v_mul_f64 v[35:36], v[4:5], v[35:36]
	s_waitcnt vmcnt(56)
	v_fma_f64 v[31:32], v[16:17], v[45:46], -v[31:32]
	v_fma_f64 v[45:46], v[18:19], v[45:46], v[180:181]
	v_add_f64 v[169:170], v[169:170], v[182:183]
	v_add_f64 v[20:21], v[22:23], v[20:21]
	s_clause 0x2
	buffer_load_dword v180, off, s[0:3], 0 offset:716
	buffer_load_dword v23, off, s[0:3], 0 offset:692
	;; [unrolled: 1-line block ×3, first 2 shown]
	s_waitcnt vmcnt(58) lgkmcnt(0)
	v_mul_f64 v[181:182], v[12:13], v[37:38]
	v_mul_f64 v[37:38], v[14:15], v[37:38]
	s_waitcnt vmcnt(56)
	v_fma_f64 v[35:36], v[2:3], v[47:48], -v[35:36]
	ds_read_b128 v[16:19], v1 offset:1232
	v_fma_f64 v[47:48], v[4:5], v[47:48], v[185:186]
	v_add_f64 v[31:32], v[169:170], v[31:32]
	v_add_f64 v[20:21], v[20:21], v[45:46]
	s_clause 0x4
	buffer_load_dword v46, off, s[0:3], 0 offset:732
	buffer_load_dword v169, off, s[0:3], 0 offset:744
	;; [unrolled: 1-line block ×5, first 2 shown]
	ds_read_b128 v[2:5], v1 offset:1248
	s_waitcnt vmcnt(57) lgkmcnt(1)
	v_mul_f64 v[187:188], v[16:17], v[49:50]
	v_mul_f64 v[49:50], v[18:19], v[49:50]
	s_waitcnt vmcnt(56)
	v_fma_f64 v[37:38], v[12:13], v[39:40], -v[37:38]
	v_add_f64 v[31:32], v[31:32], v[35:36]
	v_fma_f64 v[35:36], v[14:15], v[39:40], v[181:182]
	v_add_f64 v[20:21], v[20:21], v[47:48]
	s_clause 0x2
	buffer_load_dword v170, off, s[0:3], 0 offset:748
	buffer_load_dword v40, off, s[0:3], 0 offset:724
	;; [unrolled: 1-line block ×3, first 2 shown]
	s_waitcnt vmcnt(58) lgkmcnt(0)
	v_mul_f64 v[47:48], v[2:3], v[51:52]
	v_mul_f64 v[51:52], v[4:5], v[51:52]
	s_waitcnt vmcnt(56)
	v_fma_f64 v[49:50], v[16:17], v[59:60], -v[49:50]
	ds_read_b128 v[12:15], v1 offset:1264
	v_add_f64 v[31:32], v[31:32], v[37:38]
	v_fma_f64 v[37:38], v[18:19], v[59:60], v[187:188]
	v_add_f64 v[20:21], v[20:21], v[35:36]
	s_clause 0x2
	buffer_load_dword v36, off, s[0:3], 0 offset:764
	buffer_load_dword v35, off, s[0:3], 0 offset:760
	;; [unrolled: 1-line block ×3, first 2 shown]
	ds_read_b128 v[16:19], v1 offset:1280
	s_waitcnt vmcnt(55) lgkmcnt(1)
	v_mul_f64 v[59:60], v[12:13], v[61:62]
	v_mul_f64 v[61:62], v[14:15], v[61:62]
	s_waitcnt vmcnt(54)
	v_fma_f64 v[51:52], v[2:3], v[57:58], -v[51:52]
	v_fma_f64 v[47:48], v[4:5], v[57:58], v[47:48]
	v_add_f64 v[31:32], v[31:32], v[49:50]
	v_add_f64 v[20:21], v[20:21], v[37:38]
	s_clause 0x1
	buffer_load_dword v38, off, s[0:3], 0 offset:756
	buffer_load_dword v37, off, s[0:3], 0 offset:752
	s_waitcnt vmcnt(55) lgkmcnt(0)
	v_mul_f64 v[57:58], v[18:19], v[63:64]
	ds_read_b128 v[2:5], v1 offset:1296
	s_waitcnt vmcnt(53)
	v_fma_f64 v[61:62], v[12:13], v[67:68], -v[61:62]
	v_mul_f64 v[49:50], v[16:17], v[63:64]
	v_add_f64 v[31:32], v[31:32], v[51:52]
	v_fma_f64 v[51:52], v[14:15], v[67:68], v[59:60]
	v_add_f64 v[20:21], v[20:21], v[47:48]
	ds_read_b128 v[12:15], v1 offset:1312
	s_waitcnt vmcnt(49) lgkmcnt(1)
	v_mul_f64 v[59:60], v[4:5], v[73:74]
	s_waitcnt vmcnt(48)
	v_fma_f64 v[57:58], v[16:17], v[65:66], -v[57:58]
	v_mul_f64 v[47:48], v[2:3], v[73:74]
	v_fma_f64 v[49:50], v[18:19], v[65:66], v[49:50]
	v_add_f64 v[31:32], v[31:32], v[61:62]
	s_waitcnt vmcnt(47) lgkmcnt(0)
	v_mul_f64 v[65:66], v[14:15], v[75:76]
	v_add_f64 v[20:21], v[20:21], v[51:52]
	s_clause 0x3
	buffer_load_dword v51, off, s[0:3], 0 offset:400
	buffer_load_dword v52, off, s[0:3], 0 offset:404
	;; [unrolled: 1-line block ×4, first 2 shown]
	s_waitcnt vmcnt(49)
	v_fma_f64 v[59:60], v[2:3], v[79:80], -v[59:60]
	ds_read_b128 v[16:19], v1 offset:1328
	v_mul_f64 v[63:64], v[12:13], v[75:76]
	v_fma_f64 v[47:48], v[4:5], v[79:80], v[47:48]
	ds_read_b128 v[2:5], v1 offset:1344
	v_add_f64 v[31:32], v[31:32], v[57:58]
	s_waitcnt vmcnt(44)
	v_fma_f64 v[65:66], v[12:13], v[77:78], -v[65:66]
	v_add_f64 v[20:21], v[20:21], v[49:50]
	s_waitcnt lgkmcnt(1)
	v_mul_f64 v[57:58], v[18:19], v[153:154]
	v_mul_f64 v[49:50], v[16:17], v[153:154]
	v_add_f64 v[31:32], v[31:32], v[59:60]
	v_fma_f64 v[59:60], v[14:15], v[77:78], v[63:64]
	v_add_f64 v[20:21], v[20:21], v[47:48]
	s_waitcnt vmcnt(43) lgkmcnt(0)
	v_mul_f64 v[63:64], v[4:5], v[155:156]
	s_waitcnt vmcnt(41)
	v_fma_f64 v[57:58], v[16:17], v[159:160], -v[57:58]
	ds_read_b128 v[12:15], v1 offset:1360
	v_mul_f64 v[47:48], v[2:3], v[155:156]
	v_fma_f64 v[49:50], v[18:19], v[159:160], v[49:50]
	ds_read_b128 v[16:19], v1 offset:1376
	v_add_f64 v[31:32], v[31:32], v[65:66]
	v_add_f64 v[20:21], v[20:21], v[59:60]
	s_waitcnt vmcnt(37) lgkmcnt(1)
	v_mul_f64 v[65:66], v[14:15], v[161:162]
	s_waitcnt vmcnt(36)
	v_fma_f64 v[63:64], v[2:3], v[157:158], -v[63:64]
	v_mul_f64 v[59:60], v[12:13], v[161:162]
	v_fma_f64 v[47:48], v[4:5], v[157:158], v[47:48]
	ds_read_b128 v[2:5], v1 offset:1392
	v_add_f64 v[31:32], v[31:32], v[57:58]
	s_waitcnt vmcnt(35) lgkmcnt(1)
	v_mul_f64 v[57:58], v[18:19], v[163:164]
	v_add_f64 v[20:21], v[20:21], v[49:50]
	s_waitcnt vmcnt(33)
	v_fma_f64 v[65:66], v[12:13], v[167:168], -v[65:66]
	v_mul_f64 v[49:50], v[16:17], v[163:164]
	v_fma_f64 v[59:60], v[14:15], v[167:168], v[59:60]
	ds_read_b128 v[12:15], v1 offset:1408
	v_add_f64 v[31:32], v[31:32], v[63:64]
	s_waitcnt vmcnt(29) lgkmcnt(1)
	v_mul_f64 v[63:64], v[4:5], v[173:174]
	v_add_f64 v[20:21], v[20:21], v[47:48]
	s_waitcnt vmcnt(28)
	v_fma_f64 v[57:58], v[16:17], v[165:166], -v[57:58]
	v_mul_f64 v[47:48], v[2:3], v[173:174]
	v_fma_f64 v[49:50], v[18:19], v[165:166], v[49:50]
	ds_read_b128 v[16:19], v1 offset:1424
	v_add_f64 v[31:32], v[31:32], v[65:66]
	v_add_f64 v[20:21], v[20:21], v[59:60]
	s_waitcnt vmcnt(27) lgkmcnt(1)
	v_mul_f64 v[65:66], v[14:15], v[175:176]
	v_mul_f64 v[59:60], v[12:13], v[175:176]
	s_waitcnt vmcnt(25)
	v_fma_f64 v[63:64], v[2:3], v[171:172], -v[63:64]
	v_fma_f64 v[47:48], v[4:5], v[171:172], v[47:48]
	ds_read_b128 v[2:5], v1 offset:1440
	v_add_f64 v[31:32], v[31:32], v[57:58]
	v_add_f64 v[20:21], v[20:21], v[49:50]
	s_waitcnt vmcnt(21) lgkmcnt(1)
	v_mul_f64 v[49:50], v[16:17], v[33:34]
	v_mul_f64 v[33:34], v[18:19], v[33:34]
	s_waitcnt vmcnt(20)
	v_fma_f64 v[57:58], v[12:13], v[177:178], -v[65:66]
	;; [unrolled: 9-line block ×5, first 2 shown]
	v_fma_f64 v[14:15], v[14:15], v[39:40], v[49:50]
	v_add_f64 v[31:32], v[31:32], v[57:58]
	v_add_f64 v[5:6], v[20:21], v[5:6]
	s_waitcnt vmcnt(7) lgkmcnt(0)
	v_mul_f64 v[20:21], v[1:2], v[35:36]
	v_mul_f64 v[35:36], v[3:4], v[35:36]
	s_waitcnt vmcnt(6)
	v_fma_f64 v[16:17], v[16:17], v[186:187], -v[33:34]
	v_fma_f64 v[18:19], v[18:19], v[186:187], v[22:23]
	v_add_f64 v[12:13], v[31:32], v[12:13]
	v_add_f64 v[5:6], v[5:6], v[14:15]
	s_waitcnt vmcnt(4)
	v_fma_f64 v[1:2], v[1:2], v[37:38], -v[35:36]
	v_fma_f64 v[3:4], v[3:4], v[37:38], v[20:21]
	v_add_f64 v[12:13], v[12:13], v[16:17]
	v_add_f64 v[5:6], v[5:6], v[18:19]
	;; [unrolled: 1-line block ×4, first 2 shown]
	s_waitcnt vmcnt(2)
	v_add_f64 v[1:2], v[51:52], -v[1:2]
	s_waitcnt vmcnt(0)
	v_add_f64 v[3:4], v[61:62], -v[3:4]
	buffer_store_dword v2, off, s[0:3], 0 offset:404
	buffer_store_dword v1, off, s[0:3], 0 offset:400
	;; [unrolled: 1-line block ×4, first 2 shown]
	v_cmpx_lt_u32_e32 23, v0
	s_cbranch_execz .LBB46_249
; %bb.248:
	v_mov_b32_e32 v4, s36
	v_mov_b32_e32 v5, 0
	s_clause 0x3
	buffer_load_dword v1, v4, s[0:3], 0 offen
	buffer_load_dword v2, v4, s[0:3], 0 offen offset:4
	buffer_load_dword v3, v4, s[0:3], 0 offen offset:8
	;; [unrolled: 1-line block ×3, first 2 shown]
	buffer_store_dword v5, off, s[0:3], 0 offset:384
	buffer_store_dword v5, off, s[0:3], 0 offset:388
	;; [unrolled: 1-line block ×4, first 2 shown]
	s_waitcnt vmcnt(0)
	ds_write_b128 v7, v[1:4]
.LBB46_249:
	s_or_b32 exec_lo, exec_lo, s4
	s_waitcnt lgkmcnt(0)
	s_waitcnt_vscnt null, 0x0
	s_barrier
	buffer_gl0_inv
	s_clause 0x37
	buffer_load_dword v16, off, s[0:3], 0 offset:408
	buffer_load_dword v17, off, s[0:3], 0 offset:412
	;; [unrolled: 1-line block ×56, first 2 shown]
	v_mov_b32_e32 v1, 0
	s_mov_b32 s4, exec_lo
	ds_read_b128 v[2:5], v1 offset:1136
	s_clause 0x2
	buffer_load_dword v164, off, s[0:3], 0 offset:636
	buffer_load_dword v168, off, s[0:3], 0 offset:612
	;; [unrolled: 1-line block ×3, first 2 shown]
	ds_read_b128 v[12:15], v1 offset:1152
	s_clause 0x4
	buffer_load_dword v174, off, s[0:3], 0 offset:652
	buffer_load_dword v175, off, s[0:3], 0 offset:664
	;; [unrolled: 1-line block ×5, first 2 shown]
	s_waitcnt vmcnt(62) lgkmcnt(1)
	v_mul_f64 v[169:170], v[4:5], v[16:17]
	v_mul_f64 v[171:172], v[2:3], v[16:17]
	s_waitcnt vmcnt(60) lgkmcnt(0)
	v_mul_f64 v[178:179], v[14:15], v[20:21]
	ds_read_b128 v[16:19], v1 offset:1168
	v_mul_f64 v[20:21], v[12:13], v[20:21]
	s_waitcnt vmcnt(58)
	v_fma_f64 v[169:170], v[2:3], v[22:23], -v[169:170]
	v_fma_f64 v[22:23], v[4:5], v[22:23], v[171:172]
	s_clause 0x2
	buffer_load_dword v176, off, s[0:3], 0 offset:668
	buffer_load_dword v172, off, s[0:3], 0 offset:644
	;; [unrolled: 1-line block ×3, first 2 shown]
	s_waitcnt vmcnt(59) lgkmcnt(0)
	v_mul_f64 v[180:181], v[16:17], v[31:32]
	v_mul_f64 v[31:32], v[18:19], v[31:32]
	s_waitcnt vmcnt(57)
	v_fma_f64 v[182:183], v[12:13], v[33:34], -v[178:179]
	ds_read_b128 v[2:5], v1 offset:1184
	v_fma_f64 v[20:21], v[14:15], v[33:34], v[20:21]
	s_clause 0x4
	buffer_load_dword v34, off, s[0:3], 0 offset:684
	buffer_load_dword v179, off, s[0:3], 0 offset:696
	;; [unrolled: 1-line block ×5, first 2 shown]
	ds_read_b128 v[12:15], v1 offset:1200
	v_add_f64 v[169:170], v[169:170], 0
	v_add_f64 v[22:23], v[22:23], 0
	s_waitcnt vmcnt(58) lgkmcnt(1)
	v_mul_f64 v[185:186], v[2:3], v[35:36]
	v_mul_f64 v[35:36], v[4:5], v[35:36]
	s_waitcnt vmcnt(56)
	v_fma_f64 v[31:32], v[16:17], v[45:46], -v[31:32]
	v_fma_f64 v[45:46], v[18:19], v[45:46], v[180:181]
	v_add_f64 v[169:170], v[169:170], v[182:183]
	v_add_f64 v[20:21], v[22:23], v[20:21]
	s_clause 0x2
	buffer_load_dword v180, off, s[0:3], 0 offset:700
	buffer_load_dword v23, off, s[0:3], 0 offset:676
	;; [unrolled: 1-line block ×3, first 2 shown]
	s_waitcnt vmcnt(58) lgkmcnt(0)
	v_mul_f64 v[181:182], v[12:13], v[37:38]
	v_mul_f64 v[37:38], v[14:15], v[37:38]
	s_waitcnt vmcnt(56)
	v_fma_f64 v[35:36], v[2:3], v[47:48], -v[35:36]
	ds_read_b128 v[16:19], v1 offset:1216
	v_fma_f64 v[47:48], v[4:5], v[47:48], v[185:186]
	v_add_f64 v[31:32], v[169:170], v[31:32]
	v_add_f64 v[20:21], v[20:21], v[45:46]
	s_clause 0x4
	buffer_load_dword v46, off, s[0:3], 0 offset:716
	buffer_load_dword v169, off, s[0:3], 0 offset:728
	;; [unrolled: 1-line block ×5, first 2 shown]
	ds_read_b128 v[2:5], v1 offset:1232
	s_waitcnt vmcnt(57) lgkmcnt(1)
	v_mul_f64 v[187:188], v[16:17], v[49:50]
	v_mul_f64 v[49:50], v[18:19], v[49:50]
	s_waitcnt vmcnt(56)
	v_fma_f64 v[37:38], v[12:13], v[39:40], -v[37:38]
	v_add_f64 v[31:32], v[31:32], v[35:36]
	v_fma_f64 v[35:36], v[14:15], v[39:40], v[181:182]
	v_add_f64 v[20:21], v[20:21], v[47:48]
	s_clause 0x2
	buffer_load_dword v170, off, s[0:3], 0 offset:732
	buffer_load_dword v40, off, s[0:3], 0 offset:708
	;; [unrolled: 1-line block ×3, first 2 shown]
	s_waitcnt vmcnt(58) lgkmcnt(0)
	v_mul_f64 v[47:48], v[2:3], v[51:52]
	v_mul_f64 v[51:52], v[4:5], v[51:52]
	s_waitcnt vmcnt(56)
	v_fma_f64 v[49:50], v[16:17], v[59:60], -v[49:50]
	ds_read_b128 v[12:15], v1 offset:1248
	v_add_f64 v[31:32], v[31:32], v[37:38]
	v_fma_f64 v[37:38], v[18:19], v[59:60], v[187:188]
	v_add_f64 v[20:21], v[20:21], v[35:36]
	s_clause 0x4
	buffer_load_dword v36, off, s[0:3], 0 offset:748
	buffer_load_dword v59, off, s[0:3], 0 offset:760
	;; [unrolled: 1-line block ×5, first 2 shown]
	ds_read_b128 v[16:19], v1 offset:1264
	s_waitcnt vmcnt(57) lgkmcnt(1)
	v_mul_f64 v[182:183], v[12:13], v[61:62]
	v_mul_f64 v[61:62], v[14:15], v[61:62]
	s_waitcnt vmcnt(56)
	v_fma_f64 v[51:52], v[2:3], v[57:58], -v[51:52]
	v_fma_f64 v[47:48], v[4:5], v[57:58], v[47:48]
	v_add_f64 v[31:32], v[31:32], v[49:50]
	v_add_f64 v[20:21], v[20:21], v[37:38]
	s_clause 0x2
	buffer_load_dword v60, off, s[0:3], 0 offset:764
	buffer_load_dword v38, off, s[0:3], 0 offset:740
	;; [unrolled: 1-line block ×3, first 2 shown]
	s_waitcnt vmcnt(58) lgkmcnt(0)
	v_mul_f64 v[57:58], v[18:19], v[63:64]
	ds_read_b128 v[2:5], v1 offset:1280
	s_waitcnt vmcnt(56)
	v_fma_f64 v[61:62], v[12:13], v[67:68], -v[61:62]
	v_mul_f64 v[49:50], v[16:17], v[63:64]
	v_add_f64 v[31:32], v[31:32], v[51:52]
	v_fma_f64 v[51:52], v[14:15], v[67:68], v[182:183]
	v_add_f64 v[20:21], v[20:21], v[47:48]
	buffer_load_dword v182, off, s[0:3], 0 offset:756
	ds_read_b128 v[12:15], v1 offset:1296
	s_waitcnt vmcnt(53) lgkmcnt(1)
	v_mul_f64 v[63:64], v[4:5], v[73:74]
	s_waitcnt vmcnt(52)
	v_fma_f64 v[57:58], v[16:17], v[65:66], -v[57:58]
	v_mul_f64 v[47:48], v[2:3], v[73:74]
	v_fma_f64 v[49:50], v[18:19], v[65:66], v[49:50]
	ds_read_b128 v[16:19], v1 offset:1312
	v_add_f64 v[31:32], v[31:32], v[61:62]
	v_add_f64 v[20:21], v[20:21], v[51:52]
	s_waitcnt vmcnt(51) lgkmcnt(1)
	v_mul_f64 v[61:62], v[14:15], v[75:76]
	v_mul_f64 v[51:52], v[12:13], v[75:76]
	s_waitcnt vmcnt(49)
	v_fma_f64 v[63:64], v[2:3], v[79:80], -v[63:64]
	v_fma_f64 v[47:48], v[4:5], v[79:80], v[47:48]
	s_waitcnt vmcnt(45) lgkmcnt(0)
	v_mul_f64 v[67:68], v[18:19], v[153:154]
	v_mul_f64 v[65:66], v[16:17], v[153:154]
	v_add_f64 v[31:32], v[31:32], v[57:58]
	v_add_f64 v[20:21], v[20:21], v[49:50]
	s_clause 0x3
	buffer_load_dword v49, off, s[0:3], 0 offset:384
	buffer_load_dword v50, off, s[0:3], 0 offset:388
	;; [unrolled: 1-line block ×4, first 2 shown]
	s_waitcnt vmcnt(48)
	v_fma_f64 v[61:62], v[12:13], v[77:78], -v[61:62]
	ds_read_b128 v[2:5], v1 offset:1328
	v_fma_f64 v[51:52], v[14:15], v[77:78], v[51:52]
	ds_read_b128 v[12:15], v1 offset:1344
	s_waitcnt vmcnt(45)
	v_fma_f64 v[67:68], v[16:17], v[159:160], -v[67:68]
	v_add_f64 v[31:32], v[31:32], v[63:64]
	v_add_f64 v[20:21], v[20:21], v[47:48]
	s_waitcnt lgkmcnt(1)
	v_mul_f64 v[63:64], v[4:5], v[155:156]
	v_mul_f64 v[47:48], v[2:3], v[155:156]
	v_add_f64 v[31:32], v[31:32], v[61:62]
	v_fma_f64 v[61:62], v[18:19], v[159:160], v[65:66]
	v_add_f64 v[20:21], v[20:21], v[51:52]
	s_waitcnt vmcnt(41) lgkmcnt(0)
	v_mul_f64 v[65:66], v[14:15], v[161:162]
	s_waitcnt vmcnt(40)
	v_fma_f64 v[63:64], v[2:3], v[157:158], -v[63:64]
	ds_read_b128 v[16:19], v1 offset:1360
	v_mul_f64 v[51:52], v[12:13], v[161:162]
	v_fma_f64 v[47:48], v[4:5], v[157:158], v[47:48]
	ds_read_b128 v[2:5], v1 offset:1376
	v_add_f64 v[31:32], v[31:32], v[67:68]
	v_add_f64 v[20:21], v[20:21], v[61:62]
	s_waitcnt vmcnt(39) lgkmcnt(1)
	v_mul_f64 v[67:68], v[18:19], v[163:164]
	s_waitcnt vmcnt(37)
	v_fma_f64 v[65:66], v[12:13], v[167:168], -v[65:66]
	v_mul_f64 v[61:62], v[16:17], v[163:164]
	v_fma_f64 v[51:52], v[14:15], v[167:168], v[51:52]
	ds_read_b128 v[12:15], v1 offset:1392
	v_add_f64 v[31:32], v[31:32], v[63:64]
	s_waitcnt vmcnt(33) lgkmcnt(1)
	v_mul_f64 v[63:64], v[4:5], v[173:174]
	v_add_f64 v[20:21], v[20:21], v[47:48]
	s_waitcnt vmcnt(32)
	v_fma_f64 v[67:68], v[16:17], v[165:166], -v[67:68]
	v_mul_f64 v[47:48], v[2:3], v[173:174]
	v_fma_f64 v[61:62], v[18:19], v[165:166], v[61:62]
	ds_read_b128 v[16:19], v1 offset:1408
	v_add_f64 v[31:32], v[31:32], v[65:66]
	v_add_f64 v[20:21], v[20:21], v[51:52]
	s_waitcnt vmcnt(31) lgkmcnt(1)
	v_mul_f64 v[65:66], v[14:15], v[175:176]
	v_mul_f64 v[51:52], v[12:13], v[175:176]
	s_waitcnt vmcnt(29)
	v_fma_f64 v[63:64], v[2:3], v[171:172], -v[63:64]
	v_fma_f64 v[47:48], v[4:5], v[171:172], v[47:48]
	ds_read_b128 v[2:5], v1 offset:1424
	v_add_f64 v[31:32], v[31:32], v[67:68]
	v_add_f64 v[20:21], v[20:21], v[61:62]
	s_waitcnt vmcnt(25) lgkmcnt(1)
	v_mul_f64 v[61:62], v[16:17], v[33:34]
	v_mul_f64 v[33:34], v[18:19], v[33:34]
	s_waitcnt vmcnt(24)
	v_fma_f64 v[65:66], v[12:13], v[177:178], -v[65:66]
	;; [unrolled: 9-line block ×4, first 2 shown]
	v_add_f64 v[31:32], v[31:32], v[33:34]
	v_fma_f64 v[33:34], v[4:5], v[184:185], v[47:48]
	v_add_f64 v[20:21], v[20:21], v[22:23]
	ds_read_b128 v[2:5], v1 offset:1472
	s_waitcnt vmcnt(15) lgkmcnt(1)
	v_mul_f64 v[47:48], v[18:19], v[169:170]
	v_mul_f64 v[22:23], v[16:17], v[169:170]
	s_waitcnt vmcnt(13)
	v_fma_f64 v[45:46], v[12:13], v[39:40], -v[45:46]
	v_fma_f64 v[39:40], v[14:15], v[39:40], v[51:52]
	ds_read_b128 v[12:15], v1 offset:1488
	v_add_f64 v[31:32], v[31:32], v[61:62]
	v_add_f64 v[20:21], v[20:21], v[33:34]
	s_waitcnt vmcnt(9) lgkmcnt(1)
	v_mul_f64 v[33:34], v[2:3], v[35:36]
	v_mul_f64 v[35:36], v[4:5], v[35:36]
	s_waitcnt vmcnt(8)
	v_fma_f64 v[16:17], v[16:17], v[186:187], -v[47:48]
	v_fma_f64 v[18:19], v[18:19], v[186:187], v[22:23]
	v_add_f64 v[31:32], v[31:32], v[45:46]
	v_add_f64 v[20:21], v[20:21], v[39:40]
	s_waitcnt vmcnt(7) lgkmcnt(0)
	v_mul_f64 v[39:40], v[14:15], v[59:60]
	v_mul_f64 v[22:23], v[12:13], v[59:60]
	s_waitcnt vmcnt(5)
	v_fma_f64 v[2:3], v[2:3], v[37:38], -v[35:36]
	v_fma_f64 v[4:5], v[4:5], v[37:38], v[33:34]
	v_add_f64 v[16:17], v[31:32], v[16:17]
	v_add_f64 v[18:19], v[20:21], v[18:19]
	s_waitcnt vmcnt(4)
	v_fma_f64 v[12:13], v[12:13], v[181:182], -v[39:40]
	v_fma_f64 v[14:15], v[14:15], v[181:182], v[22:23]
	v_add_f64 v[2:3], v[16:17], v[2:3]
	v_add_f64 v[4:5], v[18:19], v[4:5]
	;; [unrolled: 1-line block ×4, first 2 shown]
	s_waitcnt vmcnt(2)
	v_add_f64 v[2:3], v[49:50], -v[2:3]
	s_waitcnt vmcnt(0)
	v_add_f64 v[4:5], v[57:58], -v[4:5]
	buffer_store_dword v3, off, s[0:3], 0 offset:388
	buffer_store_dword v2, off, s[0:3], 0 offset:384
	;; [unrolled: 1-line block ×4, first 2 shown]
	v_cmpx_lt_u32_e32 22, v0
	s_cbranch_execz .LBB46_251
; %bb.250:
	v_mov_b32_e32 v5, s37
	s_clause 0x3
	buffer_load_dword v2, v5, s[0:3], 0 offen
	buffer_load_dword v3, v5, s[0:3], 0 offen offset:4
	buffer_load_dword v4, v5, s[0:3], 0 offen offset:8
	;; [unrolled: 1-line block ×3, first 2 shown]
	buffer_store_dword v1, off, s[0:3], 0 offset:368
	buffer_store_dword v1, off, s[0:3], 0 offset:372
	;; [unrolled: 1-line block ×4, first 2 shown]
	s_waitcnt vmcnt(0)
	ds_write_b128 v7, v[2:5]
.LBB46_251:
	s_or_b32 exec_lo, exec_lo, s4
	s_waitcnt lgkmcnt(0)
	s_waitcnt_vscnt null, 0x0
	s_barrier
	buffer_gl0_inv
	s_clause 0x37
	buffer_load_dword v16, off, s[0:3], 0 offset:392
	buffer_load_dword v17, off, s[0:3], 0 offset:396
	;; [unrolled: 1-line block ×56, first 2 shown]
	ds_read_b128 v[2:5], v1 offset:1120
	s_clause 0x2
	buffer_load_dword v164, off, s[0:3], 0 offset:620
	buffer_load_dword v168, off, s[0:3], 0 offset:596
	;; [unrolled: 1-line block ×3, first 2 shown]
	ds_read_b128 v[12:15], v1 offset:1136
	s_clause 0x4
	buffer_load_dword v174, off, s[0:3], 0 offset:636
	buffer_load_dword v175, off, s[0:3], 0 offset:648
	;; [unrolled: 1-line block ×5, first 2 shown]
	s_mov_b32 s4, exec_lo
	s_waitcnt vmcnt(62) lgkmcnt(1)
	v_mul_f64 v[169:170], v[4:5], v[16:17]
	v_mul_f64 v[171:172], v[2:3], v[16:17]
	s_waitcnt vmcnt(60) lgkmcnt(0)
	v_mul_f64 v[178:179], v[14:15], v[20:21]
	ds_read_b128 v[16:19], v1 offset:1152
	v_mul_f64 v[20:21], v[12:13], v[20:21]
	s_waitcnt vmcnt(58)
	v_fma_f64 v[169:170], v[2:3], v[22:23], -v[169:170]
	v_fma_f64 v[22:23], v[4:5], v[22:23], v[171:172]
	s_clause 0x2
	buffer_load_dword v176, off, s[0:3], 0 offset:652
	buffer_load_dword v172, off, s[0:3], 0 offset:628
	buffer_load_dword v171, off, s[0:3], 0 offset:624
	s_waitcnt vmcnt(59) lgkmcnt(0)
	v_mul_f64 v[180:181], v[16:17], v[31:32]
	v_mul_f64 v[31:32], v[18:19], v[31:32]
	s_waitcnt vmcnt(57)
	v_fma_f64 v[182:183], v[12:13], v[33:34], -v[178:179]
	ds_read_b128 v[2:5], v1 offset:1168
	v_fma_f64 v[20:21], v[14:15], v[33:34], v[20:21]
	s_clause 0x4
	buffer_load_dword v34, off, s[0:3], 0 offset:668
	buffer_load_dword v179, off, s[0:3], 0 offset:680
	;; [unrolled: 1-line block ×5, first 2 shown]
	ds_read_b128 v[12:15], v1 offset:1184
	v_add_f64 v[169:170], v[169:170], 0
	v_add_f64 v[22:23], v[22:23], 0
	s_waitcnt vmcnt(58) lgkmcnt(1)
	v_mul_f64 v[185:186], v[2:3], v[35:36]
	v_mul_f64 v[35:36], v[4:5], v[35:36]
	s_waitcnt vmcnt(56)
	v_fma_f64 v[31:32], v[16:17], v[45:46], -v[31:32]
	v_fma_f64 v[45:46], v[18:19], v[45:46], v[180:181]
	v_add_f64 v[169:170], v[169:170], v[182:183]
	v_add_f64 v[20:21], v[22:23], v[20:21]
	s_clause 0x2
	buffer_load_dword v180, off, s[0:3], 0 offset:684
	buffer_load_dword v23, off, s[0:3], 0 offset:660
	buffer_load_dword v22, off, s[0:3], 0 offset:656
	s_waitcnt vmcnt(58) lgkmcnt(0)
	v_mul_f64 v[181:182], v[12:13], v[37:38]
	v_mul_f64 v[37:38], v[14:15], v[37:38]
	s_waitcnt vmcnt(56)
	v_fma_f64 v[35:36], v[2:3], v[47:48], -v[35:36]
	ds_read_b128 v[16:19], v1 offset:1200
	v_fma_f64 v[47:48], v[4:5], v[47:48], v[185:186]
	v_add_f64 v[31:32], v[169:170], v[31:32]
	v_add_f64 v[20:21], v[20:21], v[45:46]
	s_clause 0x4
	buffer_load_dword v46, off, s[0:3], 0 offset:700
	buffer_load_dword v169, off, s[0:3], 0 offset:712
	;; [unrolled: 1-line block ×5, first 2 shown]
	ds_read_b128 v[2:5], v1 offset:1216
	s_waitcnt vmcnt(57) lgkmcnt(1)
	v_mul_f64 v[187:188], v[16:17], v[49:50]
	v_mul_f64 v[49:50], v[18:19], v[49:50]
	s_waitcnt vmcnt(56)
	v_fma_f64 v[37:38], v[12:13], v[39:40], -v[37:38]
	v_add_f64 v[31:32], v[31:32], v[35:36]
	v_fma_f64 v[35:36], v[14:15], v[39:40], v[181:182]
	v_add_f64 v[20:21], v[20:21], v[47:48]
	s_clause 0x2
	buffer_load_dword v170, off, s[0:3], 0 offset:716
	buffer_load_dword v40, off, s[0:3], 0 offset:692
	;; [unrolled: 1-line block ×3, first 2 shown]
	s_waitcnt vmcnt(58) lgkmcnt(0)
	v_mul_f64 v[47:48], v[2:3], v[51:52]
	v_mul_f64 v[51:52], v[4:5], v[51:52]
	s_waitcnt vmcnt(56)
	v_fma_f64 v[49:50], v[16:17], v[59:60], -v[49:50]
	ds_read_b128 v[12:15], v1 offset:1232
	v_add_f64 v[31:32], v[31:32], v[37:38]
	v_fma_f64 v[37:38], v[18:19], v[59:60], v[187:188]
	v_add_f64 v[20:21], v[20:21], v[35:36]
	s_clause 0x4
	buffer_load_dword v36, off, s[0:3], 0 offset:732
	buffer_load_dword v59, off, s[0:3], 0 offset:744
	;; [unrolled: 1-line block ×5, first 2 shown]
	ds_read_b128 v[16:19], v1 offset:1248
	s_waitcnt vmcnt(57) lgkmcnt(1)
	v_mul_f64 v[182:183], v[12:13], v[61:62]
	v_mul_f64 v[61:62], v[14:15], v[61:62]
	s_waitcnt vmcnt(56)
	v_fma_f64 v[51:52], v[2:3], v[57:58], -v[51:52]
	v_fma_f64 v[47:48], v[4:5], v[57:58], v[47:48]
	v_add_f64 v[31:32], v[31:32], v[49:50]
	v_add_f64 v[20:21], v[20:21], v[37:38]
	s_clause 0x2
	buffer_load_dword v60, off, s[0:3], 0 offset:748
	buffer_load_dword v38, off, s[0:3], 0 offset:724
	;; [unrolled: 1-line block ×3, first 2 shown]
	s_waitcnt vmcnt(58) lgkmcnt(0)
	v_mul_f64 v[57:58], v[18:19], v[63:64]
	ds_read_b128 v[2:5], v1 offset:1264
	s_waitcnt vmcnt(56)
	v_fma_f64 v[61:62], v[12:13], v[67:68], -v[61:62]
	v_mul_f64 v[49:50], v[16:17], v[63:64]
	v_add_f64 v[31:32], v[31:32], v[51:52]
	v_fma_f64 v[51:52], v[14:15], v[67:68], v[182:183]
	v_add_f64 v[20:21], v[20:21], v[47:48]
	s_clause 0x2
	buffer_load_dword v48, off, s[0:3], 0 offset:764
	buffer_load_dword v47, off, s[0:3], 0 offset:760
	;; [unrolled: 1-line block ×3, first 2 shown]
	s_waitcnt vmcnt(55) lgkmcnt(0)
	v_mul_f64 v[67:68], v[4:5], v[73:74]
	s_waitcnt vmcnt(54)
	v_fma_f64 v[57:58], v[16:17], v[65:66], -v[57:58]
	ds_read_b128 v[12:15], v1 offset:1280
	v_mul_f64 v[63:64], v[2:3], v[73:74]
	v_fma_f64 v[49:50], v[18:19], v[65:66], v[49:50]
	v_add_f64 v[31:32], v[31:32], v[61:62]
	v_add_f64 v[20:21], v[20:21], v[51:52]
	s_clause 0x1
	buffer_load_dword v52, off, s[0:3], 0 offset:756
	buffer_load_dword v51, off, s[0:3], 0 offset:752
	s_waitcnt vmcnt(55) lgkmcnt(0)
	v_mul_f64 v[65:66], v[14:15], v[75:76]
	s_waitcnt vmcnt(53)
	v_fma_f64 v[67:68], v[2:3], v[79:80], -v[67:68]
	ds_read_b128 v[16:19], v1 offset:1296
	v_mul_f64 v[61:62], v[12:13], v[75:76]
	v_add_f64 v[31:32], v[31:32], v[57:58]
	v_fma_f64 v[57:58], v[4:5], v[79:80], v[63:64]
	v_add_f64 v[20:21], v[20:21], v[49:50]
	ds_read_b128 v[2:5], v1 offset:1312
	s_waitcnt vmcnt(49) lgkmcnt(1)
	v_mul_f64 v[63:64], v[18:19], v[153:154]
	s_waitcnt vmcnt(48)
	v_fma_f64 v[65:66], v[12:13], v[77:78], -v[65:66]
	v_mul_f64 v[49:50], v[16:17], v[153:154]
	v_fma_f64 v[61:62], v[14:15], v[77:78], v[61:62]
	v_add_f64 v[31:32], v[31:32], v[67:68]
	s_waitcnt vmcnt(47) lgkmcnt(0)
	v_mul_f64 v[75:76], v[4:5], v[155:156]
	v_add_f64 v[20:21], v[20:21], v[57:58]
	s_clause 0x3
	buffer_load_dword v57, off, s[0:3], 0 offset:368
	buffer_load_dword v58, off, s[0:3], 0 offset:372
	;; [unrolled: 1-line block ×4, first 2 shown]
	s_waitcnt vmcnt(49)
	v_fma_f64 v[63:64], v[16:17], v[159:160], -v[63:64]
	ds_read_b128 v[12:15], v1 offset:1328
	v_mul_f64 v[73:74], v[2:3], v[155:156]
	v_fma_f64 v[49:50], v[18:19], v[159:160], v[49:50]
	ds_read_b128 v[16:19], v1 offset:1344
	v_add_f64 v[31:32], v[31:32], v[65:66]
	s_waitcnt vmcnt(44)
	v_fma_f64 v[75:76], v[2:3], v[157:158], -v[75:76]
	v_add_f64 v[20:21], v[20:21], v[61:62]
	s_waitcnt lgkmcnt(1)
	v_mul_f64 v[65:66], v[14:15], v[161:162]
	v_mul_f64 v[61:62], v[12:13], v[161:162]
	v_add_f64 v[31:32], v[31:32], v[63:64]
	v_fma_f64 v[63:64], v[4:5], v[157:158], v[73:74]
	v_add_f64 v[20:21], v[20:21], v[49:50]
	s_waitcnt vmcnt(43) lgkmcnt(0)
	v_mul_f64 v[73:74], v[18:19], v[163:164]
	s_waitcnt vmcnt(41)
	v_fma_f64 v[65:66], v[12:13], v[167:168], -v[65:66]
	ds_read_b128 v[2:5], v1 offset:1360
	v_mul_f64 v[49:50], v[16:17], v[163:164]
	v_fma_f64 v[61:62], v[14:15], v[167:168], v[61:62]
	ds_read_b128 v[12:15], v1 offset:1376
	v_add_f64 v[31:32], v[31:32], v[75:76]
	v_add_f64 v[20:21], v[20:21], v[63:64]
	s_waitcnt vmcnt(37) lgkmcnt(1)
	v_mul_f64 v[75:76], v[4:5], v[173:174]
	s_waitcnt vmcnt(36)
	v_fma_f64 v[73:74], v[16:17], v[165:166], -v[73:74]
	v_mul_f64 v[63:64], v[2:3], v[173:174]
	v_fma_f64 v[49:50], v[18:19], v[165:166], v[49:50]
	ds_read_b128 v[16:19], v1 offset:1392
	v_add_f64 v[31:32], v[31:32], v[65:66]
	v_add_f64 v[20:21], v[20:21], v[61:62]
	s_waitcnt vmcnt(35) lgkmcnt(1)
	v_mul_f64 v[65:66], v[14:15], v[175:176]
	v_mul_f64 v[61:62], v[12:13], v[175:176]
	s_waitcnt vmcnt(33)
	v_fma_f64 v[75:76], v[2:3], v[171:172], -v[75:76]
	v_fma_f64 v[63:64], v[4:5], v[171:172], v[63:64]
	ds_read_b128 v[2:5], v1 offset:1408
	v_add_f64 v[31:32], v[31:32], v[73:74]
	v_add_f64 v[20:21], v[20:21], v[49:50]
	s_waitcnt vmcnt(29) lgkmcnt(1)
	v_mul_f64 v[49:50], v[16:17], v[33:34]
	v_mul_f64 v[33:34], v[18:19], v[33:34]
	s_waitcnt vmcnt(28)
	v_fma_f64 v[65:66], v[12:13], v[177:178], -v[65:66]
	;; [unrolled: 9-line block ×4, first 2 shown]
	v_add_f64 v[31:32], v[31:32], v[33:34]
	v_fma_f64 v[33:34], v[4:5], v[184:185], v[63:64]
	v_add_f64 v[20:21], v[20:21], v[22:23]
	ds_read_b128 v[2:5], v1 offset:1456
	s_waitcnt vmcnt(19) lgkmcnt(1)
	v_mul_f64 v[63:64], v[18:19], v[169:170]
	v_mul_f64 v[22:23], v[16:17], v[169:170]
	s_waitcnt vmcnt(17)
	v_fma_f64 v[45:46], v[12:13], v[39:40], -v[45:46]
	v_fma_f64 v[39:40], v[14:15], v[39:40], v[49:50]
	ds_read_b128 v[12:15], v1 offset:1472
	v_add_f64 v[31:32], v[31:32], v[61:62]
	v_add_f64 v[20:21], v[20:21], v[33:34]
	s_waitcnt vmcnt(13) lgkmcnt(1)
	v_mul_f64 v[33:34], v[2:3], v[35:36]
	v_mul_f64 v[35:36], v[4:5], v[35:36]
	s_waitcnt vmcnt(12)
	v_fma_f64 v[49:50], v[16:17], v[186:187], -v[63:64]
	v_fma_f64 v[22:23], v[18:19], v[186:187], v[22:23]
	ds_read_b128 v[16:19], v1 offset:1488
	v_add_f64 v[31:32], v[31:32], v[45:46]
	v_add_f64 v[20:21], v[20:21], v[39:40]
	s_waitcnt vmcnt(11) lgkmcnt(1)
	v_mul_f64 v[45:46], v[14:15], v[59:60]
	v_mul_f64 v[39:40], v[12:13], v[59:60]
	s_waitcnt vmcnt(9)
	v_fma_f64 v[1:2], v[2:3], v[37:38], -v[35:36]
	v_fma_f64 v[3:4], v[4:5], v[37:38], v[33:34]
	v_add_f64 v[31:32], v[31:32], v[49:50]
	v_add_f64 v[5:6], v[20:21], v[22:23]
	s_waitcnt vmcnt(7) lgkmcnt(0)
	v_mul_f64 v[22:23], v[18:19], v[47:48]
	s_waitcnt vmcnt(6)
	v_fma_f64 v[12:13], v[12:13], v[181:182], -v[45:46]
	v_mul_f64 v[20:21], v[16:17], v[47:48]
	v_fma_f64 v[14:15], v[14:15], v[181:182], v[39:40]
	v_add_f64 v[1:2], v[31:32], v[1:2]
	v_add_f64 v[3:4], v[5:6], v[3:4]
	s_waitcnt vmcnt(4)
	v_fma_f64 v[5:6], v[16:17], v[51:52], -v[22:23]
	v_add_f64 v[1:2], v[1:2], v[12:13]
	v_fma_f64 v[12:13], v[18:19], v[51:52], v[20:21]
	v_add_f64 v[3:4], v[3:4], v[14:15]
	v_add_f64 v[1:2], v[1:2], v[5:6]
	;; [unrolled: 1-line block ×3, first 2 shown]
	s_waitcnt vmcnt(2)
	v_add_f64 v[1:2], v[57:58], -v[1:2]
	s_waitcnt vmcnt(0)
	v_add_f64 v[3:4], v[67:68], -v[3:4]
	buffer_store_dword v2, off, s[0:3], 0 offset:372
	buffer_store_dword v1, off, s[0:3], 0 offset:368
	;; [unrolled: 1-line block ×4, first 2 shown]
	v_cmpx_lt_u32_e32 21, v0
	s_cbranch_execz .LBB46_253
; %bb.252:
	v_mov_b32_e32 v4, s38
	v_mov_b32_e32 v5, 0
	s_clause 0x3
	buffer_load_dword v1, v4, s[0:3], 0 offen
	buffer_load_dword v2, v4, s[0:3], 0 offen offset:4
	buffer_load_dword v3, v4, s[0:3], 0 offen offset:8
	;; [unrolled: 1-line block ×3, first 2 shown]
	buffer_store_dword v5, off, s[0:3], 0 offset:352
	buffer_store_dword v5, off, s[0:3], 0 offset:356
	;; [unrolled: 1-line block ×4, first 2 shown]
	s_waitcnt vmcnt(0)
	ds_write_b128 v7, v[1:4]
.LBB46_253:
	s_or_b32 exec_lo, exec_lo, s4
	s_waitcnt lgkmcnt(0)
	s_waitcnt_vscnt null, 0x0
	s_barrier
	buffer_gl0_inv
	s_clause 0x37
	buffer_load_dword v16, off, s[0:3], 0 offset:376
	buffer_load_dword v17, off, s[0:3], 0 offset:380
	;; [unrolled: 1-line block ×56, first 2 shown]
	v_mov_b32_e32 v1, 0
	s_mov_b32 s4, exec_lo
	ds_read_b128 v[2:5], v1 offset:1104
	s_clause 0x2
	buffer_load_dword v164, off, s[0:3], 0 offset:604
	buffer_load_dword v168, off, s[0:3], 0 offset:580
	;; [unrolled: 1-line block ×3, first 2 shown]
	ds_read_b128 v[12:15], v1 offset:1120
	s_clause 0x4
	buffer_load_dword v174, off, s[0:3], 0 offset:620
	buffer_load_dword v175, off, s[0:3], 0 offset:632
	;; [unrolled: 1-line block ×5, first 2 shown]
	s_waitcnt vmcnt(62) lgkmcnt(1)
	v_mul_f64 v[169:170], v[4:5], v[16:17]
	v_mul_f64 v[171:172], v[2:3], v[16:17]
	s_waitcnt vmcnt(60) lgkmcnt(0)
	v_mul_f64 v[178:179], v[14:15], v[20:21]
	ds_read_b128 v[16:19], v1 offset:1136
	v_mul_f64 v[20:21], v[12:13], v[20:21]
	s_waitcnt vmcnt(58)
	v_fma_f64 v[169:170], v[2:3], v[22:23], -v[169:170]
	v_fma_f64 v[22:23], v[4:5], v[22:23], v[171:172]
	s_clause 0x2
	buffer_load_dword v176, off, s[0:3], 0 offset:636
	buffer_load_dword v172, off, s[0:3], 0 offset:612
	;; [unrolled: 1-line block ×3, first 2 shown]
	s_waitcnt vmcnt(59) lgkmcnt(0)
	v_mul_f64 v[180:181], v[16:17], v[31:32]
	v_mul_f64 v[31:32], v[18:19], v[31:32]
	s_waitcnt vmcnt(57)
	v_fma_f64 v[182:183], v[12:13], v[33:34], -v[178:179]
	ds_read_b128 v[2:5], v1 offset:1152
	v_fma_f64 v[20:21], v[14:15], v[33:34], v[20:21]
	s_clause 0x4
	buffer_load_dword v34, off, s[0:3], 0 offset:652
	buffer_load_dword v179, off, s[0:3], 0 offset:664
	;; [unrolled: 1-line block ×5, first 2 shown]
	ds_read_b128 v[12:15], v1 offset:1168
	v_add_f64 v[169:170], v[169:170], 0
	v_add_f64 v[22:23], v[22:23], 0
	s_waitcnt vmcnt(58) lgkmcnt(1)
	v_mul_f64 v[185:186], v[2:3], v[35:36]
	v_mul_f64 v[35:36], v[4:5], v[35:36]
	s_waitcnt vmcnt(56)
	v_fma_f64 v[31:32], v[16:17], v[45:46], -v[31:32]
	v_fma_f64 v[45:46], v[18:19], v[45:46], v[180:181]
	v_add_f64 v[169:170], v[169:170], v[182:183]
	v_add_f64 v[20:21], v[22:23], v[20:21]
	s_clause 0x2
	buffer_load_dword v180, off, s[0:3], 0 offset:668
	buffer_load_dword v23, off, s[0:3], 0 offset:644
	;; [unrolled: 1-line block ×3, first 2 shown]
	s_waitcnt vmcnt(58) lgkmcnt(0)
	v_mul_f64 v[181:182], v[12:13], v[37:38]
	v_mul_f64 v[37:38], v[14:15], v[37:38]
	s_waitcnt vmcnt(56)
	v_fma_f64 v[35:36], v[2:3], v[47:48], -v[35:36]
	ds_read_b128 v[16:19], v1 offset:1184
	v_fma_f64 v[47:48], v[4:5], v[47:48], v[185:186]
	v_add_f64 v[31:32], v[169:170], v[31:32]
	v_add_f64 v[20:21], v[20:21], v[45:46]
	s_clause 0x4
	buffer_load_dword v46, off, s[0:3], 0 offset:684
	buffer_load_dword v169, off, s[0:3], 0 offset:696
	;; [unrolled: 1-line block ×5, first 2 shown]
	ds_read_b128 v[2:5], v1 offset:1200
	s_waitcnt vmcnt(57) lgkmcnt(1)
	v_mul_f64 v[187:188], v[16:17], v[49:50]
	v_mul_f64 v[49:50], v[18:19], v[49:50]
	s_waitcnt vmcnt(56)
	v_fma_f64 v[37:38], v[12:13], v[39:40], -v[37:38]
	v_add_f64 v[31:32], v[31:32], v[35:36]
	v_fma_f64 v[35:36], v[14:15], v[39:40], v[181:182]
	v_add_f64 v[20:21], v[20:21], v[47:48]
	s_clause 0x2
	buffer_load_dword v170, off, s[0:3], 0 offset:700
	buffer_load_dword v40, off, s[0:3], 0 offset:676
	;; [unrolled: 1-line block ×3, first 2 shown]
	s_waitcnt vmcnt(58) lgkmcnt(0)
	v_mul_f64 v[47:48], v[2:3], v[51:52]
	v_mul_f64 v[51:52], v[4:5], v[51:52]
	s_waitcnt vmcnt(56)
	v_fma_f64 v[49:50], v[16:17], v[59:60], -v[49:50]
	ds_read_b128 v[12:15], v1 offset:1216
	v_add_f64 v[31:32], v[31:32], v[37:38]
	v_fma_f64 v[37:38], v[18:19], v[59:60], v[187:188]
	v_add_f64 v[20:21], v[20:21], v[35:36]
	s_clause 0x4
	buffer_load_dword v36, off, s[0:3], 0 offset:716
	buffer_load_dword v59, off, s[0:3], 0 offset:728
	;; [unrolled: 1-line block ×5, first 2 shown]
	ds_read_b128 v[16:19], v1 offset:1232
	s_waitcnt vmcnt(57) lgkmcnt(1)
	v_mul_f64 v[182:183], v[12:13], v[61:62]
	v_mul_f64 v[61:62], v[14:15], v[61:62]
	s_waitcnt vmcnt(56)
	v_fma_f64 v[51:52], v[2:3], v[57:58], -v[51:52]
	v_fma_f64 v[47:48], v[4:5], v[57:58], v[47:48]
	v_add_f64 v[31:32], v[31:32], v[49:50]
	v_add_f64 v[20:21], v[20:21], v[37:38]
	s_clause 0x2
	buffer_load_dword v60, off, s[0:3], 0 offset:732
	buffer_load_dword v38, off, s[0:3], 0 offset:708
	;; [unrolled: 1-line block ×3, first 2 shown]
	s_waitcnt vmcnt(58) lgkmcnt(0)
	v_mul_f64 v[57:58], v[18:19], v[63:64]
	ds_read_b128 v[2:5], v1 offset:1248
	s_waitcnt vmcnt(56)
	v_fma_f64 v[61:62], v[12:13], v[67:68], -v[61:62]
	v_mul_f64 v[49:50], v[16:17], v[63:64]
	v_add_f64 v[31:32], v[31:32], v[51:52]
	v_fma_f64 v[51:52], v[14:15], v[67:68], v[182:183]
	v_add_f64 v[20:21], v[20:21], v[47:48]
	s_clause 0x4
	buffer_load_dword v48, off, s[0:3], 0 offset:748
	buffer_load_dword v63, off, s[0:3], 0 offset:760
	buffer_load_dword v67, off, s[0:3], 0 offset:752
	buffer_load_dword v47, off, s[0:3], 0 offset:744
	buffer_load_dword v182, off, s[0:3], 0 offset:724
	s_waitcnt vmcnt(57) lgkmcnt(0)
	v_mul_f64 v[188:189], v[2:3], v[73:74]
	v_mul_f64 v[73:74], v[4:5], v[73:74]
	s_waitcnt vmcnt(56)
	v_fma_f64 v[57:58], v[16:17], v[65:66], -v[57:58]
	ds_read_b128 v[12:15], v1 offset:1264
	v_fma_f64 v[49:50], v[18:19], v[65:66], v[49:50]
	v_add_f64 v[31:32], v[31:32], v[61:62]
	v_add_f64 v[20:21], v[20:21], v[51:52]
	s_clause 0x2
	buffer_load_dword v64, off, s[0:3], 0 offset:764
	buffer_load_dword v52, off, s[0:3], 0 offset:740
	;; [unrolled: 1-line block ×3, first 2 shown]
	ds_read_b128 v[16:19], v1 offset:1280
	s_waitcnt vmcnt(58) lgkmcnt(1)
	v_mul_f64 v[65:66], v[14:15], v[75:76]
	s_waitcnt vmcnt(56)
	v_fma_f64 v[73:74], v[2:3], v[79:80], -v[73:74]
	v_mul_f64 v[61:62], v[12:13], v[75:76]
	buffer_load_dword v68, off, s[0:3], 0 offset:756
	v_add_f64 v[31:32], v[31:32], v[57:58]
	v_fma_f64 v[57:58], v[4:5], v[79:80], v[188:189]
	v_add_f64 v[20:21], v[20:21], v[49:50]
	ds_read_b128 v[2:5], v1 offset:1296
	s_waitcnt vmcnt(53) lgkmcnt(1)
	v_mul_f64 v[75:76], v[18:19], v[153:154]
	s_waitcnt vmcnt(52)
	v_fma_f64 v[65:66], v[12:13], v[77:78], -v[65:66]
	v_mul_f64 v[49:50], v[16:17], v[153:154]
	v_fma_f64 v[61:62], v[14:15], v[77:78], v[61:62]
	ds_read_b128 v[12:15], v1 offset:1312
	v_add_f64 v[31:32], v[31:32], v[73:74]
	s_waitcnt vmcnt(51) lgkmcnt(1)
	v_mul_f64 v[73:74], v[4:5], v[155:156]
	v_add_f64 v[20:21], v[20:21], v[57:58]
	v_mul_f64 v[57:58], v[2:3], v[155:156]
	s_waitcnt vmcnt(49)
	v_fma_f64 v[75:76], v[16:17], v[159:160], -v[75:76]
	v_fma_f64 v[49:50], v[18:19], v[159:160], v[49:50]
	s_waitcnt vmcnt(45) lgkmcnt(0)
	v_mul_f64 v[79:80], v[14:15], v[161:162]
	v_mul_f64 v[77:78], v[12:13], v[161:162]
	v_add_f64 v[31:32], v[31:32], v[65:66]
	s_waitcnt vmcnt(44)
	v_fma_f64 v[73:74], v[2:3], v[157:158], -v[73:74]
	v_add_f64 v[20:21], v[20:21], v[61:62]
	s_clause 0x3
	buffer_load_dword v61, off, s[0:3], 0 offset:352
	buffer_load_dword v62, off, s[0:3], 0 offset:356
	;; [unrolled: 1-line block ×4, first 2 shown]
	ds_read_b128 v[16:19], v1 offset:1328
	v_fma_f64 v[57:58], v[4:5], v[157:158], v[57:58]
	ds_read_b128 v[2:5], v1 offset:1344
	s_waitcnt vmcnt(45)
	v_fma_f64 v[79:80], v[12:13], v[167:168], -v[79:80]
	v_add_f64 v[31:32], v[31:32], v[75:76]
	v_add_f64 v[20:21], v[20:21], v[49:50]
	s_waitcnt lgkmcnt(1)
	v_mul_f64 v[75:76], v[18:19], v[163:164]
	v_mul_f64 v[49:50], v[16:17], v[163:164]
	v_add_f64 v[31:32], v[31:32], v[73:74]
	v_fma_f64 v[73:74], v[14:15], v[167:168], v[77:78]
	v_add_f64 v[20:21], v[20:21], v[57:58]
	s_waitcnt vmcnt(41) lgkmcnt(0)
	v_mul_f64 v[77:78], v[4:5], v[173:174]
	s_waitcnt vmcnt(40)
	v_fma_f64 v[75:76], v[16:17], v[165:166], -v[75:76]
	ds_read_b128 v[12:15], v1 offset:1360
	v_mul_f64 v[57:58], v[2:3], v[173:174]
	v_fma_f64 v[49:50], v[18:19], v[165:166], v[49:50]
	ds_read_b128 v[16:19], v1 offset:1376
	v_add_f64 v[31:32], v[31:32], v[79:80]
	v_add_f64 v[20:21], v[20:21], v[73:74]
	s_waitcnt vmcnt(39) lgkmcnt(1)
	v_mul_f64 v[79:80], v[14:15], v[175:176]
	v_mul_f64 v[73:74], v[12:13], v[175:176]
	s_waitcnt vmcnt(37)
	v_fma_f64 v[77:78], v[2:3], v[171:172], -v[77:78]
	v_fma_f64 v[57:58], v[4:5], v[171:172], v[57:58]
	ds_read_b128 v[2:5], v1 offset:1392
	v_add_f64 v[31:32], v[31:32], v[75:76]
	v_add_f64 v[20:21], v[20:21], v[49:50]
	s_waitcnt vmcnt(33) lgkmcnt(1)
	v_mul_f64 v[49:50], v[16:17], v[33:34]
	v_mul_f64 v[33:34], v[18:19], v[33:34]
	s_waitcnt vmcnt(32)
	v_fma_f64 v[75:76], v[12:13], v[177:178], -v[79:80]
	;; [unrolled: 9-line block ×4, first 2 shown]
	v_add_f64 v[31:32], v[31:32], v[33:34]
	v_fma_f64 v[33:34], v[4:5], v[184:185], v[57:58]
	v_add_f64 v[20:21], v[20:21], v[22:23]
	ds_read_b128 v[2:5], v1 offset:1440
	s_waitcnt vmcnt(23) lgkmcnt(1)
	v_mul_f64 v[57:58], v[18:19], v[169:170]
	v_mul_f64 v[22:23], v[16:17], v[169:170]
	s_waitcnt vmcnt(21)
	v_fma_f64 v[45:46], v[12:13], v[39:40], -v[45:46]
	v_fma_f64 v[39:40], v[14:15], v[39:40], v[49:50]
	ds_read_b128 v[12:15], v1 offset:1456
	v_add_f64 v[31:32], v[31:32], v[73:74]
	v_add_f64 v[20:21], v[20:21], v[33:34]
	s_waitcnt vmcnt(17) lgkmcnt(1)
	v_mul_f64 v[33:34], v[2:3], v[35:36]
	v_mul_f64 v[35:36], v[4:5], v[35:36]
	s_waitcnt vmcnt(16)
	v_fma_f64 v[49:50], v[16:17], v[186:187], -v[57:58]
	v_fma_f64 v[22:23], v[18:19], v[186:187], v[22:23]
	ds_read_b128 v[16:19], v1 offset:1472
	v_add_f64 v[31:32], v[31:32], v[45:46]
	v_add_f64 v[20:21], v[20:21], v[39:40]
	s_waitcnt vmcnt(15) lgkmcnt(1)
	v_mul_f64 v[45:46], v[14:15], v[59:60]
	v_mul_f64 v[39:40], v[12:13], v[59:60]
	s_waitcnt vmcnt(13)
	v_fma_f64 v[35:36], v[2:3], v[37:38], -v[35:36]
	v_fma_f64 v[33:34], v[4:5], v[37:38], v[33:34]
	ds_read_b128 v[2:5], v1 offset:1488
	v_add_f64 v[31:32], v[31:32], v[49:50]
	v_add_f64 v[20:21], v[20:21], v[22:23]
	s_waitcnt vmcnt(9) lgkmcnt(1)
	v_mul_f64 v[37:38], v[18:19], v[47:48]
	s_waitcnt vmcnt(8)
	v_fma_f64 v[12:13], v[12:13], v[181:182], -v[45:46]
	v_mul_f64 v[22:23], v[16:17], v[47:48]
	v_fma_f64 v[14:15], v[14:15], v[181:182], v[39:40]
	v_add_f64 v[31:32], v[31:32], v[35:36]
	v_add_f64 v[20:21], v[20:21], v[33:34]
	s_waitcnt vmcnt(7) lgkmcnt(0)
	v_mul_f64 v[35:36], v[4:5], v[63:64]
	v_mul_f64 v[33:34], v[2:3], v[63:64]
	s_waitcnt vmcnt(5)
	v_fma_f64 v[16:17], v[16:17], v[51:52], -v[37:38]
	v_fma_f64 v[18:19], v[18:19], v[51:52], v[22:23]
	v_add_f64 v[12:13], v[31:32], v[12:13]
	v_add_f64 v[14:15], v[20:21], v[14:15]
	s_waitcnt vmcnt(4)
	v_fma_f64 v[2:3], v[2:3], v[67:68], -v[35:36]
	v_fma_f64 v[4:5], v[4:5], v[67:68], v[33:34]
	v_add_f64 v[12:13], v[12:13], v[16:17]
	v_add_f64 v[14:15], v[14:15], v[18:19]
	;; [unrolled: 1-line block ×4, first 2 shown]
	s_waitcnt vmcnt(2)
	v_add_f64 v[2:3], v[61:62], -v[2:3]
	s_waitcnt vmcnt(0)
	v_add_f64 v[4:5], v[65:66], -v[4:5]
	buffer_store_dword v3, off, s[0:3], 0 offset:356
	buffer_store_dword v2, off, s[0:3], 0 offset:352
	;; [unrolled: 1-line block ×4, first 2 shown]
	v_cmpx_lt_u32_e32 20, v0
	s_cbranch_execz .LBB46_255
; %bb.254:
	v_mov_b32_e32 v5, s39
	s_clause 0x3
	buffer_load_dword v2, v5, s[0:3], 0 offen
	buffer_load_dword v3, v5, s[0:3], 0 offen offset:4
	buffer_load_dword v4, v5, s[0:3], 0 offen offset:8
	;; [unrolled: 1-line block ×3, first 2 shown]
	buffer_store_dword v1, off, s[0:3], 0 offset:336
	buffer_store_dword v1, off, s[0:3], 0 offset:340
	buffer_store_dword v1, off, s[0:3], 0 offset:344
	buffer_store_dword v1, off, s[0:3], 0 offset:348
	s_waitcnt vmcnt(0)
	ds_write_b128 v7, v[2:5]
.LBB46_255:
	s_or_b32 exec_lo, exec_lo, s4
	s_waitcnt lgkmcnt(0)
	s_waitcnt_vscnt null, 0x0
	s_barrier
	buffer_gl0_inv
	s_clause 0x37
	buffer_load_dword v16, off, s[0:3], 0 offset:360
	buffer_load_dword v17, off, s[0:3], 0 offset:364
	;; [unrolled: 1-line block ×56, first 2 shown]
	ds_read_b128 v[2:5], v1 offset:1088
	s_clause 0x2
	buffer_load_dword v164, off, s[0:3], 0 offset:588
	buffer_load_dword v168, off, s[0:3], 0 offset:564
	;; [unrolled: 1-line block ×3, first 2 shown]
	ds_read_b128 v[12:15], v1 offset:1104
	s_clause 0x4
	buffer_load_dword v174, off, s[0:3], 0 offset:604
	buffer_load_dword v175, off, s[0:3], 0 offset:616
	;; [unrolled: 1-line block ×5, first 2 shown]
	s_mov_b32 s4, exec_lo
	s_waitcnt vmcnt(62) lgkmcnt(1)
	v_mul_f64 v[169:170], v[4:5], v[16:17]
	v_mul_f64 v[171:172], v[2:3], v[16:17]
	s_waitcnt vmcnt(60) lgkmcnt(0)
	v_mul_f64 v[178:179], v[14:15], v[20:21]
	ds_read_b128 v[16:19], v1 offset:1120
	v_mul_f64 v[20:21], v[12:13], v[20:21]
	s_waitcnt vmcnt(58)
	v_fma_f64 v[169:170], v[2:3], v[22:23], -v[169:170]
	v_fma_f64 v[22:23], v[4:5], v[22:23], v[171:172]
	s_clause 0x2
	buffer_load_dword v176, off, s[0:3], 0 offset:620
	buffer_load_dword v172, off, s[0:3], 0 offset:596
	buffer_load_dword v171, off, s[0:3], 0 offset:592
	s_waitcnt vmcnt(59) lgkmcnt(0)
	v_mul_f64 v[180:181], v[16:17], v[31:32]
	v_mul_f64 v[31:32], v[18:19], v[31:32]
	s_waitcnt vmcnt(57)
	v_fma_f64 v[182:183], v[12:13], v[33:34], -v[178:179]
	ds_read_b128 v[2:5], v1 offset:1136
	v_fma_f64 v[20:21], v[14:15], v[33:34], v[20:21]
	s_clause 0x4
	buffer_load_dword v34, off, s[0:3], 0 offset:636
	buffer_load_dword v179, off, s[0:3], 0 offset:648
	;; [unrolled: 1-line block ×5, first 2 shown]
	ds_read_b128 v[12:15], v1 offset:1152
	v_add_f64 v[169:170], v[169:170], 0
	v_add_f64 v[22:23], v[22:23], 0
	s_waitcnt vmcnt(58) lgkmcnt(1)
	v_mul_f64 v[185:186], v[2:3], v[35:36]
	v_mul_f64 v[35:36], v[4:5], v[35:36]
	s_waitcnt vmcnt(56)
	v_fma_f64 v[31:32], v[16:17], v[45:46], -v[31:32]
	v_fma_f64 v[45:46], v[18:19], v[45:46], v[180:181]
	v_add_f64 v[169:170], v[169:170], v[182:183]
	v_add_f64 v[20:21], v[22:23], v[20:21]
	s_clause 0x2
	buffer_load_dword v180, off, s[0:3], 0 offset:652
	buffer_load_dword v23, off, s[0:3], 0 offset:628
	;; [unrolled: 1-line block ×3, first 2 shown]
	s_waitcnt vmcnt(58) lgkmcnt(0)
	v_mul_f64 v[181:182], v[12:13], v[37:38]
	v_mul_f64 v[37:38], v[14:15], v[37:38]
	s_waitcnt vmcnt(56)
	v_fma_f64 v[35:36], v[2:3], v[47:48], -v[35:36]
	ds_read_b128 v[16:19], v1 offset:1168
	v_fma_f64 v[47:48], v[4:5], v[47:48], v[185:186]
	v_add_f64 v[31:32], v[169:170], v[31:32]
	v_add_f64 v[20:21], v[20:21], v[45:46]
	s_clause 0x4
	buffer_load_dword v46, off, s[0:3], 0 offset:668
	buffer_load_dword v169, off, s[0:3], 0 offset:680
	;; [unrolled: 1-line block ×5, first 2 shown]
	ds_read_b128 v[2:5], v1 offset:1184
	s_waitcnt vmcnt(57) lgkmcnt(1)
	v_mul_f64 v[187:188], v[16:17], v[49:50]
	v_mul_f64 v[49:50], v[18:19], v[49:50]
	s_waitcnt vmcnt(56)
	v_fma_f64 v[37:38], v[12:13], v[39:40], -v[37:38]
	v_add_f64 v[31:32], v[31:32], v[35:36]
	v_fma_f64 v[35:36], v[14:15], v[39:40], v[181:182]
	v_add_f64 v[20:21], v[20:21], v[47:48]
	s_clause 0x2
	buffer_load_dword v170, off, s[0:3], 0 offset:684
	buffer_load_dword v40, off, s[0:3], 0 offset:660
	buffer_load_dword v39, off, s[0:3], 0 offset:656
	s_waitcnt vmcnt(58) lgkmcnt(0)
	v_mul_f64 v[47:48], v[2:3], v[51:52]
	v_mul_f64 v[51:52], v[4:5], v[51:52]
	s_waitcnt vmcnt(56)
	v_fma_f64 v[49:50], v[16:17], v[59:60], -v[49:50]
	ds_read_b128 v[12:15], v1 offset:1200
	v_add_f64 v[31:32], v[31:32], v[37:38]
	v_fma_f64 v[37:38], v[18:19], v[59:60], v[187:188]
	v_add_f64 v[20:21], v[20:21], v[35:36]
	s_clause 0x4
	buffer_load_dword v36, off, s[0:3], 0 offset:700
	buffer_load_dword v59, off, s[0:3], 0 offset:712
	;; [unrolled: 1-line block ×5, first 2 shown]
	ds_read_b128 v[16:19], v1 offset:1216
	s_waitcnt vmcnt(57) lgkmcnt(1)
	v_mul_f64 v[182:183], v[12:13], v[61:62]
	v_mul_f64 v[61:62], v[14:15], v[61:62]
	s_waitcnt vmcnt(56)
	v_fma_f64 v[51:52], v[2:3], v[57:58], -v[51:52]
	v_fma_f64 v[47:48], v[4:5], v[57:58], v[47:48]
	v_add_f64 v[31:32], v[31:32], v[49:50]
	v_add_f64 v[20:21], v[20:21], v[37:38]
	s_clause 0x2
	buffer_load_dword v60, off, s[0:3], 0 offset:716
	buffer_load_dword v38, off, s[0:3], 0 offset:692
	;; [unrolled: 1-line block ×3, first 2 shown]
	s_waitcnt vmcnt(58) lgkmcnt(0)
	v_mul_f64 v[57:58], v[18:19], v[63:64]
	ds_read_b128 v[2:5], v1 offset:1232
	s_waitcnt vmcnt(56)
	v_fma_f64 v[61:62], v[12:13], v[67:68], -v[61:62]
	v_mul_f64 v[49:50], v[16:17], v[63:64]
	v_add_f64 v[31:32], v[31:32], v[51:52]
	v_fma_f64 v[51:52], v[14:15], v[67:68], v[182:183]
	v_add_f64 v[20:21], v[20:21], v[47:48]
	s_clause 0x4
	buffer_load_dword v48, off, s[0:3], 0 offset:732
	buffer_load_dword v63, off, s[0:3], 0 offset:744
	;; [unrolled: 1-line block ×5, first 2 shown]
	s_waitcnt vmcnt(57) lgkmcnt(0)
	v_mul_f64 v[188:189], v[2:3], v[73:74]
	v_mul_f64 v[73:74], v[4:5], v[73:74]
	s_waitcnt vmcnt(56)
	v_fma_f64 v[57:58], v[16:17], v[65:66], -v[57:58]
	ds_read_b128 v[12:15], v1 offset:1248
	v_fma_f64 v[49:50], v[18:19], v[65:66], v[49:50]
	v_add_f64 v[31:32], v[31:32], v[61:62]
	v_add_f64 v[20:21], v[20:21], v[51:52]
	s_clause 0x2
	buffer_load_dword v64, off, s[0:3], 0 offset:748
	buffer_load_dword v52, off, s[0:3], 0 offset:724
	;; [unrolled: 1-line block ×3, first 2 shown]
	ds_read_b128 v[16:19], v1 offset:1264
	s_waitcnt vmcnt(58) lgkmcnt(1)
	v_mul_f64 v[65:66], v[14:15], v[75:76]
	s_waitcnt vmcnt(56)
	v_fma_f64 v[73:74], v[2:3], v[79:80], -v[73:74]
	v_mul_f64 v[61:62], v[12:13], v[75:76]
	v_add_f64 v[31:32], v[31:32], v[57:58]
	v_fma_f64 v[57:58], v[4:5], v[79:80], v[188:189]
	v_add_f64 v[20:21], v[20:21], v[49:50]
	s_clause 0x2
	buffer_load_dword v50, off, s[0:3], 0 offset:764
	buffer_load_dword v49, off, s[0:3], 0 offset:760
	;; [unrolled: 1-line block ×3, first 2 shown]
	s_waitcnt vmcnt(55) lgkmcnt(0)
	v_mul_f64 v[79:80], v[18:19], v[153:154]
	s_waitcnt vmcnt(54)
	v_fma_f64 v[65:66], v[12:13], v[77:78], -v[65:66]
	ds_read_b128 v[2:5], v1 offset:1280
	v_mul_f64 v[75:76], v[16:17], v[153:154]
	v_fma_f64 v[61:62], v[14:15], v[77:78], v[61:62]
	v_add_f64 v[31:32], v[31:32], v[73:74]
	v_add_f64 v[20:21], v[20:21], v[57:58]
	s_clause 0x1
	buffer_load_dword v58, off, s[0:3], 0 offset:756
	buffer_load_dword v57, off, s[0:3], 0 offset:752
	s_waitcnt vmcnt(55) lgkmcnt(0)
	v_mul_f64 v[77:78], v[4:5], v[155:156]
	s_waitcnt vmcnt(53)
	v_fma_f64 v[79:80], v[16:17], v[159:160], -v[79:80]
	ds_read_b128 v[12:15], v1 offset:1296
	v_mul_f64 v[73:74], v[2:3], v[155:156]
	v_add_f64 v[31:32], v[31:32], v[65:66]
	v_fma_f64 v[65:66], v[18:19], v[159:160], v[75:76]
	v_add_f64 v[20:21], v[20:21], v[61:62]
	ds_read_b128 v[16:19], v1 offset:1312
	s_waitcnt vmcnt(49) lgkmcnt(1)
	v_mul_f64 v[75:76], v[14:15], v[161:162]
	s_waitcnt vmcnt(48)
	v_fma_f64 v[77:78], v[2:3], v[157:158], -v[77:78]
	v_mul_f64 v[61:62], v[12:13], v[161:162]
	v_fma_f64 v[73:74], v[4:5], v[157:158], v[73:74]
	v_add_f64 v[31:32], v[31:32], v[79:80]
	s_waitcnt vmcnt(47) lgkmcnt(0)
	v_mul_f64 v[155:156], v[18:19], v[163:164]
	v_add_f64 v[20:21], v[20:21], v[65:66]
	s_clause 0x3
	buffer_load_dword v65, off, s[0:3], 0 offset:336
	buffer_load_dword v66, off, s[0:3], 0 offset:340
	;; [unrolled: 1-line block ×4, first 2 shown]
	s_waitcnt vmcnt(49)
	v_fma_f64 v[75:76], v[12:13], v[167:168], -v[75:76]
	ds_read_b128 v[2:5], v1 offset:1328
	v_mul_f64 v[153:154], v[16:17], v[163:164]
	v_fma_f64 v[61:62], v[14:15], v[167:168], v[61:62]
	ds_read_b128 v[12:15], v1 offset:1344
	v_add_f64 v[31:32], v[31:32], v[77:78]
	s_waitcnt vmcnt(44)
	v_fma_f64 v[155:156], v[16:17], v[165:166], -v[155:156]
	v_add_f64 v[20:21], v[20:21], v[73:74]
	s_waitcnt lgkmcnt(1)
	v_mul_f64 v[77:78], v[4:5], v[173:174]
	v_mul_f64 v[73:74], v[2:3], v[173:174]
	v_add_f64 v[31:32], v[31:32], v[75:76]
	v_fma_f64 v[75:76], v[18:19], v[165:166], v[153:154]
	v_add_f64 v[20:21], v[20:21], v[61:62]
	ds_read_b128 v[16:19], v1 offset:1360
	s_waitcnt vmcnt(43) lgkmcnt(1)
	v_mul_f64 v[153:154], v[14:15], v[175:176]
	v_mul_f64 v[61:62], v[12:13], v[175:176]
	s_waitcnt vmcnt(41)
	v_fma_f64 v[77:78], v[2:3], v[171:172], -v[77:78]
	v_fma_f64 v[73:74], v[4:5], v[171:172], v[73:74]
	ds_read_b128 v[2:5], v1 offset:1376
	v_add_f64 v[31:32], v[31:32], v[155:156]
	v_add_f64 v[20:21], v[20:21], v[75:76]
	s_waitcnt vmcnt(37) lgkmcnt(1)
	v_mul_f64 v[75:76], v[16:17], v[33:34]
	v_mul_f64 v[33:34], v[18:19], v[33:34]
	s_waitcnt vmcnt(36)
	v_fma_f64 v[153:154], v[12:13], v[177:178], -v[153:154]
	v_fma_f64 v[61:62], v[14:15], v[177:178], v[61:62]
	ds_read_b128 v[12:15], v1 offset:1392
	v_add_f64 v[31:32], v[31:32], v[77:78]
	v_add_f64 v[20:21], v[20:21], v[73:74]
	;; [unrolled: 9-line block ×3, first 2 shown]
	s_waitcnt vmcnt(29) lgkmcnt(1)
	v_mul_f64 v[61:62], v[12:13], v[45:46]
	v_mul_f64 v[45:46], v[14:15], v[45:46]
	s_waitcnt vmcnt(28)
	v_fma_f64 v[75:76], v[2:3], v[184:185], -v[77:78]
	v_add_f64 v[31:32], v[31:32], v[33:34]
	v_fma_f64 v[33:34], v[4:5], v[184:185], v[73:74]
	v_add_f64 v[20:21], v[20:21], v[22:23]
	ds_read_b128 v[2:5], v1 offset:1424
	s_waitcnt vmcnt(27) lgkmcnt(1)
	v_mul_f64 v[73:74], v[18:19], v[169:170]
	v_mul_f64 v[22:23], v[16:17], v[169:170]
	s_waitcnt vmcnt(25)
	v_fma_f64 v[45:46], v[12:13], v[39:40], -v[45:46]
	v_fma_f64 v[39:40], v[14:15], v[39:40], v[61:62]
	ds_read_b128 v[12:15], v1 offset:1440
	v_add_f64 v[31:32], v[31:32], v[75:76]
	v_add_f64 v[20:21], v[20:21], v[33:34]
	s_waitcnt vmcnt(21) lgkmcnt(1)
	v_mul_f64 v[33:34], v[2:3], v[35:36]
	v_mul_f64 v[35:36], v[4:5], v[35:36]
	s_waitcnt vmcnt(20)
	v_fma_f64 v[61:62], v[16:17], v[186:187], -v[73:74]
	v_fma_f64 v[22:23], v[18:19], v[186:187], v[22:23]
	ds_read_b128 v[16:19], v1 offset:1456
	v_add_f64 v[31:32], v[31:32], v[45:46]
	v_add_f64 v[20:21], v[20:21], v[39:40]
	;; [unrolled: 9-line block ×3, first 2 shown]
	s_waitcnt vmcnt(13) lgkmcnt(1)
	v_mul_f64 v[37:38], v[18:19], v[47:48]
	s_waitcnt vmcnt(12)
	v_fma_f64 v[45:46], v[12:13], v[181:182], -v[45:46]
	v_mul_f64 v[22:23], v[16:17], v[47:48]
	v_add_f64 v[31:32], v[31:32], v[35:36]
	v_fma_f64 v[35:36], v[14:15], v[181:182], v[39:40]
	v_add_f64 v[20:21], v[20:21], v[33:34]
	ds_read_b128 v[12:15], v1 offset:1488
	s_waitcnt vmcnt(11) lgkmcnt(1)
	v_mul_f64 v[39:40], v[4:5], v[63:64]
	v_mul_f64 v[33:34], v[2:3], v[63:64]
	s_waitcnt vmcnt(9)
	v_fma_f64 v[16:17], v[16:17], v[51:52], -v[37:38]
	v_fma_f64 v[18:19], v[18:19], v[51:52], v[22:23]
	v_add_f64 v[31:32], v[31:32], v[45:46]
	v_add_f64 v[20:21], v[20:21], v[35:36]
	s_waitcnt vmcnt(7) lgkmcnt(0)
	v_mul_f64 v[35:36], v[14:15], v[49:50]
	s_waitcnt vmcnt(6)
	v_fma_f64 v[1:2], v[2:3], v[67:68], -v[39:40]
	v_mul_f64 v[22:23], v[12:13], v[49:50]
	v_fma_f64 v[3:4], v[4:5], v[67:68], v[33:34]
	v_add_f64 v[16:17], v[31:32], v[16:17]
	v_add_f64 v[5:6], v[20:21], v[18:19]
	s_waitcnt vmcnt(4)
	v_fma_f64 v[12:13], v[12:13], v[57:58], -v[35:36]
	v_fma_f64 v[14:15], v[14:15], v[57:58], v[22:23]
	v_add_f64 v[1:2], v[16:17], v[1:2]
	v_add_f64 v[3:4], v[5:6], v[3:4]
	;; [unrolled: 1-line block ×4, first 2 shown]
	s_waitcnt vmcnt(2)
	v_add_f64 v[1:2], v[65:66], -v[1:2]
	s_waitcnt vmcnt(0)
	v_add_f64 v[3:4], v[79:80], -v[3:4]
	buffer_store_dword v2, off, s[0:3], 0 offset:340
	buffer_store_dword v1, off, s[0:3], 0 offset:336
	;; [unrolled: 1-line block ×4, first 2 shown]
	v_cmpx_lt_u32_e32 19, v0
	s_cbranch_execz .LBB46_257
; %bb.256:
	v_mov_b32_e32 v4, s40
	v_mov_b32_e32 v5, 0
	s_clause 0x3
	buffer_load_dword v1, v4, s[0:3], 0 offen
	buffer_load_dword v2, v4, s[0:3], 0 offen offset:4
	buffer_load_dword v3, v4, s[0:3], 0 offen offset:8
	;; [unrolled: 1-line block ×3, first 2 shown]
	buffer_store_dword v5, off, s[0:3], 0 offset:320
	buffer_store_dword v5, off, s[0:3], 0 offset:324
	;; [unrolled: 1-line block ×4, first 2 shown]
	s_waitcnt vmcnt(0)
	ds_write_b128 v7, v[1:4]
.LBB46_257:
	s_or_b32 exec_lo, exec_lo, s4
	s_waitcnt lgkmcnt(0)
	s_waitcnt_vscnt null, 0x0
	s_barrier
	buffer_gl0_inv
	s_clause 0x37
	buffer_load_dword v16, off, s[0:3], 0 offset:344
	buffer_load_dword v17, off, s[0:3], 0 offset:348
	;; [unrolled: 1-line block ×56, first 2 shown]
	v_mov_b32_e32 v1, 0
	s_mov_b32 s4, exec_lo
	ds_read_b128 v[2:5], v1 offset:1072
	s_clause 0x2
	buffer_load_dword v164, off, s[0:3], 0 offset:572
	buffer_load_dword v168, off, s[0:3], 0 offset:548
	;; [unrolled: 1-line block ×3, first 2 shown]
	ds_read_b128 v[12:15], v1 offset:1088
	s_clause 0x4
	buffer_load_dword v174, off, s[0:3], 0 offset:588
	buffer_load_dword v175, off, s[0:3], 0 offset:600
	;; [unrolled: 1-line block ×5, first 2 shown]
	s_waitcnt vmcnt(62) lgkmcnt(1)
	v_mul_f64 v[169:170], v[4:5], v[16:17]
	v_mul_f64 v[171:172], v[2:3], v[16:17]
	s_waitcnt vmcnt(60) lgkmcnt(0)
	v_mul_f64 v[178:179], v[14:15], v[20:21]
	ds_read_b128 v[16:19], v1 offset:1104
	v_mul_f64 v[20:21], v[12:13], v[20:21]
	s_waitcnt vmcnt(58)
	v_fma_f64 v[169:170], v[2:3], v[22:23], -v[169:170]
	v_fma_f64 v[22:23], v[4:5], v[22:23], v[171:172]
	s_clause 0x2
	buffer_load_dword v176, off, s[0:3], 0 offset:604
	buffer_load_dword v172, off, s[0:3], 0 offset:580
	;; [unrolled: 1-line block ×3, first 2 shown]
	s_waitcnt vmcnt(59) lgkmcnt(0)
	v_mul_f64 v[180:181], v[16:17], v[31:32]
	v_mul_f64 v[31:32], v[18:19], v[31:32]
	s_waitcnt vmcnt(57)
	v_fma_f64 v[182:183], v[12:13], v[33:34], -v[178:179]
	ds_read_b128 v[2:5], v1 offset:1120
	v_fma_f64 v[20:21], v[14:15], v[33:34], v[20:21]
	s_clause 0x4
	buffer_load_dword v34, off, s[0:3], 0 offset:620
	buffer_load_dword v179, off, s[0:3], 0 offset:632
	;; [unrolled: 1-line block ×5, first 2 shown]
	ds_read_b128 v[12:15], v1 offset:1136
	v_add_f64 v[169:170], v[169:170], 0
	v_add_f64 v[22:23], v[22:23], 0
	s_waitcnt vmcnt(58) lgkmcnt(1)
	v_mul_f64 v[185:186], v[2:3], v[35:36]
	v_mul_f64 v[35:36], v[4:5], v[35:36]
	s_waitcnt vmcnt(56)
	v_fma_f64 v[31:32], v[16:17], v[45:46], -v[31:32]
	v_fma_f64 v[45:46], v[18:19], v[45:46], v[180:181]
	v_add_f64 v[169:170], v[169:170], v[182:183]
	v_add_f64 v[20:21], v[22:23], v[20:21]
	s_clause 0x2
	buffer_load_dword v180, off, s[0:3], 0 offset:636
	buffer_load_dword v23, off, s[0:3], 0 offset:612
	;; [unrolled: 1-line block ×3, first 2 shown]
	s_waitcnt vmcnt(58) lgkmcnt(0)
	v_mul_f64 v[181:182], v[12:13], v[37:38]
	v_mul_f64 v[37:38], v[14:15], v[37:38]
	s_waitcnt vmcnt(56)
	v_fma_f64 v[35:36], v[2:3], v[47:48], -v[35:36]
	ds_read_b128 v[16:19], v1 offset:1152
	v_fma_f64 v[47:48], v[4:5], v[47:48], v[185:186]
	v_add_f64 v[31:32], v[169:170], v[31:32]
	v_add_f64 v[20:21], v[20:21], v[45:46]
	s_clause 0x4
	buffer_load_dword v46, off, s[0:3], 0 offset:652
	buffer_load_dword v169, off, s[0:3], 0 offset:664
	;; [unrolled: 1-line block ×5, first 2 shown]
	ds_read_b128 v[2:5], v1 offset:1168
	s_waitcnt vmcnt(57) lgkmcnt(1)
	v_mul_f64 v[187:188], v[16:17], v[49:50]
	v_mul_f64 v[49:50], v[18:19], v[49:50]
	s_waitcnt vmcnt(56)
	v_fma_f64 v[37:38], v[12:13], v[39:40], -v[37:38]
	v_add_f64 v[31:32], v[31:32], v[35:36]
	v_fma_f64 v[35:36], v[14:15], v[39:40], v[181:182]
	v_add_f64 v[20:21], v[20:21], v[47:48]
	s_clause 0x2
	buffer_load_dword v170, off, s[0:3], 0 offset:668
	buffer_load_dword v40, off, s[0:3], 0 offset:644
	;; [unrolled: 1-line block ×3, first 2 shown]
	s_waitcnt vmcnt(58) lgkmcnt(0)
	v_mul_f64 v[47:48], v[2:3], v[51:52]
	v_mul_f64 v[51:52], v[4:5], v[51:52]
	s_waitcnt vmcnt(56)
	v_fma_f64 v[49:50], v[16:17], v[59:60], -v[49:50]
	ds_read_b128 v[12:15], v1 offset:1184
	v_add_f64 v[31:32], v[31:32], v[37:38]
	v_fma_f64 v[37:38], v[18:19], v[59:60], v[187:188]
	v_add_f64 v[20:21], v[20:21], v[35:36]
	s_clause 0x4
	buffer_load_dword v36, off, s[0:3], 0 offset:684
	buffer_load_dword v59, off, s[0:3], 0 offset:696
	;; [unrolled: 1-line block ×5, first 2 shown]
	ds_read_b128 v[16:19], v1 offset:1200
	s_waitcnt vmcnt(57) lgkmcnt(1)
	v_mul_f64 v[182:183], v[12:13], v[61:62]
	v_mul_f64 v[61:62], v[14:15], v[61:62]
	s_waitcnt vmcnt(56)
	v_fma_f64 v[51:52], v[2:3], v[57:58], -v[51:52]
	v_fma_f64 v[47:48], v[4:5], v[57:58], v[47:48]
	v_add_f64 v[31:32], v[31:32], v[49:50]
	v_add_f64 v[20:21], v[20:21], v[37:38]
	s_clause 0x2
	buffer_load_dword v60, off, s[0:3], 0 offset:700
	buffer_load_dword v38, off, s[0:3], 0 offset:676
	;; [unrolled: 1-line block ×3, first 2 shown]
	s_waitcnt vmcnt(58) lgkmcnt(0)
	v_mul_f64 v[57:58], v[18:19], v[63:64]
	ds_read_b128 v[2:5], v1 offset:1216
	s_waitcnt vmcnt(56)
	v_fma_f64 v[61:62], v[12:13], v[67:68], -v[61:62]
	v_mul_f64 v[49:50], v[16:17], v[63:64]
	v_add_f64 v[31:32], v[31:32], v[51:52]
	v_fma_f64 v[51:52], v[14:15], v[67:68], v[182:183]
	v_add_f64 v[20:21], v[20:21], v[47:48]
	s_clause 0x4
	buffer_load_dword v48, off, s[0:3], 0 offset:716
	buffer_load_dword v63, off, s[0:3], 0 offset:728
	;; [unrolled: 1-line block ×5, first 2 shown]
	s_waitcnt vmcnt(57) lgkmcnt(0)
	v_mul_f64 v[188:189], v[2:3], v[73:74]
	v_mul_f64 v[73:74], v[4:5], v[73:74]
	s_waitcnt vmcnt(56)
	v_fma_f64 v[57:58], v[16:17], v[65:66], -v[57:58]
	ds_read_b128 v[12:15], v1 offset:1232
	v_fma_f64 v[49:50], v[18:19], v[65:66], v[49:50]
	v_add_f64 v[31:32], v[31:32], v[61:62]
	v_add_f64 v[20:21], v[20:21], v[51:52]
	s_clause 0x2
	buffer_load_dword v64, off, s[0:3], 0 offset:732
	buffer_load_dword v52, off, s[0:3], 0 offset:708
	;; [unrolled: 1-line block ×3, first 2 shown]
	ds_read_b128 v[16:19], v1 offset:1248
	s_waitcnt vmcnt(58) lgkmcnt(1)
	v_mul_f64 v[65:66], v[14:15], v[75:76]
	s_waitcnt vmcnt(56)
	v_fma_f64 v[73:74], v[2:3], v[79:80], -v[73:74]
	v_mul_f64 v[61:62], v[12:13], v[75:76]
	v_add_f64 v[31:32], v[31:32], v[57:58]
	v_fma_f64 v[57:58], v[4:5], v[79:80], v[188:189]
	v_add_f64 v[20:21], v[20:21], v[49:50]
	s_clause 0x4
	buffer_load_dword v50, off, s[0:3], 0 offset:748
	buffer_load_dword v75, off, s[0:3], 0 offset:760
	;; [unrolled: 1-line block ×5, first 2 shown]
	s_waitcnt vmcnt(57) lgkmcnt(0)
	v_mul_f64 v[188:189], v[16:17], v[153:154]
	v_mul_f64 v[153:154], v[18:19], v[153:154]
	s_waitcnt vmcnt(56)
	v_fma_f64 v[65:66], v[12:13], v[77:78], -v[65:66]
	ds_read_b128 v[2:5], v1 offset:1264
	v_fma_f64 v[61:62], v[14:15], v[77:78], v[61:62]
	v_add_f64 v[31:32], v[31:32], v[73:74]
	v_add_f64 v[20:21], v[20:21], v[57:58]
	s_clause 0x2
	buffer_load_dword v76, off, s[0:3], 0 offset:764
	buffer_load_dword v58, off, s[0:3], 0 offset:740
	;; [unrolled: 1-line block ×3, first 2 shown]
	ds_read_b128 v[12:15], v1 offset:1280
	s_waitcnt vmcnt(58) lgkmcnt(1)
	v_mul_f64 v[77:78], v[4:5], v[155:156]
	s_waitcnt vmcnt(56)
	v_fma_f64 v[153:154], v[16:17], v[159:160], -v[153:154]
	v_mul_f64 v[73:74], v[2:3], v[155:156]
	buffer_load_dword v80, off, s[0:3], 0 offset:756
	v_add_f64 v[31:32], v[31:32], v[65:66]
	v_fma_f64 v[65:66], v[18:19], v[159:160], v[188:189]
	v_add_f64 v[20:21], v[20:21], v[61:62]
	ds_read_b128 v[16:19], v1 offset:1296
	s_waitcnt vmcnt(53) lgkmcnt(1)
	v_mul_f64 v[155:156], v[14:15], v[161:162]
	s_waitcnt vmcnt(52)
	v_fma_f64 v[77:78], v[2:3], v[157:158], -v[77:78]
	v_mul_f64 v[61:62], v[12:13], v[161:162]
	v_fma_f64 v[73:74], v[4:5], v[157:158], v[73:74]
	ds_read_b128 v[2:5], v1 offset:1312
	v_add_f64 v[31:32], v[31:32], v[153:154]
	s_waitcnt vmcnt(51) lgkmcnt(1)
	v_mul_f64 v[153:154], v[18:19], v[163:164]
	v_add_f64 v[20:21], v[20:21], v[65:66]
	v_mul_f64 v[65:66], v[16:17], v[163:164]
	s_waitcnt vmcnt(49)
	v_fma_f64 v[155:156], v[12:13], v[167:168], -v[155:156]
	v_fma_f64 v[61:62], v[14:15], v[167:168], v[61:62]
	s_waitcnt vmcnt(45) lgkmcnt(0)
	v_mul_f64 v[159:160], v[4:5], v[173:174]
	v_mul_f64 v[157:158], v[2:3], v[173:174]
	v_add_f64 v[31:32], v[31:32], v[77:78]
	s_waitcnt vmcnt(44)
	v_fma_f64 v[153:154], v[16:17], v[165:166], -v[153:154]
	v_add_f64 v[20:21], v[20:21], v[73:74]
	s_clause 0x3
	buffer_load_dword v73, off, s[0:3], 0 offset:320
	buffer_load_dword v74, off, s[0:3], 0 offset:324
	;; [unrolled: 1-line block ×4, first 2 shown]
	ds_read_b128 v[12:15], v1 offset:1328
	v_fma_f64 v[65:66], v[18:19], v[165:166], v[65:66]
	ds_read_b128 v[16:19], v1 offset:1344
	v_add_f64 v[31:32], v[31:32], v[155:156]
	v_add_f64 v[20:21], v[20:21], v[61:62]
	s_waitcnt vmcnt(47) lgkmcnt(1)
	v_mul_f64 v[155:156], v[14:15], v[175:176]
	v_mul_f64 v[61:62], v[12:13], v[175:176]
	s_waitcnt vmcnt(45)
	v_fma_f64 v[159:160], v[2:3], v[171:172], -v[159:160]
	v_add_f64 v[31:32], v[31:32], v[153:154]
	v_fma_f64 v[153:154], v[4:5], v[171:172], v[157:158]
	v_add_f64 v[20:21], v[20:21], v[65:66]
	s_waitcnt vmcnt(41) lgkmcnt(0)
	v_mul_f64 v[65:66], v[16:17], v[33:34]
	v_mul_f64 v[33:34], v[18:19], v[33:34]
	ds_read_b128 v[2:5], v1 offset:1360
	s_waitcnt vmcnt(40)
	v_fma_f64 v[155:156], v[12:13], v[177:178], -v[155:156]
	v_fma_f64 v[61:62], v[14:15], v[177:178], v[61:62]
	ds_read_b128 v[12:15], v1 offset:1376
	v_add_f64 v[31:32], v[31:32], v[159:160]
	v_add_f64 v[20:21], v[20:21], v[153:154]
	s_waitcnt vmcnt(39) lgkmcnt(1)
	v_mul_f64 v[157:158], v[4:5], v[179:180]
	v_mul_f64 v[153:154], v[2:3], v[179:180]
	s_waitcnt vmcnt(37)
	v_fma_f64 v[33:34], v[16:17], v[22:23], -v[33:34]
	v_fma_f64 v[22:23], v[18:19], v[22:23], v[65:66]
	ds_read_b128 v[16:19], v1 offset:1392
	v_add_f64 v[31:32], v[31:32], v[155:156]
	v_add_f64 v[20:21], v[20:21], v[61:62]
	s_waitcnt vmcnt(33) lgkmcnt(1)
	v_mul_f64 v[61:62], v[12:13], v[45:46]
	v_mul_f64 v[45:46], v[14:15], v[45:46]
	s_waitcnt vmcnt(32)
	v_fma_f64 v[65:66], v[2:3], v[184:185], -v[157:158]
	v_add_f64 v[31:32], v[31:32], v[33:34]
	v_fma_f64 v[33:34], v[4:5], v[184:185], v[153:154]
	v_add_f64 v[20:21], v[20:21], v[22:23]
	ds_read_b128 v[2:5], v1 offset:1408
	s_waitcnt vmcnt(31) lgkmcnt(1)
	v_mul_f64 v[153:154], v[18:19], v[169:170]
	v_mul_f64 v[22:23], v[16:17], v[169:170]
	s_waitcnt vmcnt(29)
	v_fma_f64 v[45:46], v[12:13], v[39:40], -v[45:46]
	v_fma_f64 v[39:40], v[14:15], v[39:40], v[61:62]
	ds_read_b128 v[12:15], v1 offset:1424
	v_add_f64 v[31:32], v[31:32], v[65:66]
	v_add_f64 v[20:21], v[20:21], v[33:34]
	s_waitcnt vmcnt(25) lgkmcnt(1)
	v_mul_f64 v[33:34], v[2:3], v[35:36]
	v_mul_f64 v[35:36], v[4:5], v[35:36]
	s_waitcnt vmcnt(24)
	v_fma_f64 v[61:62], v[16:17], v[186:187], -v[153:154]
	v_fma_f64 v[22:23], v[18:19], v[186:187], v[22:23]
	ds_read_b128 v[16:19], v1 offset:1440
	v_add_f64 v[31:32], v[31:32], v[45:46]
	v_add_f64 v[20:21], v[20:21], v[39:40]
	;; [unrolled: 9-line block ×3, first 2 shown]
	s_waitcnt vmcnt(17) lgkmcnt(1)
	v_mul_f64 v[37:38], v[18:19], v[47:48]
	s_waitcnt vmcnt(16)
	v_fma_f64 v[45:46], v[12:13], v[181:182], -v[45:46]
	v_mul_f64 v[22:23], v[16:17], v[47:48]
	v_add_f64 v[31:32], v[31:32], v[35:36]
	v_fma_f64 v[35:36], v[14:15], v[181:182], v[39:40]
	v_add_f64 v[20:21], v[20:21], v[33:34]
	ds_read_b128 v[12:15], v1 offset:1472
	s_waitcnt vmcnt(15) lgkmcnt(1)
	v_mul_f64 v[39:40], v[4:5], v[63:64]
	v_mul_f64 v[33:34], v[2:3], v[63:64]
	s_waitcnt vmcnt(13)
	v_fma_f64 v[37:38], v[16:17], v[51:52], -v[37:38]
	v_fma_f64 v[22:23], v[18:19], v[51:52], v[22:23]
	ds_read_b128 v[16:19], v1 offset:1488
	v_add_f64 v[31:32], v[31:32], v[45:46]
	v_add_f64 v[20:21], v[20:21], v[35:36]
	s_waitcnt vmcnt(9) lgkmcnt(1)
	v_mul_f64 v[45:46], v[14:15], v[49:50]
	s_waitcnt vmcnt(8)
	v_fma_f64 v[2:3], v[2:3], v[67:68], -v[39:40]
	v_mul_f64 v[35:36], v[12:13], v[49:50]
	v_fma_f64 v[4:5], v[4:5], v[67:68], v[33:34]
	v_add_f64 v[31:32], v[31:32], v[37:38]
	v_add_f64 v[20:21], v[20:21], v[22:23]
	s_waitcnt vmcnt(7) lgkmcnt(0)
	v_mul_f64 v[33:34], v[18:19], v[75:76]
	v_mul_f64 v[22:23], v[16:17], v[75:76]
	s_waitcnt vmcnt(5)
	v_fma_f64 v[12:13], v[12:13], v[57:58], -v[45:46]
	v_fma_f64 v[14:15], v[14:15], v[57:58], v[35:36]
	v_add_f64 v[2:3], v[31:32], v[2:3]
	v_add_f64 v[4:5], v[20:21], v[4:5]
	s_waitcnt vmcnt(4)
	v_fma_f64 v[16:17], v[16:17], v[79:80], -v[33:34]
	v_add_f64 v[2:3], v[2:3], v[12:13]
	v_fma_f64 v[12:13], v[18:19], v[79:80], v[22:23]
	v_add_f64 v[4:5], v[4:5], v[14:15]
	v_add_f64 v[2:3], v[2:3], v[16:17]
	;; [unrolled: 1-line block ×3, first 2 shown]
	s_waitcnt vmcnt(2)
	v_add_f64 v[2:3], v[73:74], -v[2:3]
	s_waitcnt vmcnt(0)
	v_add_f64 v[4:5], v[77:78], -v[4:5]
	buffer_store_dword v3, off, s[0:3], 0 offset:324
	buffer_store_dword v2, off, s[0:3], 0 offset:320
	;; [unrolled: 1-line block ×4, first 2 shown]
	v_cmpx_lt_u32_e32 18, v0
	s_cbranch_execz .LBB46_259
; %bb.258:
	v_mov_b32_e32 v5, s41
	s_clause 0x3
	buffer_load_dword v2, v5, s[0:3], 0 offen
	buffer_load_dword v3, v5, s[0:3], 0 offen offset:4
	buffer_load_dword v4, v5, s[0:3], 0 offen offset:8
	;; [unrolled: 1-line block ×3, first 2 shown]
	buffer_store_dword v1, off, s[0:3], 0 offset:304
	buffer_store_dword v1, off, s[0:3], 0 offset:308
	;; [unrolled: 1-line block ×4, first 2 shown]
	s_waitcnt vmcnt(0)
	ds_write_b128 v7, v[2:5]
.LBB46_259:
	s_or_b32 exec_lo, exec_lo, s4
	s_waitcnt lgkmcnt(0)
	s_waitcnt_vscnt null, 0x0
	s_barrier
	buffer_gl0_inv
	s_clause 0x37
	buffer_load_dword v16, off, s[0:3], 0 offset:328
	buffer_load_dword v17, off, s[0:3], 0 offset:332
	;; [unrolled: 1-line block ×56, first 2 shown]
	ds_read_b128 v[2:5], v1 offset:1056
	s_clause 0x2
	buffer_load_dword v164, off, s[0:3], 0 offset:556
	buffer_load_dword v168, off, s[0:3], 0 offset:532
	;; [unrolled: 1-line block ×3, first 2 shown]
	ds_read_b128 v[12:15], v1 offset:1072
	s_clause 0x4
	buffer_load_dword v174, off, s[0:3], 0 offset:572
	buffer_load_dword v175, off, s[0:3], 0 offset:584
	;; [unrolled: 1-line block ×5, first 2 shown]
	s_mov_b32 s4, exec_lo
	s_waitcnt vmcnt(62) lgkmcnt(1)
	v_mul_f64 v[169:170], v[4:5], v[16:17]
	v_mul_f64 v[171:172], v[2:3], v[16:17]
	s_waitcnt vmcnt(60) lgkmcnt(0)
	v_mul_f64 v[178:179], v[14:15], v[20:21]
	ds_read_b128 v[16:19], v1 offset:1088
	v_mul_f64 v[20:21], v[12:13], v[20:21]
	s_waitcnt vmcnt(58)
	v_fma_f64 v[169:170], v[2:3], v[22:23], -v[169:170]
	v_fma_f64 v[22:23], v[4:5], v[22:23], v[171:172]
	s_clause 0x2
	buffer_load_dword v176, off, s[0:3], 0 offset:588
	buffer_load_dword v172, off, s[0:3], 0 offset:564
	;; [unrolled: 1-line block ×3, first 2 shown]
	s_waitcnt vmcnt(59) lgkmcnt(0)
	v_mul_f64 v[180:181], v[16:17], v[31:32]
	v_mul_f64 v[31:32], v[18:19], v[31:32]
	s_waitcnt vmcnt(57)
	v_fma_f64 v[182:183], v[12:13], v[33:34], -v[178:179]
	ds_read_b128 v[2:5], v1 offset:1104
	v_fma_f64 v[20:21], v[14:15], v[33:34], v[20:21]
	s_clause 0x4
	buffer_load_dword v34, off, s[0:3], 0 offset:604
	buffer_load_dword v179, off, s[0:3], 0 offset:616
	;; [unrolled: 1-line block ×5, first 2 shown]
	ds_read_b128 v[12:15], v1 offset:1120
	v_add_f64 v[169:170], v[169:170], 0
	v_add_f64 v[22:23], v[22:23], 0
	s_waitcnt vmcnt(58) lgkmcnt(1)
	v_mul_f64 v[185:186], v[2:3], v[35:36]
	v_mul_f64 v[35:36], v[4:5], v[35:36]
	s_waitcnt vmcnt(56)
	v_fma_f64 v[31:32], v[16:17], v[45:46], -v[31:32]
	v_fma_f64 v[45:46], v[18:19], v[45:46], v[180:181]
	v_add_f64 v[169:170], v[169:170], v[182:183]
	v_add_f64 v[20:21], v[22:23], v[20:21]
	s_clause 0x2
	buffer_load_dword v180, off, s[0:3], 0 offset:620
	buffer_load_dword v23, off, s[0:3], 0 offset:596
	;; [unrolled: 1-line block ×3, first 2 shown]
	s_waitcnt vmcnt(58) lgkmcnt(0)
	v_mul_f64 v[181:182], v[12:13], v[37:38]
	v_mul_f64 v[37:38], v[14:15], v[37:38]
	s_waitcnt vmcnt(56)
	v_fma_f64 v[35:36], v[2:3], v[47:48], -v[35:36]
	ds_read_b128 v[16:19], v1 offset:1136
	v_fma_f64 v[47:48], v[4:5], v[47:48], v[185:186]
	v_add_f64 v[31:32], v[169:170], v[31:32]
	v_add_f64 v[20:21], v[20:21], v[45:46]
	s_clause 0x4
	buffer_load_dword v46, off, s[0:3], 0 offset:636
	buffer_load_dword v169, off, s[0:3], 0 offset:648
	;; [unrolled: 1-line block ×5, first 2 shown]
	ds_read_b128 v[2:5], v1 offset:1152
	s_waitcnt vmcnt(57) lgkmcnt(1)
	v_mul_f64 v[187:188], v[16:17], v[49:50]
	v_mul_f64 v[49:50], v[18:19], v[49:50]
	s_waitcnt vmcnt(56)
	v_fma_f64 v[37:38], v[12:13], v[39:40], -v[37:38]
	v_add_f64 v[31:32], v[31:32], v[35:36]
	v_fma_f64 v[35:36], v[14:15], v[39:40], v[181:182]
	v_add_f64 v[20:21], v[20:21], v[47:48]
	s_clause 0x2
	buffer_load_dword v170, off, s[0:3], 0 offset:652
	buffer_load_dword v40, off, s[0:3], 0 offset:628
	;; [unrolled: 1-line block ×3, first 2 shown]
	s_waitcnt vmcnt(58) lgkmcnt(0)
	v_mul_f64 v[47:48], v[2:3], v[51:52]
	v_mul_f64 v[51:52], v[4:5], v[51:52]
	s_waitcnt vmcnt(56)
	v_fma_f64 v[49:50], v[16:17], v[59:60], -v[49:50]
	ds_read_b128 v[12:15], v1 offset:1168
	v_add_f64 v[31:32], v[31:32], v[37:38]
	v_fma_f64 v[37:38], v[18:19], v[59:60], v[187:188]
	v_add_f64 v[20:21], v[20:21], v[35:36]
	s_clause 0x4
	buffer_load_dword v36, off, s[0:3], 0 offset:668
	buffer_load_dword v59, off, s[0:3], 0 offset:680
	;; [unrolled: 1-line block ×5, first 2 shown]
	ds_read_b128 v[16:19], v1 offset:1184
	s_waitcnt vmcnt(57) lgkmcnt(1)
	v_mul_f64 v[182:183], v[12:13], v[61:62]
	v_mul_f64 v[61:62], v[14:15], v[61:62]
	s_waitcnt vmcnt(56)
	v_fma_f64 v[51:52], v[2:3], v[57:58], -v[51:52]
	v_fma_f64 v[47:48], v[4:5], v[57:58], v[47:48]
	v_add_f64 v[31:32], v[31:32], v[49:50]
	v_add_f64 v[20:21], v[20:21], v[37:38]
	s_clause 0x2
	buffer_load_dword v60, off, s[0:3], 0 offset:684
	buffer_load_dword v38, off, s[0:3], 0 offset:660
	;; [unrolled: 1-line block ×3, first 2 shown]
	s_waitcnt vmcnt(58) lgkmcnt(0)
	v_mul_f64 v[57:58], v[18:19], v[63:64]
	ds_read_b128 v[2:5], v1 offset:1200
	s_waitcnt vmcnt(56)
	v_fma_f64 v[61:62], v[12:13], v[67:68], -v[61:62]
	v_mul_f64 v[49:50], v[16:17], v[63:64]
	v_add_f64 v[31:32], v[31:32], v[51:52]
	v_fma_f64 v[51:52], v[14:15], v[67:68], v[182:183]
	v_add_f64 v[20:21], v[20:21], v[47:48]
	s_clause 0x4
	buffer_load_dword v48, off, s[0:3], 0 offset:700
	buffer_load_dword v63, off, s[0:3], 0 offset:712
	;; [unrolled: 1-line block ×5, first 2 shown]
	s_waitcnt vmcnt(57) lgkmcnt(0)
	v_mul_f64 v[188:189], v[2:3], v[73:74]
	v_mul_f64 v[73:74], v[4:5], v[73:74]
	s_waitcnt vmcnt(56)
	v_fma_f64 v[57:58], v[16:17], v[65:66], -v[57:58]
	ds_read_b128 v[12:15], v1 offset:1216
	v_fma_f64 v[49:50], v[18:19], v[65:66], v[49:50]
	v_add_f64 v[31:32], v[31:32], v[61:62]
	v_add_f64 v[20:21], v[20:21], v[51:52]
	s_clause 0x2
	buffer_load_dword v64, off, s[0:3], 0 offset:716
	buffer_load_dword v52, off, s[0:3], 0 offset:692
	;; [unrolled: 1-line block ×3, first 2 shown]
	ds_read_b128 v[16:19], v1 offset:1232
	s_waitcnt vmcnt(58) lgkmcnt(1)
	v_mul_f64 v[65:66], v[14:15], v[75:76]
	s_waitcnt vmcnt(56)
	v_fma_f64 v[73:74], v[2:3], v[79:80], -v[73:74]
	v_mul_f64 v[61:62], v[12:13], v[75:76]
	v_add_f64 v[31:32], v[31:32], v[57:58]
	v_fma_f64 v[57:58], v[4:5], v[79:80], v[188:189]
	v_add_f64 v[20:21], v[20:21], v[49:50]
	s_clause 0x4
	buffer_load_dword v50, off, s[0:3], 0 offset:732
	buffer_load_dword v75, off, s[0:3], 0 offset:744
	;; [unrolled: 1-line block ×5, first 2 shown]
	s_waitcnt vmcnt(57) lgkmcnt(0)
	v_mul_f64 v[188:189], v[16:17], v[153:154]
	v_mul_f64 v[153:154], v[18:19], v[153:154]
	s_waitcnt vmcnt(56)
	v_fma_f64 v[65:66], v[12:13], v[77:78], -v[65:66]
	ds_read_b128 v[2:5], v1 offset:1248
	v_fma_f64 v[61:62], v[14:15], v[77:78], v[61:62]
	v_add_f64 v[31:32], v[31:32], v[73:74]
	v_add_f64 v[20:21], v[20:21], v[57:58]
	s_clause 0x2
	buffer_load_dword v76, off, s[0:3], 0 offset:748
	buffer_load_dword v58, off, s[0:3], 0 offset:724
	;; [unrolled: 1-line block ×3, first 2 shown]
	ds_read_b128 v[12:15], v1 offset:1264
	s_waitcnt vmcnt(58) lgkmcnt(1)
	v_mul_f64 v[77:78], v[4:5], v[155:156]
	s_waitcnt vmcnt(56)
	v_fma_f64 v[153:154], v[16:17], v[159:160], -v[153:154]
	v_mul_f64 v[73:74], v[2:3], v[155:156]
	v_add_f64 v[31:32], v[31:32], v[65:66]
	v_fma_f64 v[65:66], v[18:19], v[159:160], v[188:189]
	v_add_f64 v[20:21], v[20:21], v[61:62]
	s_clause 0x2
	buffer_load_dword v62, off, s[0:3], 0 offset:764
	buffer_load_dword v61, off, s[0:3], 0 offset:760
	;; [unrolled: 1-line block ×3, first 2 shown]
	s_waitcnt vmcnt(55) lgkmcnt(0)
	v_mul_f64 v[159:160], v[14:15], v[161:162]
	s_waitcnt vmcnt(54)
	v_fma_f64 v[77:78], v[2:3], v[157:158], -v[77:78]
	ds_read_b128 v[16:19], v1 offset:1280
	v_mul_f64 v[155:156], v[12:13], v[161:162]
	v_fma_f64 v[73:74], v[4:5], v[157:158], v[73:74]
	v_add_f64 v[31:32], v[31:32], v[153:154]
	v_add_f64 v[20:21], v[20:21], v[65:66]
	s_clause 0x1
	buffer_load_dword v66, off, s[0:3], 0 offset:756
	buffer_load_dword v65, off, s[0:3], 0 offset:752
	s_waitcnt vmcnt(55) lgkmcnt(0)
	v_mul_f64 v[157:158], v[18:19], v[163:164]
	s_waitcnt vmcnt(53)
	v_fma_f64 v[159:160], v[12:13], v[167:168], -v[159:160]
	ds_read_b128 v[2:5], v1 offset:1296
	v_mul_f64 v[153:154], v[16:17], v[163:164]
	v_add_f64 v[31:32], v[31:32], v[77:78]
	v_fma_f64 v[77:78], v[14:15], v[167:168], v[155:156]
	v_add_f64 v[20:21], v[20:21], v[73:74]
	ds_read_b128 v[12:15], v1 offset:1312
	s_waitcnt vmcnt(49) lgkmcnt(1)
	v_mul_f64 v[155:156], v[4:5], v[173:174]
	s_waitcnt vmcnt(48)
	v_fma_f64 v[157:158], v[16:17], v[165:166], -v[157:158]
	v_mul_f64 v[73:74], v[2:3], v[173:174]
	v_fma_f64 v[153:154], v[18:19], v[165:166], v[153:154]
	v_add_f64 v[31:32], v[31:32], v[159:160]
	v_add_f64 v[20:21], v[20:21], v[77:78]
	s_clause 0x3
	buffer_load_dword v77, off, s[0:3], 0 offset:304
	buffer_load_dword v78, off, s[0:3], 0 offset:308
	;; [unrolled: 1-line block ×4, first 2 shown]
	ds_read_b128 v[16:19], v1 offset:1328
	s_waitcnt vmcnt(51) lgkmcnt(1)
	v_mul_f64 v[163:164], v[14:15], v[175:176]
	v_mul_f64 v[161:162], v[12:13], v[175:176]
	s_waitcnt vmcnt(49)
	v_fma_f64 v[155:156], v[2:3], v[171:172], -v[155:156]
	v_fma_f64 v[73:74], v[4:5], v[171:172], v[73:74]
	ds_read_b128 v[2:5], v1 offset:1344
	v_add_f64 v[31:32], v[31:32], v[157:158]
	v_add_f64 v[20:21], v[20:21], v[153:154]
	s_waitcnt vmcnt(45) lgkmcnt(1)
	v_mul_f64 v[153:154], v[16:17], v[33:34]
	v_mul_f64 v[33:34], v[18:19], v[33:34]
	s_waitcnt vmcnt(44)
	v_fma_f64 v[157:158], v[12:13], v[177:178], -v[163:164]
	v_add_f64 v[31:32], v[31:32], v[155:156]
	v_fma_f64 v[155:156], v[14:15], v[177:178], v[161:162]
	v_add_f64 v[20:21], v[20:21], v[73:74]
	ds_read_b128 v[12:15], v1 offset:1360
	s_waitcnt vmcnt(43) lgkmcnt(1)
	v_mul_f64 v[161:162], v[4:5], v[179:180]
	v_mul_f64 v[73:74], v[2:3], v[179:180]
	s_waitcnt vmcnt(41)
	v_fma_f64 v[33:34], v[16:17], v[22:23], -v[33:34]
	v_fma_f64 v[22:23], v[18:19], v[22:23], v[153:154]
	ds_read_b128 v[16:19], v1 offset:1376
	v_add_f64 v[31:32], v[31:32], v[157:158]
	v_add_f64 v[20:21], v[20:21], v[155:156]
	s_waitcnt vmcnt(37) lgkmcnt(1)
	v_mul_f64 v[153:154], v[12:13], v[45:46]
	v_mul_f64 v[45:46], v[14:15], v[45:46]
	s_waitcnt vmcnt(36)
	v_fma_f64 v[155:156], v[2:3], v[184:185], -v[161:162]
	v_add_f64 v[31:32], v[31:32], v[33:34]
	v_fma_f64 v[33:34], v[4:5], v[184:185], v[73:74]
	v_add_f64 v[20:21], v[20:21], v[22:23]
	ds_read_b128 v[2:5], v1 offset:1392
	s_waitcnt vmcnt(35) lgkmcnt(1)
	v_mul_f64 v[73:74], v[18:19], v[169:170]
	v_mul_f64 v[22:23], v[16:17], v[169:170]
	s_waitcnt vmcnt(33)
	v_fma_f64 v[45:46], v[12:13], v[39:40], -v[45:46]
	v_fma_f64 v[39:40], v[14:15], v[39:40], v[153:154]
	ds_read_b128 v[12:15], v1 offset:1408
	v_add_f64 v[31:32], v[31:32], v[155:156]
	v_add_f64 v[20:21], v[20:21], v[33:34]
	s_waitcnt vmcnt(29) lgkmcnt(1)
	v_mul_f64 v[33:34], v[2:3], v[35:36]
	v_mul_f64 v[35:36], v[4:5], v[35:36]
	s_waitcnt vmcnt(28)
	v_fma_f64 v[73:74], v[16:17], v[186:187], -v[73:74]
	v_fma_f64 v[22:23], v[18:19], v[186:187], v[22:23]
	ds_read_b128 v[16:19], v1 offset:1424
	v_add_f64 v[31:32], v[31:32], v[45:46]
	v_add_f64 v[20:21], v[20:21], v[39:40]
	;; [unrolled: 9-line block ×3, first 2 shown]
	s_waitcnt vmcnt(21) lgkmcnt(1)
	v_mul_f64 v[37:38], v[18:19], v[47:48]
	s_waitcnt vmcnt(20)
	v_fma_f64 v[45:46], v[12:13], v[181:182], -v[45:46]
	v_mul_f64 v[22:23], v[16:17], v[47:48]
	v_add_f64 v[31:32], v[31:32], v[35:36]
	v_fma_f64 v[35:36], v[14:15], v[181:182], v[39:40]
	v_add_f64 v[20:21], v[20:21], v[33:34]
	ds_read_b128 v[12:15], v1 offset:1456
	s_waitcnt vmcnt(19) lgkmcnt(1)
	v_mul_f64 v[39:40], v[4:5], v[63:64]
	v_mul_f64 v[33:34], v[2:3], v[63:64]
	s_waitcnt vmcnt(17)
	v_fma_f64 v[37:38], v[16:17], v[51:52], -v[37:38]
	v_fma_f64 v[22:23], v[18:19], v[51:52], v[22:23]
	ds_read_b128 v[16:19], v1 offset:1472
	v_add_f64 v[31:32], v[31:32], v[45:46]
	v_add_f64 v[20:21], v[20:21], v[35:36]
	s_waitcnt vmcnt(13) lgkmcnt(1)
	v_mul_f64 v[45:46], v[14:15], v[49:50]
	s_waitcnt vmcnt(12)
	v_fma_f64 v[39:40], v[2:3], v[67:68], -v[39:40]
	v_mul_f64 v[35:36], v[12:13], v[49:50]
	v_fma_f64 v[5:6], v[4:5], v[67:68], v[33:34]
	ds_read_b128 v[1:4], v1 offset:1488
	v_add_f64 v[31:32], v[31:32], v[37:38]
	v_add_f64 v[20:21], v[20:21], v[22:23]
	s_waitcnt vmcnt(11) lgkmcnt(1)
	v_mul_f64 v[33:34], v[18:19], v[75:76]
	v_mul_f64 v[22:23], v[16:17], v[75:76]
	s_waitcnt vmcnt(9)
	v_fma_f64 v[12:13], v[12:13], v[57:58], -v[45:46]
	v_fma_f64 v[14:15], v[14:15], v[57:58], v[35:36]
	v_add_f64 v[31:32], v[31:32], v[39:40]
	v_add_f64 v[5:6], v[20:21], v[5:6]
	s_waitcnt vmcnt(7) lgkmcnt(0)
	v_mul_f64 v[35:36], v[3:4], v[61:62]
	s_waitcnt vmcnt(6)
	v_fma_f64 v[16:17], v[16:17], v[79:80], -v[33:34]
	v_mul_f64 v[20:21], v[1:2], v[61:62]
	v_fma_f64 v[18:19], v[18:19], v[79:80], v[22:23]
	v_add_f64 v[12:13], v[31:32], v[12:13]
	v_add_f64 v[5:6], v[5:6], v[14:15]
	s_waitcnt vmcnt(4)
	v_fma_f64 v[1:2], v[1:2], v[65:66], -v[35:36]
	v_fma_f64 v[3:4], v[3:4], v[65:66], v[20:21]
	v_add_f64 v[12:13], v[12:13], v[16:17]
	v_add_f64 v[5:6], v[5:6], v[18:19]
	;; [unrolled: 1-line block ×4, first 2 shown]
	s_waitcnt vmcnt(2)
	v_add_f64 v[1:2], v[77:78], -v[1:2]
	s_waitcnt vmcnt(0)
	v_add_f64 v[3:4], v[159:160], -v[3:4]
	buffer_store_dword v2, off, s[0:3], 0 offset:308
	buffer_store_dword v1, off, s[0:3], 0 offset:304
	;; [unrolled: 1-line block ×4, first 2 shown]
	v_cmpx_lt_u32_e32 17, v0
	s_cbranch_execz .LBB46_261
; %bb.260:
	v_mov_b32_e32 v4, s42
	v_mov_b32_e32 v5, 0
	s_clause 0x3
	buffer_load_dword v1, v4, s[0:3], 0 offen
	buffer_load_dword v2, v4, s[0:3], 0 offen offset:4
	buffer_load_dword v3, v4, s[0:3], 0 offen offset:8
	;; [unrolled: 1-line block ×3, first 2 shown]
	buffer_store_dword v5, off, s[0:3], 0 offset:288
	buffer_store_dword v5, off, s[0:3], 0 offset:292
	;; [unrolled: 1-line block ×4, first 2 shown]
	s_waitcnt vmcnt(0)
	ds_write_b128 v7, v[1:4]
.LBB46_261:
	s_or_b32 exec_lo, exec_lo, s4
	s_waitcnt lgkmcnt(0)
	s_waitcnt_vscnt null, 0x0
	s_barrier
	buffer_gl0_inv
	s_clause 0x37
	buffer_load_dword v5, off, s[0:3], 0 offset:312
	buffer_load_dword v6, off, s[0:3], 0 offset:316
	;; [unrolled: 1-line block ×56, first 2 shown]
	v_mov_b32_e32 v16, 0
	s_mov_b32 s4, exec_lo
	ds_read_b128 v[12:15], v16 offset:1040
	s_clause 0x2
	buffer_load_dword v164, off, s[0:3], 0 offset:540
	buffer_load_dword v168, off, s[0:3], 0 offset:516
	;; [unrolled: 1-line block ×3, first 2 shown]
	ds_read_b128 v[17:20], v16 offset:1056
	s_clause 0x4
	buffer_load_dword v172, off, s[0:3], 0 offset:556
	buffer_load_dword v173, off, s[0:3], 0 offset:568
	;; [unrolled: 1-line block ×5, first 2 shown]
	ds_read_b128 v[21:24], v16 offset:1072
	s_waitcnt vmcnt(62) lgkmcnt(2)
	v_mul_f64 v[169:170], v[14:15], v[5:6]
	v_mul_f64 v[5:6], v[12:13], v[5:6]
	s_waitcnt vmcnt(60) lgkmcnt(1)
	v_mul_f64 v[176:177], v[19:20], v[31:32]
	v_mul_f64 v[31:32], v[17:18], v[31:32]
	;; [unrolled: 3-line block ×3, first 2 shown]
	v_fma_f64 v[169:170], v[12:13], v[33:34], -v[169:170]
	v_fma_f64 v[5:6], v[14:15], v[33:34], v[5:6]
	s_clause 0x2
	buffer_load_dword v174, off, s[0:3], 0 offset:572
	buffer_load_dword v34, off, s[0:3], 0 offset:548
	;; [unrolled: 1-line block ×3, first 2 shown]
	s_waitcnt vmcnt(57)
	v_fma_f64 v[17:18], v[17:18], v[1:2], -v[176:177]
	ds_read_b128 v[12:15], v16 offset:1088
	v_fma_f64 v[19:20], v[19:20], v[1:2], v[31:32]
	s_clause 0x4
	buffer_load_dword v32, off, s[0:3], 0 offset:588
	buffer_load_dword v177, off, s[0:3], 0 offset:600
	;; [unrolled: 1-line block ×5, first 2 shown]
	s_waitcnt vmcnt(56)
	v_fma_f64 v[21:22], v[21:22], v[45:46], -v[180:181]
	ds_read_b128 v[1:4], v16 offset:1104
	v_fma_f64 v[23:24], v[23:24], v[45:46], v[178:179]
	s_clause 0x2
	buffer_load_dword v178, off, s[0:3], 0 offset:604
	buffer_load_dword v46, off, s[0:3], 0 offset:580
	;; [unrolled: 1-line block ×3, first 2 shown]
	v_add_f64 v[169:170], v[169:170], 0
	v_add_f64 v[5:6], v[5:6], 0
	s_waitcnt lgkmcnt(1)
	v_mul_f64 v[183:184], v[12:13], v[35:36]
	v_mul_f64 v[35:36], v[14:15], v[35:36]
	s_waitcnt vmcnt(58) lgkmcnt(0)
	v_mul_f64 v[179:180], v[1:2], v[37:38]
	v_mul_f64 v[37:38], v[3:4], v[37:38]
	v_add_f64 v[169:170], v[169:170], v[17:18]
	v_add_f64 v[5:6], v[5:6], v[19:20]
	ds_read_b128 v[17:20], v16 offset:1120
	s_waitcnt vmcnt(56)
	v_fma_f64 v[35:36], v[12:13], v[47:48], -v[35:36]
	v_fma_f64 v[47:48], v[14:15], v[47:48], v[183:184]
	s_waitcnt vmcnt(51)
	v_fma_f64 v[37:38], v[1:2], v[39:40], -v[37:38]
	s_waitcnt lgkmcnt(0)
	v_mul_f64 v[185:186], v[17:18], v[49:50]
	v_add_f64 v[21:22], v[169:170], v[21:22]
	v_add_f64 v[5:6], v[5:6], v[23:24]
	s_clause 0x4
	buffer_load_dword v24, off, s[0:3], 0 offset:620
	buffer_load_dword v169, off, s[0:3], 0 offset:632
	;; [unrolled: 1-line block ×5, first 2 shown]
	v_mul_f64 v[49:50], v[19:20], v[49:50]
	ds_read_b128 v[12:15], v16 offset:1136
	v_add_f64 v[21:22], v[21:22], v[35:36]
	v_fma_f64 v[35:36], v[3:4], v[39:40], v[179:180]
	v_add_f64 v[5:6], v[5:6], v[47:48]
	s_clause 0x2
	buffer_load_dword v170, off, s[0:3], 0 offset:636
	buffer_load_dword v40, off, s[0:3], 0 offset:612
	;; [unrolled: 1-line block ×3, first 2 shown]
	s_waitcnt vmcnt(58) lgkmcnt(0)
	v_mul_f64 v[47:48], v[12:13], v[51:52]
	v_mul_f64 v[51:52], v[14:15], v[51:52]
	s_waitcnt vmcnt(56)
	v_fma_f64 v[49:50], v[17:18], v[59:60], -v[49:50]
	ds_read_b128 v[1:4], v16 offset:1152
	v_add_f64 v[21:22], v[21:22], v[37:38]
	v_fma_f64 v[37:38], v[19:20], v[59:60], v[185:186]
	v_add_f64 v[5:6], v[5:6], v[35:36]
	s_clause 0x4
	buffer_load_dword v36, off, s[0:3], 0 offset:652
	buffer_load_dword v59, off, s[0:3], 0 offset:664
	;; [unrolled: 1-line block ×5, first 2 shown]
	ds_read_b128 v[17:20], v16 offset:1168
	s_waitcnt vmcnt(57) lgkmcnt(1)
	v_mul_f64 v[180:181], v[1:2], v[61:62]
	v_mul_f64 v[61:62], v[3:4], v[61:62]
	s_waitcnt vmcnt(56)
	v_fma_f64 v[51:52], v[12:13], v[57:58], -v[51:52]
	v_fma_f64 v[47:48], v[14:15], v[57:58], v[47:48]
	v_add_f64 v[21:22], v[21:22], v[49:50]
	v_add_f64 v[5:6], v[5:6], v[37:38]
	s_clause 0x2
	buffer_load_dword v60, off, s[0:3], 0 offset:668
	buffer_load_dword v38, off, s[0:3], 0 offset:644
	;; [unrolled: 1-line block ×3, first 2 shown]
	s_waitcnt vmcnt(58) lgkmcnt(0)
	v_mul_f64 v[57:58], v[19:20], v[63:64]
	ds_read_b128 v[12:15], v16 offset:1184
	s_waitcnt vmcnt(56)
	v_fma_f64 v[61:62], v[1:2], v[67:68], -v[61:62]
	v_mul_f64 v[49:50], v[17:18], v[63:64]
	v_add_f64 v[21:22], v[21:22], v[51:52]
	v_fma_f64 v[51:52], v[3:4], v[67:68], v[180:181]
	v_add_f64 v[5:6], v[5:6], v[47:48]
	s_clause 0x4
	buffer_load_dword v48, off, s[0:3], 0 offset:684
	buffer_load_dword v63, off, s[0:3], 0 offset:696
	buffer_load_dword v67, off, s[0:3], 0 offset:688
	buffer_load_dword v47, off, s[0:3], 0 offset:680
	buffer_load_dword v180, off, s[0:3], 0 offset:660
	s_waitcnt vmcnt(57) lgkmcnt(0)
	v_mul_f64 v[186:187], v[12:13], v[73:74]
	v_mul_f64 v[73:74], v[14:15], v[73:74]
	s_waitcnt vmcnt(56)
	v_fma_f64 v[57:58], v[17:18], v[65:66], -v[57:58]
	ds_read_b128 v[1:4], v16 offset:1200
	v_fma_f64 v[49:50], v[19:20], v[65:66], v[49:50]
	v_add_f64 v[21:22], v[21:22], v[61:62]
	v_add_f64 v[5:6], v[5:6], v[51:52]
	s_clause 0x2
	buffer_load_dword v64, off, s[0:3], 0 offset:700
	buffer_load_dword v52, off, s[0:3], 0 offset:676
	buffer_load_dword v51, off, s[0:3], 0 offset:672
	ds_read_b128 v[17:20], v16 offset:1216
	s_waitcnt vmcnt(58) lgkmcnt(1)
	v_mul_f64 v[65:66], v[3:4], v[75:76]
	s_waitcnt vmcnt(56)
	v_fma_f64 v[73:74], v[12:13], v[79:80], -v[73:74]
	v_mul_f64 v[61:62], v[1:2], v[75:76]
	v_add_f64 v[21:22], v[21:22], v[57:58]
	v_fma_f64 v[57:58], v[14:15], v[79:80], v[186:187]
	v_add_f64 v[5:6], v[5:6], v[49:50]
	s_clause 0x4
	buffer_load_dword v50, off, s[0:3], 0 offset:716
	buffer_load_dword v75, off, s[0:3], 0 offset:728
	buffer_load_dword v79, off, s[0:3], 0 offset:720
	buffer_load_dword v49, off, s[0:3], 0 offset:712
	buffer_load_dword v68, off, s[0:3], 0 offset:692
	s_waitcnt vmcnt(57) lgkmcnt(0)
	v_mul_f64 v[186:187], v[17:18], v[153:154]
	v_mul_f64 v[153:154], v[19:20], v[153:154]
	s_waitcnt vmcnt(56)
	v_fma_f64 v[65:66], v[1:2], v[77:78], -v[65:66]
	ds_read_b128 v[12:15], v16 offset:1232
	v_fma_f64 v[61:62], v[3:4], v[77:78], v[61:62]
	v_add_f64 v[21:22], v[21:22], v[73:74]
	v_add_f64 v[5:6], v[5:6], v[57:58]
	s_clause 0x2
	buffer_load_dword v76, off, s[0:3], 0 offset:732
	buffer_load_dword v58, off, s[0:3], 0 offset:708
	buffer_load_dword v57, off, s[0:3], 0 offset:704
	ds_read_b128 v[1:4], v16 offset:1248
	s_waitcnt vmcnt(58) lgkmcnt(1)
	v_mul_f64 v[77:78], v[14:15], v[155:156]
	;; [unrolled: 28-line block ×3, first 2 shown]
	s_waitcnt vmcnt(56)
	v_fma_f64 v[161:162], v[1:2], v[167:168], -v[160:161]
	v_mul_f64 v[153:154], v[17:18], v[163:164]
	buffer_load_dword v160, off, s[0:3], 0 offset:756
	v_add_f64 v[21:22], v[21:22], v[77:78]
	v_fma_f64 v[77:78], v[3:4], v[167:168], v[186:187]
	v_add_f64 v[5:6], v[5:6], v[73:74]
	ds_read_b128 v[1:4], v16 offset:1296
	s_waitcnt vmcnt(53) lgkmcnt(1)
	v_mul_f64 v[163:164], v[14:15], v[171:172]
	s_waitcnt vmcnt(52)
	v_fma_f64 v[157:158], v[17:18], v[165:166], -v[157:158]
	v_mul_f64 v[73:74], v[12:13], v[171:172]
	v_fma_f64 v[153:154], v[19:20], v[165:166], v[153:154]
	ds_read_b128 v[17:20], v16 offset:1312
	v_add_f64 v[21:22], v[21:22], v[161:162]
	v_add_f64 v[5:6], v[5:6], v[77:78]
	s_waitcnt vmcnt(51) lgkmcnt(1)
	v_mul_f64 v[161:162], v[3:4], v[173:174]
	v_mul_f64 v[77:78], v[1:2], v[173:174]
	s_waitcnt vmcnt(49)
	v_fma_f64 v[163:164], v[12:13], v[33:34], -v[163:164]
	v_fma_f64 v[33:34], v[14:15], v[33:34], v[73:74]
	v_add_f64 v[21:22], v[21:22], v[157:158]
	s_waitcnt vmcnt(45) lgkmcnt(0)
	v_mul_f64 v[157:158], v[17:18], v[31:32]
	v_add_f64 v[5:6], v[5:6], v[153:154]
	s_clause 0x3
	buffer_load_dword v73, off, s[0:3], 0 offset:288
	buffer_load_dword v74, off, s[0:3], 0 offset:292
	;; [unrolled: 1-line block ×4, first 2 shown]
	v_mul_f64 v[31:32], v[19:20], v[31:32]
	ds_read_b128 v[12:15], v16 offset:1328
	s_waitcnt vmcnt(48)
	v_fma_f64 v[161:162], v[1:2], v[175:176], -v[161:162]
	v_fma_f64 v[77:78], v[3:4], v[175:176], v[77:78]
	ds_read_b128 v[1:4], v16 offset:1344
	v_add_f64 v[21:22], v[21:22], v[163:164]
	v_add_f64 v[5:6], v[5:6], v[33:34]
	s_waitcnt vmcnt(47) lgkmcnt(1)
	v_mul_f64 v[163:164], v[14:15], v[177:178]
	s_waitcnt vmcnt(45)
	v_fma_f64 v[31:32], v[17:18], v[45:46], -v[31:32]
	v_mul_f64 v[33:34], v[12:13], v[177:178]
	v_fma_f64 v[45:46], v[19:20], v[45:46], v[157:158]
	ds_read_b128 v[17:20], v16 offset:1360
	v_add_f64 v[21:22], v[21:22], v[161:162]
	v_add_f64 v[5:6], v[5:6], v[77:78]
	s_waitcnt vmcnt(41) lgkmcnt(1)
	v_mul_f64 v[77:78], v[1:2], v[23:24]
	v_mul_f64 v[23:24], v[3:4], v[23:24]
	s_waitcnt vmcnt(40)
	v_fma_f64 v[157:158], v[12:13], v[182:183], -v[163:164]
	v_add_f64 v[21:22], v[21:22], v[31:32]
	v_fma_f64 v[31:32], v[14:15], v[182:183], v[33:34]
	v_add_f64 v[5:6], v[5:6], v[45:46]
	ds_read_b128 v[12:15], v16 offset:1376
	s_waitcnt vmcnt(39) lgkmcnt(1)
	v_mul_f64 v[45:46], v[19:20], v[169:170]
	v_mul_f64 v[33:34], v[17:18], v[169:170]
	s_waitcnt vmcnt(37)
	v_fma_f64 v[23:24], v[1:2], v[39:40], -v[23:24]
	v_fma_f64 v[39:40], v[3:4], v[39:40], v[77:78]
	ds_read_b128 v[1:4], v16 offset:1392
	v_add_f64 v[21:22], v[21:22], v[157:158]
	v_add_f64 v[5:6], v[5:6], v[31:32]
	s_waitcnt vmcnt(33) lgkmcnt(1)
	v_mul_f64 v[31:32], v[12:13], v[35:36]
	v_mul_f64 v[35:36], v[14:15], v[35:36]
	s_waitcnt vmcnt(32)
	v_fma_f64 v[45:46], v[17:18], v[184:185], -v[45:46]
	v_add_f64 v[21:22], v[21:22], v[23:24]
	v_fma_f64 v[23:24], v[19:20], v[184:185], v[33:34]
	v_add_f64 v[5:6], v[5:6], v[39:40]
	ds_read_b128 v[17:20], v16 offset:1408
	s_waitcnt vmcnt(31) lgkmcnt(1)
	v_mul_f64 v[39:40], v[3:4], v[59:60]
	v_mul_f64 v[33:34], v[1:2], v[59:60]
	s_waitcnt vmcnt(29)
	v_fma_f64 v[35:36], v[12:13], v[37:38], -v[35:36]
	v_fma_f64 v[31:32], v[14:15], v[37:38], v[31:32]
	ds_read_b128 v[12:15], v16 offset:1424
	v_add_f64 v[21:22], v[21:22], v[45:46]
	v_add_f64 v[5:6], v[5:6], v[23:24]
	s_waitcnt vmcnt(25) lgkmcnt(1)
	v_mul_f64 v[37:38], v[19:20], v[47:48]
	s_waitcnt vmcnt(24)
	v_fma_f64 v[39:40], v[1:2], v[179:180], -v[39:40]
	v_mul_f64 v[23:24], v[17:18], v[47:48]
	v_fma_f64 v[33:34], v[3:4], v[179:180], v[33:34]
	ds_read_b128 v[1:4], v16 offset:1440
	v_add_f64 v[21:22], v[21:22], v[35:36]
	v_add_f64 v[5:6], v[5:6], v[31:32]
	s_waitcnt vmcnt(23) lgkmcnt(1)
	v_mul_f64 v[35:36], v[14:15], v[63:64]
	v_mul_f64 v[31:32], v[12:13], v[63:64]
	s_waitcnt vmcnt(21)
	v_fma_f64 v[37:38], v[17:18], v[51:52], -v[37:38]
	v_fma_f64 v[23:24], v[19:20], v[51:52], v[23:24]
	ds_read_b128 v[17:20], v16 offset:1456
	v_add_f64 v[21:22], v[21:22], v[39:40]
	v_add_f64 v[5:6], v[5:6], v[33:34]
	s_waitcnt vmcnt(17) lgkmcnt(1)
	v_mul_f64 v[39:40], v[3:4], v[49:50]
	s_waitcnt vmcnt(16)
	v_fma_f64 v[35:36], v[12:13], v[67:68], -v[35:36]
	v_mul_f64 v[33:34], v[1:2], v[49:50]
	v_fma_f64 v[31:32], v[14:15], v[67:68], v[31:32]
	ds_read_b128 v[12:15], v16 offset:1472
	v_add_f64 v[21:22], v[21:22], v[37:38]
	v_add_f64 v[5:6], v[5:6], v[23:24]
	s_waitcnt vmcnt(15) lgkmcnt(1)
	v_mul_f64 v[37:38], v[19:20], v[75:76]
	v_mul_f64 v[23:24], v[17:18], v[75:76]
	s_waitcnt vmcnt(13)
	v_fma_f64 v[39:40], v[1:2], v[57:58], -v[39:40]
	v_fma_f64 v[33:34], v[3:4], v[57:58], v[33:34]
	ds_read_b128 v[1:4], v16 offset:1488
	v_add_f64 v[21:22], v[21:22], v[35:36]
	v_add_f64 v[5:6], v[5:6], v[31:32]
	s_waitcnt vmcnt(9) lgkmcnt(1)
	v_mul_f64 v[35:36], v[14:15], v[61:62]
	s_waitcnt vmcnt(8)
	v_fma_f64 v[17:18], v[17:18], v[79:80], -v[37:38]
	v_mul_f64 v[31:32], v[12:13], v[61:62]
	v_fma_f64 v[19:20], v[19:20], v[79:80], v[23:24]
	v_add_f64 v[21:22], v[21:22], v[39:40]
	v_add_f64 v[5:6], v[5:6], v[33:34]
	s_waitcnt vmcnt(7) lgkmcnt(0)
	v_mul_f64 v[33:34], v[3:4], v[155:156]
	v_mul_f64 v[23:24], v[1:2], v[155:156]
	s_waitcnt vmcnt(5)
	v_fma_f64 v[12:13], v[12:13], v[65:66], -v[35:36]
	v_fma_f64 v[14:15], v[14:15], v[65:66], v[31:32]
	v_add_f64 v[17:18], v[21:22], v[17:18]
	v_add_f64 v[5:6], v[5:6], v[19:20]
	s_waitcnt vmcnt(4)
	v_fma_f64 v[1:2], v[1:2], v[159:160], -v[33:34]
	v_fma_f64 v[3:4], v[3:4], v[159:160], v[23:24]
	v_add_f64 v[12:13], v[17:18], v[12:13]
	v_add_f64 v[5:6], v[5:6], v[14:15]
	;; [unrolled: 1-line block ×4, first 2 shown]
	s_waitcnt vmcnt(2)
	v_add_f64 v[1:2], v[73:74], -v[1:2]
	s_waitcnt vmcnt(0)
	v_add_f64 v[3:4], v[153:154], -v[3:4]
	buffer_store_dword v2, off, s[0:3], 0 offset:292
	buffer_store_dword v1, off, s[0:3], 0 offset:288
	;; [unrolled: 1-line block ×4, first 2 shown]
	v_cmpx_lt_u32_e32 16, v0
	s_cbranch_execz .LBB46_263
; %bb.262:
	v_mov_b32_e32 v4, s43
	s_clause 0x3
	buffer_load_dword v1, v4, s[0:3], 0 offen
	buffer_load_dword v2, v4, s[0:3], 0 offen offset:4
	buffer_load_dword v3, v4, s[0:3], 0 offen offset:8
	;; [unrolled: 1-line block ×3, first 2 shown]
	buffer_store_dword v16, off, s[0:3], 0 offset:272
	buffer_store_dword v16, off, s[0:3], 0 offset:276
	;; [unrolled: 1-line block ×4, first 2 shown]
	s_waitcnt vmcnt(0)
	ds_write_b128 v7, v[1:4]
.LBB46_263:
	s_or_b32 exec_lo, exec_lo, s4
	s_waitcnt lgkmcnt(0)
	s_waitcnt_vscnt null, 0x0
	s_barrier
	buffer_gl0_inv
	s_clause 0x37
	buffer_load_dword v14, off, s[0:3], 0 offset:296
	buffer_load_dword v15, off, s[0:3], 0 offset:300
	;; [unrolled: 1-line block ×56, first 2 shown]
	ds_read_b128 v[17:20], v16 offset:1024
	s_clause 0x2
	buffer_load_dword v164, off, s[0:3], 0 offset:524
	buffer_load_dword v168, off, s[0:3], 0 offset:500
	;; [unrolled: 1-line block ×3, first 2 shown]
	ds_read_b128 v[21:24], v16 offset:1040
	s_clause 0x4
	buffer_load_dword v172, off, s[0:3], 0 offset:540
	buffer_load_dword v173, off, s[0:3], 0 offset:552
	;; [unrolled: 1-line block ×5, first 2 shown]
	ds_read_b128 v[31:34], v16 offset:1056
	s_mov_b32 s4, exec_lo
	s_waitcnt vmcnt(62) lgkmcnt(2)
	v_mul_f64 v[169:170], v[19:20], v[14:15]
	v_mul_f64 v[14:15], v[17:18], v[14:15]
	s_waitcnt vmcnt(60) lgkmcnt(1)
	v_mul_f64 v[176:177], v[23:24], v[5:6]
	v_mul_f64 v[5:6], v[21:22], v[5:6]
	;; [unrolled: 3-line block ×3, first 2 shown]
	v_fma_f64 v[17:18], v[17:18], v[12:13], -v[169:170]
	v_fma_f64 v[19:20], v[19:20], v[12:13], v[14:15]
	s_clause 0x2
	buffer_load_dword v174, off, s[0:3], 0 offset:556
	buffer_load_dword v170, off, s[0:3], 0 offset:532
	;; [unrolled: 1-line block ×3, first 2 shown]
	s_waitcnt vmcnt(57)
	v_fma_f64 v[21:22], v[21:22], v[1:2], -v[176:177]
	ds_read_b128 v[12:15], v16 offset:1072
	v_fma_f64 v[5:6], v[23:24], v[1:2], v[5:6]
	s_clause 0x4
	buffer_load_dword v24, off, s[0:3], 0 offset:572
	buffer_load_dword v177, off, s[0:3], 0 offset:584
	;; [unrolled: 1-line block ×5, first 2 shown]
	s_waitcnt vmcnt(56)
	v_fma_f64 v[31:32], v[31:32], v[45:46], -v[180:181]
	ds_read_b128 v[1:4], v16 offset:1088
	v_fma_f64 v[33:34], v[33:34], v[45:46], v[178:179]
	s_clause 0x2
	buffer_load_dword v178, off, s[0:3], 0 offset:588
	buffer_load_dword v46, off, s[0:3], 0 offset:564
	;; [unrolled: 1-line block ×3, first 2 shown]
	v_add_f64 v[17:18], v[17:18], 0
	v_add_f64 v[19:20], v[19:20], 0
	s_waitcnt lgkmcnt(1)
	v_mul_f64 v[183:184], v[12:13], v[35:36]
	v_mul_f64 v[35:36], v[14:15], v[35:36]
	s_waitcnt vmcnt(58) lgkmcnt(0)
	v_mul_f64 v[179:180], v[1:2], v[37:38]
	v_mul_f64 v[37:38], v[3:4], v[37:38]
	v_add_f64 v[21:22], v[17:18], v[21:22]
	v_add_f64 v[5:6], v[19:20], v[5:6]
	ds_read_b128 v[17:20], v16 offset:1104
	s_waitcnt vmcnt(56)
	v_fma_f64 v[35:36], v[12:13], v[47:48], -v[35:36]
	s_waitcnt vmcnt(51)
	v_fma_f64 v[37:38], v[1:2], v[39:40], -v[37:38]
	s_waitcnt lgkmcnt(0)
	v_mul_f64 v[185:186], v[17:18], v[49:50]
	v_add_f64 v[21:22], v[21:22], v[31:32]
	v_fma_f64 v[31:32], v[14:15], v[47:48], v[183:184]
	v_add_f64 v[5:6], v[5:6], v[33:34]
	s_clause 0x4
	buffer_load_dword v34, off, s[0:3], 0 offset:604
	buffer_load_dword v47, off, s[0:3], 0 offset:616
	;; [unrolled: 1-line block ×5, first 2 shown]
	v_mul_f64 v[49:50], v[19:20], v[49:50]
	ds_read_b128 v[12:15], v16 offset:1120
	v_add_f64 v[21:22], v[21:22], v[35:36]
	v_fma_f64 v[35:36], v[3:4], v[39:40], v[179:180]
	v_add_f64 v[5:6], v[5:6], v[31:32]
	s_clause 0x2
	buffer_load_dword v48, off, s[0:3], 0 offset:620
	buffer_load_dword v32, off, s[0:3], 0 offset:596
	;; [unrolled: 1-line block ×3, first 2 shown]
	s_waitcnt vmcnt(58) lgkmcnt(0)
	v_mul_f64 v[39:40], v[12:13], v[51:52]
	v_mul_f64 v[51:52], v[14:15], v[51:52]
	s_waitcnt vmcnt(56)
	v_fma_f64 v[49:50], v[17:18], v[59:60], -v[49:50]
	ds_read_b128 v[1:4], v16 offset:1136
	v_add_f64 v[21:22], v[21:22], v[37:38]
	v_fma_f64 v[37:38], v[19:20], v[59:60], v[185:186]
	v_add_f64 v[5:6], v[5:6], v[35:36]
	s_clause 0x4
	buffer_load_dword v36, off, s[0:3], 0 offset:636
	buffer_load_dword v59, off, s[0:3], 0 offset:648
	;; [unrolled: 1-line block ×5, first 2 shown]
	ds_read_b128 v[17:20], v16 offset:1152
	s_waitcnt vmcnt(57) lgkmcnt(1)
	v_mul_f64 v[180:181], v[1:2], v[61:62]
	v_mul_f64 v[61:62], v[3:4], v[61:62]
	s_waitcnt vmcnt(56)
	v_fma_f64 v[51:52], v[12:13], v[57:58], -v[51:52]
	v_fma_f64 v[39:40], v[14:15], v[57:58], v[39:40]
	v_add_f64 v[21:22], v[21:22], v[49:50]
	v_add_f64 v[5:6], v[5:6], v[37:38]
	s_clause 0x2
	buffer_load_dword v60, off, s[0:3], 0 offset:652
	buffer_load_dword v38, off, s[0:3], 0 offset:628
	buffer_load_dword v37, off, s[0:3], 0 offset:624
	s_waitcnt vmcnt(58) lgkmcnt(0)
	v_mul_f64 v[57:58], v[19:20], v[63:64]
	ds_read_b128 v[12:15], v16 offset:1168
	s_waitcnt vmcnt(56)
	v_fma_f64 v[61:62], v[1:2], v[67:68], -v[61:62]
	v_mul_f64 v[49:50], v[17:18], v[63:64]
	v_add_f64 v[21:22], v[21:22], v[51:52]
	v_fma_f64 v[51:52], v[3:4], v[67:68], v[180:181]
	v_add_f64 v[5:6], v[5:6], v[39:40]
	s_clause 0x4
	buffer_load_dword v40, off, s[0:3], 0 offset:668
	buffer_load_dword v63, off, s[0:3], 0 offset:680
	buffer_load_dword v67, off, s[0:3], 0 offset:672
	buffer_load_dword v39, off, s[0:3], 0 offset:664
	buffer_load_dword v180, off, s[0:3], 0 offset:644
	s_waitcnt vmcnt(57) lgkmcnt(0)
	v_mul_f64 v[186:187], v[12:13], v[73:74]
	v_mul_f64 v[73:74], v[14:15], v[73:74]
	s_waitcnt vmcnt(56)
	v_fma_f64 v[57:58], v[17:18], v[65:66], -v[57:58]
	ds_read_b128 v[1:4], v16 offset:1184
	v_fma_f64 v[49:50], v[19:20], v[65:66], v[49:50]
	v_add_f64 v[21:22], v[21:22], v[61:62]
	v_add_f64 v[5:6], v[5:6], v[51:52]
	s_clause 0x2
	buffer_load_dword v64, off, s[0:3], 0 offset:684
	buffer_load_dword v52, off, s[0:3], 0 offset:660
	buffer_load_dword v51, off, s[0:3], 0 offset:656
	ds_read_b128 v[17:20], v16 offset:1200
	s_waitcnt vmcnt(58) lgkmcnt(1)
	v_mul_f64 v[65:66], v[3:4], v[75:76]
	s_waitcnt vmcnt(56)
	v_fma_f64 v[73:74], v[12:13], v[79:80], -v[73:74]
	v_mul_f64 v[61:62], v[1:2], v[75:76]
	v_add_f64 v[21:22], v[21:22], v[57:58]
	v_fma_f64 v[57:58], v[14:15], v[79:80], v[186:187]
	v_add_f64 v[5:6], v[5:6], v[49:50]
	s_clause 0x4
	buffer_load_dword v50, off, s[0:3], 0 offset:700
	buffer_load_dword v75, off, s[0:3], 0 offset:712
	buffer_load_dword v79, off, s[0:3], 0 offset:704
	buffer_load_dword v49, off, s[0:3], 0 offset:696
	buffer_load_dword v68, off, s[0:3], 0 offset:676
	s_waitcnt vmcnt(57) lgkmcnt(0)
	v_mul_f64 v[186:187], v[17:18], v[153:154]
	v_mul_f64 v[153:154], v[19:20], v[153:154]
	s_waitcnt vmcnt(56)
	v_fma_f64 v[65:66], v[1:2], v[77:78], -v[65:66]
	ds_read_b128 v[12:15], v16 offset:1216
	v_fma_f64 v[61:62], v[3:4], v[77:78], v[61:62]
	v_add_f64 v[21:22], v[21:22], v[73:74]
	v_add_f64 v[5:6], v[5:6], v[57:58]
	s_clause 0x2
	buffer_load_dword v76, off, s[0:3], 0 offset:716
	buffer_load_dword v58, off, s[0:3], 0 offset:692
	buffer_load_dword v57, off, s[0:3], 0 offset:688
	ds_read_b128 v[1:4], v16 offset:1232
	s_waitcnt vmcnt(58) lgkmcnt(1)
	v_mul_f64 v[77:78], v[14:15], v[155:156]
	;; [unrolled: 28-line block ×3, first 2 shown]
	s_waitcnt vmcnt(56)
	v_fma_f64 v[161:162], v[1:2], v[167:168], -v[160:161]
	v_mul_f64 v[153:154], v[17:18], v[163:164]
	v_add_f64 v[21:22], v[21:22], v[77:78]
	v_fma_f64 v[77:78], v[3:4], v[167:168], v[186:187]
	v_add_f64 v[5:6], v[5:6], v[73:74]
	s_clause 0x2
	buffer_load_dword v74, off, s[0:3], 0 offset:764
	buffer_load_dword v73, off, s[0:3], 0 offset:760
	;; [unrolled: 1-line block ×3, first 2 shown]
	s_waitcnt vmcnt(55) lgkmcnt(0)
	v_mul_f64 v[167:168], v[14:15], v[171:172]
	s_waitcnt vmcnt(54)
	v_fma_f64 v[157:158], v[17:18], v[165:166], -v[157:158]
	ds_read_b128 v[1:4], v16 offset:1280
	v_mul_f64 v[163:164], v[12:13], v[171:172]
	v_fma_f64 v[153:154], v[19:20], v[165:166], v[153:154]
	v_add_f64 v[21:22], v[21:22], v[161:162]
	v_add_f64 v[5:6], v[5:6], v[77:78]
	s_clause 0x1
	buffer_load_dword v78, off, s[0:3], 0 offset:756
	buffer_load_dword v77, off, s[0:3], 0 offset:752
	ds_read_b128 v[17:20], v16 offset:1296
	s_waitcnt vmcnt(55) lgkmcnt(1)
	v_mul_f64 v[165:166], v[3:4], v[173:174]
	v_mul_f64 v[161:162], v[1:2], v[173:174]
	s_waitcnt vmcnt(53)
	v_fma_f64 v[167:168], v[12:13], v[169:170], -v[167:168]
	v_add_f64 v[21:22], v[21:22], v[157:158]
	v_fma_f64 v[157:158], v[14:15], v[169:170], v[163:164]
	v_add_f64 v[5:6], v[5:6], v[153:154]
	ds_read_b128 v[12:15], v16 offset:1312
	s_waitcnt vmcnt(49) lgkmcnt(1)
	v_mul_f64 v[153:154], v[17:18], v[23:24]
	v_mul_f64 v[23:24], v[19:20], v[23:24]
	s_waitcnt vmcnt(48)
	v_fma_f64 v[163:164], v[1:2], v[175:176], -v[165:166]
	v_fma_f64 v[161:162], v[3:4], v[175:176], v[161:162]
	v_add_f64 v[21:22], v[21:22], v[167:168]
	s_waitcnt vmcnt(47) lgkmcnt(0)
	v_mul_f64 v[169:170], v[14:15], v[177:178]
	v_add_f64 v[5:6], v[5:6], v[157:158]
	s_clause 0x3
	buffer_load_dword v157, off, s[0:3], 0 offset:272
	buffer_load_dword v158, off, s[0:3], 0 offset:276
	buffer_load_dword v165, off, s[0:3], 0 offset:280
	buffer_load_dword v166, off, s[0:3], 0 offset:284
	ds_read_b128 v[1:4], v16 offset:1328
	s_waitcnt vmcnt(49)
	v_fma_f64 v[23:24], v[17:18], v[45:46], -v[23:24]
	v_mul_f64 v[167:168], v[12:13], v[177:178]
	v_fma_f64 v[45:46], v[19:20], v[45:46], v[153:154]
	ds_read_b128 v[17:20], v16 offset:1344
	v_add_f64 v[21:22], v[21:22], v[163:164]
	v_add_f64 v[5:6], v[5:6], v[161:162]
	s_waitcnt vmcnt(45) lgkmcnt(1)
	v_mul_f64 v[153:154], v[1:2], v[33:34]
	v_mul_f64 v[33:34], v[3:4], v[33:34]
	s_waitcnt vmcnt(44)
	v_fma_f64 v[161:162], v[12:13], v[182:183], -v[169:170]
	v_add_f64 v[21:22], v[21:22], v[23:24]
	v_fma_f64 v[23:24], v[14:15], v[182:183], v[167:168]
	v_add_f64 v[5:6], v[5:6], v[45:46]
	ds_read_b128 v[12:15], v16 offset:1360
	s_waitcnt vmcnt(43) lgkmcnt(1)
	v_mul_f64 v[45:46], v[17:18], v[47:48]
	v_mul_f64 v[47:48], v[19:20], v[47:48]
	s_waitcnt vmcnt(41)
	v_fma_f64 v[33:34], v[1:2], v[31:32], -v[33:34]
	v_fma_f64 v[31:32], v[3:4], v[31:32], v[153:154]
	ds_read_b128 v[1:4], v16 offset:1376
	v_add_f64 v[21:22], v[21:22], v[161:162]
	v_add_f64 v[5:6], v[5:6], v[23:24]
	s_waitcnt vmcnt(37) lgkmcnt(1)
	v_mul_f64 v[23:24], v[12:13], v[35:36]
	v_mul_f64 v[35:36], v[14:15], v[35:36]
	s_waitcnt vmcnt(36)
	v_fma_f64 v[47:48], v[17:18], v[184:185], -v[47:48]
	v_add_f64 v[21:22], v[21:22], v[33:34]
	v_fma_f64 v[33:34], v[19:20], v[184:185], v[45:46]
	v_add_f64 v[5:6], v[5:6], v[31:32]
	ds_read_b128 v[17:20], v16 offset:1392
	s_waitcnt vmcnt(35) lgkmcnt(1)
	v_mul_f64 v[45:46], v[3:4], v[59:60]
	v_mul_f64 v[31:32], v[1:2], v[59:60]
	s_waitcnt vmcnt(33)
	v_fma_f64 v[35:36], v[12:13], v[37:38], -v[35:36]
	v_fma_f64 v[23:24], v[14:15], v[37:38], v[23:24]
	ds_read_b128 v[12:15], v16 offset:1408
	v_add_f64 v[21:22], v[21:22], v[47:48]
	v_add_f64 v[5:6], v[5:6], v[33:34]
	s_waitcnt vmcnt(29) lgkmcnt(1)
	v_mul_f64 v[33:34], v[17:18], v[39:40]
	v_mul_f64 v[37:38], v[19:20], v[39:40]
	s_waitcnt vmcnt(28)
	v_fma_f64 v[39:40], v[1:2], v[179:180], -v[45:46]
	v_fma_f64 v[31:32], v[3:4], v[179:180], v[31:32]
	ds_read_b128 v[1:4], v16 offset:1424
	v_add_f64 v[21:22], v[21:22], v[35:36]
	v_add_f64 v[5:6], v[5:6], v[23:24]
	;; [unrolled: 9-line block ×3, first 2 shown]
	s_waitcnt vmcnt(21) lgkmcnt(1)
	v_mul_f64 v[39:40], v[3:4], v[49:50]
	s_waitcnt vmcnt(20)
	v_fma_f64 v[35:36], v[12:13], v[67:68], -v[35:36]
	v_mul_f64 v[31:32], v[1:2], v[49:50]
	v_fma_f64 v[23:24], v[14:15], v[67:68], v[23:24]
	ds_read_b128 v[12:15], v16 offset:1456
	v_add_f64 v[21:22], v[21:22], v[37:38]
	v_add_f64 v[5:6], v[5:6], v[33:34]
	s_waitcnt vmcnt(19) lgkmcnt(1)
	v_mul_f64 v[37:38], v[19:20], v[75:76]
	v_mul_f64 v[33:34], v[17:18], v[75:76]
	s_waitcnt vmcnt(17)
	v_fma_f64 v[39:40], v[1:2], v[57:58], -v[39:40]
	v_fma_f64 v[31:32], v[3:4], v[57:58], v[31:32]
	ds_read_b128 v[1:4], v16 offset:1472
	v_add_f64 v[21:22], v[21:22], v[35:36]
	v_add_f64 v[5:6], v[5:6], v[23:24]
	s_waitcnt vmcnt(13) lgkmcnt(1)
	v_mul_f64 v[35:36], v[14:15], v[61:62]
	s_waitcnt vmcnt(12)
	v_fma_f64 v[37:38], v[17:18], v[79:80], -v[37:38]
	v_mul_f64 v[23:24], v[12:13], v[61:62]
	v_fma_f64 v[33:34], v[19:20], v[79:80], v[33:34]
	ds_read_b128 v[16:19], v16 offset:1488
	v_add_f64 v[21:22], v[21:22], v[39:40]
	v_add_f64 v[5:6], v[5:6], v[31:32]
	s_waitcnt vmcnt(11) lgkmcnt(1)
	v_mul_f64 v[39:40], v[3:4], v[155:156]
	v_mul_f64 v[31:32], v[1:2], v[155:156]
	s_waitcnt vmcnt(9)
	v_fma_f64 v[12:13], v[12:13], v[65:66], -v[35:36]
	v_fma_f64 v[14:15], v[14:15], v[65:66], v[23:24]
	v_add_f64 v[20:21], v[21:22], v[37:38]
	v_add_f64 v[5:6], v[5:6], v[33:34]
	s_waitcnt vmcnt(7) lgkmcnt(0)
	v_mul_f64 v[33:34], v[18:19], v[73:74]
	s_waitcnt vmcnt(6)
	v_fma_f64 v[1:2], v[1:2], v[159:160], -v[39:40]
	v_mul_f64 v[22:23], v[16:17], v[73:74]
	v_fma_f64 v[3:4], v[3:4], v[159:160], v[31:32]
	v_add_f64 v[12:13], v[20:21], v[12:13]
	v_add_f64 v[5:6], v[5:6], v[14:15]
	s_waitcnt vmcnt(4)
	v_fma_f64 v[14:15], v[16:17], v[77:78], -v[33:34]
	v_add_f64 v[1:2], v[12:13], v[1:2]
	v_fma_f64 v[12:13], v[18:19], v[77:78], v[22:23]
	v_add_f64 v[3:4], v[5:6], v[3:4]
	v_add_f64 v[1:2], v[1:2], v[14:15]
	;; [unrolled: 1-line block ×3, first 2 shown]
	s_waitcnt vmcnt(2)
	v_add_f64 v[1:2], v[157:158], -v[1:2]
	s_waitcnt vmcnt(0)
	v_add_f64 v[3:4], v[165:166], -v[3:4]
	buffer_store_dword v2, off, s[0:3], 0 offset:276
	buffer_store_dword v1, off, s[0:3], 0 offset:272
	;; [unrolled: 1-line block ×4, first 2 shown]
	v_cmpx_lt_u32_e32 15, v0
	s_cbranch_execz .LBB46_265
; %bb.264:
	v_mov_b32_e32 v4, s45
	v_mov_b32_e32 v5, 0
	s_clause 0x3
	buffer_load_dword v1, v4, s[0:3], 0 offen
	buffer_load_dword v2, v4, s[0:3], 0 offen offset:4
	buffer_load_dword v3, v4, s[0:3], 0 offen offset:8
	;; [unrolled: 1-line block ×3, first 2 shown]
	buffer_store_dword v5, off, s[0:3], 0 offset:256
	buffer_store_dword v5, off, s[0:3], 0 offset:260
	;; [unrolled: 1-line block ×4, first 2 shown]
	s_waitcnt vmcnt(0)
	ds_write_b128 v7, v[1:4]
.LBB46_265:
	s_or_b32 exec_lo, exec_lo, s4
	s_waitcnt lgkmcnt(0)
	s_waitcnt_vscnt null, 0x0
	s_barrier
	buffer_gl0_inv
	s_clause 0x37
	buffer_load_dword v14, off, s[0:3], 0 offset:280
	buffer_load_dword v15, off, s[0:3], 0 offset:284
	;; [unrolled: 1-line block ×56, first 2 shown]
	v_mov_b32_e32 v24, 0
	s_mov_b32 s4, exec_lo
	ds_read_b128 v[31:34], v24 offset:1008
	s_clause 0x2
	buffer_load_dword v164, off, s[0:3], 0 offset:508
	buffer_load_dword v168, off, s[0:3], 0 offset:484
	;; [unrolled: 1-line block ×3, first 2 shown]
	ds_read_b128 v[35:38], v24 offset:1024
	s_clause 0x4
	buffer_load_dword v172, off, s[0:3], 0 offset:524
	buffer_load_dword v173, off, s[0:3], 0 offset:536
	;; [unrolled: 1-line block ×5, first 2 shown]
	ds_read_b128 v[45:48], v24 offset:1040
	s_waitcnt vmcnt(62) lgkmcnt(2)
	v_mul_f64 v[169:170], v[33:34], v[14:15]
	v_mul_f64 v[14:15], v[31:32], v[14:15]
	s_waitcnt vmcnt(60) lgkmcnt(1)
	v_mul_f64 v[176:177], v[37:38], v[5:6]
	v_mul_f64 v[5:6], v[35:36], v[5:6]
	;; [unrolled: 3-line block ×3, first 2 shown]
	v_fma_f64 v[31:32], v[31:32], v[12:13], -v[169:170]
	v_fma_f64 v[33:34], v[33:34], v[12:13], v[14:15]
	s_clause 0x2
	buffer_load_dword v174, off, s[0:3], 0 offset:540
	buffer_load_dword v170, off, s[0:3], 0 offset:516
	buffer_load_dword v169, off, s[0:3], 0 offset:512
	s_waitcnt vmcnt(57)
	v_fma_f64 v[35:36], v[35:36], v[1:2], -v[176:177]
	ds_read_b128 v[12:15], v24 offset:1056
	v_fma_f64 v[5:6], v[37:38], v[1:2], v[5:6]
	s_clause 0x4
	buffer_load_dword v38, off, s[0:3], 0 offset:556
	buffer_load_dword v177, off, s[0:3], 0 offset:568
	;; [unrolled: 1-line block ×5, first 2 shown]
	s_waitcnt vmcnt(56)
	v_fma_f64 v[45:46], v[45:46], v[39:40], -v[180:181]
	ds_read_b128 v[1:4], v24 offset:1072
	v_fma_f64 v[39:40], v[47:48], v[39:40], v[178:179]
	s_clause 0x2
	buffer_load_dword v178, off, s[0:3], 0 offset:572
	buffer_load_dword v48, off, s[0:3], 0 offset:548
	;; [unrolled: 1-line block ×3, first 2 shown]
	v_add_f64 v[31:32], v[31:32], 0
	v_add_f64 v[33:34], v[33:34], 0
	s_waitcnt lgkmcnt(1)
	v_mul_f64 v[183:184], v[12:13], v[18:19]
	v_mul_f64 v[18:19], v[14:15], v[18:19]
	s_waitcnt vmcnt(58) lgkmcnt(0)
	v_mul_f64 v[179:180], v[1:2], v[22:23]
	v_mul_f64 v[22:23], v[3:4], v[22:23]
	v_add_f64 v[35:36], v[31:32], v[35:36]
	v_add_f64 v[5:6], v[33:34], v[5:6]
	ds_read_b128 v[31:34], v24 offset:1088
	s_waitcnt vmcnt(56)
	v_fma_f64 v[18:19], v[12:13], v[49:50], -v[18:19]
	s_waitcnt vmcnt(51)
	v_fma_f64 v[22:23], v[1:2], v[16:17], -v[22:23]
	v_fma_f64 v[16:17], v[3:4], v[16:17], v[179:180]
	s_waitcnt lgkmcnt(0)
	v_mul_f64 v[185:186], v[31:32], v[51:52]
	v_add_f64 v[35:36], v[35:36], v[45:46]
	v_fma_f64 v[45:46], v[14:15], v[49:50], v[183:184]
	v_add_f64 v[5:6], v[5:6], v[39:40]
	s_clause 0x4
	buffer_load_dword v40, off, s[0:3], 0 offset:588
	buffer_load_dword v49, off, s[0:3], 0 offset:600
	;; [unrolled: 1-line block ×5, first 2 shown]
	v_mul_f64 v[51:52], v[33:34], v[51:52]
	ds_read_b128 v[12:15], v24 offset:1104
	s_waitcnt vmcnt(53)
	v_fma_f64 v[33:34], v[33:34], v[59:60], v[185:186]
	v_add_f64 v[18:19], v[35:36], v[18:19]
	s_clause 0x2
	buffer_load_dword v50, off, s[0:3], 0 offset:604
	buffer_load_dword v36, off, s[0:3], 0 offset:580
	;; [unrolled: 1-line block ×3, first 2 shown]
	v_add_f64 v[5:6], v[5:6], v[45:46]
	s_waitcnt lgkmcnt(0)
	v_mul_f64 v[45:46], v[12:13], v[57:58]
	v_mul_f64 v[57:58], v[14:15], v[57:58]
	v_fma_f64 v[31:32], v[31:32], v[59:60], -v[51:52]
	ds_read_b128 v[1:4], v24 offset:1120
	s_clause 0x4
	buffer_load_dword v52, off, s[0:3], 0 offset:620
	buffer_load_dword v59, off, s[0:3], 0 offset:632
	;; [unrolled: 1-line block ×5, first 2 shown]
	v_add_f64 v[22:23], v[18:19], v[22:23]
	v_add_f64 v[5:6], v[5:6], v[16:17]
	ds_read_b128 v[16:19], v24 offset:1136
	s_waitcnt vmcnt(57) lgkmcnt(1)
	v_mul_f64 v[180:181], v[1:2], v[61:62]
	v_mul_f64 v[61:62], v[3:4], v[61:62]
	s_waitcnt vmcnt(56)
	v_fma_f64 v[57:58], v[12:13], v[20:21], -v[57:58]
	v_fma_f64 v[20:21], v[14:15], v[20:21], v[45:46]
	v_add_f64 v[22:23], v[22:23], v[31:32]
	s_clause 0x2
	buffer_load_dword v60, off, s[0:3], 0 offset:636
	buffer_load_dword v32, off, s[0:3], 0 offset:612
	;; [unrolled: 1-line block ×3, first 2 shown]
	v_add_f64 v[5:6], v[5:6], v[33:34]
	s_waitcnt vmcnt(58) lgkmcnt(0)
	v_mul_f64 v[45:46], v[18:19], v[63:64]
	ds_read_b128 v[12:15], v24 offset:1152
	s_waitcnt vmcnt(56)
	v_fma_f64 v[61:62], v[1:2], v[67:68], -v[61:62]
	v_mul_f64 v[33:34], v[16:17], v[63:64]
	v_add_f64 v[22:23], v[22:23], v[57:58]
	v_fma_f64 v[57:58], v[3:4], v[67:68], v[180:181]
	v_add_f64 v[5:6], v[5:6], v[20:21]
	s_clause 0x4
	buffer_load_dword v21, off, s[0:3], 0 offset:652
	buffer_load_dword v63, off, s[0:3], 0 offset:664
	buffer_load_dword v67, off, s[0:3], 0 offset:656
	buffer_load_dword v20, off, s[0:3], 0 offset:648
	buffer_load_dword v180, off, s[0:3], 0 offset:628
	s_waitcnt vmcnt(57) lgkmcnt(0)
	v_mul_f64 v[186:187], v[12:13], v[73:74]
	v_mul_f64 v[73:74], v[14:15], v[73:74]
	s_waitcnt vmcnt(56)
	v_fma_f64 v[45:46], v[16:17], v[65:66], -v[45:46]
	ds_read_b128 v[1:4], v24 offset:1168
	v_fma_f64 v[33:34], v[18:19], v[65:66], v[33:34]
	v_add_f64 v[22:23], v[22:23], v[61:62]
	v_add_f64 v[5:6], v[5:6], v[57:58]
	s_clause 0x2
	buffer_load_dword v64, off, s[0:3], 0 offset:668
	buffer_load_dword v58, off, s[0:3], 0 offset:644
	buffer_load_dword v57, off, s[0:3], 0 offset:640
	ds_read_b128 v[16:19], v24 offset:1184
	s_waitcnt vmcnt(58) lgkmcnt(1)
	v_mul_f64 v[65:66], v[3:4], v[75:76]
	s_waitcnt vmcnt(56)
	v_fma_f64 v[73:74], v[12:13], v[79:80], -v[73:74]
	v_mul_f64 v[61:62], v[1:2], v[75:76]
	v_add_f64 v[22:23], v[22:23], v[45:46]
	v_fma_f64 v[45:46], v[14:15], v[79:80], v[186:187]
	v_add_f64 v[5:6], v[5:6], v[33:34]
	s_clause 0x4
	buffer_load_dword v34, off, s[0:3], 0 offset:684
	buffer_load_dword v75, off, s[0:3], 0 offset:696
	buffer_load_dword v79, off, s[0:3], 0 offset:688
	buffer_load_dword v33, off, s[0:3], 0 offset:680
	buffer_load_dword v68, off, s[0:3], 0 offset:660
	s_waitcnt vmcnt(57) lgkmcnt(0)
	v_mul_f64 v[186:187], v[16:17], v[153:154]
	v_mul_f64 v[153:154], v[18:19], v[153:154]
	s_waitcnt vmcnt(56)
	v_fma_f64 v[65:66], v[1:2], v[77:78], -v[65:66]
	ds_read_b128 v[12:15], v24 offset:1200
	v_fma_f64 v[61:62], v[3:4], v[77:78], v[61:62]
	v_add_f64 v[22:23], v[22:23], v[73:74]
	v_add_f64 v[5:6], v[5:6], v[45:46]
	s_clause 0x2
	buffer_load_dword v76, off, s[0:3], 0 offset:700
	buffer_load_dword v46, off, s[0:3], 0 offset:676
	buffer_load_dword v45, off, s[0:3], 0 offset:672
	ds_read_b128 v[1:4], v24 offset:1216
	s_waitcnt vmcnt(58) lgkmcnt(1)
	v_mul_f64 v[77:78], v[14:15], v[155:156]
	;; [unrolled: 28-line block ×3, first 2 shown]
	s_waitcnt vmcnt(56)
	v_fma_f64 v[161:162], v[1:2], v[167:168], -v[160:161]
	v_mul_f64 v[153:154], v[16:17], v[163:164]
	v_add_f64 v[22:23], v[22:23], v[77:78]
	v_fma_f64 v[77:78], v[3:4], v[167:168], v[186:187]
	v_add_f64 v[5:6], v[5:6], v[73:74]
	s_clause 0x4
	buffer_load_dword v74, off, s[0:3], 0 offset:748
	buffer_load_dword v163, off, s[0:3], 0 offset:760
	;; [unrolled: 1-line block ×5, first 2 shown]
	s_waitcnt vmcnt(57) lgkmcnt(0)
	v_mul_f64 v[186:187], v[12:13], v[171:172]
	v_mul_f64 v[171:172], v[14:15], v[171:172]
	s_waitcnt vmcnt(56)
	v_fma_f64 v[157:158], v[16:17], v[165:166], -v[157:158]
	ds_read_b128 v[1:4], v24 offset:1264
	v_fma_f64 v[153:154], v[18:19], v[165:166], v[153:154]
	v_add_f64 v[22:23], v[22:23], v[161:162]
	v_add_f64 v[5:6], v[5:6], v[77:78]
	s_clause 0x2
	buffer_load_dword v164, off, s[0:3], 0 offset:764
	buffer_load_dword v78, off, s[0:3], 0 offset:740
	;; [unrolled: 1-line block ×3, first 2 shown]
	ds_read_b128 v[16:19], v24 offset:1280
	buffer_load_dword v168, off, s[0:3], 0 offset:756
	s_waitcnt vmcnt(59) lgkmcnt(1)
	v_mul_f64 v[165:166], v[3:4], v[173:174]
	v_mul_f64 v[161:162], v[1:2], v[173:174]
	s_waitcnt vmcnt(57)
	v_fma_f64 v[171:172], v[12:13], v[169:170], -v[171:172]
	v_add_f64 v[22:23], v[22:23], v[157:158]
	v_fma_f64 v[157:158], v[14:15], v[169:170], v[186:187]
	v_add_f64 v[5:6], v[5:6], v[153:154]
	ds_read_b128 v[12:15], v24 offset:1296
	s_waitcnt vmcnt(53) lgkmcnt(1)
	v_mul_f64 v[153:154], v[16:17], v[37:38]
	v_mul_f64 v[37:38], v[18:19], v[37:38]
	s_waitcnt vmcnt(52)
	v_fma_f64 v[165:166], v[1:2], v[175:176], -v[165:166]
	v_fma_f64 v[161:162], v[3:4], v[175:176], v[161:162]
	ds_read_b128 v[1:4], v24 offset:1312
	v_add_f64 v[22:23], v[22:23], v[171:172]
	s_waitcnt vmcnt(51) lgkmcnt(1)
	v_mul_f64 v[169:170], v[14:15], v[177:178]
	v_add_f64 v[5:6], v[5:6], v[157:158]
	v_mul_f64 v[157:158], v[12:13], v[177:178]
	s_waitcnt vmcnt(49)
	v_fma_f64 v[37:38], v[16:17], v[47:48], -v[37:38]
	v_fma_f64 v[47:48], v[18:19], v[47:48], v[153:154]
	v_add_f64 v[22:23], v[22:23], v[165:166]
	v_add_f64 v[5:6], v[5:6], v[161:162]
	s_clause 0x3
	buffer_load_dword v153, off, s[0:3], 0 offset:256
	buffer_load_dword v154, off, s[0:3], 0 offset:260
	;; [unrolled: 1-line block ×4, first 2 shown]
	ds_read_b128 v[16:19], v24 offset:1328
	s_waitcnt vmcnt(49) lgkmcnt(1)
	v_mul_f64 v[165:166], v[1:2], v[39:40]
	v_mul_f64 v[39:40], v[3:4], v[39:40]
	s_waitcnt vmcnt(48)
	v_fma_f64 v[169:170], v[12:13], v[182:183], -v[169:170]
	v_add_f64 v[22:23], v[22:23], v[37:38]
	v_fma_f64 v[37:38], v[14:15], v[182:183], v[157:158]
	v_add_f64 v[5:6], v[5:6], v[47:48]
	ds_read_b128 v[12:15], v24 offset:1344
	s_waitcnt vmcnt(47) lgkmcnt(1)
	v_mul_f64 v[47:48], v[16:17], v[49:50]
	v_mul_f64 v[49:50], v[18:19], v[49:50]
	s_waitcnt vmcnt(45)
	v_fma_f64 v[39:40], v[1:2], v[35:36], -v[39:40]
	v_fma_f64 v[35:36], v[3:4], v[35:36], v[165:166]
	ds_read_b128 v[1:4], v24 offset:1360
	v_add_f64 v[22:23], v[22:23], v[169:170]
	v_add_f64 v[5:6], v[5:6], v[37:38]
	s_waitcnt vmcnt(41) lgkmcnt(1)
	v_mul_f64 v[37:38], v[12:13], v[51:52]
	v_mul_f64 v[51:52], v[14:15], v[51:52]
	s_waitcnt vmcnt(40)
	v_fma_f64 v[49:50], v[16:17], v[184:185], -v[49:50]
	v_add_f64 v[22:23], v[22:23], v[39:40]
	v_fma_f64 v[39:40], v[18:19], v[184:185], v[47:48]
	v_add_f64 v[5:6], v[5:6], v[35:36]
	ds_read_b128 v[16:19], v24 offset:1376
	s_waitcnt vmcnt(39) lgkmcnt(1)
	v_mul_f64 v[47:48], v[3:4], v[59:60]
	v_mul_f64 v[35:36], v[1:2], v[59:60]
	s_waitcnt vmcnt(37)
	v_fma_f64 v[51:52], v[12:13], v[31:32], -v[51:52]
	v_fma_f64 v[31:32], v[14:15], v[31:32], v[37:38]
	ds_read_b128 v[12:15], v24 offset:1392
	v_add_f64 v[22:23], v[22:23], v[49:50]
	v_add_f64 v[5:6], v[5:6], v[39:40]
	s_waitcnt vmcnt(33) lgkmcnt(1)
	v_mul_f64 v[37:38], v[16:17], v[20:21]
	v_mul_f64 v[20:21], v[18:19], v[20:21]
	s_waitcnt vmcnt(32)
	v_fma_f64 v[39:40], v[1:2], v[179:180], -v[47:48]
	v_fma_f64 v[35:36], v[3:4], v[179:180], v[35:36]
	ds_read_b128 v[1:4], v24 offset:1408
	v_add_f64 v[22:23], v[22:23], v[51:52]
	v_add_f64 v[5:6], v[5:6], v[31:32]
	;; [unrolled: 9-line block ×3, first 2 shown]
	s_waitcnt vmcnt(25) lgkmcnt(1)
	v_mul_f64 v[35:36], v[1:2], v[33:34]
	v_mul_f64 v[33:34], v[3:4], v[33:34]
	s_waitcnt vmcnt(24)
	v_fma_f64 v[39:40], v[12:13], v[67:68], -v[47:48]
	v_add_f64 v[20:21], v[22:23], v[20:21]
	v_fma_f64 v[22:23], v[14:15], v[67:68], v[31:32]
	v_add_f64 v[5:6], v[5:6], v[37:38]
	ds_read_b128 v[12:15], v24 offset:1440
	s_waitcnt vmcnt(23) lgkmcnt(1)
	v_mul_f64 v[37:38], v[18:19], v[75:76]
	v_mul_f64 v[31:32], v[16:17], v[75:76]
	s_waitcnt vmcnt(21)
	v_fma_f64 v[33:34], v[1:2], v[45:46], -v[33:34]
	v_fma_f64 v[35:36], v[3:4], v[45:46], v[35:36]
	ds_read_b128 v[1:4], v24 offset:1456
	v_add_f64 v[20:21], v[20:21], v[39:40]
	v_add_f64 v[5:6], v[5:6], v[22:23]
	s_waitcnt vmcnt(17) lgkmcnt(1)
	v_mul_f64 v[39:40], v[14:15], v[61:62]
	s_waitcnt vmcnt(16)
	v_fma_f64 v[37:38], v[16:17], v[79:80], -v[37:38]
	v_mul_f64 v[22:23], v[12:13], v[61:62]
	v_fma_f64 v[31:32], v[18:19], v[79:80], v[31:32]
	ds_read_b128 v[16:19], v24 offset:1472
	v_add_f64 v[20:21], v[20:21], v[33:34]
	v_add_f64 v[5:6], v[5:6], v[35:36]
	s_waitcnt vmcnt(15) lgkmcnt(1)
	v_mul_f64 v[35:36], v[3:4], v[155:156]
	v_mul_f64 v[33:34], v[1:2], v[155:156]
	s_waitcnt vmcnt(13)
	v_fma_f64 v[39:40], v[12:13], v[65:66], -v[39:40]
	v_fma_f64 v[22:23], v[14:15], v[65:66], v[22:23]
	ds_read_b128 v[12:15], v24 offset:1488
	v_add_f64 v[20:21], v[20:21], v[37:38]
	v_add_f64 v[5:6], v[5:6], v[31:32]
	s_waitcnt vmcnt(9) lgkmcnt(1)
	v_mul_f64 v[37:38], v[18:19], v[73:74]
	s_waitcnt vmcnt(8)
	v_fma_f64 v[1:2], v[1:2], v[159:160], -v[35:36]
	v_mul_f64 v[31:32], v[16:17], v[73:74]
	v_fma_f64 v[3:4], v[3:4], v[159:160], v[33:34]
	v_add_f64 v[20:21], v[20:21], v[39:40]
	v_add_f64 v[5:6], v[5:6], v[22:23]
	s_waitcnt vmcnt(7) lgkmcnt(0)
	v_mul_f64 v[33:34], v[14:15], v[163:164]
	v_mul_f64 v[22:23], v[12:13], v[163:164]
	s_waitcnt vmcnt(5)
	v_fma_f64 v[16:17], v[16:17], v[77:78], -v[37:38]
	v_fma_f64 v[18:19], v[18:19], v[77:78], v[31:32]
	v_add_f64 v[1:2], v[20:21], v[1:2]
	v_add_f64 v[3:4], v[5:6], v[3:4]
	s_waitcnt vmcnt(4)
	v_fma_f64 v[5:6], v[12:13], v[167:168], -v[33:34]
	v_fma_f64 v[12:13], v[14:15], v[167:168], v[22:23]
	v_add_f64 v[1:2], v[1:2], v[16:17]
	v_add_f64 v[3:4], v[3:4], v[18:19]
	;; [unrolled: 1-line block ×4, first 2 shown]
	s_waitcnt vmcnt(2)
	v_add_f64 v[1:2], v[153:154], -v[1:2]
	s_waitcnt vmcnt(0)
	v_add_f64 v[3:4], v[161:162], -v[3:4]
	buffer_store_dword v2, off, s[0:3], 0 offset:260
	buffer_store_dword v1, off, s[0:3], 0 offset:256
	buffer_store_dword v4, off, s[0:3], 0 offset:268
	buffer_store_dword v3, off, s[0:3], 0 offset:264
	v_cmpx_lt_u32_e32 14, v0
	s_cbranch_execz .LBB46_267
; %bb.266:
	v_mov_b32_e32 v4, s47
	s_clause 0x3
	buffer_load_dword v1, v4, s[0:3], 0 offen
	buffer_load_dword v2, v4, s[0:3], 0 offen offset:4
	buffer_load_dword v3, v4, s[0:3], 0 offen offset:8
	;; [unrolled: 1-line block ×3, first 2 shown]
	buffer_store_dword v24, off, s[0:3], 0 offset:240
	buffer_store_dword v24, off, s[0:3], 0 offset:244
	buffer_store_dword v24, off, s[0:3], 0 offset:248
	buffer_store_dword v24, off, s[0:3], 0 offset:252
	s_waitcnt vmcnt(0)
	ds_write_b128 v7, v[1:4]
.LBB46_267:
	s_or_b32 exec_lo, exec_lo, s4
	s_waitcnt lgkmcnt(0)
	s_waitcnt_vscnt null, 0x0
	s_barrier
	buffer_gl0_inv
	s_clause 0x37
	buffer_load_dword v14, off, s[0:3], 0 offset:264
	buffer_load_dword v15, off, s[0:3], 0 offset:268
	buffer_load_dword v5, off, s[0:3], 0 offset:280
	buffer_load_dword v6, off, s[0:3], 0 offset:284
	buffer_load_dword v12, off, s[0:3], 0 offset:256
	buffer_load_dword v13, off, s[0:3], 0 offset:260
	buffer_load_dword v3, off, s[0:3], 0 offset:296
	buffer_load_dword v4, off, s[0:3], 0 offset:300
	buffer_load_dword v1, off, s[0:3], 0 offset:272
	buffer_load_dword v2, off, s[0:3], 0 offset:276
	buffer_load_dword v19, off, s[0:3], 0 offset:316
	buffer_load_dword v22, off, s[0:3], 0 offset:328
	buffer_load_dword v16, off, s[0:3], 0 offset:320
	buffer_load_dword v18, off, s[0:3], 0 offset:312
	buffer_load_dword v37, off, s[0:3], 0 offset:288
	buffer_load_dword v38, off, s[0:3], 0 offset:292
	buffer_load_dword v23, off, s[0:3], 0 offset:332
	buffer_load_dword v32, off, s[0:3], 0 offset:308
	buffer_load_dword v31, off, s[0:3], 0 offset:304
	buffer_load_dword v34, off, s[0:3], 0 offset:348
	buffer_load_dword v39, off, s[0:3], 0 offset:360
	buffer_load_dword v20, off, s[0:3], 0 offset:352
	buffer_load_dword v33, off, s[0:3], 0 offset:344
	buffer_load_dword v17, off, s[0:3], 0 offset:324
	buffer_load_dword v40, off, s[0:3], 0 offset:364
	buffer_load_dword v62, off, s[0:3], 0 offset:340
	buffer_load_dword v61, off, s[0:3], 0 offset:336
	buffer_load_dword v64, off, s[0:3], 0 offset:380
	buffer_load_dword v65, off, s[0:3], 0 offset:392
	buffer_load_dword v35, off, s[0:3], 0 offset:384
	buffer_load_dword v63, off, s[0:3], 0 offset:376
	buffer_load_dword v21, off, s[0:3], 0 offset:356
	buffer_load_dword v66, off, s[0:3], 0 offset:396
	buffer_load_dword v68, off, s[0:3], 0 offset:372
	buffer_load_dword v67, off, s[0:3], 0 offset:368
	buffer_load_dword v74, off, s[0:3], 0 offset:412
	buffer_load_dword v75, off, s[0:3], 0 offset:424
	buffer_load_dword v77, off, s[0:3], 0 offset:416
	buffer_load_dword v73, off, s[0:3], 0 offset:408
	buffer_load_dword v36, off, s[0:3], 0 offset:388
	buffer_load_dword v76, off, s[0:3], 0 offset:428
	buffer_load_dword v80, off, s[0:3], 0 offset:404
	buffer_load_dword v79, off, s[0:3], 0 offset:400
	buffer_load_dword v154, off, s[0:3], 0 offset:444
	buffer_load_dword v155, off, s[0:3], 0 offset:456
	buffer_load_dword v157, off, s[0:3], 0 offset:448
	buffer_load_dword v153, off, s[0:3], 0 offset:440
	buffer_load_dword v78, off, s[0:3], 0 offset:420
	buffer_load_dword v156, off, s[0:3], 0 offset:460
	buffer_load_dword v160, off, s[0:3], 0 offset:436
	buffer_load_dword v159, off, s[0:3], 0 offset:432
	buffer_load_dword v162, off, s[0:3], 0 offset:476
	buffer_load_dword v163, off, s[0:3], 0 offset:488
	buffer_load_dword v165, off, s[0:3], 0 offset:480
	buffer_load_dword v161, off, s[0:3], 0 offset:472
	buffer_load_dword v158, off, s[0:3], 0 offset:452
	ds_read_b128 v[45:48], v24 offset:992
	s_clause 0x2
	buffer_load_dword v164, off, s[0:3], 0 offset:492
	buffer_load_dword v168, off, s[0:3], 0 offset:468
	;; [unrolled: 1-line block ×3, first 2 shown]
	ds_read_b128 v[49:52], v24 offset:1008
	s_clause 0x4
	buffer_load_dword v172, off, s[0:3], 0 offset:508
	buffer_load_dword v173, off, s[0:3], 0 offset:520
	;; [unrolled: 1-line block ×5, first 2 shown]
	ds_read_b128 v[57:60], v24 offset:1024
	s_mov_b32 s4, exec_lo
	s_waitcnt vmcnt(62) lgkmcnt(2)
	v_mul_f64 v[169:170], v[47:48], v[14:15]
	v_mul_f64 v[14:15], v[45:46], v[14:15]
	s_waitcnt vmcnt(60) lgkmcnt(1)
	v_mul_f64 v[176:177], v[51:52], v[5:6]
	v_mul_f64 v[5:6], v[49:50], v[5:6]
	;; [unrolled: 3-line block ×3, first 2 shown]
	v_fma_f64 v[45:46], v[45:46], v[12:13], -v[169:170]
	v_fma_f64 v[47:48], v[47:48], v[12:13], v[14:15]
	s_clause 0x2
	buffer_load_dword v174, off, s[0:3], 0 offset:524
	buffer_load_dword v170, off, s[0:3], 0 offset:500
	;; [unrolled: 1-line block ×3, first 2 shown]
	s_waitcnt vmcnt(57)
	v_fma_f64 v[49:50], v[49:50], v[1:2], -v[176:177]
	ds_read_b128 v[12:15], v24 offset:1040
	v_fma_f64 v[5:6], v[51:52], v[1:2], v[5:6]
	s_clause 0x4
	buffer_load_dword v52, off, s[0:3], 0 offset:540
	buffer_load_dword v177, off, s[0:3], 0 offset:552
	buffer_load_dword v182, off, s[0:3], 0 offset:544
	buffer_load_dword v51, off, s[0:3], 0 offset:536
	buffer_load_dword v176, off, s[0:3], 0 offset:516
	s_waitcnt vmcnt(56)
	v_fma_f64 v[57:58], v[57:58], v[37:38], -v[180:181]
	ds_read_b128 v[1:4], v24 offset:1056
	v_fma_f64 v[37:38], v[59:60], v[37:38], v[178:179]
	s_clause 0x2
	buffer_load_dword v178, off, s[0:3], 0 offset:556
	buffer_load_dword v60, off, s[0:3], 0 offset:532
	;; [unrolled: 1-line block ×3, first 2 shown]
	v_add_f64 v[45:46], v[45:46], 0
	v_add_f64 v[47:48], v[47:48], 0
	s_waitcnt lgkmcnt(1)
	v_mul_f64 v[183:184], v[12:13], v[18:19]
	v_mul_f64 v[18:19], v[14:15], v[18:19]
	s_waitcnt vmcnt(58) lgkmcnt(0)
	v_mul_f64 v[179:180], v[1:2], v[22:23]
	v_mul_f64 v[22:23], v[3:4], v[22:23]
	v_add_f64 v[49:50], v[45:46], v[49:50]
	v_add_f64 v[5:6], v[47:48], v[5:6]
	ds_read_b128 v[45:48], v24 offset:1072
	s_waitcnt vmcnt(56)
	v_fma_f64 v[18:19], v[12:13], v[31:32], -v[18:19]
	v_fma_f64 v[31:32], v[14:15], v[31:32], v[183:184]
	s_waitcnt vmcnt(51)
	v_fma_f64 v[22:23], v[1:2], v[16:17], -v[22:23]
	v_fma_f64 v[16:17], v[3:4], v[16:17], v[179:180]
	s_waitcnt lgkmcnt(0)
	v_mul_f64 v[185:186], v[45:46], v[33:34]
	v_add_f64 v[49:50], v[49:50], v[57:58]
	v_add_f64 v[5:6], v[5:6], v[37:38]
	s_clause 0x4
	buffer_load_dword v38, off, s[0:3], 0 offset:572
	buffer_load_dword v57, off, s[0:3], 0 offset:584
	;; [unrolled: 1-line block ×5, first 2 shown]
	v_mul_f64 v[33:34], v[47:48], v[33:34]
	ds_read_b128 v[12:15], v24 offset:1088
	v_add_f64 v[18:19], v[49:50], v[18:19]
	v_add_f64 v[5:6], v[5:6], v[31:32]
	s_clause 0x2
	buffer_load_dword v58, off, s[0:3], 0 offset:588
	buffer_load_dword v32, off, s[0:3], 0 offset:564
	buffer_load_dword v31, off, s[0:3], 0 offset:560
	s_waitcnt vmcnt(58) lgkmcnt(0)
	v_mul_f64 v[49:50], v[12:13], v[39:40]
	v_mul_f64 v[39:40], v[14:15], v[39:40]
	s_waitcnt vmcnt(56)
	v_fma_f64 v[33:34], v[45:46], v[61:62], -v[33:34]
	ds_read_b128 v[1:4], v24 offset:1104
	v_fma_f64 v[45:46], v[47:48], v[61:62], v[185:186]
	s_clause 0x4
	buffer_load_dword v48, off, s[0:3], 0 offset:604
	buffer_load_dword v61, off, s[0:3], 0 offset:616
	buffer_load_dword v179, off, s[0:3], 0 offset:608
	buffer_load_dword v47, off, s[0:3], 0 offset:600
	buffer_load_dword v185, off, s[0:3], 0 offset:580
	v_add_f64 v[22:23], v[18:19], v[22:23]
	v_add_f64 v[5:6], v[5:6], v[16:17]
	ds_read_b128 v[16:19], v24 offset:1120
	s_waitcnt vmcnt(57) lgkmcnt(1)
	v_mul_f64 v[180:181], v[1:2], v[63:64]
	v_mul_f64 v[63:64], v[3:4], v[63:64]
	s_waitcnt vmcnt(56)
	v_fma_f64 v[39:40], v[12:13], v[20:21], -v[39:40]
	v_fma_f64 v[20:21], v[14:15], v[20:21], v[49:50]
	s_waitcnt vmcnt(55) lgkmcnt(0)
	v_mul_f64 v[49:50], v[18:19], v[65:66]
	v_add_f64 v[22:23], v[22:23], v[33:34]
	v_add_f64 v[5:6], v[5:6], v[45:46]
	s_clause 0x2
	buffer_load_dword v62, off, s[0:3], 0 offset:620
	buffer_load_dword v34, off, s[0:3], 0 offset:596
	;; [unrolled: 1-line block ×3, first 2 shown]
	ds_read_b128 v[12:15], v24 offset:1136
	s_waitcnt vmcnt(56)
	v_fma_f64 v[63:64], v[1:2], v[67:68], -v[63:64]
	v_mul_f64 v[45:46], v[16:17], v[65:66]
	s_waitcnt vmcnt(51)
	v_fma_f64 v[49:50], v[16:17], v[35:36], -v[49:50]
	v_add_f64 v[22:23], v[22:23], v[39:40]
	v_fma_f64 v[39:40], v[3:4], v[67:68], v[180:181]
	v_add_f64 v[5:6], v[5:6], v[20:21]
	s_clause 0x4
	buffer_load_dword v21, off, s[0:3], 0 offset:636
	buffer_load_dword v65, off, s[0:3], 0 offset:648
	;; [unrolled: 1-line block ×5, first 2 shown]
	s_waitcnt lgkmcnt(0)
	v_mul_f64 v[186:187], v[12:13], v[73:74]
	v_mul_f64 v[73:74], v[14:15], v[73:74]
	ds_read_b128 v[1:4], v24 offset:1152
	v_fma_f64 v[35:36], v[18:19], v[35:36], v[45:46]
	v_add_f64 v[22:23], v[22:23], v[63:64]
	v_add_f64 v[5:6], v[5:6], v[39:40]
	s_clause 0x2
	buffer_load_dword v66, off, s[0:3], 0 offset:652
	buffer_load_dword v40, off, s[0:3], 0 offset:628
	buffer_load_dword v39, off, s[0:3], 0 offset:624
	s_waitcnt vmcnt(58) lgkmcnt(0)
	v_mul_f64 v[63:64], v[3:4], v[75:76]
	s_waitcnt vmcnt(56)
	v_fma_f64 v[73:74], v[12:13], v[79:80], -v[73:74]
	ds_read_b128 v[16:19], v24 offset:1168
	v_mul_f64 v[45:46], v[1:2], v[75:76]
	v_add_f64 v[22:23], v[22:23], v[49:50]
	v_fma_f64 v[49:50], v[14:15], v[79:80], v[186:187]
	v_add_f64 v[5:6], v[5:6], v[35:36]
	s_clause 0x4
	buffer_load_dword v36, off, s[0:3], 0 offset:668
	buffer_load_dword v75, off, s[0:3], 0 offset:680
	;; [unrolled: 1-line block ×5, first 2 shown]
	s_waitcnt vmcnt(57) lgkmcnt(0)
	v_mul_f64 v[186:187], v[16:17], v[153:154]
	v_mul_f64 v[153:154], v[18:19], v[153:154]
	s_waitcnt vmcnt(56)
	v_fma_f64 v[63:64], v[1:2], v[77:78], -v[63:64]
	ds_read_b128 v[12:15], v24 offset:1184
	v_fma_f64 v[45:46], v[3:4], v[77:78], v[45:46]
	v_add_f64 v[22:23], v[22:23], v[73:74]
	v_add_f64 v[5:6], v[5:6], v[49:50]
	s_clause 0x2
	buffer_load_dword v76, off, s[0:3], 0 offset:684
	buffer_load_dword v50, off, s[0:3], 0 offset:660
	;; [unrolled: 1-line block ×3, first 2 shown]
	ds_read_b128 v[1:4], v24 offset:1200
	s_waitcnt vmcnt(58) lgkmcnt(1)
	v_mul_f64 v[77:78], v[14:15], v[155:156]
	s_waitcnt vmcnt(56)
	v_fma_f64 v[153:154], v[16:17], v[159:160], -v[153:154]
	v_mul_f64 v[73:74], v[12:13], v[155:156]
	v_add_f64 v[22:23], v[22:23], v[63:64]
	v_fma_f64 v[63:64], v[18:19], v[159:160], v[186:187]
	v_add_f64 v[5:6], v[5:6], v[45:46]
	s_clause 0x4
	buffer_load_dword v46, off, s[0:3], 0 offset:700
	buffer_load_dword v155, off, s[0:3], 0 offset:712
	;; [unrolled: 1-line block ×5, first 2 shown]
	s_waitcnt vmcnt(57) lgkmcnt(0)
	v_mul_f64 v[186:187], v[1:2], v[161:162]
	v_mul_f64 v[160:161], v[3:4], v[161:162]
	s_waitcnt vmcnt(56)
	v_fma_f64 v[77:78], v[12:13], v[157:158], -v[77:78]
	ds_read_b128 v[16:19], v24 offset:1216
	v_fma_f64 v[73:74], v[14:15], v[157:158], v[73:74]
	v_add_f64 v[22:23], v[22:23], v[153:154]
	v_add_f64 v[5:6], v[5:6], v[63:64]
	s_clause 0x2
	buffer_load_dword v156, off, s[0:3], 0 offset:716
	buffer_load_dword v64, off, s[0:3], 0 offset:692
	;; [unrolled: 1-line block ×3, first 2 shown]
	ds_read_b128 v[12:15], v24 offset:1232
	s_waitcnt vmcnt(58) lgkmcnt(1)
	v_mul_f64 v[157:158], v[18:19], v[163:164]
	s_waitcnt vmcnt(56)
	v_fma_f64 v[161:162], v[1:2], v[167:168], -v[160:161]
	v_mul_f64 v[153:154], v[16:17], v[163:164]
	v_add_f64 v[22:23], v[22:23], v[77:78]
	v_fma_f64 v[77:78], v[3:4], v[167:168], v[186:187]
	v_add_f64 v[5:6], v[5:6], v[73:74]
	s_clause 0x4
	buffer_load_dword v74, off, s[0:3], 0 offset:732
	buffer_load_dword v163, off, s[0:3], 0 offset:744
	;; [unrolled: 1-line block ×5, first 2 shown]
	s_waitcnt vmcnt(57) lgkmcnt(0)
	v_mul_f64 v[186:187], v[12:13], v[171:172]
	v_mul_f64 v[171:172], v[14:15], v[171:172]
	s_waitcnt vmcnt(56)
	v_fma_f64 v[157:158], v[16:17], v[165:166], -v[157:158]
	ds_read_b128 v[1:4], v24 offset:1248
	v_fma_f64 v[153:154], v[18:19], v[165:166], v[153:154]
	v_add_f64 v[22:23], v[22:23], v[161:162]
	v_add_f64 v[5:6], v[5:6], v[77:78]
	s_clause 0x2
	buffer_load_dword v164, off, s[0:3], 0 offset:748
	buffer_load_dword v78, off, s[0:3], 0 offset:724
	;; [unrolled: 1-line block ×3, first 2 shown]
	ds_read_b128 v[16:19], v24 offset:1264
	s_waitcnt vmcnt(58) lgkmcnt(1)
	v_mul_f64 v[165:166], v[3:4], v[173:174]
	v_mul_f64 v[161:162], v[1:2], v[173:174]
	s_waitcnt vmcnt(56)
	v_fma_f64 v[171:172], v[12:13], v[169:170], -v[171:172]
	v_add_f64 v[22:23], v[22:23], v[157:158]
	v_fma_f64 v[157:158], v[14:15], v[169:170], v[186:187]
	v_add_f64 v[5:6], v[5:6], v[153:154]
	s_clause 0x2
	buffer_load_dword v154, off, s[0:3], 0 offset:764
	buffer_load_dword v153, off, s[0:3], 0 offset:760
	;; [unrolled: 1-line block ×3, first 2 shown]
	s_waitcnt vmcnt(55) lgkmcnt(0)
	v_mul_f64 v[169:170], v[16:17], v[51:52]
	v_mul_f64 v[51:52], v[18:19], v[51:52]
	ds_read_b128 v[12:15], v24 offset:1280
	s_waitcnt vmcnt(54)
	v_fma_f64 v[165:166], v[1:2], v[175:176], -v[165:166]
	v_fma_f64 v[161:162], v[3:4], v[175:176], v[161:162]
	v_add_f64 v[22:23], v[22:23], v[171:172]
	v_add_f64 v[5:6], v[5:6], v[157:158]
	s_clause 0x1
	buffer_load_dword v158, off, s[0:3], 0 offset:756
	buffer_load_dword v157, off, s[0:3], 0 offset:752
	s_waitcnt vmcnt(55) lgkmcnt(0)
	v_mul_f64 v[173:174], v[14:15], v[177:178]
	s_waitcnt vmcnt(53)
	v_fma_f64 v[51:52], v[16:17], v[59:60], -v[51:52]
	ds_read_b128 v[1:4], v24 offset:1296
	v_mul_f64 v[171:172], v[12:13], v[177:178]
	v_fma_f64 v[59:60], v[18:19], v[59:60], v[169:170]
	ds_read_b128 v[16:19], v24 offset:1312
	v_add_f64 v[22:23], v[22:23], v[165:166]
	v_add_f64 v[5:6], v[5:6], v[161:162]
	s_waitcnt vmcnt(49) lgkmcnt(1)
	v_mul_f64 v[161:162], v[1:2], v[37:38]
	v_mul_f64 v[37:38], v[3:4], v[37:38]
	s_waitcnt vmcnt(48)
	v_fma_f64 v[165:166], v[12:13], v[182:183], -v[173:174]
	v_add_f64 v[22:23], v[22:23], v[51:52]
	v_fma_f64 v[51:52], v[14:15], v[182:183], v[171:172]
	v_add_f64 v[5:6], v[5:6], v[59:60]
	s_clause 0x3
	buffer_load_dword v59, off, s[0:3], 0 offset:240
	buffer_load_dword v60, off, s[0:3], 0 offset:244
	;; [unrolled: 1-line block ×4, first 2 shown]
	ds_read_b128 v[12:15], v24 offset:1328
	s_waitcnt vmcnt(51) lgkmcnt(1)
	v_mul_f64 v[171:172], v[16:17], v[57:58]
	v_mul_f64 v[57:58], v[18:19], v[57:58]
	s_waitcnt vmcnt(49)
	v_fma_f64 v[37:38], v[1:2], v[31:32], -v[37:38]
	v_fma_f64 v[31:32], v[3:4], v[31:32], v[161:162]
	ds_read_b128 v[1:4], v24 offset:1344
	v_add_f64 v[22:23], v[22:23], v[165:166]
	v_add_f64 v[5:6], v[5:6], v[51:52]
	s_waitcnt vmcnt(45) lgkmcnt(1)
	v_mul_f64 v[51:52], v[12:13], v[47:48]
	v_mul_f64 v[47:48], v[14:15], v[47:48]
	s_waitcnt vmcnt(44)
	v_fma_f64 v[57:58], v[16:17], v[184:185], -v[57:58]
	v_add_f64 v[22:23], v[22:23], v[37:38]
	v_fma_f64 v[37:38], v[18:19], v[184:185], v[171:172]
	v_add_f64 v[5:6], v[5:6], v[31:32]
	ds_read_b128 v[16:19], v24 offset:1360
	s_waitcnt vmcnt(43) lgkmcnt(1)
	v_mul_f64 v[31:32], v[1:2], v[61:62]
	v_mul_f64 v[61:62], v[3:4], v[61:62]
	s_waitcnt vmcnt(41)
	v_fma_f64 v[47:48], v[12:13], v[33:34], -v[47:48]
	v_fma_f64 v[33:34], v[14:15], v[33:34], v[51:52]
	ds_read_b128 v[12:15], v24 offset:1376
	v_add_f64 v[22:23], v[22:23], v[57:58]
	v_add_f64 v[5:6], v[5:6], v[37:38]
	s_waitcnt vmcnt(37) lgkmcnt(1)
	v_mul_f64 v[37:38], v[16:17], v[20:21]
	v_mul_f64 v[20:21], v[18:19], v[20:21]
	s_waitcnt vmcnt(36)
	v_fma_f64 v[51:52], v[1:2], v[179:180], -v[61:62]
	v_fma_f64 v[31:32], v[3:4], v[179:180], v[31:32]
	ds_read_b128 v[1:4], v24 offset:1392
	v_add_f64 v[22:23], v[22:23], v[47:48]
	v_add_f64 v[5:6], v[5:6], v[33:34]
	;; [unrolled: 9-line block ×3, first 2 shown]
	s_waitcnt vmcnt(29) lgkmcnt(1)
	v_mul_f64 v[31:32], v[1:2], v[35:36]
	v_mul_f64 v[35:36], v[3:4], v[35:36]
	s_waitcnt vmcnt(28)
	v_fma_f64 v[39:40], v[12:13], v[67:68], -v[47:48]
	v_add_f64 v[20:21], v[22:23], v[20:21]
	v_fma_f64 v[22:23], v[14:15], v[67:68], v[33:34]
	v_add_f64 v[5:6], v[5:6], v[37:38]
	ds_read_b128 v[12:15], v24 offset:1424
	s_waitcnt vmcnt(27) lgkmcnt(1)
	v_mul_f64 v[37:38], v[18:19], v[75:76]
	v_mul_f64 v[33:34], v[16:17], v[75:76]
	s_waitcnt vmcnt(25)
	v_fma_f64 v[35:36], v[1:2], v[49:50], -v[35:36]
	v_fma_f64 v[31:32], v[3:4], v[49:50], v[31:32]
	ds_read_b128 v[1:4], v24 offset:1440
	v_add_f64 v[20:21], v[20:21], v[39:40]
	v_add_f64 v[5:6], v[5:6], v[22:23]
	s_waitcnt vmcnt(21) lgkmcnt(1)
	v_mul_f64 v[39:40], v[14:15], v[45:46]
	s_waitcnt vmcnt(20)
	v_fma_f64 v[37:38], v[16:17], v[79:80], -v[37:38]
	v_mul_f64 v[22:23], v[12:13], v[45:46]
	v_fma_f64 v[33:34], v[18:19], v[79:80], v[33:34]
	ds_read_b128 v[16:19], v24 offset:1456
	v_add_f64 v[20:21], v[20:21], v[35:36]
	v_add_f64 v[5:6], v[5:6], v[31:32]
	s_waitcnt vmcnt(19) lgkmcnt(1)
	v_mul_f64 v[35:36], v[3:4], v[155:156]
	v_mul_f64 v[31:32], v[1:2], v[155:156]
	s_waitcnt vmcnt(17)
	v_fma_f64 v[39:40], v[12:13], v[63:64], -v[39:40]
	v_fma_f64 v[22:23], v[14:15], v[63:64], v[22:23]
	ds_read_b128 v[12:15], v24 offset:1472
	v_add_f64 v[20:21], v[20:21], v[37:38]
	v_add_f64 v[5:6], v[5:6], v[33:34]
	s_waitcnt vmcnt(13) lgkmcnt(1)
	v_mul_f64 v[37:38], v[18:19], v[73:74]
	s_waitcnt vmcnt(12)
	v_fma_f64 v[35:36], v[1:2], v[159:160], -v[35:36]
	v_mul_f64 v[33:34], v[16:17], v[73:74]
	v_fma_f64 v[31:32], v[3:4], v[159:160], v[31:32]
	ds_read_b128 v[1:4], v24 offset:1488
	v_add_f64 v[20:21], v[20:21], v[39:40]
	v_add_f64 v[5:6], v[5:6], v[22:23]
	s_waitcnt vmcnt(11) lgkmcnt(1)
	v_mul_f64 v[39:40], v[14:15], v[163:164]
	v_mul_f64 v[22:23], v[12:13], v[163:164]
	s_waitcnt vmcnt(9)
	v_fma_f64 v[16:17], v[16:17], v[77:78], -v[37:38]
	v_fma_f64 v[18:19], v[18:19], v[77:78], v[33:34]
	v_add_f64 v[20:21], v[20:21], v[35:36]
	v_add_f64 v[5:6], v[5:6], v[31:32]
	s_waitcnt vmcnt(7) lgkmcnt(0)
	v_mul_f64 v[33:34], v[3:4], v[153:154]
	s_waitcnt vmcnt(6)
	v_fma_f64 v[12:13], v[12:13], v[167:168], -v[39:40]
	v_mul_f64 v[31:32], v[1:2], v[153:154]
	v_fma_f64 v[14:15], v[14:15], v[167:168], v[22:23]
	v_add_f64 v[16:17], v[20:21], v[16:17]
	v_add_f64 v[5:6], v[5:6], v[18:19]
	s_waitcnt vmcnt(4)
	v_fma_f64 v[1:2], v[1:2], v[157:158], -v[33:34]
	v_fma_f64 v[3:4], v[3:4], v[157:158], v[31:32]
	v_add_f64 v[12:13], v[16:17], v[12:13]
	v_add_f64 v[5:6], v[5:6], v[14:15]
	;; [unrolled: 1-line block ×4, first 2 shown]
	s_waitcnt vmcnt(2)
	v_add_f64 v[1:2], v[59:60], -v[1:2]
	s_waitcnt vmcnt(0)
	v_add_f64 v[3:4], v[169:170], -v[3:4]
	buffer_store_dword v2, off, s[0:3], 0 offset:244
	buffer_store_dword v1, off, s[0:3], 0 offset:240
	;; [unrolled: 1-line block ×4, first 2 shown]
	v_cmpx_lt_u32_e32 13, v0
	s_cbranch_execz .LBB46_269
; %bb.268:
	v_mov_b32_e32 v4, s49
	v_mov_b32_e32 v5, 0
	s_clause 0x3
	buffer_load_dword v1, v4, s[0:3], 0 offen
	buffer_load_dword v2, v4, s[0:3], 0 offen offset:4
	buffer_load_dword v3, v4, s[0:3], 0 offen offset:8
	;; [unrolled: 1-line block ×3, first 2 shown]
	buffer_store_dword v5, off, s[0:3], 0 offset:224
	buffer_store_dword v5, off, s[0:3], 0 offset:228
	;; [unrolled: 1-line block ×4, first 2 shown]
	s_waitcnt vmcnt(0)
	ds_write_b128 v7, v[1:4]
.LBB46_269:
	s_or_b32 exec_lo, exec_lo, s4
	s_waitcnt lgkmcnt(0)
	s_waitcnt_vscnt null, 0x0
	s_barrier
	buffer_gl0_inv
	s_clause 0x37
	buffer_load_dword v14, off, s[0:3], 0 offset:248
	buffer_load_dword v15, off, s[0:3], 0 offset:252
	;; [unrolled: 1-line block ×56, first 2 shown]
	v_mov_b32_e32 v24, 0
	s_mov_b32 s4, exec_lo
	ds_read_b128 v[59:62], v24 offset:976
	s_clause 0x2
	buffer_load_dword v164, off, s[0:3], 0 offset:476
	buffer_load_dword v168, off, s[0:3], 0 offset:452
	;; [unrolled: 1-line block ×3, first 2 shown]
	ds_read_b128 v[63:66], v24 offset:992
	s_clause 0x4
	buffer_load_dword v172, off, s[0:3], 0 offset:492
	buffer_load_dword v173, off, s[0:3], 0 offset:504
	;; [unrolled: 1-line block ×5, first 2 shown]
	ds_read_b128 v[73:76], v24 offset:1008
	s_waitcnt vmcnt(62) lgkmcnt(2)
	v_mul_f64 v[169:170], v[61:62], v[14:15]
	v_mul_f64 v[14:15], v[59:60], v[14:15]
	s_waitcnt vmcnt(60) lgkmcnt(1)
	v_mul_f64 v[176:177], v[65:66], v[5:6]
	v_mul_f64 v[5:6], v[63:64], v[5:6]
	;; [unrolled: 3-line block ×3, first 2 shown]
	v_fma_f64 v[59:60], v[59:60], v[12:13], -v[169:170]
	v_fma_f64 v[61:62], v[61:62], v[12:13], v[14:15]
	s_clause 0x2
	buffer_load_dword v174, off, s[0:3], 0 offset:508
	buffer_load_dword v170, off, s[0:3], 0 offset:484
	;; [unrolled: 1-line block ×3, first 2 shown]
	s_waitcnt vmcnt(57)
	v_fma_f64 v[63:64], v[63:64], v[1:2], -v[176:177]
	ds_read_b128 v[12:15], v24 offset:1024
	v_fma_f64 v[5:6], v[65:66], v[1:2], v[5:6]
	s_clause 0x4
	buffer_load_dword v66, off, s[0:3], 0 offset:524
	buffer_load_dword v177, off, s[0:3], 0 offset:536
	;; [unrolled: 1-line block ×5, first 2 shown]
	s_waitcnt vmcnt(56)
	v_fma_f64 v[73:74], v[73:74], v[37:38], -v[180:181]
	ds_read_b128 v[1:4], v24 offset:1040
	v_fma_f64 v[37:38], v[75:76], v[37:38], v[178:179]
	s_clause 0x2
	buffer_load_dword v178, off, s[0:3], 0 offset:540
	buffer_load_dword v76, off, s[0:3], 0 offset:516
	;; [unrolled: 1-line block ×3, first 2 shown]
	v_add_f64 v[59:60], v[59:60], 0
	v_add_f64 v[61:62], v[61:62], 0
	s_waitcnt lgkmcnt(1)
	v_mul_f64 v[183:184], v[12:13], v[18:19]
	v_mul_f64 v[18:19], v[14:15], v[18:19]
	s_waitcnt vmcnt(58) lgkmcnt(0)
	v_mul_f64 v[179:180], v[1:2], v[22:23]
	v_mul_f64 v[22:23], v[3:4], v[22:23]
	v_add_f64 v[63:64], v[59:60], v[63:64]
	v_add_f64 v[5:6], v[61:62], v[5:6]
	ds_read_b128 v[59:62], v24 offset:1056
	s_waitcnt vmcnt(56)
	v_fma_f64 v[18:19], v[12:13], v[31:32], -v[18:19]
	v_fma_f64 v[31:32], v[14:15], v[31:32], v[183:184]
	s_waitcnt vmcnt(51)
	v_fma_f64 v[22:23], v[1:2], v[16:17], -v[22:23]
	v_fma_f64 v[16:17], v[3:4], v[16:17], v[179:180]
	s_waitcnt lgkmcnt(0)
	v_mul_f64 v[185:186], v[59:60], v[33:34]
	v_add_f64 v[63:64], v[63:64], v[73:74]
	v_add_f64 v[5:6], v[5:6], v[37:38]
	s_clause 0x4
	buffer_load_dword v38, off, s[0:3], 0 offset:556
	buffer_load_dword v73, off, s[0:3], 0 offset:568
	;; [unrolled: 1-line block ×5, first 2 shown]
	v_mul_f64 v[33:34], v[61:62], v[33:34]
	ds_read_b128 v[12:15], v24 offset:1072
	v_add_f64 v[18:19], v[63:64], v[18:19]
	v_add_f64 v[5:6], v[5:6], v[31:32]
	s_clause 0x2
	buffer_load_dword v74, off, s[0:3], 0 offset:572
	buffer_load_dword v32, off, s[0:3], 0 offset:548
	buffer_load_dword v31, off, s[0:3], 0 offset:544
	s_waitcnt vmcnt(58) lgkmcnt(0)
	v_mul_f64 v[63:64], v[12:13], v[39:40]
	v_mul_f64 v[39:40], v[14:15], v[39:40]
	s_waitcnt vmcnt(56)
	v_fma_f64 v[33:34], v[59:60], v[45:46], -v[33:34]
	ds_read_b128 v[1:4], v24 offset:1088
	v_fma_f64 v[45:46], v[61:62], v[45:46], v[185:186]
	s_clause 0x4
	buffer_load_dword v60, off, s[0:3], 0 offset:588
	buffer_load_dword v61, off, s[0:3], 0 offset:600
	;; [unrolled: 1-line block ×5, first 2 shown]
	v_add_f64 v[22:23], v[18:19], v[22:23]
	v_add_f64 v[5:6], v[5:6], v[16:17]
	ds_read_b128 v[16:19], v24 offset:1104
	s_waitcnt vmcnt(57) lgkmcnt(1)
	v_mul_f64 v[180:181], v[1:2], v[47:48]
	v_mul_f64 v[47:48], v[3:4], v[47:48]
	s_waitcnt vmcnt(56)
	v_fma_f64 v[39:40], v[12:13], v[20:21], -v[39:40]
	v_fma_f64 v[20:21], v[14:15], v[20:21], v[63:64]
	v_add_f64 v[22:23], v[22:23], v[33:34]
	v_add_f64 v[5:6], v[5:6], v[45:46]
	s_clause 0x2
	buffer_load_dword v62, off, s[0:3], 0 offset:604
	buffer_load_dword v34, off, s[0:3], 0 offset:580
	;; [unrolled: 1-line block ×3, first 2 shown]
	s_waitcnt vmcnt(58) lgkmcnt(0)
	v_mul_f64 v[45:46], v[16:17], v[51:52]
	v_mul_f64 v[51:52], v[18:19], v[51:52]
	s_waitcnt vmcnt(56)
	v_fma_f64 v[47:48], v[1:2], v[57:58], -v[47:48]
	ds_read_b128 v[12:15], v24 offset:1120
	v_add_f64 v[22:23], v[22:23], v[39:40]
	v_fma_f64 v[39:40], v[3:4], v[57:58], v[180:181]
	v_add_f64 v[5:6], v[5:6], v[20:21]
	s_clause 0x4
	buffer_load_dword v21, off, s[0:3], 0 offset:620
	buffer_load_dword v57, off, s[0:3], 0 offset:632
	buffer_load_dword v63, off, s[0:3], 0 offset:624
	buffer_load_dword v20, off, s[0:3], 0 offset:616
	buffer_load_dword v180, off, s[0:3], 0 offset:596
	s_waitcnt vmcnt(57) lgkmcnt(0)
	v_mul_f64 v[186:187], v[12:13], v[67:68]
	v_mul_f64 v[67:68], v[14:15], v[67:68]
	s_waitcnt vmcnt(56)
	v_fma_f64 v[51:52], v[16:17], v[35:36], -v[51:52]
	ds_read_b128 v[1:4], v24 offset:1136
	v_fma_f64 v[35:36], v[18:19], v[35:36], v[45:46]
	v_add_f64 v[22:23], v[22:23], v[47:48]
	v_add_f64 v[5:6], v[5:6], v[39:40]
	s_clause 0x2
	buffer_load_dword v58, off, s[0:3], 0 offset:636
	buffer_load_dword v40, off, s[0:3], 0 offset:612
	;; [unrolled: 1-line block ×3, first 2 shown]
	ds_read_b128 v[16:19], v24 offset:1152
	s_waitcnt vmcnt(58) lgkmcnt(1)
	v_mul_f64 v[47:48], v[3:4], v[77:78]
	s_waitcnt vmcnt(56)
	v_fma_f64 v[67:68], v[12:13], v[79:80], -v[67:68]
	v_mul_f64 v[45:46], v[1:2], v[77:78]
	v_add_f64 v[22:23], v[22:23], v[51:52]
	v_fma_f64 v[51:52], v[14:15], v[79:80], v[186:187]
	v_add_f64 v[5:6], v[5:6], v[35:36]
	s_clause 0x4
	buffer_load_dword v36, off, s[0:3], 0 offset:652
	buffer_load_dword v77, off, s[0:3], 0 offset:664
	;; [unrolled: 1-line block ×5, first 2 shown]
	s_waitcnt vmcnt(57) lgkmcnt(0)
	v_mul_f64 v[186:187], v[16:17], v[153:154]
	v_mul_f64 v[153:154], v[18:19], v[153:154]
	s_waitcnt vmcnt(56)
	v_fma_f64 v[47:48], v[1:2], v[49:50], -v[47:48]
	ds_read_b128 v[12:15], v24 offset:1168
	v_fma_f64 v[45:46], v[3:4], v[49:50], v[45:46]
	s_clause 0x2
	buffer_load_dword v78, off, s[0:3], 0 offset:668
	buffer_load_dword v50, off, s[0:3], 0 offset:644
	;; [unrolled: 1-line block ×3, first 2 shown]
	ds_read_b128 v[1:4], v24 offset:1184
	v_add_f64 v[22:23], v[22:23], v[67:68]
	v_add_f64 v[5:6], v[5:6], v[51:52]
	s_waitcnt vmcnt(58) lgkmcnt(1)
	v_mul_f64 v[67:68], v[14:15], v[155:156]
	s_waitcnt vmcnt(56)
	v_fma_f64 v[153:154], v[16:17], v[159:160], -v[153:154]
	v_mul_f64 v[51:52], v[12:13], v[155:156]
	v_add_f64 v[22:23], v[22:23], v[47:48]
	v_fma_f64 v[47:48], v[18:19], v[159:160], v[186:187]
	v_add_f64 v[5:6], v[5:6], v[45:46]
	s_clause 0x4
	buffer_load_dword v46, off, s[0:3], 0 offset:684
	buffer_load_dword v155, off, s[0:3], 0 offset:696
	;; [unrolled: 1-line block ×5, first 2 shown]
	s_waitcnt vmcnt(57) lgkmcnt(0)
	v_mul_f64 v[186:187], v[1:2], v[161:162]
	v_mul_f64 v[160:161], v[3:4], v[161:162]
	s_waitcnt vmcnt(56)
	v_fma_f64 v[67:68], v[12:13], v[157:158], -v[67:68]
	ds_read_b128 v[16:19], v24 offset:1200
	v_fma_f64 v[51:52], v[14:15], v[157:158], v[51:52]
	v_add_f64 v[22:23], v[22:23], v[153:154]
	v_add_f64 v[5:6], v[5:6], v[47:48]
	s_clause 0x2
	buffer_load_dword v156, off, s[0:3], 0 offset:700
	buffer_load_dword v48, off, s[0:3], 0 offset:676
	;; [unrolled: 1-line block ×3, first 2 shown]
	ds_read_b128 v[12:15], v24 offset:1216
	s_waitcnt vmcnt(58) lgkmcnt(1)
	v_mul_f64 v[157:158], v[18:19], v[163:164]
	s_waitcnt vmcnt(56)
	v_fma_f64 v[161:162], v[1:2], v[167:168], -v[160:161]
	v_mul_f64 v[153:154], v[16:17], v[163:164]
	v_add_f64 v[22:23], v[22:23], v[67:68]
	v_fma_f64 v[67:68], v[3:4], v[167:168], v[186:187]
	v_add_f64 v[5:6], v[5:6], v[51:52]
	s_clause 0x4
	buffer_load_dword v52, off, s[0:3], 0 offset:716
	buffer_load_dword v163, off, s[0:3], 0 offset:728
	;; [unrolled: 1-line block ×5, first 2 shown]
	s_waitcnt vmcnt(57) lgkmcnt(0)
	v_mul_f64 v[186:187], v[12:13], v[171:172]
	v_mul_f64 v[171:172], v[14:15], v[171:172]
	s_waitcnt vmcnt(56)
	v_fma_f64 v[157:158], v[16:17], v[165:166], -v[157:158]
	ds_read_b128 v[1:4], v24 offset:1232
	v_fma_f64 v[153:154], v[18:19], v[165:166], v[153:154]
	v_add_f64 v[22:23], v[22:23], v[161:162]
	v_add_f64 v[5:6], v[5:6], v[67:68]
	s_clause 0x2
	buffer_load_dword v164, off, s[0:3], 0 offset:732
	buffer_load_dword v68, off, s[0:3], 0 offset:708
	;; [unrolled: 1-line block ×3, first 2 shown]
	ds_read_b128 v[16:19], v24 offset:1248
	s_waitcnt vmcnt(58) lgkmcnt(1)
	v_mul_f64 v[165:166], v[3:4], v[173:174]
	v_mul_f64 v[161:162], v[1:2], v[173:174]
	s_waitcnt vmcnt(56)
	v_fma_f64 v[171:172], v[12:13], v[169:170], -v[171:172]
	v_add_f64 v[22:23], v[22:23], v[157:158]
	v_fma_f64 v[157:158], v[14:15], v[169:170], v[186:187]
	v_add_f64 v[5:6], v[5:6], v[153:154]
	s_clause 0x4
	buffer_load_dword v154, off, s[0:3], 0 offset:748
	buffer_load_dword v169, off, s[0:3], 0 offset:760
	;; [unrolled: 1-line block ×5, first 2 shown]
	s_waitcnt vmcnt(57) lgkmcnt(0)
	v_mul_f64 v[186:187], v[16:17], v[65:66]
	v_mul_f64 v[65:66], v[18:19], v[65:66]
	ds_read_b128 v[12:15], v24 offset:1264
	s_waitcnt vmcnt(56)
	v_fma_f64 v[165:166], v[1:2], v[175:176], -v[165:166]
	v_fma_f64 v[161:162], v[3:4], v[175:176], v[161:162]
	v_add_f64 v[22:23], v[22:23], v[171:172]
	v_add_f64 v[5:6], v[5:6], v[157:158]
	s_clause 0x2
	buffer_load_dword v170, off, s[0:3], 0 offset:764
	buffer_load_dword v158, off, s[0:3], 0 offset:740
	;; [unrolled: 1-line block ×3, first 2 shown]
	s_waitcnt vmcnt(58) lgkmcnt(0)
	v_mul_f64 v[175:176], v[14:15], v[177:178]
	s_waitcnt vmcnt(56)
	v_fma_f64 v[65:66], v[16:17], v[75:76], -v[65:66]
	ds_read_b128 v[1:4], v24 offset:1280
	v_mul_f64 v[171:172], v[12:13], v[177:178]
	v_fma_f64 v[75:76], v[18:19], v[75:76], v[186:187]
	buffer_load_dword v174, off, s[0:3], 0 offset:756
	ds_read_b128 v[16:19], v24 offset:1296
	v_add_f64 v[22:23], v[22:23], v[165:166]
	v_add_f64 v[5:6], v[5:6], v[161:162]
	s_waitcnt vmcnt(53) lgkmcnt(1)
	v_mul_f64 v[161:162], v[1:2], v[37:38]
	v_mul_f64 v[37:38], v[3:4], v[37:38]
	s_waitcnt vmcnt(52)
	v_fma_f64 v[165:166], v[12:13], v[182:183], -v[175:176]
	v_add_f64 v[22:23], v[22:23], v[65:66]
	v_fma_f64 v[65:66], v[14:15], v[182:183], v[171:172]
	v_add_f64 v[5:6], v[5:6], v[75:76]
	ds_read_b128 v[12:15], v24 offset:1312
	s_waitcnt vmcnt(51) lgkmcnt(1)
	v_mul_f64 v[75:76], v[16:17], v[73:74]
	v_mul_f64 v[73:74], v[18:19], v[73:74]
	s_waitcnt vmcnt(49)
	v_fma_f64 v[37:38], v[1:2], v[31:32], -v[37:38]
	v_fma_f64 v[31:32], v[3:4], v[31:32], v[161:162]
	v_add_f64 v[22:23], v[22:23], v[165:166]
	s_waitcnt vmcnt(45) lgkmcnt(0)
	v_mul_f64 v[165:166], v[12:13], v[59:60]
	v_add_f64 v[5:6], v[5:6], v[65:66]
	s_clause 0x3
	buffer_load_dword v65, off, s[0:3], 0 offset:224
	buffer_load_dword v66, off, s[0:3], 0 offset:228
	;; [unrolled: 1-line block ×4, first 2 shown]
	v_mul_f64 v[59:60], v[14:15], v[59:60]
	ds_read_b128 v[1:4], v24 offset:1328
	s_waitcnt vmcnt(48)
	v_fma_f64 v[73:74], v[16:17], v[184:185], -v[73:74]
	v_add_f64 v[22:23], v[22:23], v[37:38]
	v_fma_f64 v[37:38], v[18:19], v[184:185], v[75:76]
	v_add_f64 v[5:6], v[5:6], v[31:32]
	ds_read_b128 v[16:19], v24 offset:1344
	s_waitcnt vmcnt(47) lgkmcnt(1)
	v_mul_f64 v[31:32], v[1:2], v[61:62]
	v_mul_f64 v[61:62], v[3:4], v[61:62]
	s_waitcnt vmcnt(45)
	v_fma_f64 v[59:60], v[12:13], v[33:34], -v[59:60]
	v_fma_f64 v[33:34], v[14:15], v[33:34], v[165:166]
	ds_read_b128 v[12:15], v24 offset:1360
	v_add_f64 v[22:23], v[22:23], v[73:74]
	v_add_f64 v[5:6], v[5:6], v[37:38]
	s_waitcnt vmcnt(41) lgkmcnt(1)
	v_mul_f64 v[37:38], v[16:17], v[20:21]
	v_mul_f64 v[20:21], v[18:19], v[20:21]
	s_waitcnt vmcnt(40)
	v_fma_f64 v[61:62], v[1:2], v[179:180], -v[61:62]
	v_fma_f64 v[31:32], v[3:4], v[179:180], v[31:32]
	ds_read_b128 v[1:4], v24 offset:1376
	v_add_f64 v[22:23], v[22:23], v[59:60]
	v_add_f64 v[5:6], v[5:6], v[33:34]
	;; [unrolled: 9-line block ×3, first 2 shown]
	s_waitcnt vmcnt(33) lgkmcnt(1)
	v_mul_f64 v[31:32], v[1:2], v[35:36]
	v_mul_f64 v[35:36], v[3:4], v[35:36]
	s_waitcnt vmcnt(32)
	v_fma_f64 v[39:40], v[12:13], v[63:64], -v[57:58]
	v_add_f64 v[20:21], v[22:23], v[20:21]
	v_fma_f64 v[22:23], v[14:15], v[63:64], v[33:34]
	v_add_f64 v[5:6], v[5:6], v[37:38]
	ds_read_b128 v[12:15], v24 offset:1408
	s_waitcnt vmcnt(31) lgkmcnt(1)
	v_mul_f64 v[37:38], v[18:19], v[77:78]
	v_mul_f64 v[33:34], v[16:17], v[77:78]
	s_waitcnt vmcnt(29)
	v_fma_f64 v[31:32], v[3:4], v[49:50], v[31:32]
	v_fma_f64 v[35:36], v[1:2], v[49:50], -v[35:36]
	ds_read_b128 v[1:4], v24 offset:1424
	v_add_f64 v[20:21], v[20:21], v[39:40]
	v_add_f64 v[5:6], v[5:6], v[22:23]
	s_waitcnt vmcnt(25) lgkmcnt(1)
	v_mul_f64 v[39:40], v[14:15], v[45:46]
	s_waitcnt vmcnt(24)
	v_fma_f64 v[37:38], v[16:17], v[79:80], -v[37:38]
	v_mul_f64 v[22:23], v[12:13], v[45:46]
	v_fma_f64 v[33:34], v[18:19], v[79:80], v[33:34]
	ds_read_b128 v[16:19], v24 offset:1440
	v_add_f64 v[20:21], v[20:21], v[35:36]
	v_add_f64 v[5:6], v[5:6], v[31:32]
	s_waitcnt vmcnt(23) lgkmcnt(1)
	v_mul_f64 v[35:36], v[3:4], v[155:156]
	v_mul_f64 v[31:32], v[1:2], v[155:156]
	s_waitcnt vmcnt(21)
	v_fma_f64 v[39:40], v[12:13], v[47:48], -v[39:40]
	v_fma_f64 v[22:23], v[14:15], v[47:48], v[22:23]
	ds_read_b128 v[12:15], v24 offset:1456
	v_add_f64 v[20:21], v[20:21], v[37:38]
	v_add_f64 v[5:6], v[5:6], v[33:34]
	s_waitcnt vmcnt(17) lgkmcnt(1)
	v_mul_f64 v[37:38], v[18:19], v[51:52]
	s_waitcnt vmcnt(16)
	v_fma_f64 v[35:36], v[1:2], v[159:160], -v[35:36]
	v_mul_f64 v[33:34], v[16:17], v[51:52]
	v_fma_f64 v[31:32], v[3:4], v[159:160], v[31:32]
	ds_read_b128 v[1:4], v24 offset:1472
	v_add_f64 v[20:21], v[20:21], v[39:40]
	v_add_f64 v[5:6], v[5:6], v[22:23]
	s_waitcnt vmcnt(15) lgkmcnt(1)
	v_mul_f64 v[39:40], v[14:15], v[163:164]
	v_mul_f64 v[22:23], v[12:13], v[163:164]
	s_waitcnt vmcnt(13)
	v_fma_f64 v[37:38], v[16:17], v[67:68], -v[37:38]
	v_fma_f64 v[33:34], v[18:19], v[67:68], v[33:34]
	ds_read_b128 v[16:19], v24 offset:1488
	v_add_f64 v[20:21], v[20:21], v[35:36]
	v_add_f64 v[5:6], v[5:6], v[31:32]
	s_waitcnt vmcnt(9) lgkmcnt(1)
	v_mul_f64 v[35:36], v[3:4], v[153:154]
	s_waitcnt vmcnt(8)
	v_fma_f64 v[12:13], v[12:13], v[167:168], -v[39:40]
	v_mul_f64 v[31:32], v[1:2], v[153:154]
	v_fma_f64 v[14:15], v[14:15], v[167:168], v[22:23]
	v_add_f64 v[20:21], v[20:21], v[37:38]
	v_add_f64 v[5:6], v[5:6], v[33:34]
	s_waitcnt vmcnt(7) lgkmcnt(0)
	v_mul_f64 v[33:34], v[18:19], v[169:170]
	v_mul_f64 v[22:23], v[16:17], v[169:170]
	s_waitcnt vmcnt(5)
	v_fma_f64 v[1:2], v[1:2], v[157:158], -v[35:36]
	v_fma_f64 v[3:4], v[3:4], v[157:158], v[31:32]
	v_add_f64 v[12:13], v[20:21], v[12:13]
	v_add_f64 v[5:6], v[5:6], v[14:15]
	s_waitcnt vmcnt(4)
	v_fma_f64 v[14:15], v[16:17], v[173:174], -v[33:34]
	v_add_f64 v[1:2], v[12:13], v[1:2]
	v_fma_f64 v[12:13], v[18:19], v[173:174], v[22:23]
	v_add_f64 v[3:4], v[5:6], v[3:4]
	v_add_f64 v[1:2], v[1:2], v[14:15]
	;; [unrolled: 1-line block ×3, first 2 shown]
	s_waitcnt vmcnt(2)
	v_add_f64 v[1:2], v[65:66], -v[1:2]
	s_waitcnt vmcnt(0)
	v_add_f64 v[3:4], v[161:162], -v[3:4]
	buffer_store_dword v2, off, s[0:3], 0 offset:228
	buffer_store_dword v1, off, s[0:3], 0 offset:224
	;; [unrolled: 1-line block ×4, first 2 shown]
	v_cmpx_lt_u32_e32 12, v0
	s_cbranch_execz .LBB46_271
; %bb.270:
	v_mov_b32_e32 v4, s50
	s_clause 0x3
	buffer_load_dword v1, v4, s[0:3], 0 offen
	buffer_load_dword v2, v4, s[0:3], 0 offen offset:4
	buffer_load_dword v3, v4, s[0:3], 0 offen offset:8
	;; [unrolled: 1-line block ×3, first 2 shown]
	buffer_store_dword v24, off, s[0:3], 0 offset:208
	buffer_store_dword v24, off, s[0:3], 0 offset:212
	;; [unrolled: 1-line block ×4, first 2 shown]
	s_waitcnt vmcnt(0)
	ds_write_b128 v7, v[1:4]
.LBB46_271:
	s_or_b32 exec_lo, exec_lo, s4
	s_waitcnt lgkmcnt(0)
	s_waitcnt_vscnt null, 0x0
	s_barrier
	buffer_gl0_inv
	s_clause 0x37
	buffer_load_dword v14, off, s[0:3], 0 offset:232
	buffer_load_dword v15, off, s[0:3], 0 offset:236
	;; [unrolled: 1-line block ×56, first 2 shown]
	ds_read_b128 v[75:78], v24 offset:960
	s_clause 0x2
	buffer_load_dword v166, off, s[0:3], 0 offset:460
	buffer_load_dword v168, off, s[0:3], 0 offset:436
	buffer_load_dword v167, off, s[0:3], 0 offset:432
	ds_read_b128 v[153:156], v24 offset:976
	s_clause 0x4
	buffer_load_dword v172, off, s[0:3], 0 offset:476
	buffer_load_dword v173, off, s[0:3], 0 offset:488
	;; [unrolled: 1-line block ×5, first 2 shown]
	ds_read_b128 v[157:160], v24 offset:992
	s_mov_b32 s4, exec_lo
	s_waitcnt vmcnt(62) lgkmcnt(2)
	v_mul_f64 v[169:170], v[77:78], v[14:15]
	v_mul_f64 v[14:15], v[75:76], v[14:15]
	s_waitcnt vmcnt(60) lgkmcnt(1)
	v_mul_f64 v[176:177], v[155:156], v[5:6]
	v_mul_f64 v[5:6], v[153:154], v[5:6]
	;; [unrolled: 3-line block ×3, first 2 shown]
	v_fma_f64 v[75:76], v[75:76], v[12:13], -v[169:170]
	v_fma_f64 v[77:78], v[77:78], v[12:13], v[14:15]
	s_clause 0x2
	buffer_load_dword v174, off, s[0:3], 0 offset:492
	buffer_load_dword v170, off, s[0:3], 0 offset:468
	buffer_load_dword v169, off, s[0:3], 0 offset:464
	s_waitcnt vmcnt(57)
	v_fma_f64 v[153:154], v[153:154], v[1:2], -v[176:177]
	ds_read_b128 v[12:15], v24 offset:1008
	v_fma_f64 v[5:6], v[155:156], v[1:2], v[5:6]
	s_clause 0x4
	buffer_load_dword v156, off, s[0:3], 0 offset:508
	buffer_load_dword v177, off, s[0:3], 0 offset:520
	;; [unrolled: 1-line block ×5, first 2 shown]
	s_waitcnt vmcnt(56)
	v_fma_f64 v[157:158], v[157:158], v[37:38], -v[180:181]
	ds_read_b128 v[1:4], v24 offset:1024
	v_fma_f64 v[37:38], v[159:160], v[37:38], v[178:179]
	s_clause 0x2
	buffer_load_dword v178, off, s[0:3], 0 offset:524
	buffer_load_dword v160, off, s[0:3], 0 offset:500
	;; [unrolled: 1-line block ×3, first 2 shown]
	v_add_f64 v[75:76], v[75:76], 0
	v_add_f64 v[77:78], v[77:78], 0
	s_waitcnt lgkmcnt(1)
	v_mul_f64 v[183:184], v[12:13], v[18:19]
	v_mul_f64 v[18:19], v[14:15], v[18:19]
	s_waitcnt vmcnt(58) lgkmcnt(0)
	v_mul_f64 v[179:180], v[1:2], v[22:23]
	v_mul_f64 v[22:23], v[3:4], v[22:23]
	v_add_f64 v[153:154], v[75:76], v[153:154]
	v_add_f64 v[5:6], v[77:78], v[5:6]
	ds_read_b128 v[75:78], v24 offset:1040
	s_waitcnt vmcnt(56)
	v_fma_f64 v[18:19], v[12:13], v[31:32], -v[18:19]
	v_fma_f64 v[31:32], v[14:15], v[31:32], v[183:184]
	s_waitcnt vmcnt(51)
	v_fma_f64 v[22:23], v[1:2], v[16:17], -v[22:23]
	v_fma_f64 v[16:17], v[3:4], v[16:17], v[179:180]
	s_waitcnt lgkmcnt(0)
	v_mul_f64 v[185:186], v[75:76], v[33:34]
	v_add_f64 v[153:154], v[153:154], v[157:158]
	v_add_f64 v[5:6], v[5:6], v[37:38]
	s_clause 0x4
	buffer_load_dword v38, off, s[0:3], 0 offset:540
	buffer_load_dword v157, off, s[0:3], 0 offset:552
	;; [unrolled: 1-line block ×5, first 2 shown]
	v_mul_f64 v[33:34], v[77:78], v[33:34]
	ds_read_b128 v[12:15], v24 offset:1056
	v_add_f64 v[18:19], v[153:154], v[18:19]
	v_add_f64 v[5:6], v[5:6], v[31:32]
	s_clause 0x2
	buffer_load_dword v158, off, s[0:3], 0 offset:556
	buffer_load_dword v32, off, s[0:3], 0 offset:532
	;; [unrolled: 1-line block ×3, first 2 shown]
	s_waitcnt vmcnt(58) lgkmcnt(0)
	v_mul_f64 v[153:154], v[12:13], v[39:40]
	v_mul_f64 v[39:40], v[14:15], v[39:40]
	s_waitcnt vmcnt(56)
	v_fma_f64 v[33:34], v[75:76], v[45:46], -v[33:34]
	ds_read_b128 v[1:4], v24 offset:1072
	v_fma_f64 v[45:46], v[77:78], v[45:46], v[185:186]
	s_clause 0x4
	buffer_load_dword v76, off, s[0:3], 0 offset:572
	buffer_load_dword v77, off, s[0:3], 0 offset:584
	buffer_load_dword v179, off, s[0:3], 0 offset:576
	buffer_load_dword v75, off, s[0:3], 0 offset:568
	buffer_load_dword v185, off, s[0:3], 0 offset:548
	v_add_f64 v[22:23], v[18:19], v[22:23]
	v_add_f64 v[5:6], v[5:6], v[16:17]
	ds_read_b128 v[16:19], v24 offset:1088
	s_waitcnt vmcnt(57) lgkmcnt(1)
	v_mul_f64 v[180:181], v[1:2], v[47:48]
	v_mul_f64 v[47:48], v[3:4], v[47:48]
	s_waitcnt vmcnt(56)
	v_fma_f64 v[39:40], v[12:13], v[20:21], -v[39:40]
	v_fma_f64 v[20:21], v[14:15], v[20:21], v[153:154]
	v_add_f64 v[22:23], v[22:23], v[33:34]
	v_add_f64 v[5:6], v[5:6], v[45:46]
	s_clause 0x2
	buffer_load_dword v78, off, s[0:3], 0 offset:588
	buffer_load_dword v34, off, s[0:3], 0 offset:564
	;; [unrolled: 1-line block ×3, first 2 shown]
	s_waitcnt vmcnt(58) lgkmcnt(0)
	v_mul_f64 v[45:46], v[16:17], v[51:52]
	v_mul_f64 v[51:52], v[18:19], v[51:52]
	s_waitcnt vmcnt(56)
	v_fma_f64 v[47:48], v[1:2], v[57:58], -v[47:48]
	ds_read_b128 v[12:15], v24 offset:1104
	v_add_f64 v[22:23], v[22:23], v[39:40]
	v_fma_f64 v[39:40], v[3:4], v[57:58], v[180:181]
	v_add_f64 v[5:6], v[5:6], v[20:21]
	s_clause 0x4
	buffer_load_dword v21, off, s[0:3], 0 offset:604
	buffer_load_dword v57, off, s[0:3], 0 offset:616
	;; [unrolled: 1-line block ×5, first 2 shown]
	s_waitcnt vmcnt(57) lgkmcnt(0)
	v_mul_f64 v[186:187], v[12:13], v[59:60]
	v_mul_f64 v[59:60], v[14:15], v[59:60]
	s_waitcnt vmcnt(56)
	v_fma_f64 v[51:52], v[16:17], v[35:36], -v[51:52]
	ds_read_b128 v[1:4], v24 offset:1120
	v_fma_f64 v[35:36], v[18:19], v[35:36], v[45:46]
	v_add_f64 v[22:23], v[22:23], v[47:48]
	v_add_f64 v[5:6], v[5:6], v[39:40]
	s_clause 0x2
	buffer_load_dword v58, off, s[0:3], 0 offset:620
	buffer_load_dword v40, off, s[0:3], 0 offset:596
	;; [unrolled: 1-line block ×3, first 2 shown]
	ds_read_b128 v[16:19], v24 offset:1136
	s_waitcnt vmcnt(58) lgkmcnt(1)
	v_mul_f64 v[47:48], v[3:4], v[63:64]
	s_waitcnt vmcnt(56)
	v_fma_f64 v[59:60], v[12:13], v[65:66], -v[59:60]
	v_mul_f64 v[45:46], v[1:2], v[63:64]
	v_add_f64 v[22:23], v[22:23], v[51:52]
	v_fma_f64 v[51:52], v[14:15], v[65:66], v[186:187]
	v_add_f64 v[5:6], v[5:6], v[35:36]
	s_clause 0x4
	buffer_load_dword v36, off, s[0:3], 0 offset:636
	buffer_load_dword v63, off, s[0:3], 0 offset:648
	;; [unrolled: 1-line block ×5, first 2 shown]
	s_waitcnt vmcnt(57) lgkmcnt(0)
	v_mul_f64 v[186:187], v[16:17], v[67:68]
	v_mul_f64 v[66:67], v[18:19], v[67:68]
	s_waitcnt vmcnt(56)
	v_fma_f64 v[47:48], v[1:2], v[49:50], -v[47:48]
	ds_read_b128 v[12:15], v24 offset:1152
	v_fma_f64 v[45:46], v[3:4], v[49:50], v[45:46]
	s_clause 0x2
	buffer_load_dword v64, off, s[0:3], 0 offset:652
	buffer_load_dword v50, off, s[0:3], 0 offset:628
	;; [unrolled: 1-line block ×3, first 2 shown]
	ds_read_b128 v[1:4], v24 offset:1168
	v_add_f64 v[22:23], v[22:23], v[59:60]
	v_add_f64 v[5:6], v[5:6], v[51:52]
	s_waitcnt vmcnt(58) lgkmcnt(1)
	v_mul_f64 v[59:60], v[14:15], v[79:80]
	s_waitcnt vmcnt(56)
	v_fma_f64 v[67:68], v[16:17], v[161:162], -v[66:67]
	v_mul_f64 v[51:52], v[12:13], v[79:80]
	v_add_f64 v[22:23], v[22:23], v[47:48]
	v_fma_f64 v[47:48], v[18:19], v[161:162], v[186:187]
	v_add_f64 v[5:6], v[5:6], v[45:46]
	s_clause 0x4
	buffer_load_dword v46, off, s[0:3], 0 offset:668
	buffer_load_dword v79, off, s[0:3], 0 offset:680
	;; [unrolled: 1-line block ×5, first 2 shown]
	s_waitcnt vmcnt(57) lgkmcnt(0)
	v_mul_f64 v[186:187], v[1:2], v[163:164]
	v_mul_f64 v[162:163], v[3:4], v[163:164]
	s_waitcnt vmcnt(56)
	v_fma_f64 v[59:60], v[12:13], v[61:62], -v[59:60]
	ds_read_b128 v[16:19], v24 offset:1184
	v_fma_f64 v[51:52], v[14:15], v[61:62], v[51:52]
	v_add_f64 v[22:23], v[22:23], v[67:68]
	v_add_f64 v[5:6], v[5:6], v[47:48]
	s_clause 0x2
	buffer_load_dword v80, off, s[0:3], 0 offset:684
	buffer_load_dword v48, off, s[0:3], 0 offset:660
	buffer_load_dword v47, off, s[0:3], 0 offset:656
	ds_read_b128 v[12:15], v24 offset:1200
	s_waitcnt vmcnt(58) lgkmcnt(1)
	v_mul_f64 v[67:68], v[18:19], v[165:166]
	s_waitcnt vmcnt(56)
	v_fma_f64 v[163:164], v[1:2], v[167:168], -v[162:163]
	v_mul_f64 v[61:62], v[16:17], v[165:166]
	v_add_f64 v[22:23], v[22:23], v[59:60]
	v_fma_f64 v[59:60], v[3:4], v[167:168], v[186:187]
	v_add_f64 v[5:6], v[5:6], v[51:52]
	s_clause 0x4
	buffer_load_dword v52, off, s[0:3], 0 offset:700
	buffer_load_dword v165, off, s[0:3], 0 offset:712
	;; [unrolled: 1-line block ×5, first 2 shown]
	s_waitcnt vmcnt(57) lgkmcnt(0)
	v_mul_f64 v[186:187], v[12:13], v[171:172]
	v_mul_f64 v[171:172], v[14:15], v[171:172]
	s_waitcnt vmcnt(56)
	v_fma_f64 v[67:68], v[16:17], v[73:74], -v[67:68]
	ds_read_b128 v[1:4], v24 offset:1216
	v_fma_f64 v[61:62], v[18:19], v[73:74], v[61:62]
	v_add_f64 v[22:23], v[22:23], v[163:164]
	v_add_f64 v[5:6], v[5:6], v[59:60]
	s_clause 0x2
	buffer_load_dword v166, off, s[0:3], 0 offset:716
	buffer_load_dword v60, off, s[0:3], 0 offset:692
	;; [unrolled: 1-line block ×3, first 2 shown]
	ds_read_b128 v[16:19], v24 offset:1232
	s_waitcnt vmcnt(58) lgkmcnt(1)
	v_mul_f64 v[163:164], v[3:4], v[173:174]
	v_mul_f64 v[73:74], v[1:2], v[173:174]
	s_waitcnt vmcnt(56)
	v_fma_f64 v[171:172], v[12:13], v[169:170], -v[171:172]
	v_add_f64 v[22:23], v[22:23], v[67:68]
	v_fma_f64 v[67:68], v[14:15], v[169:170], v[186:187]
	v_add_f64 v[5:6], v[5:6], v[61:62]
	s_clause 0x4
	buffer_load_dword v62, off, s[0:3], 0 offset:732
	buffer_load_dword v169, off, s[0:3], 0 offset:744
	buffer_load_dword v173, off, s[0:3], 0 offset:736
	buffer_load_dword v61, off, s[0:3], 0 offset:728
	buffer_load_dword v168, off, s[0:3], 0 offset:708
	s_waitcnt vmcnt(57) lgkmcnt(0)
	v_mul_f64 v[186:187], v[16:17], v[155:156]
	v_mul_f64 v[155:156], v[18:19], v[155:156]
	ds_read_b128 v[12:15], v24 offset:1248
	s_waitcnt vmcnt(56)
	v_fma_f64 v[163:164], v[1:2], v[175:176], -v[163:164]
	v_fma_f64 v[73:74], v[3:4], v[175:176], v[73:74]
	v_add_f64 v[22:23], v[22:23], v[171:172]
	v_add_f64 v[5:6], v[5:6], v[67:68]
	s_clause 0x2
	buffer_load_dword v170, off, s[0:3], 0 offset:748
	buffer_load_dword v68, off, s[0:3], 0 offset:724
	buffer_load_dword v67, off, s[0:3], 0 offset:720
	s_waitcnt vmcnt(58) lgkmcnt(0)
	v_mul_f64 v[175:176], v[14:15], v[177:178]
	s_waitcnt vmcnt(56)
	v_fma_f64 v[155:156], v[16:17], v[159:160], -v[155:156]
	ds_read_b128 v[1:4], v24 offset:1264
	v_mul_f64 v[171:172], v[12:13], v[177:178]
	v_fma_f64 v[159:160], v[18:19], v[159:160], v[186:187]
	v_add_f64 v[22:23], v[22:23], v[163:164]
	v_add_f64 v[5:6], v[5:6], v[73:74]
	s_clause 0x2
	buffer_load_dword v74, off, s[0:3], 0 offset:764
	buffer_load_dword v73, off, s[0:3], 0 offset:760
	;; [unrolled: 1-line block ×3, first 2 shown]
	ds_read_b128 v[16:19], v24 offset:1280
	s_waitcnt vmcnt(55) lgkmcnt(1)
	v_mul_f64 v[163:164], v[1:2], v[37:38]
	v_mul_f64 v[37:38], v[3:4], v[37:38]
	s_waitcnt vmcnt(54)
	v_fma_f64 v[175:176], v[12:13], v[182:183], -v[175:176]
	v_add_f64 v[22:23], v[22:23], v[155:156]
	v_fma_f64 v[155:156], v[14:15], v[182:183], v[171:172]
	v_add_f64 v[5:6], v[5:6], v[159:160]
	s_clause 0x1
	buffer_load_dword v160, off, s[0:3], 0 offset:756
	buffer_load_dword v159, off, s[0:3], 0 offset:752
	ds_read_b128 v[12:15], v24 offset:1296
	s_waitcnt vmcnt(55) lgkmcnt(1)
	v_mul_f64 v[171:172], v[16:17], v[157:158]
	v_mul_f64 v[157:158], v[18:19], v[157:158]
	s_waitcnt vmcnt(53)
	v_fma_f64 v[37:38], v[1:2], v[31:32], -v[37:38]
	v_fma_f64 v[31:32], v[3:4], v[31:32], v[163:164]
	ds_read_b128 v[1:4], v24 offset:1312
	v_add_f64 v[22:23], v[22:23], v[175:176]
	v_add_f64 v[5:6], v[5:6], v[155:156]
	s_waitcnt vmcnt(49) lgkmcnt(1)
	v_mul_f64 v[155:156], v[12:13], v[75:76]
	v_mul_f64 v[75:76], v[14:15], v[75:76]
	s_waitcnt vmcnt(48)
	v_fma_f64 v[157:158], v[16:17], v[184:185], -v[157:158]
	v_add_f64 v[22:23], v[22:23], v[37:38]
	v_fma_f64 v[37:38], v[18:19], v[184:185], v[171:172]
	v_add_f64 v[5:6], v[5:6], v[31:32]
	s_clause 0x3
	buffer_load_dword v31, off, s[0:3], 0 offset:208
	buffer_load_dword v32, off, s[0:3], 0 offset:212
	;; [unrolled: 1-line block ×4, first 2 shown]
	ds_read_b128 v[16:19], v24 offset:1328
	s_waitcnt vmcnt(51) lgkmcnt(1)
	v_mul_f64 v[171:172], v[1:2], v[77:78]
	v_mul_f64 v[77:78], v[3:4], v[77:78]
	s_waitcnt vmcnt(49)
	v_fma_f64 v[75:76], v[12:13], v[33:34], -v[75:76]
	v_fma_f64 v[33:34], v[14:15], v[33:34], v[155:156]
	ds_read_b128 v[12:15], v24 offset:1344
	v_add_f64 v[22:23], v[22:23], v[157:158]
	v_add_f64 v[5:6], v[5:6], v[37:38]
	s_waitcnt vmcnt(45) lgkmcnt(1)
	v_mul_f64 v[37:38], v[16:17], v[20:21]
	v_mul_f64 v[20:21], v[18:19], v[20:21]
	s_waitcnt vmcnt(44)
	v_fma_f64 v[77:78], v[1:2], v[179:180], -v[77:78]
	v_add_f64 v[22:23], v[22:23], v[75:76]
	v_fma_f64 v[75:76], v[3:4], v[179:180], v[171:172]
	v_add_f64 v[5:6], v[5:6], v[33:34]
	ds_read_b128 v[1:4], v24 offset:1360
	s_waitcnt vmcnt(43) lgkmcnt(1)
	v_mul_f64 v[33:34], v[12:13], v[57:58]
	v_mul_f64 v[57:58], v[14:15], v[57:58]
	s_waitcnt vmcnt(41)
	v_fma_f64 v[20:21], v[16:17], v[39:40], -v[20:21]
	v_fma_f64 v[37:38], v[18:19], v[39:40], v[37:38]
	ds_read_b128 v[16:19], v24 offset:1376
	v_add_f64 v[22:23], v[22:23], v[77:78]
	v_add_f64 v[5:6], v[5:6], v[75:76]
	s_waitcnt vmcnt(37) lgkmcnt(1)
	v_mul_f64 v[39:40], v[1:2], v[35:36]
	v_mul_f64 v[35:36], v[3:4], v[35:36]
	s_waitcnt vmcnt(36)
	v_fma_f64 v[57:58], v[12:13], v[153:154], -v[57:58]
	v_add_f64 v[20:21], v[22:23], v[20:21]
	v_fma_f64 v[22:23], v[14:15], v[153:154], v[33:34]
	v_add_f64 v[5:6], v[5:6], v[37:38]
	s_waitcnt vmcnt(35) lgkmcnt(0)
	v_mul_f64 v[37:38], v[18:19], v[63:64]
	ds_read_b128 v[12:15], v24 offset:1392
	v_mul_f64 v[33:34], v[16:17], v[63:64]
	s_waitcnt vmcnt(33)
	v_fma_f64 v[39:40], v[3:4], v[49:50], v[39:40]
	v_fma_f64 v[35:36], v[1:2], v[49:50], -v[35:36]
	ds_read_b128 v[1:4], v24 offset:1408
	v_add_f64 v[20:21], v[20:21], v[57:58]
	v_add_f64 v[5:6], v[5:6], v[22:23]
	s_waitcnt vmcnt(29) lgkmcnt(1)
	v_mul_f64 v[22:23], v[12:13], v[45:46]
	v_mul_f64 v[45:46], v[14:15], v[45:46]
	s_waitcnt vmcnt(28)
	v_fma_f64 v[37:38], v[16:17], v[65:66], -v[37:38]
	v_fma_f64 v[33:34], v[18:19], v[65:66], v[33:34]
	ds_read_b128 v[16:19], v24 offset:1424
	v_add_f64 v[20:21], v[20:21], v[35:36]
	v_add_f64 v[5:6], v[5:6], v[39:40]
	s_waitcnt vmcnt(27) lgkmcnt(1)
	v_mul_f64 v[39:40], v[3:4], v[79:80]
	v_mul_f64 v[35:36], v[1:2], v[79:80]
	s_waitcnt vmcnt(25)
	v_fma_f64 v[45:46], v[12:13], v[47:48], -v[45:46]
	v_fma_f64 v[22:23], v[14:15], v[47:48], v[22:23]
	ds_read_b128 v[12:15], v24 offset:1440
	v_add_f64 v[20:21], v[20:21], v[37:38]
	v_add_f64 v[5:6], v[5:6], v[33:34]
	s_waitcnt vmcnt(21) lgkmcnt(1)
	v_mul_f64 v[37:38], v[18:19], v[51:52]
	s_waitcnt vmcnt(20)
	v_fma_f64 v[39:40], v[1:2], v[161:162], -v[39:40]
	v_mul_f64 v[33:34], v[16:17], v[51:52]
	v_fma_f64 v[35:36], v[3:4], v[161:162], v[35:36]
	ds_read_b128 v[1:4], v24 offset:1456
	v_add_f64 v[20:21], v[20:21], v[45:46]
	v_add_f64 v[5:6], v[5:6], v[22:23]
	s_waitcnt vmcnt(19) lgkmcnt(1)
	v_mul_f64 v[45:46], v[14:15], v[165:166]
	v_mul_f64 v[22:23], v[12:13], v[165:166]
	s_waitcnt vmcnt(17)
	v_fma_f64 v[37:38], v[16:17], v[59:60], -v[37:38]
	v_fma_f64 v[33:34], v[18:19], v[59:60], v[33:34]
	ds_read_b128 v[16:19], v24 offset:1472
	v_add_f64 v[20:21], v[20:21], v[39:40]
	v_add_f64 v[5:6], v[5:6], v[35:36]
	s_waitcnt vmcnt(13) lgkmcnt(1)
	v_mul_f64 v[39:40], v[3:4], v[61:62]
	s_waitcnt vmcnt(12)
	v_fma_f64 v[45:46], v[12:13], v[167:168], -v[45:46]
	v_mul_f64 v[35:36], v[1:2], v[61:62]
	v_fma_f64 v[22:23], v[14:15], v[167:168], v[22:23]
	ds_read_b128 v[12:15], v24 offset:1488
	v_add_f64 v[20:21], v[20:21], v[37:38]
	v_add_f64 v[5:6], v[5:6], v[33:34]
	s_waitcnt vmcnt(11) lgkmcnt(1)
	v_mul_f64 v[37:38], v[18:19], v[169:170]
	v_mul_f64 v[33:34], v[16:17], v[169:170]
	s_waitcnt vmcnt(9)
	v_fma_f64 v[1:2], v[1:2], v[67:68], -v[39:40]
	v_fma_f64 v[3:4], v[3:4], v[67:68], v[35:36]
	v_add_f64 v[20:21], v[20:21], v[45:46]
	v_add_f64 v[5:6], v[5:6], v[22:23]
	s_waitcnt vmcnt(7) lgkmcnt(0)
	v_mul_f64 v[35:36], v[14:15], v[73:74]
	s_waitcnt vmcnt(6)
	v_fma_f64 v[16:17], v[16:17], v[173:174], -v[37:38]
	v_mul_f64 v[22:23], v[12:13], v[73:74]
	v_fma_f64 v[18:19], v[18:19], v[173:174], v[33:34]
	v_add_f64 v[1:2], v[20:21], v[1:2]
	v_add_f64 v[3:4], v[5:6], v[3:4]
	s_waitcnt vmcnt(4)
	v_fma_f64 v[5:6], v[12:13], v[159:160], -v[35:36]
	v_fma_f64 v[12:13], v[14:15], v[159:160], v[22:23]
	v_add_f64 v[1:2], v[1:2], v[16:17]
	v_add_f64 v[3:4], v[3:4], v[18:19]
	;; [unrolled: 1-line block ×4, first 2 shown]
	s_waitcnt vmcnt(2)
	v_add_f64 v[1:2], v[31:32], -v[1:2]
	s_waitcnt vmcnt(0)
	v_add_f64 v[3:4], v[163:164], -v[3:4]
	buffer_store_dword v2, off, s[0:3], 0 offset:212
	buffer_store_dword v1, off, s[0:3], 0 offset:208
	;; [unrolled: 1-line block ×4, first 2 shown]
	v_cmpx_lt_u32_e32 11, v0
	s_cbranch_execz .LBB46_273
; %bb.272:
	v_mov_b32_e32 v4, s52
	v_mov_b32_e32 v5, 0
	s_clause 0x3
	buffer_load_dword v1, v4, s[0:3], 0 offen
	buffer_load_dword v2, v4, s[0:3], 0 offen offset:4
	buffer_load_dword v3, v4, s[0:3], 0 offen offset:8
	;; [unrolled: 1-line block ×3, first 2 shown]
	buffer_store_dword v5, off, s[0:3], 0 offset:192
	buffer_store_dword v5, off, s[0:3], 0 offset:196
	;; [unrolled: 1-line block ×4, first 2 shown]
	s_waitcnt vmcnt(0)
	ds_write_b128 v7, v[1:4]
.LBB46_273:
	s_or_b32 exec_lo, exec_lo, s4
	s_waitcnt lgkmcnt(0)
	s_waitcnt_vscnt null, 0x0
	s_barrier
	buffer_gl0_inv
	s_clause 0x37
	buffer_load_dword v14, off, s[0:3], 0 offset:216
	buffer_load_dword v15, off, s[0:3], 0 offset:220
	;; [unrolled: 1-line block ×56, first 2 shown]
	v_mov_b32_e32 v24, 0
	s_mov_b32 s4, exec_lo
	ds_read_b128 v[155:158], v24 offset:944
	s_clause 0x2
	buffer_load_dword v154, off, s[0:3], 0 offset:444
	buffer_load_dword v168, off, s[0:3], 0 offset:420
	buffer_load_dword v167, off, s[0:3], 0 offset:416
	ds_read_b128 v[159:162], v24 offset:960
	s_clause 0x4
	buffer_load_dword v172, off, s[0:3], 0 offset:460
	buffer_load_dword v173, off, s[0:3], 0 offset:472
	;; [unrolled: 1-line block ×5, first 2 shown]
	ds_read_b128 v[163:166], v24 offset:976
	s_waitcnt vmcnt(62) lgkmcnt(2)
	v_mul_f64 v[169:170], v[157:158], v[14:15]
	v_mul_f64 v[14:15], v[155:156], v[14:15]
	s_waitcnt vmcnt(60) lgkmcnt(1)
	v_mul_f64 v[176:177], v[161:162], v[5:6]
	v_mul_f64 v[5:6], v[159:160], v[5:6]
	;; [unrolled: 3-line block ×3, first 2 shown]
	v_fma_f64 v[155:156], v[155:156], v[12:13], -v[169:170]
	v_fma_f64 v[157:158], v[157:158], v[12:13], v[14:15]
	s_clause 0x2
	buffer_load_dword v174, off, s[0:3], 0 offset:476
	buffer_load_dword v170, off, s[0:3], 0 offset:452
	;; [unrolled: 1-line block ×3, first 2 shown]
	s_waitcnt vmcnt(57)
	v_fma_f64 v[159:160], v[159:160], v[1:2], -v[176:177]
	ds_read_b128 v[12:15], v24 offset:992
	v_fma_f64 v[5:6], v[161:162], v[1:2], v[5:6]
	s_clause 0x4
	buffer_load_dword v162, off, s[0:3], 0 offset:492
	buffer_load_dword v177, off, s[0:3], 0 offset:504
	;; [unrolled: 1-line block ×5, first 2 shown]
	s_waitcnt vmcnt(56)
	v_fma_f64 v[163:164], v[163:164], v[37:38], -v[180:181]
	ds_read_b128 v[1:4], v24 offset:1008
	v_fma_f64 v[37:38], v[165:166], v[37:38], v[178:179]
	s_clause 0x2
	buffer_load_dword v178, off, s[0:3], 0 offset:508
	buffer_load_dword v166, off, s[0:3], 0 offset:484
	;; [unrolled: 1-line block ×3, first 2 shown]
	v_add_f64 v[155:156], v[155:156], 0
	v_add_f64 v[157:158], v[157:158], 0
	s_waitcnt lgkmcnt(1)
	v_mul_f64 v[183:184], v[12:13], v[18:19]
	v_mul_f64 v[18:19], v[14:15], v[18:19]
	s_waitcnt vmcnt(58) lgkmcnt(0)
	v_mul_f64 v[179:180], v[1:2], v[22:23]
	v_mul_f64 v[22:23], v[3:4], v[22:23]
	v_add_f64 v[159:160], v[155:156], v[159:160]
	v_add_f64 v[5:6], v[157:158], v[5:6]
	ds_read_b128 v[155:158], v24 offset:1024
	s_waitcnt vmcnt(56)
	v_fma_f64 v[18:19], v[12:13], v[31:32], -v[18:19]
	v_fma_f64 v[31:32], v[14:15], v[31:32], v[183:184]
	s_waitcnt vmcnt(51)
	v_fma_f64 v[22:23], v[1:2], v[16:17], -v[22:23]
	v_fma_f64 v[16:17], v[3:4], v[16:17], v[179:180]
	s_waitcnt lgkmcnt(0)
	v_mul_f64 v[185:186], v[155:156], v[33:34]
	v_add_f64 v[159:160], v[159:160], v[163:164]
	v_add_f64 v[5:6], v[5:6], v[37:38]
	s_clause 0x4
	buffer_load_dword v38, off, s[0:3], 0 offset:524
	buffer_load_dword v163, off, s[0:3], 0 offset:536
	;; [unrolled: 1-line block ×5, first 2 shown]
	v_mul_f64 v[33:34], v[157:158], v[33:34]
	ds_read_b128 v[12:15], v24 offset:1040
	v_add_f64 v[18:19], v[159:160], v[18:19]
	v_add_f64 v[5:6], v[5:6], v[31:32]
	s_clause 0x2
	buffer_load_dword v164, off, s[0:3], 0 offset:540
	buffer_load_dword v32, off, s[0:3], 0 offset:516
	;; [unrolled: 1-line block ×3, first 2 shown]
	s_waitcnt vmcnt(58) lgkmcnt(0)
	v_mul_f64 v[159:160], v[12:13], v[39:40]
	v_mul_f64 v[39:40], v[14:15], v[39:40]
	s_waitcnt vmcnt(56)
	v_fma_f64 v[33:34], v[155:156], v[45:46], -v[33:34]
	ds_read_b128 v[1:4], v24 offset:1056
	v_fma_f64 v[45:46], v[157:158], v[45:46], v[185:186]
	s_clause 0x4
	buffer_load_dword v156, off, s[0:3], 0 offset:556
	buffer_load_dword v157, off, s[0:3], 0 offset:568
	buffer_load_dword v179, off, s[0:3], 0 offset:560
	buffer_load_dword v155, off, s[0:3], 0 offset:552
	buffer_load_dword v185, off, s[0:3], 0 offset:532
	v_add_f64 v[22:23], v[18:19], v[22:23]
	v_add_f64 v[5:6], v[5:6], v[16:17]
	ds_read_b128 v[16:19], v24 offset:1072
	s_waitcnt vmcnt(57) lgkmcnt(1)
	v_mul_f64 v[180:181], v[1:2], v[47:48]
	v_mul_f64 v[47:48], v[3:4], v[47:48]
	s_waitcnt vmcnt(56)
	v_fma_f64 v[39:40], v[12:13], v[20:21], -v[39:40]
	v_fma_f64 v[20:21], v[14:15], v[20:21], v[159:160]
	v_add_f64 v[22:23], v[22:23], v[33:34]
	v_add_f64 v[5:6], v[5:6], v[45:46]
	s_clause 0x2
	buffer_load_dword v158, off, s[0:3], 0 offset:572
	buffer_load_dword v34, off, s[0:3], 0 offset:548
	;; [unrolled: 1-line block ×3, first 2 shown]
	s_waitcnt vmcnt(58) lgkmcnt(0)
	v_mul_f64 v[45:46], v[16:17], v[51:52]
	v_mul_f64 v[51:52], v[18:19], v[51:52]
	s_waitcnt vmcnt(56)
	v_fma_f64 v[47:48], v[1:2], v[57:58], -v[47:48]
	ds_read_b128 v[12:15], v24 offset:1088
	v_add_f64 v[22:23], v[22:23], v[39:40]
	v_fma_f64 v[39:40], v[3:4], v[57:58], v[180:181]
	v_add_f64 v[5:6], v[5:6], v[20:21]
	s_clause 0x4
	buffer_load_dword v21, off, s[0:3], 0 offset:588
	buffer_load_dword v57, off, s[0:3], 0 offset:600
	;; [unrolled: 1-line block ×5, first 2 shown]
	s_waitcnt vmcnt(57) lgkmcnt(0)
	v_mul_f64 v[186:187], v[12:13], v[59:60]
	v_mul_f64 v[59:60], v[14:15], v[59:60]
	s_waitcnt vmcnt(56)
	v_fma_f64 v[51:52], v[16:17], v[35:36], -v[51:52]
	ds_read_b128 v[1:4], v24 offset:1104
	v_fma_f64 v[35:36], v[18:19], v[35:36], v[45:46]
	v_add_f64 v[22:23], v[22:23], v[47:48]
	v_add_f64 v[5:6], v[5:6], v[39:40]
	s_clause 0x2
	buffer_load_dword v58, off, s[0:3], 0 offset:604
	buffer_load_dword v40, off, s[0:3], 0 offset:580
	;; [unrolled: 1-line block ×3, first 2 shown]
	ds_read_b128 v[16:19], v24 offset:1120
	s_waitcnt vmcnt(58) lgkmcnt(1)
	v_mul_f64 v[47:48], v[3:4], v[63:64]
	s_waitcnt vmcnt(56)
	v_fma_f64 v[59:60], v[12:13], v[65:66], -v[59:60]
	v_mul_f64 v[45:46], v[1:2], v[63:64]
	v_add_f64 v[22:23], v[22:23], v[51:52]
	v_fma_f64 v[51:52], v[14:15], v[65:66], v[186:187]
	v_add_f64 v[5:6], v[5:6], v[35:36]
	s_clause 0x4
	buffer_load_dword v36, off, s[0:3], 0 offset:620
	buffer_load_dword v63, off, s[0:3], 0 offset:632
	;; [unrolled: 1-line block ×5, first 2 shown]
	s_waitcnt vmcnt(57) lgkmcnt(0)
	v_mul_f64 v[186:187], v[16:17], v[67:68]
	v_mul_f64 v[66:67], v[18:19], v[67:68]
	s_waitcnt vmcnt(56)
	v_fma_f64 v[47:48], v[1:2], v[49:50], -v[47:48]
	ds_read_b128 v[12:15], v24 offset:1136
	v_fma_f64 v[45:46], v[3:4], v[49:50], v[45:46]
	s_clause 0x2
	buffer_load_dword v64, off, s[0:3], 0 offset:636
	buffer_load_dword v50, off, s[0:3], 0 offset:612
	;; [unrolled: 1-line block ×3, first 2 shown]
	ds_read_b128 v[1:4], v24 offset:1152
	v_add_f64 v[22:23], v[22:23], v[59:60]
	v_add_f64 v[5:6], v[5:6], v[51:52]
	s_waitcnt vmcnt(58) lgkmcnt(1)
	v_mul_f64 v[59:60], v[14:15], v[75:76]
	s_waitcnt vmcnt(56)
	v_fma_f64 v[67:68], v[16:17], v[77:78], -v[66:67]
	v_mul_f64 v[51:52], v[12:13], v[75:76]
	v_add_f64 v[22:23], v[22:23], v[47:48]
	v_fma_f64 v[47:48], v[18:19], v[77:78], v[186:187]
	v_add_f64 v[5:6], v[5:6], v[45:46]
	s_clause 0x4
	buffer_load_dword v46, off, s[0:3], 0 offset:652
	buffer_load_dword v75, off, s[0:3], 0 offset:664
	;; [unrolled: 1-line block ×5, first 2 shown]
	s_waitcnt vmcnt(57) lgkmcnt(0)
	v_mul_f64 v[186:187], v[1:2], v[79:80]
	v_mul_f64 v[78:79], v[3:4], v[79:80]
	s_waitcnt vmcnt(56)
	v_fma_f64 v[59:60], v[12:13], v[61:62], -v[59:60]
	ds_read_b128 v[16:19], v24 offset:1168
	v_fma_f64 v[51:52], v[14:15], v[61:62], v[51:52]
	v_add_f64 v[22:23], v[22:23], v[67:68]
	v_add_f64 v[5:6], v[5:6], v[47:48]
	s_clause 0x2
	buffer_load_dword v76, off, s[0:3], 0 offset:668
	buffer_load_dword v48, off, s[0:3], 0 offset:644
	;; [unrolled: 1-line block ×3, first 2 shown]
	ds_read_b128 v[12:15], v24 offset:1184
	s_waitcnt vmcnt(58) lgkmcnt(1)
	v_mul_f64 v[67:68], v[18:19], v[153:154]
	s_waitcnt vmcnt(56)
	v_fma_f64 v[79:80], v[1:2], v[167:168], -v[78:79]
	v_mul_f64 v[61:62], v[16:17], v[153:154]
	v_add_f64 v[22:23], v[22:23], v[59:60]
	v_fma_f64 v[59:60], v[3:4], v[167:168], v[186:187]
	v_add_f64 v[5:6], v[5:6], v[51:52]
	s_clause 0x4
	buffer_load_dword v52, off, s[0:3], 0 offset:684
	buffer_load_dword v153, off, s[0:3], 0 offset:696
	;; [unrolled: 1-line block ×5, first 2 shown]
	s_waitcnt vmcnt(57) lgkmcnt(0)
	v_mul_f64 v[186:187], v[12:13], v[171:172]
	v_mul_f64 v[171:172], v[14:15], v[171:172]
	s_waitcnt vmcnt(56)
	v_fma_f64 v[67:68], v[16:17], v[73:74], -v[67:68]
	ds_read_b128 v[1:4], v24 offset:1200
	v_fma_f64 v[61:62], v[18:19], v[73:74], v[61:62]
	v_add_f64 v[22:23], v[22:23], v[79:80]
	v_add_f64 v[5:6], v[5:6], v[59:60]
	s_clause 0x2
	buffer_load_dword v154, off, s[0:3], 0 offset:700
	buffer_load_dword v60, off, s[0:3], 0 offset:676
	;; [unrolled: 1-line block ×3, first 2 shown]
	ds_read_b128 v[16:19], v24 offset:1216
	s_waitcnt vmcnt(58) lgkmcnt(1)
	v_mul_f64 v[79:80], v[3:4], v[173:174]
	v_mul_f64 v[73:74], v[1:2], v[173:174]
	s_waitcnt vmcnt(56)
	v_fma_f64 v[171:172], v[12:13], v[169:170], -v[171:172]
	v_add_f64 v[22:23], v[22:23], v[67:68]
	v_fma_f64 v[67:68], v[14:15], v[169:170], v[186:187]
	v_add_f64 v[5:6], v[5:6], v[61:62]
	s_clause 0x4
	buffer_load_dword v62, off, s[0:3], 0 offset:716
	buffer_load_dword v169, off, s[0:3], 0 offset:728
	;; [unrolled: 1-line block ×5, first 2 shown]
	s_waitcnt vmcnt(57) lgkmcnt(0)
	v_mul_f64 v[186:187], v[16:17], v[161:162]
	v_mul_f64 v[161:162], v[18:19], v[161:162]
	ds_read_b128 v[12:15], v24 offset:1232
	s_waitcnt vmcnt(56)
	v_fma_f64 v[79:80], v[1:2], v[175:176], -v[79:80]
	v_fma_f64 v[73:74], v[3:4], v[175:176], v[73:74]
	v_add_f64 v[22:23], v[22:23], v[171:172]
	v_add_f64 v[5:6], v[5:6], v[67:68]
	s_clause 0x2
	buffer_load_dword v170, off, s[0:3], 0 offset:732
	buffer_load_dword v68, off, s[0:3], 0 offset:708
	;; [unrolled: 1-line block ×3, first 2 shown]
	s_waitcnt vmcnt(58) lgkmcnt(0)
	v_mul_f64 v[175:176], v[14:15], v[177:178]
	s_waitcnt vmcnt(56)
	v_fma_f64 v[161:162], v[16:17], v[165:166], -v[161:162]
	ds_read_b128 v[1:4], v24 offset:1248
	v_mul_f64 v[171:172], v[12:13], v[177:178]
	v_add_f64 v[22:23], v[22:23], v[79:80]
	v_fma_f64 v[79:80], v[18:19], v[165:166], v[186:187]
	v_add_f64 v[5:6], v[5:6], v[73:74]
	s_clause 0x4
	buffer_load_dword v74, off, s[0:3], 0 offset:748
	buffer_load_dword v165, off, s[0:3], 0 offset:760
	;; [unrolled: 1-line block ×5, first 2 shown]
	ds_read_b128 v[16:19], v24 offset:1264
	s_waitcnt vmcnt(57) lgkmcnt(1)
	v_mul_f64 v[186:187], v[1:2], v[37:38]
	v_mul_f64 v[37:38], v[3:4], v[37:38]
	s_waitcnt vmcnt(56)
	v_fma_f64 v[175:176], v[12:13], v[182:183], -v[175:176]
	v_add_f64 v[22:23], v[22:23], v[161:162]
	v_fma_f64 v[161:162], v[14:15], v[182:183], v[171:172]
	v_add_f64 v[5:6], v[5:6], v[79:80]
	s_clause 0x2
	buffer_load_dword v166, off, s[0:3], 0 offset:764
	buffer_load_dword v80, off, s[0:3], 0 offset:740
	;; [unrolled: 1-line block ×3, first 2 shown]
	ds_read_b128 v[12:15], v24 offset:1280
	buffer_load_dword v178, off, s[0:3], 0 offset:756
	s_waitcnt vmcnt(59) lgkmcnt(1)
	v_mul_f64 v[171:172], v[16:17], v[163:164]
	v_mul_f64 v[163:164], v[18:19], v[163:164]
	s_waitcnt vmcnt(57)
	v_fma_f64 v[37:38], v[1:2], v[31:32], -v[37:38]
	v_fma_f64 v[31:32], v[3:4], v[31:32], v[186:187]
	ds_read_b128 v[1:4], v24 offset:1296
	v_add_f64 v[22:23], v[22:23], v[175:176]
	v_add_f64 v[5:6], v[5:6], v[161:162]
	s_waitcnt vmcnt(53) lgkmcnt(1)
	v_mul_f64 v[161:162], v[12:13], v[155:156]
	v_mul_f64 v[155:156], v[14:15], v[155:156]
	s_waitcnt vmcnt(52)
	v_fma_f64 v[163:164], v[16:17], v[184:185], -v[163:164]
	v_add_f64 v[22:23], v[22:23], v[37:38]
	v_fma_f64 v[37:38], v[18:19], v[184:185], v[171:172]
	v_add_f64 v[5:6], v[5:6], v[31:32]
	ds_read_b128 v[16:19], v24 offset:1312
	s_waitcnt vmcnt(51) lgkmcnt(1)
	v_mul_f64 v[31:32], v[1:2], v[157:158]
	v_mul_f64 v[157:158], v[3:4], v[157:158]
	s_waitcnt vmcnt(49)
	v_fma_f64 v[155:156], v[12:13], v[33:34], -v[155:156]
	v_fma_f64 v[33:34], v[14:15], v[33:34], v[161:162]
	v_add_f64 v[22:23], v[22:23], v[163:164]
	v_add_f64 v[5:6], v[5:6], v[37:38]
	s_clause 0x3
	buffer_load_dword v37, off, s[0:3], 0 offset:192
	buffer_load_dword v38, off, s[0:3], 0 offset:196
	;; [unrolled: 1-line block ×4, first 2 shown]
	ds_read_b128 v[12:15], v24 offset:1328
	s_waitcnt vmcnt(49) lgkmcnt(1)
	v_mul_f64 v[163:164], v[16:17], v[20:21]
	v_mul_f64 v[20:21], v[18:19], v[20:21]
	s_waitcnt vmcnt(48)
	v_fma_f64 v[157:158], v[1:2], v[179:180], -v[157:158]
	v_fma_f64 v[31:32], v[3:4], v[179:180], v[31:32]
	ds_read_b128 v[1:4], v24 offset:1344
	v_add_f64 v[22:23], v[22:23], v[155:156]
	v_add_f64 v[5:6], v[5:6], v[33:34]
	s_waitcnt vmcnt(47) lgkmcnt(1)
	v_mul_f64 v[33:34], v[12:13], v[57:58]
	v_mul_f64 v[57:58], v[14:15], v[57:58]
	s_waitcnt vmcnt(45)
	v_fma_f64 v[20:21], v[16:17], v[39:40], -v[20:21]
	v_fma_f64 v[39:40], v[18:19], v[39:40], v[163:164]
	ds_read_b128 v[16:19], v24 offset:1360
	v_add_f64 v[22:23], v[22:23], v[157:158]
	v_add_f64 v[5:6], v[5:6], v[31:32]
	s_waitcnt vmcnt(41) lgkmcnt(1)
	v_mul_f64 v[31:32], v[1:2], v[35:36]
	v_mul_f64 v[35:36], v[3:4], v[35:36]
	s_waitcnt vmcnt(40)
	v_fma_f64 v[57:58], v[12:13], v[159:160], -v[57:58]
	v_add_f64 v[20:21], v[22:23], v[20:21]
	v_fma_f64 v[22:23], v[14:15], v[159:160], v[33:34]
	v_add_f64 v[5:6], v[5:6], v[39:40]
	ds_read_b128 v[12:15], v24 offset:1376
	s_waitcnt vmcnt(39) lgkmcnt(1)
	v_mul_f64 v[39:40], v[18:19], v[63:64]
	v_mul_f64 v[33:34], v[16:17], v[63:64]
	s_waitcnt vmcnt(37)
	v_fma_f64 v[31:32], v[3:4], v[49:50], v[31:32]
	v_fma_f64 v[35:36], v[1:2], v[49:50], -v[35:36]
	ds_read_b128 v[1:4], v24 offset:1392
	v_add_f64 v[20:21], v[20:21], v[57:58]
	v_add_f64 v[5:6], v[5:6], v[22:23]
	s_waitcnt vmcnt(33) lgkmcnt(1)
	v_mul_f64 v[22:23], v[12:13], v[45:46]
	v_mul_f64 v[45:46], v[14:15], v[45:46]
	s_waitcnt vmcnt(32)
	v_fma_f64 v[39:40], v[16:17], v[65:66], -v[39:40]
	v_fma_f64 v[33:34], v[18:19], v[65:66], v[33:34]
	ds_read_b128 v[16:19], v24 offset:1408
	v_add_f64 v[20:21], v[20:21], v[35:36]
	v_add_f64 v[5:6], v[5:6], v[31:32]
	s_waitcnt vmcnt(31) lgkmcnt(1)
	v_mul_f64 v[35:36], v[3:4], v[75:76]
	v_mul_f64 v[31:32], v[1:2], v[75:76]
	s_waitcnt vmcnt(29)
	v_fma_f64 v[45:46], v[12:13], v[47:48], -v[45:46]
	v_fma_f64 v[22:23], v[14:15], v[47:48], v[22:23]
	ds_read_b128 v[12:15], v24 offset:1424
	v_add_f64 v[20:21], v[20:21], v[39:40]
	v_add_f64 v[5:6], v[5:6], v[33:34]
	s_waitcnt vmcnt(25) lgkmcnt(1)
	v_mul_f64 v[39:40], v[18:19], v[51:52]
	s_waitcnt vmcnt(24)
	v_fma_f64 v[35:36], v[1:2], v[77:78], -v[35:36]
	v_mul_f64 v[33:34], v[16:17], v[51:52]
	v_fma_f64 v[31:32], v[3:4], v[77:78], v[31:32]
	ds_read_b128 v[1:4], v24 offset:1440
	v_add_f64 v[20:21], v[20:21], v[45:46]
	v_add_f64 v[5:6], v[5:6], v[22:23]
	s_waitcnt vmcnt(23) lgkmcnt(1)
	v_mul_f64 v[45:46], v[14:15], v[153:154]
	v_mul_f64 v[22:23], v[12:13], v[153:154]
	s_waitcnt vmcnt(21)
	v_fma_f64 v[39:40], v[16:17], v[59:60], -v[39:40]
	v_fma_f64 v[33:34], v[18:19], v[59:60], v[33:34]
	ds_read_b128 v[16:19], v24 offset:1456
	v_add_f64 v[20:21], v[20:21], v[35:36]
	v_add_f64 v[5:6], v[5:6], v[31:32]
	s_waitcnt vmcnt(17) lgkmcnt(1)
	v_mul_f64 v[35:36], v[3:4], v[61:62]
	s_waitcnt vmcnt(16)
	v_fma_f64 v[45:46], v[12:13], v[167:168], -v[45:46]
	v_mul_f64 v[31:32], v[1:2], v[61:62]
	;; [unrolled: 18-line block ×3, first 2 shown]
	v_fma_f64 v[18:19], v[18:19], v[173:174], v[33:34]
	v_add_f64 v[20:21], v[20:21], v[35:36]
	v_add_f64 v[5:6], v[5:6], v[31:32]
	s_waitcnt vmcnt(7) lgkmcnt(0)
	v_mul_f64 v[33:34], v[3:4], v[165:166]
	v_mul_f64 v[31:32], v[1:2], v[165:166]
	s_waitcnt vmcnt(5)
	v_fma_f64 v[12:13], v[12:13], v[79:80], -v[45:46]
	v_fma_f64 v[14:15], v[14:15], v[79:80], v[22:23]
	v_add_f64 v[16:17], v[20:21], v[16:17]
	v_add_f64 v[5:6], v[5:6], v[18:19]
	s_waitcnt vmcnt(4)
	v_fma_f64 v[1:2], v[1:2], v[177:178], -v[33:34]
	v_fma_f64 v[3:4], v[3:4], v[177:178], v[31:32]
	v_add_f64 v[12:13], v[16:17], v[12:13]
	v_add_f64 v[5:6], v[5:6], v[14:15]
	;; [unrolled: 1-line block ×4, first 2 shown]
	s_waitcnt vmcnt(2)
	v_add_f64 v[1:2], v[37:38], -v[1:2]
	s_waitcnt vmcnt(0)
	v_add_f64 v[3:4], v[161:162], -v[3:4]
	buffer_store_dword v2, off, s[0:3], 0 offset:196
	buffer_store_dword v1, off, s[0:3], 0 offset:192
	;; [unrolled: 1-line block ×4, first 2 shown]
	v_cmpx_lt_u32_e32 10, v0
	s_cbranch_execz .LBB46_275
; %bb.274:
	v_mov_b32_e32 v4, s53
	s_clause 0x3
	buffer_load_dword v1, v4, s[0:3], 0 offen
	buffer_load_dword v2, v4, s[0:3], 0 offen offset:4
	buffer_load_dword v3, v4, s[0:3], 0 offen offset:8
	;; [unrolled: 1-line block ×3, first 2 shown]
	buffer_store_dword v24, off, s[0:3], 0 offset:176
	buffer_store_dword v24, off, s[0:3], 0 offset:180
	;; [unrolled: 1-line block ×4, first 2 shown]
	s_waitcnt vmcnt(0)
	ds_write_b128 v7, v[1:4]
.LBB46_275:
	s_or_b32 exec_lo, exec_lo, s4
	s_waitcnt lgkmcnt(0)
	s_waitcnt_vscnt null, 0x0
	s_barrier
	buffer_gl0_inv
	s_clause 0x37
	buffer_load_dword v14, off, s[0:3], 0 offset:200
	buffer_load_dword v15, off, s[0:3], 0 offset:204
	;; [unrolled: 1-line block ×56, first 2 shown]
	ds_read_b128 v[157:160], v24 offset:928
	s_clause 0x2
	buffer_load_dword v154, off, s[0:3], 0 offset:428
	buffer_load_dword v156, off, s[0:3], 0 offset:404
	buffer_load_dword v155, off, s[0:3], 0 offset:400
	ds_read_b128 v[161:164], v24 offset:944
	s_clause 0x4
	buffer_load_dword v172, off, s[0:3], 0 offset:444
	buffer_load_dword v173, off, s[0:3], 0 offset:456
	;; [unrolled: 1-line block ×5, first 2 shown]
	ds_read_b128 v[165:168], v24 offset:960
	s_mov_b32 s4, exec_lo
	s_waitcnt vmcnt(62) lgkmcnt(2)
	v_mul_f64 v[169:170], v[159:160], v[14:15]
	v_mul_f64 v[14:15], v[157:158], v[14:15]
	s_waitcnt vmcnt(60) lgkmcnt(1)
	v_mul_f64 v[176:177], v[163:164], v[5:6]
	v_mul_f64 v[5:6], v[161:162], v[5:6]
	;; [unrolled: 3-line block ×3, first 2 shown]
	v_fma_f64 v[157:158], v[157:158], v[12:13], -v[169:170]
	v_fma_f64 v[159:160], v[159:160], v[12:13], v[14:15]
	s_clause 0x2
	buffer_load_dword v174, off, s[0:3], 0 offset:460
	buffer_load_dword v170, off, s[0:3], 0 offset:436
	;; [unrolled: 1-line block ×3, first 2 shown]
	s_waitcnt vmcnt(57)
	v_fma_f64 v[161:162], v[161:162], v[1:2], -v[176:177]
	ds_read_b128 v[12:15], v24 offset:976
	v_fma_f64 v[5:6], v[163:164], v[1:2], v[5:6]
	s_clause 0x4
	buffer_load_dword v164, off, s[0:3], 0 offset:476
	buffer_load_dword v177, off, s[0:3], 0 offset:488
	;; [unrolled: 1-line block ×5, first 2 shown]
	s_waitcnt vmcnt(56)
	v_fma_f64 v[165:166], v[165:166], v[37:38], -v[180:181]
	ds_read_b128 v[1:4], v24 offset:992
	v_fma_f64 v[37:38], v[167:168], v[37:38], v[178:179]
	s_clause 0x2
	buffer_load_dword v178, off, s[0:3], 0 offset:492
	buffer_load_dword v168, off, s[0:3], 0 offset:468
	;; [unrolled: 1-line block ×3, first 2 shown]
	v_add_f64 v[157:158], v[157:158], 0
	v_add_f64 v[159:160], v[159:160], 0
	s_waitcnt lgkmcnt(1)
	v_mul_f64 v[183:184], v[12:13], v[18:19]
	v_mul_f64 v[18:19], v[14:15], v[18:19]
	s_waitcnt vmcnt(58) lgkmcnt(0)
	v_mul_f64 v[179:180], v[1:2], v[22:23]
	v_mul_f64 v[22:23], v[3:4], v[22:23]
	v_add_f64 v[161:162], v[157:158], v[161:162]
	v_add_f64 v[5:6], v[159:160], v[5:6]
	ds_read_b128 v[157:160], v24 offset:1008
	s_waitcnt vmcnt(56)
	v_fma_f64 v[18:19], v[12:13], v[31:32], -v[18:19]
	v_fma_f64 v[31:32], v[14:15], v[31:32], v[183:184]
	s_waitcnt vmcnt(51)
	v_fma_f64 v[22:23], v[1:2], v[16:17], -v[22:23]
	v_fma_f64 v[16:17], v[3:4], v[16:17], v[179:180]
	s_waitcnt lgkmcnt(0)
	v_mul_f64 v[185:186], v[157:158], v[33:34]
	v_add_f64 v[161:162], v[161:162], v[165:166]
	v_add_f64 v[5:6], v[5:6], v[37:38]
	s_clause 0x4
	buffer_load_dword v38, off, s[0:3], 0 offset:508
	buffer_load_dword v165, off, s[0:3], 0 offset:520
	;; [unrolled: 1-line block ×5, first 2 shown]
	v_mul_f64 v[33:34], v[159:160], v[33:34]
	ds_read_b128 v[12:15], v24 offset:1024
	v_add_f64 v[18:19], v[161:162], v[18:19]
	v_add_f64 v[5:6], v[5:6], v[31:32]
	s_clause 0x2
	buffer_load_dword v166, off, s[0:3], 0 offset:524
	buffer_load_dword v32, off, s[0:3], 0 offset:500
	;; [unrolled: 1-line block ×3, first 2 shown]
	s_waitcnt vmcnt(58) lgkmcnt(0)
	v_mul_f64 v[161:162], v[12:13], v[39:40]
	v_mul_f64 v[39:40], v[14:15], v[39:40]
	s_waitcnt vmcnt(56)
	v_fma_f64 v[33:34], v[157:158], v[45:46], -v[33:34]
	ds_read_b128 v[1:4], v24 offset:1040
	v_fma_f64 v[45:46], v[159:160], v[45:46], v[185:186]
	s_clause 0x4
	buffer_load_dword v158, off, s[0:3], 0 offset:540
	buffer_load_dword v159, off, s[0:3], 0 offset:552
	;; [unrolled: 1-line block ×5, first 2 shown]
	v_add_f64 v[22:23], v[18:19], v[22:23]
	v_add_f64 v[5:6], v[5:6], v[16:17]
	ds_read_b128 v[16:19], v24 offset:1056
	s_waitcnt vmcnt(57) lgkmcnt(1)
	v_mul_f64 v[180:181], v[1:2], v[47:48]
	v_mul_f64 v[47:48], v[3:4], v[47:48]
	s_waitcnt vmcnt(56)
	v_fma_f64 v[39:40], v[12:13], v[20:21], -v[39:40]
	v_fma_f64 v[20:21], v[14:15], v[20:21], v[161:162]
	v_add_f64 v[22:23], v[22:23], v[33:34]
	v_add_f64 v[5:6], v[5:6], v[45:46]
	s_clause 0x2
	buffer_load_dword v160, off, s[0:3], 0 offset:556
	buffer_load_dword v34, off, s[0:3], 0 offset:532
	;; [unrolled: 1-line block ×3, first 2 shown]
	s_waitcnt vmcnt(58) lgkmcnt(0)
	v_mul_f64 v[45:46], v[16:17], v[51:52]
	v_mul_f64 v[51:52], v[18:19], v[51:52]
	s_waitcnt vmcnt(56)
	v_fma_f64 v[47:48], v[1:2], v[57:58], -v[47:48]
	ds_read_b128 v[12:15], v24 offset:1072
	v_add_f64 v[22:23], v[22:23], v[39:40]
	v_fma_f64 v[39:40], v[3:4], v[57:58], v[180:181]
	v_add_f64 v[5:6], v[5:6], v[20:21]
	s_clause 0x4
	buffer_load_dword v21, off, s[0:3], 0 offset:572
	buffer_load_dword v57, off, s[0:3], 0 offset:584
	;; [unrolled: 1-line block ×5, first 2 shown]
	s_waitcnt vmcnt(57) lgkmcnt(0)
	v_mul_f64 v[186:187], v[12:13], v[59:60]
	v_mul_f64 v[59:60], v[14:15], v[59:60]
	s_waitcnt vmcnt(56)
	v_fma_f64 v[51:52], v[16:17], v[35:36], -v[51:52]
	ds_read_b128 v[1:4], v24 offset:1088
	v_fma_f64 v[35:36], v[18:19], v[35:36], v[45:46]
	v_add_f64 v[22:23], v[22:23], v[47:48]
	v_add_f64 v[5:6], v[5:6], v[39:40]
	s_clause 0x2
	buffer_load_dword v58, off, s[0:3], 0 offset:588
	buffer_load_dword v40, off, s[0:3], 0 offset:564
	;; [unrolled: 1-line block ×3, first 2 shown]
	ds_read_b128 v[16:19], v24 offset:1104
	s_waitcnt vmcnt(58) lgkmcnt(1)
	v_mul_f64 v[47:48], v[3:4], v[63:64]
	s_waitcnt vmcnt(56)
	v_fma_f64 v[59:60], v[12:13], v[65:66], -v[59:60]
	v_mul_f64 v[45:46], v[1:2], v[63:64]
	v_add_f64 v[22:23], v[22:23], v[51:52]
	v_fma_f64 v[51:52], v[14:15], v[65:66], v[186:187]
	v_add_f64 v[5:6], v[5:6], v[35:36]
	s_clause 0x4
	buffer_load_dword v36, off, s[0:3], 0 offset:604
	buffer_load_dword v63, off, s[0:3], 0 offset:616
	;; [unrolled: 1-line block ×5, first 2 shown]
	s_waitcnt vmcnt(57) lgkmcnt(0)
	v_mul_f64 v[186:187], v[16:17], v[67:68]
	v_mul_f64 v[66:67], v[18:19], v[67:68]
	s_waitcnt vmcnt(56)
	v_fma_f64 v[47:48], v[1:2], v[49:50], -v[47:48]
	ds_read_b128 v[12:15], v24 offset:1120
	v_fma_f64 v[45:46], v[3:4], v[49:50], v[45:46]
	s_clause 0x2
	buffer_load_dword v64, off, s[0:3], 0 offset:620
	buffer_load_dword v50, off, s[0:3], 0 offset:596
	;; [unrolled: 1-line block ×3, first 2 shown]
	ds_read_b128 v[1:4], v24 offset:1136
	v_add_f64 v[22:23], v[22:23], v[59:60]
	v_add_f64 v[5:6], v[5:6], v[51:52]
	s_waitcnt vmcnt(58) lgkmcnt(1)
	v_mul_f64 v[59:60], v[14:15], v[75:76]
	s_waitcnt vmcnt(56)
	v_fma_f64 v[67:68], v[16:17], v[77:78], -v[66:67]
	v_mul_f64 v[51:52], v[12:13], v[75:76]
	v_add_f64 v[22:23], v[22:23], v[47:48]
	v_fma_f64 v[47:48], v[18:19], v[77:78], v[186:187]
	v_add_f64 v[5:6], v[5:6], v[45:46]
	s_clause 0x4
	buffer_load_dword v46, off, s[0:3], 0 offset:636
	buffer_load_dword v75, off, s[0:3], 0 offset:648
	;; [unrolled: 1-line block ×5, first 2 shown]
	s_waitcnt vmcnt(57) lgkmcnt(0)
	v_mul_f64 v[186:187], v[1:2], v[79:80]
	v_mul_f64 v[78:79], v[3:4], v[79:80]
	s_waitcnt vmcnt(56)
	v_fma_f64 v[59:60], v[12:13], v[61:62], -v[59:60]
	ds_read_b128 v[16:19], v24 offset:1152
	v_fma_f64 v[51:52], v[14:15], v[61:62], v[51:52]
	v_add_f64 v[22:23], v[22:23], v[67:68]
	v_add_f64 v[5:6], v[5:6], v[47:48]
	s_clause 0x2
	buffer_load_dword v76, off, s[0:3], 0 offset:652
	buffer_load_dword v48, off, s[0:3], 0 offset:628
	;; [unrolled: 1-line block ×3, first 2 shown]
	ds_read_b128 v[12:15], v24 offset:1168
	s_waitcnt vmcnt(58) lgkmcnt(1)
	v_mul_f64 v[67:68], v[18:19], v[153:154]
	s_waitcnt vmcnt(56)
	v_fma_f64 v[79:80], v[1:2], v[155:156], -v[78:79]
	v_mul_f64 v[61:62], v[16:17], v[153:154]
	v_add_f64 v[22:23], v[22:23], v[59:60]
	v_fma_f64 v[59:60], v[3:4], v[155:156], v[186:187]
	v_add_f64 v[5:6], v[5:6], v[51:52]
	s_clause 0x4
	buffer_load_dword v52, off, s[0:3], 0 offset:668
	buffer_load_dword v153, off, s[0:3], 0 offset:680
	;; [unrolled: 1-line block ×5, first 2 shown]
	s_waitcnt vmcnt(57) lgkmcnt(0)
	v_mul_f64 v[186:187], v[12:13], v[171:172]
	v_mul_f64 v[171:172], v[14:15], v[171:172]
	s_waitcnt vmcnt(56)
	v_fma_f64 v[67:68], v[16:17], v[73:74], -v[67:68]
	ds_read_b128 v[1:4], v24 offset:1184
	v_fma_f64 v[61:62], v[18:19], v[73:74], v[61:62]
	v_add_f64 v[22:23], v[22:23], v[79:80]
	v_add_f64 v[5:6], v[5:6], v[59:60]
	s_clause 0x2
	buffer_load_dword v154, off, s[0:3], 0 offset:684
	buffer_load_dword v60, off, s[0:3], 0 offset:660
	;; [unrolled: 1-line block ×3, first 2 shown]
	ds_read_b128 v[16:19], v24 offset:1200
	s_waitcnt vmcnt(58) lgkmcnt(1)
	v_mul_f64 v[79:80], v[3:4], v[173:174]
	v_mul_f64 v[73:74], v[1:2], v[173:174]
	s_waitcnt vmcnt(56)
	v_fma_f64 v[171:172], v[12:13], v[169:170], -v[171:172]
	v_add_f64 v[22:23], v[22:23], v[67:68]
	v_fma_f64 v[67:68], v[14:15], v[169:170], v[186:187]
	v_add_f64 v[5:6], v[5:6], v[61:62]
	s_clause 0x4
	buffer_load_dword v62, off, s[0:3], 0 offset:700
	buffer_load_dword v169, off, s[0:3], 0 offset:712
	;; [unrolled: 1-line block ×5, first 2 shown]
	s_waitcnt vmcnt(57) lgkmcnt(0)
	v_mul_f64 v[186:187], v[16:17], v[163:164]
	v_mul_f64 v[163:164], v[18:19], v[163:164]
	ds_read_b128 v[12:15], v24 offset:1216
	s_waitcnt vmcnt(56)
	v_fma_f64 v[79:80], v[1:2], v[175:176], -v[79:80]
	v_fma_f64 v[73:74], v[3:4], v[175:176], v[73:74]
	v_add_f64 v[22:23], v[22:23], v[171:172]
	v_add_f64 v[5:6], v[5:6], v[67:68]
	s_clause 0x2
	buffer_load_dword v170, off, s[0:3], 0 offset:716
	buffer_load_dword v68, off, s[0:3], 0 offset:692
	;; [unrolled: 1-line block ×3, first 2 shown]
	s_waitcnt vmcnt(58) lgkmcnt(0)
	v_mul_f64 v[175:176], v[14:15], v[177:178]
	s_waitcnt vmcnt(56)
	v_fma_f64 v[163:164], v[16:17], v[167:168], -v[163:164]
	ds_read_b128 v[1:4], v24 offset:1232
	v_mul_f64 v[171:172], v[12:13], v[177:178]
	v_add_f64 v[22:23], v[22:23], v[79:80]
	v_fma_f64 v[79:80], v[18:19], v[167:168], v[186:187]
	v_add_f64 v[5:6], v[5:6], v[73:74]
	s_clause 0x4
	buffer_load_dword v74, off, s[0:3], 0 offset:732
	buffer_load_dword v167, off, s[0:3], 0 offset:744
	;; [unrolled: 1-line block ×5, first 2 shown]
	ds_read_b128 v[16:19], v24 offset:1248
	s_waitcnt vmcnt(57) lgkmcnt(1)
	v_mul_f64 v[186:187], v[1:2], v[37:38]
	v_mul_f64 v[37:38], v[3:4], v[37:38]
	s_waitcnt vmcnt(56)
	v_fma_f64 v[175:176], v[12:13], v[182:183], -v[175:176]
	v_add_f64 v[22:23], v[22:23], v[163:164]
	v_fma_f64 v[163:164], v[14:15], v[182:183], v[171:172]
	v_add_f64 v[5:6], v[5:6], v[79:80]
	s_clause 0x2
	buffer_load_dword v168, off, s[0:3], 0 offset:748
	buffer_load_dword v80, off, s[0:3], 0 offset:724
	buffer_load_dword v79, off, s[0:3], 0 offset:720
	ds_read_b128 v[12:15], v24 offset:1264
	s_waitcnt vmcnt(58) lgkmcnt(1)
	v_mul_f64 v[171:172], v[16:17], v[165:166]
	v_mul_f64 v[165:166], v[18:19], v[165:166]
	s_waitcnt vmcnt(56)
	v_fma_f64 v[37:38], v[1:2], v[31:32], -v[37:38]
	v_fma_f64 v[31:32], v[3:4], v[31:32], v[186:187]
	v_add_f64 v[22:23], v[22:23], v[175:176]
	v_add_f64 v[5:6], v[5:6], v[163:164]
	s_clause 0x2
	buffer_load_dword v164, off, s[0:3], 0 offset:764
	buffer_load_dword v163, off, s[0:3], 0 offset:760
	;; [unrolled: 1-line block ×3, first 2 shown]
	s_waitcnt vmcnt(55) lgkmcnt(0)
	v_mul_f64 v[175:176], v[12:13], v[157:158]
	v_mul_f64 v[157:158], v[14:15], v[157:158]
	ds_read_b128 v[1:4], v24 offset:1280
	s_waitcnt vmcnt(54)
	v_fma_f64 v[165:166], v[16:17], v[184:185], -v[165:166]
	v_add_f64 v[22:23], v[22:23], v[37:38]
	v_fma_f64 v[37:38], v[18:19], v[184:185], v[171:172]
	v_add_f64 v[5:6], v[5:6], v[31:32]
	s_clause 0x1
	buffer_load_dword v32, off, s[0:3], 0 offset:756
	buffer_load_dword v31, off, s[0:3], 0 offset:752
	ds_read_b128 v[16:19], v24 offset:1296
	s_waitcnt vmcnt(55) lgkmcnt(1)
	v_mul_f64 v[171:172], v[1:2], v[159:160]
	v_mul_f64 v[159:160], v[3:4], v[159:160]
	s_waitcnt vmcnt(53)
	v_fma_f64 v[157:158], v[12:13], v[33:34], -v[157:158]
	v_fma_f64 v[33:34], v[14:15], v[33:34], v[175:176]
	ds_read_b128 v[12:15], v24 offset:1312
	v_add_f64 v[22:23], v[22:23], v[165:166]
	v_add_f64 v[5:6], v[5:6], v[37:38]
	s_waitcnt vmcnt(49) lgkmcnt(1)
	v_mul_f64 v[37:38], v[16:17], v[20:21]
	v_mul_f64 v[20:21], v[18:19], v[20:21]
	s_waitcnt vmcnt(48)
	v_fma_f64 v[159:160], v[1:2], v[179:180], -v[159:160]
	v_add_f64 v[22:23], v[22:23], v[157:158]
	v_fma_f64 v[157:158], v[3:4], v[179:180], v[171:172]
	v_add_f64 v[5:6], v[5:6], v[33:34]
	s_clause 0x3
	buffer_load_dword v33, off, s[0:3], 0 offset:176
	buffer_load_dword v34, off, s[0:3], 0 offset:180
	;; [unrolled: 1-line block ×4, first 2 shown]
	ds_read_b128 v[1:4], v24 offset:1328
	s_waitcnt vmcnt(51) lgkmcnt(1)
	v_mul_f64 v[171:172], v[12:13], v[57:58]
	v_mul_f64 v[57:58], v[14:15], v[57:58]
	s_waitcnt vmcnt(49)
	v_fma_f64 v[20:21], v[16:17], v[39:40], -v[20:21]
	v_fma_f64 v[37:38], v[18:19], v[39:40], v[37:38]
	ds_read_b128 v[16:19], v24 offset:1344
	v_add_f64 v[22:23], v[22:23], v[159:160]
	v_add_f64 v[5:6], v[5:6], v[157:158]
	s_waitcnt vmcnt(45) lgkmcnt(1)
	v_mul_f64 v[39:40], v[1:2], v[35:36]
	v_mul_f64 v[35:36], v[3:4], v[35:36]
	s_waitcnt vmcnt(44)
	v_fma_f64 v[57:58], v[12:13], v[161:162], -v[57:58]
	v_add_f64 v[20:21], v[22:23], v[20:21]
	v_fma_f64 v[22:23], v[14:15], v[161:162], v[171:172]
	v_add_f64 v[5:6], v[5:6], v[37:38]
	s_waitcnt vmcnt(43) lgkmcnt(0)
	v_mul_f64 v[37:38], v[16:17], v[63:64]
	v_mul_f64 v[63:64], v[18:19], v[63:64]
	ds_read_b128 v[12:15], v24 offset:1360
	s_waitcnt vmcnt(41)
	v_fma_f64 v[39:40], v[3:4], v[49:50], v[39:40]
	v_fma_f64 v[35:36], v[1:2], v[49:50], -v[35:36]
	ds_read_b128 v[1:4], v24 offset:1376
	v_add_f64 v[20:21], v[20:21], v[57:58]
	v_add_f64 v[5:6], v[5:6], v[22:23]
	s_waitcnt vmcnt(37) lgkmcnt(1)
	v_mul_f64 v[22:23], v[12:13], v[45:46]
	v_mul_f64 v[45:46], v[14:15], v[45:46]
	s_waitcnt vmcnt(36)
	v_fma_f64 v[49:50], v[16:17], v[65:66], -v[63:64]
	v_add_f64 v[20:21], v[20:21], v[35:36]
	v_fma_f64 v[35:36], v[18:19], v[65:66], v[37:38]
	v_add_f64 v[5:6], v[5:6], v[39:40]
	ds_read_b128 v[16:19], v24 offset:1392
	s_waitcnt vmcnt(35) lgkmcnt(1)
	v_mul_f64 v[39:40], v[3:4], v[75:76]
	v_mul_f64 v[37:38], v[1:2], v[75:76]
	s_waitcnt vmcnt(33)
	v_fma_f64 v[45:46], v[12:13], v[47:48], -v[45:46]
	v_fma_f64 v[22:23], v[14:15], v[47:48], v[22:23]
	ds_read_b128 v[12:15], v24 offset:1408
	v_add_f64 v[20:21], v[20:21], v[49:50]
	v_add_f64 v[5:6], v[5:6], v[35:36]
	s_waitcnt vmcnt(29) lgkmcnt(1)
	v_mul_f64 v[47:48], v[18:19], v[51:52]
	s_waitcnt vmcnt(28)
	v_fma_f64 v[39:40], v[1:2], v[77:78], -v[39:40]
	v_mul_f64 v[35:36], v[16:17], v[51:52]
	v_fma_f64 v[37:38], v[3:4], v[77:78], v[37:38]
	ds_read_b128 v[1:4], v24 offset:1424
	v_add_f64 v[20:21], v[20:21], v[45:46]
	v_add_f64 v[5:6], v[5:6], v[22:23]
	s_waitcnt vmcnt(27) lgkmcnt(1)
	v_mul_f64 v[45:46], v[14:15], v[153:154]
	v_mul_f64 v[22:23], v[12:13], v[153:154]
	s_waitcnt vmcnt(25)
	v_fma_f64 v[47:48], v[16:17], v[59:60], -v[47:48]
	v_fma_f64 v[35:36], v[18:19], v[59:60], v[35:36]
	ds_read_b128 v[16:19], v24 offset:1440
	v_add_f64 v[20:21], v[20:21], v[39:40]
	v_add_f64 v[5:6], v[5:6], v[37:38]
	s_waitcnt vmcnt(21) lgkmcnt(1)
	v_mul_f64 v[39:40], v[3:4], v[61:62]
	s_waitcnt vmcnt(20)
	v_fma_f64 v[45:46], v[12:13], v[155:156], -v[45:46]
	v_mul_f64 v[37:38], v[1:2], v[61:62]
	v_fma_f64 v[22:23], v[14:15], v[155:156], v[22:23]
	ds_read_b128 v[12:15], v24 offset:1456
	v_add_f64 v[20:21], v[20:21], v[47:48]
	v_add_f64 v[5:6], v[5:6], v[35:36]
	;; [unrolled: 18-line block ×3, first 2 shown]
	s_waitcnt vmcnt(11) lgkmcnt(1)
	v_mul_f64 v[39:40], v[3:4], v[167:168]
	v_mul_f64 v[37:38], v[1:2], v[167:168]
	s_waitcnt vmcnt(9)
	v_fma_f64 v[12:13], v[12:13], v[79:80], -v[45:46]
	v_fma_f64 v[14:15], v[14:15], v[79:80], v[22:23]
	v_add_f64 v[20:21], v[20:21], v[47:48]
	v_add_f64 v[5:6], v[5:6], v[35:36]
	s_waitcnt vmcnt(7) lgkmcnt(0)
	v_mul_f64 v[35:36], v[18:19], v[163:164]
	s_waitcnt vmcnt(6)
	v_fma_f64 v[1:2], v[1:2], v[177:178], -v[39:40]
	v_mul_f64 v[22:23], v[16:17], v[163:164]
	v_fma_f64 v[3:4], v[3:4], v[177:178], v[37:38]
	v_add_f64 v[12:13], v[20:21], v[12:13]
	v_add_f64 v[5:6], v[5:6], v[14:15]
	s_waitcnt vmcnt(4)
	v_fma_f64 v[14:15], v[16:17], v[31:32], -v[35:36]
	v_add_f64 v[1:2], v[12:13], v[1:2]
	v_fma_f64 v[12:13], v[18:19], v[31:32], v[22:23]
	v_add_f64 v[3:4], v[5:6], v[3:4]
	v_add_f64 v[1:2], v[1:2], v[14:15]
	;; [unrolled: 1-line block ×3, first 2 shown]
	s_waitcnt vmcnt(2)
	v_add_f64 v[1:2], v[33:34], -v[1:2]
	s_waitcnt vmcnt(0)
	v_add_f64 v[3:4], v[165:166], -v[3:4]
	buffer_store_dword v2, off, s[0:3], 0 offset:180
	buffer_store_dword v1, off, s[0:3], 0 offset:176
	;; [unrolled: 1-line block ×4, first 2 shown]
	v_cmpx_lt_u32_e32 9, v0
	s_cbranch_execz .LBB46_277
; %bb.276:
	v_mov_b32_e32 v4, s54
	v_mov_b32_e32 v5, 0
	s_clause 0x3
	buffer_load_dword v1, v4, s[0:3], 0 offen
	buffer_load_dword v2, v4, s[0:3], 0 offen offset:4
	buffer_load_dword v3, v4, s[0:3], 0 offen offset:8
	;; [unrolled: 1-line block ×3, first 2 shown]
	buffer_store_dword v5, off, s[0:3], 0 offset:160
	buffer_store_dword v5, off, s[0:3], 0 offset:164
	;; [unrolled: 1-line block ×4, first 2 shown]
	s_waitcnt vmcnt(0)
	ds_write_b128 v7, v[1:4]
.LBB46_277:
	s_or_b32 exec_lo, exec_lo, s4
	s_waitcnt lgkmcnt(0)
	s_waitcnt_vscnt null, 0x0
	s_barrier
	buffer_gl0_inv
	s_clause 0x37
	buffer_load_dword v14, off, s[0:3], 0 offset:184
	buffer_load_dword v15, off, s[0:3], 0 offset:188
	buffer_load_dword v5, off, s[0:3], 0 offset:200
	buffer_load_dword v6, off, s[0:3], 0 offset:204
	buffer_load_dword v12, off, s[0:3], 0 offset:176
	buffer_load_dword v13, off, s[0:3], 0 offset:180
	buffer_load_dword v3, off, s[0:3], 0 offset:216
	buffer_load_dword v4, off, s[0:3], 0 offset:220
	buffer_load_dword v1, off, s[0:3], 0 offset:192
	buffer_load_dword v2, off, s[0:3], 0 offset:196
	buffer_load_dword v19, off, s[0:3], 0 offset:236
	buffer_load_dword v22, off, s[0:3], 0 offset:248
	buffer_load_dword v16, off, s[0:3], 0 offset:240
	buffer_load_dword v18, off, s[0:3], 0 offset:232
	buffer_load_dword v37, off, s[0:3], 0 offset:208
	buffer_load_dword v38, off, s[0:3], 0 offset:212
	buffer_load_dword v23, off, s[0:3], 0 offset:252
	buffer_load_dword v32, off, s[0:3], 0 offset:228
	buffer_load_dword v31, off, s[0:3], 0 offset:224
	buffer_load_dword v34, off, s[0:3], 0 offset:268
	buffer_load_dword v39, off, s[0:3], 0 offset:280
	buffer_load_dword v20, off, s[0:3], 0 offset:272
	buffer_load_dword v33, off, s[0:3], 0 offset:264
	buffer_load_dword v17, off, s[0:3], 0 offset:244
	buffer_load_dword v40, off, s[0:3], 0 offset:284
	buffer_load_dword v46, off, s[0:3], 0 offset:260
	buffer_load_dword v45, off, s[0:3], 0 offset:256
	buffer_load_dword v48, off, s[0:3], 0 offset:300
	buffer_load_dword v51, off, s[0:3], 0 offset:312
	buffer_load_dword v35, off, s[0:3], 0 offset:304
	buffer_load_dword v47, off, s[0:3], 0 offset:296
	buffer_load_dword v21, off, s[0:3], 0 offset:276
	buffer_load_dword v52, off, s[0:3], 0 offset:316
	buffer_load_dword v58, off, s[0:3], 0 offset:292
	buffer_load_dword v57, off, s[0:3], 0 offset:288
	buffer_load_dword v60, off, s[0:3], 0 offset:332
	buffer_load_dword v63, off, s[0:3], 0 offset:344
	buffer_load_dword v49, off, s[0:3], 0 offset:336
	buffer_load_dword v59, off, s[0:3], 0 offset:328
	buffer_load_dword v36, off, s[0:3], 0 offset:308
	buffer_load_dword v64, off, s[0:3], 0 offset:348
	buffer_load_dword v66, off, s[0:3], 0 offset:324
	buffer_load_dword v65, off, s[0:3], 0 offset:320
	buffer_load_dword v68, off, s[0:3], 0 offset:364
	buffer_load_dword v75, off, s[0:3], 0 offset:376
	buffer_load_dword v61, off, s[0:3], 0 offset:368
	buffer_load_dword v67, off, s[0:3], 0 offset:360
	buffer_load_dword v50, off, s[0:3], 0 offset:340
	buffer_load_dword v76, off, s[0:3], 0 offset:380
	buffer_load_dword v78, off, s[0:3], 0 offset:356
	buffer_load_dword v77, off, s[0:3], 0 offset:352
	buffer_load_dword v80, off, s[0:3], 0 offset:396
	buffer_load_dword v153, off, s[0:3], 0 offset:408
	buffer_load_dword v73, off, s[0:3], 0 offset:400
	buffer_load_dword v79, off, s[0:3], 0 offset:392
	buffer_load_dword v62, off, s[0:3], 0 offset:372
	v_mov_b32_e32 v24, 0
	s_mov_b32 s4, exec_lo
	ds_read_b128 v[157:160], v24 offset:912
	s_clause 0x2
	buffer_load_dword v154, off, s[0:3], 0 offset:412
	buffer_load_dword v156, off, s[0:3], 0 offset:388
	;; [unrolled: 1-line block ×3, first 2 shown]
	ds_read_b128 v[161:164], v24 offset:928
	s_clause 0x4
	buffer_load_dword v172, off, s[0:3], 0 offset:428
	buffer_load_dword v173, off, s[0:3], 0 offset:440
	;; [unrolled: 1-line block ×5, first 2 shown]
	ds_read_b128 v[165:168], v24 offset:944
	s_waitcnt vmcnt(62) lgkmcnt(2)
	v_mul_f64 v[169:170], v[159:160], v[14:15]
	v_mul_f64 v[14:15], v[157:158], v[14:15]
	s_waitcnt vmcnt(60) lgkmcnt(1)
	v_mul_f64 v[176:177], v[163:164], v[5:6]
	v_mul_f64 v[5:6], v[161:162], v[5:6]
	;; [unrolled: 3-line block ×3, first 2 shown]
	v_fma_f64 v[157:158], v[157:158], v[12:13], -v[169:170]
	v_fma_f64 v[159:160], v[159:160], v[12:13], v[14:15]
	s_clause 0x2
	buffer_load_dword v174, off, s[0:3], 0 offset:444
	buffer_load_dword v170, off, s[0:3], 0 offset:420
	;; [unrolled: 1-line block ×3, first 2 shown]
	s_waitcnt vmcnt(57)
	v_fma_f64 v[161:162], v[161:162], v[1:2], -v[176:177]
	ds_read_b128 v[12:15], v24 offset:960
	v_fma_f64 v[5:6], v[163:164], v[1:2], v[5:6]
	s_clause 0x4
	buffer_load_dword v164, off, s[0:3], 0 offset:460
	buffer_load_dword v177, off, s[0:3], 0 offset:472
	;; [unrolled: 1-line block ×5, first 2 shown]
	s_waitcnt vmcnt(56)
	v_fma_f64 v[165:166], v[165:166], v[37:38], -v[180:181]
	ds_read_b128 v[1:4], v24 offset:976
	v_fma_f64 v[37:38], v[167:168], v[37:38], v[178:179]
	s_clause 0x2
	buffer_load_dword v178, off, s[0:3], 0 offset:476
	buffer_load_dword v168, off, s[0:3], 0 offset:452
	;; [unrolled: 1-line block ×3, first 2 shown]
	v_add_f64 v[157:158], v[157:158], 0
	v_add_f64 v[159:160], v[159:160], 0
	s_waitcnt lgkmcnt(1)
	v_mul_f64 v[183:184], v[12:13], v[18:19]
	v_mul_f64 v[18:19], v[14:15], v[18:19]
	s_waitcnt vmcnt(58) lgkmcnt(0)
	v_mul_f64 v[179:180], v[1:2], v[22:23]
	v_mul_f64 v[22:23], v[3:4], v[22:23]
	v_add_f64 v[161:162], v[157:158], v[161:162]
	v_add_f64 v[5:6], v[159:160], v[5:6]
	ds_read_b128 v[157:160], v24 offset:992
	s_waitcnt vmcnt(56)
	v_fma_f64 v[18:19], v[12:13], v[31:32], -v[18:19]
	v_fma_f64 v[31:32], v[14:15], v[31:32], v[183:184]
	s_waitcnt vmcnt(51)
	v_fma_f64 v[22:23], v[1:2], v[16:17], -v[22:23]
	v_fma_f64 v[16:17], v[3:4], v[16:17], v[179:180]
	s_waitcnt lgkmcnt(0)
	v_mul_f64 v[185:186], v[157:158], v[33:34]
	v_add_f64 v[161:162], v[161:162], v[165:166]
	v_add_f64 v[5:6], v[5:6], v[37:38]
	s_clause 0x4
	buffer_load_dword v38, off, s[0:3], 0 offset:492
	buffer_load_dword v165, off, s[0:3], 0 offset:504
	;; [unrolled: 1-line block ×5, first 2 shown]
	v_mul_f64 v[33:34], v[159:160], v[33:34]
	ds_read_b128 v[12:15], v24 offset:1008
	v_add_f64 v[18:19], v[161:162], v[18:19]
	v_add_f64 v[5:6], v[5:6], v[31:32]
	s_clause 0x2
	buffer_load_dword v166, off, s[0:3], 0 offset:508
	buffer_load_dword v32, off, s[0:3], 0 offset:484
	;; [unrolled: 1-line block ×3, first 2 shown]
	s_waitcnt vmcnt(58) lgkmcnt(0)
	v_mul_f64 v[161:162], v[12:13], v[39:40]
	v_mul_f64 v[39:40], v[14:15], v[39:40]
	s_waitcnt vmcnt(56)
	v_fma_f64 v[33:34], v[157:158], v[45:46], -v[33:34]
	ds_read_b128 v[1:4], v24 offset:1024
	v_fma_f64 v[45:46], v[159:160], v[45:46], v[185:186]
	s_clause 0x4
	buffer_load_dword v158, off, s[0:3], 0 offset:524
	buffer_load_dword v159, off, s[0:3], 0 offset:536
	;; [unrolled: 1-line block ×5, first 2 shown]
	v_add_f64 v[22:23], v[18:19], v[22:23]
	v_add_f64 v[5:6], v[5:6], v[16:17]
	ds_read_b128 v[16:19], v24 offset:1040
	s_waitcnt vmcnt(57) lgkmcnt(1)
	v_mul_f64 v[180:181], v[1:2], v[47:48]
	v_mul_f64 v[47:48], v[3:4], v[47:48]
	s_waitcnt vmcnt(56)
	v_fma_f64 v[39:40], v[12:13], v[20:21], -v[39:40]
	v_fma_f64 v[20:21], v[14:15], v[20:21], v[161:162]
	v_add_f64 v[22:23], v[22:23], v[33:34]
	v_add_f64 v[5:6], v[5:6], v[45:46]
	s_clause 0x2
	buffer_load_dword v160, off, s[0:3], 0 offset:540
	buffer_load_dword v34, off, s[0:3], 0 offset:516
	;; [unrolled: 1-line block ×3, first 2 shown]
	s_waitcnt vmcnt(58) lgkmcnt(0)
	v_mul_f64 v[45:46], v[16:17], v[51:52]
	v_mul_f64 v[51:52], v[18:19], v[51:52]
	s_waitcnt vmcnt(56)
	v_fma_f64 v[47:48], v[1:2], v[57:58], -v[47:48]
	ds_read_b128 v[12:15], v24 offset:1056
	v_add_f64 v[22:23], v[22:23], v[39:40]
	v_fma_f64 v[39:40], v[3:4], v[57:58], v[180:181]
	v_add_f64 v[5:6], v[5:6], v[20:21]
	s_clause 0x4
	buffer_load_dword v21, off, s[0:3], 0 offset:556
	buffer_load_dword v57, off, s[0:3], 0 offset:568
	;; [unrolled: 1-line block ×5, first 2 shown]
	s_waitcnt vmcnt(57) lgkmcnt(0)
	v_mul_f64 v[186:187], v[12:13], v[59:60]
	v_mul_f64 v[59:60], v[14:15], v[59:60]
	s_waitcnt vmcnt(56)
	v_fma_f64 v[51:52], v[16:17], v[35:36], -v[51:52]
	ds_read_b128 v[1:4], v24 offset:1072
	v_fma_f64 v[35:36], v[18:19], v[35:36], v[45:46]
	v_add_f64 v[22:23], v[22:23], v[47:48]
	v_add_f64 v[5:6], v[5:6], v[39:40]
	s_clause 0x2
	buffer_load_dword v58, off, s[0:3], 0 offset:572
	buffer_load_dword v40, off, s[0:3], 0 offset:548
	;; [unrolled: 1-line block ×3, first 2 shown]
	ds_read_b128 v[16:19], v24 offset:1088
	s_waitcnt vmcnt(58) lgkmcnt(1)
	v_mul_f64 v[47:48], v[3:4], v[63:64]
	s_waitcnt vmcnt(56)
	v_fma_f64 v[59:60], v[12:13], v[65:66], -v[59:60]
	v_mul_f64 v[45:46], v[1:2], v[63:64]
	v_add_f64 v[22:23], v[22:23], v[51:52]
	v_fma_f64 v[51:52], v[14:15], v[65:66], v[186:187]
	v_add_f64 v[5:6], v[5:6], v[35:36]
	s_clause 0x4
	buffer_load_dword v36, off, s[0:3], 0 offset:588
	buffer_load_dword v63, off, s[0:3], 0 offset:600
	;; [unrolled: 1-line block ×5, first 2 shown]
	s_waitcnt vmcnt(57) lgkmcnt(0)
	v_mul_f64 v[186:187], v[16:17], v[67:68]
	v_mul_f64 v[66:67], v[18:19], v[67:68]
	s_waitcnt vmcnt(56)
	v_fma_f64 v[47:48], v[1:2], v[49:50], -v[47:48]
	ds_read_b128 v[12:15], v24 offset:1104
	v_fma_f64 v[45:46], v[3:4], v[49:50], v[45:46]
	s_clause 0x2
	buffer_load_dword v64, off, s[0:3], 0 offset:604
	buffer_load_dword v50, off, s[0:3], 0 offset:580
	;; [unrolled: 1-line block ×3, first 2 shown]
	ds_read_b128 v[1:4], v24 offset:1120
	v_add_f64 v[22:23], v[22:23], v[59:60]
	v_add_f64 v[5:6], v[5:6], v[51:52]
	s_waitcnt vmcnt(58) lgkmcnt(1)
	v_mul_f64 v[59:60], v[14:15], v[75:76]
	s_waitcnt vmcnt(56)
	v_fma_f64 v[67:68], v[16:17], v[77:78], -v[66:67]
	v_mul_f64 v[51:52], v[12:13], v[75:76]
	v_add_f64 v[22:23], v[22:23], v[47:48]
	v_fma_f64 v[47:48], v[18:19], v[77:78], v[186:187]
	v_add_f64 v[5:6], v[5:6], v[45:46]
	s_clause 0x4
	buffer_load_dword v46, off, s[0:3], 0 offset:620
	buffer_load_dword v75, off, s[0:3], 0 offset:632
	;; [unrolled: 1-line block ×5, first 2 shown]
	s_waitcnt vmcnt(57) lgkmcnt(0)
	v_mul_f64 v[186:187], v[1:2], v[79:80]
	v_mul_f64 v[78:79], v[3:4], v[79:80]
	s_waitcnt vmcnt(56)
	v_fma_f64 v[59:60], v[12:13], v[61:62], -v[59:60]
	ds_read_b128 v[16:19], v24 offset:1136
	v_fma_f64 v[51:52], v[14:15], v[61:62], v[51:52]
	v_add_f64 v[22:23], v[22:23], v[67:68]
	v_add_f64 v[5:6], v[5:6], v[47:48]
	s_clause 0x2
	buffer_load_dword v76, off, s[0:3], 0 offset:636
	buffer_load_dword v48, off, s[0:3], 0 offset:612
	;; [unrolled: 1-line block ×3, first 2 shown]
	ds_read_b128 v[12:15], v24 offset:1152
	s_waitcnt vmcnt(58) lgkmcnt(1)
	v_mul_f64 v[67:68], v[18:19], v[153:154]
	s_waitcnt vmcnt(56)
	v_fma_f64 v[79:80], v[1:2], v[155:156], -v[78:79]
	v_mul_f64 v[61:62], v[16:17], v[153:154]
	v_add_f64 v[22:23], v[22:23], v[59:60]
	v_fma_f64 v[59:60], v[3:4], v[155:156], v[186:187]
	v_add_f64 v[5:6], v[5:6], v[51:52]
	s_clause 0x4
	buffer_load_dword v52, off, s[0:3], 0 offset:652
	buffer_load_dword v153, off, s[0:3], 0 offset:664
	;; [unrolled: 1-line block ×5, first 2 shown]
	s_waitcnt vmcnt(57) lgkmcnt(0)
	v_mul_f64 v[186:187], v[12:13], v[171:172]
	v_mul_f64 v[171:172], v[14:15], v[171:172]
	s_waitcnt vmcnt(56)
	v_fma_f64 v[67:68], v[16:17], v[73:74], -v[67:68]
	ds_read_b128 v[1:4], v24 offset:1168
	v_fma_f64 v[61:62], v[18:19], v[73:74], v[61:62]
	v_add_f64 v[22:23], v[22:23], v[79:80]
	v_add_f64 v[5:6], v[5:6], v[59:60]
	s_clause 0x2
	buffer_load_dword v154, off, s[0:3], 0 offset:668
	buffer_load_dword v60, off, s[0:3], 0 offset:644
	;; [unrolled: 1-line block ×3, first 2 shown]
	ds_read_b128 v[16:19], v24 offset:1184
	s_waitcnt vmcnt(58) lgkmcnt(1)
	v_mul_f64 v[79:80], v[3:4], v[173:174]
	v_mul_f64 v[73:74], v[1:2], v[173:174]
	s_waitcnt vmcnt(56)
	v_fma_f64 v[171:172], v[12:13], v[169:170], -v[171:172]
	v_add_f64 v[22:23], v[22:23], v[67:68]
	v_fma_f64 v[67:68], v[14:15], v[169:170], v[186:187]
	v_add_f64 v[5:6], v[5:6], v[61:62]
	s_clause 0x4
	buffer_load_dword v62, off, s[0:3], 0 offset:684
	buffer_load_dword v169, off, s[0:3], 0 offset:696
	;; [unrolled: 1-line block ×5, first 2 shown]
	s_waitcnt vmcnt(57) lgkmcnt(0)
	v_mul_f64 v[186:187], v[16:17], v[163:164]
	v_mul_f64 v[163:164], v[18:19], v[163:164]
	ds_read_b128 v[12:15], v24 offset:1200
	s_waitcnt vmcnt(56)
	v_fma_f64 v[79:80], v[1:2], v[175:176], -v[79:80]
	v_fma_f64 v[73:74], v[3:4], v[175:176], v[73:74]
	v_add_f64 v[22:23], v[22:23], v[171:172]
	v_add_f64 v[5:6], v[5:6], v[67:68]
	s_clause 0x2
	buffer_load_dword v170, off, s[0:3], 0 offset:700
	buffer_load_dword v68, off, s[0:3], 0 offset:676
	;; [unrolled: 1-line block ×3, first 2 shown]
	s_waitcnt vmcnt(58) lgkmcnt(0)
	v_mul_f64 v[175:176], v[14:15], v[177:178]
	s_waitcnt vmcnt(56)
	v_fma_f64 v[163:164], v[16:17], v[167:168], -v[163:164]
	ds_read_b128 v[1:4], v24 offset:1216
	v_mul_f64 v[171:172], v[12:13], v[177:178]
	v_add_f64 v[22:23], v[22:23], v[79:80]
	v_fma_f64 v[79:80], v[18:19], v[167:168], v[186:187]
	v_add_f64 v[5:6], v[5:6], v[73:74]
	s_clause 0x4
	buffer_load_dword v74, off, s[0:3], 0 offset:716
	buffer_load_dword v167, off, s[0:3], 0 offset:728
	;; [unrolled: 1-line block ×5, first 2 shown]
	ds_read_b128 v[16:19], v24 offset:1232
	s_waitcnt vmcnt(57) lgkmcnt(1)
	v_mul_f64 v[186:187], v[1:2], v[37:38]
	v_mul_f64 v[37:38], v[3:4], v[37:38]
	s_waitcnt vmcnt(56)
	v_fma_f64 v[175:176], v[12:13], v[182:183], -v[175:176]
	v_add_f64 v[22:23], v[22:23], v[163:164]
	v_fma_f64 v[163:164], v[14:15], v[182:183], v[171:172]
	v_add_f64 v[5:6], v[5:6], v[79:80]
	s_clause 0x2
	buffer_load_dword v168, off, s[0:3], 0 offset:732
	buffer_load_dword v80, off, s[0:3], 0 offset:708
	;; [unrolled: 1-line block ×3, first 2 shown]
	ds_read_b128 v[12:15], v24 offset:1248
	s_waitcnt vmcnt(58) lgkmcnt(1)
	v_mul_f64 v[171:172], v[16:17], v[165:166]
	v_mul_f64 v[165:166], v[18:19], v[165:166]
	s_waitcnt vmcnt(56)
	v_fma_f64 v[37:38], v[1:2], v[31:32], -v[37:38]
	v_fma_f64 v[31:32], v[3:4], v[31:32], v[186:187]
	v_add_f64 v[22:23], v[22:23], v[175:176]
	v_add_f64 v[5:6], v[5:6], v[163:164]
	s_clause 0x4
	buffer_load_dword v164, off, s[0:3], 0 offset:748
	buffer_load_dword v175, off, s[0:3], 0 offset:760
	;; [unrolled: 1-line block ×5, first 2 shown]
	s_waitcnt vmcnt(57) lgkmcnt(0)
	v_mul_f64 v[182:183], v[12:13], v[157:158]
	v_mul_f64 v[157:158], v[14:15], v[157:158]
	ds_read_b128 v[1:4], v24 offset:1264
	s_waitcnt vmcnt(56)
	v_fma_f64 v[165:166], v[16:17], v[184:185], -v[165:166]
	v_add_f64 v[22:23], v[22:23], v[37:38]
	v_fma_f64 v[37:38], v[18:19], v[184:185], v[171:172]
	v_add_f64 v[5:6], v[5:6], v[31:32]
	s_clause 0x2
	buffer_load_dword v176, off, s[0:3], 0 offset:764
	buffer_load_dword v32, off, s[0:3], 0 offset:740
	buffer_load_dword v31, off, s[0:3], 0 offset:736
	ds_read_b128 v[16:19], v24 offset:1280
	s_waitcnt vmcnt(58) lgkmcnt(1)
	v_mul_f64 v[171:172], v[1:2], v[159:160]
	v_mul_f64 v[159:160], v[3:4], v[159:160]
	s_waitcnt vmcnt(56)
	v_fma_f64 v[157:158], v[12:13], v[33:34], -v[157:158]
	v_fma_f64 v[33:34], v[14:15], v[33:34], v[182:183]
	buffer_load_dword v182, off, s[0:3], 0 offset:756
	ds_read_b128 v[12:15], v24 offset:1296
	v_add_f64 v[22:23], v[22:23], v[165:166]
	v_add_f64 v[5:6], v[5:6], v[37:38]
	s_waitcnt vmcnt(53) lgkmcnt(1)
	v_mul_f64 v[37:38], v[16:17], v[20:21]
	v_mul_f64 v[20:21], v[18:19], v[20:21]
	s_waitcnt vmcnt(52)
	v_fma_f64 v[159:160], v[1:2], v[179:180], -v[159:160]
	v_add_f64 v[22:23], v[22:23], v[157:158]
	v_fma_f64 v[157:158], v[3:4], v[179:180], v[171:172]
	v_add_f64 v[5:6], v[5:6], v[33:34]
	ds_read_b128 v[1:4], v24 offset:1312
	s_waitcnt vmcnt(51) lgkmcnt(1)
	v_mul_f64 v[33:34], v[12:13], v[57:58]
	v_mul_f64 v[57:58], v[14:15], v[57:58]
	s_waitcnt vmcnt(49)
	v_fma_f64 v[20:21], v[16:17], v[39:40], -v[20:21]
	v_fma_f64 v[37:38], v[18:19], v[39:40], v[37:38]
	v_add_f64 v[22:23], v[22:23], v[159:160]
	v_add_f64 v[5:6], v[5:6], v[157:158]
	s_clause 0x3
	buffer_load_dword v39, off, s[0:3], 0 offset:160
	buffer_load_dword v40, off, s[0:3], 0 offset:164
	;; [unrolled: 1-line block ×4, first 2 shown]
	ds_read_b128 v[16:19], v24 offset:1328
	s_waitcnt vmcnt(49) lgkmcnt(1)
	v_mul_f64 v[159:160], v[1:2], v[35:36]
	v_mul_f64 v[35:36], v[3:4], v[35:36]
	s_waitcnt vmcnt(48)
	v_fma_f64 v[57:58], v[12:13], v[161:162], -v[57:58]
	v_add_f64 v[20:21], v[22:23], v[20:21]
	v_fma_f64 v[22:23], v[14:15], v[161:162], v[33:34]
	v_add_f64 v[5:6], v[5:6], v[37:38]
	ds_read_b128 v[12:15], v24 offset:1344
	s_waitcnt vmcnt(47) lgkmcnt(1)
	v_mul_f64 v[37:38], v[18:19], v[63:64]
	v_mul_f64 v[33:34], v[16:17], v[63:64]
	s_waitcnt vmcnt(45)
	v_fma_f64 v[35:36], v[1:2], v[49:50], -v[35:36]
	v_fma_f64 v[49:50], v[3:4], v[49:50], v[159:160]
	ds_read_b128 v[1:4], v24 offset:1360
	v_add_f64 v[20:21], v[20:21], v[57:58]
	v_add_f64 v[5:6], v[5:6], v[22:23]
	s_waitcnt vmcnt(41) lgkmcnt(1)
	v_mul_f64 v[22:23], v[12:13], v[45:46]
	v_mul_f64 v[45:46], v[14:15], v[45:46]
	s_waitcnt vmcnt(40)
	v_fma_f64 v[37:38], v[16:17], v[65:66], -v[37:38]
	v_fma_f64 v[33:34], v[18:19], v[65:66], v[33:34]
	ds_read_b128 v[16:19], v24 offset:1376
	v_add_f64 v[20:21], v[20:21], v[35:36]
	v_add_f64 v[5:6], v[5:6], v[49:50]
	;; [unrolled: 9-line block ×3, first 2 shown]
	s_waitcnt vmcnt(33) lgkmcnt(1)
	v_mul_f64 v[37:38], v[18:19], v[51:52]
	s_waitcnt vmcnt(32)
	v_fma_f64 v[47:48], v[1:2], v[77:78], -v[49:50]
	v_mul_f64 v[33:34], v[16:17], v[51:52]
	v_fma_f64 v[35:36], v[3:4], v[77:78], v[35:36]
	ds_read_b128 v[1:4], v24 offset:1408
	v_add_f64 v[20:21], v[20:21], v[45:46]
	v_add_f64 v[5:6], v[5:6], v[22:23]
	s_waitcnt vmcnt(31) lgkmcnt(1)
	v_mul_f64 v[45:46], v[14:15], v[153:154]
	v_mul_f64 v[22:23], v[12:13], v[153:154]
	s_waitcnt vmcnt(29)
	v_fma_f64 v[37:38], v[16:17], v[59:60], -v[37:38]
	v_fma_f64 v[33:34], v[18:19], v[59:60], v[33:34]
	ds_read_b128 v[16:19], v24 offset:1424
	v_add_f64 v[20:21], v[20:21], v[47:48]
	v_add_f64 v[5:6], v[5:6], v[35:36]
	s_waitcnt vmcnt(25) lgkmcnt(1)
	v_mul_f64 v[47:48], v[3:4], v[61:62]
	s_waitcnt vmcnt(24)
	v_fma_f64 v[45:46], v[12:13], v[155:156], -v[45:46]
	v_mul_f64 v[35:36], v[1:2], v[61:62]
	v_fma_f64 v[22:23], v[14:15], v[155:156], v[22:23]
	ds_read_b128 v[12:15], v24 offset:1440
	v_add_f64 v[20:21], v[20:21], v[37:38]
	v_add_f64 v[5:6], v[5:6], v[33:34]
	s_waitcnt vmcnt(23) lgkmcnt(1)
	v_mul_f64 v[37:38], v[18:19], v[169:170]
	v_mul_f64 v[33:34], v[16:17], v[169:170]
	s_waitcnt vmcnt(21)
	v_fma_f64 v[47:48], v[1:2], v[67:68], -v[47:48]
	v_fma_f64 v[35:36], v[3:4], v[67:68], v[35:36]
	ds_read_b128 v[1:4], v24 offset:1456
	v_add_f64 v[20:21], v[20:21], v[45:46]
	v_add_f64 v[5:6], v[5:6], v[22:23]
	;; [unrolled: 18-line block ×3, first 2 shown]
	s_waitcnt vmcnt(9) lgkmcnt(1)
	v_mul_f64 v[37:38], v[18:19], v[163:164]
	s_waitcnt vmcnt(8)
	v_fma_f64 v[1:2], v[1:2], v[177:178], -v[47:48]
	v_mul_f64 v[33:34], v[16:17], v[163:164]
	v_fma_f64 v[3:4], v[3:4], v[177:178], v[35:36]
	v_add_f64 v[20:21], v[20:21], v[45:46]
	v_add_f64 v[5:6], v[5:6], v[22:23]
	s_waitcnt vmcnt(7) lgkmcnt(0)
	v_mul_f64 v[35:36], v[14:15], v[175:176]
	v_mul_f64 v[22:23], v[12:13], v[175:176]
	s_waitcnt vmcnt(5)
	v_fma_f64 v[16:17], v[16:17], v[31:32], -v[37:38]
	v_fma_f64 v[18:19], v[18:19], v[31:32], v[33:34]
	v_add_f64 v[1:2], v[20:21], v[1:2]
	v_add_f64 v[3:4], v[5:6], v[3:4]
	s_waitcnt vmcnt(4)
	v_fma_f64 v[5:6], v[12:13], v[181:182], -v[35:36]
	v_fma_f64 v[12:13], v[14:15], v[181:182], v[22:23]
	v_add_f64 v[1:2], v[1:2], v[16:17]
	v_add_f64 v[3:4], v[3:4], v[18:19]
	v_add_f64 v[1:2], v[1:2], v[5:6]
	v_add_f64 v[3:4], v[3:4], v[12:13]
	s_waitcnt vmcnt(2)
	v_add_f64 v[1:2], v[39:40], -v[1:2]
	s_waitcnt vmcnt(0)
	v_add_f64 v[3:4], v[157:158], -v[3:4]
	buffer_store_dword v2, off, s[0:3], 0 offset:164
	buffer_store_dword v1, off, s[0:3], 0 offset:160
	;; [unrolled: 1-line block ×4, first 2 shown]
	v_cmpx_lt_u32_e32 8, v0
	s_cbranch_execz .LBB46_279
; %bb.278:
	v_mov_b32_e32 v4, s55
	s_clause 0x3
	buffer_load_dword v1, v4, s[0:3], 0 offen
	buffer_load_dword v2, v4, s[0:3], 0 offen offset:4
	buffer_load_dword v3, v4, s[0:3], 0 offen offset:8
	;; [unrolled: 1-line block ×3, first 2 shown]
	buffer_store_dword v24, off, s[0:3], 0 offset:144
	buffer_store_dword v24, off, s[0:3], 0 offset:148
	;; [unrolled: 1-line block ×4, first 2 shown]
	s_waitcnt vmcnt(0)
	ds_write_b128 v7, v[1:4]
.LBB46_279:
	s_or_b32 exec_lo, exec_lo, s4
	s_waitcnt lgkmcnt(0)
	s_waitcnt_vscnt null, 0x0
	s_barrier
	buffer_gl0_inv
	s_clause 0x37
	buffer_load_dword v14, off, s[0:3], 0 offset:168
	buffer_load_dword v15, off, s[0:3], 0 offset:172
	;; [unrolled: 1-line block ×56, first 2 shown]
	ds_read_b128 v[157:160], v24 offset:896
	s_clause 0x2
	buffer_load_dword v154, off, s[0:3], 0 offset:396
	buffer_load_dword v156, off, s[0:3], 0 offset:372
	;; [unrolled: 1-line block ×3, first 2 shown]
	ds_read_b128 v[161:164], v24 offset:912
	s_clause 0x4
	buffer_load_dword v172, off, s[0:3], 0 offset:412
	buffer_load_dword v173, off, s[0:3], 0 offset:424
	;; [unrolled: 1-line block ×5, first 2 shown]
	ds_read_b128 v[165:168], v24 offset:928
	s_mov_b32 s4, exec_lo
	s_waitcnt vmcnt(62) lgkmcnt(2)
	v_mul_f64 v[169:170], v[159:160], v[14:15]
	v_mul_f64 v[14:15], v[157:158], v[14:15]
	s_waitcnt vmcnt(60) lgkmcnt(1)
	v_mul_f64 v[176:177], v[163:164], v[5:6]
	v_mul_f64 v[5:6], v[161:162], v[5:6]
	;; [unrolled: 3-line block ×3, first 2 shown]
	v_fma_f64 v[157:158], v[157:158], v[12:13], -v[169:170]
	v_fma_f64 v[159:160], v[159:160], v[12:13], v[14:15]
	s_clause 0x2
	buffer_load_dword v174, off, s[0:3], 0 offset:428
	buffer_load_dword v170, off, s[0:3], 0 offset:404
	;; [unrolled: 1-line block ×3, first 2 shown]
	s_waitcnt vmcnt(57)
	v_fma_f64 v[161:162], v[161:162], v[1:2], -v[176:177]
	ds_read_b128 v[12:15], v24 offset:944
	v_fma_f64 v[5:6], v[163:164], v[1:2], v[5:6]
	s_clause 0x4
	buffer_load_dword v164, off, s[0:3], 0 offset:444
	buffer_load_dword v177, off, s[0:3], 0 offset:456
	;; [unrolled: 1-line block ×5, first 2 shown]
	s_waitcnt vmcnt(56)
	v_fma_f64 v[165:166], v[165:166], v[37:38], -v[180:181]
	ds_read_b128 v[1:4], v24 offset:960
	v_fma_f64 v[37:38], v[167:168], v[37:38], v[178:179]
	s_clause 0x2
	buffer_load_dword v178, off, s[0:3], 0 offset:460
	buffer_load_dword v168, off, s[0:3], 0 offset:436
	;; [unrolled: 1-line block ×3, first 2 shown]
	v_add_f64 v[157:158], v[157:158], 0
	v_add_f64 v[159:160], v[159:160], 0
	s_waitcnt lgkmcnt(1)
	v_mul_f64 v[183:184], v[12:13], v[18:19]
	v_mul_f64 v[18:19], v[14:15], v[18:19]
	s_waitcnt vmcnt(58) lgkmcnt(0)
	v_mul_f64 v[179:180], v[1:2], v[22:23]
	v_mul_f64 v[22:23], v[3:4], v[22:23]
	v_add_f64 v[161:162], v[157:158], v[161:162]
	v_add_f64 v[5:6], v[159:160], v[5:6]
	ds_read_b128 v[157:160], v24 offset:976
	s_waitcnt vmcnt(56)
	v_fma_f64 v[18:19], v[12:13], v[31:32], -v[18:19]
	v_fma_f64 v[31:32], v[14:15], v[31:32], v[183:184]
	s_waitcnt vmcnt(51)
	v_fma_f64 v[22:23], v[1:2], v[16:17], -v[22:23]
	v_fma_f64 v[16:17], v[3:4], v[16:17], v[179:180]
	s_waitcnt lgkmcnt(0)
	v_mul_f64 v[185:186], v[157:158], v[33:34]
	v_add_f64 v[161:162], v[161:162], v[165:166]
	v_add_f64 v[5:6], v[5:6], v[37:38]
	s_clause 0x4
	buffer_load_dword v38, off, s[0:3], 0 offset:476
	buffer_load_dword v165, off, s[0:3], 0 offset:488
	;; [unrolled: 1-line block ×5, first 2 shown]
	v_mul_f64 v[33:34], v[159:160], v[33:34]
	ds_read_b128 v[12:15], v24 offset:992
	v_add_f64 v[18:19], v[161:162], v[18:19]
	v_add_f64 v[5:6], v[5:6], v[31:32]
	s_clause 0x2
	buffer_load_dword v166, off, s[0:3], 0 offset:492
	buffer_load_dword v32, off, s[0:3], 0 offset:468
	;; [unrolled: 1-line block ×3, first 2 shown]
	s_waitcnt vmcnt(58) lgkmcnt(0)
	v_mul_f64 v[161:162], v[12:13], v[39:40]
	v_mul_f64 v[39:40], v[14:15], v[39:40]
	s_waitcnt vmcnt(56)
	v_fma_f64 v[33:34], v[157:158], v[45:46], -v[33:34]
	ds_read_b128 v[1:4], v24 offset:1008
	v_fma_f64 v[45:46], v[159:160], v[45:46], v[185:186]
	s_clause 0x4
	buffer_load_dword v158, off, s[0:3], 0 offset:508
	buffer_load_dword v159, off, s[0:3], 0 offset:520
	;; [unrolled: 1-line block ×5, first 2 shown]
	v_add_f64 v[22:23], v[18:19], v[22:23]
	v_add_f64 v[5:6], v[5:6], v[16:17]
	ds_read_b128 v[16:19], v24 offset:1024
	s_waitcnt vmcnt(57) lgkmcnt(1)
	v_mul_f64 v[180:181], v[1:2], v[47:48]
	v_mul_f64 v[47:48], v[3:4], v[47:48]
	s_waitcnt vmcnt(56)
	v_fma_f64 v[39:40], v[12:13], v[20:21], -v[39:40]
	v_fma_f64 v[20:21], v[14:15], v[20:21], v[161:162]
	v_add_f64 v[22:23], v[22:23], v[33:34]
	v_add_f64 v[5:6], v[5:6], v[45:46]
	s_clause 0x2
	buffer_load_dword v160, off, s[0:3], 0 offset:524
	buffer_load_dword v34, off, s[0:3], 0 offset:500
	;; [unrolled: 1-line block ×3, first 2 shown]
	s_waitcnt vmcnt(58) lgkmcnt(0)
	v_mul_f64 v[45:46], v[16:17], v[51:52]
	v_mul_f64 v[51:52], v[18:19], v[51:52]
	s_waitcnt vmcnt(56)
	v_fma_f64 v[47:48], v[1:2], v[57:58], -v[47:48]
	ds_read_b128 v[12:15], v24 offset:1040
	v_add_f64 v[22:23], v[22:23], v[39:40]
	v_fma_f64 v[39:40], v[3:4], v[57:58], v[180:181]
	v_add_f64 v[5:6], v[5:6], v[20:21]
	s_clause 0x4
	buffer_load_dword v21, off, s[0:3], 0 offset:540
	buffer_load_dword v57, off, s[0:3], 0 offset:552
	;; [unrolled: 1-line block ×5, first 2 shown]
	s_waitcnt vmcnt(57) lgkmcnt(0)
	v_mul_f64 v[186:187], v[12:13], v[59:60]
	v_mul_f64 v[59:60], v[14:15], v[59:60]
	s_waitcnt vmcnt(56)
	v_fma_f64 v[51:52], v[16:17], v[35:36], -v[51:52]
	ds_read_b128 v[1:4], v24 offset:1056
	v_fma_f64 v[35:36], v[18:19], v[35:36], v[45:46]
	v_add_f64 v[22:23], v[22:23], v[47:48]
	v_add_f64 v[5:6], v[5:6], v[39:40]
	s_clause 0x2
	buffer_load_dword v58, off, s[0:3], 0 offset:556
	buffer_load_dword v40, off, s[0:3], 0 offset:532
	;; [unrolled: 1-line block ×3, first 2 shown]
	ds_read_b128 v[16:19], v24 offset:1072
	s_waitcnt vmcnt(58) lgkmcnt(1)
	v_mul_f64 v[47:48], v[3:4], v[63:64]
	s_waitcnt vmcnt(56)
	v_fma_f64 v[59:60], v[12:13], v[65:66], -v[59:60]
	v_mul_f64 v[45:46], v[1:2], v[63:64]
	v_add_f64 v[22:23], v[22:23], v[51:52]
	v_fma_f64 v[51:52], v[14:15], v[65:66], v[186:187]
	v_add_f64 v[5:6], v[5:6], v[35:36]
	s_clause 0x4
	buffer_load_dword v36, off, s[0:3], 0 offset:572
	buffer_load_dword v63, off, s[0:3], 0 offset:584
	;; [unrolled: 1-line block ×5, first 2 shown]
	s_waitcnt vmcnt(57) lgkmcnt(0)
	v_mul_f64 v[186:187], v[16:17], v[67:68]
	v_mul_f64 v[66:67], v[18:19], v[67:68]
	s_waitcnt vmcnt(56)
	v_fma_f64 v[47:48], v[1:2], v[49:50], -v[47:48]
	ds_read_b128 v[12:15], v24 offset:1088
	v_fma_f64 v[45:46], v[3:4], v[49:50], v[45:46]
	s_clause 0x2
	buffer_load_dword v64, off, s[0:3], 0 offset:588
	buffer_load_dword v50, off, s[0:3], 0 offset:564
	;; [unrolled: 1-line block ×3, first 2 shown]
	ds_read_b128 v[1:4], v24 offset:1104
	v_add_f64 v[22:23], v[22:23], v[59:60]
	v_add_f64 v[5:6], v[5:6], v[51:52]
	s_waitcnt vmcnt(58) lgkmcnt(1)
	v_mul_f64 v[59:60], v[14:15], v[75:76]
	s_waitcnt vmcnt(56)
	v_fma_f64 v[67:68], v[16:17], v[77:78], -v[66:67]
	v_mul_f64 v[51:52], v[12:13], v[75:76]
	v_add_f64 v[22:23], v[22:23], v[47:48]
	v_fma_f64 v[47:48], v[18:19], v[77:78], v[186:187]
	v_add_f64 v[5:6], v[5:6], v[45:46]
	s_clause 0x4
	buffer_load_dword v46, off, s[0:3], 0 offset:604
	buffer_load_dword v75, off, s[0:3], 0 offset:616
	;; [unrolled: 1-line block ×5, first 2 shown]
	s_waitcnt vmcnt(57) lgkmcnt(0)
	v_mul_f64 v[186:187], v[1:2], v[79:80]
	v_mul_f64 v[78:79], v[3:4], v[79:80]
	s_waitcnt vmcnt(56)
	v_fma_f64 v[59:60], v[12:13], v[61:62], -v[59:60]
	ds_read_b128 v[16:19], v24 offset:1120
	v_fma_f64 v[51:52], v[14:15], v[61:62], v[51:52]
	v_add_f64 v[22:23], v[22:23], v[67:68]
	v_add_f64 v[5:6], v[5:6], v[47:48]
	s_clause 0x2
	buffer_load_dword v76, off, s[0:3], 0 offset:620
	buffer_load_dword v48, off, s[0:3], 0 offset:596
	;; [unrolled: 1-line block ×3, first 2 shown]
	ds_read_b128 v[12:15], v24 offset:1136
	s_waitcnt vmcnt(58) lgkmcnt(1)
	v_mul_f64 v[67:68], v[18:19], v[153:154]
	s_waitcnt vmcnt(56)
	v_fma_f64 v[79:80], v[1:2], v[155:156], -v[78:79]
	v_mul_f64 v[61:62], v[16:17], v[153:154]
	v_add_f64 v[22:23], v[22:23], v[59:60]
	v_fma_f64 v[59:60], v[3:4], v[155:156], v[186:187]
	v_add_f64 v[5:6], v[5:6], v[51:52]
	s_clause 0x4
	buffer_load_dword v52, off, s[0:3], 0 offset:636
	buffer_load_dword v153, off, s[0:3], 0 offset:648
	;; [unrolled: 1-line block ×5, first 2 shown]
	s_waitcnt vmcnt(57) lgkmcnt(0)
	v_mul_f64 v[186:187], v[12:13], v[171:172]
	v_mul_f64 v[171:172], v[14:15], v[171:172]
	s_waitcnt vmcnt(56)
	v_fma_f64 v[67:68], v[16:17], v[73:74], -v[67:68]
	ds_read_b128 v[1:4], v24 offset:1152
	v_fma_f64 v[61:62], v[18:19], v[73:74], v[61:62]
	v_add_f64 v[22:23], v[22:23], v[79:80]
	v_add_f64 v[5:6], v[5:6], v[59:60]
	s_clause 0x2
	buffer_load_dword v154, off, s[0:3], 0 offset:652
	buffer_load_dword v60, off, s[0:3], 0 offset:628
	;; [unrolled: 1-line block ×3, first 2 shown]
	ds_read_b128 v[16:19], v24 offset:1168
	s_waitcnt vmcnt(58) lgkmcnt(1)
	v_mul_f64 v[79:80], v[3:4], v[173:174]
	v_mul_f64 v[73:74], v[1:2], v[173:174]
	s_waitcnt vmcnt(56)
	v_fma_f64 v[171:172], v[12:13], v[169:170], -v[171:172]
	v_add_f64 v[22:23], v[22:23], v[67:68]
	v_fma_f64 v[67:68], v[14:15], v[169:170], v[186:187]
	v_add_f64 v[5:6], v[5:6], v[61:62]
	s_clause 0x4
	buffer_load_dword v62, off, s[0:3], 0 offset:668
	buffer_load_dword v169, off, s[0:3], 0 offset:680
	;; [unrolled: 1-line block ×5, first 2 shown]
	s_waitcnt vmcnt(57) lgkmcnt(0)
	v_mul_f64 v[186:187], v[16:17], v[163:164]
	v_mul_f64 v[163:164], v[18:19], v[163:164]
	ds_read_b128 v[12:15], v24 offset:1184
	s_waitcnt vmcnt(56)
	v_fma_f64 v[79:80], v[1:2], v[175:176], -v[79:80]
	v_fma_f64 v[73:74], v[3:4], v[175:176], v[73:74]
	v_add_f64 v[22:23], v[22:23], v[171:172]
	v_add_f64 v[5:6], v[5:6], v[67:68]
	s_clause 0x2
	buffer_load_dword v170, off, s[0:3], 0 offset:684
	buffer_load_dword v68, off, s[0:3], 0 offset:660
	;; [unrolled: 1-line block ×3, first 2 shown]
	s_waitcnt vmcnt(58) lgkmcnt(0)
	v_mul_f64 v[175:176], v[14:15], v[177:178]
	s_waitcnt vmcnt(56)
	v_fma_f64 v[163:164], v[16:17], v[167:168], -v[163:164]
	ds_read_b128 v[1:4], v24 offset:1200
	v_mul_f64 v[171:172], v[12:13], v[177:178]
	v_add_f64 v[22:23], v[22:23], v[79:80]
	v_fma_f64 v[79:80], v[18:19], v[167:168], v[186:187]
	v_add_f64 v[5:6], v[5:6], v[73:74]
	s_clause 0x4
	buffer_load_dword v74, off, s[0:3], 0 offset:700
	buffer_load_dword v167, off, s[0:3], 0 offset:712
	;; [unrolled: 1-line block ×5, first 2 shown]
	ds_read_b128 v[16:19], v24 offset:1216
	s_waitcnt vmcnt(57) lgkmcnt(1)
	v_mul_f64 v[186:187], v[1:2], v[37:38]
	v_mul_f64 v[37:38], v[3:4], v[37:38]
	s_waitcnt vmcnt(56)
	v_fma_f64 v[175:176], v[12:13], v[182:183], -v[175:176]
	v_add_f64 v[22:23], v[22:23], v[163:164]
	v_fma_f64 v[163:164], v[14:15], v[182:183], v[171:172]
	v_add_f64 v[5:6], v[5:6], v[79:80]
	s_clause 0x2
	buffer_load_dword v168, off, s[0:3], 0 offset:716
	buffer_load_dword v80, off, s[0:3], 0 offset:692
	;; [unrolled: 1-line block ×3, first 2 shown]
	ds_read_b128 v[12:15], v24 offset:1232
	s_waitcnt vmcnt(58) lgkmcnt(1)
	v_mul_f64 v[171:172], v[16:17], v[165:166]
	v_mul_f64 v[165:166], v[18:19], v[165:166]
	s_waitcnt vmcnt(56)
	v_fma_f64 v[37:38], v[1:2], v[31:32], -v[37:38]
	v_fma_f64 v[31:32], v[3:4], v[31:32], v[186:187]
	v_add_f64 v[22:23], v[22:23], v[175:176]
	v_add_f64 v[5:6], v[5:6], v[163:164]
	s_clause 0x4
	buffer_load_dword v164, off, s[0:3], 0 offset:732
	buffer_load_dword v175, off, s[0:3], 0 offset:744
	;; [unrolled: 1-line block ×5, first 2 shown]
	s_waitcnt vmcnt(57) lgkmcnt(0)
	v_mul_f64 v[182:183], v[12:13], v[157:158]
	v_mul_f64 v[157:158], v[14:15], v[157:158]
	ds_read_b128 v[1:4], v24 offset:1248
	s_waitcnt vmcnt(56)
	v_fma_f64 v[165:166], v[16:17], v[184:185], -v[165:166]
	v_add_f64 v[22:23], v[22:23], v[37:38]
	v_fma_f64 v[37:38], v[18:19], v[184:185], v[171:172]
	v_add_f64 v[5:6], v[5:6], v[31:32]
	s_clause 0x2
	buffer_load_dword v176, off, s[0:3], 0 offset:748
	buffer_load_dword v32, off, s[0:3], 0 offset:724
	buffer_load_dword v31, off, s[0:3], 0 offset:720
	ds_read_b128 v[16:19], v24 offset:1264
	s_waitcnt vmcnt(58) lgkmcnt(1)
	v_mul_f64 v[171:172], v[1:2], v[159:160]
	v_mul_f64 v[159:160], v[3:4], v[159:160]
	s_waitcnt vmcnt(56)
	v_fma_f64 v[157:158], v[12:13], v[33:34], -v[157:158]
	v_fma_f64 v[33:34], v[14:15], v[33:34], v[182:183]
	v_add_f64 v[22:23], v[22:23], v[165:166]
	v_add_f64 v[5:6], v[5:6], v[37:38]
	s_clause 0x2
	buffer_load_dword v38, off, s[0:3], 0 offset:764
	buffer_load_dword v37, off, s[0:3], 0 offset:760
	;; [unrolled: 1-line block ×3, first 2 shown]
	ds_read_b128 v[12:15], v24 offset:1280
	s_waitcnt vmcnt(55) lgkmcnt(1)
	v_mul_f64 v[165:166], v[16:17], v[20:21]
	v_mul_f64 v[20:21], v[18:19], v[20:21]
	s_waitcnt vmcnt(54)
	v_fma_f64 v[159:160], v[1:2], v[179:180], -v[159:160]
	v_add_f64 v[22:23], v[22:23], v[157:158]
	v_fma_f64 v[157:158], v[3:4], v[179:180], v[171:172]
	v_add_f64 v[5:6], v[5:6], v[33:34]
	s_clause 0x1
	buffer_load_dword v34, off, s[0:3], 0 offset:756
	buffer_load_dword v33, off, s[0:3], 0 offset:752
	ds_read_b128 v[1:4], v24 offset:1296
	s_waitcnt vmcnt(55) lgkmcnt(1)
	v_mul_f64 v[171:172], v[12:13], v[57:58]
	v_mul_f64 v[57:58], v[14:15], v[57:58]
	s_waitcnt vmcnt(53)
	v_fma_f64 v[20:21], v[16:17], v[39:40], -v[20:21]
	v_fma_f64 v[39:40], v[18:19], v[39:40], v[165:166]
	ds_read_b128 v[16:19], v24 offset:1312
	v_add_f64 v[22:23], v[22:23], v[159:160]
	v_add_f64 v[5:6], v[5:6], v[157:158]
	s_waitcnt vmcnt(49) lgkmcnt(1)
	v_mul_f64 v[157:158], v[1:2], v[35:36]
	v_mul_f64 v[35:36], v[3:4], v[35:36]
	s_waitcnt vmcnt(48)
	v_fma_f64 v[57:58], v[12:13], v[161:162], -v[57:58]
	v_add_f64 v[20:21], v[22:23], v[20:21]
	v_fma_f64 v[22:23], v[14:15], v[161:162], v[171:172]
	v_add_f64 v[5:6], v[5:6], v[39:40]
	s_clause 0x3
	buffer_load_dword v39, off, s[0:3], 0 offset:144
	buffer_load_dword v40, off, s[0:3], 0 offset:148
	;; [unrolled: 1-line block ×4, first 2 shown]
	s_waitcnt vmcnt(51) lgkmcnt(0)
	v_mul_f64 v[161:162], v[16:17], v[63:64]
	v_mul_f64 v[63:64], v[18:19], v[63:64]
	ds_read_b128 v[12:15], v24 offset:1328
	s_waitcnt vmcnt(49)
	v_fma_f64 v[35:36], v[1:2], v[49:50], -v[35:36]
	v_fma_f64 v[49:50], v[3:4], v[49:50], v[157:158]
	ds_read_b128 v[1:4], v24 offset:1344
	v_add_f64 v[20:21], v[20:21], v[57:58]
	v_add_f64 v[5:6], v[5:6], v[22:23]
	s_waitcnt vmcnt(45) lgkmcnt(1)
	v_mul_f64 v[22:23], v[12:13], v[45:46]
	v_mul_f64 v[45:46], v[14:15], v[45:46]
	s_waitcnt vmcnt(44)
	v_fma_f64 v[57:58], v[16:17], v[65:66], -v[63:64]
	v_add_f64 v[20:21], v[20:21], v[35:36]
	v_fma_f64 v[35:36], v[18:19], v[65:66], v[161:162]
	v_add_f64 v[5:6], v[5:6], v[49:50]
	ds_read_b128 v[16:19], v24 offset:1360
	s_waitcnt vmcnt(43) lgkmcnt(1)
	v_mul_f64 v[63:64], v[3:4], v[75:76]
	v_mul_f64 v[49:50], v[1:2], v[75:76]
	s_waitcnt vmcnt(41)
	v_fma_f64 v[45:46], v[12:13], v[47:48], -v[45:46]
	v_fma_f64 v[22:23], v[14:15], v[47:48], v[22:23]
	ds_read_b128 v[12:15], v24 offset:1376
	v_add_f64 v[20:21], v[20:21], v[57:58]
	v_add_f64 v[5:6], v[5:6], v[35:36]
	s_waitcnt vmcnt(37) lgkmcnt(1)
	v_mul_f64 v[35:36], v[16:17], v[51:52]
	v_mul_f64 v[47:48], v[18:19], v[51:52]
	s_waitcnt vmcnt(36)
	v_fma_f64 v[51:52], v[1:2], v[77:78], -v[63:64]
	v_add_f64 v[20:21], v[20:21], v[45:46]
	v_fma_f64 v[45:46], v[3:4], v[77:78], v[49:50]
	v_add_f64 v[5:6], v[5:6], v[22:23]
	ds_read_b128 v[1:4], v24 offset:1392
	s_waitcnt vmcnt(35) lgkmcnt(1)
	v_mul_f64 v[49:50], v[14:15], v[153:154]
	v_mul_f64 v[22:23], v[12:13], v[153:154]
	s_waitcnt vmcnt(33)
	v_fma_f64 v[47:48], v[16:17], v[59:60], -v[47:48]
	v_fma_f64 v[35:36], v[18:19], v[59:60], v[35:36]
	ds_read_b128 v[16:19], v24 offset:1408
	v_add_f64 v[20:21], v[20:21], v[51:52]
	v_add_f64 v[5:6], v[5:6], v[45:46]
	s_waitcnt vmcnt(29) lgkmcnt(1)
	v_mul_f64 v[51:52], v[3:4], v[61:62]
	s_waitcnt vmcnt(28)
	v_fma_f64 v[49:50], v[12:13], v[155:156], -v[49:50]
	v_mul_f64 v[45:46], v[1:2], v[61:62]
	v_fma_f64 v[22:23], v[14:15], v[155:156], v[22:23]
	ds_read_b128 v[12:15], v24 offset:1424
	v_add_f64 v[20:21], v[20:21], v[47:48]
	v_add_f64 v[5:6], v[5:6], v[35:36]
	s_waitcnt vmcnt(27) lgkmcnt(1)
	v_mul_f64 v[47:48], v[18:19], v[169:170]
	v_mul_f64 v[35:36], v[16:17], v[169:170]
	s_waitcnt vmcnt(25)
	v_fma_f64 v[51:52], v[1:2], v[67:68], -v[51:52]
	v_fma_f64 v[45:46], v[3:4], v[67:68], v[45:46]
	ds_read_b128 v[1:4], v24 offset:1440
	v_add_f64 v[20:21], v[20:21], v[49:50]
	v_add_f64 v[5:6], v[5:6], v[22:23]
	s_waitcnt vmcnt(21) lgkmcnt(1)
	v_mul_f64 v[49:50], v[14:15], v[73:74]
	s_waitcnt vmcnt(20)
	v_fma_f64 v[47:48], v[16:17], v[173:174], -v[47:48]
	v_mul_f64 v[22:23], v[12:13], v[73:74]
	v_fma_f64 v[35:36], v[18:19], v[173:174], v[35:36]
	ds_read_b128 v[16:19], v24 offset:1456
	v_add_f64 v[20:21], v[20:21], v[51:52]
	v_add_f64 v[5:6], v[5:6], v[45:46]
	;; [unrolled: 18-line block ×3, first 2 shown]
	s_waitcnt vmcnt(11) lgkmcnt(1)
	v_mul_f64 v[49:50], v[14:15], v[175:176]
	v_mul_f64 v[22:23], v[12:13], v[175:176]
	s_waitcnt vmcnt(9)
	v_fma_f64 v[16:17], v[16:17], v[31:32], -v[47:48]
	v_fma_f64 v[18:19], v[18:19], v[31:32], v[35:36]
	v_add_f64 v[20:21], v[20:21], v[51:52]
	v_add_f64 v[5:6], v[5:6], v[45:46]
	s_waitcnt vmcnt(7) lgkmcnt(0)
	v_mul_f64 v[35:36], v[3:4], v[37:38]
	s_waitcnt vmcnt(6)
	v_fma_f64 v[12:13], v[12:13], v[181:182], -v[49:50]
	v_mul_f64 v[31:32], v[1:2], v[37:38]
	v_fma_f64 v[14:15], v[14:15], v[181:182], v[22:23]
	v_add_f64 v[16:17], v[20:21], v[16:17]
	v_add_f64 v[5:6], v[5:6], v[18:19]
	s_waitcnt vmcnt(4)
	v_fma_f64 v[1:2], v[1:2], v[33:34], -v[35:36]
	v_fma_f64 v[3:4], v[3:4], v[33:34], v[31:32]
	v_add_f64 v[12:13], v[16:17], v[12:13]
	v_add_f64 v[5:6], v[5:6], v[14:15]
	;; [unrolled: 1-line block ×4, first 2 shown]
	s_waitcnt vmcnt(2)
	v_add_f64 v[1:2], v[39:40], -v[1:2]
	s_waitcnt vmcnt(0)
	v_add_f64 v[3:4], v[159:160], -v[3:4]
	buffer_store_dword v2, off, s[0:3], 0 offset:148
	buffer_store_dword v1, off, s[0:3], 0 offset:144
	;; [unrolled: 1-line block ×4, first 2 shown]
	v_cmpx_lt_u32_e32 7, v0
	s_cbranch_execz .LBB46_281
; %bb.280:
	v_mov_b32_e32 v4, s56
	v_mov_b32_e32 v5, 0
	s_clause 0x3
	buffer_load_dword v1, v4, s[0:3], 0 offen
	buffer_load_dword v2, v4, s[0:3], 0 offen offset:4
	buffer_load_dword v3, v4, s[0:3], 0 offen offset:8
	;; [unrolled: 1-line block ×3, first 2 shown]
	buffer_store_dword v5, off, s[0:3], 0 offset:128
	buffer_store_dword v5, off, s[0:3], 0 offset:132
	;; [unrolled: 1-line block ×4, first 2 shown]
	s_waitcnt vmcnt(0)
	ds_write_b128 v7, v[1:4]
.LBB46_281:
	s_or_b32 exec_lo, exec_lo, s4
	s_waitcnt lgkmcnt(0)
	s_waitcnt_vscnt null, 0x0
	s_barrier
	buffer_gl0_inv
	s_clause 0x37
	buffer_load_dword v14, off, s[0:3], 0 offset:152
	buffer_load_dword v15, off, s[0:3], 0 offset:156
	;; [unrolled: 1-line block ×56, first 2 shown]
	v_mov_b32_e32 v24, 0
	s_mov_b32 s4, exec_lo
	ds_read_b128 v[157:160], v24 offset:880
	s_clause 0x2
	buffer_load_dword v154, off, s[0:3], 0 offset:380
	buffer_load_dword v156, off, s[0:3], 0 offset:356
	;; [unrolled: 1-line block ×3, first 2 shown]
	ds_read_b128 v[161:164], v24 offset:896
	s_clause 0x4
	buffer_load_dword v172, off, s[0:3], 0 offset:396
	buffer_load_dword v173, off, s[0:3], 0 offset:408
	;; [unrolled: 1-line block ×5, first 2 shown]
	ds_read_b128 v[165:168], v24 offset:912
	s_waitcnt vmcnt(62) lgkmcnt(2)
	v_mul_f64 v[169:170], v[159:160], v[14:15]
	v_mul_f64 v[14:15], v[157:158], v[14:15]
	s_waitcnt vmcnt(60) lgkmcnt(1)
	v_mul_f64 v[176:177], v[163:164], v[5:6]
	v_mul_f64 v[5:6], v[161:162], v[5:6]
	;; [unrolled: 3-line block ×3, first 2 shown]
	v_fma_f64 v[157:158], v[157:158], v[12:13], -v[169:170]
	v_fma_f64 v[159:160], v[159:160], v[12:13], v[14:15]
	s_clause 0x2
	buffer_load_dword v174, off, s[0:3], 0 offset:412
	buffer_load_dword v170, off, s[0:3], 0 offset:388
	;; [unrolled: 1-line block ×3, first 2 shown]
	s_waitcnt vmcnt(57)
	v_fma_f64 v[161:162], v[161:162], v[1:2], -v[176:177]
	ds_read_b128 v[12:15], v24 offset:928
	v_fma_f64 v[5:6], v[163:164], v[1:2], v[5:6]
	s_clause 0x4
	buffer_load_dword v164, off, s[0:3], 0 offset:428
	buffer_load_dword v177, off, s[0:3], 0 offset:440
	;; [unrolled: 1-line block ×5, first 2 shown]
	s_waitcnt vmcnt(56)
	v_fma_f64 v[165:166], v[165:166], v[37:38], -v[180:181]
	ds_read_b128 v[1:4], v24 offset:944
	v_fma_f64 v[37:38], v[167:168], v[37:38], v[178:179]
	s_clause 0x2
	buffer_load_dword v178, off, s[0:3], 0 offset:444
	buffer_load_dword v168, off, s[0:3], 0 offset:420
	buffer_load_dword v167, off, s[0:3], 0 offset:416
	v_add_f64 v[157:158], v[157:158], 0
	v_add_f64 v[159:160], v[159:160], 0
	s_waitcnt lgkmcnt(1)
	v_mul_f64 v[183:184], v[12:13], v[18:19]
	v_mul_f64 v[18:19], v[14:15], v[18:19]
	s_waitcnt vmcnt(58) lgkmcnt(0)
	v_mul_f64 v[179:180], v[1:2], v[22:23]
	v_mul_f64 v[22:23], v[3:4], v[22:23]
	v_add_f64 v[161:162], v[157:158], v[161:162]
	v_add_f64 v[5:6], v[159:160], v[5:6]
	ds_read_b128 v[157:160], v24 offset:960
	s_waitcnt vmcnt(56)
	v_fma_f64 v[18:19], v[12:13], v[31:32], -v[18:19]
	v_fma_f64 v[31:32], v[14:15], v[31:32], v[183:184]
	s_waitcnt vmcnt(51)
	v_fma_f64 v[22:23], v[1:2], v[16:17], -v[22:23]
	v_fma_f64 v[16:17], v[3:4], v[16:17], v[179:180]
	s_waitcnt lgkmcnt(0)
	v_mul_f64 v[185:186], v[157:158], v[33:34]
	v_add_f64 v[161:162], v[161:162], v[165:166]
	v_add_f64 v[5:6], v[5:6], v[37:38]
	s_clause 0x4
	buffer_load_dword v38, off, s[0:3], 0 offset:460
	buffer_load_dword v165, off, s[0:3], 0 offset:472
	;; [unrolled: 1-line block ×5, first 2 shown]
	v_mul_f64 v[33:34], v[159:160], v[33:34]
	ds_read_b128 v[12:15], v24 offset:976
	v_add_f64 v[18:19], v[161:162], v[18:19]
	v_add_f64 v[5:6], v[5:6], v[31:32]
	s_clause 0x2
	buffer_load_dword v166, off, s[0:3], 0 offset:476
	buffer_load_dword v32, off, s[0:3], 0 offset:452
	;; [unrolled: 1-line block ×3, first 2 shown]
	s_waitcnt vmcnt(58) lgkmcnt(0)
	v_mul_f64 v[161:162], v[12:13], v[39:40]
	v_mul_f64 v[39:40], v[14:15], v[39:40]
	s_waitcnt vmcnt(56)
	v_fma_f64 v[33:34], v[157:158], v[45:46], -v[33:34]
	ds_read_b128 v[1:4], v24 offset:992
	v_fma_f64 v[45:46], v[159:160], v[45:46], v[185:186]
	s_clause 0x4
	buffer_load_dword v158, off, s[0:3], 0 offset:492
	buffer_load_dword v159, off, s[0:3], 0 offset:504
	buffer_load_dword v179, off, s[0:3], 0 offset:496
	buffer_load_dword v157, off, s[0:3], 0 offset:488
	buffer_load_dword v185, off, s[0:3], 0 offset:468
	v_add_f64 v[22:23], v[18:19], v[22:23]
	v_add_f64 v[5:6], v[5:6], v[16:17]
	ds_read_b128 v[16:19], v24 offset:1008
	s_waitcnt vmcnt(57) lgkmcnt(1)
	v_mul_f64 v[180:181], v[1:2], v[47:48]
	v_mul_f64 v[47:48], v[3:4], v[47:48]
	s_waitcnt vmcnt(56)
	v_fma_f64 v[39:40], v[12:13], v[20:21], -v[39:40]
	v_fma_f64 v[20:21], v[14:15], v[20:21], v[161:162]
	v_add_f64 v[22:23], v[22:23], v[33:34]
	v_add_f64 v[5:6], v[5:6], v[45:46]
	s_clause 0x2
	buffer_load_dword v160, off, s[0:3], 0 offset:508
	buffer_load_dword v34, off, s[0:3], 0 offset:484
	;; [unrolled: 1-line block ×3, first 2 shown]
	s_waitcnt vmcnt(58) lgkmcnt(0)
	v_mul_f64 v[45:46], v[16:17], v[51:52]
	v_mul_f64 v[51:52], v[18:19], v[51:52]
	s_waitcnt vmcnt(56)
	v_fma_f64 v[47:48], v[1:2], v[57:58], -v[47:48]
	ds_read_b128 v[12:15], v24 offset:1024
	v_add_f64 v[22:23], v[22:23], v[39:40]
	v_fma_f64 v[39:40], v[3:4], v[57:58], v[180:181]
	v_add_f64 v[5:6], v[5:6], v[20:21]
	s_clause 0x4
	buffer_load_dword v21, off, s[0:3], 0 offset:524
	buffer_load_dword v57, off, s[0:3], 0 offset:536
	;; [unrolled: 1-line block ×5, first 2 shown]
	s_waitcnt vmcnt(57) lgkmcnt(0)
	v_mul_f64 v[186:187], v[12:13], v[59:60]
	v_mul_f64 v[59:60], v[14:15], v[59:60]
	s_waitcnt vmcnt(56)
	v_fma_f64 v[51:52], v[16:17], v[35:36], -v[51:52]
	ds_read_b128 v[1:4], v24 offset:1040
	v_fma_f64 v[35:36], v[18:19], v[35:36], v[45:46]
	v_add_f64 v[22:23], v[22:23], v[47:48]
	v_add_f64 v[5:6], v[5:6], v[39:40]
	s_clause 0x2
	buffer_load_dword v58, off, s[0:3], 0 offset:540
	buffer_load_dword v40, off, s[0:3], 0 offset:516
	;; [unrolled: 1-line block ×3, first 2 shown]
	ds_read_b128 v[16:19], v24 offset:1056
	s_waitcnt vmcnt(58) lgkmcnt(1)
	v_mul_f64 v[47:48], v[3:4], v[63:64]
	s_waitcnt vmcnt(56)
	v_fma_f64 v[59:60], v[12:13], v[65:66], -v[59:60]
	v_mul_f64 v[45:46], v[1:2], v[63:64]
	v_add_f64 v[22:23], v[22:23], v[51:52]
	v_fma_f64 v[51:52], v[14:15], v[65:66], v[186:187]
	v_add_f64 v[5:6], v[5:6], v[35:36]
	s_clause 0x4
	buffer_load_dword v36, off, s[0:3], 0 offset:556
	buffer_load_dword v63, off, s[0:3], 0 offset:568
	;; [unrolled: 1-line block ×5, first 2 shown]
	s_waitcnt vmcnt(57) lgkmcnt(0)
	v_mul_f64 v[186:187], v[16:17], v[67:68]
	v_mul_f64 v[66:67], v[18:19], v[67:68]
	s_waitcnt vmcnt(56)
	v_fma_f64 v[47:48], v[1:2], v[49:50], -v[47:48]
	ds_read_b128 v[12:15], v24 offset:1072
	v_fma_f64 v[45:46], v[3:4], v[49:50], v[45:46]
	s_clause 0x2
	buffer_load_dword v64, off, s[0:3], 0 offset:572
	buffer_load_dword v50, off, s[0:3], 0 offset:548
	;; [unrolled: 1-line block ×3, first 2 shown]
	ds_read_b128 v[1:4], v24 offset:1088
	v_add_f64 v[22:23], v[22:23], v[59:60]
	v_add_f64 v[5:6], v[5:6], v[51:52]
	s_waitcnt vmcnt(58) lgkmcnt(1)
	v_mul_f64 v[59:60], v[14:15], v[75:76]
	s_waitcnt vmcnt(56)
	v_fma_f64 v[67:68], v[16:17], v[77:78], -v[66:67]
	v_mul_f64 v[51:52], v[12:13], v[75:76]
	v_add_f64 v[22:23], v[22:23], v[47:48]
	v_fma_f64 v[47:48], v[18:19], v[77:78], v[186:187]
	v_add_f64 v[5:6], v[5:6], v[45:46]
	s_clause 0x4
	buffer_load_dword v46, off, s[0:3], 0 offset:588
	buffer_load_dword v75, off, s[0:3], 0 offset:600
	;; [unrolled: 1-line block ×5, first 2 shown]
	s_waitcnt vmcnt(57) lgkmcnt(0)
	v_mul_f64 v[186:187], v[1:2], v[79:80]
	v_mul_f64 v[78:79], v[3:4], v[79:80]
	s_waitcnt vmcnt(56)
	v_fma_f64 v[59:60], v[12:13], v[61:62], -v[59:60]
	ds_read_b128 v[16:19], v24 offset:1104
	v_fma_f64 v[51:52], v[14:15], v[61:62], v[51:52]
	v_add_f64 v[22:23], v[22:23], v[67:68]
	v_add_f64 v[5:6], v[5:6], v[47:48]
	s_clause 0x2
	buffer_load_dword v76, off, s[0:3], 0 offset:604
	buffer_load_dword v48, off, s[0:3], 0 offset:580
	;; [unrolled: 1-line block ×3, first 2 shown]
	ds_read_b128 v[12:15], v24 offset:1120
	s_waitcnt vmcnt(58) lgkmcnt(1)
	v_mul_f64 v[67:68], v[18:19], v[153:154]
	s_waitcnt vmcnt(56)
	v_fma_f64 v[79:80], v[1:2], v[155:156], -v[78:79]
	v_mul_f64 v[61:62], v[16:17], v[153:154]
	v_add_f64 v[22:23], v[22:23], v[59:60]
	v_fma_f64 v[59:60], v[3:4], v[155:156], v[186:187]
	v_add_f64 v[5:6], v[5:6], v[51:52]
	s_clause 0x4
	buffer_load_dword v52, off, s[0:3], 0 offset:620
	buffer_load_dword v153, off, s[0:3], 0 offset:632
	;; [unrolled: 1-line block ×5, first 2 shown]
	s_waitcnt vmcnt(57) lgkmcnt(0)
	v_mul_f64 v[186:187], v[12:13], v[171:172]
	v_mul_f64 v[171:172], v[14:15], v[171:172]
	s_waitcnt vmcnt(56)
	v_fma_f64 v[67:68], v[16:17], v[73:74], -v[67:68]
	ds_read_b128 v[1:4], v24 offset:1136
	v_fma_f64 v[61:62], v[18:19], v[73:74], v[61:62]
	v_add_f64 v[22:23], v[22:23], v[79:80]
	v_add_f64 v[5:6], v[5:6], v[59:60]
	s_clause 0x2
	buffer_load_dword v154, off, s[0:3], 0 offset:636
	buffer_load_dword v60, off, s[0:3], 0 offset:612
	;; [unrolled: 1-line block ×3, first 2 shown]
	ds_read_b128 v[16:19], v24 offset:1152
	s_waitcnt vmcnt(58) lgkmcnt(1)
	v_mul_f64 v[79:80], v[3:4], v[173:174]
	v_mul_f64 v[73:74], v[1:2], v[173:174]
	s_waitcnt vmcnt(56)
	v_fma_f64 v[171:172], v[12:13], v[169:170], -v[171:172]
	v_add_f64 v[22:23], v[22:23], v[67:68]
	v_fma_f64 v[67:68], v[14:15], v[169:170], v[186:187]
	v_add_f64 v[5:6], v[5:6], v[61:62]
	s_clause 0x4
	buffer_load_dword v62, off, s[0:3], 0 offset:652
	buffer_load_dword v169, off, s[0:3], 0 offset:664
	;; [unrolled: 1-line block ×5, first 2 shown]
	s_waitcnt vmcnt(57) lgkmcnt(0)
	v_mul_f64 v[186:187], v[16:17], v[163:164]
	v_mul_f64 v[163:164], v[18:19], v[163:164]
	ds_read_b128 v[12:15], v24 offset:1168
	s_waitcnt vmcnt(56)
	v_fma_f64 v[79:80], v[1:2], v[175:176], -v[79:80]
	v_fma_f64 v[73:74], v[3:4], v[175:176], v[73:74]
	v_add_f64 v[22:23], v[22:23], v[171:172]
	v_add_f64 v[5:6], v[5:6], v[67:68]
	s_clause 0x2
	buffer_load_dword v170, off, s[0:3], 0 offset:668
	buffer_load_dword v68, off, s[0:3], 0 offset:644
	buffer_load_dword v67, off, s[0:3], 0 offset:640
	s_waitcnt vmcnt(58) lgkmcnt(0)
	v_mul_f64 v[175:176], v[14:15], v[177:178]
	s_waitcnt vmcnt(56)
	v_fma_f64 v[163:164], v[16:17], v[167:168], -v[163:164]
	ds_read_b128 v[1:4], v24 offset:1184
	v_mul_f64 v[171:172], v[12:13], v[177:178]
	v_add_f64 v[22:23], v[22:23], v[79:80]
	v_fma_f64 v[79:80], v[18:19], v[167:168], v[186:187]
	v_add_f64 v[5:6], v[5:6], v[73:74]
	s_clause 0x4
	buffer_load_dword v74, off, s[0:3], 0 offset:684
	buffer_load_dword v167, off, s[0:3], 0 offset:696
	;; [unrolled: 1-line block ×5, first 2 shown]
	ds_read_b128 v[16:19], v24 offset:1200
	s_waitcnt vmcnt(57) lgkmcnt(1)
	v_mul_f64 v[186:187], v[1:2], v[37:38]
	v_mul_f64 v[37:38], v[3:4], v[37:38]
	s_waitcnt vmcnt(56)
	v_fma_f64 v[175:176], v[12:13], v[182:183], -v[175:176]
	v_add_f64 v[22:23], v[22:23], v[163:164]
	v_fma_f64 v[163:164], v[14:15], v[182:183], v[171:172]
	v_add_f64 v[5:6], v[5:6], v[79:80]
	s_clause 0x2
	buffer_load_dword v168, off, s[0:3], 0 offset:700
	buffer_load_dword v80, off, s[0:3], 0 offset:676
	;; [unrolled: 1-line block ×3, first 2 shown]
	ds_read_b128 v[12:15], v24 offset:1216
	s_waitcnt vmcnt(58) lgkmcnt(1)
	v_mul_f64 v[171:172], v[16:17], v[165:166]
	v_mul_f64 v[165:166], v[18:19], v[165:166]
	s_waitcnt vmcnt(56)
	v_fma_f64 v[37:38], v[1:2], v[31:32], -v[37:38]
	v_fma_f64 v[31:32], v[3:4], v[31:32], v[186:187]
	v_add_f64 v[22:23], v[22:23], v[175:176]
	v_add_f64 v[5:6], v[5:6], v[163:164]
	s_clause 0x4
	buffer_load_dword v164, off, s[0:3], 0 offset:716
	buffer_load_dword v175, off, s[0:3], 0 offset:728
	buffer_load_dword v181, off, s[0:3], 0 offset:720
	buffer_load_dword v163, off, s[0:3], 0 offset:712
	buffer_load_dword v178, off, s[0:3], 0 offset:692
	s_waitcnt vmcnt(57) lgkmcnt(0)
	v_mul_f64 v[182:183], v[12:13], v[157:158]
	v_mul_f64 v[157:158], v[14:15], v[157:158]
	ds_read_b128 v[1:4], v24 offset:1232
	s_waitcnt vmcnt(56)
	v_fma_f64 v[165:166], v[16:17], v[184:185], -v[165:166]
	v_add_f64 v[22:23], v[22:23], v[37:38]
	v_fma_f64 v[37:38], v[18:19], v[184:185], v[171:172]
	v_add_f64 v[5:6], v[5:6], v[31:32]
	s_clause 0x2
	buffer_load_dword v176, off, s[0:3], 0 offset:732
	buffer_load_dword v32, off, s[0:3], 0 offset:708
	;; [unrolled: 1-line block ×3, first 2 shown]
	ds_read_b128 v[16:19], v24 offset:1248
	s_waitcnt vmcnt(58) lgkmcnt(1)
	v_mul_f64 v[171:172], v[1:2], v[159:160]
	v_mul_f64 v[159:160], v[3:4], v[159:160]
	s_waitcnt vmcnt(56)
	v_fma_f64 v[157:158], v[12:13], v[33:34], -v[157:158]
	v_fma_f64 v[33:34], v[14:15], v[33:34], v[182:183]
	v_add_f64 v[22:23], v[22:23], v[165:166]
	v_add_f64 v[5:6], v[5:6], v[37:38]
	s_clause 0x4
	buffer_load_dword v38, off, s[0:3], 0 offset:748
	buffer_load_dword v165, off, s[0:3], 0 offset:760
	;; [unrolled: 1-line block ×5, first 2 shown]
	ds_read_b128 v[12:15], v24 offset:1264
	s_waitcnt vmcnt(57) lgkmcnt(1)
	v_mul_f64 v[184:185], v[16:17], v[20:21]
	v_mul_f64 v[20:21], v[18:19], v[20:21]
	s_waitcnt vmcnt(56)
	v_fma_f64 v[159:160], v[1:2], v[179:180], -v[159:160]
	v_add_f64 v[22:23], v[22:23], v[157:158]
	v_fma_f64 v[157:158], v[3:4], v[179:180], v[171:172]
	v_add_f64 v[5:6], v[5:6], v[33:34]
	s_clause 0x2
	buffer_load_dword v166, off, s[0:3], 0 offset:764
	buffer_load_dword v34, off, s[0:3], 0 offset:740
	buffer_load_dword v33, off, s[0:3], 0 offset:736
	ds_read_b128 v[1:4], v24 offset:1280
	s_waitcnt vmcnt(58) lgkmcnt(1)
	v_mul_f64 v[171:172], v[12:13], v[57:58]
	v_mul_f64 v[57:58], v[14:15], v[57:58]
	s_waitcnt vmcnt(56)
	v_fma_f64 v[20:21], v[16:17], v[39:40], -v[20:21]
	v_fma_f64 v[39:40], v[18:19], v[39:40], v[184:185]
	buffer_load_dword v184, off, s[0:3], 0 offset:756
	ds_read_b128 v[16:19], v24 offset:1296
	v_add_f64 v[22:23], v[22:23], v[159:160]
	v_add_f64 v[5:6], v[5:6], v[157:158]
	s_waitcnt vmcnt(53) lgkmcnt(1)
	v_mul_f64 v[157:158], v[1:2], v[35:36]
	v_mul_f64 v[35:36], v[3:4], v[35:36]
	s_waitcnt vmcnt(52)
	v_fma_f64 v[57:58], v[12:13], v[161:162], -v[57:58]
	v_add_f64 v[20:21], v[22:23], v[20:21]
	v_fma_f64 v[22:23], v[14:15], v[161:162], v[171:172]
	v_add_f64 v[5:6], v[5:6], v[39:40]
	s_waitcnt vmcnt(51) lgkmcnt(0)
	v_mul_f64 v[39:40], v[16:17], v[63:64]
	v_mul_f64 v[63:64], v[18:19], v[63:64]
	ds_read_b128 v[12:15], v24 offset:1312
	s_waitcnt vmcnt(49)
	v_fma_f64 v[35:36], v[1:2], v[49:50], -v[35:36]
	v_fma_f64 v[49:50], v[3:4], v[49:50], v[157:158]
	v_add_f64 v[20:21], v[20:21], v[57:58]
	v_add_f64 v[5:6], v[5:6], v[22:23]
	s_clause 0x3
	buffer_load_dword v22, off, s[0:3], 0 offset:128
	buffer_load_dword v23, off, s[0:3], 0 offset:132
	;; [unrolled: 1-line block ×4, first 2 shown]
	ds_read_b128 v[1:4], v24 offset:1328
	s_waitcnt vmcnt(49) lgkmcnt(1)
	v_mul_f64 v[157:158], v[12:13], v[45:46]
	v_mul_f64 v[45:46], v[14:15], v[45:46]
	s_waitcnt vmcnt(48)
	v_fma_f64 v[63:64], v[16:17], v[65:66], -v[63:64]
	v_add_f64 v[20:21], v[20:21], v[35:36]
	v_fma_f64 v[35:36], v[18:19], v[65:66], v[39:40]
	v_add_f64 v[5:6], v[5:6], v[49:50]
	ds_read_b128 v[16:19], v24 offset:1344
	s_waitcnt vmcnt(47) lgkmcnt(1)
	v_mul_f64 v[49:50], v[3:4], v[75:76]
	v_mul_f64 v[39:40], v[1:2], v[75:76]
	s_waitcnt vmcnt(45)
	v_fma_f64 v[45:46], v[12:13], v[47:48], -v[45:46]
	v_fma_f64 v[47:48], v[14:15], v[47:48], v[157:158]
	ds_read_b128 v[12:15], v24 offset:1360
	v_add_f64 v[20:21], v[20:21], v[63:64]
	v_add_f64 v[5:6], v[5:6], v[35:36]
	s_waitcnt vmcnt(41) lgkmcnt(1)
	v_mul_f64 v[35:36], v[16:17], v[51:52]
	v_mul_f64 v[51:52], v[18:19], v[51:52]
	s_waitcnt vmcnt(40)
	v_fma_f64 v[49:50], v[1:2], v[77:78], -v[49:50]
	v_fma_f64 v[39:40], v[3:4], v[77:78], v[39:40]
	ds_read_b128 v[1:4], v24 offset:1376
	v_add_f64 v[20:21], v[20:21], v[45:46]
	v_add_f64 v[5:6], v[5:6], v[47:48]
	;; [unrolled: 9-line block ×3, first 2 shown]
	s_waitcnt vmcnt(33) lgkmcnt(1)
	v_mul_f64 v[49:50], v[3:4], v[61:62]
	s_waitcnt vmcnt(32)
	v_fma_f64 v[47:48], v[12:13], v[155:156], -v[47:48]
	v_mul_f64 v[39:40], v[1:2], v[61:62]
	v_fma_f64 v[45:46], v[14:15], v[155:156], v[45:46]
	ds_read_b128 v[12:15], v24 offset:1408
	v_add_f64 v[20:21], v[20:21], v[51:52]
	v_add_f64 v[5:6], v[5:6], v[35:36]
	s_waitcnt vmcnt(31) lgkmcnt(1)
	v_mul_f64 v[51:52], v[18:19], v[169:170]
	v_mul_f64 v[35:36], v[16:17], v[169:170]
	s_waitcnt vmcnt(29)
	v_fma_f64 v[49:50], v[1:2], v[67:68], -v[49:50]
	v_fma_f64 v[39:40], v[3:4], v[67:68], v[39:40]
	ds_read_b128 v[1:4], v24 offset:1424
	v_add_f64 v[20:21], v[20:21], v[47:48]
	v_add_f64 v[5:6], v[5:6], v[45:46]
	s_waitcnt vmcnt(25) lgkmcnt(1)
	v_mul_f64 v[47:48], v[14:15], v[73:74]
	s_waitcnt vmcnt(24)
	v_fma_f64 v[51:52], v[16:17], v[173:174], -v[51:52]
	v_mul_f64 v[45:46], v[12:13], v[73:74]
	v_fma_f64 v[35:36], v[18:19], v[173:174], v[35:36]
	ds_read_b128 v[16:19], v24 offset:1440
	v_add_f64 v[20:21], v[20:21], v[49:50]
	v_add_f64 v[5:6], v[5:6], v[39:40]
	s_waitcnt vmcnt(23) lgkmcnt(1)
	v_mul_f64 v[49:50], v[3:4], v[167:168]
	v_mul_f64 v[39:40], v[1:2], v[167:168]
	s_waitcnt vmcnt(21)
	v_fma_f64 v[47:48], v[12:13], v[79:80], -v[47:48]
	v_fma_f64 v[45:46], v[14:15], v[79:80], v[45:46]
	ds_read_b128 v[12:15], v24 offset:1456
	v_add_f64 v[20:21], v[20:21], v[51:52]
	v_add_f64 v[5:6], v[5:6], v[35:36]
	;; [unrolled: 18-line block ×3, first 2 shown]
	s_waitcnt vmcnt(9) lgkmcnt(1)
	v_mul_f64 v[35:36], v[1:2], v[37:38]
	v_mul_f64 v[37:38], v[3:4], v[37:38]
	s_waitcnt vmcnt(8)
	v_fma_f64 v[12:13], v[12:13], v[181:182], -v[47:48]
	v_fma_f64 v[14:15], v[14:15], v[181:182], v[45:46]
	v_add_f64 v[20:21], v[20:21], v[51:52]
	v_add_f64 v[5:6], v[5:6], v[31:32]
	s_waitcnt vmcnt(7) lgkmcnt(0)
	v_mul_f64 v[39:40], v[18:19], v[165:166]
	v_mul_f64 v[31:32], v[16:17], v[165:166]
	s_waitcnt vmcnt(5)
	v_fma_f64 v[1:2], v[1:2], v[33:34], -v[37:38]
	v_fma_f64 v[3:4], v[3:4], v[33:34], v[35:36]
	v_add_f64 v[12:13], v[20:21], v[12:13]
	v_add_f64 v[5:6], v[5:6], v[14:15]
	s_waitcnt vmcnt(4)
	v_fma_f64 v[14:15], v[16:17], v[183:184], -v[39:40]
	v_add_f64 v[1:2], v[12:13], v[1:2]
	v_fma_f64 v[12:13], v[18:19], v[183:184], v[31:32]
	v_add_f64 v[3:4], v[5:6], v[3:4]
	v_add_f64 v[1:2], v[1:2], v[14:15]
	;; [unrolled: 1-line block ×3, first 2 shown]
	s_waitcnt vmcnt(2)
	v_add_f64 v[1:2], v[22:23], -v[1:2]
	s_waitcnt vmcnt(0)
	v_add_f64 v[3:4], v[57:58], -v[3:4]
	buffer_store_dword v2, off, s[0:3], 0 offset:132
	buffer_store_dword v1, off, s[0:3], 0 offset:128
	;; [unrolled: 1-line block ×4, first 2 shown]
	v_cmpx_lt_u32_e32 6, v0
	s_cbranch_execz .LBB46_283
; %bb.282:
	v_mov_b32_e32 v4, s57
	s_clause 0x3
	buffer_load_dword v1, v4, s[0:3], 0 offen
	buffer_load_dword v2, v4, s[0:3], 0 offen offset:4
	buffer_load_dword v3, v4, s[0:3], 0 offen offset:8
	;; [unrolled: 1-line block ×3, first 2 shown]
	buffer_store_dword v24, off, s[0:3], 0 offset:112
	buffer_store_dword v24, off, s[0:3], 0 offset:116
	;; [unrolled: 1-line block ×4, first 2 shown]
	s_waitcnt vmcnt(0)
	ds_write_b128 v7, v[1:4]
.LBB46_283:
	s_or_b32 exec_lo, exec_lo, s4
	s_waitcnt lgkmcnt(0)
	s_waitcnt_vscnt null, 0x0
	s_barrier
	buffer_gl0_inv
	s_clause 0x37
	buffer_load_dword v14, off, s[0:3], 0 offset:136
	buffer_load_dword v15, off, s[0:3], 0 offset:140
	;; [unrolled: 1-line block ×56, first 2 shown]
	ds_read_b128 v[157:160], v24 offset:864
	s_clause 0x2
	buffer_load_dword v154, off, s[0:3], 0 offset:364
	buffer_load_dword v156, off, s[0:3], 0 offset:340
	;; [unrolled: 1-line block ×3, first 2 shown]
	ds_read_b128 v[161:164], v24 offset:880
	s_clause 0x4
	buffer_load_dword v172, off, s[0:3], 0 offset:380
	buffer_load_dword v173, off, s[0:3], 0 offset:392
	;; [unrolled: 1-line block ×5, first 2 shown]
	ds_read_b128 v[165:168], v24 offset:896
	s_mov_b32 s4, exec_lo
	s_waitcnt vmcnt(62) lgkmcnt(2)
	v_mul_f64 v[169:170], v[159:160], v[14:15]
	v_mul_f64 v[14:15], v[157:158], v[14:15]
	s_waitcnt vmcnt(60) lgkmcnt(1)
	v_mul_f64 v[176:177], v[163:164], v[5:6]
	v_mul_f64 v[5:6], v[161:162], v[5:6]
	;; [unrolled: 3-line block ×3, first 2 shown]
	v_fma_f64 v[157:158], v[157:158], v[12:13], -v[169:170]
	v_fma_f64 v[159:160], v[159:160], v[12:13], v[14:15]
	s_clause 0x2
	buffer_load_dword v174, off, s[0:3], 0 offset:396
	buffer_load_dword v170, off, s[0:3], 0 offset:372
	buffer_load_dword v169, off, s[0:3], 0 offset:368
	s_waitcnt vmcnt(57)
	v_fma_f64 v[161:162], v[161:162], v[1:2], -v[176:177]
	ds_read_b128 v[12:15], v24 offset:912
	v_fma_f64 v[5:6], v[163:164], v[1:2], v[5:6]
	s_clause 0x4
	buffer_load_dword v164, off, s[0:3], 0 offset:412
	buffer_load_dword v177, off, s[0:3], 0 offset:424
	;; [unrolled: 1-line block ×5, first 2 shown]
	s_waitcnt vmcnt(56)
	v_fma_f64 v[165:166], v[165:166], v[37:38], -v[180:181]
	ds_read_b128 v[1:4], v24 offset:928
	v_fma_f64 v[37:38], v[167:168], v[37:38], v[178:179]
	s_clause 0x2
	buffer_load_dword v178, off, s[0:3], 0 offset:428
	buffer_load_dword v168, off, s[0:3], 0 offset:404
	;; [unrolled: 1-line block ×3, first 2 shown]
	v_add_f64 v[157:158], v[157:158], 0
	v_add_f64 v[159:160], v[159:160], 0
	s_waitcnt lgkmcnt(1)
	v_mul_f64 v[183:184], v[12:13], v[18:19]
	v_mul_f64 v[18:19], v[14:15], v[18:19]
	s_waitcnt vmcnt(58) lgkmcnt(0)
	v_mul_f64 v[179:180], v[1:2], v[22:23]
	v_mul_f64 v[22:23], v[3:4], v[22:23]
	v_add_f64 v[161:162], v[157:158], v[161:162]
	v_add_f64 v[5:6], v[159:160], v[5:6]
	ds_read_b128 v[157:160], v24 offset:944
	s_waitcnt vmcnt(56)
	v_fma_f64 v[18:19], v[12:13], v[31:32], -v[18:19]
	v_fma_f64 v[31:32], v[14:15], v[31:32], v[183:184]
	s_waitcnt vmcnt(51)
	v_fma_f64 v[22:23], v[1:2], v[16:17], -v[22:23]
	v_fma_f64 v[16:17], v[3:4], v[16:17], v[179:180]
	s_waitcnt lgkmcnt(0)
	v_mul_f64 v[185:186], v[157:158], v[33:34]
	v_add_f64 v[161:162], v[161:162], v[165:166]
	v_add_f64 v[5:6], v[5:6], v[37:38]
	s_clause 0x4
	buffer_load_dword v38, off, s[0:3], 0 offset:444
	buffer_load_dword v165, off, s[0:3], 0 offset:456
	;; [unrolled: 1-line block ×5, first 2 shown]
	v_mul_f64 v[33:34], v[159:160], v[33:34]
	ds_read_b128 v[12:15], v24 offset:960
	v_add_f64 v[18:19], v[161:162], v[18:19]
	v_add_f64 v[5:6], v[5:6], v[31:32]
	s_clause 0x2
	buffer_load_dword v166, off, s[0:3], 0 offset:460
	buffer_load_dword v32, off, s[0:3], 0 offset:436
	;; [unrolled: 1-line block ×3, first 2 shown]
	s_waitcnt vmcnt(58) lgkmcnt(0)
	v_mul_f64 v[161:162], v[12:13], v[39:40]
	v_mul_f64 v[39:40], v[14:15], v[39:40]
	s_waitcnt vmcnt(56)
	v_fma_f64 v[33:34], v[157:158], v[45:46], -v[33:34]
	ds_read_b128 v[1:4], v24 offset:976
	v_fma_f64 v[45:46], v[159:160], v[45:46], v[185:186]
	s_clause 0x4
	buffer_load_dword v158, off, s[0:3], 0 offset:476
	buffer_load_dword v159, off, s[0:3], 0 offset:488
	;; [unrolled: 1-line block ×5, first 2 shown]
	v_add_f64 v[22:23], v[18:19], v[22:23]
	v_add_f64 v[5:6], v[5:6], v[16:17]
	ds_read_b128 v[16:19], v24 offset:992
	s_waitcnt vmcnt(57) lgkmcnt(1)
	v_mul_f64 v[180:181], v[1:2], v[47:48]
	v_mul_f64 v[47:48], v[3:4], v[47:48]
	s_waitcnt vmcnt(56)
	v_fma_f64 v[39:40], v[12:13], v[20:21], -v[39:40]
	v_fma_f64 v[20:21], v[14:15], v[20:21], v[161:162]
	v_add_f64 v[22:23], v[22:23], v[33:34]
	v_add_f64 v[5:6], v[5:6], v[45:46]
	s_clause 0x2
	buffer_load_dword v160, off, s[0:3], 0 offset:492
	buffer_load_dword v34, off, s[0:3], 0 offset:468
	;; [unrolled: 1-line block ×3, first 2 shown]
	s_waitcnt vmcnt(58) lgkmcnt(0)
	v_mul_f64 v[45:46], v[16:17], v[51:52]
	v_mul_f64 v[51:52], v[18:19], v[51:52]
	s_waitcnt vmcnt(56)
	v_fma_f64 v[47:48], v[1:2], v[57:58], -v[47:48]
	ds_read_b128 v[12:15], v24 offset:1008
	v_add_f64 v[22:23], v[22:23], v[39:40]
	v_fma_f64 v[39:40], v[3:4], v[57:58], v[180:181]
	v_add_f64 v[5:6], v[5:6], v[20:21]
	s_clause 0x4
	buffer_load_dword v21, off, s[0:3], 0 offset:508
	buffer_load_dword v57, off, s[0:3], 0 offset:520
	;; [unrolled: 1-line block ×5, first 2 shown]
	s_waitcnt vmcnt(57) lgkmcnt(0)
	v_mul_f64 v[186:187], v[12:13], v[59:60]
	v_mul_f64 v[59:60], v[14:15], v[59:60]
	s_waitcnt vmcnt(56)
	v_fma_f64 v[51:52], v[16:17], v[35:36], -v[51:52]
	ds_read_b128 v[1:4], v24 offset:1024
	v_fma_f64 v[35:36], v[18:19], v[35:36], v[45:46]
	v_add_f64 v[22:23], v[22:23], v[47:48]
	v_add_f64 v[5:6], v[5:6], v[39:40]
	s_clause 0x2
	buffer_load_dword v58, off, s[0:3], 0 offset:524
	buffer_load_dword v40, off, s[0:3], 0 offset:500
	;; [unrolled: 1-line block ×3, first 2 shown]
	ds_read_b128 v[16:19], v24 offset:1040
	s_waitcnt vmcnt(58) lgkmcnt(1)
	v_mul_f64 v[47:48], v[3:4], v[63:64]
	s_waitcnt vmcnt(56)
	v_fma_f64 v[59:60], v[12:13], v[65:66], -v[59:60]
	v_mul_f64 v[45:46], v[1:2], v[63:64]
	v_add_f64 v[22:23], v[22:23], v[51:52]
	v_fma_f64 v[51:52], v[14:15], v[65:66], v[186:187]
	v_add_f64 v[5:6], v[5:6], v[35:36]
	s_clause 0x4
	buffer_load_dword v36, off, s[0:3], 0 offset:540
	buffer_load_dword v63, off, s[0:3], 0 offset:552
	buffer_load_dword v65, off, s[0:3], 0 offset:544
	buffer_load_dword v35, off, s[0:3], 0 offset:536
	buffer_load_dword v162, off, s[0:3], 0 offset:516
	s_waitcnt vmcnt(57) lgkmcnt(0)
	v_mul_f64 v[186:187], v[16:17], v[67:68]
	v_mul_f64 v[66:67], v[18:19], v[67:68]
	s_waitcnt vmcnt(56)
	v_fma_f64 v[47:48], v[1:2], v[49:50], -v[47:48]
	ds_read_b128 v[12:15], v24 offset:1056
	v_fma_f64 v[45:46], v[3:4], v[49:50], v[45:46]
	s_clause 0x2
	buffer_load_dword v64, off, s[0:3], 0 offset:556
	buffer_load_dword v50, off, s[0:3], 0 offset:532
	;; [unrolled: 1-line block ×3, first 2 shown]
	ds_read_b128 v[1:4], v24 offset:1072
	v_add_f64 v[22:23], v[22:23], v[59:60]
	v_add_f64 v[5:6], v[5:6], v[51:52]
	s_waitcnt vmcnt(58) lgkmcnt(1)
	v_mul_f64 v[59:60], v[14:15], v[75:76]
	s_waitcnt vmcnt(56)
	v_fma_f64 v[67:68], v[16:17], v[77:78], -v[66:67]
	v_mul_f64 v[51:52], v[12:13], v[75:76]
	v_add_f64 v[22:23], v[22:23], v[47:48]
	v_fma_f64 v[47:48], v[18:19], v[77:78], v[186:187]
	v_add_f64 v[5:6], v[5:6], v[45:46]
	s_clause 0x4
	buffer_load_dword v46, off, s[0:3], 0 offset:572
	buffer_load_dword v75, off, s[0:3], 0 offset:584
	;; [unrolled: 1-line block ×5, first 2 shown]
	s_waitcnt vmcnt(57) lgkmcnt(0)
	v_mul_f64 v[186:187], v[1:2], v[79:80]
	v_mul_f64 v[78:79], v[3:4], v[79:80]
	s_waitcnt vmcnt(56)
	v_fma_f64 v[59:60], v[12:13], v[61:62], -v[59:60]
	ds_read_b128 v[16:19], v24 offset:1088
	v_fma_f64 v[51:52], v[14:15], v[61:62], v[51:52]
	v_add_f64 v[22:23], v[22:23], v[67:68]
	v_add_f64 v[5:6], v[5:6], v[47:48]
	s_clause 0x2
	buffer_load_dword v76, off, s[0:3], 0 offset:588
	buffer_load_dword v48, off, s[0:3], 0 offset:564
	;; [unrolled: 1-line block ×3, first 2 shown]
	ds_read_b128 v[12:15], v24 offset:1104
	s_waitcnt vmcnt(58) lgkmcnt(1)
	v_mul_f64 v[67:68], v[18:19], v[153:154]
	s_waitcnt vmcnt(56)
	v_fma_f64 v[79:80], v[1:2], v[155:156], -v[78:79]
	v_mul_f64 v[61:62], v[16:17], v[153:154]
	v_add_f64 v[22:23], v[22:23], v[59:60]
	v_fma_f64 v[59:60], v[3:4], v[155:156], v[186:187]
	v_add_f64 v[5:6], v[5:6], v[51:52]
	s_clause 0x4
	buffer_load_dword v52, off, s[0:3], 0 offset:604
	buffer_load_dword v153, off, s[0:3], 0 offset:616
	;; [unrolled: 1-line block ×5, first 2 shown]
	s_waitcnt vmcnt(57) lgkmcnt(0)
	v_mul_f64 v[186:187], v[12:13], v[171:172]
	v_mul_f64 v[171:172], v[14:15], v[171:172]
	s_waitcnt vmcnt(56)
	v_fma_f64 v[67:68], v[16:17], v[73:74], -v[67:68]
	ds_read_b128 v[1:4], v24 offset:1120
	v_fma_f64 v[61:62], v[18:19], v[73:74], v[61:62]
	v_add_f64 v[22:23], v[22:23], v[79:80]
	v_add_f64 v[5:6], v[5:6], v[59:60]
	s_clause 0x2
	buffer_load_dword v154, off, s[0:3], 0 offset:620
	buffer_load_dword v60, off, s[0:3], 0 offset:596
	buffer_load_dword v59, off, s[0:3], 0 offset:592
	ds_read_b128 v[16:19], v24 offset:1136
	s_waitcnt vmcnt(58) lgkmcnt(1)
	v_mul_f64 v[79:80], v[3:4], v[173:174]
	v_mul_f64 v[73:74], v[1:2], v[173:174]
	s_waitcnt vmcnt(56)
	v_fma_f64 v[171:172], v[12:13], v[169:170], -v[171:172]
	v_add_f64 v[22:23], v[22:23], v[67:68]
	v_fma_f64 v[67:68], v[14:15], v[169:170], v[186:187]
	v_add_f64 v[5:6], v[5:6], v[61:62]
	s_clause 0x4
	buffer_load_dword v62, off, s[0:3], 0 offset:636
	buffer_load_dword v169, off, s[0:3], 0 offset:648
	;; [unrolled: 1-line block ×5, first 2 shown]
	s_waitcnt vmcnt(57) lgkmcnt(0)
	v_mul_f64 v[186:187], v[16:17], v[163:164]
	v_mul_f64 v[163:164], v[18:19], v[163:164]
	ds_read_b128 v[12:15], v24 offset:1152
	s_waitcnt vmcnt(56)
	v_fma_f64 v[79:80], v[1:2], v[175:176], -v[79:80]
	v_fma_f64 v[73:74], v[3:4], v[175:176], v[73:74]
	v_add_f64 v[22:23], v[22:23], v[171:172]
	v_add_f64 v[5:6], v[5:6], v[67:68]
	s_clause 0x2
	buffer_load_dword v170, off, s[0:3], 0 offset:652
	buffer_load_dword v68, off, s[0:3], 0 offset:628
	;; [unrolled: 1-line block ×3, first 2 shown]
	s_waitcnt vmcnt(58) lgkmcnt(0)
	v_mul_f64 v[175:176], v[14:15], v[177:178]
	s_waitcnt vmcnt(56)
	v_fma_f64 v[163:164], v[16:17], v[167:168], -v[163:164]
	ds_read_b128 v[1:4], v24 offset:1168
	v_mul_f64 v[171:172], v[12:13], v[177:178]
	v_add_f64 v[22:23], v[22:23], v[79:80]
	v_fma_f64 v[79:80], v[18:19], v[167:168], v[186:187]
	v_add_f64 v[5:6], v[5:6], v[73:74]
	s_clause 0x4
	buffer_load_dword v74, off, s[0:3], 0 offset:668
	buffer_load_dword v167, off, s[0:3], 0 offset:680
	;; [unrolled: 1-line block ×5, first 2 shown]
	ds_read_b128 v[16:19], v24 offset:1184
	s_waitcnt vmcnt(57) lgkmcnt(1)
	v_mul_f64 v[186:187], v[1:2], v[37:38]
	v_mul_f64 v[37:38], v[3:4], v[37:38]
	s_waitcnt vmcnt(56)
	v_fma_f64 v[175:176], v[12:13], v[182:183], -v[175:176]
	v_add_f64 v[22:23], v[22:23], v[163:164]
	v_fma_f64 v[163:164], v[14:15], v[182:183], v[171:172]
	v_add_f64 v[5:6], v[5:6], v[79:80]
	s_clause 0x2
	buffer_load_dword v168, off, s[0:3], 0 offset:684
	buffer_load_dword v80, off, s[0:3], 0 offset:660
	buffer_load_dword v79, off, s[0:3], 0 offset:656
	ds_read_b128 v[12:15], v24 offset:1200
	s_waitcnt vmcnt(58) lgkmcnt(1)
	v_mul_f64 v[171:172], v[16:17], v[165:166]
	v_mul_f64 v[165:166], v[18:19], v[165:166]
	s_waitcnt vmcnt(56)
	v_fma_f64 v[37:38], v[1:2], v[31:32], -v[37:38]
	v_fma_f64 v[31:32], v[3:4], v[31:32], v[186:187]
	v_add_f64 v[22:23], v[22:23], v[175:176]
	v_add_f64 v[5:6], v[5:6], v[163:164]
	s_clause 0x4
	buffer_load_dword v164, off, s[0:3], 0 offset:700
	buffer_load_dword v175, off, s[0:3], 0 offset:712
	;; [unrolled: 1-line block ×5, first 2 shown]
	s_waitcnt vmcnt(57) lgkmcnt(0)
	v_mul_f64 v[182:183], v[12:13], v[157:158]
	v_mul_f64 v[157:158], v[14:15], v[157:158]
	ds_read_b128 v[1:4], v24 offset:1216
	s_waitcnt vmcnt(56)
	v_fma_f64 v[165:166], v[16:17], v[184:185], -v[165:166]
	v_add_f64 v[22:23], v[22:23], v[37:38]
	v_fma_f64 v[37:38], v[18:19], v[184:185], v[171:172]
	v_add_f64 v[5:6], v[5:6], v[31:32]
	s_clause 0x2
	buffer_load_dword v176, off, s[0:3], 0 offset:716
	buffer_load_dword v32, off, s[0:3], 0 offset:692
	;; [unrolled: 1-line block ×3, first 2 shown]
	ds_read_b128 v[16:19], v24 offset:1232
	s_waitcnt vmcnt(58) lgkmcnt(1)
	v_mul_f64 v[171:172], v[1:2], v[159:160]
	v_mul_f64 v[159:160], v[3:4], v[159:160]
	s_waitcnt vmcnt(56)
	v_fma_f64 v[157:158], v[12:13], v[33:34], -v[157:158]
	v_fma_f64 v[33:34], v[14:15], v[33:34], v[182:183]
	v_add_f64 v[22:23], v[22:23], v[165:166]
	v_add_f64 v[5:6], v[5:6], v[37:38]
	s_clause 0x4
	buffer_load_dword v38, off, s[0:3], 0 offset:732
	buffer_load_dword v165, off, s[0:3], 0 offset:744
	;; [unrolled: 1-line block ×5, first 2 shown]
	ds_read_b128 v[12:15], v24 offset:1248
	s_waitcnt vmcnt(57) lgkmcnt(1)
	v_mul_f64 v[184:185], v[16:17], v[20:21]
	v_mul_f64 v[20:21], v[18:19], v[20:21]
	s_waitcnt vmcnt(56)
	v_fma_f64 v[159:160], v[1:2], v[179:180], -v[159:160]
	v_add_f64 v[22:23], v[22:23], v[157:158]
	v_fma_f64 v[157:158], v[3:4], v[179:180], v[171:172]
	v_add_f64 v[5:6], v[5:6], v[33:34]
	s_clause 0x2
	buffer_load_dword v166, off, s[0:3], 0 offset:748
	buffer_load_dword v34, off, s[0:3], 0 offset:724
	;; [unrolled: 1-line block ×3, first 2 shown]
	ds_read_b128 v[1:4], v24 offset:1264
	s_waitcnt vmcnt(58) lgkmcnt(1)
	v_mul_f64 v[171:172], v[12:13], v[57:58]
	v_mul_f64 v[57:58], v[14:15], v[57:58]
	s_waitcnt vmcnt(56)
	v_fma_f64 v[20:21], v[16:17], v[39:40], -v[20:21]
	v_fma_f64 v[39:40], v[18:19], v[39:40], v[184:185]
	v_add_f64 v[22:23], v[22:23], v[159:160]
	v_add_f64 v[5:6], v[5:6], v[157:158]
	s_clause 0x2
	buffer_load_dword v158, off, s[0:3], 0 offset:764
	buffer_load_dword v157, off, s[0:3], 0 offset:760
	buffer_load_dword v184, off, s[0:3], 0 offset:740
	ds_read_b128 v[16:19], v24 offset:1280
	s_waitcnt vmcnt(55) lgkmcnt(1)
	v_mul_f64 v[159:160], v[1:2], v[35:36]
	v_mul_f64 v[35:36], v[3:4], v[35:36]
	s_waitcnt vmcnt(54)
	v_fma_f64 v[57:58], v[12:13], v[161:162], -v[57:58]
	v_add_f64 v[20:21], v[22:23], v[20:21]
	v_fma_f64 v[22:23], v[14:15], v[161:162], v[171:172]
	v_add_f64 v[5:6], v[5:6], v[39:40]
	s_clause 0x1
	buffer_load_dword v40, off, s[0:3], 0 offset:756
	buffer_load_dword v39, off, s[0:3], 0 offset:752
	s_waitcnt vmcnt(55) lgkmcnt(0)
	v_mul_f64 v[161:162], v[16:17], v[63:64]
	v_mul_f64 v[63:64], v[18:19], v[63:64]
	ds_read_b128 v[12:15], v24 offset:1296
	s_waitcnt vmcnt(53)
	v_fma_f64 v[35:36], v[1:2], v[49:50], -v[35:36]
	v_fma_f64 v[49:50], v[3:4], v[49:50], v[159:160]
	ds_read_b128 v[1:4], v24 offset:1312
	v_add_f64 v[20:21], v[20:21], v[57:58]
	v_add_f64 v[5:6], v[5:6], v[22:23]
	s_waitcnt vmcnt(49) lgkmcnt(1)
	v_mul_f64 v[22:23], v[12:13], v[45:46]
	v_mul_f64 v[45:46], v[14:15], v[45:46]
	s_waitcnt vmcnt(48)
	v_fma_f64 v[57:58], v[16:17], v[65:66], -v[63:64]
	v_add_f64 v[20:21], v[20:21], v[35:36]
	v_fma_f64 v[35:36], v[18:19], v[65:66], v[161:162]
	v_add_f64 v[5:6], v[5:6], v[49:50]
	s_clause 0x3
	buffer_load_dword v49, off, s[0:3], 0 offset:112
	buffer_load_dword v50, off, s[0:3], 0 offset:116
	;; [unrolled: 1-line block ×4, first 2 shown]
	ds_read_b128 v[16:19], v24 offset:1328
	s_waitcnt vmcnt(51) lgkmcnt(1)
	v_mul_f64 v[65:66], v[1:2], v[75:76]
	v_mul_f64 v[75:76], v[3:4], v[75:76]
	s_waitcnt vmcnt(49)
	v_fma_f64 v[45:46], v[12:13], v[47:48], -v[45:46]
	v_fma_f64 v[22:23], v[14:15], v[47:48], v[22:23]
	ds_read_b128 v[12:15], v24 offset:1344
	v_add_f64 v[20:21], v[20:21], v[57:58]
	v_add_f64 v[5:6], v[5:6], v[35:36]
	s_waitcnt vmcnt(45) lgkmcnt(1)
	v_mul_f64 v[35:36], v[16:17], v[51:52]
	v_mul_f64 v[47:48], v[18:19], v[51:52]
	s_waitcnt vmcnt(44)
	v_fma_f64 v[51:52], v[1:2], v[77:78], -v[75:76]
	v_add_f64 v[20:21], v[20:21], v[45:46]
	v_fma_f64 v[45:46], v[3:4], v[77:78], v[65:66]
	v_add_f64 v[5:6], v[5:6], v[22:23]
	ds_read_b128 v[1:4], v24 offset:1360
	s_waitcnt vmcnt(43) lgkmcnt(1)
	v_mul_f64 v[57:58], v[14:15], v[153:154]
	v_mul_f64 v[22:23], v[12:13], v[153:154]
	s_waitcnt vmcnt(41)
	v_fma_f64 v[47:48], v[16:17], v[59:60], -v[47:48]
	v_fma_f64 v[35:36], v[18:19], v[59:60], v[35:36]
	ds_read_b128 v[16:19], v24 offset:1376
	v_add_f64 v[20:21], v[20:21], v[51:52]
	v_add_f64 v[5:6], v[5:6], v[45:46]
	s_waitcnt vmcnt(37) lgkmcnt(1)
	v_mul_f64 v[51:52], v[3:4], v[61:62]
	s_waitcnt vmcnt(36)
	v_fma_f64 v[57:58], v[12:13], v[155:156], -v[57:58]
	v_mul_f64 v[45:46], v[1:2], v[61:62]
	v_fma_f64 v[22:23], v[14:15], v[155:156], v[22:23]
	ds_read_b128 v[12:15], v24 offset:1392
	v_add_f64 v[20:21], v[20:21], v[47:48]
	v_add_f64 v[5:6], v[5:6], v[35:36]
	s_waitcnt vmcnt(35) lgkmcnt(1)
	v_mul_f64 v[47:48], v[18:19], v[169:170]
	v_mul_f64 v[35:36], v[16:17], v[169:170]
	s_waitcnt vmcnt(33)
	v_fma_f64 v[51:52], v[1:2], v[67:68], -v[51:52]
	v_fma_f64 v[45:46], v[3:4], v[67:68], v[45:46]
	ds_read_b128 v[1:4], v24 offset:1408
	v_add_f64 v[20:21], v[20:21], v[57:58]
	v_add_f64 v[5:6], v[5:6], v[22:23]
	s_waitcnt vmcnt(29) lgkmcnt(1)
	v_mul_f64 v[57:58], v[14:15], v[73:74]
	s_waitcnt vmcnt(28)
	v_fma_f64 v[47:48], v[16:17], v[173:174], -v[47:48]
	v_mul_f64 v[22:23], v[12:13], v[73:74]
	v_fma_f64 v[35:36], v[18:19], v[173:174], v[35:36]
	ds_read_b128 v[16:19], v24 offset:1424
	v_add_f64 v[20:21], v[20:21], v[51:52]
	v_add_f64 v[5:6], v[5:6], v[45:46]
	;; [unrolled: 18-line block ×3, first 2 shown]
	s_waitcnt vmcnt(19) lgkmcnt(1)
	v_mul_f64 v[57:58], v[14:15], v[175:176]
	v_mul_f64 v[22:23], v[12:13], v[175:176]
	s_waitcnt vmcnt(17)
	v_fma_f64 v[47:48], v[16:17], v[31:32], -v[47:48]
	v_fma_f64 v[31:32], v[18:19], v[31:32], v[35:36]
	ds_read_b128 v[16:19], v24 offset:1472
	v_add_f64 v[20:21], v[20:21], v[51:52]
	v_add_f64 v[5:6], v[5:6], v[45:46]
	s_waitcnt vmcnt(13) lgkmcnt(1)
	v_mul_f64 v[35:36], v[1:2], v[37:38]
	v_mul_f64 v[37:38], v[3:4], v[37:38]
	s_waitcnt vmcnt(12)
	v_fma_f64 v[45:46], v[12:13], v[181:182], -v[57:58]
	v_fma_f64 v[22:23], v[14:15], v[181:182], v[22:23]
	ds_read_b128 v[12:15], v24 offset:1488
	v_add_f64 v[20:21], v[20:21], v[47:48]
	v_add_f64 v[5:6], v[5:6], v[31:32]
	s_waitcnt vmcnt(11) lgkmcnt(1)
	v_mul_f64 v[47:48], v[18:19], v[165:166]
	v_mul_f64 v[31:32], v[16:17], v[165:166]
	s_waitcnt vmcnt(9)
	v_fma_f64 v[1:2], v[1:2], v[33:34], -v[37:38]
	v_fma_f64 v[3:4], v[3:4], v[33:34], v[35:36]
	v_add_f64 v[20:21], v[20:21], v[45:46]
	v_add_f64 v[5:6], v[5:6], v[22:23]
	s_waitcnt vmcnt(7) lgkmcnt(0)
	v_mul_f64 v[33:34], v[14:15], v[157:158]
	s_waitcnt vmcnt(6)
	v_fma_f64 v[16:17], v[16:17], v[183:184], -v[47:48]
	v_mul_f64 v[22:23], v[12:13], v[157:158]
	v_fma_f64 v[18:19], v[18:19], v[183:184], v[31:32]
	v_add_f64 v[1:2], v[20:21], v[1:2]
	v_add_f64 v[3:4], v[5:6], v[3:4]
	s_waitcnt vmcnt(4)
	v_fma_f64 v[5:6], v[12:13], v[39:40], -v[33:34]
	v_fma_f64 v[12:13], v[14:15], v[39:40], v[22:23]
	v_add_f64 v[1:2], v[1:2], v[16:17]
	v_add_f64 v[3:4], v[3:4], v[18:19]
	;; [unrolled: 1-line block ×4, first 2 shown]
	s_waitcnt vmcnt(2)
	v_add_f64 v[1:2], v[49:50], -v[1:2]
	s_waitcnt vmcnt(0)
	v_add_f64 v[3:4], v[63:64], -v[3:4]
	buffer_store_dword v2, off, s[0:3], 0 offset:116
	buffer_store_dword v1, off, s[0:3], 0 offset:112
	;; [unrolled: 1-line block ×4, first 2 shown]
	v_cmpx_lt_u32_e32 5, v0
	s_cbranch_execz .LBB46_285
; %bb.284:
	v_mov_b32_e32 v4, s58
	v_mov_b32_e32 v5, 0
	s_clause 0x3
	buffer_load_dword v1, v4, s[0:3], 0 offen
	buffer_load_dword v2, v4, s[0:3], 0 offen offset:4
	buffer_load_dword v3, v4, s[0:3], 0 offen offset:8
	buffer_load_dword v4, v4, s[0:3], 0 offen offset:12
	buffer_store_dword v5, off, s[0:3], 0 offset:96
	buffer_store_dword v5, off, s[0:3], 0 offset:100
	;; [unrolled: 1-line block ×4, first 2 shown]
	s_waitcnt vmcnt(0)
	ds_write_b128 v7, v[1:4]
.LBB46_285:
	s_or_b32 exec_lo, exec_lo, s4
	s_waitcnt lgkmcnt(0)
	s_waitcnt_vscnt null, 0x0
	s_barrier
	buffer_gl0_inv
	s_clause 0x37
	buffer_load_dword v14, off, s[0:3], 0 offset:120
	buffer_load_dword v15, off, s[0:3], 0 offset:124
	;; [unrolled: 1-line block ×56, first 2 shown]
	v_mov_b32_e32 v24, 0
	s_mov_b32 s4, exec_lo
	ds_read_b128 v[157:160], v24 offset:848
	s_clause 0x2
	buffer_load_dword v154, off, s[0:3], 0 offset:348
	buffer_load_dword v156, off, s[0:3], 0 offset:324
	buffer_load_dword v155, off, s[0:3], 0 offset:320
	ds_read_b128 v[161:164], v24 offset:864
	s_clause 0x4
	buffer_load_dword v172, off, s[0:3], 0 offset:364
	buffer_load_dword v173, off, s[0:3], 0 offset:376
	;; [unrolled: 1-line block ×5, first 2 shown]
	ds_read_b128 v[165:168], v24 offset:880
	s_waitcnt vmcnt(62) lgkmcnt(2)
	v_mul_f64 v[169:170], v[159:160], v[14:15]
	v_mul_f64 v[14:15], v[157:158], v[14:15]
	s_waitcnt vmcnt(60) lgkmcnt(1)
	v_mul_f64 v[176:177], v[163:164], v[5:6]
	v_mul_f64 v[5:6], v[161:162], v[5:6]
	;; [unrolled: 3-line block ×3, first 2 shown]
	v_fma_f64 v[157:158], v[157:158], v[12:13], -v[169:170]
	v_fma_f64 v[159:160], v[159:160], v[12:13], v[14:15]
	s_clause 0x2
	buffer_load_dword v174, off, s[0:3], 0 offset:380
	buffer_load_dword v170, off, s[0:3], 0 offset:356
	;; [unrolled: 1-line block ×3, first 2 shown]
	s_waitcnt vmcnt(57)
	v_fma_f64 v[161:162], v[161:162], v[1:2], -v[176:177]
	ds_read_b128 v[12:15], v24 offset:896
	v_fma_f64 v[5:6], v[163:164], v[1:2], v[5:6]
	s_clause 0x4
	buffer_load_dword v164, off, s[0:3], 0 offset:396
	buffer_load_dword v177, off, s[0:3], 0 offset:408
	;; [unrolled: 1-line block ×5, first 2 shown]
	s_waitcnt vmcnt(56)
	v_fma_f64 v[165:166], v[165:166], v[37:38], -v[180:181]
	ds_read_b128 v[1:4], v24 offset:912
	v_fma_f64 v[37:38], v[167:168], v[37:38], v[178:179]
	s_clause 0x2
	buffer_load_dword v178, off, s[0:3], 0 offset:412
	buffer_load_dword v168, off, s[0:3], 0 offset:388
	;; [unrolled: 1-line block ×3, first 2 shown]
	v_add_f64 v[157:158], v[157:158], 0
	v_add_f64 v[159:160], v[159:160], 0
	s_waitcnt lgkmcnt(1)
	v_mul_f64 v[183:184], v[12:13], v[18:19]
	v_mul_f64 v[18:19], v[14:15], v[18:19]
	s_waitcnt vmcnt(58) lgkmcnt(0)
	v_mul_f64 v[179:180], v[1:2], v[22:23]
	v_mul_f64 v[22:23], v[3:4], v[22:23]
	v_add_f64 v[161:162], v[157:158], v[161:162]
	v_add_f64 v[5:6], v[159:160], v[5:6]
	ds_read_b128 v[157:160], v24 offset:928
	s_waitcnt vmcnt(56)
	v_fma_f64 v[18:19], v[12:13], v[31:32], -v[18:19]
	v_fma_f64 v[31:32], v[14:15], v[31:32], v[183:184]
	s_waitcnt vmcnt(51)
	v_fma_f64 v[22:23], v[1:2], v[16:17], -v[22:23]
	v_fma_f64 v[16:17], v[3:4], v[16:17], v[179:180]
	s_waitcnt lgkmcnt(0)
	v_mul_f64 v[185:186], v[157:158], v[33:34]
	v_add_f64 v[161:162], v[161:162], v[165:166]
	v_add_f64 v[5:6], v[5:6], v[37:38]
	s_clause 0x4
	buffer_load_dword v38, off, s[0:3], 0 offset:428
	buffer_load_dword v165, off, s[0:3], 0 offset:440
	;; [unrolled: 1-line block ×5, first 2 shown]
	v_mul_f64 v[33:34], v[159:160], v[33:34]
	ds_read_b128 v[12:15], v24 offset:944
	v_add_f64 v[18:19], v[161:162], v[18:19]
	v_add_f64 v[5:6], v[5:6], v[31:32]
	s_clause 0x2
	buffer_load_dword v166, off, s[0:3], 0 offset:444
	buffer_load_dword v32, off, s[0:3], 0 offset:420
	;; [unrolled: 1-line block ×3, first 2 shown]
	s_waitcnt vmcnt(58) lgkmcnt(0)
	v_mul_f64 v[161:162], v[12:13], v[39:40]
	v_mul_f64 v[39:40], v[14:15], v[39:40]
	s_waitcnt vmcnt(56)
	v_fma_f64 v[33:34], v[157:158], v[45:46], -v[33:34]
	ds_read_b128 v[1:4], v24 offset:960
	v_fma_f64 v[45:46], v[159:160], v[45:46], v[185:186]
	s_clause 0x4
	buffer_load_dword v158, off, s[0:3], 0 offset:460
	buffer_load_dword v159, off, s[0:3], 0 offset:472
	buffer_load_dword v179, off, s[0:3], 0 offset:464
	buffer_load_dword v157, off, s[0:3], 0 offset:456
	buffer_load_dword v185, off, s[0:3], 0 offset:436
	v_add_f64 v[22:23], v[18:19], v[22:23]
	v_add_f64 v[5:6], v[5:6], v[16:17]
	ds_read_b128 v[16:19], v24 offset:976
	s_waitcnt vmcnt(57) lgkmcnt(1)
	v_mul_f64 v[180:181], v[1:2], v[47:48]
	v_mul_f64 v[47:48], v[3:4], v[47:48]
	s_waitcnt vmcnt(56)
	v_fma_f64 v[39:40], v[12:13], v[20:21], -v[39:40]
	v_fma_f64 v[20:21], v[14:15], v[20:21], v[161:162]
	v_add_f64 v[22:23], v[22:23], v[33:34]
	v_add_f64 v[5:6], v[5:6], v[45:46]
	s_clause 0x2
	buffer_load_dword v160, off, s[0:3], 0 offset:476
	buffer_load_dword v34, off, s[0:3], 0 offset:452
	;; [unrolled: 1-line block ×3, first 2 shown]
	s_waitcnt vmcnt(58) lgkmcnt(0)
	v_mul_f64 v[45:46], v[16:17], v[51:52]
	v_mul_f64 v[51:52], v[18:19], v[51:52]
	s_waitcnt vmcnt(56)
	v_fma_f64 v[47:48], v[1:2], v[57:58], -v[47:48]
	ds_read_b128 v[12:15], v24 offset:992
	v_add_f64 v[22:23], v[22:23], v[39:40]
	v_fma_f64 v[39:40], v[3:4], v[57:58], v[180:181]
	v_add_f64 v[5:6], v[5:6], v[20:21]
	s_clause 0x4
	buffer_load_dword v21, off, s[0:3], 0 offset:492
	buffer_load_dword v57, off, s[0:3], 0 offset:504
	;; [unrolled: 1-line block ×5, first 2 shown]
	s_waitcnt vmcnt(57) lgkmcnt(0)
	v_mul_f64 v[186:187], v[12:13], v[59:60]
	v_mul_f64 v[59:60], v[14:15], v[59:60]
	s_waitcnt vmcnt(56)
	v_fma_f64 v[51:52], v[16:17], v[35:36], -v[51:52]
	ds_read_b128 v[1:4], v24 offset:1008
	v_fma_f64 v[35:36], v[18:19], v[35:36], v[45:46]
	v_add_f64 v[22:23], v[22:23], v[47:48]
	v_add_f64 v[5:6], v[5:6], v[39:40]
	s_clause 0x2
	buffer_load_dword v58, off, s[0:3], 0 offset:508
	buffer_load_dword v40, off, s[0:3], 0 offset:484
	;; [unrolled: 1-line block ×3, first 2 shown]
	ds_read_b128 v[16:19], v24 offset:1024
	s_waitcnt vmcnt(58) lgkmcnt(1)
	v_mul_f64 v[47:48], v[3:4], v[63:64]
	s_waitcnt vmcnt(56)
	v_fma_f64 v[59:60], v[12:13], v[65:66], -v[59:60]
	v_mul_f64 v[45:46], v[1:2], v[63:64]
	v_add_f64 v[22:23], v[22:23], v[51:52]
	v_fma_f64 v[51:52], v[14:15], v[65:66], v[186:187]
	v_add_f64 v[5:6], v[5:6], v[35:36]
	s_clause 0x4
	buffer_load_dword v36, off, s[0:3], 0 offset:524
	buffer_load_dword v63, off, s[0:3], 0 offset:536
	;; [unrolled: 1-line block ×5, first 2 shown]
	s_waitcnt vmcnt(57) lgkmcnt(0)
	v_mul_f64 v[186:187], v[16:17], v[67:68]
	v_mul_f64 v[66:67], v[18:19], v[67:68]
	s_waitcnt vmcnt(56)
	v_fma_f64 v[47:48], v[1:2], v[49:50], -v[47:48]
	ds_read_b128 v[12:15], v24 offset:1040
	v_fma_f64 v[45:46], v[3:4], v[49:50], v[45:46]
	s_clause 0x2
	buffer_load_dword v64, off, s[0:3], 0 offset:540
	buffer_load_dword v50, off, s[0:3], 0 offset:516
	;; [unrolled: 1-line block ×3, first 2 shown]
	ds_read_b128 v[1:4], v24 offset:1056
	v_add_f64 v[22:23], v[22:23], v[59:60]
	v_add_f64 v[5:6], v[5:6], v[51:52]
	s_waitcnt vmcnt(58) lgkmcnt(1)
	v_mul_f64 v[59:60], v[14:15], v[75:76]
	s_waitcnt vmcnt(56)
	v_fma_f64 v[67:68], v[16:17], v[77:78], -v[66:67]
	v_mul_f64 v[51:52], v[12:13], v[75:76]
	v_add_f64 v[22:23], v[22:23], v[47:48]
	v_fma_f64 v[47:48], v[18:19], v[77:78], v[186:187]
	v_add_f64 v[5:6], v[5:6], v[45:46]
	s_clause 0x4
	buffer_load_dword v46, off, s[0:3], 0 offset:556
	buffer_load_dword v75, off, s[0:3], 0 offset:568
	;; [unrolled: 1-line block ×5, first 2 shown]
	s_waitcnt vmcnt(57) lgkmcnt(0)
	v_mul_f64 v[186:187], v[1:2], v[79:80]
	v_mul_f64 v[78:79], v[3:4], v[79:80]
	s_waitcnt vmcnt(56)
	v_fma_f64 v[59:60], v[12:13], v[61:62], -v[59:60]
	ds_read_b128 v[16:19], v24 offset:1072
	v_fma_f64 v[51:52], v[14:15], v[61:62], v[51:52]
	v_add_f64 v[22:23], v[22:23], v[67:68]
	v_add_f64 v[5:6], v[5:6], v[47:48]
	s_clause 0x2
	buffer_load_dword v76, off, s[0:3], 0 offset:572
	buffer_load_dword v48, off, s[0:3], 0 offset:548
	;; [unrolled: 1-line block ×3, first 2 shown]
	ds_read_b128 v[12:15], v24 offset:1088
	s_waitcnt vmcnt(58) lgkmcnt(1)
	v_mul_f64 v[67:68], v[18:19], v[153:154]
	s_waitcnt vmcnt(56)
	v_fma_f64 v[79:80], v[1:2], v[155:156], -v[78:79]
	v_mul_f64 v[61:62], v[16:17], v[153:154]
	v_add_f64 v[22:23], v[22:23], v[59:60]
	v_fma_f64 v[59:60], v[3:4], v[155:156], v[186:187]
	v_add_f64 v[5:6], v[5:6], v[51:52]
	s_clause 0x4
	buffer_load_dword v52, off, s[0:3], 0 offset:588
	buffer_load_dword v153, off, s[0:3], 0 offset:600
	;; [unrolled: 1-line block ×5, first 2 shown]
	s_waitcnt vmcnt(57) lgkmcnt(0)
	v_mul_f64 v[186:187], v[12:13], v[171:172]
	v_mul_f64 v[171:172], v[14:15], v[171:172]
	s_waitcnt vmcnt(56)
	v_fma_f64 v[67:68], v[16:17], v[73:74], -v[67:68]
	ds_read_b128 v[1:4], v24 offset:1104
	v_fma_f64 v[61:62], v[18:19], v[73:74], v[61:62]
	v_add_f64 v[22:23], v[22:23], v[79:80]
	v_add_f64 v[5:6], v[5:6], v[59:60]
	s_clause 0x2
	buffer_load_dword v154, off, s[0:3], 0 offset:604
	buffer_load_dword v60, off, s[0:3], 0 offset:580
	;; [unrolled: 1-line block ×3, first 2 shown]
	ds_read_b128 v[16:19], v24 offset:1120
	s_waitcnt vmcnt(58) lgkmcnt(1)
	v_mul_f64 v[79:80], v[3:4], v[173:174]
	v_mul_f64 v[73:74], v[1:2], v[173:174]
	s_waitcnt vmcnt(56)
	v_fma_f64 v[171:172], v[12:13], v[169:170], -v[171:172]
	v_add_f64 v[22:23], v[22:23], v[67:68]
	v_fma_f64 v[67:68], v[14:15], v[169:170], v[186:187]
	v_add_f64 v[5:6], v[5:6], v[61:62]
	s_clause 0x4
	buffer_load_dword v62, off, s[0:3], 0 offset:620
	buffer_load_dword v169, off, s[0:3], 0 offset:632
	;; [unrolled: 1-line block ×5, first 2 shown]
	s_waitcnt vmcnt(57) lgkmcnt(0)
	v_mul_f64 v[186:187], v[16:17], v[163:164]
	v_mul_f64 v[163:164], v[18:19], v[163:164]
	ds_read_b128 v[12:15], v24 offset:1136
	s_waitcnt vmcnt(56)
	v_fma_f64 v[79:80], v[1:2], v[175:176], -v[79:80]
	v_fma_f64 v[73:74], v[3:4], v[175:176], v[73:74]
	v_add_f64 v[22:23], v[22:23], v[171:172]
	v_add_f64 v[5:6], v[5:6], v[67:68]
	s_clause 0x2
	buffer_load_dword v170, off, s[0:3], 0 offset:636
	buffer_load_dword v68, off, s[0:3], 0 offset:612
	;; [unrolled: 1-line block ×3, first 2 shown]
	s_waitcnt vmcnt(58) lgkmcnt(0)
	v_mul_f64 v[175:176], v[14:15], v[177:178]
	s_waitcnt vmcnt(56)
	v_fma_f64 v[163:164], v[16:17], v[167:168], -v[163:164]
	ds_read_b128 v[1:4], v24 offset:1152
	v_mul_f64 v[171:172], v[12:13], v[177:178]
	v_add_f64 v[22:23], v[22:23], v[79:80]
	v_fma_f64 v[79:80], v[18:19], v[167:168], v[186:187]
	v_add_f64 v[5:6], v[5:6], v[73:74]
	s_clause 0x4
	buffer_load_dword v74, off, s[0:3], 0 offset:652
	buffer_load_dword v167, off, s[0:3], 0 offset:664
	;; [unrolled: 1-line block ×5, first 2 shown]
	ds_read_b128 v[16:19], v24 offset:1168
	s_waitcnt vmcnt(57) lgkmcnt(1)
	v_mul_f64 v[186:187], v[1:2], v[37:38]
	v_mul_f64 v[37:38], v[3:4], v[37:38]
	s_waitcnt vmcnt(56)
	v_fma_f64 v[175:176], v[12:13], v[182:183], -v[175:176]
	v_add_f64 v[22:23], v[22:23], v[163:164]
	v_fma_f64 v[163:164], v[14:15], v[182:183], v[171:172]
	v_add_f64 v[5:6], v[5:6], v[79:80]
	s_clause 0x2
	buffer_load_dword v168, off, s[0:3], 0 offset:668
	buffer_load_dword v80, off, s[0:3], 0 offset:644
	;; [unrolled: 1-line block ×3, first 2 shown]
	ds_read_b128 v[12:15], v24 offset:1184
	s_waitcnt vmcnt(58) lgkmcnt(1)
	v_mul_f64 v[171:172], v[16:17], v[165:166]
	v_mul_f64 v[165:166], v[18:19], v[165:166]
	s_waitcnt vmcnt(56)
	v_fma_f64 v[37:38], v[1:2], v[31:32], -v[37:38]
	v_fma_f64 v[31:32], v[3:4], v[31:32], v[186:187]
	v_add_f64 v[22:23], v[22:23], v[175:176]
	v_add_f64 v[5:6], v[5:6], v[163:164]
	s_clause 0x4
	buffer_load_dword v164, off, s[0:3], 0 offset:684
	buffer_load_dword v175, off, s[0:3], 0 offset:696
	;; [unrolled: 1-line block ×5, first 2 shown]
	s_waitcnt vmcnt(57) lgkmcnt(0)
	v_mul_f64 v[182:183], v[12:13], v[157:158]
	v_mul_f64 v[157:158], v[14:15], v[157:158]
	ds_read_b128 v[1:4], v24 offset:1200
	s_waitcnt vmcnt(56)
	v_fma_f64 v[165:166], v[16:17], v[184:185], -v[165:166]
	v_add_f64 v[22:23], v[22:23], v[37:38]
	v_fma_f64 v[37:38], v[18:19], v[184:185], v[171:172]
	v_add_f64 v[5:6], v[5:6], v[31:32]
	s_clause 0x2
	buffer_load_dword v176, off, s[0:3], 0 offset:700
	buffer_load_dword v32, off, s[0:3], 0 offset:676
	;; [unrolled: 1-line block ×3, first 2 shown]
	ds_read_b128 v[16:19], v24 offset:1216
	s_waitcnt vmcnt(58) lgkmcnt(1)
	v_mul_f64 v[171:172], v[1:2], v[159:160]
	v_mul_f64 v[159:160], v[3:4], v[159:160]
	s_waitcnt vmcnt(56)
	v_fma_f64 v[157:158], v[12:13], v[33:34], -v[157:158]
	v_fma_f64 v[33:34], v[14:15], v[33:34], v[182:183]
	v_add_f64 v[22:23], v[22:23], v[165:166]
	v_add_f64 v[5:6], v[5:6], v[37:38]
	s_clause 0x4
	buffer_load_dword v38, off, s[0:3], 0 offset:716
	buffer_load_dword v165, off, s[0:3], 0 offset:728
	buffer_load_dword v183, off, s[0:3], 0 offset:720
	buffer_load_dword v37, off, s[0:3], 0 offset:712
	buffer_load_dword v182, off, s[0:3], 0 offset:692
	ds_read_b128 v[12:15], v24 offset:1232
	s_waitcnt vmcnt(57) lgkmcnt(1)
	v_mul_f64 v[184:185], v[16:17], v[20:21]
	v_mul_f64 v[20:21], v[18:19], v[20:21]
	s_waitcnt vmcnt(56)
	v_fma_f64 v[159:160], v[1:2], v[179:180], -v[159:160]
	v_add_f64 v[22:23], v[22:23], v[157:158]
	v_fma_f64 v[157:158], v[3:4], v[179:180], v[171:172]
	v_add_f64 v[5:6], v[5:6], v[33:34]
	s_clause 0x2
	buffer_load_dword v166, off, s[0:3], 0 offset:732
	buffer_load_dword v34, off, s[0:3], 0 offset:708
	;; [unrolled: 1-line block ×3, first 2 shown]
	ds_read_b128 v[1:4], v24 offset:1248
	s_waitcnt vmcnt(58) lgkmcnt(1)
	v_mul_f64 v[171:172], v[12:13], v[57:58]
	v_mul_f64 v[57:58], v[14:15], v[57:58]
	s_waitcnt vmcnt(56)
	v_fma_f64 v[20:21], v[16:17], v[39:40], -v[20:21]
	v_fma_f64 v[39:40], v[18:19], v[39:40], v[184:185]
	v_add_f64 v[22:23], v[22:23], v[159:160]
	v_add_f64 v[5:6], v[5:6], v[157:158]
	s_clause 0x4
	buffer_load_dword v158, off, s[0:3], 0 offset:748
	buffer_load_dword v159, off, s[0:3], 0 offset:760
	;; [unrolled: 1-line block ×5, first 2 shown]
	ds_read_b128 v[16:19], v24 offset:1264
	s_waitcnt vmcnt(57) lgkmcnt(1)
	v_mul_f64 v[185:186], v[1:2], v[35:36]
	v_mul_f64 v[35:36], v[3:4], v[35:36]
	s_waitcnt vmcnt(56)
	v_fma_f64 v[57:58], v[12:13], v[161:162], -v[57:58]
	v_add_f64 v[20:21], v[22:23], v[20:21]
	v_fma_f64 v[22:23], v[14:15], v[161:162], v[171:172]
	v_add_f64 v[5:6], v[5:6], v[39:40]
	s_clause 0x2
	buffer_load_dword v160, off, s[0:3], 0 offset:764
	buffer_load_dword v40, off, s[0:3], 0 offset:740
	;; [unrolled: 1-line block ×3, first 2 shown]
	s_waitcnt vmcnt(58) lgkmcnt(0)
	v_mul_f64 v[161:162], v[16:17], v[63:64]
	v_mul_f64 v[63:64], v[18:19], v[63:64]
	ds_read_b128 v[12:15], v24 offset:1280
	buffer_load_dword v180, off, s[0:3], 0 offset:756
	s_waitcnt vmcnt(57)
	v_fma_f64 v[35:36], v[1:2], v[49:50], -v[35:36]
	v_fma_f64 v[49:50], v[3:4], v[49:50], v[185:186]
	ds_read_b128 v[1:4], v24 offset:1296
	v_add_f64 v[20:21], v[20:21], v[57:58]
	v_add_f64 v[5:6], v[5:6], v[22:23]
	s_waitcnt vmcnt(53) lgkmcnt(1)
	v_mul_f64 v[22:23], v[12:13], v[45:46]
	v_mul_f64 v[45:46], v[14:15], v[45:46]
	s_waitcnt vmcnt(52)
	v_fma_f64 v[57:58], v[16:17], v[65:66], -v[63:64]
	v_add_f64 v[20:21], v[20:21], v[35:36]
	v_fma_f64 v[35:36], v[18:19], v[65:66], v[161:162]
	v_add_f64 v[5:6], v[5:6], v[49:50]
	ds_read_b128 v[16:19], v24 offset:1312
	s_waitcnt vmcnt(51) lgkmcnt(1)
	v_mul_f64 v[63:64], v[3:4], v[75:76]
	v_mul_f64 v[49:50], v[1:2], v[75:76]
	s_waitcnt vmcnt(49)
	v_fma_f64 v[45:46], v[12:13], v[47:48], -v[45:46]
	v_fma_f64 v[22:23], v[14:15], v[47:48], v[22:23]
	v_add_f64 v[20:21], v[20:21], v[57:58]
	v_add_f64 v[5:6], v[5:6], v[35:36]
	s_clause 0x3
	buffer_load_dword v35, off, s[0:3], 0 offset:96
	buffer_load_dword v36, off, s[0:3], 0 offset:100
	;; [unrolled: 1-line block ×4, first 2 shown]
	ds_read_b128 v[12:15], v24 offset:1328
	s_waitcnt vmcnt(49) lgkmcnt(1)
	v_mul_f64 v[57:58], v[16:17], v[51:52]
	v_mul_f64 v[51:52], v[18:19], v[51:52]
	s_waitcnt vmcnt(48)
	v_fma_f64 v[63:64], v[1:2], v[77:78], -v[63:64]
	v_add_f64 v[20:21], v[20:21], v[45:46]
	v_fma_f64 v[45:46], v[3:4], v[77:78], v[49:50]
	v_add_f64 v[5:6], v[5:6], v[22:23]
	ds_read_b128 v[1:4], v24 offset:1344
	s_waitcnt vmcnt(47) lgkmcnt(1)
	v_mul_f64 v[49:50], v[14:15], v[153:154]
	v_mul_f64 v[22:23], v[12:13], v[153:154]
	s_waitcnt vmcnt(45)
	v_fma_f64 v[51:52], v[16:17], v[59:60], -v[51:52]
	v_fma_f64 v[57:58], v[18:19], v[59:60], v[57:58]
	ds_read_b128 v[16:19], v24 offset:1360
	v_add_f64 v[20:21], v[20:21], v[63:64]
	v_add_f64 v[5:6], v[5:6], v[45:46]
	s_waitcnt vmcnt(41) lgkmcnt(1)
	v_mul_f64 v[59:60], v[3:4], v[61:62]
	s_waitcnt vmcnt(40)
	v_fma_f64 v[49:50], v[12:13], v[155:156], -v[49:50]
	v_mul_f64 v[45:46], v[1:2], v[61:62]
	v_fma_f64 v[22:23], v[14:15], v[155:156], v[22:23]
	ds_read_b128 v[12:15], v24 offset:1376
	v_add_f64 v[20:21], v[20:21], v[51:52]
	v_add_f64 v[5:6], v[5:6], v[57:58]
	s_waitcnt vmcnt(39) lgkmcnt(1)
	v_mul_f64 v[57:58], v[18:19], v[169:170]
	v_mul_f64 v[51:52], v[16:17], v[169:170]
	s_waitcnt vmcnt(37)
	v_fma_f64 v[59:60], v[1:2], v[67:68], -v[59:60]
	v_fma_f64 v[45:46], v[3:4], v[67:68], v[45:46]
	ds_read_b128 v[1:4], v24 offset:1392
	v_add_f64 v[20:21], v[20:21], v[49:50]
	v_add_f64 v[5:6], v[5:6], v[22:23]
	s_waitcnt vmcnt(33) lgkmcnt(1)
	v_mul_f64 v[49:50], v[14:15], v[73:74]
	s_waitcnt vmcnt(32)
	v_fma_f64 v[57:58], v[16:17], v[173:174], -v[57:58]
	v_mul_f64 v[22:23], v[12:13], v[73:74]
	v_fma_f64 v[51:52], v[18:19], v[173:174], v[51:52]
	ds_read_b128 v[16:19], v24 offset:1408
	v_add_f64 v[20:21], v[20:21], v[59:60]
	v_add_f64 v[5:6], v[5:6], v[45:46]
	;; [unrolled: 18-line block ×3, first 2 shown]
	s_waitcnt vmcnt(23) lgkmcnt(1)
	v_mul_f64 v[49:50], v[14:15], v[175:176]
	v_mul_f64 v[22:23], v[12:13], v[175:176]
	s_waitcnt vmcnt(21)
	v_fma_f64 v[57:58], v[16:17], v[31:32], -v[57:58]
	v_fma_f64 v[31:32], v[18:19], v[31:32], v[51:52]
	ds_read_b128 v[16:19], v24 offset:1456
	v_add_f64 v[20:21], v[20:21], v[59:60]
	v_add_f64 v[5:6], v[5:6], v[45:46]
	s_waitcnt vmcnt(17) lgkmcnt(1)
	v_mul_f64 v[45:46], v[1:2], v[37:38]
	v_mul_f64 v[37:38], v[3:4], v[37:38]
	s_waitcnt vmcnt(16)
	v_fma_f64 v[49:50], v[12:13], v[181:182], -v[49:50]
	v_fma_f64 v[22:23], v[14:15], v[181:182], v[22:23]
	ds_read_b128 v[12:15], v24 offset:1472
	v_add_f64 v[20:21], v[20:21], v[57:58]
	v_add_f64 v[5:6], v[5:6], v[31:32]
	;; [unrolled: 9-line block ×3, first 2 shown]
	s_waitcnt vmcnt(9) lgkmcnt(1)
	v_mul_f64 v[45:46], v[14:15], v[157:158]
	s_waitcnt vmcnt(8)
	v_fma_f64 v[16:17], v[16:17], v[183:184], -v[51:52]
	v_mul_f64 v[22:23], v[12:13], v[157:158]
	v_fma_f64 v[18:19], v[18:19], v[183:184], v[31:32]
	v_add_f64 v[20:21], v[20:21], v[37:38]
	v_add_f64 v[5:6], v[5:6], v[33:34]
	s_waitcnt vmcnt(7) lgkmcnt(0)
	v_mul_f64 v[33:34], v[3:4], v[159:160]
	v_mul_f64 v[31:32], v[1:2], v[159:160]
	s_waitcnt vmcnt(5)
	v_fma_f64 v[12:13], v[12:13], v[39:40], -v[45:46]
	v_fma_f64 v[14:15], v[14:15], v[39:40], v[22:23]
	v_add_f64 v[16:17], v[20:21], v[16:17]
	v_add_f64 v[5:6], v[5:6], v[18:19]
	s_waitcnt vmcnt(4)
	v_fma_f64 v[1:2], v[1:2], v[179:180], -v[33:34]
	v_fma_f64 v[3:4], v[3:4], v[179:180], v[31:32]
	v_add_f64 v[12:13], v[16:17], v[12:13]
	v_add_f64 v[5:6], v[5:6], v[14:15]
	;; [unrolled: 1-line block ×4, first 2 shown]
	s_waitcnt vmcnt(2)
	v_add_f64 v[1:2], v[35:36], -v[1:2]
	s_waitcnt vmcnt(0)
	v_add_f64 v[3:4], v[47:48], -v[3:4]
	buffer_store_dword v2, off, s[0:3], 0 offset:100
	buffer_store_dword v1, off, s[0:3], 0 offset:96
	;; [unrolled: 1-line block ×4, first 2 shown]
	v_cmpx_lt_u32_e32 4, v0
	s_cbranch_execz .LBB46_287
; %bb.286:
	v_mov_b32_e32 v4, s44
	s_clause 0x3
	buffer_load_dword v1, v4, s[0:3], 0 offen
	buffer_load_dword v2, v4, s[0:3], 0 offen offset:4
	buffer_load_dword v3, v4, s[0:3], 0 offen offset:8
	;; [unrolled: 1-line block ×3, first 2 shown]
	buffer_store_dword v24, off, s[0:3], 0 offset:80
	buffer_store_dword v24, off, s[0:3], 0 offset:84
	;; [unrolled: 1-line block ×4, first 2 shown]
	s_waitcnt vmcnt(0)
	ds_write_b128 v7, v[1:4]
.LBB46_287:
	s_or_b32 exec_lo, exec_lo, s4
	s_waitcnt lgkmcnt(0)
	s_waitcnt_vscnt null, 0x0
	s_barrier
	buffer_gl0_inv
	s_clause 0x37
	buffer_load_dword v14, off, s[0:3], 0 offset:104
	buffer_load_dword v15, off, s[0:3], 0 offset:108
	buffer_load_dword v5, off, s[0:3], 0 offset:120
	buffer_load_dword v6, off, s[0:3], 0 offset:124
	buffer_load_dword v12, off, s[0:3], 0 offset:96
	buffer_load_dword v13, off, s[0:3], 0 offset:100
	buffer_load_dword v3, off, s[0:3], 0 offset:136
	buffer_load_dword v4, off, s[0:3], 0 offset:140
	buffer_load_dword v1, off, s[0:3], 0 offset:112
	buffer_load_dword v2, off, s[0:3], 0 offset:116
	buffer_load_dword v19, off, s[0:3], 0 offset:156
	buffer_load_dword v22, off, s[0:3], 0 offset:168
	buffer_load_dword v16, off, s[0:3], 0 offset:160
	buffer_load_dword v18, off, s[0:3], 0 offset:152
	buffer_load_dword v37, off, s[0:3], 0 offset:128
	buffer_load_dword v38, off, s[0:3], 0 offset:132
	buffer_load_dword v23, off, s[0:3], 0 offset:172
	buffer_load_dword v32, off, s[0:3], 0 offset:148
	buffer_load_dword v31, off, s[0:3], 0 offset:144
	buffer_load_dword v34, off, s[0:3], 0 offset:188
	buffer_load_dword v39, off, s[0:3], 0 offset:200
	buffer_load_dword v20, off, s[0:3], 0 offset:192
	buffer_load_dword v33, off, s[0:3], 0 offset:184
	buffer_load_dword v17, off, s[0:3], 0 offset:164
	buffer_load_dword v40, off, s[0:3], 0 offset:204
	buffer_load_dword v46, off, s[0:3], 0 offset:180
	buffer_load_dword v45, off, s[0:3], 0 offset:176
	buffer_load_dword v48, off, s[0:3], 0 offset:220
	buffer_load_dword v51, off, s[0:3], 0 offset:232
	buffer_load_dword v35, off, s[0:3], 0 offset:224
	buffer_load_dword v47, off, s[0:3], 0 offset:216
	buffer_load_dword v21, off, s[0:3], 0 offset:196
	buffer_load_dword v52, off, s[0:3], 0 offset:236
	buffer_load_dword v58, off, s[0:3], 0 offset:212
	buffer_load_dword v57, off, s[0:3], 0 offset:208
	buffer_load_dword v60, off, s[0:3], 0 offset:252
	buffer_load_dword v63, off, s[0:3], 0 offset:264
	buffer_load_dword v49, off, s[0:3], 0 offset:256
	buffer_load_dword v59, off, s[0:3], 0 offset:248
	buffer_load_dword v36, off, s[0:3], 0 offset:228
	buffer_load_dword v64, off, s[0:3], 0 offset:268
	buffer_load_dword v66, off, s[0:3], 0 offset:244
	buffer_load_dword v65, off, s[0:3], 0 offset:240
	buffer_load_dword v68, off, s[0:3], 0 offset:284
	buffer_load_dword v75, off, s[0:3], 0 offset:296
	buffer_load_dword v61, off, s[0:3], 0 offset:288
	buffer_load_dword v67, off, s[0:3], 0 offset:280
	buffer_load_dword v50, off, s[0:3], 0 offset:260
	buffer_load_dword v76, off, s[0:3], 0 offset:300
	buffer_load_dword v78, off, s[0:3], 0 offset:276
	buffer_load_dword v77, off, s[0:3], 0 offset:272
	buffer_load_dword v80, off, s[0:3], 0 offset:316
	buffer_load_dword v153, off, s[0:3], 0 offset:328
	buffer_load_dword v73, off, s[0:3], 0 offset:320
	buffer_load_dword v79, off, s[0:3], 0 offset:312
	buffer_load_dword v62, off, s[0:3], 0 offset:292
	ds_read_b128 v[157:160], v24 offset:832
	s_clause 0x2
	buffer_load_dword v154, off, s[0:3], 0 offset:332
	buffer_load_dword v156, off, s[0:3], 0 offset:308
	;; [unrolled: 1-line block ×3, first 2 shown]
	ds_read_b128 v[161:164], v24 offset:848
	s_clause 0x4
	buffer_load_dword v172, off, s[0:3], 0 offset:348
	buffer_load_dword v173, off, s[0:3], 0 offset:360
	;; [unrolled: 1-line block ×5, first 2 shown]
	ds_read_b128 v[165:168], v24 offset:864
	s_mov_b32 s4, exec_lo
	s_waitcnt vmcnt(62) lgkmcnt(2)
	v_mul_f64 v[169:170], v[159:160], v[14:15]
	v_mul_f64 v[14:15], v[157:158], v[14:15]
	s_waitcnt vmcnt(60) lgkmcnt(1)
	v_mul_f64 v[176:177], v[163:164], v[5:6]
	v_mul_f64 v[5:6], v[161:162], v[5:6]
	;; [unrolled: 3-line block ×3, first 2 shown]
	v_fma_f64 v[157:158], v[157:158], v[12:13], -v[169:170]
	v_fma_f64 v[159:160], v[159:160], v[12:13], v[14:15]
	s_clause 0x2
	buffer_load_dword v174, off, s[0:3], 0 offset:364
	buffer_load_dword v170, off, s[0:3], 0 offset:340
	;; [unrolled: 1-line block ×3, first 2 shown]
	s_waitcnt vmcnt(57)
	v_fma_f64 v[161:162], v[161:162], v[1:2], -v[176:177]
	ds_read_b128 v[12:15], v24 offset:880
	v_fma_f64 v[5:6], v[163:164], v[1:2], v[5:6]
	s_clause 0x4
	buffer_load_dword v164, off, s[0:3], 0 offset:380
	buffer_load_dword v177, off, s[0:3], 0 offset:392
	;; [unrolled: 1-line block ×5, first 2 shown]
	s_waitcnt vmcnt(56)
	v_fma_f64 v[165:166], v[165:166], v[37:38], -v[180:181]
	ds_read_b128 v[1:4], v24 offset:896
	v_fma_f64 v[37:38], v[167:168], v[37:38], v[178:179]
	s_clause 0x2
	buffer_load_dword v178, off, s[0:3], 0 offset:396
	buffer_load_dword v168, off, s[0:3], 0 offset:372
	;; [unrolled: 1-line block ×3, first 2 shown]
	v_add_f64 v[157:158], v[157:158], 0
	v_add_f64 v[159:160], v[159:160], 0
	s_waitcnt lgkmcnt(1)
	v_mul_f64 v[183:184], v[12:13], v[18:19]
	v_mul_f64 v[18:19], v[14:15], v[18:19]
	s_waitcnt vmcnt(58) lgkmcnt(0)
	v_mul_f64 v[179:180], v[1:2], v[22:23]
	v_mul_f64 v[22:23], v[3:4], v[22:23]
	v_add_f64 v[161:162], v[157:158], v[161:162]
	v_add_f64 v[5:6], v[159:160], v[5:6]
	ds_read_b128 v[157:160], v24 offset:912
	s_waitcnt vmcnt(56)
	v_fma_f64 v[18:19], v[12:13], v[31:32], -v[18:19]
	v_fma_f64 v[31:32], v[14:15], v[31:32], v[183:184]
	s_waitcnt vmcnt(51)
	v_fma_f64 v[22:23], v[1:2], v[16:17], -v[22:23]
	v_fma_f64 v[16:17], v[3:4], v[16:17], v[179:180]
	s_waitcnt lgkmcnt(0)
	v_mul_f64 v[185:186], v[157:158], v[33:34]
	v_add_f64 v[161:162], v[161:162], v[165:166]
	v_add_f64 v[5:6], v[5:6], v[37:38]
	s_clause 0x4
	buffer_load_dword v38, off, s[0:3], 0 offset:412
	buffer_load_dword v165, off, s[0:3], 0 offset:424
	;; [unrolled: 1-line block ×5, first 2 shown]
	v_mul_f64 v[33:34], v[159:160], v[33:34]
	ds_read_b128 v[12:15], v24 offset:928
	v_add_f64 v[18:19], v[161:162], v[18:19]
	v_add_f64 v[5:6], v[5:6], v[31:32]
	s_clause 0x2
	buffer_load_dword v166, off, s[0:3], 0 offset:428
	buffer_load_dword v32, off, s[0:3], 0 offset:404
	;; [unrolled: 1-line block ×3, first 2 shown]
	s_waitcnt vmcnt(58) lgkmcnt(0)
	v_mul_f64 v[161:162], v[12:13], v[39:40]
	v_mul_f64 v[39:40], v[14:15], v[39:40]
	s_waitcnt vmcnt(56)
	v_fma_f64 v[33:34], v[157:158], v[45:46], -v[33:34]
	ds_read_b128 v[1:4], v24 offset:944
	v_fma_f64 v[45:46], v[159:160], v[45:46], v[185:186]
	s_clause 0x4
	buffer_load_dword v158, off, s[0:3], 0 offset:444
	buffer_load_dword v159, off, s[0:3], 0 offset:456
	;; [unrolled: 1-line block ×5, first 2 shown]
	v_add_f64 v[22:23], v[18:19], v[22:23]
	v_add_f64 v[5:6], v[5:6], v[16:17]
	ds_read_b128 v[16:19], v24 offset:960
	s_waitcnt vmcnt(57) lgkmcnt(1)
	v_mul_f64 v[180:181], v[1:2], v[47:48]
	v_mul_f64 v[47:48], v[3:4], v[47:48]
	s_waitcnt vmcnt(56)
	v_fma_f64 v[39:40], v[12:13], v[20:21], -v[39:40]
	v_fma_f64 v[20:21], v[14:15], v[20:21], v[161:162]
	v_add_f64 v[22:23], v[22:23], v[33:34]
	v_add_f64 v[5:6], v[5:6], v[45:46]
	s_clause 0x2
	buffer_load_dword v160, off, s[0:3], 0 offset:460
	buffer_load_dword v34, off, s[0:3], 0 offset:436
	;; [unrolled: 1-line block ×3, first 2 shown]
	s_waitcnt vmcnt(58) lgkmcnt(0)
	v_mul_f64 v[45:46], v[16:17], v[51:52]
	v_mul_f64 v[51:52], v[18:19], v[51:52]
	s_waitcnt vmcnt(56)
	v_fma_f64 v[47:48], v[1:2], v[57:58], -v[47:48]
	ds_read_b128 v[12:15], v24 offset:976
	v_add_f64 v[22:23], v[22:23], v[39:40]
	v_fma_f64 v[39:40], v[3:4], v[57:58], v[180:181]
	v_add_f64 v[5:6], v[5:6], v[20:21]
	s_clause 0x4
	buffer_load_dword v21, off, s[0:3], 0 offset:476
	buffer_load_dword v57, off, s[0:3], 0 offset:488
	;; [unrolled: 1-line block ×5, first 2 shown]
	s_waitcnt vmcnt(57) lgkmcnt(0)
	v_mul_f64 v[186:187], v[12:13], v[59:60]
	v_mul_f64 v[59:60], v[14:15], v[59:60]
	s_waitcnt vmcnt(56)
	v_fma_f64 v[51:52], v[16:17], v[35:36], -v[51:52]
	ds_read_b128 v[1:4], v24 offset:992
	v_fma_f64 v[35:36], v[18:19], v[35:36], v[45:46]
	v_add_f64 v[22:23], v[22:23], v[47:48]
	v_add_f64 v[5:6], v[5:6], v[39:40]
	s_clause 0x2
	buffer_load_dword v58, off, s[0:3], 0 offset:492
	buffer_load_dword v40, off, s[0:3], 0 offset:468
	;; [unrolled: 1-line block ×3, first 2 shown]
	ds_read_b128 v[16:19], v24 offset:1008
	s_waitcnt vmcnt(58) lgkmcnt(1)
	v_mul_f64 v[47:48], v[3:4], v[63:64]
	s_waitcnt vmcnt(56)
	v_fma_f64 v[59:60], v[12:13], v[65:66], -v[59:60]
	v_mul_f64 v[45:46], v[1:2], v[63:64]
	v_add_f64 v[22:23], v[22:23], v[51:52]
	v_fma_f64 v[51:52], v[14:15], v[65:66], v[186:187]
	v_add_f64 v[5:6], v[5:6], v[35:36]
	s_clause 0x4
	buffer_load_dword v36, off, s[0:3], 0 offset:508
	buffer_load_dword v63, off, s[0:3], 0 offset:520
	;; [unrolled: 1-line block ×5, first 2 shown]
	s_waitcnt vmcnt(57) lgkmcnt(0)
	v_mul_f64 v[186:187], v[16:17], v[67:68]
	v_mul_f64 v[66:67], v[18:19], v[67:68]
	s_waitcnt vmcnt(56)
	v_fma_f64 v[47:48], v[1:2], v[49:50], -v[47:48]
	ds_read_b128 v[12:15], v24 offset:1024
	v_fma_f64 v[45:46], v[3:4], v[49:50], v[45:46]
	s_clause 0x2
	buffer_load_dword v64, off, s[0:3], 0 offset:524
	buffer_load_dword v50, off, s[0:3], 0 offset:500
	;; [unrolled: 1-line block ×3, first 2 shown]
	ds_read_b128 v[1:4], v24 offset:1040
	v_add_f64 v[22:23], v[22:23], v[59:60]
	v_add_f64 v[5:6], v[5:6], v[51:52]
	s_waitcnt vmcnt(58) lgkmcnt(1)
	v_mul_f64 v[59:60], v[14:15], v[75:76]
	s_waitcnt vmcnt(56)
	v_fma_f64 v[67:68], v[16:17], v[77:78], -v[66:67]
	v_mul_f64 v[51:52], v[12:13], v[75:76]
	v_add_f64 v[22:23], v[22:23], v[47:48]
	v_fma_f64 v[47:48], v[18:19], v[77:78], v[186:187]
	v_add_f64 v[5:6], v[5:6], v[45:46]
	s_clause 0x4
	buffer_load_dword v46, off, s[0:3], 0 offset:540
	buffer_load_dword v75, off, s[0:3], 0 offset:552
	;; [unrolled: 1-line block ×5, first 2 shown]
	s_waitcnt vmcnt(57) lgkmcnt(0)
	v_mul_f64 v[186:187], v[1:2], v[79:80]
	v_mul_f64 v[78:79], v[3:4], v[79:80]
	s_waitcnt vmcnt(56)
	v_fma_f64 v[59:60], v[12:13], v[61:62], -v[59:60]
	ds_read_b128 v[16:19], v24 offset:1056
	v_fma_f64 v[51:52], v[14:15], v[61:62], v[51:52]
	v_add_f64 v[22:23], v[22:23], v[67:68]
	v_add_f64 v[5:6], v[5:6], v[47:48]
	s_clause 0x2
	buffer_load_dword v76, off, s[0:3], 0 offset:556
	buffer_load_dword v48, off, s[0:3], 0 offset:532
	;; [unrolled: 1-line block ×3, first 2 shown]
	ds_read_b128 v[12:15], v24 offset:1072
	s_waitcnt vmcnt(58) lgkmcnt(1)
	v_mul_f64 v[67:68], v[18:19], v[153:154]
	s_waitcnt vmcnt(56)
	v_fma_f64 v[79:80], v[1:2], v[155:156], -v[78:79]
	v_mul_f64 v[61:62], v[16:17], v[153:154]
	v_add_f64 v[22:23], v[22:23], v[59:60]
	v_fma_f64 v[59:60], v[3:4], v[155:156], v[186:187]
	v_add_f64 v[5:6], v[5:6], v[51:52]
	s_clause 0x4
	buffer_load_dword v52, off, s[0:3], 0 offset:572
	buffer_load_dword v153, off, s[0:3], 0 offset:584
	;; [unrolled: 1-line block ×5, first 2 shown]
	s_waitcnt vmcnt(57) lgkmcnt(0)
	v_mul_f64 v[186:187], v[12:13], v[171:172]
	v_mul_f64 v[171:172], v[14:15], v[171:172]
	s_waitcnt vmcnt(56)
	v_fma_f64 v[67:68], v[16:17], v[73:74], -v[67:68]
	ds_read_b128 v[1:4], v24 offset:1088
	v_fma_f64 v[61:62], v[18:19], v[73:74], v[61:62]
	v_add_f64 v[22:23], v[22:23], v[79:80]
	v_add_f64 v[5:6], v[5:6], v[59:60]
	s_clause 0x2
	buffer_load_dword v154, off, s[0:3], 0 offset:588
	buffer_load_dword v60, off, s[0:3], 0 offset:564
	;; [unrolled: 1-line block ×3, first 2 shown]
	ds_read_b128 v[16:19], v24 offset:1104
	s_waitcnt vmcnt(58) lgkmcnt(1)
	v_mul_f64 v[79:80], v[3:4], v[173:174]
	v_mul_f64 v[73:74], v[1:2], v[173:174]
	s_waitcnt vmcnt(56)
	v_fma_f64 v[171:172], v[12:13], v[169:170], -v[171:172]
	v_add_f64 v[22:23], v[22:23], v[67:68]
	v_fma_f64 v[67:68], v[14:15], v[169:170], v[186:187]
	v_add_f64 v[5:6], v[5:6], v[61:62]
	s_clause 0x4
	buffer_load_dword v62, off, s[0:3], 0 offset:604
	buffer_load_dword v169, off, s[0:3], 0 offset:616
	;; [unrolled: 1-line block ×5, first 2 shown]
	s_waitcnt vmcnt(57) lgkmcnt(0)
	v_mul_f64 v[186:187], v[16:17], v[163:164]
	v_mul_f64 v[163:164], v[18:19], v[163:164]
	ds_read_b128 v[12:15], v24 offset:1120
	s_waitcnt vmcnt(56)
	v_fma_f64 v[79:80], v[1:2], v[175:176], -v[79:80]
	v_fma_f64 v[73:74], v[3:4], v[175:176], v[73:74]
	v_add_f64 v[22:23], v[22:23], v[171:172]
	v_add_f64 v[5:6], v[5:6], v[67:68]
	s_clause 0x2
	buffer_load_dword v170, off, s[0:3], 0 offset:620
	buffer_load_dword v68, off, s[0:3], 0 offset:596
	;; [unrolled: 1-line block ×3, first 2 shown]
	s_waitcnt vmcnt(58) lgkmcnt(0)
	v_mul_f64 v[175:176], v[14:15], v[177:178]
	s_waitcnt vmcnt(56)
	v_fma_f64 v[163:164], v[16:17], v[167:168], -v[163:164]
	ds_read_b128 v[1:4], v24 offset:1136
	v_mul_f64 v[171:172], v[12:13], v[177:178]
	v_add_f64 v[22:23], v[22:23], v[79:80]
	v_fma_f64 v[79:80], v[18:19], v[167:168], v[186:187]
	v_add_f64 v[5:6], v[5:6], v[73:74]
	s_clause 0x4
	buffer_load_dword v74, off, s[0:3], 0 offset:636
	buffer_load_dword v167, off, s[0:3], 0 offset:648
	;; [unrolled: 1-line block ×5, first 2 shown]
	ds_read_b128 v[16:19], v24 offset:1152
	s_waitcnt vmcnt(57) lgkmcnt(1)
	v_mul_f64 v[186:187], v[1:2], v[37:38]
	v_mul_f64 v[37:38], v[3:4], v[37:38]
	s_waitcnt vmcnt(56)
	v_fma_f64 v[175:176], v[12:13], v[182:183], -v[175:176]
	v_add_f64 v[22:23], v[22:23], v[163:164]
	v_fma_f64 v[163:164], v[14:15], v[182:183], v[171:172]
	v_add_f64 v[5:6], v[5:6], v[79:80]
	s_clause 0x2
	buffer_load_dword v168, off, s[0:3], 0 offset:652
	buffer_load_dword v80, off, s[0:3], 0 offset:628
	;; [unrolled: 1-line block ×3, first 2 shown]
	ds_read_b128 v[12:15], v24 offset:1168
	s_waitcnt vmcnt(58) lgkmcnt(1)
	v_mul_f64 v[171:172], v[16:17], v[165:166]
	v_mul_f64 v[165:166], v[18:19], v[165:166]
	s_waitcnt vmcnt(56)
	v_fma_f64 v[37:38], v[1:2], v[31:32], -v[37:38]
	v_fma_f64 v[31:32], v[3:4], v[31:32], v[186:187]
	v_add_f64 v[22:23], v[22:23], v[175:176]
	v_add_f64 v[5:6], v[5:6], v[163:164]
	s_clause 0x4
	buffer_load_dword v164, off, s[0:3], 0 offset:668
	buffer_load_dword v175, off, s[0:3], 0 offset:680
	;; [unrolled: 1-line block ×5, first 2 shown]
	s_waitcnt vmcnt(57) lgkmcnt(0)
	v_mul_f64 v[182:183], v[12:13], v[157:158]
	v_mul_f64 v[157:158], v[14:15], v[157:158]
	ds_read_b128 v[1:4], v24 offset:1184
	s_waitcnt vmcnt(56)
	v_fma_f64 v[165:166], v[16:17], v[184:185], -v[165:166]
	v_add_f64 v[22:23], v[22:23], v[37:38]
	v_fma_f64 v[37:38], v[18:19], v[184:185], v[171:172]
	v_add_f64 v[5:6], v[5:6], v[31:32]
	s_clause 0x2
	buffer_load_dword v176, off, s[0:3], 0 offset:684
	buffer_load_dword v32, off, s[0:3], 0 offset:660
	;; [unrolled: 1-line block ×3, first 2 shown]
	ds_read_b128 v[16:19], v24 offset:1200
	s_waitcnt vmcnt(58) lgkmcnt(1)
	v_mul_f64 v[171:172], v[1:2], v[159:160]
	v_mul_f64 v[159:160], v[3:4], v[159:160]
	s_waitcnt vmcnt(56)
	v_fma_f64 v[157:158], v[12:13], v[33:34], -v[157:158]
	v_fma_f64 v[33:34], v[14:15], v[33:34], v[182:183]
	v_add_f64 v[22:23], v[22:23], v[165:166]
	v_add_f64 v[5:6], v[5:6], v[37:38]
	s_clause 0x4
	buffer_load_dword v38, off, s[0:3], 0 offset:700
	buffer_load_dword v165, off, s[0:3], 0 offset:712
	;; [unrolled: 1-line block ×5, first 2 shown]
	ds_read_b128 v[12:15], v24 offset:1216
	s_waitcnt vmcnt(57) lgkmcnt(1)
	v_mul_f64 v[184:185], v[16:17], v[20:21]
	v_mul_f64 v[20:21], v[18:19], v[20:21]
	s_waitcnt vmcnt(56)
	v_fma_f64 v[159:160], v[1:2], v[179:180], -v[159:160]
	v_add_f64 v[22:23], v[22:23], v[157:158]
	v_fma_f64 v[157:158], v[3:4], v[179:180], v[171:172]
	v_add_f64 v[5:6], v[5:6], v[33:34]
	s_clause 0x2
	buffer_load_dword v166, off, s[0:3], 0 offset:716
	buffer_load_dword v34, off, s[0:3], 0 offset:692
	;; [unrolled: 1-line block ×3, first 2 shown]
	ds_read_b128 v[1:4], v24 offset:1232
	s_waitcnt vmcnt(58) lgkmcnt(1)
	v_mul_f64 v[171:172], v[12:13], v[57:58]
	v_mul_f64 v[57:58], v[14:15], v[57:58]
	s_waitcnt vmcnt(56)
	v_fma_f64 v[20:21], v[16:17], v[39:40], -v[20:21]
	v_fma_f64 v[39:40], v[18:19], v[39:40], v[184:185]
	v_add_f64 v[22:23], v[22:23], v[159:160]
	v_add_f64 v[5:6], v[5:6], v[157:158]
	s_clause 0x4
	buffer_load_dword v158, off, s[0:3], 0 offset:732
	buffer_load_dword v159, off, s[0:3], 0 offset:744
	;; [unrolled: 1-line block ×5, first 2 shown]
	ds_read_b128 v[16:19], v24 offset:1248
	s_waitcnt vmcnt(57) lgkmcnt(1)
	v_mul_f64 v[185:186], v[1:2], v[35:36]
	v_mul_f64 v[35:36], v[3:4], v[35:36]
	s_waitcnt vmcnt(56)
	v_fma_f64 v[57:58], v[12:13], v[161:162], -v[57:58]
	v_add_f64 v[20:21], v[22:23], v[20:21]
	v_fma_f64 v[22:23], v[14:15], v[161:162], v[171:172]
	v_add_f64 v[5:6], v[5:6], v[39:40]
	s_clause 0x2
	buffer_load_dword v160, off, s[0:3], 0 offset:748
	buffer_load_dword v40, off, s[0:3], 0 offset:724
	buffer_load_dword v39, off, s[0:3], 0 offset:720
	s_waitcnt vmcnt(58) lgkmcnt(0)
	v_mul_f64 v[161:162], v[16:17], v[63:64]
	v_mul_f64 v[63:64], v[18:19], v[63:64]
	ds_read_b128 v[12:15], v24 offset:1264
	s_waitcnt vmcnt(56)
	v_fma_f64 v[35:36], v[1:2], v[49:50], -v[35:36]
	v_fma_f64 v[49:50], v[3:4], v[49:50], v[185:186]
	v_add_f64 v[20:21], v[20:21], v[57:58]
	v_add_f64 v[5:6], v[5:6], v[22:23]
	s_clause 0x2
	buffer_load_dword v23, off, s[0:3], 0 offset:764
	buffer_load_dword v22, off, s[0:3], 0 offset:760
	;; [unrolled: 1-line block ×3, first 2 shown]
	ds_read_b128 v[1:4], v24 offset:1280
	s_waitcnt vmcnt(55) lgkmcnt(1)
	v_mul_f64 v[57:58], v[12:13], v[45:46]
	v_mul_f64 v[45:46], v[14:15], v[45:46]
	s_waitcnt vmcnt(54)
	v_fma_f64 v[63:64], v[16:17], v[65:66], -v[63:64]
	v_add_f64 v[20:21], v[20:21], v[35:36]
	v_fma_f64 v[35:36], v[18:19], v[65:66], v[161:162]
	v_add_f64 v[5:6], v[5:6], v[49:50]
	s_clause 0x1
	buffer_load_dword v50, off, s[0:3], 0 offset:756
	buffer_load_dword v49, off, s[0:3], 0 offset:752
	ds_read_b128 v[16:19], v24 offset:1296
	s_waitcnt vmcnt(55) lgkmcnt(1)
	v_mul_f64 v[65:66], v[1:2], v[75:76]
	v_mul_f64 v[75:76], v[3:4], v[75:76]
	s_waitcnt vmcnt(53)
	v_fma_f64 v[45:46], v[12:13], v[47:48], -v[45:46]
	v_fma_f64 v[47:48], v[14:15], v[47:48], v[57:58]
	ds_read_b128 v[12:15], v24 offset:1312
	v_add_f64 v[20:21], v[20:21], v[63:64]
	v_add_f64 v[5:6], v[5:6], v[35:36]
	s_waitcnt vmcnt(49) lgkmcnt(1)
	v_mul_f64 v[35:36], v[16:17], v[51:52]
	v_mul_f64 v[51:52], v[18:19], v[51:52]
	s_waitcnt vmcnt(48)
	v_fma_f64 v[57:58], v[1:2], v[77:78], -v[75:76]
	v_add_f64 v[20:21], v[20:21], v[45:46]
	v_fma_f64 v[45:46], v[3:4], v[77:78], v[65:66]
	v_add_f64 v[5:6], v[5:6], v[47:48]
	s_clause 0x3
	buffer_load_dword v47, off, s[0:3], 0 offset:80
	buffer_load_dword v48, off, s[0:3], 0 offset:84
	;; [unrolled: 1-line block ×4, first 2 shown]
	ds_read_b128 v[1:4], v24 offset:1328
	s_waitcnt vmcnt(51) lgkmcnt(1)
	v_mul_f64 v[75:76], v[14:15], v[153:154]
	v_mul_f64 v[65:66], v[12:13], v[153:154]
	s_waitcnt vmcnt(49)
	v_fma_f64 v[51:52], v[16:17], v[59:60], -v[51:52]
	v_fma_f64 v[35:36], v[18:19], v[59:60], v[35:36]
	ds_read_b128 v[16:19], v24 offset:1344
	v_add_f64 v[20:21], v[20:21], v[57:58]
	v_add_f64 v[5:6], v[5:6], v[45:46]
	s_waitcnt vmcnt(45) lgkmcnt(1)
	v_mul_f64 v[57:58], v[3:4], v[61:62]
	s_waitcnt vmcnt(44)
	v_fma_f64 v[59:60], v[12:13], v[155:156], -v[75:76]
	v_mul_f64 v[45:46], v[1:2], v[61:62]
	v_add_f64 v[20:21], v[20:21], v[51:52]
	v_fma_f64 v[51:52], v[14:15], v[155:156], v[65:66]
	v_add_f64 v[5:6], v[5:6], v[35:36]
	ds_read_b128 v[12:15], v24 offset:1360
	s_waitcnt vmcnt(43) lgkmcnt(1)
	v_mul_f64 v[61:62], v[18:19], v[169:170]
	v_mul_f64 v[35:36], v[16:17], v[169:170]
	s_waitcnt vmcnt(41)
	v_fma_f64 v[57:58], v[1:2], v[67:68], -v[57:58]
	v_fma_f64 v[45:46], v[3:4], v[67:68], v[45:46]
	ds_read_b128 v[1:4], v24 offset:1376
	v_add_f64 v[20:21], v[20:21], v[59:60]
	v_add_f64 v[5:6], v[5:6], v[51:52]
	s_waitcnt vmcnt(37) lgkmcnt(1)
	v_mul_f64 v[59:60], v[14:15], v[73:74]
	s_waitcnt vmcnt(36)
	v_fma_f64 v[61:62], v[16:17], v[173:174], -v[61:62]
	v_mul_f64 v[51:52], v[12:13], v[73:74]
	v_fma_f64 v[35:36], v[18:19], v[173:174], v[35:36]
	ds_read_b128 v[16:19], v24 offset:1392
	v_add_f64 v[20:21], v[20:21], v[57:58]
	v_add_f64 v[5:6], v[5:6], v[45:46]
	s_waitcnt vmcnt(35) lgkmcnt(1)
	v_mul_f64 v[57:58], v[3:4], v[167:168]
	v_mul_f64 v[45:46], v[1:2], v[167:168]
	s_waitcnt vmcnt(33)
	v_fma_f64 v[59:60], v[12:13], v[79:80], -v[59:60]
	v_fma_f64 v[51:52], v[14:15], v[79:80], v[51:52]
	ds_read_b128 v[12:15], v24 offset:1408
	v_add_f64 v[20:21], v[20:21], v[61:62]
	v_add_f64 v[5:6], v[5:6], v[35:36]
	s_waitcnt vmcnt(29) lgkmcnt(1)
	v_mul_f64 v[61:62], v[18:19], v[163:164]
	s_waitcnt vmcnt(28)
	v_fma_f64 v[57:58], v[1:2], v[177:178], -v[57:58]
	v_mul_f64 v[35:36], v[16:17], v[163:164]
	v_fma_f64 v[45:46], v[3:4], v[177:178], v[45:46]
	ds_read_b128 v[1:4], v24 offset:1424
	v_add_f64 v[20:21], v[20:21], v[59:60]
	v_add_f64 v[5:6], v[5:6], v[51:52]
	s_waitcnt vmcnt(27) lgkmcnt(1)
	v_mul_f64 v[59:60], v[14:15], v[175:176]
	v_mul_f64 v[51:52], v[12:13], v[175:176]
	s_waitcnt vmcnt(25)
	v_fma_f64 v[61:62], v[16:17], v[31:32], -v[61:62]
	v_fma_f64 v[31:32], v[18:19], v[31:32], v[35:36]
	ds_read_b128 v[16:19], v24 offset:1440
	v_add_f64 v[20:21], v[20:21], v[57:58]
	v_add_f64 v[5:6], v[5:6], v[45:46]
	s_waitcnt vmcnt(21) lgkmcnt(1)
	v_mul_f64 v[35:36], v[1:2], v[37:38]
	v_mul_f64 v[37:38], v[3:4], v[37:38]
	s_waitcnt vmcnt(20)
	v_fma_f64 v[45:46], v[12:13], v[181:182], -v[59:60]
	;; [unrolled: 9-line block ×3, first 2 shown]
	v_fma_f64 v[33:34], v[3:4], v[33:34], v[35:36]
	ds_read_b128 v[1:4], v24 offset:1472
	v_add_f64 v[20:21], v[20:21], v[45:46]
	v_add_f64 v[5:6], v[5:6], v[51:52]
	s_waitcnt vmcnt(13) lgkmcnt(1)
	v_mul_f64 v[45:46], v[14:15], v[157:158]
	s_waitcnt vmcnt(12)
	v_fma_f64 v[51:52], v[16:17], v[183:184], -v[57:58]
	v_mul_f64 v[35:36], v[12:13], v[157:158]
	v_fma_f64 v[31:32], v[18:19], v[183:184], v[31:32]
	ds_read_b128 v[16:19], v24 offset:1488
	v_add_f64 v[20:21], v[20:21], v[37:38]
	v_add_f64 v[5:6], v[5:6], v[33:34]
	s_waitcnt vmcnt(11) lgkmcnt(1)
	v_mul_f64 v[37:38], v[3:4], v[159:160]
	v_mul_f64 v[33:34], v[1:2], v[159:160]
	s_waitcnt vmcnt(9)
	v_fma_f64 v[12:13], v[12:13], v[39:40], -v[45:46]
	v_fma_f64 v[14:15], v[14:15], v[39:40], v[35:36]
	v_add_f64 v[20:21], v[20:21], v[51:52]
	v_add_f64 v[5:6], v[5:6], v[31:32]
	s_waitcnt vmcnt(7) lgkmcnt(0)
	v_mul_f64 v[31:32], v[16:17], v[22:23]
	v_mul_f64 v[22:23], v[18:19], v[22:23]
	s_waitcnt vmcnt(6)
	v_fma_f64 v[1:2], v[1:2], v[179:180], -v[37:38]
	v_fma_f64 v[3:4], v[3:4], v[179:180], v[33:34]
	v_add_f64 v[12:13], v[20:21], v[12:13]
	v_add_f64 v[5:6], v[5:6], v[14:15]
	s_waitcnt vmcnt(4)
	v_fma_f64 v[14:15], v[16:17], v[49:50], -v[22:23]
	v_add_f64 v[1:2], v[12:13], v[1:2]
	v_fma_f64 v[12:13], v[18:19], v[49:50], v[31:32]
	v_add_f64 v[3:4], v[5:6], v[3:4]
	v_add_f64 v[1:2], v[1:2], v[14:15]
	;; [unrolled: 1-line block ×3, first 2 shown]
	s_waitcnt vmcnt(2)
	v_add_f64 v[1:2], v[47:48], -v[1:2]
	s_waitcnt vmcnt(0)
	v_add_f64 v[3:4], v[63:64], -v[3:4]
	buffer_store_dword v2, off, s[0:3], 0 offset:84
	buffer_store_dword v1, off, s[0:3], 0 offset:80
	;; [unrolled: 1-line block ×4, first 2 shown]
	v_cmpx_lt_u32_e32 3, v0
	s_cbranch_execz .LBB46_289
; %bb.288:
	v_mov_b32_e32 v4, s46
	v_mov_b32_e32 v5, 0
	s_clause 0x3
	buffer_load_dword v1, v4, s[0:3], 0 offen
	buffer_load_dword v2, v4, s[0:3], 0 offen offset:4
	buffer_load_dword v3, v4, s[0:3], 0 offen offset:8
	;; [unrolled: 1-line block ×3, first 2 shown]
	buffer_store_dword v5, off, s[0:3], 0 offset:64
	buffer_store_dword v5, off, s[0:3], 0 offset:68
	;; [unrolled: 1-line block ×4, first 2 shown]
	s_waitcnt vmcnt(0)
	ds_write_b128 v7, v[1:4]
.LBB46_289:
	s_or_b32 exec_lo, exec_lo, s4
	s_waitcnt lgkmcnt(0)
	s_waitcnt_vscnt null, 0x0
	s_barrier
	buffer_gl0_inv
	s_clause 0x37
	buffer_load_dword v14, off, s[0:3], 0 offset:88
	buffer_load_dword v15, off, s[0:3], 0 offset:92
	;; [unrolled: 1-line block ×56, first 2 shown]
	v_mov_b32_e32 v24, 0
	s_mov_b32 s4, exec_lo
	ds_read_b128 v[157:160], v24 offset:816
	s_clause 0x2
	buffer_load_dword v154, off, s[0:3], 0 offset:316
	buffer_load_dword v156, off, s[0:3], 0 offset:292
	;; [unrolled: 1-line block ×3, first 2 shown]
	ds_read_b128 v[161:164], v24 offset:832
	s_clause 0x4
	buffer_load_dword v172, off, s[0:3], 0 offset:332
	buffer_load_dword v173, off, s[0:3], 0 offset:344
	;; [unrolled: 1-line block ×5, first 2 shown]
	ds_read_b128 v[165:168], v24 offset:848
	s_waitcnt vmcnt(62) lgkmcnt(2)
	v_mul_f64 v[169:170], v[159:160], v[14:15]
	v_mul_f64 v[14:15], v[157:158], v[14:15]
	s_waitcnt vmcnt(60) lgkmcnt(1)
	v_mul_f64 v[176:177], v[163:164], v[5:6]
	v_mul_f64 v[5:6], v[161:162], v[5:6]
	;; [unrolled: 3-line block ×3, first 2 shown]
	v_fma_f64 v[157:158], v[157:158], v[12:13], -v[169:170]
	v_fma_f64 v[159:160], v[159:160], v[12:13], v[14:15]
	s_clause 0x2
	buffer_load_dword v174, off, s[0:3], 0 offset:348
	buffer_load_dword v170, off, s[0:3], 0 offset:324
	;; [unrolled: 1-line block ×3, first 2 shown]
	s_waitcnt vmcnt(57)
	v_fma_f64 v[161:162], v[161:162], v[1:2], -v[176:177]
	ds_read_b128 v[12:15], v24 offset:864
	v_fma_f64 v[5:6], v[163:164], v[1:2], v[5:6]
	s_clause 0x4
	buffer_load_dword v164, off, s[0:3], 0 offset:364
	buffer_load_dword v177, off, s[0:3], 0 offset:376
	;; [unrolled: 1-line block ×5, first 2 shown]
	s_waitcnt vmcnt(56)
	v_fma_f64 v[165:166], v[165:166], v[37:38], -v[180:181]
	ds_read_b128 v[1:4], v24 offset:880
	v_fma_f64 v[37:38], v[167:168], v[37:38], v[178:179]
	s_clause 0x2
	buffer_load_dword v178, off, s[0:3], 0 offset:380
	buffer_load_dword v168, off, s[0:3], 0 offset:356
	;; [unrolled: 1-line block ×3, first 2 shown]
	v_add_f64 v[157:158], v[157:158], 0
	v_add_f64 v[159:160], v[159:160], 0
	s_waitcnt lgkmcnt(1)
	v_mul_f64 v[183:184], v[12:13], v[18:19]
	v_mul_f64 v[18:19], v[14:15], v[18:19]
	s_waitcnt vmcnt(58) lgkmcnt(0)
	v_mul_f64 v[179:180], v[1:2], v[22:23]
	v_mul_f64 v[22:23], v[3:4], v[22:23]
	v_add_f64 v[161:162], v[157:158], v[161:162]
	v_add_f64 v[5:6], v[159:160], v[5:6]
	ds_read_b128 v[157:160], v24 offset:896
	s_waitcnt vmcnt(56)
	v_fma_f64 v[18:19], v[12:13], v[31:32], -v[18:19]
	v_fma_f64 v[31:32], v[14:15], v[31:32], v[183:184]
	s_waitcnt vmcnt(51)
	v_fma_f64 v[22:23], v[1:2], v[16:17], -v[22:23]
	v_fma_f64 v[16:17], v[3:4], v[16:17], v[179:180]
	s_waitcnt lgkmcnt(0)
	v_mul_f64 v[185:186], v[157:158], v[33:34]
	v_add_f64 v[161:162], v[161:162], v[165:166]
	v_add_f64 v[5:6], v[5:6], v[37:38]
	s_clause 0x4
	buffer_load_dword v38, off, s[0:3], 0 offset:396
	buffer_load_dword v165, off, s[0:3], 0 offset:408
	;; [unrolled: 1-line block ×5, first 2 shown]
	v_mul_f64 v[33:34], v[159:160], v[33:34]
	ds_read_b128 v[12:15], v24 offset:912
	v_add_f64 v[18:19], v[161:162], v[18:19]
	v_add_f64 v[5:6], v[5:6], v[31:32]
	s_clause 0x2
	buffer_load_dword v166, off, s[0:3], 0 offset:412
	buffer_load_dword v32, off, s[0:3], 0 offset:388
	;; [unrolled: 1-line block ×3, first 2 shown]
	s_waitcnt vmcnt(58) lgkmcnt(0)
	v_mul_f64 v[161:162], v[12:13], v[39:40]
	v_mul_f64 v[39:40], v[14:15], v[39:40]
	s_waitcnt vmcnt(56)
	v_fma_f64 v[33:34], v[157:158], v[45:46], -v[33:34]
	ds_read_b128 v[1:4], v24 offset:928
	v_fma_f64 v[45:46], v[159:160], v[45:46], v[185:186]
	s_clause 0x4
	buffer_load_dword v158, off, s[0:3], 0 offset:428
	buffer_load_dword v159, off, s[0:3], 0 offset:440
	buffer_load_dword v179, off, s[0:3], 0 offset:432
	buffer_load_dword v157, off, s[0:3], 0 offset:424
	buffer_load_dword v185, off, s[0:3], 0 offset:404
	v_add_f64 v[22:23], v[18:19], v[22:23]
	v_add_f64 v[5:6], v[5:6], v[16:17]
	ds_read_b128 v[16:19], v24 offset:944
	s_waitcnt vmcnt(57) lgkmcnt(1)
	v_mul_f64 v[180:181], v[1:2], v[47:48]
	v_mul_f64 v[47:48], v[3:4], v[47:48]
	s_waitcnt vmcnt(56)
	v_fma_f64 v[39:40], v[12:13], v[20:21], -v[39:40]
	v_fma_f64 v[20:21], v[14:15], v[20:21], v[161:162]
	v_add_f64 v[22:23], v[22:23], v[33:34]
	v_add_f64 v[5:6], v[5:6], v[45:46]
	s_clause 0x2
	buffer_load_dword v160, off, s[0:3], 0 offset:444
	buffer_load_dword v34, off, s[0:3], 0 offset:420
	;; [unrolled: 1-line block ×3, first 2 shown]
	s_waitcnt vmcnt(58) lgkmcnt(0)
	v_mul_f64 v[45:46], v[16:17], v[51:52]
	v_mul_f64 v[51:52], v[18:19], v[51:52]
	s_waitcnt vmcnt(56)
	v_fma_f64 v[47:48], v[1:2], v[57:58], -v[47:48]
	ds_read_b128 v[12:15], v24 offset:960
	v_add_f64 v[22:23], v[22:23], v[39:40]
	v_fma_f64 v[39:40], v[3:4], v[57:58], v[180:181]
	v_add_f64 v[5:6], v[5:6], v[20:21]
	s_clause 0x4
	buffer_load_dword v21, off, s[0:3], 0 offset:460
	buffer_load_dword v57, off, s[0:3], 0 offset:472
	;; [unrolled: 1-line block ×5, first 2 shown]
	s_waitcnt vmcnt(57) lgkmcnt(0)
	v_mul_f64 v[186:187], v[12:13], v[59:60]
	v_mul_f64 v[59:60], v[14:15], v[59:60]
	s_waitcnt vmcnt(56)
	v_fma_f64 v[51:52], v[16:17], v[35:36], -v[51:52]
	ds_read_b128 v[1:4], v24 offset:976
	v_fma_f64 v[35:36], v[18:19], v[35:36], v[45:46]
	v_add_f64 v[22:23], v[22:23], v[47:48]
	v_add_f64 v[5:6], v[5:6], v[39:40]
	s_clause 0x2
	buffer_load_dword v58, off, s[0:3], 0 offset:476
	buffer_load_dword v40, off, s[0:3], 0 offset:452
	;; [unrolled: 1-line block ×3, first 2 shown]
	ds_read_b128 v[16:19], v24 offset:992
	s_waitcnt vmcnt(58) lgkmcnt(1)
	v_mul_f64 v[47:48], v[3:4], v[63:64]
	s_waitcnt vmcnt(56)
	v_fma_f64 v[59:60], v[12:13], v[65:66], -v[59:60]
	v_mul_f64 v[45:46], v[1:2], v[63:64]
	v_add_f64 v[22:23], v[22:23], v[51:52]
	v_fma_f64 v[51:52], v[14:15], v[65:66], v[186:187]
	v_add_f64 v[5:6], v[5:6], v[35:36]
	s_clause 0x4
	buffer_load_dword v36, off, s[0:3], 0 offset:492
	buffer_load_dword v63, off, s[0:3], 0 offset:504
	;; [unrolled: 1-line block ×5, first 2 shown]
	s_waitcnt vmcnt(57) lgkmcnt(0)
	v_mul_f64 v[186:187], v[16:17], v[67:68]
	v_mul_f64 v[66:67], v[18:19], v[67:68]
	s_waitcnt vmcnt(56)
	v_fma_f64 v[47:48], v[1:2], v[49:50], -v[47:48]
	ds_read_b128 v[12:15], v24 offset:1008
	v_fma_f64 v[45:46], v[3:4], v[49:50], v[45:46]
	s_clause 0x2
	buffer_load_dword v64, off, s[0:3], 0 offset:508
	buffer_load_dword v50, off, s[0:3], 0 offset:484
	;; [unrolled: 1-line block ×3, first 2 shown]
	ds_read_b128 v[1:4], v24 offset:1024
	v_add_f64 v[22:23], v[22:23], v[59:60]
	v_add_f64 v[5:6], v[5:6], v[51:52]
	s_waitcnt vmcnt(58) lgkmcnt(1)
	v_mul_f64 v[59:60], v[14:15], v[75:76]
	s_waitcnt vmcnt(56)
	v_fma_f64 v[67:68], v[16:17], v[77:78], -v[66:67]
	v_mul_f64 v[51:52], v[12:13], v[75:76]
	v_add_f64 v[22:23], v[22:23], v[47:48]
	v_fma_f64 v[47:48], v[18:19], v[77:78], v[186:187]
	v_add_f64 v[5:6], v[5:6], v[45:46]
	s_clause 0x4
	buffer_load_dword v46, off, s[0:3], 0 offset:524
	buffer_load_dword v75, off, s[0:3], 0 offset:536
	;; [unrolled: 1-line block ×5, first 2 shown]
	s_waitcnt vmcnt(57) lgkmcnt(0)
	v_mul_f64 v[186:187], v[1:2], v[79:80]
	v_mul_f64 v[78:79], v[3:4], v[79:80]
	s_waitcnt vmcnt(56)
	v_fma_f64 v[59:60], v[12:13], v[61:62], -v[59:60]
	ds_read_b128 v[16:19], v24 offset:1040
	v_fma_f64 v[51:52], v[14:15], v[61:62], v[51:52]
	v_add_f64 v[22:23], v[22:23], v[67:68]
	v_add_f64 v[5:6], v[5:6], v[47:48]
	s_clause 0x2
	buffer_load_dword v76, off, s[0:3], 0 offset:540
	buffer_load_dword v48, off, s[0:3], 0 offset:516
	;; [unrolled: 1-line block ×3, first 2 shown]
	ds_read_b128 v[12:15], v24 offset:1056
	s_waitcnt vmcnt(58) lgkmcnt(1)
	v_mul_f64 v[67:68], v[18:19], v[153:154]
	s_waitcnt vmcnt(56)
	v_fma_f64 v[79:80], v[1:2], v[155:156], -v[78:79]
	v_mul_f64 v[61:62], v[16:17], v[153:154]
	v_add_f64 v[22:23], v[22:23], v[59:60]
	v_fma_f64 v[59:60], v[3:4], v[155:156], v[186:187]
	v_add_f64 v[5:6], v[5:6], v[51:52]
	s_clause 0x4
	buffer_load_dword v52, off, s[0:3], 0 offset:556
	buffer_load_dword v153, off, s[0:3], 0 offset:568
	;; [unrolled: 1-line block ×5, first 2 shown]
	s_waitcnt vmcnt(57) lgkmcnt(0)
	v_mul_f64 v[186:187], v[12:13], v[171:172]
	v_mul_f64 v[171:172], v[14:15], v[171:172]
	s_waitcnt vmcnt(56)
	v_fma_f64 v[67:68], v[16:17], v[73:74], -v[67:68]
	ds_read_b128 v[1:4], v24 offset:1072
	v_fma_f64 v[61:62], v[18:19], v[73:74], v[61:62]
	v_add_f64 v[22:23], v[22:23], v[79:80]
	v_add_f64 v[5:6], v[5:6], v[59:60]
	s_clause 0x2
	buffer_load_dword v154, off, s[0:3], 0 offset:572
	buffer_load_dword v60, off, s[0:3], 0 offset:548
	;; [unrolled: 1-line block ×3, first 2 shown]
	ds_read_b128 v[16:19], v24 offset:1088
	s_waitcnt vmcnt(58) lgkmcnt(1)
	v_mul_f64 v[79:80], v[3:4], v[173:174]
	v_mul_f64 v[73:74], v[1:2], v[173:174]
	s_waitcnt vmcnt(56)
	v_fma_f64 v[171:172], v[12:13], v[169:170], -v[171:172]
	v_add_f64 v[22:23], v[22:23], v[67:68]
	v_fma_f64 v[67:68], v[14:15], v[169:170], v[186:187]
	v_add_f64 v[5:6], v[5:6], v[61:62]
	s_clause 0x4
	buffer_load_dword v62, off, s[0:3], 0 offset:588
	buffer_load_dword v169, off, s[0:3], 0 offset:600
	;; [unrolled: 1-line block ×5, first 2 shown]
	s_waitcnt vmcnt(57) lgkmcnt(0)
	v_mul_f64 v[186:187], v[16:17], v[163:164]
	v_mul_f64 v[163:164], v[18:19], v[163:164]
	ds_read_b128 v[12:15], v24 offset:1104
	s_waitcnt vmcnt(56)
	v_fma_f64 v[79:80], v[1:2], v[175:176], -v[79:80]
	v_fma_f64 v[73:74], v[3:4], v[175:176], v[73:74]
	v_add_f64 v[22:23], v[22:23], v[171:172]
	v_add_f64 v[5:6], v[5:6], v[67:68]
	s_clause 0x2
	buffer_load_dword v170, off, s[0:3], 0 offset:604
	buffer_load_dword v68, off, s[0:3], 0 offset:580
	;; [unrolled: 1-line block ×3, first 2 shown]
	s_waitcnt vmcnt(58) lgkmcnt(0)
	v_mul_f64 v[175:176], v[14:15], v[177:178]
	s_waitcnt vmcnt(56)
	v_fma_f64 v[163:164], v[16:17], v[167:168], -v[163:164]
	ds_read_b128 v[1:4], v24 offset:1120
	v_mul_f64 v[171:172], v[12:13], v[177:178]
	v_add_f64 v[22:23], v[22:23], v[79:80]
	v_fma_f64 v[79:80], v[18:19], v[167:168], v[186:187]
	v_add_f64 v[5:6], v[5:6], v[73:74]
	s_clause 0x4
	buffer_load_dword v74, off, s[0:3], 0 offset:620
	buffer_load_dword v167, off, s[0:3], 0 offset:632
	;; [unrolled: 1-line block ×5, first 2 shown]
	ds_read_b128 v[16:19], v24 offset:1136
	s_waitcnt vmcnt(57) lgkmcnt(1)
	v_mul_f64 v[186:187], v[1:2], v[37:38]
	v_mul_f64 v[37:38], v[3:4], v[37:38]
	s_waitcnt vmcnt(56)
	v_fma_f64 v[175:176], v[12:13], v[182:183], -v[175:176]
	v_add_f64 v[22:23], v[22:23], v[163:164]
	v_fma_f64 v[163:164], v[14:15], v[182:183], v[171:172]
	v_add_f64 v[5:6], v[5:6], v[79:80]
	s_clause 0x2
	buffer_load_dword v168, off, s[0:3], 0 offset:636
	buffer_load_dword v80, off, s[0:3], 0 offset:612
	;; [unrolled: 1-line block ×3, first 2 shown]
	ds_read_b128 v[12:15], v24 offset:1152
	s_waitcnt vmcnt(58) lgkmcnt(1)
	v_mul_f64 v[171:172], v[16:17], v[165:166]
	v_mul_f64 v[165:166], v[18:19], v[165:166]
	s_waitcnt vmcnt(56)
	v_fma_f64 v[37:38], v[1:2], v[31:32], -v[37:38]
	v_fma_f64 v[31:32], v[3:4], v[31:32], v[186:187]
	v_add_f64 v[22:23], v[22:23], v[175:176]
	v_add_f64 v[5:6], v[5:6], v[163:164]
	s_clause 0x4
	buffer_load_dword v164, off, s[0:3], 0 offset:652
	buffer_load_dword v175, off, s[0:3], 0 offset:664
	;; [unrolled: 1-line block ×5, first 2 shown]
	s_waitcnt vmcnt(57) lgkmcnt(0)
	v_mul_f64 v[182:183], v[12:13], v[157:158]
	v_mul_f64 v[157:158], v[14:15], v[157:158]
	ds_read_b128 v[1:4], v24 offset:1168
	s_waitcnt vmcnt(56)
	v_fma_f64 v[165:166], v[16:17], v[184:185], -v[165:166]
	v_add_f64 v[22:23], v[22:23], v[37:38]
	v_fma_f64 v[37:38], v[18:19], v[184:185], v[171:172]
	v_add_f64 v[5:6], v[5:6], v[31:32]
	s_clause 0x2
	buffer_load_dword v176, off, s[0:3], 0 offset:668
	buffer_load_dword v32, off, s[0:3], 0 offset:644
	;; [unrolled: 1-line block ×3, first 2 shown]
	ds_read_b128 v[16:19], v24 offset:1184
	s_waitcnt vmcnt(58) lgkmcnt(1)
	v_mul_f64 v[171:172], v[1:2], v[159:160]
	v_mul_f64 v[159:160], v[3:4], v[159:160]
	s_waitcnt vmcnt(56)
	v_fma_f64 v[157:158], v[12:13], v[33:34], -v[157:158]
	v_fma_f64 v[33:34], v[14:15], v[33:34], v[182:183]
	v_add_f64 v[22:23], v[22:23], v[165:166]
	v_add_f64 v[5:6], v[5:6], v[37:38]
	s_clause 0x4
	buffer_load_dword v38, off, s[0:3], 0 offset:684
	buffer_load_dword v165, off, s[0:3], 0 offset:696
	;; [unrolled: 1-line block ×5, first 2 shown]
	ds_read_b128 v[12:15], v24 offset:1200
	s_waitcnt vmcnt(57) lgkmcnt(1)
	v_mul_f64 v[184:185], v[16:17], v[20:21]
	v_mul_f64 v[20:21], v[18:19], v[20:21]
	s_waitcnt vmcnt(56)
	v_fma_f64 v[159:160], v[1:2], v[179:180], -v[159:160]
	v_add_f64 v[22:23], v[22:23], v[157:158]
	v_fma_f64 v[157:158], v[3:4], v[179:180], v[171:172]
	v_add_f64 v[5:6], v[5:6], v[33:34]
	s_clause 0x2
	buffer_load_dword v166, off, s[0:3], 0 offset:700
	buffer_load_dword v34, off, s[0:3], 0 offset:676
	;; [unrolled: 1-line block ×3, first 2 shown]
	ds_read_b128 v[1:4], v24 offset:1216
	s_waitcnt vmcnt(58) lgkmcnt(1)
	v_mul_f64 v[171:172], v[12:13], v[57:58]
	v_mul_f64 v[57:58], v[14:15], v[57:58]
	s_waitcnt vmcnt(56)
	v_fma_f64 v[20:21], v[16:17], v[39:40], -v[20:21]
	v_fma_f64 v[39:40], v[18:19], v[39:40], v[184:185]
	v_add_f64 v[22:23], v[22:23], v[159:160]
	v_add_f64 v[5:6], v[5:6], v[157:158]
	s_clause 0x4
	buffer_load_dword v158, off, s[0:3], 0 offset:716
	buffer_load_dword v159, off, s[0:3], 0 offset:728
	;; [unrolled: 1-line block ×5, first 2 shown]
	ds_read_b128 v[16:19], v24 offset:1232
	s_waitcnt vmcnt(57) lgkmcnt(1)
	v_mul_f64 v[185:186], v[1:2], v[35:36]
	v_mul_f64 v[35:36], v[3:4], v[35:36]
	s_waitcnt vmcnt(56)
	v_fma_f64 v[57:58], v[12:13], v[161:162], -v[57:58]
	v_add_f64 v[20:21], v[22:23], v[20:21]
	v_fma_f64 v[22:23], v[14:15], v[161:162], v[171:172]
	v_add_f64 v[5:6], v[5:6], v[39:40]
	s_clause 0x2
	buffer_load_dword v160, off, s[0:3], 0 offset:732
	buffer_load_dword v40, off, s[0:3], 0 offset:708
	;; [unrolled: 1-line block ×3, first 2 shown]
	s_waitcnt vmcnt(58) lgkmcnt(0)
	v_mul_f64 v[161:162], v[16:17], v[63:64]
	v_mul_f64 v[63:64], v[18:19], v[63:64]
	ds_read_b128 v[12:15], v24 offset:1248
	s_waitcnt vmcnt(56)
	v_fma_f64 v[35:36], v[1:2], v[49:50], -v[35:36]
	v_fma_f64 v[49:50], v[3:4], v[49:50], v[185:186]
	v_add_f64 v[20:21], v[20:21], v[57:58]
	v_add_f64 v[5:6], v[5:6], v[22:23]
	s_clause 0x4
	buffer_load_dword v23, off, s[0:3], 0 offset:748
	buffer_load_dword v57, off, s[0:3], 0 offset:760
	;; [unrolled: 1-line block ×5, first 2 shown]
	ds_read_b128 v[1:4], v24 offset:1264
	s_waitcnt vmcnt(57) lgkmcnt(1)
	v_mul_f64 v[185:186], v[12:13], v[45:46]
	v_mul_f64 v[45:46], v[14:15], v[45:46]
	s_waitcnt vmcnt(56)
	v_fma_f64 v[63:64], v[16:17], v[65:66], -v[63:64]
	v_add_f64 v[20:21], v[20:21], v[35:36]
	v_fma_f64 v[35:36], v[18:19], v[65:66], v[161:162]
	v_add_f64 v[5:6], v[5:6], v[49:50]
	s_clause 0x2
	buffer_load_dword v58, off, s[0:3], 0 offset:764
	buffer_load_dword v50, off, s[0:3], 0 offset:740
	;; [unrolled: 1-line block ×3, first 2 shown]
	ds_read_b128 v[16:19], v24 offset:1280
	buffer_load_dword v172, off, s[0:3], 0 offset:756
	s_waitcnt vmcnt(59) lgkmcnt(1)
	v_mul_f64 v[65:66], v[1:2], v[75:76]
	v_mul_f64 v[75:76], v[3:4], v[75:76]
	s_waitcnt vmcnt(57)
	v_fma_f64 v[45:46], v[12:13], v[47:48], -v[45:46]
	v_fma_f64 v[47:48], v[14:15], v[47:48], v[185:186]
	ds_read_b128 v[12:15], v24 offset:1296
	v_add_f64 v[20:21], v[20:21], v[63:64]
	v_add_f64 v[5:6], v[5:6], v[35:36]
	s_waitcnt vmcnt(53) lgkmcnt(1)
	v_mul_f64 v[35:36], v[16:17], v[51:52]
	v_mul_f64 v[51:52], v[18:19], v[51:52]
	s_waitcnt vmcnt(52)
	v_fma_f64 v[63:64], v[1:2], v[77:78], -v[75:76]
	v_add_f64 v[20:21], v[20:21], v[45:46]
	v_fma_f64 v[45:46], v[3:4], v[77:78], v[65:66]
	v_add_f64 v[5:6], v[5:6], v[47:48]
	ds_read_b128 v[1:4], v24 offset:1312
	s_waitcnt vmcnt(51) lgkmcnt(1)
	v_mul_f64 v[65:66], v[14:15], v[153:154]
	v_mul_f64 v[47:48], v[12:13], v[153:154]
	s_waitcnt vmcnt(49)
	v_fma_f64 v[51:52], v[16:17], v[59:60], -v[51:52]
	v_fma_f64 v[35:36], v[18:19], v[59:60], v[35:36]
	v_add_f64 v[20:21], v[20:21], v[63:64]
	v_add_f64 v[5:6], v[5:6], v[45:46]
	s_clause 0x3
	buffer_load_dword v45, off, s[0:3], 0 offset:64
	buffer_load_dword v46, off, s[0:3], 0 offset:68
	;; [unrolled: 1-line block ×4, first 2 shown]
	ds_read_b128 v[16:19], v24 offset:1328
	s_waitcnt vmcnt(49) lgkmcnt(1)
	v_mul_f64 v[63:64], v[1:2], v[61:62]
	v_mul_f64 v[61:62], v[3:4], v[61:62]
	s_waitcnt vmcnt(48)
	v_fma_f64 v[65:66], v[12:13], v[155:156], -v[65:66]
	v_fma_f64 v[47:48], v[14:15], v[155:156], v[47:48]
	ds_read_b128 v[12:15], v24 offset:1344
	v_add_f64 v[20:21], v[20:21], v[51:52]
	v_add_f64 v[5:6], v[5:6], v[35:36]
	s_waitcnt vmcnt(47) lgkmcnt(1)
	v_mul_f64 v[51:52], v[18:19], v[169:170]
	v_mul_f64 v[35:36], v[16:17], v[169:170]
	s_waitcnt vmcnt(45)
	v_fma_f64 v[61:62], v[1:2], v[67:68], -v[61:62]
	v_fma_f64 v[63:64], v[3:4], v[67:68], v[63:64]
	ds_read_b128 v[1:4], v24 offset:1360
	v_add_f64 v[20:21], v[20:21], v[65:66]
	v_add_f64 v[5:6], v[5:6], v[47:48]
	s_waitcnt vmcnt(41) lgkmcnt(1)
	v_mul_f64 v[65:66], v[14:15], v[73:74]
	s_waitcnt vmcnt(40)
	v_fma_f64 v[51:52], v[16:17], v[173:174], -v[51:52]
	v_mul_f64 v[47:48], v[12:13], v[73:74]
	v_fma_f64 v[35:36], v[18:19], v[173:174], v[35:36]
	ds_read_b128 v[16:19], v24 offset:1376
	v_add_f64 v[20:21], v[20:21], v[61:62]
	v_add_f64 v[5:6], v[5:6], v[63:64]
	s_waitcnt vmcnt(39) lgkmcnt(1)
	v_mul_f64 v[63:64], v[3:4], v[167:168]
	v_mul_f64 v[61:62], v[1:2], v[167:168]
	s_waitcnt vmcnt(37)
	v_fma_f64 v[65:66], v[12:13], v[79:80], -v[65:66]
	v_fma_f64 v[47:48], v[14:15], v[79:80], v[47:48]
	ds_read_b128 v[12:15], v24 offset:1392
	v_add_f64 v[20:21], v[20:21], v[51:52]
	v_add_f64 v[5:6], v[5:6], v[35:36]
	s_waitcnt vmcnt(33) lgkmcnt(1)
	v_mul_f64 v[51:52], v[18:19], v[163:164]
	s_waitcnt vmcnt(32)
	v_fma_f64 v[63:64], v[1:2], v[177:178], -v[63:64]
	v_mul_f64 v[35:36], v[16:17], v[163:164]
	v_fma_f64 v[61:62], v[3:4], v[177:178], v[61:62]
	ds_read_b128 v[1:4], v24 offset:1408
	v_add_f64 v[20:21], v[20:21], v[65:66]
	v_add_f64 v[5:6], v[5:6], v[47:48]
	s_waitcnt vmcnt(31) lgkmcnt(1)
	v_mul_f64 v[65:66], v[14:15], v[175:176]
	v_mul_f64 v[47:48], v[12:13], v[175:176]
	s_waitcnt vmcnt(29)
	v_fma_f64 v[51:52], v[16:17], v[31:32], -v[51:52]
	v_fma_f64 v[31:32], v[18:19], v[31:32], v[35:36]
	ds_read_b128 v[16:19], v24 offset:1424
	v_add_f64 v[20:21], v[20:21], v[63:64]
	v_add_f64 v[5:6], v[5:6], v[61:62]
	s_waitcnt vmcnt(25) lgkmcnt(1)
	v_mul_f64 v[35:36], v[1:2], v[37:38]
	v_mul_f64 v[37:38], v[3:4], v[37:38]
	s_waitcnt vmcnt(24)
	v_fma_f64 v[61:62], v[12:13], v[181:182], -v[65:66]
	;; [unrolled: 9-line block ×3, first 2 shown]
	v_fma_f64 v[33:34], v[3:4], v[33:34], v[35:36]
	ds_read_b128 v[1:4], v24 offset:1456
	v_add_f64 v[20:21], v[20:21], v[61:62]
	v_add_f64 v[5:6], v[5:6], v[47:48]
	s_waitcnt vmcnt(17) lgkmcnt(1)
	v_mul_f64 v[47:48], v[14:15], v[157:158]
	s_waitcnt vmcnt(16)
	v_fma_f64 v[51:52], v[16:17], v[183:184], -v[51:52]
	v_mul_f64 v[35:36], v[12:13], v[157:158]
	v_fma_f64 v[31:32], v[18:19], v[183:184], v[31:32]
	ds_read_b128 v[16:19], v24 offset:1472
	v_add_f64 v[20:21], v[20:21], v[37:38]
	v_add_f64 v[5:6], v[5:6], v[33:34]
	s_waitcnt vmcnt(15) lgkmcnt(1)
	v_mul_f64 v[37:38], v[3:4], v[159:160]
	v_mul_f64 v[33:34], v[1:2], v[159:160]
	s_waitcnt vmcnt(13)
	v_fma_f64 v[47:48], v[12:13], v[39:40], -v[47:48]
	v_fma_f64 v[35:36], v[14:15], v[39:40], v[35:36]
	ds_read_b128 v[12:15], v24 offset:1488
	v_add_f64 v[20:21], v[20:21], v[51:52]
	v_add_f64 v[5:6], v[5:6], v[31:32]
	s_waitcnt vmcnt(9) lgkmcnt(1)
	v_mul_f64 v[31:32], v[16:17], v[22:23]
	v_mul_f64 v[22:23], v[18:19], v[22:23]
	s_waitcnt vmcnt(8)
	v_fma_f64 v[1:2], v[1:2], v[179:180], -v[37:38]
	v_fma_f64 v[3:4], v[3:4], v[179:180], v[33:34]
	v_add_f64 v[20:21], v[20:21], v[47:48]
	v_add_f64 v[5:6], v[5:6], v[35:36]
	s_waitcnt vmcnt(7) lgkmcnt(0)
	v_mul_f64 v[35:36], v[14:15], v[57:58]
	v_mul_f64 v[33:34], v[12:13], v[57:58]
	s_waitcnt vmcnt(5)
	v_fma_f64 v[16:17], v[16:17], v[49:50], -v[22:23]
	v_fma_f64 v[18:19], v[18:19], v[49:50], v[31:32]
	v_add_f64 v[1:2], v[20:21], v[1:2]
	v_add_f64 v[3:4], v[5:6], v[3:4]
	s_waitcnt vmcnt(4)
	v_fma_f64 v[5:6], v[12:13], v[171:172], -v[35:36]
	v_fma_f64 v[12:13], v[14:15], v[171:172], v[33:34]
	v_add_f64 v[1:2], v[1:2], v[16:17]
	v_add_f64 v[3:4], v[3:4], v[18:19]
	;; [unrolled: 1-line block ×4, first 2 shown]
	s_waitcnt vmcnt(2)
	v_add_f64 v[1:2], v[45:46], -v[1:2]
	s_waitcnt vmcnt(0)
	v_add_f64 v[3:4], v[59:60], -v[3:4]
	buffer_store_dword v2, off, s[0:3], 0 offset:68
	buffer_store_dword v1, off, s[0:3], 0 offset:64
	;; [unrolled: 1-line block ×4, first 2 shown]
	v_cmpx_lt_u32_e32 2, v0
	s_cbranch_execz .LBB46_291
; %bb.290:
	v_mov_b32_e32 v4, s48
	s_clause 0x3
	buffer_load_dword v1, v4, s[0:3], 0 offen
	buffer_load_dword v2, v4, s[0:3], 0 offen offset:4
	buffer_load_dword v3, v4, s[0:3], 0 offen offset:8
	;; [unrolled: 1-line block ×3, first 2 shown]
	buffer_store_dword v24, off, s[0:3], 0 offset:48
	buffer_store_dword v24, off, s[0:3], 0 offset:52
	;; [unrolled: 1-line block ×4, first 2 shown]
	s_waitcnt vmcnt(0)
	ds_write_b128 v7, v[1:4]
.LBB46_291:
	s_or_b32 exec_lo, exec_lo, s4
	s_waitcnt lgkmcnt(0)
	s_waitcnt_vscnt null, 0x0
	s_barrier
	buffer_gl0_inv
	s_clause 0x37
	buffer_load_dword v14, off, s[0:3], 0 offset:72
	buffer_load_dword v15, off, s[0:3], 0 offset:76
	buffer_load_dword v5, off, s[0:3], 0 offset:88
	buffer_load_dword v6, off, s[0:3], 0 offset:92
	buffer_load_dword v12, off, s[0:3], 0 offset:64
	buffer_load_dword v13, off, s[0:3], 0 offset:68
	buffer_load_dword v3, off, s[0:3], 0 offset:104
	buffer_load_dword v4, off, s[0:3], 0 offset:108
	buffer_load_dword v1, off, s[0:3], 0 offset:80
	buffer_load_dword v2, off, s[0:3], 0 offset:84
	buffer_load_dword v19, off, s[0:3], 0 offset:124
	buffer_load_dword v22, off, s[0:3], 0 offset:136
	buffer_load_dword v16, off, s[0:3], 0 offset:128
	buffer_load_dword v18, off, s[0:3], 0 offset:120
	buffer_load_dword v37, off, s[0:3], 0 offset:96
	buffer_load_dword v38, off, s[0:3], 0 offset:100
	buffer_load_dword v23, off, s[0:3], 0 offset:140
	buffer_load_dword v32, off, s[0:3], 0 offset:116
	buffer_load_dword v31, off, s[0:3], 0 offset:112
	buffer_load_dword v34, off, s[0:3], 0 offset:156
	buffer_load_dword v39, off, s[0:3], 0 offset:168
	buffer_load_dword v20, off, s[0:3], 0 offset:160
	buffer_load_dword v33, off, s[0:3], 0 offset:152
	buffer_load_dword v17, off, s[0:3], 0 offset:132
	buffer_load_dword v40, off, s[0:3], 0 offset:172
	buffer_load_dword v46, off, s[0:3], 0 offset:148
	buffer_load_dword v45, off, s[0:3], 0 offset:144
	buffer_load_dword v48, off, s[0:3], 0 offset:188
	buffer_load_dword v51, off, s[0:3], 0 offset:200
	buffer_load_dword v35, off, s[0:3], 0 offset:192
	buffer_load_dword v47, off, s[0:3], 0 offset:184
	buffer_load_dword v21, off, s[0:3], 0 offset:164
	buffer_load_dword v52, off, s[0:3], 0 offset:204
	buffer_load_dword v58, off, s[0:3], 0 offset:180
	buffer_load_dword v57, off, s[0:3], 0 offset:176
	buffer_load_dword v60, off, s[0:3], 0 offset:220
	buffer_load_dword v63, off, s[0:3], 0 offset:232
	buffer_load_dword v49, off, s[0:3], 0 offset:224
	buffer_load_dword v59, off, s[0:3], 0 offset:216
	buffer_load_dword v36, off, s[0:3], 0 offset:196
	buffer_load_dword v64, off, s[0:3], 0 offset:236
	buffer_load_dword v66, off, s[0:3], 0 offset:212
	buffer_load_dword v65, off, s[0:3], 0 offset:208
	buffer_load_dword v68, off, s[0:3], 0 offset:252
	buffer_load_dword v75, off, s[0:3], 0 offset:264
	buffer_load_dword v61, off, s[0:3], 0 offset:256
	buffer_load_dword v67, off, s[0:3], 0 offset:248
	buffer_load_dword v50, off, s[0:3], 0 offset:228
	buffer_load_dword v76, off, s[0:3], 0 offset:268
	buffer_load_dword v78, off, s[0:3], 0 offset:244
	buffer_load_dword v77, off, s[0:3], 0 offset:240
	buffer_load_dword v80, off, s[0:3], 0 offset:284
	buffer_load_dword v153, off, s[0:3], 0 offset:296
	buffer_load_dword v73, off, s[0:3], 0 offset:288
	buffer_load_dword v79, off, s[0:3], 0 offset:280
	buffer_load_dword v62, off, s[0:3], 0 offset:260
	ds_read_b128 v[157:160], v24 offset:800
	s_clause 0x2
	buffer_load_dword v154, off, s[0:3], 0 offset:300
	buffer_load_dword v156, off, s[0:3], 0 offset:276
	;; [unrolled: 1-line block ×3, first 2 shown]
	ds_read_b128 v[161:164], v24 offset:816
	s_clause 0x4
	buffer_load_dword v172, off, s[0:3], 0 offset:316
	buffer_load_dword v173, off, s[0:3], 0 offset:328
	;; [unrolled: 1-line block ×5, first 2 shown]
	ds_read_b128 v[165:168], v24 offset:832
	s_mov_b32 s4, exec_lo
	s_waitcnt vmcnt(62) lgkmcnt(2)
	v_mul_f64 v[169:170], v[159:160], v[14:15]
	v_mul_f64 v[14:15], v[157:158], v[14:15]
	s_waitcnt vmcnt(60) lgkmcnt(1)
	v_mul_f64 v[176:177], v[163:164], v[5:6]
	v_mul_f64 v[5:6], v[161:162], v[5:6]
	;; [unrolled: 3-line block ×3, first 2 shown]
	v_fma_f64 v[157:158], v[157:158], v[12:13], -v[169:170]
	v_fma_f64 v[159:160], v[159:160], v[12:13], v[14:15]
	s_clause 0x2
	buffer_load_dword v174, off, s[0:3], 0 offset:332
	buffer_load_dword v170, off, s[0:3], 0 offset:308
	;; [unrolled: 1-line block ×3, first 2 shown]
	s_waitcnt vmcnt(57)
	v_fma_f64 v[161:162], v[161:162], v[1:2], -v[176:177]
	ds_read_b128 v[12:15], v24 offset:848
	v_fma_f64 v[5:6], v[163:164], v[1:2], v[5:6]
	s_clause 0x4
	buffer_load_dword v164, off, s[0:3], 0 offset:348
	buffer_load_dword v177, off, s[0:3], 0 offset:360
	;; [unrolled: 1-line block ×5, first 2 shown]
	s_waitcnt vmcnt(56)
	v_fma_f64 v[165:166], v[165:166], v[37:38], -v[180:181]
	ds_read_b128 v[1:4], v24 offset:864
	v_fma_f64 v[37:38], v[167:168], v[37:38], v[178:179]
	s_clause 0x2
	buffer_load_dword v178, off, s[0:3], 0 offset:364
	buffer_load_dword v168, off, s[0:3], 0 offset:340
	;; [unrolled: 1-line block ×3, first 2 shown]
	v_add_f64 v[157:158], v[157:158], 0
	v_add_f64 v[159:160], v[159:160], 0
	s_waitcnt lgkmcnt(1)
	v_mul_f64 v[183:184], v[12:13], v[18:19]
	v_mul_f64 v[18:19], v[14:15], v[18:19]
	s_waitcnt vmcnt(58) lgkmcnt(0)
	v_mul_f64 v[179:180], v[1:2], v[22:23]
	v_mul_f64 v[22:23], v[3:4], v[22:23]
	v_add_f64 v[161:162], v[157:158], v[161:162]
	v_add_f64 v[5:6], v[159:160], v[5:6]
	ds_read_b128 v[157:160], v24 offset:880
	s_waitcnt vmcnt(56)
	v_fma_f64 v[18:19], v[12:13], v[31:32], -v[18:19]
	v_fma_f64 v[31:32], v[14:15], v[31:32], v[183:184]
	s_waitcnt vmcnt(51)
	v_fma_f64 v[22:23], v[1:2], v[16:17], -v[22:23]
	v_fma_f64 v[16:17], v[3:4], v[16:17], v[179:180]
	s_waitcnt lgkmcnt(0)
	v_mul_f64 v[185:186], v[157:158], v[33:34]
	v_add_f64 v[161:162], v[161:162], v[165:166]
	v_add_f64 v[5:6], v[5:6], v[37:38]
	s_clause 0x4
	buffer_load_dword v38, off, s[0:3], 0 offset:380
	buffer_load_dword v165, off, s[0:3], 0 offset:392
	;; [unrolled: 1-line block ×5, first 2 shown]
	v_mul_f64 v[33:34], v[159:160], v[33:34]
	ds_read_b128 v[12:15], v24 offset:896
	v_add_f64 v[18:19], v[161:162], v[18:19]
	v_add_f64 v[5:6], v[5:6], v[31:32]
	s_clause 0x2
	buffer_load_dword v166, off, s[0:3], 0 offset:396
	buffer_load_dword v32, off, s[0:3], 0 offset:372
	;; [unrolled: 1-line block ×3, first 2 shown]
	s_waitcnt vmcnt(58) lgkmcnt(0)
	v_mul_f64 v[161:162], v[12:13], v[39:40]
	v_mul_f64 v[39:40], v[14:15], v[39:40]
	s_waitcnt vmcnt(56)
	v_fma_f64 v[33:34], v[157:158], v[45:46], -v[33:34]
	ds_read_b128 v[1:4], v24 offset:912
	v_fma_f64 v[45:46], v[159:160], v[45:46], v[185:186]
	s_clause 0x4
	buffer_load_dword v158, off, s[0:3], 0 offset:412
	buffer_load_dword v159, off, s[0:3], 0 offset:424
	;; [unrolled: 1-line block ×5, first 2 shown]
	v_add_f64 v[22:23], v[18:19], v[22:23]
	v_add_f64 v[5:6], v[5:6], v[16:17]
	ds_read_b128 v[16:19], v24 offset:928
	s_waitcnt vmcnt(57) lgkmcnt(1)
	v_mul_f64 v[180:181], v[1:2], v[47:48]
	v_mul_f64 v[47:48], v[3:4], v[47:48]
	s_waitcnt vmcnt(56)
	v_fma_f64 v[39:40], v[12:13], v[20:21], -v[39:40]
	v_fma_f64 v[20:21], v[14:15], v[20:21], v[161:162]
	v_add_f64 v[22:23], v[22:23], v[33:34]
	v_add_f64 v[5:6], v[5:6], v[45:46]
	s_clause 0x2
	buffer_load_dword v160, off, s[0:3], 0 offset:428
	buffer_load_dword v34, off, s[0:3], 0 offset:404
	;; [unrolled: 1-line block ×3, first 2 shown]
	s_waitcnt vmcnt(58) lgkmcnt(0)
	v_mul_f64 v[45:46], v[16:17], v[51:52]
	v_mul_f64 v[51:52], v[18:19], v[51:52]
	s_waitcnt vmcnt(56)
	v_fma_f64 v[47:48], v[1:2], v[57:58], -v[47:48]
	ds_read_b128 v[12:15], v24 offset:944
	v_add_f64 v[22:23], v[22:23], v[39:40]
	v_fma_f64 v[39:40], v[3:4], v[57:58], v[180:181]
	v_add_f64 v[5:6], v[5:6], v[20:21]
	s_clause 0x4
	buffer_load_dword v21, off, s[0:3], 0 offset:444
	buffer_load_dword v57, off, s[0:3], 0 offset:456
	;; [unrolled: 1-line block ×5, first 2 shown]
	s_waitcnt vmcnt(57) lgkmcnt(0)
	v_mul_f64 v[186:187], v[12:13], v[59:60]
	v_mul_f64 v[59:60], v[14:15], v[59:60]
	s_waitcnt vmcnt(56)
	v_fma_f64 v[51:52], v[16:17], v[35:36], -v[51:52]
	ds_read_b128 v[1:4], v24 offset:960
	v_fma_f64 v[35:36], v[18:19], v[35:36], v[45:46]
	v_add_f64 v[22:23], v[22:23], v[47:48]
	v_add_f64 v[5:6], v[5:6], v[39:40]
	s_clause 0x2
	buffer_load_dword v58, off, s[0:3], 0 offset:460
	buffer_load_dword v40, off, s[0:3], 0 offset:436
	;; [unrolled: 1-line block ×3, first 2 shown]
	ds_read_b128 v[16:19], v24 offset:976
	s_waitcnt vmcnt(58) lgkmcnt(1)
	v_mul_f64 v[47:48], v[3:4], v[63:64]
	s_waitcnt vmcnt(56)
	v_fma_f64 v[59:60], v[12:13], v[65:66], -v[59:60]
	v_mul_f64 v[45:46], v[1:2], v[63:64]
	v_add_f64 v[22:23], v[22:23], v[51:52]
	v_fma_f64 v[51:52], v[14:15], v[65:66], v[186:187]
	v_add_f64 v[5:6], v[5:6], v[35:36]
	s_clause 0x4
	buffer_load_dword v36, off, s[0:3], 0 offset:476
	buffer_load_dword v63, off, s[0:3], 0 offset:488
	;; [unrolled: 1-line block ×5, first 2 shown]
	s_waitcnt vmcnt(57) lgkmcnt(0)
	v_mul_f64 v[186:187], v[16:17], v[67:68]
	v_mul_f64 v[66:67], v[18:19], v[67:68]
	s_waitcnt vmcnt(56)
	v_fma_f64 v[47:48], v[1:2], v[49:50], -v[47:48]
	ds_read_b128 v[12:15], v24 offset:992
	v_fma_f64 v[45:46], v[3:4], v[49:50], v[45:46]
	s_clause 0x2
	buffer_load_dword v64, off, s[0:3], 0 offset:492
	buffer_load_dword v50, off, s[0:3], 0 offset:468
	;; [unrolled: 1-line block ×3, first 2 shown]
	ds_read_b128 v[1:4], v24 offset:1008
	v_add_f64 v[22:23], v[22:23], v[59:60]
	v_add_f64 v[5:6], v[5:6], v[51:52]
	s_waitcnt vmcnt(58) lgkmcnt(1)
	v_mul_f64 v[59:60], v[14:15], v[75:76]
	s_waitcnt vmcnt(56)
	v_fma_f64 v[67:68], v[16:17], v[77:78], -v[66:67]
	v_mul_f64 v[51:52], v[12:13], v[75:76]
	v_add_f64 v[22:23], v[22:23], v[47:48]
	v_fma_f64 v[47:48], v[18:19], v[77:78], v[186:187]
	v_add_f64 v[5:6], v[5:6], v[45:46]
	s_clause 0x4
	buffer_load_dword v46, off, s[0:3], 0 offset:508
	buffer_load_dword v75, off, s[0:3], 0 offset:520
	;; [unrolled: 1-line block ×5, first 2 shown]
	s_waitcnt vmcnt(57) lgkmcnt(0)
	v_mul_f64 v[186:187], v[1:2], v[79:80]
	v_mul_f64 v[78:79], v[3:4], v[79:80]
	s_waitcnt vmcnt(56)
	v_fma_f64 v[59:60], v[12:13], v[61:62], -v[59:60]
	ds_read_b128 v[16:19], v24 offset:1024
	v_fma_f64 v[51:52], v[14:15], v[61:62], v[51:52]
	v_add_f64 v[22:23], v[22:23], v[67:68]
	v_add_f64 v[5:6], v[5:6], v[47:48]
	s_clause 0x2
	buffer_load_dword v76, off, s[0:3], 0 offset:524
	buffer_load_dword v48, off, s[0:3], 0 offset:500
	;; [unrolled: 1-line block ×3, first 2 shown]
	ds_read_b128 v[12:15], v24 offset:1040
	s_waitcnt vmcnt(58) lgkmcnt(1)
	v_mul_f64 v[67:68], v[18:19], v[153:154]
	s_waitcnt vmcnt(56)
	v_fma_f64 v[79:80], v[1:2], v[155:156], -v[78:79]
	v_mul_f64 v[61:62], v[16:17], v[153:154]
	v_add_f64 v[22:23], v[22:23], v[59:60]
	v_fma_f64 v[59:60], v[3:4], v[155:156], v[186:187]
	v_add_f64 v[5:6], v[5:6], v[51:52]
	s_clause 0x4
	buffer_load_dword v52, off, s[0:3], 0 offset:540
	buffer_load_dword v153, off, s[0:3], 0 offset:552
	;; [unrolled: 1-line block ×5, first 2 shown]
	s_waitcnt vmcnt(57) lgkmcnt(0)
	v_mul_f64 v[186:187], v[12:13], v[171:172]
	v_mul_f64 v[171:172], v[14:15], v[171:172]
	s_waitcnt vmcnt(56)
	v_fma_f64 v[67:68], v[16:17], v[73:74], -v[67:68]
	ds_read_b128 v[1:4], v24 offset:1056
	v_fma_f64 v[61:62], v[18:19], v[73:74], v[61:62]
	v_add_f64 v[22:23], v[22:23], v[79:80]
	v_add_f64 v[5:6], v[5:6], v[59:60]
	s_clause 0x2
	buffer_load_dword v154, off, s[0:3], 0 offset:556
	buffer_load_dword v60, off, s[0:3], 0 offset:532
	;; [unrolled: 1-line block ×3, first 2 shown]
	ds_read_b128 v[16:19], v24 offset:1072
	s_waitcnt vmcnt(58) lgkmcnt(1)
	v_mul_f64 v[79:80], v[3:4], v[173:174]
	v_mul_f64 v[73:74], v[1:2], v[173:174]
	s_waitcnt vmcnt(56)
	v_fma_f64 v[171:172], v[12:13], v[169:170], -v[171:172]
	v_add_f64 v[22:23], v[22:23], v[67:68]
	v_fma_f64 v[67:68], v[14:15], v[169:170], v[186:187]
	v_add_f64 v[5:6], v[5:6], v[61:62]
	s_clause 0x4
	buffer_load_dword v62, off, s[0:3], 0 offset:572
	buffer_load_dword v169, off, s[0:3], 0 offset:584
	;; [unrolled: 1-line block ×5, first 2 shown]
	s_waitcnt vmcnt(57) lgkmcnt(0)
	v_mul_f64 v[186:187], v[16:17], v[163:164]
	v_mul_f64 v[163:164], v[18:19], v[163:164]
	ds_read_b128 v[12:15], v24 offset:1088
	s_waitcnt vmcnt(56)
	v_fma_f64 v[79:80], v[1:2], v[175:176], -v[79:80]
	v_fma_f64 v[73:74], v[3:4], v[175:176], v[73:74]
	v_add_f64 v[22:23], v[22:23], v[171:172]
	v_add_f64 v[5:6], v[5:6], v[67:68]
	s_clause 0x2
	buffer_load_dword v170, off, s[0:3], 0 offset:588
	buffer_load_dword v68, off, s[0:3], 0 offset:564
	;; [unrolled: 1-line block ×3, first 2 shown]
	s_waitcnt vmcnt(58) lgkmcnt(0)
	v_mul_f64 v[175:176], v[14:15], v[177:178]
	s_waitcnt vmcnt(56)
	v_fma_f64 v[163:164], v[16:17], v[167:168], -v[163:164]
	ds_read_b128 v[1:4], v24 offset:1104
	v_mul_f64 v[171:172], v[12:13], v[177:178]
	v_add_f64 v[22:23], v[22:23], v[79:80]
	v_fma_f64 v[79:80], v[18:19], v[167:168], v[186:187]
	v_add_f64 v[5:6], v[5:6], v[73:74]
	s_clause 0x4
	buffer_load_dword v74, off, s[0:3], 0 offset:604
	buffer_load_dword v167, off, s[0:3], 0 offset:616
	;; [unrolled: 1-line block ×5, first 2 shown]
	ds_read_b128 v[16:19], v24 offset:1120
	s_waitcnt vmcnt(57) lgkmcnt(1)
	v_mul_f64 v[186:187], v[1:2], v[37:38]
	v_mul_f64 v[37:38], v[3:4], v[37:38]
	s_waitcnt vmcnt(56)
	v_fma_f64 v[175:176], v[12:13], v[182:183], -v[175:176]
	v_add_f64 v[22:23], v[22:23], v[163:164]
	v_fma_f64 v[163:164], v[14:15], v[182:183], v[171:172]
	v_add_f64 v[5:6], v[5:6], v[79:80]
	s_clause 0x2
	buffer_load_dword v168, off, s[0:3], 0 offset:620
	buffer_load_dword v80, off, s[0:3], 0 offset:596
	;; [unrolled: 1-line block ×3, first 2 shown]
	ds_read_b128 v[12:15], v24 offset:1136
	s_waitcnt vmcnt(58) lgkmcnt(1)
	v_mul_f64 v[171:172], v[16:17], v[165:166]
	v_mul_f64 v[165:166], v[18:19], v[165:166]
	s_waitcnt vmcnt(56)
	v_fma_f64 v[37:38], v[1:2], v[31:32], -v[37:38]
	v_fma_f64 v[31:32], v[3:4], v[31:32], v[186:187]
	v_add_f64 v[22:23], v[22:23], v[175:176]
	v_add_f64 v[5:6], v[5:6], v[163:164]
	s_clause 0x4
	buffer_load_dword v164, off, s[0:3], 0 offset:636
	buffer_load_dword v175, off, s[0:3], 0 offset:648
	;; [unrolled: 1-line block ×5, first 2 shown]
	s_waitcnt vmcnt(57) lgkmcnt(0)
	v_mul_f64 v[182:183], v[12:13], v[157:158]
	v_mul_f64 v[157:158], v[14:15], v[157:158]
	ds_read_b128 v[1:4], v24 offset:1152
	s_waitcnt vmcnt(56)
	v_fma_f64 v[165:166], v[16:17], v[184:185], -v[165:166]
	v_add_f64 v[22:23], v[22:23], v[37:38]
	v_fma_f64 v[37:38], v[18:19], v[184:185], v[171:172]
	v_add_f64 v[5:6], v[5:6], v[31:32]
	s_clause 0x2
	buffer_load_dword v176, off, s[0:3], 0 offset:652
	buffer_load_dword v32, off, s[0:3], 0 offset:628
	;; [unrolled: 1-line block ×3, first 2 shown]
	ds_read_b128 v[16:19], v24 offset:1168
	s_waitcnt vmcnt(58) lgkmcnt(1)
	v_mul_f64 v[171:172], v[1:2], v[159:160]
	v_mul_f64 v[159:160], v[3:4], v[159:160]
	s_waitcnt vmcnt(56)
	v_fma_f64 v[157:158], v[12:13], v[33:34], -v[157:158]
	v_fma_f64 v[33:34], v[14:15], v[33:34], v[182:183]
	v_add_f64 v[22:23], v[22:23], v[165:166]
	v_add_f64 v[5:6], v[5:6], v[37:38]
	s_clause 0x4
	buffer_load_dword v38, off, s[0:3], 0 offset:668
	buffer_load_dword v165, off, s[0:3], 0 offset:680
	;; [unrolled: 1-line block ×5, first 2 shown]
	ds_read_b128 v[12:15], v24 offset:1184
	s_waitcnt vmcnt(57) lgkmcnt(1)
	v_mul_f64 v[184:185], v[16:17], v[20:21]
	v_mul_f64 v[20:21], v[18:19], v[20:21]
	s_waitcnt vmcnt(56)
	v_fma_f64 v[159:160], v[1:2], v[179:180], -v[159:160]
	v_add_f64 v[22:23], v[22:23], v[157:158]
	v_fma_f64 v[157:158], v[3:4], v[179:180], v[171:172]
	v_add_f64 v[5:6], v[5:6], v[33:34]
	s_clause 0x2
	buffer_load_dword v166, off, s[0:3], 0 offset:684
	buffer_load_dword v34, off, s[0:3], 0 offset:660
	;; [unrolled: 1-line block ×3, first 2 shown]
	ds_read_b128 v[1:4], v24 offset:1200
	s_waitcnt vmcnt(58) lgkmcnt(1)
	v_mul_f64 v[171:172], v[12:13], v[57:58]
	v_mul_f64 v[57:58], v[14:15], v[57:58]
	s_waitcnt vmcnt(56)
	v_fma_f64 v[20:21], v[16:17], v[39:40], -v[20:21]
	v_fma_f64 v[39:40], v[18:19], v[39:40], v[184:185]
	v_add_f64 v[22:23], v[22:23], v[159:160]
	v_add_f64 v[5:6], v[5:6], v[157:158]
	s_clause 0x4
	buffer_load_dword v158, off, s[0:3], 0 offset:700
	buffer_load_dword v159, off, s[0:3], 0 offset:712
	;; [unrolled: 1-line block ×5, first 2 shown]
	ds_read_b128 v[16:19], v24 offset:1216
	s_waitcnt vmcnt(57) lgkmcnt(1)
	v_mul_f64 v[185:186], v[1:2], v[35:36]
	v_mul_f64 v[35:36], v[3:4], v[35:36]
	s_waitcnt vmcnt(56)
	v_fma_f64 v[57:58], v[12:13], v[161:162], -v[57:58]
	v_add_f64 v[20:21], v[22:23], v[20:21]
	v_fma_f64 v[22:23], v[14:15], v[161:162], v[171:172]
	v_add_f64 v[5:6], v[5:6], v[39:40]
	s_clause 0x2
	buffer_load_dword v160, off, s[0:3], 0 offset:716
	buffer_load_dword v40, off, s[0:3], 0 offset:692
	buffer_load_dword v39, off, s[0:3], 0 offset:688
	s_waitcnt vmcnt(58) lgkmcnt(0)
	v_mul_f64 v[161:162], v[16:17], v[63:64]
	v_mul_f64 v[63:64], v[18:19], v[63:64]
	ds_read_b128 v[12:15], v24 offset:1232
	s_waitcnt vmcnt(56)
	v_fma_f64 v[35:36], v[1:2], v[49:50], -v[35:36]
	v_fma_f64 v[49:50], v[3:4], v[49:50], v[185:186]
	v_add_f64 v[20:21], v[20:21], v[57:58]
	v_add_f64 v[5:6], v[5:6], v[22:23]
	s_clause 0x4
	buffer_load_dword v23, off, s[0:3], 0 offset:732
	buffer_load_dword v57, off, s[0:3], 0 offset:744
	;; [unrolled: 1-line block ×5, first 2 shown]
	ds_read_b128 v[1:4], v24 offset:1248
	s_waitcnt vmcnt(57) lgkmcnt(1)
	v_mul_f64 v[185:186], v[12:13], v[45:46]
	v_mul_f64 v[45:46], v[14:15], v[45:46]
	s_waitcnt vmcnt(56)
	v_fma_f64 v[63:64], v[16:17], v[65:66], -v[63:64]
	v_add_f64 v[20:21], v[20:21], v[35:36]
	v_fma_f64 v[35:36], v[18:19], v[65:66], v[161:162]
	v_add_f64 v[5:6], v[5:6], v[49:50]
	s_clause 0x2
	buffer_load_dword v58, off, s[0:3], 0 offset:748
	buffer_load_dword v50, off, s[0:3], 0 offset:724
	;; [unrolled: 1-line block ×3, first 2 shown]
	ds_read_b128 v[16:19], v24 offset:1264
	s_waitcnt vmcnt(58) lgkmcnt(1)
	v_mul_f64 v[65:66], v[1:2], v[75:76]
	v_mul_f64 v[75:76], v[3:4], v[75:76]
	s_waitcnt vmcnt(56)
	v_fma_f64 v[45:46], v[12:13], v[47:48], -v[45:46]
	v_fma_f64 v[47:48], v[14:15], v[47:48], v[185:186]
	v_add_f64 v[20:21], v[20:21], v[63:64]
	v_add_f64 v[5:6], v[5:6], v[35:36]
	s_clause 0x2
	buffer_load_dword v36, off, s[0:3], 0 offset:764
	buffer_load_dword v35, off, s[0:3], 0 offset:760
	;; [unrolled: 1-line block ×3, first 2 shown]
	ds_read_b128 v[12:15], v24 offset:1280
	s_waitcnt vmcnt(55) lgkmcnt(1)
	v_mul_f64 v[63:64], v[16:17], v[51:52]
	v_mul_f64 v[51:52], v[18:19], v[51:52]
	s_waitcnt vmcnt(54)
	v_fma_f64 v[75:76], v[1:2], v[77:78], -v[75:76]
	v_add_f64 v[20:21], v[20:21], v[45:46]
	v_fma_f64 v[45:46], v[3:4], v[77:78], v[65:66]
	v_add_f64 v[5:6], v[5:6], v[47:48]
	s_clause 0x1
	buffer_load_dword v48, off, s[0:3], 0 offset:756
	buffer_load_dword v47, off, s[0:3], 0 offset:752
	ds_read_b128 v[1:4], v24 offset:1296
	s_waitcnt vmcnt(55) lgkmcnt(1)
	v_mul_f64 v[77:78], v[14:15], v[153:154]
	v_mul_f64 v[65:66], v[12:13], v[153:154]
	s_waitcnt vmcnt(53)
	v_fma_f64 v[51:52], v[16:17], v[59:60], -v[51:52]
	v_fma_f64 v[59:60], v[18:19], v[59:60], v[63:64]
	ds_read_b128 v[16:19], v24 offset:1312
	v_add_f64 v[20:21], v[20:21], v[75:76]
	v_add_f64 v[5:6], v[5:6], v[45:46]
	s_waitcnt vmcnt(49) lgkmcnt(1)
	v_mul_f64 v[45:46], v[1:2], v[61:62]
	v_mul_f64 v[61:62], v[3:4], v[61:62]
	s_waitcnt vmcnt(48)
	v_fma_f64 v[63:64], v[12:13], v[155:156], -v[77:78]
	v_add_f64 v[20:21], v[20:21], v[51:52]
	v_fma_f64 v[51:52], v[14:15], v[155:156], v[65:66]
	v_add_f64 v[5:6], v[5:6], v[59:60]
	s_clause 0x3
	buffer_load_dword v59, off, s[0:3], 0 offset:48
	buffer_load_dword v60, off, s[0:3], 0 offset:52
	;; [unrolled: 1-line block ×4, first 2 shown]
	ds_read_b128 v[12:15], v24 offset:1328
	s_waitcnt vmcnt(51) lgkmcnt(1)
	v_mul_f64 v[77:78], v[18:19], v[169:170]
	v_mul_f64 v[75:76], v[16:17], v[169:170]
	s_waitcnt vmcnt(49)
	v_fma_f64 v[61:62], v[1:2], v[67:68], -v[61:62]
	v_fma_f64 v[45:46], v[3:4], v[67:68], v[45:46]
	ds_read_b128 v[1:4], v24 offset:1344
	v_add_f64 v[20:21], v[20:21], v[63:64]
	v_add_f64 v[5:6], v[5:6], v[51:52]
	s_waitcnt vmcnt(45) lgkmcnt(1)
	v_mul_f64 v[63:64], v[14:15], v[73:74]
	s_waitcnt vmcnt(44)
	v_fma_f64 v[67:68], v[16:17], v[173:174], -v[77:78]
	v_mul_f64 v[51:52], v[12:13], v[73:74]
	v_add_f64 v[20:21], v[20:21], v[61:62]
	v_fma_f64 v[61:62], v[18:19], v[173:174], v[75:76]
	v_add_f64 v[5:6], v[5:6], v[45:46]
	ds_read_b128 v[16:19], v24 offset:1360
	s_waitcnt vmcnt(43) lgkmcnt(1)
	v_mul_f64 v[73:74], v[3:4], v[167:168]
	v_mul_f64 v[45:46], v[1:2], v[167:168]
	s_waitcnt vmcnt(41)
	v_fma_f64 v[63:64], v[12:13], v[79:80], -v[63:64]
	v_fma_f64 v[51:52], v[14:15], v[79:80], v[51:52]
	ds_read_b128 v[12:15], v24 offset:1376
	v_add_f64 v[20:21], v[20:21], v[67:68]
	v_add_f64 v[5:6], v[5:6], v[61:62]
	s_waitcnt vmcnt(37) lgkmcnt(1)
	v_mul_f64 v[67:68], v[18:19], v[163:164]
	s_waitcnt vmcnt(36)
	v_fma_f64 v[73:74], v[1:2], v[177:178], -v[73:74]
	v_mul_f64 v[61:62], v[16:17], v[163:164]
	v_fma_f64 v[45:46], v[3:4], v[177:178], v[45:46]
	ds_read_b128 v[1:4], v24 offset:1392
	v_add_f64 v[20:21], v[20:21], v[63:64]
	v_add_f64 v[5:6], v[5:6], v[51:52]
	s_waitcnt vmcnt(35) lgkmcnt(1)
	v_mul_f64 v[63:64], v[14:15], v[175:176]
	v_mul_f64 v[51:52], v[12:13], v[175:176]
	s_waitcnt vmcnt(33)
	v_fma_f64 v[67:68], v[16:17], v[31:32], -v[67:68]
	v_fma_f64 v[31:32], v[18:19], v[31:32], v[61:62]
	ds_read_b128 v[16:19], v24 offset:1408
	v_add_f64 v[20:21], v[20:21], v[73:74]
	v_add_f64 v[5:6], v[5:6], v[45:46]
	s_waitcnt vmcnt(29) lgkmcnt(1)
	v_mul_f64 v[45:46], v[1:2], v[37:38]
	v_mul_f64 v[37:38], v[3:4], v[37:38]
	s_waitcnt vmcnt(28)
	v_fma_f64 v[61:62], v[12:13], v[181:182], -v[63:64]
	;; [unrolled: 9-line block ×3, first 2 shown]
	v_fma_f64 v[33:34], v[3:4], v[33:34], v[45:46]
	ds_read_b128 v[1:4], v24 offset:1440
	v_add_f64 v[20:21], v[20:21], v[61:62]
	v_add_f64 v[5:6], v[5:6], v[51:52]
	s_waitcnt vmcnt(21) lgkmcnt(1)
	v_mul_f64 v[51:52], v[14:15], v[157:158]
	s_waitcnt vmcnt(20)
	v_fma_f64 v[61:62], v[16:17], v[183:184], -v[63:64]
	v_mul_f64 v[45:46], v[12:13], v[157:158]
	v_fma_f64 v[31:32], v[18:19], v[183:184], v[31:32]
	ds_read_b128 v[16:19], v24 offset:1456
	v_add_f64 v[20:21], v[20:21], v[37:38]
	v_add_f64 v[5:6], v[5:6], v[33:34]
	s_waitcnt vmcnt(19) lgkmcnt(1)
	v_mul_f64 v[37:38], v[3:4], v[159:160]
	v_mul_f64 v[33:34], v[1:2], v[159:160]
	s_waitcnt vmcnt(17)
	v_fma_f64 v[51:52], v[12:13], v[39:40], -v[51:52]
	v_fma_f64 v[39:40], v[14:15], v[39:40], v[45:46]
	ds_read_b128 v[12:15], v24 offset:1472
	v_add_f64 v[20:21], v[20:21], v[61:62]
	v_add_f64 v[5:6], v[5:6], v[31:32]
	s_waitcnt vmcnt(13) lgkmcnt(1)
	v_mul_f64 v[31:32], v[16:17], v[22:23]
	v_mul_f64 v[22:23], v[18:19], v[22:23]
	s_waitcnt vmcnt(12)
	v_fma_f64 v[37:38], v[1:2], v[179:180], -v[37:38]
	;; [unrolled: 9-line block ×3, first 2 shown]
	v_fma_f64 v[18:19], v[18:19], v[49:50], v[31:32]
	v_add_f64 v[20:21], v[20:21], v[37:38]
	v_add_f64 v[5:6], v[5:6], v[33:34]
	s_waitcnt vmcnt(7) lgkmcnt(0)
	v_mul_f64 v[31:32], v[3:4], v[35:36]
	s_waitcnt vmcnt(6)
	v_fma_f64 v[12:13], v[12:13], v[171:172], -v[45:46]
	v_mul_f64 v[22:23], v[1:2], v[35:36]
	v_fma_f64 v[14:15], v[14:15], v[171:172], v[39:40]
	v_add_f64 v[16:17], v[20:21], v[16:17]
	v_add_f64 v[5:6], v[5:6], v[18:19]
	s_waitcnt vmcnt(4)
	v_fma_f64 v[1:2], v[1:2], v[47:48], -v[31:32]
	v_fma_f64 v[3:4], v[3:4], v[47:48], v[22:23]
	v_add_f64 v[12:13], v[16:17], v[12:13]
	v_add_f64 v[5:6], v[5:6], v[14:15]
	;; [unrolled: 1-line block ×4, first 2 shown]
	s_waitcnt vmcnt(2)
	v_add_f64 v[1:2], v[59:60], -v[1:2]
	s_waitcnt vmcnt(0)
	v_add_f64 v[3:4], v[65:66], -v[3:4]
	buffer_store_dword v2, off, s[0:3], 0 offset:52
	buffer_store_dword v1, off, s[0:3], 0 offset:48
	;; [unrolled: 1-line block ×4, first 2 shown]
	v_cmpx_lt_u32_e32 1, v0
	s_cbranch_execz .LBB46_293
; %bb.292:
	v_mov_b32_e32 v4, s51
	v_mov_b32_e32 v5, 0
	s_clause 0x3
	buffer_load_dword v1, v4, s[0:3], 0 offen
	buffer_load_dword v2, v4, s[0:3], 0 offen offset:4
	buffer_load_dword v3, v4, s[0:3], 0 offen offset:8
	;; [unrolled: 1-line block ×3, first 2 shown]
	buffer_store_dword v5, off, s[0:3], 0 offset:32
	buffer_store_dword v5, off, s[0:3], 0 offset:36
	;; [unrolled: 1-line block ×4, first 2 shown]
	s_waitcnt vmcnt(0)
	ds_write_b128 v7, v[1:4]
.LBB46_293:
	s_or_b32 exec_lo, exec_lo, s4
	s_waitcnt lgkmcnt(0)
	s_waitcnt_vscnt null, 0x0
	s_barrier
	buffer_gl0_inv
	s_clause 0x37
	buffer_load_dword v18, off, s[0:3], 0 offset:56
	buffer_load_dword v19, off, s[0:3], 0 offset:60
	;; [unrolled: 1-line block ×56, first 2 shown]
	v_mov_b32_e32 v24, 0
	s_mov_b32 s4, exec_lo
	ds_read_b128 v[161:164], v24 offset:784
	s_clause 0x2
	buffer_load_dword v158, off, s[0:3], 0 offset:284
	buffer_load_dword v160, off, s[0:3], 0 offset:260
	;; [unrolled: 1-line block ×3, first 2 shown]
	ds_read_b128 v[1:4], v24 offset:800
	s_clause 0x4
	buffer_load_dword v172, off, s[0:3], 0 offset:300
	buffer_load_dword v173, off, s[0:3], 0 offset:312
	;; [unrolled: 1-line block ×5, first 2 shown]
	ds_read_b128 v[165:168], v24 offset:816
	s_clause 0x2
	buffer_load_dword v174, off, s[0:3], 0 offset:316
	buffer_load_dword v179, off, s[0:3], 0 offset:292
	;; [unrolled: 1-line block ×3, first 2 shown]
	s_waitcnt vmcnt(62) lgkmcnt(2)
	v_mul_f64 v[169:170], v[163:164], v[18:19]
	v_mul_f64 v[18:19], v[161:162], v[18:19]
	s_waitcnt lgkmcnt(1)
	v_mul_f64 v[176:177], v[3:4], v[14:15]
	s_waitcnt vmcnt(61)
	v_fma_f64 v[161:162], v[161:162], v[16:17], -v[169:170]
	v_mul_f64 v[169:170], v[1:2], v[14:15]
	v_fma_f64 v[18:19], v[163:164], v[16:17], v[18:19]
	s_waitcnt vmcnt(59) lgkmcnt(0)
	v_mul_f64 v[163:164], v[165:166], v[12:13]
	v_mul_f64 v[12:13], v[167:168], v[12:13]
	s_waitcnt vmcnt(57)
	v_fma_f64 v[180:181], v[1:2], v[5:6], -v[176:177]
	ds_read_b128 v[14:17], v24 offset:832
	v_add_f64 v[161:162], v[161:162], 0
	v_fma_f64 v[5:6], v[3:4], v[5:6], v[169:170]
	v_add_f64 v[18:19], v[18:19], 0
	s_clause 0x4
	buffer_load_dword v170, off, s[0:3], 0 offset:332
	buffer_load_dword v182, off, s[0:3], 0 offset:344
	;; [unrolled: 1-line block ×5, first 2 shown]
	s_waitcnt vmcnt(58) lgkmcnt(0)
	v_mul_f64 v[185:186], v[14:15], v[22:23]
	v_mul_f64 v[22:23], v[16:17], v[22:23]
	s_waitcnt vmcnt(56)
	v_fma_f64 v[12:13], v[165:166], v[45:46], -v[12:13]
	ds_read_b128 v[1:4], v24 offset:848
	v_fma_f64 v[45:46], v[167:168], v[45:46], v[163:164]
	s_clause 0x2
	buffer_load_dword v183, off, s[0:3], 0 offset:348
	buffer_load_dword v168, off, s[0:3], 0 offset:324
	;; [unrolled: 1-line block ×3, first 2 shown]
	v_add_f64 v[165:166], v[161:162], v[180:181]
	ds_read_b128 v[161:164], v24 offset:864
	v_add_f64 v[5:6], v[18:19], v[5:6]
	s_waitcnt vmcnt(56)
	v_fma_f64 v[16:17], v[16:17], v[35:36], v[185:186]
	s_waitcnt lgkmcnt(1)
	v_mul_f64 v[18:19], v[1:2], v[33:34]
	v_mul_f64 v[33:34], v[3:4], v[33:34]
	v_fma_f64 v[22:23], v[14:15], v[35:36], -v[22:23]
	s_waitcnt vmcnt(52) lgkmcnt(0)
	v_mul_f64 v[186:187], v[161:162], v[37:38]
	v_add_f64 v[165:166], v[165:166], v[12:13]
	v_mul_f64 v[37:38], v[163:164], v[37:38]
	v_add_f64 v[5:6], v[5:6], v[45:46]
	s_clause 0x4
	buffer_load_dword v36, off, s[0:3], 0 offset:364
	buffer_load_dword v45, off, s[0:3], 0 offset:376
	;; [unrolled: 1-line block ×5, first 2 shown]
	ds_read_b128 v[12:15], v24 offset:880
	s_waitcnt vmcnt(56)
	v_fma_f64 v[18:19], v[3:4], v[20:21], v[18:19]
	v_fma_f64 v[33:34], v[1:2], v[20:21], -v[33:34]
	s_clause 0x2
	buffer_load_dword v46, off, s[0:3], 0 offset:380
	buffer_load_dword v21, off, s[0:3], 0 offset:356
	;; [unrolled: 1-line block ×3, first 2 shown]
	ds_read_b128 v[1:4], v24 offset:896
	v_add_f64 v[22:23], v[165:166], v[22:23]
	s_waitcnt vmcnt(56)
	v_fma_f64 v[37:38], v[161:162], v[49:50], -v[37:38]
	v_add_f64 v[5:6], v[5:6], v[16:17]
	s_waitcnt lgkmcnt(1)
	v_mul_f64 v[165:166], v[12:13], v[47:48]
	v_mul_f64 v[47:48], v[14:15], v[47:48]
	v_add_f64 v[22:23], v[22:23], v[33:34]
	v_fma_f64 v[33:34], v[163:164], v[49:50], v[186:187]
	v_add_f64 v[5:6], v[5:6], v[18:19]
	s_clause 0x4
	buffer_load_dword v50, off, s[0:3], 0 offset:396
	buffer_load_dword v161, off, s[0:3], 0 offset:408
	;; [unrolled: 1-line block ×5, first 2 shown]
	s_waitcnt vmcnt(57) lgkmcnt(0)
	v_mul_f64 v[186:187], v[1:2], v[51:52]
	v_mul_f64 v[51:52], v[3:4], v[51:52]
	s_waitcnt vmcnt(56)
	v_fma_f64 v[47:48], v[12:13], v[31:32], -v[47:48]
	ds_read_b128 v[16:19], v24 offset:912
	v_fma_f64 v[31:32], v[14:15], v[31:32], v[165:166]
	v_add_f64 v[22:23], v[22:23], v[37:38]
	v_add_f64 v[5:6], v[5:6], v[33:34]
	s_clause 0x2
	buffer_load_dword v162, off, s[0:3], 0 offset:412
	buffer_load_dword v34, off, s[0:3], 0 offset:388
	;; [unrolled: 1-line block ×3, first 2 shown]
	ds_read_b128 v[12:15], v24 offset:928
	s_waitcnt vmcnt(58) lgkmcnt(1)
	v_mul_f64 v[37:38], v[16:17], v[59:60]
	v_mul_f64 v[59:60], v[18:19], v[59:60]
	s_waitcnt vmcnt(56)
	v_fma_f64 v[51:52], v[1:2], v[61:62], -v[51:52]
	v_add_f64 v[22:23], v[22:23], v[47:48]
	v_fma_f64 v[47:48], v[3:4], v[61:62], v[186:187]
	v_add_f64 v[5:6], v[5:6], v[31:32]
	s_clause 0x4
	buffer_load_dword v32, off, s[0:3], 0 offset:428
	buffer_load_dword v61, off, s[0:3], 0 offset:440
	;; [unrolled: 1-line block ×5, first 2 shown]
	s_waitcnt vmcnt(57) lgkmcnt(0)
	v_mul_f64 v[186:187], v[12:13], v[63:64]
	v_mul_f64 v[63:64], v[14:15], v[63:64]
	s_waitcnt vmcnt(56)
	v_fma_f64 v[59:60], v[16:17], v[39:40], -v[59:60]
	ds_read_b128 v[1:4], v24 offset:944
	v_fma_f64 v[37:38], v[18:19], v[39:40], v[37:38]
	s_clause 0x2
	buffer_load_dword v62, off, s[0:3], 0 offset:444
	buffer_load_dword v40, off, s[0:3], 0 offset:420
	;; [unrolled: 1-line block ×3, first 2 shown]
	ds_read_b128 v[16:19], v24 offset:960
	v_add_f64 v[22:23], v[22:23], v[51:52]
	v_add_f64 v[5:6], v[5:6], v[47:48]
	s_waitcnt vmcnt(58) lgkmcnt(1)
	v_mul_f64 v[51:52], v[3:4], v[67:68]
	s_waitcnt vmcnt(56)
	v_fma_f64 v[63:64], v[12:13], v[73:74], -v[63:64]
	v_mul_f64 v[47:48], v[1:2], v[67:68]
	v_add_f64 v[22:23], v[22:23], v[59:60]
	v_fma_f64 v[59:60], v[14:15], v[73:74], v[186:187]
	v_add_f64 v[5:6], v[5:6], v[37:38]
	s_clause 0x4
	buffer_load_dword v38, off, s[0:3], 0 offset:460
	buffer_load_dword v67, off, s[0:3], 0 offset:472
	buffer_load_dword v73, off, s[0:3], 0 offset:464
	buffer_load_dword v37, off, s[0:3], 0 offset:456
	buffer_load_dword v166, off, s[0:3], 0 offset:436
	s_waitcnt vmcnt(57) lgkmcnt(0)
	v_mul_f64 v[186:187], v[16:17], v[75:76]
	v_mul_f64 v[74:75], v[18:19], v[75:76]
	s_waitcnt vmcnt(56)
	v_fma_f64 v[51:52], v[1:2], v[57:58], -v[51:52]
	ds_read_b128 v[12:15], v24 offset:976
	v_fma_f64 v[47:48], v[3:4], v[57:58], v[47:48]
	s_clause 0x2
	buffer_load_dword v68, off, s[0:3], 0 offset:476
	buffer_load_dword v58, off, s[0:3], 0 offset:452
	;; [unrolled: 1-line block ×3, first 2 shown]
	ds_read_b128 v[1:4], v24 offset:992
	v_add_f64 v[22:23], v[22:23], v[63:64]
	v_add_f64 v[5:6], v[5:6], v[59:60]
	s_waitcnt vmcnt(58) lgkmcnt(1)
	v_mul_f64 v[63:64], v[14:15], v[79:80]
	s_waitcnt vmcnt(56)
	v_fma_f64 v[75:76], v[16:17], v[153:154], -v[74:75]
	v_mul_f64 v[59:60], v[12:13], v[79:80]
	v_add_f64 v[22:23], v[22:23], v[51:52]
	v_fma_f64 v[51:52], v[18:19], v[153:154], v[186:187]
	v_add_f64 v[5:6], v[5:6], v[47:48]
	s_clause 0x4
	buffer_load_dword v48, off, s[0:3], 0 offset:492
	buffer_load_dword v79, off, s[0:3], 0 offset:504
	;; [unrolled: 1-line block ×5, first 2 shown]
	s_waitcnt vmcnt(57) lgkmcnt(0)
	v_mul_f64 v[186:187], v[1:2], v[155:156]
	v_mul_f64 v[154:155], v[3:4], v[155:156]
	s_waitcnt vmcnt(56)
	v_fma_f64 v[63:64], v[12:13], v[65:66], -v[63:64]
	ds_read_b128 v[16:19], v24 offset:1008
	v_fma_f64 v[59:60], v[14:15], v[65:66], v[59:60]
	v_add_f64 v[22:23], v[22:23], v[75:76]
	v_add_f64 v[5:6], v[5:6], v[51:52]
	s_clause 0x2
	buffer_load_dword v80, off, s[0:3], 0 offset:508
	buffer_load_dword v52, off, s[0:3], 0 offset:484
	;; [unrolled: 1-line block ×3, first 2 shown]
	ds_read_b128 v[12:15], v24 offset:1024
	s_waitcnt vmcnt(58) lgkmcnt(1)
	v_mul_f64 v[75:76], v[18:19], v[157:158]
	s_waitcnt vmcnt(56)
	v_fma_f64 v[155:156], v[1:2], v[159:160], -v[154:155]
	v_mul_f64 v[65:66], v[16:17], v[157:158]
	v_add_f64 v[22:23], v[22:23], v[63:64]
	v_fma_f64 v[63:64], v[3:4], v[159:160], v[186:187]
	v_add_f64 v[5:6], v[5:6], v[59:60]
	s_clause 0x4
	buffer_load_dword v60, off, s[0:3], 0 offset:524
	buffer_load_dword v157, off, s[0:3], 0 offset:536
	buffer_load_dword v159, off, s[0:3], 0 offset:528
	buffer_load_dword v59, off, s[0:3], 0 offset:520
	buffer_load_dword v154, off, s[0:3], 0 offset:500
	s_waitcnt vmcnt(57) lgkmcnt(0)
	v_mul_f64 v[186:187], v[12:13], v[171:172]
	v_mul_f64 v[171:172], v[14:15], v[171:172]
	s_waitcnt vmcnt(56)
	v_fma_f64 v[75:76], v[16:17], v[77:78], -v[75:76]
	ds_read_b128 v[1:4], v24 offset:1040
	v_fma_f64 v[65:66], v[18:19], v[77:78], v[65:66]
	v_add_f64 v[22:23], v[22:23], v[155:156]
	v_add_f64 v[5:6], v[5:6], v[63:64]
	s_clause 0x2
	buffer_load_dword v158, off, s[0:3], 0 offset:540
	buffer_load_dword v64, off, s[0:3], 0 offset:516
	;; [unrolled: 1-line block ×3, first 2 shown]
	ds_read_b128 v[16:19], v24 offset:1056
	s_waitcnt vmcnt(58) lgkmcnt(1)
	v_mul_f64 v[155:156], v[3:4], v[173:174]
	s_waitcnt vmcnt(56)
	v_fma_f64 v[171:172], v[12:13], v[178:179], -v[171:172]
	v_mul_f64 v[77:78], v[1:2], v[173:174]
	v_add_f64 v[22:23], v[22:23], v[75:76]
	v_fma_f64 v[75:76], v[14:15], v[178:179], v[186:187]
	v_add_f64 v[5:6], v[5:6], v[65:66]
	s_clause 0x4
	buffer_load_dword v66, off, s[0:3], 0 offset:556
	buffer_load_dword v173, off, s[0:3], 0 offset:568
	;; [unrolled: 1-line block ×5, first 2 shown]
	ds_read_b128 v[12:15], v24 offset:1072
	s_waitcnt vmcnt(57) lgkmcnt(1)
	v_mul_f64 v[178:179], v[16:17], v[169:170]
	v_mul_f64 v[169:170], v[18:19], v[169:170]
	s_waitcnt vmcnt(56)
	v_fma_f64 v[155:156], v[1:2], v[175:176], -v[155:156]
	v_fma_f64 v[77:78], v[3:4], v[175:176], v[77:78]
	v_add_f64 v[22:23], v[22:23], v[171:172]
	v_add_f64 v[5:6], v[5:6], v[75:76]
	s_clause 0x2
	buffer_load_dword v174, off, s[0:3], 0 offset:572
	buffer_load_dword v76, off, s[0:3], 0 offset:548
	;; [unrolled: 1-line block ×3, first 2 shown]
	s_waitcnt vmcnt(58) lgkmcnt(0)
	v_mul_f64 v[175:176], v[14:15], v[182:183]
	ds_read_b128 v[1:4], v24 offset:1088
	v_mul_f64 v[171:172], v[12:13], v[182:183]
	s_waitcnt vmcnt(56)
	v_fma_f64 v[169:170], v[16:17], v[167:168], -v[169:170]
	v_add_f64 v[22:23], v[22:23], v[155:156]
	v_fma_f64 v[155:156], v[18:19], v[167:168], v[178:179]
	v_add_f64 v[5:6], v[5:6], v[77:78]
	s_clause 0x4
	buffer_load_dword v78, off, s[0:3], 0 offset:588
	buffer_load_dword v167, off, s[0:3], 0 offset:600
	;; [unrolled: 1-line block ×5, first 2 shown]
	ds_read_b128 v[16:19], v24 offset:1104
	s_waitcnt vmcnt(57) lgkmcnt(1)
	v_mul_f64 v[186:187], v[1:2], v[35:36]
	v_mul_f64 v[35:36], v[3:4], v[35:36]
	s_waitcnt vmcnt(56)
	v_fma_f64 v[175:176], v[12:13], v[184:185], -v[175:176]
	v_add_f64 v[22:23], v[22:23], v[169:170]
	v_fma_f64 v[169:170], v[14:15], v[184:185], v[171:172]
	v_add_f64 v[5:6], v[5:6], v[155:156]
	s_clause 0x2
	buffer_load_dword v168, off, s[0:3], 0 offset:604
	buffer_load_dword v156, off, s[0:3], 0 offset:580
	;; [unrolled: 1-line block ×3, first 2 shown]
	s_waitcnt vmcnt(58) lgkmcnt(0)
	v_mul_f64 v[171:172], v[16:17], v[45:46]
	v_mul_f64 v[45:46], v[18:19], v[45:46]
	ds_read_b128 v[12:15], v24 offset:1120
	s_waitcnt vmcnt(56)
	v_fma_f64 v[35:36], v[1:2], v[20:21], -v[35:36]
	v_fma_f64 v[20:21], v[3:4], v[20:21], v[186:187]
	v_add_f64 v[22:23], v[22:23], v[175:176]
	v_add_f64 v[5:6], v[5:6], v[169:170]
	s_clause 0x4
	buffer_load_dword v170, off, s[0:3], 0 offset:620
	buffer_load_dword v175, off, s[0:3], 0 offset:632
	;; [unrolled: 1-line block ×5, first 2 shown]
	ds_read_b128 v[1:4], v24 offset:1136
	s_waitcnt vmcnt(57) lgkmcnt(1)
	v_mul_f64 v[184:185], v[12:13], v[49:50]
	v_mul_f64 v[49:50], v[14:15], v[49:50]
	s_waitcnt vmcnt(56)
	v_fma_f64 v[45:46], v[16:17], v[180:181], -v[45:46]
	v_add_f64 v[22:23], v[22:23], v[35:36]
	v_fma_f64 v[35:36], v[18:19], v[180:181], v[171:172]
	v_add_f64 v[5:6], v[5:6], v[20:21]
	s_clause 0x2
	buffer_load_dword v176, off, s[0:3], 0 offset:636
	buffer_load_dword v21, off, s[0:3], 0 offset:612
	;; [unrolled: 1-line block ×3, first 2 shown]
	ds_read_b128 v[16:19], v24 offset:1152
	s_waitcnt vmcnt(58) lgkmcnt(1)
	v_mul_f64 v[171:172], v[1:2], v[161:162]
	v_mul_f64 v[161:162], v[3:4], v[161:162]
	s_waitcnt vmcnt(56)
	v_fma_f64 v[49:50], v[12:13], v[33:34], -v[49:50]
	v_fma_f64 v[33:34], v[14:15], v[33:34], v[184:185]
	v_add_f64 v[22:23], v[22:23], v[45:46]
	v_add_f64 v[5:6], v[5:6], v[35:36]
	s_clause 0x4
	buffer_load_dword v36, off, s[0:3], 0 offset:652
	buffer_load_dword v45, off, s[0:3], 0 offset:664
	;; [unrolled: 1-line block ×5, first 2 shown]
	ds_read_b128 v[12:15], v24 offset:1168
	s_waitcnt vmcnt(57) lgkmcnt(1)
	v_mul_f64 v[185:186], v[16:17], v[31:32]
	v_mul_f64 v[31:32], v[18:19], v[31:32]
	s_waitcnt vmcnt(56)
	v_fma_f64 v[161:162], v[1:2], v[163:164], -v[161:162]
	v_add_f64 v[22:23], v[22:23], v[49:50]
	v_fma_f64 v[49:50], v[3:4], v[163:164], v[171:172]
	v_add_f64 v[5:6], v[5:6], v[33:34]
	s_clause 0x2
	buffer_load_dword v46, off, s[0:3], 0 offset:668
	buffer_load_dword v34, off, s[0:3], 0 offset:644
	;; [unrolled: 1-line block ×3, first 2 shown]
	s_waitcnt vmcnt(58) lgkmcnt(0)
	v_mul_f64 v[163:164], v[12:13], v[61:62]
	v_mul_f64 v[61:62], v[14:15], v[61:62]
	ds_read_b128 v[1:4], v24 offset:1184
	s_waitcnt vmcnt(56)
	v_fma_f64 v[31:32], v[16:17], v[39:40], -v[31:32]
	v_fma_f64 v[39:40], v[18:19], v[39:40], v[185:186]
	v_add_f64 v[22:23], v[22:23], v[161:162]
	v_add_f64 v[5:6], v[5:6], v[49:50]
	s_clause 0x4
	buffer_load_dword v50, off, s[0:3], 0 offset:684
	buffer_load_dword v161, off, s[0:3], 0 offset:696
	;; [unrolled: 1-line block ×5, first 2 shown]
	ds_read_b128 v[16:19], v24 offset:1200
	s_waitcnt vmcnt(57) lgkmcnt(1)
	v_mul_f64 v[186:187], v[1:2], v[37:38]
	v_mul_f64 v[37:38], v[3:4], v[37:38]
	s_waitcnt vmcnt(56)
	v_fma_f64 v[61:62], v[12:13], v[165:166], -v[61:62]
	v_add_f64 v[22:23], v[22:23], v[31:32]
	v_fma_f64 v[31:32], v[14:15], v[165:166], v[163:164]
	v_add_f64 v[5:6], v[5:6], v[39:40]
	s_clause 0x2
	buffer_load_dword v162, off, s[0:3], 0 offset:700
	buffer_load_dword v40, off, s[0:3], 0 offset:676
	;; [unrolled: 1-line block ×3, first 2 shown]
	s_waitcnt vmcnt(58) lgkmcnt(0)
	v_mul_f64 v[163:164], v[16:17], v[67:68]
	v_mul_f64 v[67:68], v[18:19], v[67:68]
	ds_read_b128 v[12:15], v24 offset:1216
	s_waitcnt vmcnt(56)
	v_fma_f64 v[37:38], v[1:2], v[57:58], -v[37:38]
	v_fma_f64 v[57:58], v[3:4], v[57:58], v[186:187]
	v_add_f64 v[22:23], v[22:23], v[61:62]
	v_add_f64 v[5:6], v[5:6], v[31:32]
	s_clause 0x4
	buffer_load_dword v32, off, s[0:3], 0 offset:716
	buffer_load_dword v61, off, s[0:3], 0 offset:728
	;; [unrolled: 1-line block ×5, first 2 shown]
	ds_read_b128 v[1:4], v24 offset:1232
	s_waitcnt vmcnt(57) lgkmcnt(1)
	v_mul_f64 v[186:187], v[12:13], v[47:48]
	v_mul_f64 v[47:48], v[14:15], v[47:48]
	s_waitcnt vmcnt(56)
	v_fma_f64 v[67:68], v[16:17], v[73:74], -v[67:68]
	v_add_f64 v[22:23], v[22:23], v[37:38]
	v_fma_f64 v[37:38], v[18:19], v[73:74], v[163:164]
	v_add_f64 v[5:6], v[5:6], v[57:58]
	s_clause 0x2
	buffer_load_dword v62, off, s[0:3], 0 offset:732
	buffer_load_dword v58, off, s[0:3], 0 offset:708
	;; [unrolled: 1-line block ×3, first 2 shown]
	ds_read_b128 v[16:19], v24 offset:1248
	s_waitcnt vmcnt(58) lgkmcnt(1)
	v_mul_f64 v[73:74], v[1:2], v[79:80]
	v_mul_f64 v[79:80], v[3:4], v[79:80]
	s_waitcnt vmcnt(56)
	v_fma_f64 v[47:48], v[12:13], v[51:52], -v[47:48]
	v_fma_f64 v[51:52], v[14:15], v[51:52], v[186:187]
	v_add_f64 v[22:23], v[22:23], v[67:68]
	v_add_f64 v[5:6], v[5:6], v[37:38]
	s_clause 0x4
	buffer_load_dword v38, off, s[0:3], 0 offset:748
	buffer_load_dword v67, off, s[0:3], 0 offset:760
	;; [unrolled: 1-line block ×5, first 2 shown]
	ds_read_b128 v[12:15], v24 offset:1264
	s_waitcnt vmcnt(57) lgkmcnt(1)
	v_mul_f64 v[186:187], v[16:17], v[59:60]
	v_mul_f64 v[59:60], v[18:19], v[59:60]
	s_waitcnt vmcnt(56)
	v_fma_f64 v[79:80], v[1:2], v[153:154], -v[79:80]
	v_add_f64 v[22:23], v[22:23], v[47:48]
	v_fma_f64 v[47:48], v[3:4], v[153:154], v[73:74]
	v_add_f64 v[5:6], v[5:6], v[51:52]
	s_clause 0x2
	buffer_load_dword v68, off, s[0:3], 0 offset:764
	buffer_load_dword v52, off, s[0:3], 0 offset:740
	;; [unrolled: 1-line block ×3, first 2 shown]
	ds_read_b128 v[1:4], v24 offset:1280
	buffer_load_dword v164, off, s[0:3], 0 offset:756
	s_waitcnt vmcnt(59) lgkmcnt(1)
	v_mul_f64 v[153:154], v[14:15], v[157:158]
	v_mul_f64 v[73:74], v[12:13], v[157:158]
	s_waitcnt vmcnt(57)
	v_fma_f64 v[59:60], v[16:17], v[63:64], -v[59:60]
	v_fma_f64 v[63:64], v[18:19], v[63:64], v[186:187]
	ds_read_b128 v[16:19], v24 offset:1296
	v_add_f64 v[22:23], v[22:23], v[79:80]
	v_add_f64 v[5:6], v[5:6], v[47:48]
	s_waitcnt vmcnt(53) lgkmcnt(1)
	v_mul_f64 v[47:48], v[1:2], v[65:66]
	v_mul_f64 v[65:66], v[3:4], v[65:66]
	s_waitcnt vmcnt(52)
	v_fma_f64 v[79:80], v[12:13], v[159:160], -v[153:154]
	v_add_f64 v[22:23], v[22:23], v[59:60]
	v_fma_f64 v[59:60], v[14:15], v[159:160], v[73:74]
	v_add_f64 v[5:6], v[5:6], v[63:64]
	ds_read_b128 v[12:15], v24 offset:1312
	s_waitcnt vmcnt(51) lgkmcnt(1)
	v_mul_f64 v[73:74], v[18:19], v[173:174]
	v_mul_f64 v[63:64], v[16:17], v[173:174]
	s_waitcnt vmcnt(49)
	v_fma_f64 v[65:66], v[1:2], v[75:76], -v[65:66]
	v_fma_f64 v[47:48], v[3:4], v[75:76], v[47:48]
	v_add_f64 v[22:23], v[22:23], v[79:80]
	v_add_f64 v[5:6], v[5:6], v[59:60]
	s_clause 0x3
	buffer_load_dword v59, off, s[0:3], 0 offset:32
	buffer_load_dword v60, off, s[0:3], 0 offset:36
	;; [unrolled: 1-line block ×4, first 2 shown]
	ds_read_b128 v[1:4], v24 offset:1328
	s_waitcnt vmcnt(49) lgkmcnt(1)
	v_mul_f64 v[79:80], v[12:13], v[77:78]
	v_mul_f64 v[77:78], v[14:15], v[77:78]
	s_waitcnt vmcnt(48)
	v_fma_f64 v[73:74], v[16:17], v[177:178], -v[73:74]
	v_fma_f64 v[63:64], v[18:19], v[177:178], v[63:64]
	ds_read_b128 v[16:19], v24 offset:1344
	v_add_f64 v[22:23], v[22:23], v[65:66]
	v_add_f64 v[5:6], v[5:6], v[47:48]
	s_waitcnt vmcnt(47) lgkmcnt(1)
	v_mul_f64 v[65:66], v[3:4], v[167:168]
	v_mul_f64 v[47:48], v[1:2], v[167:168]
	s_waitcnt vmcnt(45)
	v_fma_f64 v[77:78], v[12:13], v[155:156], -v[77:78]
	v_add_f64 v[22:23], v[22:23], v[73:74]
	v_fma_f64 v[73:74], v[14:15], v[155:156], v[79:80]
	v_add_f64 v[5:6], v[5:6], v[63:64]
	ds_read_b128 v[12:15], v24 offset:1360
	s_waitcnt vmcnt(41) lgkmcnt(1)
	v_mul_f64 v[79:80], v[18:19], v[169:170]
	s_waitcnt vmcnt(40)
	v_fma_f64 v[65:66], v[1:2], v[182:183], -v[65:66]
	v_mul_f64 v[63:64], v[16:17], v[169:170]
	v_fma_f64 v[47:48], v[3:4], v[182:183], v[47:48]
	ds_read_b128 v[1:4], v24 offset:1376
	v_add_f64 v[22:23], v[22:23], v[77:78]
	v_add_f64 v[5:6], v[5:6], v[73:74]
	s_waitcnt vmcnt(39) lgkmcnt(1)
	v_mul_f64 v[77:78], v[14:15], v[175:176]
	v_mul_f64 v[73:74], v[12:13], v[175:176]
	s_waitcnt vmcnt(37)
	v_fma_f64 v[79:80], v[16:17], v[20:21], -v[79:80]
	v_fma_f64 v[20:21], v[18:19], v[20:21], v[63:64]
	ds_read_b128 v[16:19], v24 offset:1392
	v_add_f64 v[22:23], v[22:23], v[65:66]
	v_add_f64 v[5:6], v[5:6], v[47:48]
	s_waitcnt vmcnt(33) lgkmcnt(1)
	v_mul_f64 v[47:48], v[1:2], v[35:36]
	v_mul_f64 v[35:36], v[3:4], v[35:36]
	s_waitcnt vmcnt(32)
	v_fma_f64 v[63:64], v[12:13], v[179:180], -v[77:78]
	;; [unrolled: 9-line block ×7, first 2 shown]
	v_fma_f64 v[20:21], v[18:19], v[57:58], v[20:21]
	ds_read_b128 v[16:19], v24 offset:1488
	v_add_f64 v[22:23], v[22:23], v[35:36]
	v_add_f64 v[5:6], v[5:6], v[33:34]
	s_waitcnt vmcnt(9) lgkmcnt(1)
	v_mul_f64 v[35:36], v[3:4], v[37:38]
	s_waitcnt vmcnt(8)
	v_fma_f64 v[12:13], v[12:13], v[165:166], -v[45:46]
	v_mul_f64 v[33:34], v[1:2], v[37:38]
	v_fma_f64 v[14:15], v[14:15], v[165:166], v[39:40]
	v_add_f64 v[22:23], v[22:23], v[31:32]
	v_add_f64 v[5:6], v[5:6], v[20:21]
	s_waitcnt vmcnt(7) lgkmcnt(0)
	v_mul_f64 v[31:32], v[18:19], v[67:68]
	v_mul_f64 v[20:21], v[16:17], v[67:68]
	s_waitcnt vmcnt(5)
	v_fma_f64 v[1:2], v[1:2], v[51:52], -v[35:36]
	v_fma_f64 v[3:4], v[3:4], v[51:52], v[33:34]
	v_add_f64 v[12:13], v[22:23], v[12:13]
	v_add_f64 v[5:6], v[5:6], v[14:15]
	s_waitcnt vmcnt(4)
	v_fma_f64 v[14:15], v[16:17], v[163:164], -v[31:32]
	v_add_f64 v[1:2], v[12:13], v[1:2]
	v_fma_f64 v[12:13], v[18:19], v[163:164], v[20:21]
	v_add_f64 v[3:4], v[5:6], v[3:4]
	v_add_f64 v[1:2], v[1:2], v[14:15]
	v_add_f64 v[3:4], v[3:4], v[12:13]
	s_waitcnt vmcnt(2)
	v_add_f64 v[1:2], v[59:60], -v[1:2]
	s_waitcnt vmcnt(0)
	v_add_f64 v[3:4], v[75:76], -v[3:4]
	buffer_store_dword v2, off, s[0:3], 0 offset:36
	buffer_store_dword v1, off, s[0:3], 0 offset:32
	;; [unrolled: 1-line block ×4, first 2 shown]
	v_cmpx_ne_u32_e32 0, v0
	s_cbranch_execz .LBB46_295
; %bb.294:
	s_clause 0x3
	buffer_load_dword v0, off, s[0:3], 0 offset:16
	buffer_load_dword v1, off, s[0:3], 0 offset:20
	buffer_load_dword v2, off, s[0:3], 0 offset:24
	buffer_load_dword v3, off, s[0:3], 0 offset:28
	buffer_store_dword v24, off, s[0:3], 0 offset:16
	buffer_store_dword v24, off, s[0:3], 0 offset:20
	;; [unrolled: 1-line block ×4, first 2 shown]
	s_waitcnt vmcnt(0)
	ds_write_b128 v7, v[0:3]
.LBB46_295:
	s_or_b32 exec_lo, exec_lo, s4
	s_waitcnt lgkmcnt(0)
	s_waitcnt_vscnt null, 0x0
	s_barrier
	buffer_gl0_inv
	s_clause 0x37
	buffer_load_dword v20, off, s[0:3], 0 offset:40
	buffer_load_dword v21, off, s[0:3], 0 offset:44
	;; [unrolled: 1-line block ×56, first 2 shown]
	ds_read_b128 v[4:7], v24 offset:768
	s_clause 0x2
	buffer_load_dword v160, off, s[0:3], 0 offset:268
	buffer_load_dword v162, off, s[0:3], 0 offset:244
	;; [unrolled: 1-line block ×3, first 2 shown]
	ds_read_b128 v[0:3], v24 offset:784
	s_clause 0x4
	buffer_load_dword v170, off, s[0:3], 0 offset:284
	buffer_load_dword v171, off, s[0:3], 0 offset:296
	;; [unrolled: 1-line block ×5, first 2 shown]
	ds_read_b128 v[163:166], v24 offset:800
	s_and_b32 vcc_lo, exec_lo, s59
	s_waitcnt vmcnt(62) lgkmcnt(2)
	v_mul_f64 v[167:168], v[6:7], v[20:21]
	v_mul_f64 v[20:21], v[4:5], v[20:21]
	s_waitcnt vmcnt(60) lgkmcnt(1)
	v_mul_f64 v[174:175], v[2:3], v[16:17]
	v_mul_f64 v[16:17], v[0:1], v[16:17]
	;; [unrolled: 3-line block ×3, first 2 shown]
	v_fma_f64 v[167:168], v[4:5], v[18:19], -v[167:168]
	v_fma_f64 v[18:19], v[6:7], v[18:19], v[20:21]
	s_clause 0x2
	buffer_load_dword v172, off, s[0:3], 0 offset:300
	buffer_load_dword v21, off, s[0:3], 0 offset:276
	;; [unrolled: 1-line block ×3, first 2 shown]
	s_waitcnt vmcnt(57)
	v_fma_f64 v[178:179], v[0:1], v[12:13], -v[174:175]
	ds_read_b128 v[4:7], v24 offset:816
	v_fma_f64 v[12:13], v[2:3], v[12:13], v[16:17]
	s_waitcnt vmcnt(51)
	v_fma_f64 v[163:164], v[163:164], v[47:48], -v[14:15]
	v_fma_f64 v[47:48], v[165:166], v[47:48], v[176:177]
	v_add_f64 v[167:168], v[167:168], 0
	v_add_f64 v[16:17], v[18:19], 0
	s_clause 0x4
	buffer_load_dword v19, off, s[0:3], 0 offset:316
	buffer_load_dword v175, off, s[0:3], 0 offset:328
	;; [unrolled: 1-line block ×5, first 2 shown]
	s_waitcnt lgkmcnt(0)
	v_mul_f64 v[181:182], v[4:5], v[31:32]
	v_mul_f64 v[31:32], v[6:7], v[31:32]
	ds_read_b128 v[0:3], v24 offset:832
	s_clause 0x2
	buffer_load_dword v176, off, s[0:3], 0 offset:332
	buffer_load_dword v166, off, s[0:3], 0 offset:308
	;; [unrolled: 1-line block ×3, first 2 shown]
	v_add_f64 v[167:168], v[167:168], v[178:179]
	v_add_f64 v[16:17], v[16:17], v[12:13]
	ds_read_b128 v[12:15], v24 offset:848
	s_waitcnt vmcnt(58) lgkmcnt(1)
	v_mul_f64 v[177:178], v[0:1], v[35:36]
	v_mul_f64 v[35:36], v[2:3], v[35:36]
	s_waitcnt vmcnt(56)
	v_fma_f64 v[31:32], v[4:5], v[37:38], -v[31:32]
	v_fma_f64 v[37:38], v[6:7], v[37:38], v[181:182]
	s_waitcnt vmcnt(52) lgkmcnt(0)
	v_mul_f64 v[183:184], v[12:13], v[39:40]
	v_add_f64 v[163:164], v[167:168], v[163:164]
	v_add_f64 v[16:17], v[16:17], v[47:48]
	s_clause 0x4
	buffer_load_dword v48, off, s[0:3], 0 offset:348
	buffer_load_dword v167, off, s[0:3], 0 offset:360
	;; [unrolled: 1-line block ×5, first 2 shown]
	v_mul_f64 v[39:40], v[14:15], v[39:40]
	s_waitcnt vmcnt(56)
	v_fma_f64 v[35:36], v[0:1], v[22:23], -v[35:36]
	ds_read_b128 v[4:7], v24 offset:864
	v_fma_f64 v[22:23], v[2:3], v[22:23], v[177:178]
	v_add_f64 v[31:32], v[163:164], v[31:32]
	v_add_f64 v[16:17], v[16:17], v[37:38]
	s_clause 0x2
	buffer_load_dword v168, off, s[0:3], 0 offset:364
	buffer_load_dword v38, off, s[0:3], 0 offset:340
	;; [unrolled: 1-line block ×3, first 2 shown]
	s_waitcnt vmcnt(58) lgkmcnt(0)
	v_mul_f64 v[163:164], v[4:5], v[49:50]
	v_mul_f64 v[49:50], v[6:7], v[49:50]
	s_waitcnt vmcnt(56)
	v_fma_f64 v[39:40], v[12:13], v[51:52], -v[39:40]
	ds_read_b128 v[0:3], v24 offset:880
	v_add_f64 v[31:32], v[31:32], v[35:36]
	v_fma_f64 v[35:36], v[14:15], v[51:52], v[183:184]
	v_add_f64 v[16:17], v[16:17], v[22:23]
	s_clause 0x4
	buffer_load_dword v23, off, s[0:3], 0 offset:380
	buffer_load_dword v51, off, s[0:3], 0 offset:392
	;; [unrolled: 1-line block ×5, first 2 shown]
	s_waitcnt vmcnt(57) lgkmcnt(0)
	v_mul_f64 v[178:179], v[0:1], v[57:58]
	v_mul_f64 v[57:58], v[2:3], v[57:58]
	s_waitcnt vmcnt(56)
	v_fma_f64 v[49:50], v[4:5], v[33:34], -v[49:50]
	ds_read_b128 v[12:15], v24 offset:896
	v_fma_f64 v[33:34], v[6:7], v[33:34], v[163:164]
	v_add_f64 v[31:32], v[31:32], v[39:40]
	v_add_f64 v[16:17], v[16:17], v[35:36]
	s_clause 0x2
	buffer_load_dword v52, off, s[0:3], 0 offset:396
	buffer_load_dword v36, off, s[0:3], 0 offset:372
	buffer_load_dword v35, off, s[0:3], 0 offset:368
	ds_read_b128 v[4:7], v24 offset:912
	s_waitcnt vmcnt(58) lgkmcnt(1)
	v_mul_f64 v[39:40], v[12:13], v[61:62]
	v_mul_f64 v[61:62], v[14:15], v[61:62]
	s_waitcnt vmcnt(56)
	v_fma_f64 v[57:58], v[0:1], v[63:64], -v[57:58]
	v_add_f64 v[31:32], v[31:32], v[49:50]
	v_fma_f64 v[49:50], v[2:3], v[63:64], v[178:179]
	v_add_f64 v[16:17], v[16:17], v[33:34]
	s_clause 0x4
	buffer_load_dword v34, off, s[0:3], 0 offset:412
	buffer_load_dword v63, off, s[0:3], 0 offset:424
	;; [unrolled: 1-line block ×5, first 2 shown]
	s_waitcnt vmcnt(57) lgkmcnt(0)
	v_mul_f64 v[184:185], v[4:5], v[65:66]
	v_mul_f64 v[65:66], v[6:7], v[65:66]
	s_waitcnt vmcnt(56)
	v_fma_f64 v[61:62], v[12:13], v[45:46], -v[61:62]
	ds_read_b128 v[0:3], v24 offset:928
	v_fma_f64 v[39:40], v[14:15], v[45:46], v[39:40]
	s_clause 0x2
	buffer_load_dword v64, off, s[0:3], 0 offset:428
	buffer_load_dword v46, off, s[0:3], 0 offset:404
	;; [unrolled: 1-line block ×3, first 2 shown]
	ds_read_b128 v[12:15], v24 offset:944
	v_add_f64 v[31:32], v[31:32], v[57:58]
	v_add_f64 v[16:17], v[16:17], v[49:50]
	s_waitcnt vmcnt(58) lgkmcnt(1)
	v_mul_f64 v[57:58], v[2:3], v[73:74]
	s_waitcnt vmcnt(56)
	v_fma_f64 v[65:66], v[4:5], v[75:76], -v[65:66]
	v_mul_f64 v[49:50], v[0:1], v[73:74]
	v_add_f64 v[31:32], v[31:32], v[61:62]
	v_fma_f64 v[61:62], v[6:7], v[75:76], v[184:185]
	v_add_f64 v[16:17], v[16:17], v[39:40]
	s_clause 0x4
	buffer_load_dword v40, off, s[0:3], 0 offset:444
	buffer_load_dword v73, off, s[0:3], 0 offset:456
	;; [unrolled: 1-line block ×5, first 2 shown]
	s_waitcnt vmcnt(57) lgkmcnt(0)
	v_mul_f64 v[184:185], v[12:13], v[77:78]
	v_mul_f64 v[76:77], v[14:15], v[77:78]
	s_waitcnt vmcnt(56)
	v_fma_f64 v[57:58], v[0:1], v[59:60], -v[57:58]
	ds_read_b128 v[4:7], v24 offset:960
	v_fma_f64 v[49:50], v[2:3], v[59:60], v[49:50]
	s_clause 0x2
	buffer_load_dword v74, off, s[0:3], 0 offset:460
	buffer_load_dword v60, off, s[0:3], 0 offset:436
	;; [unrolled: 1-line block ×3, first 2 shown]
	ds_read_b128 v[0:3], v24 offset:976
	v_add_f64 v[31:32], v[31:32], v[65:66]
	v_add_f64 v[16:17], v[16:17], v[61:62]
	s_waitcnt vmcnt(58) lgkmcnt(1)
	v_mul_f64 v[65:66], v[6:7], v[153:154]
	s_waitcnt vmcnt(56)
	v_fma_f64 v[77:78], v[12:13], v[155:156], -v[76:77]
	v_mul_f64 v[61:62], v[4:5], v[153:154]
	v_add_f64 v[31:32], v[31:32], v[57:58]
	v_fma_f64 v[57:58], v[14:15], v[155:156], v[184:185]
	v_add_f64 v[16:17], v[16:17], v[49:50]
	s_clause 0x4
	buffer_load_dword v50, off, s[0:3], 0 offset:476
	buffer_load_dword v153, off, s[0:3], 0 offset:488
	;; [unrolled: 1-line block ×5, first 2 shown]
	s_waitcnt vmcnt(57) lgkmcnt(0)
	v_mul_f64 v[184:185], v[0:1], v[157:158]
	v_mul_f64 v[156:157], v[2:3], v[157:158]
	s_waitcnt vmcnt(56)
	v_fma_f64 v[65:66], v[4:5], v[67:68], -v[65:66]
	ds_read_b128 v[12:15], v24 offset:992
	v_fma_f64 v[61:62], v[6:7], v[67:68], v[61:62]
	v_add_f64 v[31:32], v[31:32], v[77:78]
	v_add_f64 v[16:17], v[16:17], v[57:58]
	s_clause 0x2
	buffer_load_dword v154, off, s[0:3], 0 offset:492
	buffer_load_dword v58, off, s[0:3], 0 offset:468
	;; [unrolled: 1-line block ×3, first 2 shown]
	ds_read_b128 v[4:7], v24 offset:1008
	s_waitcnt vmcnt(58) lgkmcnt(1)
	v_mul_f64 v[77:78], v[14:15], v[159:160]
	s_waitcnt vmcnt(56)
	v_fma_f64 v[157:158], v[0:1], v[161:162], -v[156:157]
	v_mul_f64 v[67:68], v[12:13], v[159:160]
	v_add_f64 v[31:32], v[31:32], v[65:66]
	v_fma_f64 v[65:66], v[2:3], v[161:162], v[184:185]
	v_add_f64 v[16:17], v[16:17], v[61:62]
	s_clause 0x4
	buffer_load_dword v62, off, s[0:3], 0 offset:508
	buffer_load_dword v159, off, s[0:3], 0 offset:520
	;; [unrolled: 1-line block ×5, first 2 shown]
	s_waitcnt vmcnt(57) lgkmcnt(0)
	v_mul_f64 v[184:185], v[4:5], v[169:170]
	v_mul_f64 v[169:170], v[6:7], v[169:170]
	s_waitcnt vmcnt(56)
	v_fma_f64 v[77:78], v[12:13], v[79:80], -v[77:78]
	ds_read_b128 v[0:3], v24 offset:1024
	v_fma_f64 v[67:68], v[14:15], v[79:80], v[67:68]
	v_add_f64 v[31:32], v[31:32], v[157:158]
	v_add_f64 v[16:17], v[16:17], v[65:66]
	s_clause 0x2
	buffer_load_dword v160, off, s[0:3], 0 offset:524
	buffer_load_dword v66, off, s[0:3], 0 offset:500
	;; [unrolled: 1-line block ×3, first 2 shown]
	ds_read_b128 v[12:15], v24 offset:1040
	s_waitcnt vmcnt(58) lgkmcnt(1)
	v_mul_f64 v[157:158], v[2:3], v[171:172]
	v_mul_f64 v[79:80], v[0:1], v[171:172]
	s_waitcnt vmcnt(56)
	v_fma_f64 v[169:170], v[4:5], v[20:21], -v[169:170]
	v_fma_f64 v[20:21], v[6:7], v[20:21], v[184:185]
	v_add_f64 v[31:32], v[31:32], v[77:78]
	v_add_f64 v[16:17], v[16:17], v[67:68]
	s_clause 0x4
	buffer_load_dword v68, off, s[0:3], 0 offset:540
	buffer_load_dword v77, off, s[0:3], 0 offset:552
	;; [unrolled: 1-line block ×5, first 2 shown]
	ds_read_b128 v[4:7], v24 offset:1056
	s_waitcnt vmcnt(57) lgkmcnt(1)
	v_mul_f64 v[184:185], v[12:13], v[18:19]
	v_mul_f64 v[18:19], v[14:15], v[18:19]
	s_waitcnt vmcnt(56)
	v_fma_f64 v[157:158], v[0:1], v[173:174], -v[157:158]
	v_fma_f64 v[79:80], v[2:3], v[173:174], v[79:80]
	v_add_f64 v[31:32], v[31:32], v[169:170]
	v_add_f64 v[16:17], v[16:17], v[20:21]
	s_clause 0x2
	buffer_load_dword v78, off, s[0:3], 0 offset:556
	buffer_load_dword v21, off, s[0:3], 0 offset:532
	;; [unrolled: 1-line block ×3, first 2 shown]
	s_waitcnt vmcnt(58) lgkmcnt(0)
	v_mul_f64 v[173:174], v[6:7], v[175:176]
	ds_read_b128 v[0:3], v24 offset:1072
	v_mul_f64 v[169:170], v[4:5], v[175:176]
	s_waitcnt vmcnt(56)
	v_fma_f64 v[18:19], v[12:13], v[165:166], -v[18:19]
	v_add_f64 v[31:32], v[31:32], v[157:158]
	v_fma_f64 v[157:158], v[14:15], v[165:166], v[184:185]
	v_add_f64 v[16:17], v[16:17], v[79:80]
	s_clause 0x4
	buffer_load_dword v80, off, s[0:3], 0 offset:572
	buffer_load_dword v165, off, s[0:3], 0 offset:584
	;; [unrolled: 1-line block ×5, first 2 shown]
	ds_read_b128 v[12:15], v24 offset:1088
	s_waitcnt vmcnt(57) lgkmcnt(1)
	v_mul_f64 v[184:185], v[0:1], v[47:48]
	v_mul_f64 v[47:48], v[2:3], v[47:48]
	s_waitcnt vmcnt(56)
	v_fma_f64 v[173:174], v[4:5], v[180:181], -v[173:174]
	v_add_f64 v[18:19], v[31:32], v[18:19]
	v_fma_f64 v[31:32], v[6:7], v[180:181], v[169:170]
	v_add_f64 v[16:17], v[16:17], v[157:158]
	s_clause 0x2
	buffer_load_dword v166, off, s[0:3], 0 offset:588
	buffer_load_dword v158, off, s[0:3], 0 offset:564
	buffer_load_dword v157, off, s[0:3], 0 offset:560
	ds_read_b128 v[4:7], v24 offset:1104
	s_waitcnt vmcnt(58) lgkmcnt(1)
	v_mul_f64 v[169:170], v[12:13], v[167:168]
	v_mul_f64 v[167:168], v[14:15], v[167:168]
	s_waitcnt vmcnt(56)
	v_fma_f64 v[47:48], v[0:1], v[37:38], -v[47:48]
	v_fma_f64 v[37:38], v[2:3], v[37:38], v[184:185]
	v_add_f64 v[18:19], v[18:19], v[173:174]
	v_add_f64 v[16:17], v[16:17], v[31:32]
	s_clause 0x4
	buffer_load_dword v32, off, s[0:3], 0 offset:604
	buffer_load_dword v173, off, s[0:3], 0 offset:616
	;; [unrolled: 1-line block ×5, first 2 shown]
	ds_read_b128 v[0:3], v24 offset:1120
	s_waitcnt vmcnt(57) lgkmcnt(1)
	v_mul_f64 v[180:181], v[4:5], v[22:23]
	v_mul_f64 v[22:23], v[6:7], v[22:23]
	s_waitcnt vmcnt(56)
	v_fma_f64 v[167:168], v[12:13], v[182:183], -v[167:168]
	v_add_f64 v[18:19], v[18:19], v[47:48]
	v_fma_f64 v[47:48], v[14:15], v[182:183], v[169:170]
	v_add_f64 v[16:17], v[16:17], v[37:38]
	s_clause 0x2
	buffer_load_dword v174, off, s[0:3], 0 offset:620
	buffer_load_dword v38, off, s[0:3], 0 offset:596
	;; [unrolled: 1-line block ×3, first 2 shown]
	ds_read_b128 v[12:15], v24 offset:1136
	s_waitcnt vmcnt(58) lgkmcnt(1)
	v_mul_f64 v[169:170], v[0:1], v[51:52]
	v_mul_f64 v[51:52], v[2:3], v[51:52]
	s_waitcnt vmcnt(56)
	v_fma_f64 v[22:23], v[4:5], v[35:36], -v[22:23]
	v_fma_f64 v[35:36], v[6:7], v[35:36], v[180:181]
	v_add_f64 v[18:19], v[18:19], v[167:168]
	v_add_f64 v[16:17], v[16:17], v[47:48]
	s_clause 0x4
	buffer_load_dword v48, off, s[0:3], 0 offset:636
	buffer_load_dword v167, off, s[0:3], 0 offset:648
	;; [unrolled: 1-line block ×5, first 2 shown]
	ds_read_b128 v[4:7], v24 offset:1152
	s_waitcnt vmcnt(57) lgkmcnt(1)
	v_mul_f64 v[182:183], v[12:13], v[33:34]
	v_mul_f64 v[33:34], v[14:15], v[33:34]
	s_waitcnt vmcnt(56)
	v_fma_f64 v[51:52], v[0:1], v[177:178], -v[51:52]
	v_add_f64 v[18:19], v[18:19], v[22:23]
	v_fma_f64 v[22:23], v[2:3], v[177:178], v[169:170]
	v_add_f64 v[16:17], v[16:17], v[35:36]
	s_clause 0x2
	buffer_load_dword v168, off, s[0:3], 0 offset:652
	buffer_load_dword v36, off, s[0:3], 0 offset:628
	;; [unrolled: 1-line block ×3, first 2 shown]
	s_waitcnt vmcnt(58) lgkmcnt(0)
	v_mul_f64 v[169:170], v[4:5], v[63:64]
	v_mul_f64 v[63:64], v[6:7], v[63:64]
	ds_read_b128 v[0:3], v24 offset:1168
	s_waitcnt vmcnt(56)
	v_fma_f64 v[33:34], v[12:13], v[45:46], -v[33:34]
	v_fma_f64 v[45:46], v[14:15], v[45:46], v[182:183]
	v_add_f64 v[18:19], v[18:19], v[51:52]
	v_add_f64 v[16:17], v[16:17], v[22:23]
	s_clause 0x4
	buffer_load_dword v23, off, s[0:3], 0 offset:668
	buffer_load_dword v51, off, s[0:3], 0 offset:680
	;; [unrolled: 1-line block ×5, first 2 shown]
	ds_read_b128 v[12:15], v24 offset:1184
	s_waitcnt vmcnt(57) lgkmcnt(1)
	v_mul_f64 v[183:184], v[0:1], v[39:40]
	v_mul_f64 v[39:40], v[2:3], v[39:40]
	s_waitcnt vmcnt(56)
	v_fma_f64 v[63:64], v[4:5], v[163:164], -v[63:64]
	v_add_f64 v[18:19], v[18:19], v[33:34]
	v_fma_f64 v[33:34], v[6:7], v[163:164], v[169:170]
	v_add_f64 v[16:17], v[16:17], v[45:46]
	s_clause 0x2
	buffer_load_dword v52, off, s[0:3], 0 offset:684
	buffer_load_dword v46, off, s[0:3], 0 offset:660
	buffer_load_dword v45, off, s[0:3], 0 offset:656
	s_waitcnt vmcnt(58) lgkmcnt(0)
	v_mul_f64 v[163:164], v[12:13], v[73:74]
	v_mul_f64 v[73:74], v[14:15], v[73:74]
	ds_read_b128 v[4:7], v24 offset:1200
	s_waitcnt vmcnt(56)
	v_fma_f64 v[39:40], v[0:1], v[59:60], -v[39:40]
	v_fma_f64 v[59:60], v[2:3], v[59:60], v[183:184]
	v_add_f64 v[18:19], v[18:19], v[63:64]
	v_add_f64 v[16:17], v[16:17], v[33:34]
	s_clause 0x4
	buffer_load_dword v34, off, s[0:3], 0 offset:700
	buffer_load_dword v63, off, s[0:3], 0 offset:712
	;; [unrolled: 1-line block ×5, first 2 shown]
	ds_read_b128 v[0:3], v24 offset:1216
	s_waitcnt vmcnt(57) lgkmcnt(1)
	v_mul_f64 v[183:184], v[4:5], v[49:50]
	v_mul_f64 v[49:50], v[6:7], v[49:50]
	s_waitcnt vmcnt(56)
	v_fma_f64 v[73:74], v[12:13], v[75:76], -v[73:74]
	v_add_f64 v[18:19], v[18:19], v[39:40]
	v_fma_f64 v[39:40], v[14:15], v[75:76], v[163:164]
	v_add_f64 v[16:17], v[16:17], v[59:60]
	s_clause 0x2
	buffer_load_dword v64, off, s[0:3], 0 offset:716
	buffer_load_dword v60, off, s[0:3], 0 offset:692
	;; [unrolled: 1-line block ×3, first 2 shown]
	ds_read_b128 v[12:15], v24 offset:1232
	s_waitcnt vmcnt(58) lgkmcnt(1)
	v_mul_f64 v[75:76], v[0:1], v[153:154]
	v_mul_f64 v[153:154], v[2:3], v[153:154]
	s_waitcnt vmcnt(56)
	v_fma_f64 v[49:50], v[4:5], v[57:58], -v[49:50]
	v_fma_f64 v[57:58], v[6:7], v[57:58], v[183:184]
	v_add_f64 v[18:19], v[18:19], v[73:74]
	v_add_f64 v[16:17], v[16:17], v[39:40]
	s_clause 0x4
	buffer_load_dword v40, off, s[0:3], 0 offset:732
	buffer_load_dword v73, off, s[0:3], 0 offset:744
	;; [unrolled: 1-line block ×5, first 2 shown]
	ds_read_b128 v[4:7], v24 offset:1248
	s_waitcnt vmcnt(57) lgkmcnt(1)
	v_mul_f64 v[183:184], v[12:13], v[61:62]
	v_mul_f64 v[61:62], v[14:15], v[61:62]
	s_waitcnt vmcnt(56)
	v_fma_f64 v[153:154], v[0:1], v[155:156], -v[153:154]
	v_add_f64 v[18:19], v[18:19], v[49:50]
	v_fma_f64 v[49:50], v[2:3], v[155:156], v[75:76]
	v_add_f64 v[16:17], v[16:17], v[57:58]
	s_clause 0x2
	buffer_load_dword v74, off, s[0:3], 0 offset:748
	buffer_load_dword v58, off, s[0:3], 0 offset:724
	;; [unrolled: 1-line block ×3, first 2 shown]
	ds_read_b128 v[0:3], v24 offset:1264
	s_waitcnt vmcnt(58) lgkmcnt(1)
	v_mul_f64 v[155:156], v[6:7], v[159:160]
	v_mul_f64 v[75:76], v[4:5], v[159:160]
	s_waitcnt vmcnt(56)
	v_fma_f64 v[61:62], v[12:13], v[65:66], -v[61:62]
	v_fma_f64 v[65:66], v[14:15], v[65:66], v[183:184]
	v_add_f64 v[18:19], v[18:19], v[153:154]
	v_add_f64 v[16:17], v[16:17], v[49:50]
	s_clause 0x2
	buffer_load_dword v50, off, s[0:3], 0 offset:764
	buffer_load_dword v49, off, s[0:3], 0 offset:760
	;; [unrolled: 1-line block ×3, first 2 shown]
	ds_read_b128 v[12:15], v24 offset:1280
	s_waitcnt vmcnt(55) lgkmcnt(1)
	v_mul_f64 v[153:154], v[0:1], v[67:68]
	v_mul_f64 v[67:68], v[2:3], v[67:68]
	s_waitcnt vmcnt(54)
	v_fma_f64 v[155:156], v[4:5], v[161:162], -v[155:156]
	v_add_f64 v[18:19], v[18:19], v[61:62]
	v_fma_f64 v[61:62], v[6:7], v[161:162], v[75:76]
	v_add_f64 v[16:17], v[16:17], v[65:66]
	s_clause 0x1
	buffer_load_dword v66, off, s[0:3], 0 offset:756
	buffer_load_dword v65, off, s[0:3], 0 offset:752
	ds_read_b128 v[4:7], v24 offset:1296
	s_waitcnt vmcnt(55) lgkmcnt(1)
	v_mul_f64 v[75:76], v[12:13], v[77:78]
	v_mul_f64 v[77:78], v[14:15], v[77:78]
	s_waitcnt vmcnt(53)
	v_fma_f64 v[67:68], v[0:1], v[20:21], -v[67:68]
	v_fma_f64 v[20:21], v[2:3], v[20:21], v[153:154]
	ds_read_b128 v[0:3], v24 offset:1312
	v_add_f64 v[18:19], v[18:19], v[155:156]
	v_add_f64 v[16:17], v[16:17], v[61:62]
	s_waitcnt vmcnt(49) lgkmcnt(1)
	v_mul_f64 v[61:62], v[4:5], v[79:80]
	v_mul_f64 v[79:80], v[6:7], v[79:80]
	s_waitcnt vmcnt(48)
	v_fma_f64 v[77:78], v[12:13], v[171:172], -v[77:78]
	v_add_f64 v[18:19], v[18:19], v[67:68]
	v_fma_f64 v[67:68], v[14:15], v[171:172], v[75:76]
	v_add_f64 v[16:17], v[16:17], v[20:21]
	s_clause 0x3
	buffer_load_dword v20, off, s[0:3], 0 offset:16
	buffer_load_dword v21, off, s[0:3], 0 offset:20
	;; [unrolled: 1-line block ×4, first 2 shown]
	ds_read_b128 v[12:15], v24 offset:1328
	s_waitcnt vmcnt(51) lgkmcnt(1)
	v_mul_f64 v[155:156], v[2:3], v[165:166]
	v_mul_f64 v[153:154], v[0:1], v[165:166]
	s_waitcnt vmcnt(49)
	v_fma_f64 v[79:80], v[4:5], v[157:158], -v[79:80]
	v_fma_f64 v[61:62], v[6:7], v[157:158], v[61:62]
	ds_read_b128 v[4:7], v24 offset:1344
	v_add_f64 v[18:19], v[18:19], v[77:78]
	v_add_f64 v[16:17], v[16:17], v[67:68]
	s_waitcnt vmcnt(45) lgkmcnt(1)
	v_mul_f64 v[67:68], v[12:13], v[31:32]
	v_mul_f64 v[31:32], v[14:15], v[31:32]
	s_waitcnt vmcnt(44)
	v_fma_f64 v[77:78], v[0:1], v[175:176], -v[155:156]
	v_add_f64 v[18:19], v[18:19], v[79:80]
	v_fma_f64 v[79:80], v[2:3], v[175:176], v[153:154]
	v_add_f64 v[16:17], v[16:17], v[61:62]
	ds_read_b128 v[0:3], v24 offset:1360
	s_waitcnt vmcnt(43) lgkmcnt(1)
	v_mul_f64 v[153:154], v[6:7], v[173:174]
	v_mul_f64 v[61:62], v[4:5], v[173:174]
	s_waitcnt vmcnt(41)
	v_fma_f64 v[31:32], v[12:13], v[37:38], -v[31:32]
	v_fma_f64 v[37:38], v[14:15], v[37:38], v[67:68]
	ds_read_b128 v[12:15], v24 offset:1376
	v_add_f64 v[18:19], v[18:19], v[77:78]
	v_add_f64 v[16:17], v[16:17], v[79:80]
	s_waitcnt vmcnt(37) lgkmcnt(1)
	v_mul_f64 v[67:68], v[0:1], v[47:48]
	v_mul_f64 v[47:48], v[2:3], v[47:48]
	s_waitcnt vmcnt(36)
	v_fma_f64 v[77:78], v[4:5], v[179:180], -v[153:154]
	v_add_f64 v[18:19], v[18:19], v[31:32]
	v_fma_f64 v[31:32], v[6:7], v[179:180], v[61:62]
	v_add_f64 v[16:17], v[16:17], v[37:38]
	ds_read_b128 v[4:7], v24 offset:1392
	s_waitcnt vmcnt(35) lgkmcnt(1)
	v_mul_f64 v[61:62], v[14:15], v[167:168]
	v_mul_f64 v[37:38], v[12:13], v[167:168]
	s_waitcnt vmcnt(33)
	v_fma_f64 v[47:48], v[0:1], v[35:36], -v[47:48]
	v_fma_f64 v[35:36], v[2:3], v[35:36], v[67:68]
	ds_read_b128 v[0:3], v24 offset:1408
	v_add_f64 v[18:19], v[18:19], v[77:78]
	v_add_f64 v[16:17], v[16:17], v[31:32]
	s_waitcnt vmcnt(29) lgkmcnt(1)
	v_mul_f64 v[31:32], v[4:5], v[22:23]
	v_mul_f64 v[22:23], v[6:7], v[22:23]
	s_waitcnt vmcnt(28)
	v_fma_f64 v[61:62], v[12:13], v[181:182], -v[61:62]
	v_fma_f64 v[37:38], v[14:15], v[181:182], v[37:38]
	ds_read_b128 v[12:15], v24 offset:1424
	v_add_f64 v[18:19], v[18:19], v[47:48]
	v_add_f64 v[16:17], v[16:17], v[35:36]
	;; [unrolled: 9-line block ×3, first 2 shown]
	s_waitcnt vmcnt(21) lgkmcnt(1)
	v_mul_f64 v[37:38], v[12:13], v[33:34]
	v_mul_f64 v[33:34], v[14:15], v[33:34]
	s_waitcnt vmcnt(20)
	v_fma_f64 v[45:46], v[0:1], v[177:178], -v[47:48]
	v_add_f64 v[18:19], v[18:19], v[22:23]
	v_fma_f64 v[22:23], v[2:3], v[177:178], v[35:36]
	v_add_f64 v[16:17], v[16:17], v[31:32]
	ds_read_b128 v[0:3], v24 offset:1456
	s_waitcnt vmcnt(19) lgkmcnt(1)
	v_mul_f64 v[35:36], v[6:7], v[63:64]
	v_mul_f64 v[31:32], v[4:5], v[63:64]
	s_waitcnt vmcnt(17)
	v_fma_f64 v[33:34], v[12:13], v[59:60], -v[33:34]
	v_fma_f64 v[37:38], v[14:15], v[59:60], v[37:38]
	ds_read_b128 v[12:15], v24 offset:1472
	v_add_f64 v[18:19], v[18:19], v[45:46]
	v_add_f64 v[16:17], v[16:17], v[22:23]
	s_waitcnt vmcnt(13) lgkmcnt(1)
	v_mul_f64 v[22:23], v[0:1], v[39:40]
	v_mul_f64 v[39:40], v[2:3], v[39:40]
	s_waitcnt vmcnt(12)
	v_fma_f64 v[35:36], v[4:5], v[169:170], -v[35:36]
	v_fma_f64 v[31:32], v[6:7], v[169:170], v[31:32]
	ds_read_b128 v[4:7], v24 offset:1488
	v_add_f64 v[18:19], v[18:19], v[33:34]
	v_add_f64 v[16:17], v[16:17], v[37:38]
	s_waitcnt vmcnt(11) lgkmcnt(1)
	v_mul_f64 v[37:38], v[14:15], v[73:74]
	v_mul_f64 v[33:34], v[12:13], v[73:74]
	s_waitcnt vmcnt(9)
	v_fma_f64 v[0:1], v[0:1], v[57:58], -v[39:40]
	v_fma_f64 v[2:3], v[2:3], v[57:58], v[22:23]
	v_add_f64 v[18:19], v[18:19], v[35:36]
	v_add_f64 v[16:17], v[16:17], v[31:32]
	s_waitcnt vmcnt(7) lgkmcnt(0)
	v_mul_f64 v[31:32], v[6:7], v[49:50]
	s_waitcnt vmcnt(6)
	v_fma_f64 v[12:13], v[12:13], v[163:164], -v[37:38]
	v_mul_f64 v[22:23], v[4:5], v[49:50]
	v_fma_f64 v[14:15], v[14:15], v[163:164], v[33:34]
	v_add_f64 v[0:1], v[18:19], v[0:1]
	v_add_f64 v[2:3], v[16:17], v[2:3]
	s_waitcnt vmcnt(4)
	v_fma_f64 v[4:5], v[4:5], v[65:66], -v[31:32]
	v_fma_f64 v[6:7], v[6:7], v[65:66], v[22:23]
	v_add_f64 v[0:1], v[0:1], v[12:13]
	v_add_f64 v[2:3], v[2:3], v[14:15]
	v_add_f64 v[0:1], v[0:1], v[4:5]
	v_add_f64 v[2:3], v[2:3], v[6:7]
	s_waitcnt vmcnt(2)
	v_add_f64 v[0:1], v[20:21], -v[0:1]
	s_waitcnt vmcnt(0)
	v_add_f64 v[2:3], v[75:76], -v[2:3]
	buffer_store_dword v1, off, s[0:3], 0 offset:20
	buffer_store_dword v0, off, s[0:3], 0 offset:16
	;; [unrolled: 1-line block ×4, first 2 shown]
	s_cbranch_vccz .LBB46_388
; %bb.296:
	v_mov_b32_e32 v0, 0
	global_load_dword v1, v0, s[20:21] offset:180
	s_waitcnt vmcnt(0)
	v_add_nc_u32_e32 v1, -1, v1
	v_cmp_ne_u32_e32 vcc_lo, 45, v1
	s_cbranch_vccz .LBB46_298
; %bb.297:
	v_lshlrev_b32_e32 v1, 4, v1
	v_mov_b32_e32 v2, s9
	v_add_nc_u32_e32 v1, 16, v1
	s_clause 0x7
	buffer_load_dword v3, v1, s[0:3], 0 offen
	buffer_load_dword v4, v1, s[0:3], 0 offen offset:4
	buffer_load_dword v5, v1, s[0:3], 0 offen offset:8
	;; [unrolled: 1-line block ×6, first 2 shown]
	buffer_load_dword v14, v2, s[0:3], 0 offen
	s_waitcnt vmcnt(7)
	buffer_store_dword v3, v2, s[0:3], 0 offen
	s_waitcnt vmcnt(6)
	buffer_store_dword v4, v2, s[0:3], 0 offen offset:4
	s_waitcnt vmcnt(5)
	buffer_store_dword v5, v2, s[0:3], 0 offen offset:8
	;; [unrolled: 2-line block ×6, first 2 shown]
	s_waitcnt vmcnt(0)
	buffer_store_dword v14, v1, s[0:3], 0 offen
.LBB46_298:
	global_load_dword v0, v0, s[20:21] offset:176
	s_waitcnt vmcnt(0)
	v_add_nc_u32_e32 v0, -1, v0
	v_cmp_eq_u32_e32 vcc_lo, 44, v0
	s_cbranch_vccnz .LBB46_300
; %bb.299:
	v_lshlrev_b32_e32 v0, 4, v0
	v_mov_b32_e32 v1, s12
	v_add_nc_u32_e32 v0, 16, v0
	s_clause 0x7
	buffer_load_dword v2, v0, s[0:3], 0 offen
	buffer_load_dword v3, v0, s[0:3], 0 offen offset:4
	buffer_load_dword v4, v0, s[0:3], 0 offen offset:8
	;; [unrolled: 1-line block ×6, first 2 shown]
	buffer_load_dword v13, v1, s[0:3], 0 offen
	s_waitcnt vmcnt(7)
	buffer_store_dword v2, v1, s[0:3], 0 offen
	s_waitcnt vmcnt(6)
	buffer_store_dword v3, v1, s[0:3], 0 offen offset:4
	s_waitcnt vmcnt(5)
	buffer_store_dword v4, v1, s[0:3], 0 offen offset:8
	;; [unrolled: 2-line block ×6, first 2 shown]
	s_waitcnt vmcnt(0)
	buffer_store_dword v13, v0, s[0:3], 0 offen
.LBB46_300:
	v_mov_b32_e32 v0, 0
	global_load_dword v1, v0, s[20:21] offset:172
	s_waitcnt vmcnt(0)
	v_add_nc_u32_e32 v1, -1, v1
	v_cmp_eq_u32_e32 vcc_lo, 43, v1
	s_cbranch_vccnz .LBB46_302
; %bb.301:
	v_lshlrev_b32_e32 v1, 4, v1
	v_mov_b32_e32 v2, s13
	v_add_nc_u32_e32 v1, 16, v1
	s_clause 0x7
	buffer_load_dword v3, v1, s[0:3], 0 offen
	buffer_load_dword v4, v1, s[0:3], 0 offen offset:4
	buffer_load_dword v5, v1, s[0:3], 0 offen offset:8
	;; [unrolled: 1-line block ×6, first 2 shown]
	buffer_load_dword v14, v2, s[0:3], 0 offen
	s_waitcnt vmcnt(7)
	buffer_store_dword v3, v2, s[0:3], 0 offen
	s_waitcnt vmcnt(6)
	buffer_store_dword v4, v2, s[0:3], 0 offen offset:4
	s_waitcnt vmcnt(5)
	buffer_store_dword v5, v2, s[0:3], 0 offen offset:8
	;; [unrolled: 2-line block ×6, first 2 shown]
	s_waitcnt vmcnt(0)
	buffer_store_dword v14, v1, s[0:3], 0 offen
.LBB46_302:
	global_load_dword v0, v0, s[20:21] offset:168
	s_waitcnt vmcnt(0)
	v_add_nc_u32_e32 v0, -1, v0
	v_cmp_eq_u32_e32 vcc_lo, 42, v0
	s_cbranch_vccnz .LBB46_304
; %bb.303:
	v_lshlrev_b32_e32 v0, 4, v0
	v_mov_b32_e32 v1, s14
	v_add_nc_u32_e32 v0, 16, v0
	s_clause 0x7
	buffer_load_dword v2, v0, s[0:3], 0 offen
	buffer_load_dword v3, v0, s[0:3], 0 offen offset:4
	buffer_load_dword v4, v0, s[0:3], 0 offen offset:8
	;; [unrolled: 1-line block ×6, first 2 shown]
	buffer_load_dword v13, v1, s[0:3], 0 offen
	s_waitcnt vmcnt(7)
	buffer_store_dword v2, v1, s[0:3], 0 offen
	s_waitcnt vmcnt(6)
	buffer_store_dword v3, v1, s[0:3], 0 offen offset:4
	s_waitcnt vmcnt(5)
	buffer_store_dword v4, v1, s[0:3], 0 offen offset:8
	;; [unrolled: 2-line block ×6, first 2 shown]
	s_waitcnt vmcnt(0)
	buffer_store_dword v13, v0, s[0:3], 0 offen
.LBB46_304:
	v_mov_b32_e32 v0, 0
	global_load_dword v1, v0, s[20:21] offset:164
	s_waitcnt vmcnt(0)
	v_add_nc_u32_e32 v1, -1, v1
	v_cmp_eq_u32_e32 vcc_lo, 41, v1
	s_cbranch_vccnz .LBB46_306
; %bb.305:
	v_lshlrev_b32_e32 v1, 4, v1
	v_mov_b32_e32 v2, s15
	v_add_nc_u32_e32 v1, 16, v1
	s_clause 0x7
	buffer_load_dword v3, v1, s[0:3], 0 offen
	buffer_load_dword v4, v1, s[0:3], 0 offen offset:4
	buffer_load_dword v5, v1, s[0:3], 0 offen offset:8
	;; [unrolled: 1-line block ×6, first 2 shown]
	buffer_load_dword v14, v2, s[0:3], 0 offen
	s_waitcnt vmcnt(7)
	buffer_store_dword v3, v2, s[0:3], 0 offen
	s_waitcnt vmcnt(6)
	buffer_store_dword v4, v2, s[0:3], 0 offen offset:4
	s_waitcnt vmcnt(5)
	buffer_store_dword v5, v2, s[0:3], 0 offen offset:8
	;; [unrolled: 2-line block ×6, first 2 shown]
	s_waitcnt vmcnt(0)
	buffer_store_dword v14, v1, s[0:3], 0 offen
.LBB46_306:
	global_load_dword v0, v0, s[20:21] offset:160
	s_waitcnt vmcnt(0)
	v_add_nc_u32_e32 v0, -1, v0
	v_cmp_eq_u32_e32 vcc_lo, 40, v0
	s_cbranch_vccnz .LBB46_308
; %bb.307:
	v_lshlrev_b32_e32 v0, 4, v0
	v_mov_b32_e32 v1, s16
	v_add_nc_u32_e32 v0, 16, v0
	s_clause 0x7
	buffer_load_dword v2, v0, s[0:3], 0 offen
	buffer_load_dword v3, v0, s[0:3], 0 offen offset:4
	buffer_load_dword v4, v0, s[0:3], 0 offen offset:8
	;; [unrolled: 1-line block ×6, first 2 shown]
	buffer_load_dword v13, v1, s[0:3], 0 offen
	s_waitcnt vmcnt(7)
	buffer_store_dword v2, v1, s[0:3], 0 offen
	s_waitcnt vmcnt(6)
	buffer_store_dword v3, v1, s[0:3], 0 offen offset:4
	s_waitcnt vmcnt(5)
	buffer_store_dword v4, v1, s[0:3], 0 offen offset:8
	;; [unrolled: 2-line block ×6, first 2 shown]
	s_waitcnt vmcnt(0)
	buffer_store_dword v13, v0, s[0:3], 0 offen
.LBB46_308:
	v_mov_b32_e32 v0, 0
	global_load_dword v1, v0, s[20:21] offset:156
	s_waitcnt vmcnt(0)
	v_add_nc_u32_e32 v1, -1, v1
	v_cmp_eq_u32_e32 vcc_lo, 39, v1
	s_cbranch_vccnz .LBB46_310
; %bb.309:
	v_lshlrev_b32_e32 v1, 4, v1
	v_mov_b32_e32 v2, s17
	v_add_nc_u32_e32 v1, 16, v1
	s_clause 0x7
	buffer_load_dword v3, v1, s[0:3], 0 offen
	buffer_load_dword v4, v1, s[0:3], 0 offen offset:4
	buffer_load_dword v5, v1, s[0:3], 0 offen offset:8
	;; [unrolled: 1-line block ×6, first 2 shown]
	buffer_load_dword v14, v2, s[0:3], 0 offen
	s_waitcnt vmcnt(7)
	buffer_store_dword v3, v2, s[0:3], 0 offen
	s_waitcnt vmcnt(6)
	buffer_store_dword v4, v2, s[0:3], 0 offen offset:4
	s_waitcnt vmcnt(5)
	buffer_store_dword v5, v2, s[0:3], 0 offen offset:8
	;; [unrolled: 2-line block ×6, first 2 shown]
	s_waitcnt vmcnt(0)
	buffer_store_dword v14, v1, s[0:3], 0 offen
.LBB46_310:
	global_load_dword v0, v0, s[20:21] offset:152
	s_waitcnt vmcnt(0)
	v_add_nc_u32_e32 v0, -1, v0
	v_cmp_eq_u32_e32 vcc_lo, 38, v0
	s_cbranch_vccnz .LBB46_312
; %bb.311:
	v_lshlrev_b32_e32 v0, 4, v0
	v_mov_b32_e32 v1, s18
	v_add_nc_u32_e32 v0, 16, v0
	s_clause 0x7
	buffer_load_dword v2, v0, s[0:3], 0 offen
	buffer_load_dword v3, v0, s[0:3], 0 offen offset:4
	buffer_load_dword v4, v0, s[0:3], 0 offen offset:8
	;; [unrolled: 1-line block ×6, first 2 shown]
	buffer_load_dword v13, v1, s[0:3], 0 offen
	s_waitcnt vmcnt(7)
	buffer_store_dword v2, v1, s[0:3], 0 offen
	s_waitcnt vmcnt(6)
	buffer_store_dword v3, v1, s[0:3], 0 offen offset:4
	s_waitcnt vmcnt(5)
	buffer_store_dword v4, v1, s[0:3], 0 offen offset:8
	;; [unrolled: 2-line block ×6, first 2 shown]
	s_waitcnt vmcnt(0)
	buffer_store_dword v13, v0, s[0:3], 0 offen
.LBB46_312:
	v_mov_b32_e32 v0, 0
	global_load_dword v1, v0, s[20:21] offset:148
	s_waitcnt vmcnt(0)
	v_add_nc_u32_e32 v1, -1, v1
	v_cmp_eq_u32_e32 vcc_lo, 37, v1
	s_cbranch_vccnz .LBB46_314
; %bb.313:
	v_lshlrev_b32_e32 v1, 4, v1
	v_mov_b32_e32 v2, s19
	v_add_nc_u32_e32 v1, 16, v1
	s_clause 0x7
	buffer_load_dword v3, v1, s[0:3], 0 offen
	buffer_load_dword v4, v1, s[0:3], 0 offen offset:4
	buffer_load_dword v5, v1, s[0:3], 0 offen offset:8
	buffer_load_dword v6, v1, s[0:3], 0 offen offset:12
	buffer_load_dword v7, v2, s[0:3], 0 offen offset:12
	buffer_load_dword v12, v2, s[0:3], 0 offen offset:8
	buffer_load_dword v13, v2, s[0:3], 0 offen offset:4
	buffer_load_dword v14, v2, s[0:3], 0 offen
	s_waitcnt vmcnt(7)
	buffer_store_dword v3, v2, s[0:3], 0 offen
	s_waitcnt vmcnt(6)
	buffer_store_dword v4, v2, s[0:3], 0 offen offset:4
	s_waitcnt vmcnt(5)
	buffer_store_dword v5, v2, s[0:3], 0 offen offset:8
	;; [unrolled: 2-line block ×6, first 2 shown]
	s_waitcnt vmcnt(0)
	buffer_store_dword v14, v1, s[0:3], 0 offen
.LBB46_314:
	global_load_dword v0, v0, s[20:21] offset:144
	s_waitcnt vmcnt(0)
	v_add_nc_u32_e32 v0, -1, v0
	v_cmp_eq_u32_e32 vcc_lo, 36, v0
	s_cbranch_vccnz .LBB46_316
; %bb.315:
	v_lshlrev_b32_e32 v0, 4, v0
	v_mov_b32_e32 v1, s22
	v_add_nc_u32_e32 v0, 16, v0
	s_clause 0x7
	buffer_load_dword v2, v0, s[0:3], 0 offen
	buffer_load_dword v3, v0, s[0:3], 0 offen offset:4
	buffer_load_dword v4, v0, s[0:3], 0 offen offset:8
	;; [unrolled: 1-line block ×6, first 2 shown]
	buffer_load_dword v13, v1, s[0:3], 0 offen
	s_waitcnt vmcnt(7)
	buffer_store_dword v2, v1, s[0:3], 0 offen
	s_waitcnt vmcnt(6)
	buffer_store_dword v3, v1, s[0:3], 0 offen offset:4
	s_waitcnt vmcnt(5)
	buffer_store_dword v4, v1, s[0:3], 0 offen offset:8
	;; [unrolled: 2-line block ×6, first 2 shown]
	s_waitcnt vmcnt(0)
	buffer_store_dword v13, v0, s[0:3], 0 offen
.LBB46_316:
	v_mov_b32_e32 v0, 0
	global_load_dword v1, v0, s[20:21] offset:140
	s_waitcnt vmcnt(0)
	v_add_nc_u32_e32 v1, -1, v1
	v_cmp_eq_u32_e32 vcc_lo, 35, v1
	s_cbranch_vccnz .LBB46_318
; %bb.317:
	v_lshlrev_b32_e32 v1, 4, v1
	v_mov_b32_e32 v2, s23
	v_add_nc_u32_e32 v1, 16, v1
	s_clause 0x7
	buffer_load_dword v3, v1, s[0:3], 0 offen
	buffer_load_dword v4, v1, s[0:3], 0 offen offset:4
	buffer_load_dword v5, v1, s[0:3], 0 offen offset:8
	;; [unrolled: 1-line block ×6, first 2 shown]
	buffer_load_dword v14, v2, s[0:3], 0 offen
	s_waitcnt vmcnt(7)
	buffer_store_dword v3, v2, s[0:3], 0 offen
	s_waitcnt vmcnt(6)
	buffer_store_dword v4, v2, s[0:3], 0 offen offset:4
	s_waitcnt vmcnt(5)
	buffer_store_dword v5, v2, s[0:3], 0 offen offset:8
	;; [unrolled: 2-line block ×6, first 2 shown]
	s_waitcnt vmcnt(0)
	buffer_store_dword v14, v1, s[0:3], 0 offen
.LBB46_318:
	global_load_dword v0, v0, s[20:21] offset:136
	s_waitcnt vmcnt(0)
	v_add_nc_u32_e32 v0, -1, v0
	v_cmp_eq_u32_e32 vcc_lo, 34, v0
	s_cbranch_vccnz .LBB46_320
; %bb.319:
	v_lshlrev_b32_e32 v0, 4, v0
	v_mov_b32_e32 v1, s24
	v_add_nc_u32_e32 v0, 16, v0
	s_clause 0x7
	buffer_load_dword v2, v0, s[0:3], 0 offen
	buffer_load_dword v3, v0, s[0:3], 0 offen offset:4
	buffer_load_dword v4, v0, s[0:3], 0 offen offset:8
	;; [unrolled: 1-line block ×6, first 2 shown]
	buffer_load_dword v13, v1, s[0:3], 0 offen
	s_waitcnt vmcnt(7)
	buffer_store_dword v2, v1, s[0:3], 0 offen
	s_waitcnt vmcnt(6)
	buffer_store_dword v3, v1, s[0:3], 0 offen offset:4
	s_waitcnt vmcnt(5)
	buffer_store_dword v4, v1, s[0:3], 0 offen offset:8
	s_waitcnt vmcnt(4)
	buffer_store_dword v5, v1, s[0:3], 0 offen offset:12
	s_waitcnt vmcnt(3)
	buffer_store_dword v6, v0, s[0:3], 0 offen offset:12
	s_waitcnt vmcnt(2)
	buffer_store_dword v7, v0, s[0:3], 0 offen offset:8
	s_waitcnt vmcnt(1)
	buffer_store_dword v12, v0, s[0:3], 0 offen offset:4
	s_waitcnt vmcnt(0)
	buffer_store_dword v13, v0, s[0:3], 0 offen
.LBB46_320:
	v_mov_b32_e32 v0, 0
	global_load_dword v1, v0, s[20:21] offset:132
	s_waitcnt vmcnt(0)
	v_add_nc_u32_e32 v1, -1, v1
	v_cmp_eq_u32_e32 vcc_lo, 33, v1
	s_cbranch_vccnz .LBB46_322
; %bb.321:
	v_lshlrev_b32_e32 v1, 4, v1
	v_mov_b32_e32 v2, s25
	v_add_nc_u32_e32 v1, 16, v1
	s_clause 0x7
	buffer_load_dword v3, v1, s[0:3], 0 offen
	buffer_load_dword v4, v1, s[0:3], 0 offen offset:4
	buffer_load_dword v5, v1, s[0:3], 0 offen offset:8
	;; [unrolled: 1-line block ×6, first 2 shown]
	buffer_load_dword v14, v2, s[0:3], 0 offen
	s_waitcnt vmcnt(7)
	buffer_store_dword v3, v2, s[0:3], 0 offen
	s_waitcnt vmcnt(6)
	buffer_store_dword v4, v2, s[0:3], 0 offen offset:4
	s_waitcnt vmcnt(5)
	buffer_store_dword v5, v2, s[0:3], 0 offen offset:8
	s_waitcnt vmcnt(4)
	buffer_store_dword v6, v2, s[0:3], 0 offen offset:12
	s_waitcnt vmcnt(3)
	buffer_store_dword v7, v1, s[0:3], 0 offen offset:12
	s_waitcnt vmcnt(2)
	buffer_store_dword v12, v1, s[0:3], 0 offen offset:8
	s_waitcnt vmcnt(1)
	buffer_store_dword v13, v1, s[0:3], 0 offen offset:4
	s_waitcnt vmcnt(0)
	buffer_store_dword v14, v1, s[0:3], 0 offen
.LBB46_322:
	global_load_dword v0, v0, s[20:21] offset:128
	s_waitcnt vmcnt(0)
	v_add_nc_u32_e32 v0, -1, v0
	v_cmp_eq_u32_e32 vcc_lo, 32, v0
	s_cbranch_vccnz .LBB46_324
; %bb.323:
	v_lshlrev_b32_e32 v0, 4, v0
	v_mov_b32_e32 v1, s26
	v_add_nc_u32_e32 v0, 16, v0
	s_clause 0x7
	buffer_load_dword v2, v0, s[0:3], 0 offen
	buffer_load_dword v3, v0, s[0:3], 0 offen offset:4
	buffer_load_dword v4, v0, s[0:3], 0 offen offset:8
	;; [unrolled: 1-line block ×6, first 2 shown]
	buffer_load_dword v13, v1, s[0:3], 0 offen
	s_waitcnt vmcnt(7)
	buffer_store_dword v2, v1, s[0:3], 0 offen
	s_waitcnt vmcnt(6)
	buffer_store_dword v3, v1, s[0:3], 0 offen offset:4
	s_waitcnt vmcnt(5)
	buffer_store_dword v4, v1, s[0:3], 0 offen offset:8
	;; [unrolled: 2-line block ×6, first 2 shown]
	s_waitcnt vmcnt(0)
	buffer_store_dword v13, v0, s[0:3], 0 offen
.LBB46_324:
	v_mov_b32_e32 v0, 0
	global_load_dword v1, v0, s[20:21] offset:124
	s_waitcnt vmcnt(0)
	v_add_nc_u32_e32 v1, -1, v1
	v_cmp_eq_u32_e32 vcc_lo, 31, v1
	s_cbranch_vccnz .LBB46_326
; %bb.325:
	v_lshlrev_b32_e32 v1, 4, v1
	v_mov_b32_e32 v2, s27
	v_add_nc_u32_e32 v1, 16, v1
	s_clause 0x7
	buffer_load_dword v3, v1, s[0:3], 0 offen
	buffer_load_dword v4, v1, s[0:3], 0 offen offset:4
	buffer_load_dword v5, v1, s[0:3], 0 offen offset:8
	;; [unrolled: 1-line block ×6, first 2 shown]
	buffer_load_dword v14, v2, s[0:3], 0 offen
	s_waitcnt vmcnt(7)
	buffer_store_dword v3, v2, s[0:3], 0 offen
	s_waitcnt vmcnt(6)
	buffer_store_dword v4, v2, s[0:3], 0 offen offset:4
	s_waitcnt vmcnt(5)
	buffer_store_dword v5, v2, s[0:3], 0 offen offset:8
	s_waitcnt vmcnt(4)
	buffer_store_dword v6, v2, s[0:3], 0 offen offset:12
	s_waitcnt vmcnt(3)
	buffer_store_dword v7, v1, s[0:3], 0 offen offset:12
	s_waitcnt vmcnt(2)
	buffer_store_dword v12, v1, s[0:3], 0 offen offset:8
	s_waitcnt vmcnt(1)
	buffer_store_dword v13, v1, s[0:3], 0 offen offset:4
	s_waitcnt vmcnt(0)
	buffer_store_dword v14, v1, s[0:3], 0 offen
.LBB46_326:
	global_load_dword v0, v0, s[20:21] offset:120
	s_waitcnt vmcnt(0)
	v_add_nc_u32_e32 v0, -1, v0
	v_cmp_eq_u32_e32 vcc_lo, 30, v0
	s_cbranch_vccnz .LBB46_328
; %bb.327:
	v_lshlrev_b32_e32 v0, 4, v0
	v_mov_b32_e32 v1, s28
	v_add_nc_u32_e32 v0, 16, v0
	s_clause 0x7
	buffer_load_dword v2, v0, s[0:3], 0 offen
	buffer_load_dword v3, v0, s[0:3], 0 offen offset:4
	buffer_load_dword v4, v0, s[0:3], 0 offen offset:8
	;; [unrolled: 1-line block ×6, first 2 shown]
	buffer_load_dword v13, v1, s[0:3], 0 offen
	s_waitcnt vmcnt(7)
	buffer_store_dword v2, v1, s[0:3], 0 offen
	s_waitcnt vmcnt(6)
	buffer_store_dword v3, v1, s[0:3], 0 offen offset:4
	s_waitcnt vmcnt(5)
	buffer_store_dword v4, v1, s[0:3], 0 offen offset:8
	;; [unrolled: 2-line block ×6, first 2 shown]
	s_waitcnt vmcnt(0)
	buffer_store_dword v13, v0, s[0:3], 0 offen
.LBB46_328:
	v_mov_b32_e32 v0, 0
	global_load_dword v1, v0, s[20:21] offset:116
	s_waitcnt vmcnt(0)
	v_add_nc_u32_e32 v1, -1, v1
	v_cmp_eq_u32_e32 vcc_lo, 29, v1
	s_cbranch_vccnz .LBB46_330
; %bb.329:
	v_lshlrev_b32_e32 v1, 4, v1
	v_mov_b32_e32 v2, s29
	v_add_nc_u32_e32 v1, 16, v1
	s_clause 0x7
	buffer_load_dword v3, v1, s[0:3], 0 offen
	buffer_load_dword v4, v1, s[0:3], 0 offen offset:4
	buffer_load_dword v5, v1, s[0:3], 0 offen offset:8
	;; [unrolled: 1-line block ×6, first 2 shown]
	buffer_load_dword v14, v2, s[0:3], 0 offen
	s_waitcnt vmcnt(7)
	buffer_store_dword v3, v2, s[0:3], 0 offen
	s_waitcnt vmcnt(6)
	buffer_store_dword v4, v2, s[0:3], 0 offen offset:4
	s_waitcnt vmcnt(5)
	buffer_store_dword v5, v2, s[0:3], 0 offen offset:8
	;; [unrolled: 2-line block ×6, first 2 shown]
	s_waitcnt vmcnt(0)
	buffer_store_dword v14, v1, s[0:3], 0 offen
.LBB46_330:
	global_load_dword v0, v0, s[20:21] offset:112
	s_waitcnt vmcnt(0)
	v_add_nc_u32_e32 v0, -1, v0
	v_cmp_eq_u32_e32 vcc_lo, 28, v0
	s_cbranch_vccnz .LBB46_332
; %bb.331:
	v_lshlrev_b32_e32 v0, 4, v0
	v_mov_b32_e32 v1, s30
	v_add_nc_u32_e32 v0, 16, v0
	s_clause 0x7
	buffer_load_dword v2, v0, s[0:3], 0 offen
	buffer_load_dword v3, v0, s[0:3], 0 offen offset:4
	buffer_load_dword v4, v0, s[0:3], 0 offen offset:8
	;; [unrolled: 1-line block ×6, first 2 shown]
	buffer_load_dword v13, v1, s[0:3], 0 offen
	s_waitcnt vmcnt(7)
	buffer_store_dword v2, v1, s[0:3], 0 offen
	s_waitcnt vmcnt(6)
	buffer_store_dword v3, v1, s[0:3], 0 offen offset:4
	s_waitcnt vmcnt(5)
	buffer_store_dword v4, v1, s[0:3], 0 offen offset:8
	s_waitcnt vmcnt(4)
	buffer_store_dword v5, v1, s[0:3], 0 offen offset:12
	s_waitcnt vmcnt(3)
	buffer_store_dword v6, v0, s[0:3], 0 offen offset:12
	s_waitcnt vmcnt(2)
	buffer_store_dword v7, v0, s[0:3], 0 offen offset:8
	s_waitcnt vmcnt(1)
	buffer_store_dword v12, v0, s[0:3], 0 offen offset:4
	s_waitcnt vmcnt(0)
	buffer_store_dword v13, v0, s[0:3], 0 offen
.LBB46_332:
	v_mov_b32_e32 v0, 0
	global_load_dword v1, v0, s[20:21] offset:108
	s_waitcnt vmcnt(0)
	v_add_nc_u32_e32 v1, -1, v1
	v_cmp_eq_u32_e32 vcc_lo, 27, v1
	s_cbranch_vccnz .LBB46_334
; %bb.333:
	v_lshlrev_b32_e32 v1, 4, v1
	v_mov_b32_e32 v2, s31
	v_add_nc_u32_e32 v1, 16, v1
	s_clause 0x7
	buffer_load_dword v3, v1, s[0:3], 0 offen
	buffer_load_dword v4, v1, s[0:3], 0 offen offset:4
	buffer_load_dword v5, v1, s[0:3], 0 offen offset:8
	;; [unrolled: 1-line block ×6, first 2 shown]
	buffer_load_dword v14, v2, s[0:3], 0 offen
	s_waitcnt vmcnt(7)
	buffer_store_dword v3, v2, s[0:3], 0 offen
	s_waitcnt vmcnt(6)
	buffer_store_dword v4, v2, s[0:3], 0 offen offset:4
	s_waitcnt vmcnt(5)
	buffer_store_dword v5, v2, s[0:3], 0 offen offset:8
	;; [unrolled: 2-line block ×6, first 2 shown]
	s_waitcnt vmcnt(0)
	buffer_store_dword v14, v1, s[0:3], 0 offen
.LBB46_334:
	global_load_dword v0, v0, s[20:21] offset:104
	s_waitcnt vmcnt(0)
	v_add_nc_u32_e32 v0, -1, v0
	v_cmp_eq_u32_e32 vcc_lo, 26, v0
	s_cbranch_vccnz .LBB46_336
; %bb.335:
	v_lshlrev_b32_e32 v0, 4, v0
	v_mov_b32_e32 v1, s33
	v_add_nc_u32_e32 v0, 16, v0
	s_clause 0x7
	buffer_load_dword v2, v0, s[0:3], 0 offen
	buffer_load_dword v3, v0, s[0:3], 0 offen offset:4
	buffer_load_dword v4, v0, s[0:3], 0 offen offset:8
	;; [unrolled: 1-line block ×6, first 2 shown]
	buffer_load_dword v13, v1, s[0:3], 0 offen
	s_waitcnt vmcnt(7)
	buffer_store_dword v2, v1, s[0:3], 0 offen
	s_waitcnt vmcnt(6)
	buffer_store_dword v3, v1, s[0:3], 0 offen offset:4
	s_waitcnt vmcnt(5)
	buffer_store_dword v4, v1, s[0:3], 0 offen offset:8
	;; [unrolled: 2-line block ×6, first 2 shown]
	s_waitcnt vmcnt(0)
	buffer_store_dword v13, v0, s[0:3], 0 offen
.LBB46_336:
	v_mov_b32_e32 v0, 0
	global_load_dword v1, v0, s[20:21] offset:100
	s_waitcnt vmcnt(0)
	v_add_nc_u32_e32 v1, -1, v1
	v_cmp_eq_u32_e32 vcc_lo, 25, v1
	s_cbranch_vccnz .LBB46_338
; %bb.337:
	v_lshlrev_b32_e32 v1, 4, v1
	v_mov_b32_e32 v2, s34
	v_add_nc_u32_e32 v1, 16, v1
	s_clause 0x7
	buffer_load_dword v3, v1, s[0:3], 0 offen
	buffer_load_dword v4, v1, s[0:3], 0 offen offset:4
	buffer_load_dword v5, v1, s[0:3], 0 offen offset:8
	buffer_load_dword v6, v1, s[0:3], 0 offen offset:12
	buffer_load_dword v7, v2, s[0:3], 0 offen offset:12
	buffer_load_dword v12, v2, s[0:3], 0 offen offset:8
	buffer_load_dword v13, v2, s[0:3], 0 offen offset:4
	buffer_load_dword v14, v2, s[0:3], 0 offen
	s_waitcnt vmcnt(7)
	buffer_store_dword v3, v2, s[0:3], 0 offen
	s_waitcnt vmcnt(6)
	buffer_store_dword v4, v2, s[0:3], 0 offen offset:4
	s_waitcnt vmcnt(5)
	buffer_store_dword v5, v2, s[0:3], 0 offen offset:8
	;; [unrolled: 2-line block ×6, first 2 shown]
	s_waitcnt vmcnt(0)
	buffer_store_dword v14, v1, s[0:3], 0 offen
.LBB46_338:
	global_load_dword v0, v0, s[20:21] offset:96
	s_waitcnt vmcnt(0)
	v_add_nc_u32_e32 v0, -1, v0
	v_cmp_eq_u32_e32 vcc_lo, 24, v0
	s_cbranch_vccnz .LBB46_340
; %bb.339:
	v_lshlrev_b32_e32 v0, 4, v0
	v_mov_b32_e32 v1, s35
	v_add_nc_u32_e32 v0, 16, v0
	s_clause 0x7
	buffer_load_dword v2, v0, s[0:3], 0 offen
	buffer_load_dword v3, v0, s[0:3], 0 offen offset:4
	buffer_load_dword v4, v0, s[0:3], 0 offen offset:8
	;; [unrolled: 1-line block ×6, first 2 shown]
	buffer_load_dword v13, v1, s[0:3], 0 offen
	s_waitcnt vmcnt(7)
	buffer_store_dword v2, v1, s[0:3], 0 offen
	s_waitcnt vmcnt(6)
	buffer_store_dword v3, v1, s[0:3], 0 offen offset:4
	s_waitcnt vmcnt(5)
	buffer_store_dword v4, v1, s[0:3], 0 offen offset:8
	s_waitcnt vmcnt(4)
	buffer_store_dword v5, v1, s[0:3], 0 offen offset:12
	s_waitcnt vmcnt(3)
	buffer_store_dword v6, v0, s[0:3], 0 offen offset:12
	s_waitcnt vmcnt(2)
	buffer_store_dword v7, v0, s[0:3], 0 offen offset:8
	s_waitcnt vmcnt(1)
	buffer_store_dword v12, v0, s[0:3], 0 offen offset:4
	s_waitcnt vmcnt(0)
	buffer_store_dword v13, v0, s[0:3], 0 offen
.LBB46_340:
	v_mov_b32_e32 v0, 0
	global_load_dword v1, v0, s[20:21] offset:92
	s_waitcnt vmcnt(0)
	v_add_nc_u32_e32 v1, -1, v1
	v_cmp_eq_u32_e32 vcc_lo, 23, v1
	s_cbranch_vccnz .LBB46_342
; %bb.341:
	v_lshlrev_b32_e32 v1, 4, v1
	v_mov_b32_e32 v2, s36
	v_add_nc_u32_e32 v1, 16, v1
	s_clause 0x7
	buffer_load_dword v3, v1, s[0:3], 0 offen
	buffer_load_dword v4, v1, s[0:3], 0 offen offset:4
	buffer_load_dword v5, v1, s[0:3], 0 offen offset:8
	;; [unrolled: 1-line block ×6, first 2 shown]
	buffer_load_dword v14, v2, s[0:3], 0 offen
	s_waitcnt vmcnt(7)
	buffer_store_dword v3, v2, s[0:3], 0 offen
	s_waitcnt vmcnt(6)
	buffer_store_dword v4, v2, s[0:3], 0 offen offset:4
	s_waitcnt vmcnt(5)
	buffer_store_dword v5, v2, s[0:3], 0 offen offset:8
	;; [unrolled: 2-line block ×6, first 2 shown]
	s_waitcnt vmcnt(0)
	buffer_store_dword v14, v1, s[0:3], 0 offen
.LBB46_342:
	global_load_dword v0, v0, s[20:21] offset:88
	s_waitcnt vmcnt(0)
	v_add_nc_u32_e32 v0, -1, v0
	v_cmp_eq_u32_e32 vcc_lo, 22, v0
	s_cbranch_vccnz .LBB46_344
; %bb.343:
	v_lshlrev_b32_e32 v0, 4, v0
	v_mov_b32_e32 v1, s37
	v_add_nc_u32_e32 v0, 16, v0
	s_clause 0x7
	buffer_load_dword v2, v0, s[0:3], 0 offen
	buffer_load_dword v3, v0, s[0:3], 0 offen offset:4
	buffer_load_dword v4, v0, s[0:3], 0 offen offset:8
	;; [unrolled: 1-line block ×6, first 2 shown]
	buffer_load_dword v13, v1, s[0:3], 0 offen
	s_waitcnt vmcnt(7)
	buffer_store_dword v2, v1, s[0:3], 0 offen
	s_waitcnt vmcnt(6)
	buffer_store_dword v3, v1, s[0:3], 0 offen offset:4
	s_waitcnt vmcnt(5)
	buffer_store_dword v4, v1, s[0:3], 0 offen offset:8
	;; [unrolled: 2-line block ×6, first 2 shown]
	s_waitcnt vmcnt(0)
	buffer_store_dword v13, v0, s[0:3], 0 offen
.LBB46_344:
	v_mov_b32_e32 v0, 0
	global_load_dword v1, v0, s[20:21] offset:84
	s_waitcnt vmcnt(0)
	v_add_nc_u32_e32 v1, -1, v1
	v_cmp_eq_u32_e32 vcc_lo, 21, v1
	s_cbranch_vccnz .LBB46_346
; %bb.345:
	v_lshlrev_b32_e32 v1, 4, v1
	v_mov_b32_e32 v2, s38
	v_add_nc_u32_e32 v1, 16, v1
	s_clause 0x7
	buffer_load_dword v3, v1, s[0:3], 0 offen
	buffer_load_dword v4, v1, s[0:3], 0 offen offset:4
	buffer_load_dword v5, v1, s[0:3], 0 offen offset:8
	;; [unrolled: 1-line block ×6, first 2 shown]
	buffer_load_dword v14, v2, s[0:3], 0 offen
	s_waitcnt vmcnt(7)
	buffer_store_dword v3, v2, s[0:3], 0 offen
	s_waitcnt vmcnt(6)
	buffer_store_dword v4, v2, s[0:3], 0 offen offset:4
	s_waitcnt vmcnt(5)
	buffer_store_dword v5, v2, s[0:3], 0 offen offset:8
	;; [unrolled: 2-line block ×6, first 2 shown]
	s_waitcnt vmcnt(0)
	buffer_store_dword v14, v1, s[0:3], 0 offen
.LBB46_346:
	global_load_dword v0, v0, s[20:21] offset:80
	s_waitcnt vmcnt(0)
	v_add_nc_u32_e32 v0, -1, v0
	v_cmp_eq_u32_e32 vcc_lo, 20, v0
	s_cbranch_vccnz .LBB46_348
; %bb.347:
	v_lshlrev_b32_e32 v0, 4, v0
	v_mov_b32_e32 v1, s39
	v_add_nc_u32_e32 v0, 16, v0
	s_clause 0x7
	buffer_load_dword v2, v0, s[0:3], 0 offen
	buffer_load_dword v3, v0, s[0:3], 0 offen offset:4
	buffer_load_dword v4, v0, s[0:3], 0 offen offset:8
	;; [unrolled: 1-line block ×6, first 2 shown]
	buffer_load_dword v13, v1, s[0:3], 0 offen
	s_waitcnt vmcnt(7)
	buffer_store_dword v2, v1, s[0:3], 0 offen
	s_waitcnt vmcnt(6)
	buffer_store_dword v3, v1, s[0:3], 0 offen offset:4
	s_waitcnt vmcnt(5)
	buffer_store_dword v4, v1, s[0:3], 0 offen offset:8
	;; [unrolled: 2-line block ×6, first 2 shown]
	s_waitcnt vmcnt(0)
	buffer_store_dword v13, v0, s[0:3], 0 offen
.LBB46_348:
	v_mov_b32_e32 v0, 0
	global_load_dword v1, v0, s[20:21] offset:76
	s_waitcnt vmcnt(0)
	v_add_nc_u32_e32 v1, -1, v1
	v_cmp_eq_u32_e32 vcc_lo, 19, v1
	s_cbranch_vccnz .LBB46_350
; %bb.349:
	v_lshlrev_b32_e32 v1, 4, v1
	v_mov_b32_e32 v2, s40
	v_add_nc_u32_e32 v1, 16, v1
	s_clause 0x7
	buffer_load_dword v3, v1, s[0:3], 0 offen
	buffer_load_dword v4, v1, s[0:3], 0 offen offset:4
	buffer_load_dword v5, v1, s[0:3], 0 offen offset:8
	;; [unrolled: 1-line block ×6, first 2 shown]
	buffer_load_dword v14, v2, s[0:3], 0 offen
	s_waitcnt vmcnt(7)
	buffer_store_dword v3, v2, s[0:3], 0 offen
	s_waitcnt vmcnt(6)
	buffer_store_dword v4, v2, s[0:3], 0 offen offset:4
	s_waitcnt vmcnt(5)
	buffer_store_dword v5, v2, s[0:3], 0 offen offset:8
	;; [unrolled: 2-line block ×6, first 2 shown]
	s_waitcnt vmcnt(0)
	buffer_store_dword v14, v1, s[0:3], 0 offen
.LBB46_350:
	global_load_dword v0, v0, s[20:21] offset:72
	s_waitcnt vmcnt(0)
	v_add_nc_u32_e32 v0, -1, v0
	v_cmp_eq_u32_e32 vcc_lo, 18, v0
	s_cbranch_vccnz .LBB46_352
; %bb.351:
	v_lshlrev_b32_e32 v0, 4, v0
	v_mov_b32_e32 v1, s41
	v_add_nc_u32_e32 v0, 16, v0
	s_clause 0x7
	buffer_load_dword v2, v0, s[0:3], 0 offen
	buffer_load_dword v3, v0, s[0:3], 0 offen offset:4
	buffer_load_dword v4, v0, s[0:3], 0 offen offset:8
	;; [unrolled: 1-line block ×6, first 2 shown]
	buffer_load_dword v13, v1, s[0:3], 0 offen
	s_waitcnt vmcnt(7)
	buffer_store_dword v2, v1, s[0:3], 0 offen
	s_waitcnt vmcnt(6)
	buffer_store_dword v3, v1, s[0:3], 0 offen offset:4
	s_waitcnt vmcnt(5)
	buffer_store_dword v4, v1, s[0:3], 0 offen offset:8
	;; [unrolled: 2-line block ×6, first 2 shown]
	s_waitcnt vmcnt(0)
	buffer_store_dword v13, v0, s[0:3], 0 offen
.LBB46_352:
	v_mov_b32_e32 v0, 0
	global_load_dword v1, v0, s[20:21] offset:68
	s_waitcnt vmcnt(0)
	v_add_nc_u32_e32 v1, -1, v1
	v_cmp_eq_u32_e32 vcc_lo, 17, v1
	s_cbranch_vccnz .LBB46_354
; %bb.353:
	v_lshlrev_b32_e32 v1, 4, v1
	v_mov_b32_e32 v2, s42
	v_add_nc_u32_e32 v1, 16, v1
	s_clause 0x7
	buffer_load_dword v3, v1, s[0:3], 0 offen
	buffer_load_dword v4, v1, s[0:3], 0 offen offset:4
	buffer_load_dword v5, v1, s[0:3], 0 offen offset:8
	;; [unrolled: 1-line block ×6, first 2 shown]
	buffer_load_dword v14, v2, s[0:3], 0 offen
	s_waitcnt vmcnt(7)
	buffer_store_dword v3, v2, s[0:3], 0 offen
	s_waitcnt vmcnt(6)
	buffer_store_dword v4, v2, s[0:3], 0 offen offset:4
	s_waitcnt vmcnt(5)
	buffer_store_dword v5, v2, s[0:3], 0 offen offset:8
	s_waitcnt vmcnt(4)
	buffer_store_dword v6, v2, s[0:3], 0 offen offset:12
	s_waitcnt vmcnt(3)
	buffer_store_dword v7, v1, s[0:3], 0 offen offset:12
	s_waitcnt vmcnt(2)
	buffer_store_dword v12, v1, s[0:3], 0 offen offset:8
	s_waitcnt vmcnt(1)
	buffer_store_dword v13, v1, s[0:3], 0 offen offset:4
	s_waitcnt vmcnt(0)
	buffer_store_dword v14, v1, s[0:3], 0 offen
.LBB46_354:
	global_load_dword v0, v0, s[20:21] offset:64
	s_waitcnt vmcnt(0)
	v_add_nc_u32_e32 v0, -1, v0
	v_cmp_eq_u32_e32 vcc_lo, 16, v0
	s_cbranch_vccnz .LBB46_356
; %bb.355:
	v_lshlrev_b32_e32 v0, 4, v0
	v_mov_b32_e32 v1, s43
	v_add_nc_u32_e32 v0, 16, v0
	s_clause 0x7
	buffer_load_dword v2, v0, s[0:3], 0 offen
	buffer_load_dword v3, v0, s[0:3], 0 offen offset:4
	buffer_load_dword v4, v0, s[0:3], 0 offen offset:8
	buffer_load_dword v5, v0, s[0:3], 0 offen offset:12
	buffer_load_dword v6, v1, s[0:3], 0 offen offset:12
	buffer_load_dword v7, v1, s[0:3], 0 offen offset:8
	buffer_load_dword v12, v1, s[0:3], 0 offen offset:4
	buffer_load_dword v13, v1, s[0:3], 0 offen
	s_waitcnt vmcnt(7)
	buffer_store_dword v2, v1, s[0:3], 0 offen
	s_waitcnt vmcnt(6)
	buffer_store_dword v3, v1, s[0:3], 0 offen offset:4
	s_waitcnt vmcnt(5)
	buffer_store_dword v4, v1, s[0:3], 0 offen offset:8
	;; [unrolled: 2-line block ×6, first 2 shown]
	s_waitcnt vmcnt(0)
	buffer_store_dword v13, v0, s[0:3], 0 offen
.LBB46_356:
	v_mov_b32_e32 v0, 0
	global_load_dword v1, v0, s[20:21] offset:60
	s_waitcnt vmcnt(0)
	v_add_nc_u32_e32 v1, -1, v1
	v_cmp_eq_u32_e32 vcc_lo, 15, v1
	s_cbranch_vccnz .LBB46_358
; %bb.357:
	v_lshlrev_b32_e32 v1, 4, v1
	v_mov_b32_e32 v2, s45
	v_add_nc_u32_e32 v1, 16, v1
	s_clause 0x7
	buffer_load_dword v3, v1, s[0:3], 0 offen
	buffer_load_dword v4, v1, s[0:3], 0 offen offset:4
	buffer_load_dword v5, v1, s[0:3], 0 offen offset:8
	;; [unrolled: 1-line block ×6, first 2 shown]
	buffer_load_dword v14, v2, s[0:3], 0 offen
	s_waitcnt vmcnt(7)
	buffer_store_dword v3, v2, s[0:3], 0 offen
	s_waitcnt vmcnt(6)
	buffer_store_dword v4, v2, s[0:3], 0 offen offset:4
	s_waitcnt vmcnt(5)
	buffer_store_dword v5, v2, s[0:3], 0 offen offset:8
	s_waitcnt vmcnt(4)
	buffer_store_dword v6, v2, s[0:3], 0 offen offset:12
	s_waitcnt vmcnt(3)
	buffer_store_dword v7, v1, s[0:3], 0 offen offset:12
	s_waitcnt vmcnt(2)
	buffer_store_dword v12, v1, s[0:3], 0 offen offset:8
	s_waitcnt vmcnt(1)
	buffer_store_dword v13, v1, s[0:3], 0 offen offset:4
	s_waitcnt vmcnt(0)
	buffer_store_dword v14, v1, s[0:3], 0 offen
.LBB46_358:
	global_load_dword v0, v0, s[20:21] offset:56
	s_waitcnt vmcnt(0)
	v_add_nc_u32_e32 v0, -1, v0
	v_cmp_eq_u32_e32 vcc_lo, 14, v0
	s_cbranch_vccnz .LBB46_360
; %bb.359:
	v_lshlrev_b32_e32 v0, 4, v0
	v_mov_b32_e32 v1, s47
	v_add_nc_u32_e32 v0, 16, v0
	s_clause 0x7
	buffer_load_dword v2, v0, s[0:3], 0 offen
	buffer_load_dword v3, v0, s[0:3], 0 offen offset:4
	buffer_load_dword v4, v0, s[0:3], 0 offen offset:8
	;; [unrolled: 1-line block ×6, first 2 shown]
	buffer_load_dword v13, v1, s[0:3], 0 offen
	s_waitcnt vmcnt(7)
	buffer_store_dword v2, v1, s[0:3], 0 offen
	s_waitcnt vmcnt(6)
	buffer_store_dword v3, v1, s[0:3], 0 offen offset:4
	s_waitcnt vmcnt(5)
	buffer_store_dword v4, v1, s[0:3], 0 offen offset:8
	;; [unrolled: 2-line block ×6, first 2 shown]
	s_waitcnt vmcnt(0)
	buffer_store_dword v13, v0, s[0:3], 0 offen
.LBB46_360:
	v_mov_b32_e32 v0, 0
	global_load_dword v1, v0, s[20:21] offset:52
	s_waitcnt vmcnt(0)
	v_add_nc_u32_e32 v1, -1, v1
	v_cmp_eq_u32_e32 vcc_lo, 13, v1
	s_cbranch_vccnz .LBB46_362
; %bb.361:
	v_lshlrev_b32_e32 v1, 4, v1
	v_mov_b32_e32 v2, s49
	v_add_nc_u32_e32 v1, 16, v1
	s_clause 0x7
	buffer_load_dword v3, v1, s[0:3], 0 offen
	buffer_load_dword v4, v1, s[0:3], 0 offen offset:4
	buffer_load_dword v5, v1, s[0:3], 0 offen offset:8
	;; [unrolled: 1-line block ×6, first 2 shown]
	buffer_load_dword v14, v2, s[0:3], 0 offen
	s_waitcnt vmcnt(7)
	buffer_store_dword v3, v2, s[0:3], 0 offen
	s_waitcnt vmcnt(6)
	buffer_store_dword v4, v2, s[0:3], 0 offen offset:4
	s_waitcnt vmcnt(5)
	buffer_store_dword v5, v2, s[0:3], 0 offen offset:8
	;; [unrolled: 2-line block ×6, first 2 shown]
	s_waitcnt vmcnt(0)
	buffer_store_dword v14, v1, s[0:3], 0 offen
.LBB46_362:
	global_load_dword v0, v0, s[20:21] offset:48
	s_waitcnt vmcnt(0)
	v_add_nc_u32_e32 v0, -1, v0
	v_cmp_eq_u32_e32 vcc_lo, 12, v0
	s_cbranch_vccnz .LBB46_364
; %bb.363:
	v_lshlrev_b32_e32 v0, 4, v0
	v_mov_b32_e32 v1, s50
	v_add_nc_u32_e32 v0, 16, v0
	s_clause 0x7
	buffer_load_dword v2, v0, s[0:3], 0 offen
	buffer_load_dword v3, v0, s[0:3], 0 offen offset:4
	buffer_load_dword v4, v0, s[0:3], 0 offen offset:8
	;; [unrolled: 1-line block ×6, first 2 shown]
	buffer_load_dword v13, v1, s[0:3], 0 offen
	s_waitcnt vmcnt(7)
	buffer_store_dword v2, v1, s[0:3], 0 offen
	s_waitcnt vmcnt(6)
	buffer_store_dword v3, v1, s[0:3], 0 offen offset:4
	s_waitcnt vmcnt(5)
	buffer_store_dword v4, v1, s[0:3], 0 offen offset:8
	;; [unrolled: 2-line block ×6, first 2 shown]
	s_waitcnt vmcnt(0)
	buffer_store_dword v13, v0, s[0:3], 0 offen
.LBB46_364:
	v_mov_b32_e32 v0, 0
	global_load_dword v1, v0, s[20:21] offset:44
	s_waitcnt vmcnt(0)
	v_add_nc_u32_e32 v1, -1, v1
	v_cmp_eq_u32_e32 vcc_lo, 11, v1
	s_cbranch_vccnz .LBB46_366
; %bb.365:
	v_lshlrev_b32_e32 v1, 4, v1
	v_mov_b32_e32 v2, s52
	v_add_nc_u32_e32 v1, 16, v1
	s_clause 0x7
	buffer_load_dword v3, v1, s[0:3], 0 offen
	buffer_load_dword v4, v1, s[0:3], 0 offen offset:4
	buffer_load_dword v5, v1, s[0:3], 0 offen offset:8
	;; [unrolled: 1-line block ×6, first 2 shown]
	buffer_load_dword v14, v2, s[0:3], 0 offen
	s_waitcnt vmcnt(7)
	buffer_store_dword v3, v2, s[0:3], 0 offen
	s_waitcnt vmcnt(6)
	buffer_store_dword v4, v2, s[0:3], 0 offen offset:4
	s_waitcnt vmcnt(5)
	buffer_store_dword v5, v2, s[0:3], 0 offen offset:8
	;; [unrolled: 2-line block ×6, first 2 shown]
	s_waitcnt vmcnt(0)
	buffer_store_dword v14, v1, s[0:3], 0 offen
.LBB46_366:
	global_load_dword v0, v0, s[20:21] offset:40
	s_waitcnt vmcnt(0)
	v_add_nc_u32_e32 v0, -1, v0
	v_cmp_eq_u32_e32 vcc_lo, 10, v0
	s_cbranch_vccnz .LBB46_368
; %bb.367:
	v_lshlrev_b32_e32 v0, 4, v0
	v_mov_b32_e32 v1, s53
	v_add_nc_u32_e32 v0, 16, v0
	s_clause 0x7
	buffer_load_dword v2, v0, s[0:3], 0 offen
	buffer_load_dword v3, v0, s[0:3], 0 offen offset:4
	buffer_load_dword v4, v0, s[0:3], 0 offen offset:8
	;; [unrolled: 1-line block ×6, first 2 shown]
	buffer_load_dword v13, v1, s[0:3], 0 offen
	s_waitcnt vmcnt(7)
	buffer_store_dword v2, v1, s[0:3], 0 offen
	s_waitcnt vmcnt(6)
	buffer_store_dword v3, v1, s[0:3], 0 offen offset:4
	s_waitcnt vmcnt(5)
	buffer_store_dword v4, v1, s[0:3], 0 offen offset:8
	;; [unrolled: 2-line block ×6, first 2 shown]
	s_waitcnt vmcnt(0)
	buffer_store_dword v13, v0, s[0:3], 0 offen
.LBB46_368:
	v_mov_b32_e32 v0, 0
	global_load_dword v1, v0, s[20:21] offset:36
	s_waitcnt vmcnt(0)
	v_add_nc_u32_e32 v1, -1, v1
	v_cmp_eq_u32_e32 vcc_lo, 9, v1
	s_cbranch_vccnz .LBB46_370
; %bb.369:
	v_lshlrev_b32_e32 v1, 4, v1
	v_mov_b32_e32 v2, s54
	v_add_nc_u32_e32 v1, 16, v1
	s_clause 0x7
	buffer_load_dword v3, v1, s[0:3], 0 offen
	buffer_load_dword v4, v1, s[0:3], 0 offen offset:4
	buffer_load_dword v5, v1, s[0:3], 0 offen offset:8
	;; [unrolled: 1-line block ×6, first 2 shown]
	buffer_load_dword v14, v2, s[0:3], 0 offen
	s_waitcnt vmcnt(7)
	buffer_store_dword v3, v2, s[0:3], 0 offen
	s_waitcnt vmcnt(6)
	buffer_store_dword v4, v2, s[0:3], 0 offen offset:4
	s_waitcnt vmcnt(5)
	buffer_store_dword v5, v2, s[0:3], 0 offen offset:8
	s_waitcnt vmcnt(4)
	buffer_store_dword v6, v2, s[0:3], 0 offen offset:12
	s_waitcnt vmcnt(3)
	buffer_store_dword v7, v1, s[0:3], 0 offen offset:12
	s_waitcnt vmcnt(2)
	buffer_store_dword v12, v1, s[0:3], 0 offen offset:8
	s_waitcnt vmcnt(1)
	buffer_store_dword v13, v1, s[0:3], 0 offen offset:4
	s_waitcnt vmcnt(0)
	buffer_store_dword v14, v1, s[0:3], 0 offen
.LBB46_370:
	global_load_dword v0, v0, s[20:21] offset:32
	s_waitcnt vmcnt(0)
	v_add_nc_u32_e32 v0, -1, v0
	v_cmp_eq_u32_e32 vcc_lo, 8, v0
	s_cbranch_vccnz .LBB46_372
; %bb.371:
	v_lshlrev_b32_e32 v0, 4, v0
	v_mov_b32_e32 v1, s55
	v_add_nc_u32_e32 v0, 16, v0
	s_clause 0x7
	buffer_load_dword v2, v0, s[0:3], 0 offen
	buffer_load_dword v3, v0, s[0:3], 0 offen offset:4
	buffer_load_dword v4, v0, s[0:3], 0 offen offset:8
	;; [unrolled: 1-line block ×6, first 2 shown]
	buffer_load_dword v13, v1, s[0:3], 0 offen
	s_waitcnt vmcnt(7)
	buffer_store_dword v2, v1, s[0:3], 0 offen
	s_waitcnt vmcnt(6)
	buffer_store_dword v3, v1, s[0:3], 0 offen offset:4
	s_waitcnt vmcnt(5)
	buffer_store_dword v4, v1, s[0:3], 0 offen offset:8
	;; [unrolled: 2-line block ×6, first 2 shown]
	s_waitcnt vmcnt(0)
	buffer_store_dword v13, v0, s[0:3], 0 offen
.LBB46_372:
	v_mov_b32_e32 v0, 0
	global_load_dword v1, v0, s[20:21] offset:28
	s_waitcnt vmcnt(0)
	v_add_nc_u32_e32 v1, -1, v1
	v_cmp_eq_u32_e32 vcc_lo, 7, v1
	s_cbranch_vccnz .LBB46_374
; %bb.373:
	v_lshlrev_b32_e32 v1, 4, v1
	v_mov_b32_e32 v2, s56
	v_add_nc_u32_e32 v1, 16, v1
	s_clause 0x7
	buffer_load_dword v3, v1, s[0:3], 0 offen
	buffer_load_dword v4, v1, s[0:3], 0 offen offset:4
	buffer_load_dword v5, v1, s[0:3], 0 offen offset:8
	;; [unrolled: 1-line block ×6, first 2 shown]
	buffer_load_dword v14, v2, s[0:3], 0 offen
	s_waitcnt vmcnt(7)
	buffer_store_dword v3, v2, s[0:3], 0 offen
	s_waitcnt vmcnt(6)
	buffer_store_dword v4, v2, s[0:3], 0 offen offset:4
	s_waitcnt vmcnt(5)
	buffer_store_dword v5, v2, s[0:3], 0 offen offset:8
	;; [unrolled: 2-line block ×6, first 2 shown]
	s_waitcnt vmcnt(0)
	buffer_store_dword v14, v1, s[0:3], 0 offen
.LBB46_374:
	global_load_dword v0, v0, s[20:21] offset:24
	s_waitcnt vmcnt(0)
	v_add_nc_u32_e32 v0, -1, v0
	v_cmp_eq_u32_e32 vcc_lo, 6, v0
	s_cbranch_vccnz .LBB46_376
; %bb.375:
	v_lshlrev_b32_e32 v0, 4, v0
	v_mov_b32_e32 v1, s57
	v_add_nc_u32_e32 v0, 16, v0
	s_clause 0x7
	buffer_load_dword v2, v0, s[0:3], 0 offen
	buffer_load_dword v3, v0, s[0:3], 0 offen offset:4
	buffer_load_dword v4, v0, s[0:3], 0 offen offset:8
	;; [unrolled: 1-line block ×6, first 2 shown]
	buffer_load_dword v13, v1, s[0:3], 0 offen
	s_waitcnt vmcnt(7)
	buffer_store_dword v2, v1, s[0:3], 0 offen
	s_waitcnt vmcnt(6)
	buffer_store_dword v3, v1, s[0:3], 0 offen offset:4
	s_waitcnt vmcnt(5)
	buffer_store_dword v4, v1, s[0:3], 0 offen offset:8
	;; [unrolled: 2-line block ×6, first 2 shown]
	s_waitcnt vmcnt(0)
	buffer_store_dword v13, v0, s[0:3], 0 offen
.LBB46_376:
	v_mov_b32_e32 v0, 0
	global_load_dword v1, v0, s[20:21] offset:20
	s_waitcnt vmcnt(0)
	v_add_nc_u32_e32 v1, -1, v1
	v_cmp_eq_u32_e32 vcc_lo, 5, v1
	s_cbranch_vccnz .LBB46_378
; %bb.377:
	v_lshlrev_b32_e32 v1, 4, v1
	v_mov_b32_e32 v2, s58
	v_add_nc_u32_e32 v1, 16, v1
	s_clause 0x7
	buffer_load_dword v3, v1, s[0:3], 0 offen
	buffer_load_dword v4, v1, s[0:3], 0 offen offset:4
	buffer_load_dword v5, v1, s[0:3], 0 offen offset:8
	;; [unrolled: 1-line block ×6, first 2 shown]
	buffer_load_dword v14, v2, s[0:3], 0 offen
	s_waitcnt vmcnt(7)
	buffer_store_dword v3, v2, s[0:3], 0 offen
	s_waitcnt vmcnt(6)
	buffer_store_dword v4, v2, s[0:3], 0 offen offset:4
	s_waitcnt vmcnt(5)
	buffer_store_dword v5, v2, s[0:3], 0 offen offset:8
	;; [unrolled: 2-line block ×6, first 2 shown]
	s_waitcnt vmcnt(0)
	buffer_store_dword v14, v1, s[0:3], 0 offen
.LBB46_378:
	global_load_dword v0, v0, s[20:21] offset:16
	s_waitcnt vmcnt(0)
	v_add_nc_u32_e32 v0, -1, v0
	v_cmp_eq_u32_e32 vcc_lo, 4, v0
	s_cbranch_vccnz .LBB46_380
; %bb.379:
	v_lshlrev_b32_e32 v0, 4, v0
	v_mov_b32_e32 v1, s44
	v_add_nc_u32_e32 v0, 16, v0
	s_clause 0x7
	buffer_load_dword v2, v0, s[0:3], 0 offen
	buffer_load_dword v3, v0, s[0:3], 0 offen offset:4
	buffer_load_dword v4, v0, s[0:3], 0 offen offset:8
	;; [unrolled: 1-line block ×6, first 2 shown]
	buffer_load_dword v13, v1, s[0:3], 0 offen
	s_waitcnt vmcnt(7)
	buffer_store_dword v2, v1, s[0:3], 0 offen
	s_waitcnt vmcnt(6)
	buffer_store_dword v3, v1, s[0:3], 0 offen offset:4
	s_waitcnt vmcnt(5)
	buffer_store_dword v4, v1, s[0:3], 0 offen offset:8
	;; [unrolled: 2-line block ×6, first 2 shown]
	s_waitcnt vmcnt(0)
	buffer_store_dword v13, v0, s[0:3], 0 offen
.LBB46_380:
	v_mov_b32_e32 v0, 0
	global_load_dword v1, v0, s[20:21] offset:12
	s_waitcnt vmcnt(0)
	v_add_nc_u32_e32 v1, -1, v1
	v_cmp_eq_u32_e32 vcc_lo, 3, v1
	s_cbranch_vccnz .LBB46_382
; %bb.381:
	v_lshlrev_b32_e32 v1, 4, v1
	v_mov_b32_e32 v2, s46
	v_add_nc_u32_e32 v1, 16, v1
	s_clause 0x7
	buffer_load_dword v3, v1, s[0:3], 0 offen
	buffer_load_dword v4, v1, s[0:3], 0 offen offset:4
	buffer_load_dword v5, v1, s[0:3], 0 offen offset:8
	;; [unrolled: 1-line block ×6, first 2 shown]
	buffer_load_dword v14, v2, s[0:3], 0 offen
	s_waitcnt vmcnt(7)
	buffer_store_dword v3, v2, s[0:3], 0 offen
	s_waitcnt vmcnt(6)
	buffer_store_dword v4, v2, s[0:3], 0 offen offset:4
	s_waitcnt vmcnt(5)
	buffer_store_dword v5, v2, s[0:3], 0 offen offset:8
	;; [unrolled: 2-line block ×6, first 2 shown]
	s_waitcnt vmcnt(0)
	buffer_store_dword v14, v1, s[0:3], 0 offen
.LBB46_382:
	global_load_dword v0, v0, s[20:21] offset:8
	s_waitcnt vmcnt(0)
	v_add_nc_u32_e32 v0, -1, v0
	v_cmp_eq_u32_e32 vcc_lo, 2, v0
	s_cbranch_vccnz .LBB46_384
; %bb.383:
	v_lshlrev_b32_e32 v0, 4, v0
	v_mov_b32_e32 v1, s48
	v_add_nc_u32_e32 v0, 16, v0
	s_clause 0x7
	buffer_load_dword v2, v0, s[0:3], 0 offen
	buffer_load_dword v3, v0, s[0:3], 0 offen offset:4
	buffer_load_dword v4, v0, s[0:3], 0 offen offset:8
	;; [unrolled: 1-line block ×6, first 2 shown]
	buffer_load_dword v13, v1, s[0:3], 0 offen
	s_waitcnt vmcnt(7)
	buffer_store_dword v2, v1, s[0:3], 0 offen
	s_waitcnt vmcnt(6)
	buffer_store_dword v3, v1, s[0:3], 0 offen offset:4
	s_waitcnt vmcnt(5)
	buffer_store_dword v4, v1, s[0:3], 0 offen offset:8
	;; [unrolled: 2-line block ×6, first 2 shown]
	s_waitcnt vmcnt(0)
	buffer_store_dword v13, v0, s[0:3], 0 offen
.LBB46_384:
	v_mov_b32_e32 v0, 0
	global_load_dword v1, v0, s[20:21] offset:4
	s_waitcnt vmcnt(0)
	v_add_nc_u32_e32 v1, -1, v1
	v_cmp_eq_u32_e32 vcc_lo, 1, v1
	s_cbranch_vccnz .LBB46_386
; %bb.385:
	v_lshlrev_b32_e32 v1, 4, v1
	v_mov_b32_e32 v2, s51
	v_add_nc_u32_e32 v1, 16, v1
	s_clause 0x7
	buffer_load_dword v3, v1, s[0:3], 0 offen
	buffer_load_dword v4, v1, s[0:3], 0 offen offset:4
	buffer_load_dword v5, v1, s[0:3], 0 offen offset:8
	;; [unrolled: 1-line block ×6, first 2 shown]
	buffer_load_dword v14, v2, s[0:3], 0 offen
	s_waitcnt vmcnt(7)
	buffer_store_dword v3, v2, s[0:3], 0 offen
	s_waitcnt vmcnt(6)
	buffer_store_dword v4, v2, s[0:3], 0 offen offset:4
	s_waitcnt vmcnt(5)
	buffer_store_dword v5, v2, s[0:3], 0 offen offset:8
	;; [unrolled: 2-line block ×6, first 2 shown]
	s_waitcnt vmcnt(0)
	buffer_store_dword v14, v1, s[0:3], 0 offen
.LBB46_386:
	global_load_dword v0, v0, s[20:21]
	s_waitcnt vmcnt(0)
	v_add_nc_u32_e32 v0, -1, v0
	v_cmp_eq_u32_e32 vcc_lo, 0, v0
	s_cbranch_vccnz .LBB46_388
; %bb.387:
	v_lshlrev_b32_e32 v0, 4, v0
	v_add_nc_u32_e32 v0, 16, v0
	s_clause 0x7
	buffer_load_dword v1, v0, s[0:3], 0 offen
	buffer_load_dword v2, v0, s[0:3], 0 offen offset:4
	buffer_load_dword v3, v0, s[0:3], 0 offen offset:8
	;; [unrolled: 1-line block ×3, first 2 shown]
	buffer_load_dword v5, off, s[0:3], 0 offset:28
	buffer_load_dword v6, off, s[0:3], 0 offset:24
	;; [unrolled: 1-line block ×4, first 2 shown]
	s_waitcnt vmcnt(7)
	buffer_store_dword v1, off, s[0:3], 0 offset:16
	s_waitcnt vmcnt(6)
	buffer_store_dword v2, off, s[0:3], 0 offset:20
	;; [unrolled: 2-line block ×4, first 2 shown]
	s_waitcnt vmcnt(3)
	buffer_store_dword v5, v0, s[0:3], 0 offen offset:12
	s_waitcnt vmcnt(2)
	buffer_store_dword v6, v0, s[0:3], 0 offen offset:8
	;; [unrolled: 2-line block ×3, first 2 shown]
	s_waitcnt vmcnt(0)
	buffer_store_dword v12, v0, s[0:3], 0 offen
.LBB46_388:
	v_mov_b32_e32 v15, s48
	v_mov_b32_e32 v19, s46
	;; [unrolled: 1-line block ×5, first 2 shown]
	s_clause 0x17
	buffer_load_dword v0, off, s[0:3], 0 offset:16
	buffer_load_dword v1, off, s[0:3], 0 offset:20
	;; [unrolled: 1-line block ×4, first 2 shown]
	buffer_load_dword v4, v7, s[0:3], 0 offen
	buffer_load_dword v5, v7, s[0:3], 0 offen offset:4
	buffer_load_dword v6, v7, s[0:3], 0 offen offset:8
	buffer_load_dword v7, v7, s[0:3], 0 offen offset:12
	buffer_load_dword v12, v15, s[0:3], 0 offen
	buffer_load_dword v13, v15, s[0:3], 0 offen offset:4
	buffer_load_dword v14, v15, s[0:3], 0 offen offset:8
	buffer_load_dword v15, v15, s[0:3], 0 offen offset:12
	;; [unrolled: 4-line block ×5, first 2 shown]
	v_mov_b32_e32 v24, s57
	s_clause 0x3
	buffer_load_dword v35, v24, s[0:3], 0 offen
	buffer_load_dword v36, v24, s[0:3], 0 offen offset:4
	buffer_load_dword v37, v24, s[0:3], 0 offen offset:8
	buffer_load_dword v38, v24, s[0:3], 0 offen offset:12
	v_mov_b32_e32 v24, s56
	s_clause 0x3
	buffer_load_dword v45, v24, s[0:3], 0 offen
	buffer_load_dword v46, v24, s[0:3], 0 offen offset:4
	buffer_load_dword v47, v24, s[0:3], 0 offen offset:8
	buffer_load_dword v48, v24, s[0:3], 0 offen offset:12
	;; [unrolled: 6-line block ×10, first 2 shown]
	v_mov_b32_e32 v24, s43
	v_mov_b32_e32 v40, s41
	;; [unrolled: 1-line block ×31, first 2 shown]
	s_waitcnt vmcnt(60)
	global_store_dwordx4 v[81:82], v[0:3], off
	s_waitcnt vmcnt(56)
	global_store_dwordx4 v[83:84], v[4:7], off
	s_clause 0x7
	buffer_load_dword v0, v24, s[0:3], 0 offen
	buffer_load_dword v1, v24, s[0:3], 0 offen offset:4
	buffer_load_dword v2, v24, s[0:3], 0 offen offset:8
	buffer_load_dword v3, v24, s[0:3], 0 offen offset:12
	buffer_load_dword v4, v39, s[0:3], 0 offen
	buffer_load_dword v5, v39, s[0:3], 0 offen offset:4
	buffer_load_dword v6, v39, s[0:3], 0 offen offset:8
	buffer_load_dword v7, v39, s[0:3], 0 offen offset:12
	s_waitcnt vmcnt(60)
	global_store_dwordx4 v[87:88], v[12:15], off
	s_clause 0x7
	buffer_load_dword v12, v40, s[0:3], 0 offen
	buffer_load_dword v13, v40, s[0:3], 0 offen offset:4
	buffer_load_dword v14, v40, s[0:3], 0 offen offset:8
	buffer_load_dword v15, v40, s[0:3], 0 offen offset:12
	buffer_load_dword v81, v161, s[0:3], 0 offen
	buffer_load_dword v82, v161, s[0:3], 0 offen offset:4
	buffer_load_dword v83, v161, s[0:3], 0 offen offset:8
	buffer_load_dword v84, v161, s[0:3], 0 offen offset:12
	s_waitcnt vmcnt(62)
	global_store_dwordx4 v[95:96], v[16:19], off
	s_clause 0x7
	buffer_load_dword v16, v162, s[0:3], 0 offen
	buffer_load_dword v17, v162, s[0:3], 0 offen offset:4
	buffer_load_dword v18, v162, s[0:3], 0 offen offset:8
	buffer_load_dword v19, v162, s[0:3], 0 offen offset:12
	buffer_load_dword v161, v164, s[0:3], 0 offen
	buffer_load_dword v162, v164, s[0:3], 0 offen offset:4
	buffer_load_dword v163, v164, s[0:3], 0 offen offset:8
	buffer_load_dword v164, v164, s[0:3], 0 offen offset:12
	s_waitcnt vmcnt(62)
	global_store_dwordx4 v[85:86], v[20:23], off
	s_clause 0x7
	buffer_load_dword v20, v165, s[0:3], 0 offen
	buffer_load_dword v21, v165, s[0:3], 0 offen offset:4
	buffer_load_dword v22, v165, s[0:3], 0 offen offset:8
	buffer_load_dword v23, v165, s[0:3], 0 offen offset:12
	buffer_load_dword v85, v166, s[0:3], 0 offen
	buffer_load_dword v86, v166, s[0:3], 0 offen offset:4
	buffer_load_dword v87, v166, s[0:3], 0 offen offset:8
	buffer_load_dword v88, v166, s[0:3], 0 offen offset:12
	global_store_dwordx4 v[91:92], v[31:34], off
	s_clause 0x7
	buffer_load_dword v31, v167, s[0:3], 0 offen
	buffer_load_dword v32, v167, s[0:3], 0 offen offset:4
	buffer_load_dword v33, v167, s[0:3], 0 offen offset:8
	;; [unrolled: 1-line block ×3, first 2 shown]
	buffer_load_dword v165, v168, s[0:3], 0 offen
	buffer_load_dword v166, v168, s[0:3], 0 offen offset:4
	buffer_load_dword v167, v168, s[0:3], 0 offen offset:8
	;; [unrolled: 1-line block ×3, first 2 shown]
	s_waitcnt vmcnt(62)
	global_store_dwordx4 v[103:104], v[35:38], off
	s_clause 0x7
	buffer_load_dword v35, v169, s[0:3], 0 offen
	buffer_load_dword v36, v169, s[0:3], 0 offen offset:4
	buffer_load_dword v37, v169, s[0:3], 0 offen offset:8
	buffer_load_dword v38, v169, s[0:3], 0 offen offset:12
	buffer_load_dword v169, v172, s[0:3], 0 offen
	buffer_load_dword v170, v172, s[0:3], 0 offen offset:4
	buffer_load_dword v171, v172, s[0:3], 0 offen offset:8
	buffer_load_dword v172, v172, s[0:3], 0 offen offset:12
	global_store_dwordx4 v[89:90], v[45:48], off
	s_clause 0x7
	buffer_load_dword v45, v173, s[0:3], 0 offen
	buffer_load_dword v46, v173, s[0:3], 0 offen offset:4
	buffer_load_dword v47, v173, s[0:3], 0 offen offset:8
	buffer_load_dword v48, v173, s[0:3], 0 offen offset:12
	buffer_load_dword v89, v174, s[0:3], 0 offen
	buffer_load_dword v90, v174, s[0:3], 0 offen offset:4
	buffer_load_dword v91, v174, s[0:3], 0 offen offset:8
	buffer_load_dword v92, v174, s[0:3], 0 offen offset:12
	;; [unrolled: 10-line block ×4, first 2 shown]
	s_waitcnt vmcnt(62)
	global_store_dwordx4 v[93:94], v[61:64], off
	s_clause 0x7
	buffer_load_dword v61, v179, s[0:3], 0 offen
	buffer_load_dword v62, v179, s[0:3], 0 offen offset:4
	buffer_load_dword v63, v179, s[0:3], 0 offen offset:8
	buffer_load_dword v64, v179, s[0:3], 0 offen offset:12
	buffer_load_dword v177, v180, s[0:3], 0 offen
	buffer_load_dword v178, v180, s[0:3], 0 offen offset:4
	buffer_load_dword v179, v180, s[0:3], 0 offen offset:8
	buffer_load_dword v180, v180, s[0:3], 0 offen offset:12
	global_store_dwordx4 v[105:106], v[65:68], off
	s_clause 0x7
	buffer_load_dword v65, v181, s[0:3], 0 offen
	buffer_load_dword v66, v181, s[0:3], 0 offen offset:4
	buffer_load_dword v67, v181, s[0:3], 0 offen offset:8
	buffer_load_dword v68, v181, s[0:3], 0 offen offset:12
	buffer_load_dword v103, v182, s[0:3], 0 offen
	buffer_load_dword v104, v182, s[0:3], 0 offen offset:4
	buffer_load_dword v105, v182, s[0:3], 0 offen offset:8
	buffer_load_dword v106, v182, s[0:3], 0 offen offset:12
	;; [unrolled: 10-line block ×6, first 2 shown]
	buffer_load_dword v189, v193, s[0:3], 0 offen
	buffer_load_dword v190, v193, s[0:3], 0 offen offset:4
	buffer_load_dword v191, v193, s[0:3], 0 offen offset:8
	;; [unrolled: 1-line block ×3, first 2 shown]
	global_store_dwordx4 v[101:102], v[0:3], off
	global_store_dwordx4 v[115:116], v[4:7], off
	s_waitcnt vmcnt(62)
	global_store_dwordx4 v[117:118], v[12:15], off
	global_store_dwordx4 v[119:120], v[81:84], off
	;; [unrolled: 1-line block ×13, first 2 shown]
	s_waitcnt vmcnt(60)
	global_store_dwordx4 v[143:144], v[95:98], off
	s_waitcnt vmcnt(56)
	global_store_dwordx4 v[145:146], v[57:60], off
	;; [unrolled: 2-line block ×16, first 2 shown]
	s_endpgm
	.section	.rodata,"a",@progbits
	.p2align	6, 0x0
	.amdhsa_kernel _ZN9rocsolver6v33100L18getri_kernel_smallILi47E19rocblas_complex_numIdEPS3_EEvT1_iilPiilS6_bb
		.amdhsa_group_segment_fixed_size 1512
		.amdhsa_private_segment_fixed_size 784
		.amdhsa_kernarg_size 60
		.amdhsa_user_sgpr_count 6
		.amdhsa_user_sgpr_private_segment_buffer 1
		.amdhsa_user_sgpr_dispatch_ptr 0
		.amdhsa_user_sgpr_queue_ptr 0
		.amdhsa_user_sgpr_kernarg_segment_ptr 1
		.amdhsa_user_sgpr_dispatch_id 0
		.amdhsa_user_sgpr_flat_scratch_init 0
		.amdhsa_user_sgpr_private_segment_size 0
		.amdhsa_wavefront_size32 1
		.amdhsa_uses_dynamic_stack 0
		.amdhsa_system_sgpr_private_segment_wavefront_offset 1
		.amdhsa_system_sgpr_workgroup_id_x 1
		.amdhsa_system_sgpr_workgroup_id_y 0
		.amdhsa_system_sgpr_workgroup_id_z 0
		.amdhsa_system_sgpr_workgroup_info 0
		.amdhsa_system_vgpr_workitem_id 0
		.amdhsa_next_free_vgpr 194
		.amdhsa_next_free_sgpr 63
		.amdhsa_reserve_vcc 1
		.amdhsa_reserve_flat_scratch 0
		.amdhsa_float_round_mode_32 0
		.amdhsa_float_round_mode_16_64 0
		.amdhsa_float_denorm_mode_32 3
		.amdhsa_float_denorm_mode_16_64 3
		.amdhsa_dx10_clamp 1
		.amdhsa_ieee_mode 1
		.amdhsa_fp16_overflow 0
		.amdhsa_workgroup_processor_mode 1
		.amdhsa_memory_ordered 1
		.amdhsa_forward_progress 1
		.amdhsa_shared_vgpr_count 0
		.amdhsa_exception_fp_ieee_invalid_op 0
		.amdhsa_exception_fp_denorm_src 0
		.amdhsa_exception_fp_ieee_div_zero 0
		.amdhsa_exception_fp_ieee_overflow 0
		.amdhsa_exception_fp_ieee_underflow 0
		.amdhsa_exception_fp_ieee_inexact 0
		.amdhsa_exception_int_div_zero 0
	.end_amdhsa_kernel
	.section	.text._ZN9rocsolver6v33100L18getri_kernel_smallILi47E19rocblas_complex_numIdEPS3_EEvT1_iilPiilS6_bb,"axG",@progbits,_ZN9rocsolver6v33100L18getri_kernel_smallILi47E19rocblas_complex_numIdEPS3_EEvT1_iilPiilS6_bb,comdat
.Lfunc_end46:
	.size	_ZN9rocsolver6v33100L18getri_kernel_smallILi47E19rocblas_complex_numIdEPS3_EEvT1_iilPiilS6_bb, .Lfunc_end46-_ZN9rocsolver6v33100L18getri_kernel_smallILi47E19rocblas_complex_numIdEPS3_EEvT1_iilPiilS6_bb
                                        ; -- End function
	.set _ZN9rocsolver6v33100L18getri_kernel_smallILi47E19rocblas_complex_numIdEPS3_EEvT1_iilPiilS6_bb.num_vgpr, 194
	.set _ZN9rocsolver6v33100L18getri_kernel_smallILi47E19rocblas_complex_numIdEPS3_EEvT1_iilPiilS6_bb.num_agpr, 0
	.set _ZN9rocsolver6v33100L18getri_kernel_smallILi47E19rocblas_complex_numIdEPS3_EEvT1_iilPiilS6_bb.numbered_sgpr, 63
	.set _ZN9rocsolver6v33100L18getri_kernel_smallILi47E19rocblas_complex_numIdEPS3_EEvT1_iilPiilS6_bb.num_named_barrier, 0
	.set _ZN9rocsolver6v33100L18getri_kernel_smallILi47E19rocblas_complex_numIdEPS3_EEvT1_iilPiilS6_bb.private_seg_size, 784
	.set _ZN9rocsolver6v33100L18getri_kernel_smallILi47E19rocblas_complex_numIdEPS3_EEvT1_iilPiilS6_bb.uses_vcc, 1
	.set _ZN9rocsolver6v33100L18getri_kernel_smallILi47E19rocblas_complex_numIdEPS3_EEvT1_iilPiilS6_bb.uses_flat_scratch, 0
	.set _ZN9rocsolver6v33100L18getri_kernel_smallILi47E19rocblas_complex_numIdEPS3_EEvT1_iilPiilS6_bb.has_dyn_sized_stack, 0
	.set _ZN9rocsolver6v33100L18getri_kernel_smallILi47E19rocblas_complex_numIdEPS3_EEvT1_iilPiilS6_bb.has_recursion, 0
	.set _ZN9rocsolver6v33100L18getri_kernel_smallILi47E19rocblas_complex_numIdEPS3_EEvT1_iilPiilS6_bb.has_indirect_call, 0
	.section	.AMDGPU.csdata,"",@progbits
; Kernel info:
; codeLenInByte = 150152
; TotalNumSgprs: 65
; NumVgprs: 194
; ScratchSize: 784
; MemoryBound: 0
; FloatMode: 240
; IeeeMode: 1
; LDSByteSize: 1512 bytes/workgroup (compile time only)
; SGPRBlocks: 0
; VGPRBlocks: 24
; NumSGPRsForWavesPerEU: 65
; NumVGPRsForWavesPerEU: 194
; Occupancy: 4
; WaveLimiterHint : 1
; COMPUTE_PGM_RSRC2:SCRATCH_EN: 1
; COMPUTE_PGM_RSRC2:USER_SGPR: 6
; COMPUTE_PGM_RSRC2:TRAP_HANDLER: 0
; COMPUTE_PGM_RSRC2:TGID_X_EN: 1
; COMPUTE_PGM_RSRC2:TGID_Y_EN: 0
; COMPUTE_PGM_RSRC2:TGID_Z_EN: 0
; COMPUTE_PGM_RSRC2:TIDIG_COMP_CNT: 0
	.section	.text._ZN9rocsolver6v33100L18getri_kernel_smallILi48E19rocblas_complex_numIdEPS3_EEvT1_iilPiilS6_bb,"axG",@progbits,_ZN9rocsolver6v33100L18getri_kernel_smallILi48E19rocblas_complex_numIdEPS3_EEvT1_iilPiilS6_bb,comdat
	.globl	_ZN9rocsolver6v33100L18getri_kernel_smallILi48E19rocblas_complex_numIdEPS3_EEvT1_iilPiilS6_bb ; -- Begin function _ZN9rocsolver6v33100L18getri_kernel_smallILi48E19rocblas_complex_numIdEPS3_EEvT1_iilPiilS6_bb
	.p2align	8
	.type	_ZN9rocsolver6v33100L18getri_kernel_smallILi48E19rocblas_complex_numIdEPS3_EEvT1_iilPiilS6_bb,@function
_ZN9rocsolver6v33100L18getri_kernel_smallILi48E19rocblas_complex_numIdEPS3_EEvT1_iilPiilS6_bb: ; @_ZN9rocsolver6v33100L18getri_kernel_smallILi48E19rocblas_complex_numIdEPS3_EEvT1_iilPiilS6_bb
; %bb.0:
	s_add_u32 s0, s0, s7
	s_addc_u32 s1, s1, 0
	s_mov_b32 s7, exec_lo
	v_cmpx_gt_u32_e32 48, v0
	s_cbranch_execz .LBB47_206
; %bb.1:
	s_clause 0x2
	s_load_dword s7, s[4:5], 0x38
	s_load_dwordx4 s[16:19], s[4:5], 0x10
	s_load_dwordx4 s[8:11], s[4:5], 0x28
                                        ; implicit-def: $sgpr20_sgpr21
	s_waitcnt lgkmcnt(0)
	s_bitcmp1_b32 s7, 8
	s_cselect_b32 s60, -1, 0
	s_bfe_u32 s12, s7, 0x10008
	s_ashr_i32 s7, s6, 31
	s_cmp_eq_u32 s12, 0
	s_cbranch_scc1 .LBB47_3
; %bb.2:
	s_load_dword s12, s[4:5], 0x20
	s_mul_i32 s13, s8, s7
	s_mul_hi_u32 s14, s8, s6
	s_mul_i32 s9, s9, s6
	s_add_i32 s13, s14, s13
	s_mul_i32 s8, s8, s6
	s_add_i32 s9, s13, s9
	s_lshl_b64 s[8:9], s[8:9], 2
	s_waitcnt lgkmcnt(0)
	s_ashr_i32 s13, s12, 31
	s_add_u32 s14, s18, s8
	s_addc_u32 s15, s19, s9
	s_lshl_b64 s[8:9], s[12:13], 2
	s_add_u32 s20, s14, s8
	s_addc_u32 s21, s15, s9
.LBB47_3:
	s_clause 0x1
	s_load_dwordx4 s[12:15], s[4:5], 0x0
	s_load_dword s61, s[4:5], 0x38
	s_mul_i32 s4, s16, s7
	s_mul_hi_u32 s5, s16, s6
	s_mul_i32 s8, s17, s6
	s_add_i32 s5, s5, s4
	s_mul_i32 s4, s16, s6
	s_add_i32 s5, s5, s8
	v_lshlrev_b32_e32 v161, 4, v0
	s_lshl_b64 s[4:5], s[4:5], 4
	s_mov_b32 s59, 32
	s_mov_b32 s58, 48
	;; [unrolled: 1-line block ×3, first 2 shown]
	s_movk_i32 s56, 0x50
	s_waitcnt lgkmcnt(0)
	v_add3_u32 v1, s15, s15, v0
	s_ashr_i32 s9, s14, 31
	s_mov_b32 s8, s14
	s_add_u32 s12, s12, s4
	s_addc_u32 s13, s13, s5
	s_lshl_b64 s[4:5], s[8:9], 4
	v_ashrrev_i32_e32 v2, 31, v1
	s_add_u32 s4, s12, s4
	s_addc_u32 s5, s13, s5
	v_add_nc_u32_e32 v5, s15, v1
	v_add_co_u32 v91, s12, s4, v161
	s_mov_b32 s8, s15
	s_ashr_i32 s9, s15, 31
	v_lshlrev_b64 v[6:7], 4, v[1:2]
	v_add_co_ci_u32_e64 v92, null, s5, 0, s12
	s_lshl_b64 s[8:9], s[8:9], 4
	v_add_nc_u32_e32 v8, s15, v5
	v_add_co_u32 v89, vcc_lo, v91, s8
	v_add_co_ci_u32_e64 v90, null, s9, v92, vcc_lo
	v_add_co_u32 v95, vcc_lo, s4, v6
	v_ashrrev_i32_e32 v6, 31, v5
	v_add_co_ci_u32_e64 v96, null, s5, v7, vcc_lo
	v_ashrrev_i32_e32 v9, 31, v8
	v_add_nc_u32_e32 v7, s15, v8
	v_lshlrev_b64 v[5:6], 4, v[5:6]
	s_clause 0x1
	global_load_dwordx4 v[1:4], v161, s[4:5]
	global_load_dwordx4 v[153:156], v[89:90], off
	v_lshlrev_b64 v[9:10], 4, v[8:9]
	v_ashrrev_i32_e32 v8, 31, v7
	v_add_nc_u32_e32 v11, s15, v7
	v_add_co_u32 v101, vcc_lo, s4, v5
	v_add_co_ci_u32_e64 v102, null, s5, v6, vcc_lo
	v_lshlrev_b64 v[5:6], 4, v[7:8]
	v_add_nc_u32_e32 v7, s15, v11
	v_add_co_u32 v93, vcc_lo, s4, v9
	v_ashrrev_i32_e32 v12, 31, v11
	v_add_co_ci_u32_e64 v94, null, s5, v10, vcc_lo
	v_add_co_u32 v99, vcc_lo, s4, v5
	v_ashrrev_i32_e32 v8, 31, v7
	v_add_nc_u32_e32 v5, s15, v7
	v_lshlrev_b64 v[9:10], 4, v[11:12]
	v_add_co_ci_u32_e64 v100, null, s5, v6, vcc_lo
	v_lshlrev_b64 v[7:8], 4, v[7:8]
	v_ashrrev_i32_e32 v6, 31, v5
	v_add_nc_u32_e32 v11, s15, v5
	v_add_co_u32 v107, vcc_lo, s4, v9
	v_add_co_ci_u32_e64 v108, null, s5, v10, vcc_lo
	v_lshlrev_b64 v[5:6], 4, v[5:6]
	v_add_co_u32 v97, vcc_lo, s4, v7
	v_add_nc_u32_e32 v7, s15, v11
	v_add_co_ci_u32_e64 v98, null, s5, v8, vcc_lo
	v_ashrrev_i32_e32 v12, 31, v11
	v_add_co_u32 v105, vcc_lo, s4, v5
	v_add_nc_u32_e32 v5, s15, v7
	v_ashrrev_i32_e32 v8, 31, v7
	v_add_co_ci_u32_e64 v106, null, s5, v6, vcc_lo
	v_lshlrev_b64 v[9:10], 4, v[11:12]
	v_ashrrev_i32_e32 v6, 31, v5
	v_add_nc_u32_e32 v11, s15, v5
	v_lshlrev_b64 v[7:8], 4, v[7:8]
	s_clause 0x1
	global_load_dwordx4 v[157:160], v[95:96], off
	global_load_dwordx4 v[166:169], v[93:94], off
	v_lshlrev_b64 v[5:6], 4, v[5:6]
	v_add_co_u32 v115, vcc_lo, s4, v9
	v_add_nc_u32_e32 v9, s15, v11
	v_ashrrev_i32_e32 v12, 31, v11
	v_add_co_ci_u32_e64 v116, null, s5, v10, vcc_lo
	v_add_co_u32 v103, vcc_lo, s4, v7
	v_add_co_ci_u32_e64 v104, null, s5, v8, vcc_lo
	v_add_nc_u32_e32 v7, s15, v9
	v_add_co_u32 v117, vcc_lo, s4, v5
	v_add_co_ci_u32_e64 v118, null, s5, v6, vcc_lo
	v_lshlrev_b64 v[5:6], 4, v[11:12]
	v_ashrrev_i32_e32 v10, 31, v9
	v_ashrrev_i32_e32 v8, 31, v7
	v_add_nc_u32_e32 v11, s15, v7
	s_clause 0x1
	global_load_dwordx4 v[162:165], v[101:102], off
	global_load_dwordx4 v[65:68], v[103:104], off
	v_lshlrev_b64 v[9:10], 4, v[9:10]
	v_add_co_u32 v121, vcc_lo, s4, v5
	v_add_co_ci_u32_e64 v122, null, s5, v6, vcc_lo
	v_lshlrev_b64 v[5:6], 4, v[7:8]
	v_add_nc_u32_e32 v7, s15, v11
	v_ashrrev_i32_e32 v12, 31, v11
	v_add_co_u32 v111, vcc_lo, s4, v9
	v_add_co_ci_u32_e64 v112, null, s5, v10, vcc_lo
	v_add_nc_u32_e32 v9, s15, v7
	v_add_co_u32 v113, vcc_lo, s4, v5
	v_ashrrev_i32_e32 v8, 31, v7
	v_add_co_ci_u32_e64 v114, null, s5, v6, vcc_lo
	v_lshlrev_b64 v[5:6], 4, v[11:12]
	v_ashrrev_i32_e32 v10, 31, v9
	v_add_nc_u32_e32 v11, s15, v9
	v_lshlrev_b64 v[7:8], 4, v[7:8]
	s_clause 0x1
	global_load_dwordx4 v[170:173], v[99:100], off
	global_load_dwordx4 v[77:80], v[97:98], off
	v_add_co_u32 v123, vcc_lo, s4, v5
	v_add_co_ci_u32_e64 v124, null, s5, v6, vcc_lo
	v_lshlrev_b64 v[5:6], 4, v[9:10]
	v_ashrrev_i32_e32 v12, 31, v11
	v_add_nc_u32_e32 v9, s15, v11
	v_add_co_u32 v119, vcc_lo, s4, v7
	v_add_co_ci_u32_e64 v120, null, s5, v8, vcc_lo
	v_lshlrev_b64 v[7:8], 4, v[11:12]
	v_ashrrev_i32_e32 v10, 31, v9
	v_add_nc_u32_e32 v11, s15, v9
	v_add_co_u32 v109, vcc_lo, s4, v5
	v_add_co_ci_u32_e64 v110, null, s5, v6, vcc_lo
	v_lshlrev_b64 v[5:6], 4, v[9:10]
	v_add_nc_u32_e32 v9, s15, v11
	s_clause 0x1
	global_load_dwordx4 v[73:76], v[107:108], off
	global_load_dwordx4 v[85:88], v[105:106], off
	v_ashrrev_i32_e32 v12, 31, v11
	s_clause 0x1
	global_load_dwordx4 v[61:64], v[115:116], off
	global_load_dwordx4 v[69:72], v[117:118], off
	v_add_nc_u32_e32 v21, s15, v9
	v_ashrrev_i32_e32 v10, 31, v9
	v_lshlrev_b64 v[11:12], 4, v[11:12]
	v_add_co_u32 v125, vcc_lo, s4, v7
	v_add_nc_u32_e32 v29, s15, v21
	v_ashrrev_i32_e32 v22, 31, v21
	v_lshlrev_b64 v[9:10], 4, v[9:10]
	v_add_co_ci_u32_e64 v126, null, s5, v8, vcc_lo
	v_ashrrev_i32_e32 v30, 31, v29
	v_add_nc_u32_e32 v37, s15, v29
	v_add_co_u32 v127, vcc_lo, s4, v5
	v_lshlrev_b64 v[31:32], 4, v[21:22]
	v_add_co_ci_u32_e64 v128, null, s5, v6, vcc_lo
	v_add_co_u32 v129, vcc_lo, s4, v11
	v_lshlrev_b64 v[29:30], 4, v[29:30]
	v_add_nc_u32_e32 v81, s15, v37
	global_load_dwordx4 v[33:36], v[121:122], off
	v_add_co_ci_u32_e64 v130, null, s5, v12, vcc_lo
	v_add_co_u32 v131, vcc_lo, s4, v9
	v_ashrrev_i32_e32 v38, 31, v37
	v_add_co_ci_u32_e64 v132, null, s5, v10, vcc_lo
	v_add_co_u32 v133, vcc_lo, s4, v31
	v_ashrrev_i32_e32 v82, 31, v81
	s_clause 0x1
	global_load_dwordx4 v[41:44], v[111:112], off
	global_load_dwordx4 v[45:48], v[113:114], off
	v_add_co_ci_u32_e64 v134, null, s5, v32, vcc_lo
	v_add_co_u32 v135, vcc_lo, s4, v29
	v_add_co_ci_u32_e64 v136, null, s5, v30, vcc_lo
	v_lshlrev_b64 v[29:30], 4, v[37:38]
	v_lshlrev_b64 v[31:32], 4, v[81:82]
	s_clause 0x5
	global_load_dwordx4 v[13:16], v[123:124], off
	global_load_dwordx4 v[17:20], v[119:120], off
	;; [unrolled: 1-line block ×6, first 2 shown]
	v_add_co_u32 v137, vcc_lo, s4, v29
	v_add_co_ci_u32_e64 v138, null, s5, v30, vcc_lo
	v_add_co_u32 v139, vcc_lo, s4, v31
	v_add_co_ci_u32_e64 v140, null, s5, v32, vcc_lo
	s_clause 0x4
	global_load_dwordx4 v[49:52], v[131:132], off
	global_load_dwordx4 v[37:40], v[133:134], off
	;; [unrolled: 1-line block ×5, first 2 shown]
	v_add_nc_u32_e32 v81, s15, v81
	v_add_nc_u32_e32 v83, s15, v81
	v_ashrrev_i32_e32 v82, 31, v81
	v_add_nc_u32_e32 v143, s15, v83
	v_ashrrev_i32_e32 v84, 31, v83
	v_lshlrev_b64 v[81:82], 4, v[81:82]
	v_add_nc_u32_e32 v145, s15, v143
	v_ashrrev_i32_e32 v144, 31, v143
	v_lshlrev_b64 v[147:148], 4, v[83:84]
	v_add_co_u32 v141, vcc_lo, s4, v81
	v_add_nc_u32_e32 v151, s15, v145
	v_lshlrev_b64 v[149:150], 4, v[143:144]
	v_ashrrev_i32_e32 v146, 31, v145
	v_add_co_ci_u32_e64 v142, null, s5, v82, vcc_lo
	v_ashrrev_i32_e32 v152, 31, v151
	v_add_nc_u32_e32 v182, s15, v151
	v_add_co_u32 v143, vcc_lo, s4, v147
	v_add_co_ci_u32_e64 v144, null, s5, v148, vcc_lo
	v_lshlrev_b64 v[147:148], 4, v[145:146]
	v_add_co_u32 v145, vcc_lo, s4, v149
	v_add_co_ci_u32_e64 v146, null, s5, v150, vcc_lo
	v_lshlrev_b64 v[149:150], 4, v[151:152]
	v_add_nc_u32_e32 v151, s15, v182
	v_ashrrev_i32_e32 v183, 31, v182
	v_add_co_u32 v147, vcc_lo, s4, v147
	v_add_co_ci_u32_e64 v148, null, s5, v148, vcc_lo
	v_add_nc_u32_e32 v186, s15, v151
	v_lshlrev_b64 v[182:183], 4, v[182:183]
	v_ashrrev_i32_e32 v152, 31, v151
	v_add_co_u32 v149, vcc_lo, s4, v149
	v_add_nc_u32_e32 v190, s15, v186
	v_add_co_ci_u32_e64 v150, null, s5, v150, vcc_lo
	v_lshlrev_b64 v[188:189], 4, v[151:152]
	v_add_co_u32 v151, vcc_lo, s4, v182
	s_clause 0x2
	global_load_dwordx4 v[81:84], v[141:142], off
	global_load_dwordx4 v[174:177], v[143:144], off
	;; [unrolled: 1-line block ×3, first 2 shown]
	v_add_co_ci_u32_e64 v152, null, s5, v183, vcc_lo
	v_ashrrev_i32_e32 v187, 31, v186
	v_ashrrev_i32_e32 v191, 31, v190
	s_waitcnt vmcnt(28)
	buffer_store_dword v4, off, s[0:3], 0 offset:28
	buffer_store_dword v3, off, s[0:3], 0 offset:24
	;; [unrolled: 1-line block ×4, first 2 shown]
	s_waitcnt vmcnt(27)
	buffer_store_dword v156, off, s[0:3], 0 offset:44
	buffer_store_dword v155, off, s[0:3], 0 offset:40
	;; [unrolled: 1-line block ×4, first 2 shown]
	s_clause 0x1
	global_load_dwordx4 v[1:4], v[147:148], off
	global_load_dwordx4 v[182:185], v[149:150], off
	s_waitcnt vmcnt(28)
	buffer_store_dword v160, off, s[0:3], 0 offset:60
	buffer_store_dword v159, off, s[0:3], 0 offset:56
	;; [unrolled: 1-line block ×4, first 2 shown]
	v_add_nc_u32_e32 v157, s15, v190
	v_lshlrev_b64 v[155:156], 4, v[186:187]
	v_add_co_u32 v153, vcc_lo, s4, v188
	v_lshlrev_b64 v[159:160], 4, v[190:191]
	v_ashrrev_i32_e32 v158, 31, v157
	v_add_nc_u32_e32 v186, s15, v157
	v_add_co_ci_u32_e64 v154, null, s5, v189, vcc_lo
	v_add_co_u32 v155, vcc_lo, s4, v155
	v_lshlrev_b64 v[188:189], 4, v[157:158]
	v_add_nc_u32_e32 v190, s15, v186
	v_ashrrev_i32_e32 v187, 31, v186
	v_add_co_ci_u32_e64 v156, null, s5, v156, vcc_lo
	v_add_co_u32 v157, vcc_lo, s4, v159
	v_add_co_ci_u32_e64 v158, null, s5, v160, vcc_lo
	v_ashrrev_i32_e32 v191, 31, v190
	v_add_co_u32 v159, vcc_lo, s4, v188
	v_add_nc_u32_e32 v188, s15, v190
	v_lshlrev_b64 v[186:187], 4, v[186:187]
	s_waitcnt vmcnt(26)
	buffer_store_dword v165, off, s[0:3], 0 offset:76
	buffer_store_dword v164, off, s[0:3], 0 offset:72
	;; [unrolled: 1-line block ×8, first 2 shown]
	s_clause 0x1
	global_load_dwordx4 v[162:165], v[151:152], off
	global_load_dwordx4 v[166:169], v[153:154], off
	s_waitcnt vmcnt(26)
	buffer_store_dword v173, off, s[0:3], 0 offset:108
	buffer_store_dword v172, off, s[0:3], 0 offset:104
	;; [unrolled: 1-line block ×4, first 2 shown]
	v_add_co_ci_u32_e64 v160, null, s5, v189, vcc_lo
	s_waitcnt vmcnt(24)
	buffer_store_dword v76, off, s[0:3], 0 offset:124
	buffer_store_dword v75, off, s[0:3], 0 offset:120
	buffer_store_dword v74, off, s[0:3], 0 offset:116
	buffer_store_dword v73, off, s[0:3], 0 offset:112
	buffer_store_dword v80, off, s[0:3], 0 offset:140
	buffer_store_dword v79, off, s[0:3], 0 offset:136
	buffer_store_dword v78, off, s[0:3], 0 offset:132
	buffer_store_dword v77, off, s[0:3], 0 offset:128
	v_lshlrev_b64 v[75:76], 4, v[190:191]
	v_ashrrev_i32_e32 v189, 31, v188
	v_add_nc_u32_e32 v190, s15, v188
	v_add_co_u32 v73, vcc_lo, s4, v186
	v_add_co_ci_u32_e64 v74, null, s5, v187, vcc_lo
	v_lshlrev_b64 v[186:187], 4, v[188:189]
	v_ashrrev_i32_e32 v191, 31, v190
	v_add_nc_u32_e32 v188, s15, v190
	s_clause 0x1
	global_load_dwordx4 v[77:80], v[155:156], off
	global_load_dwordx4 v[170:173], v[157:158], off
	s_waitcnt vmcnt(25)
	buffer_store_dword v88, off, s[0:3], 0 offset:156
	buffer_store_dword v87, off, s[0:3], 0 offset:152
	;; [unrolled: 1-line block ×4, first 2 shown]
	s_waitcnt vmcnt(24)
	buffer_store_dword v61, off, s[0:3], 0 offset:160
	buffer_store_dword v62, off, s[0:3], 0 offset:164
	;; [unrolled: 1-line block ×8, first 2 shown]
	v_lshlrev_b64 v[63:64], 4, v[190:191]
	v_ashrrev_i32_e32 v189, 31, v188
	v_add_nc_u32_e32 v190, s15, v188
	v_add_co_u32 v75, vcc_lo, s4, v75
	v_add_co_ci_u32_e64 v76, null, s5, v76, vcc_lo
	v_add_co_u32 v61, vcc_lo, s4, v186
	v_add_co_ci_u32_e64 v62, null, s5, v187, vcc_lo
	v_lshlrev_b64 v[186:187], 4, v[188:189]
	v_ashrrev_i32_e32 v191, 31, v190
	v_add_nc_u32_e32 v188, s15, v190
	s_clause 0x1
	global_load_dwordx4 v[65:68], v[159:160], off
	global_load_dwordx4 v[85:88], v[73:74], off
	s_waitcnt vmcnt(25)
	buffer_store_dword v69, off, s[0:3], 0 offset:192
	buffer_store_dword v70, off, s[0:3], 0 offset:196
	buffer_store_dword v71, off, s[0:3], 0 offset:200
	buffer_store_dword v72, off, s[0:3], 0 offset:204
	s_waitcnt vmcnt(24)
	buffer_store_dword v36, off, s[0:3], 0 offset:220
	buffer_store_dword v35, off, s[0:3], 0 offset:216
	buffer_store_dword v34, off, s[0:3], 0 offset:212
	buffer_store_dword v33, off, s[0:3], 0 offset:208
	s_waitcnt vmcnt(23)
	buffer_store_dword v44, off, s[0:3], 0 offset:236
	buffer_store_dword v43, off, s[0:3], 0 offset:232
	buffer_store_dword v42, off, s[0:3], 0 offset:228
	buffer_store_dword v41, off, s[0:3], 0 offset:224
	v_lshlrev_b64 v[35:36], 4, v[190:191]
	v_add_nc_u32_e32 v190, s15, v188
	v_ashrrev_i32_e32 v189, 31, v188
	v_add_co_u32 v63, vcc_lo, s4, v63
	v_add_co_ci_u32_e64 v64, null, s5, v64, vcc_lo
	v_add_nc_u32_e32 v194, s15, v190
	v_lshlrev_b64 v[192:193], 4, v[188:189]
	s_clause 0x1
	global_load_dwordx4 v[41:44], v[75:76], off
	global_load_dwordx4 v[69:72], v[61:62], off
	s_waitcnt vmcnt(24)
	buffer_store_dword v48, off, s[0:3], 0 offset:252
	buffer_store_dword v47, off, s[0:3], 0 offset:248
	;; [unrolled: 1-line block ×4, first 2 shown]
	v_add_co_u32 v33, vcc_lo, s4, v186
	v_ashrrev_i32_e32 v191, 31, v190
	s_waitcnt vmcnt(23)
	buffer_store_dword v16, off, s[0:3], 0 offset:268
	buffer_store_dword v15, off, s[0:3], 0 offset:264
	;; [unrolled: 1-line block ×4, first 2 shown]
	s_waitcnt vmcnt(22)
	buffer_store_dword v20, off, s[0:3], 0 offset:284
	buffer_store_dword v19, off, s[0:3], 0 offset:280
	;; [unrolled: 1-line block ×4, first 2 shown]
	v_add_nc_u32_e32 v19, s15, v194
	v_add_co_ci_u32_e64 v34, null, s5, v187, vcc_lo
	v_add_co_u32 v35, vcc_lo, s4, v35
	v_add_co_ci_u32_e64 v36, null, s5, v36, vcc_lo
	v_add_co_u32 v13, vcc_lo, s4, v192
	v_lshlrev_b64 v[15:16], 4, v[190:191]
	v_add_nc_u32_e32 v190, s15, v19
	v_add_co_ci_u32_e64 v14, null, s5, v193, vcc_lo
	s_clause 0x1
	global_load_dwordx4 v[45:48], v[63:64], off
	global_load_dwordx4 v[186:189], v[33:34], off
	v_ashrrev_i32_e32 v195, 31, v194
	s_waitcnt vmcnt(23)
	buffer_store_dword v28, off, s[0:3], 0 offset:300
	buffer_store_dword v27, off, s[0:3], 0 offset:296
	buffer_store_dword v26, off, s[0:3], 0 offset:292
	buffer_store_dword v25, off, s[0:3], 0 offset:288
	s_waitcnt vmcnt(22)
	buffer_store_dword v8, off, s[0:3], 0 offset:316
	buffer_store_dword v7, off, s[0:3], 0 offset:312
	buffer_store_dword v6, off, s[0:3], 0 offset:308
	buffer_store_dword v5, off, s[0:3], 0 offset:304
	;; [unrolled: 5-line block ×3, first 2 shown]
	s_clause 0x1
	global_load_dwordx4 v[5:8], v[35:36], off
	global_load_dwordx4 v[21:24], v[13:14], off
	s_waitcnt vmcnt(22)
	buffer_store_dword v12, off, s[0:3], 0 offset:348
	buffer_store_dword v11, off, s[0:3], 0 offset:344
	buffer_store_dword v10, off, s[0:3], 0 offset:340
	buffer_store_dword v9, off, s[0:3], 0 offset:336
	s_waitcnt vmcnt(21)
	buffer_store_dword v52, off, s[0:3], 0 offset:364
	buffer_store_dword v51, off, s[0:3], 0 offset:360
	buffer_store_dword v50, off, s[0:3], 0 offset:356
	buffer_store_dword v49, off, s[0:3], 0 offset:352
	;; [unrolled: 5-line block ×5, first 2 shown]
	s_waitcnt vmcnt(17)
	buffer_store_dword v32, off, s[0:3], 0 offset:428
	v_add_nc_u32_e32 v11, s15, v190
	v_ashrrev_i32_e32 v20, 31, v19
	v_ashrrev_i32_e32 v191, 31, v190
	v_lshlrev_b64 v[17:18], 4, v[194:195]
	v_add_co_u32 v15, vcc_lo, s4, v15
	v_ashrrev_i32_e32 v12, 31, v11
	v_lshlrev_b64 v[9:10], 4, v[19:20]
	v_lshlrev_b64 v[19:20], 4, v[190:191]
	v_add_co_ci_u32_e64 v16, null, s5, v16, vcc_lo
	v_add_co_u32 v17, vcc_lo, s4, v17
	v_lshlrev_b64 v[11:12], 4, v[11:12]
	v_add_co_ci_u32_e64 v18, null, s5, v18, vcc_lo
	v_add_co_u32 v9, vcc_lo, s4, v9
	v_add_co_ci_u32_e64 v10, null, s5, v10, vcc_lo
	v_add_co_u32 v19, vcc_lo, s4, v19
	;; [unrolled: 2-line block ×3, first 2 shown]
	v_add_co_ci_u32_e64 v12, null, s5, v12, vcc_lo
	s_clause 0x3
	global_load_dwordx4 v[25:28], v[15:16], off
	global_load_dwordx4 v[37:40], v[17:18], off
	;; [unrolled: 1-line block ×4, first 2 shown]
	buffer_store_dword v31, off, s[0:3], 0 offset:424
	buffer_store_dword v30, off, s[0:3], 0 offset:420
	;; [unrolled: 1-line block ×3, first 2 shown]
	global_load_dwordx4 v[29:32], v[11:12], off
	s_movk_i32 s4, 0x50
	s_movk_i32 s5, 0x70
	s_add_i32 s55, s4, 16
	s_movk_i32 s4, 0x60
	s_add_i32 s53, s5, 16
	s_add_i32 s54, s4, 16
	s_movk_i32 s4, 0x80
	s_movk_i32 s5, 0x90
	s_add_i32 s52, s4, 16
	s_add_i32 s51, s5, 16
	s_movk_i32 s4, 0xa0
	;; [unrolled: 4-line block ×20, first 2 shown]
	s_movk_i32 s5, 0x2f0
	s_add_i32 s9, s4, 16
	s_add_i32 s8, s5, 16
	s_bitcmp0_b32 s61, 0
	s_mov_b32 s5, -1
	s_waitcnt vmcnt(21)
	buffer_store_dword v84, off, s[0:3], 0 offset:444
	buffer_store_dword v83, off, s[0:3], 0 offset:440
	buffer_store_dword v82, off, s[0:3], 0 offset:436
	buffer_store_dword v81, off, s[0:3], 0 offset:432
	s_waitcnt vmcnt(20)
	buffer_store_dword v177, off, s[0:3], 0 offset:460
	buffer_store_dword v176, off, s[0:3], 0 offset:456
	buffer_store_dword v175, off, s[0:3], 0 offset:452
	buffer_store_dword v174, off, s[0:3], 0 offset:448
	;; [unrolled: 5-line block ×22, first 2 shown]
	s_cbranch_scc1 .LBB47_204
; %bb.4:
	v_cmp_eq_u32_e64 s4, 0, v0
	s_and_saveexec_b32 s5, s4
; %bb.5:
	v_mov_b32_e32 v1, 0
	ds_write_b32 v1, v1 offset:1536
; %bb.6:
	s_or_b32 exec_lo, exec_lo, s5
	v_lshl_add_u32 v23, v0, 4, 16
	s_waitcnt lgkmcnt(0)
	s_waitcnt_vscnt null, 0x0
	s_barrier
	buffer_gl0_inv
	s_clause 0x3
	buffer_load_dword v1, v23, s[0:3], 0 offen
	buffer_load_dword v2, v23, s[0:3], 0 offen offset:4
	buffer_load_dword v3, v23, s[0:3], 0 offen offset:8
	;; [unrolled: 1-line block ×3, first 2 shown]
	s_waitcnt vmcnt(2)
	v_cmp_eq_f64_e32 vcc_lo, 0, v[1:2]
	s_waitcnt vmcnt(0)
	v_cmp_eq_f64_e64 s5, 0, v[3:4]
	s_and_b32 s5, vcc_lo, s5
	s_and_saveexec_b32 s61, s5
	s_cbranch_execz .LBB47_10
; %bb.7:
	v_mov_b32_e32 v1, 0
	s_mov_b32 s62, 0
	ds_read_b32 v2, v1 offset:1536
	s_waitcnt lgkmcnt(0)
	v_readfirstlane_b32 s5, v2
	v_add_nc_u32_e32 v2, 1, v0
	s_cmp_eq_u32 s5, 0
	v_cmp_gt_i32_e32 vcc_lo, s5, v2
	s_cselect_b32 s63, -1, 0
	s_or_b32 s63, s63, vcc_lo
	s_and_b32 exec_lo, exec_lo, s63
	s_cbranch_execz .LBB47_10
; %bb.8:
	v_mov_b32_e32 v3, s5
.LBB47_9:                               ; =>This Inner Loop Header: Depth=1
	ds_cmpst_rtn_b32 v3, v1, v3, v2 offset:1536
	s_waitcnt lgkmcnt(0)
	v_cmp_ne_u32_e32 vcc_lo, 0, v3
	v_cmp_le_i32_e64 s5, v3, v2
	s_and_b32 s5, vcc_lo, s5
	s_and_b32 s5, exec_lo, s5
	s_or_b32 s62, s5, s62
	s_andn2_b32 exec_lo, exec_lo, s62
	s_cbranch_execnz .LBB47_9
.LBB47_10:
	s_or_b32 exec_lo, exec_lo, s61
	v_mov_b32_e32 v1, 0
	s_barrier
	buffer_gl0_inv
	ds_read_b32 v2, v1 offset:1536
	s_and_saveexec_b32 s5, s4
	s_cbranch_execz .LBB47_12
; %bb.11:
	s_lshl_b64 s[62:63], s[6:7], 2
	s_add_u32 s62, s10, s62
	s_addc_u32 s63, s11, s63
	s_waitcnt lgkmcnt(0)
	global_store_dword v1, v2, s[62:63]
.LBB47_12:
	s_or_b32 exec_lo, exec_lo, s5
	s_waitcnt lgkmcnt(0)
	v_cmp_ne_u32_e32 vcc_lo, 0, v2
	s_mov_b32 s5, 0
	s_cbranch_vccnz .LBB47_204
; %bb.13:
	s_clause 0x3
	buffer_load_dword v7, v23, s[0:3], 0 offen
	buffer_load_dword v8, v23, s[0:3], 0 offen offset:4
	buffer_load_dword v21, v23, s[0:3], 0 offen offset:8
	;; [unrolled: 1-line block ×3, first 2 shown]
                                        ; implicit-def: $vgpr5_vgpr6
                                        ; implicit-def: $vgpr3_vgpr4
	s_waitcnt vmcnt(0)
	v_cmp_ngt_f64_e64 s5, |v[7:8]|, |v[21:22]|
	s_and_saveexec_b32 s61, s5
	s_xor_b32 s5, exec_lo, s61
	s_cbranch_execz .LBB47_15
; %bb.14:
	v_div_scale_f64 v[1:2], null, v[21:22], v[21:22], v[7:8]
	v_div_scale_f64 v[24:25], vcc_lo, v[7:8], v[21:22], v[7:8]
	v_rcp_f64_e32 v[3:4], v[1:2]
	v_fma_f64 v[5:6], -v[1:2], v[3:4], 1.0
	v_fma_f64 v[3:4], v[3:4], v[5:6], v[3:4]
	v_fma_f64 v[5:6], -v[1:2], v[3:4], 1.0
	v_fma_f64 v[3:4], v[3:4], v[5:6], v[3:4]
	v_mul_f64 v[5:6], v[24:25], v[3:4]
	v_fma_f64 v[1:2], -v[1:2], v[5:6], v[24:25]
	v_div_fmas_f64 v[1:2], v[1:2], v[3:4], v[5:6]
	v_div_fixup_f64 v[1:2], v[1:2], v[21:22], v[7:8]
	v_fma_f64 v[3:4], v[7:8], v[1:2], v[21:22]
	v_div_scale_f64 v[5:6], null, v[3:4], v[3:4], 1.0
	v_div_scale_f64 v[24:25], vcc_lo, 1.0, v[3:4], 1.0
	v_rcp_f64_e32 v[7:8], v[5:6]
	v_fma_f64 v[21:22], -v[5:6], v[7:8], 1.0
	v_fma_f64 v[7:8], v[7:8], v[21:22], v[7:8]
	v_fma_f64 v[21:22], -v[5:6], v[7:8], 1.0
	v_fma_f64 v[7:8], v[7:8], v[21:22], v[7:8]
	v_mul_f64 v[21:22], v[24:25], v[7:8]
	v_fma_f64 v[5:6], -v[5:6], v[21:22], v[24:25]
	v_div_fmas_f64 v[5:6], v[5:6], v[7:8], v[21:22]
                                        ; implicit-def: $vgpr7_vgpr8
                                        ; implicit-def: $vgpr21_vgpr22
	v_div_fixup_f64 v[3:4], v[5:6], v[3:4], 1.0
	v_mul_f64 v[5:6], v[1:2], v[3:4]
	v_xor_b32_e32 v4, 0x80000000, v4
	v_xor_b32_e32 v2, 0x80000000, v6
	v_mov_b32_e32 v1, v5
.LBB47_15:
	s_andn2_saveexec_b32 s5, s5
	s_cbranch_execz .LBB47_17
; %bb.16:
	v_div_scale_f64 v[1:2], null, v[7:8], v[7:8], v[21:22]
	v_div_scale_f64 v[24:25], vcc_lo, v[21:22], v[7:8], v[21:22]
	v_rcp_f64_e32 v[3:4], v[1:2]
	v_fma_f64 v[5:6], -v[1:2], v[3:4], 1.0
	v_fma_f64 v[3:4], v[3:4], v[5:6], v[3:4]
	v_fma_f64 v[5:6], -v[1:2], v[3:4], 1.0
	v_fma_f64 v[3:4], v[3:4], v[5:6], v[3:4]
	v_mul_f64 v[5:6], v[24:25], v[3:4]
	v_fma_f64 v[1:2], -v[1:2], v[5:6], v[24:25]
	v_div_fmas_f64 v[1:2], v[1:2], v[3:4], v[5:6]
	v_div_fixup_f64 v[1:2], v[1:2], v[7:8], v[21:22]
	v_fma_f64 v[3:4], v[21:22], v[1:2], v[7:8]
	v_div_scale_f64 v[5:6], null, v[3:4], v[3:4], 1.0
	v_rcp_f64_e32 v[7:8], v[5:6]
	v_fma_f64 v[21:22], -v[5:6], v[7:8], 1.0
	v_fma_f64 v[7:8], v[7:8], v[21:22], v[7:8]
	v_fma_f64 v[21:22], -v[5:6], v[7:8], 1.0
	v_fma_f64 v[7:8], v[7:8], v[21:22], v[7:8]
	v_div_scale_f64 v[21:22], vcc_lo, 1.0, v[3:4], 1.0
	v_mul_f64 v[24:25], v[21:22], v[7:8]
	v_fma_f64 v[5:6], -v[5:6], v[24:25], v[21:22]
	v_div_fmas_f64 v[5:6], v[5:6], v[7:8], v[24:25]
	v_div_fixup_f64 v[5:6], v[5:6], v[3:4], 1.0
	v_mul_f64 v[3:4], v[1:2], -v[5:6]
	v_xor_b32_e32 v2, 0x80000000, v6
	v_mov_b32_e32 v1, v5
.LBB47_17:
	s_or_b32 exec_lo, exec_lo, s5
	v_mov_b32_e32 v7, s59
	buffer_store_dword v6, v23, s[0:3], 0 offen offset:4
	buffer_store_dword v5, v23, s[0:3], 0 offen
	buffer_store_dword v4, v23, s[0:3], 0 offen offset:12
	buffer_store_dword v3, v23, s[0:3], 0 offen offset:8
	v_xor_b32_e32 v4, 0x80000000, v4
	v_add_nc_u32_e32 v5, 0x300, v161
	s_clause 0x3
	buffer_load_dword v27, v7, s[0:3], 0 offen offset:12
	buffer_load_dword v26, v7, s[0:3], 0 offen offset:8
	;; [unrolled: 1-line block ×3, first 2 shown]
	buffer_load_dword v24, v7, s[0:3], 0 offen
	ds_write_b128 v161, v[1:4]
	s_waitcnt vmcnt(0)
	ds_write_b128 v161, v[24:27] offset:768
	s_waitcnt lgkmcnt(0)
	s_waitcnt_vscnt null, 0x0
	s_barrier
	buffer_gl0_inv
	s_and_saveexec_b32 s5, s4
	s_cbranch_execz .LBB47_19
; %bb.18:
	s_clause 0x3
	buffer_load_dword v6, v23, s[0:3], 0 offen offset:8
	buffer_load_dword v7, v23, s[0:3], 0 offen offset:12
	buffer_load_dword v21, v23, s[0:3], 0 offen
	buffer_load_dword v22, v23, s[0:3], 0 offen offset:4
	ds_read_b128 v[1:4], v5
	v_mov_b32_e32 v8, 0
	ds_read_b128 v[24:27], v8 offset:16
	s_waitcnt vmcnt(2) lgkmcnt(1)
	v_mul_f64 v[28:29], v[1:2], v[6:7]
	v_mul_f64 v[6:7], v[3:4], v[6:7]
	s_waitcnt vmcnt(0)
	v_fma_f64 v[3:4], v[3:4], v[21:22], v[28:29]
	v_fma_f64 v[1:2], v[1:2], v[21:22], -v[6:7]
	v_add_f64 v[3:4], v[3:4], 0
	v_add_f64 v[1:2], v[1:2], 0
	s_waitcnt lgkmcnt(0)
	v_mul_f64 v[6:7], v[3:4], v[26:27]
	v_mul_f64 v[21:22], v[1:2], v[26:27]
	v_fma_f64 v[1:2], v[1:2], v[24:25], -v[6:7]
	v_fma_f64 v[3:4], v[3:4], v[24:25], v[21:22]
	buffer_store_dword v1, off, s[0:3], 0 offset:32
	buffer_store_dword v2, off, s[0:3], 0 offset:36
	;; [unrolled: 1-line block ×4, first 2 shown]
.LBB47_19:
	s_or_b32 exec_lo, exec_lo, s5
	v_mov_b32_e32 v4, s58
	s_waitcnt_vscnt null, 0x0
	s_barrier
	buffer_gl0_inv
	s_mov_b32 s5, exec_lo
	s_clause 0x3
	buffer_load_dword v1, v4, s[0:3], 0 offen
	buffer_load_dword v2, v4, s[0:3], 0 offen offset:4
	buffer_load_dword v3, v4, s[0:3], 0 offen offset:8
	;; [unrolled: 1-line block ×3, first 2 shown]
	s_waitcnt vmcnt(0)
	ds_write_b128 v5, v[1:4]
	s_waitcnt lgkmcnt(0)
	s_barrier
	buffer_gl0_inv
	v_cmpx_gt_u32_e32 2, v0
	s_cbranch_execz .LBB47_23
; %bb.20:
	s_clause 0x3
	buffer_load_dword v6, v23, s[0:3], 0 offen offset:8
	buffer_load_dword v7, v23, s[0:3], 0 offen offset:12
	buffer_load_dword v21, v23, s[0:3], 0 offen
	buffer_load_dword v22, v23, s[0:3], 0 offen offset:4
	ds_read_b128 v[1:4], v5
	s_waitcnt vmcnt(2) lgkmcnt(0)
	v_mul_f64 v[23:24], v[3:4], v[6:7]
	v_mul_f64 v[6:7], v[1:2], v[6:7]
	s_waitcnt vmcnt(0)
	v_fma_f64 v[1:2], v[1:2], v[21:22], -v[23:24]
	v_fma_f64 v[3:4], v[3:4], v[21:22], v[6:7]
	v_add_f64 v[1:2], v[1:2], 0
	v_add_f64 v[3:4], v[3:4], 0
	s_and_saveexec_b32 s61, s4
	s_cbranch_execz .LBB47_22
; %bb.21:
	s_clause 0x3
	buffer_load_dword v6, off, s[0:3], 0 offset:40
	buffer_load_dword v7, off, s[0:3], 0 offset:44
	buffer_load_dword v25, off, s[0:3], 0 offset:32
	buffer_load_dword v26, off, s[0:3], 0 offset:36
	v_mov_b32_e32 v8, 0
	ds_read_b128 v[21:24], v8 offset:784
	s_waitcnt vmcnt(2) lgkmcnt(0)
	v_mul_f64 v[27:28], v[21:22], v[6:7]
	v_mul_f64 v[6:7], v[23:24], v[6:7]
	s_waitcnt vmcnt(0)
	v_fma_f64 v[23:24], v[23:24], v[25:26], v[27:28]
	v_fma_f64 v[6:7], v[21:22], v[25:26], -v[6:7]
	v_add_f64 v[3:4], v[3:4], v[23:24]
	v_add_f64 v[1:2], v[1:2], v[6:7]
.LBB47_22:
	s_or_b32 exec_lo, exec_lo, s61
	v_mov_b32_e32 v6, 0
	ds_read_b128 v[21:24], v6 offset:32
	s_waitcnt lgkmcnt(0)
	v_mul_f64 v[6:7], v[3:4], v[23:24]
	v_mul_f64 v[23:24], v[1:2], v[23:24]
	v_fma_f64 v[1:2], v[1:2], v[21:22], -v[6:7]
	v_fma_f64 v[3:4], v[3:4], v[21:22], v[23:24]
	buffer_store_dword v2, off, s[0:3], 0 offset:52
	buffer_store_dword v1, off, s[0:3], 0 offset:48
	;; [unrolled: 1-line block ×4, first 2 shown]
.LBB47_23:
	s_or_b32 exec_lo, exec_lo, s5
	v_mov_b32_e32 v4, s57
	s_waitcnt_vscnt null, 0x0
	s_barrier
	buffer_gl0_inv
	v_add_nc_u32_e32 v6, -1, v0
	s_clause 0x3
	buffer_load_dword v1, v4, s[0:3], 0 offen
	buffer_load_dword v2, v4, s[0:3], 0 offen offset:4
	buffer_load_dword v3, v4, s[0:3], 0 offen offset:8
	buffer_load_dword v4, v4, s[0:3], 0 offen offset:12
	s_mov_b32 s4, exec_lo
	s_waitcnt vmcnt(0)
	ds_write_b128 v5, v[1:4]
	s_waitcnt lgkmcnt(0)
	s_barrier
	buffer_gl0_inv
	v_cmpx_gt_u32_e32 3, v0
	s_cbranch_execz .LBB47_27
; %bb.24:
	v_mov_b32_e32 v1, 0
	v_mov_b32_e32 v3, 0
	v_add_nc_u32_e32 v7, -1, v0
	v_add_nc_u32_e32 v8, 0x300, v161
	v_mov_b32_e32 v2, 0
	v_mov_b32_e32 v4, 0
	v_add_nc_u32_e32 v21, 16, v161
	s_mov_b32 s5, 0
	.p2align	6
.LBB47_25:                              ; =>This Inner Loop Header: Depth=1
	s_clause 0x3
	buffer_load_dword v26, v21, s[0:3], 0 offen offset:8
	buffer_load_dword v27, v21, s[0:3], 0 offen offset:12
	buffer_load_dword v28, v21, s[0:3], 0 offen
	buffer_load_dword v29, v21, s[0:3], 0 offen offset:4
	ds_read_b128 v[22:25], v8
	v_add_nc_u32_e32 v7, 1, v7
	v_add_nc_u32_e32 v8, 16, v8
	;; [unrolled: 1-line block ×3, first 2 shown]
	v_cmp_lt_u32_e32 vcc_lo, 1, v7
	s_or_b32 s5, vcc_lo, s5
	s_waitcnt vmcnt(2) lgkmcnt(0)
	v_mul_f64 v[30:31], v[24:25], v[26:27]
	v_mul_f64 v[26:27], v[22:23], v[26:27]
	s_waitcnt vmcnt(0)
	v_fma_f64 v[22:23], v[22:23], v[28:29], -v[30:31]
	v_fma_f64 v[24:25], v[24:25], v[28:29], v[26:27]
	v_add_f64 v[3:4], v[3:4], v[22:23]
	v_add_f64 v[1:2], v[1:2], v[24:25]
	s_andn2_b32 exec_lo, exec_lo, s5
	s_cbranch_execnz .LBB47_25
; %bb.26:
	s_or_b32 exec_lo, exec_lo, s5
	v_mov_b32_e32 v7, 0
	ds_read_b128 v[21:24], v7 offset:48
	s_waitcnt lgkmcnt(0)
	v_mul_f64 v[7:8], v[1:2], v[23:24]
	v_mul_f64 v[23:24], v[3:4], v[23:24]
	v_fma_f64 v[3:4], v[3:4], v[21:22], -v[7:8]
	v_fma_f64 v[1:2], v[1:2], v[21:22], v[23:24]
	buffer_store_dword v4, off, s[0:3], 0 offset:68
	buffer_store_dword v3, off, s[0:3], 0 offset:64
	;; [unrolled: 1-line block ×4, first 2 shown]
.LBB47_27:
	s_or_b32 exec_lo, exec_lo, s4
	v_mov_b32_e32 v4, s56
	s_waitcnt_vscnt null, 0x0
	s_barrier
	buffer_gl0_inv
	s_mov_b32 s4, exec_lo
	s_clause 0x3
	buffer_load_dword v1, v4, s[0:3], 0 offen
	buffer_load_dword v2, v4, s[0:3], 0 offen offset:4
	buffer_load_dword v3, v4, s[0:3], 0 offen offset:8
	;; [unrolled: 1-line block ×3, first 2 shown]
	s_waitcnt vmcnt(0)
	ds_write_b128 v5, v[1:4]
	s_waitcnt lgkmcnt(0)
	s_barrier
	buffer_gl0_inv
	v_cmpx_gt_u32_e32 4, v0
	s_cbranch_execz .LBB47_31
; %bb.28:
	v_mov_b32_e32 v1, 0
	v_mov_b32_e32 v3, 0
	v_add_nc_u32_e32 v7, -1, v0
	v_add_nc_u32_e32 v8, 0x300, v161
	v_mov_b32_e32 v2, 0
	v_mov_b32_e32 v4, 0
	v_add_nc_u32_e32 v21, 16, v161
	s_mov_b32 s5, 0
	.p2align	6
.LBB47_29:                              ; =>This Inner Loop Header: Depth=1
	s_clause 0x3
	buffer_load_dword v26, v21, s[0:3], 0 offen offset:8
	buffer_load_dword v27, v21, s[0:3], 0 offen offset:12
	buffer_load_dword v28, v21, s[0:3], 0 offen
	buffer_load_dword v29, v21, s[0:3], 0 offen offset:4
	ds_read_b128 v[22:25], v8
	v_add_nc_u32_e32 v7, 1, v7
	v_add_nc_u32_e32 v8, 16, v8
	;; [unrolled: 1-line block ×3, first 2 shown]
	v_cmp_lt_u32_e32 vcc_lo, 2, v7
	s_or_b32 s5, vcc_lo, s5
	s_waitcnt vmcnt(2) lgkmcnt(0)
	v_mul_f64 v[30:31], v[24:25], v[26:27]
	v_mul_f64 v[26:27], v[22:23], v[26:27]
	s_waitcnt vmcnt(0)
	v_fma_f64 v[22:23], v[22:23], v[28:29], -v[30:31]
	v_fma_f64 v[24:25], v[24:25], v[28:29], v[26:27]
	v_add_f64 v[3:4], v[3:4], v[22:23]
	v_add_f64 v[1:2], v[1:2], v[24:25]
	s_andn2_b32 exec_lo, exec_lo, s5
	s_cbranch_execnz .LBB47_29
; %bb.30:
	s_or_b32 exec_lo, exec_lo, s5
	v_mov_b32_e32 v7, 0
	ds_read_b128 v[21:24], v7 offset:64
	s_waitcnt lgkmcnt(0)
	v_mul_f64 v[7:8], v[1:2], v[23:24]
	v_mul_f64 v[23:24], v[3:4], v[23:24]
	v_fma_f64 v[3:4], v[3:4], v[21:22], -v[7:8]
	v_fma_f64 v[1:2], v[1:2], v[21:22], v[23:24]
	buffer_store_dword v4, off, s[0:3], 0 offset:84
	buffer_store_dword v3, off, s[0:3], 0 offset:80
	;; [unrolled: 1-line block ×4, first 2 shown]
.LBB47_31:
	s_or_b32 exec_lo, exec_lo, s4
	v_mov_b32_e32 v4, s55
	s_waitcnt_vscnt null, 0x0
	s_barrier
	buffer_gl0_inv
	s_mov_b32 s4, exec_lo
	s_clause 0x3
	buffer_load_dword v1, v4, s[0:3], 0 offen
	buffer_load_dword v2, v4, s[0:3], 0 offen offset:4
	buffer_load_dword v3, v4, s[0:3], 0 offen offset:8
	buffer_load_dword v4, v4, s[0:3], 0 offen offset:12
	s_waitcnt vmcnt(0)
	ds_write_b128 v5, v[1:4]
	s_waitcnt lgkmcnt(0)
	s_barrier
	buffer_gl0_inv
	v_cmpx_gt_u32_e32 5, v0
	s_cbranch_execz .LBB47_35
; %bb.32:
	v_mov_b32_e32 v1, 0
	v_mov_b32_e32 v3, 0
	v_add_nc_u32_e32 v7, -1, v0
	v_add_nc_u32_e32 v8, 0x300, v161
	v_mov_b32_e32 v2, 0
	v_mov_b32_e32 v4, 0
	v_add_nc_u32_e32 v21, 16, v161
	s_mov_b32 s5, 0
	.p2align	6
.LBB47_33:                              ; =>This Inner Loop Header: Depth=1
	s_clause 0x3
	buffer_load_dword v26, v21, s[0:3], 0 offen offset:8
	buffer_load_dword v27, v21, s[0:3], 0 offen offset:12
	buffer_load_dword v28, v21, s[0:3], 0 offen
	buffer_load_dword v29, v21, s[0:3], 0 offen offset:4
	ds_read_b128 v[22:25], v8
	v_add_nc_u32_e32 v7, 1, v7
	v_add_nc_u32_e32 v8, 16, v8
	;; [unrolled: 1-line block ×3, first 2 shown]
	v_cmp_lt_u32_e32 vcc_lo, 3, v7
	s_or_b32 s5, vcc_lo, s5
	s_waitcnt vmcnt(2) lgkmcnt(0)
	v_mul_f64 v[30:31], v[24:25], v[26:27]
	v_mul_f64 v[26:27], v[22:23], v[26:27]
	s_waitcnt vmcnt(0)
	v_fma_f64 v[22:23], v[22:23], v[28:29], -v[30:31]
	v_fma_f64 v[24:25], v[24:25], v[28:29], v[26:27]
	v_add_f64 v[3:4], v[3:4], v[22:23]
	v_add_f64 v[1:2], v[1:2], v[24:25]
	s_andn2_b32 exec_lo, exec_lo, s5
	s_cbranch_execnz .LBB47_33
; %bb.34:
	s_or_b32 exec_lo, exec_lo, s5
	v_mov_b32_e32 v7, 0
	ds_read_b128 v[21:24], v7 offset:80
	s_waitcnt lgkmcnt(0)
	v_mul_f64 v[7:8], v[1:2], v[23:24]
	v_mul_f64 v[23:24], v[3:4], v[23:24]
	v_fma_f64 v[3:4], v[3:4], v[21:22], -v[7:8]
	v_fma_f64 v[1:2], v[1:2], v[21:22], v[23:24]
	buffer_store_dword v4, off, s[0:3], 0 offset:100
	buffer_store_dword v3, off, s[0:3], 0 offset:96
	;; [unrolled: 1-line block ×4, first 2 shown]
.LBB47_35:
	s_or_b32 exec_lo, exec_lo, s4
	v_mov_b32_e32 v4, s54
	s_waitcnt_vscnt null, 0x0
	s_barrier
	buffer_gl0_inv
	s_mov_b32 s4, exec_lo
	s_clause 0x3
	buffer_load_dword v1, v4, s[0:3], 0 offen
	buffer_load_dword v2, v4, s[0:3], 0 offen offset:4
	buffer_load_dword v3, v4, s[0:3], 0 offen offset:8
	;; [unrolled: 1-line block ×3, first 2 shown]
	s_waitcnt vmcnt(0)
	ds_write_b128 v5, v[1:4]
	s_waitcnt lgkmcnt(0)
	s_barrier
	buffer_gl0_inv
	v_cmpx_gt_u32_e32 6, v0
	s_cbranch_execz .LBB47_39
; %bb.36:
	v_mov_b32_e32 v1, 0
	v_mov_b32_e32 v3, 0
	v_add_nc_u32_e32 v7, -1, v0
	v_add_nc_u32_e32 v8, 0x300, v161
	v_mov_b32_e32 v2, 0
	v_mov_b32_e32 v4, 0
	v_add_nc_u32_e32 v21, 16, v161
	s_mov_b32 s5, 0
	.p2align	6
.LBB47_37:                              ; =>This Inner Loop Header: Depth=1
	s_clause 0x3
	buffer_load_dword v26, v21, s[0:3], 0 offen offset:8
	buffer_load_dword v27, v21, s[0:3], 0 offen offset:12
	buffer_load_dword v28, v21, s[0:3], 0 offen
	buffer_load_dword v29, v21, s[0:3], 0 offen offset:4
	ds_read_b128 v[22:25], v8
	v_add_nc_u32_e32 v7, 1, v7
	v_add_nc_u32_e32 v8, 16, v8
	;; [unrolled: 1-line block ×3, first 2 shown]
	v_cmp_lt_u32_e32 vcc_lo, 4, v7
	s_or_b32 s5, vcc_lo, s5
	s_waitcnt vmcnt(2) lgkmcnt(0)
	v_mul_f64 v[30:31], v[24:25], v[26:27]
	v_mul_f64 v[26:27], v[22:23], v[26:27]
	s_waitcnt vmcnt(0)
	v_fma_f64 v[22:23], v[22:23], v[28:29], -v[30:31]
	v_fma_f64 v[24:25], v[24:25], v[28:29], v[26:27]
	v_add_f64 v[3:4], v[3:4], v[22:23]
	v_add_f64 v[1:2], v[1:2], v[24:25]
	s_andn2_b32 exec_lo, exec_lo, s5
	s_cbranch_execnz .LBB47_37
; %bb.38:
	s_or_b32 exec_lo, exec_lo, s5
	v_mov_b32_e32 v7, 0
	ds_read_b128 v[21:24], v7 offset:96
	s_waitcnt lgkmcnt(0)
	v_mul_f64 v[7:8], v[1:2], v[23:24]
	v_mul_f64 v[23:24], v[3:4], v[23:24]
	v_fma_f64 v[3:4], v[3:4], v[21:22], -v[7:8]
	v_fma_f64 v[1:2], v[1:2], v[21:22], v[23:24]
	buffer_store_dword v4, off, s[0:3], 0 offset:116
	buffer_store_dword v3, off, s[0:3], 0 offset:112
	;; [unrolled: 1-line block ×4, first 2 shown]
.LBB47_39:
	s_or_b32 exec_lo, exec_lo, s4
	v_mov_b32_e32 v4, s53
	s_waitcnt_vscnt null, 0x0
	s_barrier
	buffer_gl0_inv
	s_mov_b32 s4, exec_lo
	s_clause 0x3
	buffer_load_dword v1, v4, s[0:3], 0 offen
	buffer_load_dword v2, v4, s[0:3], 0 offen offset:4
	buffer_load_dword v3, v4, s[0:3], 0 offen offset:8
	;; [unrolled: 1-line block ×3, first 2 shown]
	s_waitcnt vmcnt(0)
	ds_write_b128 v5, v[1:4]
	s_waitcnt lgkmcnt(0)
	s_barrier
	buffer_gl0_inv
	v_cmpx_gt_u32_e32 7, v0
	s_cbranch_execz .LBB47_43
; %bb.40:
	v_mov_b32_e32 v1, 0
	v_mov_b32_e32 v3, 0
	v_add_nc_u32_e32 v7, -1, v0
	v_add_nc_u32_e32 v8, 0x300, v161
	v_mov_b32_e32 v2, 0
	v_mov_b32_e32 v4, 0
	v_add_nc_u32_e32 v21, 16, v161
	s_mov_b32 s5, 0
	.p2align	6
.LBB47_41:                              ; =>This Inner Loop Header: Depth=1
	s_clause 0x3
	buffer_load_dword v26, v21, s[0:3], 0 offen offset:8
	buffer_load_dword v27, v21, s[0:3], 0 offen offset:12
	buffer_load_dword v28, v21, s[0:3], 0 offen
	buffer_load_dword v29, v21, s[0:3], 0 offen offset:4
	ds_read_b128 v[22:25], v8
	v_add_nc_u32_e32 v7, 1, v7
	v_add_nc_u32_e32 v8, 16, v8
	;; [unrolled: 1-line block ×3, first 2 shown]
	v_cmp_lt_u32_e32 vcc_lo, 5, v7
	s_or_b32 s5, vcc_lo, s5
	s_waitcnt vmcnt(2) lgkmcnt(0)
	v_mul_f64 v[30:31], v[24:25], v[26:27]
	v_mul_f64 v[26:27], v[22:23], v[26:27]
	s_waitcnt vmcnt(0)
	v_fma_f64 v[22:23], v[22:23], v[28:29], -v[30:31]
	v_fma_f64 v[24:25], v[24:25], v[28:29], v[26:27]
	v_add_f64 v[3:4], v[3:4], v[22:23]
	v_add_f64 v[1:2], v[1:2], v[24:25]
	s_andn2_b32 exec_lo, exec_lo, s5
	s_cbranch_execnz .LBB47_41
; %bb.42:
	s_or_b32 exec_lo, exec_lo, s5
	v_mov_b32_e32 v7, 0
	ds_read_b128 v[21:24], v7 offset:112
	s_waitcnt lgkmcnt(0)
	v_mul_f64 v[7:8], v[1:2], v[23:24]
	v_mul_f64 v[23:24], v[3:4], v[23:24]
	v_fma_f64 v[3:4], v[3:4], v[21:22], -v[7:8]
	v_fma_f64 v[1:2], v[1:2], v[21:22], v[23:24]
	buffer_store_dword v4, off, s[0:3], 0 offset:132
	buffer_store_dword v3, off, s[0:3], 0 offset:128
	;; [unrolled: 1-line block ×4, first 2 shown]
.LBB47_43:
	s_or_b32 exec_lo, exec_lo, s4
	v_mov_b32_e32 v4, s52
	s_waitcnt_vscnt null, 0x0
	s_barrier
	buffer_gl0_inv
	s_mov_b32 s4, exec_lo
	s_clause 0x3
	buffer_load_dword v1, v4, s[0:3], 0 offen
	buffer_load_dword v2, v4, s[0:3], 0 offen offset:4
	buffer_load_dword v3, v4, s[0:3], 0 offen offset:8
	;; [unrolled: 1-line block ×3, first 2 shown]
	s_waitcnt vmcnt(0)
	ds_write_b128 v5, v[1:4]
	s_waitcnt lgkmcnt(0)
	s_barrier
	buffer_gl0_inv
	v_cmpx_gt_u32_e32 8, v0
	s_cbranch_execz .LBB47_47
; %bb.44:
	v_mov_b32_e32 v1, 0
	v_mov_b32_e32 v3, 0
	v_add_nc_u32_e32 v7, -1, v0
	v_add_nc_u32_e32 v8, 0x300, v161
	v_mov_b32_e32 v2, 0
	v_mov_b32_e32 v4, 0
	v_add_nc_u32_e32 v21, 16, v161
	s_mov_b32 s5, 0
	.p2align	6
.LBB47_45:                              ; =>This Inner Loop Header: Depth=1
	s_clause 0x3
	buffer_load_dword v26, v21, s[0:3], 0 offen offset:8
	buffer_load_dword v27, v21, s[0:3], 0 offen offset:12
	buffer_load_dword v28, v21, s[0:3], 0 offen
	buffer_load_dword v29, v21, s[0:3], 0 offen offset:4
	ds_read_b128 v[22:25], v8
	v_add_nc_u32_e32 v7, 1, v7
	v_add_nc_u32_e32 v8, 16, v8
	;; [unrolled: 1-line block ×3, first 2 shown]
	v_cmp_lt_u32_e32 vcc_lo, 6, v7
	s_or_b32 s5, vcc_lo, s5
	s_waitcnt vmcnt(2) lgkmcnt(0)
	v_mul_f64 v[30:31], v[24:25], v[26:27]
	v_mul_f64 v[26:27], v[22:23], v[26:27]
	s_waitcnt vmcnt(0)
	v_fma_f64 v[22:23], v[22:23], v[28:29], -v[30:31]
	v_fma_f64 v[24:25], v[24:25], v[28:29], v[26:27]
	v_add_f64 v[3:4], v[3:4], v[22:23]
	v_add_f64 v[1:2], v[1:2], v[24:25]
	s_andn2_b32 exec_lo, exec_lo, s5
	s_cbranch_execnz .LBB47_45
; %bb.46:
	s_or_b32 exec_lo, exec_lo, s5
	v_mov_b32_e32 v7, 0
	ds_read_b128 v[21:24], v7 offset:128
	s_waitcnt lgkmcnt(0)
	v_mul_f64 v[7:8], v[1:2], v[23:24]
	v_mul_f64 v[23:24], v[3:4], v[23:24]
	v_fma_f64 v[3:4], v[3:4], v[21:22], -v[7:8]
	v_fma_f64 v[1:2], v[1:2], v[21:22], v[23:24]
	buffer_store_dword v4, off, s[0:3], 0 offset:148
	buffer_store_dword v3, off, s[0:3], 0 offset:144
	;; [unrolled: 1-line block ×4, first 2 shown]
.LBB47_47:
	s_or_b32 exec_lo, exec_lo, s4
	v_mov_b32_e32 v4, s51
	s_waitcnt_vscnt null, 0x0
	s_barrier
	buffer_gl0_inv
	s_mov_b32 s4, exec_lo
	s_clause 0x3
	buffer_load_dword v1, v4, s[0:3], 0 offen
	buffer_load_dword v2, v4, s[0:3], 0 offen offset:4
	buffer_load_dword v3, v4, s[0:3], 0 offen offset:8
	;; [unrolled: 1-line block ×3, first 2 shown]
	s_waitcnt vmcnt(0)
	ds_write_b128 v5, v[1:4]
	s_waitcnt lgkmcnt(0)
	s_barrier
	buffer_gl0_inv
	v_cmpx_gt_u32_e32 9, v0
	s_cbranch_execz .LBB47_51
; %bb.48:
	v_mov_b32_e32 v1, 0
	v_mov_b32_e32 v3, 0
	v_add_nc_u32_e32 v7, -1, v0
	v_add_nc_u32_e32 v8, 0x300, v161
	v_mov_b32_e32 v2, 0
	v_mov_b32_e32 v4, 0
	v_add_nc_u32_e32 v21, 16, v161
	s_mov_b32 s5, 0
	.p2align	6
.LBB47_49:                              ; =>This Inner Loop Header: Depth=1
	s_clause 0x3
	buffer_load_dword v26, v21, s[0:3], 0 offen offset:8
	buffer_load_dword v27, v21, s[0:3], 0 offen offset:12
	buffer_load_dword v28, v21, s[0:3], 0 offen
	buffer_load_dword v29, v21, s[0:3], 0 offen offset:4
	ds_read_b128 v[22:25], v8
	v_add_nc_u32_e32 v7, 1, v7
	v_add_nc_u32_e32 v8, 16, v8
	;; [unrolled: 1-line block ×3, first 2 shown]
	v_cmp_lt_u32_e32 vcc_lo, 7, v7
	s_or_b32 s5, vcc_lo, s5
	s_waitcnt vmcnt(2) lgkmcnt(0)
	v_mul_f64 v[30:31], v[24:25], v[26:27]
	v_mul_f64 v[26:27], v[22:23], v[26:27]
	s_waitcnt vmcnt(0)
	v_fma_f64 v[22:23], v[22:23], v[28:29], -v[30:31]
	v_fma_f64 v[24:25], v[24:25], v[28:29], v[26:27]
	v_add_f64 v[3:4], v[3:4], v[22:23]
	v_add_f64 v[1:2], v[1:2], v[24:25]
	s_andn2_b32 exec_lo, exec_lo, s5
	s_cbranch_execnz .LBB47_49
; %bb.50:
	s_or_b32 exec_lo, exec_lo, s5
	v_mov_b32_e32 v7, 0
	ds_read_b128 v[21:24], v7 offset:144
	s_waitcnt lgkmcnt(0)
	v_mul_f64 v[7:8], v[1:2], v[23:24]
	v_mul_f64 v[23:24], v[3:4], v[23:24]
	v_fma_f64 v[3:4], v[3:4], v[21:22], -v[7:8]
	v_fma_f64 v[1:2], v[1:2], v[21:22], v[23:24]
	buffer_store_dword v4, off, s[0:3], 0 offset:164
	buffer_store_dword v3, off, s[0:3], 0 offset:160
	;; [unrolled: 1-line block ×4, first 2 shown]
.LBB47_51:
	s_or_b32 exec_lo, exec_lo, s4
	v_mov_b32_e32 v4, s50
	s_waitcnt_vscnt null, 0x0
	s_barrier
	buffer_gl0_inv
	s_mov_b32 s4, exec_lo
	s_clause 0x3
	buffer_load_dword v1, v4, s[0:3], 0 offen
	buffer_load_dword v2, v4, s[0:3], 0 offen offset:4
	buffer_load_dword v3, v4, s[0:3], 0 offen offset:8
	;; [unrolled: 1-line block ×3, first 2 shown]
	s_waitcnt vmcnt(0)
	ds_write_b128 v5, v[1:4]
	s_waitcnt lgkmcnt(0)
	s_barrier
	buffer_gl0_inv
	v_cmpx_gt_u32_e32 10, v0
	s_cbranch_execz .LBB47_55
; %bb.52:
	v_mov_b32_e32 v1, 0
	v_mov_b32_e32 v3, 0
	v_add_nc_u32_e32 v7, -1, v0
	v_add_nc_u32_e32 v8, 0x300, v161
	v_mov_b32_e32 v2, 0
	v_mov_b32_e32 v4, 0
	v_add_nc_u32_e32 v21, 16, v161
	s_mov_b32 s5, 0
	.p2align	6
.LBB47_53:                              ; =>This Inner Loop Header: Depth=1
	s_clause 0x3
	buffer_load_dword v26, v21, s[0:3], 0 offen offset:8
	buffer_load_dword v27, v21, s[0:3], 0 offen offset:12
	buffer_load_dword v28, v21, s[0:3], 0 offen
	buffer_load_dword v29, v21, s[0:3], 0 offen offset:4
	ds_read_b128 v[22:25], v8
	v_add_nc_u32_e32 v7, 1, v7
	v_add_nc_u32_e32 v8, 16, v8
	;; [unrolled: 1-line block ×3, first 2 shown]
	v_cmp_lt_u32_e32 vcc_lo, 8, v7
	s_or_b32 s5, vcc_lo, s5
	s_waitcnt vmcnt(2) lgkmcnt(0)
	v_mul_f64 v[30:31], v[24:25], v[26:27]
	v_mul_f64 v[26:27], v[22:23], v[26:27]
	s_waitcnt vmcnt(0)
	v_fma_f64 v[22:23], v[22:23], v[28:29], -v[30:31]
	v_fma_f64 v[24:25], v[24:25], v[28:29], v[26:27]
	v_add_f64 v[3:4], v[3:4], v[22:23]
	v_add_f64 v[1:2], v[1:2], v[24:25]
	s_andn2_b32 exec_lo, exec_lo, s5
	s_cbranch_execnz .LBB47_53
; %bb.54:
	s_or_b32 exec_lo, exec_lo, s5
	v_mov_b32_e32 v7, 0
	ds_read_b128 v[21:24], v7 offset:160
	s_waitcnt lgkmcnt(0)
	v_mul_f64 v[7:8], v[1:2], v[23:24]
	v_mul_f64 v[23:24], v[3:4], v[23:24]
	v_fma_f64 v[3:4], v[3:4], v[21:22], -v[7:8]
	v_fma_f64 v[1:2], v[1:2], v[21:22], v[23:24]
	buffer_store_dword v4, off, s[0:3], 0 offset:180
	buffer_store_dword v3, off, s[0:3], 0 offset:176
	buffer_store_dword v2, off, s[0:3], 0 offset:188
	buffer_store_dword v1, off, s[0:3], 0 offset:184
.LBB47_55:
	s_or_b32 exec_lo, exec_lo, s4
	v_mov_b32_e32 v4, s49
	s_waitcnt_vscnt null, 0x0
	s_barrier
	buffer_gl0_inv
	s_mov_b32 s4, exec_lo
	s_clause 0x3
	buffer_load_dword v1, v4, s[0:3], 0 offen
	buffer_load_dword v2, v4, s[0:3], 0 offen offset:4
	buffer_load_dword v3, v4, s[0:3], 0 offen offset:8
	;; [unrolled: 1-line block ×3, first 2 shown]
	s_waitcnt vmcnt(0)
	ds_write_b128 v5, v[1:4]
	s_waitcnt lgkmcnt(0)
	s_barrier
	buffer_gl0_inv
	v_cmpx_gt_u32_e32 11, v0
	s_cbranch_execz .LBB47_59
; %bb.56:
	v_mov_b32_e32 v1, 0
	v_mov_b32_e32 v3, 0
	v_add_nc_u32_e32 v7, -1, v0
	v_add_nc_u32_e32 v8, 0x300, v161
	v_mov_b32_e32 v2, 0
	v_mov_b32_e32 v4, 0
	v_add_nc_u32_e32 v21, 16, v161
	s_mov_b32 s5, 0
	.p2align	6
.LBB47_57:                              ; =>This Inner Loop Header: Depth=1
	s_clause 0x3
	buffer_load_dword v26, v21, s[0:3], 0 offen offset:8
	buffer_load_dword v27, v21, s[0:3], 0 offen offset:12
	buffer_load_dword v28, v21, s[0:3], 0 offen
	buffer_load_dword v29, v21, s[0:3], 0 offen offset:4
	ds_read_b128 v[22:25], v8
	v_add_nc_u32_e32 v7, 1, v7
	v_add_nc_u32_e32 v8, 16, v8
	;; [unrolled: 1-line block ×3, first 2 shown]
	v_cmp_lt_u32_e32 vcc_lo, 9, v7
	s_or_b32 s5, vcc_lo, s5
	s_waitcnt vmcnt(2) lgkmcnt(0)
	v_mul_f64 v[30:31], v[24:25], v[26:27]
	v_mul_f64 v[26:27], v[22:23], v[26:27]
	s_waitcnt vmcnt(0)
	v_fma_f64 v[22:23], v[22:23], v[28:29], -v[30:31]
	v_fma_f64 v[24:25], v[24:25], v[28:29], v[26:27]
	v_add_f64 v[3:4], v[3:4], v[22:23]
	v_add_f64 v[1:2], v[1:2], v[24:25]
	s_andn2_b32 exec_lo, exec_lo, s5
	s_cbranch_execnz .LBB47_57
; %bb.58:
	s_or_b32 exec_lo, exec_lo, s5
	v_mov_b32_e32 v7, 0
	ds_read_b128 v[21:24], v7 offset:176
	s_waitcnt lgkmcnt(0)
	v_mul_f64 v[7:8], v[1:2], v[23:24]
	v_mul_f64 v[23:24], v[3:4], v[23:24]
	v_fma_f64 v[3:4], v[3:4], v[21:22], -v[7:8]
	v_fma_f64 v[1:2], v[1:2], v[21:22], v[23:24]
	buffer_store_dword v4, off, s[0:3], 0 offset:196
	buffer_store_dword v3, off, s[0:3], 0 offset:192
	;; [unrolled: 1-line block ×4, first 2 shown]
.LBB47_59:
	s_or_b32 exec_lo, exec_lo, s4
	v_mov_b32_e32 v4, s48
	s_waitcnt_vscnt null, 0x0
	s_barrier
	buffer_gl0_inv
	s_mov_b32 s4, exec_lo
	s_clause 0x3
	buffer_load_dword v1, v4, s[0:3], 0 offen
	buffer_load_dword v2, v4, s[0:3], 0 offen offset:4
	buffer_load_dword v3, v4, s[0:3], 0 offen offset:8
	buffer_load_dword v4, v4, s[0:3], 0 offen offset:12
	s_waitcnt vmcnt(0)
	ds_write_b128 v5, v[1:4]
	s_waitcnt lgkmcnt(0)
	s_barrier
	buffer_gl0_inv
	v_cmpx_gt_u32_e32 12, v0
	s_cbranch_execz .LBB47_63
; %bb.60:
	v_mov_b32_e32 v1, 0
	v_mov_b32_e32 v3, 0
	v_add_nc_u32_e32 v7, -1, v0
	v_add_nc_u32_e32 v8, 0x300, v161
	v_mov_b32_e32 v2, 0
	v_mov_b32_e32 v4, 0
	v_add_nc_u32_e32 v21, 16, v161
	s_mov_b32 s5, 0
	.p2align	6
.LBB47_61:                              ; =>This Inner Loop Header: Depth=1
	s_clause 0x3
	buffer_load_dword v26, v21, s[0:3], 0 offen offset:8
	buffer_load_dword v27, v21, s[0:3], 0 offen offset:12
	buffer_load_dword v28, v21, s[0:3], 0 offen
	buffer_load_dword v29, v21, s[0:3], 0 offen offset:4
	ds_read_b128 v[22:25], v8
	v_add_nc_u32_e32 v7, 1, v7
	v_add_nc_u32_e32 v8, 16, v8
	;; [unrolled: 1-line block ×3, first 2 shown]
	v_cmp_lt_u32_e32 vcc_lo, 10, v7
	s_or_b32 s5, vcc_lo, s5
	s_waitcnt vmcnt(2) lgkmcnt(0)
	v_mul_f64 v[30:31], v[24:25], v[26:27]
	v_mul_f64 v[26:27], v[22:23], v[26:27]
	s_waitcnt vmcnt(0)
	v_fma_f64 v[22:23], v[22:23], v[28:29], -v[30:31]
	v_fma_f64 v[24:25], v[24:25], v[28:29], v[26:27]
	v_add_f64 v[3:4], v[3:4], v[22:23]
	v_add_f64 v[1:2], v[1:2], v[24:25]
	s_andn2_b32 exec_lo, exec_lo, s5
	s_cbranch_execnz .LBB47_61
; %bb.62:
	s_or_b32 exec_lo, exec_lo, s5
	v_mov_b32_e32 v7, 0
	ds_read_b128 v[21:24], v7 offset:192
	s_waitcnt lgkmcnt(0)
	v_mul_f64 v[7:8], v[1:2], v[23:24]
	v_mul_f64 v[23:24], v[3:4], v[23:24]
	v_fma_f64 v[3:4], v[3:4], v[21:22], -v[7:8]
	v_fma_f64 v[1:2], v[1:2], v[21:22], v[23:24]
	buffer_store_dword v4, off, s[0:3], 0 offset:212
	buffer_store_dword v3, off, s[0:3], 0 offset:208
	;; [unrolled: 1-line block ×4, first 2 shown]
.LBB47_63:
	s_or_b32 exec_lo, exec_lo, s4
	v_mov_b32_e32 v4, s47
	s_waitcnt_vscnt null, 0x0
	s_barrier
	buffer_gl0_inv
	s_mov_b32 s4, exec_lo
	s_clause 0x3
	buffer_load_dword v1, v4, s[0:3], 0 offen
	buffer_load_dword v2, v4, s[0:3], 0 offen offset:4
	buffer_load_dword v3, v4, s[0:3], 0 offen offset:8
	;; [unrolled: 1-line block ×3, first 2 shown]
	s_waitcnt vmcnt(0)
	ds_write_b128 v5, v[1:4]
	s_waitcnt lgkmcnt(0)
	s_barrier
	buffer_gl0_inv
	v_cmpx_gt_u32_e32 13, v0
	s_cbranch_execz .LBB47_67
; %bb.64:
	v_mov_b32_e32 v1, 0
	v_mov_b32_e32 v3, 0
	v_add_nc_u32_e32 v7, -1, v0
	v_add_nc_u32_e32 v8, 0x300, v161
	v_mov_b32_e32 v2, 0
	v_mov_b32_e32 v4, 0
	v_add_nc_u32_e32 v21, 16, v161
	s_mov_b32 s5, 0
	.p2align	6
.LBB47_65:                              ; =>This Inner Loop Header: Depth=1
	s_clause 0x3
	buffer_load_dword v26, v21, s[0:3], 0 offen offset:8
	buffer_load_dword v27, v21, s[0:3], 0 offen offset:12
	buffer_load_dword v28, v21, s[0:3], 0 offen
	buffer_load_dword v29, v21, s[0:3], 0 offen offset:4
	ds_read_b128 v[22:25], v8
	v_add_nc_u32_e32 v7, 1, v7
	v_add_nc_u32_e32 v8, 16, v8
	;; [unrolled: 1-line block ×3, first 2 shown]
	v_cmp_lt_u32_e32 vcc_lo, 11, v7
	s_or_b32 s5, vcc_lo, s5
	s_waitcnt vmcnt(2) lgkmcnt(0)
	v_mul_f64 v[30:31], v[24:25], v[26:27]
	v_mul_f64 v[26:27], v[22:23], v[26:27]
	s_waitcnt vmcnt(0)
	v_fma_f64 v[22:23], v[22:23], v[28:29], -v[30:31]
	v_fma_f64 v[24:25], v[24:25], v[28:29], v[26:27]
	v_add_f64 v[3:4], v[3:4], v[22:23]
	v_add_f64 v[1:2], v[1:2], v[24:25]
	s_andn2_b32 exec_lo, exec_lo, s5
	s_cbranch_execnz .LBB47_65
; %bb.66:
	s_or_b32 exec_lo, exec_lo, s5
	v_mov_b32_e32 v7, 0
	ds_read_b128 v[21:24], v7 offset:208
	s_waitcnt lgkmcnt(0)
	v_mul_f64 v[7:8], v[1:2], v[23:24]
	v_mul_f64 v[23:24], v[3:4], v[23:24]
	v_fma_f64 v[3:4], v[3:4], v[21:22], -v[7:8]
	v_fma_f64 v[1:2], v[1:2], v[21:22], v[23:24]
	buffer_store_dword v4, off, s[0:3], 0 offset:228
	buffer_store_dword v3, off, s[0:3], 0 offset:224
	buffer_store_dword v2, off, s[0:3], 0 offset:236
	buffer_store_dword v1, off, s[0:3], 0 offset:232
.LBB47_67:
	s_or_b32 exec_lo, exec_lo, s4
	v_mov_b32_e32 v4, s46
	s_waitcnt_vscnt null, 0x0
	s_barrier
	buffer_gl0_inv
	s_mov_b32 s4, exec_lo
	s_clause 0x3
	buffer_load_dword v1, v4, s[0:3], 0 offen
	buffer_load_dword v2, v4, s[0:3], 0 offen offset:4
	buffer_load_dword v3, v4, s[0:3], 0 offen offset:8
	buffer_load_dword v4, v4, s[0:3], 0 offen offset:12
	s_waitcnt vmcnt(0)
	ds_write_b128 v5, v[1:4]
	s_waitcnt lgkmcnt(0)
	s_barrier
	buffer_gl0_inv
	v_cmpx_gt_u32_e32 14, v0
	s_cbranch_execz .LBB47_71
; %bb.68:
	v_mov_b32_e32 v1, 0
	v_mov_b32_e32 v3, 0
	v_add_nc_u32_e32 v7, -1, v0
	v_add_nc_u32_e32 v8, 0x300, v161
	v_mov_b32_e32 v2, 0
	v_mov_b32_e32 v4, 0
	v_add_nc_u32_e32 v21, 16, v161
	s_mov_b32 s5, 0
	.p2align	6
.LBB47_69:                              ; =>This Inner Loop Header: Depth=1
	s_clause 0x3
	buffer_load_dword v26, v21, s[0:3], 0 offen offset:8
	buffer_load_dword v27, v21, s[0:3], 0 offen offset:12
	buffer_load_dword v28, v21, s[0:3], 0 offen
	buffer_load_dword v29, v21, s[0:3], 0 offen offset:4
	ds_read_b128 v[22:25], v8
	v_add_nc_u32_e32 v7, 1, v7
	v_add_nc_u32_e32 v8, 16, v8
	;; [unrolled: 1-line block ×3, first 2 shown]
	v_cmp_lt_u32_e32 vcc_lo, 12, v7
	s_or_b32 s5, vcc_lo, s5
	s_waitcnt vmcnt(2) lgkmcnt(0)
	v_mul_f64 v[30:31], v[24:25], v[26:27]
	v_mul_f64 v[26:27], v[22:23], v[26:27]
	s_waitcnt vmcnt(0)
	v_fma_f64 v[22:23], v[22:23], v[28:29], -v[30:31]
	v_fma_f64 v[24:25], v[24:25], v[28:29], v[26:27]
	v_add_f64 v[3:4], v[3:4], v[22:23]
	v_add_f64 v[1:2], v[1:2], v[24:25]
	s_andn2_b32 exec_lo, exec_lo, s5
	s_cbranch_execnz .LBB47_69
; %bb.70:
	s_or_b32 exec_lo, exec_lo, s5
	v_mov_b32_e32 v7, 0
	ds_read_b128 v[21:24], v7 offset:224
	s_waitcnt lgkmcnt(0)
	v_mul_f64 v[7:8], v[1:2], v[23:24]
	v_mul_f64 v[23:24], v[3:4], v[23:24]
	v_fma_f64 v[3:4], v[3:4], v[21:22], -v[7:8]
	v_fma_f64 v[1:2], v[1:2], v[21:22], v[23:24]
	buffer_store_dword v4, off, s[0:3], 0 offset:244
	buffer_store_dword v3, off, s[0:3], 0 offset:240
	;; [unrolled: 1-line block ×4, first 2 shown]
.LBB47_71:
	s_or_b32 exec_lo, exec_lo, s4
	v_mov_b32_e32 v4, s45
	s_waitcnt_vscnt null, 0x0
	s_barrier
	buffer_gl0_inv
	s_mov_b32 s4, exec_lo
	s_clause 0x3
	buffer_load_dword v1, v4, s[0:3], 0 offen
	buffer_load_dword v2, v4, s[0:3], 0 offen offset:4
	buffer_load_dword v3, v4, s[0:3], 0 offen offset:8
	;; [unrolled: 1-line block ×3, first 2 shown]
	s_waitcnt vmcnt(0)
	ds_write_b128 v5, v[1:4]
	s_waitcnt lgkmcnt(0)
	s_barrier
	buffer_gl0_inv
	v_cmpx_gt_u32_e32 15, v0
	s_cbranch_execz .LBB47_75
; %bb.72:
	v_mov_b32_e32 v1, 0
	v_mov_b32_e32 v3, 0
	v_add_nc_u32_e32 v7, -1, v0
	v_add_nc_u32_e32 v8, 0x300, v161
	v_mov_b32_e32 v2, 0
	v_mov_b32_e32 v4, 0
	v_add_nc_u32_e32 v21, 16, v161
	s_mov_b32 s5, 0
	.p2align	6
.LBB47_73:                              ; =>This Inner Loop Header: Depth=1
	s_clause 0x3
	buffer_load_dword v26, v21, s[0:3], 0 offen offset:8
	buffer_load_dword v27, v21, s[0:3], 0 offen offset:12
	buffer_load_dword v28, v21, s[0:3], 0 offen
	buffer_load_dword v29, v21, s[0:3], 0 offen offset:4
	ds_read_b128 v[22:25], v8
	v_add_nc_u32_e32 v7, 1, v7
	v_add_nc_u32_e32 v8, 16, v8
	;; [unrolled: 1-line block ×3, first 2 shown]
	v_cmp_lt_u32_e32 vcc_lo, 13, v7
	s_or_b32 s5, vcc_lo, s5
	s_waitcnt vmcnt(2) lgkmcnt(0)
	v_mul_f64 v[30:31], v[24:25], v[26:27]
	v_mul_f64 v[26:27], v[22:23], v[26:27]
	s_waitcnt vmcnt(0)
	v_fma_f64 v[22:23], v[22:23], v[28:29], -v[30:31]
	v_fma_f64 v[24:25], v[24:25], v[28:29], v[26:27]
	v_add_f64 v[3:4], v[3:4], v[22:23]
	v_add_f64 v[1:2], v[1:2], v[24:25]
	s_andn2_b32 exec_lo, exec_lo, s5
	s_cbranch_execnz .LBB47_73
; %bb.74:
	s_or_b32 exec_lo, exec_lo, s5
	v_mov_b32_e32 v7, 0
	ds_read_b128 v[21:24], v7 offset:240
	s_waitcnt lgkmcnt(0)
	v_mul_f64 v[7:8], v[1:2], v[23:24]
	v_mul_f64 v[23:24], v[3:4], v[23:24]
	v_fma_f64 v[3:4], v[3:4], v[21:22], -v[7:8]
	v_fma_f64 v[1:2], v[1:2], v[21:22], v[23:24]
	buffer_store_dword v4, off, s[0:3], 0 offset:260
	buffer_store_dword v3, off, s[0:3], 0 offset:256
	;; [unrolled: 1-line block ×4, first 2 shown]
.LBB47_75:
	s_or_b32 exec_lo, exec_lo, s4
	v_mov_b32_e32 v4, s44
	s_waitcnt_vscnt null, 0x0
	s_barrier
	buffer_gl0_inv
	s_mov_b32 s4, exec_lo
	s_clause 0x3
	buffer_load_dword v1, v4, s[0:3], 0 offen
	buffer_load_dword v2, v4, s[0:3], 0 offen offset:4
	buffer_load_dword v3, v4, s[0:3], 0 offen offset:8
	;; [unrolled: 1-line block ×3, first 2 shown]
	s_waitcnt vmcnt(0)
	ds_write_b128 v5, v[1:4]
	s_waitcnt lgkmcnt(0)
	s_barrier
	buffer_gl0_inv
	v_cmpx_gt_u32_e32 16, v0
	s_cbranch_execz .LBB47_79
; %bb.76:
	v_mov_b32_e32 v1, 0
	v_mov_b32_e32 v3, 0
	v_add_nc_u32_e32 v7, -1, v0
	v_add_nc_u32_e32 v8, 0x300, v161
	v_mov_b32_e32 v2, 0
	v_mov_b32_e32 v4, 0
	v_add_nc_u32_e32 v21, 16, v161
	s_mov_b32 s5, 0
	.p2align	6
.LBB47_77:                              ; =>This Inner Loop Header: Depth=1
	s_clause 0x3
	buffer_load_dword v26, v21, s[0:3], 0 offen offset:8
	buffer_load_dword v27, v21, s[0:3], 0 offen offset:12
	buffer_load_dword v28, v21, s[0:3], 0 offen
	buffer_load_dword v29, v21, s[0:3], 0 offen offset:4
	ds_read_b128 v[22:25], v8
	v_add_nc_u32_e32 v7, 1, v7
	v_add_nc_u32_e32 v8, 16, v8
	;; [unrolled: 1-line block ×3, first 2 shown]
	v_cmp_lt_u32_e32 vcc_lo, 14, v7
	s_or_b32 s5, vcc_lo, s5
	s_waitcnt vmcnt(2) lgkmcnt(0)
	v_mul_f64 v[30:31], v[24:25], v[26:27]
	v_mul_f64 v[26:27], v[22:23], v[26:27]
	s_waitcnt vmcnt(0)
	v_fma_f64 v[22:23], v[22:23], v[28:29], -v[30:31]
	v_fma_f64 v[24:25], v[24:25], v[28:29], v[26:27]
	v_add_f64 v[3:4], v[3:4], v[22:23]
	v_add_f64 v[1:2], v[1:2], v[24:25]
	s_andn2_b32 exec_lo, exec_lo, s5
	s_cbranch_execnz .LBB47_77
; %bb.78:
	s_or_b32 exec_lo, exec_lo, s5
	v_mov_b32_e32 v7, 0
	ds_read_b128 v[21:24], v7 offset:256
	s_waitcnt lgkmcnt(0)
	v_mul_f64 v[7:8], v[1:2], v[23:24]
	v_mul_f64 v[23:24], v[3:4], v[23:24]
	v_fma_f64 v[3:4], v[3:4], v[21:22], -v[7:8]
	v_fma_f64 v[1:2], v[1:2], v[21:22], v[23:24]
	buffer_store_dword v4, off, s[0:3], 0 offset:276
	buffer_store_dword v3, off, s[0:3], 0 offset:272
	;; [unrolled: 1-line block ×4, first 2 shown]
.LBB47_79:
	s_or_b32 exec_lo, exec_lo, s4
	v_mov_b32_e32 v4, s43
	s_waitcnt_vscnt null, 0x0
	s_barrier
	buffer_gl0_inv
	s_mov_b32 s4, exec_lo
	s_clause 0x3
	buffer_load_dword v1, v4, s[0:3], 0 offen
	buffer_load_dword v2, v4, s[0:3], 0 offen offset:4
	buffer_load_dword v3, v4, s[0:3], 0 offen offset:8
	;; [unrolled: 1-line block ×3, first 2 shown]
	s_waitcnt vmcnt(0)
	ds_write_b128 v5, v[1:4]
	s_waitcnt lgkmcnt(0)
	s_barrier
	buffer_gl0_inv
	v_cmpx_gt_u32_e32 17, v0
	s_cbranch_execz .LBB47_83
; %bb.80:
	v_mov_b32_e32 v1, 0
	v_mov_b32_e32 v3, 0
	v_add_nc_u32_e32 v7, -1, v0
	v_add_nc_u32_e32 v8, 0x300, v161
	v_mov_b32_e32 v2, 0
	v_mov_b32_e32 v4, 0
	v_add_nc_u32_e32 v21, 16, v161
	s_mov_b32 s5, 0
	.p2align	6
.LBB47_81:                              ; =>This Inner Loop Header: Depth=1
	s_clause 0x3
	buffer_load_dword v26, v21, s[0:3], 0 offen offset:8
	buffer_load_dword v27, v21, s[0:3], 0 offen offset:12
	buffer_load_dword v28, v21, s[0:3], 0 offen
	buffer_load_dword v29, v21, s[0:3], 0 offen offset:4
	ds_read_b128 v[22:25], v8
	v_add_nc_u32_e32 v7, 1, v7
	v_add_nc_u32_e32 v8, 16, v8
	;; [unrolled: 1-line block ×3, first 2 shown]
	v_cmp_lt_u32_e32 vcc_lo, 15, v7
	s_or_b32 s5, vcc_lo, s5
	s_waitcnt vmcnt(2) lgkmcnt(0)
	v_mul_f64 v[30:31], v[24:25], v[26:27]
	v_mul_f64 v[26:27], v[22:23], v[26:27]
	s_waitcnt vmcnt(0)
	v_fma_f64 v[22:23], v[22:23], v[28:29], -v[30:31]
	v_fma_f64 v[24:25], v[24:25], v[28:29], v[26:27]
	v_add_f64 v[3:4], v[3:4], v[22:23]
	v_add_f64 v[1:2], v[1:2], v[24:25]
	s_andn2_b32 exec_lo, exec_lo, s5
	s_cbranch_execnz .LBB47_81
; %bb.82:
	s_or_b32 exec_lo, exec_lo, s5
	v_mov_b32_e32 v7, 0
	ds_read_b128 v[21:24], v7 offset:272
	s_waitcnt lgkmcnt(0)
	v_mul_f64 v[7:8], v[1:2], v[23:24]
	v_mul_f64 v[23:24], v[3:4], v[23:24]
	v_fma_f64 v[3:4], v[3:4], v[21:22], -v[7:8]
	v_fma_f64 v[1:2], v[1:2], v[21:22], v[23:24]
	buffer_store_dword v4, off, s[0:3], 0 offset:292
	buffer_store_dword v3, off, s[0:3], 0 offset:288
	buffer_store_dword v2, off, s[0:3], 0 offset:300
	buffer_store_dword v1, off, s[0:3], 0 offset:296
.LBB47_83:
	s_or_b32 exec_lo, exec_lo, s4
	v_mov_b32_e32 v4, s42
	s_waitcnt_vscnt null, 0x0
	s_barrier
	buffer_gl0_inv
	s_mov_b32 s4, exec_lo
	s_clause 0x3
	buffer_load_dword v1, v4, s[0:3], 0 offen
	buffer_load_dword v2, v4, s[0:3], 0 offen offset:4
	buffer_load_dword v3, v4, s[0:3], 0 offen offset:8
	buffer_load_dword v4, v4, s[0:3], 0 offen offset:12
	s_waitcnt vmcnt(0)
	ds_write_b128 v5, v[1:4]
	s_waitcnt lgkmcnt(0)
	s_barrier
	buffer_gl0_inv
	v_cmpx_gt_u32_e32 18, v0
	s_cbranch_execz .LBB47_87
; %bb.84:
	v_mov_b32_e32 v1, 0
	v_mov_b32_e32 v3, 0
	v_add_nc_u32_e32 v7, -1, v0
	v_add_nc_u32_e32 v8, 0x300, v161
	v_mov_b32_e32 v2, 0
	v_mov_b32_e32 v4, 0
	v_add_nc_u32_e32 v21, 16, v161
	s_mov_b32 s5, 0
	.p2align	6
.LBB47_85:                              ; =>This Inner Loop Header: Depth=1
	s_clause 0x3
	buffer_load_dword v26, v21, s[0:3], 0 offen offset:8
	buffer_load_dword v27, v21, s[0:3], 0 offen offset:12
	buffer_load_dword v28, v21, s[0:3], 0 offen
	buffer_load_dword v29, v21, s[0:3], 0 offen offset:4
	ds_read_b128 v[22:25], v8
	v_add_nc_u32_e32 v7, 1, v7
	v_add_nc_u32_e32 v8, 16, v8
	;; [unrolled: 1-line block ×3, first 2 shown]
	v_cmp_lt_u32_e32 vcc_lo, 16, v7
	s_or_b32 s5, vcc_lo, s5
	s_waitcnt vmcnt(2) lgkmcnt(0)
	v_mul_f64 v[30:31], v[24:25], v[26:27]
	v_mul_f64 v[26:27], v[22:23], v[26:27]
	s_waitcnt vmcnt(0)
	v_fma_f64 v[22:23], v[22:23], v[28:29], -v[30:31]
	v_fma_f64 v[24:25], v[24:25], v[28:29], v[26:27]
	v_add_f64 v[3:4], v[3:4], v[22:23]
	v_add_f64 v[1:2], v[1:2], v[24:25]
	s_andn2_b32 exec_lo, exec_lo, s5
	s_cbranch_execnz .LBB47_85
; %bb.86:
	s_or_b32 exec_lo, exec_lo, s5
	v_mov_b32_e32 v7, 0
	ds_read_b128 v[21:24], v7 offset:288
	s_waitcnt lgkmcnt(0)
	v_mul_f64 v[7:8], v[1:2], v[23:24]
	v_mul_f64 v[23:24], v[3:4], v[23:24]
	v_fma_f64 v[3:4], v[3:4], v[21:22], -v[7:8]
	v_fma_f64 v[1:2], v[1:2], v[21:22], v[23:24]
	buffer_store_dword v4, off, s[0:3], 0 offset:308
	buffer_store_dword v3, off, s[0:3], 0 offset:304
	;; [unrolled: 1-line block ×4, first 2 shown]
.LBB47_87:
	s_or_b32 exec_lo, exec_lo, s4
	v_mov_b32_e32 v4, s41
	s_waitcnt_vscnt null, 0x0
	s_barrier
	buffer_gl0_inv
	s_mov_b32 s4, exec_lo
	s_clause 0x3
	buffer_load_dword v1, v4, s[0:3], 0 offen
	buffer_load_dword v2, v4, s[0:3], 0 offen offset:4
	buffer_load_dword v3, v4, s[0:3], 0 offen offset:8
	;; [unrolled: 1-line block ×3, first 2 shown]
	s_waitcnt vmcnt(0)
	ds_write_b128 v5, v[1:4]
	s_waitcnt lgkmcnt(0)
	s_barrier
	buffer_gl0_inv
	v_cmpx_gt_u32_e32 19, v0
	s_cbranch_execz .LBB47_91
; %bb.88:
	v_mov_b32_e32 v1, 0
	v_mov_b32_e32 v3, 0
	v_add_nc_u32_e32 v7, -1, v0
	v_add_nc_u32_e32 v8, 0x300, v161
	v_mov_b32_e32 v2, 0
	v_mov_b32_e32 v4, 0
	v_add_nc_u32_e32 v21, 16, v161
	s_mov_b32 s5, 0
	.p2align	6
.LBB47_89:                              ; =>This Inner Loop Header: Depth=1
	s_clause 0x3
	buffer_load_dword v26, v21, s[0:3], 0 offen offset:8
	buffer_load_dword v27, v21, s[0:3], 0 offen offset:12
	buffer_load_dword v28, v21, s[0:3], 0 offen
	buffer_load_dword v29, v21, s[0:3], 0 offen offset:4
	ds_read_b128 v[22:25], v8
	v_add_nc_u32_e32 v7, 1, v7
	v_add_nc_u32_e32 v8, 16, v8
	;; [unrolled: 1-line block ×3, first 2 shown]
	v_cmp_lt_u32_e32 vcc_lo, 17, v7
	s_or_b32 s5, vcc_lo, s5
	s_waitcnt vmcnt(2) lgkmcnt(0)
	v_mul_f64 v[30:31], v[24:25], v[26:27]
	v_mul_f64 v[26:27], v[22:23], v[26:27]
	s_waitcnt vmcnt(0)
	v_fma_f64 v[22:23], v[22:23], v[28:29], -v[30:31]
	v_fma_f64 v[24:25], v[24:25], v[28:29], v[26:27]
	v_add_f64 v[3:4], v[3:4], v[22:23]
	v_add_f64 v[1:2], v[1:2], v[24:25]
	s_andn2_b32 exec_lo, exec_lo, s5
	s_cbranch_execnz .LBB47_89
; %bb.90:
	s_or_b32 exec_lo, exec_lo, s5
	v_mov_b32_e32 v7, 0
	ds_read_b128 v[21:24], v7 offset:304
	s_waitcnt lgkmcnt(0)
	v_mul_f64 v[7:8], v[1:2], v[23:24]
	v_mul_f64 v[23:24], v[3:4], v[23:24]
	v_fma_f64 v[3:4], v[3:4], v[21:22], -v[7:8]
	v_fma_f64 v[1:2], v[1:2], v[21:22], v[23:24]
	buffer_store_dword v4, off, s[0:3], 0 offset:324
	buffer_store_dword v3, off, s[0:3], 0 offset:320
	;; [unrolled: 1-line block ×4, first 2 shown]
.LBB47_91:
	s_or_b32 exec_lo, exec_lo, s4
	v_mov_b32_e32 v4, s40
	s_waitcnt_vscnt null, 0x0
	s_barrier
	buffer_gl0_inv
	s_mov_b32 s4, exec_lo
	s_clause 0x3
	buffer_load_dword v1, v4, s[0:3], 0 offen
	buffer_load_dword v2, v4, s[0:3], 0 offen offset:4
	buffer_load_dword v3, v4, s[0:3], 0 offen offset:8
	;; [unrolled: 1-line block ×3, first 2 shown]
	s_waitcnt vmcnt(0)
	ds_write_b128 v5, v[1:4]
	s_waitcnt lgkmcnt(0)
	s_barrier
	buffer_gl0_inv
	v_cmpx_gt_u32_e32 20, v0
	s_cbranch_execz .LBB47_95
; %bb.92:
	v_mov_b32_e32 v1, 0
	v_mov_b32_e32 v3, 0
	v_add_nc_u32_e32 v7, -1, v0
	v_add_nc_u32_e32 v8, 0x300, v161
	v_mov_b32_e32 v2, 0
	v_mov_b32_e32 v4, 0
	v_add_nc_u32_e32 v21, 16, v161
	s_mov_b32 s5, 0
	.p2align	6
.LBB47_93:                              ; =>This Inner Loop Header: Depth=1
	s_clause 0x3
	buffer_load_dword v26, v21, s[0:3], 0 offen offset:8
	buffer_load_dword v27, v21, s[0:3], 0 offen offset:12
	buffer_load_dword v28, v21, s[0:3], 0 offen
	buffer_load_dword v29, v21, s[0:3], 0 offen offset:4
	ds_read_b128 v[22:25], v8
	v_add_nc_u32_e32 v7, 1, v7
	v_add_nc_u32_e32 v8, 16, v8
	;; [unrolled: 1-line block ×3, first 2 shown]
	v_cmp_lt_u32_e32 vcc_lo, 18, v7
	s_or_b32 s5, vcc_lo, s5
	s_waitcnt vmcnt(2) lgkmcnt(0)
	v_mul_f64 v[30:31], v[24:25], v[26:27]
	v_mul_f64 v[26:27], v[22:23], v[26:27]
	s_waitcnt vmcnt(0)
	v_fma_f64 v[22:23], v[22:23], v[28:29], -v[30:31]
	v_fma_f64 v[24:25], v[24:25], v[28:29], v[26:27]
	v_add_f64 v[3:4], v[3:4], v[22:23]
	v_add_f64 v[1:2], v[1:2], v[24:25]
	s_andn2_b32 exec_lo, exec_lo, s5
	s_cbranch_execnz .LBB47_93
; %bb.94:
	s_or_b32 exec_lo, exec_lo, s5
	v_mov_b32_e32 v7, 0
	ds_read_b128 v[21:24], v7 offset:320
	s_waitcnt lgkmcnt(0)
	v_mul_f64 v[7:8], v[1:2], v[23:24]
	v_mul_f64 v[23:24], v[3:4], v[23:24]
	v_fma_f64 v[3:4], v[3:4], v[21:22], -v[7:8]
	v_fma_f64 v[1:2], v[1:2], v[21:22], v[23:24]
	buffer_store_dword v4, off, s[0:3], 0 offset:340
	buffer_store_dword v3, off, s[0:3], 0 offset:336
	;; [unrolled: 1-line block ×4, first 2 shown]
.LBB47_95:
	s_or_b32 exec_lo, exec_lo, s4
	v_mov_b32_e32 v4, s39
	s_waitcnt_vscnt null, 0x0
	s_barrier
	buffer_gl0_inv
	s_mov_b32 s4, exec_lo
	s_clause 0x3
	buffer_load_dword v1, v4, s[0:3], 0 offen
	buffer_load_dword v2, v4, s[0:3], 0 offen offset:4
	buffer_load_dword v3, v4, s[0:3], 0 offen offset:8
	;; [unrolled: 1-line block ×3, first 2 shown]
	s_waitcnt vmcnt(0)
	ds_write_b128 v5, v[1:4]
	s_waitcnt lgkmcnt(0)
	s_barrier
	buffer_gl0_inv
	v_cmpx_gt_u32_e32 21, v0
	s_cbranch_execz .LBB47_99
; %bb.96:
	v_mov_b32_e32 v1, 0
	v_mov_b32_e32 v3, 0
	v_add_nc_u32_e32 v7, -1, v0
	v_add_nc_u32_e32 v8, 0x300, v161
	v_mov_b32_e32 v2, 0
	v_mov_b32_e32 v4, 0
	v_add_nc_u32_e32 v21, 16, v161
	s_mov_b32 s5, 0
	.p2align	6
.LBB47_97:                              ; =>This Inner Loop Header: Depth=1
	s_clause 0x3
	buffer_load_dword v26, v21, s[0:3], 0 offen offset:8
	buffer_load_dword v27, v21, s[0:3], 0 offen offset:12
	buffer_load_dword v28, v21, s[0:3], 0 offen
	buffer_load_dword v29, v21, s[0:3], 0 offen offset:4
	ds_read_b128 v[22:25], v8
	v_add_nc_u32_e32 v7, 1, v7
	v_add_nc_u32_e32 v8, 16, v8
	;; [unrolled: 1-line block ×3, first 2 shown]
	v_cmp_lt_u32_e32 vcc_lo, 19, v7
	s_or_b32 s5, vcc_lo, s5
	s_waitcnt vmcnt(2) lgkmcnt(0)
	v_mul_f64 v[30:31], v[24:25], v[26:27]
	v_mul_f64 v[26:27], v[22:23], v[26:27]
	s_waitcnt vmcnt(0)
	v_fma_f64 v[22:23], v[22:23], v[28:29], -v[30:31]
	v_fma_f64 v[24:25], v[24:25], v[28:29], v[26:27]
	v_add_f64 v[3:4], v[3:4], v[22:23]
	v_add_f64 v[1:2], v[1:2], v[24:25]
	s_andn2_b32 exec_lo, exec_lo, s5
	s_cbranch_execnz .LBB47_97
; %bb.98:
	s_or_b32 exec_lo, exec_lo, s5
	v_mov_b32_e32 v7, 0
	ds_read_b128 v[21:24], v7 offset:336
	s_waitcnt lgkmcnt(0)
	v_mul_f64 v[7:8], v[1:2], v[23:24]
	v_mul_f64 v[23:24], v[3:4], v[23:24]
	v_fma_f64 v[3:4], v[3:4], v[21:22], -v[7:8]
	v_fma_f64 v[1:2], v[1:2], v[21:22], v[23:24]
	buffer_store_dword v4, off, s[0:3], 0 offset:356
	buffer_store_dword v3, off, s[0:3], 0 offset:352
	;; [unrolled: 1-line block ×4, first 2 shown]
.LBB47_99:
	s_or_b32 exec_lo, exec_lo, s4
	v_mov_b32_e32 v4, s38
	s_waitcnt_vscnt null, 0x0
	s_barrier
	buffer_gl0_inv
	s_mov_b32 s4, exec_lo
	s_clause 0x3
	buffer_load_dword v1, v4, s[0:3], 0 offen
	buffer_load_dword v2, v4, s[0:3], 0 offen offset:4
	buffer_load_dword v3, v4, s[0:3], 0 offen offset:8
	buffer_load_dword v4, v4, s[0:3], 0 offen offset:12
	s_waitcnt vmcnt(0)
	ds_write_b128 v5, v[1:4]
	s_waitcnt lgkmcnt(0)
	s_barrier
	buffer_gl0_inv
	v_cmpx_gt_u32_e32 22, v0
	s_cbranch_execz .LBB47_103
; %bb.100:
	v_mov_b32_e32 v1, 0
	v_mov_b32_e32 v3, 0
	v_add_nc_u32_e32 v7, -1, v0
	v_add_nc_u32_e32 v8, 0x300, v161
	v_mov_b32_e32 v2, 0
	v_mov_b32_e32 v4, 0
	v_add_nc_u32_e32 v21, 16, v161
	s_mov_b32 s5, 0
	.p2align	6
.LBB47_101:                             ; =>This Inner Loop Header: Depth=1
	s_clause 0x3
	buffer_load_dword v26, v21, s[0:3], 0 offen offset:8
	buffer_load_dword v27, v21, s[0:3], 0 offen offset:12
	buffer_load_dword v28, v21, s[0:3], 0 offen
	buffer_load_dword v29, v21, s[0:3], 0 offen offset:4
	ds_read_b128 v[22:25], v8
	v_add_nc_u32_e32 v7, 1, v7
	v_add_nc_u32_e32 v8, 16, v8
	v_add_nc_u32_e32 v21, 16, v21
	v_cmp_lt_u32_e32 vcc_lo, 20, v7
	s_or_b32 s5, vcc_lo, s5
	s_waitcnt vmcnt(2) lgkmcnt(0)
	v_mul_f64 v[30:31], v[24:25], v[26:27]
	v_mul_f64 v[26:27], v[22:23], v[26:27]
	s_waitcnt vmcnt(0)
	v_fma_f64 v[22:23], v[22:23], v[28:29], -v[30:31]
	v_fma_f64 v[24:25], v[24:25], v[28:29], v[26:27]
	v_add_f64 v[3:4], v[3:4], v[22:23]
	v_add_f64 v[1:2], v[1:2], v[24:25]
	s_andn2_b32 exec_lo, exec_lo, s5
	s_cbranch_execnz .LBB47_101
; %bb.102:
	s_or_b32 exec_lo, exec_lo, s5
	v_mov_b32_e32 v7, 0
	ds_read_b128 v[21:24], v7 offset:352
	s_waitcnt lgkmcnt(0)
	v_mul_f64 v[7:8], v[1:2], v[23:24]
	v_mul_f64 v[23:24], v[3:4], v[23:24]
	v_fma_f64 v[3:4], v[3:4], v[21:22], -v[7:8]
	v_fma_f64 v[1:2], v[1:2], v[21:22], v[23:24]
	buffer_store_dword v4, off, s[0:3], 0 offset:372
	buffer_store_dword v3, off, s[0:3], 0 offset:368
	;; [unrolled: 1-line block ×4, first 2 shown]
.LBB47_103:
	s_or_b32 exec_lo, exec_lo, s4
	v_mov_b32_e32 v4, s37
	s_waitcnt_vscnt null, 0x0
	s_barrier
	buffer_gl0_inv
	s_mov_b32 s4, exec_lo
	s_clause 0x3
	buffer_load_dword v1, v4, s[0:3], 0 offen
	buffer_load_dword v2, v4, s[0:3], 0 offen offset:4
	buffer_load_dword v3, v4, s[0:3], 0 offen offset:8
	;; [unrolled: 1-line block ×3, first 2 shown]
	s_waitcnt vmcnt(0)
	ds_write_b128 v5, v[1:4]
	s_waitcnt lgkmcnt(0)
	s_barrier
	buffer_gl0_inv
	v_cmpx_gt_u32_e32 23, v0
	s_cbranch_execz .LBB47_107
; %bb.104:
	v_mov_b32_e32 v1, 0
	v_mov_b32_e32 v3, 0
	v_add_nc_u32_e32 v7, -1, v0
	v_add_nc_u32_e32 v8, 0x300, v161
	v_mov_b32_e32 v2, 0
	v_mov_b32_e32 v4, 0
	v_add_nc_u32_e32 v21, 16, v161
	s_mov_b32 s5, 0
	.p2align	6
.LBB47_105:                             ; =>This Inner Loop Header: Depth=1
	s_clause 0x3
	buffer_load_dword v26, v21, s[0:3], 0 offen offset:8
	buffer_load_dword v27, v21, s[0:3], 0 offen offset:12
	buffer_load_dword v28, v21, s[0:3], 0 offen
	buffer_load_dword v29, v21, s[0:3], 0 offen offset:4
	ds_read_b128 v[22:25], v8
	v_add_nc_u32_e32 v7, 1, v7
	v_add_nc_u32_e32 v8, 16, v8
	;; [unrolled: 1-line block ×3, first 2 shown]
	v_cmp_lt_u32_e32 vcc_lo, 21, v7
	s_or_b32 s5, vcc_lo, s5
	s_waitcnt vmcnt(2) lgkmcnt(0)
	v_mul_f64 v[30:31], v[24:25], v[26:27]
	v_mul_f64 v[26:27], v[22:23], v[26:27]
	s_waitcnt vmcnt(0)
	v_fma_f64 v[22:23], v[22:23], v[28:29], -v[30:31]
	v_fma_f64 v[24:25], v[24:25], v[28:29], v[26:27]
	v_add_f64 v[3:4], v[3:4], v[22:23]
	v_add_f64 v[1:2], v[1:2], v[24:25]
	s_andn2_b32 exec_lo, exec_lo, s5
	s_cbranch_execnz .LBB47_105
; %bb.106:
	s_or_b32 exec_lo, exec_lo, s5
	v_mov_b32_e32 v7, 0
	ds_read_b128 v[21:24], v7 offset:368
	s_waitcnt lgkmcnt(0)
	v_mul_f64 v[7:8], v[1:2], v[23:24]
	v_mul_f64 v[23:24], v[3:4], v[23:24]
	v_fma_f64 v[3:4], v[3:4], v[21:22], -v[7:8]
	v_fma_f64 v[1:2], v[1:2], v[21:22], v[23:24]
	buffer_store_dword v4, off, s[0:3], 0 offset:388
	buffer_store_dword v3, off, s[0:3], 0 offset:384
	;; [unrolled: 1-line block ×4, first 2 shown]
.LBB47_107:
	s_or_b32 exec_lo, exec_lo, s4
	v_mov_b32_e32 v4, s36
	s_waitcnt_vscnt null, 0x0
	s_barrier
	buffer_gl0_inv
	s_mov_b32 s4, exec_lo
	s_clause 0x3
	buffer_load_dword v1, v4, s[0:3], 0 offen
	buffer_load_dword v2, v4, s[0:3], 0 offen offset:4
	buffer_load_dword v3, v4, s[0:3], 0 offen offset:8
	;; [unrolled: 1-line block ×3, first 2 shown]
	s_waitcnt vmcnt(0)
	ds_write_b128 v5, v[1:4]
	s_waitcnt lgkmcnt(0)
	s_barrier
	buffer_gl0_inv
	v_cmpx_gt_u32_e32 24, v0
	s_cbranch_execz .LBB47_111
; %bb.108:
	v_mov_b32_e32 v1, 0
	v_mov_b32_e32 v3, 0
	v_add_nc_u32_e32 v7, -1, v0
	v_add_nc_u32_e32 v8, 0x300, v161
	v_mov_b32_e32 v2, 0
	v_mov_b32_e32 v4, 0
	v_add_nc_u32_e32 v21, 16, v161
	s_mov_b32 s5, 0
	.p2align	6
.LBB47_109:                             ; =>This Inner Loop Header: Depth=1
	s_clause 0x3
	buffer_load_dword v26, v21, s[0:3], 0 offen offset:8
	buffer_load_dword v27, v21, s[0:3], 0 offen offset:12
	buffer_load_dword v28, v21, s[0:3], 0 offen
	buffer_load_dword v29, v21, s[0:3], 0 offen offset:4
	ds_read_b128 v[22:25], v8
	v_add_nc_u32_e32 v7, 1, v7
	v_add_nc_u32_e32 v8, 16, v8
	;; [unrolled: 1-line block ×3, first 2 shown]
	v_cmp_lt_u32_e32 vcc_lo, 22, v7
	s_or_b32 s5, vcc_lo, s5
	s_waitcnt vmcnt(2) lgkmcnt(0)
	v_mul_f64 v[30:31], v[24:25], v[26:27]
	v_mul_f64 v[26:27], v[22:23], v[26:27]
	s_waitcnt vmcnt(0)
	v_fma_f64 v[22:23], v[22:23], v[28:29], -v[30:31]
	v_fma_f64 v[24:25], v[24:25], v[28:29], v[26:27]
	v_add_f64 v[3:4], v[3:4], v[22:23]
	v_add_f64 v[1:2], v[1:2], v[24:25]
	s_andn2_b32 exec_lo, exec_lo, s5
	s_cbranch_execnz .LBB47_109
; %bb.110:
	s_or_b32 exec_lo, exec_lo, s5
	v_mov_b32_e32 v7, 0
	ds_read_b128 v[21:24], v7 offset:384
	s_waitcnt lgkmcnt(0)
	v_mul_f64 v[7:8], v[1:2], v[23:24]
	v_mul_f64 v[23:24], v[3:4], v[23:24]
	v_fma_f64 v[3:4], v[3:4], v[21:22], -v[7:8]
	v_fma_f64 v[1:2], v[1:2], v[21:22], v[23:24]
	buffer_store_dword v4, off, s[0:3], 0 offset:404
	buffer_store_dword v3, off, s[0:3], 0 offset:400
	;; [unrolled: 1-line block ×4, first 2 shown]
.LBB47_111:
	s_or_b32 exec_lo, exec_lo, s4
	v_mov_b32_e32 v4, s35
	s_waitcnt_vscnt null, 0x0
	s_barrier
	buffer_gl0_inv
	s_mov_b32 s4, exec_lo
	s_clause 0x3
	buffer_load_dword v1, v4, s[0:3], 0 offen
	buffer_load_dword v2, v4, s[0:3], 0 offen offset:4
	buffer_load_dword v3, v4, s[0:3], 0 offen offset:8
	;; [unrolled: 1-line block ×3, first 2 shown]
	s_waitcnt vmcnt(0)
	ds_write_b128 v5, v[1:4]
	s_waitcnt lgkmcnt(0)
	s_barrier
	buffer_gl0_inv
	v_cmpx_gt_u32_e32 25, v0
	s_cbranch_execz .LBB47_115
; %bb.112:
	v_mov_b32_e32 v1, 0
	v_mov_b32_e32 v3, 0
	v_add_nc_u32_e32 v7, -1, v0
	v_add_nc_u32_e32 v8, 0x300, v161
	v_mov_b32_e32 v2, 0
	v_mov_b32_e32 v4, 0
	v_add_nc_u32_e32 v21, 16, v161
	s_mov_b32 s5, 0
	.p2align	6
.LBB47_113:                             ; =>This Inner Loop Header: Depth=1
	s_clause 0x3
	buffer_load_dword v26, v21, s[0:3], 0 offen offset:8
	buffer_load_dword v27, v21, s[0:3], 0 offen offset:12
	buffer_load_dword v28, v21, s[0:3], 0 offen
	buffer_load_dword v29, v21, s[0:3], 0 offen offset:4
	ds_read_b128 v[22:25], v8
	v_add_nc_u32_e32 v7, 1, v7
	v_add_nc_u32_e32 v8, 16, v8
	;; [unrolled: 1-line block ×3, first 2 shown]
	v_cmp_lt_u32_e32 vcc_lo, 23, v7
	s_or_b32 s5, vcc_lo, s5
	s_waitcnt vmcnt(2) lgkmcnt(0)
	v_mul_f64 v[30:31], v[24:25], v[26:27]
	v_mul_f64 v[26:27], v[22:23], v[26:27]
	s_waitcnt vmcnt(0)
	v_fma_f64 v[22:23], v[22:23], v[28:29], -v[30:31]
	v_fma_f64 v[24:25], v[24:25], v[28:29], v[26:27]
	v_add_f64 v[3:4], v[3:4], v[22:23]
	v_add_f64 v[1:2], v[1:2], v[24:25]
	s_andn2_b32 exec_lo, exec_lo, s5
	s_cbranch_execnz .LBB47_113
; %bb.114:
	s_or_b32 exec_lo, exec_lo, s5
	v_mov_b32_e32 v7, 0
	ds_read_b128 v[21:24], v7 offset:400
	s_waitcnt lgkmcnt(0)
	v_mul_f64 v[7:8], v[1:2], v[23:24]
	v_mul_f64 v[23:24], v[3:4], v[23:24]
	v_fma_f64 v[3:4], v[3:4], v[21:22], -v[7:8]
	v_fma_f64 v[1:2], v[1:2], v[21:22], v[23:24]
	buffer_store_dword v4, off, s[0:3], 0 offset:420
	buffer_store_dword v3, off, s[0:3], 0 offset:416
	;; [unrolled: 1-line block ×4, first 2 shown]
.LBB47_115:
	s_or_b32 exec_lo, exec_lo, s4
	v_mov_b32_e32 v4, s34
	s_waitcnt_vscnt null, 0x0
	s_barrier
	buffer_gl0_inv
	s_mov_b32 s4, exec_lo
	s_clause 0x3
	buffer_load_dword v1, v4, s[0:3], 0 offen
	buffer_load_dword v2, v4, s[0:3], 0 offen offset:4
	buffer_load_dword v3, v4, s[0:3], 0 offen offset:8
	;; [unrolled: 1-line block ×3, first 2 shown]
	s_waitcnt vmcnt(0)
	ds_write_b128 v5, v[1:4]
	s_waitcnt lgkmcnt(0)
	s_barrier
	buffer_gl0_inv
	v_cmpx_gt_u32_e32 26, v0
	s_cbranch_execz .LBB47_119
; %bb.116:
	v_mov_b32_e32 v1, 0
	v_mov_b32_e32 v3, 0
	v_add_nc_u32_e32 v7, -1, v0
	v_add_nc_u32_e32 v8, 0x300, v161
	v_mov_b32_e32 v2, 0
	v_mov_b32_e32 v4, 0
	v_add_nc_u32_e32 v21, 16, v161
	s_mov_b32 s5, 0
	.p2align	6
.LBB47_117:                             ; =>This Inner Loop Header: Depth=1
	s_clause 0x3
	buffer_load_dword v26, v21, s[0:3], 0 offen offset:8
	buffer_load_dword v27, v21, s[0:3], 0 offen offset:12
	buffer_load_dword v28, v21, s[0:3], 0 offen
	buffer_load_dword v29, v21, s[0:3], 0 offen offset:4
	ds_read_b128 v[22:25], v8
	v_add_nc_u32_e32 v7, 1, v7
	v_add_nc_u32_e32 v8, 16, v8
	;; [unrolled: 1-line block ×3, first 2 shown]
	v_cmp_lt_u32_e32 vcc_lo, 24, v7
	s_or_b32 s5, vcc_lo, s5
	s_waitcnt vmcnt(2) lgkmcnt(0)
	v_mul_f64 v[30:31], v[24:25], v[26:27]
	v_mul_f64 v[26:27], v[22:23], v[26:27]
	s_waitcnt vmcnt(0)
	v_fma_f64 v[22:23], v[22:23], v[28:29], -v[30:31]
	v_fma_f64 v[24:25], v[24:25], v[28:29], v[26:27]
	v_add_f64 v[3:4], v[3:4], v[22:23]
	v_add_f64 v[1:2], v[1:2], v[24:25]
	s_andn2_b32 exec_lo, exec_lo, s5
	s_cbranch_execnz .LBB47_117
; %bb.118:
	s_or_b32 exec_lo, exec_lo, s5
	v_mov_b32_e32 v7, 0
	ds_read_b128 v[21:24], v7 offset:416
	s_waitcnt lgkmcnt(0)
	v_mul_f64 v[7:8], v[1:2], v[23:24]
	v_mul_f64 v[23:24], v[3:4], v[23:24]
	v_fma_f64 v[3:4], v[3:4], v[21:22], -v[7:8]
	v_fma_f64 v[1:2], v[1:2], v[21:22], v[23:24]
	buffer_store_dword v4, off, s[0:3], 0 offset:436
	buffer_store_dword v3, off, s[0:3], 0 offset:432
	;; [unrolled: 1-line block ×4, first 2 shown]
.LBB47_119:
	s_or_b32 exec_lo, exec_lo, s4
	v_mov_b32_e32 v4, s33
	s_waitcnt_vscnt null, 0x0
	s_barrier
	buffer_gl0_inv
	s_mov_b32 s4, exec_lo
	s_clause 0x3
	buffer_load_dword v1, v4, s[0:3], 0 offen
	buffer_load_dword v2, v4, s[0:3], 0 offen offset:4
	buffer_load_dword v3, v4, s[0:3], 0 offen offset:8
	;; [unrolled: 1-line block ×3, first 2 shown]
	s_waitcnt vmcnt(0)
	ds_write_b128 v5, v[1:4]
	s_waitcnt lgkmcnt(0)
	s_barrier
	buffer_gl0_inv
	v_cmpx_gt_u32_e32 27, v0
	s_cbranch_execz .LBB47_123
; %bb.120:
	v_mov_b32_e32 v1, 0
	v_mov_b32_e32 v3, 0
	v_add_nc_u32_e32 v7, -1, v0
	v_add_nc_u32_e32 v8, 0x300, v161
	v_mov_b32_e32 v2, 0
	v_mov_b32_e32 v4, 0
	v_add_nc_u32_e32 v21, 16, v161
	s_mov_b32 s5, 0
	.p2align	6
.LBB47_121:                             ; =>This Inner Loop Header: Depth=1
	s_clause 0x3
	buffer_load_dword v26, v21, s[0:3], 0 offen offset:8
	buffer_load_dword v27, v21, s[0:3], 0 offen offset:12
	buffer_load_dword v28, v21, s[0:3], 0 offen
	buffer_load_dword v29, v21, s[0:3], 0 offen offset:4
	ds_read_b128 v[22:25], v8
	v_add_nc_u32_e32 v7, 1, v7
	v_add_nc_u32_e32 v8, 16, v8
	;; [unrolled: 1-line block ×3, first 2 shown]
	v_cmp_lt_u32_e32 vcc_lo, 25, v7
	s_or_b32 s5, vcc_lo, s5
	s_waitcnt vmcnt(2) lgkmcnt(0)
	v_mul_f64 v[30:31], v[24:25], v[26:27]
	v_mul_f64 v[26:27], v[22:23], v[26:27]
	s_waitcnt vmcnt(0)
	v_fma_f64 v[22:23], v[22:23], v[28:29], -v[30:31]
	v_fma_f64 v[24:25], v[24:25], v[28:29], v[26:27]
	v_add_f64 v[3:4], v[3:4], v[22:23]
	v_add_f64 v[1:2], v[1:2], v[24:25]
	s_andn2_b32 exec_lo, exec_lo, s5
	s_cbranch_execnz .LBB47_121
; %bb.122:
	s_or_b32 exec_lo, exec_lo, s5
	v_mov_b32_e32 v7, 0
	ds_read_b128 v[21:24], v7 offset:432
	s_waitcnt lgkmcnt(0)
	v_mul_f64 v[7:8], v[1:2], v[23:24]
	v_mul_f64 v[23:24], v[3:4], v[23:24]
	v_fma_f64 v[3:4], v[3:4], v[21:22], -v[7:8]
	v_fma_f64 v[1:2], v[1:2], v[21:22], v[23:24]
	buffer_store_dword v4, off, s[0:3], 0 offset:452
	buffer_store_dword v3, off, s[0:3], 0 offset:448
	;; [unrolled: 1-line block ×4, first 2 shown]
.LBB47_123:
	s_or_b32 exec_lo, exec_lo, s4
	v_mov_b32_e32 v4, s31
	s_waitcnt_vscnt null, 0x0
	s_barrier
	buffer_gl0_inv
	s_mov_b32 s4, exec_lo
	s_clause 0x3
	buffer_load_dword v1, v4, s[0:3], 0 offen
	buffer_load_dword v2, v4, s[0:3], 0 offen offset:4
	buffer_load_dword v3, v4, s[0:3], 0 offen offset:8
	;; [unrolled: 1-line block ×3, first 2 shown]
	s_waitcnt vmcnt(0)
	ds_write_b128 v5, v[1:4]
	s_waitcnt lgkmcnt(0)
	s_barrier
	buffer_gl0_inv
	v_cmpx_gt_u32_e32 28, v0
	s_cbranch_execz .LBB47_127
; %bb.124:
	v_mov_b32_e32 v1, 0
	v_mov_b32_e32 v3, 0
	v_add_nc_u32_e32 v7, -1, v0
	v_add_nc_u32_e32 v8, 0x300, v161
	v_mov_b32_e32 v2, 0
	v_mov_b32_e32 v4, 0
	v_add_nc_u32_e32 v21, 16, v161
	s_mov_b32 s5, 0
	.p2align	6
.LBB47_125:                             ; =>This Inner Loop Header: Depth=1
	s_clause 0x3
	buffer_load_dword v26, v21, s[0:3], 0 offen offset:8
	buffer_load_dword v27, v21, s[0:3], 0 offen offset:12
	buffer_load_dword v28, v21, s[0:3], 0 offen
	buffer_load_dword v29, v21, s[0:3], 0 offen offset:4
	ds_read_b128 v[22:25], v8
	v_add_nc_u32_e32 v7, 1, v7
	v_add_nc_u32_e32 v8, 16, v8
	;; [unrolled: 1-line block ×3, first 2 shown]
	v_cmp_lt_u32_e32 vcc_lo, 26, v7
	s_or_b32 s5, vcc_lo, s5
	s_waitcnt vmcnt(2) lgkmcnt(0)
	v_mul_f64 v[30:31], v[24:25], v[26:27]
	v_mul_f64 v[26:27], v[22:23], v[26:27]
	s_waitcnt vmcnt(0)
	v_fma_f64 v[22:23], v[22:23], v[28:29], -v[30:31]
	v_fma_f64 v[24:25], v[24:25], v[28:29], v[26:27]
	v_add_f64 v[3:4], v[3:4], v[22:23]
	v_add_f64 v[1:2], v[1:2], v[24:25]
	s_andn2_b32 exec_lo, exec_lo, s5
	s_cbranch_execnz .LBB47_125
; %bb.126:
	s_or_b32 exec_lo, exec_lo, s5
	v_mov_b32_e32 v7, 0
	ds_read_b128 v[21:24], v7 offset:448
	s_waitcnt lgkmcnt(0)
	v_mul_f64 v[7:8], v[1:2], v[23:24]
	v_mul_f64 v[23:24], v[3:4], v[23:24]
	v_fma_f64 v[3:4], v[3:4], v[21:22], -v[7:8]
	v_fma_f64 v[1:2], v[1:2], v[21:22], v[23:24]
	buffer_store_dword v4, off, s[0:3], 0 offset:468
	buffer_store_dword v3, off, s[0:3], 0 offset:464
	;; [unrolled: 1-line block ×4, first 2 shown]
.LBB47_127:
	s_or_b32 exec_lo, exec_lo, s4
	v_mov_b32_e32 v4, s30
	s_waitcnt_vscnt null, 0x0
	s_barrier
	buffer_gl0_inv
	s_mov_b32 s4, exec_lo
	s_clause 0x3
	buffer_load_dword v1, v4, s[0:3], 0 offen
	buffer_load_dword v2, v4, s[0:3], 0 offen offset:4
	buffer_load_dword v3, v4, s[0:3], 0 offen offset:8
	;; [unrolled: 1-line block ×3, first 2 shown]
	s_waitcnt vmcnt(0)
	ds_write_b128 v5, v[1:4]
	s_waitcnt lgkmcnt(0)
	s_barrier
	buffer_gl0_inv
	v_cmpx_gt_u32_e32 29, v0
	s_cbranch_execz .LBB47_131
; %bb.128:
	v_mov_b32_e32 v1, 0
	v_mov_b32_e32 v3, 0
	v_add_nc_u32_e32 v7, -1, v0
	v_add_nc_u32_e32 v8, 0x300, v161
	v_mov_b32_e32 v2, 0
	v_mov_b32_e32 v4, 0
	v_add_nc_u32_e32 v21, 16, v161
	s_mov_b32 s5, 0
	.p2align	6
.LBB47_129:                             ; =>This Inner Loop Header: Depth=1
	s_clause 0x3
	buffer_load_dword v26, v21, s[0:3], 0 offen offset:8
	buffer_load_dword v27, v21, s[0:3], 0 offen offset:12
	buffer_load_dword v28, v21, s[0:3], 0 offen
	buffer_load_dword v29, v21, s[0:3], 0 offen offset:4
	ds_read_b128 v[22:25], v8
	v_add_nc_u32_e32 v7, 1, v7
	v_add_nc_u32_e32 v8, 16, v8
	;; [unrolled: 1-line block ×3, first 2 shown]
	v_cmp_lt_u32_e32 vcc_lo, 27, v7
	s_or_b32 s5, vcc_lo, s5
	s_waitcnt vmcnt(2) lgkmcnt(0)
	v_mul_f64 v[30:31], v[24:25], v[26:27]
	v_mul_f64 v[26:27], v[22:23], v[26:27]
	s_waitcnt vmcnt(0)
	v_fma_f64 v[22:23], v[22:23], v[28:29], -v[30:31]
	v_fma_f64 v[24:25], v[24:25], v[28:29], v[26:27]
	v_add_f64 v[3:4], v[3:4], v[22:23]
	v_add_f64 v[1:2], v[1:2], v[24:25]
	s_andn2_b32 exec_lo, exec_lo, s5
	s_cbranch_execnz .LBB47_129
; %bb.130:
	s_or_b32 exec_lo, exec_lo, s5
	v_mov_b32_e32 v7, 0
	ds_read_b128 v[21:24], v7 offset:464
	s_waitcnt lgkmcnt(0)
	v_mul_f64 v[7:8], v[1:2], v[23:24]
	v_mul_f64 v[23:24], v[3:4], v[23:24]
	v_fma_f64 v[3:4], v[3:4], v[21:22], -v[7:8]
	v_fma_f64 v[1:2], v[1:2], v[21:22], v[23:24]
	buffer_store_dword v4, off, s[0:3], 0 offset:484
	buffer_store_dword v3, off, s[0:3], 0 offset:480
	;; [unrolled: 1-line block ×4, first 2 shown]
.LBB47_131:
	s_or_b32 exec_lo, exec_lo, s4
	v_mov_b32_e32 v4, s29
	s_waitcnt_vscnt null, 0x0
	s_barrier
	buffer_gl0_inv
	s_mov_b32 s4, exec_lo
	s_clause 0x3
	buffer_load_dword v1, v4, s[0:3], 0 offen
	buffer_load_dword v2, v4, s[0:3], 0 offen offset:4
	buffer_load_dword v3, v4, s[0:3], 0 offen offset:8
	;; [unrolled: 1-line block ×3, first 2 shown]
	s_waitcnt vmcnt(0)
	ds_write_b128 v5, v[1:4]
	s_waitcnt lgkmcnt(0)
	s_barrier
	buffer_gl0_inv
	v_cmpx_gt_u32_e32 30, v0
	s_cbranch_execz .LBB47_135
; %bb.132:
	v_mov_b32_e32 v1, 0
	v_mov_b32_e32 v3, 0
	v_add_nc_u32_e32 v7, -1, v0
	v_add_nc_u32_e32 v8, 0x300, v161
	v_mov_b32_e32 v2, 0
	v_mov_b32_e32 v4, 0
	v_add_nc_u32_e32 v21, 16, v161
	s_mov_b32 s5, 0
	.p2align	6
.LBB47_133:                             ; =>This Inner Loop Header: Depth=1
	s_clause 0x3
	buffer_load_dword v26, v21, s[0:3], 0 offen offset:8
	buffer_load_dword v27, v21, s[0:3], 0 offen offset:12
	buffer_load_dword v28, v21, s[0:3], 0 offen
	buffer_load_dword v29, v21, s[0:3], 0 offen offset:4
	ds_read_b128 v[22:25], v8
	v_add_nc_u32_e32 v7, 1, v7
	v_add_nc_u32_e32 v8, 16, v8
	;; [unrolled: 1-line block ×3, first 2 shown]
	v_cmp_lt_u32_e32 vcc_lo, 28, v7
	s_or_b32 s5, vcc_lo, s5
	s_waitcnt vmcnt(2) lgkmcnt(0)
	v_mul_f64 v[30:31], v[24:25], v[26:27]
	v_mul_f64 v[26:27], v[22:23], v[26:27]
	s_waitcnt vmcnt(0)
	v_fma_f64 v[22:23], v[22:23], v[28:29], -v[30:31]
	v_fma_f64 v[24:25], v[24:25], v[28:29], v[26:27]
	v_add_f64 v[3:4], v[3:4], v[22:23]
	v_add_f64 v[1:2], v[1:2], v[24:25]
	s_andn2_b32 exec_lo, exec_lo, s5
	s_cbranch_execnz .LBB47_133
; %bb.134:
	s_or_b32 exec_lo, exec_lo, s5
	v_mov_b32_e32 v7, 0
	ds_read_b128 v[21:24], v7 offset:480
	s_waitcnt lgkmcnt(0)
	v_mul_f64 v[7:8], v[1:2], v[23:24]
	v_mul_f64 v[23:24], v[3:4], v[23:24]
	v_fma_f64 v[3:4], v[3:4], v[21:22], -v[7:8]
	v_fma_f64 v[1:2], v[1:2], v[21:22], v[23:24]
	buffer_store_dword v4, off, s[0:3], 0 offset:500
	buffer_store_dword v3, off, s[0:3], 0 offset:496
	;; [unrolled: 1-line block ×4, first 2 shown]
.LBB47_135:
	s_or_b32 exec_lo, exec_lo, s4
	v_mov_b32_e32 v4, s28
	s_waitcnt_vscnt null, 0x0
	s_barrier
	buffer_gl0_inv
	s_mov_b32 s4, exec_lo
	s_clause 0x3
	buffer_load_dword v1, v4, s[0:3], 0 offen
	buffer_load_dword v2, v4, s[0:3], 0 offen offset:4
	buffer_load_dword v3, v4, s[0:3], 0 offen offset:8
	buffer_load_dword v4, v4, s[0:3], 0 offen offset:12
	s_waitcnt vmcnt(0)
	ds_write_b128 v5, v[1:4]
	s_waitcnt lgkmcnt(0)
	s_barrier
	buffer_gl0_inv
	v_cmpx_gt_u32_e32 31, v0
	s_cbranch_execz .LBB47_139
; %bb.136:
	v_mov_b32_e32 v1, 0
	v_mov_b32_e32 v3, 0
	v_add_nc_u32_e32 v7, -1, v0
	v_add_nc_u32_e32 v8, 0x300, v161
	v_mov_b32_e32 v2, 0
	v_mov_b32_e32 v4, 0
	v_add_nc_u32_e32 v21, 16, v161
	s_mov_b32 s5, 0
	.p2align	6
.LBB47_137:                             ; =>This Inner Loop Header: Depth=1
	s_clause 0x3
	buffer_load_dword v26, v21, s[0:3], 0 offen offset:8
	buffer_load_dword v27, v21, s[0:3], 0 offen offset:12
	buffer_load_dword v28, v21, s[0:3], 0 offen
	buffer_load_dword v29, v21, s[0:3], 0 offen offset:4
	ds_read_b128 v[22:25], v8
	v_add_nc_u32_e32 v7, 1, v7
	v_add_nc_u32_e32 v8, 16, v8
	;; [unrolled: 1-line block ×3, first 2 shown]
	v_cmp_lt_u32_e32 vcc_lo, 29, v7
	s_or_b32 s5, vcc_lo, s5
	s_waitcnt vmcnt(2) lgkmcnt(0)
	v_mul_f64 v[30:31], v[24:25], v[26:27]
	v_mul_f64 v[26:27], v[22:23], v[26:27]
	s_waitcnt vmcnt(0)
	v_fma_f64 v[22:23], v[22:23], v[28:29], -v[30:31]
	v_fma_f64 v[24:25], v[24:25], v[28:29], v[26:27]
	v_add_f64 v[3:4], v[3:4], v[22:23]
	v_add_f64 v[1:2], v[1:2], v[24:25]
	s_andn2_b32 exec_lo, exec_lo, s5
	s_cbranch_execnz .LBB47_137
; %bb.138:
	s_or_b32 exec_lo, exec_lo, s5
	v_mov_b32_e32 v7, 0
	ds_read_b128 v[21:24], v7 offset:496
	s_waitcnt lgkmcnt(0)
	v_mul_f64 v[7:8], v[1:2], v[23:24]
	v_mul_f64 v[23:24], v[3:4], v[23:24]
	v_fma_f64 v[3:4], v[3:4], v[21:22], -v[7:8]
	v_fma_f64 v[1:2], v[1:2], v[21:22], v[23:24]
	buffer_store_dword v4, off, s[0:3], 0 offset:516
	buffer_store_dword v3, off, s[0:3], 0 offset:512
	;; [unrolled: 1-line block ×4, first 2 shown]
.LBB47_139:
	s_or_b32 exec_lo, exec_lo, s4
	v_mov_b32_e32 v4, s27
	s_waitcnt_vscnt null, 0x0
	s_barrier
	buffer_gl0_inv
	s_mov_b32 s4, exec_lo
	s_clause 0x3
	buffer_load_dword v1, v4, s[0:3], 0 offen
	buffer_load_dword v2, v4, s[0:3], 0 offen offset:4
	buffer_load_dword v3, v4, s[0:3], 0 offen offset:8
	;; [unrolled: 1-line block ×3, first 2 shown]
	s_waitcnt vmcnt(0)
	ds_write_b128 v5, v[1:4]
	s_waitcnt lgkmcnt(0)
	s_barrier
	buffer_gl0_inv
	v_cmpx_gt_u32_e32 32, v0
	s_cbranch_execz .LBB47_143
; %bb.140:
	v_mov_b32_e32 v1, 0
	v_mov_b32_e32 v3, 0
	v_add_nc_u32_e32 v7, -1, v0
	v_add_nc_u32_e32 v8, 0x300, v161
	v_mov_b32_e32 v2, 0
	v_mov_b32_e32 v4, 0
	v_add_nc_u32_e32 v21, 16, v161
	s_mov_b32 s5, 0
	.p2align	6
.LBB47_141:                             ; =>This Inner Loop Header: Depth=1
	s_clause 0x3
	buffer_load_dword v26, v21, s[0:3], 0 offen offset:8
	buffer_load_dword v27, v21, s[0:3], 0 offen offset:12
	buffer_load_dword v28, v21, s[0:3], 0 offen
	buffer_load_dword v29, v21, s[0:3], 0 offen offset:4
	ds_read_b128 v[22:25], v8
	v_add_nc_u32_e32 v7, 1, v7
	v_add_nc_u32_e32 v8, 16, v8
	;; [unrolled: 1-line block ×3, first 2 shown]
	v_cmp_lt_u32_e32 vcc_lo, 30, v7
	s_or_b32 s5, vcc_lo, s5
	s_waitcnt vmcnt(2) lgkmcnt(0)
	v_mul_f64 v[30:31], v[24:25], v[26:27]
	v_mul_f64 v[26:27], v[22:23], v[26:27]
	s_waitcnt vmcnt(0)
	v_fma_f64 v[22:23], v[22:23], v[28:29], -v[30:31]
	v_fma_f64 v[24:25], v[24:25], v[28:29], v[26:27]
	v_add_f64 v[3:4], v[3:4], v[22:23]
	v_add_f64 v[1:2], v[1:2], v[24:25]
	s_andn2_b32 exec_lo, exec_lo, s5
	s_cbranch_execnz .LBB47_141
; %bb.142:
	s_or_b32 exec_lo, exec_lo, s5
	v_mov_b32_e32 v7, 0
	ds_read_b128 v[21:24], v7 offset:512
	s_waitcnt lgkmcnt(0)
	v_mul_f64 v[7:8], v[1:2], v[23:24]
	v_mul_f64 v[23:24], v[3:4], v[23:24]
	v_fma_f64 v[3:4], v[3:4], v[21:22], -v[7:8]
	v_fma_f64 v[1:2], v[1:2], v[21:22], v[23:24]
	buffer_store_dword v4, off, s[0:3], 0 offset:532
	buffer_store_dword v3, off, s[0:3], 0 offset:528
	;; [unrolled: 1-line block ×4, first 2 shown]
.LBB47_143:
	s_or_b32 exec_lo, exec_lo, s4
	v_mov_b32_e32 v4, s26
	s_waitcnt_vscnt null, 0x0
	s_barrier
	buffer_gl0_inv
	s_mov_b32 s4, exec_lo
	s_clause 0x3
	buffer_load_dword v1, v4, s[0:3], 0 offen
	buffer_load_dword v2, v4, s[0:3], 0 offen offset:4
	buffer_load_dword v3, v4, s[0:3], 0 offen offset:8
	;; [unrolled: 1-line block ×3, first 2 shown]
	s_waitcnt vmcnt(0)
	ds_write_b128 v5, v[1:4]
	s_waitcnt lgkmcnt(0)
	s_barrier
	buffer_gl0_inv
	v_cmpx_gt_u32_e32 33, v0
	s_cbranch_execz .LBB47_147
; %bb.144:
	v_mov_b32_e32 v1, 0
	v_mov_b32_e32 v3, 0
	v_add_nc_u32_e32 v7, -1, v0
	v_add_nc_u32_e32 v8, 0x300, v161
	v_mov_b32_e32 v2, 0
	v_mov_b32_e32 v4, 0
	v_add_nc_u32_e32 v21, 16, v161
	s_mov_b32 s5, 0
	.p2align	6
.LBB47_145:                             ; =>This Inner Loop Header: Depth=1
	s_clause 0x3
	buffer_load_dword v26, v21, s[0:3], 0 offen offset:8
	buffer_load_dword v27, v21, s[0:3], 0 offen offset:12
	buffer_load_dword v28, v21, s[0:3], 0 offen
	buffer_load_dword v29, v21, s[0:3], 0 offen offset:4
	ds_read_b128 v[22:25], v8
	v_add_nc_u32_e32 v7, 1, v7
	v_add_nc_u32_e32 v8, 16, v8
	;; [unrolled: 1-line block ×3, first 2 shown]
	v_cmp_lt_u32_e32 vcc_lo, 31, v7
	s_or_b32 s5, vcc_lo, s5
	s_waitcnt vmcnt(2) lgkmcnt(0)
	v_mul_f64 v[30:31], v[24:25], v[26:27]
	v_mul_f64 v[26:27], v[22:23], v[26:27]
	s_waitcnt vmcnt(0)
	v_fma_f64 v[22:23], v[22:23], v[28:29], -v[30:31]
	v_fma_f64 v[24:25], v[24:25], v[28:29], v[26:27]
	v_add_f64 v[3:4], v[3:4], v[22:23]
	v_add_f64 v[1:2], v[1:2], v[24:25]
	s_andn2_b32 exec_lo, exec_lo, s5
	s_cbranch_execnz .LBB47_145
; %bb.146:
	s_or_b32 exec_lo, exec_lo, s5
	v_mov_b32_e32 v7, 0
	ds_read_b128 v[21:24], v7 offset:528
	s_waitcnt lgkmcnt(0)
	v_mul_f64 v[7:8], v[1:2], v[23:24]
	v_mul_f64 v[23:24], v[3:4], v[23:24]
	v_fma_f64 v[3:4], v[3:4], v[21:22], -v[7:8]
	v_fma_f64 v[1:2], v[1:2], v[21:22], v[23:24]
	buffer_store_dword v4, off, s[0:3], 0 offset:548
	buffer_store_dword v3, off, s[0:3], 0 offset:544
	;; [unrolled: 1-line block ×4, first 2 shown]
.LBB47_147:
	s_or_b32 exec_lo, exec_lo, s4
	v_mov_b32_e32 v4, s25
	s_waitcnt_vscnt null, 0x0
	s_barrier
	buffer_gl0_inv
	s_mov_b32 s4, exec_lo
	s_clause 0x3
	buffer_load_dword v1, v4, s[0:3], 0 offen
	buffer_load_dword v2, v4, s[0:3], 0 offen offset:4
	buffer_load_dword v3, v4, s[0:3], 0 offen offset:8
	;; [unrolled: 1-line block ×3, first 2 shown]
	s_waitcnt vmcnt(0)
	ds_write_b128 v5, v[1:4]
	s_waitcnt lgkmcnt(0)
	s_barrier
	buffer_gl0_inv
	v_cmpx_gt_u32_e32 34, v0
	s_cbranch_execz .LBB47_151
; %bb.148:
	v_mov_b32_e32 v1, 0
	v_mov_b32_e32 v3, 0
	v_add_nc_u32_e32 v7, -1, v0
	v_add_nc_u32_e32 v8, 0x300, v161
	v_mov_b32_e32 v2, 0
	v_mov_b32_e32 v4, 0
	v_add_nc_u32_e32 v21, 16, v161
	s_mov_b32 s5, 0
	.p2align	6
.LBB47_149:                             ; =>This Inner Loop Header: Depth=1
	s_clause 0x3
	buffer_load_dword v26, v21, s[0:3], 0 offen offset:8
	buffer_load_dword v27, v21, s[0:3], 0 offen offset:12
	buffer_load_dword v28, v21, s[0:3], 0 offen
	buffer_load_dword v29, v21, s[0:3], 0 offen offset:4
	ds_read_b128 v[22:25], v8
	v_add_nc_u32_e32 v7, 1, v7
	v_add_nc_u32_e32 v8, 16, v8
	;; [unrolled: 1-line block ×3, first 2 shown]
	v_cmp_lt_u32_e32 vcc_lo, 32, v7
	s_or_b32 s5, vcc_lo, s5
	s_waitcnt vmcnt(2) lgkmcnt(0)
	v_mul_f64 v[30:31], v[24:25], v[26:27]
	v_mul_f64 v[26:27], v[22:23], v[26:27]
	s_waitcnt vmcnt(0)
	v_fma_f64 v[22:23], v[22:23], v[28:29], -v[30:31]
	v_fma_f64 v[24:25], v[24:25], v[28:29], v[26:27]
	v_add_f64 v[3:4], v[3:4], v[22:23]
	v_add_f64 v[1:2], v[1:2], v[24:25]
	s_andn2_b32 exec_lo, exec_lo, s5
	s_cbranch_execnz .LBB47_149
; %bb.150:
	s_or_b32 exec_lo, exec_lo, s5
	v_mov_b32_e32 v7, 0
	ds_read_b128 v[21:24], v7 offset:544
	s_waitcnt lgkmcnt(0)
	v_mul_f64 v[7:8], v[1:2], v[23:24]
	v_mul_f64 v[23:24], v[3:4], v[23:24]
	v_fma_f64 v[3:4], v[3:4], v[21:22], -v[7:8]
	v_fma_f64 v[1:2], v[1:2], v[21:22], v[23:24]
	buffer_store_dword v4, off, s[0:3], 0 offset:564
	buffer_store_dword v3, off, s[0:3], 0 offset:560
	;; [unrolled: 1-line block ×4, first 2 shown]
.LBB47_151:
	s_or_b32 exec_lo, exec_lo, s4
	v_mov_b32_e32 v4, s24
	s_waitcnt_vscnt null, 0x0
	s_barrier
	buffer_gl0_inv
	s_mov_b32 s4, exec_lo
	s_clause 0x3
	buffer_load_dword v1, v4, s[0:3], 0 offen
	buffer_load_dword v2, v4, s[0:3], 0 offen offset:4
	buffer_load_dword v3, v4, s[0:3], 0 offen offset:8
	;; [unrolled: 1-line block ×3, first 2 shown]
	s_waitcnt vmcnt(0)
	ds_write_b128 v5, v[1:4]
	s_waitcnt lgkmcnt(0)
	s_barrier
	buffer_gl0_inv
	v_cmpx_gt_u32_e32 35, v0
	s_cbranch_execz .LBB47_155
; %bb.152:
	v_mov_b32_e32 v1, 0
	v_mov_b32_e32 v3, 0
	v_add_nc_u32_e32 v7, -1, v0
	v_add_nc_u32_e32 v8, 0x300, v161
	v_mov_b32_e32 v2, 0
	v_mov_b32_e32 v4, 0
	v_add_nc_u32_e32 v21, 16, v161
	s_mov_b32 s5, 0
	.p2align	6
.LBB47_153:                             ; =>This Inner Loop Header: Depth=1
	s_clause 0x3
	buffer_load_dword v26, v21, s[0:3], 0 offen offset:8
	buffer_load_dword v27, v21, s[0:3], 0 offen offset:12
	buffer_load_dword v28, v21, s[0:3], 0 offen
	buffer_load_dword v29, v21, s[0:3], 0 offen offset:4
	ds_read_b128 v[22:25], v8
	v_add_nc_u32_e32 v7, 1, v7
	v_add_nc_u32_e32 v8, 16, v8
	;; [unrolled: 1-line block ×3, first 2 shown]
	v_cmp_lt_u32_e32 vcc_lo, 33, v7
	s_or_b32 s5, vcc_lo, s5
	s_waitcnt vmcnt(2) lgkmcnt(0)
	v_mul_f64 v[30:31], v[24:25], v[26:27]
	v_mul_f64 v[26:27], v[22:23], v[26:27]
	s_waitcnt vmcnt(0)
	v_fma_f64 v[22:23], v[22:23], v[28:29], -v[30:31]
	v_fma_f64 v[24:25], v[24:25], v[28:29], v[26:27]
	v_add_f64 v[3:4], v[3:4], v[22:23]
	v_add_f64 v[1:2], v[1:2], v[24:25]
	s_andn2_b32 exec_lo, exec_lo, s5
	s_cbranch_execnz .LBB47_153
; %bb.154:
	s_or_b32 exec_lo, exec_lo, s5
	v_mov_b32_e32 v7, 0
	ds_read_b128 v[21:24], v7 offset:560
	s_waitcnt lgkmcnt(0)
	v_mul_f64 v[7:8], v[1:2], v[23:24]
	v_mul_f64 v[23:24], v[3:4], v[23:24]
	v_fma_f64 v[3:4], v[3:4], v[21:22], -v[7:8]
	v_fma_f64 v[1:2], v[1:2], v[21:22], v[23:24]
	buffer_store_dword v4, off, s[0:3], 0 offset:580
	buffer_store_dword v3, off, s[0:3], 0 offset:576
	;; [unrolled: 1-line block ×4, first 2 shown]
.LBB47_155:
	s_or_b32 exec_lo, exec_lo, s4
	v_mov_b32_e32 v4, s23
	s_waitcnt_vscnt null, 0x0
	s_barrier
	buffer_gl0_inv
	s_mov_b32 s4, exec_lo
	s_clause 0x3
	buffer_load_dword v1, v4, s[0:3], 0 offen
	buffer_load_dword v2, v4, s[0:3], 0 offen offset:4
	buffer_load_dword v3, v4, s[0:3], 0 offen offset:8
	;; [unrolled: 1-line block ×3, first 2 shown]
	s_waitcnt vmcnt(0)
	ds_write_b128 v5, v[1:4]
	s_waitcnt lgkmcnt(0)
	s_barrier
	buffer_gl0_inv
	v_cmpx_gt_u32_e32 36, v0
	s_cbranch_execz .LBB47_159
; %bb.156:
	v_mov_b32_e32 v1, 0
	v_mov_b32_e32 v3, 0
	v_add_nc_u32_e32 v7, -1, v0
	v_add_nc_u32_e32 v8, 0x300, v161
	v_mov_b32_e32 v2, 0
	v_mov_b32_e32 v4, 0
	v_add_nc_u32_e32 v21, 16, v161
	s_mov_b32 s5, 0
	.p2align	6
.LBB47_157:                             ; =>This Inner Loop Header: Depth=1
	s_clause 0x3
	buffer_load_dword v26, v21, s[0:3], 0 offen offset:8
	buffer_load_dword v27, v21, s[0:3], 0 offen offset:12
	buffer_load_dword v28, v21, s[0:3], 0 offen
	buffer_load_dword v29, v21, s[0:3], 0 offen offset:4
	ds_read_b128 v[22:25], v8
	v_add_nc_u32_e32 v7, 1, v7
	v_add_nc_u32_e32 v8, 16, v8
	v_add_nc_u32_e32 v21, 16, v21
	v_cmp_lt_u32_e32 vcc_lo, 34, v7
	s_or_b32 s5, vcc_lo, s5
	s_waitcnt vmcnt(2) lgkmcnt(0)
	v_mul_f64 v[30:31], v[24:25], v[26:27]
	v_mul_f64 v[26:27], v[22:23], v[26:27]
	s_waitcnt vmcnt(0)
	v_fma_f64 v[22:23], v[22:23], v[28:29], -v[30:31]
	v_fma_f64 v[24:25], v[24:25], v[28:29], v[26:27]
	v_add_f64 v[3:4], v[3:4], v[22:23]
	v_add_f64 v[1:2], v[1:2], v[24:25]
	s_andn2_b32 exec_lo, exec_lo, s5
	s_cbranch_execnz .LBB47_157
; %bb.158:
	s_or_b32 exec_lo, exec_lo, s5
	v_mov_b32_e32 v7, 0
	ds_read_b128 v[21:24], v7 offset:576
	s_waitcnt lgkmcnt(0)
	v_mul_f64 v[7:8], v[1:2], v[23:24]
	v_mul_f64 v[23:24], v[3:4], v[23:24]
	v_fma_f64 v[3:4], v[3:4], v[21:22], -v[7:8]
	v_fma_f64 v[1:2], v[1:2], v[21:22], v[23:24]
	buffer_store_dword v4, off, s[0:3], 0 offset:596
	buffer_store_dword v3, off, s[0:3], 0 offset:592
	;; [unrolled: 1-line block ×4, first 2 shown]
.LBB47_159:
	s_or_b32 exec_lo, exec_lo, s4
	v_mov_b32_e32 v4, s22
	s_waitcnt_vscnt null, 0x0
	s_barrier
	buffer_gl0_inv
	s_mov_b32 s4, exec_lo
	s_clause 0x3
	buffer_load_dword v1, v4, s[0:3], 0 offen
	buffer_load_dword v2, v4, s[0:3], 0 offen offset:4
	buffer_load_dword v3, v4, s[0:3], 0 offen offset:8
	;; [unrolled: 1-line block ×3, first 2 shown]
	s_waitcnt vmcnt(0)
	ds_write_b128 v5, v[1:4]
	s_waitcnt lgkmcnt(0)
	s_barrier
	buffer_gl0_inv
	v_cmpx_gt_u32_e32 37, v0
	s_cbranch_execz .LBB47_163
; %bb.160:
	v_mov_b32_e32 v1, 0
	v_mov_b32_e32 v3, 0
	v_add_nc_u32_e32 v7, -1, v0
	v_add_nc_u32_e32 v8, 0x300, v161
	v_mov_b32_e32 v2, 0
	v_mov_b32_e32 v4, 0
	v_add_nc_u32_e32 v21, 16, v161
	s_mov_b32 s5, 0
	.p2align	6
.LBB47_161:                             ; =>This Inner Loop Header: Depth=1
	s_clause 0x3
	buffer_load_dword v26, v21, s[0:3], 0 offen offset:8
	buffer_load_dword v27, v21, s[0:3], 0 offen offset:12
	buffer_load_dword v28, v21, s[0:3], 0 offen
	buffer_load_dword v29, v21, s[0:3], 0 offen offset:4
	ds_read_b128 v[22:25], v8
	v_add_nc_u32_e32 v7, 1, v7
	v_add_nc_u32_e32 v8, 16, v8
	;; [unrolled: 1-line block ×3, first 2 shown]
	v_cmp_lt_u32_e32 vcc_lo, 35, v7
	s_or_b32 s5, vcc_lo, s5
	s_waitcnt vmcnt(2) lgkmcnt(0)
	v_mul_f64 v[30:31], v[24:25], v[26:27]
	v_mul_f64 v[26:27], v[22:23], v[26:27]
	s_waitcnt vmcnt(0)
	v_fma_f64 v[22:23], v[22:23], v[28:29], -v[30:31]
	v_fma_f64 v[24:25], v[24:25], v[28:29], v[26:27]
	v_add_f64 v[3:4], v[3:4], v[22:23]
	v_add_f64 v[1:2], v[1:2], v[24:25]
	s_andn2_b32 exec_lo, exec_lo, s5
	s_cbranch_execnz .LBB47_161
; %bb.162:
	s_or_b32 exec_lo, exec_lo, s5
	v_mov_b32_e32 v7, 0
	ds_read_b128 v[21:24], v7 offset:592
	s_waitcnt lgkmcnt(0)
	v_mul_f64 v[7:8], v[1:2], v[23:24]
	v_mul_f64 v[23:24], v[3:4], v[23:24]
	v_fma_f64 v[3:4], v[3:4], v[21:22], -v[7:8]
	v_fma_f64 v[1:2], v[1:2], v[21:22], v[23:24]
	buffer_store_dword v4, off, s[0:3], 0 offset:612
	buffer_store_dword v3, off, s[0:3], 0 offset:608
	;; [unrolled: 1-line block ×4, first 2 shown]
.LBB47_163:
	s_or_b32 exec_lo, exec_lo, s4
	v_mov_b32_e32 v4, s19
	s_waitcnt_vscnt null, 0x0
	s_barrier
	buffer_gl0_inv
	s_mov_b32 s4, exec_lo
	s_clause 0x3
	buffer_load_dword v1, v4, s[0:3], 0 offen
	buffer_load_dword v2, v4, s[0:3], 0 offen offset:4
	buffer_load_dword v3, v4, s[0:3], 0 offen offset:8
	;; [unrolled: 1-line block ×3, first 2 shown]
	s_waitcnt vmcnt(0)
	ds_write_b128 v5, v[1:4]
	s_waitcnt lgkmcnt(0)
	s_barrier
	buffer_gl0_inv
	v_cmpx_gt_u32_e32 38, v0
	s_cbranch_execz .LBB47_167
; %bb.164:
	v_mov_b32_e32 v1, 0
	v_mov_b32_e32 v3, 0
	v_add_nc_u32_e32 v7, -1, v0
	v_add_nc_u32_e32 v8, 0x300, v161
	v_mov_b32_e32 v2, 0
	v_mov_b32_e32 v4, 0
	v_add_nc_u32_e32 v21, 16, v161
	s_mov_b32 s5, 0
	.p2align	6
.LBB47_165:                             ; =>This Inner Loop Header: Depth=1
	s_clause 0x3
	buffer_load_dword v26, v21, s[0:3], 0 offen offset:8
	buffer_load_dword v27, v21, s[0:3], 0 offen offset:12
	buffer_load_dword v28, v21, s[0:3], 0 offen
	buffer_load_dword v29, v21, s[0:3], 0 offen offset:4
	ds_read_b128 v[22:25], v8
	v_add_nc_u32_e32 v7, 1, v7
	v_add_nc_u32_e32 v8, 16, v8
	;; [unrolled: 1-line block ×3, first 2 shown]
	v_cmp_lt_u32_e32 vcc_lo, 36, v7
	s_or_b32 s5, vcc_lo, s5
	s_waitcnt vmcnt(2) lgkmcnt(0)
	v_mul_f64 v[30:31], v[24:25], v[26:27]
	v_mul_f64 v[26:27], v[22:23], v[26:27]
	s_waitcnt vmcnt(0)
	v_fma_f64 v[22:23], v[22:23], v[28:29], -v[30:31]
	v_fma_f64 v[24:25], v[24:25], v[28:29], v[26:27]
	v_add_f64 v[3:4], v[3:4], v[22:23]
	v_add_f64 v[1:2], v[1:2], v[24:25]
	s_andn2_b32 exec_lo, exec_lo, s5
	s_cbranch_execnz .LBB47_165
; %bb.166:
	s_or_b32 exec_lo, exec_lo, s5
	v_mov_b32_e32 v7, 0
	ds_read_b128 v[21:24], v7 offset:608
	s_waitcnt lgkmcnt(0)
	v_mul_f64 v[7:8], v[1:2], v[23:24]
	v_mul_f64 v[23:24], v[3:4], v[23:24]
	v_fma_f64 v[3:4], v[3:4], v[21:22], -v[7:8]
	v_fma_f64 v[1:2], v[1:2], v[21:22], v[23:24]
	buffer_store_dword v4, off, s[0:3], 0 offset:628
	buffer_store_dword v3, off, s[0:3], 0 offset:624
	;; [unrolled: 1-line block ×4, first 2 shown]
.LBB47_167:
	s_or_b32 exec_lo, exec_lo, s4
	v_mov_b32_e32 v4, s18
	s_waitcnt_vscnt null, 0x0
	s_barrier
	buffer_gl0_inv
	s_mov_b32 s4, exec_lo
	s_clause 0x3
	buffer_load_dword v1, v4, s[0:3], 0 offen
	buffer_load_dword v2, v4, s[0:3], 0 offen offset:4
	buffer_load_dword v3, v4, s[0:3], 0 offen offset:8
	;; [unrolled: 1-line block ×3, first 2 shown]
	s_waitcnt vmcnt(0)
	ds_write_b128 v5, v[1:4]
	s_waitcnt lgkmcnt(0)
	s_barrier
	buffer_gl0_inv
	v_cmpx_gt_u32_e32 39, v0
	s_cbranch_execz .LBB47_171
; %bb.168:
	v_mov_b32_e32 v1, 0
	v_mov_b32_e32 v3, 0
	v_add_nc_u32_e32 v7, -1, v0
	v_add_nc_u32_e32 v8, 0x300, v161
	v_mov_b32_e32 v2, 0
	v_mov_b32_e32 v4, 0
	v_add_nc_u32_e32 v21, 16, v161
	s_mov_b32 s5, 0
	.p2align	6
.LBB47_169:                             ; =>This Inner Loop Header: Depth=1
	s_clause 0x3
	buffer_load_dword v26, v21, s[0:3], 0 offen offset:8
	buffer_load_dword v27, v21, s[0:3], 0 offen offset:12
	buffer_load_dword v28, v21, s[0:3], 0 offen
	buffer_load_dword v29, v21, s[0:3], 0 offen offset:4
	ds_read_b128 v[22:25], v8
	v_add_nc_u32_e32 v7, 1, v7
	v_add_nc_u32_e32 v8, 16, v8
	;; [unrolled: 1-line block ×3, first 2 shown]
	v_cmp_lt_u32_e32 vcc_lo, 37, v7
	s_or_b32 s5, vcc_lo, s5
	s_waitcnt vmcnt(2) lgkmcnt(0)
	v_mul_f64 v[30:31], v[24:25], v[26:27]
	v_mul_f64 v[26:27], v[22:23], v[26:27]
	s_waitcnt vmcnt(0)
	v_fma_f64 v[22:23], v[22:23], v[28:29], -v[30:31]
	v_fma_f64 v[24:25], v[24:25], v[28:29], v[26:27]
	v_add_f64 v[3:4], v[3:4], v[22:23]
	v_add_f64 v[1:2], v[1:2], v[24:25]
	s_andn2_b32 exec_lo, exec_lo, s5
	s_cbranch_execnz .LBB47_169
; %bb.170:
	s_or_b32 exec_lo, exec_lo, s5
	v_mov_b32_e32 v7, 0
	ds_read_b128 v[21:24], v7 offset:624
	s_waitcnt lgkmcnt(0)
	v_mul_f64 v[7:8], v[1:2], v[23:24]
	v_mul_f64 v[23:24], v[3:4], v[23:24]
	v_fma_f64 v[3:4], v[3:4], v[21:22], -v[7:8]
	v_fma_f64 v[1:2], v[1:2], v[21:22], v[23:24]
	buffer_store_dword v4, off, s[0:3], 0 offset:644
	buffer_store_dword v3, off, s[0:3], 0 offset:640
	;; [unrolled: 1-line block ×4, first 2 shown]
.LBB47_171:
	s_or_b32 exec_lo, exec_lo, s4
	v_mov_b32_e32 v4, s17
	s_waitcnt_vscnt null, 0x0
	s_barrier
	buffer_gl0_inv
	s_mov_b32 s4, exec_lo
	s_clause 0x3
	buffer_load_dword v1, v4, s[0:3], 0 offen
	buffer_load_dword v2, v4, s[0:3], 0 offen offset:4
	buffer_load_dword v3, v4, s[0:3], 0 offen offset:8
	;; [unrolled: 1-line block ×3, first 2 shown]
	s_waitcnt vmcnt(0)
	ds_write_b128 v5, v[1:4]
	s_waitcnt lgkmcnt(0)
	s_barrier
	buffer_gl0_inv
	v_cmpx_gt_u32_e32 40, v0
	s_cbranch_execz .LBB47_175
; %bb.172:
	v_mov_b32_e32 v1, 0
	v_mov_b32_e32 v3, 0
	v_add_nc_u32_e32 v7, -1, v0
	v_add_nc_u32_e32 v8, 0x300, v161
	v_mov_b32_e32 v2, 0
	v_mov_b32_e32 v4, 0
	v_add_nc_u32_e32 v21, 16, v161
	s_mov_b32 s5, 0
	.p2align	6
.LBB47_173:                             ; =>This Inner Loop Header: Depth=1
	s_clause 0x3
	buffer_load_dword v26, v21, s[0:3], 0 offen offset:8
	buffer_load_dword v27, v21, s[0:3], 0 offen offset:12
	buffer_load_dword v28, v21, s[0:3], 0 offen
	buffer_load_dword v29, v21, s[0:3], 0 offen offset:4
	ds_read_b128 v[22:25], v8
	v_add_nc_u32_e32 v7, 1, v7
	v_add_nc_u32_e32 v8, 16, v8
	;; [unrolled: 1-line block ×3, first 2 shown]
	v_cmp_lt_u32_e32 vcc_lo, 38, v7
	s_or_b32 s5, vcc_lo, s5
	s_waitcnt vmcnt(2) lgkmcnt(0)
	v_mul_f64 v[30:31], v[24:25], v[26:27]
	v_mul_f64 v[26:27], v[22:23], v[26:27]
	s_waitcnt vmcnt(0)
	v_fma_f64 v[22:23], v[22:23], v[28:29], -v[30:31]
	v_fma_f64 v[24:25], v[24:25], v[28:29], v[26:27]
	v_add_f64 v[3:4], v[3:4], v[22:23]
	v_add_f64 v[1:2], v[1:2], v[24:25]
	s_andn2_b32 exec_lo, exec_lo, s5
	s_cbranch_execnz .LBB47_173
; %bb.174:
	s_or_b32 exec_lo, exec_lo, s5
	v_mov_b32_e32 v7, 0
	ds_read_b128 v[21:24], v7 offset:640
	s_waitcnt lgkmcnt(0)
	v_mul_f64 v[7:8], v[1:2], v[23:24]
	v_mul_f64 v[23:24], v[3:4], v[23:24]
	v_fma_f64 v[3:4], v[3:4], v[21:22], -v[7:8]
	v_fma_f64 v[1:2], v[1:2], v[21:22], v[23:24]
	buffer_store_dword v4, off, s[0:3], 0 offset:660
	buffer_store_dword v3, off, s[0:3], 0 offset:656
	;; [unrolled: 1-line block ×4, first 2 shown]
.LBB47_175:
	s_or_b32 exec_lo, exec_lo, s4
	v_mov_b32_e32 v4, s16
	s_waitcnt_vscnt null, 0x0
	s_barrier
	buffer_gl0_inv
	s_mov_b32 s4, exec_lo
	s_clause 0x3
	buffer_load_dword v1, v4, s[0:3], 0 offen
	buffer_load_dword v2, v4, s[0:3], 0 offen offset:4
	buffer_load_dword v3, v4, s[0:3], 0 offen offset:8
	;; [unrolled: 1-line block ×3, first 2 shown]
	s_waitcnt vmcnt(0)
	ds_write_b128 v5, v[1:4]
	s_waitcnt lgkmcnt(0)
	s_barrier
	buffer_gl0_inv
	v_cmpx_gt_u32_e32 41, v0
	s_cbranch_execz .LBB47_179
; %bb.176:
	v_mov_b32_e32 v1, 0
	v_mov_b32_e32 v3, 0
	v_add_nc_u32_e32 v7, -1, v0
	v_add_nc_u32_e32 v8, 0x300, v161
	v_mov_b32_e32 v2, 0
	v_mov_b32_e32 v4, 0
	v_add_nc_u32_e32 v21, 16, v161
	s_mov_b32 s5, 0
	.p2align	6
.LBB47_177:                             ; =>This Inner Loop Header: Depth=1
	s_clause 0x3
	buffer_load_dword v26, v21, s[0:3], 0 offen offset:8
	buffer_load_dword v27, v21, s[0:3], 0 offen offset:12
	buffer_load_dword v28, v21, s[0:3], 0 offen
	buffer_load_dword v29, v21, s[0:3], 0 offen offset:4
	ds_read_b128 v[22:25], v8
	v_add_nc_u32_e32 v7, 1, v7
	v_add_nc_u32_e32 v8, 16, v8
	;; [unrolled: 1-line block ×3, first 2 shown]
	v_cmp_lt_u32_e32 vcc_lo, 39, v7
	s_or_b32 s5, vcc_lo, s5
	s_waitcnt vmcnt(2) lgkmcnt(0)
	v_mul_f64 v[30:31], v[24:25], v[26:27]
	v_mul_f64 v[26:27], v[22:23], v[26:27]
	s_waitcnt vmcnt(0)
	v_fma_f64 v[22:23], v[22:23], v[28:29], -v[30:31]
	v_fma_f64 v[24:25], v[24:25], v[28:29], v[26:27]
	v_add_f64 v[3:4], v[3:4], v[22:23]
	v_add_f64 v[1:2], v[1:2], v[24:25]
	s_andn2_b32 exec_lo, exec_lo, s5
	s_cbranch_execnz .LBB47_177
; %bb.178:
	s_or_b32 exec_lo, exec_lo, s5
	v_mov_b32_e32 v7, 0
	ds_read_b128 v[21:24], v7 offset:656
	s_waitcnt lgkmcnt(0)
	v_mul_f64 v[7:8], v[1:2], v[23:24]
	v_mul_f64 v[23:24], v[3:4], v[23:24]
	v_fma_f64 v[3:4], v[3:4], v[21:22], -v[7:8]
	v_fma_f64 v[1:2], v[1:2], v[21:22], v[23:24]
	buffer_store_dword v4, off, s[0:3], 0 offset:676
	buffer_store_dword v3, off, s[0:3], 0 offset:672
	buffer_store_dword v2, off, s[0:3], 0 offset:684
	buffer_store_dword v1, off, s[0:3], 0 offset:680
.LBB47_179:
	s_or_b32 exec_lo, exec_lo, s4
	v_mov_b32_e32 v4, s15
	s_waitcnt_vscnt null, 0x0
	s_barrier
	buffer_gl0_inv
	s_mov_b32 s4, exec_lo
	s_clause 0x3
	buffer_load_dword v1, v4, s[0:3], 0 offen
	buffer_load_dword v2, v4, s[0:3], 0 offen offset:4
	buffer_load_dword v3, v4, s[0:3], 0 offen offset:8
	;; [unrolled: 1-line block ×3, first 2 shown]
	s_waitcnt vmcnt(0)
	ds_write_b128 v5, v[1:4]
	s_waitcnt lgkmcnt(0)
	s_barrier
	buffer_gl0_inv
	v_cmpx_gt_u32_e32 42, v0
	s_cbranch_execz .LBB47_183
; %bb.180:
	v_mov_b32_e32 v1, 0
	v_mov_b32_e32 v3, 0
	v_add_nc_u32_e32 v7, -1, v0
	v_add_nc_u32_e32 v8, 0x300, v161
	v_mov_b32_e32 v2, 0
	v_mov_b32_e32 v4, 0
	v_add_nc_u32_e32 v21, 16, v161
	s_mov_b32 s5, 0
	.p2align	6
.LBB47_181:                             ; =>This Inner Loop Header: Depth=1
	s_clause 0x3
	buffer_load_dword v26, v21, s[0:3], 0 offen offset:8
	buffer_load_dword v27, v21, s[0:3], 0 offen offset:12
	buffer_load_dword v28, v21, s[0:3], 0 offen
	buffer_load_dword v29, v21, s[0:3], 0 offen offset:4
	ds_read_b128 v[22:25], v8
	v_add_nc_u32_e32 v7, 1, v7
	v_add_nc_u32_e32 v8, 16, v8
	;; [unrolled: 1-line block ×3, first 2 shown]
	v_cmp_lt_u32_e32 vcc_lo, 40, v7
	s_or_b32 s5, vcc_lo, s5
	s_waitcnt vmcnt(2) lgkmcnt(0)
	v_mul_f64 v[30:31], v[24:25], v[26:27]
	v_mul_f64 v[26:27], v[22:23], v[26:27]
	s_waitcnt vmcnt(0)
	v_fma_f64 v[22:23], v[22:23], v[28:29], -v[30:31]
	v_fma_f64 v[24:25], v[24:25], v[28:29], v[26:27]
	v_add_f64 v[3:4], v[3:4], v[22:23]
	v_add_f64 v[1:2], v[1:2], v[24:25]
	s_andn2_b32 exec_lo, exec_lo, s5
	s_cbranch_execnz .LBB47_181
; %bb.182:
	s_or_b32 exec_lo, exec_lo, s5
	v_mov_b32_e32 v7, 0
	ds_read_b128 v[21:24], v7 offset:672
	s_waitcnt lgkmcnt(0)
	v_mul_f64 v[7:8], v[1:2], v[23:24]
	v_mul_f64 v[23:24], v[3:4], v[23:24]
	v_fma_f64 v[3:4], v[3:4], v[21:22], -v[7:8]
	v_fma_f64 v[1:2], v[1:2], v[21:22], v[23:24]
	buffer_store_dword v4, off, s[0:3], 0 offset:692
	buffer_store_dword v3, off, s[0:3], 0 offset:688
	;; [unrolled: 1-line block ×4, first 2 shown]
.LBB47_183:
	s_or_b32 exec_lo, exec_lo, s4
	v_mov_b32_e32 v4, s14
	s_waitcnt_vscnt null, 0x0
	s_barrier
	buffer_gl0_inv
	s_mov_b32 s4, exec_lo
	s_clause 0x3
	buffer_load_dword v1, v4, s[0:3], 0 offen
	buffer_load_dword v2, v4, s[0:3], 0 offen offset:4
	buffer_load_dword v3, v4, s[0:3], 0 offen offset:8
	buffer_load_dword v4, v4, s[0:3], 0 offen offset:12
	s_waitcnt vmcnt(0)
	ds_write_b128 v5, v[1:4]
	s_waitcnt lgkmcnt(0)
	s_barrier
	buffer_gl0_inv
	v_cmpx_gt_u32_e32 43, v0
	s_cbranch_execz .LBB47_187
; %bb.184:
	v_mov_b32_e32 v1, 0
	v_mov_b32_e32 v3, 0
	v_add_nc_u32_e32 v7, -1, v0
	v_add_nc_u32_e32 v8, 0x300, v161
	v_mov_b32_e32 v2, 0
	v_mov_b32_e32 v4, 0
	v_add_nc_u32_e32 v21, 16, v161
	s_mov_b32 s5, 0
	.p2align	6
.LBB47_185:                             ; =>This Inner Loop Header: Depth=1
	s_clause 0x3
	buffer_load_dword v26, v21, s[0:3], 0 offen offset:8
	buffer_load_dword v27, v21, s[0:3], 0 offen offset:12
	buffer_load_dword v28, v21, s[0:3], 0 offen
	buffer_load_dword v29, v21, s[0:3], 0 offen offset:4
	ds_read_b128 v[22:25], v8
	v_add_nc_u32_e32 v7, 1, v7
	v_add_nc_u32_e32 v8, 16, v8
	;; [unrolled: 1-line block ×3, first 2 shown]
	v_cmp_lt_u32_e32 vcc_lo, 41, v7
	s_or_b32 s5, vcc_lo, s5
	s_waitcnt vmcnt(2) lgkmcnt(0)
	v_mul_f64 v[30:31], v[24:25], v[26:27]
	v_mul_f64 v[26:27], v[22:23], v[26:27]
	s_waitcnt vmcnt(0)
	v_fma_f64 v[22:23], v[22:23], v[28:29], -v[30:31]
	v_fma_f64 v[24:25], v[24:25], v[28:29], v[26:27]
	v_add_f64 v[3:4], v[3:4], v[22:23]
	v_add_f64 v[1:2], v[1:2], v[24:25]
	s_andn2_b32 exec_lo, exec_lo, s5
	s_cbranch_execnz .LBB47_185
; %bb.186:
	s_or_b32 exec_lo, exec_lo, s5
	v_mov_b32_e32 v7, 0
	ds_read_b128 v[21:24], v7 offset:688
	s_waitcnt lgkmcnt(0)
	v_mul_f64 v[7:8], v[1:2], v[23:24]
	v_mul_f64 v[23:24], v[3:4], v[23:24]
	v_fma_f64 v[3:4], v[3:4], v[21:22], -v[7:8]
	v_fma_f64 v[1:2], v[1:2], v[21:22], v[23:24]
	buffer_store_dword v4, off, s[0:3], 0 offset:708
	buffer_store_dword v3, off, s[0:3], 0 offset:704
	;; [unrolled: 1-line block ×4, first 2 shown]
.LBB47_187:
	s_or_b32 exec_lo, exec_lo, s4
	v_mov_b32_e32 v4, s13
	s_waitcnt_vscnt null, 0x0
	s_barrier
	buffer_gl0_inv
	s_mov_b32 s4, exec_lo
	s_clause 0x3
	buffer_load_dword v1, v4, s[0:3], 0 offen
	buffer_load_dword v2, v4, s[0:3], 0 offen offset:4
	buffer_load_dword v3, v4, s[0:3], 0 offen offset:8
	;; [unrolled: 1-line block ×3, first 2 shown]
	s_waitcnt vmcnt(0)
	ds_write_b128 v5, v[1:4]
	s_waitcnt lgkmcnt(0)
	s_barrier
	buffer_gl0_inv
	v_cmpx_gt_u32_e32 44, v0
	s_cbranch_execz .LBB47_191
; %bb.188:
	v_mov_b32_e32 v1, 0
	v_mov_b32_e32 v3, 0
	v_add_nc_u32_e32 v7, -1, v0
	v_add_nc_u32_e32 v8, 0x300, v161
	v_mov_b32_e32 v2, 0
	v_mov_b32_e32 v4, 0
	v_add_nc_u32_e32 v21, 16, v161
	s_mov_b32 s5, 0
	.p2align	6
.LBB47_189:                             ; =>This Inner Loop Header: Depth=1
	s_clause 0x3
	buffer_load_dword v26, v21, s[0:3], 0 offen offset:8
	buffer_load_dword v27, v21, s[0:3], 0 offen offset:12
	buffer_load_dword v28, v21, s[0:3], 0 offen
	buffer_load_dword v29, v21, s[0:3], 0 offen offset:4
	ds_read_b128 v[22:25], v8
	v_add_nc_u32_e32 v7, 1, v7
	v_add_nc_u32_e32 v8, 16, v8
	;; [unrolled: 1-line block ×3, first 2 shown]
	v_cmp_lt_u32_e32 vcc_lo, 42, v7
	s_or_b32 s5, vcc_lo, s5
	s_waitcnt vmcnt(2) lgkmcnt(0)
	v_mul_f64 v[30:31], v[24:25], v[26:27]
	v_mul_f64 v[26:27], v[22:23], v[26:27]
	s_waitcnt vmcnt(0)
	v_fma_f64 v[22:23], v[22:23], v[28:29], -v[30:31]
	v_fma_f64 v[24:25], v[24:25], v[28:29], v[26:27]
	v_add_f64 v[3:4], v[3:4], v[22:23]
	v_add_f64 v[1:2], v[1:2], v[24:25]
	s_andn2_b32 exec_lo, exec_lo, s5
	s_cbranch_execnz .LBB47_189
; %bb.190:
	s_or_b32 exec_lo, exec_lo, s5
	v_mov_b32_e32 v7, 0
	ds_read_b128 v[21:24], v7 offset:704
	s_waitcnt lgkmcnt(0)
	v_mul_f64 v[7:8], v[1:2], v[23:24]
	v_mul_f64 v[23:24], v[3:4], v[23:24]
	v_fma_f64 v[3:4], v[3:4], v[21:22], -v[7:8]
	v_fma_f64 v[1:2], v[1:2], v[21:22], v[23:24]
	buffer_store_dword v4, off, s[0:3], 0 offset:724
	buffer_store_dword v3, off, s[0:3], 0 offset:720
	;; [unrolled: 1-line block ×4, first 2 shown]
.LBB47_191:
	s_or_b32 exec_lo, exec_lo, s4
	v_mov_b32_e32 v4, s12
	s_waitcnt_vscnt null, 0x0
	s_barrier
	buffer_gl0_inv
	s_mov_b32 s4, exec_lo
	s_clause 0x3
	buffer_load_dword v1, v4, s[0:3], 0 offen
	buffer_load_dword v2, v4, s[0:3], 0 offen offset:4
	buffer_load_dword v3, v4, s[0:3], 0 offen offset:8
	buffer_load_dword v4, v4, s[0:3], 0 offen offset:12
	s_waitcnt vmcnt(0)
	ds_write_b128 v5, v[1:4]
	s_waitcnt lgkmcnt(0)
	s_barrier
	buffer_gl0_inv
	v_cmpx_gt_u32_e32 45, v0
	s_cbranch_execz .LBB47_195
; %bb.192:
	v_mov_b32_e32 v1, 0
	v_mov_b32_e32 v3, 0
	v_add_nc_u32_e32 v7, -1, v0
	v_add_nc_u32_e32 v8, 0x300, v161
	v_mov_b32_e32 v2, 0
	v_mov_b32_e32 v4, 0
	v_add_nc_u32_e32 v21, 16, v161
	s_mov_b32 s5, 0
	.p2align	6
.LBB47_193:                             ; =>This Inner Loop Header: Depth=1
	s_clause 0x3
	buffer_load_dword v26, v21, s[0:3], 0 offen offset:8
	buffer_load_dword v27, v21, s[0:3], 0 offen offset:12
	buffer_load_dword v28, v21, s[0:3], 0 offen
	buffer_load_dword v29, v21, s[0:3], 0 offen offset:4
	ds_read_b128 v[22:25], v8
	v_add_nc_u32_e32 v7, 1, v7
	v_add_nc_u32_e32 v8, 16, v8
	;; [unrolled: 1-line block ×3, first 2 shown]
	v_cmp_lt_u32_e32 vcc_lo, 43, v7
	s_or_b32 s5, vcc_lo, s5
	s_waitcnt vmcnt(2) lgkmcnt(0)
	v_mul_f64 v[30:31], v[24:25], v[26:27]
	v_mul_f64 v[26:27], v[22:23], v[26:27]
	s_waitcnt vmcnt(0)
	v_fma_f64 v[22:23], v[22:23], v[28:29], -v[30:31]
	v_fma_f64 v[24:25], v[24:25], v[28:29], v[26:27]
	v_add_f64 v[3:4], v[3:4], v[22:23]
	v_add_f64 v[1:2], v[1:2], v[24:25]
	s_andn2_b32 exec_lo, exec_lo, s5
	s_cbranch_execnz .LBB47_193
; %bb.194:
	s_or_b32 exec_lo, exec_lo, s5
	v_mov_b32_e32 v7, 0
	ds_read_b128 v[21:24], v7 offset:720
	s_waitcnt lgkmcnt(0)
	v_mul_f64 v[7:8], v[1:2], v[23:24]
	v_mul_f64 v[23:24], v[3:4], v[23:24]
	v_fma_f64 v[3:4], v[3:4], v[21:22], -v[7:8]
	v_fma_f64 v[1:2], v[1:2], v[21:22], v[23:24]
	buffer_store_dword v4, off, s[0:3], 0 offset:740
	buffer_store_dword v3, off, s[0:3], 0 offset:736
	buffer_store_dword v2, off, s[0:3], 0 offset:748
	buffer_store_dword v1, off, s[0:3], 0 offset:744
.LBB47_195:
	s_or_b32 exec_lo, exec_lo, s4
	v_mov_b32_e32 v4, s9
	s_waitcnt_vscnt null, 0x0
	s_barrier
	buffer_gl0_inv
	s_mov_b32 s4, exec_lo
	s_clause 0x3
	buffer_load_dword v1, v4, s[0:3], 0 offen
	buffer_load_dword v2, v4, s[0:3], 0 offen offset:4
	buffer_load_dword v3, v4, s[0:3], 0 offen offset:8
	;; [unrolled: 1-line block ×3, first 2 shown]
	s_waitcnt vmcnt(0)
	ds_write_b128 v5, v[1:4]
	s_waitcnt lgkmcnt(0)
	s_barrier
	buffer_gl0_inv
	v_cmpx_gt_u32_e32 46, v0
	s_cbranch_execz .LBB47_199
; %bb.196:
	v_mov_b32_e32 v1, 0
	v_mov_b32_e32 v3, 0
	v_add_nc_u32_e32 v7, -1, v0
	v_add_nc_u32_e32 v8, 0x300, v161
	v_mov_b32_e32 v2, 0
	v_mov_b32_e32 v4, 0
	v_add_nc_u32_e32 v21, 16, v161
	s_mov_b32 s5, 0
	.p2align	6
.LBB47_197:                             ; =>This Inner Loop Header: Depth=1
	s_clause 0x3
	buffer_load_dword v26, v21, s[0:3], 0 offen offset:8
	buffer_load_dword v27, v21, s[0:3], 0 offen offset:12
	buffer_load_dword v28, v21, s[0:3], 0 offen
	buffer_load_dword v29, v21, s[0:3], 0 offen offset:4
	ds_read_b128 v[22:25], v8
	v_add_nc_u32_e32 v7, 1, v7
	v_add_nc_u32_e32 v8, 16, v8
	;; [unrolled: 1-line block ×3, first 2 shown]
	v_cmp_lt_u32_e32 vcc_lo, 44, v7
	s_or_b32 s5, vcc_lo, s5
	s_waitcnt vmcnt(2) lgkmcnt(0)
	v_mul_f64 v[30:31], v[24:25], v[26:27]
	v_mul_f64 v[26:27], v[22:23], v[26:27]
	s_waitcnt vmcnt(0)
	v_fma_f64 v[22:23], v[22:23], v[28:29], -v[30:31]
	v_fma_f64 v[24:25], v[24:25], v[28:29], v[26:27]
	v_add_f64 v[3:4], v[3:4], v[22:23]
	v_add_f64 v[1:2], v[1:2], v[24:25]
	s_andn2_b32 exec_lo, exec_lo, s5
	s_cbranch_execnz .LBB47_197
; %bb.198:
	s_or_b32 exec_lo, exec_lo, s5
	v_mov_b32_e32 v7, 0
	ds_read_b128 v[21:24], v7 offset:736
	s_waitcnt lgkmcnt(0)
	v_mul_f64 v[7:8], v[1:2], v[23:24]
	v_mul_f64 v[23:24], v[3:4], v[23:24]
	v_fma_f64 v[3:4], v[3:4], v[21:22], -v[7:8]
	v_fma_f64 v[1:2], v[1:2], v[21:22], v[23:24]
	buffer_store_dword v4, off, s[0:3], 0 offset:756
	buffer_store_dword v3, off, s[0:3], 0 offset:752
	;; [unrolled: 1-line block ×4, first 2 shown]
.LBB47_199:
	s_or_b32 exec_lo, exec_lo, s4
	v_mov_b32_e32 v4, s8
	s_waitcnt_vscnt null, 0x0
	s_barrier
	buffer_gl0_inv
	s_mov_b32 s4, exec_lo
	s_clause 0x3
	buffer_load_dword v1, v4, s[0:3], 0 offen
	buffer_load_dword v2, v4, s[0:3], 0 offen offset:4
	buffer_load_dword v3, v4, s[0:3], 0 offen offset:8
	;; [unrolled: 1-line block ×3, first 2 shown]
	s_waitcnt vmcnt(0)
	ds_write_b128 v5, v[1:4]
	s_waitcnt lgkmcnt(0)
	s_barrier
	buffer_gl0_inv
	v_cmpx_ne_u32_e32 47, v0
	s_cbranch_execz .LBB47_203
; %bb.200:
	v_mov_b32_e32 v1, 0
	v_mov_b32_e32 v3, 0
	;; [unrolled: 1-line block ×4, first 2 shown]
	v_add_nc_u32_e32 v7, 16, v161
	s_mov_b32 s5, 0
	.p2align	6
.LBB47_201:                             ; =>This Inner Loop Header: Depth=1
	s_clause 0x3
	buffer_load_dword v25, v7, s[0:3], 0 offen offset:8
	buffer_load_dword v26, v7, s[0:3], 0 offen offset:12
	buffer_load_dword v27, v7, s[0:3], 0 offen
	buffer_load_dword v28, v7, s[0:3], 0 offen offset:4
	ds_read_b128 v[21:24], v5
	v_add_nc_u32_e32 v6, 1, v6
	v_add_nc_u32_e32 v5, 16, v5
	;; [unrolled: 1-line block ×3, first 2 shown]
	v_cmp_lt_u32_e32 vcc_lo, 45, v6
	s_or_b32 s5, vcc_lo, s5
	s_waitcnt vmcnt(2) lgkmcnt(0)
	v_mul_f64 v[29:30], v[23:24], v[25:26]
	v_mul_f64 v[25:26], v[21:22], v[25:26]
	s_waitcnt vmcnt(0)
	v_fma_f64 v[21:22], v[21:22], v[27:28], -v[29:30]
	v_fma_f64 v[23:24], v[23:24], v[27:28], v[25:26]
	v_add_f64 v[3:4], v[3:4], v[21:22]
	v_add_f64 v[1:2], v[1:2], v[23:24]
	s_andn2_b32 exec_lo, exec_lo, s5
	s_cbranch_execnz .LBB47_201
; %bb.202:
	s_or_b32 exec_lo, exec_lo, s5
	v_mov_b32_e32 v5, 0
	ds_read_b128 v[5:8], v5 offset:752
	s_waitcnt lgkmcnt(0)
	v_mul_f64 v[21:22], v[1:2], v[7:8]
	v_mul_f64 v[7:8], v[3:4], v[7:8]
	v_fma_f64 v[3:4], v[3:4], v[5:6], -v[21:22]
	v_fma_f64 v[1:2], v[1:2], v[5:6], v[7:8]
	buffer_store_dword v4, off, s[0:3], 0 offset:772
	buffer_store_dword v3, off, s[0:3], 0 offset:768
	;; [unrolled: 1-line block ×4, first 2 shown]
.LBB47_203:
	s_or_b32 exec_lo, exec_lo, s4
	s_mov_b32 s5, -1
	s_waitcnt_vscnt null, 0x0
	s_barrier
	buffer_gl0_inv
.LBB47_204:
	s_and_b32 vcc_lo, exec_lo, s5
	s_cbranch_vccz .LBB47_206
; %bb.205:
	s_lshl_b64 s[4:5], s[6:7], 2
	v_mov_b32_e32 v1, 0
	s_add_u32 s4, s10, s4
	s_addc_u32 s5, s11, s5
	global_load_dword v1, v1, s[4:5]
	s_waitcnt vmcnt(0)
	v_cmp_ne_u32_e32 vcc_lo, 0, v1
	s_cbranch_vccz .LBB47_207
.LBB47_206:
	s_endpgm
.LBB47_207:
	v_lshl_add_u32 v165, v0, 4, 0x300
	s_mov_b32 s4, exec_lo
	v_cmpx_eq_u32_e32 47, v0
	s_cbranch_execz .LBB47_209
; %bb.208:
	v_mov_b32_e32 v4, s9
	v_mov_b32_e32 v5, 0
	s_clause 0x3
	buffer_load_dword v1, v4, s[0:3], 0 offen
	buffer_load_dword v2, v4, s[0:3], 0 offen offset:4
	buffer_load_dword v3, v4, s[0:3], 0 offen offset:8
	;; [unrolled: 1-line block ×3, first 2 shown]
	buffer_store_dword v5, off, s[0:3], 0 offset:752
	buffer_store_dword v5, off, s[0:3], 0 offset:756
	;; [unrolled: 1-line block ×4, first 2 shown]
	s_waitcnt vmcnt(0)
	ds_write_b128 v165, v[1:4]
.LBB47_209:
	s_or_b32 exec_lo, exec_lo, s4
	s_waitcnt lgkmcnt(0)
	s_waitcnt_vscnt null, 0x0
	s_barrier
	buffer_gl0_inv
	s_clause 0x7
	buffer_load_dword v6, off, s[0:3], 0 offset:776
	buffer_load_dword v7, off, s[0:3], 0 offset:780
	;; [unrolled: 1-line block ×8, first 2 shown]
	v_mov_b32_e32 v1, 0
	s_mov_b32 s4, exec_lo
	ds_read_b128 v[2:5], v1 offset:1520
	s_waitcnt vmcnt(6) lgkmcnt(0)
	v_mul_f64 v[27:28], v[4:5], v[6:7]
	v_mul_f64 v[6:7], v[2:3], v[6:7]
	s_waitcnt vmcnt(4)
	v_fma_f64 v[2:3], v[2:3], v[21:22], -v[27:28]
	v_fma_f64 v[4:5], v[4:5], v[21:22], v[6:7]
	v_add_f64 v[2:3], v[2:3], 0
	v_add_f64 v[4:5], v[4:5], 0
	s_waitcnt vmcnt(2)
	v_add_f64 v[2:3], v[23:24], -v[2:3]
	s_waitcnt vmcnt(0)
	v_add_f64 v[4:5], v[25:26], -v[4:5]
	buffer_store_dword v2, off, s[0:3], 0 offset:752
	buffer_store_dword v3, off, s[0:3], 0 offset:756
	;; [unrolled: 1-line block ×4, first 2 shown]
	v_cmpx_lt_u32_e32 45, v0
	s_cbranch_execz .LBB47_211
; %bb.210:
	v_mov_b32_e32 v5, s12
	s_clause 0x3
	buffer_load_dword v2, v5, s[0:3], 0 offen
	buffer_load_dword v3, v5, s[0:3], 0 offen offset:4
	buffer_load_dword v4, v5, s[0:3], 0 offen offset:8
	;; [unrolled: 1-line block ×3, first 2 shown]
	buffer_store_dword v1, off, s[0:3], 0 offset:736
	buffer_store_dword v1, off, s[0:3], 0 offset:740
	;; [unrolled: 1-line block ×4, first 2 shown]
	s_waitcnt vmcnt(0)
	ds_write_b128 v165, v[2:5]
.LBB47_211:
	s_or_b32 exec_lo, exec_lo, s4
	s_waitcnt lgkmcnt(0)
	s_waitcnt_vscnt null, 0x0
	s_barrier
	buffer_gl0_inv
	s_clause 0xb
	buffer_load_dword v6, off, s[0:3], 0 offset:760
	buffer_load_dword v7, off, s[0:3], 0 offset:764
	buffer_load_dword v25, off, s[0:3], 0 offset:776
	buffer_load_dword v26, off, s[0:3], 0 offset:780
	buffer_load_dword v27, off, s[0:3], 0 offset:752
	buffer_load_dword v28, off, s[0:3], 0 offset:756
	buffer_load_dword v29, off, s[0:3], 0 offset:768
	buffer_load_dword v30, off, s[0:3], 0 offset:772
	buffer_load_dword v31, off, s[0:3], 0 offset:736
	buffer_load_dword v32, off, s[0:3], 0 offset:740
	buffer_load_dword v37, off, s[0:3], 0 offset:744
	buffer_load_dword v38, off, s[0:3], 0 offset:748
	ds_read_b128 v[2:5], v1 offset:1504
	ds_read_b128 v[21:24], v1 offset:1520
	s_mov_b32 s4, exec_lo
	s_waitcnt vmcnt(10) lgkmcnt(1)
	v_mul_f64 v[39:40], v[4:5], v[6:7]
	v_mul_f64 v[6:7], v[2:3], v[6:7]
	s_waitcnt vmcnt(8) lgkmcnt(0)
	v_mul_f64 v[41:42], v[23:24], v[25:26]
	v_mul_f64 v[25:26], v[21:22], v[25:26]
	s_waitcnt vmcnt(6)
	v_fma_f64 v[1:2], v[2:3], v[27:28], -v[39:40]
	v_fma_f64 v[3:4], v[4:5], v[27:28], v[6:7]
	s_waitcnt vmcnt(4)
	v_fma_f64 v[5:6], v[21:22], v[29:30], -v[41:42]
	v_fma_f64 v[7:8], v[23:24], v[29:30], v[25:26]
	v_add_f64 v[1:2], v[1:2], 0
	v_add_f64 v[3:4], v[3:4], 0
	;; [unrolled: 1-line block ×4, first 2 shown]
	s_waitcnt vmcnt(2)
	v_add_f64 v[1:2], v[31:32], -v[1:2]
	s_waitcnt vmcnt(0)
	v_add_f64 v[3:4], v[37:38], -v[3:4]
	buffer_store_dword v1, off, s[0:3], 0 offset:736
	buffer_store_dword v2, off, s[0:3], 0 offset:740
	;; [unrolled: 1-line block ×4, first 2 shown]
	v_cmpx_lt_u32_e32 44, v0
	s_cbranch_execz .LBB47_213
; %bb.212:
	v_mov_b32_e32 v4, s13
	v_mov_b32_e32 v5, 0
	s_clause 0x3
	buffer_load_dword v1, v4, s[0:3], 0 offen
	buffer_load_dword v2, v4, s[0:3], 0 offen offset:4
	buffer_load_dword v3, v4, s[0:3], 0 offen offset:8
	;; [unrolled: 1-line block ×3, first 2 shown]
	buffer_store_dword v5, off, s[0:3], 0 offset:720
	buffer_store_dword v5, off, s[0:3], 0 offset:724
	;; [unrolled: 1-line block ×4, first 2 shown]
	s_waitcnt vmcnt(0)
	ds_write_b128 v165, v[1:4]
.LBB47_213:
	s_or_b32 exec_lo, exec_lo, s4
	s_waitcnt lgkmcnt(0)
	s_waitcnt_vscnt null, 0x0
	s_barrier
	buffer_gl0_inv
	s_clause 0xf
	buffer_load_dword v6, off, s[0:3], 0 offset:744
	buffer_load_dword v7, off, s[0:3], 0 offset:748
	;; [unrolled: 1-line block ×16, first 2 shown]
	v_mov_b32_e32 v1, 0
	ds_read_b128 v[2:5], v1 offset:1488
	ds_read_b128 v[21:24], v1 offset:1504
	;; [unrolled: 1-line block ×3, first 2 shown]
	s_mov_b32 s4, exec_lo
	s_waitcnt vmcnt(14) lgkmcnt(2)
	v_mul_f64 v[47:48], v[4:5], v[6:7]
	v_mul_f64 v[6:7], v[2:3], v[6:7]
	s_waitcnt vmcnt(12) lgkmcnt(1)
	v_mul_f64 v[49:50], v[23:24], v[29:30]
	v_mul_f64 v[29:30], v[21:22], v[29:30]
	s_waitcnt vmcnt(10)
	v_fma_f64 v[2:3], v[2:3], v[31:32], -v[47:48]
	v_fma_f64 v[4:5], v[4:5], v[31:32], v[6:7]
	s_waitcnt vmcnt(8) lgkmcnt(0)
	v_mul_f64 v[31:32], v[27:28], v[37:38]
	s_waitcnt vmcnt(6)
	v_fma_f64 v[21:22], v[21:22], v[39:40], -v[49:50]
	v_mul_f64 v[6:7], v[25:26], v[37:38]
	v_fma_f64 v[23:24], v[23:24], v[39:40], v[29:30]
	v_add_f64 v[2:3], v[2:3], 0
	v_add_f64 v[4:5], v[4:5], 0
	s_waitcnt vmcnt(4)
	v_fma_f64 v[25:26], v[25:26], v[41:42], -v[31:32]
	v_fma_f64 v[6:7], v[27:28], v[41:42], v[6:7]
	v_add_f64 v[2:3], v[2:3], v[21:22]
	v_add_f64 v[4:5], v[4:5], v[23:24]
	v_add_f64 v[2:3], v[2:3], v[25:26]
	v_add_f64 v[4:5], v[4:5], v[6:7]
	s_waitcnt vmcnt(2)
	v_add_f64 v[2:3], v[43:44], -v[2:3]
	s_waitcnt vmcnt(0)
	v_add_f64 v[4:5], v[45:46], -v[4:5]
	buffer_store_dword v2, off, s[0:3], 0 offset:720
	buffer_store_dword v3, off, s[0:3], 0 offset:724
	;; [unrolled: 1-line block ×4, first 2 shown]
	v_cmpx_lt_u32_e32 43, v0
	s_cbranch_execz .LBB47_215
; %bb.214:
	v_mov_b32_e32 v5, s14
	s_clause 0x3
	buffer_load_dword v2, v5, s[0:3], 0 offen
	buffer_load_dword v3, v5, s[0:3], 0 offen offset:4
	buffer_load_dword v4, v5, s[0:3], 0 offen offset:8
	;; [unrolled: 1-line block ×3, first 2 shown]
	buffer_store_dword v1, off, s[0:3], 0 offset:704
	buffer_store_dword v1, off, s[0:3], 0 offset:708
	buffer_store_dword v1, off, s[0:3], 0 offset:712
	buffer_store_dword v1, off, s[0:3], 0 offset:716
	s_waitcnt vmcnt(0)
	ds_write_b128 v165, v[2:5]
.LBB47_215:
	s_or_b32 exec_lo, exec_lo, s4
	s_waitcnt lgkmcnt(0)
	s_waitcnt_vscnt null, 0x0
	s_barrier
	buffer_gl0_inv
	s_clause 0x13
	buffer_load_dword v6, off, s[0:3], 0 offset:728
	buffer_load_dword v7, off, s[0:3], 0 offset:732
	;; [unrolled: 1-line block ×20, first 2 shown]
	ds_read_b128 v[2:5], v1 offset:1472
	ds_read_b128 v[21:24], v1 offset:1488
	;; [unrolled: 1-line block ×3, first 2 shown]
	s_mov_b32 s4, exec_lo
	s_waitcnt vmcnt(18) lgkmcnt(2)
	v_mul_f64 v[51:52], v[4:5], v[6:7]
	v_mul_f64 v[6:7], v[2:3], v[6:7]
	s_waitcnt vmcnt(16) lgkmcnt(1)
	v_mul_f64 v[53:54], v[23:24], v[29:30]
	v_mul_f64 v[29:30], v[21:22], v[29:30]
	s_waitcnt vmcnt(14)
	v_fma_f64 v[51:52], v[2:3], v[31:32], -v[51:52]
	v_fma_f64 v[5:6], v[4:5], v[31:32], v[6:7]
	s_waitcnt vmcnt(12) lgkmcnt(0)
	v_mul_f64 v[7:8], v[25:26], v[37:38]
	v_mul_f64 v[31:32], v[27:28], v[37:38]
	s_waitcnt vmcnt(10)
	v_fma_f64 v[21:22], v[21:22], v[39:40], -v[53:54]
	ds_read_b128 v[1:4], v1 offset:1520
	v_fma_f64 v[23:24], v[23:24], v[39:40], v[29:30]
	v_add_f64 v[37:38], v[51:52], 0
	v_add_f64 v[5:6], v[5:6], 0
	s_waitcnt vmcnt(6)
	v_fma_f64 v[7:8], v[27:28], v[43:44], v[7:8]
	s_waitcnt lgkmcnt(0)
	v_mul_f64 v[39:40], v[3:4], v[41:42]
	v_fma_f64 v[25:26], v[25:26], v[43:44], -v[31:32]
	v_mul_f64 v[29:30], v[1:2], v[41:42]
	v_add_f64 v[21:22], v[37:38], v[21:22]
	v_add_f64 v[5:6], v[5:6], v[23:24]
	s_waitcnt vmcnt(4)
	v_fma_f64 v[1:2], v[1:2], v[45:46], -v[39:40]
	v_fma_f64 v[3:4], v[3:4], v[45:46], v[29:30]
	v_add_f64 v[21:22], v[21:22], v[25:26]
	v_add_f64 v[5:6], v[5:6], v[7:8]
	;; [unrolled: 1-line block ×4, first 2 shown]
	s_waitcnt vmcnt(2)
	v_add_f64 v[1:2], v[47:48], -v[1:2]
	s_waitcnt vmcnt(0)
	v_add_f64 v[3:4], v[49:50], -v[3:4]
	buffer_store_dword v1, off, s[0:3], 0 offset:704
	buffer_store_dword v2, off, s[0:3], 0 offset:708
	;; [unrolled: 1-line block ×4, first 2 shown]
	v_cmpx_lt_u32_e32 42, v0
	s_cbranch_execz .LBB47_217
; %bb.216:
	v_mov_b32_e32 v4, s15
	v_mov_b32_e32 v5, 0
	s_clause 0x3
	buffer_load_dword v1, v4, s[0:3], 0 offen
	buffer_load_dword v2, v4, s[0:3], 0 offen offset:4
	buffer_load_dword v3, v4, s[0:3], 0 offen offset:8
	buffer_load_dword v4, v4, s[0:3], 0 offen offset:12
	buffer_store_dword v5, off, s[0:3], 0 offset:688
	buffer_store_dword v5, off, s[0:3], 0 offset:692
	buffer_store_dword v5, off, s[0:3], 0 offset:696
	buffer_store_dword v5, off, s[0:3], 0 offset:700
	s_waitcnt vmcnt(0)
	ds_write_b128 v165, v[1:4]
.LBB47_217:
	s_or_b32 exec_lo, exec_lo, s4
	s_waitcnt lgkmcnt(0)
	s_waitcnt_vscnt null, 0x0
	s_barrier
	buffer_gl0_inv
	s_clause 0x17
	buffer_load_dword v6, off, s[0:3], 0 offset:712
	buffer_load_dword v7, off, s[0:3], 0 offset:716
	;; [unrolled: 1-line block ×24, first 2 shown]
	v_mov_b32_e32 v1, 0
	ds_read_b128 v[2:5], v1 offset:1456
	ds_read_b128 v[21:24], v1 offset:1472
	;; [unrolled: 1-line block ×3, first 2 shown]
	s_mov_b32 s4, exec_lo
	s_waitcnt vmcnt(22) lgkmcnt(2)
	v_mul_f64 v[55:56], v[4:5], v[6:7]
	v_mul_f64 v[6:7], v[2:3], v[6:7]
	s_waitcnt vmcnt(20) lgkmcnt(1)
	v_mul_f64 v[57:58], v[23:24], v[29:30]
	v_mul_f64 v[29:30], v[21:22], v[29:30]
	s_waitcnt vmcnt(18)
	v_fma_f64 v[55:56], v[2:3], v[31:32], -v[55:56]
	v_fma_f64 v[6:7], v[4:5], v[31:32], v[6:7]
	ds_read_b128 v[2:5], v1 offset:1504
	s_waitcnt vmcnt(16) lgkmcnt(1)
	v_mul_f64 v[31:32], v[25:26], v[37:38]
	v_mul_f64 v[37:38], v[27:28], v[37:38]
	s_waitcnt vmcnt(14)
	v_fma_f64 v[57:58], v[21:22], v[39:40], -v[57:58]
	v_fma_f64 v[29:30], v[23:24], v[39:40], v[29:30]
	ds_read_b128 v[21:24], v1 offset:1520
	s_waitcnt vmcnt(10) lgkmcnt(1)
	v_mul_f64 v[39:40], v[2:3], v[41:42]
	v_add_f64 v[55:56], v[55:56], 0
	v_add_f64 v[6:7], v[6:7], 0
	v_mul_f64 v[41:42], v[4:5], v[41:42]
	s_waitcnt vmcnt(8)
	v_fma_f64 v[25:26], v[25:26], v[47:48], -v[37:38]
	v_fma_f64 v[27:28], v[27:28], v[47:48], v[31:32]
	s_waitcnt vmcnt(7) lgkmcnt(0)
	v_mul_f64 v[31:32], v[23:24], v[43:44]
	s_waitcnt vmcnt(5)
	v_fma_f64 v[4:5], v[4:5], v[49:50], v[39:40]
	v_add_f64 v[37:38], v[55:56], v[57:58]
	v_add_f64 v[6:7], v[6:7], v[29:30]
	v_fma_f64 v[2:3], v[2:3], v[49:50], -v[41:42]
	v_mul_f64 v[29:30], v[21:22], v[43:44]
	s_waitcnt vmcnt(4)
	v_fma_f64 v[21:22], v[21:22], v[45:46], -v[31:32]
	v_add_f64 v[25:26], v[37:38], v[25:26]
	v_add_f64 v[6:7], v[6:7], v[27:28]
	v_fma_f64 v[23:24], v[23:24], v[45:46], v[29:30]
	v_add_f64 v[2:3], v[25:26], v[2:3]
	v_add_f64 v[4:5], v[6:7], v[4:5]
	;; [unrolled: 1-line block ×4, first 2 shown]
	s_waitcnt vmcnt(2)
	v_add_f64 v[2:3], v[51:52], -v[2:3]
	s_waitcnt vmcnt(0)
	v_add_f64 v[4:5], v[53:54], -v[4:5]
	buffer_store_dword v3, off, s[0:3], 0 offset:692
	buffer_store_dword v2, off, s[0:3], 0 offset:688
	;; [unrolled: 1-line block ×4, first 2 shown]
	v_cmpx_lt_u32_e32 41, v0
	s_cbranch_execz .LBB47_219
; %bb.218:
	v_mov_b32_e32 v5, s16
	s_clause 0x3
	buffer_load_dword v2, v5, s[0:3], 0 offen
	buffer_load_dword v3, v5, s[0:3], 0 offen offset:4
	buffer_load_dword v4, v5, s[0:3], 0 offen offset:8
	;; [unrolled: 1-line block ×3, first 2 shown]
	buffer_store_dword v1, off, s[0:3], 0 offset:672
	buffer_store_dword v1, off, s[0:3], 0 offset:676
	;; [unrolled: 1-line block ×4, first 2 shown]
	s_waitcnt vmcnt(0)
	ds_write_b128 v165, v[2:5]
.LBB47_219:
	s_or_b32 exec_lo, exec_lo, s4
	s_waitcnt lgkmcnt(0)
	s_waitcnt_vscnt null, 0x0
	s_barrier
	buffer_gl0_inv
	s_clause 0x1b
	buffer_load_dword v6, off, s[0:3], 0 offset:696
	buffer_load_dword v7, off, s[0:3], 0 offset:700
	;; [unrolled: 1-line block ×28, first 2 shown]
	ds_read_b128 v[2:5], v1 offset:1440
	ds_read_b128 v[21:24], v1 offset:1456
	ds_read_b128 v[25:28], v1 offset:1472
	s_mov_b32 s4, exec_lo
	s_waitcnt vmcnt(26) lgkmcnt(2)
	v_mul_f64 v[59:60], v[4:5], v[6:7]
	v_mul_f64 v[6:7], v[2:3], v[6:7]
	s_waitcnt vmcnt(24) lgkmcnt(1)
	v_mul_f64 v[65:66], v[23:24], v[29:30]
	v_mul_f64 v[29:30], v[21:22], v[29:30]
	s_waitcnt vmcnt(22)
	v_fma_f64 v[59:60], v[2:3], v[31:32], -v[59:60]
	v_fma_f64 v[6:7], v[4:5], v[31:32], v[6:7]
	ds_read_b128 v[2:5], v1 offset:1488
	s_waitcnt vmcnt(20) lgkmcnt(1)
	v_mul_f64 v[31:32], v[25:26], v[37:38]
	v_mul_f64 v[37:38], v[27:28], v[37:38]
	s_waitcnt vmcnt(18)
	v_fma_f64 v[65:66], v[21:22], v[39:40], -v[65:66]
	v_fma_f64 v[29:30], v[23:24], v[39:40], v[29:30]
	ds_read_b128 v[21:24], v1 offset:1504
	s_waitcnt vmcnt(14) lgkmcnt(1)
	v_mul_f64 v[39:40], v[2:3], v[41:42]
	v_add_f64 v[59:60], v[59:60], 0
	v_add_f64 v[6:7], v[6:7], 0
	v_mul_f64 v[41:42], v[4:5], v[41:42]
	s_waitcnt vmcnt(12)
	v_fma_f64 v[37:38], v[25:26], v[47:48], -v[37:38]
	v_fma_f64 v[31:32], v[27:28], v[47:48], v[31:32]
	ds_read_b128 v[25:28], v1 offset:1520
	v_add_f64 v[59:60], v[59:60], v[65:66]
	v_add_f64 v[6:7], v[6:7], v[29:30]
	s_waitcnt vmcnt(11) lgkmcnt(1)
	v_mul_f64 v[29:30], v[21:22], v[43:44]
	v_mul_f64 v[43:44], v[23:24], v[43:44]
	s_waitcnt vmcnt(9)
	v_fma_f64 v[1:2], v[2:3], v[49:50], -v[41:42]
	v_fma_f64 v[3:4], v[4:5], v[49:50], v[39:40]
	v_add_f64 v[37:38], v[59:60], v[37:38]
	v_add_f64 v[5:6], v[6:7], v[31:32]
	s_waitcnt vmcnt(7) lgkmcnt(0)
	v_mul_f64 v[31:32], v[27:28], v[51:52]
	s_waitcnt vmcnt(6)
	v_fma_f64 v[21:22], v[21:22], v[45:46], -v[43:44]
	v_mul_f64 v[7:8], v[25:26], v[51:52]
	v_fma_f64 v[23:24], v[23:24], v[45:46], v[29:30]
	v_add_f64 v[1:2], v[37:38], v[1:2]
	v_add_f64 v[3:4], v[5:6], v[3:4]
	s_waitcnt vmcnt(4)
	v_fma_f64 v[5:6], v[25:26], v[53:54], -v[31:32]
	v_fma_f64 v[7:8], v[27:28], v[53:54], v[7:8]
	v_add_f64 v[1:2], v[1:2], v[21:22]
	v_add_f64 v[3:4], v[3:4], v[23:24]
	;; [unrolled: 1-line block ×4, first 2 shown]
	s_waitcnt vmcnt(2)
	v_add_f64 v[1:2], v[55:56], -v[1:2]
	s_waitcnt vmcnt(0)
	v_add_f64 v[3:4], v[57:58], -v[3:4]
	buffer_store_dword v2, off, s[0:3], 0 offset:676
	buffer_store_dword v1, off, s[0:3], 0 offset:672
	;; [unrolled: 1-line block ×4, first 2 shown]
	v_cmpx_lt_u32_e32 40, v0
	s_cbranch_execz .LBB47_221
; %bb.220:
	v_mov_b32_e32 v4, s17
	v_mov_b32_e32 v5, 0
	s_clause 0x3
	buffer_load_dword v1, v4, s[0:3], 0 offen
	buffer_load_dword v2, v4, s[0:3], 0 offen offset:4
	buffer_load_dword v3, v4, s[0:3], 0 offen offset:8
	;; [unrolled: 1-line block ×3, first 2 shown]
	buffer_store_dword v5, off, s[0:3], 0 offset:656
	buffer_store_dword v5, off, s[0:3], 0 offset:660
	;; [unrolled: 1-line block ×4, first 2 shown]
	s_waitcnt vmcnt(0)
	ds_write_b128 v165, v[1:4]
.LBB47_221:
	s_or_b32 exec_lo, exec_lo, s4
	s_waitcnt lgkmcnt(0)
	s_waitcnt_vscnt null, 0x0
	s_barrier
	buffer_gl0_inv
	s_clause 0x1f
	buffer_load_dword v6, off, s[0:3], 0 offset:680
	buffer_load_dword v7, off, s[0:3], 0 offset:684
	buffer_load_dword v29, off, s[0:3], 0 offset:696
	buffer_load_dword v30, off, s[0:3], 0 offset:700
	buffer_load_dword v31, off, s[0:3], 0 offset:672
	buffer_load_dword v32, off, s[0:3], 0 offset:676
	buffer_load_dword v37, off, s[0:3], 0 offset:712
	buffer_load_dword v38, off, s[0:3], 0 offset:716
	buffer_load_dword v39, off, s[0:3], 0 offset:688
	buffer_load_dword v40, off, s[0:3], 0 offset:692
	buffer_load_dword v42, off, s[0:3], 0 offset:732
	buffer_load_dword v43, off, s[0:3], 0 offset:744
	buffer_load_dword v45, off, s[0:3], 0 offset:736
	buffer_load_dword v41, off, s[0:3], 0 offset:728
	buffer_load_dword v47, off, s[0:3], 0 offset:704
	buffer_load_dword v48, off, s[0:3], 0 offset:708
	buffer_load_dword v44, off, s[0:3], 0 offset:748
	buffer_load_dword v50, off, s[0:3], 0 offset:724
	buffer_load_dword v49, off, s[0:3], 0 offset:720
	buffer_load_dword v52, off, s[0:3], 0 offset:764
	buffer_load_dword v53, off, s[0:3], 0 offset:776
	buffer_load_dword v55, off, s[0:3], 0 offset:768
	buffer_load_dword v51, off, s[0:3], 0 offset:760
	buffer_load_dword v46, off, s[0:3], 0 offset:740
	buffer_load_dword v54, off, s[0:3], 0 offset:780
	buffer_load_dword v58, off, s[0:3], 0 offset:756
	buffer_load_dword v57, off, s[0:3], 0 offset:752
	buffer_load_dword v56, off, s[0:3], 0 offset:772
	buffer_load_dword v59, off, s[0:3], 0 offset:656
	buffer_load_dword v60, off, s[0:3], 0 offset:660
	buffer_load_dword v65, off, s[0:3], 0 offset:664
	buffer_load_dword v66, off, s[0:3], 0 offset:668
	v_mov_b32_e32 v1, 0
	ds_read_b128 v[2:5], v1 offset:1424
	ds_read_b128 v[21:24], v1 offset:1440
	;; [unrolled: 1-line block ×3, first 2 shown]
	s_mov_b32 s4, exec_lo
	s_waitcnt vmcnt(30) lgkmcnt(2)
	v_mul_f64 v[67:68], v[4:5], v[6:7]
	v_mul_f64 v[6:7], v[2:3], v[6:7]
	s_waitcnt vmcnt(28) lgkmcnt(1)
	v_mul_f64 v[69:70], v[23:24], v[29:30]
	v_mul_f64 v[29:30], v[21:22], v[29:30]
	s_waitcnt vmcnt(26)
	v_fma_f64 v[67:68], v[2:3], v[31:32], -v[67:68]
	v_fma_f64 v[6:7], v[4:5], v[31:32], v[6:7]
	ds_read_b128 v[2:5], v1 offset:1472
	s_waitcnt vmcnt(24) lgkmcnt(1)
	v_mul_f64 v[31:32], v[25:26], v[37:38]
	v_mul_f64 v[37:38], v[27:28], v[37:38]
	s_waitcnt vmcnt(22)
	v_fma_f64 v[69:70], v[21:22], v[39:40], -v[69:70]
	v_fma_f64 v[29:30], v[23:24], v[39:40], v[29:30]
	ds_read_b128 v[21:24], v1 offset:1488
	s_waitcnt vmcnt(18) lgkmcnt(1)
	v_mul_f64 v[39:40], v[2:3], v[41:42]
	v_add_f64 v[67:68], v[67:68], 0
	v_add_f64 v[6:7], v[6:7], 0
	v_mul_f64 v[41:42], v[4:5], v[41:42]
	s_waitcnt vmcnt(16)
	v_fma_f64 v[37:38], v[25:26], v[47:48], -v[37:38]
	v_fma_f64 v[31:32], v[27:28], v[47:48], v[31:32]
	ds_read_b128 v[25:28], v1 offset:1504
	s_waitcnt vmcnt(13)
	v_fma_f64 v[39:40], v[4:5], v[49:50], v[39:40]
	v_add_f64 v[67:68], v[67:68], v[69:70]
	v_add_f64 v[6:7], v[6:7], v[29:30]
	s_waitcnt lgkmcnt(1)
	v_mul_f64 v[29:30], v[21:22], v[43:44]
	v_mul_f64 v[43:44], v[23:24], v[43:44]
	v_fma_f64 v[41:42], v[2:3], v[49:50], -v[41:42]
	s_waitcnt vmcnt(9) lgkmcnt(0)
	v_mul_f64 v[47:48], v[27:28], v[51:52]
	ds_read_b128 v[2:5], v1 offset:1520
	v_add_f64 v[37:38], v[67:68], v[37:38]
	v_add_f64 v[6:7], v[6:7], v[31:32]
	v_mul_f64 v[31:32], v[25:26], v[51:52]
	s_waitcnt vmcnt(8)
	v_fma_f64 v[21:22], v[21:22], v[45:46], -v[43:44]
	v_fma_f64 v[23:24], v[23:24], v[45:46], v[29:30]
	s_waitcnt vmcnt(5)
	v_fma_f64 v[25:26], v[25:26], v[57:58], -v[47:48]
	s_waitcnt lgkmcnt(0)
	v_mul_f64 v[29:30], v[2:3], v[53:54]
	v_add_f64 v[37:38], v[37:38], v[41:42]
	v_add_f64 v[6:7], v[6:7], v[39:40]
	v_mul_f64 v[39:40], v[4:5], v[53:54]
	v_fma_f64 v[27:28], v[27:28], v[57:58], v[31:32]
	s_waitcnt vmcnt(4)
	v_fma_f64 v[4:5], v[4:5], v[55:56], v[29:30]
	v_add_f64 v[21:22], v[37:38], v[21:22]
	v_add_f64 v[6:7], v[6:7], v[23:24]
	v_fma_f64 v[2:3], v[2:3], v[55:56], -v[39:40]
	v_add_f64 v[21:22], v[21:22], v[25:26]
	v_add_f64 v[6:7], v[6:7], v[27:28]
	;; [unrolled: 1-line block ×4, first 2 shown]
	s_waitcnt vmcnt(2)
	v_add_f64 v[2:3], v[59:60], -v[2:3]
	s_waitcnt vmcnt(0)
	v_add_f64 v[4:5], v[65:66], -v[4:5]
	buffer_store_dword v3, off, s[0:3], 0 offset:660
	buffer_store_dword v2, off, s[0:3], 0 offset:656
	;; [unrolled: 1-line block ×4, first 2 shown]
	v_cmpx_lt_u32_e32 39, v0
	s_cbranch_execz .LBB47_223
; %bb.222:
	v_mov_b32_e32 v5, s18
	s_clause 0x3
	buffer_load_dword v2, v5, s[0:3], 0 offen
	buffer_load_dword v3, v5, s[0:3], 0 offen offset:4
	buffer_load_dword v4, v5, s[0:3], 0 offen offset:8
	;; [unrolled: 1-line block ×3, first 2 shown]
	buffer_store_dword v1, off, s[0:3], 0 offset:640
	buffer_store_dword v1, off, s[0:3], 0 offset:644
	;; [unrolled: 1-line block ×4, first 2 shown]
	s_waitcnt vmcnt(0)
	ds_write_b128 v165, v[2:5]
.LBB47_223:
	s_or_b32 exec_lo, exec_lo, s4
	s_waitcnt lgkmcnt(0)
	s_waitcnt_vscnt null, 0x0
	s_barrier
	buffer_gl0_inv
	s_clause 0x23
	buffer_load_dword v6, off, s[0:3], 0 offset:664
	buffer_load_dword v7, off, s[0:3], 0 offset:668
	;; [unrolled: 1-line block ×36, first 2 shown]
	ds_read_b128 v[2:5], v1 offset:1408
	ds_read_b128 v[21:24], v1 offset:1424
	;; [unrolled: 1-line block ×3, first 2 shown]
	s_mov_b32 s4, exec_lo
	s_waitcnt vmcnt(34) lgkmcnt(2)
	v_mul_f64 v[71:72], v[4:5], v[6:7]
	v_mul_f64 v[6:7], v[2:3], v[6:7]
	s_waitcnt vmcnt(32) lgkmcnt(1)
	v_mul_f64 v[77:78], v[23:24], v[29:30]
	v_mul_f64 v[29:30], v[21:22], v[29:30]
	s_waitcnt vmcnt(30)
	v_fma_f64 v[71:72], v[2:3], v[31:32], -v[71:72]
	v_fma_f64 v[6:7], v[4:5], v[31:32], v[6:7]
	ds_read_b128 v[2:5], v1 offset:1456
	s_waitcnt vmcnt(28) lgkmcnt(1)
	v_mul_f64 v[31:32], v[25:26], v[37:38]
	v_mul_f64 v[37:38], v[27:28], v[37:38]
	s_waitcnt vmcnt(26)
	v_fma_f64 v[77:78], v[21:22], v[39:40], -v[77:78]
	v_fma_f64 v[29:30], v[23:24], v[39:40], v[29:30]
	ds_read_b128 v[21:24], v1 offset:1472
	s_waitcnt vmcnt(22) lgkmcnt(1)
	v_mul_f64 v[39:40], v[2:3], v[41:42]
	v_add_f64 v[71:72], v[71:72], 0
	v_add_f64 v[6:7], v[6:7], 0
	v_mul_f64 v[41:42], v[4:5], v[41:42]
	s_waitcnt vmcnt(20)
	v_fma_f64 v[37:38], v[25:26], v[47:48], -v[37:38]
	v_fma_f64 v[31:32], v[27:28], v[47:48], v[31:32]
	ds_read_b128 v[25:28], v1 offset:1488
	s_waitcnt vmcnt(17)
	v_fma_f64 v[39:40], v[4:5], v[49:50], v[39:40]
	v_add_f64 v[71:72], v[71:72], v[77:78]
	v_add_f64 v[6:7], v[6:7], v[29:30]
	s_waitcnt lgkmcnt(1)
	v_mul_f64 v[29:30], v[21:22], v[43:44]
	v_mul_f64 v[43:44], v[23:24], v[43:44]
	v_fma_f64 v[41:42], v[2:3], v[49:50], -v[41:42]
	s_waitcnt vmcnt(13) lgkmcnt(0)
	v_mul_f64 v[47:48], v[27:28], v[51:52]
	ds_read_b128 v[2:5], v1 offset:1504
	v_add_f64 v[37:38], v[71:72], v[37:38]
	v_add_f64 v[6:7], v[6:7], v[31:32]
	v_mul_f64 v[31:32], v[25:26], v[51:52]
	s_waitcnt vmcnt(12)
	v_fma_f64 v[43:44], v[21:22], v[45:46], -v[43:44]
	v_fma_f64 v[29:30], v[23:24], v[45:46], v[29:30]
	ds_read_b128 v[21:24], v1 offset:1520
	s_waitcnt vmcnt(9)
	v_fma_f64 v[25:26], v[25:26], v[57:58], -v[47:48]
	v_add_f64 v[37:38], v[37:38], v[41:42]
	v_add_f64 v[6:7], v[6:7], v[39:40]
	s_waitcnt lgkmcnt(1)
	v_mul_f64 v[41:42], v[4:5], v[53:54]
	v_mul_f64 v[39:40], v[2:3], v[53:54]
	v_fma_f64 v[27:28], v[27:28], v[57:58], v[31:32]
	s_waitcnt vmcnt(7) lgkmcnt(0)
	v_mul_f64 v[31:32], v[23:24], v[59:60]
	v_add_f64 v[37:38], v[37:38], v[43:44]
	v_add_f64 v[6:7], v[6:7], v[29:30]
	s_waitcnt vmcnt(6)
	v_fma_f64 v[1:2], v[2:3], v[55:56], -v[41:42]
	v_mul_f64 v[29:30], v[21:22], v[59:60]
	v_fma_f64 v[3:4], v[4:5], v[55:56], v[39:40]
	v_add_f64 v[25:26], v[37:38], v[25:26]
	v_add_f64 v[5:6], v[6:7], v[27:28]
	s_waitcnt vmcnt(4)
	v_fma_f64 v[7:8], v[21:22], v[65:66], -v[31:32]
	v_fma_f64 v[21:22], v[23:24], v[65:66], v[29:30]
	v_add_f64 v[1:2], v[25:26], v[1:2]
	v_add_f64 v[3:4], v[5:6], v[3:4]
	;; [unrolled: 1-line block ×4, first 2 shown]
	s_waitcnt vmcnt(2)
	v_add_f64 v[1:2], v[67:68], -v[1:2]
	s_waitcnt vmcnt(0)
	v_add_f64 v[3:4], v[69:70], -v[3:4]
	buffer_store_dword v2, off, s[0:3], 0 offset:644
	buffer_store_dword v1, off, s[0:3], 0 offset:640
	;; [unrolled: 1-line block ×4, first 2 shown]
	v_cmpx_lt_u32_e32 38, v0
	s_cbranch_execz .LBB47_225
; %bb.224:
	v_mov_b32_e32 v4, s19
	v_mov_b32_e32 v5, 0
	s_clause 0x3
	buffer_load_dword v1, v4, s[0:3], 0 offen
	buffer_load_dword v2, v4, s[0:3], 0 offen offset:4
	buffer_load_dword v3, v4, s[0:3], 0 offen offset:8
	;; [unrolled: 1-line block ×3, first 2 shown]
	buffer_store_dword v5, off, s[0:3], 0 offset:624
	buffer_store_dword v5, off, s[0:3], 0 offset:628
	;; [unrolled: 1-line block ×4, first 2 shown]
	s_waitcnt vmcnt(0)
	ds_write_b128 v165, v[1:4]
.LBB47_225:
	s_or_b32 exec_lo, exec_lo, s4
	s_waitcnt lgkmcnt(0)
	s_waitcnt_vscnt null, 0x0
	s_barrier
	buffer_gl0_inv
	s_clause 0x27
	buffer_load_dword v6, off, s[0:3], 0 offset:648
	buffer_load_dword v7, off, s[0:3], 0 offset:652
	;; [unrolled: 1-line block ×40, first 2 shown]
	v_mov_b32_e32 v1, 0
	ds_read_b128 v[2:5], v1 offset:1392
	ds_read_b128 v[21:24], v1 offset:1408
	;; [unrolled: 1-line block ×3, first 2 shown]
	s_mov_b32 s4, exec_lo
	s_waitcnt vmcnt(38) lgkmcnt(2)
	v_mul_f64 v[79:80], v[4:5], v[6:7]
	v_mul_f64 v[6:7], v[2:3], v[6:7]
	s_waitcnt vmcnt(36) lgkmcnt(1)
	v_mul_f64 v[81:82], v[23:24], v[29:30]
	v_mul_f64 v[29:30], v[21:22], v[29:30]
	s_waitcnt vmcnt(34)
	v_fma_f64 v[79:80], v[2:3], v[31:32], -v[79:80]
	v_fma_f64 v[6:7], v[4:5], v[31:32], v[6:7]
	ds_read_b128 v[2:5], v1 offset:1440
	s_waitcnt vmcnt(32) lgkmcnt(1)
	v_mul_f64 v[31:32], v[25:26], v[37:38]
	v_mul_f64 v[37:38], v[27:28], v[37:38]
	s_waitcnt vmcnt(30)
	v_fma_f64 v[81:82], v[21:22], v[39:40], -v[81:82]
	v_fma_f64 v[29:30], v[23:24], v[39:40], v[29:30]
	ds_read_b128 v[21:24], v1 offset:1456
	s_waitcnt vmcnt(26) lgkmcnt(1)
	v_mul_f64 v[39:40], v[2:3], v[41:42]
	v_add_f64 v[79:80], v[79:80], 0
	v_add_f64 v[6:7], v[6:7], 0
	v_mul_f64 v[41:42], v[4:5], v[41:42]
	s_waitcnt vmcnt(24)
	v_fma_f64 v[37:38], v[25:26], v[47:48], -v[37:38]
	v_fma_f64 v[31:32], v[27:28], v[47:48], v[31:32]
	ds_read_b128 v[25:28], v1 offset:1472
	s_waitcnt vmcnt(21)
	v_fma_f64 v[39:40], v[4:5], v[49:50], v[39:40]
	v_add_f64 v[79:80], v[79:80], v[81:82]
	v_add_f64 v[6:7], v[6:7], v[29:30]
	s_waitcnt lgkmcnt(1)
	v_mul_f64 v[29:30], v[21:22], v[43:44]
	v_mul_f64 v[43:44], v[23:24], v[43:44]
	v_fma_f64 v[41:42], v[2:3], v[49:50], -v[41:42]
	s_waitcnt vmcnt(17) lgkmcnt(0)
	v_mul_f64 v[47:48], v[27:28], v[51:52]
	ds_read_b128 v[2:5], v1 offset:1488
	v_add_f64 v[37:38], v[79:80], v[37:38]
	v_add_f64 v[6:7], v[6:7], v[31:32]
	v_mul_f64 v[31:32], v[25:26], v[51:52]
	s_waitcnt vmcnt(16)
	v_fma_f64 v[43:44], v[21:22], v[45:46], -v[43:44]
	v_fma_f64 v[29:30], v[23:24], v[45:46], v[29:30]
	ds_read_b128 v[21:24], v1 offset:1504
	s_waitcnt vmcnt(13)
	v_fma_f64 v[45:46], v[25:26], v[57:58], -v[47:48]
	v_add_f64 v[37:38], v[37:38], v[41:42]
	v_add_f64 v[6:7], v[6:7], v[39:40]
	s_waitcnt lgkmcnt(1)
	v_mul_f64 v[41:42], v[4:5], v[53:54]
	v_mul_f64 v[39:40], v[2:3], v[53:54]
	v_fma_f64 v[31:32], v[27:28], v[57:58], v[31:32]
	ds_read_b128 v[25:28], v1 offset:1520
	v_add_f64 v[37:38], v[37:38], v[43:44]
	v_add_f64 v[6:7], v[6:7], v[29:30]
	s_waitcnt vmcnt(9) lgkmcnt(1)
	v_mul_f64 v[43:44], v[23:24], v[59:60]
	s_waitcnt vmcnt(8)
	v_fma_f64 v[2:3], v[2:3], v[55:56], -v[41:42]
	v_mul_f64 v[29:30], v[21:22], v[59:60]
	v_fma_f64 v[4:5], v[4:5], v[55:56], v[39:40]
	s_waitcnt vmcnt(7) lgkmcnt(0)
	v_mul_f64 v[39:40], v[27:28], v[65:66]
	v_add_f64 v[37:38], v[37:38], v[45:46]
	v_add_f64 v[6:7], v[6:7], v[31:32]
	s_waitcnt vmcnt(5)
	v_fma_f64 v[21:22], v[21:22], v[69:70], -v[43:44]
	v_mul_f64 v[31:32], v[25:26], v[65:66]
	v_fma_f64 v[23:24], v[23:24], v[69:70], v[29:30]
	v_add_f64 v[2:3], v[37:38], v[2:3]
	v_add_f64 v[4:5], v[6:7], v[4:5]
	s_waitcnt vmcnt(4)
	v_fma_f64 v[6:7], v[25:26], v[67:68], -v[39:40]
	v_add_f64 v[2:3], v[2:3], v[21:22]
	v_fma_f64 v[21:22], v[27:28], v[67:68], v[31:32]
	v_add_f64 v[4:5], v[4:5], v[23:24]
	v_add_f64 v[2:3], v[2:3], v[6:7]
	;; [unrolled: 1-line block ×3, first 2 shown]
	s_waitcnt vmcnt(2)
	v_add_f64 v[2:3], v[71:72], -v[2:3]
	s_waitcnt vmcnt(0)
	v_add_f64 v[4:5], v[77:78], -v[4:5]
	buffer_store_dword v3, off, s[0:3], 0 offset:628
	buffer_store_dword v2, off, s[0:3], 0 offset:624
	;; [unrolled: 1-line block ×4, first 2 shown]
	v_cmpx_lt_u32_e32 37, v0
	s_cbranch_execz .LBB47_227
; %bb.226:
	v_mov_b32_e32 v5, s22
	s_clause 0x3
	buffer_load_dword v2, v5, s[0:3], 0 offen
	buffer_load_dword v3, v5, s[0:3], 0 offen offset:4
	buffer_load_dword v4, v5, s[0:3], 0 offen offset:8
	;; [unrolled: 1-line block ×3, first 2 shown]
	buffer_store_dword v1, off, s[0:3], 0 offset:608
	buffer_store_dword v1, off, s[0:3], 0 offset:612
	;; [unrolled: 1-line block ×4, first 2 shown]
	s_waitcnt vmcnt(0)
	ds_write_b128 v165, v[2:5]
.LBB47_227:
	s_or_b32 exec_lo, exec_lo, s4
	s_waitcnt lgkmcnt(0)
	s_waitcnt_vscnt null, 0x0
	s_barrier
	buffer_gl0_inv
	s_clause 0x2b
	buffer_load_dword v6, off, s[0:3], 0 offset:632
	buffer_load_dword v7, off, s[0:3], 0 offset:636
	;; [unrolled: 1-line block ×44, first 2 shown]
	ds_read_b128 v[2:5], v1 offset:1376
	ds_read_b128 v[21:24], v1 offset:1392
	;; [unrolled: 1-line block ×3, first 2 shown]
	s_mov_b32 s4, exec_lo
	s_waitcnt vmcnt(42) lgkmcnt(2)
	v_mul_f64 v[83:84], v[4:5], v[6:7]
	v_mul_f64 v[6:7], v[2:3], v[6:7]
	s_waitcnt vmcnt(40) lgkmcnt(1)
	v_mul_f64 v[85:86], v[23:24], v[29:30]
	v_mul_f64 v[29:30], v[21:22], v[29:30]
	s_waitcnt vmcnt(38)
	v_fma_f64 v[83:84], v[2:3], v[31:32], -v[83:84]
	v_fma_f64 v[6:7], v[4:5], v[31:32], v[6:7]
	ds_read_b128 v[2:5], v1 offset:1424
	s_waitcnt vmcnt(36) lgkmcnt(1)
	v_mul_f64 v[31:32], v[25:26], v[37:38]
	v_mul_f64 v[37:38], v[27:28], v[37:38]
	s_waitcnt vmcnt(34)
	v_fma_f64 v[85:86], v[21:22], v[39:40], -v[85:86]
	v_fma_f64 v[29:30], v[23:24], v[39:40], v[29:30]
	ds_read_b128 v[21:24], v1 offset:1440
	s_waitcnt vmcnt(32) lgkmcnt(1)
	v_mul_f64 v[39:40], v[2:3], v[41:42]
	v_add_f64 v[83:84], v[83:84], 0
	v_add_f64 v[6:7], v[6:7], 0
	v_mul_f64 v[41:42], v[4:5], v[41:42]
	s_waitcnt vmcnt(30)
	v_fma_f64 v[37:38], v[25:26], v[43:44], -v[37:38]
	v_fma_f64 v[31:32], v[27:28], v[43:44], v[31:32]
	ds_read_b128 v[25:28], v1 offset:1456
	s_waitcnt vmcnt(28) lgkmcnt(1)
	v_mul_f64 v[43:44], v[23:24], v[45:46]
	s_waitcnt vmcnt(26)
	v_fma_f64 v[39:40], v[4:5], v[47:48], v[39:40]
	v_add_f64 v[83:84], v[83:84], v[85:86]
	v_add_f64 v[6:7], v[6:7], v[29:30]
	v_fma_f64 v[41:42], v[2:3], v[47:48], -v[41:42]
	v_mul_f64 v[29:30], v[21:22], v[45:46]
	s_waitcnt vmcnt(24) lgkmcnt(0)
	v_mul_f64 v[45:46], v[27:28], v[49:50]
	ds_read_b128 v[2:5], v1 offset:1472
	s_waitcnt vmcnt(22)
	v_fma_f64 v[43:44], v[21:22], v[51:52], -v[43:44]
	v_add_f64 v[37:38], v[83:84], v[37:38]
	v_add_f64 v[6:7], v[6:7], v[31:32]
	v_mul_f64 v[31:32], v[25:26], v[49:50]
	v_fma_f64 v[29:30], v[23:24], v[51:52], v[29:30]
	ds_read_b128 v[21:24], v1 offset:1488
	s_waitcnt vmcnt(18)
	v_fma_f64 v[45:46], v[25:26], v[55:56], -v[45:46]
	v_add_f64 v[37:38], v[37:38], v[41:42]
	v_add_f64 v[6:7], v[6:7], v[39:40]
	s_waitcnt lgkmcnt(1)
	v_mul_f64 v[41:42], v[4:5], v[53:54]
	v_mul_f64 v[39:40], v[2:3], v[53:54]
	v_fma_f64 v[31:32], v[27:28], v[55:56], v[31:32]
	ds_read_b128 v[25:28], v1 offset:1504
	v_add_f64 v[37:38], v[37:38], v[43:44]
	v_add_f64 v[6:7], v[6:7], v[29:30]
	s_waitcnt vmcnt(16) lgkmcnt(1)
	v_mul_f64 v[43:44], v[23:24], v[57:58]
	s_waitcnt vmcnt(14)
	v_fma_f64 v[41:42], v[2:3], v[59:60], -v[41:42]
	v_mul_f64 v[29:30], v[21:22], v[57:58]
	v_fma_f64 v[39:40], v[4:5], v[59:60], v[39:40]
	ds_read_b128 v[1:4], v1 offset:1520
	v_add_f64 v[37:38], v[37:38], v[45:46]
	v_add_f64 v[5:6], v[6:7], v[31:32]
	s_waitcnt vmcnt(12) lgkmcnt(1)
	v_mul_f64 v[31:32], v[27:28], v[65:66]
	s_waitcnt vmcnt(10)
	v_fma_f64 v[21:22], v[21:22], v[67:68], -v[43:44]
	v_mul_f64 v[7:8], v[25:26], v[65:66]
	v_fma_f64 v[23:24], v[23:24], v[67:68], v[29:30]
	s_waitcnt vmcnt(8) lgkmcnt(0)
	v_mul_f64 v[29:30], v[1:2], v[69:70]
	v_add_f64 v[37:38], v[37:38], v[41:42]
	v_add_f64 v[5:6], v[5:6], v[39:40]
	v_mul_f64 v[39:40], v[3:4], v[69:70]
	s_waitcnt vmcnt(6)
	v_fma_f64 v[25:26], v[25:26], v[71:72], -v[31:32]
	v_fma_f64 v[7:8], v[27:28], v[71:72], v[7:8]
	s_waitcnt vmcnt(4)
	v_fma_f64 v[3:4], v[3:4], v[77:78], v[29:30]
	v_add_f64 v[21:22], v[37:38], v[21:22]
	v_add_f64 v[5:6], v[5:6], v[23:24]
	v_fma_f64 v[1:2], v[1:2], v[77:78], -v[39:40]
	v_add_f64 v[21:22], v[21:22], v[25:26]
	v_add_f64 v[5:6], v[5:6], v[7:8]
	;; [unrolled: 1-line block ×4, first 2 shown]
	s_waitcnt vmcnt(2)
	v_add_f64 v[1:2], v[79:80], -v[1:2]
	s_waitcnt vmcnt(0)
	v_add_f64 v[3:4], v[81:82], -v[3:4]
	buffer_store_dword v2, off, s[0:3], 0 offset:612
	buffer_store_dword v1, off, s[0:3], 0 offset:608
	;; [unrolled: 1-line block ×4, first 2 shown]
	v_cmpx_lt_u32_e32 36, v0
	s_cbranch_execz .LBB47_229
; %bb.228:
	v_mov_b32_e32 v4, s23
	v_mov_b32_e32 v5, 0
	s_clause 0x3
	buffer_load_dword v1, v4, s[0:3], 0 offen
	buffer_load_dword v2, v4, s[0:3], 0 offen offset:4
	buffer_load_dword v3, v4, s[0:3], 0 offen offset:8
	;; [unrolled: 1-line block ×3, first 2 shown]
	buffer_store_dword v5, off, s[0:3], 0 offset:592
	buffer_store_dword v5, off, s[0:3], 0 offset:596
	;; [unrolled: 1-line block ×4, first 2 shown]
	s_waitcnt vmcnt(0)
	ds_write_b128 v165, v[1:4]
.LBB47_229:
	s_or_b32 exec_lo, exec_lo, s4
	s_waitcnt lgkmcnt(0)
	s_waitcnt_vscnt null, 0x0
	s_barrier
	buffer_gl0_inv
	s_clause 0x2f
	buffer_load_dword v6, off, s[0:3], 0 offset:616
	buffer_load_dword v7, off, s[0:3], 0 offset:620
	;; [unrolled: 1-line block ×48, first 2 shown]
	v_mov_b32_e32 v1, 0
	ds_read_b128 v[2:5], v1 offset:1360
	ds_read_b128 v[21:24], v1 offset:1376
	;; [unrolled: 1-line block ×3, first 2 shown]
	s_mov_b32 s4, exec_lo
	s_waitcnt vmcnt(46) lgkmcnt(2)
	v_mul_f64 v[87:88], v[4:5], v[6:7]
	v_mul_f64 v[6:7], v[2:3], v[6:7]
	s_waitcnt vmcnt(44) lgkmcnt(1)
	v_mul_f64 v[161:162], v[23:24], v[29:30]
	v_mul_f64 v[29:30], v[21:22], v[29:30]
	s_waitcnt vmcnt(42)
	v_fma_f64 v[87:88], v[2:3], v[31:32], -v[87:88]
	v_fma_f64 v[6:7], v[4:5], v[31:32], v[6:7]
	ds_read_b128 v[2:5], v1 offset:1408
	s_waitcnt vmcnt(40) lgkmcnt(1)
	v_mul_f64 v[31:32], v[25:26], v[37:38]
	v_mul_f64 v[37:38], v[27:28], v[37:38]
	s_waitcnt vmcnt(38)
	v_fma_f64 v[161:162], v[21:22], v[39:40], -v[161:162]
	v_fma_f64 v[29:30], v[23:24], v[39:40], v[29:30]
	ds_read_b128 v[21:24], v1 offset:1424
	s_waitcnt vmcnt(34) lgkmcnt(1)
	v_mul_f64 v[39:40], v[2:3], v[41:42]
	v_add_f64 v[87:88], v[87:88], 0
	v_add_f64 v[6:7], v[6:7], 0
	v_mul_f64 v[41:42], v[4:5], v[41:42]
	s_waitcnt vmcnt(32)
	v_fma_f64 v[37:38], v[25:26], v[47:48], -v[37:38]
	v_fma_f64 v[31:32], v[27:28], v[47:48], v[31:32]
	ds_read_b128 v[25:28], v1 offset:1440
	s_waitcnt vmcnt(29)
	v_fma_f64 v[39:40], v[4:5], v[49:50], v[39:40]
	v_add_f64 v[87:88], v[87:88], v[161:162]
	v_add_f64 v[6:7], v[6:7], v[29:30]
	s_waitcnt lgkmcnt(1)
	v_mul_f64 v[29:30], v[21:22], v[43:44]
	v_mul_f64 v[43:44], v[23:24], v[43:44]
	v_fma_f64 v[41:42], v[2:3], v[49:50], -v[41:42]
	s_waitcnt vmcnt(25) lgkmcnt(0)
	v_mul_f64 v[47:48], v[27:28], v[51:52]
	ds_read_b128 v[2:5], v1 offset:1456
	v_add_f64 v[37:38], v[87:88], v[37:38]
	v_add_f64 v[6:7], v[6:7], v[31:32]
	v_mul_f64 v[31:32], v[25:26], v[51:52]
	s_waitcnt vmcnt(24)
	v_fma_f64 v[43:44], v[21:22], v[45:46], -v[43:44]
	v_fma_f64 v[29:30], v[23:24], v[45:46], v[29:30]
	ds_read_b128 v[21:24], v1 offset:1472
	s_waitcnt vmcnt(21)
	v_fma_f64 v[45:46], v[25:26], v[57:58], -v[47:48]
	v_add_f64 v[37:38], v[37:38], v[41:42]
	v_add_f64 v[6:7], v[6:7], v[39:40]
	s_waitcnt lgkmcnt(1)
	v_mul_f64 v[41:42], v[4:5], v[53:54]
	v_mul_f64 v[39:40], v[2:3], v[53:54]
	v_fma_f64 v[31:32], v[27:28], v[57:58], v[31:32]
	ds_read_b128 v[25:28], v1 offset:1488
	v_add_f64 v[37:38], v[37:38], v[43:44]
	v_add_f64 v[6:7], v[6:7], v[29:30]
	s_waitcnt vmcnt(17) lgkmcnt(1)
	v_mul_f64 v[43:44], v[23:24], v[59:60]
	s_waitcnt vmcnt(16)
	v_fma_f64 v[41:42], v[2:3], v[55:56], -v[41:42]
	v_mul_f64 v[29:30], v[21:22], v[59:60]
	v_fma_f64 v[39:40], v[4:5], v[55:56], v[39:40]
	ds_read_b128 v[2:5], v1 offset:1504
	v_add_f64 v[37:38], v[37:38], v[45:46]
	v_add_f64 v[6:7], v[6:7], v[31:32]
	s_waitcnt vmcnt(15) lgkmcnt(1)
	v_mul_f64 v[45:46], v[27:28], v[65:66]
	s_waitcnt vmcnt(13)
	v_fma_f64 v[43:44], v[21:22], v[69:70], -v[43:44]
	;; [unrolled: 9-line block ×3, first 2 shown]
	v_mul_f64 v[39:40], v[2:3], v[71:72]
	v_fma_f64 v[27:28], v[27:28], v[67:68], v[31:32]
	s_waitcnt vmcnt(7) lgkmcnt(0)
	v_mul_f64 v[31:32], v[23:24], v[77:78]
	v_add_f64 v[37:38], v[37:38], v[43:44]
	v_add_f64 v[6:7], v[6:7], v[29:30]
	s_waitcnt vmcnt(5)
	v_fma_f64 v[2:3], v[2:3], v[81:82], -v[41:42]
	v_mul_f64 v[29:30], v[21:22], v[77:78]
	v_fma_f64 v[4:5], v[4:5], v[81:82], v[39:40]
	s_waitcnt vmcnt(4)
	v_fma_f64 v[21:22], v[21:22], v[79:80], -v[31:32]
	v_add_f64 v[25:26], v[37:38], v[25:26]
	v_add_f64 v[6:7], v[6:7], v[27:28]
	v_fma_f64 v[23:24], v[23:24], v[79:80], v[29:30]
	v_add_f64 v[2:3], v[25:26], v[2:3]
	v_add_f64 v[4:5], v[6:7], v[4:5]
	;; [unrolled: 1-line block ×4, first 2 shown]
	s_waitcnt vmcnt(2)
	v_add_f64 v[2:3], v[83:84], -v[2:3]
	s_waitcnt vmcnt(0)
	v_add_f64 v[4:5], v[85:86], -v[4:5]
	buffer_store_dword v3, off, s[0:3], 0 offset:596
	buffer_store_dword v2, off, s[0:3], 0 offset:592
	;; [unrolled: 1-line block ×4, first 2 shown]
	v_cmpx_lt_u32_e32 35, v0
	s_cbranch_execz .LBB47_231
; %bb.230:
	v_mov_b32_e32 v5, s24
	s_clause 0x3
	buffer_load_dword v2, v5, s[0:3], 0 offen
	buffer_load_dword v3, v5, s[0:3], 0 offen offset:4
	buffer_load_dword v4, v5, s[0:3], 0 offen offset:8
	;; [unrolled: 1-line block ×3, first 2 shown]
	buffer_store_dword v1, off, s[0:3], 0 offset:576
	buffer_store_dword v1, off, s[0:3], 0 offset:580
	buffer_store_dword v1, off, s[0:3], 0 offset:584
	buffer_store_dword v1, off, s[0:3], 0 offset:588
	s_waitcnt vmcnt(0)
	ds_write_b128 v165, v[2:5]
.LBB47_231:
	s_or_b32 exec_lo, exec_lo, s4
	s_waitcnt lgkmcnt(0)
	s_waitcnt_vscnt null, 0x0
	s_barrier
	buffer_gl0_inv
	s_clause 0x2f
	buffer_load_dword v6, off, s[0:3], 0 offset:600
	buffer_load_dword v7, off, s[0:3], 0 offset:604
	;; [unrolled: 1-line block ×48, first 2 shown]
	ds_read_b128 v[2:5], v1 offset:1344
	s_clause 0x3
	buffer_load_dword v87, off, s[0:3], 0 offset:576
	buffer_load_dword v88, off, s[0:3], 0 offset:580
	;; [unrolled: 1-line block ×4, first 2 shown]
	ds_read_b128 v[21:24], v1 offset:1360
	ds_read_b128 v[25:28], v1 offset:1376
	s_mov_b32 s4, exec_lo
	s_waitcnt vmcnt(50) lgkmcnt(2)
	v_mul_f64 v[163:164], v[4:5], v[6:7]
	v_mul_f64 v[6:7], v[2:3], v[6:7]
	s_waitcnt vmcnt(48) lgkmcnt(1)
	v_mul_f64 v[166:167], v[23:24], v[29:30]
	v_mul_f64 v[29:30], v[21:22], v[29:30]
	s_waitcnt vmcnt(46)
	v_fma_f64 v[163:164], v[2:3], v[31:32], -v[163:164]
	v_fma_f64 v[6:7], v[4:5], v[31:32], v[6:7]
	s_waitcnt vmcnt(44) lgkmcnt(0)
	v_mul_f64 v[31:32], v[25:26], v[37:38]
	v_mul_f64 v[37:38], v[27:28], v[37:38]
	s_waitcnt vmcnt(42)
	v_fma_f64 v[166:167], v[21:22], v[39:40], -v[166:167]
	ds_read_b128 v[2:5], v1 offset:1392
	v_fma_f64 v[29:30], v[23:24], v[39:40], v[29:30]
	ds_read_b128 v[21:24], v1 offset:1408
	v_add_f64 v[163:164], v[163:164], 0
	v_add_f64 v[6:7], v[6:7], 0
	s_waitcnt vmcnt(36)
	v_fma_f64 v[31:32], v[27:28], v[47:48], v[31:32]
	s_waitcnt lgkmcnt(1)
	v_mul_f64 v[39:40], v[2:3], v[41:42]
	v_mul_f64 v[41:42], v[4:5], v[41:42]
	v_fma_f64 v[37:38], v[25:26], v[47:48], -v[37:38]
	ds_read_b128 v[25:28], v1 offset:1424
	v_add_f64 v[163:164], v[163:164], v[166:167]
	v_add_f64 v[6:7], v[6:7], v[29:30]
	s_waitcnt vmcnt(35) lgkmcnt(1)
	v_mul_f64 v[29:30], v[21:22], v[43:44]
	v_mul_f64 v[43:44], v[23:24], v[43:44]
	s_waitcnt vmcnt(33)
	v_fma_f64 v[41:42], v[2:3], v[49:50], -v[41:42]
	v_fma_f64 v[39:40], v[4:5], v[49:50], v[39:40]
	ds_read_b128 v[2:5], v1 offset:1440
	s_waitcnt vmcnt(29) lgkmcnt(1)
	v_mul_f64 v[47:48], v[27:28], v[51:52]
	v_add_f64 v[37:38], v[163:164], v[37:38]
	v_add_f64 v[6:7], v[6:7], v[31:32]
	v_mul_f64 v[31:32], v[25:26], v[51:52]
	s_waitcnt vmcnt(28)
	v_fma_f64 v[43:44], v[21:22], v[45:46], -v[43:44]
	v_fma_f64 v[29:30], v[23:24], v[45:46], v[29:30]
	ds_read_b128 v[21:24], v1 offset:1456
	s_waitcnt vmcnt(25)
	v_fma_f64 v[45:46], v[25:26], v[57:58], -v[47:48]
	v_add_f64 v[37:38], v[37:38], v[41:42]
	v_add_f64 v[6:7], v[6:7], v[39:40]
	s_waitcnt lgkmcnt(1)
	v_mul_f64 v[41:42], v[4:5], v[53:54]
	v_mul_f64 v[39:40], v[2:3], v[53:54]
	v_fma_f64 v[31:32], v[27:28], v[57:58], v[31:32]
	ds_read_b128 v[25:28], v1 offset:1472
	v_add_f64 v[37:38], v[37:38], v[43:44]
	v_add_f64 v[6:7], v[6:7], v[29:30]
	s_waitcnt vmcnt(21) lgkmcnt(1)
	v_mul_f64 v[43:44], v[23:24], v[59:60]
	s_waitcnt vmcnt(20)
	v_fma_f64 v[41:42], v[2:3], v[55:56], -v[41:42]
	v_mul_f64 v[29:30], v[21:22], v[59:60]
	v_fma_f64 v[39:40], v[4:5], v[55:56], v[39:40]
	ds_read_b128 v[2:5], v1 offset:1488
	v_add_f64 v[37:38], v[37:38], v[45:46]
	v_add_f64 v[6:7], v[6:7], v[31:32]
	s_waitcnt vmcnt(19) lgkmcnt(1)
	v_mul_f64 v[45:46], v[27:28], v[65:66]
	s_waitcnt vmcnt(17)
	v_fma_f64 v[43:44], v[21:22], v[69:70], -v[43:44]
	;; [unrolled: 9-line block ×4, first 2 shown]
	v_mul_f64 v[29:30], v[21:22], v[77:78]
	v_fma_f64 v[3:4], v[4:5], v[81:82], v[39:40]
	v_add_f64 v[37:38], v[37:38], v[45:46]
	v_add_f64 v[5:6], v[6:7], v[31:32]
	s_waitcnt vmcnt(7) lgkmcnt(0)
	v_mul_f64 v[31:32], v[27:28], v[83:84]
	s_waitcnt vmcnt(6)
	v_fma_f64 v[21:22], v[21:22], v[79:80], -v[43:44]
	v_mul_f64 v[7:8], v[25:26], v[83:84]
	v_fma_f64 v[23:24], v[23:24], v[79:80], v[29:30]
	v_add_f64 v[1:2], v[37:38], v[1:2]
	v_add_f64 v[3:4], v[5:6], v[3:4]
	s_waitcnt vmcnt(4)
	v_fma_f64 v[5:6], v[25:26], v[85:86], -v[31:32]
	v_fma_f64 v[7:8], v[27:28], v[85:86], v[7:8]
	v_add_f64 v[1:2], v[1:2], v[21:22]
	v_add_f64 v[3:4], v[3:4], v[23:24]
	;; [unrolled: 1-line block ×4, first 2 shown]
	s_waitcnt vmcnt(2)
	v_add_f64 v[1:2], v[87:88], -v[1:2]
	s_waitcnt vmcnt(0)
	v_add_f64 v[3:4], v[161:162], -v[3:4]
	buffer_store_dword v2, off, s[0:3], 0 offset:580
	buffer_store_dword v1, off, s[0:3], 0 offset:576
	;; [unrolled: 1-line block ×4, first 2 shown]
	v_cmpx_lt_u32_e32 34, v0
	s_cbranch_execz .LBB47_233
; %bb.232:
	v_mov_b32_e32 v4, s25
	v_mov_b32_e32 v5, 0
	s_clause 0x3
	buffer_load_dword v1, v4, s[0:3], 0 offen
	buffer_load_dword v2, v4, s[0:3], 0 offen offset:4
	buffer_load_dword v3, v4, s[0:3], 0 offen offset:8
	;; [unrolled: 1-line block ×3, first 2 shown]
	buffer_store_dword v5, off, s[0:3], 0 offset:560
	buffer_store_dword v5, off, s[0:3], 0 offset:564
	;; [unrolled: 1-line block ×4, first 2 shown]
	s_waitcnt vmcnt(0)
	ds_write_b128 v165, v[1:4]
.LBB47_233:
	s_or_b32 exec_lo, exec_lo, s4
	s_waitcnt lgkmcnt(0)
	s_waitcnt_vscnt null, 0x0
	s_barrier
	buffer_gl0_inv
	s_clause 0x33
	buffer_load_dword v6, off, s[0:3], 0 offset:584
	buffer_load_dword v7, off, s[0:3], 0 offset:588
	;; [unrolled: 1-line block ×52, first 2 shown]
	v_mov_b32_e32 v1, 0
	ds_read_b128 v[2:5], v1 offset:1328
	ds_read_b128 v[21:24], v1 offset:1344
	s_clause 0x3
	buffer_load_dword v166, off, s[0:3], 0 offset:560
	buffer_load_dword v167, off, s[0:3], 0 offset:564
	;; [unrolled: 1-line block ×4, first 2 shown]
	ds_read_b128 v[25:28], v1 offset:1360
	s_mov_b32 s4, exec_lo
	s_waitcnt vmcnt(54) lgkmcnt(2)
	v_mul_f64 v[163:164], v[4:5], v[6:7]
	v_mul_f64 v[6:7], v[2:3], v[6:7]
	s_waitcnt vmcnt(52) lgkmcnt(1)
	v_mul_f64 v[170:171], v[23:24], v[29:30]
	v_mul_f64 v[29:30], v[21:22], v[29:30]
	s_waitcnt vmcnt(50)
	v_fma_f64 v[163:164], v[2:3], v[31:32], -v[163:164]
	v_fma_f64 v[6:7], v[4:5], v[31:32], v[6:7]
	ds_read_b128 v[2:5], v1 offset:1376
	s_waitcnt vmcnt(48) lgkmcnt(1)
	v_mul_f64 v[31:32], v[25:26], v[37:38]
	v_mul_f64 v[37:38], v[27:28], v[37:38]
	s_waitcnt vmcnt(46)
	v_fma_f64 v[170:171], v[21:22], v[39:40], -v[170:171]
	v_fma_f64 v[29:30], v[23:24], v[39:40], v[29:30]
	ds_read_b128 v[21:24], v1 offset:1392
	s_waitcnt vmcnt(42) lgkmcnt(1)
	v_mul_f64 v[39:40], v[2:3], v[41:42]
	v_add_f64 v[163:164], v[163:164], 0
	v_add_f64 v[6:7], v[6:7], 0
	v_mul_f64 v[41:42], v[4:5], v[41:42]
	s_waitcnt vmcnt(40)
	v_fma_f64 v[37:38], v[25:26], v[47:48], -v[37:38]
	v_fma_f64 v[31:32], v[27:28], v[47:48], v[31:32]
	ds_read_b128 v[25:28], v1 offset:1408
	s_waitcnt vmcnt(37)
	v_fma_f64 v[39:40], v[4:5], v[49:50], v[39:40]
	v_add_f64 v[163:164], v[163:164], v[170:171]
	v_add_f64 v[6:7], v[6:7], v[29:30]
	s_waitcnt lgkmcnt(1)
	v_mul_f64 v[29:30], v[21:22], v[43:44]
	v_mul_f64 v[43:44], v[23:24], v[43:44]
	v_fma_f64 v[41:42], v[2:3], v[49:50], -v[41:42]
	s_waitcnt vmcnt(33) lgkmcnt(0)
	v_mul_f64 v[47:48], v[27:28], v[51:52]
	ds_read_b128 v[2:5], v1 offset:1424
	v_add_f64 v[37:38], v[163:164], v[37:38]
	v_add_f64 v[6:7], v[6:7], v[31:32]
	v_mul_f64 v[31:32], v[25:26], v[51:52]
	s_waitcnt vmcnt(32)
	v_fma_f64 v[43:44], v[21:22], v[45:46], -v[43:44]
	v_fma_f64 v[29:30], v[23:24], v[45:46], v[29:30]
	ds_read_b128 v[21:24], v1 offset:1440
	s_waitcnt vmcnt(29)
	v_fma_f64 v[45:46], v[25:26], v[57:58], -v[47:48]
	v_add_f64 v[37:38], v[37:38], v[41:42]
	v_add_f64 v[6:7], v[6:7], v[39:40]
	s_waitcnt lgkmcnt(1)
	v_mul_f64 v[41:42], v[4:5], v[53:54]
	v_mul_f64 v[39:40], v[2:3], v[53:54]
	v_fma_f64 v[31:32], v[27:28], v[57:58], v[31:32]
	ds_read_b128 v[25:28], v1 offset:1456
	v_add_f64 v[37:38], v[37:38], v[43:44]
	v_add_f64 v[6:7], v[6:7], v[29:30]
	s_waitcnt vmcnt(25) lgkmcnt(1)
	v_mul_f64 v[43:44], v[23:24], v[59:60]
	s_waitcnt vmcnt(24)
	v_fma_f64 v[41:42], v[2:3], v[55:56], -v[41:42]
	v_mul_f64 v[29:30], v[21:22], v[59:60]
	v_fma_f64 v[39:40], v[4:5], v[55:56], v[39:40]
	ds_read_b128 v[2:5], v1 offset:1472
	v_add_f64 v[37:38], v[37:38], v[45:46]
	v_add_f64 v[6:7], v[6:7], v[31:32]
	s_waitcnt vmcnt(23) lgkmcnt(1)
	v_mul_f64 v[45:46], v[27:28], v[65:66]
	s_waitcnt vmcnt(21)
	v_fma_f64 v[43:44], v[21:22], v[69:70], -v[43:44]
	;; [unrolled: 9-line block ×5, first 2 shown]
	v_mul_f64 v[31:32], v[25:26], v[83:84]
	v_fma_f64 v[23:24], v[23:24], v[79:80], v[29:30]
	s_waitcnt vmcnt(7) lgkmcnt(0)
	v_mul_f64 v[29:30], v[2:3], v[85:86]
	v_add_f64 v[37:38], v[37:38], v[41:42]
	v_add_f64 v[6:7], v[6:7], v[39:40]
	v_mul_f64 v[39:40], v[4:5], v[85:86]
	s_waitcnt vmcnt(5)
	v_fma_f64 v[25:26], v[25:26], v[161:162], -v[45:46]
	v_fma_f64 v[27:28], v[27:28], v[161:162], v[31:32]
	s_waitcnt vmcnt(4)
	v_fma_f64 v[4:5], v[4:5], v[87:88], v[29:30]
	v_add_f64 v[21:22], v[37:38], v[21:22]
	v_add_f64 v[6:7], v[6:7], v[23:24]
	v_fma_f64 v[2:3], v[2:3], v[87:88], -v[39:40]
	v_add_f64 v[21:22], v[21:22], v[25:26]
	v_add_f64 v[6:7], v[6:7], v[27:28]
	;; [unrolled: 1-line block ×4, first 2 shown]
	s_waitcnt vmcnt(2)
	v_add_f64 v[2:3], v[166:167], -v[2:3]
	s_waitcnt vmcnt(0)
	v_add_f64 v[4:5], v[168:169], -v[4:5]
	buffer_store_dword v3, off, s[0:3], 0 offset:564
	buffer_store_dword v2, off, s[0:3], 0 offset:560
	;; [unrolled: 1-line block ×4, first 2 shown]
	v_cmpx_lt_u32_e32 33, v0
	s_cbranch_execz .LBB47_235
; %bb.234:
	v_mov_b32_e32 v5, s26
	s_clause 0x3
	buffer_load_dword v2, v5, s[0:3], 0 offen
	buffer_load_dword v3, v5, s[0:3], 0 offen offset:4
	buffer_load_dword v4, v5, s[0:3], 0 offen offset:8
	;; [unrolled: 1-line block ×3, first 2 shown]
	buffer_store_dword v1, off, s[0:3], 0 offset:544
	buffer_store_dword v1, off, s[0:3], 0 offset:548
	;; [unrolled: 1-line block ×4, first 2 shown]
	s_waitcnt vmcnt(0)
	ds_write_b128 v165, v[2:5]
.LBB47_235:
	s_or_b32 exec_lo, exec_lo, s4
	s_waitcnt lgkmcnt(0)
	s_waitcnt_vscnt null, 0x0
	s_barrier
	buffer_gl0_inv
	s_clause 0x35
	buffer_load_dword v6, off, s[0:3], 0 offset:568
	buffer_load_dword v7, off, s[0:3], 0 offset:572
	;; [unrolled: 1-line block ×54, first 2 shown]
	ds_read_b128 v[2:5], v1 offset:1312
	s_clause 0x1
	buffer_load_dword v167, off, s[0:3], 0 offset:772
	buffer_load_dword v166, off, s[0:3], 0 offset:768
	ds_read_b128 v[21:24], v1 offset:1328
	ds_read_b128 v[25:28], v1 offset:1344
	s_mov_b32 s4, exec_lo
	s_waitcnt vmcnt(54) lgkmcnt(2)
	v_mul_f64 v[168:169], v[4:5], v[6:7]
	v_mul_f64 v[6:7], v[2:3], v[6:7]
	s_waitcnt vmcnt(52) lgkmcnt(1)
	v_mul_f64 v[170:171], v[23:24], v[29:30]
	v_mul_f64 v[29:30], v[21:22], v[29:30]
	;; [unrolled: 3-line block ×3, first 2 shown]
	v_fma_f64 v[168:169], v[2:3], v[31:32], -v[168:169]
	v_fma_f64 v[6:7], v[4:5], v[31:32], v[6:7]
	s_clause 0x3
	buffer_load_dword v31, off, s[0:3], 0 offset:544
	buffer_load_dword v32, off, s[0:3], 0 offset:548
	;; [unrolled: 1-line block ×4, first 2 shown]
	s_waitcnt vmcnt(50)
	v_fma_f64 v[170:171], v[21:22], v[39:40], -v[170:171]
	ds_read_b128 v[2:5], v1 offset:1360
	v_fma_f64 v[29:30], v[23:24], v[39:40], v[29:30]
	ds_read_b128 v[21:24], v1 offset:1376
	s_waitcnt vmcnt(44)
	v_fma_f64 v[37:38], v[25:26], v[47:48], -v[37:38]
	v_fma_f64 v[47:48], v[27:28], v[47:48], v[174:175]
	ds_read_b128 v[25:28], v1 offset:1392
	v_add_f64 v[168:169], v[168:169], 0
	v_add_f64 v[6:7], v[6:7], 0
	s_waitcnt lgkmcnt(2)
	v_mul_f64 v[39:40], v[2:3], v[41:42]
	v_mul_f64 v[41:42], v[4:5], v[41:42]
	v_add_f64 v[168:169], v[168:169], v[170:171]
	v_add_f64 v[6:7], v[6:7], v[29:30]
	s_waitcnt vmcnt(43) lgkmcnt(1)
	v_mul_f64 v[29:30], v[21:22], v[43:44]
	v_mul_f64 v[43:44], v[23:24], v[43:44]
	s_waitcnt vmcnt(41)
	v_fma_f64 v[41:42], v[2:3], v[49:50], -v[41:42]
	v_fma_f64 v[39:40], v[4:5], v[49:50], v[39:40]
	ds_read_b128 v[2:5], v1 offset:1408
	s_waitcnt vmcnt(37) lgkmcnt(1)
	v_mul_f64 v[49:50], v[27:28], v[51:52]
	v_add_f64 v[37:38], v[168:169], v[37:38]
	v_add_f64 v[6:7], v[6:7], v[47:48]
	v_mul_f64 v[47:48], v[25:26], v[51:52]
	s_waitcnt vmcnt(36)
	v_fma_f64 v[43:44], v[21:22], v[45:46], -v[43:44]
	v_fma_f64 v[29:30], v[23:24], v[45:46], v[29:30]
	ds_read_b128 v[21:24], v1 offset:1424
	s_waitcnt vmcnt(33)
	v_fma_f64 v[45:46], v[25:26], v[57:58], -v[49:50]
	v_add_f64 v[37:38], v[37:38], v[41:42]
	v_add_f64 v[6:7], v[6:7], v[39:40]
	s_waitcnt lgkmcnt(1)
	v_mul_f64 v[41:42], v[4:5], v[53:54]
	v_mul_f64 v[39:40], v[2:3], v[53:54]
	v_add_f64 v[37:38], v[37:38], v[43:44]
	v_fma_f64 v[43:44], v[27:28], v[57:58], v[47:48]
	v_add_f64 v[6:7], v[6:7], v[29:30]
	ds_read_b128 v[25:28], v1 offset:1440
	s_waitcnt vmcnt(29) lgkmcnt(1)
	v_mul_f64 v[47:48], v[23:24], v[59:60]
	s_waitcnt vmcnt(28)
	v_fma_f64 v[41:42], v[2:3], v[55:56], -v[41:42]
	v_mul_f64 v[29:30], v[21:22], v[59:60]
	v_fma_f64 v[39:40], v[4:5], v[55:56], v[39:40]
	ds_read_b128 v[2:5], v1 offset:1456
	v_add_f64 v[37:38], v[37:38], v[45:46]
	s_waitcnt vmcnt(27) lgkmcnt(1)
	v_mul_f64 v[45:46], v[27:28], v[65:66]
	v_add_f64 v[6:7], v[6:7], v[43:44]
	v_mul_f64 v[43:44], v[25:26], v[65:66]
	s_waitcnt vmcnt(25)
	v_fma_f64 v[47:48], v[21:22], v[69:70], -v[47:48]
	v_fma_f64 v[29:30], v[23:24], v[69:70], v[29:30]
	ds_read_b128 v[21:24], v1 offset:1472
	v_add_f64 v[37:38], v[37:38], v[41:42]
	s_waitcnt vmcnt(21) lgkmcnt(1)
	v_mul_f64 v[41:42], v[4:5], v[71:72]
	v_add_f64 v[6:7], v[6:7], v[39:40]
	s_waitcnt vmcnt(20)
	v_fma_f64 v[45:46], v[25:26], v[67:68], -v[45:46]
	v_mul_f64 v[39:40], v[2:3], v[71:72]
	v_fma_f64 v[43:44], v[27:28], v[67:68], v[43:44]
	ds_read_b128 v[25:28], v1 offset:1488
	v_add_f64 v[37:38], v[37:38], v[47:48]
	s_waitcnt vmcnt(19) lgkmcnt(1)
	v_mul_f64 v[47:48], v[23:24], v[77:78]
	v_add_f64 v[6:7], v[6:7], v[29:30]
	s_waitcnt vmcnt(17)
	v_fma_f64 v[41:42], v[2:3], v[81:82], -v[41:42]
	v_mul_f64 v[29:30], v[21:22], v[77:78]
	;; [unrolled: 9-line block ×4, first 2 shown]
	v_fma_f64 v[27:28], v[27:28], v[161:162], v[43:44]
	s_waitcnt vmcnt(7) lgkmcnt(0)
	v_mul_f64 v[43:44], v[23:24], v[163:164]
	v_add_f64 v[37:38], v[37:38], v[47:48]
	s_waitcnt vmcnt(6)
	v_fma_f64 v[1:2], v[2:3], v[87:88], -v[41:42]
	v_add_f64 v[6:7], v[6:7], v[29:30]
	v_mul_f64 v[29:30], v[21:22], v[163:164]
	v_fma_f64 v[3:4], v[4:5], v[87:88], v[39:40]
	v_add_f64 v[25:26], v[37:38], v[25:26]
	v_add_f64 v[5:6], v[6:7], v[27:28]
	s_waitcnt vmcnt(4)
	v_fma_f64 v[7:8], v[21:22], v[166:167], -v[43:44]
	v_fma_f64 v[21:22], v[23:24], v[166:167], v[29:30]
	v_add_f64 v[1:2], v[25:26], v[1:2]
	v_add_f64 v[3:4], v[5:6], v[3:4]
	;; [unrolled: 1-line block ×4, first 2 shown]
	s_waitcnt vmcnt(2)
	v_add_f64 v[1:2], v[31:32], -v[1:2]
	s_waitcnt vmcnt(0)
	v_add_f64 v[3:4], v[172:173], -v[3:4]
	buffer_store_dword v2, off, s[0:3], 0 offset:548
	buffer_store_dword v1, off, s[0:3], 0 offset:544
	;; [unrolled: 1-line block ×4, first 2 shown]
	v_cmpx_lt_u32_e32 32, v0
	s_cbranch_execz .LBB47_237
; %bb.236:
	v_mov_b32_e32 v4, s27
	v_mov_b32_e32 v5, 0
	s_clause 0x3
	buffer_load_dword v1, v4, s[0:3], 0 offen
	buffer_load_dword v2, v4, s[0:3], 0 offen offset:4
	buffer_load_dword v3, v4, s[0:3], 0 offen offset:8
	;; [unrolled: 1-line block ×3, first 2 shown]
	buffer_store_dword v5, off, s[0:3], 0 offset:528
	buffer_store_dword v5, off, s[0:3], 0 offset:532
	;; [unrolled: 1-line block ×4, first 2 shown]
	s_waitcnt vmcnt(0)
	ds_write_b128 v165, v[1:4]
.LBB47_237:
	s_or_b32 exec_lo, exec_lo, s4
	s_waitcnt lgkmcnt(0)
	s_waitcnt_vscnt null, 0x0
	s_barrier
	buffer_gl0_inv
	s_clause 0x37
	buffer_load_dword v6, off, s[0:3], 0 offset:552
	buffer_load_dword v7, off, s[0:3], 0 offset:556
	;; [unrolled: 1-line block ×56, first 2 shown]
	v_mov_b32_e32 v1, 0
	s_mov_b32 s4, exec_lo
	ds_read_b128 v[2:5], v1 offset:1296
	s_clause 0x2
	buffer_load_dword v167, off, s[0:3], 0 offset:780
	buffer_load_dword v171, off, s[0:3], 0 offset:756
	;; [unrolled: 1-line block ×3, first 2 shown]
	ds_read_b128 v[21:24], v1 offset:1312
	ds_read_b128 v[25:28], v1 offset:1328
	buffer_load_dword v169, off, s[0:3], 0 offset:772
	s_waitcnt vmcnt(58) lgkmcnt(2)
	v_mul_f64 v[172:173], v[4:5], v[6:7]
	v_mul_f64 v[6:7], v[2:3], v[6:7]
	s_waitcnt vmcnt(56) lgkmcnt(1)
	v_mul_f64 v[174:175], v[23:24], v[29:30]
	v_mul_f64 v[29:30], v[21:22], v[29:30]
	s_waitcnt vmcnt(54)
	v_fma_f64 v[172:173], v[2:3], v[31:32], -v[172:173]
	v_fma_f64 v[6:7], v[4:5], v[31:32], v[6:7]
	s_waitcnt vmcnt(52) lgkmcnt(0)
	v_mul_f64 v[31:32], v[25:26], v[37:38]
	v_mul_f64 v[37:38], v[27:28], v[37:38]
	s_waitcnt vmcnt(50)
	v_fma_f64 v[174:175], v[21:22], v[39:40], -v[174:175]
	ds_read_b128 v[2:5], v1 offset:1344
	v_fma_f64 v[29:30], v[23:24], v[39:40], v[29:30]
	s_clause 0x3
	buffer_load_dword v39, off, s[0:3], 0 offset:528
	buffer_load_dword v40, off, s[0:3], 0 offset:532
	;; [unrolled: 1-line block ×4, first 2 shown]
	ds_read_b128 v[21:24], v1 offset:1360
	v_add_f64 v[172:173], v[172:173], 0
	v_add_f64 v[6:7], v[6:7], 0
	s_waitcnt vmcnt(48)
	v_fma_f64 v[31:32], v[27:28], v[47:48], v[31:32]
	s_waitcnt lgkmcnt(1)
	v_mul_f64 v[178:179], v[2:3], v[41:42]
	v_mul_f64 v[41:42], v[4:5], v[41:42]
	v_fma_f64 v[37:38], v[25:26], v[47:48], -v[37:38]
	ds_read_b128 v[25:28], v1 offset:1376
	v_add_f64 v[172:173], v[172:173], v[174:175]
	v_add_f64 v[6:7], v[6:7], v[29:30]
	s_waitcnt vmcnt(47) lgkmcnt(1)
	v_mul_f64 v[29:30], v[21:22], v[43:44]
	v_mul_f64 v[43:44], v[23:24], v[43:44]
	s_waitcnt vmcnt(45)
	v_fma_f64 v[41:42], v[2:3], v[49:50], -v[41:42]
	v_fma_f64 v[47:48], v[4:5], v[49:50], v[178:179]
	s_waitcnt vmcnt(41) lgkmcnt(0)
	v_mul_f64 v[49:50], v[27:28], v[51:52]
	ds_read_b128 v[2:5], v1 offset:1392
	v_add_f64 v[37:38], v[172:173], v[37:38]
	v_add_f64 v[6:7], v[6:7], v[31:32]
	v_mul_f64 v[31:32], v[25:26], v[51:52]
	s_waitcnt vmcnt(40)
	v_fma_f64 v[43:44], v[21:22], v[45:46], -v[43:44]
	v_fma_f64 v[29:30], v[23:24], v[45:46], v[29:30]
	ds_read_b128 v[21:24], v1 offset:1408
	s_waitcnt vmcnt(39) lgkmcnt(1)
	v_mul_f64 v[45:46], v[4:5], v[53:54]
	v_add_f64 v[37:38], v[37:38], v[41:42]
	v_add_f64 v[6:7], v[6:7], v[47:48]
	s_waitcnt vmcnt(37)
	v_fma_f64 v[47:48], v[25:26], v[57:58], -v[49:50]
	v_mul_f64 v[41:42], v[2:3], v[53:54]
	v_fma_f64 v[31:32], v[27:28], v[57:58], v[31:32]
	ds_read_b128 v[25:28], v1 offset:1424
	s_waitcnt vmcnt(32)
	v_fma_f64 v[45:46], v[2:3], v[55:56], -v[45:46]
	v_add_f64 v[37:38], v[37:38], v[43:44]
	v_add_f64 v[6:7], v[6:7], v[29:30]
	s_waitcnt lgkmcnt(1)
	v_mul_f64 v[43:44], v[23:24], v[59:60]
	v_mul_f64 v[29:30], v[21:22], v[59:60]
	v_fma_f64 v[41:42], v[4:5], v[55:56], v[41:42]
	ds_read_b128 v[2:5], v1 offset:1440
	v_add_f64 v[37:38], v[37:38], v[47:48]
	v_add_f64 v[6:7], v[6:7], v[31:32]
	s_waitcnt vmcnt(31) lgkmcnt(1)
	v_mul_f64 v[47:48], v[27:28], v[65:66]
	s_waitcnt vmcnt(29)
	v_fma_f64 v[43:44], v[21:22], v[69:70], -v[43:44]
	v_mul_f64 v[31:32], v[25:26], v[65:66]
	v_fma_f64 v[29:30], v[23:24], v[69:70], v[29:30]
	ds_read_b128 v[21:24], v1 offset:1456
	v_add_f64 v[37:38], v[37:38], v[45:46]
	v_add_f64 v[6:7], v[6:7], v[41:42]
	s_waitcnt vmcnt(25) lgkmcnt(1)
	v_mul_f64 v[45:46], v[4:5], v[71:72]
	s_waitcnt vmcnt(24)
	v_fma_f64 v[47:48], v[25:26], v[67:68], -v[47:48]
	;; [unrolled: 9-line block ×6, first 2 shown]
	v_mul_f64 v[29:30], v[21:22], v[163:164]
	v_fma_f64 v[4:5], v[4:5], v[87:88], v[41:42]
	s_waitcnt vmcnt(7) lgkmcnt(0)
	v_mul_f64 v[41:42], v[27:28], v[166:167]
	v_add_f64 v[37:38], v[37:38], v[47:48]
	v_add_f64 v[6:7], v[6:7], v[31:32]
	s_waitcnt vmcnt(5)
	v_fma_f64 v[21:22], v[21:22], v[170:171], -v[43:44]
	v_mul_f64 v[31:32], v[25:26], v[166:167]
	v_fma_f64 v[23:24], v[23:24], v[170:171], v[29:30]
	v_add_f64 v[2:3], v[37:38], v[2:3]
	v_add_f64 v[4:5], v[6:7], v[4:5]
	s_waitcnt vmcnt(4)
	v_fma_f64 v[6:7], v[25:26], v[168:169], -v[41:42]
	v_add_f64 v[2:3], v[2:3], v[21:22]
	v_fma_f64 v[21:22], v[27:28], v[168:169], v[31:32]
	v_add_f64 v[4:5], v[4:5], v[23:24]
	v_add_f64 v[2:3], v[2:3], v[6:7]
	;; [unrolled: 1-line block ×3, first 2 shown]
	s_waitcnt vmcnt(2)
	v_add_f64 v[2:3], v[39:40], -v[2:3]
	s_waitcnt vmcnt(0)
	v_add_f64 v[4:5], v[176:177], -v[4:5]
	buffer_store_dword v3, off, s[0:3], 0 offset:532
	buffer_store_dword v2, off, s[0:3], 0 offset:528
	;; [unrolled: 1-line block ×4, first 2 shown]
	v_cmpx_lt_u32_e32 31, v0
	s_cbranch_execz .LBB47_239
; %bb.238:
	v_mov_b32_e32 v5, s28
	s_clause 0x3
	buffer_load_dword v2, v5, s[0:3], 0 offen
	buffer_load_dword v3, v5, s[0:3], 0 offen offset:4
	buffer_load_dword v4, v5, s[0:3], 0 offen offset:8
	;; [unrolled: 1-line block ×3, first 2 shown]
	buffer_store_dword v1, off, s[0:3], 0 offset:512
	buffer_store_dword v1, off, s[0:3], 0 offset:516
	;; [unrolled: 1-line block ×4, first 2 shown]
	s_waitcnt vmcnt(0)
	ds_write_b128 v165, v[2:5]
.LBB47_239:
	s_or_b32 exec_lo, exec_lo, s4
	s_waitcnt lgkmcnt(0)
	s_waitcnt_vscnt null, 0x0
	s_barrier
	buffer_gl0_inv
	s_clause 0x37
	buffer_load_dword v6, off, s[0:3], 0 offset:536
	buffer_load_dword v7, off, s[0:3], 0 offset:540
	;; [unrolled: 1-line block ×56, first 2 shown]
	ds_read_b128 v[2:5], v1 offset:1280
	s_clause 0x2
	buffer_load_dword v167, off, s[0:3], 0 offset:764
	buffer_load_dword v171, off, s[0:3], 0 offset:740
	;; [unrolled: 1-line block ×3, first 2 shown]
	ds_read_b128 v[21:24], v1 offset:1296
	s_clause 0x2
	buffer_load_dword v175, off, s[0:3], 0 offset:780
	buffer_load_dword v174, off, s[0:3], 0 offset:776
	;; [unrolled: 1-line block ×3, first 2 shown]
	ds_read_b128 v[25:28], v1 offset:1312
	s_mov_b32 s4, exec_lo
	s_waitcnt vmcnt(60) lgkmcnt(2)
	v_mul_f64 v[172:173], v[4:5], v[6:7]
	v_mul_f64 v[6:7], v[2:3], v[6:7]
	s_waitcnt vmcnt(58) lgkmcnt(1)
	v_mul_f64 v[176:177], v[23:24], v[29:30]
	v_mul_f64 v[29:30], v[21:22], v[29:30]
	;; [unrolled: 3-line block ×3, first 2 shown]
	v_fma_f64 v[172:173], v[2:3], v[31:32], -v[172:173]
	v_fma_f64 v[6:7], v[4:5], v[31:32], v[6:7]
	s_clause 0x1
	buffer_load_dword v32, off, s[0:3], 0 offset:772
	buffer_load_dword v31, off, s[0:3], 0 offset:768
	s_waitcnt vmcnt(54)
	v_fma_f64 v[176:177], v[21:22], v[39:40], -v[176:177]
	ds_read_b128 v[2:5], v1 offset:1328
	v_fma_f64 v[29:30], v[23:24], v[39:40], v[29:30]
	ds_read_b128 v[21:24], v1 offset:1344
	s_waitcnt vmcnt(48)
	v_fma_f64 v[37:38], v[25:26], v[47:48], -v[37:38]
	v_fma_f64 v[47:48], v[27:28], v[47:48], v[178:179]
	v_add_f64 v[172:173], v[172:173], 0
	v_add_f64 v[6:7], v[6:7], 0
	s_waitcnt lgkmcnt(1)
	v_mul_f64 v[39:40], v[2:3], v[41:42]
	v_mul_f64 v[41:42], v[4:5], v[41:42]
	s_waitcnt vmcnt(47) lgkmcnt(0)
	v_mul_f64 v[178:179], v[21:22], v[43:44]
	v_mul_f64 v[43:44], v[23:24], v[43:44]
	v_add_f64 v[172:173], v[172:173], v[176:177]
	v_add_f64 v[6:7], v[6:7], v[29:30]
	s_clause 0x3
	buffer_load_dword v29, off, s[0:3], 0 offset:512
	buffer_load_dword v30, off, s[0:3], 0 offset:516
	;; [unrolled: 1-line block ×4, first 2 shown]
	s_waitcnt vmcnt(49)
	v_fma_f64 v[41:42], v[2:3], v[49:50], -v[41:42]
	ds_read_b128 v[25:28], v1 offset:1360
	v_fma_f64 v[39:40], v[4:5], v[49:50], v[39:40]
	ds_read_b128 v[2:5], v1 offset:1376
	s_waitcnt vmcnt(44)
	v_fma_f64 v[43:44], v[21:22], v[45:46], -v[43:44]
	v_add_f64 v[37:38], v[172:173], v[37:38]
	v_add_f64 v[6:7], v[6:7], v[47:48]
	s_waitcnt lgkmcnt(1)
	v_mul_f64 v[49:50], v[27:28], v[51:52]
	v_mul_f64 v[47:48], v[25:26], v[51:52]
	v_add_f64 v[37:38], v[37:38], v[41:42]
	v_fma_f64 v[41:42], v[23:24], v[45:46], v[178:179]
	v_add_f64 v[6:7], v[6:7], v[39:40]
	s_waitcnt vmcnt(43) lgkmcnt(0)
	v_mul_f64 v[45:46], v[4:5], v[53:54]
	s_waitcnt vmcnt(41)
	v_fma_f64 v[49:50], v[25:26], v[57:58], -v[49:50]
	ds_read_b128 v[21:24], v1 offset:1392
	v_mul_f64 v[39:40], v[2:3], v[53:54]
	v_add_f64 v[37:38], v[37:38], v[43:44]
	v_fma_f64 v[43:44], v[27:28], v[57:58], v[47:48]
	v_add_f64 v[6:7], v[6:7], v[41:42]
	ds_read_b128 v[25:28], v1 offset:1408
	s_waitcnt vmcnt(37) lgkmcnt(1)
	v_mul_f64 v[47:48], v[23:24], v[59:60]
	s_waitcnt vmcnt(36)
	v_fma_f64 v[45:46], v[2:3], v[55:56], -v[45:46]
	v_mul_f64 v[41:42], v[21:22], v[59:60]
	v_fma_f64 v[39:40], v[4:5], v[55:56], v[39:40]
	ds_read_b128 v[2:5], v1 offset:1424
	v_add_f64 v[37:38], v[37:38], v[49:50]
	s_waitcnt vmcnt(35) lgkmcnt(1)
	v_mul_f64 v[49:50], v[27:28], v[65:66]
	v_add_f64 v[6:7], v[6:7], v[43:44]
	v_mul_f64 v[43:44], v[25:26], v[65:66]
	s_waitcnt vmcnt(33)
	v_fma_f64 v[47:48], v[21:22], v[69:70], -v[47:48]
	v_fma_f64 v[41:42], v[23:24], v[69:70], v[41:42]
	ds_read_b128 v[21:24], v1 offset:1440
	v_add_f64 v[37:38], v[37:38], v[45:46]
	s_waitcnt vmcnt(29) lgkmcnt(1)
	v_mul_f64 v[45:46], v[4:5], v[71:72]
	v_add_f64 v[6:7], v[6:7], v[39:40]
	s_waitcnt vmcnt(28)
	v_fma_f64 v[49:50], v[25:26], v[67:68], -v[49:50]
	v_mul_f64 v[39:40], v[2:3], v[71:72]
	v_fma_f64 v[43:44], v[27:28], v[67:68], v[43:44]
	ds_read_b128 v[25:28], v1 offset:1456
	v_add_f64 v[37:38], v[37:38], v[47:48]
	s_waitcnt vmcnt(27) lgkmcnt(1)
	v_mul_f64 v[47:48], v[23:24], v[77:78]
	v_add_f64 v[6:7], v[6:7], v[41:42]
	s_waitcnt vmcnt(25)
	v_fma_f64 v[45:46], v[2:3], v[81:82], -v[45:46]
	v_mul_f64 v[41:42], v[21:22], v[77:78]
	;; [unrolled: 9-line block ×5, first 2 shown]
	v_fma_f64 v[39:40], v[4:5], v[87:88], v[39:40]
	ds_read_b128 v[1:4], v1 offset:1520
	v_add_f64 v[37:38], v[37:38], v[49:50]
	s_waitcnt vmcnt(9)
	v_fma_f64 v[21:22], v[21:22], v[170:171], -v[47:48]
	v_add_f64 v[5:6], v[6:7], v[43:44]
	s_waitcnt lgkmcnt(1)
	v_mul_f64 v[43:44], v[27:28], v[166:167]
	v_mul_f64 v[7:8], v[25:26], v[166:167]
	v_fma_f64 v[23:24], v[23:24], v[170:171], v[41:42]
	s_waitcnt vmcnt(7) lgkmcnt(0)
	v_mul_f64 v[41:42], v[3:4], v[174:175]
	v_add_f64 v[37:38], v[37:38], v[45:46]
	v_add_f64 v[5:6], v[5:6], v[39:40]
	s_waitcnt vmcnt(6)
	v_fma_f64 v[25:26], v[25:26], v[168:169], -v[43:44]
	v_mul_f64 v[39:40], v[1:2], v[174:175]
	v_fma_f64 v[7:8], v[27:28], v[168:169], v[7:8]
	v_add_f64 v[21:22], v[37:38], v[21:22]
	v_add_f64 v[5:6], v[5:6], v[23:24]
	s_waitcnt vmcnt(4)
	v_fma_f64 v[1:2], v[1:2], v[31:32], -v[41:42]
	v_fma_f64 v[3:4], v[3:4], v[31:32], v[39:40]
	v_add_f64 v[21:22], v[21:22], v[25:26]
	v_add_f64 v[5:6], v[5:6], v[7:8]
	;; [unrolled: 1-line block ×4, first 2 shown]
	s_waitcnt vmcnt(2)
	v_add_f64 v[1:2], v[29:30], -v[1:2]
	s_waitcnt vmcnt(0)
	v_add_f64 v[3:4], v[176:177], -v[3:4]
	buffer_store_dword v2, off, s[0:3], 0 offset:516
	buffer_store_dword v1, off, s[0:3], 0 offset:512
	;; [unrolled: 1-line block ×4, first 2 shown]
	v_cmpx_lt_u32_e32 30, v0
	s_cbranch_execz .LBB47_241
; %bb.240:
	v_mov_b32_e32 v4, s29
	v_mov_b32_e32 v5, 0
	s_clause 0x3
	buffer_load_dword v1, v4, s[0:3], 0 offen
	buffer_load_dword v2, v4, s[0:3], 0 offen offset:4
	buffer_load_dword v3, v4, s[0:3], 0 offen offset:8
	;; [unrolled: 1-line block ×3, first 2 shown]
	buffer_store_dword v5, off, s[0:3], 0 offset:496
	buffer_store_dword v5, off, s[0:3], 0 offset:500
	;; [unrolled: 1-line block ×4, first 2 shown]
	s_waitcnt vmcnt(0)
	ds_write_b128 v165, v[1:4]
.LBB47_241:
	s_or_b32 exec_lo, exec_lo, s4
	s_waitcnt lgkmcnt(0)
	s_waitcnt_vscnt null, 0x0
	s_barrier
	buffer_gl0_inv
	s_clause 0x37
	buffer_load_dword v6, off, s[0:3], 0 offset:520
	buffer_load_dword v7, off, s[0:3], 0 offset:524
	;; [unrolled: 1-line block ×56, first 2 shown]
	v_mov_b32_e32 v1, 0
	s_mov_b32 s4, exec_lo
	ds_read_b128 v[2:5], v1 offset:1264
	s_clause 0x2
	buffer_load_dword v167, off, s[0:3], 0 offset:748
	buffer_load_dword v171, off, s[0:3], 0 offset:724
	;; [unrolled: 1-line block ×3, first 2 shown]
	ds_read_b128 v[21:24], v1 offset:1280
	s_clause 0x4
	buffer_load_dword v175, off, s[0:3], 0 offset:764
	buffer_load_dword v176, off, s[0:3], 0 offset:776
	;; [unrolled: 1-line block ×5, first 2 shown]
	ds_read_b128 v[25:28], v1 offset:1296
	s_waitcnt vmcnt(62) lgkmcnt(2)
	v_mul_f64 v[172:173], v[4:5], v[6:7]
	v_mul_f64 v[6:7], v[2:3], v[6:7]
	s_waitcnt vmcnt(60) lgkmcnt(1)
	v_mul_f64 v[179:180], v[23:24], v[29:30]
	v_mul_f64 v[29:30], v[21:22], v[29:30]
	;; [unrolled: 3-line block ×3, first 2 shown]
	v_fma_f64 v[172:173], v[2:3], v[31:32], -v[172:173]
	v_fma_f64 v[6:7], v[4:5], v[31:32], v[6:7]
	s_clause 0x2
	buffer_load_dword v177, off, s[0:3], 0 offset:780
	buffer_load_dword v32, off, s[0:3], 0 offset:756
	;; [unrolled: 1-line block ×3, first 2 shown]
	s_waitcnt vmcnt(57)
	v_fma_f64 v[183:184], v[21:22], v[39:40], -v[179:180]
	ds_read_b128 v[2:5], v1 offset:1312
	v_fma_f64 v[29:30], v[23:24], v[39:40], v[29:30]
	buffer_load_dword v179, off, s[0:3], 0 offset:772
	ds_read_b128 v[21:24], v1 offset:1328
	s_waitcnt vmcnt(52)
	v_fma_f64 v[37:38], v[25:26], v[47:48], -v[37:38]
	v_fma_f64 v[47:48], v[27:28], v[47:48], v[181:182]
	ds_read_b128 v[25:28], v1 offset:1344
	v_add_f64 v[172:173], v[172:173], 0
	v_add_f64 v[6:7], v[6:7], 0
	s_waitcnt lgkmcnt(2)
	v_mul_f64 v[39:40], v[2:3], v[41:42]
	v_mul_f64 v[41:42], v[4:5], v[41:42]
	v_add_f64 v[172:173], v[172:173], v[183:184]
	v_add_f64 v[6:7], v[6:7], v[29:30]
	s_waitcnt vmcnt(51) lgkmcnt(1)
	v_mul_f64 v[29:30], v[21:22], v[43:44]
	v_mul_f64 v[43:44], v[23:24], v[43:44]
	s_waitcnt vmcnt(49)
	v_fma_f64 v[41:42], v[2:3], v[49:50], -v[41:42]
	v_fma_f64 v[39:40], v[4:5], v[49:50], v[39:40]
	v_add_f64 v[37:38], v[172:173], v[37:38]
	v_add_f64 v[6:7], v[6:7], v[47:48]
	s_clause 0x3
	buffer_load_dword v47, off, s[0:3], 0 offset:496
	buffer_load_dword v48, off, s[0:3], 0 offset:500
	;; [unrolled: 1-line block ×4, first 2 shown]
	s_waitcnt vmcnt(49) lgkmcnt(0)
	v_mul_f64 v[172:173], v[25:26], v[51:52]
	v_mul_f64 v[51:52], v[27:28], v[51:52]
	s_waitcnt vmcnt(48)
	v_fma_f64 v[43:44], v[21:22], v[45:46], -v[43:44]
	ds_read_b128 v[2:5], v1 offset:1360
	v_fma_f64 v[29:30], v[23:24], v[45:46], v[29:30]
	ds_read_b128 v[21:24], v1 offset:1376
	v_add_f64 v[37:38], v[37:38], v[41:42]
	v_add_f64 v[6:7], v[6:7], v[39:40]
	s_waitcnt vmcnt(47) lgkmcnt(1)
	v_mul_f64 v[41:42], v[4:5], v[53:54]
	s_waitcnt vmcnt(45)
	v_fma_f64 v[45:46], v[25:26], v[57:58], -v[51:52]
	v_mul_f64 v[39:40], v[2:3], v[53:54]
	s_waitcnt vmcnt(41) lgkmcnt(0)
	v_mul_f64 v[51:52], v[23:24], v[59:60]
	v_add_f64 v[37:38], v[37:38], v[43:44]
	v_fma_f64 v[43:44], v[27:28], v[57:58], v[172:173]
	v_add_f64 v[6:7], v[6:7], v[29:30]
	ds_read_b128 v[25:28], v1 offset:1392
	s_waitcnt vmcnt(40)
	v_fma_f64 v[41:42], v[2:3], v[55:56], -v[41:42]
	v_mul_f64 v[29:30], v[21:22], v[59:60]
	v_fma_f64 v[39:40], v[4:5], v[55:56], v[39:40]
	ds_read_b128 v[2:5], v1 offset:1408
	s_waitcnt vmcnt(37)
	v_fma_f64 v[51:52], v[21:22], v[69:70], -v[51:52]
	v_add_f64 v[37:38], v[37:38], v[45:46]
	s_waitcnt lgkmcnt(1)
	v_mul_f64 v[45:46], v[27:28], v[65:66]
	v_add_f64 v[6:7], v[6:7], v[43:44]
	v_mul_f64 v[43:44], v[25:26], v[65:66]
	v_fma_f64 v[29:30], v[23:24], v[69:70], v[29:30]
	ds_read_b128 v[21:24], v1 offset:1424
	v_add_f64 v[37:38], v[37:38], v[41:42]
	s_waitcnt vmcnt(33) lgkmcnt(1)
	v_mul_f64 v[41:42], v[4:5], v[71:72]
	v_add_f64 v[6:7], v[6:7], v[39:40]
	s_waitcnt vmcnt(32)
	v_fma_f64 v[45:46], v[25:26], v[67:68], -v[45:46]
	v_mul_f64 v[39:40], v[2:3], v[71:72]
	v_fma_f64 v[43:44], v[27:28], v[67:68], v[43:44]
	ds_read_b128 v[25:28], v1 offset:1440
	v_add_f64 v[37:38], v[37:38], v[51:52]
	s_waitcnt vmcnt(31) lgkmcnt(1)
	v_mul_f64 v[51:52], v[23:24], v[77:78]
	v_add_f64 v[6:7], v[6:7], v[29:30]
	s_waitcnt vmcnt(29)
	v_fma_f64 v[41:42], v[2:3], v[81:82], -v[41:42]
	;; [unrolled: 9-line block ×7, first 2 shown]
	v_mul_f64 v[39:40], v[2:3], v[174:175]
	v_fma_f64 v[27:28], v[27:28], v[168:169], v[43:44]
	v_add_f64 v[37:38], v[37:38], v[51:52]
	v_add_f64 v[6:7], v[6:7], v[29:30]
	s_waitcnt vmcnt(7) lgkmcnt(0)
	v_mul_f64 v[43:44], v[23:24], v[176:177]
	v_mul_f64 v[29:30], v[21:22], v[176:177]
	s_waitcnt vmcnt(5)
	v_fma_f64 v[2:3], v[2:3], v[31:32], -v[41:42]
	v_fma_f64 v[4:5], v[4:5], v[31:32], v[39:40]
	v_add_f64 v[25:26], v[37:38], v[25:26]
	v_add_f64 v[6:7], v[6:7], v[27:28]
	s_waitcnt vmcnt(4)
	v_fma_f64 v[21:22], v[21:22], v[178:179], -v[43:44]
	v_fma_f64 v[23:24], v[23:24], v[178:179], v[29:30]
	v_add_f64 v[2:3], v[25:26], v[2:3]
	v_add_f64 v[4:5], v[6:7], v[4:5]
	;; [unrolled: 1-line block ×4, first 2 shown]
	s_waitcnt vmcnt(2)
	v_add_f64 v[2:3], v[47:48], -v[2:3]
	s_waitcnt vmcnt(0)
	v_add_f64 v[4:5], v[49:50], -v[4:5]
	buffer_store_dword v3, off, s[0:3], 0 offset:500
	buffer_store_dword v2, off, s[0:3], 0 offset:496
	;; [unrolled: 1-line block ×4, first 2 shown]
	v_cmpx_lt_u32_e32 29, v0
	s_cbranch_execz .LBB47_243
; %bb.242:
	v_mov_b32_e32 v5, s30
	s_clause 0x3
	buffer_load_dword v2, v5, s[0:3], 0 offen
	buffer_load_dword v3, v5, s[0:3], 0 offen offset:4
	buffer_load_dword v4, v5, s[0:3], 0 offen offset:8
	;; [unrolled: 1-line block ×3, first 2 shown]
	buffer_store_dword v1, off, s[0:3], 0 offset:480
	buffer_store_dword v1, off, s[0:3], 0 offset:484
	;; [unrolled: 1-line block ×4, first 2 shown]
	s_waitcnt vmcnt(0)
	ds_write_b128 v165, v[2:5]
.LBB47_243:
	s_or_b32 exec_lo, exec_lo, s4
	s_waitcnt lgkmcnt(0)
	s_waitcnt_vscnt null, 0x0
	s_barrier
	buffer_gl0_inv
	s_clause 0x37
	buffer_load_dword v6, off, s[0:3], 0 offset:504
	buffer_load_dword v7, off, s[0:3], 0 offset:508
	;; [unrolled: 1-line block ×56, first 2 shown]
	ds_read_b128 v[2:5], v1 offset:1248
	s_clause 0x2
	buffer_load_dword v167, off, s[0:3], 0 offset:732
	buffer_load_dword v171, off, s[0:3], 0 offset:708
	buffer_load_dword v170, off, s[0:3], 0 offset:704
	ds_read_b128 v[21:24], v1 offset:1264
	s_clause 0x4
	buffer_load_dword v175, off, s[0:3], 0 offset:748
	buffer_load_dword v176, off, s[0:3], 0 offset:760
	;; [unrolled: 1-line block ×5, first 2 shown]
	ds_read_b128 v[25:28], v1 offset:1280
	s_mov_b32 s4, exec_lo
	s_waitcnt vmcnt(62) lgkmcnt(2)
	v_mul_f64 v[172:173], v[4:5], v[6:7]
	v_mul_f64 v[6:7], v[2:3], v[6:7]
	s_waitcnt vmcnt(60) lgkmcnt(1)
	v_mul_f64 v[179:180], v[23:24], v[29:30]
	v_mul_f64 v[29:30], v[21:22], v[29:30]
	;; [unrolled: 3-line block ×3, first 2 shown]
	v_fma_f64 v[172:173], v[2:3], v[31:32], -v[172:173]
	v_fma_f64 v[6:7], v[4:5], v[31:32], v[6:7]
	s_clause 0x2
	buffer_load_dword v177, off, s[0:3], 0 offset:764
	buffer_load_dword v32, off, s[0:3], 0 offset:740
	;; [unrolled: 1-line block ×3, first 2 shown]
	s_waitcnt vmcnt(57)
	v_fma_f64 v[183:184], v[21:22], v[39:40], -v[179:180]
	ds_read_b128 v[2:5], v1 offset:1296
	v_fma_f64 v[29:30], v[23:24], v[39:40], v[29:30]
	s_clause 0x2
	buffer_load_dword v40, off, s[0:3], 0 offset:780
	buffer_load_dword v39, off, s[0:3], 0 offset:776
	;; [unrolled: 1-line block ×3, first 2 shown]
	s_waitcnt vmcnt(54)
	v_fma_f64 v[37:38], v[25:26], v[47:48], -v[37:38]
	ds_read_b128 v[21:24], v1 offset:1312
	v_fma_f64 v[47:48], v[27:28], v[47:48], v[181:182]
	v_add_f64 v[172:173], v[172:173], 0
	v_add_f64 v[6:7], v[6:7], 0
	s_waitcnt lgkmcnt(1)
	v_mul_f64 v[185:186], v[2:3], v[41:42]
	v_mul_f64 v[41:42], v[4:5], v[41:42]
	s_waitcnt vmcnt(53) lgkmcnt(0)
	v_mul_f64 v[180:181], v[21:22], v[43:44]
	v_mul_f64 v[43:44], v[23:24], v[43:44]
	v_add_f64 v[172:173], v[172:173], v[183:184]
	v_add_f64 v[6:7], v[6:7], v[29:30]
	s_clause 0x1
	buffer_load_dword v30, off, s[0:3], 0 offset:772
	buffer_load_dword v29, off, s[0:3], 0 offset:768
	s_waitcnt vmcnt(53)
	v_fma_f64 v[41:42], v[2:3], v[49:50], -v[41:42]
	ds_read_b128 v[25:28], v1 offset:1328
	v_fma_f64 v[49:50], v[4:5], v[49:50], v[185:186]
	ds_read_b128 v[2:5], v1 offset:1344
	s_waitcnt vmcnt(48)
	v_fma_f64 v[43:44], v[21:22], v[45:46], -v[43:44]
	v_add_f64 v[37:38], v[172:173], v[37:38]
	v_add_f64 v[6:7], v[6:7], v[47:48]
	s_waitcnt lgkmcnt(1)
	v_mul_f64 v[47:48], v[25:26], v[51:52]
	v_mul_f64 v[51:52], v[27:28], v[51:52]
	s_waitcnt vmcnt(47) lgkmcnt(0)
	v_mul_f64 v[172:173], v[2:3], v[53:54]
	v_mul_f64 v[53:54], v[4:5], v[53:54]
	v_add_f64 v[37:38], v[37:38], v[41:42]
	v_fma_f64 v[41:42], v[23:24], v[45:46], v[180:181]
	v_add_f64 v[6:7], v[6:7], v[49:50]
	s_clause 0x3
	buffer_load_dword v45, off, s[0:3], 0 offset:480
	buffer_load_dword v46, off, s[0:3], 0 offset:484
	;; [unrolled: 1-line block ×4, first 2 shown]
	s_waitcnt vmcnt(49)
	v_fma_f64 v[51:52], v[25:26], v[57:58], -v[51:52]
	ds_read_b128 v[21:24], v1 offset:1360
	s_waitcnt vmcnt(44)
	v_fma_f64 v[53:54], v[2:3], v[55:56], -v[53:54]
	v_add_f64 v[37:38], v[37:38], v[43:44]
	v_fma_f64 v[43:44], v[27:28], v[57:58], v[47:48]
	v_add_f64 v[6:7], v[6:7], v[41:42]
	ds_read_b128 v[25:28], v1 offset:1376
	s_waitcnt lgkmcnt(1)
	v_mul_f64 v[47:48], v[23:24], v[59:60]
	v_mul_f64 v[41:42], v[21:22], v[59:60]
	v_add_f64 v[37:38], v[37:38], v[51:52]
	v_fma_f64 v[51:52], v[4:5], v[55:56], v[172:173]
	v_add_f64 v[6:7], v[6:7], v[43:44]
	s_waitcnt vmcnt(43) lgkmcnt(0)
	v_mul_f64 v[55:56], v[27:28], v[65:66]
	s_waitcnt vmcnt(41)
	v_fma_f64 v[47:48], v[21:22], v[69:70], -v[47:48]
	ds_read_b128 v[2:5], v1 offset:1392
	v_mul_f64 v[43:44], v[25:26], v[65:66]
	v_fma_f64 v[41:42], v[23:24], v[69:70], v[41:42]
	ds_read_b128 v[21:24], v1 offset:1408
	v_add_f64 v[37:38], v[37:38], v[53:54]
	v_add_f64 v[6:7], v[6:7], v[51:52]
	s_waitcnt vmcnt(37) lgkmcnt(1)
	v_mul_f64 v[53:54], v[4:5], v[71:72]
	s_waitcnt vmcnt(36)
	v_fma_f64 v[55:56], v[25:26], v[67:68], -v[55:56]
	v_mul_f64 v[51:52], v[2:3], v[71:72]
	v_fma_f64 v[43:44], v[27:28], v[67:68], v[43:44]
	ds_read_b128 v[25:28], v1 offset:1424
	v_add_f64 v[37:38], v[37:38], v[47:48]
	s_waitcnt vmcnt(35) lgkmcnt(1)
	v_mul_f64 v[47:48], v[23:24], v[77:78]
	v_add_f64 v[6:7], v[6:7], v[41:42]
	s_waitcnt vmcnt(33)
	v_fma_f64 v[53:54], v[2:3], v[81:82], -v[53:54]
	v_mul_f64 v[41:42], v[21:22], v[77:78]
	v_fma_f64 v[51:52], v[4:5], v[81:82], v[51:52]
	ds_read_b128 v[2:5], v1 offset:1440
	v_add_f64 v[37:38], v[37:38], v[55:56]
	s_waitcnt vmcnt(29) lgkmcnt(1)
	v_mul_f64 v[55:56], v[27:28], v[83:84]
	v_add_f64 v[6:7], v[6:7], v[43:44]
	;; [unrolled: 9-line block ×6, first 2 shown]
	s_waitcnt vmcnt(12)
	v_fma_f64 v[55:56], v[25:26], v[168:169], -v[55:56]
	v_mul_f64 v[51:52], v[2:3], v[174:175]
	v_fma_f64 v[43:44], v[27:28], v[168:169], v[43:44]
	ds_read_b128 v[25:28], v1 offset:1520
	v_add_f64 v[37:38], v[37:38], v[47:48]
	v_add_f64 v[6:7], v[6:7], v[41:42]
	s_waitcnt vmcnt(11) lgkmcnt(1)
	v_mul_f64 v[47:48], v[23:24], v[176:177]
	v_mul_f64 v[41:42], v[21:22], v[176:177]
	s_waitcnt vmcnt(9)
	v_fma_f64 v[1:2], v[2:3], v[31:32], -v[53:54]
	v_fma_f64 v[3:4], v[4:5], v[31:32], v[51:52]
	s_waitcnt vmcnt(7) lgkmcnt(0)
	v_mul_f64 v[31:32], v[27:28], v[39:40]
	v_add_f64 v[37:38], v[37:38], v[55:56]
	v_add_f64 v[5:6], v[6:7], v[43:44]
	v_mul_f64 v[7:8], v[25:26], v[39:40]
	s_waitcnt vmcnt(6)
	v_fma_f64 v[21:22], v[21:22], v[178:179], -v[47:48]
	v_fma_f64 v[23:24], v[23:24], v[178:179], v[41:42]
	v_add_f64 v[1:2], v[37:38], v[1:2]
	v_add_f64 v[3:4], v[5:6], v[3:4]
	s_waitcnt vmcnt(4)
	v_fma_f64 v[5:6], v[25:26], v[29:30], -v[31:32]
	v_fma_f64 v[7:8], v[27:28], v[29:30], v[7:8]
	v_add_f64 v[1:2], v[1:2], v[21:22]
	v_add_f64 v[3:4], v[3:4], v[23:24]
	;; [unrolled: 1-line block ×4, first 2 shown]
	s_waitcnt vmcnt(2)
	v_add_f64 v[1:2], v[45:46], -v[1:2]
	s_waitcnt vmcnt(0)
	v_add_f64 v[3:4], v[49:50], -v[3:4]
	buffer_store_dword v2, off, s[0:3], 0 offset:484
	buffer_store_dword v1, off, s[0:3], 0 offset:480
	;; [unrolled: 1-line block ×4, first 2 shown]
	v_cmpx_lt_u32_e32 28, v0
	s_cbranch_execz .LBB47_245
; %bb.244:
	v_mov_b32_e32 v4, s31
	v_mov_b32_e32 v5, 0
	s_clause 0x3
	buffer_load_dword v1, v4, s[0:3], 0 offen
	buffer_load_dword v2, v4, s[0:3], 0 offen offset:4
	buffer_load_dword v3, v4, s[0:3], 0 offen offset:8
	;; [unrolled: 1-line block ×3, first 2 shown]
	buffer_store_dword v5, off, s[0:3], 0 offset:464
	buffer_store_dword v5, off, s[0:3], 0 offset:468
	;; [unrolled: 1-line block ×4, first 2 shown]
	s_waitcnt vmcnt(0)
	ds_write_b128 v165, v[1:4]
.LBB47_245:
	s_or_b32 exec_lo, exec_lo, s4
	s_waitcnt lgkmcnt(0)
	s_waitcnt_vscnt null, 0x0
	s_barrier
	buffer_gl0_inv
	s_clause 0x37
	buffer_load_dword v6, off, s[0:3], 0 offset:488
	buffer_load_dword v7, off, s[0:3], 0 offset:492
	;; [unrolled: 1-line block ×56, first 2 shown]
	v_mov_b32_e32 v1, 0
	s_mov_b32 s4, exec_lo
	ds_read_b128 v[2:5], v1 offset:1232
	s_clause 0x2
	buffer_load_dword v167, off, s[0:3], 0 offset:716
	buffer_load_dword v171, off, s[0:3], 0 offset:692
	;; [unrolled: 1-line block ×3, first 2 shown]
	ds_read_b128 v[21:24], v1 offset:1248
	s_clause 0x4
	buffer_load_dword v175, off, s[0:3], 0 offset:732
	buffer_load_dword v176, off, s[0:3], 0 offset:744
	;; [unrolled: 1-line block ×5, first 2 shown]
	ds_read_b128 v[25:28], v1 offset:1264
	s_waitcnt vmcnt(62) lgkmcnt(2)
	v_mul_f64 v[172:173], v[4:5], v[6:7]
	v_mul_f64 v[6:7], v[2:3], v[6:7]
	s_waitcnt vmcnt(60) lgkmcnt(1)
	v_mul_f64 v[179:180], v[23:24], v[29:30]
	v_mul_f64 v[29:30], v[21:22], v[29:30]
	;; [unrolled: 3-line block ×3, first 2 shown]
	v_fma_f64 v[172:173], v[2:3], v[31:32], -v[172:173]
	v_fma_f64 v[6:7], v[4:5], v[31:32], v[6:7]
	s_clause 0x2
	buffer_load_dword v177, off, s[0:3], 0 offset:748
	buffer_load_dword v32, off, s[0:3], 0 offset:724
	;; [unrolled: 1-line block ×3, first 2 shown]
	s_waitcnt vmcnt(57)
	v_fma_f64 v[183:184], v[21:22], v[39:40], -v[179:180]
	ds_read_b128 v[2:5], v1 offset:1280
	v_fma_f64 v[29:30], v[23:24], v[39:40], v[29:30]
	s_clause 0x4
	buffer_load_dword v40, off, s[0:3], 0 offset:764
	buffer_load_dword v180, off, s[0:3], 0 offset:776
	;; [unrolled: 1-line block ×5, first 2 shown]
	s_waitcnt vmcnt(56)
	v_fma_f64 v[37:38], v[25:26], v[47:48], -v[37:38]
	ds_read_b128 v[21:24], v1 offset:1296
	v_fma_f64 v[47:48], v[27:28], v[47:48], v[181:182]
	v_add_f64 v[172:173], v[172:173], 0
	v_add_f64 v[6:7], v[6:7], 0
	s_waitcnt lgkmcnt(1)
	v_mul_f64 v[186:187], v[2:3], v[41:42]
	v_mul_f64 v[41:42], v[4:5], v[41:42]
	v_add_f64 v[172:173], v[172:173], v[183:184]
	v_add_f64 v[6:7], v[6:7], v[29:30]
	s_clause 0x2
	buffer_load_dword v181, off, s[0:3], 0 offset:780
	buffer_load_dword v30, off, s[0:3], 0 offset:756
	;; [unrolled: 1-line block ×3, first 2 shown]
	s_waitcnt vmcnt(58) lgkmcnt(0)
	v_mul_f64 v[182:183], v[21:22], v[43:44]
	v_mul_f64 v[43:44], v[23:24], v[43:44]
	s_waitcnt vmcnt(56)
	v_fma_f64 v[41:42], v[2:3], v[49:50], -v[41:42]
	ds_read_b128 v[25:28], v1 offset:1312
	v_fma_f64 v[49:50], v[4:5], v[49:50], v[186:187]
	buffer_load_dword v186, off, s[0:3], 0 offset:772
	ds_read_b128 v[2:5], v1 offset:1328
	v_add_f64 v[37:38], v[172:173], v[37:38]
	v_add_f64 v[6:7], v[6:7], v[47:48]
	s_waitcnt vmcnt(53) lgkmcnt(1)
	v_mul_f64 v[47:48], v[25:26], v[51:52]
	v_mul_f64 v[51:52], v[27:28], v[51:52]
	s_waitcnt vmcnt(52)
	v_fma_f64 v[43:44], v[21:22], v[45:46], -v[43:44]
	v_add_f64 v[37:38], v[37:38], v[41:42]
	v_fma_f64 v[41:42], v[23:24], v[45:46], v[182:183]
	v_add_f64 v[6:7], v[6:7], v[49:50]
	s_waitcnt vmcnt(51) lgkmcnt(0)
	v_mul_f64 v[49:50], v[4:5], v[53:54]
	ds_read_b128 v[21:24], v1 offset:1344
	s_waitcnt vmcnt(49)
	v_fma_f64 v[51:52], v[25:26], v[57:58], -v[51:52]
	v_mul_f64 v[45:46], v[2:3], v[53:54]
	v_add_f64 v[37:38], v[37:38], v[43:44]
	v_fma_f64 v[43:44], v[27:28], v[57:58], v[47:48]
	v_add_f64 v[6:7], v[6:7], v[41:42]
	s_clause 0x3
	buffer_load_dword v41, off, s[0:3], 0 offset:464
	buffer_load_dword v42, off, s[0:3], 0 offset:468
	;; [unrolled: 1-line block ×4, first 2 shown]
	s_waitcnt vmcnt(49) lgkmcnt(0)
	v_mul_f64 v[57:58], v[23:24], v[59:60]
	s_waitcnt vmcnt(48)
	v_fma_f64 v[49:50], v[2:3], v[55:56], -v[49:50]
	ds_read_b128 v[25:28], v1 offset:1360
	v_mul_f64 v[53:54], v[21:22], v[59:60]
	v_fma_f64 v[45:46], v[4:5], v[55:56], v[45:46]
	ds_read_b128 v[2:5], v1 offset:1376
	v_add_f64 v[37:38], v[37:38], v[51:52]
	v_add_f64 v[6:7], v[6:7], v[43:44]
	s_waitcnt vmcnt(47) lgkmcnt(1)
	v_mul_f64 v[51:52], v[27:28], v[65:66]
	s_waitcnt vmcnt(45)
	v_fma_f64 v[55:56], v[21:22], v[69:70], -v[57:58]
	v_mul_f64 v[43:44], v[25:26], v[65:66]
	v_add_f64 v[37:38], v[37:38], v[49:50]
	v_fma_f64 v[49:50], v[23:24], v[69:70], v[53:54]
	v_add_f64 v[6:7], v[6:7], v[45:46]
	s_waitcnt vmcnt(41) lgkmcnt(0)
	v_mul_f64 v[53:54], v[4:5], v[71:72]
	s_waitcnt vmcnt(40)
	v_fma_f64 v[51:52], v[25:26], v[67:68], -v[51:52]
	ds_read_b128 v[21:24], v1 offset:1392
	v_mul_f64 v[45:46], v[2:3], v[71:72]
	v_fma_f64 v[43:44], v[27:28], v[67:68], v[43:44]
	ds_read_b128 v[25:28], v1 offset:1408
	v_add_f64 v[37:38], v[37:38], v[55:56]
	v_add_f64 v[6:7], v[6:7], v[49:50]
	s_waitcnt vmcnt(39) lgkmcnt(1)
	v_mul_f64 v[55:56], v[23:24], v[77:78]
	s_waitcnt vmcnt(37)
	v_fma_f64 v[53:54], v[2:3], v[81:82], -v[53:54]
	v_mul_f64 v[49:50], v[21:22], v[77:78]
	v_fma_f64 v[45:46], v[4:5], v[81:82], v[45:46]
	ds_read_b128 v[2:5], v1 offset:1424
	v_add_f64 v[37:38], v[37:38], v[51:52]
	s_waitcnt vmcnt(33) lgkmcnt(1)
	v_mul_f64 v[51:52], v[27:28], v[83:84]
	v_add_f64 v[6:7], v[6:7], v[43:44]
	s_waitcnt vmcnt(32)
	v_fma_f64 v[55:56], v[21:22], v[79:80], -v[55:56]
	v_mul_f64 v[43:44], v[25:26], v[83:84]
	v_fma_f64 v[49:50], v[23:24], v[79:80], v[49:50]
	ds_read_b128 v[21:24], v1 offset:1440
	v_add_f64 v[37:38], v[37:38], v[53:54]
	s_waitcnt vmcnt(31) lgkmcnt(1)
	v_mul_f64 v[53:54], v[4:5], v[85:86]
	v_add_f64 v[6:7], v[6:7], v[45:46]
	;; [unrolled: 9-line block ×5, first 2 shown]
	s_waitcnt vmcnt(16)
	v_fma_f64 v[51:52], v[25:26], v[168:169], -v[51:52]
	v_mul_f64 v[45:46], v[2:3], v[174:175]
	v_fma_f64 v[43:44], v[27:28], v[168:169], v[43:44]
	ds_read_b128 v[25:28], v1 offset:1504
	v_add_f64 v[37:38], v[37:38], v[55:56]
	v_add_f64 v[6:7], v[6:7], v[49:50]
	s_waitcnt vmcnt(15) lgkmcnt(1)
	v_mul_f64 v[55:56], v[23:24], v[176:177]
	v_mul_f64 v[49:50], v[21:22], v[176:177]
	s_waitcnt vmcnt(13)
	v_fma_f64 v[53:54], v[2:3], v[31:32], -v[53:54]
	v_fma_f64 v[31:32], v[4:5], v[31:32], v[45:46]
	ds_read_b128 v[2:5], v1 offset:1520
	v_add_f64 v[37:38], v[37:38], v[51:52]
	v_add_f64 v[6:7], v[6:7], v[43:44]
	s_waitcnt vmcnt(9) lgkmcnt(1)
	v_mul_f64 v[43:44], v[25:26], v[39:40]
	v_mul_f64 v[39:40], v[27:28], v[39:40]
	s_waitcnt vmcnt(8)
	v_fma_f64 v[21:22], v[21:22], v[178:179], -v[55:56]
	v_fma_f64 v[23:24], v[23:24], v[178:179], v[49:50]
	v_add_f64 v[37:38], v[37:38], v[53:54]
	v_add_f64 v[6:7], v[6:7], v[31:32]
	s_waitcnt vmcnt(7) lgkmcnt(0)
	v_mul_f64 v[45:46], v[4:5], v[180:181]
	v_mul_f64 v[31:32], v[2:3], v[180:181]
	s_waitcnt vmcnt(5)
	v_fma_f64 v[25:26], v[25:26], v[29:30], -v[39:40]
	v_fma_f64 v[27:28], v[27:28], v[29:30], v[43:44]
	v_add_f64 v[21:22], v[37:38], v[21:22]
	v_add_f64 v[6:7], v[6:7], v[23:24]
	s_waitcnt vmcnt(4)
	v_fma_f64 v[2:3], v[2:3], v[185:186], -v[45:46]
	v_fma_f64 v[4:5], v[4:5], v[185:186], v[31:32]
	v_add_f64 v[21:22], v[21:22], v[25:26]
	v_add_f64 v[6:7], v[6:7], v[27:28]
	;; [unrolled: 1-line block ×4, first 2 shown]
	s_waitcnt vmcnt(2)
	v_add_f64 v[2:3], v[41:42], -v[2:3]
	s_waitcnt vmcnt(0)
	v_add_f64 v[4:5], v[47:48], -v[4:5]
	buffer_store_dword v3, off, s[0:3], 0 offset:468
	buffer_store_dword v2, off, s[0:3], 0 offset:464
	;; [unrolled: 1-line block ×4, first 2 shown]
	v_cmpx_lt_u32_e32 27, v0
	s_cbranch_execz .LBB47_247
; %bb.246:
	v_mov_b32_e32 v5, s33
	s_clause 0x3
	buffer_load_dword v2, v5, s[0:3], 0 offen
	buffer_load_dword v3, v5, s[0:3], 0 offen offset:4
	buffer_load_dword v4, v5, s[0:3], 0 offen offset:8
	;; [unrolled: 1-line block ×3, first 2 shown]
	buffer_store_dword v1, off, s[0:3], 0 offset:448
	buffer_store_dword v1, off, s[0:3], 0 offset:452
	;; [unrolled: 1-line block ×4, first 2 shown]
	s_waitcnt vmcnt(0)
	ds_write_b128 v165, v[2:5]
.LBB47_247:
	s_or_b32 exec_lo, exec_lo, s4
	s_waitcnt lgkmcnt(0)
	s_waitcnt_vscnt null, 0x0
	s_barrier
	buffer_gl0_inv
	s_clause 0x37
	buffer_load_dword v6, off, s[0:3], 0 offset:472
	buffer_load_dword v7, off, s[0:3], 0 offset:476
	;; [unrolled: 1-line block ×56, first 2 shown]
	ds_read_b128 v[2:5], v1 offset:1216
	s_clause 0x2
	buffer_load_dword v167, off, s[0:3], 0 offset:700
	buffer_load_dword v171, off, s[0:3], 0 offset:676
	;; [unrolled: 1-line block ×3, first 2 shown]
	ds_read_b128 v[21:24], v1 offset:1232
	s_clause 0x4
	buffer_load_dword v175, off, s[0:3], 0 offset:716
	buffer_load_dword v176, off, s[0:3], 0 offset:728
	;; [unrolled: 1-line block ×5, first 2 shown]
	ds_read_b128 v[25:28], v1 offset:1248
	s_mov_b32 s4, exec_lo
	s_waitcnt vmcnt(62) lgkmcnt(2)
	v_mul_f64 v[172:173], v[4:5], v[6:7]
	v_mul_f64 v[6:7], v[2:3], v[6:7]
	s_waitcnt vmcnt(60) lgkmcnt(1)
	v_mul_f64 v[179:180], v[23:24], v[29:30]
	v_mul_f64 v[29:30], v[21:22], v[29:30]
	;; [unrolled: 3-line block ×3, first 2 shown]
	v_fma_f64 v[172:173], v[2:3], v[31:32], -v[172:173]
	v_fma_f64 v[6:7], v[4:5], v[31:32], v[6:7]
	s_clause 0x2
	buffer_load_dword v177, off, s[0:3], 0 offset:732
	buffer_load_dword v32, off, s[0:3], 0 offset:708
	buffer_load_dword v31, off, s[0:3], 0 offset:704
	s_waitcnt vmcnt(57)
	v_fma_f64 v[183:184], v[21:22], v[39:40], -v[179:180]
	ds_read_b128 v[2:5], v1 offset:1264
	v_fma_f64 v[29:30], v[23:24], v[39:40], v[29:30]
	s_clause 0x4
	buffer_load_dword v40, off, s[0:3], 0 offset:748
	buffer_load_dword v180, off, s[0:3], 0 offset:760
	;; [unrolled: 1-line block ×5, first 2 shown]
	s_waitcnt vmcnt(56)
	v_fma_f64 v[37:38], v[25:26], v[47:48], -v[37:38]
	ds_read_b128 v[21:24], v1 offset:1280
	v_fma_f64 v[47:48], v[27:28], v[47:48], v[181:182]
	v_add_f64 v[172:173], v[172:173], 0
	v_add_f64 v[6:7], v[6:7], 0
	s_waitcnt lgkmcnt(1)
	v_mul_f64 v[186:187], v[2:3], v[41:42]
	v_mul_f64 v[41:42], v[4:5], v[41:42]
	v_add_f64 v[172:173], v[172:173], v[183:184]
	v_add_f64 v[6:7], v[6:7], v[29:30]
	s_clause 0x2
	buffer_load_dword v181, off, s[0:3], 0 offset:764
	buffer_load_dword v30, off, s[0:3], 0 offset:740
	;; [unrolled: 1-line block ×3, first 2 shown]
	s_waitcnt vmcnt(58) lgkmcnt(0)
	v_mul_f64 v[182:183], v[21:22], v[43:44]
	v_mul_f64 v[43:44], v[23:24], v[43:44]
	s_waitcnt vmcnt(56)
	v_fma_f64 v[41:42], v[2:3], v[49:50], -v[41:42]
	ds_read_b128 v[25:28], v1 offset:1296
	v_fma_f64 v[49:50], v[4:5], v[49:50], v[186:187]
	v_add_f64 v[37:38], v[172:173], v[37:38]
	v_add_f64 v[6:7], v[6:7], v[47:48]
	s_clause 0x2
	buffer_load_dword v48, off, s[0:3], 0 offset:780
	buffer_load_dword v47, off, s[0:3], 0 offset:776
	;; [unrolled: 1-line block ×3, first 2 shown]
	ds_read_b128 v[2:5], v1 offset:1312
	s_waitcnt vmcnt(55) lgkmcnt(1)
	v_mul_f64 v[172:173], v[25:26], v[51:52]
	v_mul_f64 v[51:52], v[27:28], v[51:52]
	s_waitcnt vmcnt(54)
	v_fma_f64 v[43:44], v[21:22], v[45:46], -v[43:44]
	v_add_f64 v[37:38], v[37:38], v[41:42]
	v_fma_f64 v[41:42], v[23:24], v[45:46], v[182:183]
	v_add_f64 v[6:7], v[6:7], v[49:50]
	s_clause 0x1
	buffer_load_dword v46, off, s[0:3], 0 offset:772
	buffer_load_dword v45, off, s[0:3], 0 offset:768
	s_waitcnt vmcnt(55) lgkmcnt(0)
	v_mul_f64 v[49:50], v[2:3], v[53:54]
	v_mul_f64 v[53:54], v[4:5], v[53:54]
	s_waitcnt vmcnt(53)
	v_fma_f64 v[51:52], v[25:26], v[57:58], -v[51:52]
	ds_read_b128 v[21:24], v1 offset:1328
	v_add_f64 v[37:38], v[37:38], v[43:44]
	v_fma_f64 v[43:44], v[27:28], v[57:58], v[172:173]
	v_add_f64 v[6:7], v[6:7], v[41:42]
	ds_read_b128 v[25:28], v1 offset:1344
	s_waitcnt vmcnt(48)
	v_fma_f64 v[49:50], v[4:5], v[55:56], v[49:50]
	s_waitcnt lgkmcnt(1)
	v_mul_f64 v[57:58], v[23:24], v[59:60]
	v_fma_f64 v[53:54], v[2:3], v[55:56], -v[53:54]
	v_mul_f64 v[41:42], v[21:22], v[59:60]
	v_add_f64 v[37:38], v[37:38], v[51:52]
	s_waitcnt vmcnt(47) lgkmcnt(0)
	v_mul_f64 v[59:60], v[27:28], v[65:66]
	v_add_f64 v[6:7], v[6:7], v[43:44]
	s_clause 0x3
	buffer_load_dword v43, off, s[0:3], 0 offset:448
	buffer_load_dword v44, off, s[0:3], 0 offset:452
	;; [unrolled: 1-line block ×4, first 2 shown]
	ds_read_b128 v[2:5], v1 offset:1360
	s_waitcnt vmcnt(49)
	v_fma_f64 v[57:58], v[21:22], v[69:70], -v[57:58]
	v_mul_f64 v[55:56], v[25:26], v[65:66]
	v_fma_f64 v[41:42], v[23:24], v[69:70], v[41:42]
	ds_read_b128 v[21:24], v1 offset:1376
	v_add_f64 v[37:38], v[37:38], v[53:54]
	s_waitcnt vmcnt(44)
	v_fma_f64 v[59:60], v[25:26], v[67:68], -v[59:60]
	v_add_f64 v[6:7], v[6:7], v[49:50]
	s_waitcnt lgkmcnt(1)
	v_mul_f64 v[53:54], v[4:5], v[71:72]
	v_mul_f64 v[49:50], v[2:3], v[71:72]
	v_fma_f64 v[55:56], v[27:28], v[67:68], v[55:56]
	ds_read_b128 v[25:28], v1 offset:1392
	v_add_f64 v[37:38], v[37:38], v[57:58]
	s_waitcnt vmcnt(43) lgkmcnt(1)
	v_mul_f64 v[57:58], v[23:24], v[77:78]
	v_add_f64 v[6:7], v[6:7], v[41:42]
	s_waitcnt vmcnt(41)
	v_fma_f64 v[53:54], v[2:3], v[81:82], -v[53:54]
	v_mul_f64 v[41:42], v[21:22], v[77:78]
	v_fma_f64 v[49:50], v[4:5], v[81:82], v[49:50]
	ds_read_b128 v[2:5], v1 offset:1408
	v_add_f64 v[37:38], v[37:38], v[59:60]
	s_waitcnt vmcnt(37) lgkmcnt(1)
	v_mul_f64 v[59:60], v[27:28], v[83:84]
	v_add_f64 v[6:7], v[6:7], v[55:56]
	s_waitcnt vmcnt(36)
	v_fma_f64 v[57:58], v[21:22], v[79:80], -v[57:58]
	;; [unrolled: 9-line block ×6, first 2 shown]
	v_mul_f64 v[49:50], v[2:3], v[174:175]
	v_fma_f64 v[55:56], v[27:28], v[168:169], v[55:56]
	ds_read_b128 v[25:28], v1 offset:1488
	v_add_f64 v[37:38], v[37:38], v[57:58]
	v_add_f64 v[6:7], v[6:7], v[41:42]
	s_waitcnt vmcnt(19) lgkmcnt(1)
	v_mul_f64 v[57:58], v[23:24], v[176:177]
	v_mul_f64 v[41:42], v[21:22], v[176:177]
	s_waitcnt vmcnt(17)
	v_fma_f64 v[53:54], v[2:3], v[31:32], -v[53:54]
	v_fma_f64 v[31:32], v[4:5], v[31:32], v[49:50]
	ds_read_b128 v[2:5], v1 offset:1504
	s_waitcnt vmcnt(13) lgkmcnt(1)
	v_mul_f64 v[49:50], v[25:26], v[39:40]
	v_mul_f64 v[39:40], v[27:28], v[39:40]
	v_add_f64 v[37:38], v[37:38], v[59:60]
	v_add_f64 v[6:7], v[6:7], v[55:56]
	s_waitcnt vmcnt(12)
	v_fma_f64 v[55:56], v[21:22], v[178:179], -v[57:58]
	v_fma_f64 v[41:42], v[23:24], v[178:179], v[41:42]
	ds_read_b128 v[21:24], v1 offset:1520
	v_add_f64 v[37:38], v[37:38], v[53:54]
	v_add_f64 v[6:7], v[6:7], v[31:32]
	s_waitcnt vmcnt(11) lgkmcnt(1)
	v_mul_f64 v[53:54], v[4:5], v[180:181]
	v_mul_f64 v[31:32], v[2:3], v[180:181]
	s_waitcnt vmcnt(9)
	v_fma_f64 v[25:26], v[25:26], v[29:30], -v[39:40]
	v_fma_f64 v[27:28], v[27:28], v[29:30], v[49:50]
	v_add_f64 v[37:38], v[37:38], v[55:56]
	v_add_f64 v[6:7], v[6:7], v[41:42]
	s_waitcnt vmcnt(7) lgkmcnt(0)
	v_mul_f64 v[39:40], v[23:24], v[47:48]
	s_waitcnt vmcnt(6)
	v_fma_f64 v[1:2], v[2:3], v[185:186], -v[53:54]
	v_mul_f64 v[29:30], v[21:22], v[47:48]
	v_fma_f64 v[3:4], v[4:5], v[185:186], v[31:32]
	v_add_f64 v[25:26], v[37:38], v[25:26]
	v_add_f64 v[5:6], v[6:7], v[27:28]
	s_waitcnt vmcnt(4)
	v_fma_f64 v[7:8], v[21:22], v[45:46], -v[39:40]
	v_fma_f64 v[21:22], v[23:24], v[45:46], v[29:30]
	v_add_f64 v[1:2], v[25:26], v[1:2]
	v_add_f64 v[3:4], v[5:6], v[3:4]
	;; [unrolled: 1-line block ×4, first 2 shown]
	s_waitcnt vmcnt(2)
	v_add_f64 v[1:2], v[43:44], -v[1:2]
	s_waitcnt vmcnt(0)
	v_add_f64 v[3:4], v[51:52], -v[3:4]
	buffer_store_dword v2, off, s[0:3], 0 offset:452
	buffer_store_dword v1, off, s[0:3], 0 offset:448
	;; [unrolled: 1-line block ×4, first 2 shown]
	v_cmpx_lt_u32_e32 26, v0
	s_cbranch_execz .LBB47_249
; %bb.248:
	v_mov_b32_e32 v4, s34
	v_mov_b32_e32 v5, 0
	s_clause 0x3
	buffer_load_dword v1, v4, s[0:3], 0 offen
	buffer_load_dword v2, v4, s[0:3], 0 offen offset:4
	buffer_load_dword v3, v4, s[0:3], 0 offen offset:8
	;; [unrolled: 1-line block ×3, first 2 shown]
	buffer_store_dword v5, off, s[0:3], 0 offset:432
	buffer_store_dword v5, off, s[0:3], 0 offset:436
	;; [unrolled: 1-line block ×4, first 2 shown]
	s_waitcnt vmcnt(0)
	ds_write_b128 v165, v[1:4]
.LBB47_249:
	s_or_b32 exec_lo, exec_lo, s4
	s_waitcnt lgkmcnt(0)
	s_waitcnt_vscnt null, 0x0
	s_barrier
	buffer_gl0_inv
	s_clause 0x37
	buffer_load_dword v6, off, s[0:3], 0 offset:456
	buffer_load_dword v7, off, s[0:3], 0 offset:460
	;; [unrolled: 1-line block ×56, first 2 shown]
	v_mov_b32_e32 v1, 0
	s_mov_b32 s4, exec_lo
	ds_read_b128 v[2:5], v1 offset:1200
	s_clause 0x2
	buffer_load_dword v167, off, s[0:3], 0 offset:684
	buffer_load_dword v171, off, s[0:3], 0 offset:660
	;; [unrolled: 1-line block ×3, first 2 shown]
	ds_read_b128 v[21:24], v1 offset:1216
	s_clause 0x4
	buffer_load_dword v175, off, s[0:3], 0 offset:700
	buffer_load_dword v176, off, s[0:3], 0 offset:712
	;; [unrolled: 1-line block ×5, first 2 shown]
	ds_read_b128 v[25:28], v1 offset:1232
	s_waitcnt vmcnt(62) lgkmcnt(2)
	v_mul_f64 v[172:173], v[4:5], v[6:7]
	v_mul_f64 v[6:7], v[2:3], v[6:7]
	s_waitcnt vmcnt(60) lgkmcnt(1)
	v_mul_f64 v[179:180], v[23:24], v[29:30]
	v_mul_f64 v[29:30], v[21:22], v[29:30]
	;; [unrolled: 3-line block ×3, first 2 shown]
	v_fma_f64 v[172:173], v[2:3], v[31:32], -v[172:173]
	v_fma_f64 v[6:7], v[4:5], v[31:32], v[6:7]
	s_clause 0x2
	buffer_load_dword v177, off, s[0:3], 0 offset:716
	buffer_load_dword v32, off, s[0:3], 0 offset:692
	;; [unrolled: 1-line block ×3, first 2 shown]
	s_waitcnt vmcnt(57)
	v_fma_f64 v[183:184], v[21:22], v[39:40], -v[179:180]
	ds_read_b128 v[2:5], v1 offset:1248
	v_fma_f64 v[29:30], v[23:24], v[39:40], v[29:30]
	s_clause 0x4
	buffer_load_dword v40, off, s[0:3], 0 offset:732
	buffer_load_dword v180, off, s[0:3], 0 offset:744
	;; [unrolled: 1-line block ×5, first 2 shown]
	s_waitcnt vmcnt(56)
	v_fma_f64 v[37:38], v[25:26], v[47:48], -v[37:38]
	ds_read_b128 v[21:24], v1 offset:1264
	v_fma_f64 v[47:48], v[27:28], v[47:48], v[181:182]
	v_add_f64 v[172:173], v[172:173], 0
	v_add_f64 v[6:7], v[6:7], 0
	s_waitcnt lgkmcnt(1)
	v_mul_f64 v[186:187], v[2:3], v[41:42]
	v_mul_f64 v[41:42], v[4:5], v[41:42]
	v_add_f64 v[172:173], v[172:173], v[183:184]
	v_add_f64 v[6:7], v[6:7], v[29:30]
	s_clause 0x2
	buffer_load_dword v181, off, s[0:3], 0 offset:748
	buffer_load_dword v30, off, s[0:3], 0 offset:724
	;; [unrolled: 1-line block ×3, first 2 shown]
	s_waitcnt vmcnt(58) lgkmcnt(0)
	v_mul_f64 v[182:183], v[21:22], v[43:44]
	v_mul_f64 v[43:44], v[23:24], v[43:44]
	s_waitcnt vmcnt(56)
	v_fma_f64 v[41:42], v[2:3], v[49:50], -v[41:42]
	ds_read_b128 v[25:28], v1 offset:1280
	v_fma_f64 v[49:50], v[4:5], v[49:50], v[186:187]
	v_add_f64 v[37:38], v[172:173], v[37:38]
	v_add_f64 v[6:7], v[6:7], v[47:48]
	s_clause 0x4
	buffer_load_dword v48, off, s[0:3], 0 offset:764
	buffer_load_dword v172, off, s[0:3], 0 offset:776
	;; [unrolled: 1-line block ×5, first 2 shown]
	ds_read_b128 v[2:5], v1 offset:1296
	s_waitcnt vmcnt(57) lgkmcnt(1)
	v_mul_f64 v[188:189], v[25:26], v[51:52]
	v_mul_f64 v[51:52], v[27:28], v[51:52]
	s_waitcnt vmcnt(56)
	v_fma_f64 v[43:44], v[21:22], v[45:46], -v[43:44]
	v_add_f64 v[37:38], v[37:38], v[41:42]
	v_fma_f64 v[41:42], v[23:24], v[45:46], v[182:183]
	v_add_f64 v[6:7], v[6:7], v[49:50]
	s_clause 0x2
	buffer_load_dword v173, off, s[0:3], 0 offset:780
	buffer_load_dword v46, off, s[0:3], 0 offset:756
	;; [unrolled: 1-line block ×3, first 2 shown]
	s_waitcnt vmcnt(58) lgkmcnt(0)
	v_mul_f64 v[49:50], v[2:3], v[53:54]
	v_mul_f64 v[53:54], v[4:5], v[53:54]
	s_waitcnt vmcnt(56)
	v_fma_f64 v[51:52], v[25:26], v[57:58], -v[51:52]
	ds_read_b128 v[21:24], v1 offset:1312
	v_add_f64 v[37:38], v[37:38], v[43:44]
	v_fma_f64 v[43:44], v[27:28], v[57:58], v[188:189]
	v_add_f64 v[6:7], v[6:7], v[41:42]
	buffer_load_dword v188, off, s[0:3], 0 offset:772
	ds_read_b128 v[25:28], v1 offset:1328
	s_waitcnt vmcnt(53) lgkmcnt(1)
	v_mul_f64 v[57:58], v[23:24], v[59:60]
	s_waitcnt vmcnt(52)
	v_fma_f64 v[53:54], v[2:3], v[55:56], -v[53:54]
	v_mul_f64 v[41:42], v[21:22], v[59:60]
	v_fma_f64 v[49:50], v[4:5], v[55:56], v[49:50]
	ds_read_b128 v[2:5], v1 offset:1344
	v_add_f64 v[37:38], v[37:38], v[51:52]
	v_add_f64 v[6:7], v[6:7], v[43:44]
	s_waitcnt vmcnt(51) lgkmcnt(1)
	v_mul_f64 v[51:52], v[27:28], v[65:66]
	v_mul_f64 v[43:44], v[25:26], v[65:66]
	s_waitcnt vmcnt(49)
	v_fma_f64 v[55:56], v[21:22], v[69:70], -v[57:58]
	v_fma_f64 v[41:42], v[23:24], v[69:70], v[41:42]
	s_waitcnt vmcnt(45) lgkmcnt(0)
	v_mul_f64 v[59:60], v[4:5], v[71:72]
	v_mul_f64 v[57:58], v[2:3], v[71:72]
	v_add_f64 v[37:38], v[37:38], v[53:54]
	v_add_f64 v[6:7], v[6:7], v[49:50]
	s_clause 0x3
	buffer_load_dword v49, off, s[0:3], 0 offset:432
	buffer_load_dword v50, off, s[0:3], 0 offset:436
	;; [unrolled: 1-line block ×4, first 2 shown]
	s_waitcnt vmcnt(48)
	v_fma_f64 v[51:52], v[25:26], v[67:68], -v[51:52]
	ds_read_b128 v[21:24], v1 offset:1360
	v_fma_f64 v[43:44], v[27:28], v[67:68], v[43:44]
	ds_read_b128 v[25:28], v1 offset:1376
	s_waitcnt vmcnt(45)
	v_fma_f64 v[59:60], v[2:3], v[81:82], -v[59:60]
	v_add_f64 v[37:38], v[37:38], v[55:56]
	v_add_f64 v[6:7], v[6:7], v[41:42]
	s_waitcnt lgkmcnt(1)
	v_mul_f64 v[55:56], v[23:24], v[77:78]
	v_mul_f64 v[41:42], v[21:22], v[77:78]
	v_add_f64 v[37:38], v[37:38], v[51:52]
	v_fma_f64 v[51:52], v[4:5], v[81:82], v[57:58]
	v_add_f64 v[6:7], v[6:7], v[43:44]
	s_waitcnt vmcnt(41) lgkmcnt(0)
	v_mul_f64 v[57:58], v[27:28], v[83:84]
	s_waitcnt vmcnt(40)
	v_fma_f64 v[55:56], v[21:22], v[79:80], -v[55:56]
	ds_read_b128 v[2:5], v1 offset:1392
	v_mul_f64 v[43:44], v[25:26], v[83:84]
	v_fma_f64 v[41:42], v[23:24], v[79:80], v[41:42]
	ds_read_b128 v[21:24], v1 offset:1408
	v_add_f64 v[37:38], v[37:38], v[59:60]
	v_add_f64 v[6:7], v[6:7], v[51:52]
	s_waitcnt vmcnt(39) lgkmcnt(1)
	v_mul_f64 v[59:60], v[4:5], v[85:86]
	s_waitcnt vmcnt(37)
	v_fma_f64 v[57:58], v[25:26], v[161:162], -v[57:58]
	v_mul_f64 v[51:52], v[2:3], v[85:86]
	v_fma_f64 v[43:44], v[27:28], v[161:162], v[43:44]
	ds_read_b128 v[25:28], v1 offset:1424
	v_add_f64 v[37:38], v[37:38], v[55:56]
	s_waitcnt vmcnt(33) lgkmcnt(1)
	v_mul_f64 v[55:56], v[23:24], v[163:164]
	v_add_f64 v[6:7], v[6:7], v[41:42]
	s_waitcnt vmcnt(32)
	v_fma_f64 v[59:60], v[2:3], v[87:88], -v[59:60]
	v_mul_f64 v[41:42], v[21:22], v[163:164]
	v_fma_f64 v[51:52], v[4:5], v[87:88], v[51:52]
	ds_read_b128 v[2:5], v1 offset:1440
	v_add_f64 v[37:38], v[37:38], v[57:58]
	s_waitcnt vmcnt(31) lgkmcnt(1)
	v_mul_f64 v[57:58], v[27:28], v[166:167]
	v_add_f64 v[6:7], v[6:7], v[43:44]
	;; [unrolled: 9-line block ×3, first 2 shown]
	s_waitcnt vmcnt(24)
	v_fma_f64 v[57:58], v[25:26], v[168:169], -v[57:58]
	v_mul_f64 v[51:52], v[2:3], v[174:175]
	v_fma_f64 v[43:44], v[27:28], v[168:169], v[43:44]
	ds_read_b128 v[25:28], v1 offset:1472
	v_add_f64 v[37:38], v[37:38], v[55:56]
	v_add_f64 v[6:7], v[6:7], v[41:42]
	s_waitcnt vmcnt(23) lgkmcnt(1)
	v_mul_f64 v[55:56], v[23:24], v[176:177]
	v_mul_f64 v[41:42], v[21:22], v[176:177]
	s_waitcnt vmcnt(21)
	v_fma_f64 v[59:60], v[2:3], v[31:32], -v[59:60]
	v_fma_f64 v[31:32], v[4:5], v[31:32], v[51:52]
	ds_read_b128 v[2:5], v1 offset:1488
	v_add_f64 v[37:38], v[37:38], v[57:58]
	v_add_f64 v[6:7], v[6:7], v[43:44]
	s_waitcnt vmcnt(17) lgkmcnt(1)
	v_mul_f64 v[43:44], v[25:26], v[39:40]
	v_mul_f64 v[39:40], v[27:28], v[39:40]
	s_waitcnt vmcnt(16)
	v_fma_f64 v[51:52], v[21:22], v[178:179], -v[55:56]
	;; [unrolled: 9-line block ×3, first 2 shown]
	v_fma_f64 v[29:30], v[27:28], v[29:30], v[43:44]
	ds_read_b128 v[25:28], v1 offset:1520
	v_add_f64 v[37:38], v[37:38], v[51:52]
	v_add_f64 v[6:7], v[6:7], v[41:42]
	s_waitcnt vmcnt(9) lgkmcnt(1)
	v_mul_f64 v[43:44], v[23:24], v[47:48]
	s_waitcnt vmcnt(8)
	v_fma_f64 v[2:3], v[2:3], v[185:186], -v[55:56]
	v_mul_f64 v[41:42], v[21:22], v[47:48]
	v_fma_f64 v[4:5], v[4:5], v[185:186], v[31:32]
	v_add_f64 v[37:38], v[37:38], v[39:40]
	v_add_f64 v[6:7], v[6:7], v[29:30]
	s_waitcnt vmcnt(7) lgkmcnt(0)
	v_mul_f64 v[31:32], v[27:28], v[172:173]
	v_mul_f64 v[29:30], v[25:26], v[172:173]
	s_waitcnt vmcnt(5)
	v_fma_f64 v[21:22], v[21:22], v[45:46], -v[43:44]
	v_fma_f64 v[23:24], v[23:24], v[45:46], v[41:42]
	v_add_f64 v[2:3], v[37:38], v[2:3]
	v_add_f64 v[4:5], v[6:7], v[4:5]
	s_waitcnt vmcnt(4)
	v_fma_f64 v[6:7], v[25:26], v[187:188], -v[31:32]
	v_add_f64 v[2:3], v[2:3], v[21:22]
	v_fma_f64 v[21:22], v[27:28], v[187:188], v[29:30]
	v_add_f64 v[4:5], v[4:5], v[23:24]
	v_add_f64 v[2:3], v[2:3], v[6:7]
	;; [unrolled: 1-line block ×3, first 2 shown]
	s_waitcnt vmcnt(2)
	v_add_f64 v[2:3], v[49:50], -v[2:3]
	s_waitcnt vmcnt(0)
	v_add_f64 v[4:5], v[53:54], -v[4:5]
	buffer_store_dword v3, off, s[0:3], 0 offset:436
	buffer_store_dword v2, off, s[0:3], 0 offset:432
	;; [unrolled: 1-line block ×4, first 2 shown]
	v_cmpx_lt_u32_e32 25, v0
	s_cbranch_execz .LBB47_251
; %bb.250:
	v_mov_b32_e32 v5, s35
	s_clause 0x3
	buffer_load_dword v2, v5, s[0:3], 0 offen
	buffer_load_dword v3, v5, s[0:3], 0 offen offset:4
	buffer_load_dword v4, v5, s[0:3], 0 offen offset:8
	;; [unrolled: 1-line block ×3, first 2 shown]
	buffer_store_dword v1, off, s[0:3], 0 offset:416
	buffer_store_dword v1, off, s[0:3], 0 offset:420
	;; [unrolled: 1-line block ×4, first 2 shown]
	s_waitcnt vmcnt(0)
	ds_write_b128 v165, v[2:5]
.LBB47_251:
	s_or_b32 exec_lo, exec_lo, s4
	s_waitcnt lgkmcnt(0)
	s_waitcnt_vscnt null, 0x0
	s_barrier
	buffer_gl0_inv
	s_clause 0x37
	buffer_load_dword v6, off, s[0:3], 0 offset:440
	buffer_load_dword v7, off, s[0:3], 0 offset:444
	;; [unrolled: 1-line block ×56, first 2 shown]
	ds_read_b128 v[2:5], v1 offset:1184
	s_clause 0x2
	buffer_load_dword v167, off, s[0:3], 0 offset:668
	buffer_load_dword v171, off, s[0:3], 0 offset:644
	;; [unrolled: 1-line block ×3, first 2 shown]
	ds_read_b128 v[21:24], v1 offset:1200
	s_clause 0x4
	buffer_load_dword v175, off, s[0:3], 0 offset:684
	buffer_load_dword v176, off, s[0:3], 0 offset:696
	;; [unrolled: 1-line block ×5, first 2 shown]
	ds_read_b128 v[25:28], v1 offset:1216
	s_mov_b32 s4, exec_lo
	s_waitcnt vmcnt(62) lgkmcnt(2)
	v_mul_f64 v[172:173], v[4:5], v[6:7]
	v_mul_f64 v[6:7], v[2:3], v[6:7]
	s_waitcnt vmcnt(60) lgkmcnt(1)
	v_mul_f64 v[179:180], v[23:24], v[29:30]
	v_mul_f64 v[29:30], v[21:22], v[29:30]
	;; [unrolled: 3-line block ×3, first 2 shown]
	v_fma_f64 v[172:173], v[2:3], v[31:32], -v[172:173]
	v_fma_f64 v[6:7], v[4:5], v[31:32], v[6:7]
	s_clause 0x2
	buffer_load_dword v177, off, s[0:3], 0 offset:700
	buffer_load_dword v32, off, s[0:3], 0 offset:676
	buffer_load_dword v31, off, s[0:3], 0 offset:672
	s_waitcnt vmcnt(57)
	v_fma_f64 v[183:184], v[21:22], v[39:40], -v[179:180]
	ds_read_b128 v[2:5], v1 offset:1232
	v_fma_f64 v[29:30], v[23:24], v[39:40], v[29:30]
	s_clause 0x4
	buffer_load_dword v40, off, s[0:3], 0 offset:716
	buffer_load_dword v180, off, s[0:3], 0 offset:728
	;; [unrolled: 1-line block ×5, first 2 shown]
	s_waitcnt vmcnt(56)
	v_fma_f64 v[37:38], v[25:26], v[47:48], -v[37:38]
	ds_read_b128 v[21:24], v1 offset:1248
	v_fma_f64 v[47:48], v[27:28], v[47:48], v[181:182]
	v_add_f64 v[172:173], v[172:173], 0
	v_add_f64 v[6:7], v[6:7], 0
	s_waitcnt lgkmcnt(1)
	v_mul_f64 v[186:187], v[2:3], v[41:42]
	v_mul_f64 v[41:42], v[4:5], v[41:42]
	v_add_f64 v[172:173], v[172:173], v[183:184]
	v_add_f64 v[6:7], v[6:7], v[29:30]
	s_clause 0x2
	buffer_load_dword v181, off, s[0:3], 0 offset:732
	buffer_load_dword v30, off, s[0:3], 0 offset:708
	;; [unrolled: 1-line block ×3, first 2 shown]
	s_waitcnt vmcnt(58) lgkmcnt(0)
	v_mul_f64 v[182:183], v[21:22], v[43:44]
	v_mul_f64 v[43:44], v[23:24], v[43:44]
	s_waitcnt vmcnt(56)
	v_fma_f64 v[41:42], v[2:3], v[49:50], -v[41:42]
	ds_read_b128 v[25:28], v1 offset:1264
	v_fma_f64 v[49:50], v[4:5], v[49:50], v[186:187]
	v_add_f64 v[37:38], v[172:173], v[37:38]
	v_add_f64 v[6:7], v[6:7], v[47:48]
	s_clause 0x4
	buffer_load_dword v48, off, s[0:3], 0 offset:748
	buffer_load_dword v172, off, s[0:3], 0 offset:760
	;; [unrolled: 1-line block ×5, first 2 shown]
	ds_read_b128 v[2:5], v1 offset:1280
	s_waitcnt vmcnt(57) lgkmcnt(1)
	v_mul_f64 v[188:189], v[25:26], v[51:52]
	v_mul_f64 v[51:52], v[27:28], v[51:52]
	s_waitcnt vmcnt(56)
	v_fma_f64 v[43:44], v[21:22], v[45:46], -v[43:44]
	v_add_f64 v[37:38], v[37:38], v[41:42]
	v_fma_f64 v[41:42], v[23:24], v[45:46], v[182:183]
	v_add_f64 v[6:7], v[6:7], v[49:50]
	s_clause 0x2
	buffer_load_dword v173, off, s[0:3], 0 offset:764
	buffer_load_dword v46, off, s[0:3], 0 offset:740
	buffer_load_dword v45, off, s[0:3], 0 offset:736
	s_waitcnt vmcnt(58) lgkmcnt(0)
	v_mul_f64 v[49:50], v[2:3], v[53:54]
	v_mul_f64 v[53:54], v[4:5], v[53:54]
	s_waitcnt vmcnt(56)
	v_fma_f64 v[51:52], v[25:26], v[57:58], -v[51:52]
	ds_read_b128 v[21:24], v1 offset:1296
	v_add_f64 v[37:38], v[37:38], v[43:44]
	v_fma_f64 v[43:44], v[27:28], v[57:58], v[188:189]
	v_add_f64 v[6:7], v[6:7], v[41:42]
	s_clause 0x2
	buffer_load_dword v42, off, s[0:3], 0 offset:780
	buffer_load_dword v41, off, s[0:3], 0 offset:776
	;; [unrolled: 1-line block ×3, first 2 shown]
	ds_read_b128 v[25:28], v1 offset:1312
	s_waitcnt vmcnt(55) lgkmcnt(1)
	v_mul_f64 v[57:58], v[21:22], v[59:60]
	v_mul_f64 v[59:60], v[23:24], v[59:60]
	s_waitcnt vmcnt(54)
	v_fma_f64 v[53:54], v[2:3], v[55:56], -v[53:54]
	v_fma_f64 v[49:50], v[4:5], v[55:56], v[49:50]
	v_add_f64 v[37:38], v[37:38], v[51:52]
	v_add_f64 v[6:7], v[6:7], v[43:44]
	s_clause 0x1
	buffer_load_dword v44, off, s[0:3], 0 offset:772
	buffer_load_dword v43, off, s[0:3], 0 offset:768
	s_waitcnt vmcnt(55) lgkmcnt(0)
	v_mul_f64 v[55:56], v[27:28], v[65:66]
	ds_read_b128 v[2:5], v1 offset:1328
	s_waitcnt vmcnt(53)
	v_fma_f64 v[59:60], v[21:22], v[69:70], -v[59:60]
	v_mul_f64 v[51:52], v[25:26], v[65:66]
	v_add_f64 v[37:38], v[37:38], v[53:54]
	v_fma_f64 v[53:54], v[23:24], v[69:70], v[57:58]
	v_add_f64 v[6:7], v[6:7], v[49:50]
	ds_read_b128 v[21:24], v1 offset:1344
	s_waitcnt vmcnt(49) lgkmcnt(1)
	v_mul_f64 v[57:58], v[4:5], v[71:72]
	s_waitcnt vmcnt(48)
	v_fma_f64 v[55:56], v[25:26], v[67:68], -v[55:56]
	v_mul_f64 v[49:50], v[2:3], v[71:72]
	v_fma_f64 v[51:52], v[27:28], v[67:68], v[51:52]
	v_add_f64 v[37:38], v[37:38], v[59:60]
	s_waitcnt vmcnt(47) lgkmcnt(0)
	v_mul_f64 v[67:68], v[23:24], v[77:78]
	v_add_f64 v[6:7], v[6:7], v[53:54]
	s_clause 0x3
	buffer_load_dword v53, off, s[0:3], 0 offset:416
	buffer_load_dword v54, off, s[0:3], 0 offset:420
	;; [unrolled: 1-line block ×4, first 2 shown]
	s_waitcnt vmcnt(49)
	v_fma_f64 v[57:58], v[2:3], v[81:82], -v[57:58]
	ds_read_b128 v[25:28], v1 offset:1360
	v_mul_f64 v[65:66], v[21:22], v[77:78]
	v_fma_f64 v[49:50], v[4:5], v[81:82], v[49:50]
	ds_read_b128 v[2:5], v1 offset:1376
	v_add_f64 v[37:38], v[37:38], v[55:56]
	s_waitcnt vmcnt(44)
	v_fma_f64 v[67:68], v[21:22], v[79:80], -v[67:68]
	v_add_f64 v[6:7], v[6:7], v[51:52]
	s_waitcnt lgkmcnt(1)
	v_mul_f64 v[55:56], v[27:28], v[83:84]
	v_mul_f64 v[51:52], v[25:26], v[83:84]
	v_add_f64 v[37:38], v[37:38], v[57:58]
	v_fma_f64 v[57:58], v[23:24], v[79:80], v[65:66]
	v_add_f64 v[6:7], v[6:7], v[49:50]
	s_waitcnt vmcnt(43) lgkmcnt(0)
	v_mul_f64 v[65:66], v[4:5], v[85:86]
	s_waitcnt vmcnt(41)
	v_fma_f64 v[55:56], v[25:26], v[161:162], -v[55:56]
	ds_read_b128 v[21:24], v1 offset:1392
	v_mul_f64 v[49:50], v[2:3], v[85:86]
	v_fma_f64 v[51:52], v[27:28], v[161:162], v[51:52]
	ds_read_b128 v[25:28], v1 offset:1408
	v_add_f64 v[37:38], v[37:38], v[67:68]
	v_add_f64 v[6:7], v[6:7], v[57:58]
	s_waitcnt vmcnt(37) lgkmcnt(1)
	v_mul_f64 v[67:68], v[23:24], v[163:164]
	s_waitcnt vmcnt(36)
	v_fma_f64 v[65:66], v[2:3], v[87:88], -v[65:66]
	v_mul_f64 v[57:58], v[21:22], v[163:164]
	v_fma_f64 v[49:50], v[4:5], v[87:88], v[49:50]
	ds_read_b128 v[2:5], v1 offset:1424
	v_add_f64 v[37:38], v[37:38], v[55:56]
	s_waitcnt vmcnt(35) lgkmcnt(1)
	v_mul_f64 v[55:56], v[27:28], v[166:167]
	v_add_f64 v[6:7], v[6:7], v[51:52]
	s_waitcnt vmcnt(33)
	v_fma_f64 v[67:68], v[21:22], v[170:171], -v[67:68]
	v_mul_f64 v[51:52], v[25:26], v[166:167]
	v_fma_f64 v[57:58], v[23:24], v[170:171], v[57:58]
	ds_read_b128 v[21:24], v1 offset:1440
	v_add_f64 v[37:38], v[37:38], v[65:66]
	s_waitcnt vmcnt(29) lgkmcnt(1)
	v_mul_f64 v[65:66], v[4:5], v[174:175]
	v_add_f64 v[6:7], v[6:7], v[49:50]
	s_waitcnt vmcnt(28)
	v_fma_f64 v[55:56], v[25:26], v[168:169], -v[55:56]
	v_mul_f64 v[49:50], v[2:3], v[174:175]
	v_fma_f64 v[51:52], v[27:28], v[168:169], v[51:52]
	ds_read_b128 v[25:28], v1 offset:1456
	v_add_f64 v[37:38], v[37:38], v[67:68]
	v_add_f64 v[6:7], v[6:7], v[57:58]
	s_waitcnt vmcnt(27) lgkmcnt(1)
	v_mul_f64 v[67:68], v[23:24], v[176:177]
	v_mul_f64 v[57:58], v[21:22], v[176:177]
	s_waitcnt vmcnt(25)
	v_fma_f64 v[65:66], v[2:3], v[31:32], -v[65:66]
	v_fma_f64 v[31:32], v[4:5], v[31:32], v[49:50]
	ds_read_b128 v[2:5], v1 offset:1472
	s_waitcnt vmcnt(21) lgkmcnt(1)
	v_mul_f64 v[49:50], v[25:26], v[39:40]
	v_mul_f64 v[39:40], v[27:28], v[39:40]
	v_add_f64 v[37:38], v[37:38], v[55:56]
	v_add_f64 v[6:7], v[6:7], v[51:52]
	s_waitcnt vmcnt(20)
	v_fma_f64 v[51:52], v[21:22], v[178:179], -v[67:68]
	v_fma_f64 v[55:56], v[23:24], v[178:179], v[57:58]
	ds_read_b128 v[21:24], v1 offset:1488
	v_add_f64 v[37:38], v[37:38], v[65:66]
	v_add_f64 v[6:7], v[6:7], v[31:32]
	s_waitcnt vmcnt(19) lgkmcnt(1)
	v_mul_f64 v[57:58], v[4:5], v[180:181]
	v_mul_f64 v[31:32], v[2:3], v[180:181]
	s_waitcnt vmcnt(17)
	v_fma_f64 v[39:40], v[25:26], v[29:30], -v[39:40]
	v_fma_f64 v[29:30], v[27:28], v[29:30], v[49:50]
	ds_read_b128 v[25:28], v1 offset:1504
	v_add_f64 v[37:38], v[37:38], v[51:52]
	v_add_f64 v[6:7], v[6:7], v[55:56]
	s_waitcnt vmcnt(13) lgkmcnt(1)
	v_mul_f64 v[49:50], v[21:22], v[47:48]
	v_mul_f64 v[47:48], v[23:24], v[47:48]
	;; [unrolled: 9-line block ×3, first 2 shown]
	s_waitcnt vmcnt(9)
	v_fma_f64 v[21:22], v[21:22], v[45:46], -v[47:48]
	v_fma_f64 v[23:24], v[23:24], v[45:46], v[49:50]
	v_add_f64 v[37:38], v[37:38], v[51:52]
	v_add_f64 v[5:6], v[5:6], v[31:32]
	s_waitcnt vmcnt(7) lgkmcnt(0)
	v_mul_f64 v[39:40], v[3:4], v[41:42]
	s_waitcnt vmcnt(6)
	v_fma_f64 v[25:26], v[25:26], v[187:188], -v[29:30]
	v_mul_f64 v[31:32], v[1:2], v[41:42]
	v_fma_f64 v[7:8], v[27:28], v[187:188], v[7:8]
	v_add_f64 v[21:22], v[37:38], v[21:22]
	v_add_f64 v[5:6], v[5:6], v[23:24]
	s_waitcnt vmcnt(4)
	v_fma_f64 v[1:2], v[1:2], v[43:44], -v[39:40]
	v_fma_f64 v[3:4], v[3:4], v[43:44], v[31:32]
	v_add_f64 v[21:22], v[21:22], v[25:26]
	v_add_f64 v[5:6], v[5:6], v[7:8]
	;; [unrolled: 1-line block ×4, first 2 shown]
	s_waitcnt vmcnt(2)
	v_add_f64 v[1:2], v[53:54], -v[1:2]
	s_waitcnt vmcnt(0)
	v_add_f64 v[3:4], v[59:60], -v[3:4]
	buffer_store_dword v2, off, s[0:3], 0 offset:420
	buffer_store_dword v1, off, s[0:3], 0 offset:416
	;; [unrolled: 1-line block ×4, first 2 shown]
	v_cmpx_lt_u32_e32 24, v0
	s_cbranch_execz .LBB47_253
; %bb.252:
	v_mov_b32_e32 v4, s36
	v_mov_b32_e32 v5, 0
	s_clause 0x3
	buffer_load_dword v1, v4, s[0:3], 0 offen
	buffer_load_dword v2, v4, s[0:3], 0 offen offset:4
	buffer_load_dword v3, v4, s[0:3], 0 offen offset:8
	;; [unrolled: 1-line block ×3, first 2 shown]
	buffer_store_dword v5, off, s[0:3], 0 offset:400
	buffer_store_dword v5, off, s[0:3], 0 offset:404
	;; [unrolled: 1-line block ×4, first 2 shown]
	s_waitcnt vmcnt(0)
	ds_write_b128 v165, v[1:4]
.LBB47_253:
	s_or_b32 exec_lo, exec_lo, s4
	s_waitcnt lgkmcnt(0)
	s_waitcnt_vscnt null, 0x0
	s_barrier
	buffer_gl0_inv
	s_clause 0x37
	buffer_load_dword v6, off, s[0:3], 0 offset:424
	buffer_load_dword v7, off, s[0:3], 0 offset:428
	buffer_load_dword v29, off, s[0:3], 0 offset:440
	buffer_load_dword v30, off, s[0:3], 0 offset:444
	buffer_load_dword v31, off, s[0:3], 0 offset:416
	buffer_load_dword v32, off, s[0:3], 0 offset:420
	buffer_load_dword v37, off, s[0:3], 0 offset:456
	buffer_load_dword v38, off, s[0:3], 0 offset:460
	buffer_load_dword v39, off, s[0:3], 0 offset:432
	buffer_load_dword v40, off, s[0:3], 0 offset:436
	buffer_load_dword v42, off, s[0:3], 0 offset:476
	buffer_load_dword v43, off, s[0:3], 0 offset:488
	buffer_load_dword v45, off, s[0:3], 0 offset:480
	buffer_load_dword v41, off, s[0:3], 0 offset:472
	buffer_load_dword v47, off, s[0:3], 0 offset:448
	buffer_load_dword v48, off, s[0:3], 0 offset:452
	buffer_load_dword v44, off, s[0:3], 0 offset:492
	buffer_load_dword v50, off, s[0:3], 0 offset:468
	buffer_load_dword v49, off, s[0:3], 0 offset:464
	buffer_load_dword v52, off, s[0:3], 0 offset:508
	buffer_load_dword v53, off, s[0:3], 0 offset:520
	buffer_load_dword v55, off, s[0:3], 0 offset:512
	buffer_load_dword v51, off, s[0:3], 0 offset:504
	buffer_load_dword v46, off, s[0:3], 0 offset:484
	buffer_load_dword v54, off, s[0:3], 0 offset:524
	buffer_load_dword v58, off, s[0:3], 0 offset:500
	buffer_load_dword v57, off, s[0:3], 0 offset:496
	buffer_load_dword v60, off, s[0:3], 0 offset:540
	buffer_load_dword v65, off, s[0:3], 0 offset:552
	buffer_load_dword v67, off, s[0:3], 0 offset:544
	buffer_load_dword v59, off, s[0:3], 0 offset:536
	buffer_load_dword v56, off, s[0:3], 0 offset:516
	buffer_load_dword v66, off, s[0:3], 0 offset:556
	buffer_load_dword v70, off, s[0:3], 0 offset:532
	buffer_load_dword v69, off, s[0:3], 0 offset:528
	buffer_load_dword v72, off, s[0:3], 0 offset:572
	buffer_load_dword v77, off, s[0:3], 0 offset:584
	buffer_load_dword v79, off, s[0:3], 0 offset:576
	buffer_load_dword v71, off, s[0:3], 0 offset:568
	buffer_load_dword v68, off, s[0:3], 0 offset:548
	buffer_load_dword v78, off, s[0:3], 0 offset:588
	buffer_load_dword v82, off, s[0:3], 0 offset:564
	buffer_load_dword v81, off, s[0:3], 0 offset:560
	buffer_load_dword v84, off, s[0:3], 0 offset:604
	buffer_load_dword v85, off, s[0:3], 0 offset:616
	buffer_load_dword v87, off, s[0:3], 0 offset:608
	buffer_load_dword v83, off, s[0:3], 0 offset:600
	buffer_load_dword v80, off, s[0:3], 0 offset:580
	buffer_load_dword v86, off, s[0:3], 0 offset:620
	buffer_load_dword v162, off, s[0:3], 0 offset:596
	buffer_load_dword v161, off, s[0:3], 0 offset:592
	buffer_load_dword v164, off, s[0:3], 0 offset:636
	buffer_load_dword v166, off, s[0:3], 0 offset:648
	buffer_load_dword v168, off, s[0:3], 0 offset:640
	buffer_load_dword v163, off, s[0:3], 0 offset:632
	buffer_load_dword v88, off, s[0:3], 0 offset:612
	v_mov_b32_e32 v1, 0
	s_mov_b32 s4, exec_lo
	ds_read_b128 v[2:5], v1 offset:1168
	s_clause 0x2
	buffer_load_dword v167, off, s[0:3], 0 offset:652
	buffer_load_dword v171, off, s[0:3], 0 offset:628
	;; [unrolled: 1-line block ×3, first 2 shown]
	ds_read_b128 v[21:24], v1 offset:1184
	s_clause 0x4
	buffer_load_dword v175, off, s[0:3], 0 offset:668
	buffer_load_dword v176, off, s[0:3], 0 offset:680
	;; [unrolled: 1-line block ×5, first 2 shown]
	ds_read_b128 v[25:28], v1 offset:1200
	s_waitcnt vmcnt(62) lgkmcnt(2)
	v_mul_f64 v[172:173], v[4:5], v[6:7]
	v_mul_f64 v[6:7], v[2:3], v[6:7]
	s_waitcnt vmcnt(60) lgkmcnt(1)
	v_mul_f64 v[179:180], v[23:24], v[29:30]
	v_mul_f64 v[29:30], v[21:22], v[29:30]
	;; [unrolled: 3-line block ×3, first 2 shown]
	v_fma_f64 v[172:173], v[2:3], v[31:32], -v[172:173]
	v_fma_f64 v[6:7], v[4:5], v[31:32], v[6:7]
	s_clause 0x2
	buffer_load_dword v177, off, s[0:3], 0 offset:684
	buffer_load_dword v32, off, s[0:3], 0 offset:660
	;; [unrolled: 1-line block ×3, first 2 shown]
	s_waitcnt vmcnt(57)
	v_fma_f64 v[183:184], v[21:22], v[39:40], -v[179:180]
	ds_read_b128 v[2:5], v1 offset:1216
	v_fma_f64 v[29:30], v[23:24], v[39:40], v[29:30]
	s_clause 0x4
	buffer_load_dword v40, off, s[0:3], 0 offset:700
	buffer_load_dword v180, off, s[0:3], 0 offset:712
	;; [unrolled: 1-line block ×5, first 2 shown]
	s_waitcnt vmcnt(56)
	v_fma_f64 v[37:38], v[25:26], v[47:48], -v[37:38]
	ds_read_b128 v[21:24], v1 offset:1232
	v_fma_f64 v[47:48], v[27:28], v[47:48], v[181:182]
	v_add_f64 v[172:173], v[172:173], 0
	v_add_f64 v[6:7], v[6:7], 0
	s_waitcnt lgkmcnt(1)
	v_mul_f64 v[186:187], v[2:3], v[41:42]
	v_mul_f64 v[41:42], v[4:5], v[41:42]
	v_add_f64 v[172:173], v[172:173], v[183:184]
	v_add_f64 v[6:7], v[6:7], v[29:30]
	s_clause 0x2
	buffer_load_dword v181, off, s[0:3], 0 offset:716
	buffer_load_dword v30, off, s[0:3], 0 offset:692
	;; [unrolled: 1-line block ×3, first 2 shown]
	s_waitcnt vmcnt(58) lgkmcnt(0)
	v_mul_f64 v[182:183], v[21:22], v[43:44]
	v_mul_f64 v[43:44], v[23:24], v[43:44]
	s_waitcnt vmcnt(56)
	v_fma_f64 v[41:42], v[2:3], v[49:50], -v[41:42]
	ds_read_b128 v[25:28], v1 offset:1248
	v_fma_f64 v[49:50], v[4:5], v[49:50], v[186:187]
	v_add_f64 v[37:38], v[172:173], v[37:38]
	v_add_f64 v[6:7], v[6:7], v[47:48]
	s_clause 0x4
	buffer_load_dword v48, off, s[0:3], 0 offset:732
	buffer_load_dword v172, off, s[0:3], 0 offset:744
	;; [unrolled: 1-line block ×5, first 2 shown]
	ds_read_b128 v[2:5], v1 offset:1264
	s_waitcnt vmcnt(57) lgkmcnt(1)
	v_mul_f64 v[188:189], v[25:26], v[51:52]
	v_mul_f64 v[51:52], v[27:28], v[51:52]
	s_waitcnt vmcnt(56)
	v_fma_f64 v[43:44], v[21:22], v[45:46], -v[43:44]
	v_add_f64 v[37:38], v[37:38], v[41:42]
	v_fma_f64 v[41:42], v[23:24], v[45:46], v[182:183]
	v_add_f64 v[6:7], v[6:7], v[49:50]
	s_clause 0x2
	buffer_load_dword v173, off, s[0:3], 0 offset:748
	buffer_load_dword v46, off, s[0:3], 0 offset:724
	;; [unrolled: 1-line block ×3, first 2 shown]
	s_waitcnt vmcnt(58) lgkmcnt(0)
	v_mul_f64 v[49:50], v[2:3], v[53:54]
	v_mul_f64 v[53:54], v[4:5], v[53:54]
	s_waitcnt vmcnt(56)
	v_fma_f64 v[51:52], v[25:26], v[57:58], -v[51:52]
	ds_read_b128 v[21:24], v1 offset:1280
	v_add_f64 v[37:38], v[37:38], v[43:44]
	v_fma_f64 v[43:44], v[27:28], v[57:58], v[188:189]
	v_add_f64 v[6:7], v[6:7], v[41:42]
	s_clause 0x4
	buffer_load_dword v42, off, s[0:3], 0 offset:764
	buffer_load_dword v57, off, s[0:3], 0 offset:776
	;; [unrolled: 1-line block ×5, first 2 shown]
	ds_read_b128 v[25:28], v1 offset:1296
	s_waitcnt vmcnt(57) lgkmcnt(1)
	v_mul_f64 v[183:184], v[21:22], v[59:60]
	v_mul_f64 v[59:60], v[23:24], v[59:60]
	s_waitcnt vmcnt(56)
	v_fma_f64 v[53:54], v[2:3], v[55:56], -v[53:54]
	v_fma_f64 v[49:50], v[4:5], v[55:56], v[49:50]
	v_add_f64 v[37:38], v[37:38], v[51:52]
	v_add_f64 v[6:7], v[6:7], v[43:44]
	s_clause 0x2
	buffer_load_dword v58, off, s[0:3], 0 offset:780
	buffer_load_dword v44, off, s[0:3], 0 offset:756
	buffer_load_dword v43, off, s[0:3], 0 offset:752
	s_waitcnt vmcnt(58) lgkmcnt(0)
	v_mul_f64 v[55:56], v[27:28], v[65:66]
	ds_read_b128 v[2:5], v1 offset:1312
	s_waitcnt vmcnt(56)
	v_fma_f64 v[59:60], v[21:22], v[69:70], -v[59:60]
	v_mul_f64 v[51:52], v[25:26], v[65:66]
	v_add_f64 v[37:38], v[37:38], v[53:54]
	v_fma_f64 v[53:54], v[23:24], v[69:70], v[183:184]
	v_add_f64 v[6:7], v[6:7], v[49:50]
	buffer_load_dword v183, off, s[0:3], 0 offset:772
	ds_read_b128 v[21:24], v1 offset:1328
	s_waitcnt vmcnt(53) lgkmcnt(1)
	v_mul_f64 v[65:66], v[4:5], v[71:72]
	s_waitcnt vmcnt(52)
	v_fma_f64 v[55:56], v[25:26], v[67:68], -v[55:56]
	v_mul_f64 v[49:50], v[2:3], v[71:72]
	v_fma_f64 v[51:52], v[27:28], v[67:68], v[51:52]
	ds_read_b128 v[25:28], v1 offset:1344
	v_add_f64 v[37:38], v[37:38], v[59:60]
	v_add_f64 v[6:7], v[6:7], v[53:54]
	s_waitcnt vmcnt(51) lgkmcnt(1)
	v_mul_f64 v[59:60], v[23:24], v[77:78]
	v_mul_f64 v[53:54], v[21:22], v[77:78]
	s_waitcnt vmcnt(49)
	v_fma_f64 v[65:66], v[2:3], v[81:82], -v[65:66]
	v_fma_f64 v[49:50], v[4:5], v[81:82], v[49:50]
	s_waitcnt vmcnt(45) lgkmcnt(0)
	v_mul_f64 v[69:70], v[27:28], v[83:84]
	v_mul_f64 v[67:68], v[25:26], v[83:84]
	v_add_f64 v[37:38], v[37:38], v[55:56]
	v_add_f64 v[6:7], v[6:7], v[51:52]
	s_clause 0x3
	buffer_load_dword v51, off, s[0:3], 0 offset:400
	buffer_load_dword v52, off, s[0:3], 0 offset:404
	;; [unrolled: 1-line block ×4, first 2 shown]
	s_waitcnt vmcnt(48)
	v_fma_f64 v[59:60], v[21:22], v[79:80], -v[59:60]
	ds_read_b128 v[2:5], v1 offset:1360
	v_fma_f64 v[53:54], v[23:24], v[79:80], v[53:54]
	ds_read_b128 v[21:24], v1 offset:1376
	s_waitcnt vmcnt(45)
	v_fma_f64 v[69:70], v[25:26], v[161:162], -v[69:70]
	v_add_f64 v[37:38], v[37:38], v[65:66]
	v_add_f64 v[6:7], v[6:7], v[49:50]
	s_waitcnt lgkmcnt(1)
	v_mul_f64 v[65:66], v[4:5], v[85:86]
	v_mul_f64 v[49:50], v[2:3], v[85:86]
	v_add_f64 v[37:38], v[37:38], v[59:60]
	v_fma_f64 v[59:60], v[27:28], v[161:162], v[67:68]
	v_add_f64 v[6:7], v[6:7], v[53:54]
	s_waitcnt vmcnt(41) lgkmcnt(0)
	v_mul_f64 v[67:68], v[23:24], v[163:164]
	s_waitcnt vmcnt(40)
	v_fma_f64 v[65:66], v[2:3], v[87:88], -v[65:66]
	ds_read_b128 v[25:28], v1 offset:1392
	v_mul_f64 v[53:54], v[21:22], v[163:164]
	v_fma_f64 v[49:50], v[4:5], v[87:88], v[49:50]
	ds_read_b128 v[2:5], v1 offset:1408
	v_add_f64 v[37:38], v[37:38], v[69:70]
	v_add_f64 v[6:7], v[6:7], v[59:60]
	s_waitcnt vmcnt(39) lgkmcnt(1)
	v_mul_f64 v[69:70], v[27:28], v[166:167]
	s_waitcnt vmcnt(37)
	v_fma_f64 v[67:68], v[21:22], v[170:171], -v[67:68]
	v_mul_f64 v[59:60], v[25:26], v[166:167]
	v_fma_f64 v[53:54], v[23:24], v[170:171], v[53:54]
	ds_read_b128 v[21:24], v1 offset:1424
	v_add_f64 v[37:38], v[37:38], v[65:66]
	s_waitcnt vmcnt(33) lgkmcnt(1)
	v_mul_f64 v[65:66], v[4:5], v[174:175]
	v_add_f64 v[6:7], v[6:7], v[49:50]
	s_waitcnt vmcnt(32)
	v_fma_f64 v[69:70], v[25:26], v[168:169], -v[69:70]
	v_mul_f64 v[49:50], v[2:3], v[174:175]
	v_fma_f64 v[59:60], v[27:28], v[168:169], v[59:60]
	ds_read_b128 v[25:28], v1 offset:1440
	v_add_f64 v[37:38], v[37:38], v[67:68]
	v_add_f64 v[6:7], v[6:7], v[53:54]
	s_waitcnt vmcnt(31) lgkmcnt(1)
	v_mul_f64 v[67:68], v[23:24], v[176:177]
	v_mul_f64 v[53:54], v[21:22], v[176:177]
	s_waitcnt vmcnt(29)
	v_fma_f64 v[65:66], v[2:3], v[31:32], -v[65:66]
	v_fma_f64 v[31:32], v[4:5], v[31:32], v[49:50]
	ds_read_b128 v[2:5], v1 offset:1456
	s_waitcnt vmcnt(25) lgkmcnt(1)
	v_mul_f64 v[49:50], v[25:26], v[39:40]
	v_mul_f64 v[39:40], v[27:28], v[39:40]
	v_add_f64 v[37:38], v[37:38], v[69:70]
	v_add_f64 v[6:7], v[6:7], v[59:60]
	s_waitcnt vmcnt(24)
	v_fma_f64 v[59:60], v[21:22], v[178:179], -v[67:68]
	v_fma_f64 v[53:54], v[23:24], v[178:179], v[53:54]
	ds_read_b128 v[21:24], v1 offset:1472
	v_add_f64 v[37:38], v[37:38], v[65:66]
	v_add_f64 v[6:7], v[6:7], v[31:32]
	s_waitcnt vmcnt(23) lgkmcnt(1)
	v_mul_f64 v[65:66], v[4:5], v[180:181]
	v_mul_f64 v[31:32], v[2:3], v[180:181]
	s_waitcnt vmcnt(21)
	v_fma_f64 v[39:40], v[25:26], v[29:30], -v[39:40]
	v_fma_f64 v[29:30], v[27:28], v[29:30], v[49:50]
	ds_read_b128 v[25:28], v1 offset:1488
	v_add_f64 v[37:38], v[37:38], v[59:60]
	v_add_f64 v[6:7], v[6:7], v[53:54]
	s_waitcnt vmcnt(17) lgkmcnt(1)
	v_mul_f64 v[49:50], v[21:22], v[47:48]
	v_mul_f64 v[47:48], v[23:24], v[47:48]
	;; [unrolled: 9-line block ×4, first 2 shown]
	s_waitcnt vmcnt(8)
	v_fma_f64 v[25:26], v[25:26], v[187:188], -v[39:40]
	v_fma_f64 v[27:28], v[27:28], v[187:188], v[29:30]
	v_add_f64 v[37:38], v[37:38], v[47:48]
	v_add_f64 v[6:7], v[6:7], v[45:46]
	s_waitcnt vmcnt(7) lgkmcnt(0)
	v_mul_f64 v[39:40], v[23:24], v[57:58]
	v_mul_f64 v[29:30], v[21:22], v[57:58]
	s_waitcnt vmcnt(5)
	v_fma_f64 v[2:3], v[2:3], v[43:44], -v[41:42]
	v_fma_f64 v[4:5], v[4:5], v[43:44], v[31:32]
	v_add_f64 v[25:26], v[37:38], v[25:26]
	v_add_f64 v[6:7], v[6:7], v[27:28]
	s_waitcnt vmcnt(4)
	v_fma_f64 v[21:22], v[21:22], v[182:183], -v[39:40]
	v_fma_f64 v[23:24], v[23:24], v[182:183], v[29:30]
	v_add_f64 v[2:3], v[25:26], v[2:3]
	v_add_f64 v[4:5], v[6:7], v[4:5]
	;; [unrolled: 1-line block ×4, first 2 shown]
	s_waitcnt vmcnt(2)
	v_add_f64 v[2:3], v[51:52], -v[2:3]
	s_waitcnt vmcnt(0)
	v_add_f64 v[4:5], v[55:56], -v[4:5]
	buffer_store_dword v3, off, s[0:3], 0 offset:404
	buffer_store_dword v2, off, s[0:3], 0 offset:400
	;; [unrolled: 1-line block ×4, first 2 shown]
	v_cmpx_lt_u32_e32 23, v0
	s_cbranch_execz .LBB47_255
; %bb.254:
	v_mov_b32_e32 v5, s37
	s_clause 0x3
	buffer_load_dword v2, v5, s[0:3], 0 offen
	buffer_load_dword v3, v5, s[0:3], 0 offen offset:4
	buffer_load_dword v4, v5, s[0:3], 0 offen offset:8
	;; [unrolled: 1-line block ×3, first 2 shown]
	buffer_store_dword v1, off, s[0:3], 0 offset:384
	buffer_store_dword v1, off, s[0:3], 0 offset:388
	buffer_store_dword v1, off, s[0:3], 0 offset:392
	buffer_store_dword v1, off, s[0:3], 0 offset:396
	s_waitcnt vmcnt(0)
	ds_write_b128 v165, v[2:5]
.LBB47_255:
	s_or_b32 exec_lo, exec_lo, s4
	s_waitcnt lgkmcnt(0)
	s_waitcnt_vscnt null, 0x0
	s_barrier
	buffer_gl0_inv
	s_clause 0x37
	buffer_load_dword v6, off, s[0:3], 0 offset:408
	buffer_load_dword v7, off, s[0:3], 0 offset:412
	buffer_load_dword v29, off, s[0:3], 0 offset:424
	buffer_load_dword v30, off, s[0:3], 0 offset:428
	buffer_load_dword v31, off, s[0:3], 0 offset:400
	buffer_load_dword v32, off, s[0:3], 0 offset:404
	buffer_load_dword v37, off, s[0:3], 0 offset:440
	buffer_load_dword v38, off, s[0:3], 0 offset:444
	buffer_load_dword v39, off, s[0:3], 0 offset:416
	buffer_load_dword v40, off, s[0:3], 0 offset:420
	buffer_load_dword v42, off, s[0:3], 0 offset:460
	buffer_load_dword v43, off, s[0:3], 0 offset:472
	buffer_load_dword v45, off, s[0:3], 0 offset:464
	buffer_load_dword v41, off, s[0:3], 0 offset:456
	buffer_load_dword v47, off, s[0:3], 0 offset:432
	buffer_load_dword v48, off, s[0:3], 0 offset:436
	buffer_load_dword v44, off, s[0:3], 0 offset:476
	buffer_load_dword v50, off, s[0:3], 0 offset:452
	buffer_load_dword v49, off, s[0:3], 0 offset:448
	buffer_load_dword v52, off, s[0:3], 0 offset:492
	buffer_load_dword v53, off, s[0:3], 0 offset:504
	buffer_load_dword v55, off, s[0:3], 0 offset:496
	buffer_load_dword v51, off, s[0:3], 0 offset:488
	buffer_load_dword v46, off, s[0:3], 0 offset:468
	buffer_load_dword v54, off, s[0:3], 0 offset:508
	buffer_load_dword v58, off, s[0:3], 0 offset:484
	buffer_load_dword v57, off, s[0:3], 0 offset:480
	buffer_load_dword v60, off, s[0:3], 0 offset:524
	buffer_load_dword v65, off, s[0:3], 0 offset:536
	buffer_load_dword v67, off, s[0:3], 0 offset:528
	buffer_load_dword v59, off, s[0:3], 0 offset:520
	buffer_load_dword v56, off, s[0:3], 0 offset:500
	buffer_load_dword v66, off, s[0:3], 0 offset:540
	buffer_load_dword v70, off, s[0:3], 0 offset:516
	buffer_load_dword v69, off, s[0:3], 0 offset:512
	buffer_load_dword v72, off, s[0:3], 0 offset:556
	buffer_load_dword v77, off, s[0:3], 0 offset:568
	buffer_load_dword v79, off, s[0:3], 0 offset:560
	buffer_load_dword v71, off, s[0:3], 0 offset:552
	buffer_load_dword v68, off, s[0:3], 0 offset:532
	buffer_load_dword v78, off, s[0:3], 0 offset:572
	buffer_load_dword v82, off, s[0:3], 0 offset:548
	buffer_load_dword v81, off, s[0:3], 0 offset:544
	buffer_load_dword v84, off, s[0:3], 0 offset:588
	buffer_load_dword v85, off, s[0:3], 0 offset:600
	buffer_load_dword v87, off, s[0:3], 0 offset:592
	buffer_load_dword v83, off, s[0:3], 0 offset:584
	buffer_load_dword v80, off, s[0:3], 0 offset:564
	buffer_load_dword v86, off, s[0:3], 0 offset:604
	buffer_load_dword v162, off, s[0:3], 0 offset:580
	buffer_load_dword v161, off, s[0:3], 0 offset:576
	buffer_load_dword v164, off, s[0:3], 0 offset:620
	buffer_load_dword v166, off, s[0:3], 0 offset:632
	buffer_load_dword v168, off, s[0:3], 0 offset:624
	buffer_load_dword v163, off, s[0:3], 0 offset:616
	buffer_load_dword v88, off, s[0:3], 0 offset:596
	ds_read_b128 v[2:5], v1 offset:1152
	s_clause 0x2
	buffer_load_dword v167, off, s[0:3], 0 offset:636
	buffer_load_dword v171, off, s[0:3], 0 offset:612
	;; [unrolled: 1-line block ×3, first 2 shown]
	ds_read_b128 v[21:24], v1 offset:1168
	s_clause 0x4
	buffer_load_dword v175, off, s[0:3], 0 offset:652
	buffer_load_dword v176, off, s[0:3], 0 offset:664
	;; [unrolled: 1-line block ×5, first 2 shown]
	ds_read_b128 v[25:28], v1 offset:1184
	s_mov_b32 s4, exec_lo
	s_waitcnt vmcnt(62) lgkmcnt(2)
	v_mul_f64 v[172:173], v[4:5], v[6:7]
	v_mul_f64 v[6:7], v[2:3], v[6:7]
	s_waitcnt vmcnt(60) lgkmcnt(1)
	v_mul_f64 v[179:180], v[23:24], v[29:30]
	v_mul_f64 v[29:30], v[21:22], v[29:30]
	;; [unrolled: 3-line block ×3, first 2 shown]
	v_fma_f64 v[172:173], v[2:3], v[31:32], -v[172:173]
	v_fma_f64 v[6:7], v[4:5], v[31:32], v[6:7]
	s_clause 0x2
	buffer_load_dword v177, off, s[0:3], 0 offset:668
	buffer_load_dword v32, off, s[0:3], 0 offset:644
	;; [unrolled: 1-line block ×3, first 2 shown]
	s_waitcnt vmcnt(57)
	v_fma_f64 v[183:184], v[21:22], v[39:40], -v[179:180]
	ds_read_b128 v[2:5], v1 offset:1200
	v_fma_f64 v[29:30], v[23:24], v[39:40], v[29:30]
	s_clause 0x4
	buffer_load_dword v40, off, s[0:3], 0 offset:684
	buffer_load_dword v180, off, s[0:3], 0 offset:696
	;; [unrolled: 1-line block ×5, first 2 shown]
	s_waitcnt vmcnt(56)
	v_fma_f64 v[37:38], v[25:26], v[47:48], -v[37:38]
	ds_read_b128 v[21:24], v1 offset:1216
	v_fma_f64 v[47:48], v[27:28], v[47:48], v[181:182]
	v_add_f64 v[172:173], v[172:173], 0
	v_add_f64 v[6:7], v[6:7], 0
	s_waitcnt lgkmcnt(1)
	v_mul_f64 v[186:187], v[2:3], v[41:42]
	v_mul_f64 v[41:42], v[4:5], v[41:42]
	v_add_f64 v[172:173], v[172:173], v[183:184]
	v_add_f64 v[6:7], v[6:7], v[29:30]
	s_clause 0x2
	buffer_load_dword v181, off, s[0:3], 0 offset:700
	buffer_load_dword v30, off, s[0:3], 0 offset:676
	buffer_load_dword v29, off, s[0:3], 0 offset:672
	s_waitcnt vmcnt(58) lgkmcnt(0)
	v_mul_f64 v[182:183], v[21:22], v[43:44]
	v_mul_f64 v[43:44], v[23:24], v[43:44]
	s_waitcnt vmcnt(56)
	v_fma_f64 v[41:42], v[2:3], v[49:50], -v[41:42]
	ds_read_b128 v[25:28], v1 offset:1232
	v_fma_f64 v[49:50], v[4:5], v[49:50], v[186:187]
	v_add_f64 v[37:38], v[172:173], v[37:38]
	v_add_f64 v[6:7], v[6:7], v[47:48]
	s_clause 0x4
	buffer_load_dword v48, off, s[0:3], 0 offset:716
	buffer_load_dword v172, off, s[0:3], 0 offset:728
	;; [unrolled: 1-line block ×5, first 2 shown]
	ds_read_b128 v[2:5], v1 offset:1248
	s_waitcnt vmcnt(57) lgkmcnt(1)
	v_mul_f64 v[188:189], v[25:26], v[51:52]
	v_mul_f64 v[51:52], v[27:28], v[51:52]
	s_waitcnt vmcnt(56)
	v_fma_f64 v[43:44], v[21:22], v[45:46], -v[43:44]
	v_add_f64 v[37:38], v[37:38], v[41:42]
	v_fma_f64 v[41:42], v[23:24], v[45:46], v[182:183]
	v_add_f64 v[6:7], v[6:7], v[49:50]
	s_clause 0x2
	buffer_load_dword v173, off, s[0:3], 0 offset:732
	buffer_load_dword v46, off, s[0:3], 0 offset:708
	buffer_load_dword v45, off, s[0:3], 0 offset:704
	s_waitcnt vmcnt(58) lgkmcnt(0)
	v_mul_f64 v[49:50], v[2:3], v[53:54]
	v_mul_f64 v[53:54], v[4:5], v[53:54]
	s_waitcnt vmcnt(56)
	v_fma_f64 v[51:52], v[25:26], v[57:58], -v[51:52]
	ds_read_b128 v[21:24], v1 offset:1264
	v_add_f64 v[37:38], v[37:38], v[43:44]
	v_fma_f64 v[43:44], v[27:28], v[57:58], v[188:189]
	v_add_f64 v[6:7], v[6:7], v[41:42]
	s_clause 0x4
	buffer_load_dword v42, off, s[0:3], 0 offset:748
	buffer_load_dword v57, off, s[0:3], 0 offset:760
	buffer_load_dword v182, off, s[0:3], 0 offset:752
	buffer_load_dword v41, off, s[0:3], 0 offset:744
	buffer_load_dword v188, off, s[0:3], 0 offset:724
	ds_read_b128 v[25:28], v1 offset:1280
	s_waitcnt vmcnt(57) lgkmcnt(1)
	v_mul_f64 v[183:184], v[21:22], v[59:60]
	v_mul_f64 v[59:60], v[23:24], v[59:60]
	s_waitcnt vmcnt(56)
	v_fma_f64 v[53:54], v[2:3], v[55:56], -v[53:54]
	v_fma_f64 v[49:50], v[4:5], v[55:56], v[49:50]
	v_add_f64 v[37:38], v[37:38], v[51:52]
	v_add_f64 v[6:7], v[6:7], v[43:44]
	s_clause 0x2
	buffer_load_dword v58, off, s[0:3], 0 offset:764
	buffer_load_dword v44, off, s[0:3], 0 offset:740
	;; [unrolled: 1-line block ×3, first 2 shown]
	s_waitcnt vmcnt(58) lgkmcnt(0)
	v_mul_f64 v[55:56], v[27:28], v[65:66]
	ds_read_b128 v[2:5], v1 offset:1296
	s_waitcnt vmcnt(56)
	v_fma_f64 v[59:60], v[21:22], v[69:70], -v[59:60]
	v_mul_f64 v[51:52], v[25:26], v[65:66]
	v_add_f64 v[37:38], v[37:38], v[53:54]
	v_fma_f64 v[53:54], v[23:24], v[69:70], v[183:184]
	v_add_f64 v[6:7], v[6:7], v[49:50]
	s_clause 0x2
	buffer_load_dword v50, off, s[0:3], 0 offset:780
	buffer_load_dword v49, off, s[0:3], 0 offset:776
	;; [unrolled: 1-line block ×3, first 2 shown]
	s_waitcnt vmcnt(55) lgkmcnt(0)
	v_mul_f64 v[69:70], v[4:5], v[71:72]
	s_waitcnt vmcnt(54)
	v_fma_f64 v[55:56], v[25:26], v[67:68], -v[55:56]
	ds_read_b128 v[21:24], v1 offset:1312
	v_mul_f64 v[65:66], v[2:3], v[71:72]
	v_fma_f64 v[51:52], v[27:28], v[67:68], v[51:52]
	v_add_f64 v[37:38], v[37:38], v[59:60]
	v_add_f64 v[6:7], v[6:7], v[53:54]
	s_clause 0x1
	buffer_load_dword v54, off, s[0:3], 0 offset:772
	buffer_load_dword v53, off, s[0:3], 0 offset:768
	s_waitcnt vmcnt(55) lgkmcnt(0)
	v_mul_f64 v[67:68], v[23:24], v[77:78]
	s_waitcnt vmcnt(53)
	v_fma_f64 v[69:70], v[2:3], v[81:82], -v[69:70]
	ds_read_b128 v[25:28], v1 offset:1328
	v_mul_f64 v[59:60], v[21:22], v[77:78]
	v_add_f64 v[37:38], v[37:38], v[55:56]
	v_fma_f64 v[55:56], v[4:5], v[81:82], v[65:66]
	v_add_f64 v[6:7], v[6:7], v[51:52]
	ds_read_b128 v[2:5], v1 offset:1344
	s_waitcnt vmcnt(49) lgkmcnt(1)
	v_mul_f64 v[65:66], v[27:28], v[83:84]
	s_waitcnt vmcnt(48)
	v_fma_f64 v[67:68], v[21:22], v[79:80], -v[67:68]
	v_mul_f64 v[51:52], v[25:26], v[83:84]
	v_fma_f64 v[59:60], v[23:24], v[79:80], v[59:60]
	v_add_f64 v[37:38], v[37:38], v[69:70]
	s_waitcnt vmcnt(47) lgkmcnt(0)
	v_mul_f64 v[77:78], v[4:5], v[85:86]
	v_add_f64 v[6:7], v[6:7], v[55:56]
	s_clause 0x3
	buffer_load_dword v55, off, s[0:3], 0 offset:384
	buffer_load_dword v56, off, s[0:3], 0 offset:388
	;; [unrolled: 1-line block ×4, first 2 shown]
	s_waitcnt vmcnt(49)
	v_fma_f64 v[65:66], v[25:26], v[161:162], -v[65:66]
	ds_read_b128 v[21:24], v1 offset:1360
	v_mul_f64 v[71:72], v[2:3], v[85:86]
	v_fma_f64 v[51:52], v[27:28], v[161:162], v[51:52]
	ds_read_b128 v[25:28], v1 offset:1376
	v_add_f64 v[37:38], v[37:38], v[67:68]
	s_waitcnt vmcnt(44)
	v_fma_f64 v[77:78], v[2:3], v[87:88], -v[77:78]
	v_add_f64 v[6:7], v[6:7], v[59:60]
	s_waitcnt lgkmcnt(1)
	v_mul_f64 v[67:68], v[23:24], v[163:164]
	v_mul_f64 v[59:60], v[21:22], v[163:164]
	v_add_f64 v[37:38], v[37:38], v[65:66]
	v_fma_f64 v[65:66], v[4:5], v[87:88], v[71:72]
	v_add_f64 v[6:7], v[6:7], v[51:52]
	s_waitcnt vmcnt(43) lgkmcnt(0)
	v_mul_f64 v[71:72], v[27:28], v[166:167]
	s_waitcnt vmcnt(41)
	v_fma_f64 v[67:68], v[21:22], v[170:171], -v[67:68]
	ds_read_b128 v[2:5], v1 offset:1392
	v_mul_f64 v[51:52], v[25:26], v[166:167]
	v_fma_f64 v[59:60], v[23:24], v[170:171], v[59:60]
	ds_read_b128 v[21:24], v1 offset:1408
	v_add_f64 v[37:38], v[37:38], v[77:78]
	v_add_f64 v[6:7], v[6:7], v[65:66]
	s_waitcnt vmcnt(37) lgkmcnt(1)
	v_mul_f64 v[77:78], v[4:5], v[174:175]
	s_waitcnt vmcnt(36)
	v_fma_f64 v[71:72], v[25:26], v[168:169], -v[71:72]
	v_mul_f64 v[65:66], v[2:3], v[174:175]
	v_fma_f64 v[51:52], v[27:28], v[168:169], v[51:52]
	ds_read_b128 v[25:28], v1 offset:1424
	v_add_f64 v[37:38], v[37:38], v[67:68]
	v_add_f64 v[6:7], v[6:7], v[59:60]
	s_waitcnt vmcnt(35) lgkmcnt(1)
	v_mul_f64 v[67:68], v[23:24], v[176:177]
	v_mul_f64 v[59:60], v[21:22], v[176:177]
	s_waitcnt vmcnt(33)
	v_fma_f64 v[77:78], v[2:3], v[31:32], -v[77:78]
	v_fma_f64 v[31:32], v[4:5], v[31:32], v[65:66]
	ds_read_b128 v[2:5], v1 offset:1440
	v_add_f64 v[37:38], v[37:38], v[71:72]
	v_add_f64 v[6:7], v[6:7], v[51:52]
	s_waitcnt vmcnt(29) lgkmcnt(1)
	v_mul_f64 v[51:52], v[25:26], v[39:40]
	v_mul_f64 v[39:40], v[27:28], v[39:40]
	s_waitcnt vmcnt(28)
	v_fma_f64 v[65:66], v[21:22], v[178:179], -v[67:68]
	;; [unrolled: 9-line block ×7, first 2 shown]
	v_fma_f64 v[3:4], v[4:5], v[43:44], v[31:32]
	v_add_f64 v[37:38], v[37:38], v[39:40]
	v_add_f64 v[5:6], v[6:7], v[29:30]
	s_waitcnt vmcnt(7) lgkmcnt(0)
	v_mul_f64 v[29:30], v[27:28], v[49:50]
	s_waitcnt vmcnt(6)
	v_fma_f64 v[21:22], v[21:22], v[182:183], -v[47:48]
	v_mul_f64 v[7:8], v[25:26], v[49:50]
	v_fma_f64 v[23:24], v[23:24], v[182:183], v[45:46]
	v_add_f64 v[1:2], v[37:38], v[1:2]
	v_add_f64 v[3:4], v[5:6], v[3:4]
	s_waitcnt vmcnt(4)
	v_fma_f64 v[5:6], v[25:26], v[53:54], -v[29:30]
	v_fma_f64 v[7:8], v[27:28], v[53:54], v[7:8]
	v_add_f64 v[1:2], v[1:2], v[21:22]
	v_add_f64 v[3:4], v[3:4], v[23:24]
	;; [unrolled: 1-line block ×4, first 2 shown]
	s_waitcnt vmcnt(2)
	v_add_f64 v[1:2], v[55:56], -v[1:2]
	s_waitcnt vmcnt(0)
	v_add_f64 v[3:4], v[69:70], -v[3:4]
	buffer_store_dword v2, off, s[0:3], 0 offset:388
	buffer_store_dword v1, off, s[0:3], 0 offset:384
	;; [unrolled: 1-line block ×4, first 2 shown]
	v_cmpx_lt_u32_e32 22, v0
	s_cbranch_execz .LBB47_257
; %bb.256:
	v_mov_b32_e32 v4, s38
	v_mov_b32_e32 v5, 0
	s_clause 0x3
	buffer_load_dword v1, v4, s[0:3], 0 offen
	buffer_load_dword v2, v4, s[0:3], 0 offen offset:4
	buffer_load_dword v3, v4, s[0:3], 0 offen offset:8
	;; [unrolled: 1-line block ×3, first 2 shown]
	buffer_store_dword v5, off, s[0:3], 0 offset:368
	buffer_store_dword v5, off, s[0:3], 0 offset:372
	;; [unrolled: 1-line block ×4, first 2 shown]
	s_waitcnt vmcnt(0)
	ds_write_b128 v165, v[1:4]
.LBB47_257:
	s_or_b32 exec_lo, exec_lo, s4
	s_waitcnt lgkmcnt(0)
	s_waitcnt_vscnt null, 0x0
	s_barrier
	buffer_gl0_inv
	s_clause 0x37
	buffer_load_dword v6, off, s[0:3], 0 offset:392
	buffer_load_dword v7, off, s[0:3], 0 offset:396
	;; [unrolled: 1-line block ×56, first 2 shown]
	v_mov_b32_e32 v1, 0
	s_mov_b32 s4, exec_lo
	ds_read_b128 v[2:5], v1 offset:1136
	s_clause 0x2
	buffer_load_dword v167, off, s[0:3], 0 offset:620
	buffer_load_dword v171, off, s[0:3], 0 offset:596
	;; [unrolled: 1-line block ×3, first 2 shown]
	ds_read_b128 v[21:24], v1 offset:1152
	s_clause 0x4
	buffer_load_dword v175, off, s[0:3], 0 offset:636
	buffer_load_dword v176, off, s[0:3], 0 offset:648
	;; [unrolled: 1-line block ×5, first 2 shown]
	ds_read_b128 v[25:28], v1 offset:1168
	s_waitcnt vmcnt(62) lgkmcnt(2)
	v_mul_f64 v[172:173], v[4:5], v[6:7]
	v_mul_f64 v[6:7], v[2:3], v[6:7]
	s_waitcnt vmcnt(60) lgkmcnt(1)
	v_mul_f64 v[179:180], v[23:24], v[29:30]
	v_mul_f64 v[29:30], v[21:22], v[29:30]
	;; [unrolled: 3-line block ×3, first 2 shown]
	v_fma_f64 v[172:173], v[2:3], v[31:32], -v[172:173]
	v_fma_f64 v[6:7], v[4:5], v[31:32], v[6:7]
	s_clause 0x2
	buffer_load_dword v177, off, s[0:3], 0 offset:652
	buffer_load_dword v32, off, s[0:3], 0 offset:628
	;; [unrolled: 1-line block ×3, first 2 shown]
	s_waitcnt vmcnt(57)
	v_fma_f64 v[183:184], v[21:22], v[39:40], -v[179:180]
	ds_read_b128 v[2:5], v1 offset:1184
	v_fma_f64 v[29:30], v[23:24], v[39:40], v[29:30]
	s_clause 0x4
	buffer_load_dword v40, off, s[0:3], 0 offset:668
	buffer_load_dword v180, off, s[0:3], 0 offset:680
	;; [unrolled: 1-line block ×5, first 2 shown]
	s_waitcnt vmcnt(56)
	v_fma_f64 v[37:38], v[25:26], v[47:48], -v[37:38]
	ds_read_b128 v[21:24], v1 offset:1200
	v_fma_f64 v[47:48], v[27:28], v[47:48], v[181:182]
	v_add_f64 v[172:173], v[172:173], 0
	v_add_f64 v[6:7], v[6:7], 0
	s_waitcnt lgkmcnt(1)
	v_mul_f64 v[186:187], v[2:3], v[41:42]
	v_mul_f64 v[41:42], v[4:5], v[41:42]
	v_add_f64 v[172:173], v[172:173], v[183:184]
	v_add_f64 v[6:7], v[6:7], v[29:30]
	s_clause 0x2
	buffer_load_dword v181, off, s[0:3], 0 offset:684
	buffer_load_dword v30, off, s[0:3], 0 offset:660
	;; [unrolled: 1-line block ×3, first 2 shown]
	s_waitcnt vmcnt(58) lgkmcnt(0)
	v_mul_f64 v[182:183], v[21:22], v[43:44]
	v_mul_f64 v[43:44], v[23:24], v[43:44]
	s_waitcnt vmcnt(56)
	v_fma_f64 v[41:42], v[2:3], v[49:50], -v[41:42]
	ds_read_b128 v[25:28], v1 offset:1216
	v_fma_f64 v[49:50], v[4:5], v[49:50], v[186:187]
	v_add_f64 v[37:38], v[172:173], v[37:38]
	v_add_f64 v[6:7], v[6:7], v[47:48]
	s_clause 0x4
	buffer_load_dword v48, off, s[0:3], 0 offset:700
	buffer_load_dword v172, off, s[0:3], 0 offset:712
	;; [unrolled: 1-line block ×5, first 2 shown]
	ds_read_b128 v[2:5], v1 offset:1232
	s_waitcnt vmcnt(57) lgkmcnt(1)
	v_mul_f64 v[188:189], v[25:26], v[51:52]
	v_mul_f64 v[51:52], v[27:28], v[51:52]
	s_waitcnt vmcnt(56)
	v_fma_f64 v[43:44], v[21:22], v[45:46], -v[43:44]
	v_add_f64 v[37:38], v[37:38], v[41:42]
	v_fma_f64 v[41:42], v[23:24], v[45:46], v[182:183]
	v_add_f64 v[6:7], v[6:7], v[49:50]
	s_clause 0x2
	buffer_load_dword v173, off, s[0:3], 0 offset:716
	buffer_load_dword v46, off, s[0:3], 0 offset:692
	;; [unrolled: 1-line block ×3, first 2 shown]
	s_waitcnt vmcnt(58) lgkmcnt(0)
	v_mul_f64 v[49:50], v[2:3], v[53:54]
	v_mul_f64 v[53:54], v[4:5], v[53:54]
	s_waitcnt vmcnt(56)
	v_fma_f64 v[51:52], v[25:26], v[57:58], -v[51:52]
	ds_read_b128 v[21:24], v1 offset:1248
	v_add_f64 v[37:38], v[37:38], v[43:44]
	v_fma_f64 v[43:44], v[27:28], v[57:58], v[188:189]
	v_add_f64 v[6:7], v[6:7], v[41:42]
	s_clause 0x4
	buffer_load_dword v42, off, s[0:3], 0 offset:732
	buffer_load_dword v57, off, s[0:3], 0 offset:744
	;; [unrolled: 1-line block ×5, first 2 shown]
	ds_read_b128 v[25:28], v1 offset:1264
	s_waitcnt vmcnt(57) lgkmcnt(1)
	v_mul_f64 v[183:184], v[21:22], v[59:60]
	v_mul_f64 v[59:60], v[23:24], v[59:60]
	s_waitcnt vmcnt(56)
	v_fma_f64 v[53:54], v[2:3], v[55:56], -v[53:54]
	v_fma_f64 v[49:50], v[4:5], v[55:56], v[49:50]
	v_add_f64 v[37:38], v[37:38], v[51:52]
	v_add_f64 v[6:7], v[6:7], v[43:44]
	s_clause 0x2
	buffer_load_dword v58, off, s[0:3], 0 offset:748
	buffer_load_dword v44, off, s[0:3], 0 offset:724
	;; [unrolled: 1-line block ×3, first 2 shown]
	s_waitcnt vmcnt(58) lgkmcnt(0)
	v_mul_f64 v[55:56], v[27:28], v[65:66]
	ds_read_b128 v[2:5], v1 offset:1280
	s_waitcnt vmcnt(56)
	v_fma_f64 v[59:60], v[21:22], v[69:70], -v[59:60]
	v_mul_f64 v[51:52], v[25:26], v[65:66]
	v_add_f64 v[37:38], v[37:38], v[53:54]
	v_fma_f64 v[53:54], v[23:24], v[69:70], v[183:184]
	v_add_f64 v[6:7], v[6:7], v[49:50]
	s_clause 0x4
	buffer_load_dword v50, off, s[0:3], 0 offset:764
	buffer_load_dword v65, off, s[0:3], 0 offset:776
	;; [unrolled: 1-line block ×5, first 2 shown]
	s_waitcnt vmcnt(57) lgkmcnt(0)
	v_mul_f64 v[189:190], v[2:3], v[71:72]
	v_mul_f64 v[70:71], v[4:5], v[71:72]
	s_waitcnt vmcnt(56)
	v_fma_f64 v[55:56], v[25:26], v[67:68], -v[55:56]
	ds_read_b128 v[21:24], v1 offset:1296
	v_fma_f64 v[51:52], v[27:28], v[67:68], v[51:52]
	v_add_f64 v[37:38], v[37:38], v[59:60]
	v_add_f64 v[6:7], v[6:7], v[53:54]
	s_clause 0x2
	buffer_load_dword v66, off, s[0:3], 0 offset:780
	buffer_load_dword v54, off, s[0:3], 0 offset:756
	;; [unrolled: 1-line block ×3, first 2 shown]
	ds_read_b128 v[25:28], v1 offset:1312
	s_waitcnt vmcnt(58) lgkmcnt(1)
	v_mul_f64 v[67:68], v[23:24], v[77:78]
	s_waitcnt vmcnt(56)
	v_fma_f64 v[71:72], v[2:3], v[81:82], -v[70:71]
	v_mul_f64 v[59:60], v[21:22], v[77:78]
	buffer_load_dword v70, off, s[0:3], 0 offset:772
	v_add_f64 v[37:38], v[37:38], v[55:56]
	v_fma_f64 v[55:56], v[4:5], v[81:82], v[189:190]
	v_add_f64 v[6:7], v[6:7], v[51:52]
	ds_read_b128 v[2:5], v1 offset:1328
	s_waitcnt vmcnt(53) lgkmcnt(1)
	v_mul_f64 v[77:78], v[27:28], v[83:84]
	s_waitcnt vmcnt(52)
	v_fma_f64 v[67:68], v[21:22], v[79:80], -v[67:68]
	v_mul_f64 v[51:52], v[25:26], v[83:84]
	v_fma_f64 v[59:60], v[23:24], v[79:80], v[59:60]
	ds_read_b128 v[21:24], v1 offset:1344
	v_add_f64 v[37:38], v[37:38], v[71:72]
	s_waitcnt vmcnt(51) lgkmcnt(1)
	v_mul_f64 v[71:72], v[4:5], v[85:86]
	v_add_f64 v[6:7], v[6:7], v[55:56]
	v_mul_f64 v[55:56], v[2:3], v[85:86]
	s_waitcnt vmcnt(49)
	v_fma_f64 v[77:78], v[25:26], v[161:162], -v[77:78]
	v_fma_f64 v[51:52], v[27:28], v[161:162], v[51:52]
	s_waitcnt vmcnt(45) lgkmcnt(0)
	v_mul_f64 v[81:82], v[23:24], v[163:164]
	v_mul_f64 v[79:80], v[21:22], v[163:164]
	v_add_f64 v[37:38], v[37:38], v[67:68]
	s_waitcnt vmcnt(44)
	v_fma_f64 v[71:72], v[2:3], v[87:88], -v[71:72]
	v_add_f64 v[6:7], v[6:7], v[59:60]
	s_clause 0x3
	buffer_load_dword v59, off, s[0:3], 0 offset:368
	buffer_load_dword v60, off, s[0:3], 0 offset:372
	;; [unrolled: 1-line block ×4, first 2 shown]
	ds_read_b128 v[25:28], v1 offset:1360
	v_fma_f64 v[55:56], v[4:5], v[87:88], v[55:56]
	ds_read_b128 v[2:5], v1 offset:1376
	s_waitcnt vmcnt(45)
	v_fma_f64 v[81:82], v[21:22], v[170:171], -v[81:82]
	v_add_f64 v[37:38], v[37:38], v[77:78]
	v_add_f64 v[6:7], v[6:7], v[51:52]
	s_waitcnt lgkmcnt(1)
	v_mul_f64 v[77:78], v[27:28], v[166:167]
	v_mul_f64 v[51:52], v[25:26], v[166:167]
	v_add_f64 v[37:38], v[37:38], v[71:72]
	v_fma_f64 v[71:72], v[23:24], v[170:171], v[79:80]
	v_add_f64 v[6:7], v[6:7], v[55:56]
	s_waitcnt vmcnt(41) lgkmcnt(0)
	v_mul_f64 v[79:80], v[4:5], v[174:175]
	s_waitcnt vmcnt(40)
	v_fma_f64 v[77:78], v[25:26], v[168:169], -v[77:78]
	ds_read_b128 v[21:24], v1 offset:1392
	v_mul_f64 v[55:56], v[2:3], v[174:175]
	v_fma_f64 v[51:52], v[27:28], v[168:169], v[51:52]
	ds_read_b128 v[25:28], v1 offset:1408
	v_add_f64 v[37:38], v[37:38], v[81:82]
	v_add_f64 v[6:7], v[6:7], v[71:72]
	s_waitcnt vmcnt(39) lgkmcnt(1)
	v_mul_f64 v[81:82], v[23:24], v[176:177]
	v_mul_f64 v[71:72], v[21:22], v[176:177]
	s_waitcnt vmcnt(37)
	v_fma_f64 v[79:80], v[2:3], v[31:32], -v[79:80]
	v_fma_f64 v[31:32], v[4:5], v[31:32], v[55:56]
	ds_read_b128 v[2:5], v1 offset:1424
	v_add_f64 v[37:38], v[37:38], v[77:78]
	v_add_f64 v[6:7], v[6:7], v[51:52]
	s_waitcnt vmcnt(33) lgkmcnt(1)
	v_mul_f64 v[51:52], v[25:26], v[39:40]
	v_mul_f64 v[39:40], v[27:28], v[39:40]
	s_waitcnt vmcnt(32)
	v_fma_f64 v[55:56], v[21:22], v[178:179], -v[81:82]
	;; [unrolled: 9-line block ×7, first 2 shown]
	v_fma_f64 v[31:32], v[4:5], v[43:44], v[31:32]
	ds_read_b128 v[2:5], v1 offset:1520
	v_add_f64 v[37:38], v[37:38], v[39:40]
	v_add_f64 v[6:7], v[6:7], v[29:30]
	s_waitcnt vmcnt(9) lgkmcnt(1)
	v_mul_f64 v[39:40], v[27:28], v[49:50]
	s_waitcnt vmcnt(8)
	v_fma_f64 v[21:22], v[21:22], v[182:183], -v[47:48]
	v_mul_f64 v[29:30], v[25:26], v[49:50]
	v_fma_f64 v[23:24], v[23:24], v[182:183], v[45:46]
	v_add_f64 v[37:38], v[37:38], v[41:42]
	v_add_f64 v[6:7], v[6:7], v[31:32]
	s_waitcnt vmcnt(7) lgkmcnt(0)
	v_mul_f64 v[41:42], v[4:5], v[65:66]
	v_mul_f64 v[31:32], v[2:3], v[65:66]
	s_waitcnt vmcnt(5)
	v_fma_f64 v[25:26], v[25:26], v[53:54], -v[39:40]
	v_fma_f64 v[27:28], v[27:28], v[53:54], v[29:30]
	v_add_f64 v[21:22], v[37:38], v[21:22]
	v_add_f64 v[6:7], v[6:7], v[23:24]
	s_waitcnt vmcnt(4)
	v_fma_f64 v[2:3], v[2:3], v[69:70], -v[41:42]
	v_fma_f64 v[4:5], v[4:5], v[69:70], v[31:32]
	v_add_f64 v[21:22], v[21:22], v[25:26]
	v_add_f64 v[6:7], v[6:7], v[27:28]
	;; [unrolled: 1-line block ×4, first 2 shown]
	s_waitcnt vmcnt(2)
	v_add_f64 v[2:3], v[59:60], -v[2:3]
	s_waitcnt vmcnt(0)
	v_add_f64 v[4:5], v[67:68], -v[4:5]
	buffer_store_dword v3, off, s[0:3], 0 offset:372
	buffer_store_dword v2, off, s[0:3], 0 offset:368
	;; [unrolled: 1-line block ×4, first 2 shown]
	v_cmpx_lt_u32_e32 21, v0
	s_cbranch_execz .LBB47_259
; %bb.258:
	v_mov_b32_e32 v5, s39
	s_clause 0x3
	buffer_load_dword v2, v5, s[0:3], 0 offen
	buffer_load_dword v3, v5, s[0:3], 0 offen offset:4
	buffer_load_dword v4, v5, s[0:3], 0 offen offset:8
	;; [unrolled: 1-line block ×3, first 2 shown]
	buffer_store_dword v1, off, s[0:3], 0 offset:352
	buffer_store_dword v1, off, s[0:3], 0 offset:356
	;; [unrolled: 1-line block ×4, first 2 shown]
	s_waitcnt vmcnt(0)
	ds_write_b128 v165, v[2:5]
.LBB47_259:
	s_or_b32 exec_lo, exec_lo, s4
	s_waitcnt lgkmcnt(0)
	s_waitcnt_vscnt null, 0x0
	s_barrier
	buffer_gl0_inv
	s_clause 0x37
	buffer_load_dword v6, off, s[0:3], 0 offset:376
	buffer_load_dword v7, off, s[0:3], 0 offset:380
	;; [unrolled: 1-line block ×56, first 2 shown]
	ds_read_b128 v[2:5], v1 offset:1120
	s_clause 0x2
	buffer_load_dword v167, off, s[0:3], 0 offset:604
	buffer_load_dword v171, off, s[0:3], 0 offset:580
	;; [unrolled: 1-line block ×3, first 2 shown]
	ds_read_b128 v[21:24], v1 offset:1136
	s_clause 0x4
	buffer_load_dword v175, off, s[0:3], 0 offset:620
	buffer_load_dword v176, off, s[0:3], 0 offset:632
	;; [unrolled: 1-line block ×5, first 2 shown]
	ds_read_b128 v[25:28], v1 offset:1152
	s_mov_b32 s4, exec_lo
	s_waitcnt vmcnt(62) lgkmcnt(2)
	v_mul_f64 v[172:173], v[4:5], v[6:7]
	v_mul_f64 v[6:7], v[2:3], v[6:7]
	s_waitcnt vmcnt(60) lgkmcnt(1)
	v_mul_f64 v[179:180], v[23:24], v[29:30]
	v_mul_f64 v[29:30], v[21:22], v[29:30]
	;; [unrolled: 3-line block ×3, first 2 shown]
	v_fma_f64 v[172:173], v[2:3], v[31:32], -v[172:173]
	v_fma_f64 v[6:7], v[4:5], v[31:32], v[6:7]
	s_clause 0x2
	buffer_load_dword v177, off, s[0:3], 0 offset:636
	buffer_load_dword v32, off, s[0:3], 0 offset:612
	;; [unrolled: 1-line block ×3, first 2 shown]
	s_waitcnt vmcnt(57)
	v_fma_f64 v[183:184], v[21:22], v[39:40], -v[179:180]
	ds_read_b128 v[2:5], v1 offset:1168
	v_fma_f64 v[29:30], v[23:24], v[39:40], v[29:30]
	s_clause 0x4
	buffer_load_dword v40, off, s[0:3], 0 offset:652
	buffer_load_dword v180, off, s[0:3], 0 offset:664
	;; [unrolled: 1-line block ×5, first 2 shown]
	s_waitcnt vmcnt(56)
	v_fma_f64 v[37:38], v[25:26], v[47:48], -v[37:38]
	ds_read_b128 v[21:24], v1 offset:1184
	v_fma_f64 v[47:48], v[27:28], v[47:48], v[181:182]
	v_add_f64 v[172:173], v[172:173], 0
	v_add_f64 v[6:7], v[6:7], 0
	s_waitcnt lgkmcnt(1)
	v_mul_f64 v[186:187], v[2:3], v[41:42]
	v_mul_f64 v[41:42], v[4:5], v[41:42]
	v_add_f64 v[172:173], v[172:173], v[183:184]
	v_add_f64 v[6:7], v[6:7], v[29:30]
	s_clause 0x2
	buffer_load_dword v181, off, s[0:3], 0 offset:668
	buffer_load_dword v30, off, s[0:3], 0 offset:644
	buffer_load_dword v29, off, s[0:3], 0 offset:640
	s_waitcnt vmcnt(58) lgkmcnt(0)
	v_mul_f64 v[182:183], v[21:22], v[43:44]
	v_mul_f64 v[43:44], v[23:24], v[43:44]
	s_waitcnt vmcnt(56)
	v_fma_f64 v[41:42], v[2:3], v[49:50], -v[41:42]
	ds_read_b128 v[25:28], v1 offset:1200
	v_fma_f64 v[49:50], v[4:5], v[49:50], v[186:187]
	v_add_f64 v[37:38], v[172:173], v[37:38]
	v_add_f64 v[6:7], v[6:7], v[47:48]
	s_clause 0x4
	buffer_load_dword v48, off, s[0:3], 0 offset:684
	buffer_load_dword v172, off, s[0:3], 0 offset:696
	;; [unrolled: 1-line block ×5, first 2 shown]
	ds_read_b128 v[2:5], v1 offset:1216
	s_waitcnt vmcnt(57) lgkmcnt(1)
	v_mul_f64 v[188:189], v[25:26], v[51:52]
	v_mul_f64 v[51:52], v[27:28], v[51:52]
	s_waitcnt vmcnt(56)
	v_fma_f64 v[43:44], v[21:22], v[45:46], -v[43:44]
	v_add_f64 v[37:38], v[37:38], v[41:42]
	v_fma_f64 v[41:42], v[23:24], v[45:46], v[182:183]
	v_add_f64 v[6:7], v[6:7], v[49:50]
	s_clause 0x2
	buffer_load_dword v173, off, s[0:3], 0 offset:700
	buffer_load_dword v46, off, s[0:3], 0 offset:676
	;; [unrolled: 1-line block ×3, first 2 shown]
	s_waitcnt vmcnt(58) lgkmcnt(0)
	v_mul_f64 v[49:50], v[2:3], v[53:54]
	v_mul_f64 v[53:54], v[4:5], v[53:54]
	s_waitcnt vmcnt(56)
	v_fma_f64 v[51:52], v[25:26], v[57:58], -v[51:52]
	ds_read_b128 v[21:24], v1 offset:1232
	v_add_f64 v[37:38], v[37:38], v[43:44]
	v_fma_f64 v[43:44], v[27:28], v[57:58], v[188:189]
	v_add_f64 v[6:7], v[6:7], v[41:42]
	s_clause 0x4
	buffer_load_dword v42, off, s[0:3], 0 offset:716
	buffer_load_dword v57, off, s[0:3], 0 offset:728
	;; [unrolled: 1-line block ×5, first 2 shown]
	ds_read_b128 v[25:28], v1 offset:1248
	s_waitcnt vmcnt(57) lgkmcnt(1)
	v_mul_f64 v[183:184], v[21:22], v[59:60]
	v_mul_f64 v[59:60], v[23:24], v[59:60]
	s_waitcnt vmcnt(56)
	v_fma_f64 v[53:54], v[2:3], v[55:56], -v[53:54]
	v_fma_f64 v[49:50], v[4:5], v[55:56], v[49:50]
	v_add_f64 v[37:38], v[37:38], v[51:52]
	v_add_f64 v[6:7], v[6:7], v[43:44]
	s_clause 0x2
	buffer_load_dword v58, off, s[0:3], 0 offset:732
	buffer_load_dword v44, off, s[0:3], 0 offset:708
	;; [unrolled: 1-line block ×3, first 2 shown]
	s_waitcnt vmcnt(58) lgkmcnt(0)
	v_mul_f64 v[55:56], v[27:28], v[65:66]
	ds_read_b128 v[2:5], v1 offset:1264
	s_waitcnt vmcnt(56)
	v_fma_f64 v[59:60], v[21:22], v[69:70], -v[59:60]
	v_mul_f64 v[51:52], v[25:26], v[65:66]
	v_add_f64 v[37:38], v[37:38], v[53:54]
	v_fma_f64 v[53:54], v[23:24], v[69:70], v[183:184]
	v_add_f64 v[6:7], v[6:7], v[49:50]
	s_clause 0x4
	buffer_load_dword v50, off, s[0:3], 0 offset:748
	buffer_load_dword v65, off, s[0:3], 0 offset:760
	;; [unrolled: 1-line block ×5, first 2 shown]
	s_waitcnt vmcnt(57) lgkmcnt(0)
	v_mul_f64 v[189:190], v[2:3], v[71:72]
	v_mul_f64 v[70:71], v[4:5], v[71:72]
	s_waitcnt vmcnt(56)
	v_fma_f64 v[55:56], v[25:26], v[67:68], -v[55:56]
	ds_read_b128 v[21:24], v1 offset:1280
	v_fma_f64 v[51:52], v[27:28], v[67:68], v[51:52]
	v_add_f64 v[37:38], v[37:38], v[59:60]
	v_add_f64 v[6:7], v[6:7], v[53:54]
	s_clause 0x2
	buffer_load_dword v66, off, s[0:3], 0 offset:764
	buffer_load_dword v54, off, s[0:3], 0 offset:740
	;; [unrolled: 1-line block ×3, first 2 shown]
	ds_read_b128 v[25:28], v1 offset:1296
	s_waitcnt vmcnt(58) lgkmcnt(1)
	v_mul_f64 v[67:68], v[23:24], v[77:78]
	s_waitcnt vmcnt(56)
	v_fma_f64 v[71:72], v[2:3], v[81:82], -v[70:71]
	v_mul_f64 v[59:60], v[21:22], v[77:78]
	v_add_f64 v[37:38], v[37:38], v[55:56]
	v_fma_f64 v[55:56], v[4:5], v[81:82], v[189:190]
	v_add_f64 v[6:7], v[6:7], v[51:52]
	s_clause 0x2
	buffer_load_dword v52, off, s[0:3], 0 offset:780
	buffer_load_dword v51, off, s[0:3], 0 offset:776
	;; [unrolled: 1-line block ×3, first 2 shown]
	s_waitcnt vmcnt(55) lgkmcnt(0)
	v_mul_f64 v[81:82], v[27:28], v[83:84]
	s_waitcnt vmcnt(54)
	v_fma_f64 v[67:68], v[21:22], v[79:80], -v[67:68]
	ds_read_b128 v[2:5], v1 offset:1312
	v_mul_f64 v[77:78], v[25:26], v[83:84]
	v_fma_f64 v[59:60], v[23:24], v[79:80], v[59:60]
	v_add_f64 v[37:38], v[37:38], v[71:72]
	v_add_f64 v[6:7], v[6:7], v[55:56]
	s_clause 0x1
	buffer_load_dword v56, off, s[0:3], 0 offset:772
	buffer_load_dword v55, off, s[0:3], 0 offset:768
	s_waitcnt vmcnt(55) lgkmcnt(0)
	v_mul_f64 v[79:80], v[4:5], v[85:86]
	s_waitcnt vmcnt(53)
	v_fma_f64 v[81:82], v[25:26], v[161:162], -v[81:82]
	ds_read_b128 v[21:24], v1 offset:1328
	v_mul_f64 v[71:72], v[2:3], v[85:86]
	v_add_f64 v[37:38], v[37:38], v[67:68]
	v_fma_f64 v[67:68], v[27:28], v[161:162], v[77:78]
	v_add_f64 v[6:7], v[6:7], v[59:60]
	ds_read_b128 v[25:28], v1 offset:1344
	s_waitcnt vmcnt(49) lgkmcnt(1)
	v_mul_f64 v[77:78], v[23:24], v[163:164]
	s_waitcnt vmcnt(48)
	v_fma_f64 v[79:80], v[2:3], v[87:88], -v[79:80]
	v_mul_f64 v[59:60], v[21:22], v[163:164]
	v_fma_f64 v[71:72], v[4:5], v[87:88], v[71:72]
	v_add_f64 v[37:38], v[37:38], v[81:82]
	s_waitcnt vmcnt(47) lgkmcnt(0)
	v_mul_f64 v[85:86], v[27:28], v[166:167]
	v_add_f64 v[6:7], v[6:7], v[67:68]
	s_clause 0x3
	buffer_load_dword v67, off, s[0:3], 0 offset:352
	buffer_load_dword v68, off, s[0:3], 0 offset:356
	;; [unrolled: 1-line block ×4, first 2 shown]
	s_waitcnt vmcnt(49)
	v_fma_f64 v[77:78], v[21:22], v[170:171], -v[77:78]
	ds_read_b128 v[2:5], v1 offset:1360
	v_mul_f64 v[83:84], v[25:26], v[166:167]
	v_fma_f64 v[59:60], v[23:24], v[170:171], v[59:60]
	ds_read_b128 v[21:24], v1 offset:1376
	v_add_f64 v[37:38], v[37:38], v[79:80]
	s_waitcnt vmcnt(44)
	v_fma_f64 v[85:86], v[25:26], v[168:169], -v[85:86]
	v_add_f64 v[6:7], v[6:7], v[71:72]
	s_waitcnt lgkmcnt(1)
	v_mul_f64 v[79:80], v[4:5], v[174:175]
	v_mul_f64 v[71:72], v[2:3], v[174:175]
	v_add_f64 v[37:38], v[37:38], v[77:78]
	v_fma_f64 v[77:78], v[27:28], v[168:169], v[83:84]
	v_add_f64 v[6:7], v[6:7], v[59:60]
	ds_read_b128 v[25:28], v1 offset:1392
	s_waitcnt vmcnt(43) lgkmcnt(1)
	v_mul_f64 v[83:84], v[23:24], v[176:177]
	v_mul_f64 v[59:60], v[21:22], v[176:177]
	s_waitcnt vmcnt(41)
	v_fma_f64 v[79:80], v[2:3], v[31:32], -v[79:80]
	v_fma_f64 v[31:32], v[4:5], v[31:32], v[71:72]
	ds_read_b128 v[2:5], v1 offset:1408
	v_add_f64 v[37:38], v[37:38], v[85:86]
	s_waitcnt vmcnt(37) lgkmcnt(1)
	v_mul_f64 v[71:72], v[25:26], v[39:40]
	v_add_f64 v[6:7], v[6:7], v[77:78]
	v_mul_f64 v[39:40], v[27:28], v[39:40]
	s_waitcnt vmcnt(36)
	v_fma_f64 v[77:78], v[21:22], v[178:179], -v[83:84]
	v_fma_f64 v[59:60], v[23:24], v[178:179], v[59:60]
	ds_read_b128 v[21:24], v1 offset:1424
	v_add_f64 v[37:38], v[37:38], v[79:80]
	v_add_f64 v[6:7], v[6:7], v[31:32]
	s_waitcnt vmcnt(35) lgkmcnt(1)
	v_mul_f64 v[79:80], v[4:5], v[180:181]
	v_mul_f64 v[31:32], v[2:3], v[180:181]
	s_waitcnt vmcnt(33)
	v_fma_f64 v[39:40], v[25:26], v[29:30], -v[39:40]
	v_fma_f64 v[29:30], v[27:28], v[29:30], v[71:72]
	ds_read_b128 v[25:28], v1 offset:1440
	v_add_f64 v[37:38], v[37:38], v[77:78]
	v_add_f64 v[6:7], v[6:7], v[59:60]
	s_waitcnt vmcnt(29) lgkmcnt(1)
	v_mul_f64 v[59:60], v[21:22], v[47:48]
	;; [unrolled: 9-line block ×6, first 2 shown]
	s_waitcnt vmcnt(12)
	v_fma_f64 v[43:44], v[21:22], v[182:183], -v[47:48]
	v_mul_f64 v[29:30], v[25:26], v[49:50]
	v_add_f64 v[37:38], v[37:38], v[41:42]
	v_fma_f64 v[41:42], v[23:24], v[182:183], v[45:46]
	v_add_f64 v[6:7], v[6:7], v[31:32]
	ds_read_b128 v[21:24], v1 offset:1520
	s_waitcnt vmcnt(11) lgkmcnt(1)
	v_mul_f64 v[45:46], v[4:5], v[65:66]
	v_mul_f64 v[31:32], v[2:3], v[65:66]
	s_waitcnt vmcnt(9)
	v_fma_f64 v[25:26], v[25:26], v[53:54], -v[39:40]
	v_fma_f64 v[27:28], v[27:28], v[53:54], v[29:30]
	v_add_f64 v[37:38], v[37:38], v[43:44]
	v_add_f64 v[6:7], v[6:7], v[41:42]
	s_waitcnt vmcnt(7) lgkmcnt(0)
	v_mul_f64 v[39:40], v[23:24], v[51:52]
	s_waitcnt vmcnt(6)
	v_fma_f64 v[1:2], v[2:3], v[69:70], -v[45:46]
	v_mul_f64 v[29:30], v[21:22], v[51:52]
	v_fma_f64 v[3:4], v[4:5], v[69:70], v[31:32]
	v_add_f64 v[25:26], v[37:38], v[25:26]
	v_add_f64 v[5:6], v[6:7], v[27:28]
	s_waitcnt vmcnt(4)
	v_fma_f64 v[7:8], v[21:22], v[55:56], -v[39:40]
	v_fma_f64 v[21:22], v[23:24], v[55:56], v[29:30]
	v_add_f64 v[1:2], v[25:26], v[1:2]
	v_add_f64 v[3:4], v[5:6], v[3:4]
	;; [unrolled: 1-line block ×4, first 2 shown]
	s_waitcnt vmcnt(2)
	v_add_f64 v[1:2], v[67:68], -v[1:2]
	s_waitcnt vmcnt(0)
	v_add_f64 v[3:4], v[81:82], -v[3:4]
	buffer_store_dword v2, off, s[0:3], 0 offset:356
	buffer_store_dword v1, off, s[0:3], 0 offset:352
	;; [unrolled: 1-line block ×4, first 2 shown]
	v_cmpx_lt_u32_e32 20, v0
	s_cbranch_execz .LBB47_261
; %bb.260:
	v_mov_b32_e32 v4, s40
	v_mov_b32_e32 v5, 0
	s_clause 0x3
	buffer_load_dword v1, v4, s[0:3], 0 offen
	buffer_load_dword v2, v4, s[0:3], 0 offen offset:4
	buffer_load_dword v3, v4, s[0:3], 0 offen offset:8
	;; [unrolled: 1-line block ×3, first 2 shown]
	buffer_store_dword v5, off, s[0:3], 0 offset:336
	buffer_store_dword v5, off, s[0:3], 0 offset:340
	;; [unrolled: 1-line block ×4, first 2 shown]
	s_waitcnt vmcnt(0)
	ds_write_b128 v165, v[1:4]
.LBB47_261:
	s_or_b32 exec_lo, exec_lo, s4
	s_waitcnt lgkmcnt(0)
	s_waitcnt_vscnt null, 0x0
	s_barrier
	buffer_gl0_inv
	s_clause 0x37
	buffer_load_dword v6, off, s[0:3], 0 offset:360
	buffer_load_dword v7, off, s[0:3], 0 offset:364
	;; [unrolled: 1-line block ×56, first 2 shown]
	v_mov_b32_e32 v1, 0
	s_mov_b32 s4, exec_lo
	ds_read_b128 v[2:5], v1 offset:1104
	s_clause 0x2
	buffer_load_dword v167, off, s[0:3], 0 offset:588
	buffer_load_dword v171, off, s[0:3], 0 offset:564
	;; [unrolled: 1-line block ×3, first 2 shown]
	ds_read_b128 v[21:24], v1 offset:1120
	s_clause 0x4
	buffer_load_dword v175, off, s[0:3], 0 offset:604
	buffer_load_dword v176, off, s[0:3], 0 offset:616
	;; [unrolled: 1-line block ×5, first 2 shown]
	ds_read_b128 v[25:28], v1 offset:1136
	s_waitcnt vmcnt(62) lgkmcnt(2)
	v_mul_f64 v[172:173], v[4:5], v[6:7]
	v_mul_f64 v[6:7], v[2:3], v[6:7]
	s_waitcnt vmcnt(60) lgkmcnt(1)
	v_mul_f64 v[179:180], v[23:24], v[29:30]
	v_mul_f64 v[29:30], v[21:22], v[29:30]
	;; [unrolled: 3-line block ×3, first 2 shown]
	v_fma_f64 v[172:173], v[2:3], v[31:32], -v[172:173]
	v_fma_f64 v[6:7], v[4:5], v[31:32], v[6:7]
	s_clause 0x2
	buffer_load_dword v177, off, s[0:3], 0 offset:620
	buffer_load_dword v32, off, s[0:3], 0 offset:596
	;; [unrolled: 1-line block ×3, first 2 shown]
	s_waitcnt vmcnt(57)
	v_fma_f64 v[183:184], v[21:22], v[39:40], -v[179:180]
	ds_read_b128 v[2:5], v1 offset:1152
	v_fma_f64 v[29:30], v[23:24], v[39:40], v[29:30]
	s_clause 0x4
	buffer_load_dword v40, off, s[0:3], 0 offset:636
	buffer_load_dword v180, off, s[0:3], 0 offset:648
	;; [unrolled: 1-line block ×5, first 2 shown]
	s_waitcnt vmcnt(56)
	v_fma_f64 v[37:38], v[25:26], v[47:48], -v[37:38]
	ds_read_b128 v[21:24], v1 offset:1168
	v_fma_f64 v[47:48], v[27:28], v[47:48], v[181:182]
	v_add_f64 v[172:173], v[172:173], 0
	v_add_f64 v[6:7], v[6:7], 0
	s_waitcnt lgkmcnt(1)
	v_mul_f64 v[186:187], v[2:3], v[41:42]
	v_mul_f64 v[41:42], v[4:5], v[41:42]
	v_add_f64 v[172:173], v[172:173], v[183:184]
	v_add_f64 v[6:7], v[6:7], v[29:30]
	s_clause 0x2
	buffer_load_dword v181, off, s[0:3], 0 offset:652
	buffer_load_dword v30, off, s[0:3], 0 offset:628
	;; [unrolled: 1-line block ×3, first 2 shown]
	s_waitcnt vmcnt(58) lgkmcnt(0)
	v_mul_f64 v[182:183], v[21:22], v[43:44]
	v_mul_f64 v[43:44], v[23:24], v[43:44]
	s_waitcnt vmcnt(56)
	v_fma_f64 v[41:42], v[2:3], v[49:50], -v[41:42]
	ds_read_b128 v[25:28], v1 offset:1184
	v_fma_f64 v[49:50], v[4:5], v[49:50], v[186:187]
	v_add_f64 v[37:38], v[172:173], v[37:38]
	v_add_f64 v[6:7], v[6:7], v[47:48]
	s_clause 0x4
	buffer_load_dword v48, off, s[0:3], 0 offset:668
	buffer_load_dword v172, off, s[0:3], 0 offset:680
	;; [unrolled: 1-line block ×5, first 2 shown]
	ds_read_b128 v[2:5], v1 offset:1200
	s_waitcnt vmcnt(57) lgkmcnt(1)
	v_mul_f64 v[188:189], v[25:26], v[51:52]
	v_mul_f64 v[51:52], v[27:28], v[51:52]
	s_waitcnt vmcnt(56)
	v_fma_f64 v[43:44], v[21:22], v[45:46], -v[43:44]
	v_add_f64 v[37:38], v[37:38], v[41:42]
	v_fma_f64 v[41:42], v[23:24], v[45:46], v[182:183]
	v_add_f64 v[6:7], v[6:7], v[49:50]
	s_clause 0x2
	buffer_load_dword v173, off, s[0:3], 0 offset:684
	buffer_load_dword v46, off, s[0:3], 0 offset:660
	;; [unrolled: 1-line block ×3, first 2 shown]
	s_waitcnt vmcnt(58) lgkmcnt(0)
	v_mul_f64 v[49:50], v[2:3], v[53:54]
	v_mul_f64 v[53:54], v[4:5], v[53:54]
	s_waitcnt vmcnt(56)
	v_fma_f64 v[51:52], v[25:26], v[57:58], -v[51:52]
	ds_read_b128 v[21:24], v1 offset:1216
	v_add_f64 v[37:38], v[37:38], v[43:44]
	v_fma_f64 v[43:44], v[27:28], v[57:58], v[188:189]
	v_add_f64 v[6:7], v[6:7], v[41:42]
	s_clause 0x4
	buffer_load_dword v42, off, s[0:3], 0 offset:700
	buffer_load_dword v57, off, s[0:3], 0 offset:712
	;; [unrolled: 1-line block ×5, first 2 shown]
	ds_read_b128 v[25:28], v1 offset:1232
	s_waitcnt vmcnt(57) lgkmcnt(1)
	v_mul_f64 v[183:184], v[21:22], v[59:60]
	v_mul_f64 v[59:60], v[23:24], v[59:60]
	s_waitcnt vmcnt(56)
	v_fma_f64 v[53:54], v[2:3], v[55:56], -v[53:54]
	v_fma_f64 v[49:50], v[4:5], v[55:56], v[49:50]
	v_add_f64 v[37:38], v[37:38], v[51:52]
	v_add_f64 v[6:7], v[6:7], v[43:44]
	s_clause 0x2
	buffer_load_dword v58, off, s[0:3], 0 offset:716
	buffer_load_dword v44, off, s[0:3], 0 offset:692
	;; [unrolled: 1-line block ×3, first 2 shown]
	s_waitcnt vmcnt(58) lgkmcnt(0)
	v_mul_f64 v[55:56], v[27:28], v[65:66]
	ds_read_b128 v[2:5], v1 offset:1248
	s_waitcnt vmcnt(56)
	v_fma_f64 v[59:60], v[21:22], v[69:70], -v[59:60]
	v_mul_f64 v[51:52], v[25:26], v[65:66]
	v_add_f64 v[37:38], v[37:38], v[53:54]
	v_fma_f64 v[53:54], v[23:24], v[69:70], v[183:184]
	v_add_f64 v[6:7], v[6:7], v[49:50]
	s_clause 0x4
	buffer_load_dword v50, off, s[0:3], 0 offset:732
	buffer_load_dword v65, off, s[0:3], 0 offset:744
	;; [unrolled: 1-line block ×5, first 2 shown]
	s_waitcnt vmcnt(57) lgkmcnt(0)
	v_mul_f64 v[189:190], v[2:3], v[71:72]
	v_mul_f64 v[70:71], v[4:5], v[71:72]
	s_waitcnt vmcnt(56)
	v_fma_f64 v[55:56], v[25:26], v[67:68], -v[55:56]
	ds_read_b128 v[21:24], v1 offset:1264
	v_fma_f64 v[51:52], v[27:28], v[67:68], v[51:52]
	v_add_f64 v[37:38], v[37:38], v[59:60]
	v_add_f64 v[6:7], v[6:7], v[53:54]
	s_clause 0x2
	buffer_load_dword v66, off, s[0:3], 0 offset:748
	buffer_load_dword v54, off, s[0:3], 0 offset:724
	;; [unrolled: 1-line block ×3, first 2 shown]
	ds_read_b128 v[25:28], v1 offset:1280
	s_waitcnt vmcnt(58) lgkmcnt(1)
	v_mul_f64 v[67:68], v[23:24], v[77:78]
	s_waitcnt vmcnt(56)
	v_fma_f64 v[71:72], v[2:3], v[81:82], -v[70:71]
	v_mul_f64 v[59:60], v[21:22], v[77:78]
	v_add_f64 v[37:38], v[37:38], v[55:56]
	v_fma_f64 v[55:56], v[4:5], v[81:82], v[189:190]
	v_add_f64 v[6:7], v[6:7], v[51:52]
	s_clause 0x4
	buffer_load_dword v52, off, s[0:3], 0 offset:764
	buffer_load_dword v77, off, s[0:3], 0 offset:776
	;; [unrolled: 1-line block ×5, first 2 shown]
	s_waitcnt vmcnt(57) lgkmcnt(0)
	v_mul_f64 v[189:190], v[25:26], v[83:84]
	v_mul_f64 v[82:83], v[27:28], v[83:84]
	s_waitcnt vmcnt(56)
	v_fma_f64 v[67:68], v[21:22], v[79:80], -v[67:68]
	ds_read_b128 v[2:5], v1 offset:1296
	v_fma_f64 v[59:60], v[23:24], v[79:80], v[59:60]
	v_add_f64 v[37:38], v[37:38], v[71:72]
	v_add_f64 v[6:7], v[6:7], v[55:56]
	s_clause 0x2
	buffer_load_dword v78, off, s[0:3], 0 offset:780
	buffer_load_dword v56, off, s[0:3], 0 offset:756
	buffer_load_dword v55, off, s[0:3], 0 offset:752
	ds_read_b128 v[21:24], v1 offset:1312
	s_waitcnt vmcnt(58) lgkmcnt(1)
	v_mul_f64 v[79:80], v[4:5], v[85:86]
	s_waitcnt vmcnt(56)
	v_fma_f64 v[83:84], v[25:26], v[161:162], -v[82:83]
	v_mul_f64 v[71:72], v[2:3], v[85:86]
	buffer_load_dword v82, off, s[0:3], 0 offset:772
	v_add_f64 v[37:38], v[37:38], v[67:68]
	v_fma_f64 v[67:68], v[27:28], v[161:162], v[189:190]
	v_add_f64 v[6:7], v[6:7], v[59:60]
	ds_read_b128 v[25:28], v1 offset:1328
	s_waitcnt vmcnt(53) lgkmcnt(1)
	v_mul_f64 v[85:86], v[23:24], v[163:164]
	s_waitcnt vmcnt(52)
	v_fma_f64 v[79:80], v[2:3], v[87:88], -v[79:80]
	v_mul_f64 v[59:60], v[21:22], v[163:164]
	v_fma_f64 v[71:72], v[4:5], v[87:88], v[71:72]
	ds_read_b128 v[2:5], v1 offset:1344
	v_add_f64 v[37:38], v[37:38], v[83:84]
	s_waitcnt vmcnt(51) lgkmcnt(1)
	v_mul_f64 v[83:84], v[27:28], v[166:167]
	v_add_f64 v[6:7], v[6:7], v[67:68]
	v_mul_f64 v[67:68], v[25:26], v[166:167]
	s_waitcnt vmcnt(49)
	v_fma_f64 v[85:86], v[21:22], v[170:171], -v[85:86]
	v_fma_f64 v[59:60], v[23:24], v[170:171], v[59:60]
	s_waitcnt vmcnt(45) lgkmcnt(0)
	v_mul_f64 v[161:162], v[4:5], v[174:175]
	v_mul_f64 v[87:88], v[2:3], v[174:175]
	v_add_f64 v[37:38], v[37:38], v[79:80]
	s_waitcnt vmcnt(44)
	v_fma_f64 v[83:84], v[25:26], v[168:169], -v[83:84]
	v_add_f64 v[6:7], v[6:7], v[71:72]
	s_clause 0x3
	buffer_load_dword v71, off, s[0:3], 0 offset:336
	buffer_load_dword v72, off, s[0:3], 0 offset:340
	;; [unrolled: 1-line block ×4, first 2 shown]
	ds_read_b128 v[21:24], v1 offset:1360
	v_fma_f64 v[67:68], v[27:28], v[168:169], v[67:68]
	ds_read_b128 v[25:28], v1 offset:1376
	v_add_f64 v[37:38], v[37:38], v[85:86]
	v_add_f64 v[6:7], v[6:7], v[59:60]
	s_waitcnt vmcnt(47) lgkmcnt(1)
	v_mul_f64 v[85:86], v[23:24], v[176:177]
	v_mul_f64 v[59:60], v[21:22], v[176:177]
	s_waitcnt vmcnt(45)
	v_fma_f64 v[161:162], v[2:3], v[31:32], -v[161:162]
	v_fma_f64 v[31:32], v[4:5], v[31:32], v[87:88]
	ds_read_b128 v[2:5], v1 offset:1392
	v_add_f64 v[37:38], v[37:38], v[83:84]
	v_add_f64 v[6:7], v[6:7], v[67:68]
	s_waitcnt vmcnt(41) lgkmcnt(1)
	v_mul_f64 v[67:68], v[25:26], v[39:40]
	v_mul_f64 v[39:40], v[27:28], v[39:40]
	s_waitcnt vmcnt(40)
	v_fma_f64 v[83:84], v[21:22], v[178:179], -v[85:86]
	;; [unrolled: 9-line block ×7, first 2 shown]
	v_fma_f64 v[31:32], v[4:5], v[43:44], v[31:32]
	ds_read_b128 v[2:5], v1 offset:1488
	v_add_f64 v[37:38], v[37:38], v[39:40]
	v_add_f64 v[6:7], v[6:7], v[29:30]
	s_waitcnt vmcnt(17) lgkmcnt(1)
	v_mul_f64 v[39:40], v[27:28], v[49:50]
	s_waitcnt vmcnt(16)
	v_fma_f64 v[43:44], v[21:22], v[182:183], -v[47:48]
	v_mul_f64 v[29:30], v[25:26], v[49:50]
	v_add_f64 v[37:38], v[37:38], v[41:42]
	v_fma_f64 v[41:42], v[23:24], v[182:183], v[45:46]
	v_add_f64 v[6:7], v[6:7], v[31:32]
	ds_read_b128 v[21:24], v1 offset:1504
	s_waitcnt vmcnt(15) lgkmcnt(1)
	v_mul_f64 v[45:46], v[4:5], v[65:66]
	v_mul_f64 v[31:32], v[2:3], v[65:66]
	s_waitcnt vmcnt(13)
	v_fma_f64 v[39:40], v[25:26], v[53:54], -v[39:40]
	v_fma_f64 v[29:30], v[27:28], v[53:54], v[29:30]
	ds_read_b128 v[25:28], v1 offset:1520
	v_add_f64 v[37:38], v[37:38], v[43:44]
	v_add_f64 v[6:7], v[6:7], v[41:42]
	s_waitcnt vmcnt(9) lgkmcnt(1)
	v_mul_f64 v[43:44], v[23:24], v[51:52]
	s_waitcnt vmcnt(8)
	v_fma_f64 v[2:3], v[2:3], v[69:70], -v[45:46]
	v_mul_f64 v[41:42], v[21:22], v[51:52]
	v_fma_f64 v[4:5], v[4:5], v[69:70], v[31:32]
	v_add_f64 v[37:38], v[37:38], v[39:40]
	v_add_f64 v[6:7], v[6:7], v[29:30]
	s_waitcnt vmcnt(7) lgkmcnt(0)
	v_mul_f64 v[31:32], v[27:28], v[77:78]
	v_mul_f64 v[29:30], v[25:26], v[77:78]
	s_waitcnt vmcnt(5)
	v_fma_f64 v[21:22], v[21:22], v[55:56], -v[43:44]
	v_fma_f64 v[23:24], v[23:24], v[55:56], v[41:42]
	v_add_f64 v[2:3], v[37:38], v[2:3]
	v_add_f64 v[4:5], v[6:7], v[4:5]
	s_waitcnt vmcnt(4)
	v_fma_f64 v[6:7], v[25:26], v[81:82], -v[31:32]
	v_add_f64 v[2:3], v[2:3], v[21:22]
	v_fma_f64 v[21:22], v[27:28], v[81:82], v[29:30]
	v_add_f64 v[4:5], v[4:5], v[23:24]
	v_add_f64 v[2:3], v[2:3], v[6:7]
	;; [unrolled: 1-line block ×3, first 2 shown]
	s_waitcnt vmcnt(2)
	v_add_f64 v[2:3], v[71:72], -v[2:3]
	s_waitcnt vmcnt(0)
	v_add_f64 v[4:5], v[79:80], -v[4:5]
	buffer_store_dword v3, off, s[0:3], 0 offset:340
	buffer_store_dword v2, off, s[0:3], 0 offset:336
	;; [unrolled: 1-line block ×4, first 2 shown]
	v_cmpx_lt_u32_e32 19, v0
	s_cbranch_execz .LBB47_263
; %bb.262:
	v_mov_b32_e32 v5, s41
	s_clause 0x3
	buffer_load_dword v2, v5, s[0:3], 0 offen
	buffer_load_dword v3, v5, s[0:3], 0 offen offset:4
	buffer_load_dword v4, v5, s[0:3], 0 offen offset:8
	;; [unrolled: 1-line block ×3, first 2 shown]
	buffer_store_dword v1, off, s[0:3], 0 offset:320
	buffer_store_dword v1, off, s[0:3], 0 offset:324
	;; [unrolled: 1-line block ×4, first 2 shown]
	s_waitcnt vmcnt(0)
	ds_write_b128 v165, v[2:5]
.LBB47_263:
	s_or_b32 exec_lo, exec_lo, s4
	s_waitcnt lgkmcnt(0)
	s_waitcnt_vscnt null, 0x0
	s_barrier
	buffer_gl0_inv
	s_clause 0x37
	buffer_load_dword v6, off, s[0:3], 0 offset:344
	buffer_load_dword v7, off, s[0:3], 0 offset:348
	;; [unrolled: 1-line block ×56, first 2 shown]
	ds_read_b128 v[2:5], v1 offset:1088
	s_clause 0x2
	buffer_load_dword v167, off, s[0:3], 0 offset:572
	buffer_load_dword v171, off, s[0:3], 0 offset:548
	;; [unrolled: 1-line block ×3, first 2 shown]
	ds_read_b128 v[21:24], v1 offset:1104
	s_clause 0x4
	buffer_load_dword v175, off, s[0:3], 0 offset:588
	buffer_load_dword v176, off, s[0:3], 0 offset:600
	buffer_load_dword v178, off, s[0:3], 0 offset:592
	buffer_load_dword v174, off, s[0:3], 0 offset:584
	buffer_load_dword v169, off, s[0:3], 0 offset:564
	ds_read_b128 v[25:28], v1 offset:1120
	s_mov_b32 s4, exec_lo
	s_waitcnt vmcnt(62) lgkmcnt(2)
	v_mul_f64 v[172:173], v[4:5], v[6:7]
	v_mul_f64 v[6:7], v[2:3], v[6:7]
	s_waitcnt vmcnt(60) lgkmcnt(1)
	v_mul_f64 v[179:180], v[23:24], v[29:30]
	v_mul_f64 v[29:30], v[21:22], v[29:30]
	;; [unrolled: 3-line block ×3, first 2 shown]
	v_fma_f64 v[172:173], v[2:3], v[31:32], -v[172:173]
	v_fma_f64 v[6:7], v[4:5], v[31:32], v[6:7]
	s_clause 0x2
	buffer_load_dword v177, off, s[0:3], 0 offset:604
	buffer_load_dword v32, off, s[0:3], 0 offset:580
	;; [unrolled: 1-line block ×3, first 2 shown]
	s_waitcnt vmcnt(57)
	v_fma_f64 v[183:184], v[21:22], v[39:40], -v[179:180]
	ds_read_b128 v[2:5], v1 offset:1136
	v_fma_f64 v[29:30], v[23:24], v[39:40], v[29:30]
	s_clause 0x4
	buffer_load_dword v40, off, s[0:3], 0 offset:620
	buffer_load_dword v180, off, s[0:3], 0 offset:632
	;; [unrolled: 1-line block ×5, first 2 shown]
	s_waitcnt vmcnt(56)
	v_fma_f64 v[37:38], v[25:26], v[47:48], -v[37:38]
	ds_read_b128 v[21:24], v1 offset:1152
	v_fma_f64 v[47:48], v[27:28], v[47:48], v[181:182]
	v_add_f64 v[172:173], v[172:173], 0
	v_add_f64 v[6:7], v[6:7], 0
	s_waitcnt lgkmcnt(1)
	v_mul_f64 v[186:187], v[2:3], v[41:42]
	v_mul_f64 v[41:42], v[4:5], v[41:42]
	v_add_f64 v[172:173], v[172:173], v[183:184]
	v_add_f64 v[6:7], v[6:7], v[29:30]
	s_clause 0x2
	buffer_load_dword v181, off, s[0:3], 0 offset:636
	buffer_load_dword v30, off, s[0:3], 0 offset:612
	;; [unrolled: 1-line block ×3, first 2 shown]
	s_waitcnt vmcnt(58) lgkmcnt(0)
	v_mul_f64 v[182:183], v[21:22], v[43:44]
	v_mul_f64 v[43:44], v[23:24], v[43:44]
	s_waitcnt vmcnt(56)
	v_fma_f64 v[41:42], v[2:3], v[49:50], -v[41:42]
	ds_read_b128 v[25:28], v1 offset:1168
	v_fma_f64 v[49:50], v[4:5], v[49:50], v[186:187]
	v_add_f64 v[37:38], v[172:173], v[37:38]
	v_add_f64 v[6:7], v[6:7], v[47:48]
	s_clause 0x4
	buffer_load_dword v48, off, s[0:3], 0 offset:652
	buffer_load_dword v172, off, s[0:3], 0 offset:664
	;; [unrolled: 1-line block ×5, first 2 shown]
	ds_read_b128 v[2:5], v1 offset:1184
	s_waitcnt vmcnt(57) lgkmcnt(1)
	v_mul_f64 v[188:189], v[25:26], v[51:52]
	v_mul_f64 v[51:52], v[27:28], v[51:52]
	s_waitcnt vmcnt(56)
	v_fma_f64 v[43:44], v[21:22], v[45:46], -v[43:44]
	v_add_f64 v[37:38], v[37:38], v[41:42]
	v_fma_f64 v[41:42], v[23:24], v[45:46], v[182:183]
	v_add_f64 v[6:7], v[6:7], v[49:50]
	s_clause 0x2
	buffer_load_dword v173, off, s[0:3], 0 offset:668
	buffer_load_dword v46, off, s[0:3], 0 offset:644
	buffer_load_dword v45, off, s[0:3], 0 offset:640
	s_waitcnt vmcnt(58) lgkmcnt(0)
	v_mul_f64 v[49:50], v[2:3], v[53:54]
	v_mul_f64 v[53:54], v[4:5], v[53:54]
	s_waitcnt vmcnt(56)
	v_fma_f64 v[51:52], v[25:26], v[57:58], -v[51:52]
	ds_read_b128 v[21:24], v1 offset:1200
	v_add_f64 v[37:38], v[37:38], v[43:44]
	v_fma_f64 v[43:44], v[27:28], v[57:58], v[188:189]
	v_add_f64 v[6:7], v[6:7], v[41:42]
	s_clause 0x4
	buffer_load_dword v42, off, s[0:3], 0 offset:684
	buffer_load_dword v57, off, s[0:3], 0 offset:696
	;; [unrolled: 1-line block ×5, first 2 shown]
	ds_read_b128 v[25:28], v1 offset:1216
	s_waitcnt vmcnt(57) lgkmcnt(1)
	v_mul_f64 v[183:184], v[21:22], v[59:60]
	v_mul_f64 v[59:60], v[23:24], v[59:60]
	s_waitcnt vmcnt(56)
	v_fma_f64 v[53:54], v[2:3], v[55:56], -v[53:54]
	v_fma_f64 v[49:50], v[4:5], v[55:56], v[49:50]
	v_add_f64 v[37:38], v[37:38], v[51:52]
	v_add_f64 v[6:7], v[6:7], v[43:44]
	s_clause 0x2
	buffer_load_dword v58, off, s[0:3], 0 offset:700
	buffer_load_dword v44, off, s[0:3], 0 offset:676
	;; [unrolled: 1-line block ×3, first 2 shown]
	s_waitcnt vmcnt(58) lgkmcnt(0)
	v_mul_f64 v[55:56], v[27:28], v[65:66]
	ds_read_b128 v[2:5], v1 offset:1232
	s_waitcnt vmcnt(56)
	v_fma_f64 v[59:60], v[21:22], v[69:70], -v[59:60]
	v_mul_f64 v[51:52], v[25:26], v[65:66]
	v_add_f64 v[37:38], v[37:38], v[53:54]
	v_fma_f64 v[53:54], v[23:24], v[69:70], v[183:184]
	v_add_f64 v[6:7], v[6:7], v[49:50]
	s_clause 0x4
	buffer_load_dword v50, off, s[0:3], 0 offset:716
	buffer_load_dword v65, off, s[0:3], 0 offset:728
	;; [unrolled: 1-line block ×5, first 2 shown]
	s_waitcnt vmcnt(57) lgkmcnt(0)
	v_mul_f64 v[189:190], v[2:3], v[71:72]
	v_mul_f64 v[70:71], v[4:5], v[71:72]
	s_waitcnt vmcnt(56)
	v_fma_f64 v[55:56], v[25:26], v[67:68], -v[55:56]
	ds_read_b128 v[21:24], v1 offset:1248
	v_fma_f64 v[51:52], v[27:28], v[67:68], v[51:52]
	v_add_f64 v[37:38], v[37:38], v[59:60]
	v_add_f64 v[6:7], v[6:7], v[53:54]
	s_clause 0x2
	buffer_load_dword v66, off, s[0:3], 0 offset:732
	buffer_load_dword v54, off, s[0:3], 0 offset:708
	;; [unrolled: 1-line block ×3, first 2 shown]
	ds_read_b128 v[25:28], v1 offset:1264
	s_waitcnt vmcnt(58) lgkmcnt(1)
	v_mul_f64 v[67:68], v[23:24], v[77:78]
	s_waitcnt vmcnt(56)
	v_fma_f64 v[71:72], v[2:3], v[81:82], -v[70:71]
	v_mul_f64 v[59:60], v[21:22], v[77:78]
	v_add_f64 v[37:38], v[37:38], v[55:56]
	v_fma_f64 v[55:56], v[4:5], v[81:82], v[189:190]
	v_add_f64 v[6:7], v[6:7], v[51:52]
	s_clause 0x4
	buffer_load_dword v52, off, s[0:3], 0 offset:748
	buffer_load_dword v77, off, s[0:3], 0 offset:760
	;; [unrolled: 1-line block ×5, first 2 shown]
	s_waitcnt vmcnt(57) lgkmcnt(0)
	v_mul_f64 v[189:190], v[25:26], v[83:84]
	v_mul_f64 v[82:83], v[27:28], v[83:84]
	s_waitcnt vmcnt(56)
	v_fma_f64 v[67:68], v[21:22], v[79:80], -v[67:68]
	ds_read_b128 v[2:5], v1 offset:1280
	v_fma_f64 v[59:60], v[23:24], v[79:80], v[59:60]
	v_add_f64 v[37:38], v[37:38], v[71:72]
	v_add_f64 v[6:7], v[6:7], v[55:56]
	s_clause 0x2
	buffer_load_dword v78, off, s[0:3], 0 offset:764
	buffer_load_dword v56, off, s[0:3], 0 offset:740
	;; [unrolled: 1-line block ×3, first 2 shown]
	ds_read_b128 v[21:24], v1 offset:1296
	s_waitcnt vmcnt(58) lgkmcnt(1)
	v_mul_f64 v[79:80], v[4:5], v[85:86]
	s_waitcnt vmcnt(56)
	v_fma_f64 v[83:84], v[25:26], v[161:162], -v[82:83]
	v_mul_f64 v[71:72], v[2:3], v[85:86]
	v_add_f64 v[37:38], v[37:38], v[67:68]
	v_fma_f64 v[67:68], v[27:28], v[161:162], v[189:190]
	v_add_f64 v[6:7], v[6:7], v[59:60]
	s_clause 0x2
	buffer_load_dword v60, off, s[0:3], 0 offset:780
	buffer_load_dword v59, off, s[0:3], 0 offset:776
	;; [unrolled: 1-line block ×3, first 2 shown]
	s_waitcnt vmcnt(55) lgkmcnt(0)
	v_mul_f64 v[161:162], v[23:24], v[163:164]
	s_waitcnt vmcnt(54)
	v_fma_f64 v[79:80], v[2:3], v[87:88], -v[79:80]
	ds_read_b128 v[25:28], v1 offset:1312
	v_mul_f64 v[85:86], v[21:22], v[163:164]
	v_fma_f64 v[71:72], v[4:5], v[87:88], v[71:72]
	v_add_f64 v[37:38], v[37:38], v[83:84]
	v_add_f64 v[6:7], v[6:7], v[67:68]
	s_clause 0x1
	buffer_load_dword v68, off, s[0:3], 0 offset:772
	buffer_load_dword v67, off, s[0:3], 0 offset:768
	s_waitcnt vmcnt(55) lgkmcnt(0)
	v_mul_f64 v[87:88], v[27:28], v[166:167]
	s_waitcnt vmcnt(53)
	v_fma_f64 v[161:162], v[21:22], v[170:171], -v[161:162]
	ds_read_b128 v[2:5], v1 offset:1328
	v_mul_f64 v[83:84], v[25:26], v[166:167]
	v_add_f64 v[37:38], v[37:38], v[79:80]
	v_fma_f64 v[79:80], v[23:24], v[170:171], v[85:86]
	v_add_f64 v[6:7], v[6:7], v[71:72]
	ds_read_b128 v[21:24], v1 offset:1344
	s_waitcnt vmcnt(49) lgkmcnt(1)
	v_mul_f64 v[85:86], v[4:5], v[174:175]
	s_waitcnt vmcnt(48)
	v_fma_f64 v[87:88], v[25:26], v[168:169], -v[87:88]
	v_mul_f64 v[71:72], v[2:3], v[174:175]
	v_fma_f64 v[83:84], v[27:28], v[168:169], v[83:84]
	v_add_f64 v[37:38], v[37:38], v[161:162]
	v_add_f64 v[6:7], v[6:7], v[79:80]
	s_clause 0x3
	buffer_load_dword v79, off, s[0:3], 0 offset:320
	buffer_load_dword v80, off, s[0:3], 0 offset:324
	;; [unrolled: 1-line block ×4, first 2 shown]
	ds_read_b128 v[25:28], v1 offset:1360
	s_waitcnt vmcnt(51) lgkmcnt(1)
	v_mul_f64 v[166:167], v[23:24], v[176:177]
	v_mul_f64 v[163:164], v[21:22], v[176:177]
	s_waitcnt vmcnt(49)
	v_fma_f64 v[85:86], v[2:3], v[31:32], -v[85:86]
	v_fma_f64 v[31:32], v[4:5], v[31:32], v[71:72]
	ds_read_b128 v[2:5], v1 offset:1376
	v_add_f64 v[37:38], v[37:38], v[87:88]
	v_add_f64 v[6:7], v[6:7], v[83:84]
	s_waitcnt vmcnt(45) lgkmcnt(1)
	v_mul_f64 v[71:72], v[25:26], v[39:40]
	v_mul_f64 v[39:40], v[27:28], v[39:40]
	s_waitcnt vmcnt(44)
	v_fma_f64 v[83:84], v[21:22], v[178:179], -v[166:167]
	v_add_f64 v[37:38], v[37:38], v[85:86]
	v_fma_f64 v[85:86], v[23:24], v[178:179], v[163:164]
	v_add_f64 v[6:7], v[6:7], v[31:32]
	ds_read_b128 v[21:24], v1 offset:1392
	s_waitcnt vmcnt(43) lgkmcnt(1)
	v_mul_f64 v[87:88], v[4:5], v[180:181]
	v_mul_f64 v[31:32], v[2:3], v[180:181]
	s_waitcnt vmcnt(41)
	v_fma_f64 v[39:40], v[25:26], v[29:30], -v[39:40]
	v_fma_f64 v[29:30], v[27:28], v[29:30], v[71:72]
	ds_read_b128 v[25:28], v1 offset:1408
	v_add_f64 v[37:38], v[37:38], v[83:84]
	v_add_f64 v[6:7], v[6:7], v[85:86]
	s_waitcnt vmcnt(37) lgkmcnt(1)
	v_mul_f64 v[71:72], v[21:22], v[47:48]
	v_mul_f64 v[47:48], v[23:24], v[47:48]
	s_waitcnt vmcnt(36)
	v_fma_f64 v[83:84], v[2:3], v[185:186], -v[87:88]
	v_fma_f64 v[31:32], v[4:5], v[185:186], v[31:32]
	ds_read_b128 v[2:5], v1 offset:1424
	v_add_f64 v[37:38], v[37:38], v[39:40]
	v_add_f64 v[6:7], v[6:7], v[29:30]
	;; [unrolled: 9-line block ×5, first 2 shown]
	s_waitcnt vmcnt(21) lgkmcnt(1)
	v_mul_f64 v[39:40], v[27:28], v[49:50]
	s_waitcnt vmcnt(20)
	v_fma_f64 v[43:44], v[21:22], v[182:183], -v[47:48]
	v_mul_f64 v[29:30], v[25:26], v[49:50]
	v_add_f64 v[37:38], v[37:38], v[41:42]
	v_fma_f64 v[41:42], v[23:24], v[182:183], v[45:46]
	v_add_f64 v[6:7], v[6:7], v[31:32]
	ds_read_b128 v[21:24], v1 offset:1488
	s_waitcnt vmcnt(19) lgkmcnt(1)
	v_mul_f64 v[45:46], v[4:5], v[65:66]
	v_mul_f64 v[31:32], v[2:3], v[65:66]
	s_waitcnt vmcnt(17)
	v_fma_f64 v[39:40], v[25:26], v[53:54], -v[39:40]
	v_fma_f64 v[29:30], v[27:28], v[53:54], v[29:30]
	ds_read_b128 v[25:28], v1 offset:1504
	v_add_f64 v[37:38], v[37:38], v[43:44]
	v_add_f64 v[6:7], v[6:7], v[41:42]
	s_waitcnt vmcnt(13) lgkmcnt(1)
	v_mul_f64 v[43:44], v[23:24], v[51:52]
	s_waitcnt vmcnt(12)
	v_fma_f64 v[45:46], v[2:3], v[69:70], -v[45:46]
	v_mul_f64 v[41:42], v[21:22], v[51:52]
	v_fma_f64 v[31:32], v[4:5], v[69:70], v[31:32]
	ds_read_b128 v[1:4], v1 offset:1520
	v_add_f64 v[37:38], v[37:38], v[39:40]
	v_add_f64 v[5:6], v[6:7], v[29:30]
	s_waitcnt vmcnt(11) lgkmcnt(1)
	v_mul_f64 v[29:30], v[27:28], v[77:78]
	v_mul_f64 v[7:8], v[25:26], v[77:78]
	s_waitcnt vmcnt(9)
	v_fma_f64 v[21:22], v[21:22], v[55:56], -v[43:44]
	v_fma_f64 v[23:24], v[23:24], v[55:56], v[41:42]
	v_add_f64 v[37:38], v[37:38], v[45:46]
	v_add_f64 v[5:6], v[5:6], v[31:32]
	s_waitcnt vmcnt(7) lgkmcnt(0)
	v_mul_f64 v[39:40], v[3:4], v[59:60]
	s_waitcnt vmcnt(6)
	v_fma_f64 v[25:26], v[25:26], v[81:82], -v[29:30]
	v_mul_f64 v[31:32], v[1:2], v[59:60]
	v_fma_f64 v[7:8], v[27:28], v[81:82], v[7:8]
	v_add_f64 v[21:22], v[37:38], v[21:22]
	v_add_f64 v[5:6], v[5:6], v[23:24]
	s_waitcnt vmcnt(4)
	v_fma_f64 v[1:2], v[1:2], v[67:68], -v[39:40]
	v_fma_f64 v[3:4], v[3:4], v[67:68], v[31:32]
	v_add_f64 v[21:22], v[21:22], v[25:26]
	v_add_f64 v[5:6], v[5:6], v[7:8]
	v_add_f64 v[1:2], v[21:22], v[1:2]
	v_add_f64 v[3:4], v[5:6], v[3:4]
	s_waitcnt vmcnt(2)
	v_add_f64 v[1:2], v[79:80], -v[1:2]
	s_waitcnt vmcnt(0)
	v_add_f64 v[3:4], v[161:162], -v[3:4]
	buffer_store_dword v2, off, s[0:3], 0 offset:324
	buffer_store_dword v1, off, s[0:3], 0 offset:320
	;; [unrolled: 1-line block ×4, first 2 shown]
	v_cmpx_lt_u32_e32 18, v0
	s_cbranch_execz .LBB47_265
; %bb.264:
	v_mov_b32_e32 v4, s42
	v_mov_b32_e32 v5, 0
	s_clause 0x3
	buffer_load_dword v1, v4, s[0:3], 0 offen
	buffer_load_dword v2, v4, s[0:3], 0 offen offset:4
	buffer_load_dword v3, v4, s[0:3], 0 offen offset:8
	;; [unrolled: 1-line block ×3, first 2 shown]
	buffer_store_dword v5, off, s[0:3], 0 offset:304
	buffer_store_dword v5, off, s[0:3], 0 offset:308
	;; [unrolled: 1-line block ×4, first 2 shown]
	s_waitcnt vmcnt(0)
	ds_write_b128 v165, v[1:4]
.LBB47_265:
	s_or_b32 exec_lo, exec_lo, s4
	s_waitcnt lgkmcnt(0)
	s_waitcnt_vscnt null, 0x0
	s_barrier
	buffer_gl0_inv
	s_clause 0x37
	buffer_load_dword v21, off, s[0:3], 0 offset:328
	buffer_load_dword v22, off, s[0:3], 0 offset:332
	;; [unrolled: 1-line block ×56, first 2 shown]
	v_mov_b32_e32 v23, 0
	s_mov_b32 s4, exec_lo
	ds_read_b128 v[5:8], v23 offset:1072
	s_clause 0x2
	buffer_load_dword v167, off, s[0:3], 0 offset:556
	buffer_load_dword v171, off, s[0:3], 0 offset:532
	buffer_load_dword v170, off, s[0:3], 0 offset:528
	ds_read_b128 v[24:27], v23 offset:1088
	s_clause 0x4
	buffer_load_dword v175, off, s[0:3], 0 offset:572
	buffer_load_dword v176, off, s[0:3], 0 offset:584
	;; [unrolled: 1-line block ×5, first 2 shown]
	ds_read_b128 v[28:31], v23 offset:1104
	s_waitcnt vmcnt(62) lgkmcnt(2)
	v_mul_f64 v[172:173], v[7:8], v[21:22]
	v_mul_f64 v[21:22], v[5:6], v[21:22]
	s_waitcnt vmcnt(60) lgkmcnt(1)
	v_mul_f64 v[179:180], v[26:27], v[37:38]
	v_mul_f64 v[37:38], v[24:25], v[37:38]
	s_waitcnt vmcnt(56) lgkmcnt(0)
	v_mul_f64 v[183:184], v[30:31], v[3:4]
	v_mul_f64 v[181:182], v[28:29], v[3:4]
	v_fma_f64 v[172:173], v[5:6], v[39:40], -v[172:173]
	v_fma_f64 v[21:22], v[7:8], v[39:40], v[21:22]
	s_clause 0x2
	buffer_load_dword v177, off, s[0:3], 0 offset:588
	buffer_load_dword v40, off, s[0:3], 0 offset:564
	;; [unrolled: 1-line block ×3, first 2 shown]
	s_waitcnt vmcnt(57)
	v_fma_f64 v[24:25], v[24:25], v[1:2], -v[179:180]
	ds_read_b128 v[5:8], v23 offset:1120
	v_fma_f64 v[26:27], v[26:27], v[1:2], v[37:38]
	s_clause 0x4
	buffer_load_dword v38, off, s[0:3], 0 offset:604
	buffer_load_dword v180, off, s[0:3], 0 offset:616
	;; [unrolled: 1-line block ×5, first 2 shown]
	s_waitcnt vmcnt(56)
	v_fma_f64 v[28:29], v[28:29], v[47:48], -v[183:184]
	ds_read_b128 v[1:4], v23 offset:1136
	v_fma_f64 v[30:31], v[30:31], v[47:48], v[181:182]
	s_clause 0x2
	buffer_load_dword v181, off, s[0:3], 0 offset:620
	buffer_load_dword v48, off, s[0:3], 0 offset:596
	;; [unrolled: 1-line block ×3, first 2 shown]
	v_add_f64 v[172:173], v[172:173], 0
	v_add_f64 v[21:22], v[21:22], 0
	s_waitcnt lgkmcnt(1)
	v_mul_f64 v[186:187], v[5:6], v[41:42]
	v_mul_f64 v[41:42], v[7:8], v[41:42]
	s_waitcnt vmcnt(58) lgkmcnt(0)
	v_mul_f64 v[182:183], v[1:2], v[43:44]
	v_mul_f64 v[43:44], v[3:4], v[43:44]
	v_add_f64 v[172:173], v[172:173], v[24:25]
	v_add_f64 v[21:22], v[21:22], v[26:27]
	ds_read_b128 v[24:27], v23 offset:1152
	s_waitcnt vmcnt(56)
	v_fma_f64 v[41:42], v[5:6], v[49:50], -v[41:42]
	v_fma_f64 v[49:50], v[7:8], v[49:50], v[186:187]
	s_waitcnt vmcnt(51)
	v_fma_f64 v[43:44], v[1:2], v[45:46], -v[43:44]
	s_waitcnt lgkmcnt(0)
	v_mul_f64 v[188:189], v[24:25], v[51:52]
	v_add_f64 v[28:29], v[172:173], v[28:29]
	v_add_f64 v[21:22], v[21:22], v[30:31]
	s_clause 0x4
	buffer_load_dword v31, off, s[0:3], 0 offset:636
	buffer_load_dword v172, off, s[0:3], 0 offset:648
	;; [unrolled: 1-line block ×5, first 2 shown]
	v_mul_f64 v[51:52], v[26:27], v[51:52]
	ds_read_b128 v[5:8], v23 offset:1168
	v_add_f64 v[28:29], v[28:29], v[41:42]
	v_fma_f64 v[41:42], v[3:4], v[45:46], v[182:183]
	v_add_f64 v[21:22], v[21:22], v[49:50]
	s_clause 0x2
	buffer_load_dword v173, off, s[0:3], 0 offset:652
	buffer_load_dword v46, off, s[0:3], 0 offset:628
	;; [unrolled: 1-line block ×3, first 2 shown]
	s_waitcnt vmcnt(58) lgkmcnt(0)
	v_mul_f64 v[49:50], v[5:6], v[53:54]
	v_mul_f64 v[53:54], v[7:8], v[53:54]
	s_waitcnt vmcnt(56)
	v_fma_f64 v[51:52], v[24:25], v[57:58], -v[51:52]
	ds_read_b128 v[1:4], v23 offset:1184
	v_add_f64 v[28:29], v[28:29], v[43:44]
	v_fma_f64 v[43:44], v[26:27], v[57:58], v[188:189]
	v_add_f64 v[21:22], v[21:22], v[41:42]
	s_clause 0x4
	buffer_load_dword v42, off, s[0:3], 0 offset:668
	buffer_load_dword v57, off, s[0:3], 0 offset:680
	;; [unrolled: 1-line block ×5, first 2 shown]
	ds_read_b128 v[24:27], v23 offset:1200
	s_waitcnt vmcnt(57) lgkmcnt(1)
	v_mul_f64 v[183:184], v[1:2], v[59:60]
	v_mul_f64 v[59:60], v[3:4], v[59:60]
	s_waitcnt vmcnt(56)
	v_fma_f64 v[53:54], v[5:6], v[55:56], -v[53:54]
	v_fma_f64 v[49:50], v[7:8], v[55:56], v[49:50]
	v_add_f64 v[28:29], v[28:29], v[51:52]
	v_add_f64 v[21:22], v[21:22], v[43:44]
	s_clause 0x2
	buffer_load_dword v58, off, s[0:3], 0 offset:684
	buffer_load_dword v44, off, s[0:3], 0 offset:660
	;; [unrolled: 1-line block ×3, first 2 shown]
	s_waitcnt vmcnt(58) lgkmcnt(0)
	v_mul_f64 v[55:56], v[26:27], v[65:66]
	ds_read_b128 v[5:8], v23 offset:1216
	s_waitcnt vmcnt(56)
	v_fma_f64 v[59:60], v[1:2], v[69:70], -v[59:60]
	v_mul_f64 v[51:52], v[24:25], v[65:66]
	v_add_f64 v[28:29], v[28:29], v[53:54]
	v_fma_f64 v[53:54], v[3:4], v[69:70], v[183:184]
	v_add_f64 v[21:22], v[21:22], v[49:50]
	s_clause 0x4
	buffer_load_dword v50, off, s[0:3], 0 offset:700
	buffer_load_dword v65, off, s[0:3], 0 offset:712
	buffer_load_dword v69, off, s[0:3], 0 offset:704
	buffer_load_dword v49, off, s[0:3], 0 offset:696
	buffer_load_dword v183, off, s[0:3], 0 offset:676
	s_waitcnt vmcnt(57) lgkmcnt(0)
	v_mul_f64 v[189:190], v[5:6], v[71:72]
	v_mul_f64 v[70:71], v[7:8], v[71:72]
	s_waitcnt vmcnt(56)
	v_fma_f64 v[55:56], v[24:25], v[67:68], -v[55:56]
	ds_read_b128 v[1:4], v23 offset:1232
	v_fma_f64 v[51:52], v[26:27], v[67:68], v[51:52]
	v_add_f64 v[28:29], v[28:29], v[59:60]
	v_add_f64 v[21:22], v[21:22], v[53:54]
	s_clause 0x2
	buffer_load_dword v66, off, s[0:3], 0 offset:716
	buffer_load_dword v54, off, s[0:3], 0 offset:692
	buffer_load_dword v53, off, s[0:3], 0 offset:688
	ds_read_b128 v[24:27], v23 offset:1248
	s_waitcnt vmcnt(58) lgkmcnt(1)
	v_mul_f64 v[67:68], v[3:4], v[77:78]
	s_waitcnt vmcnt(56)
	v_fma_f64 v[71:72], v[5:6], v[81:82], -v[70:71]
	v_mul_f64 v[59:60], v[1:2], v[77:78]
	v_add_f64 v[28:29], v[28:29], v[55:56]
	v_fma_f64 v[55:56], v[7:8], v[81:82], v[189:190]
	v_add_f64 v[21:22], v[21:22], v[51:52]
	s_clause 0x4
	buffer_load_dword v52, off, s[0:3], 0 offset:732
	buffer_load_dword v77, off, s[0:3], 0 offset:744
	buffer_load_dword v81, off, s[0:3], 0 offset:736
	buffer_load_dword v51, off, s[0:3], 0 offset:728
	buffer_load_dword v70, off, s[0:3], 0 offset:708
	s_waitcnt vmcnt(57) lgkmcnt(0)
	v_mul_f64 v[189:190], v[24:25], v[83:84]
	v_mul_f64 v[82:83], v[26:27], v[83:84]
	s_waitcnt vmcnt(56)
	v_fma_f64 v[67:68], v[1:2], v[79:80], -v[67:68]
	ds_read_b128 v[5:8], v23 offset:1264
	v_fma_f64 v[59:60], v[3:4], v[79:80], v[59:60]
	v_add_f64 v[28:29], v[28:29], v[71:72]
	v_add_f64 v[21:22], v[21:22], v[55:56]
	s_clause 0x2
	buffer_load_dword v78, off, s[0:3], 0 offset:748
	buffer_load_dword v56, off, s[0:3], 0 offset:724
	buffer_load_dword v55, off, s[0:3], 0 offset:720
	ds_read_b128 v[1:4], v23 offset:1280
	s_waitcnt vmcnt(58) lgkmcnt(1)
	v_mul_f64 v[79:80], v[7:8], v[85:86]
	;; [unrolled: 28-line block ×3, first 2 shown]
	s_waitcnt vmcnt(56)
	v_fma_f64 v[163:164], v[1:2], v[170:171], -v[162:163]
	v_mul_f64 v[83:84], v[24:25], v[166:167]
	buffer_load_dword v162, off, s[0:3], 0 offset:772
	v_add_f64 v[28:29], v[28:29], v[79:80]
	v_fma_f64 v[79:80], v[3:4], v[170:171], v[189:190]
	v_add_f64 v[21:22], v[21:22], v[71:72]
	ds_read_b128 v[1:4], v23 offset:1328
	s_waitcnt vmcnt(53) lgkmcnt(1)
	v_mul_f64 v[166:167], v[7:8], v[174:175]
	s_waitcnt vmcnt(52)
	v_fma_f64 v[87:88], v[24:25], v[168:169], -v[87:88]
	v_mul_f64 v[71:72], v[5:6], v[174:175]
	v_fma_f64 v[83:84], v[26:27], v[168:169], v[83:84]
	ds_read_b128 v[24:27], v23 offset:1344
	v_add_f64 v[28:29], v[28:29], v[163:164]
	v_add_f64 v[21:22], v[21:22], v[79:80]
	s_waitcnt vmcnt(51) lgkmcnt(1)
	v_mul_f64 v[163:164], v[3:4], v[176:177]
	v_mul_f64 v[79:80], v[1:2], v[176:177]
	s_waitcnt vmcnt(49)
	v_fma_f64 v[166:167], v[5:6], v[39:40], -v[166:167]
	v_fma_f64 v[39:40], v[7:8], v[39:40], v[71:72]
	v_add_f64 v[28:29], v[28:29], v[87:88]
	s_waitcnt vmcnt(45) lgkmcnt(0)
	v_mul_f64 v[87:88], v[24:25], v[37:38]
	v_add_f64 v[21:22], v[21:22], v[83:84]
	s_clause 0x3
	buffer_load_dword v71, off, s[0:3], 0 offset:304
	buffer_load_dword v72, off, s[0:3], 0 offset:308
	;; [unrolled: 1-line block ×4, first 2 shown]
	v_mul_f64 v[37:38], v[26:27], v[37:38]
	ds_read_b128 v[5:8], v23 offset:1360
	s_waitcnt vmcnt(48)
	v_fma_f64 v[163:164], v[1:2], v[178:179], -v[163:164]
	v_fma_f64 v[79:80], v[3:4], v[178:179], v[79:80]
	ds_read_b128 v[1:4], v23 offset:1376
	v_add_f64 v[28:29], v[28:29], v[166:167]
	v_add_f64 v[21:22], v[21:22], v[39:40]
	s_waitcnt vmcnt(47) lgkmcnt(1)
	v_mul_f64 v[166:167], v[7:8], v[180:181]
	s_waitcnt vmcnt(45)
	v_fma_f64 v[37:38], v[24:25], v[47:48], -v[37:38]
	v_mul_f64 v[39:40], v[5:6], v[180:181]
	v_fma_f64 v[47:48], v[26:27], v[47:48], v[87:88]
	ds_read_b128 v[24:27], v23 offset:1392
	v_add_f64 v[28:29], v[28:29], v[163:164]
	v_add_f64 v[21:22], v[21:22], v[79:80]
	s_waitcnt vmcnt(41) lgkmcnt(1)
	v_mul_f64 v[79:80], v[1:2], v[30:31]
	v_mul_f64 v[30:31], v[3:4], v[30:31]
	s_waitcnt vmcnt(40)
	v_fma_f64 v[87:88], v[5:6], v[185:186], -v[166:167]
	v_add_f64 v[28:29], v[28:29], v[37:38]
	v_fma_f64 v[37:38], v[7:8], v[185:186], v[39:40]
	v_add_f64 v[21:22], v[21:22], v[47:48]
	ds_read_b128 v[5:8], v23 offset:1408
	s_waitcnt vmcnt(39) lgkmcnt(1)
	v_mul_f64 v[47:48], v[26:27], v[172:173]
	v_mul_f64 v[39:40], v[24:25], v[172:173]
	s_waitcnt vmcnt(37)
	v_fma_f64 v[30:31], v[1:2], v[45:46], -v[30:31]
	v_fma_f64 v[45:46], v[3:4], v[45:46], v[79:80]
	ds_read_b128 v[1:4], v23 offset:1424
	v_add_f64 v[28:29], v[28:29], v[87:88]
	v_add_f64 v[21:22], v[21:22], v[37:38]
	s_waitcnt vmcnt(33) lgkmcnt(1)
	v_mul_f64 v[37:38], v[5:6], v[41:42]
	v_mul_f64 v[41:42], v[7:8], v[41:42]
	s_waitcnt vmcnt(32)
	v_fma_f64 v[47:48], v[24:25], v[187:188], -v[47:48]
	v_add_f64 v[28:29], v[28:29], v[30:31]
	v_fma_f64 v[30:31], v[26:27], v[187:188], v[39:40]
	v_add_f64 v[21:22], v[21:22], v[45:46]
	ds_read_b128 v[24:27], v23 offset:1440
	s_waitcnt vmcnt(31) lgkmcnt(1)
	v_mul_f64 v[45:46], v[3:4], v[57:58]
	v_mul_f64 v[39:40], v[1:2], v[57:58]
	s_waitcnt vmcnt(29)
	v_fma_f64 v[41:42], v[5:6], v[43:44], -v[41:42]
	v_fma_f64 v[37:38], v[7:8], v[43:44], v[37:38]
	ds_read_b128 v[5:8], v23 offset:1456
	v_add_f64 v[28:29], v[28:29], v[47:48]
	v_add_f64 v[21:22], v[21:22], v[30:31]
	s_waitcnt vmcnt(25) lgkmcnt(1)
	v_mul_f64 v[43:44], v[26:27], v[49:50]
	s_waitcnt vmcnt(24)
	v_fma_f64 v[45:46], v[1:2], v[182:183], -v[45:46]
	v_mul_f64 v[30:31], v[24:25], v[49:50]
	v_fma_f64 v[39:40], v[3:4], v[182:183], v[39:40]
	ds_read_b128 v[1:4], v23 offset:1472
	v_add_f64 v[28:29], v[28:29], v[41:42]
	v_add_f64 v[21:22], v[21:22], v[37:38]
	s_waitcnt vmcnt(23) lgkmcnt(1)
	v_mul_f64 v[41:42], v[7:8], v[65:66]
	v_mul_f64 v[37:38], v[5:6], v[65:66]
	s_waitcnt vmcnt(21)
	v_fma_f64 v[43:44], v[24:25], v[53:54], -v[43:44]
	v_fma_f64 v[30:31], v[26:27], v[53:54], v[30:31]
	ds_read_b128 v[24:27], v23 offset:1488
	v_add_f64 v[28:29], v[28:29], v[45:46]
	v_add_f64 v[21:22], v[21:22], v[39:40]
	s_waitcnt vmcnt(17) lgkmcnt(1)
	v_mul_f64 v[45:46], v[3:4], v[51:52]
	s_waitcnt vmcnt(16)
	v_fma_f64 v[41:42], v[5:6], v[69:70], -v[41:42]
	v_mul_f64 v[39:40], v[1:2], v[51:52]
	v_fma_f64 v[37:38], v[7:8], v[69:70], v[37:38]
	ds_read_b128 v[5:8], v23 offset:1504
	v_add_f64 v[28:29], v[28:29], v[43:44]
	v_add_f64 v[21:22], v[21:22], v[30:31]
	s_waitcnt vmcnt(15) lgkmcnt(1)
	v_mul_f64 v[43:44], v[26:27], v[77:78]
	v_mul_f64 v[30:31], v[24:25], v[77:78]
	s_waitcnt vmcnt(13)
	v_fma_f64 v[45:46], v[1:2], v[55:56], -v[45:46]
	v_fma_f64 v[39:40], v[3:4], v[55:56], v[39:40]
	ds_read_b128 v[1:4], v23 offset:1520
	v_add_f64 v[28:29], v[28:29], v[41:42]
	v_add_f64 v[21:22], v[21:22], v[37:38]
	s_waitcnt vmcnt(9) lgkmcnt(1)
	v_mul_f64 v[41:42], v[7:8], v[59:60]
	s_waitcnt vmcnt(8)
	v_fma_f64 v[24:25], v[24:25], v[81:82], -v[43:44]
	v_mul_f64 v[37:38], v[5:6], v[59:60]
	v_fma_f64 v[26:27], v[26:27], v[81:82], v[30:31]
	v_add_f64 v[28:29], v[28:29], v[45:46]
	v_add_f64 v[21:22], v[21:22], v[39:40]
	s_waitcnt vmcnt(7) lgkmcnt(0)
	v_mul_f64 v[39:40], v[3:4], v[85:86]
	v_mul_f64 v[30:31], v[1:2], v[85:86]
	s_waitcnt vmcnt(5)
	v_fma_f64 v[5:6], v[5:6], v[67:68], -v[41:42]
	v_fma_f64 v[7:8], v[7:8], v[67:68], v[37:38]
	v_add_f64 v[24:25], v[28:29], v[24:25]
	v_add_f64 v[21:22], v[21:22], v[26:27]
	s_waitcnt vmcnt(4)
	v_fma_f64 v[1:2], v[1:2], v[161:162], -v[39:40]
	v_fma_f64 v[3:4], v[3:4], v[161:162], v[30:31]
	v_add_f64 v[5:6], v[24:25], v[5:6]
	v_add_f64 v[7:8], v[21:22], v[7:8]
	;; [unrolled: 1-line block ×4, first 2 shown]
	s_waitcnt vmcnt(2)
	v_add_f64 v[1:2], v[71:72], -v[1:2]
	s_waitcnt vmcnt(0)
	v_add_f64 v[3:4], v[83:84], -v[3:4]
	buffer_store_dword v2, off, s[0:3], 0 offset:308
	buffer_store_dword v1, off, s[0:3], 0 offset:304
	;; [unrolled: 1-line block ×4, first 2 shown]
	v_cmpx_lt_u32_e32 17, v0
	s_cbranch_execz .LBB47_267
; %bb.266:
	v_mov_b32_e32 v4, s43
	s_clause 0x3
	buffer_load_dword v1, v4, s[0:3], 0 offen
	buffer_load_dword v2, v4, s[0:3], 0 offen offset:4
	buffer_load_dword v3, v4, s[0:3], 0 offen offset:8
	;; [unrolled: 1-line block ×3, first 2 shown]
	buffer_store_dword v23, off, s[0:3], 0 offset:288
	buffer_store_dword v23, off, s[0:3], 0 offset:292
	;; [unrolled: 1-line block ×4, first 2 shown]
	s_waitcnt vmcnt(0)
	ds_write_b128 v165, v[1:4]
.LBB47_267:
	s_or_b32 exec_lo, exec_lo, s4
	s_waitcnt lgkmcnt(0)
	s_waitcnt_vscnt null, 0x0
	s_barrier
	buffer_gl0_inv
	s_clause 0x37
	buffer_load_dword v21, off, s[0:3], 0 offset:312
	buffer_load_dword v22, off, s[0:3], 0 offset:316
	;; [unrolled: 1-line block ×56, first 2 shown]
	ds_read_b128 v[24:27], v23 offset:1056
	s_clause 0x2
	buffer_load_dword v167, off, s[0:3], 0 offset:540
	buffer_load_dword v171, off, s[0:3], 0 offset:516
	;; [unrolled: 1-line block ×3, first 2 shown]
	ds_read_b128 v[28:31], v23 offset:1072
	s_clause 0x4
	buffer_load_dword v175, off, s[0:3], 0 offset:556
	buffer_load_dword v176, off, s[0:3], 0 offset:568
	;; [unrolled: 1-line block ×5, first 2 shown]
	ds_read_b128 v[37:40], v23 offset:1088
	s_clause 0x2
	buffer_load_dword v177, off, s[0:3], 0 offset:572
	buffer_load_dword v182, off, s[0:3], 0 offset:548
	buffer_load_dword v181, off, s[0:3], 0 offset:544
	s_mov_b32 s4, exec_lo
	s_waitcnt vmcnt(62) lgkmcnt(2)
	v_mul_f64 v[172:173], v[26:27], v[21:22]
	v_mul_f64 v[21:22], v[24:25], v[21:22]
	s_waitcnt lgkmcnt(1)
	v_mul_f64 v[179:180], v[30:31], v[5:6]
	s_waitcnt vmcnt(59) lgkmcnt(0)
	v_mul_f64 v[183:184], v[39:40], v[3:4]
	v_fma_f64 v[24:25], v[24:25], v[7:8], -v[172:173]
	v_mul_f64 v[172:173], v[28:29], v[5:6]
	v_fma_f64 v[21:22], v[26:27], v[7:8], v[21:22]
	s_waitcnt vmcnt(57)
	v_fma_f64 v[28:29], v[28:29], v[1:2], -v[179:180]
	ds_read_b128 v[5:8], v23 offset:1104
	v_mul_f64 v[26:27], v[37:38], v[3:4]
	s_waitcnt vmcnt(51)
	v_fma_f64 v[37:38], v[37:38], v[47:48], -v[183:184]
	v_add_f64 v[24:25], v[24:25], 0
	v_fma_f64 v[30:31], v[30:31], v[1:2], v[172:173]
	v_add_f64 v[21:22], v[21:22], 0
	s_clause 0x4
	buffer_load_dword v173, off, s[0:3], 0 offset:588
	buffer_load_dword v185, off, s[0:3], 0 offset:600
	;; [unrolled: 1-line block ×5, first 2 shown]
	s_waitcnt lgkmcnt(0)
	v_mul_f64 v[188:189], v[5:6], v[41:42]
	v_mul_f64 v[41:42], v[7:8], v[41:42]
	ds_read_b128 v[1:4], v23 offset:1120
	v_fma_f64 v[39:40], v[39:40], v[47:48], v[26:27]
	v_add_f64 v[28:29], v[24:25], v[28:29]
	v_add_f64 v[21:22], v[21:22], v[30:31]
	s_clause 0x2
	buffer_load_dword v186, off, s[0:3], 0 offset:604
	buffer_load_dword v31, off, s[0:3], 0 offset:580
	;; [unrolled: 1-line block ×3, first 2 shown]
	s_waitcnt vmcnt(58) lgkmcnt(0)
	v_mul_f64 v[47:48], v[1:2], v[43:44]
	v_mul_f64 v[43:44], v[3:4], v[43:44]
	s_waitcnt vmcnt(56)
	v_fma_f64 v[41:42], v[5:6], v[49:50], -v[41:42]
	ds_read_b128 v[24:27], v23 offset:1136
	v_add_f64 v[28:29], v[28:29], v[37:38]
	v_fma_f64 v[37:38], v[7:8], v[49:50], v[188:189]
	v_add_f64 v[21:22], v[21:22], v[39:40]
	s_clause 0x4
	buffer_load_dword v40, off, s[0:3], 0 offset:620
	buffer_load_dword v49, off, s[0:3], 0 offset:632
	;; [unrolled: 1-line block ×5, first 2 shown]
	ds_read_b128 v[5:8], v23 offset:1152
	s_waitcnt vmcnt(57) lgkmcnt(1)
	v_mul_f64 v[189:190], v[24:25], v[51:52]
	v_mul_f64 v[51:52], v[26:27], v[51:52]
	s_waitcnt vmcnt(56)
	v_fma_f64 v[43:44], v[1:2], v[45:46], -v[43:44]
	v_add_f64 v[28:29], v[28:29], v[41:42]
	v_fma_f64 v[41:42], v[3:4], v[45:46], v[47:48]
	v_add_f64 v[21:22], v[21:22], v[37:38]
	s_clause 0x2
	buffer_load_dword v50, off, s[0:3], 0 offset:636
	buffer_load_dword v38, off, s[0:3], 0 offset:612
	;; [unrolled: 1-line block ×3, first 2 shown]
	s_waitcnt vmcnt(58) lgkmcnt(0)
	v_mul_f64 v[47:48], v[7:8], v[53:54]
	ds_read_b128 v[1:4], v23 offset:1168
	s_waitcnt vmcnt(56)
	v_fma_f64 v[51:52], v[24:25], v[57:58], -v[51:52]
	v_mul_f64 v[45:46], v[5:6], v[53:54]
	v_add_f64 v[28:29], v[28:29], v[43:44]
	v_fma_f64 v[43:44], v[26:27], v[57:58], v[189:190]
	v_add_f64 v[21:22], v[21:22], v[41:42]
	s_clause 0x4
	buffer_load_dword v42, off, s[0:3], 0 offset:652
	buffer_load_dword v53, off, s[0:3], 0 offset:664
	buffer_load_dword v57, off, s[0:3], 0 offset:656
	buffer_load_dword v41, off, s[0:3], 0 offset:648
	buffer_load_dword v184, off, s[0:3], 0 offset:628
	s_waitcnt vmcnt(57) lgkmcnt(0)
	v_mul_f64 v[189:190], v[1:2], v[59:60]
	v_mul_f64 v[58:59], v[3:4], v[59:60]
	s_waitcnt vmcnt(56)
	v_fma_f64 v[47:48], v[5:6], v[55:56], -v[47:48]
	ds_read_b128 v[24:27], v23 offset:1184
	v_fma_f64 v[45:46], v[7:8], v[55:56], v[45:46]
	v_add_f64 v[28:29], v[28:29], v[51:52]
	v_add_f64 v[21:22], v[21:22], v[43:44]
	s_clause 0x2
	buffer_load_dword v54, off, s[0:3], 0 offset:668
	buffer_load_dword v44, off, s[0:3], 0 offset:644
	buffer_load_dword v43, off, s[0:3], 0 offset:640
	ds_read_b128 v[5:8], v23 offset:1200
	s_waitcnt vmcnt(58) lgkmcnt(1)
	v_mul_f64 v[55:56], v[26:27], v[65:66]
	s_waitcnt vmcnt(56)
	v_fma_f64 v[59:60], v[1:2], v[69:70], -v[58:59]
	v_mul_f64 v[51:52], v[24:25], v[65:66]
	v_add_f64 v[28:29], v[28:29], v[47:48]
	v_fma_f64 v[47:48], v[3:4], v[69:70], v[189:190]
	v_add_f64 v[21:22], v[21:22], v[45:46]
	s_clause 0x4
	buffer_load_dword v46, off, s[0:3], 0 offset:684
	buffer_load_dword v65, off, s[0:3], 0 offset:696
	buffer_load_dword v69, off, s[0:3], 0 offset:688
	buffer_load_dword v45, off, s[0:3], 0 offset:680
	buffer_load_dword v58, off, s[0:3], 0 offset:660
	s_waitcnt vmcnt(57) lgkmcnt(0)
	v_mul_f64 v[189:190], v[5:6], v[71:72]
	v_mul_f64 v[70:71], v[7:8], v[71:72]
	s_waitcnt vmcnt(56)
	v_fma_f64 v[55:56], v[24:25], v[67:68], -v[55:56]
	ds_read_b128 v[1:4], v23 offset:1216
	v_fma_f64 v[51:52], v[26:27], v[67:68], v[51:52]
	v_add_f64 v[28:29], v[28:29], v[59:60]
	v_add_f64 v[21:22], v[21:22], v[47:48]
	s_clause 0x2
	buffer_load_dword v66, off, s[0:3], 0 offset:700
	buffer_load_dword v48, off, s[0:3], 0 offset:676
	buffer_load_dword v47, off, s[0:3], 0 offset:672
	ds_read_b128 v[24:27], v23 offset:1232
	s_waitcnt vmcnt(58) lgkmcnt(1)
	v_mul_f64 v[67:68], v[3:4], v[77:78]
	;; [unrolled: 28-line block ×4, first 2 shown]
	s_waitcnt vmcnt(56)
	v_fma_f64 v[163:164], v[1:2], v[170:171], -v[162:163]
	v_mul_f64 v[83:84], v[24:25], v[166:167]
	v_add_f64 v[28:29], v[28:29], v[79:80]
	v_fma_f64 v[79:80], v[3:4], v[170:171], v[189:190]
	v_add_f64 v[21:22], v[21:22], v[71:72]
	s_clause 0x2
	buffer_load_dword v72, off, s[0:3], 0 offset:780
	buffer_load_dword v71, off, s[0:3], 0 offset:776
	;; [unrolled: 1-line block ×3, first 2 shown]
	s_waitcnt vmcnt(55) lgkmcnt(0)
	v_mul_f64 v[170:171], v[7:8], v[174:175]
	s_waitcnt vmcnt(54)
	v_fma_f64 v[87:88], v[24:25], v[168:169], -v[87:88]
	ds_read_b128 v[1:4], v23 offset:1312
	v_mul_f64 v[166:167], v[5:6], v[174:175]
	v_fma_f64 v[83:84], v[26:27], v[168:169], v[83:84]
	v_add_f64 v[28:29], v[28:29], v[163:164]
	v_add_f64 v[21:22], v[21:22], v[79:80]
	s_clause 0x1
	buffer_load_dword v80, off, s[0:3], 0 offset:772
	buffer_load_dword v79, off, s[0:3], 0 offset:768
	s_waitcnt vmcnt(55) lgkmcnt(0)
	v_mul_f64 v[168:169], v[3:4], v[176:177]
	s_waitcnt vmcnt(53)
	v_fma_f64 v[170:171], v[5:6], v[181:182], -v[170:171]
	ds_read_b128 v[24:27], v23 offset:1328
	v_mul_f64 v[163:164], v[1:2], v[176:177]
	v_add_f64 v[28:29], v[28:29], v[87:88]
	v_fma_f64 v[87:88], v[7:8], v[181:182], v[166:167]
	v_add_f64 v[21:22], v[21:22], v[83:84]
	ds_read_b128 v[5:8], v23 offset:1344
	s_waitcnt vmcnt(49) lgkmcnt(1)
	v_mul_f64 v[166:167], v[26:27], v[172:173]
	s_waitcnt vmcnt(48)
	v_fma_f64 v[168:169], v[1:2], v[178:179], -v[168:169]
	v_mul_f64 v[83:84], v[24:25], v[172:173]
	v_fma_f64 v[163:164], v[3:4], v[178:179], v[163:164]
	v_add_f64 v[28:29], v[28:29], v[170:171]
	v_add_f64 v[21:22], v[21:22], v[87:88]
	s_clause 0x3
	buffer_load_dword v87, off, s[0:3], 0 offset:288
	buffer_load_dword v88, off, s[0:3], 0 offset:292
	;; [unrolled: 1-line block ×4, first 2 shown]
	ds_read_b128 v[1:4], v23 offset:1360
	s_waitcnt vmcnt(51) lgkmcnt(1)
	v_mul_f64 v[174:175], v[7:8], v[185:186]
	v_mul_f64 v[172:173], v[5:6], v[185:186]
	s_waitcnt vmcnt(49)
	v_fma_f64 v[166:167], v[24:25], v[30:31], -v[166:167]
	v_fma_f64 v[30:31], v[26:27], v[30:31], v[83:84]
	ds_read_b128 v[24:27], v23 offset:1376
	v_add_f64 v[28:29], v[28:29], v[168:169]
	v_add_f64 v[21:22], v[21:22], v[163:164]
	s_waitcnt vmcnt(45) lgkmcnt(1)
	v_mul_f64 v[83:84], v[1:2], v[39:40]
	v_mul_f64 v[39:40], v[3:4], v[39:40]
	s_waitcnt vmcnt(44)
	v_fma_f64 v[163:164], v[5:6], v[187:188], -v[174:175]
	v_add_f64 v[28:29], v[28:29], v[166:167]
	v_fma_f64 v[166:167], v[7:8], v[187:188], v[172:173]
	v_add_f64 v[21:22], v[21:22], v[30:31]
	ds_read_b128 v[5:8], v23 offset:1392
	s_waitcnt vmcnt(43) lgkmcnt(1)
	v_mul_f64 v[30:31], v[24:25], v[49:50]
	v_mul_f64 v[49:50], v[26:27], v[49:50]
	s_waitcnt vmcnt(41)
	v_fma_f64 v[39:40], v[1:2], v[37:38], -v[39:40]
	v_fma_f64 v[37:38], v[3:4], v[37:38], v[83:84]
	ds_read_b128 v[1:4], v23 offset:1408
	v_add_f64 v[28:29], v[28:29], v[163:164]
	v_add_f64 v[21:22], v[21:22], v[166:167]
	s_waitcnt vmcnt(37) lgkmcnt(1)
	v_mul_f64 v[83:84], v[5:6], v[41:42]
	v_mul_f64 v[41:42], v[7:8], v[41:42]
	s_waitcnt vmcnt(36)
	v_fma_f64 v[49:50], v[24:25], v[183:184], -v[49:50]
	v_fma_f64 v[30:31], v[26:27], v[183:184], v[30:31]
	ds_read_b128 v[24:27], v23 offset:1424
	v_add_f64 v[28:29], v[28:29], v[39:40]
	v_add_f64 v[21:22], v[21:22], v[37:38]
	;; [unrolled: 9-line block ×5, first 2 shown]
	s_waitcnt vmcnt(21) lgkmcnt(1)
	v_mul_f64 v[39:40], v[3:4], v[51:52]
	s_waitcnt vmcnt(20)
	v_fma_f64 v[43:44], v[5:6], v[69:70], -v[43:44]
	v_mul_f64 v[37:38], v[1:2], v[51:52]
	v_fma_f64 v[41:42], v[7:8], v[69:70], v[41:42]
	ds_read_b128 v[5:8], v23 offset:1488
	v_add_f64 v[28:29], v[28:29], v[45:46]
	v_add_f64 v[21:22], v[21:22], v[30:31]
	s_waitcnt vmcnt(19) lgkmcnt(1)
	v_mul_f64 v[45:46], v[26:27], v[77:78]
	v_mul_f64 v[30:31], v[24:25], v[77:78]
	s_waitcnt vmcnt(17)
	v_fma_f64 v[39:40], v[1:2], v[55:56], -v[39:40]
	v_fma_f64 v[37:38], v[3:4], v[55:56], v[37:38]
	ds_read_b128 v[1:4], v23 offset:1504
	v_add_f64 v[28:29], v[28:29], v[43:44]
	v_add_f64 v[21:22], v[21:22], v[41:42]
	s_waitcnt vmcnt(13) lgkmcnt(1)
	v_mul_f64 v[43:44], v[7:8], v[59:60]
	s_waitcnt vmcnt(12)
	v_fma_f64 v[45:46], v[24:25], v[81:82], -v[45:46]
	v_mul_f64 v[41:42], v[5:6], v[59:60]
	v_fma_f64 v[25:26], v[26:27], v[81:82], v[30:31]
	v_add_f64 v[28:29], v[28:29], v[39:40]
	v_add_f64 v[30:31], v[21:22], v[37:38]
	ds_read_b128 v[21:24], v23 offset:1520
	s_waitcnt vmcnt(11) lgkmcnt(1)
	v_mul_f64 v[39:40], v[3:4], v[85:86]
	v_mul_f64 v[37:38], v[1:2], v[85:86]
	s_waitcnt vmcnt(9)
	v_fma_f64 v[5:6], v[5:6], v[67:68], -v[43:44]
	v_fma_f64 v[7:8], v[7:8], v[67:68], v[41:42]
	v_add_f64 v[27:28], v[28:29], v[45:46]
	v_add_f64 v[25:26], v[30:31], v[25:26]
	s_waitcnt vmcnt(7) lgkmcnt(0)
	v_mul_f64 v[31:32], v[23:24], v[71:72]
	s_waitcnt vmcnt(6)
	v_fma_f64 v[1:2], v[1:2], v[161:162], -v[39:40]
	v_mul_f64 v[29:30], v[21:22], v[71:72]
	v_fma_f64 v[3:4], v[3:4], v[161:162], v[37:38]
	v_add_f64 v[5:6], v[27:28], v[5:6]
	v_add_f64 v[7:8], v[25:26], v[7:8]
	s_waitcnt vmcnt(4)
	v_fma_f64 v[21:22], v[21:22], v[79:80], -v[31:32]
	v_add_f64 v[1:2], v[5:6], v[1:2]
	v_fma_f64 v[5:6], v[23:24], v[79:80], v[29:30]
	v_add_f64 v[3:4], v[7:8], v[3:4]
	v_add_f64 v[1:2], v[1:2], v[21:22]
	;; [unrolled: 1-line block ×3, first 2 shown]
	s_waitcnt vmcnt(2)
	v_add_f64 v[1:2], v[87:88], -v[1:2]
	s_waitcnt vmcnt(0)
	v_add_f64 v[3:4], v[170:171], -v[3:4]
	buffer_store_dword v2, off, s[0:3], 0 offset:292
	buffer_store_dword v1, off, s[0:3], 0 offset:288
	;; [unrolled: 1-line block ×4, first 2 shown]
	v_cmpx_lt_u32_e32 16, v0
	s_cbranch_execz .LBB47_269
; %bb.268:
	v_mov_b32_e32 v4, s44
	v_mov_b32_e32 v5, 0
	s_clause 0x3
	buffer_load_dword v1, v4, s[0:3], 0 offen
	buffer_load_dword v2, v4, s[0:3], 0 offen offset:4
	buffer_load_dword v3, v4, s[0:3], 0 offen offset:8
	;; [unrolled: 1-line block ×3, first 2 shown]
	buffer_store_dword v5, off, s[0:3], 0 offset:272
	buffer_store_dword v5, off, s[0:3], 0 offset:276
	;; [unrolled: 1-line block ×4, first 2 shown]
	s_waitcnt vmcnt(0)
	ds_write_b128 v165, v[1:4]
.LBB47_269:
	s_or_b32 exec_lo, exec_lo, s4
	s_waitcnt lgkmcnt(0)
	s_waitcnt_vscnt null, 0x0
	s_barrier
	buffer_gl0_inv
	s_clause 0x37
	buffer_load_dword v21, off, s[0:3], 0 offset:296
	buffer_load_dword v22, off, s[0:3], 0 offset:300
	;; [unrolled: 1-line block ×56, first 2 shown]
	v_mov_b32_e32 v45, 0
	s_mov_b32 s4, exec_lo
	ds_read_b128 v[29:32], v45 offset:1040
	s_clause 0x2
	buffer_load_dword v167, off, s[0:3], 0 offset:524
	buffer_load_dword v171, off, s[0:3], 0 offset:500
	buffer_load_dword v170, off, s[0:3], 0 offset:496
	ds_read_b128 v[37:40], v45 offset:1056
	s_clause 0x4
	buffer_load_dword v175, off, s[0:3], 0 offset:540
	buffer_load_dword v176, off, s[0:3], 0 offset:552
	;; [unrolled: 1-line block ×5, first 2 shown]
	ds_read_b128 v[41:44], v45 offset:1072
	s_clause 0x2
	buffer_load_dword v177, off, s[0:3], 0 offset:556
	buffer_load_dword v182, off, s[0:3], 0 offset:532
	;; [unrolled: 1-line block ×3, first 2 shown]
	s_waitcnt vmcnt(62) lgkmcnt(2)
	v_mul_f64 v[172:173], v[31:32], v[21:22]
	v_mul_f64 v[21:22], v[29:30], v[21:22]
	s_waitcnt lgkmcnt(1)
	v_mul_f64 v[179:180], v[39:40], v[5:6]
	s_waitcnt vmcnt(59) lgkmcnt(0)
	v_mul_f64 v[183:184], v[43:44], v[3:4]
	v_fma_f64 v[29:30], v[29:30], v[7:8], -v[172:173]
	v_mul_f64 v[172:173], v[37:38], v[5:6]
	v_fma_f64 v[21:22], v[31:32], v[7:8], v[21:22]
	s_waitcnt vmcnt(57)
	v_fma_f64 v[37:38], v[37:38], v[1:2], -v[179:180]
	ds_read_b128 v[5:8], v45 offset:1088
	v_mul_f64 v[31:32], v[41:42], v[3:4]
	s_waitcnt vmcnt(51)
	v_fma_f64 v[41:42], v[41:42], v[48:49], -v[183:184]
	v_add_f64 v[29:30], v[29:30], 0
	v_fma_f64 v[39:40], v[39:40], v[1:2], v[172:173]
	v_add_f64 v[21:22], v[21:22], 0
	s_clause 0x4
	buffer_load_dword v173, off, s[0:3], 0 offset:572
	buffer_load_dword v185, off, s[0:3], 0 offset:584
	;; [unrolled: 1-line block ×5, first 2 shown]
	s_waitcnt lgkmcnt(0)
	v_mul_f64 v[188:189], v[5:6], v[25:26]
	v_mul_f64 v[25:26], v[7:8], v[25:26]
	ds_read_b128 v[1:4], v45 offset:1104
	v_fma_f64 v[43:44], v[43:44], v[48:49], v[31:32]
	v_add_f64 v[37:38], v[29:30], v[37:38]
	v_add_f64 v[21:22], v[21:22], v[39:40]
	s_clause 0x2
	buffer_load_dword v186, off, s[0:3], 0 offset:588
	buffer_load_dword v40, off, s[0:3], 0 offset:564
	;; [unrolled: 1-line block ×3, first 2 shown]
	s_waitcnt vmcnt(58) lgkmcnt(0)
	v_mul_f64 v[48:49], v[1:2], v[46:47]
	v_mul_f64 v[46:47], v[3:4], v[46:47]
	s_waitcnt vmcnt(56)
	v_fma_f64 v[25:26], v[5:6], v[50:51], -v[25:26]
	ds_read_b128 v[29:32], v45 offset:1120
	v_add_f64 v[37:38], v[37:38], v[41:42]
	v_fma_f64 v[41:42], v[7:8], v[50:51], v[188:189]
	v_add_f64 v[21:22], v[21:22], v[43:44]
	s_clause 0x4
	buffer_load_dword v44, off, s[0:3], 0 offset:604
	buffer_load_dword v50, off, s[0:3], 0 offset:616
	;; [unrolled: 1-line block ×5, first 2 shown]
	ds_read_b128 v[5:8], v45 offset:1136
	s_waitcnt vmcnt(57) lgkmcnt(1)
	v_mul_f64 v[189:190], v[29:30], v[52:53]
	v_mul_f64 v[52:53], v[31:32], v[52:53]
	s_waitcnt vmcnt(56)
	v_fma_f64 v[46:47], v[1:2], v[23:24], -v[46:47]
	v_fma_f64 v[23:24], v[3:4], v[23:24], v[48:49]
	v_add_f64 v[25:26], v[37:38], v[25:26]
	s_clause 0x2
	buffer_load_dword v51, off, s[0:3], 0 offset:620
	buffer_load_dword v38, off, s[0:3], 0 offset:596
	;; [unrolled: 1-line block ×3, first 2 shown]
	v_add_f64 v[21:22], v[21:22], v[41:42]
	s_waitcnt vmcnt(58) lgkmcnt(0)
	v_mul_f64 v[48:49], v[7:8], v[54:55]
	ds_read_b128 v[1:4], v45 offset:1152
	v_mul_f64 v[41:42], v[5:6], v[54:55]
	s_waitcnt vmcnt(56)
	v_fma_f64 v[29:30], v[29:30], v[56:57], -v[52:53]
	v_fma_f64 v[31:32], v[31:32], v[56:57], v[189:190]
	s_clause 0x4
	buffer_load_dword v53, off, s[0:3], 0 offset:636
	buffer_load_dword v54, off, s[0:3], 0 offset:648
	;; [unrolled: 1-line block ×5, first 2 shown]
	v_add_f64 v[25:26], v[25:26], v[46:47]
	v_add_f64 v[46:47], v[21:22], v[23:24]
	s_waitcnt vmcnt(57) lgkmcnt(0)
	v_mul_f64 v[189:190], v[1:2], v[58:59]
	v_mul_f64 v[57:58], v[3:4], v[58:59]
	s_waitcnt vmcnt(56)
	v_fma_f64 v[48:49], v[5:6], v[27:28], -v[48:49]
	ds_read_b128 v[21:24], v45 offset:1168
	v_fma_f64 v[27:28], v[7:8], v[27:28], v[41:42]
	v_add_f64 v[25:26], v[25:26], v[29:30]
	v_add_f64 v[29:30], v[46:47], v[31:32]
	s_clause 0x2
	buffer_load_dword v55, off, s[0:3], 0 offset:652
	buffer_load_dword v32, off, s[0:3], 0 offset:628
	;; [unrolled: 1-line block ×3, first 2 shown]
	s_waitcnt vmcnt(58) lgkmcnt(0)
	v_mul_f64 v[46:47], v[23:24], v[65:66]
	s_waitcnt vmcnt(56)
	v_fma_f64 v[58:59], v[1:2], v[69:70], -v[57:58]
	ds_read_b128 v[5:8], v45 offset:1184
	v_mul_f64 v[41:42], v[21:22], v[65:66]
	v_add_f64 v[25:26], v[25:26], v[48:49]
	v_fma_f64 v[48:49], v[3:4], v[69:70], v[189:190]
	v_add_f64 v[27:28], v[29:30], v[27:28]
	s_clause 0x4
	buffer_load_dword v30, off, s[0:3], 0 offset:668
	buffer_load_dword v65, off, s[0:3], 0 offset:680
	buffer_load_dword v69, off, s[0:3], 0 offset:672
	buffer_load_dword v29, off, s[0:3], 0 offset:664
	buffer_load_dword v57, off, s[0:3], 0 offset:644
	s_waitcnt vmcnt(57) lgkmcnt(0)
	v_mul_f64 v[189:190], v[5:6], v[71:72]
	v_mul_f64 v[70:71], v[7:8], v[71:72]
	s_waitcnt vmcnt(56)
	v_fma_f64 v[46:47], v[21:22], v[67:68], -v[46:47]
	ds_read_b128 v[1:4], v45 offset:1200
	v_fma_f64 v[41:42], v[23:24], v[67:68], v[41:42]
	v_add_f64 v[25:26], v[25:26], v[58:59]
	v_add_f64 v[27:28], v[27:28], v[48:49]
	s_clause 0x2
	buffer_load_dword v66, off, s[0:3], 0 offset:684
	buffer_load_dword v49, off, s[0:3], 0 offset:660
	buffer_load_dword v48, off, s[0:3], 0 offset:656
	ds_read_b128 v[21:24], v45 offset:1216
	s_waitcnt vmcnt(58) lgkmcnt(1)
	v_mul_f64 v[67:68], v[3:4], v[77:78]
	s_waitcnt vmcnt(56)
	v_fma_f64 v[71:72], v[5:6], v[81:82], -v[70:71]
	v_mul_f64 v[58:59], v[1:2], v[77:78]
	v_add_f64 v[25:26], v[25:26], v[46:47]
	v_fma_f64 v[46:47], v[7:8], v[81:82], v[189:190]
	v_add_f64 v[27:28], v[27:28], v[41:42]
	s_clause 0x4
	buffer_load_dword v42, off, s[0:3], 0 offset:700
	buffer_load_dword v77, off, s[0:3], 0 offset:712
	buffer_load_dword v81, off, s[0:3], 0 offset:704
	buffer_load_dword v41, off, s[0:3], 0 offset:696
	buffer_load_dword v70, off, s[0:3], 0 offset:676
	s_waitcnt vmcnt(57) lgkmcnt(0)
	v_mul_f64 v[189:190], v[21:22], v[83:84]
	v_mul_f64 v[82:83], v[23:24], v[83:84]
	s_waitcnt vmcnt(56)
	v_fma_f64 v[67:68], v[1:2], v[79:80], -v[67:68]
	ds_read_b128 v[5:8], v45 offset:1232
	v_fma_f64 v[58:59], v[3:4], v[79:80], v[58:59]
	v_add_f64 v[25:26], v[25:26], v[71:72]
	v_add_f64 v[27:28], v[27:28], v[46:47]
	s_clause 0x2
	buffer_load_dword v78, off, s[0:3], 0 offset:716
	buffer_load_dword v47, off, s[0:3], 0 offset:692
	buffer_load_dword v46, off, s[0:3], 0 offset:688
	ds_read_b128 v[1:4], v45 offset:1248
	s_waitcnt vmcnt(58) lgkmcnt(1)
	v_mul_f64 v[79:80], v[7:8], v[85:86]
	s_waitcnt vmcnt(56)
	v_fma_f64 v[83:84], v[21:22], v[161:162], -v[82:83]
	;; [unrolled: 28-line block ×4, first 2 shown]
	v_mul_f64 v[163:164], v[1:2], v[176:177]
	buffer_load_dword v171, off, s[0:3], 0 offset:772
	v_add_f64 v[25:26], v[25:26], v[87:88]
	v_fma_f64 v[87:88], v[7:8], v[181:182], v[189:190]
	v_add_f64 v[27:28], v[27:28], v[83:84]
	ds_read_b128 v[5:8], v45 offset:1328
	s_waitcnt vmcnt(53) lgkmcnt(1)
	v_mul_f64 v[83:84], v[21:22], v[172:173]
	v_mul_f64 v[172:173], v[23:24], v[172:173]
	s_waitcnt vmcnt(52)
	v_fma_f64 v[168:169], v[1:2], v[178:179], -v[168:169]
	v_fma_f64 v[163:164], v[3:4], v[178:179], v[163:164]
	ds_read_b128 v[1:4], v45 offset:1344
	v_add_f64 v[25:26], v[25:26], v[174:175]
	v_add_f64 v[27:28], v[27:28], v[87:88]
	s_waitcnt vmcnt(51) lgkmcnt(1)
	v_mul_f64 v[174:175], v[7:8], v[185:186]
	v_mul_f64 v[87:88], v[5:6], v[185:186]
	s_waitcnt vmcnt(49)
	v_fma_f64 v[172:173], v[21:22], v[39:40], -v[172:173]
	v_fma_f64 v[39:40], v[23:24], v[39:40], v[83:84]
	v_add_f64 v[25:26], v[25:26], v[168:169]
	v_add_f64 v[27:28], v[27:28], v[163:164]
	s_clause 0x3
	buffer_load_dword v83, off, s[0:3], 0 offset:272
	buffer_load_dword v84, off, s[0:3], 0 offset:276
	;; [unrolled: 1-line block ×4, first 2 shown]
	ds_read_b128 v[21:24], v45 offset:1360
	s_waitcnt vmcnt(49) lgkmcnt(1)
	v_mul_f64 v[168:169], v[1:2], v[43:44]
	v_mul_f64 v[43:44], v[3:4], v[43:44]
	s_waitcnt vmcnt(48)
	v_fma_f64 v[174:175], v[5:6], v[187:188], -v[174:175]
	v_fma_f64 v[87:88], v[7:8], v[187:188], v[87:88]
	ds_read_b128 v[5:8], v45 offset:1376
	v_add_f64 v[25:26], v[25:26], v[172:173]
	v_add_f64 v[27:28], v[27:28], v[39:40]
	s_waitcnt vmcnt(47) lgkmcnt(1)
	v_mul_f64 v[39:40], v[21:22], v[50:51]
	v_mul_f64 v[50:51], v[23:24], v[50:51]
	s_waitcnt vmcnt(45)
	v_fma_f64 v[43:44], v[1:2], v[37:38], -v[43:44]
	v_fma_f64 v[37:38], v[3:4], v[37:38], v[168:169]
	ds_read_b128 v[1:4], v45 offset:1392
	v_add_f64 v[25:26], v[25:26], v[174:175]
	v_add_f64 v[27:28], v[27:28], v[87:88]
	s_waitcnt vmcnt(41) lgkmcnt(1)
	v_mul_f64 v[87:88], v[5:6], v[52:53]
	v_mul_f64 v[52:53], v[7:8], v[52:53]
	s_waitcnt vmcnt(40)
	v_fma_f64 v[39:40], v[23:24], v[183:184], v[39:40]
	v_fma_f64 v[50:51], v[21:22], v[183:184], -v[50:51]
	ds_read_b128 v[21:24], v45 offset:1408
	v_add_f64 v[25:26], v[25:26], v[43:44]
	v_add_f64 v[27:28], v[27:28], v[37:38]
	s_waitcnt vmcnt(39) lgkmcnt(1)
	v_mul_f64 v[43:44], v[3:4], v[54:55]
	v_mul_f64 v[37:38], v[1:2], v[54:55]
	s_waitcnt vmcnt(37)
	v_fma_f64 v[52:53], v[5:6], v[31:32], -v[52:53]
	v_fma_f64 v[31:32], v[7:8], v[31:32], v[87:88]
	ds_read_b128 v[5:8], v45 offset:1424
	v_add_f64 v[25:26], v[25:26], v[50:51]
	v_add_f64 v[27:28], v[27:28], v[39:40]
	s_waitcnt vmcnt(33) lgkmcnt(1)
	v_mul_f64 v[39:40], v[21:22], v[29:30]
	v_mul_f64 v[29:30], v[23:24], v[29:30]
	s_waitcnt vmcnt(32)
	v_fma_f64 v[43:44], v[1:2], v[56:57], -v[43:44]
	v_fma_f64 v[37:38], v[3:4], v[56:57], v[37:38]
	;; [unrolled: 9-line block ×3, first 2 shown]
	ds_read_b128 v[21:24], v45 offset:1456
	v_add_f64 v[25:26], v[25:26], v[43:44]
	v_add_f64 v[27:28], v[27:28], v[37:38]
	s_waitcnt vmcnt(25) lgkmcnt(1)
	v_mul_f64 v[37:38], v[1:2], v[41:42]
	v_mul_f64 v[41:42], v[3:4], v[41:42]
	s_waitcnt vmcnt(24)
	v_fma_f64 v[43:44], v[5:6], v[69:70], -v[50:51]
	v_add_f64 v[25:26], v[25:26], v[29:30]
	v_fma_f64 v[29:30], v[7:8], v[69:70], v[31:32]
	v_add_f64 v[27:28], v[27:28], v[39:40]
	ds_read_b128 v[5:8], v45 offset:1472
	s_waitcnt vmcnt(23) lgkmcnt(1)
	v_mul_f64 v[39:40], v[23:24], v[77:78]
	v_mul_f64 v[31:32], v[21:22], v[77:78]
	s_waitcnt vmcnt(21)
	v_fma_f64 v[41:42], v[1:2], v[46:47], -v[41:42]
	v_fma_f64 v[37:38], v[3:4], v[46:47], v[37:38]
	ds_read_b128 v[1:4], v45 offset:1488
	v_add_f64 v[25:26], v[25:26], v[43:44]
	v_add_f64 v[27:28], v[27:28], v[29:30]
	s_waitcnt vmcnt(17) lgkmcnt(1)
	v_mul_f64 v[43:44], v[7:8], v[58:59]
	s_waitcnt vmcnt(16)
	v_fma_f64 v[39:40], v[21:22], v[81:82], -v[39:40]
	v_mul_f64 v[29:30], v[5:6], v[58:59]
	v_fma_f64 v[31:32], v[23:24], v[81:82], v[31:32]
	ds_read_b128 v[21:24], v45 offset:1504
	v_add_f64 v[25:26], v[25:26], v[41:42]
	v_add_f64 v[27:28], v[27:28], v[37:38]
	s_waitcnt vmcnt(15) lgkmcnt(1)
	v_mul_f64 v[41:42], v[3:4], v[85:86]
	v_mul_f64 v[37:38], v[1:2], v[85:86]
	s_waitcnt vmcnt(13)
	v_fma_f64 v[43:44], v[5:6], v[67:68], -v[43:44]
	v_fma_f64 v[29:30], v[7:8], v[67:68], v[29:30]
	ds_read_b128 v[5:8], v45 offset:1520
	v_add_f64 v[25:26], v[25:26], v[39:40]
	v_add_f64 v[27:28], v[27:28], v[31:32]
	s_waitcnt vmcnt(9) lgkmcnt(1)
	v_mul_f64 v[39:40], v[23:24], v[71:72]
	s_waitcnt vmcnt(8)
	v_fma_f64 v[1:2], v[1:2], v[161:162], -v[41:42]
	v_mul_f64 v[31:32], v[21:22], v[71:72]
	v_fma_f64 v[3:4], v[3:4], v[161:162], v[37:38]
	v_add_f64 v[25:26], v[25:26], v[43:44]
	v_add_f64 v[27:28], v[27:28], v[29:30]
	s_waitcnt vmcnt(7) lgkmcnt(0)
	v_mul_f64 v[37:38], v[7:8], v[166:167]
	v_mul_f64 v[29:30], v[5:6], v[166:167]
	s_waitcnt vmcnt(5)
	v_fma_f64 v[21:22], v[21:22], v[79:80], -v[39:40]
	v_fma_f64 v[23:24], v[23:24], v[79:80], v[31:32]
	v_add_f64 v[1:2], v[25:26], v[1:2]
	v_add_f64 v[3:4], v[27:28], v[3:4]
	s_waitcnt vmcnt(4)
	v_fma_f64 v[5:6], v[5:6], v[170:171], -v[37:38]
	v_fma_f64 v[7:8], v[7:8], v[170:171], v[29:30]
	v_add_f64 v[1:2], v[1:2], v[21:22]
	v_add_f64 v[3:4], v[3:4], v[23:24]
	;; [unrolled: 1-line block ×4, first 2 shown]
	s_waitcnt vmcnt(2)
	v_add_f64 v[1:2], v[83:84], -v[1:2]
	s_waitcnt vmcnt(0)
	v_add_f64 v[3:4], v[163:164], -v[3:4]
	buffer_store_dword v2, off, s[0:3], 0 offset:276
	buffer_store_dword v1, off, s[0:3], 0 offset:272
	;; [unrolled: 1-line block ×4, first 2 shown]
	v_cmpx_lt_u32_e32 15, v0
	s_cbranch_execz .LBB47_271
; %bb.270:
	v_mov_b32_e32 v4, s45
	s_clause 0x3
	buffer_load_dword v1, v4, s[0:3], 0 offen
	buffer_load_dword v2, v4, s[0:3], 0 offen offset:4
	buffer_load_dword v3, v4, s[0:3], 0 offen offset:8
	;; [unrolled: 1-line block ×3, first 2 shown]
	buffer_store_dword v45, off, s[0:3], 0 offset:256
	buffer_store_dword v45, off, s[0:3], 0 offset:260
	;; [unrolled: 1-line block ×4, first 2 shown]
	s_waitcnt vmcnt(0)
	ds_write_b128 v165, v[1:4]
.LBB47_271:
	s_or_b32 exec_lo, exec_lo, s4
	s_waitcnt lgkmcnt(0)
	s_waitcnt_vscnt null, 0x0
	s_barrier
	buffer_gl0_inv
	s_clause 0x37
	buffer_load_dword v21, off, s[0:3], 0 offset:280
	buffer_load_dword v22, off, s[0:3], 0 offset:284
	;; [unrolled: 1-line block ×56, first 2 shown]
	ds_read_b128 v[46:49], v45 offset:1024
	s_clause 0x2
	buffer_load_dword v167, off, s[0:3], 0 offset:508
	buffer_load_dword v171, off, s[0:3], 0 offset:484
	;; [unrolled: 1-line block ×3, first 2 shown]
	ds_read_b128 v[50:53], v45 offset:1040
	s_clause 0x4
	buffer_load_dword v175, off, s[0:3], 0 offset:524
	buffer_load_dword v176, off, s[0:3], 0 offset:536
	;; [unrolled: 1-line block ×5, first 2 shown]
	ds_read_b128 v[54:57], v45 offset:1056
	s_clause 0x2
	buffer_load_dword v177, off, s[0:3], 0 offset:540
	buffer_load_dword v182, off, s[0:3], 0 offset:516
	;; [unrolled: 1-line block ×3, first 2 shown]
	s_mov_b32 s4, exec_lo
	s_waitcnt vmcnt(62) lgkmcnt(2)
	v_mul_f64 v[172:173], v[48:49], v[21:22]
	v_mul_f64 v[21:22], v[46:47], v[21:22]
	s_waitcnt lgkmcnt(1)
	v_mul_f64 v[179:180], v[52:53], v[5:6]
	s_waitcnt vmcnt(59) lgkmcnt(0)
	v_mul_f64 v[183:184], v[56:57], v[3:4]
	v_fma_f64 v[46:47], v[46:47], v[7:8], -v[172:173]
	v_mul_f64 v[172:173], v[50:51], v[5:6]
	v_fma_f64 v[21:22], v[48:49], v[7:8], v[21:22]
	s_waitcnt vmcnt(57)
	v_fma_f64 v[50:51], v[50:51], v[1:2], -v[179:180]
	ds_read_b128 v[5:8], v45 offset:1072
	v_mul_f64 v[48:49], v[54:55], v[3:4]
	s_waitcnt vmcnt(51)
	v_fma_f64 v[54:55], v[54:55], v[41:42], -v[183:184]
	v_add_f64 v[46:47], v[46:47], 0
	v_fma_f64 v[52:53], v[52:53], v[1:2], v[172:173]
	v_add_f64 v[21:22], v[21:22], 0
	s_clause 0x4
	buffer_load_dword v173, off, s[0:3], 0 offset:556
	buffer_load_dword v185, off, s[0:3], 0 offset:568
	;; [unrolled: 1-line block ×5, first 2 shown]
	s_waitcnt lgkmcnt(0)
	v_mul_f64 v[188:189], v[5:6], v[25:26]
	v_mul_f64 v[25:26], v[7:8], v[25:26]
	ds_read_b128 v[1:4], v45 offset:1088
	v_fma_f64 v[41:42], v[56:57], v[41:42], v[48:49]
	v_add_f64 v[50:51], v[46:47], v[50:51]
	v_add_f64 v[21:22], v[21:22], v[52:53]
	s_clause 0x2
	buffer_load_dword v186, off, s[0:3], 0 offset:572
	buffer_load_dword v53, off, s[0:3], 0 offset:548
	;; [unrolled: 1-line block ×3, first 2 shown]
	s_waitcnt vmcnt(58) lgkmcnt(0)
	v_mul_f64 v[56:57], v[1:2], v[29:30]
	v_mul_f64 v[29:30], v[3:4], v[29:30]
	s_waitcnt vmcnt(56)
	v_fma_f64 v[25:26], v[5:6], v[31:32], -v[25:26]
	ds_read_b128 v[46:49], v45 offset:1104
	v_fma_f64 v[31:32], v[7:8], v[31:32], v[188:189]
	v_add_f64 v[50:51], v[50:51], v[54:55]
	v_add_f64 v[21:22], v[21:22], v[41:42]
	s_clause 0x4
	buffer_load_dword v42, off, s[0:3], 0 offset:588
	buffer_load_dword v54, off, s[0:3], 0 offset:600
	buffer_load_dword v183, off, s[0:3], 0 offset:592
	buffer_load_dword v41, off, s[0:3], 0 offset:584
	buffer_load_dword v188, off, s[0:3], 0 offset:564
	ds_read_b128 v[5:8], v45 offset:1120
	s_waitcnt vmcnt(57) lgkmcnt(1)
	v_mul_f64 v[189:190], v[46:47], v[37:38]
	v_mul_f64 v[37:38], v[48:49], v[37:38]
	s_waitcnt vmcnt(56)
	v_fma_f64 v[29:30], v[1:2], v[23:24], -v[29:30]
	v_fma_f64 v[23:24], v[3:4], v[23:24], v[56:57]
	v_add_f64 v[25:26], v[50:51], v[25:26]
	v_add_f64 v[21:22], v[21:22], v[31:32]
	s_clause 0x2
	buffer_load_dword v55, off, s[0:3], 0 offset:604
	buffer_load_dword v32, off, s[0:3], 0 offset:580
	;; [unrolled: 1-line block ×3, first 2 shown]
	s_waitcnt vmcnt(58) lgkmcnt(0)
	v_mul_f64 v[50:51], v[5:6], v[43:44]
	v_mul_f64 v[43:44], v[7:8], v[43:44]
	s_waitcnt vmcnt(56)
	v_fma_f64 v[37:38], v[46:47], v[58:59], -v[37:38]
	ds_read_b128 v[1:4], v45 offset:1136
	v_add_f64 v[25:26], v[25:26], v[29:30]
	v_fma_f64 v[29:30], v[48:49], v[58:59], v[189:190]
	v_add_f64 v[46:47], v[21:22], v[23:24]
	s_clause 0x4
	buffer_load_dword v49, off, s[0:3], 0 offset:620
	buffer_load_dword v56, off, s[0:3], 0 offset:632
	;; [unrolled: 1-line block ×5, first 2 shown]
	ds_read_b128 v[21:24], v45 offset:1152
	s_waitcnt vmcnt(57) lgkmcnt(1)
	v_mul_f64 v[59:60], v[1:2], v[65:66]
	v_mul_f64 v[65:66], v[3:4], v[65:66]
	s_waitcnt vmcnt(56)
	v_fma_f64 v[43:44], v[5:6], v[27:28], -v[43:44]
	v_fma_f64 v[27:28], v[7:8], v[27:28], v[50:51]
	v_add_f64 v[25:26], v[25:26], v[37:38]
	s_clause 0x2
	buffer_load_dword v57, off, s[0:3], 0 offset:636
	buffer_load_dword v38, off, s[0:3], 0 offset:612
	;; [unrolled: 1-line block ×3, first 2 shown]
	v_add_f64 v[29:30], v[46:47], v[29:30]
	s_waitcnt vmcnt(58) lgkmcnt(0)
	v_mul_f64 v[50:51], v[23:24], v[67:68]
	ds_read_b128 v[5:8], v45 offset:1168
	v_mul_f64 v[46:47], v[21:22], v[67:68]
	s_waitcnt vmcnt(56)
	v_fma_f64 v[65:66], v[1:2], v[69:70], -v[65:66]
	v_add_f64 v[25:26], v[25:26], v[43:44]
	v_fma_f64 v[43:44], v[3:4], v[69:70], v[59:60]
	v_add_f64 v[27:28], v[29:30], v[27:28]
	s_clause 0x4
	buffer_load_dword v30, off, s[0:3], 0 offset:652
	buffer_load_dword v67, off, s[0:3], 0 offset:664
	buffer_load_dword v69, off, s[0:3], 0 offset:656
	buffer_load_dword v29, off, s[0:3], 0 offset:648
	buffer_load_dword v59, off, s[0:3], 0 offset:628
	s_waitcnt vmcnt(57) lgkmcnt(0)
	v_mul_f64 v[189:190], v[5:6], v[71:72]
	v_mul_f64 v[70:71], v[7:8], v[71:72]
	s_waitcnt vmcnt(56)
	v_fma_f64 v[50:51], v[21:22], v[39:40], -v[50:51]
	ds_read_b128 v[1:4], v45 offset:1184
	v_fma_f64 v[39:40], v[23:24], v[39:40], v[46:47]
	v_add_f64 v[25:26], v[25:26], v[65:66]
	v_add_f64 v[27:28], v[27:28], v[43:44]
	s_clause 0x2
	buffer_load_dword v68, off, s[0:3], 0 offset:668
	buffer_load_dword v44, off, s[0:3], 0 offset:644
	buffer_load_dword v43, off, s[0:3], 0 offset:640
	ds_read_b128 v[21:24], v45 offset:1200
	s_waitcnt vmcnt(58) lgkmcnt(1)
	v_mul_f64 v[65:66], v[3:4], v[77:78]
	s_waitcnt vmcnt(56)
	v_fma_f64 v[71:72], v[5:6], v[81:82], -v[70:71]
	v_mul_f64 v[46:47], v[1:2], v[77:78]
	v_add_f64 v[25:26], v[25:26], v[50:51]
	v_fma_f64 v[50:51], v[7:8], v[81:82], v[189:190]
	v_add_f64 v[27:28], v[27:28], v[39:40]
	s_clause 0x4
	buffer_load_dword v40, off, s[0:3], 0 offset:684
	buffer_load_dword v77, off, s[0:3], 0 offset:696
	buffer_load_dword v81, off, s[0:3], 0 offset:688
	buffer_load_dword v39, off, s[0:3], 0 offset:680
	buffer_load_dword v70, off, s[0:3], 0 offset:660
	s_waitcnt vmcnt(57) lgkmcnt(0)
	v_mul_f64 v[189:190], v[21:22], v[83:84]
	v_mul_f64 v[82:83], v[23:24], v[83:84]
	s_waitcnt vmcnt(56)
	v_fma_f64 v[65:66], v[1:2], v[79:80], -v[65:66]
	ds_read_b128 v[5:8], v45 offset:1216
	v_fma_f64 v[46:47], v[3:4], v[79:80], v[46:47]
	v_add_f64 v[25:26], v[25:26], v[71:72]
	v_add_f64 v[27:28], v[27:28], v[50:51]
	s_clause 0x2
	buffer_load_dword v78, off, s[0:3], 0 offset:700
	buffer_load_dword v51, off, s[0:3], 0 offset:676
	buffer_load_dword v50, off, s[0:3], 0 offset:672
	ds_read_b128 v[1:4], v45 offset:1232
	s_waitcnt vmcnt(58) lgkmcnt(1)
	v_mul_f64 v[79:80], v[7:8], v[85:86]
	s_waitcnt vmcnt(56)
	v_fma_f64 v[83:84], v[21:22], v[161:162], -v[82:83]
	v_mul_f64 v[71:72], v[5:6], v[85:86]
	;; [unrolled: 28-line block ×4, first 2 shown]
	v_add_f64 v[25:26], v[25:26], v[87:88]
	v_fma_f64 v[87:88], v[7:8], v[181:182], v[189:190]
	v_add_f64 v[27:28], v[27:28], v[83:84]
	s_clause 0x2
	buffer_load_dword v84, off, s[0:3], 0 offset:780
	buffer_load_dword v83, off, s[0:3], 0 offset:776
	;; [unrolled: 1-line block ×3, first 2 shown]
	ds_read_b128 v[5:8], v45 offset:1312
	s_waitcnt vmcnt(55) lgkmcnt(1)
	v_mul_f64 v[176:177], v[21:22], v[172:173]
	v_mul_f64 v[172:173], v[23:24], v[172:173]
	s_waitcnt vmcnt(54)
	v_fma_f64 v[168:169], v[1:2], v[178:179], -v[168:169]
	v_fma_f64 v[163:164], v[3:4], v[178:179], v[163:164]
	v_add_f64 v[25:26], v[25:26], v[174:175]
	v_add_f64 v[27:28], v[27:28], v[87:88]
	s_clause 0x1
	buffer_load_dword v88, off, s[0:3], 0 offset:772
	buffer_load_dword v87, off, s[0:3], 0 offset:768
	ds_read_b128 v[1:4], v45 offset:1328
	s_waitcnt vmcnt(55) lgkmcnt(1)
	v_mul_f64 v[178:179], v[7:8], v[185:186]
	v_mul_f64 v[174:175], v[5:6], v[185:186]
	s_waitcnt vmcnt(53)
	v_fma_f64 v[172:173], v[21:22], v[52:53], -v[172:173]
	v_fma_f64 v[52:53], v[23:24], v[52:53], v[176:177]
	ds_read_b128 v[21:24], v45 offset:1344
	v_add_f64 v[25:26], v[25:26], v[168:169]
	v_add_f64 v[27:28], v[27:28], v[163:164]
	s_waitcnt vmcnt(49) lgkmcnt(1)
	v_mul_f64 v[163:164], v[1:2], v[41:42]
	v_mul_f64 v[41:42], v[3:4], v[41:42]
	s_waitcnt vmcnt(48)
	v_fma_f64 v[168:169], v[5:6], v[187:188], -v[178:179]
	v_add_f64 v[25:26], v[25:26], v[172:173]
	v_fma_f64 v[172:173], v[7:8], v[187:188], v[174:175]
	v_add_f64 v[27:28], v[27:28], v[52:53]
	s_clause 0x3
	buffer_load_dword v52, off, s[0:3], 0 offset:256
	buffer_load_dword v53, off, s[0:3], 0 offset:260
	;; [unrolled: 1-line block ×4, first 2 shown]
	ds_read_b128 v[5:8], v45 offset:1360
	s_waitcnt vmcnt(51) lgkmcnt(1)
	v_mul_f64 v[176:177], v[21:22], v[54:55]
	v_mul_f64 v[54:55], v[23:24], v[54:55]
	s_waitcnt vmcnt(49)
	v_fma_f64 v[41:42], v[1:2], v[31:32], -v[41:42]
	v_fma_f64 v[31:32], v[3:4], v[31:32], v[163:164]
	ds_read_b128 v[1:4], v45 offset:1376
	v_add_f64 v[25:26], v[25:26], v[168:169]
	v_add_f64 v[27:28], v[27:28], v[172:173]
	s_waitcnt vmcnt(45) lgkmcnt(1)
	v_mul_f64 v[163:164], v[5:6], v[48:49]
	v_mul_f64 v[48:49], v[7:8], v[48:49]
	s_waitcnt vmcnt(44)
	v_fma_f64 v[54:55], v[21:22], v[183:184], -v[54:55]
	v_add_f64 v[25:26], v[25:26], v[41:42]
	v_fma_f64 v[41:42], v[23:24], v[183:184], v[176:177]
	v_add_f64 v[27:28], v[27:28], v[31:32]
	ds_read_b128 v[21:24], v45 offset:1392
	s_waitcnt vmcnt(43) lgkmcnt(1)
	v_mul_f64 v[31:32], v[1:2], v[56:57]
	v_mul_f64 v[56:57], v[3:4], v[56:57]
	s_waitcnt vmcnt(41)
	v_fma_f64 v[48:49], v[5:6], v[37:38], -v[48:49]
	v_fma_f64 v[37:38], v[7:8], v[37:38], v[163:164]
	ds_read_b128 v[5:8], v45 offset:1408
	v_add_f64 v[25:26], v[25:26], v[54:55]
	v_add_f64 v[27:28], v[27:28], v[41:42]
	s_waitcnt vmcnt(37) lgkmcnt(1)
	v_mul_f64 v[41:42], v[21:22], v[29:30]
	v_mul_f64 v[29:30], v[23:24], v[29:30]
	s_waitcnt vmcnt(36)
	v_fma_f64 v[54:55], v[1:2], v[58:59], -v[56:57]
	v_fma_f64 v[31:32], v[3:4], v[58:59], v[31:32]
	ds_read_b128 v[1:4], v45 offset:1424
	v_add_f64 v[25:26], v[25:26], v[48:49]
	v_add_f64 v[27:28], v[27:28], v[37:38]
	;; [unrolled: 9-line block ×3, first 2 shown]
	s_waitcnt vmcnt(29) lgkmcnt(1)
	v_mul_f64 v[31:32], v[1:2], v[39:40]
	v_mul_f64 v[39:40], v[3:4], v[39:40]
	s_waitcnt vmcnt(28)
	v_fma_f64 v[43:44], v[5:6], v[69:70], -v[48:49]
	v_add_f64 v[25:26], v[25:26], v[29:30]
	v_fma_f64 v[29:30], v[7:8], v[69:70], v[37:38]
	v_add_f64 v[27:28], v[27:28], v[41:42]
	ds_read_b128 v[5:8], v45 offset:1456
	s_waitcnt vmcnt(27) lgkmcnt(1)
	v_mul_f64 v[41:42], v[23:24], v[77:78]
	v_mul_f64 v[37:38], v[21:22], v[77:78]
	s_waitcnt vmcnt(25)
	v_fma_f64 v[39:40], v[1:2], v[50:51], -v[39:40]
	v_fma_f64 v[31:32], v[3:4], v[50:51], v[31:32]
	ds_read_b128 v[1:4], v45 offset:1472
	v_add_f64 v[25:26], v[25:26], v[43:44]
	v_add_f64 v[27:28], v[27:28], v[29:30]
	s_waitcnt vmcnt(21) lgkmcnt(1)
	v_mul_f64 v[43:44], v[7:8], v[46:47]
	s_waitcnt vmcnt(20)
	v_fma_f64 v[41:42], v[21:22], v[81:82], -v[41:42]
	v_mul_f64 v[29:30], v[5:6], v[46:47]
	v_fma_f64 v[37:38], v[23:24], v[81:82], v[37:38]
	ds_read_b128 v[21:24], v45 offset:1488
	v_add_f64 v[25:26], v[25:26], v[39:40]
	v_add_f64 v[27:28], v[27:28], v[31:32]
	s_waitcnt vmcnt(19) lgkmcnt(1)
	v_mul_f64 v[39:40], v[3:4], v[85:86]
	v_mul_f64 v[31:32], v[1:2], v[85:86]
	s_waitcnt vmcnt(17)
	v_fma_f64 v[43:44], v[5:6], v[65:66], -v[43:44]
	v_fma_f64 v[29:30], v[7:8], v[65:66], v[29:30]
	ds_read_b128 v[5:8], v45 offset:1504
	v_add_f64 v[25:26], v[25:26], v[41:42]
	v_add_f64 v[27:28], v[27:28], v[37:38]
	s_waitcnt vmcnt(13) lgkmcnt(1)
	v_mul_f64 v[41:42], v[23:24], v[71:72]
	s_waitcnt vmcnt(12)
	v_fma_f64 v[39:40], v[1:2], v[161:162], -v[39:40]
	v_mul_f64 v[37:38], v[21:22], v[71:72]
	v_fma_f64 v[31:32], v[3:4], v[161:162], v[31:32]
	ds_read_b128 v[1:4], v45 offset:1520
	v_add_f64 v[25:26], v[25:26], v[43:44]
	v_add_f64 v[27:28], v[27:28], v[29:30]
	s_waitcnt vmcnt(11) lgkmcnt(1)
	v_mul_f64 v[43:44], v[7:8], v[166:167]
	v_mul_f64 v[29:30], v[5:6], v[166:167]
	s_waitcnt vmcnt(9)
	v_fma_f64 v[21:22], v[21:22], v[79:80], -v[41:42]
	v_fma_f64 v[23:24], v[23:24], v[79:80], v[37:38]
	v_add_f64 v[25:26], v[25:26], v[39:40]
	v_add_f64 v[27:28], v[27:28], v[31:32]
	s_waitcnt vmcnt(7) lgkmcnt(0)
	v_mul_f64 v[37:38], v[3:4], v[83:84]
	s_waitcnt vmcnt(6)
	v_fma_f64 v[5:6], v[5:6], v[170:171], -v[43:44]
	v_mul_f64 v[31:32], v[1:2], v[83:84]
	v_fma_f64 v[7:8], v[7:8], v[170:171], v[29:30]
	v_add_f64 v[21:22], v[25:26], v[21:22]
	v_add_f64 v[23:24], v[27:28], v[23:24]
	s_waitcnt vmcnt(4)
	v_fma_f64 v[1:2], v[1:2], v[87:88], -v[37:38]
	v_fma_f64 v[3:4], v[3:4], v[87:88], v[31:32]
	v_add_f64 v[5:6], v[21:22], v[5:6]
	v_add_f64 v[7:8], v[23:24], v[7:8]
	;; [unrolled: 1-line block ×4, first 2 shown]
	s_waitcnt vmcnt(2)
	v_add_f64 v[1:2], v[52:53], -v[1:2]
	s_waitcnt vmcnt(0)
	v_add_f64 v[3:4], v[174:175], -v[3:4]
	buffer_store_dword v2, off, s[0:3], 0 offset:260
	buffer_store_dword v1, off, s[0:3], 0 offset:256
	;; [unrolled: 1-line block ×4, first 2 shown]
	v_cmpx_lt_u32_e32 14, v0
	s_cbranch_execz .LBB47_273
; %bb.272:
	v_mov_b32_e32 v4, s46
	v_mov_b32_e32 v5, 0
	s_clause 0x3
	buffer_load_dword v1, v4, s[0:3], 0 offen
	buffer_load_dword v2, v4, s[0:3], 0 offen offset:4
	buffer_load_dword v3, v4, s[0:3], 0 offen offset:8
	;; [unrolled: 1-line block ×3, first 2 shown]
	buffer_store_dword v5, off, s[0:3], 0 offset:240
	buffer_store_dword v5, off, s[0:3], 0 offset:244
	;; [unrolled: 1-line block ×4, first 2 shown]
	s_waitcnt vmcnt(0)
	ds_write_b128 v165, v[1:4]
.LBB47_273:
	s_or_b32 exec_lo, exec_lo, s4
	s_waitcnt lgkmcnt(0)
	s_waitcnt_vscnt null, 0x0
	s_barrier
	buffer_gl0_inv
	s_clause 0x37
	buffer_load_dword v21, off, s[0:3], 0 offset:264
	buffer_load_dword v22, off, s[0:3], 0 offset:268
	;; [unrolled: 1-line block ×56, first 2 shown]
	v_mov_b32_e32 v71, 0
	s_mov_b32 s4, exec_lo
	ds_read_b128 v[55:58], v71 offset:1008
	s_clause 0x2
	buffer_load_dword v167, off, s[0:3], 0 offset:492
	buffer_load_dword v171, off, s[0:3], 0 offset:468
	;; [unrolled: 1-line block ×3, first 2 shown]
	ds_read_b128 v[65:68], v71 offset:1024
	s_clause 0x4
	buffer_load_dword v175, off, s[0:3], 0 offset:508
	buffer_load_dword v176, off, s[0:3], 0 offset:520
	;; [unrolled: 1-line block ×5, first 2 shown]
	ds_read_b128 v[77:80], v71 offset:1040
	s_clause 0x2
	buffer_load_dword v177, off, s[0:3], 0 offset:524
	buffer_load_dword v182, off, s[0:3], 0 offset:500
	;; [unrolled: 1-line block ×3, first 2 shown]
	s_waitcnt vmcnt(62) lgkmcnt(2)
	v_mul_f64 v[172:173], v[57:58], v[21:22]
	v_mul_f64 v[21:22], v[55:56], v[21:22]
	s_waitcnt lgkmcnt(1)
	v_mul_f64 v[179:180], v[67:68], v[5:6]
	s_waitcnt vmcnt(59) lgkmcnt(0)
	v_mul_f64 v[183:184], v[79:80], v[3:4]
	v_fma_f64 v[55:56], v[55:56], v[7:8], -v[172:173]
	v_mul_f64 v[172:173], v[65:66], v[5:6]
	v_fma_f64 v[21:22], v[57:58], v[7:8], v[21:22]
	s_waitcnt vmcnt(57)
	v_fma_f64 v[65:66], v[65:66], v[1:2], -v[179:180]
	ds_read_b128 v[5:8], v71 offset:1056
	v_mul_f64 v[57:58], v[77:78], v[3:4]
	s_waitcnt vmcnt(51)
	v_fma_f64 v[77:78], v[77:78], v[41:42], -v[183:184]
	v_add_f64 v[55:56], v[55:56], 0
	v_fma_f64 v[67:68], v[67:68], v[1:2], v[172:173]
	v_add_f64 v[21:22], v[21:22], 0
	s_clause 0x4
	buffer_load_dword v173, off, s[0:3], 0 offset:540
	buffer_load_dword v185, off, s[0:3], 0 offset:552
	;; [unrolled: 1-line block ×5, first 2 shown]
	s_waitcnt lgkmcnt(0)
	v_mul_f64 v[188:189], v[5:6], v[25:26]
	v_mul_f64 v[25:26], v[7:8], v[25:26]
	ds_read_b128 v[1:4], v71 offset:1072
	v_fma_f64 v[41:42], v[79:80], v[41:42], v[57:58]
	v_add_f64 v[65:66], v[55:56], v[65:66]
	v_add_f64 v[21:22], v[21:22], v[67:68]
	s_clause 0x2
	buffer_load_dword v186, off, s[0:3], 0 offset:556
	buffer_load_dword v68, off, s[0:3], 0 offset:532
	;; [unrolled: 1-line block ×3, first 2 shown]
	s_waitcnt vmcnt(58) lgkmcnt(0)
	v_mul_f64 v[79:80], v[1:2], v[29:30]
	v_mul_f64 v[29:30], v[3:4], v[29:30]
	s_waitcnt vmcnt(56)
	v_fma_f64 v[25:26], v[5:6], v[31:32], -v[25:26]
	ds_read_b128 v[55:58], v71 offset:1088
	v_fma_f64 v[31:32], v[7:8], v[31:32], v[188:189]
	v_add_f64 v[65:66], v[65:66], v[77:78]
	v_add_f64 v[21:22], v[21:22], v[41:42]
	s_clause 0x4
	buffer_load_dword v42, off, s[0:3], 0 offset:572
	buffer_load_dword v77, off, s[0:3], 0 offset:584
	;; [unrolled: 1-line block ×5, first 2 shown]
	ds_read_b128 v[5:8], v71 offset:1104
	s_waitcnt vmcnt(57) lgkmcnt(1)
	v_mul_f64 v[189:190], v[55:56], v[37:38]
	v_mul_f64 v[37:38], v[57:58], v[37:38]
	s_waitcnt vmcnt(56)
	v_fma_f64 v[29:30], v[1:2], v[23:24], -v[29:30]
	v_fma_f64 v[23:24], v[3:4], v[23:24], v[79:80]
	v_add_f64 v[25:26], v[65:66], v[25:26]
	v_add_f64 v[21:22], v[21:22], v[31:32]
	s_clause 0x2
	buffer_load_dword v78, off, s[0:3], 0 offset:588
	buffer_load_dword v32, off, s[0:3], 0 offset:564
	;; [unrolled: 1-line block ×3, first 2 shown]
	s_waitcnt vmcnt(58) lgkmcnt(0)
	v_mul_f64 v[65:66], v[5:6], v[43:44]
	v_mul_f64 v[43:44], v[7:8], v[43:44]
	s_waitcnt vmcnt(56)
	v_fma_f64 v[37:38], v[55:56], v[45:46], -v[37:38]
	ds_read_b128 v[1:4], v71 offset:1120
	v_add_f64 v[25:26], v[25:26], v[29:30]
	v_fma_f64 v[29:30], v[57:58], v[45:46], v[189:190]
	v_add_f64 v[45:46], v[21:22], v[23:24]
	s_clause 0x4
	buffer_load_dword v56, off, s[0:3], 0 offset:604
	buffer_load_dword v57, off, s[0:3], 0 offset:616
	;; [unrolled: 1-line block ×5, first 2 shown]
	ds_read_b128 v[21:24], v71 offset:1136
	s_waitcnt vmcnt(57) lgkmcnt(1)
	v_mul_f64 v[189:190], v[1:2], v[47:48]
	v_mul_f64 v[47:48], v[3:4], v[47:48]
	s_waitcnt vmcnt(56)
	v_fma_f64 v[43:44], v[5:6], v[27:28], -v[43:44]
	v_fma_f64 v[27:28], v[7:8], v[27:28], v[65:66]
	v_add_f64 v[25:26], v[25:26], v[37:38]
	s_clause 0x2
	buffer_load_dword v58, off, s[0:3], 0 offset:620
	buffer_load_dword v38, off, s[0:3], 0 offset:596
	;; [unrolled: 1-line block ×3, first 2 shown]
	v_add_f64 v[29:30], v[45:46], v[29:30]
	s_waitcnt vmcnt(58) lgkmcnt(0)
	v_mul_f64 v[45:46], v[21:22], v[51:52]
	v_mul_f64 v[51:52], v[23:24], v[51:52]
	ds_read_b128 v[5:8], v71 offset:1152
	s_waitcnt vmcnt(56)
	v_fma_f64 v[47:48], v[1:2], v[53:54], -v[47:48]
	v_add_f64 v[25:26], v[25:26], v[43:44]
	v_fma_f64 v[43:44], v[3:4], v[53:54], v[189:190]
	v_add_f64 v[27:28], v[29:30], v[27:28]
	s_clause 0x4
	buffer_load_dword v30, off, s[0:3], 0 offset:636
	buffer_load_dword v53, off, s[0:3], 0 offset:648
	;; [unrolled: 1-line block ×5, first 2 shown]
	s_waitcnt vmcnt(57) lgkmcnt(0)
	v_mul_f64 v[189:190], v[5:6], v[59:60]
	v_mul_f64 v[59:60], v[7:8], v[59:60]
	s_waitcnt vmcnt(56)
	v_fma_f64 v[51:52], v[21:22], v[39:40], -v[51:52]
	ds_read_b128 v[1:4], v71 offset:1168
	v_fma_f64 v[39:40], v[23:24], v[39:40], v[45:46]
	v_add_f64 v[25:26], v[25:26], v[47:48]
	v_add_f64 v[27:28], v[27:28], v[43:44]
	s_clause 0x2
	buffer_load_dword v54, off, s[0:3], 0 offset:652
	buffer_load_dword v44, off, s[0:3], 0 offset:628
	;; [unrolled: 1-line block ×3, first 2 shown]
	ds_read_b128 v[21:24], v71 offset:1184
	s_waitcnt vmcnt(58) lgkmcnt(1)
	v_mul_f64 v[47:48], v[3:4], v[69:70]
	s_waitcnt vmcnt(56)
	v_fma_f64 v[59:60], v[5:6], v[81:82], -v[59:60]
	v_mul_f64 v[45:46], v[1:2], v[69:70]
	v_add_f64 v[25:26], v[25:26], v[51:52]
	v_fma_f64 v[51:52], v[7:8], v[81:82], v[189:190]
	v_add_f64 v[27:28], v[27:28], v[39:40]
	s_clause 0x4
	buffer_load_dword v40, off, s[0:3], 0 offset:668
	buffer_load_dword v69, off, s[0:3], 0 offset:680
	;; [unrolled: 1-line block ×5, first 2 shown]
	s_waitcnt vmcnt(57) lgkmcnt(0)
	v_mul_f64 v[189:190], v[21:22], v[83:84]
	v_mul_f64 v[82:83], v[23:24], v[83:84]
	s_waitcnt vmcnt(56)
	v_fma_f64 v[47:48], v[1:2], v[49:50], -v[47:48]
	ds_read_b128 v[5:8], v71 offset:1200
	v_fma_f64 v[45:46], v[3:4], v[49:50], v[45:46]
	s_clause 0x2
	buffer_load_dword v70, off, s[0:3], 0 offset:684
	buffer_load_dword v50, off, s[0:3], 0 offset:660
	buffer_load_dword v49, off, s[0:3], 0 offset:656
	ds_read_b128 v[1:4], v71 offset:1216
	v_add_f64 v[25:26], v[25:26], v[59:60]
	v_add_f64 v[27:28], v[27:28], v[51:52]
	s_waitcnt vmcnt(58) lgkmcnt(1)
	v_mul_f64 v[59:60], v[7:8], v[85:86]
	s_waitcnt vmcnt(56)
	v_fma_f64 v[83:84], v[21:22], v[161:162], -v[82:83]
	v_mul_f64 v[51:52], v[5:6], v[85:86]
	v_add_f64 v[25:26], v[25:26], v[47:48]
	v_fma_f64 v[47:48], v[23:24], v[161:162], v[189:190]
	v_add_f64 v[27:28], v[27:28], v[45:46]
	s_clause 0x4
	buffer_load_dword v46, off, s[0:3], 0 offset:700
	buffer_load_dword v85, off, s[0:3], 0 offset:712
	;; [unrolled: 1-line block ×5, first 2 shown]
	s_waitcnt vmcnt(57) lgkmcnt(0)
	v_mul_f64 v[189:190], v[1:2], v[163:164]
	v_mul_f64 v[162:163], v[3:4], v[163:164]
	s_waitcnt vmcnt(56)
	v_fma_f64 v[59:60], v[5:6], v[87:88], -v[59:60]
	ds_read_b128 v[21:24], v71 offset:1232
	v_fma_f64 v[51:52], v[7:8], v[87:88], v[51:52]
	v_add_f64 v[25:26], v[25:26], v[83:84]
	v_add_f64 v[27:28], v[27:28], v[47:48]
	s_clause 0x2
	buffer_load_dword v86, off, s[0:3], 0 offset:716
	buffer_load_dword v48, off, s[0:3], 0 offset:692
	;; [unrolled: 1-line block ×3, first 2 shown]
	ds_read_b128 v[5:8], v71 offset:1248
	s_waitcnt vmcnt(58) lgkmcnt(1)
	v_mul_f64 v[87:88], v[23:24], v[166:167]
	s_waitcnt vmcnt(56)
	v_fma_f64 v[163:164], v[1:2], v[170:171], -v[162:163]
	v_mul_f64 v[83:84], v[21:22], v[166:167]
	v_add_f64 v[25:26], v[25:26], v[59:60]
	v_fma_f64 v[59:60], v[3:4], v[170:171], v[189:190]
	v_add_f64 v[27:28], v[27:28], v[51:52]
	s_clause 0x4
	buffer_load_dword v52, off, s[0:3], 0 offset:732
	buffer_load_dword v166, off, s[0:3], 0 offset:744
	;; [unrolled: 1-line block ×5, first 2 shown]
	s_waitcnt vmcnt(57) lgkmcnt(0)
	v_mul_f64 v[189:190], v[5:6], v[174:175]
	v_mul_f64 v[174:175], v[7:8], v[174:175]
	s_waitcnt vmcnt(56)
	v_fma_f64 v[87:88], v[21:22], v[168:169], -v[87:88]
	ds_read_b128 v[1:4], v71 offset:1264
	v_fma_f64 v[83:84], v[23:24], v[168:169], v[83:84]
	v_add_f64 v[25:26], v[25:26], v[163:164]
	v_add_f64 v[27:28], v[27:28], v[59:60]
	s_clause 0x2
	buffer_load_dword v167, off, s[0:3], 0 offset:748
	buffer_load_dword v60, off, s[0:3], 0 offset:724
	;; [unrolled: 1-line block ×3, first 2 shown]
	ds_read_b128 v[21:24], v71 offset:1280
	s_waitcnt vmcnt(58) lgkmcnt(1)
	v_mul_f64 v[168:169], v[3:4], v[176:177]
	s_waitcnt vmcnt(56)
	v_fma_f64 v[174:175], v[5:6], v[181:182], -v[174:175]
	v_mul_f64 v[163:164], v[1:2], v[176:177]
	v_add_f64 v[25:26], v[25:26], v[87:88]
	v_fma_f64 v[87:88], v[7:8], v[181:182], v[189:190]
	v_add_f64 v[27:28], v[27:28], v[83:84]
	s_clause 0x4
	buffer_load_dword v84, off, s[0:3], 0 offset:764
	buffer_load_dword v176, off, s[0:3], 0 offset:776
	buffer_load_dword v180, off, s[0:3], 0 offset:768
	buffer_load_dword v83, off, s[0:3], 0 offset:760
	buffer_load_dword v171, off, s[0:3], 0 offset:740
	ds_read_b128 v[5:8], v71 offset:1296
	s_waitcnt vmcnt(57) lgkmcnt(1)
	v_mul_f64 v[181:182], v[21:22], v[172:173]
	v_mul_f64 v[172:173], v[23:24], v[172:173]
	s_waitcnt vmcnt(56)
	v_fma_f64 v[168:169], v[1:2], v[178:179], -v[168:169]
	v_fma_f64 v[163:164], v[3:4], v[178:179], v[163:164]
	v_add_f64 v[25:26], v[25:26], v[174:175]
	v_add_f64 v[27:28], v[27:28], v[87:88]
	s_clause 0x2
	buffer_load_dword v177, off, s[0:3], 0 offset:780
	buffer_load_dword v88, off, s[0:3], 0 offset:756
	;; [unrolled: 1-line block ×3, first 2 shown]
	ds_read_b128 v[1:4], v71 offset:1312
	s_waitcnt vmcnt(58) lgkmcnt(1)
	v_mul_f64 v[178:179], v[7:8], v[185:186]
	v_mul_f64 v[174:175], v[5:6], v[185:186]
	s_waitcnt vmcnt(56)
	v_fma_f64 v[172:173], v[21:22], v[67:68], -v[172:173]
	v_fma_f64 v[67:68], v[23:24], v[67:68], v[181:182]
	buffer_load_dword v181, off, s[0:3], 0 offset:772
	ds_read_b128 v[21:24], v71 offset:1328
	v_add_f64 v[25:26], v[25:26], v[168:169]
	v_add_f64 v[27:28], v[27:28], v[163:164]
	s_waitcnt vmcnt(53) lgkmcnt(1)
	v_mul_f64 v[163:164], v[1:2], v[41:42]
	v_mul_f64 v[41:42], v[3:4], v[41:42]
	s_waitcnt vmcnt(52)
	v_fma_f64 v[168:169], v[5:6], v[187:188], -v[178:179]
	v_add_f64 v[25:26], v[25:26], v[172:173]
	v_fma_f64 v[172:173], v[7:8], v[187:188], v[174:175]
	v_add_f64 v[27:28], v[27:28], v[67:68]
	ds_read_b128 v[5:8], v71 offset:1344
	s_waitcnt vmcnt(51) lgkmcnt(1)
	v_mul_f64 v[67:68], v[21:22], v[77:78]
	v_mul_f64 v[77:78], v[23:24], v[77:78]
	s_waitcnt vmcnt(49)
	v_fma_f64 v[41:42], v[1:2], v[31:32], -v[41:42]
	v_fma_f64 v[31:32], v[3:4], v[31:32], v[163:164]
	v_add_f64 v[25:26], v[25:26], v[168:169]
	s_clause 0x3
	buffer_load_dword v163, off, s[0:3], 0 offset:240
	buffer_load_dword v164, off, s[0:3], 0 offset:244
	;; [unrolled: 1-line block ×4, first 2 shown]
	v_add_f64 v[27:28], v[27:28], v[172:173]
	ds_read_b128 v[1:4], v71 offset:1360
	s_waitcnt vmcnt(49) lgkmcnt(1)
	v_mul_f64 v[172:173], v[5:6], v[55:56]
	v_mul_f64 v[55:56], v[7:8], v[55:56]
	s_waitcnt vmcnt(48)
	v_fma_f64 v[77:78], v[21:22], v[183:184], -v[77:78]
	v_add_f64 v[25:26], v[25:26], v[41:42]
	v_fma_f64 v[41:42], v[23:24], v[183:184], v[67:68]
	v_add_f64 v[27:28], v[27:28], v[31:32]
	ds_read_b128 v[21:24], v71 offset:1376
	s_waitcnt vmcnt(47) lgkmcnt(1)
	v_mul_f64 v[31:32], v[1:2], v[57:58]
	v_mul_f64 v[57:58], v[3:4], v[57:58]
	s_waitcnt vmcnt(45)
	v_fma_f64 v[55:56], v[5:6], v[37:38], -v[55:56]
	v_fma_f64 v[37:38], v[7:8], v[37:38], v[172:173]
	ds_read_b128 v[5:8], v71 offset:1392
	v_add_f64 v[25:26], v[25:26], v[77:78]
	v_add_f64 v[27:28], v[27:28], v[41:42]
	s_waitcnt vmcnt(41) lgkmcnt(1)
	v_mul_f64 v[41:42], v[21:22], v[29:30]
	v_mul_f64 v[29:30], v[23:24], v[29:30]
	s_waitcnt vmcnt(40)
	v_fma_f64 v[57:58], v[1:2], v[79:80], -v[57:58]
	v_fma_f64 v[31:32], v[3:4], v[79:80], v[31:32]
	ds_read_b128 v[1:4], v71 offset:1408
	v_add_f64 v[25:26], v[25:26], v[55:56]
	v_add_f64 v[27:28], v[27:28], v[37:38]
	;; [unrolled: 9-line block ×3, first 2 shown]
	s_waitcnt vmcnt(33) lgkmcnt(1)
	v_mul_f64 v[31:32], v[1:2], v[39:40]
	v_mul_f64 v[39:40], v[3:4], v[39:40]
	s_waitcnt vmcnt(32)
	v_fma_f64 v[43:44], v[5:6], v[65:66], -v[53:54]
	v_add_f64 v[25:26], v[25:26], v[29:30]
	v_fma_f64 v[29:30], v[7:8], v[65:66], v[37:38]
	v_add_f64 v[27:28], v[27:28], v[41:42]
	ds_read_b128 v[5:8], v71 offset:1440
	s_waitcnt vmcnt(31) lgkmcnt(1)
	v_mul_f64 v[41:42], v[23:24], v[69:70]
	v_mul_f64 v[37:38], v[21:22], v[69:70]
	s_waitcnt vmcnt(29)
	v_fma_f64 v[31:32], v[3:4], v[49:50], v[31:32]
	v_fma_f64 v[39:40], v[1:2], v[49:50], -v[39:40]
	ds_read_b128 v[1:4], v71 offset:1456
	v_add_f64 v[25:26], v[25:26], v[43:44]
	v_add_f64 v[27:28], v[27:28], v[29:30]
	s_waitcnt vmcnt(25) lgkmcnt(1)
	v_mul_f64 v[43:44], v[7:8], v[45:46]
	s_waitcnt vmcnt(24)
	v_fma_f64 v[41:42], v[21:22], v[81:82], -v[41:42]
	v_mul_f64 v[29:30], v[5:6], v[45:46]
	v_fma_f64 v[37:38], v[23:24], v[81:82], v[37:38]
	ds_read_b128 v[21:24], v71 offset:1472
	v_add_f64 v[25:26], v[25:26], v[39:40]
	v_add_f64 v[27:28], v[27:28], v[31:32]
	s_waitcnt vmcnt(23) lgkmcnt(1)
	v_mul_f64 v[39:40], v[3:4], v[85:86]
	v_mul_f64 v[31:32], v[1:2], v[85:86]
	s_waitcnt vmcnt(21)
	v_fma_f64 v[43:44], v[5:6], v[47:48], -v[43:44]
	v_fma_f64 v[29:30], v[7:8], v[47:48], v[29:30]
	ds_read_b128 v[5:8], v71 offset:1488
	v_add_f64 v[25:26], v[25:26], v[41:42]
	v_add_f64 v[27:28], v[27:28], v[37:38]
	s_waitcnt vmcnt(17) lgkmcnt(1)
	v_mul_f64 v[41:42], v[23:24], v[51:52]
	s_waitcnt vmcnt(16)
	v_fma_f64 v[39:40], v[1:2], v[161:162], -v[39:40]
	v_mul_f64 v[37:38], v[21:22], v[51:52]
	v_fma_f64 v[31:32], v[3:4], v[161:162], v[31:32]
	ds_read_b128 v[1:4], v71 offset:1504
	v_add_f64 v[25:26], v[25:26], v[43:44]
	v_add_f64 v[27:28], v[27:28], v[29:30]
	s_waitcnt vmcnt(15) lgkmcnt(1)
	v_mul_f64 v[43:44], v[7:8], v[166:167]
	v_mul_f64 v[29:30], v[5:6], v[166:167]
	s_waitcnt vmcnt(13)
	v_fma_f64 v[41:42], v[21:22], v[59:60], -v[41:42]
	v_fma_f64 v[37:38], v[23:24], v[59:60], v[37:38]
	ds_read_b128 v[21:24], v71 offset:1520
	v_add_f64 v[25:26], v[25:26], v[39:40]
	v_add_f64 v[27:28], v[27:28], v[31:32]
	s_waitcnt vmcnt(9) lgkmcnt(1)
	v_mul_f64 v[39:40], v[3:4], v[83:84]
	s_waitcnt vmcnt(8)
	v_fma_f64 v[5:6], v[5:6], v[170:171], -v[43:44]
	v_mul_f64 v[31:32], v[1:2], v[83:84]
	v_fma_f64 v[7:8], v[7:8], v[170:171], v[29:30]
	v_add_f64 v[25:26], v[25:26], v[41:42]
	v_add_f64 v[27:28], v[27:28], v[37:38]
	s_waitcnt vmcnt(7) lgkmcnt(0)
	v_mul_f64 v[37:38], v[23:24], v[176:177]
	v_mul_f64 v[29:30], v[21:22], v[176:177]
	s_waitcnt vmcnt(5)
	v_fma_f64 v[1:2], v[1:2], v[87:88], -v[39:40]
	v_fma_f64 v[3:4], v[3:4], v[87:88], v[31:32]
	v_add_f64 v[5:6], v[25:26], v[5:6]
	v_add_f64 v[7:8], v[27:28], v[7:8]
	s_waitcnt vmcnt(4)
	v_fma_f64 v[21:22], v[21:22], v[180:181], -v[37:38]
	v_add_f64 v[1:2], v[5:6], v[1:2]
	v_fma_f64 v[5:6], v[23:24], v[180:181], v[29:30]
	v_add_f64 v[3:4], v[7:8], v[3:4]
	v_add_f64 v[1:2], v[1:2], v[21:22]
	;; [unrolled: 1-line block ×3, first 2 shown]
	s_waitcnt vmcnt(2)
	v_add_f64 v[1:2], v[163:164], -v[1:2]
	s_waitcnt vmcnt(0)
	v_add_f64 v[3:4], v[168:169], -v[3:4]
	buffer_store_dword v2, off, s[0:3], 0 offset:244
	buffer_store_dword v1, off, s[0:3], 0 offset:240
	;; [unrolled: 1-line block ×4, first 2 shown]
	v_cmpx_lt_u32_e32 13, v0
	s_cbranch_execz .LBB47_275
; %bb.274:
	v_mov_b32_e32 v4, s47
	s_clause 0x3
	buffer_load_dword v1, v4, s[0:3], 0 offen
	buffer_load_dword v2, v4, s[0:3], 0 offen offset:4
	buffer_load_dword v3, v4, s[0:3], 0 offen offset:8
	;; [unrolled: 1-line block ×3, first 2 shown]
	buffer_store_dword v71, off, s[0:3], 0 offset:224
	buffer_store_dword v71, off, s[0:3], 0 offset:228
	;; [unrolled: 1-line block ×4, first 2 shown]
	s_waitcnt vmcnt(0)
	ds_write_b128 v165, v[1:4]
.LBB47_275:
	s_or_b32 exec_lo, exec_lo, s4
	s_waitcnt lgkmcnt(0)
	s_waitcnt_vscnt null, 0x0
	s_barrier
	buffer_gl0_inv
	s_clause 0x37
	buffer_load_dword v21, off, s[0:3], 0 offset:248
	buffer_load_dword v22, off, s[0:3], 0 offset:252
	;; [unrolled: 1-line block ×56, first 2 shown]
	ds_read_b128 v[77:80], v71 offset:992
	s_clause 0x2
	buffer_load_dword v169, off, s[0:3], 0 offset:476
	buffer_load_dword v171, off, s[0:3], 0 offset:452
	;; [unrolled: 1-line block ×3, first 2 shown]
	ds_read_b128 v[81:84], v71 offset:1008
	s_clause 0x4
	buffer_load_dword v175, off, s[0:3], 0 offset:492
	buffer_load_dword v176, off, s[0:3], 0 offset:504
	;; [unrolled: 1-line block ×5, first 2 shown]
	ds_read_b128 v[85:88], v71 offset:1024
	s_clause 0x2
	buffer_load_dword v177, off, s[0:3], 0 offset:508
	buffer_load_dword v182, off, s[0:3], 0 offset:484
	;; [unrolled: 1-line block ×3, first 2 shown]
	s_mov_b32 s4, exec_lo
	s_waitcnt vmcnt(62) lgkmcnt(2)
	v_mul_f64 v[172:173], v[79:80], v[21:22]
	v_mul_f64 v[21:22], v[77:78], v[21:22]
	s_waitcnt lgkmcnt(1)
	v_mul_f64 v[179:180], v[83:84], v[5:6]
	s_waitcnt vmcnt(59) lgkmcnt(0)
	v_mul_f64 v[183:184], v[87:88], v[3:4]
	v_fma_f64 v[77:78], v[77:78], v[7:8], -v[172:173]
	v_mul_f64 v[172:173], v[81:82], v[5:6]
	v_fma_f64 v[21:22], v[79:80], v[7:8], v[21:22]
	s_waitcnt vmcnt(57)
	v_fma_f64 v[81:82], v[81:82], v[1:2], -v[179:180]
	ds_read_b128 v[5:8], v71 offset:1040
	v_mul_f64 v[79:80], v[85:86], v[3:4]
	s_waitcnt vmcnt(51)
	v_fma_f64 v[85:86], v[85:86], v[41:42], -v[183:184]
	v_add_f64 v[77:78], v[77:78], 0
	v_fma_f64 v[83:84], v[83:84], v[1:2], v[172:173]
	v_add_f64 v[21:22], v[21:22], 0
	s_clause 0x4
	buffer_load_dword v173, off, s[0:3], 0 offset:524
	buffer_load_dword v185, off, s[0:3], 0 offset:536
	;; [unrolled: 1-line block ×5, first 2 shown]
	s_waitcnt lgkmcnt(0)
	v_mul_f64 v[188:189], v[5:6], v[25:26]
	v_mul_f64 v[25:26], v[7:8], v[25:26]
	ds_read_b128 v[1:4], v71 offset:1056
	v_fma_f64 v[41:42], v[87:88], v[41:42], v[79:80]
	v_add_f64 v[81:82], v[77:78], v[81:82]
	v_add_f64 v[21:22], v[21:22], v[83:84]
	s_clause 0x2
	buffer_load_dword v186, off, s[0:3], 0 offset:540
	buffer_load_dword v84, off, s[0:3], 0 offset:516
	;; [unrolled: 1-line block ×3, first 2 shown]
	s_waitcnt vmcnt(58) lgkmcnt(0)
	v_mul_f64 v[87:88], v[1:2], v[29:30]
	v_mul_f64 v[29:30], v[3:4], v[29:30]
	s_waitcnt vmcnt(56)
	v_fma_f64 v[25:26], v[5:6], v[31:32], -v[25:26]
	ds_read_b128 v[77:80], v71 offset:1072
	v_fma_f64 v[31:32], v[7:8], v[31:32], v[188:189]
	v_add_f64 v[81:82], v[81:82], v[85:86]
	v_add_f64 v[21:22], v[21:22], v[41:42]
	s_clause 0x4
	buffer_load_dword v42, off, s[0:3], 0 offset:556
	buffer_load_dword v85, off, s[0:3], 0 offset:568
	;; [unrolled: 1-line block ×5, first 2 shown]
	ds_read_b128 v[5:8], v71 offset:1088
	s_waitcnt vmcnt(57) lgkmcnt(1)
	v_mul_f64 v[189:190], v[77:78], v[37:38]
	v_mul_f64 v[37:38], v[79:80], v[37:38]
	s_waitcnt vmcnt(56)
	v_fma_f64 v[29:30], v[1:2], v[23:24], -v[29:30]
	v_fma_f64 v[23:24], v[3:4], v[23:24], v[87:88]
	v_add_f64 v[25:26], v[81:82], v[25:26]
	v_add_f64 v[21:22], v[21:22], v[31:32]
	s_clause 0x2
	buffer_load_dword v86, off, s[0:3], 0 offset:572
	buffer_load_dword v32, off, s[0:3], 0 offset:548
	;; [unrolled: 1-line block ×3, first 2 shown]
	s_waitcnt vmcnt(58) lgkmcnt(0)
	v_mul_f64 v[81:82], v[5:6], v[43:44]
	v_mul_f64 v[43:44], v[7:8], v[43:44]
	s_waitcnt vmcnt(56)
	v_fma_f64 v[37:38], v[77:78], v[45:46], -v[37:38]
	ds_read_b128 v[1:4], v71 offset:1104
	v_add_f64 v[25:26], v[25:26], v[29:30]
	v_fma_f64 v[29:30], v[79:80], v[45:46], v[189:190]
	v_add_f64 v[45:46], v[21:22], v[23:24]
	s_clause 0x4
	buffer_load_dword v78, off, s[0:3], 0 offset:588
	buffer_load_dword v79, off, s[0:3], 0 offset:600
	;; [unrolled: 1-line block ×5, first 2 shown]
	ds_read_b128 v[21:24], v71 offset:1120
	s_waitcnt vmcnt(57) lgkmcnt(1)
	v_mul_f64 v[189:190], v[1:2], v[47:48]
	v_mul_f64 v[47:48], v[3:4], v[47:48]
	s_waitcnt vmcnt(56)
	v_fma_f64 v[43:44], v[5:6], v[27:28], -v[43:44]
	v_fma_f64 v[27:28], v[7:8], v[27:28], v[81:82]
	v_add_f64 v[25:26], v[25:26], v[37:38]
	s_clause 0x2
	buffer_load_dword v80, off, s[0:3], 0 offset:604
	buffer_load_dword v38, off, s[0:3], 0 offset:580
	;; [unrolled: 1-line block ×3, first 2 shown]
	v_add_f64 v[29:30], v[45:46], v[29:30]
	s_waitcnt vmcnt(58) lgkmcnt(0)
	v_mul_f64 v[45:46], v[21:22], v[51:52]
	v_mul_f64 v[51:52], v[23:24], v[51:52]
	ds_read_b128 v[5:8], v71 offset:1136
	s_waitcnt vmcnt(56)
	v_fma_f64 v[47:48], v[1:2], v[53:54], -v[47:48]
	v_add_f64 v[25:26], v[25:26], v[43:44]
	v_fma_f64 v[43:44], v[3:4], v[53:54], v[189:190]
	v_add_f64 v[27:28], v[29:30], v[27:28]
	s_clause 0x4
	buffer_load_dword v30, off, s[0:3], 0 offset:620
	buffer_load_dword v53, off, s[0:3], 0 offset:632
	;; [unrolled: 1-line block ×5, first 2 shown]
	s_waitcnt vmcnt(57) lgkmcnt(0)
	v_mul_f64 v[189:190], v[5:6], v[55:56]
	v_mul_f64 v[55:56], v[7:8], v[55:56]
	s_waitcnt vmcnt(56)
	v_fma_f64 v[51:52], v[21:22], v[39:40], -v[51:52]
	ds_read_b128 v[1:4], v71 offset:1152
	v_fma_f64 v[39:40], v[23:24], v[39:40], v[45:46]
	v_add_f64 v[25:26], v[25:26], v[47:48]
	v_add_f64 v[27:28], v[27:28], v[43:44]
	s_clause 0x2
	buffer_load_dword v54, off, s[0:3], 0 offset:636
	buffer_load_dword v44, off, s[0:3], 0 offset:612
	;; [unrolled: 1-line block ×3, first 2 shown]
	ds_read_b128 v[21:24], v71 offset:1168
	s_waitcnt vmcnt(58) lgkmcnt(1)
	v_mul_f64 v[47:48], v[3:4], v[59:60]
	s_waitcnt vmcnt(56)
	v_fma_f64 v[55:56], v[5:6], v[65:66], -v[55:56]
	v_mul_f64 v[45:46], v[1:2], v[59:60]
	v_add_f64 v[25:26], v[25:26], v[51:52]
	v_fma_f64 v[51:52], v[7:8], v[65:66], v[189:190]
	v_add_f64 v[27:28], v[27:28], v[39:40]
	s_clause 0x4
	buffer_load_dword v40, off, s[0:3], 0 offset:652
	buffer_load_dword v59, off, s[0:3], 0 offset:664
	buffer_load_dword v65, off, s[0:3], 0 offset:656
	buffer_load_dword v39, off, s[0:3], 0 offset:648
	buffer_load_dword v82, off, s[0:3], 0 offset:628
	s_waitcnt vmcnt(57) lgkmcnt(0)
	v_mul_f64 v[189:190], v[21:22], v[67:68]
	v_mul_f64 v[66:67], v[23:24], v[67:68]
	s_waitcnt vmcnt(56)
	v_fma_f64 v[47:48], v[1:2], v[49:50], -v[47:48]
	ds_read_b128 v[5:8], v71 offset:1184
	v_fma_f64 v[45:46], v[3:4], v[49:50], v[45:46]
	s_clause 0x2
	buffer_load_dword v60, off, s[0:3], 0 offset:668
	buffer_load_dword v50, off, s[0:3], 0 offset:644
	;; [unrolled: 1-line block ×3, first 2 shown]
	ds_read_b128 v[1:4], v71 offset:1200
	v_add_f64 v[25:26], v[25:26], v[55:56]
	v_add_f64 v[27:28], v[27:28], v[51:52]
	s_waitcnt vmcnt(58) lgkmcnt(1)
	v_mul_f64 v[55:56], v[7:8], v[161:162]
	s_waitcnt vmcnt(56)
	v_fma_f64 v[67:68], v[21:22], v[163:164], -v[66:67]
	v_mul_f64 v[51:52], v[5:6], v[161:162]
	v_add_f64 v[25:26], v[25:26], v[47:48]
	v_fma_f64 v[47:48], v[23:24], v[163:164], v[189:190]
	v_add_f64 v[27:28], v[27:28], v[45:46]
	s_clause 0x4
	buffer_load_dword v46, off, s[0:3], 0 offset:684
	buffer_load_dword v161, off, s[0:3], 0 offset:696
	;; [unrolled: 1-line block ×5, first 2 shown]
	s_waitcnt vmcnt(57) lgkmcnt(0)
	v_mul_f64 v[189:190], v[1:2], v[166:167]
	v_mul_f64 v[166:167], v[3:4], v[166:167]
	s_waitcnt vmcnt(56)
	v_fma_f64 v[55:56], v[5:6], v[57:58], -v[55:56]
	ds_read_b128 v[21:24], v71 offset:1216
	v_fma_f64 v[51:52], v[7:8], v[57:58], v[51:52]
	v_add_f64 v[25:26], v[25:26], v[67:68]
	v_add_f64 v[27:28], v[27:28], v[47:48]
	s_clause 0x2
	buffer_load_dword v162, off, s[0:3], 0 offset:700
	buffer_load_dword v48, off, s[0:3], 0 offset:676
	;; [unrolled: 1-line block ×3, first 2 shown]
	ds_read_b128 v[5:8], v71 offset:1232
	s_waitcnt vmcnt(58) lgkmcnt(1)
	v_mul_f64 v[67:68], v[23:24], v[168:169]
	s_waitcnt vmcnt(56)
	v_fma_f64 v[166:167], v[1:2], v[170:171], -v[166:167]
	v_mul_f64 v[57:58], v[21:22], v[168:169]
	v_add_f64 v[25:26], v[25:26], v[55:56]
	v_fma_f64 v[55:56], v[3:4], v[170:171], v[189:190]
	v_add_f64 v[27:28], v[27:28], v[51:52]
	s_clause 0x4
	buffer_load_dword v52, off, s[0:3], 0 offset:716
	buffer_load_dword v168, off, s[0:3], 0 offset:728
	;; [unrolled: 1-line block ×5, first 2 shown]
	s_waitcnt vmcnt(57) lgkmcnt(0)
	v_mul_f64 v[189:190], v[5:6], v[174:175]
	v_mul_f64 v[174:175], v[7:8], v[174:175]
	s_waitcnt vmcnt(56)
	v_fma_f64 v[67:68], v[21:22], v[69:70], -v[67:68]
	ds_read_b128 v[1:4], v71 offset:1248
	v_fma_f64 v[57:58], v[23:24], v[69:70], v[57:58]
	v_add_f64 v[25:26], v[25:26], v[166:167]
	v_add_f64 v[27:28], v[27:28], v[55:56]
	s_clause 0x2
	buffer_load_dword v169, off, s[0:3], 0 offset:732
	buffer_load_dword v56, off, s[0:3], 0 offset:708
	;; [unrolled: 1-line block ×3, first 2 shown]
	ds_read_b128 v[21:24], v71 offset:1264
	s_waitcnt vmcnt(58) lgkmcnt(1)
	v_mul_f64 v[166:167], v[3:4], v[176:177]
	s_waitcnt vmcnt(56)
	v_fma_f64 v[174:175], v[5:6], v[181:182], -v[174:175]
	v_mul_f64 v[69:70], v[1:2], v[176:177]
	v_add_f64 v[25:26], v[25:26], v[67:68]
	v_fma_f64 v[67:68], v[7:8], v[181:182], v[189:190]
	v_add_f64 v[27:28], v[27:28], v[57:58]
	s_clause 0x4
	buffer_load_dword v58, off, s[0:3], 0 offset:748
	buffer_load_dword v176, off, s[0:3], 0 offset:760
	;; [unrolled: 1-line block ×5, first 2 shown]
	ds_read_b128 v[5:8], v71 offset:1280
	s_waitcnt vmcnt(57) lgkmcnt(1)
	v_mul_f64 v[181:182], v[21:22], v[172:173]
	v_mul_f64 v[172:173], v[23:24], v[172:173]
	s_waitcnt vmcnt(56)
	v_fma_f64 v[166:167], v[1:2], v[178:179], -v[166:167]
	v_fma_f64 v[69:70], v[3:4], v[178:179], v[69:70]
	v_add_f64 v[25:26], v[25:26], v[174:175]
	v_add_f64 v[27:28], v[27:28], v[67:68]
	s_clause 0x2
	buffer_load_dword v177, off, s[0:3], 0 offset:764
	buffer_load_dword v68, off, s[0:3], 0 offset:740
	buffer_load_dword v67, off, s[0:3], 0 offset:736
	ds_read_b128 v[1:4], v71 offset:1296
	s_waitcnt vmcnt(58) lgkmcnt(1)
	v_mul_f64 v[178:179], v[7:8], v[185:186]
	v_mul_f64 v[174:175], v[5:6], v[185:186]
	s_waitcnt vmcnt(56)
	v_fma_f64 v[172:173], v[21:22], v[83:84], -v[172:173]
	v_fma_f64 v[83:84], v[23:24], v[83:84], v[181:182]
	v_add_f64 v[25:26], v[25:26], v[166:167]
	v_add_f64 v[27:28], v[27:28], v[69:70]
	s_clause 0x2
	buffer_load_dword v70, off, s[0:3], 0 offset:780
	buffer_load_dword v69, off, s[0:3], 0 offset:776
	;; [unrolled: 1-line block ×3, first 2 shown]
	ds_read_b128 v[21:24], v71 offset:1312
	s_waitcnt vmcnt(55) lgkmcnt(1)
	v_mul_f64 v[166:167], v[1:2], v[41:42]
	v_mul_f64 v[41:42], v[3:4], v[41:42]
	s_waitcnt vmcnt(54)
	v_fma_f64 v[178:179], v[5:6], v[187:188], -v[178:179]
	v_add_f64 v[25:26], v[25:26], v[172:173]
	v_fma_f64 v[172:173], v[7:8], v[187:188], v[174:175]
	v_add_f64 v[27:28], v[27:28], v[83:84]
	s_clause 0x1
	buffer_load_dword v84, off, s[0:3], 0 offset:772
	buffer_load_dword v83, off, s[0:3], 0 offset:768
	ds_read_b128 v[5:8], v71 offset:1328
	s_waitcnt vmcnt(55) lgkmcnt(1)
	v_mul_f64 v[174:175], v[21:22], v[85:86]
	v_mul_f64 v[85:86], v[23:24], v[85:86]
	s_waitcnt vmcnt(53)
	v_fma_f64 v[41:42], v[1:2], v[31:32], -v[41:42]
	v_fma_f64 v[31:32], v[3:4], v[31:32], v[166:167]
	ds_read_b128 v[1:4], v71 offset:1344
	v_add_f64 v[25:26], v[25:26], v[178:179]
	v_add_f64 v[27:28], v[27:28], v[172:173]
	s_waitcnt vmcnt(49) lgkmcnt(1)
	v_mul_f64 v[166:167], v[5:6], v[77:78]
	v_mul_f64 v[77:78], v[7:8], v[77:78]
	s_waitcnt vmcnt(48)
	v_fma_f64 v[85:86], v[21:22], v[183:184], -v[85:86]
	v_add_f64 v[25:26], v[25:26], v[41:42]
	v_fma_f64 v[41:42], v[23:24], v[183:184], v[174:175]
	v_add_f64 v[27:28], v[27:28], v[31:32]
	s_clause 0x3
	buffer_load_dword v31, off, s[0:3], 0 offset:224
	buffer_load_dword v32, off, s[0:3], 0 offset:228
	;; [unrolled: 1-line block ×4, first 2 shown]
	ds_read_b128 v[21:24], v71 offset:1360
	s_waitcnt vmcnt(51) lgkmcnt(1)
	v_mul_f64 v[174:175], v[1:2], v[79:80]
	v_mul_f64 v[79:80], v[3:4], v[79:80]
	s_waitcnt vmcnt(49)
	v_fma_f64 v[77:78], v[5:6], v[37:38], -v[77:78]
	v_fma_f64 v[37:38], v[7:8], v[37:38], v[166:167]
	ds_read_b128 v[5:8], v71 offset:1376
	v_add_f64 v[25:26], v[25:26], v[85:86]
	v_add_f64 v[27:28], v[27:28], v[41:42]
	s_waitcnt vmcnt(45) lgkmcnt(1)
	v_mul_f64 v[41:42], v[21:22], v[29:30]
	v_mul_f64 v[29:30], v[23:24], v[29:30]
	s_waitcnt vmcnt(44)
	v_fma_f64 v[79:80], v[1:2], v[87:88], -v[79:80]
	v_add_f64 v[25:26], v[25:26], v[77:78]
	v_fma_f64 v[77:78], v[3:4], v[87:88], v[174:175]
	v_add_f64 v[27:28], v[27:28], v[37:38]
	ds_read_b128 v[1:4], v71 offset:1392
	s_waitcnt vmcnt(43) lgkmcnt(1)
	v_mul_f64 v[37:38], v[5:6], v[53:54]
	v_mul_f64 v[53:54], v[7:8], v[53:54]
	s_waitcnt vmcnt(41)
	v_fma_f64 v[29:30], v[21:22], v[43:44], -v[29:30]
	v_fma_f64 v[41:42], v[23:24], v[43:44], v[41:42]
	ds_read_b128 v[21:24], v71 offset:1408
	v_add_f64 v[25:26], v[25:26], v[79:80]
	v_add_f64 v[27:28], v[27:28], v[77:78]
	s_waitcnt vmcnt(37) lgkmcnt(1)
	v_mul_f64 v[43:44], v[1:2], v[39:40]
	v_mul_f64 v[39:40], v[3:4], v[39:40]
	s_waitcnt vmcnt(36)
	v_fma_f64 v[53:54], v[5:6], v[81:82], -v[53:54]
	v_add_f64 v[25:26], v[25:26], v[29:30]
	v_fma_f64 v[29:30], v[7:8], v[81:82], v[37:38]
	v_add_f64 v[27:28], v[27:28], v[41:42]
	s_waitcnt vmcnt(35) lgkmcnt(0)
	v_mul_f64 v[41:42], v[23:24], v[59:60]
	ds_read_b128 v[5:8], v71 offset:1424
	v_mul_f64 v[37:38], v[21:22], v[59:60]
	s_waitcnt vmcnt(33)
	v_fma_f64 v[43:44], v[3:4], v[49:50], v[43:44]
	v_fma_f64 v[39:40], v[1:2], v[49:50], -v[39:40]
	ds_read_b128 v[1:4], v71 offset:1440
	v_add_f64 v[25:26], v[25:26], v[53:54]
	v_add_f64 v[27:28], v[27:28], v[29:30]
	s_waitcnt vmcnt(29) lgkmcnt(1)
	v_mul_f64 v[29:30], v[5:6], v[45:46]
	v_mul_f64 v[45:46], v[7:8], v[45:46]
	s_waitcnt vmcnt(28)
	v_fma_f64 v[41:42], v[21:22], v[65:66], -v[41:42]
	v_fma_f64 v[37:38], v[23:24], v[65:66], v[37:38]
	ds_read_b128 v[21:24], v71 offset:1456
	v_add_f64 v[25:26], v[25:26], v[39:40]
	v_add_f64 v[27:28], v[27:28], v[43:44]
	s_waitcnt vmcnt(27) lgkmcnt(1)
	v_mul_f64 v[43:44], v[3:4], v[161:162]
	v_mul_f64 v[39:40], v[1:2], v[161:162]
	s_waitcnt vmcnt(25)
	v_fma_f64 v[45:46], v[5:6], v[47:48], -v[45:46]
	v_fma_f64 v[29:30], v[7:8], v[47:48], v[29:30]
	ds_read_b128 v[5:8], v71 offset:1472
	v_add_f64 v[25:26], v[25:26], v[41:42]
	v_add_f64 v[27:28], v[27:28], v[37:38]
	s_waitcnt vmcnt(21) lgkmcnt(1)
	v_mul_f64 v[41:42], v[23:24], v[51:52]
	s_waitcnt vmcnt(20)
	v_fma_f64 v[43:44], v[1:2], v[163:164], -v[43:44]
	v_mul_f64 v[37:38], v[21:22], v[51:52]
	v_fma_f64 v[39:40], v[3:4], v[163:164], v[39:40]
	ds_read_b128 v[1:4], v71 offset:1488
	v_add_f64 v[25:26], v[25:26], v[45:46]
	v_add_f64 v[27:28], v[27:28], v[29:30]
	s_waitcnt vmcnt(19) lgkmcnt(1)
	v_mul_f64 v[45:46], v[7:8], v[168:169]
	v_mul_f64 v[29:30], v[5:6], v[168:169]
	s_waitcnt vmcnt(17)
	v_fma_f64 v[41:42], v[21:22], v[55:56], -v[41:42]
	v_fma_f64 v[37:38], v[23:24], v[55:56], v[37:38]
	ds_read_b128 v[21:24], v71 offset:1504
	v_add_f64 v[25:26], v[25:26], v[43:44]
	v_add_f64 v[27:28], v[27:28], v[39:40]
	s_waitcnt vmcnt(13) lgkmcnt(1)
	v_mul_f64 v[43:44], v[3:4], v[57:58]
	s_waitcnt vmcnt(12)
	v_fma_f64 v[45:46], v[5:6], v[170:171], -v[45:46]
	v_mul_f64 v[39:40], v[1:2], v[57:58]
	v_fma_f64 v[29:30], v[7:8], v[170:171], v[29:30]
	ds_read_b128 v[5:8], v71 offset:1520
	v_add_f64 v[25:26], v[25:26], v[41:42]
	v_add_f64 v[27:28], v[27:28], v[37:38]
	s_waitcnt vmcnt(11) lgkmcnt(1)
	v_mul_f64 v[41:42], v[23:24], v[176:177]
	v_mul_f64 v[37:38], v[21:22], v[176:177]
	s_waitcnt vmcnt(9)
	v_fma_f64 v[1:2], v[1:2], v[67:68], -v[43:44]
	v_fma_f64 v[3:4], v[3:4], v[67:68], v[39:40]
	v_add_f64 v[25:26], v[25:26], v[45:46]
	v_add_f64 v[27:28], v[27:28], v[29:30]
	s_waitcnt vmcnt(7) lgkmcnt(0)
	v_mul_f64 v[39:40], v[7:8], v[69:70]
	s_waitcnt vmcnt(6)
	v_fma_f64 v[21:22], v[21:22], v[180:181], -v[41:42]
	v_mul_f64 v[29:30], v[5:6], v[69:70]
	v_fma_f64 v[23:24], v[23:24], v[180:181], v[37:38]
	v_add_f64 v[1:2], v[25:26], v[1:2]
	v_add_f64 v[3:4], v[27:28], v[3:4]
	s_waitcnt vmcnt(4)
	v_fma_f64 v[5:6], v[5:6], v[83:84], -v[39:40]
	v_fma_f64 v[7:8], v[7:8], v[83:84], v[29:30]
	v_add_f64 v[1:2], v[1:2], v[21:22]
	v_add_f64 v[3:4], v[3:4], v[23:24]
	;; [unrolled: 1-line block ×4, first 2 shown]
	s_waitcnt vmcnt(2)
	v_add_f64 v[1:2], v[31:32], -v[1:2]
	s_waitcnt vmcnt(0)
	v_add_f64 v[3:4], v[172:173], -v[3:4]
	buffer_store_dword v2, off, s[0:3], 0 offset:228
	buffer_store_dword v1, off, s[0:3], 0 offset:224
	buffer_store_dword v4, off, s[0:3], 0 offset:236
	buffer_store_dword v3, off, s[0:3], 0 offset:232
	v_cmpx_lt_u32_e32 12, v0
	s_cbranch_execz .LBB47_277
; %bb.276:
	v_mov_b32_e32 v4, s48
	v_mov_b32_e32 v5, 0
	s_clause 0x3
	buffer_load_dword v1, v4, s[0:3], 0 offen
	buffer_load_dword v2, v4, s[0:3], 0 offen offset:4
	buffer_load_dword v3, v4, s[0:3], 0 offen offset:8
	buffer_load_dword v4, v4, s[0:3], 0 offen offset:12
	buffer_store_dword v5, off, s[0:3], 0 offset:208
	buffer_store_dword v5, off, s[0:3], 0 offset:212
	;; [unrolled: 1-line block ×4, first 2 shown]
	s_waitcnt vmcnt(0)
	ds_write_b128 v165, v[1:4]
.LBB47_277:
	s_or_b32 exec_lo, exec_lo, s4
	s_waitcnt lgkmcnt(0)
	s_waitcnt_vscnt null, 0x0
	s_barrier
	buffer_gl0_inv
	s_clause 0x37
	buffer_load_dword v21, off, s[0:3], 0 offset:232
	buffer_load_dword v22, off, s[0:3], 0 offset:236
	;; [unrolled: 1-line block ×56, first 2 shown]
	v_mov_b32_e32 v85, 0
	s_mov_b32 s4, exec_lo
	ds_read_b128 v[161:164], v85 offset:976
	s_clause 0x2
	buffer_load_dword v82, off, s[0:3], 0 offset:460
	buffer_load_dword v84, off, s[0:3], 0 offset:436
	;; [unrolled: 1-line block ×3, first 2 shown]
	ds_read_b128 v[166:169], v85 offset:992
	s_clause 0x4
	buffer_load_dword v175, off, s[0:3], 0 offset:476
	buffer_load_dword v176, off, s[0:3], 0 offset:488
	;; [unrolled: 1-line block ×5, first 2 shown]
	ds_read_b128 v[170:173], v85 offset:1008
	s_clause 0x2
	buffer_load_dword v177, off, s[0:3], 0 offset:492
	buffer_load_dword v182, off, s[0:3], 0 offset:468
	;; [unrolled: 1-line block ×3, first 2 shown]
	s_waitcnt vmcnt(62) lgkmcnt(2)
	v_mul_f64 v[86:87], v[163:164], v[21:22]
	v_mul_f64 v[21:22], v[161:162], v[21:22]
	s_waitcnt lgkmcnt(1)
	v_mul_f64 v[179:180], v[168:169], v[5:6]
	s_waitcnt vmcnt(59) lgkmcnt(0)
	v_mul_f64 v[183:184], v[172:173], v[3:4]
	v_fma_f64 v[86:87], v[161:162], v[7:8], -v[86:87]
	v_mul_f64 v[161:162], v[166:167], v[5:6]
	v_fma_f64 v[21:22], v[163:164], v[7:8], v[21:22]
	s_waitcnt vmcnt(57)
	v_fma_f64 v[166:167], v[166:167], v[1:2], -v[179:180]
	ds_read_b128 v[5:8], v85 offset:1024
	v_mul_f64 v[163:164], v[170:171], v[3:4]
	s_waitcnt vmcnt(51)
	v_fma_f64 v[170:171], v[170:171], v[41:42], -v[183:184]
	v_add_f64 v[86:87], v[86:87], 0
	v_fma_f64 v[161:162], v[168:169], v[1:2], v[161:162]
	v_add_f64 v[21:22], v[21:22], 0
	s_clause 0x4
	buffer_load_dword v169, off, s[0:3], 0 offset:508
	buffer_load_dword v185, off, s[0:3], 0 offset:520
	;; [unrolled: 1-line block ×5, first 2 shown]
	s_waitcnt lgkmcnt(0)
	v_mul_f64 v[188:189], v[5:6], v[25:26]
	v_mul_f64 v[25:26], v[7:8], v[25:26]
	ds_read_b128 v[1:4], v85 offset:1040
	v_fma_f64 v[41:42], v[172:173], v[41:42], v[163:164]
	v_add_f64 v[86:87], v[86:87], v[166:167]
	s_clause 0x2
	buffer_load_dword v186, off, s[0:3], 0 offset:524
	buffer_load_dword v167, off, s[0:3], 0 offset:500
	;; [unrolled: 1-line block ×3, first 2 shown]
	v_add_f64 v[21:22], v[21:22], v[161:162]
	ds_read_b128 v[161:164], v85 offset:1056
	s_waitcnt vmcnt(58) lgkmcnt(1)
	v_mul_f64 v[172:173], v[1:2], v[29:30]
	v_mul_f64 v[29:30], v[3:4], v[29:30]
	s_waitcnt vmcnt(56)
	v_fma_f64 v[25:26], v[5:6], v[31:32], -v[25:26]
	v_fma_f64 v[31:32], v[7:8], v[31:32], v[188:189]
	v_add_f64 v[86:87], v[86:87], v[170:171]
	s_waitcnt vmcnt(52) lgkmcnt(0)
	v_mul_f64 v[189:190], v[161:162], v[37:38]
	v_add_f64 v[21:22], v[21:22], v[41:42]
	s_clause 0x4
	buffer_load_dword v42, off, s[0:3], 0 offset:540
	buffer_load_dword v170, off, s[0:3], 0 offset:552
	;; [unrolled: 1-line block ×5, first 2 shown]
	v_mul_f64 v[37:38], v[163:164], v[37:38]
	s_waitcnt vmcnt(56)
	v_fma_f64 v[29:30], v[1:2], v[23:24], -v[29:30]
	ds_read_b128 v[5:8], v85 offset:1072
	v_fma_f64 v[23:24], v[3:4], v[23:24], v[172:173]
	v_add_f64 v[25:26], v[86:87], v[25:26]
	v_add_f64 v[21:22], v[21:22], v[31:32]
	s_clause 0x2
	buffer_load_dword v171, off, s[0:3], 0 offset:556
	buffer_load_dword v32, off, s[0:3], 0 offset:532
	;; [unrolled: 1-line block ×3, first 2 shown]
	s_waitcnt vmcnt(58) lgkmcnt(0)
	v_mul_f64 v[86:87], v[5:6], v[43:44]
	v_mul_f64 v[43:44], v[7:8], v[43:44]
	s_waitcnt vmcnt(56)
	v_fma_f64 v[37:38], v[161:162], v[45:46], -v[37:38]
	ds_read_b128 v[1:4], v85 offset:1088
	v_add_f64 v[25:26], v[25:26], v[29:30]
	v_fma_f64 v[29:30], v[163:164], v[45:46], v[189:190]
	v_add_f64 v[45:46], v[21:22], v[23:24]
	s_clause 0x4
	buffer_load_dword v162, off, s[0:3], 0 offset:572
	buffer_load_dword v163, off, s[0:3], 0 offset:584
	;; [unrolled: 1-line block ×5, first 2 shown]
	ds_read_b128 v[21:24], v85 offset:1104
	s_waitcnt vmcnt(57) lgkmcnt(1)
	v_mul_f64 v[189:190], v[1:2], v[47:48]
	v_mul_f64 v[47:48], v[3:4], v[47:48]
	s_waitcnt vmcnt(56)
	v_fma_f64 v[43:44], v[5:6], v[27:28], -v[43:44]
	v_fma_f64 v[27:28], v[7:8], v[27:28], v[86:87]
	v_add_f64 v[25:26], v[25:26], v[37:38]
	s_clause 0x2
	buffer_load_dword v164, off, s[0:3], 0 offset:588
	buffer_load_dword v38, off, s[0:3], 0 offset:564
	;; [unrolled: 1-line block ×3, first 2 shown]
	v_add_f64 v[29:30], v[45:46], v[29:30]
	s_waitcnt vmcnt(58) lgkmcnt(0)
	v_mul_f64 v[45:46], v[21:22], v[51:52]
	v_mul_f64 v[51:52], v[23:24], v[51:52]
	ds_read_b128 v[5:8], v85 offset:1120
	s_waitcnt vmcnt(56)
	v_fma_f64 v[47:48], v[1:2], v[53:54], -v[47:48]
	v_add_f64 v[25:26], v[25:26], v[43:44]
	v_fma_f64 v[43:44], v[3:4], v[53:54], v[189:190]
	v_add_f64 v[27:28], v[29:30], v[27:28]
	s_clause 0x4
	buffer_load_dword v30, off, s[0:3], 0 offset:604
	buffer_load_dword v53, off, s[0:3], 0 offset:616
	buffer_load_dword v86, off, s[0:3], 0 offset:608
	buffer_load_dword v29, off, s[0:3], 0 offset:600
	buffer_load_dword v173, off, s[0:3], 0 offset:580
	s_waitcnt vmcnt(57) lgkmcnt(0)
	v_mul_f64 v[87:88], v[5:6], v[55:56]
	v_mul_f64 v[55:56], v[7:8], v[55:56]
	s_waitcnt vmcnt(56)
	v_fma_f64 v[51:52], v[21:22], v[39:40], -v[51:52]
	ds_read_b128 v[1:4], v85 offset:1136
	v_fma_f64 v[39:40], v[23:24], v[39:40], v[45:46]
	v_add_f64 v[25:26], v[25:26], v[47:48]
	v_add_f64 v[27:28], v[27:28], v[43:44]
	s_clause 0x2
	buffer_load_dword v54, off, s[0:3], 0 offset:620
	buffer_load_dword v44, off, s[0:3], 0 offset:596
	;; [unrolled: 1-line block ×3, first 2 shown]
	ds_read_b128 v[21:24], v85 offset:1152
	s_waitcnt vmcnt(58) lgkmcnt(1)
	v_mul_f64 v[47:48], v[3:4], v[59:60]
	s_waitcnt vmcnt(56)
	v_fma_f64 v[55:56], v[5:6], v[65:66], -v[55:56]
	v_mul_f64 v[45:46], v[1:2], v[59:60]
	v_add_f64 v[25:26], v[25:26], v[51:52]
	v_fma_f64 v[51:52], v[7:8], v[65:66], v[87:88]
	v_add_f64 v[27:28], v[27:28], v[39:40]
	s_clause 0x4
	buffer_load_dword v40, off, s[0:3], 0 offset:636
	buffer_load_dword v59, off, s[0:3], 0 offset:648
	;; [unrolled: 1-line block ×5, first 2 shown]
	s_waitcnt vmcnt(57) lgkmcnt(0)
	v_mul_f64 v[189:190], v[21:22], v[67:68]
	v_mul_f64 v[66:67], v[23:24], v[67:68]
	s_waitcnt vmcnt(56)
	v_fma_f64 v[47:48], v[1:2], v[49:50], -v[47:48]
	ds_read_b128 v[5:8], v85 offset:1168
	v_fma_f64 v[45:46], v[3:4], v[49:50], v[45:46]
	s_clause 0x2
	buffer_load_dword v60, off, s[0:3], 0 offset:652
	buffer_load_dword v50, off, s[0:3], 0 offset:628
	;; [unrolled: 1-line block ×3, first 2 shown]
	ds_read_b128 v[1:4], v85 offset:1184
	v_add_f64 v[25:26], v[25:26], v[55:56]
	v_add_f64 v[27:28], v[27:28], v[51:52]
	s_waitcnt vmcnt(58) lgkmcnt(1)
	v_mul_f64 v[55:56], v[7:8], v[71:72]
	s_waitcnt vmcnt(56)
	v_fma_f64 v[67:68], v[21:22], v[77:78], -v[66:67]
	v_mul_f64 v[51:52], v[5:6], v[71:72]
	v_add_f64 v[25:26], v[25:26], v[47:48]
	v_fma_f64 v[47:48], v[23:24], v[77:78], v[189:190]
	v_add_f64 v[27:28], v[27:28], v[45:46]
	s_clause 0x4
	buffer_load_dword v46, off, s[0:3], 0 offset:668
	buffer_load_dword v71, off, s[0:3], 0 offset:680
	;; [unrolled: 1-line block ×5, first 2 shown]
	s_waitcnt vmcnt(57) lgkmcnt(0)
	v_mul_f64 v[189:190], v[1:2], v[79:80]
	v_mul_f64 v[78:79], v[3:4], v[79:80]
	s_waitcnt vmcnt(56)
	v_fma_f64 v[55:56], v[5:6], v[57:58], -v[55:56]
	ds_read_b128 v[21:24], v85 offset:1200
	v_fma_f64 v[51:52], v[7:8], v[57:58], v[51:52]
	v_add_f64 v[25:26], v[25:26], v[67:68]
	v_add_f64 v[27:28], v[27:28], v[47:48]
	s_clause 0x2
	buffer_load_dword v72, off, s[0:3], 0 offset:684
	buffer_load_dword v48, off, s[0:3], 0 offset:660
	;; [unrolled: 1-line block ×3, first 2 shown]
	ds_read_b128 v[5:8], v85 offset:1216
	s_waitcnt vmcnt(58) lgkmcnt(1)
	v_mul_f64 v[67:68], v[23:24], v[81:82]
	s_waitcnt vmcnt(56)
	v_fma_f64 v[79:80], v[1:2], v[83:84], -v[78:79]
	v_mul_f64 v[57:58], v[21:22], v[81:82]
	v_add_f64 v[25:26], v[25:26], v[55:56]
	v_fma_f64 v[55:56], v[3:4], v[83:84], v[189:190]
	v_add_f64 v[27:28], v[27:28], v[51:52]
	s_clause 0x4
	buffer_load_dword v52, off, s[0:3], 0 offset:700
	buffer_load_dword v81, off, s[0:3], 0 offset:712
	;; [unrolled: 1-line block ×5, first 2 shown]
	s_waitcnt vmcnt(57) lgkmcnt(0)
	v_mul_f64 v[189:190], v[5:6], v[174:175]
	v_mul_f64 v[174:175], v[7:8], v[174:175]
	s_waitcnt vmcnt(56)
	v_fma_f64 v[67:68], v[21:22], v[69:70], -v[67:68]
	ds_read_b128 v[1:4], v85 offset:1232
	v_fma_f64 v[57:58], v[23:24], v[69:70], v[57:58]
	v_add_f64 v[25:26], v[25:26], v[79:80]
	v_add_f64 v[27:28], v[27:28], v[55:56]
	s_clause 0x2
	buffer_load_dword v82, off, s[0:3], 0 offset:716
	buffer_load_dword v56, off, s[0:3], 0 offset:692
	;; [unrolled: 1-line block ×3, first 2 shown]
	ds_read_b128 v[21:24], v85 offset:1248
	s_waitcnt vmcnt(58) lgkmcnt(1)
	v_mul_f64 v[79:80], v[3:4], v[176:177]
	s_waitcnt vmcnt(56)
	v_fma_f64 v[174:175], v[5:6], v[181:182], -v[174:175]
	v_mul_f64 v[69:70], v[1:2], v[176:177]
	v_add_f64 v[25:26], v[25:26], v[67:68]
	v_fma_f64 v[67:68], v[7:8], v[181:182], v[189:190]
	v_add_f64 v[27:28], v[27:28], v[57:58]
	s_clause 0x4
	buffer_load_dword v58, off, s[0:3], 0 offset:732
	buffer_load_dword v176, off, s[0:3], 0 offset:744
	;; [unrolled: 1-line block ×5, first 2 shown]
	ds_read_b128 v[5:8], v85 offset:1264
	s_waitcnt vmcnt(57) lgkmcnt(1)
	v_mul_f64 v[181:182], v[21:22], v[168:169]
	v_mul_f64 v[168:169], v[23:24], v[168:169]
	s_waitcnt vmcnt(56)
	v_fma_f64 v[79:80], v[1:2], v[178:179], -v[79:80]
	v_fma_f64 v[69:70], v[3:4], v[178:179], v[69:70]
	v_add_f64 v[25:26], v[25:26], v[174:175]
	v_add_f64 v[27:28], v[27:28], v[67:68]
	s_clause 0x2
	buffer_load_dword v177, off, s[0:3], 0 offset:748
	buffer_load_dword v68, off, s[0:3], 0 offset:724
	;; [unrolled: 1-line block ×3, first 2 shown]
	ds_read_b128 v[1:4], v85 offset:1280
	s_waitcnt vmcnt(58) lgkmcnt(1)
	v_mul_f64 v[178:179], v[7:8], v[185:186]
	v_mul_f64 v[174:175], v[5:6], v[185:186]
	s_waitcnt vmcnt(56)
	v_fma_f64 v[168:169], v[21:22], v[166:167], -v[168:169]
	v_add_f64 v[25:26], v[25:26], v[79:80]
	v_fma_f64 v[79:80], v[23:24], v[166:167], v[181:182]
	v_add_f64 v[27:28], v[27:28], v[69:70]
	s_clause 0x4
	buffer_load_dword v70, off, s[0:3], 0 offset:764
	buffer_load_dword v166, off, s[0:3], 0 offset:776
	buffer_load_dword v185, off, s[0:3], 0 offset:768
	buffer_load_dword v69, off, s[0:3], 0 offset:760
	buffer_load_dword v181, off, s[0:3], 0 offset:740
	ds_read_b128 v[21:24], v85 offset:1296
	s_waitcnt vmcnt(57) lgkmcnt(1)
	v_mul_f64 v[189:190], v[1:2], v[41:42]
	v_mul_f64 v[41:42], v[3:4], v[41:42]
	s_waitcnt vmcnt(56)
	v_fma_f64 v[178:179], v[5:6], v[187:188], -v[178:179]
	v_add_f64 v[25:26], v[25:26], v[168:169]
	v_fma_f64 v[168:169], v[7:8], v[187:188], v[174:175]
	v_add_f64 v[27:28], v[27:28], v[79:80]
	s_clause 0x2
	buffer_load_dword v167, off, s[0:3], 0 offset:780
	buffer_load_dword v80, off, s[0:3], 0 offset:756
	;; [unrolled: 1-line block ×3, first 2 shown]
	ds_read_b128 v[5:8], v85 offset:1312
	buffer_load_dword v186, off, s[0:3], 0 offset:772
	s_waitcnt vmcnt(59) lgkmcnt(1)
	v_mul_f64 v[174:175], v[21:22], v[170:171]
	v_mul_f64 v[170:171], v[23:24], v[170:171]
	s_waitcnt vmcnt(57)
	v_fma_f64 v[41:42], v[1:2], v[31:32], -v[41:42]
	v_fma_f64 v[31:32], v[3:4], v[31:32], v[189:190]
	ds_read_b128 v[1:4], v85 offset:1328
	v_add_f64 v[25:26], v[25:26], v[178:179]
	v_add_f64 v[27:28], v[27:28], v[168:169]
	s_waitcnt vmcnt(53) lgkmcnt(1)
	v_mul_f64 v[168:169], v[5:6], v[161:162]
	v_mul_f64 v[161:162], v[7:8], v[161:162]
	s_waitcnt vmcnt(52)
	v_fma_f64 v[170:171], v[21:22], v[183:184], -v[170:171]
	v_add_f64 v[25:26], v[25:26], v[41:42]
	v_fma_f64 v[41:42], v[23:24], v[183:184], v[174:175]
	v_add_f64 v[27:28], v[27:28], v[31:32]
	ds_read_b128 v[21:24], v85 offset:1344
	s_waitcnt vmcnt(51) lgkmcnt(1)
	v_mul_f64 v[31:32], v[1:2], v[163:164]
	v_mul_f64 v[163:164], v[3:4], v[163:164]
	s_waitcnt vmcnt(49)
	v_fma_f64 v[161:162], v[5:6], v[37:38], -v[161:162]
	v_fma_f64 v[37:38], v[7:8], v[37:38], v[168:169]
	v_add_f64 v[25:26], v[25:26], v[170:171]
	v_add_f64 v[27:28], v[27:28], v[41:42]
	s_clause 0x3
	buffer_load_dword v41, off, s[0:3], 0 offset:208
	buffer_load_dword v42, off, s[0:3], 0 offset:212
	;; [unrolled: 1-line block ×4, first 2 shown]
	ds_read_b128 v[5:8], v85 offset:1360
	s_waitcnt vmcnt(49) lgkmcnt(1)
	v_mul_f64 v[170:171], v[21:22], v[29:30]
	v_mul_f64 v[29:30], v[23:24], v[29:30]
	s_waitcnt vmcnt(48)
	v_fma_f64 v[163:164], v[1:2], v[172:173], -v[163:164]
	v_fma_f64 v[31:32], v[3:4], v[172:173], v[31:32]
	ds_read_b128 v[1:4], v85 offset:1376
	v_add_f64 v[25:26], v[25:26], v[161:162]
	v_add_f64 v[27:28], v[27:28], v[37:38]
	s_waitcnt vmcnt(47) lgkmcnt(1)
	v_mul_f64 v[37:38], v[5:6], v[53:54]
	v_mul_f64 v[53:54], v[7:8], v[53:54]
	s_waitcnt vmcnt(45)
	v_fma_f64 v[29:30], v[21:22], v[43:44], -v[29:30]
	v_fma_f64 v[43:44], v[23:24], v[43:44], v[170:171]
	ds_read_b128 v[21:24], v85 offset:1392
	v_add_f64 v[25:26], v[25:26], v[163:164]
	v_add_f64 v[27:28], v[27:28], v[31:32]
	s_waitcnt vmcnt(41) lgkmcnt(1)
	v_mul_f64 v[31:32], v[1:2], v[39:40]
	v_mul_f64 v[39:40], v[3:4], v[39:40]
	s_waitcnt vmcnt(40)
	v_fma_f64 v[53:54], v[5:6], v[86:87], -v[53:54]
	v_add_f64 v[25:26], v[25:26], v[29:30]
	v_fma_f64 v[29:30], v[7:8], v[86:87], v[37:38]
	v_add_f64 v[27:28], v[27:28], v[43:44]
	ds_read_b128 v[5:8], v85 offset:1408
	s_waitcnt vmcnt(39) lgkmcnt(1)
	v_mul_f64 v[43:44], v[23:24], v[59:60]
	v_mul_f64 v[37:38], v[21:22], v[59:60]
	s_waitcnt vmcnt(37)
	v_fma_f64 v[31:32], v[3:4], v[49:50], v[31:32]
	v_fma_f64 v[39:40], v[1:2], v[49:50], -v[39:40]
	ds_read_b128 v[1:4], v85 offset:1424
	v_add_f64 v[25:26], v[25:26], v[53:54]
	v_add_f64 v[27:28], v[27:28], v[29:30]
	s_waitcnt vmcnt(33) lgkmcnt(1)
	v_mul_f64 v[29:30], v[5:6], v[45:46]
	v_mul_f64 v[45:46], v[7:8], v[45:46]
	s_waitcnt vmcnt(32)
	v_fma_f64 v[43:44], v[21:22], v[65:66], -v[43:44]
	v_fma_f64 v[37:38], v[23:24], v[65:66], v[37:38]
	ds_read_b128 v[21:24], v85 offset:1440
	v_add_f64 v[25:26], v[25:26], v[39:40]
	v_add_f64 v[27:28], v[27:28], v[31:32]
	s_waitcnt vmcnt(31) lgkmcnt(1)
	v_mul_f64 v[39:40], v[3:4], v[71:72]
	v_mul_f64 v[31:32], v[1:2], v[71:72]
	s_waitcnt vmcnt(29)
	v_fma_f64 v[45:46], v[5:6], v[47:48], -v[45:46]
	v_fma_f64 v[29:30], v[7:8], v[47:48], v[29:30]
	ds_read_b128 v[5:8], v85 offset:1456
	v_add_f64 v[25:26], v[25:26], v[43:44]
	v_add_f64 v[27:28], v[27:28], v[37:38]
	s_waitcnt vmcnt(25) lgkmcnt(1)
	v_mul_f64 v[43:44], v[23:24], v[51:52]
	s_waitcnt vmcnt(24)
	v_fma_f64 v[39:40], v[1:2], v[77:78], -v[39:40]
	v_mul_f64 v[37:38], v[21:22], v[51:52]
	v_fma_f64 v[31:32], v[3:4], v[77:78], v[31:32]
	ds_read_b128 v[1:4], v85 offset:1472
	v_add_f64 v[25:26], v[25:26], v[45:46]
	v_add_f64 v[27:28], v[27:28], v[29:30]
	s_waitcnt vmcnt(23) lgkmcnt(1)
	v_mul_f64 v[45:46], v[7:8], v[81:82]
	v_mul_f64 v[29:30], v[5:6], v[81:82]
	s_waitcnt vmcnt(21)
	v_fma_f64 v[43:44], v[21:22], v[55:56], -v[43:44]
	v_fma_f64 v[37:38], v[23:24], v[55:56], v[37:38]
	ds_read_b128 v[21:24], v85 offset:1488
	v_add_f64 v[25:26], v[25:26], v[39:40]
	v_add_f64 v[27:28], v[27:28], v[31:32]
	s_waitcnt vmcnt(17) lgkmcnt(1)
	v_mul_f64 v[39:40], v[3:4], v[57:58]
	s_waitcnt vmcnt(16)
	v_fma_f64 v[45:46], v[5:6], v[83:84], -v[45:46]
	v_mul_f64 v[31:32], v[1:2], v[57:58]
	;; [unrolled: 18-line block ×3, first 2 shown]
	v_fma_f64 v[23:24], v[23:24], v[180:181], v[37:38]
	v_add_f64 v[25:26], v[25:26], v[39:40]
	v_add_f64 v[27:28], v[27:28], v[31:32]
	s_waitcnt vmcnt(7) lgkmcnt(0)
	v_mul_f64 v[37:38], v[3:4], v[166:167]
	v_mul_f64 v[31:32], v[1:2], v[166:167]
	s_waitcnt vmcnt(5)
	v_fma_f64 v[5:6], v[5:6], v[79:80], -v[45:46]
	v_fma_f64 v[7:8], v[7:8], v[79:80], v[29:30]
	v_add_f64 v[21:22], v[25:26], v[21:22]
	v_add_f64 v[23:24], v[27:28], v[23:24]
	s_waitcnt vmcnt(4)
	v_fma_f64 v[1:2], v[1:2], v[185:186], -v[37:38]
	v_fma_f64 v[3:4], v[3:4], v[185:186], v[31:32]
	v_add_f64 v[5:6], v[21:22], v[5:6]
	v_add_f64 v[7:8], v[23:24], v[7:8]
	;; [unrolled: 1-line block ×4, first 2 shown]
	s_waitcnt vmcnt(2)
	v_add_f64 v[1:2], v[41:42], -v[1:2]
	s_waitcnt vmcnt(0)
	v_add_f64 v[3:4], v[168:169], -v[3:4]
	buffer_store_dword v2, off, s[0:3], 0 offset:212
	buffer_store_dword v1, off, s[0:3], 0 offset:208
	;; [unrolled: 1-line block ×4, first 2 shown]
	v_cmpx_lt_u32_e32 11, v0
	s_cbranch_execz .LBB47_279
; %bb.278:
	v_mov_b32_e32 v4, s49
	s_clause 0x3
	buffer_load_dword v1, v4, s[0:3], 0 offen
	buffer_load_dword v2, v4, s[0:3], 0 offen offset:4
	buffer_load_dword v3, v4, s[0:3], 0 offen offset:8
	;; [unrolled: 1-line block ×3, first 2 shown]
	buffer_store_dword v85, off, s[0:3], 0 offset:192
	buffer_store_dword v85, off, s[0:3], 0 offset:196
	;; [unrolled: 1-line block ×4, first 2 shown]
	s_waitcnt vmcnt(0)
	ds_write_b128 v165, v[1:4]
.LBB47_279:
	s_or_b32 exec_lo, exec_lo, s4
	s_waitcnt lgkmcnt(0)
	s_waitcnt_vscnt null, 0x0
	s_barrier
	buffer_gl0_inv
	s_clause 0x37
	buffer_load_dword v21, off, s[0:3], 0 offset:216
	buffer_load_dword v22, off, s[0:3], 0 offset:220
	buffer_load_dword v5, off, s[0:3], 0 offset:232
	buffer_load_dword v6, off, s[0:3], 0 offset:236
	buffer_load_dword v7, off, s[0:3], 0 offset:208
	buffer_load_dword v8, off, s[0:3], 0 offset:212
	buffer_load_dword v3, off, s[0:3], 0 offset:248
	buffer_load_dword v4, off, s[0:3], 0 offset:252
	buffer_load_dword v1, off, s[0:3], 0 offset:224
	buffer_load_dword v2, off, s[0:3], 0 offset:228
	buffer_load_dword v26, off, s[0:3], 0 offset:268
	buffer_load_dword v29, off, s[0:3], 0 offset:280
	buffer_load_dword v23, off, s[0:3], 0 offset:272
	buffer_load_dword v25, off, s[0:3], 0 offset:264
	buffer_load_dword v41, off, s[0:3], 0 offset:240
	buffer_load_dword v42, off, s[0:3], 0 offset:244
	buffer_load_dword v30, off, s[0:3], 0 offset:284
	buffer_load_dword v32, off, s[0:3], 0 offset:260
	buffer_load_dword v31, off, s[0:3], 0 offset:256
	buffer_load_dword v38, off, s[0:3], 0 offset:300
	buffer_load_dword v43, off, s[0:3], 0 offset:312
	buffer_load_dword v27, off, s[0:3], 0 offset:304
	buffer_load_dword v37, off, s[0:3], 0 offset:296
	buffer_load_dword v24, off, s[0:3], 0 offset:276
	buffer_load_dword v44, off, s[0:3], 0 offset:316
	buffer_load_dword v46, off, s[0:3], 0 offset:292
	buffer_load_dword v45, off, s[0:3], 0 offset:288
	buffer_load_dword v48, off, s[0:3], 0 offset:332
	buffer_load_dword v51, off, s[0:3], 0 offset:344
	buffer_load_dword v39, off, s[0:3], 0 offset:336
	buffer_load_dword v47, off, s[0:3], 0 offset:328
	buffer_load_dword v28, off, s[0:3], 0 offset:308
	buffer_load_dword v52, off, s[0:3], 0 offset:348
	buffer_load_dword v54, off, s[0:3], 0 offset:324
	buffer_load_dword v53, off, s[0:3], 0 offset:320
	buffer_load_dword v56, off, s[0:3], 0 offset:364
	buffer_load_dword v59, off, s[0:3], 0 offset:376
	buffer_load_dword v49, off, s[0:3], 0 offset:368
	buffer_load_dword v55, off, s[0:3], 0 offset:360
	buffer_load_dword v40, off, s[0:3], 0 offset:340
	buffer_load_dword v60, off, s[0:3], 0 offset:380
	buffer_load_dword v66, off, s[0:3], 0 offset:356
	buffer_load_dword v65, off, s[0:3], 0 offset:352
	buffer_load_dword v68, off, s[0:3], 0 offset:396
	buffer_load_dword v71, off, s[0:3], 0 offset:408
	buffer_load_dword v57, off, s[0:3], 0 offset:400
	buffer_load_dword v67, off, s[0:3], 0 offset:392
	buffer_load_dword v50, off, s[0:3], 0 offset:372
	buffer_load_dword v72, off, s[0:3], 0 offset:412
	buffer_load_dword v78, off, s[0:3], 0 offset:388
	buffer_load_dword v77, off, s[0:3], 0 offset:384
	buffer_load_dword v80, off, s[0:3], 0 offset:428
	buffer_load_dword v81, off, s[0:3], 0 offset:440
	buffer_load_dword v69, off, s[0:3], 0 offset:432
	buffer_load_dword v79, off, s[0:3], 0 offset:424
	buffer_load_dword v58, off, s[0:3], 0 offset:404
	ds_read_b128 v[161:164], v85 offset:960
	s_clause 0x2
	buffer_load_dword v82, off, s[0:3], 0 offset:444
	buffer_load_dword v84, off, s[0:3], 0 offset:420
	;; [unrolled: 1-line block ×3, first 2 shown]
	ds_read_b128 v[166:169], v85 offset:976
	s_clause 0x4
	buffer_load_dword v175, off, s[0:3], 0 offset:460
	buffer_load_dword v176, off, s[0:3], 0 offset:472
	;; [unrolled: 1-line block ×5, first 2 shown]
	ds_read_b128 v[170:173], v85 offset:992
	s_clause 0x2
	buffer_load_dword v177, off, s[0:3], 0 offset:476
	buffer_load_dword v182, off, s[0:3], 0 offset:452
	;; [unrolled: 1-line block ×3, first 2 shown]
	s_mov_b32 s4, exec_lo
	s_waitcnt vmcnt(62) lgkmcnt(2)
	v_mul_f64 v[86:87], v[163:164], v[21:22]
	v_mul_f64 v[21:22], v[161:162], v[21:22]
	s_waitcnt lgkmcnt(1)
	v_mul_f64 v[179:180], v[168:169], v[5:6]
	s_waitcnt vmcnt(59) lgkmcnt(0)
	v_mul_f64 v[183:184], v[172:173], v[3:4]
	v_fma_f64 v[86:87], v[161:162], v[7:8], -v[86:87]
	v_mul_f64 v[161:162], v[166:167], v[5:6]
	v_fma_f64 v[21:22], v[163:164], v[7:8], v[21:22]
	s_waitcnt vmcnt(57)
	v_fma_f64 v[166:167], v[166:167], v[1:2], -v[179:180]
	ds_read_b128 v[5:8], v85 offset:1008
	v_mul_f64 v[163:164], v[170:171], v[3:4]
	s_waitcnt vmcnt(51)
	v_fma_f64 v[170:171], v[170:171], v[41:42], -v[183:184]
	v_add_f64 v[86:87], v[86:87], 0
	v_fma_f64 v[161:162], v[168:169], v[1:2], v[161:162]
	v_add_f64 v[21:22], v[21:22], 0
	s_clause 0x4
	buffer_load_dword v169, off, s[0:3], 0 offset:492
	buffer_load_dword v185, off, s[0:3], 0 offset:504
	;; [unrolled: 1-line block ×5, first 2 shown]
	s_waitcnt lgkmcnt(0)
	v_mul_f64 v[188:189], v[5:6], v[25:26]
	v_mul_f64 v[25:26], v[7:8], v[25:26]
	ds_read_b128 v[1:4], v85 offset:1024
	v_fma_f64 v[41:42], v[172:173], v[41:42], v[163:164]
	v_add_f64 v[86:87], v[86:87], v[166:167]
	s_clause 0x2
	buffer_load_dword v186, off, s[0:3], 0 offset:508
	buffer_load_dword v167, off, s[0:3], 0 offset:484
	;; [unrolled: 1-line block ×3, first 2 shown]
	v_add_f64 v[21:22], v[21:22], v[161:162]
	ds_read_b128 v[161:164], v85 offset:1040
	s_waitcnt vmcnt(58) lgkmcnt(1)
	v_mul_f64 v[172:173], v[1:2], v[29:30]
	v_mul_f64 v[29:30], v[3:4], v[29:30]
	s_waitcnt vmcnt(56)
	v_fma_f64 v[25:26], v[5:6], v[31:32], -v[25:26]
	v_fma_f64 v[31:32], v[7:8], v[31:32], v[188:189]
	v_add_f64 v[86:87], v[86:87], v[170:171]
	s_waitcnt vmcnt(52) lgkmcnt(0)
	v_mul_f64 v[189:190], v[161:162], v[37:38]
	v_add_f64 v[21:22], v[21:22], v[41:42]
	s_clause 0x4
	buffer_load_dword v42, off, s[0:3], 0 offset:524
	buffer_load_dword v170, off, s[0:3], 0 offset:536
	;; [unrolled: 1-line block ×5, first 2 shown]
	v_mul_f64 v[37:38], v[163:164], v[37:38]
	s_waitcnt vmcnt(56)
	v_fma_f64 v[29:30], v[1:2], v[23:24], -v[29:30]
	ds_read_b128 v[5:8], v85 offset:1056
	v_fma_f64 v[23:24], v[3:4], v[23:24], v[172:173]
	v_add_f64 v[25:26], v[86:87], v[25:26]
	v_add_f64 v[21:22], v[21:22], v[31:32]
	s_clause 0x2
	buffer_load_dword v171, off, s[0:3], 0 offset:540
	buffer_load_dword v32, off, s[0:3], 0 offset:516
	buffer_load_dword v31, off, s[0:3], 0 offset:512
	s_waitcnt vmcnt(58) lgkmcnt(0)
	v_mul_f64 v[86:87], v[5:6], v[43:44]
	v_mul_f64 v[43:44], v[7:8], v[43:44]
	s_waitcnt vmcnt(56)
	v_fma_f64 v[37:38], v[161:162], v[45:46], -v[37:38]
	ds_read_b128 v[1:4], v85 offset:1072
	v_add_f64 v[25:26], v[25:26], v[29:30]
	v_fma_f64 v[29:30], v[163:164], v[45:46], v[189:190]
	v_add_f64 v[45:46], v[21:22], v[23:24]
	s_clause 0x4
	buffer_load_dword v162, off, s[0:3], 0 offset:556
	buffer_load_dword v163, off, s[0:3], 0 offset:568
	;; [unrolled: 1-line block ×5, first 2 shown]
	ds_read_b128 v[21:24], v85 offset:1088
	s_waitcnt vmcnt(57) lgkmcnt(1)
	v_mul_f64 v[189:190], v[1:2], v[47:48]
	v_mul_f64 v[47:48], v[3:4], v[47:48]
	s_waitcnt vmcnt(56)
	v_fma_f64 v[43:44], v[5:6], v[27:28], -v[43:44]
	v_fma_f64 v[27:28], v[7:8], v[27:28], v[86:87]
	v_add_f64 v[25:26], v[25:26], v[37:38]
	s_clause 0x2
	buffer_load_dword v164, off, s[0:3], 0 offset:572
	buffer_load_dword v38, off, s[0:3], 0 offset:548
	;; [unrolled: 1-line block ×3, first 2 shown]
	v_add_f64 v[29:30], v[45:46], v[29:30]
	s_waitcnt vmcnt(58) lgkmcnt(0)
	v_mul_f64 v[45:46], v[21:22], v[51:52]
	v_mul_f64 v[51:52], v[23:24], v[51:52]
	ds_read_b128 v[5:8], v85 offset:1104
	s_waitcnt vmcnt(56)
	v_fma_f64 v[47:48], v[1:2], v[53:54], -v[47:48]
	v_add_f64 v[25:26], v[25:26], v[43:44]
	v_fma_f64 v[43:44], v[3:4], v[53:54], v[189:190]
	v_add_f64 v[27:28], v[29:30], v[27:28]
	s_clause 0x4
	buffer_load_dword v30, off, s[0:3], 0 offset:588
	buffer_load_dword v53, off, s[0:3], 0 offset:600
	;; [unrolled: 1-line block ×5, first 2 shown]
	s_waitcnt vmcnt(57) lgkmcnt(0)
	v_mul_f64 v[87:88], v[5:6], v[55:56]
	v_mul_f64 v[55:56], v[7:8], v[55:56]
	s_waitcnt vmcnt(56)
	v_fma_f64 v[51:52], v[21:22], v[39:40], -v[51:52]
	ds_read_b128 v[1:4], v85 offset:1120
	v_fma_f64 v[39:40], v[23:24], v[39:40], v[45:46]
	v_add_f64 v[25:26], v[25:26], v[47:48]
	v_add_f64 v[27:28], v[27:28], v[43:44]
	s_clause 0x2
	buffer_load_dword v54, off, s[0:3], 0 offset:604
	buffer_load_dword v44, off, s[0:3], 0 offset:580
	;; [unrolled: 1-line block ×3, first 2 shown]
	ds_read_b128 v[21:24], v85 offset:1136
	s_waitcnt vmcnt(58) lgkmcnt(1)
	v_mul_f64 v[47:48], v[3:4], v[59:60]
	s_waitcnt vmcnt(56)
	v_fma_f64 v[55:56], v[5:6], v[65:66], -v[55:56]
	v_mul_f64 v[45:46], v[1:2], v[59:60]
	v_add_f64 v[25:26], v[25:26], v[51:52]
	v_fma_f64 v[51:52], v[7:8], v[65:66], v[87:88]
	v_add_f64 v[27:28], v[27:28], v[39:40]
	s_clause 0x4
	buffer_load_dword v40, off, s[0:3], 0 offset:620
	buffer_load_dword v59, off, s[0:3], 0 offset:632
	;; [unrolled: 1-line block ×5, first 2 shown]
	s_waitcnt vmcnt(57) lgkmcnt(0)
	v_mul_f64 v[189:190], v[21:22], v[67:68]
	v_mul_f64 v[66:67], v[23:24], v[67:68]
	s_waitcnt vmcnt(56)
	v_fma_f64 v[47:48], v[1:2], v[49:50], -v[47:48]
	ds_read_b128 v[5:8], v85 offset:1152
	v_fma_f64 v[45:46], v[3:4], v[49:50], v[45:46]
	s_clause 0x2
	buffer_load_dword v60, off, s[0:3], 0 offset:636
	buffer_load_dword v50, off, s[0:3], 0 offset:612
	;; [unrolled: 1-line block ×3, first 2 shown]
	ds_read_b128 v[1:4], v85 offset:1168
	v_add_f64 v[25:26], v[25:26], v[55:56]
	v_add_f64 v[27:28], v[27:28], v[51:52]
	s_waitcnt vmcnt(58) lgkmcnt(1)
	v_mul_f64 v[55:56], v[7:8], v[71:72]
	s_waitcnt vmcnt(56)
	v_fma_f64 v[67:68], v[21:22], v[77:78], -v[66:67]
	v_mul_f64 v[51:52], v[5:6], v[71:72]
	v_add_f64 v[25:26], v[25:26], v[47:48]
	v_fma_f64 v[47:48], v[23:24], v[77:78], v[189:190]
	v_add_f64 v[27:28], v[27:28], v[45:46]
	s_clause 0x4
	buffer_load_dword v46, off, s[0:3], 0 offset:652
	buffer_load_dword v71, off, s[0:3], 0 offset:664
	;; [unrolled: 1-line block ×5, first 2 shown]
	s_waitcnt vmcnt(57) lgkmcnt(0)
	v_mul_f64 v[189:190], v[1:2], v[79:80]
	v_mul_f64 v[78:79], v[3:4], v[79:80]
	s_waitcnt vmcnt(56)
	v_fma_f64 v[55:56], v[5:6], v[57:58], -v[55:56]
	ds_read_b128 v[21:24], v85 offset:1184
	v_fma_f64 v[51:52], v[7:8], v[57:58], v[51:52]
	v_add_f64 v[25:26], v[25:26], v[67:68]
	v_add_f64 v[27:28], v[27:28], v[47:48]
	s_clause 0x2
	buffer_load_dword v72, off, s[0:3], 0 offset:668
	buffer_load_dword v48, off, s[0:3], 0 offset:644
	;; [unrolled: 1-line block ×3, first 2 shown]
	ds_read_b128 v[5:8], v85 offset:1200
	s_waitcnt vmcnt(58) lgkmcnt(1)
	v_mul_f64 v[67:68], v[23:24], v[81:82]
	s_waitcnt vmcnt(56)
	v_fma_f64 v[79:80], v[1:2], v[83:84], -v[78:79]
	v_mul_f64 v[57:58], v[21:22], v[81:82]
	v_add_f64 v[25:26], v[25:26], v[55:56]
	v_fma_f64 v[55:56], v[3:4], v[83:84], v[189:190]
	v_add_f64 v[27:28], v[27:28], v[51:52]
	s_clause 0x4
	buffer_load_dword v52, off, s[0:3], 0 offset:684
	buffer_load_dword v81, off, s[0:3], 0 offset:696
	;; [unrolled: 1-line block ×5, first 2 shown]
	s_waitcnt vmcnt(57) lgkmcnt(0)
	v_mul_f64 v[189:190], v[5:6], v[174:175]
	v_mul_f64 v[174:175], v[7:8], v[174:175]
	s_waitcnt vmcnt(56)
	v_fma_f64 v[67:68], v[21:22], v[69:70], -v[67:68]
	ds_read_b128 v[1:4], v85 offset:1216
	v_fma_f64 v[57:58], v[23:24], v[69:70], v[57:58]
	v_add_f64 v[25:26], v[25:26], v[79:80]
	v_add_f64 v[27:28], v[27:28], v[55:56]
	s_clause 0x2
	buffer_load_dword v82, off, s[0:3], 0 offset:700
	buffer_load_dword v56, off, s[0:3], 0 offset:676
	;; [unrolled: 1-line block ×3, first 2 shown]
	ds_read_b128 v[21:24], v85 offset:1232
	s_waitcnt vmcnt(58) lgkmcnt(1)
	v_mul_f64 v[79:80], v[3:4], v[176:177]
	s_waitcnt vmcnt(56)
	v_fma_f64 v[174:175], v[5:6], v[181:182], -v[174:175]
	v_mul_f64 v[69:70], v[1:2], v[176:177]
	v_add_f64 v[25:26], v[25:26], v[67:68]
	v_fma_f64 v[67:68], v[7:8], v[181:182], v[189:190]
	v_add_f64 v[27:28], v[27:28], v[57:58]
	s_clause 0x4
	buffer_load_dword v58, off, s[0:3], 0 offset:716
	buffer_load_dword v176, off, s[0:3], 0 offset:728
	;; [unrolled: 1-line block ×5, first 2 shown]
	ds_read_b128 v[5:8], v85 offset:1248
	s_waitcnt vmcnt(57) lgkmcnt(1)
	v_mul_f64 v[181:182], v[21:22], v[168:169]
	v_mul_f64 v[168:169], v[23:24], v[168:169]
	s_waitcnt vmcnt(56)
	v_fma_f64 v[79:80], v[1:2], v[178:179], -v[79:80]
	v_fma_f64 v[69:70], v[3:4], v[178:179], v[69:70]
	v_add_f64 v[25:26], v[25:26], v[174:175]
	v_add_f64 v[27:28], v[27:28], v[67:68]
	s_clause 0x2
	buffer_load_dword v177, off, s[0:3], 0 offset:732
	buffer_load_dword v68, off, s[0:3], 0 offset:708
	;; [unrolled: 1-line block ×3, first 2 shown]
	ds_read_b128 v[1:4], v85 offset:1264
	s_waitcnt vmcnt(58) lgkmcnt(1)
	v_mul_f64 v[178:179], v[7:8], v[185:186]
	v_mul_f64 v[174:175], v[5:6], v[185:186]
	s_waitcnt vmcnt(56)
	v_fma_f64 v[168:169], v[21:22], v[166:167], -v[168:169]
	v_add_f64 v[25:26], v[25:26], v[79:80]
	v_fma_f64 v[79:80], v[23:24], v[166:167], v[181:182]
	v_add_f64 v[27:28], v[27:28], v[69:70]
	s_clause 0x4
	buffer_load_dword v70, off, s[0:3], 0 offset:748
	buffer_load_dword v166, off, s[0:3], 0 offset:760
	;; [unrolled: 1-line block ×5, first 2 shown]
	ds_read_b128 v[21:24], v85 offset:1280
	s_waitcnt vmcnt(57) lgkmcnt(1)
	v_mul_f64 v[189:190], v[1:2], v[41:42]
	v_mul_f64 v[41:42], v[3:4], v[41:42]
	s_waitcnt vmcnt(56)
	v_fma_f64 v[178:179], v[5:6], v[187:188], -v[178:179]
	v_add_f64 v[25:26], v[25:26], v[168:169]
	v_fma_f64 v[168:169], v[7:8], v[187:188], v[174:175]
	v_add_f64 v[27:28], v[27:28], v[79:80]
	s_clause 0x2
	buffer_load_dword v167, off, s[0:3], 0 offset:764
	buffer_load_dword v80, off, s[0:3], 0 offset:740
	;; [unrolled: 1-line block ×3, first 2 shown]
	ds_read_b128 v[5:8], v85 offset:1296
	s_waitcnt vmcnt(58) lgkmcnt(1)
	v_mul_f64 v[174:175], v[21:22], v[170:171]
	v_mul_f64 v[170:171], v[23:24], v[170:171]
	s_waitcnt vmcnt(56)
	v_fma_f64 v[41:42], v[1:2], v[31:32], -v[41:42]
	v_fma_f64 v[31:32], v[3:4], v[31:32], v[189:190]
	v_add_f64 v[25:26], v[25:26], v[178:179]
	v_add_f64 v[27:28], v[27:28], v[168:169]
	s_clause 0x2
	buffer_load_dword v169, off, s[0:3], 0 offset:780
	buffer_load_dword v168, off, s[0:3], 0 offset:776
	;; [unrolled: 1-line block ×3, first 2 shown]
	ds_read_b128 v[1:4], v85 offset:1312
	s_waitcnt vmcnt(55) lgkmcnt(1)
	v_mul_f64 v[178:179], v[5:6], v[161:162]
	v_mul_f64 v[161:162], v[7:8], v[161:162]
	s_waitcnt vmcnt(54)
	v_fma_f64 v[170:171], v[21:22], v[183:184], -v[170:171]
	v_add_f64 v[25:26], v[25:26], v[41:42]
	v_fma_f64 v[41:42], v[23:24], v[183:184], v[174:175]
	v_add_f64 v[27:28], v[27:28], v[31:32]
	s_clause 0x1
	buffer_load_dword v32, off, s[0:3], 0 offset:772
	buffer_load_dword v31, off, s[0:3], 0 offset:768
	ds_read_b128 v[21:24], v85 offset:1328
	s_waitcnt vmcnt(55) lgkmcnt(1)
	v_mul_f64 v[174:175], v[1:2], v[163:164]
	v_mul_f64 v[163:164], v[3:4], v[163:164]
	s_waitcnt vmcnt(53)
	v_fma_f64 v[161:162], v[5:6], v[37:38], -v[161:162]
	v_fma_f64 v[37:38], v[7:8], v[37:38], v[178:179]
	ds_read_b128 v[5:8], v85 offset:1344
	v_add_f64 v[25:26], v[25:26], v[170:171]
	v_add_f64 v[27:28], v[27:28], v[41:42]
	s_waitcnt vmcnt(49) lgkmcnt(1)
	v_mul_f64 v[41:42], v[21:22], v[29:30]
	v_mul_f64 v[29:30], v[23:24], v[29:30]
	s_waitcnt vmcnt(48)
	v_fma_f64 v[163:164], v[1:2], v[172:173], -v[163:164]
	v_add_f64 v[25:26], v[25:26], v[161:162]
	v_fma_f64 v[161:162], v[3:4], v[172:173], v[174:175]
	v_add_f64 v[27:28], v[27:28], v[37:38]
	s_clause 0x3
	buffer_load_dword v37, off, s[0:3], 0 offset:192
	buffer_load_dword v38, off, s[0:3], 0 offset:196
	;; [unrolled: 1-line block ×4, first 2 shown]
	ds_read_b128 v[1:4], v85 offset:1360
	s_waitcnt vmcnt(51) lgkmcnt(1)
	v_mul_f64 v[172:173], v[5:6], v[53:54]
	v_mul_f64 v[53:54], v[7:8], v[53:54]
	s_waitcnt vmcnt(49)
	v_fma_f64 v[29:30], v[21:22], v[43:44], -v[29:30]
	v_fma_f64 v[41:42], v[23:24], v[43:44], v[41:42]
	ds_read_b128 v[21:24], v85 offset:1376
	v_add_f64 v[25:26], v[25:26], v[163:164]
	v_add_f64 v[27:28], v[27:28], v[161:162]
	s_waitcnt vmcnt(45) lgkmcnt(1)
	v_mul_f64 v[43:44], v[1:2], v[39:40]
	v_mul_f64 v[39:40], v[3:4], v[39:40]
	s_waitcnt vmcnt(44)
	v_fma_f64 v[53:54], v[5:6], v[86:87], -v[53:54]
	v_add_f64 v[25:26], v[25:26], v[29:30]
	v_fma_f64 v[29:30], v[7:8], v[86:87], v[172:173]
	v_add_f64 v[27:28], v[27:28], v[41:42]
	s_waitcnt vmcnt(43) lgkmcnt(0)
	v_mul_f64 v[41:42], v[21:22], v[59:60]
	v_mul_f64 v[59:60], v[23:24], v[59:60]
	ds_read_b128 v[5:8], v85 offset:1392
	s_waitcnt vmcnt(41)
	v_fma_f64 v[43:44], v[3:4], v[49:50], v[43:44]
	v_fma_f64 v[39:40], v[1:2], v[49:50], -v[39:40]
	ds_read_b128 v[1:4], v85 offset:1408
	v_add_f64 v[25:26], v[25:26], v[53:54]
	v_add_f64 v[27:28], v[27:28], v[29:30]
	s_waitcnt vmcnt(37) lgkmcnt(1)
	v_mul_f64 v[29:30], v[5:6], v[45:46]
	v_mul_f64 v[45:46], v[7:8], v[45:46]
	s_waitcnt vmcnt(36)
	v_fma_f64 v[49:50], v[21:22], v[65:66], -v[59:60]
	v_add_f64 v[25:26], v[25:26], v[39:40]
	v_fma_f64 v[39:40], v[23:24], v[65:66], v[41:42]
	v_add_f64 v[27:28], v[27:28], v[43:44]
	ds_read_b128 v[21:24], v85 offset:1424
	s_waitcnt vmcnt(35) lgkmcnt(1)
	v_mul_f64 v[43:44], v[3:4], v[71:72]
	v_mul_f64 v[41:42], v[1:2], v[71:72]
	s_waitcnt vmcnt(33)
	v_fma_f64 v[45:46], v[5:6], v[47:48], -v[45:46]
	v_fma_f64 v[29:30], v[7:8], v[47:48], v[29:30]
	ds_read_b128 v[5:8], v85 offset:1440
	v_add_f64 v[25:26], v[25:26], v[49:50]
	v_add_f64 v[27:28], v[27:28], v[39:40]
	s_waitcnt vmcnt(29) lgkmcnt(1)
	v_mul_f64 v[47:48], v[23:24], v[51:52]
	s_waitcnt vmcnt(28)
	v_fma_f64 v[43:44], v[1:2], v[77:78], -v[43:44]
	v_mul_f64 v[39:40], v[21:22], v[51:52]
	v_fma_f64 v[41:42], v[3:4], v[77:78], v[41:42]
	ds_read_b128 v[1:4], v85 offset:1456
	v_add_f64 v[25:26], v[25:26], v[45:46]
	v_add_f64 v[27:28], v[27:28], v[29:30]
	s_waitcnt vmcnt(27) lgkmcnt(1)
	v_mul_f64 v[45:46], v[7:8], v[81:82]
	v_mul_f64 v[29:30], v[5:6], v[81:82]
	s_waitcnt vmcnt(25)
	v_fma_f64 v[47:48], v[21:22], v[55:56], -v[47:48]
	v_fma_f64 v[39:40], v[23:24], v[55:56], v[39:40]
	ds_read_b128 v[21:24], v85 offset:1472
	v_add_f64 v[25:26], v[25:26], v[43:44]
	v_add_f64 v[27:28], v[27:28], v[41:42]
	s_waitcnt vmcnt(21) lgkmcnt(1)
	v_mul_f64 v[43:44], v[3:4], v[57:58]
	s_waitcnt vmcnt(20)
	v_fma_f64 v[45:46], v[5:6], v[83:84], -v[45:46]
	v_mul_f64 v[41:42], v[1:2], v[57:58]
	v_fma_f64 v[29:30], v[7:8], v[83:84], v[29:30]
	ds_read_b128 v[5:8], v85 offset:1488
	v_add_f64 v[25:26], v[25:26], v[47:48]
	v_add_f64 v[27:28], v[27:28], v[39:40]
	;; [unrolled: 18-line block ×3, first 2 shown]
	s_waitcnt vmcnt(11) lgkmcnt(1)
	v_mul_f64 v[43:44], v[3:4], v[166:167]
	v_mul_f64 v[41:42], v[1:2], v[166:167]
	s_waitcnt vmcnt(9)
	v_fma_f64 v[5:6], v[5:6], v[79:80], -v[45:46]
	v_fma_f64 v[7:8], v[7:8], v[79:80], v[29:30]
	v_add_f64 v[25:26], v[25:26], v[47:48]
	v_add_f64 v[27:28], v[27:28], v[39:40]
	s_waitcnt vmcnt(7) lgkmcnt(0)
	v_mul_f64 v[39:40], v[23:24], v[168:169]
	s_waitcnt vmcnt(6)
	v_fma_f64 v[1:2], v[1:2], v[185:186], -v[43:44]
	v_mul_f64 v[29:30], v[21:22], v[168:169]
	v_fma_f64 v[3:4], v[3:4], v[185:186], v[41:42]
	v_add_f64 v[5:6], v[25:26], v[5:6]
	v_add_f64 v[7:8], v[27:28], v[7:8]
	s_waitcnt vmcnt(4)
	v_fma_f64 v[21:22], v[21:22], v[31:32], -v[39:40]
	v_add_f64 v[1:2], v[5:6], v[1:2]
	v_fma_f64 v[5:6], v[23:24], v[31:32], v[29:30]
	v_add_f64 v[3:4], v[7:8], v[3:4]
	v_add_f64 v[1:2], v[1:2], v[21:22]
	;; [unrolled: 1-line block ×3, first 2 shown]
	s_waitcnt vmcnt(2)
	v_add_f64 v[1:2], v[37:38], -v[1:2]
	s_waitcnt vmcnt(0)
	v_add_f64 v[3:4], v[170:171], -v[3:4]
	buffer_store_dword v2, off, s[0:3], 0 offset:196
	buffer_store_dword v1, off, s[0:3], 0 offset:192
	buffer_store_dword v4, off, s[0:3], 0 offset:204
	buffer_store_dword v3, off, s[0:3], 0 offset:200
	v_cmpx_lt_u32_e32 10, v0
	s_cbranch_execz .LBB47_281
; %bb.280:
	v_mov_b32_e32 v4, s50
	v_mov_b32_e32 v5, 0
	s_clause 0x3
	buffer_load_dword v1, v4, s[0:3], 0 offen
	buffer_load_dword v2, v4, s[0:3], 0 offen offset:4
	buffer_load_dword v3, v4, s[0:3], 0 offen offset:8
	;; [unrolled: 1-line block ×3, first 2 shown]
	buffer_store_dword v5, off, s[0:3], 0 offset:176
	buffer_store_dword v5, off, s[0:3], 0 offset:180
	;; [unrolled: 1-line block ×4, first 2 shown]
	s_waitcnt vmcnt(0)
	ds_write_b128 v165, v[1:4]
.LBB47_281:
	s_or_b32 exec_lo, exec_lo, s4
	s_waitcnt lgkmcnt(0)
	s_waitcnt_vscnt null, 0x0
	s_barrier
	buffer_gl0_inv
	s_clause 0x37
	buffer_load_dword v21, off, s[0:3], 0 offset:200
	buffer_load_dword v22, off, s[0:3], 0 offset:204
	;; [unrolled: 1-line block ×56, first 2 shown]
	v_mov_b32_e32 v85, 0
	s_mov_b32 s4, exec_lo
	ds_read_b128 v[161:164], v85 offset:944
	s_clause 0x2
	buffer_load_dword v82, off, s[0:3], 0 offset:428
	buffer_load_dword v84, off, s[0:3], 0 offset:404
	;; [unrolled: 1-line block ×3, first 2 shown]
	ds_read_b128 v[166:169], v85 offset:960
	s_clause 0x4
	buffer_load_dword v175, off, s[0:3], 0 offset:444
	buffer_load_dword v176, off, s[0:3], 0 offset:456
	;; [unrolled: 1-line block ×5, first 2 shown]
	ds_read_b128 v[170:173], v85 offset:976
	s_clause 0x2
	buffer_load_dword v177, off, s[0:3], 0 offset:460
	buffer_load_dword v182, off, s[0:3], 0 offset:436
	;; [unrolled: 1-line block ×3, first 2 shown]
	s_waitcnt vmcnt(62) lgkmcnt(2)
	v_mul_f64 v[86:87], v[163:164], v[21:22]
	v_mul_f64 v[21:22], v[161:162], v[21:22]
	s_waitcnt lgkmcnt(1)
	v_mul_f64 v[179:180], v[168:169], v[5:6]
	s_waitcnt vmcnt(59) lgkmcnt(0)
	v_mul_f64 v[183:184], v[172:173], v[3:4]
	v_fma_f64 v[86:87], v[161:162], v[7:8], -v[86:87]
	v_mul_f64 v[161:162], v[166:167], v[5:6]
	v_fma_f64 v[21:22], v[163:164], v[7:8], v[21:22]
	s_waitcnt vmcnt(57)
	v_fma_f64 v[166:167], v[166:167], v[1:2], -v[179:180]
	ds_read_b128 v[5:8], v85 offset:992
	v_mul_f64 v[163:164], v[170:171], v[3:4]
	s_waitcnt vmcnt(51)
	v_fma_f64 v[170:171], v[170:171], v[41:42], -v[183:184]
	v_add_f64 v[86:87], v[86:87], 0
	v_fma_f64 v[161:162], v[168:169], v[1:2], v[161:162]
	v_add_f64 v[21:22], v[21:22], 0
	s_clause 0x4
	buffer_load_dword v169, off, s[0:3], 0 offset:476
	buffer_load_dword v185, off, s[0:3], 0 offset:488
	;; [unrolled: 1-line block ×5, first 2 shown]
	s_waitcnt lgkmcnt(0)
	v_mul_f64 v[188:189], v[5:6], v[25:26]
	v_mul_f64 v[25:26], v[7:8], v[25:26]
	ds_read_b128 v[1:4], v85 offset:1008
	v_fma_f64 v[41:42], v[172:173], v[41:42], v[163:164]
	v_add_f64 v[86:87], v[86:87], v[166:167]
	s_clause 0x2
	buffer_load_dword v186, off, s[0:3], 0 offset:492
	buffer_load_dword v167, off, s[0:3], 0 offset:468
	;; [unrolled: 1-line block ×3, first 2 shown]
	v_add_f64 v[21:22], v[21:22], v[161:162]
	ds_read_b128 v[161:164], v85 offset:1024
	s_waitcnt vmcnt(58) lgkmcnt(1)
	v_mul_f64 v[172:173], v[1:2], v[29:30]
	v_mul_f64 v[29:30], v[3:4], v[29:30]
	s_waitcnt vmcnt(56)
	v_fma_f64 v[25:26], v[5:6], v[31:32], -v[25:26]
	v_fma_f64 v[31:32], v[7:8], v[31:32], v[188:189]
	v_add_f64 v[86:87], v[86:87], v[170:171]
	s_waitcnt vmcnt(52) lgkmcnt(0)
	v_mul_f64 v[189:190], v[161:162], v[37:38]
	v_add_f64 v[21:22], v[21:22], v[41:42]
	s_clause 0x4
	buffer_load_dword v42, off, s[0:3], 0 offset:508
	buffer_load_dword v170, off, s[0:3], 0 offset:520
	;; [unrolled: 1-line block ×5, first 2 shown]
	v_mul_f64 v[37:38], v[163:164], v[37:38]
	s_waitcnt vmcnt(56)
	v_fma_f64 v[29:30], v[1:2], v[23:24], -v[29:30]
	ds_read_b128 v[5:8], v85 offset:1040
	v_fma_f64 v[23:24], v[3:4], v[23:24], v[172:173]
	v_add_f64 v[25:26], v[86:87], v[25:26]
	v_add_f64 v[21:22], v[21:22], v[31:32]
	s_clause 0x2
	buffer_load_dword v171, off, s[0:3], 0 offset:524
	buffer_load_dword v32, off, s[0:3], 0 offset:500
	;; [unrolled: 1-line block ×3, first 2 shown]
	s_waitcnt vmcnt(58) lgkmcnt(0)
	v_mul_f64 v[86:87], v[5:6], v[43:44]
	v_mul_f64 v[43:44], v[7:8], v[43:44]
	s_waitcnt vmcnt(56)
	v_fma_f64 v[37:38], v[161:162], v[45:46], -v[37:38]
	ds_read_b128 v[1:4], v85 offset:1056
	v_add_f64 v[25:26], v[25:26], v[29:30]
	v_fma_f64 v[29:30], v[163:164], v[45:46], v[189:190]
	v_add_f64 v[45:46], v[21:22], v[23:24]
	s_clause 0x4
	buffer_load_dword v162, off, s[0:3], 0 offset:540
	buffer_load_dword v163, off, s[0:3], 0 offset:552
	;; [unrolled: 1-line block ×5, first 2 shown]
	ds_read_b128 v[21:24], v85 offset:1072
	s_waitcnt vmcnt(57) lgkmcnt(1)
	v_mul_f64 v[189:190], v[1:2], v[47:48]
	v_mul_f64 v[47:48], v[3:4], v[47:48]
	s_waitcnt vmcnt(56)
	v_fma_f64 v[43:44], v[5:6], v[27:28], -v[43:44]
	v_fma_f64 v[27:28], v[7:8], v[27:28], v[86:87]
	v_add_f64 v[25:26], v[25:26], v[37:38]
	s_clause 0x2
	buffer_load_dword v164, off, s[0:3], 0 offset:556
	buffer_load_dword v38, off, s[0:3], 0 offset:532
	;; [unrolled: 1-line block ×3, first 2 shown]
	v_add_f64 v[29:30], v[45:46], v[29:30]
	s_waitcnt vmcnt(58) lgkmcnt(0)
	v_mul_f64 v[45:46], v[21:22], v[51:52]
	v_mul_f64 v[51:52], v[23:24], v[51:52]
	ds_read_b128 v[5:8], v85 offset:1088
	s_waitcnt vmcnt(56)
	v_fma_f64 v[47:48], v[1:2], v[53:54], -v[47:48]
	v_add_f64 v[25:26], v[25:26], v[43:44]
	v_fma_f64 v[43:44], v[3:4], v[53:54], v[189:190]
	v_add_f64 v[27:28], v[29:30], v[27:28]
	s_clause 0x4
	buffer_load_dword v30, off, s[0:3], 0 offset:572
	buffer_load_dword v53, off, s[0:3], 0 offset:584
	;; [unrolled: 1-line block ×5, first 2 shown]
	s_waitcnt vmcnt(57) lgkmcnt(0)
	v_mul_f64 v[87:88], v[5:6], v[55:56]
	v_mul_f64 v[55:56], v[7:8], v[55:56]
	s_waitcnt vmcnt(56)
	v_fma_f64 v[51:52], v[21:22], v[39:40], -v[51:52]
	ds_read_b128 v[1:4], v85 offset:1104
	v_fma_f64 v[39:40], v[23:24], v[39:40], v[45:46]
	v_add_f64 v[25:26], v[25:26], v[47:48]
	v_add_f64 v[27:28], v[27:28], v[43:44]
	s_clause 0x2
	buffer_load_dword v54, off, s[0:3], 0 offset:588
	buffer_load_dword v44, off, s[0:3], 0 offset:564
	;; [unrolled: 1-line block ×3, first 2 shown]
	ds_read_b128 v[21:24], v85 offset:1120
	s_waitcnt vmcnt(58) lgkmcnt(1)
	v_mul_f64 v[47:48], v[3:4], v[59:60]
	s_waitcnt vmcnt(56)
	v_fma_f64 v[55:56], v[5:6], v[65:66], -v[55:56]
	v_mul_f64 v[45:46], v[1:2], v[59:60]
	v_add_f64 v[25:26], v[25:26], v[51:52]
	v_fma_f64 v[51:52], v[7:8], v[65:66], v[87:88]
	v_add_f64 v[27:28], v[27:28], v[39:40]
	s_clause 0x4
	buffer_load_dword v40, off, s[0:3], 0 offset:604
	buffer_load_dword v59, off, s[0:3], 0 offset:616
	;; [unrolled: 1-line block ×5, first 2 shown]
	s_waitcnt vmcnt(57) lgkmcnt(0)
	v_mul_f64 v[189:190], v[21:22], v[67:68]
	v_mul_f64 v[66:67], v[23:24], v[67:68]
	s_waitcnt vmcnt(56)
	v_fma_f64 v[47:48], v[1:2], v[49:50], -v[47:48]
	ds_read_b128 v[5:8], v85 offset:1136
	v_fma_f64 v[45:46], v[3:4], v[49:50], v[45:46]
	s_clause 0x2
	buffer_load_dword v60, off, s[0:3], 0 offset:620
	buffer_load_dword v50, off, s[0:3], 0 offset:596
	;; [unrolled: 1-line block ×3, first 2 shown]
	ds_read_b128 v[1:4], v85 offset:1152
	v_add_f64 v[25:26], v[25:26], v[55:56]
	v_add_f64 v[27:28], v[27:28], v[51:52]
	s_waitcnt vmcnt(58) lgkmcnt(1)
	v_mul_f64 v[55:56], v[7:8], v[71:72]
	s_waitcnt vmcnt(56)
	v_fma_f64 v[67:68], v[21:22], v[77:78], -v[66:67]
	v_mul_f64 v[51:52], v[5:6], v[71:72]
	v_add_f64 v[25:26], v[25:26], v[47:48]
	v_fma_f64 v[47:48], v[23:24], v[77:78], v[189:190]
	v_add_f64 v[27:28], v[27:28], v[45:46]
	s_clause 0x4
	buffer_load_dword v46, off, s[0:3], 0 offset:636
	buffer_load_dword v71, off, s[0:3], 0 offset:648
	;; [unrolled: 1-line block ×5, first 2 shown]
	s_waitcnt vmcnt(57) lgkmcnt(0)
	v_mul_f64 v[189:190], v[1:2], v[79:80]
	v_mul_f64 v[78:79], v[3:4], v[79:80]
	s_waitcnt vmcnt(56)
	v_fma_f64 v[55:56], v[5:6], v[57:58], -v[55:56]
	ds_read_b128 v[21:24], v85 offset:1168
	v_fma_f64 v[51:52], v[7:8], v[57:58], v[51:52]
	v_add_f64 v[25:26], v[25:26], v[67:68]
	v_add_f64 v[27:28], v[27:28], v[47:48]
	s_clause 0x2
	buffer_load_dword v72, off, s[0:3], 0 offset:652
	buffer_load_dword v48, off, s[0:3], 0 offset:628
	;; [unrolled: 1-line block ×3, first 2 shown]
	ds_read_b128 v[5:8], v85 offset:1184
	s_waitcnt vmcnt(58) lgkmcnt(1)
	v_mul_f64 v[67:68], v[23:24], v[81:82]
	s_waitcnt vmcnt(56)
	v_fma_f64 v[79:80], v[1:2], v[83:84], -v[78:79]
	v_mul_f64 v[57:58], v[21:22], v[81:82]
	v_add_f64 v[25:26], v[25:26], v[55:56]
	v_fma_f64 v[55:56], v[3:4], v[83:84], v[189:190]
	v_add_f64 v[27:28], v[27:28], v[51:52]
	s_clause 0x4
	buffer_load_dword v52, off, s[0:3], 0 offset:668
	buffer_load_dword v81, off, s[0:3], 0 offset:680
	;; [unrolled: 1-line block ×5, first 2 shown]
	s_waitcnt vmcnt(57) lgkmcnt(0)
	v_mul_f64 v[189:190], v[5:6], v[174:175]
	v_mul_f64 v[174:175], v[7:8], v[174:175]
	s_waitcnt vmcnt(56)
	v_fma_f64 v[67:68], v[21:22], v[69:70], -v[67:68]
	ds_read_b128 v[1:4], v85 offset:1200
	v_fma_f64 v[57:58], v[23:24], v[69:70], v[57:58]
	v_add_f64 v[25:26], v[25:26], v[79:80]
	v_add_f64 v[27:28], v[27:28], v[55:56]
	s_clause 0x2
	buffer_load_dword v82, off, s[0:3], 0 offset:684
	buffer_load_dword v56, off, s[0:3], 0 offset:660
	;; [unrolled: 1-line block ×3, first 2 shown]
	ds_read_b128 v[21:24], v85 offset:1216
	s_waitcnt vmcnt(58) lgkmcnt(1)
	v_mul_f64 v[79:80], v[3:4], v[176:177]
	s_waitcnt vmcnt(56)
	v_fma_f64 v[174:175], v[5:6], v[181:182], -v[174:175]
	v_mul_f64 v[69:70], v[1:2], v[176:177]
	v_add_f64 v[25:26], v[25:26], v[67:68]
	v_fma_f64 v[67:68], v[7:8], v[181:182], v[189:190]
	v_add_f64 v[27:28], v[27:28], v[57:58]
	s_clause 0x4
	buffer_load_dword v58, off, s[0:3], 0 offset:700
	buffer_load_dword v176, off, s[0:3], 0 offset:712
	;; [unrolled: 1-line block ×5, first 2 shown]
	ds_read_b128 v[5:8], v85 offset:1232
	s_waitcnt vmcnt(57) lgkmcnt(1)
	v_mul_f64 v[181:182], v[21:22], v[168:169]
	v_mul_f64 v[168:169], v[23:24], v[168:169]
	s_waitcnt vmcnt(56)
	v_fma_f64 v[79:80], v[1:2], v[178:179], -v[79:80]
	v_fma_f64 v[69:70], v[3:4], v[178:179], v[69:70]
	v_add_f64 v[25:26], v[25:26], v[174:175]
	v_add_f64 v[27:28], v[27:28], v[67:68]
	s_clause 0x2
	buffer_load_dword v177, off, s[0:3], 0 offset:716
	buffer_load_dword v68, off, s[0:3], 0 offset:692
	;; [unrolled: 1-line block ×3, first 2 shown]
	ds_read_b128 v[1:4], v85 offset:1248
	s_waitcnt vmcnt(58) lgkmcnt(1)
	v_mul_f64 v[178:179], v[7:8], v[185:186]
	v_mul_f64 v[174:175], v[5:6], v[185:186]
	s_waitcnt vmcnt(56)
	v_fma_f64 v[168:169], v[21:22], v[166:167], -v[168:169]
	v_add_f64 v[25:26], v[25:26], v[79:80]
	v_fma_f64 v[79:80], v[23:24], v[166:167], v[181:182]
	v_add_f64 v[27:28], v[27:28], v[69:70]
	s_clause 0x4
	buffer_load_dword v70, off, s[0:3], 0 offset:732
	buffer_load_dword v166, off, s[0:3], 0 offset:744
	;; [unrolled: 1-line block ×5, first 2 shown]
	ds_read_b128 v[21:24], v85 offset:1264
	s_waitcnt vmcnt(57) lgkmcnt(1)
	v_mul_f64 v[189:190], v[1:2], v[41:42]
	v_mul_f64 v[41:42], v[3:4], v[41:42]
	s_waitcnt vmcnt(56)
	v_fma_f64 v[178:179], v[5:6], v[187:188], -v[178:179]
	v_add_f64 v[25:26], v[25:26], v[168:169]
	v_fma_f64 v[168:169], v[7:8], v[187:188], v[174:175]
	v_add_f64 v[27:28], v[27:28], v[79:80]
	s_clause 0x2
	buffer_load_dword v167, off, s[0:3], 0 offset:748
	buffer_load_dword v80, off, s[0:3], 0 offset:724
	;; [unrolled: 1-line block ×3, first 2 shown]
	ds_read_b128 v[5:8], v85 offset:1280
	s_waitcnt vmcnt(58) lgkmcnt(1)
	v_mul_f64 v[174:175], v[21:22], v[170:171]
	v_mul_f64 v[170:171], v[23:24], v[170:171]
	s_waitcnt vmcnt(56)
	v_fma_f64 v[41:42], v[1:2], v[31:32], -v[41:42]
	v_fma_f64 v[31:32], v[3:4], v[31:32], v[189:190]
	v_add_f64 v[25:26], v[25:26], v[178:179]
	v_add_f64 v[27:28], v[27:28], v[168:169]
	s_clause 0x4
	buffer_load_dword v169, off, s[0:3], 0 offset:764
	buffer_load_dword v178, off, s[0:3], 0 offset:776
	;; [unrolled: 1-line block ×5, first 2 shown]
	ds_read_b128 v[1:4], v85 offset:1296
	s_waitcnt vmcnt(57) lgkmcnt(1)
	v_mul_f64 v[187:188], v[5:6], v[161:162]
	v_mul_f64 v[161:162], v[7:8], v[161:162]
	s_waitcnt vmcnt(56)
	v_fma_f64 v[170:171], v[21:22], v[183:184], -v[170:171]
	v_add_f64 v[25:26], v[25:26], v[41:42]
	v_fma_f64 v[41:42], v[23:24], v[183:184], v[174:175]
	v_add_f64 v[27:28], v[27:28], v[31:32]
	s_clause 0x2
	buffer_load_dword v179, off, s[0:3], 0 offset:780
	buffer_load_dword v32, off, s[0:3], 0 offset:756
	buffer_load_dword v31, off, s[0:3], 0 offset:752
	ds_read_b128 v[21:24], v85 offset:1312
	buffer_load_dword v183, off, s[0:3], 0 offset:772
	s_waitcnt vmcnt(59) lgkmcnt(1)
	v_mul_f64 v[174:175], v[1:2], v[163:164]
	v_mul_f64 v[163:164], v[3:4], v[163:164]
	s_waitcnt vmcnt(57)
	v_fma_f64 v[161:162], v[5:6], v[37:38], -v[161:162]
	v_fma_f64 v[37:38], v[7:8], v[37:38], v[187:188]
	ds_read_b128 v[5:8], v85 offset:1328
	v_add_f64 v[25:26], v[25:26], v[170:171]
	v_add_f64 v[27:28], v[27:28], v[41:42]
	s_waitcnt vmcnt(53) lgkmcnt(1)
	v_mul_f64 v[41:42], v[21:22], v[29:30]
	v_mul_f64 v[29:30], v[23:24], v[29:30]
	s_waitcnt vmcnt(52)
	v_fma_f64 v[163:164], v[1:2], v[172:173], -v[163:164]
	v_add_f64 v[25:26], v[25:26], v[161:162]
	v_fma_f64 v[161:162], v[3:4], v[172:173], v[174:175]
	v_add_f64 v[27:28], v[27:28], v[37:38]
	ds_read_b128 v[1:4], v85 offset:1344
	s_waitcnt vmcnt(51) lgkmcnt(1)
	v_mul_f64 v[37:38], v[5:6], v[53:54]
	v_mul_f64 v[53:54], v[7:8], v[53:54]
	s_waitcnt vmcnt(49)
	v_fma_f64 v[29:30], v[21:22], v[43:44], -v[29:30]
	v_fma_f64 v[41:42], v[23:24], v[43:44], v[41:42]
	v_add_f64 v[25:26], v[25:26], v[163:164]
	v_add_f64 v[27:28], v[27:28], v[161:162]
	s_clause 0x3
	buffer_load_dword v43, off, s[0:3], 0 offset:176
	buffer_load_dword v44, off, s[0:3], 0 offset:180
	;; [unrolled: 1-line block ×4, first 2 shown]
	ds_read_b128 v[21:24], v85 offset:1360
	s_waitcnt vmcnt(49) lgkmcnt(1)
	v_mul_f64 v[163:164], v[1:2], v[39:40]
	v_mul_f64 v[39:40], v[3:4], v[39:40]
	s_waitcnt vmcnt(48)
	v_fma_f64 v[53:54], v[5:6], v[86:87], -v[53:54]
	v_add_f64 v[25:26], v[25:26], v[29:30]
	v_fma_f64 v[29:30], v[7:8], v[86:87], v[37:38]
	v_add_f64 v[27:28], v[27:28], v[41:42]
	ds_read_b128 v[5:8], v85 offset:1376
	s_waitcnt vmcnt(47) lgkmcnt(1)
	v_mul_f64 v[41:42], v[23:24], v[59:60]
	v_mul_f64 v[37:38], v[21:22], v[59:60]
	s_waitcnt vmcnt(45)
	v_fma_f64 v[39:40], v[1:2], v[49:50], -v[39:40]
	v_fma_f64 v[49:50], v[3:4], v[49:50], v[163:164]
	ds_read_b128 v[1:4], v85 offset:1392
	v_add_f64 v[25:26], v[25:26], v[53:54]
	v_add_f64 v[27:28], v[27:28], v[29:30]
	s_waitcnt vmcnt(41) lgkmcnt(1)
	v_mul_f64 v[29:30], v[5:6], v[45:46]
	v_mul_f64 v[45:46], v[7:8], v[45:46]
	s_waitcnt vmcnt(40)
	v_fma_f64 v[41:42], v[21:22], v[65:66], -v[41:42]
	v_fma_f64 v[37:38], v[23:24], v[65:66], v[37:38]
	ds_read_b128 v[21:24], v85 offset:1408
	v_add_f64 v[25:26], v[25:26], v[39:40]
	v_add_f64 v[27:28], v[27:28], v[49:50]
	;; [unrolled: 9-line block ×3, first 2 shown]
	s_waitcnt vmcnt(33) lgkmcnt(1)
	v_mul_f64 v[41:42], v[23:24], v[51:52]
	s_waitcnt vmcnt(32)
	v_fma_f64 v[47:48], v[1:2], v[77:78], -v[49:50]
	v_mul_f64 v[37:38], v[21:22], v[51:52]
	v_fma_f64 v[39:40], v[3:4], v[77:78], v[39:40]
	ds_read_b128 v[1:4], v85 offset:1440
	v_add_f64 v[25:26], v[25:26], v[45:46]
	v_add_f64 v[27:28], v[27:28], v[29:30]
	s_waitcnt vmcnt(31) lgkmcnt(1)
	v_mul_f64 v[45:46], v[7:8], v[81:82]
	v_mul_f64 v[29:30], v[5:6], v[81:82]
	s_waitcnt vmcnt(29)
	v_fma_f64 v[41:42], v[21:22], v[55:56], -v[41:42]
	v_fma_f64 v[37:38], v[23:24], v[55:56], v[37:38]
	ds_read_b128 v[21:24], v85 offset:1456
	v_add_f64 v[25:26], v[25:26], v[47:48]
	v_add_f64 v[27:28], v[27:28], v[39:40]
	s_waitcnt vmcnt(25) lgkmcnt(1)
	v_mul_f64 v[47:48], v[3:4], v[57:58]
	s_waitcnt vmcnt(24)
	v_fma_f64 v[45:46], v[5:6], v[83:84], -v[45:46]
	v_mul_f64 v[39:40], v[1:2], v[57:58]
	v_fma_f64 v[29:30], v[7:8], v[83:84], v[29:30]
	ds_read_b128 v[5:8], v85 offset:1472
	v_add_f64 v[25:26], v[25:26], v[41:42]
	v_add_f64 v[27:28], v[27:28], v[37:38]
	s_waitcnt vmcnt(23) lgkmcnt(1)
	v_mul_f64 v[41:42], v[23:24], v[176:177]
	v_mul_f64 v[37:38], v[21:22], v[176:177]
	s_waitcnt vmcnt(21)
	v_fma_f64 v[47:48], v[1:2], v[67:68], -v[47:48]
	v_fma_f64 v[39:40], v[3:4], v[67:68], v[39:40]
	ds_read_b128 v[1:4], v85 offset:1488
	v_add_f64 v[25:26], v[25:26], v[45:46]
	v_add_f64 v[27:28], v[27:28], v[29:30]
	;; [unrolled: 18-line block ×3, first 2 shown]
	s_waitcnt vmcnt(9) lgkmcnt(1)
	v_mul_f64 v[41:42], v[23:24], v[168:169]
	s_waitcnt vmcnt(8)
	v_fma_f64 v[1:2], v[1:2], v[185:186], -v[47:48]
	v_mul_f64 v[37:38], v[21:22], v[168:169]
	v_fma_f64 v[3:4], v[3:4], v[185:186], v[39:40]
	v_add_f64 v[25:26], v[25:26], v[45:46]
	v_add_f64 v[27:28], v[27:28], v[29:30]
	s_waitcnt vmcnt(7) lgkmcnt(0)
	v_mul_f64 v[39:40], v[7:8], v[178:179]
	v_mul_f64 v[29:30], v[5:6], v[178:179]
	s_waitcnt vmcnt(5)
	v_fma_f64 v[21:22], v[21:22], v[31:32], -v[41:42]
	v_fma_f64 v[23:24], v[23:24], v[31:32], v[37:38]
	v_add_f64 v[1:2], v[25:26], v[1:2]
	v_add_f64 v[3:4], v[27:28], v[3:4]
	s_waitcnt vmcnt(4)
	v_fma_f64 v[5:6], v[5:6], v[182:183], -v[39:40]
	v_fma_f64 v[7:8], v[7:8], v[182:183], v[29:30]
	v_add_f64 v[1:2], v[1:2], v[21:22]
	v_add_f64 v[3:4], v[3:4], v[23:24]
	;; [unrolled: 1-line block ×4, first 2 shown]
	s_waitcnt vmcnt(2)
	v_add_f64 v[1:2], v[43:44], -v[1:2]
	s_waitcnt vmcnt(0)
	v_add_f64 v[3:4], v[161:162], -v[3:4]
	buffer_store_dword v2, off, s[0:3], 0 offset:180
	buffer_store_dword v1, off, s[0:3], 0 offset:176
	;; [unrolled: 1-line block ×4, first 2 shown]
	v_cmpx_lt_u32_e32 9, v0
	s_cbranch_execz .LBB47_283
; %bb.282:
	v_mov_b32_e32 v4, s51
	s_clause 0x3
	buffer_load_dword v1, v4, s[0:3], 0 offen
	buffer_load_dword v2, v4, s[0:3], 0 offen offset:4
	buffer_load_dword v3, v4, s[0:3], 0 offen offset:8
	;; [unrolled: 1-line block ×3, first 2 shown]
	buffer_store_dword v85, off, s[0:3], 0 offset:160
	buffer_store_dword v85, off, s[0:3], 0 offset:164
	;; [unrolled: 1-line block ×4, first 2 shown]
	s_waitcnt vmcnt(0)
	ds_write_b128 v165, v[1:4]
.LBB47_283:
	s_or_b32 exec_lo, exec_lo, s4
	s_waitcnt lgkmcnt(0)
	s_waitcnt_vscnt null, 0x0
	s_barrier
	buffer_gl0_inv
	s_clause 0x37
	buffer_load_dword v21, off, s[0:3], 0 offset:184
	buffer_load_dword v22, off, s[0:3], 0 offset:188
	buffer_load_dword v5, off, s[0:3], 0 offset:200
	buffer_load_dword v6, off, s[0:3], 0 offset:204
	buffer_load_dword v7, off, s[0:3], 0 offset:176
	buffer_load_dword v8, off, s[0:3], 0 offset:180
	buffer_load_dword v3, off, s[0:3], 0 offset:216
	buffer_load_dword v4, off, s[0:3], 0 offset:220
	buffer_load_dword v1, off, s[0:3], 0 offset:192
	buffer_load_dword v2, off, s[0:3], 0 offset:196
	buffer_load_dword v26, off, s[0:3], 0 offset:236
	buffer_load_dword v29, off, s[0:3], 0 offset:248
	buffer_load_dword v23, off, s[0:3], 0 offset:240
	buffer_load_dword v25, off, s[0:3], 0 offset:232
	buffer_load_dword v41, off, s[0:3], 0 offset:208
	buffer_load_dword v42, off, s[0:3], 0 offset:212
	buffer_load_dword v30, off, s[0:3], 0 offset:252
	buffer_load_dword v32, off, s[0:3], 0 offset:228
	buffer_load_dword v31, off, s[0:3], 0 offset:224
	buffer_load_dword v38, off, s[0:3], 0 offset:268
	buffer_load_dword v43, off, s[0:3], 0 offset:280
	buffer_load_dword v27, off, s[0:3], 0 offset:272
	buffer_load_dword v37, off, s[0:3], 0 offset:264
	buffer_load_dword v24, off, s[0:3], 0 offset:244
	buffer_load_dword v44, off, s[0:3], 0 offset:284
	buffer_load_dword v46, off, s[0:3], 0 offset:260
	buffer_load_dword v45, off, s[0:3], 0 offset:256
	buffer_load_dword v48, off, s[0:3], 0 offset:300
	buffer_load_dword v51, off, s[0:3], 0 offset:312
	buffer_load_dword v39, off, s[0:3], 0 offset:304
	buffer_load_dword v47, off, s[0:3], 0 offset:296
	buffer_load_dword v28, off, s[0:3], 0 offset:276
	buffer_load_dword v52, off, s[0:3], 0 offset:316
	buffer_load_dword v54, off, s[0:3], 0 offset:292
	buffer_load_dword v53, off, s[0:3], 0 offset:288
	buffer_load_dword v56, off, s[0:3], 0 offset:332
	buffer_load_dword v59, off, s[0:3], 0 offset:344
	buffer_load_dword v49, off, s[0:3], 0 offset:336
	buffer_load_dword v55, off, s[0:3], 0 offset:328
	buffer_load_dword v40, off, s[0:3], 0 offset:308
	buffer_load_dword v60, off, s[0:3], 0 offset:348
	buffer_load_dword v66, off, s[0:3], 0 offset:324
	buffer_load_dword v65, off, s[0:3], 0 offset:320
	buffer_load_dword v68, off, s[0:3], 0 offset:364
	buffer_load_dword v71, off, s[0:3], 0 offset:376
	buffer_load_dword v57, off, s[0:3], 0 offset:368
	buffer_load_dword v67, off, s[0:3], 0 offset:360
	buffer_load_dword v50, off, s[0:3], 0 offset:340
	buffer_load_dword v72, off, s[0:3], 0 offset:380
	buffer_load_dword v78, off, s[0:3], 0 offset:356
	buffer_load_dword v77, off, s[0:3], 0 offset:352
	buffer_load_dword v80, off, s[0:3], 0 offset:396
	buffer_load_dword v81, off, s[0:3], 0 offset:408
	buffer_load_dword v69, off, s[0:3], 0 offset:400
	buffer_load_dword v79, off, s[0:3], 0 offset:392
	buffer_load_dword v58, off, s[0:3], 0 offset:372
	ds_read_b128 v[161:164], v85 offset:928
	s_clause 0x2
	buffer_load_dword v82, off, s[0:3], 0 offset:412
	buffer_load_dword v84, off, s[0:3], 0 offset:388
	;; [unrolled: 1-line block ×3, first 2 shown]
	ds_read_b128 v[166:169], v85 offset:944
	s_clause 0x4
	buffer_load_dword v175, off, s[0:3], 0 offset:428
	buffer_load_dword v176, off, s[0:3], 0 offset:440
	buffer_load_dword v178, off, s[0:3], 0 offset:432
	buffer_load_dword v174, off, s[0:3], 0 offset:424
	buffer_load_dword v70, off, s[0:3], 0 offset:404
	ds_read_b128 v[170:173], v85 offset:960
	s_clause 0x2
	buffer_load_dword v177, off, s[0:3], 0 offset:444
	buffer_load_dword v182, off, s[0:3], 0 offset:420
	;; [unrolled: 1-line block ×3, first 2 shown]
	s_mov_b32 s4, exec_lo
	s_waitcnt vmcnt(62) lgkmcnt(2)
	v_mul_f64 v[86:87], v[163:164], v[21:22]
	v_mul_f64 v[21:22], v[161:162], v[21:22]
	s_waitcnt lgkmcnt(1)
	v_mul_f64 v[179:180], v[168:169], v[5:6]
	s_waitcnt vmcnt(59) lgkmcnt(0)
	v_mul_f64 v[183:184], v[172:173], v[3:4]
	v_fma_f64 v[86:87], v[161:162], v[7:8], -v[86:87]
	v_mul_f64 v[161:162], v[166:167], v[5:6]
	v_fma_f64 v[21:22], v[163:164], v[7:8], v[21:22]
	s_waitcnt vmcnt(57)
	v_fma_f64 v[166:167], v[166:167], v[1:2], -v[179:180]
	ds_read_b128 v[5:8], v85 offset:976
	v_mul_f64 v[163:164], v[170:171], v[3:4]
	s_waitcnt vmcnt(51)
	v_fma_f64 v[170:171], v[170:171], v[41:42], -v[183:184]
	v_add_f64 v[86:87], v[86:87], 0
	v_fma_f64 v[161:162], v[168:169], v[1:2], v[161:162]
	v_add_f64 v[21:22], v[21:22], 0
	s_clause 0x4
	buffer_load_dword v169, off, s[0:3], 0 offset:460
	buffer_load_dword v185, off, s[0:3], 0 offset:472
	;; [unrolled: 1-line block ×5, first 2 shown]
	s_waitcnt lgkmcnt(0)
	v_mul_f64 v[188:189], v[5:6], v[25:26]
	v_mul_f64 v[25:26], v[7:8], v[25:26]
	ds_read_b128 v[1:4], v85 offset:992
	v_fma_f64 v[41:42], v[172:173], v[41:42], v[163:164]
	v_add_f64 v[86:87], v[86:87], v[166:167]
	s_clause 0x2
	buffer_load_dword v186, off, s[0:3], 0 offset:476
	buffer_load_dword v167, off, s[0:3], 0 offset:452
	;; [unrolled: 1-line block ×3, first 2 shown]
	v_add_f64 v[21:22], v[21:22], v[161:162]
	ds_read_b128 v[161:164], v85 offset:1008
	s_waitcnt vmcnt(58) lgkmcnt(1)
	v_mul_f64 v[172:173], v[1:2], v[29:30]
	v_mul_f64 v[29:30], v[3:4], v[29:30]
	s_waitcnt vmcnt(56)
	v_fma_f64 v[25:26], v[5:6], v[31:32], -v[25:26]
	v_fma_f64 v[31:32], v[7:8], v[31:32], v[188:189]
	v_add_f64 v[86:87], v[86:87], v[170:171]
	s_waitcnt vmcnt(52) lgkmcnt(0)
	v_mul_f64 v[189:190], v[161:162], v[37:38]
	v_add_f64 v[21:22], v[21:22], v[41:42]
	s_clause 0x4
	buffer_load_dword v42, off, s[0:3], 0 offset:492
	buffer_load_dword v170, off, s[0:3], 0 offset:504
	;; [unrolled: 1-line block ×5, first 2 shown]
	v_mul_f64 v[37:38], v[163:164], v[37:38]
	s_waitcnt vmcnt(56)
	v_fma_f64 v[29:30], v[1:2], v[23:24], -v[29:30]
	ds_read_b128 v[5:8], v85 offset:1024
	v_fma_f64 v[23:24], v[3:4], v[23:24], v[172:173]
	v_add_f64 v[25:26], v[86:87], v[25:26]
	v_add_f64 v[21:22], v[21:22], v[31:32]
	s_clause 0x2
	buffer_load_dword v171, off, s[0:3], 0 offset:508
	buffer_load_dword v32, off, s[0:3], 0 offset:484
	;; [unrolled: 1-line block ×3, first 2 shown]
	s_waitcnt vmcnt(58) lgkmcnt(0)
	v_mul_f64 v[86:87], v[5:6], v[43:44]
	v_mul_f64 v[43:44], v[7:8], v[43:44]
	s_waitcnt vmcnt(56)
	v_fma_f64 v[37:38], v[161:162], v[45:46], -v[37:38]
	ds_read_b128 v[1:4], v85 offset:1040
	v_add_f64 v[25:26], v[25:26], v[29:30]
	v_fma_f64 v[29:30], v[163:164], v[45:46], v[189:190]
	v_add_f64 v[45:46], v[21:22], v[23:24]
	s_clause 0x4
	buffer_load_dword v162, off, s[0:3], 0 offset:524
	buffer_load_dword v163, off, s[0:3], 0 offset:536
	;; [unrolled: 1-line block ×5, first 2 shown]
	ds_read_b128 v[21:24], v85 offset:1056
	s_waitcnt vmcnt(57) lgkmcnt(1)
	v_mul_f64 v[189:190], v[1:2], v[47:48]
	v_mul_f64 v[47:48], v[3:4], v[47:48]
	s_waitcnt vmcnt(56)
	v_fma_f64 v[43:44], v[5:6], v[27:28], -v[43:44]
	v_fma_f64 v[27:28], v[7:8], v[27:28], v[86:87]
	v_add_f64 v[25:26], v[25:26], v[37:38]
	s_clause 0x2
	buffer_load_dword v164, off, s[0:3], 0 offset:540
	buffer_load_dword v38, off, s[0:3], 0 offset:516
	;; [unrolled: 1-line block ×3, first 2 shown]
	v_add_f64 v[29:30], v[45:46], v[29:30]
	s_waitcnt vmcnt(58) lgkmcnt(0)
	v_mul_f64 v[45:46], v[21:22], v[51:52]
	v_mul_f64 v[51:52], v[23:24], v[51:52]
	ds_read_b128 v[5:8], v85 offset:1072
	s_waitcnt vmcnt(56)
	v_fma_f64 v[47:48], v[1:2], v[53:54], -v[47:48]
	v_add_f64 v[25:26], v[25:26], v[43:44]
	v_fma_f64 v[43:44], v[3:4], v[53:54], v[189:190]
	v_add_f64 v[27:28], v[29:30], v[27:28]
	s_clause 0x4
	buffer_load_dword v30, off, s[0:3], 0 offset:556
	buffer_load_dword v53, off, s[0:3], 0 offset:568
	;; [unrolled: 1-line block ×5, first 2 shown]
	s_waitcnt vmcnt(57) lgkmcnt(0)
	v_mul_f64 v[87:88], v[5:6], v[55:56]
	v_mul_f64 v[55:56], v[7:8], v[55:56]
	s_waitcnt vmcnt(56)
	v_fma_f64 v[51:52], v[21:22], v[39:40], -v[51:52]
	ds_read_b128 v[1:4], v85 offset:1088
	v_fma_f64 v[39:40], v[23:24], v[39:40], v[45:46]
	v_add_f64 v[25:26], v[25:26], v[47:48]
	v_add_f64 v[27:28], v[27:28], v[43:44]
	s_clause 0x2
	buffer_load_dword v54, off, s[0:3], 0 offset:572
	buffer_load_dword v44, off, s[0:3], 0 offset:548
	;; [unrolled: 1-line block ×3, first 2 shown]
	ds_read_b128 v[21:24], v85 offset:1104
	s_waitcnt vmcnt(58) lgkmcnt(1)
	v_mul_f64 v[47:48], v[3:4], v[59:60]
	s_waitcnt vmcnt(56)
	v_fma_f64 v[55:56], v[5:6], v[65:66], -v[55:56]
	v_mul_f64 v[45:46], v[1:2], v[59:60]
	v_add_f64 v[25:26], v[25:26], v[51:52]
	v_fma_f64 v[51:52], v[7:8], v[65:66], v[87:88]
	v_add_f64 v[27:28], v[27:28], v[39:40]
	s_clause 0x4
	buffer_load_dword v40, off, s[0:3], 0 offset:588
	buffer_load_dword v59, off, s[0:3], 0 offset:600
	;; [unrolled: 1-line block ×5, first 2 shown]
	s_waitcnt vmcnt(57) lgkmcnt(0)
	v_mul_f64 v[189:190], v[21:22], v[67:68]
	v_mul_f64 v[66:67], v[23:24], v[67:68]
	s_waitcnt vmcnt(56)
	v_fma_f64 v[47:48], v[1:2], v[49:50], -v[47:48]
	ds_read_b128 v[5:8], v85 offset:1120
	v_fma_f64 v[45:46], v[3:4], v[49:50], v[45:46]
	s_clause 0x2
	buffer_load_dword v60, off, s[0:3], 0 offset:604
	buffer_load_dword v50, off, s[0:3], 0 offset:580
	buffer_load_dword v49, off, s[0:3], 0 offset:576
	ds_read_b128 v[1:4], v85 offset:1136
	v_add_f64 v[25:26], v[25:26], v[55:56]
	v_add_f64 v[27:28], v[27:28], v[51:52]
	s_waitcnt vmcnt(58) lgkmcnt(1)
	v_mul_f64 v[55:56], v[7:8], v[71:72]
	s_waitcnt vmcnt(56)
	v_fma_f64 v[67:68], v[21:22], v[77:78], -v[66:67]
	v_mul_f64 v[51:52], v[5:6], v[71:72]
	v_add_f64 v[25:26], v[25:26], v[47:48]
	v_fma_f64 v[47:48], v[23:24], v[77:78], v[189:190]
	v_add_f64 v[27:28], v[27:28], v[45:46]
	s_clause 0x4
	buffer_load_dword v46, off, s[0:3], 0 offset:620
	buffer_load_dword v71, off, s[0:3], 0 offset:632
	;; [unrolled: 1-line block ×5, first 2 shown]
	s_waitcnt vmcnt(57) lgkmcnt(0)
	v_mul_f64 v[189:190], v[1:2], v[79:80]
	v_mul_f64 v[78:79], v[3:4], v[79:80]
	s_waitcnt vmcnt(56)
	v_fma_f64 v[55:56], v[5:6], v[57:58], -v[55:56]
	ds_read_b128 v[21:24], v85 offset:1152
	v_fma_f64 v[51:52], v[7:8], v[57:58], v[51:52]
	v_add_f64 v[25:26], v[25:26], v[67:68]
	v_add_f64 v[27:28], v[27:28], v[47:48]
	s_clause 0x2
	buffer_load_dword v72, off, s[0:3], 0 offset:636
	buffer_load_dword v48, off, s[0:3], 0 offset:612
	;; [unrolled: 1-line block ×3, first 2 shown]
	ds_read_b128 v[5:8], v85 offset:1168
	s_waitcnt vmcnt(58) lgkmcnt(1)
	v_mul_f64 v[67:68], v[23:24], v[81:82]
	s_waitcnt vmcnt(56)
	v_fma_f64 v[79:80], v[1:2], v[83:84], -v[78:79]
	v_mul_f64 v[57:58], v[21:22], v[81:82]
	v_add_f64 v[25:26], v[25:26], v[55:56]
	v_fma_f64 v[55:56], v[3:4], v[83:84], v[189:190]
	v_add_f64 v[27:28], v[27:28], v[51:52]
	s_clause 0x4
	buffer_load_dword v52, off, s[0:3], 0 offset:652
	buffer_load_dword v81, off, s[0:3], 0 offset:664
	;; [unrolled: 1-line block ×5, first 2 shown]
	s_waitcnt vmcnt(57) lgkmcnt(0)
	v_mul_f64 v[189:190], v[5:6], v[174:175]
	v_mul_f64 v[174:175], v[7:8], v[174:175]
	s_waitcnt vmcnt(56)
	v_fma_f64 v[67:68], v[21:22], v[69:70], -v[67:68]
	ds_read_b128 v[1:4], v85 offset:1184
	v_fma_f64 v[57:58], v[23:24], v[69:70], v[57:58]
	v_add_f64 v[25:26], v[25:26], v[79:80]
	v_add_f64 v[27:28], v[27:28], v[55:56]
	s_clause 0x2
	buffer_load_dword v82, off, s[0:3], 0 offset:668
	buffer_load_dword v56, off, s[0:3], 0 offset:644
	;; [unrolled: 1-line block ×3, first 2 shown]
	ds_read_b128 v[21:24], v85 offset:1200
	s_waitcnt vmcnt(58) lgkmcnt(1)
	v_mul_f64 v[79:80], v[3:4], v[176:177]
	s_waitcnt vmcnt(56)
	v_fma_f64 v[174:175], v[5:6], v[181:182], -v[174:175]
	v_mul_f64 v[69:70], v[1:2], v[176:177]
	v_add_f64 v[25:26], v[25:26], v[67:68]
	v_fma_f64 v[67:68], v[7:8], v[181:182], v[189:190]
	v_add_f64 v[27:28], v[27:28], v[57:58]
	s_clause 0x4
	buffer_load_dword v58, off, s[0:3], 0 offset:684
	buffer_load_dword v176, off, s[0:3], 0 offset:696
	;; [unrolled: 1-line block ×5, first 2 shown]
	ds_read_b128 v[5:8], v85 offset:1216
	s_waitcnt vmcnt(57) lgkmcnt(1)
	v_mul_f64 v[181:182], v[21:22], v[168:169]
	v_mul_f64 v[168:169], v[23:24], v[168:169]
	s_waitcnt vmcnt(56)
	v_fma_f64 v[79:80], v[1:2], v[178:179], -v[79:80]
	v_fma_f64 v[69:70], v[3:4], v[178:179], v[69:70]
	v_add_f64 v[25:26], v[25:26], v[174:175]
	v_add_f64 v[27:28], v[27:28], v[67:68]
	s_clause 0x2
	buffer_load_dword v177, off, s[0:3], 0 offset:700
	buffer_load_dword v68, off, s[0:3], 0 offset:676
	;; [unrolled: 1-line block ×3, first 2 shown]
	ds_read_b128 v[1:4], v85 offset:1232
	s_waitcnt vmcnt(58) lgkmcnt(1)
	v_mul_f64 v[178:179], v[7:8], v[185:186]
	v_mul_f64 v[174:175], v[5:6], v[185:186]
	s_waitcnt vmcnt(56)
	v_fma_f64 v[168:169], v[21:22], v[166:167], -v[168:169]
	v_add_f64 v[25:26], v[25:26], v[79:80]
	v_fma_f64 v[79:80], v[23:24], v[166:167], v[181:182]
	v_add_f64 v[27:28], v[27:28], v[69:70]
	s_clause 0x4
	buffer_load_dword v70, off, s[0:3], 0 offset:716
	buffer_load_dword v166, off, s[0:3], 0 offset:728
	;; [unrolled: 1-line block ×5, first 2 shown]
	ds_read_b128 v[21:24], v85 offset:1248
	s_waitcnt vmcnt(57) lgkmcnt(1)
	v_mul_f64 v[189:190], v[1:2], v[41:42]
	v_mul_f64 v[41:42], v[3:4], v[41:42]
	s_waitcnt vmcnt(56)
	v_fma_f64 v[178:179], v[5:6], v[187:188], -v[178:179]
	v_add_f64 v[25:26], v[25:26], v[168:169]
	v_fma_f64 v[168:169], v[7:8], v[187:188], v[174:175]
	v_add_f64 v[27:28], v[27:28], v[79:80]
	s_clause 0x2
	buffer_load_dword v167, off, s[0:3], 0 offset:732
	buffer_load_dword v80, off, s[0:3], 0 offset:708
	;; [unrolled: 1-line block ×3, first 2 shown]
	ds_read_b128 v[5:8], v85 offset:1264
	s_waitcnt vmcnt(58) lgkmcnt(1)
	v_mul_f64 v[174:175], v[21:22], v[170:171]
	v_mul_f64 v[170:171], v[23:24], v[170:171]
	s_waitcnt vmcnt(56)
	v_fma_f64 v[41:42], v[1:2], v[31:32], -v[41:42]
	v_fma_f64 v[31:32], v[3:4], v[31:32], v[189:190]
	v_add_f64 v[25:26], v[25:26], v[178:179]
	v_add_f64 v[27:28], v[27:28], v[168:169]
	s_clause 0x4
	buffer_load_dword v169, off, s[0:3], 0 offset:748
	buffer_load_dword v178, off, s[0:3], 0 offset:760
	;; [unrolled: 1-line block ×5, first 2 shown]
	ds_read_b128 v[1:4], v85 offset:1280
	s_waitcnt vmcnt(57) lgkmcnt(1)
	v_mul_f64 v[187:188], v[5:6], v[161:162]
	v_mul_f64 v[161:162], v[7:8], v[161:162]
	s_waitcnt vmcnt(56)
	v_fma_f64 v[170:171], v[21:22], v[183:184], -v[170:171]
	v_add_f64 v[25:26], v[25:26], v[41:42]
	v_fma_f64 v[41:42], v[23:24], v[183:184], v[174:175]
	v_add_f64 v[27:28], v[27:28], v[31:32]
	s_clause 0x2
	buffer_load_dword v179, off, s[0:3], 0 offset:764
	buffer_load_dword v32, off, s[0:3], 0 offset:740
	;; [unrolled: 1-line block ×3, first 2 shown]
	ds_read_b128 v[21:24], v85 offset:1296
	s_waitcnt vmcnt(58) lgkmcnt(1)
	v_mul_f64 v[174:175], v[1:2], v[163:164]
	v_mul_f64 v[163:164], v[3:4], v[163:164]
	s_waitcnt vmcnt(56)
	v_fma_f64 v[161:162], v[5:6], v[37:38], -v[161:162]
	v_fma_f64 v[37:38], v[7:8], v[37:38], v[187:188]
	v_add_f64 v[25:26], v[25:26], v[170:171]
	v_add_f64 v[27:28], v[27:28], v[41:42]
	s_clause 0x2
	buffer_load_dword v42, off, s[0:3], 0 offset:780
	buffer_load_dword v41, off, s[0:3], 0 offset:776
	;; [unrolled: 1-line block ×3, first 2 shown]
	ds_read_b128 v[5:8], v85 offset:1312
	s_waitcnt vmcnt(55) lgkmcnt(1)
	v_mul_f64 v[170:171], v[21:22], v[29:30]
	v_mul_f64 v[29:30], v[23:24], v[29:30]
	s_waitcnt vmcnt(54)
	v_fma_f64 v[163:164], v[1:2], v[172:173], -v[163:164]
	v_add_f64 v[25:26], v[25:26], v[161:162]
	v_fma_f64 v[161:162], v[3:4], v[172:173], v[174:175]
	v_add_f64 v[27:28], v[27:28], v[37:38]
	s_clause 0x1
	buffer_load_dword v38, off, s[0:3], 0 offset:772
	buffer_load_dword v37, off, s[0:3], 0 offset:768
	ds_read_b128 v[1:4], v85 offset:1328
	s_waitcnt vmcnt(55) lgkmcnt(1)
	v_mul_f64 v[172:173], v[5:6], v[53:54]
	v_mul_f64 v[53:54], v[7:8], v[53:54]
	s_waitcnt vmcnt(53)
	v_fma_f64 v[29:30], v[21:22], v[43:44], -v[29:30]
	v_fma_f64 v[43:44], v[23:24], v[43:44], v[170:171]
	ds_read_b128 v[21:24], v85 offset:1344
	v_add_f64 v[25:26], v[25:26], v[163:164]
	v_add_f64 v[27:28], v[27:28], v[161:162]
	s_waitcnt vmcnt(49) lgkmcnt(1)
	v_mul_f64 v[161:162], v[1:2], v[39:40]
	v_mul_f64 v[39:40], v[3:4], v[39:40]
	s_waitcnt vmcnt(48)
	v_fma_f64 v[53:54], v[5:6], v[86:87], -v[53:54]
	s_waitcnt vmcnt(47) lgkmcnt(0)
	v_mul_f64 v[163:164], v[21:22], v[59:60]
	v_mul_f64 v[59:60], v[23:24], v[59:60]
	v_add_f64 v[25:26], v[25:26], v[29:30]
	v_fma_f64 v[29:30], v[7:8], v[86:87], v[172:173]
	v_add_f64 v[27:28], v[27:28], v[43:44]
	s_clause 0x3
	buffer_load_dword v43, off, s[0:3], 0 offset:160
	buffer_load_dword v44, off, s[0:3], 0 offset:164
	;; [unrolled: 1-line block ×4, first 2 shown]
	ds_read_b128 v[5:8], v85 offset:1360
	s_waitcnt vmcnt(49)
	v_fma_f64 v[39:40], v[1:2], v[49:50], -v[39:40]
	v_fma_f64 v[49:50], v[3:4], v[49:50], v[161:162]
	ds_read_b128 v[1:4], v85 offset:1376
	v_add_f64 v[25:26], v[25:26], v[53:54]
	v_add_f64 v[27:28], v[27:28], v[29:30]
	s_waitcnt vmcnt(45) lgkmcnt(1)
	v_mul_f64 v[29:30], v[5:6], v[45:46]
	v_mul_f64 v[45:46], v[7:8], v[45:46]
	s_waitcnt vmcnt(44)
	v_fma_f64 v[53:54], v[21:22], v[65:66], -v[59:60]
	v_add_f64 v[25:26], v[25:26], v[39:40]
	v_fma_f64 v[39:40], v[23:24], v[65:66], v[163:164]
	v_add_f64 v[27:28], v[27:28], v[49:50]
	ds_read_b128 v[21:24], v85 offset:1392
	s_waitcnt vmcnt(43) lgkmcnt(1)
	v_mul_f64 v[59:60], v[3:4], v[71:72]
	v_mul_f64 v[49:50], v[1:2], v[71:72]
	s_waitcnt vmcnt(41)
	v_fma_f64 v[45:46], v[5:6], v[47:48], -v[45:46]
	v_fma_f64 v[29:30], v[7:8], v[47:48], v[29:30]
	ds_read_b128 v[5:8], v85 offset:1408
	v_add_f64 v[25:26], v[25:26], v[53:54]
	v_add_f64 v[27:28], v[27:28], v[39:40]
	s_waitcnt vmcnt(37) lgkmcnt(1)
	v_mul_f64 v[39:40], v[21:22], v[51:52]
	v_mul_f64 v[47:48], v[23:24], v[51:52]
	s_waitcnt vmcnt(36)
	v_fma_f64 v[51:52], v[1:2], v[77:78], -v[59:60]
	v_add_f64 v[25:26], v[25:26], v[45:46]
	v_fma_f64 v[45:46], v[3:4], v[77:78], v[49:50]
	v_add_f64 v[27:28], v[27:28], v[29:30]
	ds_read_b128 v[1:4], v85 offset:1424
	s_waitcnt vmcnt(35) lgkmcnt(1)
	v_mul_f64 v[49:50], v[7:8], v[81:82]
	v_mul_f64 v[29:30], v[5:6], v[81:82]
	s_waitcnt vmcnt(33)
	v_fma_f64 v[47:48], v[21:22], v[55:56], -v[47:48]
	v_fma_f64 v[39:40], v[23:24], v[55:56], v[39:40]
	ds_read_b128 v[21:24], v85 offset:1440
	v_add_f64 v[25:26], v[25:26], v[51:52]
	v_add_f64 v[27:28], v[27:28], v[45:46]
	s_waitcnt vmcnt(29) lgkmcnt(1)
	v_mul_f64 v[51:52], v[3:4], v[57:58]
	s_waitcnt vmcnt(28)
	v_fma_f64 v[49:50], v[5:6], v[83:84], -v[49:50]
	v_mul_f64 v[45:46], v[1:2], v[57:58]
	v_fma_f64 v[29:30], v[7:8], v[83:84], v[29:30]
	ds_read_b128 v[5:8], v85 offset:1456
	v_add_f64 v[25:26], v[25:26], v[47:48]
	v_add_f64 v[27:28], v[27:28], v[39:40]
	s_waitcnt vmcnt(27) lgkmcnt(1)
	v_mul_f64 v[47:48], v[23:24], v[176:177]
	v_mul_f64 v[39:40], v[21:22], v[176:177]
	s_waitcnt vmcnt(25)
	v_fma_f64 v[51:52], v[1:2], v[67:68], -v[51:52]
	v_fma_f64 v[45:46], v[3:4], v[67:68], v[45:46]
	ds_read_b128 v[1:4], v85 offset:1472
	v_add_f64 v[25:26], v[25:26], v[49:50]
	v_add_f64 v[27:28], v[27:28], v[29:30]
	s_waitcnt vmcnt(21) lgkmcnt(1)
	v_mul_f64 v[49:50], v[7:8], v[69:70]
	s_waitcnt vmcnt(20)
	v_fma_f64 v[47:48], v[21:22], v[180:181], -v[47:48]
	v_mul_f64 v[29:30], v[5:6], v[69:70]
	v_fma_f64 v[39:40], v[23:24], v[180:181], v[39:40]
	ds_read_b128 v[21:24], v85 offset:1488
	v_add_f64 v[25:26], v[25:26], v[51:52]
	v_add_f64 v[27:28], v[27:28], v[45:46]
	s_waitcnt vmcnt(19) lgkmcnt(1)
	v_mul_f64 v[51:52], v[3:4], v[166:167]
	v_mul_f64 v[45:46], v[1:2], v[166:167]
	s_waitcnt vmcnt(17)
	v_fma_f64 v[49:50], v[5:6], v[79:80], -v[49:50]
	v_fma_f64 v[29:30], v[7:8], v[79:80], v[29:30]
	ds_read_b128 v[5:8], v85 offset:1504
	v_add_f64 v[25:26], v[25:26], v[47:48]
	v_add_f64 v[27:28], v[27:28], v[39:40]
	s_waitcnt vmcnt(13) lgkmcnt(1)
	v_mul_f64 v[47:48], v[23:24], v[168:169]
	s_waitcnt vmcnt(12)
	v_fma_f64 v[51:52], v[1:2], v[185:186], -v[51:52]
	v_mul_f64 v[39:40], v[21:22], v[168:169]
	v_fma_f64 v[45:46], v[3:4], v[185:186], v[45:46]
	ds_read_b128 v[1:4], v85 offset:1520
	v_add_f64 v[25:26], v[25:26], v[49:50]
	v_add_f64 v[27:28], v[27:28], v[29:30]
	s_waitcnt vmcnt(11) lgkmcnt(1)
	v_mul_f64 v[49:50], v[7:8], v[178:179]
	v_mul_f64 v[29:30], v[5:6], v[178:179]
	s_waitcnt vmcnt(9)
	v_fma_f64 v[21:22], v[21:22], v[31:32], -v[47:48]
	v_fma_f64 v[23:24], v[23:24], v[31:32], v[39:40]
	v_add_f64 v[25:26], v[25:26], v[51:52]
	v_add_f64 v[27:28], v[27:28], v[45:46]
	s_waitcnt vmcnt(7) lgkmcnt(0)
	v_mul_f64 v[39:40], v[3:4], v[41:42]
	s_waitcnt vmcnt(6)
	v_fma_f64 v[5:6], v[5:6], v[182:183], -v[49:50]
	v_mul_f64 v[31:32], v[1:2], v[41:42]
	v_fma_f64 v[7:8], v[7:8], v[182:183], v[29:30]
	v_add_f64 v[21:22], v[25:26], v[21:22]
	v_add_f64 v[23:24], v[27:28], v[23:24]
	s_waitcnt vmcnt(4)
	v_fma_f64 v[1:2], v[1:2], v[37:38], -v[39:40]
	v_fma_f64 v[3:4], v[3:4], v[37:38], v[31:32]
	v_add_f64 v[5:6], v[21:22], v[5:6]
	v_add_f64 v[7:8], v[23:24], v[7:8]
	;; [unrolled: 1-line block ×4, first 2 shown]
	s_waitcnt vmcnt(2)
	v_add_f64 v[1:2], v[43:44], -v[1:2]
	s_waitcnt vmcnt(0)
	v_add_f64 v[3:4], v[86:87], -v[3:4]
	buffer_store_dword v2, off, s[0:3], 0 offset:164
	buffer_store_dword v1, off, s[0:3], 0 offset:160
	;; [unrolled: 1-line block ×4, first 2 shown]
	v_cmpx_lt_u32_e32 8, v0
	s_cbranch_execz .LBB47_285
; %bb.284:
	v_mov_b32_e32 v4, s52
	v_mov_b32_e32 v5, 0
	s_clause 0x3
	buffer_load_dword v1, v4, s[0:3], 0 offen
	buffer_load_dword v2, v4, s[0:3], 0 offen offset:4
	buffer_load_dword v3, v4, s[0:3], 0 offen offset:8
	;; [unrolled: 1-line block ×3, first 2 shown]
	buffer_store_dword v5, off, s[0:3], 0 offset:144
	buffer_store_dword v5, off, s[0:3], 0 offset:148
	;; [unrolled: 1-line block ×4, first 2 shown]
	s_waitcnt vmcnt(0)
	ds_write_b128 v165, v[1:4]
.LBB47_285:
	s_or_b32 exec_lo, exec_lo, s4
	s_waitcnt lgkmcnt(0)
	s_waitcnt_vscnt null, 0x0
	s_barrier
	buffer_gl0_inv
	s_clause 0x37
	buffer_load_dword v21, off, s[0:3], 0 offset:168
	buffer_load_dword v22, off, s[0:3], 0 offset:172
	buffer_load_dword v5, off, s[0:3], 0 offset:184
	buffer_load_dword v6, off, s[0:3], 0 offset:188
	buffer_load_dword v7, off, s[0:3], 0 offset:160
	buffer_load_dword v8, off, s[0:3], 0 offset:164
	buffer_load_dword v3, off, s[0:3], 0 offset:200
	buffer_load_dword v4, off, s[0:3], 0 offset:204
	buffer_load_dword v1, off, s[0:3], 0 offset:176
	buffer_load_dword v2, off, s[0:3], 0 offset:180
	buffer_load_dword v26, off, s[0:3], 0 offset:220
	buffer_load_dword v29, off, s[0:3], 0 offset:232
	buffer_load_dword v23, off, s[0:3], 0 offset:224
	buffer_load_dword v25, off, s[0:3], 0 offset:216
	buffer_load_dword v41, off, s[0:3], 0 offset:192
	buffer_load_dword v42, off, s[0:3], 0 offset:196
	buffer_load_dword v30, off, s[0:3], 0 offset:236
	buffer_load_dword v32, off, s[0:3], 0 offset:212
	buffer_load_dword v31, off, s[0:3], 0 offset:208
	buffer_load_dword v38, off, s[0:3], 0 offset:252
	buffer_load_dword v43, off, s[0:3], 0 offset:264
	buffer_load_dword v27, off, s[0:3], 0 offset:256
	buffer_load_dword v37, off, s[0:3], 0 offset:248
	buffer_load_dword v24, off, s[0:3], 0 offset:228
	buffer_load_dword v44, off, s[0:3], 0 offset:268
	buffer_load_dword v46, off, s[0:3], 0 offset:244
	buffer_load_dword v45, off, s[0:3], 0 offset:240
	buffer_load_dword v48, off, s[0:3], 0 offset:284
	buffer_load_dword v51, off, s[0:3], 0 offset:296
	buffer_load_dword v39, off, s[0:3], 0 offset:288
	buffer_load_dword v47, off, s[0:3], 0 offset:280
	buffer_load_dword v28, off, s[0:3], 0 offset:260
	buffer_load_dword v52, off, s[0:3], 0 offset:300
	buffer_load_dword v54, off, s[0:3], 0 offset:276
	buffer_load_dword v53, off, s[0:3], 0 offset:272
	buffer_load_dword v56, off, s[0:3], 0 offset:316
	buffer_load_dword v59, off, s[0:3], 0 offset:328
	buffer_load_dword v49, off, s[0:3], 0 offset:320
	buffer_load_dword v55, off, s[0:3], 0 offset:312
	buffer_load_dword v40, off, s[0:3], 0 offset:292
	buffer_load_dword v60, off, s[0:3], 0 offset:332
	buffer_load_dword v66, off, s[0:3], 0 offset:308
	buffer_load_dword v65, off, s[0:3], 0 offset:304
	buffer_load_dword v68, off, s[0:3], 0 offset:348
	buffer_load_dword v71, off, s[0:3], 0 offset:360
	buffer_load_dword v57, off, s[0:3], 0 offset:352
	buffer_load_dword v67, off, s[0:3], 0 offset:344
	buffer_load_dword v50, off, s[0:3], 0 offset:324
	buffer_load_dword v72, off, s[0:3], 0 offset:364
	buffer_load_dword v78, off, s[0:3], 0 offset:340
	buffer_load_dword v77, off, s[0:3], 0 offset:336
	buffer_load_dword v80, off, s[0:3], 0 offset:380
	buffer_load_dword v81, off, s[0:3], 0 offset:392
	buffer_load_dword v69, off, s[0:3], 0 offset:384
	buffer_load_dword v79, off, s[0:3], 0 offset:376
	buffer_load_dword v58, off, s[0:3], 0 offset:356
	v_mov_b32_e32 v85, 0
	s_mov_b32 s4, exec_lo
	ds_read_b128 v[161:164], v85 offset:912
	s_clause 0x2
	buffer_load_dword v82, off, s[0:3], 0 offset:396
	buffer_load_dword v84, off, s[0:3], 0 offset:372
	;; [unrolled: 1-line block ×3, first 2 shown]
	ds_read_b128 v[166:169], v85 offset:928
	s_clause 0x4
	buffer_load_dword v175, off, s[0:3], 0 offset:412
	buffer_load_dword v176, off, s[0:3], 0 offset:424
	;; [unrolled: 1-line block ×5, first 2 shown]
	ds_read_b128 v[170:173], v85 offset:944
	s_clause 0x2
	buffer_load_dword v177, off, s[0:3], 0 offset:428
	buffer_load_dword v182, off, s[0:3], 0 offset:404
	;; [unrolled: 1-line block ×3, first 2 shown]
	s_waitcnt vmcnt(62) lgkmcnt(2)
	v_mul_f64 v[86:87], v[163:164], v[21:22]
	v_mul_f64 v[21:22], v[161:162], v[21:22]
	s_waitcnt lgkmcnt(1)
	v_mul_f64 v[179:180], v[168:169], v[5:6]
	s_waitcnt vmcnt(59) lgkmcnt(0)
	v_mul_f64 v[183:184], v[172:173], v[3:4]
	v_fma_f64 v[86:87], v[161:162], v[7:8], -v[86:87]
	v_mul_f64 v[161:162], v[166:167], v[5:6]
	v_fma_f64 v[21:22], v[163:164], v[7:8], v[21:22]
	s_waitcnt vmcnt(57)
	v_fma_f64 v[166:167], v[166:167], v[1:2], -v[179:180]
	ds_read_b128 v[5:8], v85 offset:960
	v_mul_f64 v[163:164], v[170:171], v[3:4]
	s_waitcnt vmcnt(51)
	v_fma_f64 v[170:171], v[170:171], v[41:42], -v[183:184]
	v_add_f64 v[86:87], v[86:87], 0
	v_fma_f64 v[161:162], v[168:169], v[1:2], v[161:162]
	v_add_f64 v[21:22], v[21:22], 0
	s_clause 0x4
	buffer_load_dword v169, off, s[0:3], 0 offset:444
	buffer_load_dword v185, off, s[0:3], 0 offset:456
	;; [unrolled: 1-line block ×5, first 2 shown]
	s_waitcnt lgkmcnt(0)
	v_mul_f64 v[188:189], v[5:6], v[25:26]
	v_mul_f64 v[25:26], v[7:8], v[25:26]
	ds_read_b128 v[1:4], v85 offset:976
	v_fma_f64 v[41:42], v[172:173], v[41:42], v[163:164]
	v_add_f64 v[86:87], v[86:87], v[166:167]
	s_clause 0x2
	buffer_load_dword v186, off, s[0:3], 0 offset:460
	buffer_load_dword v167, off, s[0:3], 0 offset:436
	;; [unrolled: 1-line block ×3, first 2 shown]
	v_add_f64 v[21:22], v[21:22], v[161:162]
	ds_read_b128 v[161:164], v85 offset:992
	s_waitcnt vmcnt(58) lgkmcnt(1)
	v_mul_f64 v[172:173], v[1:2], v[29:30]
	v_mul_f64 v[29:30], v[3:4], v[29:30]
	s_waitcnt vmcnt(56)
	v_fma_f64 v[25:26], v[5:6], v[31:32], -v[25:26]
	v_fma_f64 v[31:32], v[7:8], v[31:32], v[188:189]
	v_add_f64 v[86:87], v[86:87], v[170:171]
	s_waitcnt vmcnt(52) lgkmcnt(0)
	v_mul_f64 v[189:190], v[161:162], v[37:38]
	v_add_f64 v[21:22], v[21:22], v[41:42]
	s_clause 0x4
	buffer_load_dword v42, off, s[0:3], 0 offset:476
	buffer_load_dword v170, off, s[0:3], 0 offset:488
	;; [unrolled: 1-line block ×5, first 2 shown]
	v_mul_f64 v[37:38], v[163:164], v[37:38]
	s_waitcnt vmcnt(56)
	v_fma_f64 v[29:30], v[1:2], v[23:24], -v[29:30]
	ds_read_b128 v[5:8], v85 offset:1008
	v_fma_f64 v[23:24], v[3:4], v[23:24], v[172:173]
	v_add_f64 v[25:26], v[86:87], v[25:26]
	v_add_f64 v[21:22], v[21:22], v[31:32]
	s_clause 0x2
	buffer_load_dword v171, off, s[0:3], 0 offset:492
	buffer_load_dword v32, off, s[0:3], 0 offset:468
	;; [unrolled: 1-line block ×3, first 2 shown]
	s_waitcnt vmcnt(58) lgkmcnt(0)
	v_mul_f64 v[86:87], v[5:6], v[43:44]
	v_mul_f64 v[43:44], v[7:8], v[43:44]
	s_waitcnt vmcnt(56)
	v_fma_f64 v[37:38], v[161:162], v[45:46], -v[37:38]
	ds_read_b128 v[1:4], v85 offset:1024
	v_add_f64 v[25:26], v[25:26], v[29:30]
	v_fma_f64 v[29:30], v[163:164], v[45:46], v[189:190]
	v_add_f64 v[45:46], v[21:22], v[23:24]
	s_clause 0x4
	buffer_load_dword v162, off, s[0:3], 0 offset:508
	buffer_load_dword v163, off, s[0:3], 0 offset:520
	;; [unrolled: 1-line block ×5, first 2 shown]
	ds_read_b128 v[21:24], v85 offset:1040
	s_waitcnt vmcnt(57) lgkmcnt(1)
	v_mul_f64 v[189:190], v[1:2], v[47:48]
	v_mul_f64 v[47:48], v[3:4], v[47:48]
	s_waitcnt vmcnt(56)
	v_fma_f64 v[43:44], v[5:6], v[27:28], -v[43:44]
	v_fma_f64 v[27:28], v[7:8], v[27:28], v[86:87]
	v_add_f64 v[25:26], v[25:26], v[37:38]
	s_clause 0x2
	buffer_load_dword v164, off, s[0:3], 0 offset:524
	buffer_load_dword v38, off, s[0:3], 0 offset:500
	;; [unrolled: 1-line block ×3, first 2 shown]
	v_add_f64 v[29:30], v[45:46], v[29:30]
	s_waitcnt vmcnt(58) lgkmcnt(0)
	v_mul_f64 v[45:46], v[21:22], v[51:52]
	v_mul_f64 v[51:52], v[23:24], v[51:52]
	ds_read_b128 v[5:8], v85 offset:1056
	s_waitcnt vmcnt(56)
	v_fma_f64 v[47:48], v[1:2], v[53:54], -v[47:48]
	v_add_f64 v[25:26], v[25:26], v[43:44]
	v_fma_f64 v[43:44], v[3:4], v[53:54], v[189:190]
	v_add_f64 v[27:28], v[29:30], v[27:28]
	s_clause 0x4
	buffer_load_dword v30, off, s[0:3], 0 offset:540
	buffer_load_dword v53, off, s[0:3], 0 offset:552
	;; [unrolled: 1-line block ×5, first 2 shown]
	s_waitcnt vmcnt(57) lgkmcnt(0)
	v_mul_f64 v[87:88], v[5:6], v[55:56]
	v_mul_f64 v[55:56], v[7:8], v[55:56]
	s_waitcnt vmcnt(56)
	v_fma_f64 v[51:52], v[21:22], v[39:40], -v[51:52]
	ds_read_b128 v[1:4], v85 offset:1072
	v_fma_f64 v[39:40], v[23:24], v[39:40], v[45:46]
	v_add_f64 v[25:26], v[25:26], v[47:48]
	v_add_f64 v[27:28], v[27:28], v[43:44]
	s_clause 0x2
	buffer_load_dword v54, off, s[0:3], 0 offset:556
	buffer_load_dword v44, off, s[0:3], 0 offset:532
	;; [unrolled: 1-line block ×3, first 2 shown]
	ds_read_b128 v[21:24], v85 offset:1088
	s_waitcnt vmcnt(58) lgkmcnt(1)
	v_mul_f64 v[47:48], v[3:4], v[59:60]
	s_waitcnt vmcnt(56)
	v_fma_f64 v[55:56], v[5:6], v[65:66], -v[55:56]
	v_mul_f64 v[45:46], v[1:2], v[59:60]
	v_add_f64 v[25:26], v[25:26], v[51:52]
	v_fma_f64 v[51:52], v[7:8], v[65:66], v[87:88]
	v_add_f64 v[27:28], v[27:28], v[39:40]
	s_clause 0x4
	buffer_load_dword v40, off, s[0:3], 0 offset:572
	buffer_load_dword v59, off, s[0:3], 0 offset:584
	;; [unrolled: 1-line block ×5, first 2 shown]
	s_waitcnt vmcnt(57) lgkmcnt(0)
	v_mul_f64 v[189:190], v[21:22], v[67:68]
	v_mul_f64 v[66:67], v[23:24], v[67:68]
	s_waitcnt vmcnt(56)
	v_fma_f64 v[47:48], v[1:2], v[49:50], -v[47:48]
	ds_read_b128 v[5:8], v85 offset:1104
	v_fma_f64 v[45:46], v[3:4], v[49:50], v[45:46]
	s_clause 0x2
	buffer_load_dword v60, off, s[0:3], 0 offset:588
	buffer_load_dword v50, off, s[0:3], 0 offset:564
	;; [unrolled: 1-line block ×3, first 2 shown]
	ds_read_b128 v[1:4], v85 offset:1120
	v_add_f64 v[25:26], v[25:26], v[55:56]
	v_add_f64 v[27:28], v[27:28], v[51:52]
	s_waitcnt vmcnt(58) lgkmcnt(1)
	v_mul_f64 v[55:56], v[7:8], v[71:72]
	s_waitcnt vmcnt(56)
	v_fma_f64 v[67:68], v[21:22], v[77:78], -v[66:67]
	v_mul_f64 v[51:52], v[5:6], v[71:72]
	v_add_f64 v[25:26], v[25:26], v[47:48]
	v_fma_f64 v[47:48], v[23:24], v[77:78], v[189:190]
	v_add_f64 v[27:28], v[27:28], v[45:46]
	s_clause 0x4
	buffer_load_dword v46, off, s[0:3], 0 offset:604
	buffer_load_dword v71, off, s[0:3], 0 offset:616
	buffer_load_dword v77, off, s[0:3], 0 offset:608
	buffer_load_dword v45, off, s[0:3], 0 offset:600
	buffer_load_dword v66, off, s[0:3], 0 offset:580
	s_waitcnt vmcnt(57) lgkmcnt(0)
	v_mul_f64 v[189:190], v[1:2], v[79:80]
	v_mul_f64 v[78:79], v[3:4], v[79:80]
	s_waitcnt vmcnt(56)
	v_fma_f64 v[55:56], v[5:6], v[57:58], -v[55:56]
	ds_read_b128 v[21:24], v85 offset:1136
	v_fma_f64 v[51:52], v[7:8], v[57:58], v[51:52]
	v_add_f64 v[25:26], v[25:26], v[67:68]
	v_add_f64 v[27:28], v[27:28], v[47:48]
	s_clause 0x2
	buffer_load_dword v72, off, s[0:3], 0 offset:620
	buffer_load_dword v48, off, s[0:3], 0 offset:596
	buffer_load_dword v47, off, s[0:3], 0 offset:592
	ds_read_b128 v[5:8], v85 offset:1152
	s_waitcnt vmcnt(58) lgkmcnt(1)
	v_mul_f64 v[67:68], v[23:24], v[81:82]
	s_waitcnt vmcnt(56)
	v_fma_f64 v[79:80], v[1:2], v[83:84], -v[78:79]
	v_mul_f64 v[57:58], v[21:22], v[81:82]
	v_add_f64 v[25:26], v[25:26], v[55:56]
	v_fma_f64 v[55:56], v[3:4], v[83:84], v[189:190]
	v_add_f64 v[27:28], v[27:28], v[51:52]
	s_clause 0x4
	buffer_load_dword v52, off, s[0:3], 0 offset:636
	buffer_load_dword v81, off, s[0:3], 0 offset:648
	buffer_load_dword v83, off, s[0:3], 0 offset:640
	buffer_load_dword v51, off, s[0:3], 0 offset:632
	buffer_load_dword v78, off, s[0:3], 0 offset:612
	s_waitcnt vmcnt(57) lgkmcnt(0)
	v_mul_f64 v[189:190], v[5:6], v[174:175]
	v_mul_f64 v[174:175], v[7:8], v[174:175]
	s_waitcnt vmcnt(56)
	v_fma_f64 v[67:68], v[21:22], v[69:70], -v[67:68]
	ds_read_b128 v[1:4], v85 offset:1168
	v_fma_f64 v[57:58], v[23:24], v[69:70], v[57:58]
	v_add_f64 v[25:26], v[25:26], v[79:80]
	v_add_f64 v[27:28], v[27:28], v[55:56]
	s_clause 0x2
	buffer_load_dword v82, off, s[0:3], 0 offset:652
	buffer_load_dword v56, off, s[0:3], 0 offset:628
	;; [unrolled: 1-line block ×3, first 2 shown]
	ds_read_b128 v[21:24], v85 offset:1184
	s_waitcnt vmcnt(58) lgkmcnt(1)
	v_mul_f64 v[79:80], v[3:4], v[176:177]
	s_waitcnt vmcnt(56)
	v_fma_f64 v[174:175], v[5:6], v[181:182], -v[174:175]
	v_mul_f64 v[69:70], v[1:2], v[176:177]
	v_add_f64 v[25:26], v[25:26], v[67:68]
	v_fma_f64 v[67:68], v[7:8], v[181:182], v[189:190]
	v_add_f64 v[27:28], v[27:28], v[57:58]
	s_clause 0x4
	buffer_load_dword v58, off, s[0:3], 0 offset:668
	buffer_load_dword v176, off, s[0:3], 0 offset:680
	;; [unrolled: 1-line block ×5, first 2 shown]
	ds_read_b128 v[5:8], v85 offset:1200
	s_waitcnt vmcnt(57) lgkmcnt(1)
	v_mul_f64 v[181:182], v[21:22], v[168:169]
	v_mul_f64 v[168:169], v[23:24], v[168:169]
	s_waitcnt vmcnt(56)
	v_fma_f64 v[79:80], v[1:2], v[178:179], -v[79:80]
	v_fma_f64 v[69:70], v[3:4], v[178:179], v[69:70]
	v_add_f64 v[25:26], v[25:26], v[174:175]
	v_add_f64 v[27:28], v[27:28], v[67:68]
	s_clause 0x2
	buffer_load_dword v177, off, s[0:3], 0 offset:684
	buffer_load_dword v68, off, s[0:3], 0 offset:660
	;; [unrolled: 1-line block ×3, first 2 shown]
	ds_read_b128 v[1:4], v85 offset:1216
	s_waitcnt vmcnt(58) lgkmcnt(1)
	v_mul_f64 v[178:179], v[7:8], v[185:186]
	v_mul_f64 v[174:175], v[5:6], v[185:186]
	s_waitcnt vmcnt(56)
	v_fma_f64 v[168:169], v[21:22], v[166:167], -v[168:169]
	v_add_f64 v[25:26], v[25:26], v[79:80]
	v_fma_f64 v[79:80], v[23:24], v[166:167], v[181:182]
	v_add_f64 v[27:28], v[27:28], v[69:70]
	s_clause 0x4
	buffer_load_dword v70, off, s[0:3], 0 offset:700
	buffer_load_dword v166, off, s[0:3], 0 offset:712
	;; [unrolled: 1-line block ×5, first 2 shown]
	ds_read_b128 v[21:24], v85 offset:1232
	s_waitcnt vmcnt(57) lgkmcnt(1)
	v_mul_f64 v[189:190], v[1:2], v[41:42]
	v_mul_f64 v[41:42], v[3:4], v[41:42]
	s_waitcnt vmcnt(56)
	v_fma_f64 v[178:179], v[5:6], v[187:188], -v[178:179]
	v_add_f64 v[25:26], v[25:26], v[168:169]
	v_fma_f64 v[168:169], v[7:8], v[187:188], v[174:175]
	v_add_f64 v[27:28], v[27:28], v[79:80]
	s_clause 0x2
	buffer_load_dword v167, off, s[0:3], 0 offset:716
	buffer_load_dword v80, off, s[0:3], 0 offset:692
	;; [unrolled: 1-line block ×3, first 2 shown]
	ds_read_b128 v[5:8], v85 offset:1248
	s_waitcnt vmcnt(58) lgkmcnt(1)
	v_mul_f64 v[174:175], v[21:22], v[170:171]
	v_mul_f64 v[170:171], v[23:24], v[170:171]
	s_waitcnt vmcnt(56)
	v_fma_f64 v[41:42], v[1:2], v[31:32], -v[41:42]
	v_fma_f64 v[31:32], v[3:4], v[31:32], v[189:190]
	v_add_f64 v[25:26], v[25:26], v[178:179]
	v_add_f64 v[27:28], v[27:28], v[168:169]
	s_clause 0x4
	buffer_load_dword v169, off, s[0:3], 0 offset:732
	buffer_load_dword v178, off, s[0:3], 0 offset:744
	;; [unrolled: 1-line block ×5, first 2 shown]
	ds_read_b128 v[1:4], v85 offset:1264
	s_waitcnt vmcnt(57) lgkmcnt(1)
	v_mul_f64 v[187:188], v[5:6], v[161:162]
	v_mul_f64 v[161:162], v[7:8], v[161:162]
	s_waitcnt vmcnt(56)
	v_fma_f64 v[170:171], v[21:22], v[183:184], -v[170:171]
	v_add_f64 v[25:26], v[25:26], v[41:42]
	v_fma_f64 v[41:42], v[23:24], v[183:184], v[174:175]
	v_add_f64 v[27:28], v[27:28], v[31:32]
	s_clause 0x2
	buffer_load_dword v179, off, s[0:3], 0 offset:748
	buffer_load_dword v32, off, s[0:3], 0 offset:724
	;; [unrolled: 1-line block ×3, first 2 shown]
	ds_read_b128 v[21:24], v85 offset:1280
	s_waitcnt vmcnt(58) lgkmcnt(1)
	v_mul_f64 v[174:175], v[1:2], v[163:164]
	v_mul_f64 v[163:164], v[3:4], v[163:164]
	s_waitcnt vmcnt(56)
	v_fma_f64 v[161:162], v[5:6], v[37:38], -v[161:162]
	v_fma_f64 v[37:38], v[7:8], v[37:38], v[187:188]
	v_add_f64 v[25:26], v[25:26], v[170:171]
	v_add_f64 v[27:28], v[27:28], v[41:42]
	s_clause 0x4
	buffer_load_dword v42, off, s[0:3], 0 offset:764
	buffer_load_dword v170, off, s[0:3], 0 offset:776
	;; [unrolled: 1-line block ×5, first 2 shown]
	ds_read_b128 v[5:8], v85 offset:1296
	s_waitcnt vmcnt(57) lgkmcnt(1)
	v_mul_f64 v[188:189], v[21:22], v[29:30]
	v_mul_f64 v[29:30], v[23:24], v[29:30]
	s_waitcnt vmcnt(56)
	v_fma_f64 v[163:164], v[1:2], v[172:173], -v[163:164]
	v_add_f64 v[25:26], v[25:26], v[161:162]
	v_fma_f64 v[161:162], v[3:4], v[172:173], v[174:175]
	v_add_f64 v[27:28], v[27:28], v[37:38]
	s_clause 0x2
	buffer_load_dword v171, off, s[0:3], 0 offset:780
	buffer_load_dword v38, off, s[0:3], 0 offset:756
	buffer_load_dword v37, off, s[0:3], 0 offset:752
	ds_read_b128 v[1:4], v85 offset:1312
	s_waitcnt vmcnt(58) lgkmcnt(1)
	v_mul_f64 v[172:173], v[5:6], v[53:54]
	v_mul_f64 v[53:54], v[7:8], v[53:54]
	s_waitcnt vmcnt(56)
	v_fma_f64 v[29:30], v[21:22], v[43:44], -v[29:30]
	v_fma_f64 v[43:44], v[23:24], v[43:44], v[188:189]
	buffer_load_dword v188, off, s[0:3], 0 offset:772
	ds_read_b128 v[21:24], v85 offset:1328
	v_add_f64 v[25:26], v[25:26], v[163:164]
	v_add_f64 v[27:28], v[27:28], v[161:162]
	s_waitcnt vmcnt(53) lgkmcnt(1)
	v_mul_f64 v[161:162], v[1:2], v[39:40]
	v_mul_f64 v[39:40], v[3:4], v[39:40]
	s_waitcnt vmcnt(52)
	v_fma_f64 v[53:54], v[5:6], v[86:87], -v[53:54]
	v_add_f64 v[25:26], v[25:26], v[29:30]
	v_fma_f64 v[29:30], v[7:8], v[86:87], v[172:173]
	v_add_f64 v[27:28], v[27:28], v[43:44]
	s_waitcnt vmcnt(51) lgkmcnt(0)
	v_mul_f64 v[43:44], v[21:22], v[59:60]
	v_mul_f64 v[59:60], v[23:24], v[59:60]
	ds_read_b128 v[5:8], v85 offset:1344
	s_waitcnt vmcnt(49)
	v_fma_f64 v[39:40], v[1:2], v[49:50], -v[39:40]
	v_fma_f64 v[49:50], v[3:4], v[49:50], v[161:162]
	v_add_f64 v[25:26], v[25:26], v[53:54]
	v_add_f64 v[27:28], v[27:28], v[29:30]
	s_clause 0x3
	buffer_load_dword v29, off, s[0:3], 0 offset:144
	buffer_load_dword v30, off, s[0:3], 0 offset:148
	;; [unrolled: 1-line block ×4, first 2 shown]
	ds_read_b128 v[1:4], v85 offset:1360
	s_waitcnt vmcnt(49) lgkmcnt(1)
	v_mul_f64 v[86:87], v[5:6], v[45:46]
	v_mul_f64 v[45:46], v[7:8], v[45:46]
	s_waitcnt vmcnt(48)
	v_fma_f64 v[59:60], v[21:22], v[65:66], -v[59:60]
	v_add_f64 v[25:26], v[25:26], v[39:40]
	v_fma_f64 v[39:40], v[23:24], v[65:66], v[43:44]
	v_add_f64 v[27:28], v[27:28], v[49:50]
	ds_read_b128 v[21:24], v85 offset:1376
	s_waitcnt vmcnt(47) lgkmcnt(1)
	v_mul_f64 v[49:50], v[3:4], v[71:72]
	v_mul_f64 v[43:44], v[1:2], v[71:72]
	s_waitcnt vmcnt(45)
	v_fma_f64 v[45:46], v[5:6], v[47:48], -v[45:46]
	v_fma_f64 v[47:48], v[7:8], v[47:48], v[86:87]
	ds_read_b128 v[5:8], v85 offset:1392
	v_add_f64 v[25:26], v[25:26], v[59:60]
	v_add_f64 v[27:28], v[27:28], v[39:40]
	s_waitcnt vmcnt(41) lgkmcnt(1)
	v_mul_f64 v[39:40], v[21:22], v[51:52]
	v_mul_f64 v[51:52], v[23:24], v[51:52]
	s_waitcnt vmcnt(40)
	v_fma_f64 v[49:50], v[1:2], v[77:78], -v[49:50]
	v_fma_f64 v[43:44], v[3:4], v[77:78], v[43:44]
	ds_read_b128 v[1:4], v85 offset:1408
	v_add_f64 v[25:26], v[25:26], v[45:46]
	v_add_f64 v[27:28], v[27:28], v[47:48]
	;; [unrolled: 9-line block ×3, first 2 shown]
	s_waitcnt vmcnt(33) lgkmcnt(1)
	v_mul_f64 v[49:50], v[3:4], v[57:58]
	s_waitcnt vmcnt(32)
	v_fma_f64 v[47:48], v[5:6], v[83:84], -v[47:48]
	v_mul_f64 v[43:44], v[1:2], v[57:58]
	v_fma_f64 v[45:46], v[7:8], v[83:84], v[45:46]
	ds_read_b128 v[5:8], v85 offset:1440
	v_add_f64 v[25:26], v[25:26], v[51:52]
	v_add_f64 v[27:28], v[27:28], v[39:40]
	s_waitcnt vmcnt(31) lgkmcnt(1)
	v_mul_f64 v[51:52], v[23:24], v[176:177]
	v_mul_f64 v[39:40], v[21:22], v[176:177]
	s_waitcnt vmcnt(29)
	v_fma_f64 v[49:50], v[1:2], v[67:68], -v[49:50]
	v_fma_f64 v[43:44], v[3:4], v[67:68], v[43:44]
	ds_read_b128 v[1:4], v85 offset:1456
	v_add_f64 v[25:26], v[25:26], v[47:48]
	v_add_f64 v[27:28], v[27:28], v[45:46]
	s_waitcnt vmcnt(25) lgkmcnt(1)
	v_mul_f64 v[47:48], v[7:8], v[69:70]
	s_waitcnt vmcnt(24)
	v_fma_f64 v[51:52], v[21:22], v[180:181], -v[51:52]
	v_mul_f64 v[45:46], v[5:6], v[69:70]
	v_fma_f64 v[39:40], v[23:24], v[180:181], v[39:40]
	ds_read_b128 v[21:24], v85 offset:1472
	v_add_f64 v[25:26], v[25:26], v[49:50]
	v_add_f64 v[27:28], v[27:28], v[43:44]
	s_waitcnt vmcnt(23) lgkmcnt(1)
	v_mul_f64 v[49:50], v[3:4], v[166:167]
	v_mul_f64 v[43:44], v[1:2], v[166:167]
	s_waitcnt vmcnt(21)
	v_fma_f64 v[47:48], v[5:6], v[79:80], -v[47:48]
	v_fma_f64 v[45:46], v[7:8], v[79:80], v[45:46]
	ds_read_b128 v[5:8], v85 offset:1488
	v_add_f64 v[25:26], v[25:26], v[51:52]
	v_add_f64 v[27:28], v[27:28], v[39:40]
	;; [unrolled: 18-line block ×3, first 2 shown]
	s_waitcnt vmcnt(9) lgkmcnt(1)
	v_mul_f64 v[39:40], v[1:2], v[41:42]
	v_mul_f64 v[41:42], v[3:4], v[41:42]
	s_waitcnt vmcnt(8)
	v_fma_f64 v[5:6], v[5:6], v[182:183], -v[47:48]
	v_fma_f64 v[7:8], v[7:8], v[182:183], v[45:46]
	v_add_f64 v[25:26], v[25:26], v[51:52]
	v_add_f64 v[27:28], v[27:28], v[31:32]
	s_waitcnt vmcnt(7) lgkmcnt(0)
	v_mul_f64 v[43:44], v[23:24], v[170:171]
	v_mul_f64 v[31:32], v[21:22], v[170:171]
	s_waitcnt vmcnt(5)
	v_fma_f64 v[1:2], v[1:2], v[37:38], -v[41:42]
	v_fma_f64 v[3:4], v[3:4], v[37:38], v[39:40]
	v_add_f64 v[5:6], v[25:26], v[5:6]
	v_add_f64 v[7:8], v[27:28], v[7:8]
	s_waitcnt vmcnt(4)
	v_fma_f64 v[21:22], v[21:22], v[187:188], -v[43:44]
	v_add_f64 v[1:2], v[5:6], v[1:2]
	v_fma_f64 v[5:6], v[23:24], v[187:188], v[31:32]
	v_add_f64 v[3:4], v[7:8], v[3:4]
	v_add_f64 v[1:2], v[1:2], v[21:22]
	v_add_f64 v[3:4], v[3:4], v[5:6]
	s_waitcnt vmcnt(2)
	v_add_f64 v[1:2], v[29:30], -v[1:2]
	s_waitcnt vmcnt(0)
	v_add_f64 v[3:4], v[53:54], -v[3:4]
	buffer_store_dword v2, off, s[0:3], 0 offset:148
	buffer_store_dword v1, off, s[0:3], 0 offset:144
	buffer_store_dword v4, off, s[0:3], 0 offset:156
	buffer_store_dword v3, off, s[0:3], 0 offset:152
	v_cmpx_lt_u32_e32 7, v0
	s_cbranch_execz .LBB47_287
; %bb.286:
	v_mov_b32_e32 v4, s53
	s_clause 0x3
	buffer_load_dword v1, v4, s[0:3], 0 offen
	buffer_load_dword v2, v4, s[0:3], 0 offen offset:4
	buffer_load_dword v3, v4, s[0:3], 0 offen offset:8
	;; [unrolled: 1-line block ×3, first 2 shown]
	buffer_store_dword v85, off, s[0:3], 0 offset:128
	buffer_store_dword v85, off, s[0:3], 0 offset:132
	;; [unrolled: 1-line block ×4, first 2 shown]
	s_waitcnt vmcnt(0)
	ds_write_b128 v165, v[1:4]
.LBB47_287:
	s_or_b32 exec_lo, exec_lo, s4
	s_waitcnt lgkmcnt(0)
	s_waitcnt_vscnt null, 0x0
	s_barrier
	buffer_gl0_inv
	s_clause 0x37
	buffer_load_dword v21, off, s[0:3], 0 offset:152
	buffer_load_dword v22, off, s[0:3], 0 offset:156
	;; [unrolled: 1-line block ×56, first 2 shown]
	ds_read_b128 v[161:164], v85 offset:896
	s_clause 0x2
	buffer_load_dword v82, off, s[0:3], 0 offset:380
	buffer_load_dword v84, off, s[0:3], 0 offset:356
	;; [unrolled: 1-line block ×3, first 2 shown]
	ds_read_b128 v[166:169], v85 offset:912
	s_clause 0x4
	buffer_load_dword v175, off, s[0:3], 0 offset:396
	buffer_load_dword v176, off, s[0:3], 0 offset:408
	;; [unrolled: 1-line block ×5, first 2 shown]
	ds_read_b128 v[170:173], v85 offset:928
	s_clause 0x2
	buffer_load_dword v177, off, s[0:3], 0 offset:412
	buffer_load_dword v182, off, s[0:3], 0 offset:388
	;; [unrolled: 1-line block ×3, first 2 shown]
	s_mov_b32 s4, exec_lo
	s_waitcnt vmcnt(62) lgkmcnt(2)
	v_mul_f64 v[86:87], v[163:164], v[21:22]
	v_mul_f64 v[21:22], v[161:162], v[21:22]
	s_waitcnt lgkmcnt(1)
	v_mul_f64 v[179:180], v[168:169], v[5:6]
	s_waitcnt vmcnt(59) lgkmcnt(0)
	v_mul_f64 v[183:184], v[172:173], v[3:4]
	v_fma_f64 v[86:87], v[161:162], v[7:8], -v[86:87]
	v_mul_f64 v[161:162], v[166:167], v[5:6]
	v_fma_f64 v[21:22], v[163:164], v[7:8], v[21:22]
	s_waitcnt vmcnt(57)
	v_fma_f64 v[166:167], v[166:167], v[1:2], -v[179:180]
	ds_read_b128 v[5:8], v85 offset:944
	v_mul_f64 v[163:164], v[170:171], v[3:4]
	s_waitcnt vmcnt(51)
	v_fma_f64 v[170:171], v[170:171], v[41:42], -v[183:184]
	v_add_f64 v[86:87], v[86:87], 0
	v_fma_f64 v[161:162], v[168:169], v[1:2], v[161:162]
	v_add_f64 v[21:22], v[21:22], 0
	s_clause 0x4
	buffer_load_dword v169, off, s[0:3], 0 offset:428
	buffer_load_dword v185, off, s[0:3], 0 offset:440
	;; [unrolled: 1-line block ×5, first 2 shown]
	s_waitcnt lgkmcnt(0)
	v_mul_f64 v[188:189], v[5:6], v[25:26]
	v_mul_f64 v[25:26], v[7:8], v[25:26]
	ds_read_b128 v[1:4], v85 offset:960
	v_fma_f64 v[41:42], v[172:173], v[41:42], v[163:164]
	v_add_f64 v[86:87], v[86:87], v[166:167]
	s_clause 0x2
	buffer_load_dword v186, off, s[0:3], 0 offset:444
	buffer_load_dword v167, off, s[0:3], 0 offset:420
	;; [unrolled: 1-line block ×3, first 2 shown]
	v_add_f64 v[21:22], v[21:22], v[161:162]
	ds_read_b128 v[161:164], v85 offset:976
	s_waitcnt vmcnt(58) lgkmcnt(1)
	v_mul_f64 v[172:173], v[1:2], v[29:30]
	v_mul_f64 v[29:30], v[3:4], v[29:30]
	s_waitcnt vmcnt(56)
	v_fma_f64 v[25:26], v[5:6], v[31:32], -v[25:26]
	v_fma_f64 v[31:32], v[7:8], v[31:32], v[188:189]
	v_add_f64 v[86:87], v[86:87], v[170:171]
	s_waitcnt vmcnt(52) lgkmcnt(0)
	v_mul_f64 v[189:190], v[161:162], v[37:38]
	v_add_f64 v[21:22], v[21:22], v[41:42]
	s_clause 0x4
	buffer_load_dword v42, off, s[0:3], 0 offset:460
	buffer_load_dword v170, off, s[0:3], 0 offset:472
	;; [unrolled: 1-line block ×5, first 2 shown]
	v_mul_f64 v[37:38], v[163:164], v[37:38]
	s_waitcnt vmcnt(56)
	v_fma_f64 v[29:30], v[1:2], v[23:24], -v[29:30]
	ds_read_b128 v[5:8], v85 offset:992
	v_fma_f64 v[23:24], v[3:4], v[23:24], v[172:173]
	v_add_f64 v[25:26], v[86:87], v[25:26]
	v_add_f64 v[21:22], v[21:22], v[31:32]
	s_clause 0x2
	buffer_load_dword v171, off, s[0:3], 0 offset:476
	buffer_load_dword v32, off, s[0:3], 0 offset:452
	;; [unrolled: 1-line block ×3, first 2 shown]
	s_waitcnt vmcnt(58) lgkmcnt(0)
	v_mul_f64 v[86:87], v[5:6], v[43:44]
	v_mul_f64 v[43:44], v[7:8], v[43:44]
	s_waitcnt vmcnt(56)
	v_fma_f64 v[37:38], v[161:162], v[45:46], -v[37:38]
	ds_read_b128 v[1:4], v85 offset:1008
	v_add_f64 v[25:26], v[25:26], v[29:30]
	v_fma_f64 v[29:30], v[163:164], v[45:46], v[189:190]
	v_add_f64 v[45:46], v[21:22], v[23:24]
	s_clause 0x4
	buffer_load_dword v162, off, s[0:3], 0 offset:492
	buffer_load_dword v163, off, s[0:3], 0 offset:504
	;; [unrolled: 1-line block ×5, first 2 shown]
	ds_read_b128 v[21:24], v85 offset:1024
	s_waitcnt vmcnt(57) lgkmcnt(1)
	v_mul_f64 v[189:190], v[1:2], v[47:48]
	v_mul_f64 v[47:48], v[3:4], v[47:48]
	s_waitcnt vmcnt(56)
	v_fma_f64 v[43:44], v[5:6], v[27:28], -v[43:44]
	v_fma_f64 v[27:28], v[7:8], v[27:28], v[86:87]
	v_add_f64 v[25:26], v[25:26], v[37:38]
	s_clause 0x2
	buffer_load_dword v164, off, s[0:3], 0 offset:508
	buffer_load_dword v38, off, s[0:3], 0 offset:484
	buffer_load_dword v37, off, s[0:3], 0 offset:480
	v_add_f64 v[29:30], v[45:46], v[29:30]
	s_waitcnt vmcnt(58) lgkmcnt(0)
	v_mul_f64 v[45:46], v[21:22], v[51:52]
	v_mul_f64 v[51:52], v[23:24], v[51:52]
	ds_read_b128 v[5:8], v85 offset:1040
	s_waitcnt vmcnt(56)
	v_fma_f64 v[47:48], v[1:2], v[53:54], -v[47:48]
	v_add_f64 v[25:26], v[25:26], v[43:44]
	v_fma_f64 v[43:44], v[3:4], v[53:54], v[189:190]
	v_add_f64 v[27:28], v[29:30], v[27:28]
	s_clause 0x4
	buffer_load_dword v30, off, s[0:3], 0 offset:524
	buffer_load_dword v53, off, s[0:3], 0 offset:536
	;; [unrolled: 1-line block ×5, first 2 shown]
	s_waitcnt vmcnt(57) lgkmcnt(0)
	v_mul_f64 v[87:88], v[5:6], v[55:56]
	v_mul_f64 v[55:56], v[7:8], v[55:56]
	s_waitcnt vmcnt(56)
	v_fma_f64 v[51:52], v[21:22], v[39:40], -v[51:52]
	ds_read_b128 v[1:4], v85 offset:1056
	v_fma_f64 v[39:40], v[23:24], v[39:40], v[45:46]
	v_add_f64 v[25:26], v[25:26], v[47:48]
	v_add_f64 v[27:28], v[27:28], v[43:44]
	s_clause 0x2
	buffer_load_dword v54, off, s[0:3], 0 offset:540
	buffer_load_dword v44, off, s[0:3], 0 offset:516
	;; [unrolled: 1-line block ×3, first 2 shown]
	ds_read_b128 v[21:24], v85 offset:1072
	s_waitcnt vmcnt(58) lgkmcnt(1)
	v_mul_f64 v[47:48], v[3:4], v[59:60]
	s_waitcnt vmcnt(56)
	v_fma_f64 v[55:56], v[5:6], v[65:66], -v[55:56]
	v_mul_f64 v[45:46], v[1:2], v[59:60]
	v_add_f64 v[25:26], v[25:26], v[51:52]
	v_fma_f64 v[51:52], v[7:8], v[65:66], v[87:88]
	v_add_f64 v[27:28], v[27:28], v[39:40]
	s_clause 0x4
	buffer_load_dword v40, off, s[0:3], 0 offset:556
	buffer_load_dword v59, off, s[0:3], 0 offset:568
	buffer_load_dword v65, off, s[0:3], 0 offset:560
	buffer_load_dword v39, off, s[0:3], 0 offset:552
	buffer_load_dword v87, off, s[0:3], 0 offset:532
	s_waitcnt vmcnt(57) lgkmcnt(0)
	v_mul_f64 v[189:190], v[21:22], v[67:68]
	v_mul_f64 v[66:67], v[23:24], v[67:68]
	s_waitcnt vmcnt(56)
	v_fma_f64 v[47:48], v[1:2], v[49:50], -v[47:48]
	ds_read_b128 v[5:8], v85 offset:1088
	v_fma_f64 v[45:46], v[3:4], v[49:50], v[45:46]
	s_clause 0x2
	buffer_load_dword v60, off, s[0:3], 0 offset:572
	buffer_load_dword v50, off, s[0:3], 0 offset:548
	;; [unrolled: 1-line block ×3, first 2 shown]
	ds_read_b128 v[1:4], v85 offset:1104
	v_add_f64 v[25:26], v[25:26], v[55:56]
	v_add_f64 v[27:28], v[27:28], v[51:52]
	s_waitcnt vmcnt(58) lgkmcnt(1)
	v_mul_f64 v[55:56], v[7:8], v[71:72]
	s_waitcnt vmcnt(56)
	v_fma_f64 v[67:68], v[21:22], v[77:78], -v[66:67]
	v_mul_f64 v[51:52], v[5:6], v[71:72]
	v_add_f64 v[25:26], v[25:26], v[47:48]
	v_fma_f64 v[47:48], v[23:24], v[77:78], v[189:190]
	v_add_f64 v[27:28], v[27:28], v[45:46]
	s_clause 0x4
	buffer_load_dword v46, off, s[0:3], 0 offset:588
	buffer_load_dword v71, off, s[0:3], 0 offset:600
	;; [unrolled: 1-line block ×5, first 2 shown]
	s_waitcnt vmcnt(57) lgkmcnt(0)
	v_mul_f64 v[189:190], v[1:2], v[79:80]
	v_mul_f64 v[78:79], v[3:4], v[79:80]
	s_waitcnt vmcnt(56)
	v_fma_f64 v[55:56], v[5:6], v[57:58], -v[55:56]
	ds_read_b128 v[21:24], v85 offset:1120
	v_fma_f64 v[51:52], v[7:8], v[57:58], v[51:52]
	v_add_f64 v[25:26], v[25:26], v[67:68]
	v_add_f64 v[27:28], v[27:28], v[47:48]
	s_clause 0x2
	buffer_load_dword v72, off, s[0:3], 0 offset:604
	buffer_load_dword v48, off, s[0:3], 0 offset:580
	;; [unrolled: 1-line block ×3, first 2 shown]
	ds_read_b128 v[5:8], v85 offset:1136
	s_waitcnt vmcnt(58) lgkmcnt(1)
	v_mul_f64 v[67:68], v[23:24], v[81:82]
	s_waitcnt vmcnt(56)
	v_fma_f64 v[79:80], v[1:2], v[83:84], -v[78:79]
	v_mul_f64 v[57:58], v[21:22], v[81:82]
	v_add_f64 v[25:26], v[25:26], v[55:56]
	v_fma_f64 v[55:56], v[3:4], v[83:84], v[189:190]
	v_add_f64 v[27:28], v[27:28], v[51:52]
	s_clause 0x4
	buffer_load_dword v52, off, s[0:3], 0 offset:620
	buffer_load_dword v81, off, s[0:3], 0 offset:632
	;; [unrolled: 1-line block ×5, first 2 shown]
	s_waitcnt vmcnt(57) lgkmcnt(0)
	v_mul_f64 v[189:190], v[5:6], v[174:175]
	v_mul_f64 v[174:175], v[7:8], v[174:175]
	s_waitcnt vmcnt(56)
	v_fma_f64 v[67:68], v[21:22], v[69:70], -v[67:68]
	ds_read_b128 v[1:4], v85 offset:1152
	v_fma_f64 v[57:58], v[23:24], v[69:70], v[57:58]
	v_add_f64 v[25:26], v[25:26], v[79:80]
	v_add_f64 v[27:28], v[27:28], v[55:56]
	s_clause 0x2
	buffer_load_dword v82, off, s[0:3], 0 offset:636
	buffer_load_dword v56, off, s[0:3], 0 offset:612
	;; [unrolled: 1-line block ×3, first 2 shown]
	ds_read_b128 v[21:24], v85 offset:1168
	s_waitcnt vmcnt(58) lgkmcnt(1)
	v_mul_f64 v[79:80], v[3:4], v[176:177]
	s_waitcnt vmcnt(56)
	v_fma_f64 v[174:175], v[5:6], v[181:182], -v[174:175]
	v_mul_f64 v[69:70], v[1:2], v[176:177]
	v_add_f64 v[25:26], v[25:26], v[67:68]
	v_fma_f64 v[67:68], v[7:8], v[181:182], v[189:190]
	v_add_f64 v[27:28], v[27:28], v[57:58]
	s_clause 0x4
	buffer_load_dword v58, off, s[0:3], 0 offset:652
	buffer_load_dword v176, off, s[0:3], 0 offset:664
	;; [unrolled: 1-line block ×5, first 2 shown]
	ds_read_b128 v[5:8], v85 offset:1184
	s_waitcnt vmcnt(57) lgkmcnt(1)
	v_mul_f64 v[181:182], v[21:22], v[168:169]
	v_mul_f64 v[168:169], v[23:24], v[168:169]
	s_waitcnt vmcnt(56)
	v_fma_f64 v[79:80], v[1:2], v[178:179], -v[79:80]
	v_fma_f64 v[69:70], v[3:4], v[178:179], v[69:70]
	v_add_f64 v[25:26], v[25:26], v[174:175]
	v_add_f64 v[27:28], v[27:28], v[67:68]
	s_clause 0x2
	buffer_load_dword v177, off, s[0:3], 0 offset:668
	buffer_load_dword v68, off, s[0:3], 0 offset:644
	buffer_load_dword v67, off, s[0:3], 0 offset:640
	ds_read_b128 v[1:4], v85 offset:1200
	s_waitcnt vmcnt(58) lgkmcnt(1)
	v_mul_f64 v[178:179], v[7:8], v[185:186]
	v_mul_f64 v[174:175], v[5:6], v[185:186]
	s_waitcnt vmcnt(56)
	v_fma_f64 v[168:169], v[21:22], v[166:167], -v[168:169]
	v_add_f64 v[25:26], v[25:26], v[79:80]
	v_fma_f64 v[79:80], v[23:24], v[166:167], v[181:182]
	v_add_f64 v[27:28], v[27:28], v[69:70]
	s_clause 0x4
	buffer_load_dword v70, off, s[0:3], 0 offset:684
	buffer_load_dword v166, off, s[0:3], 0 offset:696
	buffer_load_dword v185, off, s[0:3], 0 offset:688
	buffer_load_dword v69, off, s[0:3], 0 offset:680
	buffer_load_dword v181, off, s[0:3], 0 offset:660
	ds_read_b128 v[21:24], v85 offset:1216
	s_waitcnt vmcnt(57) lgkmcnt(1)
	v_mul_f64 v[189:190], v[1:2], v[41:42]
	v_mul_f64 v[41:42], v[3:4], v[41:42]
	s_waitcnt vmcnt(56)
	v_fma_f64 v[178:179], v[5:6], v[187:188], -v[178:179]
	v_add_f64 v[25:26], v[25:26], v[168:169]
	v_fma_f64 v[168:169], v[7:8], v[187:188], v[174:175]
	v_add_f64 v[27:28], v[27:28], v[79:80]
	s_clause 0x2
	buffer_load_dword v167, off, s[0:3], 0 offset:700
	buffer_load_dword v80, off, s[0:3], 0 offset:676
	buffer_load_dword v79, off, s[0:3], 0 offset:672
	ds_read_b128 v[5:8], v85 offset:1232
	s_waitcnt vmcnt(58) lgkmcnt(1)
	v_mul_f64 v[174:175], v[21:22], v[170:171]
	v_mul_f64 v[170:171], v[23:24], v[170:171]
	s_waitcnt vmcnt(56)
	v_fma_f64 v[41:42], v[1:2], v[31:32], -v[41:42]
	v_fma_f64 v[31:32], v[3:4], v[31:32], v[189:190]
	v_add_f64 v[25:26], v[25:26], v[178:179]
	v_add_f64 v[27:28], v[27:28], v[168:169]
	s_clause 0x4
	buffer_load_dword v169, off, s[0:3], 0 offset:716
	buffer_load_dword v178, off, s[0:3], 0 offset:728
	buffer_load_dword v182, off, s[0:3], 0 offset:720
	buffer_load_dword v168, off, s[0:3], 0 offset:712
	buffer_load_dword v186, off, s[0:3], 0 offset:692
	ds_read_b128 v[1:4], v85 offset:1248
	s_waitcnt vmcnt(57) lgkmcnt(1)
	v_mul_f64 v[187:188], v[5:6], v[161:162]
	v_mul_f64 v[161:162], v[7:8], v[161:162]
	s_waitcnt vmcnt(56)
	v_fma_f64 v[170:171], v[21:22], v[183:184], -v[170:171]
	v_add_f64 v[25:26], v[25:26], v[41:42]
	v_fma_f64 v[41:42], v[23:24], v[183:184], v[174:175]
	v_add_f64 v[27:28], v[27:28], v[31:32]
	s_clause 0x2
	buffer_load_dword v179, off, s[0:3], 0 offset:732
	buffer_load_dword v32, off, s[0:3], 0 offset:708
	buffer_load_dword v31, off, s[0:3], 0 offset:704
	ds_read_b128 v[21:24], v85 offset:1264
	s_waitcnt vmcnt(58) lgkmcnt(1)
	v_mul_f64 v[174:175], v[1:2], v[163:164]
	v_mul_f64 v[163:164], v[3:4], v[163:164]
	s_waitcnt vmcnt(56)
	v_fma_f64 v[161:162], v[5:6], v[37:38], -v[161:162]
	v_fma_f64 v[37:38], v[7:8], v[37:38], v[187:188]
	v_add_f64 v[25:26], v[25:26], v[170:171]
	;; [unrolled: 28-line block ×3, first 2 shown]
	v_add_f64 v[27:28], v[27:28], v[161:162]
	s_clause 0x2
	buffer_load_dword v162, off, s[0:3], 0 offset:780
	buffer_load_dword v161, off, s[0:3], 0 offset:776
	;; [unrolled: 1-line block ×3, first 2 shown]
	ds_read_b128 v[21:24], v85 offset:1312
	s_waitcnt vmcnt(55) lgkmcnt(1)
	v_mul_f64 v[163:164], v[1:2], v[39:40]
	v_mul_f64 v[39:40], v[3:4], v[39:40]
	s_waitcnt vmcnt(54)
	v_fma_f64 v[53:54], v[5:6], v[86:87], -v[53:54]
	v_add_f64 v[25:26], v[25:26], v[29:30]
	v_fma_f64 v[29:30], v[7:8], v[86:87], v[172:173]
	v_add_f64 v[27:28], v[27:28], v[43:44]
	s_clause 0x1
	buffer_load_dword v44, off, s[0:3], 0 offset:772
	buffer_load_dword v43, off, s[0:3], 0 offset:768
	s_waitcnt vmcnt(55) lgkmcnt(0)
	v_mul_f64 v[86:87], v[21:22], v[59:60]
	v_mul_f64 v[59:60], v[23:24], v[59:60]
	ds_read_b128 v[5:8], v85 offset:1328
	s_waitcnt vmcnt(53)
	v_fma_f64 v[39:40], v[1:2], v[49:50], -v[39:40]
	v_fma_f64 v[49:50], v[3:4], v[49:50], v[163:164]
	ds_read_b128 v[1:4], v85 offset:1344
	v_add_f64 v[25:26], v[25:26], v[53:54]
	v_add_f64 v[27:28], v[27:28], v[29:30]
	s_waitcnt vmcnt(49) lgkmcnt(1)
	v_mul_f64 v[29:30], v[5:6], v[45:46]
	v_mul_f64 v[45:46], v[7:8], v[45:46]
	s_waitcnt vmcnt(48)
	v_fma_f64 v[53:54], v[21:22], v[65:66], -v[59:60]
	v_add_f64 v[25:26], v[25:26], v[39:40]
	v_fma_f64 v[39:40], v[23:24], v[65:66], v[86:87]
	v_add_f64 v[27:28], v[27:28], v[49:50]
	s_clause 0x3
	buffer_load_dword v49, off, s[0:3], 0 offset:128
	buffer_load_dword v50, off, s[0:3], 0 offset:132
	;; [unrolled: 1-line block ×4, first 2 shown]
	ds_read_b128 v[21:24], v85 offset:1360
	s_waitcnt vmcnt(51) lgkmcnt(1)
	v_mul_f64 v[65:66], v[1:2], v[71:72]
	v_mul_f64 v[71:72], v[3:4], v[71:72]
	s_waitcnt vmcnt(49)
	v_fma_f64 v[45:46], v[5:6], v[47:48], -v[45:46]
	v_fma_f64 v[29:30], v[7:8], v[47:48], v[29:30]
	ds_read_b128 v[5:8], v85 offset:1376
	v_add_f64 v[25:26], v[25:26], v[53:54]
	v_add_f64 v[27:28], v[27:28], v[39:40]
	s_waitcnt vmcnt(45) lgkmcnt(1)
	v_mul_f64 v[39:40], v[21:22], v[51:52]
	v_mul_f64 v[47:48], v[23:24], v[51:52]
	s_waitcnt vmcnt(44)
	v_fma_f64 v[51:52], v[1:2], v[77:78], -v[71:72]
	v_add_f64 v[25:26], v[25:26], v[45:46]
	v_fma_f64 v[45:46], v[3:4], v[77:78], v[65:66]
	v_add_f64 v[27:28], v[27:28], v[29:30]
	ds_read_b128 v[1:4], v85 offset:1392
	s_waitcnt vmcnt(43) lgkmcnt(1)
	v_mul_f64 v[53:54], v[7:8], v[81:82]
	v_mul_f64 v[29:30], v[5:6], v[81:82]
	s_waitcnt vmcnt(41)
	v_fma_f64 v[47:48], v[21:22], v[55:56], -v[47:48]
	v_fma_f64 v[39:40], v[23:24], v[55:56], v[39:40]
	ds_read_b128 v[21:24], v85 offset:1408
	v_add_f64 v[25:26], v[25:26], v[51:52]
	v_add_f64 v[27:28], v[27:28], v[45:46]
	s_waitcnt vmcnt(37) lgkmcnt(1)
	v_mul_f64 v[51:52], v[3:4], v[57:58]
	s_waitcnt vmcnt(36)
	v_fma_f64 v[53:54], v[5:6], v[83:84], -v[53:54]
	v_mul_f64 v[45:46], v[1:2], v[57:58]
	v_fma_f64 v[29:30], v[7:8], v[83:84], v[29:30]
	ds_read_b128 v[5:8], v85 offset:1424
	v_add_f64 v[25:26], v[25:26], v[47:48]
	v_add_f64 v[27:28], v[27:28], v[39:40]
	s_waitcnt vmcnt(35) lgkmcnt(1)
	v_mul_f64 v[47:48], v[23:24], v[176:177]
	v_mul_f64 v[39:40], v[21:22], v[176:177]
	s_waitcnt vmcnt(33)
	v_fma_f64 v[51:52], v[1:2], v[67:68], -v[51:52]
	v_fma_f64 v[45:46], v[3:4], v[67:68], v[45:46]
	ds_read_b128 v[1:4], v85 offset:1440
	v_add_f64 v[25:26], v[25:26], v[53:54]
	v_add_f64 v[27:28], v[27:28], v[29:30]
	s_waitcnt vmcnt(29) lgkmcnt(1)
	v_mul_f64 v[53:54], v[7:8], v[69:70]
	s_waitcnt vmcnt(28)
	v_fma_f64 v[47:48], v[21:22], v[180:181], -v[47:48]
	v_mul_f64 v[29:30], v[5:6], v[69:70]
	v_fma_f64 v[39:40], v[23:24], v[180:181], v[39:40]
	ds_read_b128 v[21:24], v85 offset:1456
	v_add_f64 v[25:26], v[25:26], v[51:52]
	v_add_f64 v[27:28], v[27:28], v[45:46]
	;; [unrolled: 18-line block ×3, first 2 shown]
	s_waitcnt vmcnt(19) lgkmcnt(1)
	v_mul_f64 v[53:54], v[7:8], v[178:179]
	v_mul_f64 v[29:30], v[5:6], v[178:179]
	s_waitcnt vmcnt(17)
	v_fma_f64 v[47:48], v[21:22], v[31:32], -v[47:48]
	v_fma_f64 v[31:32], v[23:24], v[31:32], v[39:40]
	ds_read_b128 v[21:24], v85 offset:1504
	v_add_f64 v[25:26], v[25:26], v[51:52]
	v_add_f64 v[27:28], v[27:28], v[45:46]
	s_waitcnt vmcnt(13) lgkmcnt(1)
	v_mul_f64 v[39:40], v[1:2], v[41:42]
	v_mul_f64 v[41:42], v[3:4], v[41:42]
	s_waitcnt vmcnt(12)
	v_fma_f64 v[45:46], v[5:6], v[182:183], -v[53:54]
	v_fma_f64 v[29:30], v[7:8], v[182:183], v[29:30]
	ds_read_b128 v[5:8], v85 offset:1520
	v_add_f64 v[25:26], v[25:26], v[47:48]
	v_add_f64 v[27:28], v[27:28], v[31:32]
	s_waitcnt vmcnt(11) lgkmcnt(1)
	v_mul_f64 v[47:48], v[23:24], v[170:171]
	v_mul_f64 v[31:32], v[21:22], v[170:171]
	s_waitcnt vmcnt(9)
	v_fma_f64 v[1:2], v[1:2], v[37:38], -v[41:42]
	v_fma_f64 v[3:4], v[3:4], v[37:38], v[39:40]
	v_add_f64 v[25:26], v[25:26], v[45:46]
	v_add_f64 v[27:28], v[27:28], v[29:30]
	s_waitcnt vmcnt(7) lgkmcnt(0)
	v_mul_f64 v[37:38], v[7:8], v[161:162]
	s_waitcnt vmcnt(6)
	v_fma_f64 v[21:22], v[21:22], v[187:188], -v[47:48]
	v_mul_f64 v[29:30], v[5:6], v[161:162]
	v_fma_f64 v[23:24], v[23:24], v[187:188], v[31:32]
	v_add_f64 v[1:2], v[25:26], v[1:2]
	v_add_f64 v[3:4], v[27:28], v[3:4]
	s_waitcnt vmcnt(4)
	v_fma_f64 v[5:6], v[5:6], v[43:44], -v[37:38]
	v_fma_f64 v[7:8], v[7:8], v[43:44], v[29:30]
	v_add_f64 v[1:2], v[1:2], v[21:22]
	v_add_f64 v[3:4], v[3:4], v[23:24]
	;; [unrolled: 1-line block ×4, first 2 shown]
	s_waitcnt vmcnt(2)
	v_add_f64 v[1:2], v[49:50], -v[1:2]
	s_waitcnt vmcnt(0)
	v_add_f64 v[3:4], v[59:60], -v[3:4]
	buffer_store_dword v2, off, s[0:3], 0 offset:132
	buffer_store_dword v1, off, s[0:3], 0 offset:128
	;; [unrolled: 1-line block ×4, first 2 shown]
	v_cmpx_lt_u32_e32 6, v0
	s_cbranch_execz .LBB47_289
; %bb.288:
	v_mov_b32_e32 v4, s54
	v_mov_b32_e32 v5, 0
	s_clause 0x3
	buffer_load_dword v1, v4, s[0:3], 0 offen
	buffer_load_dword v2, v4, s[0:3], 0 offen offset:4
	buffer_load_dword v3, v4, s[0:3], 0 offen offset:8
	;; [unrolled: 1-line block ×3, first 2 shown]
	buffer_store_dword v5, off, s[0:3], 0 offset:112
	buffer_store_dword v5, off, s[0:3], 0 offset:116
	;; [unrolled: 1-line block ×4, first 2 shown]
	s_waitcnt vmcnt(0)
	ds_write_b128 v165, v[1:4]
.LBB47_289:
	s_or_b32 exec_lo, exec_lo, s4
	s_waitcnt lgkmcnt(0)
	s_waitcnt_vscnt null, 0x0
	s_barrier
	buffer_gl0_inv
	s_clause 0x37
	buffer_load_dword v21, off, s[0:3], 0 offset:136
	buffer_load_dword v22, off, s[0:3], 0 offset:140
	;; [unrolled: 1-line block ×56, first 2 shown]
	v_mov_b32_e32 v85, 0
	s_mov_b32 s4, exec_lo
	ds_read_b128 v[161:164], v85 offset:880
	s_clause 0x2
	buffer_load_dword v82, off, s[0:3], 0 offset:364
	buffer_load_dword v84, off, s[0:3], 0 offset:340
	;; [unrolled: 1-line block ×3, first 2 shown]
	ds_read_b128 v[166:169], v85 offset:896
	s_clause 0x4
	buffer_load_dword v175, off, s[0:3], 0 offset:380
	buffer_load_dword v176, off, s[0:3], 0 offset:392
	;; [unrolled: 1-line block ×5, first 2 shown]
	ds_read_b128 v[170:173], v85 offset:912
	s_clause 0x2
	buffer_load_dword v177, off, s[0:3], 0 offset:396
	buffer_load_dword v182, off, s[0:3], 0 offset:372
	;; [unrolled: 1-line block ×3, first 2 shown]
	s_waitcnt vmcnt(62) lgkmcnt(2)
	v_mul_f64 v[86:87], v[163:164], v[21:22]
	v_mul_f64 v[21:22], v[161:162], v[21:22]
	s_waitcnt lgkmcnt(1)
	v_mul_f64 v[179:180], v[168:169], v[5:6]
	s_waitcnt vmcnt(59) lgkmcnt(0)
	v_mul_f64 v[183:184], v[172:173], v[3:4]
	v_fma_f64 v[86:87], v[161:162], v[7:8], -v[86:87]
	v_mul_f64 v[161:162], v[166:167], v[5:6]
	v_fma_f64 v[21:22], v[163:164], v[7:8], v[21:22]
	s_waitcnt vmcnt(57)
	v_fma_f64 v[166:167], v[166:167], v[1:2], -v[179:180]
	ds_read_b128 v[5:8], v85 offset:928
	v_mul_f64 v[163:164], v[170:171], v[3:4]
	s_waitcnt vmcnt(51)
	v_fma_f64 v[170:171], v[170:171], v[41:42], -v[183:184]
	v_add_f64 v[86:87], v[86:87], 0
	v_fma_f64 v[161:162], v[168:169], v[1:2], v[161:162]
	v_add_f64 v[21:22], v[21:22], 0
	s_clause 0x4
	buffer_load_dword v169, off, s[0:3], 0 offset:412
	buffer_load_dword v185, off, s[0:3], 0 offset:424
	;; [unrolled: 1-line block ×5, first 2 shown]
	s_waitcnt lgkmcnt(0)
	v_mul_f64 v[188:189], v[5:6], v[25:26]
	v_mul_f64 v[25:26], v[7:8], v[25:26]
	ds_read_b128 v[1:4], v85 offset:944
	v_fma_f64 v[41:42], v[172:173], v[41:42], v[163:164]
	v_add_f64 v[86:87], v[86:87], v[166:167]
	s_clause 0x2
	buffer_load_dword v186, off, s[0:3], 0 offset:428
	buffer_load_dword v167, off, s[0:3], 0 offset:404
	;; [unrolled: 1-line block ×3, first 2 shown]
	v_add_f64 v[21:22], v[21:22], v[161:162]
	ds_read_b128 v[161:164], v85 offset:960
	s_waitcnt vmcnt(58) lgkmcnt(1)
	v_mul_f64 v[172:173], v[1:2], v[29:30]
	v_mul_f64 v[29:30], v[3:4], v[29:30]
	s_waitcnt vmcnt(56)
	v_fma_f64 v[25:26], v[5:6], v[31:32], -v[25:26]
	v_fma_f64 v[31:32], v[7:8], v[31:32], v[188:189]
	v_add_f64 v[86:87], v[86:87], v[170:171]
	s_waitcnt vmcnt(52) lgkmcnt(0)
	v_mul_f64 v[189:190], v[161:162], v[37:38]
	v_add_f64 v[21:22], v[21:22], v[41:42]
	s_clause 0x4
	buffer_load_dword v42, off, s[0:3], 0 offset:444
	buffer_load_dword v170, off, s[0:3], 0 offset:456
	;; [unrolled: 1-line block ×5, first 2 shown]
	v_mul_f64 v[37:38], v[163:164], v[37:38]
	s_waitcnt vmcnt(56)
	v_fma_f64 v[29:30], v[1:2], v[23:24], -v[29:30]
	ds_read_b128 v[5:8], v85 offset:976
	v_fma_f64 v[23:24], v[3:4], v[23:24], v[172:173]
	v_add_f64 v[25:26], v[86:87], v[25:26]
	v_add_f64 v[21:22], v[21:22], v[31:32]
	s_clause 0x2
	buffer_load_dword v171, off, s[0:3], 0 offset:460
	buffer_load_dword v32, off, s[0:3], 0 offset:436
	;; [unrolled: 1-line block ×3, first 2 shown]
	s_waitcnt vmcnt(58) lgkmcnt(0)
	v_mul_f64 v[86:87], v[5:6], v[43:44]
	v_mul_f64 v[43:44], v[7:8], v[43:44]
	s_waitcnt vmcnt(56)
	v_fma_f64 v[37:38], v[161:162], v[45:46], -v[37:38]
	ds_read_b128 v[1:4], v85 offset:992
	v_add_f64 v[25:26], v[25:26], v[29:30]
	v_fma_f64 v[29:30], v[163:164], v[45:46], v[189:190]
	v_add_f64 v[45:46], v[21:22], v[23:24]
	s_clause 0x4
	buffer_load_dword v162, off, s[0:3], 0 offset:476
	buffer_load_dword v163, off, s[0:3], 0 offset:488
	;; [unrolled: 1-line block ×5, first 2 shown]
	ds_read_b128 v[21:24], v85 offset:1008
	s_waitcnt vmcnt(57) lgkmcnt(1)
	v_mul_f64 v[189:190], v[1:2], v[47:48]
	v_mul_f64 v[47:48], v[3:4], v[47:48]
	s_waitcnt vmcnt(56)
	v_fma_f64 v[43:44], v[5:6], v[27:28], -v[43:44]
	v_fma_f64 v[27:28], v[7:8], v[27:28], v[86:87]
	v_add_f64 v[25:26], v[25:26], v[37:38]
	s_clause 0x2
	buffer_load_dword v164, off, s[0:3], 0 offset:492
	buffer_load_dword v38, off, s[0:3], 0 offset:468
	;; [unrolled: 1-line block ×3, first 2 shown]
	v_add_f64 v[29:30], v[45:46], v[29:30]
	s_waitcnt vmcnt(58) lgkmcnt(0)
	v_mul_f64 v[45:46], v[21:22], v[51:52]
	v_mul_f64 v[51:52], v[23:24], v[51:52]
	ds_read_b128 v[5:8], v85 offset:1024
	s_waitcnt vmcnt(56)
	v_fma_f64 v[47:48], v[1:2], v[53:54], -v[47:48]
	v_add_f64 v[25:26], v[25:26], v[43:44]
	v_fma_f64 v[43:44], v[3:4], v[53:54], v[189:190]
	v_add_f64 v[27:28], v[29:30], v[27:28]
	s_clause 0x4
	buffer_load_dword v30, off, s[0:3], 0 offset:508
	buffer_load_dword v53, off, s[0:3], 0 offset:520
	;; [unrolled: 1-line block ×5, first 2 shown]
	s_waitcnt vmcnt(57) lgkmcnt(0)
	v_mul_f64 v[87:88], v[5:6], v[55:56]
	v_mul_f64 v[55:56], v[7:8], v[55:56]
	s_waitcnt vmcnt(56)
	v_fma_f64 v[51:52], v[21:22], v[39:40], -v[51:52]
	ds_read_b128 v[1:4], v85 offset:1040
	v_fma_f64 v[39:40], v[23:24], v[39:40], v[45:46]
	v_add_f64 v[25:26], v[25:26], v[47:48]
	v_add_f64 v[27:28], v[27:28], v[43:44]
	s_clause 0x2
	buffer_load_dword v54, off, s[0:3], 0 offset:524
	buffer_load_dword v44, off, s[0:3], 0 offset:500
	;; [unrolled: 1-line block ×3, first 2 shown]
	ds_read_b128 v[21:24], v85 offset:1056
	s_waitcnt vmcnt(58) lgkmcnt(1)
	v_mul_f64 v[47:48], v[3:4], v[59:60]
	s_waitcnt vmcnt(56)
	v_fma_f64 v[55:56], v[5:6], v[65:66], -v[55:56]
	v_mul_f64 v[45:46], v[1:2], v[59:60]
	v_add_f64 v[25:26], v[25:26], v[51:52]
	v_fma_f64 v[51:52], v[7:8], v[65:66], v[87:88]
	v_add_f64 v[27:28], v[27:28], v[39:40]
	s_clause 0x4
	buffer_load_dword v40, off, s[0:3], 0 offset:540
	buffer_load_dword v59, off, s[0:3], 0 offset:552
	;; [unrolled: 1-line block ×5, first 2 shown]
	s_waitcnt vmcnt(57) lgkmcnt(0)
	v_mul_f64 v[189:190], v[21:22], v[67:68]
	v_mul_f64 v[66:67], v[23:24], v[67:68]
	s_waitcnt vmcnt(56)
	v_fma_f64 v[47:48], v[1:2], v[49:50], -v[47:48]
	ds_read_b128 v[5:8], v85 offset:1072
	v_fma_f64 v[45:46], v[3:4], v[49:50], v[45:46]
	s_clause 0x2
	buffer_load_dword v60, off, s[0:3], 0 offset:556
	buffer_load_dword v50, off, s[0:3], 0 offset:532
	;; [unrolled: 1-line block ×3, first 2 shown]
	ds_read_b128 v[1:4], v85 offset:1088
	v_add_f64 v[25:26], v[25:26], v[55:56]
	v_add_f64 v[27:28], v[27:28], v[51:52]
	s_waitcnt vmcnt(58) lgkmcnt(1)
	v_mul_f64 v[55:56], v[7:8], v[71:72]
	s_waitcnt vmcnt(56)
	v_fma_f64 v[67:68], v[21:22], v[77:78], -v[66:67]
	v_mul_f64 v[51:52], v[5:6], v[71:72]
	v_add_f64 v[25:26], v[25:26], v[47:48]
	v_fma_f64 v[47:48], v[23:24], v[77:78], v[189:190]
	v_add_f64 v[27:28], v[27:28], v[45:46]
	s_clause 0x4
	buffer_load_dword v46, off, s[0:3], 0 offset:572
	buffer_load_dword v71, off, s[0:3], 0 offset:584
	buffer_load_dword v77, off, s[0:3], 0 offset:576
	buffer_load_dword v45, off, s[0:3], 0 offset:568
	buffer_load_dword v66, off, s[0:3], 0 offset:548
	s_waitcnt vmcnt(57) lgkmcnt(0)
	v_mul_f64 v[189:190], v[1:2], v[79:80]
	v_mul_f64 v[78:79], v[3:4], v[79:80]
	s_waitcnt vmcnt(56)
	v_fma_f64 v[55:56], v[5:6], v[57:58], -v[55:56]
	ds_read_b128 v[21:24], v85 offset:1104
	v_fma_f64 v[51:52], v[7:8], v[57:58], v[51:52]
	v_add_f64 v[25:26], v[25:26], v[67:68]
	v_add_f64 v[27:28], v[27:28], v[47:48]
	s_clause 0x2
	buffer_load_dword v72, off, s[0:3], 0 offset:588
	buffer_load_dword v48, off, s[0:3], 0 offset:564
	;; [unrolled: 1-line block ×3, first 2 shown]
	ds_read_b128 v[5:8], v85 offset:1120
	s_waitcnt vmcnt(58) lgkmcnt(1)
	v_mul_f64 v[67:68], v[23:24], v[81:82]
	s_waitcnt vmcnt(56)
	v_fma_f64 v[79:80], v[1:2], v[83:84], -v[78:79]
	v_mul_f64 v[57:58], v[21:22], v[81:82]
	v_add_f64 v[25:26], v[25:26], v[55:56]
	v_fma_f64 v[55:56], v[3:4], v[83:84], v[189:190]
	v_add_f64 v[27:28], v[27:28], v[51:52]
	s_clause 0x4
	buffer_load_dword v52, off, s[0:3], 0 offset:604
	buffer_load_dword v81, off, s[0:3], 0 offset:616
	;; [unrolled: 1-line block ×5, first 2 shown]
	s_waitcnt vmcnt(57) lgkmcnt(0)
	v_mul_f64 v[189:190], v[5:6], v[174:175]
	v_mul_f64 v[174:175], v[7:8], v[174:175]
	s_waitcnt vmcnt(56)
	v_fma_f64 v[67:68], v[21:22], v[69:70], -v[67:68]
	ds_read_b128 v[1:4], v85 offset:1136
	v_fma_f64 v[57:58], v[23:24], v[69:70], v[57:58]
	v_add_f64 v[25:26], v[25:26], v[79:80]
	v_add_f64 v[27:28], v[27:28], v[55:56]
	s_clause 0x2
	buffer_load_dword v82, off, s[0:3], 0 offset:620
	buffer_load_dword v56, off, s[0:3], 0 offset:596
	;; [unrolled: 1-line block ×3, first 2 shown]
	ds_read_b128 v[21:24], v85 offset:1152
	s_waitcnt vmcnt(58) lgkmcnt(1)
	v_mul_f64 v[79:80], v[3:4], v[176:177]
	s_waitcnt vmcnt(56)
	v_fma_f64 v[174:175], v[5:6], v[181:182], -v[174:175]
	v_mul_f64 v[69:70], v[1:2], v[176:177]
	v_add_f64 v[25:26], v[25:26], v[67:68]
	v_fma_f64 v[67:68], v[7:8], v[181:182], v[189:190]
	v_add_f64 v[27:28], v[27:28], v[57:58]
	s_clause 0x4
	buffer_load_dword v58, off, s[0:3], 0 offset:636
	buffer_load_dword v176, off, s[0:3], 0 offset:648
	;; [unrolled: 1-line block ×5, first 2 shown]
	ds_read_b128 v[5:8], v85 offset:1168
	s_waitcnt vmcnt(57) lgkmcnt(1)
	v_mul_f64 v[181:182], v[21:22], v[168:169]
	v_mul_f64 v[168:169], v[23:24], v[168:169]
	s_waitcnt vmcnt(56)
	v_fma_f64 v[79:80], v[1:2], v[178:179], -v[79:80]
	v_fma_f64 v[69:70], v[3:4], v[178:179], v[69:70]
	v_add_f64 v[25:26], v[25:26], v[174:175]
	v_add_f64 v[27:28], v[27:28], v[67:68]
	s_clause 0x2
	buffer_load_dword v177, off, s[0:3], 0 offset:652
	buffer_load_dword v68, off, s[0:3], 0 offset:628
	;; [unrolled: 1-line block ×3, first 2 shown]
	ds_read_b128 v[1:4], v85 offset:1184
	s_waitcnt vmcnt(58) lgkmcnt(1)
	v_mul_f64 v[178:179], v[7:8], v[185:186]
	v_mul_f64 v[174:175], v[5:6], v[185:186]
	s_waitcnt vmcnt(56)
	v_fma_f64 v[168:169], v[21:22], v[166:167], -v[168:169]
	v_add_f64 v[25:26], v[25:26], v[79:80]
	v_fma_f64 v[79:80], v[23:24], v[166:167], v[181:182]
	v_add_f64 v[27:28], v[27:28], v[69:70]
	s_clause 0x4
	buffer_load_dword v70, off, s[0:3], 0 offset:668
	buffer_load_dword v166, off, s[0:3], 0 offset:680
	buffer_load_dword v185, off, s[0:3], 0 offset:672
	buffer_load_dword v69, off, s[0:3], 0 offset:664
	buffer_load_dword v181, off, s[0:3], 0 offset:644
	ds_read_b128 v[21:24], v85 offset:1200
	s_waitcnt vmcnt(57) lgkmcnt(1)
	v_mul_f64 v[189:190], v[1:2], v[41:42]
	v_mul_f64 v[41:42], v[3:4], v[41:42]
	s_waitcnt vmcnt(56)
	v_fma_f64 v[178:179], v[5:6], v[187:188], -v[178:179]
	v_add_f64 v[25:26], v[25:26], v[168:169]
	v_fma_f64 v[168:169], v[7:8], v[187:188], v[174:175]
	v_add_f64 v[27:28], v[27:28], v[79:80]
	s_clause 0x2
	buffer_load_dword v167, off, s[0:3], 0 offset:684
	buffer_load_dword v80, off, s[0:3], 0 offset:660
	buffer_load_dword v79, off, s[0:3], 0 offset:656
	ds_read_b128 v[5:8], v85 offset:1216
	s_waitcnt vmcnt(58) lgkmcnt(1)
	v_mul_f64 v[174:175], v[21:22], v[170:171]
	v_mul_f64 v[170:171], v[23:24], v[170:171]
	s_waitcnt vmcnt(56)
	v_fma_f64 v[41:42], v[1:2], v[31:32], -v[41:42]
	v_fma_f64 v[31:32], v[3:4], v[31:32], v[189:190]
	v_add_f64 v[25:26], v[25:26], v[178:179]
	v_add_f64 v[27:28], v[27:28], v[168:169]
	s_clause 0x4
	buffer_load_dword v169, off, s[0:3], 0 offset:700
	buffer_load_dword v178, off, s[0:3], 0 offset:712
	buffer_load_dword v182, off, s[0:3], 0 offset:704
	buffer_load_dword v168, off, s[0:3], 0 offset:696
	buffer_load_dword v186, off, s[0:3], 0 offset:676
	ds_read_b128 v[1:4], v85 offset:1232
	s_waitcnt vmcnt(57) lgkmcnt(1)
	v_mul_f64 v[187:188], v[5:6], v[161:162]
	v_mul_f64 v[161:162], v[7:8], v[161:162]
	s_waitcnt vmcnt(56)
	v_fma_f64 v[170:171], v[21:22], v[183:184], -v[170:171]
	v_add_f64 v[25:26], v[25:26], v[41:42]
	v_fma_f64 v[41:42], v[23:24], v[183:184], v[174:175]
	v_add_f64 v[27:28], v[27:28], v[31:32]
	s_clause 0x2
	buffer_load_dword v179, off, s[0:3], 0 offset:716
	buffer_load_dword v32, off, s[0:3], 0 offset:692
	buffer_load_dword v31, off, s[0:3], 0 offset:688
	ds_read_b128 v[21:24], v85 offset:1248
	s_waitcnt vmcnt(58) lgkmcnt(1)
	v_mul_f64 v[174:175], v[1:2], v[163:164]
	v_mul_f64 v[163:164], v[3:4], v[163:164]
	s_waitcnt vmcnt(56)
	v_fma_f64 v[161:162], v[5:6], v[37:38], -v[161:162]
	v_fma_f64 v[37:38], v[7:8], v[37:38], v[187:188]
	v_add_f64 v[25:26], v[25:26], v[170:171]
	;; [unrolled: 28-line block ×3, first 2 shown]
	v_add_f64 v[27:28], v[27:28], v[161:162]
	s_clause 0x4
	buffer_load_dword v162, off, s[0:3], 0 offset:764
	buffer_load_dword v163, off, s[0:3], 0 offset:776
	;; [unrolled: 1-line block ×5, first 2 shown]
	ds_read_b128 v[21:24], v85 offset:1296
	s_waitcnt vmcnt(57) lgkmcnt(1)
	v_mul_f64 v[189:190], v[1:2], v[39:40]
	v_mul_f64 v[39:40], v[3:4], v[39:40]
	s_waitcnt vmcnt(56)
	v_fma_f64 v[53:54], v[5:6], v[86:87], -v[53:54]
	v_add_f64 v[25:26], v[25:26], v[29:30]
	v_fma_f64 v[29:30], v[7:8], v[86:87], v[172:173]
	v_add_f64 v[27:28], v[27:28], v[43:44]
	s_clause 0x2
	buffer_load_dword v164, off, s[0:3], 0 offset:780
	buffer_load_dword v44, off, s[0:3], 0 offset:756
	;; [unrolled: 1-line block ×3, first 2 shown]
	s_waitcnt vmcnt(58) lgkmcnt(0)
	v_mul_f64 v[86:87], v[21:22], v[59:60]
	v_mul_f64 v[59:60], v[23:24], v[59:60]
	ds_read_b128 v[5:8], v85 offset:1312
	buffer_load_dword v175, off, s[0:3], 0 offset:772
	s_waitcnt vmcnt(57)
	v_fma_f64 v[39:40], v[1:2], v[49:50], -v[39:40]
	v_fma_f64 v[49:50], v[3:4], v[49:50], v[189:190]
	ds_read_b128 v[1:4], v85 offset:1328
	v_add_f64 v[25:26], v[25:26], v[53:54]
	v_add_f64 v[27:28], v[27:28], v[29:30]
	s_waitcnt vmcnt(53) lgkmcnt(1)
	v_mul_f64 v[29:30], v[5:6], v[45:46]
	v_mul_f64 v[45:46], v[7:8], v[45:46]
	s_waitcnt vmcnt(52)
	v_fma_f64 v[53:54], v[21:22], v[65:66], -v[59:60]
	v_add_f64 v[25:26], v[25:26], v[39:40]
	v_fma_f64 v[39:40], v[23:24], v[65:66], v[86:87]
	v_add_f64 v[27:28], v[27:28], v[49:50]
	ds_read_b128 v[21:24], v85 offset:1344
	s_waitcnt vmcnt(51) lgkmcnt(1)
	v_mul_f64 v[59:60], v[3:4], v[71:72]
	v_mul_f64 v[49:50], v[1:2], v[71:72]
	s_waitcnt vmcnt(49)
	v_fma_f64 v[45:46], v[5:6], v[47:48], -v[45:46]
	v_fma_f64 v[29:30], v[7:8], v[47:48], v[29:30]
	v_add_f64 v[25:26], v[25:26], v[53:54]
	v_add_f64 v[27:28], v[27:28], v[39:40]
	s_clause 0x3
	buffer_load_dword v39, off, s[0:3], 0 offset:112
	buffer_load_dword v40, off, s[0:3], 0 offset:116
	;; [unrolled: 1-line block ×4, first 2 shown]
	ds_read_b128 v[5:8], v85 offset:1360
	s_waitcnt vmcnt(49) lgkmcnt(1)
	v_mul_f64 v[53:54], v[21:22], v[51:52]
	v_mul_f64 v[51:52], v[23:24], v[51:52]
	s_waitcnt vmcnt(48)
	v_fma_f64 v[59:60], v[1:2], v[77:78], -v[59:60]
	v_add_f64 v[25:26], v[25:26], v[45:46]
	v_fma_f64 v[45:46], v[3:4], v[77:78], v[49:50]
	v_add_f64 v[27:28], v[27:28], v[29:30]
	ds_read_b128 v[1:4], v85 offset:1376
	s_waitcnt vmcnt(47) lgkmcnt(1)
	v_mul_f64 v[49:50], v[7:8], v[81:82]
	v_mul_f64 v[29:30], v[5:6], v[81:82]
	s_waitcnt vmcnt(45)
	v_fma_f64 v[51:52], v[21:22], v[55:56], -v[51:52]
	v_fma_f64 v[53:54], v[23:24], v[55:56], v[53:54]
	ds_read_b128 v[21:24], v85 offset:1392
	v_add_f64 v[25:26], v[25:26], v[59:60]
	v_add_f64 v[27:28], v[27:28], v[45:46]
	s_waitcnt vmcnt(41) lgkmcnt(1)
	v_mul_f64 v[55:56], v[3:4], v[57:58]
	s_waitcnt vmcnt(40)
	v_fma_f64 v[49:50], v[5:6], v[83:84], -v[49:50]
	v_mul_f64 v[45:46], v[1:2], v[57:58]
	v_fma_f64 v[29:30], v[7:8], v[83:84], v[29:30]
	ds_read_b128 v[5:8], v85 offset:1408
	v_add_f64 v[25:26], v[25:26], v[51:52]
	v_add_f64 v[27:28], v[27:28], v[53:54]
	s_waitcnt vmcnt(39) lgkmcnt(1)
	v_mul_f64 v[53:54], v[23:24], v[176:177]
	v_mul_f64 v[51:52], v[21:22], v[176:177]
	s_waitcnt vmcnt(37)
	v_fma_f64 v[55:56], v[1:2], v[67:68], -v[55:56]
	v_fma_f64 v[45:46], v[3:4], v[67:68], v[45:46]
	ds_read_b128 v[1:4], v85 offset:1424
	v_add_f64 v[25:26], v[25:26], v[49:50]
	v_add_f64 v[27:28], v[27:28], v[29:30]
	s_waitcnt vmcnt(33) lgkmcnt(1)
	v_mul_f64 v[49:50], v[7:8], v[69:70]
	s_waitcnt vmcnt(32)
	v_fma_f64 v[53:54], v[21:22], v[180:181], -v[53:54]
	v_mul_f64 v[29:30], v[5:6], v[69:70]
	v_fma_f64 v[51:52], v[23:24], v[180:181], v[51:52]
	ds_read_b128 v[21:24], v85 offset:1440
	v_add_f64 v[25:26], v[25:26], v[55:56]
	v_add_f64 v[27:28], v[27:28], v[45:46]
	;; [unrolled: 18-line block ×3, first 2 shown]
	s_waitcnt vmcnt(23) lgkmcnt(1)
	v_mul_f64 v[49:50], v[7:8], v[178:179]
	v_mul_f64 v[29:30], v[5:6], v[178:179]
	s_waitcnt vmcnt(21)
	v_fma_f64 v[53:54], v[21:22], v[31:32], -v[53:54]
	v_fma_f64 v[31:32], v[23:24], v[31:32], v[51:52]
	ds_read_b128 v[21:24], v85 offset:1488
	v_add_f64 v[25:26], v[25:26], v[55:56]
	v_add_f64 v[27:28], v[27:28], v[45:46]
	s_waitcnt vmcnt(17) lgkmcnt(1)
	v_mul_f64 v[45:46], v[1:2], v[41:42]
	v_mul_f64 v[41:42], v[3:4], v[41:42]
	s_waitcnt vmcnt(16)
	v_fma_f64 v[49:50], v[5:6], v[182:183], -v[49:50]
	v_fma_f64 v[29:30], v[7:8], v[182:183], v[29:30]
	ds_read_b128 v[5:8], v85 offset:1504
	v_add_f64 v[25:26], v[25:26], v[53:54]
	v_add_f64 v[27:28], v[27:28], v[31:32]
	;; [unrolled: 9-line block ×3, first 2 shown]
	s_waitcnt vmcnt(9) lgkmcnt(1)
	v_mul_f64 v[45:46], v[7:8], v[161:162]
	s_waitcnt vmcnt(8)
	v_fma_f64 v[21:22], v[21:22], v[187:188], -v[51:52]
	v_mul_f64 v[29:30], v[5:6], v[161:162]
	v_fma_f64 v[23:24], v[23:24], v[187:188], v[31:32]
	v_add_f64 v[25:26], v[25:26], v[41:42]
	v_add_f64 v[27:28], v[27:28], v[37:38]
	s_waitcnt vmcnt(7) lgkmcnt(0)
	v_mul_f64 v[37:38], v[3:4], v[163:164]
	v_mul_f64 v[31:32], v[1:2], v[163:164]
	s_waitcnt vmcnt(5)
	v_fma_f64 v[5:6], v[5:6], v[43:44], -v[45:46]
	v_fma_f64 v[7:8], v[7:8], v[43:44], v[29:30]
	v_add_f64 v[21:22], v[25:26], v[21:22]
	v_add_f64 v[23:24], v[27:28], v[23:24]
	s_waitcnt vmcnt(4)
	v_fma_f64 v[1:2], v[1:2], v[174:175], -v[37:38]
	v_fma_f64 v[3:4], v[3:4], v[174:175], v[31:32]
	v_add_f64 v[5:6], v[21:22], v[5:6]
	v_add_f64 v[7:8], v[23:24], v[7:8]
	;; [unrolled: 1-line block ×4, first 2 shown]
	s_waitcnt vmcnt(2)
	v_add_f64 v[1:2], v[39:40], -v[1:2]
	s_waitcnt vmcnt(0)
	v_add_f64 v[3:4], v[47:48], -v[3:4]
	buffer_store_dword v2, off, s[0:3], 0 offset:116
	buffer_store_dword v1, off, s[0:3], 0 offset:112
	buffer_store_dword v4, off, s[0:3], 0 offset:124
	buffer_store_dword v3, off, s[0:3], 0 offset:120
	v_cmpx_lt_u32_e32 5, v0
	s_cbranch_execz .LBB47_291
; %bb.290:
	v_mov_b32_e32 v4, s55
	s_clause 0x3
	buffer_load_dword v1, v4, s[0:3], 0 offen
	buffer_load_dword v2, v4, s[0:3], 0 offen offset:4
	buffer_load_dword v3, v4, s[0:3], 0 offen offset:8
	;; [unrolled: 1-line block ×3, first 2 shown]
	buffer_store_dword v85, off, s[0:3], 0 offset:96
	buffer_store_dword v85, off, s[0:3], 0 offset:100
	;; [unrolled: 1-line block ×4, first 2 shown]
	s_waitcnt vmcnt(0)
	ds_write_b128 v165, v[1:4]
.LBB47_291:
	s_or_b32 exec_lo, exec_lo, s4
	s_waitcnt lgkmcnt(0)
	s_waitcnt_vscnt null, 0x0
	s_barrier
	buffer_gl0_inv
	s_clause 0x37
	buffer_load_dword v21, off, s[0:3], 0 offset:120
	buffer_load_dword v22, off, s[0:3], 0 offset:124
	;; [unrolled: 1-line block ×56, first 2 shown]
	ds_read_b128 v[161:164], v85 offset:864
	s_clause 0x2
	buffer_load_dword v82, off, s[0:3], 0 offset:348
	buffer_load_dword v84, off, s[0:3], 0 offset:324
	;; [unrolled: 1-line block ×3, first 2 shown]
	ds_read_b128 v[166:169], v85 offset:880
	s_clause 0x4
	buffer_load_dword v175, off, s[0:3], 0 offset:364
	buffer_load_dword v176, off, s[0:3], 0 offset:376
	;; [unrolled: 1-line block ×5, first 2 shown]
	ds_read_b128 v[170:173], v85 offset:896
	s_clause 0x2
	buffer_load_dword v177, off, s[0:3], 0 offset:380
	buffer_load_dword v182, off, s[0:3], 0 offset:356
	buffer_load_dword v181, off, s[0:3], 0 offset:352
	s_mov_b32 s4, exec_lo
	s_waitcnt vmcnt(62) lgkmcnt(2)
	v_mul_f64 v[86:87], v[163:164], v[21:22]
	v_mul_f64 v[21:22], v[161:162], v[21:22]
	s_waitcnt lgkmcnt(1)
	v_mul_f64 v[179:180], v[168:169], v[5:6]
	s_waitcnt vmcnt(59) lgkmcnt(0)
	v_mul_f64 v[183:184], v[172:173], v[3:4]
	v_fma_f64 v[86:87], v[161:162], v[7:8], -v[86:87]
	v_mul_f64 v[161:162], v[166:167], v[5:6]
	v_fma_f64 v[21:22], v[163:164], v[7:8], v[21:22]
	s_waitcnt vmcnt(57)
	v_fma_f64 v[166:167], v[166:167], v[1:2], -v[179:180]
	ds_read_b128 v[5:8], v85 offset:912
	v_mul_f64 v[163:164], v[170:171], v[3:4]
	s_waitcnt vmcnt(51)
	v_fma_f64 v[170:171], v[170:171], v[41:42], -v[183:184]
	v_add_f64 v[86:87], v[86:87], 0
	v_fma_f64 v[161:162], v[168:169], v[1:2], v[161:162]
	v_add_f64 v[21:22], v[21:22], 0
	s_clause 0x4
	buffer_load_dword v169, off, s[0:3], 0 offset:396
	buffer_load_dword v185, off, s[0:3], 0 offset:408
	buffer_load_dword v187, off, s[0:3], 0 offset:400
	buffer_load_dword v168, off, s[0:3], 0 offset:392
	buffer_load_dword v179, off, s[0:3], 0 offset:372
	s_waitcnt lgkmcnt(0)
	v_mul_f64 v[188:189], v[5:6], v[25:26]
	v_mul_f64 v[25:26], v[7:8], v[25:26]
	ds_read_b128 v[1:4], v85 offset:928
	v_fma_f64 v[41:42], v[172:173], v[41:42], v[163:164]
	v_add_f64 v[86:87], v[86:87], v[166:167]
	s_clause 0x2
	buffer_load_dword v186, off, s[0:3], 0 offset:412
	buffer_load_dword v167, off, s[0:3], 0 offset:388
	;; [unrolled: 1-line block ×3, first 2 shown]
	v_add_f64 v[21:22], v[21:22], v[161:162]
	ds_read_b128 v[161:164], v85 offset:944
	s_waitcnt vmcnt(58) lgkmcnt(1)
	v_mul_f64 v[172:173], v[1:2], v[29:30]
	v_mul_f64 v[29:30], v[3:4], v[29:30]
	s_waitcnt vmcnt(56)
	v_fma_f64 v[25:26], v[5:6], v[31:32], -v[25:26]
	v_fma_f64 v[31:32], v[7:8], v[31:32], v[188:189]
	v_add_f64 v[86:87], v[86:87], v[170:171]
	s_waitcnt vmcnt(52) lgkmcnt(0)
	v_mul_f64 v[189:190], v[161:162], v[37:38]
	v_add_f64 v[21:22], v[21:22], v[41:42]
	s_clause 0x4
	buffer_load_dword v42, off, s[0:3], 0 offset:428
	buffer_load_dword v170, off, s[0:3], 0 offset:440
	;; [unrolled: 1-line block ×5, first 2 shown]
	v_mul_f64 v[37:38], v[163:164], v[37:38]
	s_waitcnt vmcnt(56)
	v_fma_f64 v[29:30], v[1:2], v[23:24], -v[29:30]
	ds_read_b128 v[5:8], v85 offset:960
	v_fma_f64 v[23:24], v[3:4], v[23:24], v[172:173]
	v_add_f64 v[25:26], v[86:87], v[25:26]
	v_add_f64 v[21:22], v[21:22], v[31:32]
	s_clause 0x2
	buffer_load_dword v171, off, s[0:3], 0 offset:444
	buffer_load_dword v32, off, s[0:3], 0 offset:420
	;; [unrolled: 1-line block ×3, first 2 shown]
	s_waitcnt vmcnt(58) lgkmcnt(0)
	v_mul_f64 v[86:87], v[5:6], v[43:44]
	v_mul_f64 v[43:44], v[7:8], v[43:44]
	s_waitcnt vmcnt(56)
	v_fma_f64 v[37:38], v[161:162], v[45:46], -v[37:38]
	ds_read_b128 v[1:4], v85 offset:976
	v_add_f64 v[25:26], v[25:26], v[29:30]
	v_fma_f64 v[29:30], v[163:164], v[45:46], v[189:190]
	v_add_f64 v[45:46], v[21:22], v[23:24]
	s_clause 0x4
	buffer_load_dword v162, off, s[0:3], 0 offset:460
	buffer_load_dword v163, off, s[0:3], 0 offset:472
	;; [unrolled: 1-line block ×5, first 2 shown]
	ds_read_b128 v[21:24], v85 offset:992
	s_waitcnt vmcnt(57) lgkmcnt(1)
	v_mul_f64 v[189:190], v[1:2], v[47:48]
	v_mul_f64 v[47:48], v[3:4], v[47:48]
	s_waitcnt vmcnt(56)
	v_fma_f64 v[43:44], v[5:6], v[27:28], -v[43:44]
	v_fma_f64 v[27:28], v[7:8], v[27:28], v[86:87]
	v_add_f64 v[25:26], v[25:26], v[37:38]
	s_clause 0x2
	buffer_load_dword v164, off, s[0:3], 0 offset:476
	buffer_load_dword v38, off, s[0:3], 0 offset:452
	;; [unrolled: 1-line block ×3, first 2 shown]
	v_add_f64 v[29:30], v[45:46], v[29:30]
	s_waitcnt vmcnt(58) lgkmcnt(0)
	v_mul_f64 v[45:46], v[21:22], v[51:52]
	v_mul_f64 v[51:52], v[23:24], v[51:52]
	ds_read_b128 v[5:8], v85 offset:1008
	s_waitcnt vmcnt(56)
	v_fma_f64 v[47:48], v[1:2], v[53:54], -v[47:48]
	v_add_f64 v[25:26], v[25:26], v[43:44]
	v_fma_f64 v[43:44], v[3:4], v[53:54], v[189:190]
	v_add_f64 v[27:28], v[29:30], v[27:28]
	s_clause 0x4
	buffer_load_dword v30, off, s[0:3], 0 offset:492
	buffer_load_dword v53, off, s[0:3], 0 offset:504
	;; [unrolled: 1-line block ×5, first 2 shown]
	s_waitcnt vmcnt(57) lgkmcnt(0)
	v_mul_f64 v[87:88], v[5:6], v[55:56]
	v_mul_f64 v[55:56], v[7:8], v[55:56]
	s_waitcnt vmcnt(56)
	v_fma_f64 v[51:52], v[21:22], v[39:40], -v[51:52]
	ds_read_b128 v[1:4], v85 offset:1024
	v_fma_f64 v[39:40], v[23:24], v[39:40], v[45:46]
	v_add_f64 v[25:26], v[25:26], v[47:48]
	v_add_f64 v[27:28], v[27:28], v[43:44]
	s_clause 0x2
	buffer_load_dword v54, off, s[0:3], 0 offset:508
	buffer_load_dword v44, off, s[0:3], 0 offset:484
	;; [unrolled: 1-line block ×3, first 2 shown]
	ds_read_b128 v[21:24], v85 offset:1040
	s_waitcnt vmcnt(58) lgkmcnt(1)
	v_mul_f64 v[47:48], v[3:4], v[59:60]
	s_waitcnt vmcnt(56)
	v_fma_f64 v[55:56], v[5:6], v[65:66], -v[55:56]
	v_mul_f64 v[45:46], v[1:2], v[59:60]
	v_add_f64 v[25:26], v[25:26], v[51:52]
	v_fma_f64 v[51:52], v[7:8], v[65:66], v[87:88]
	v_add_f64 v[27:28], v[27:28], v[39:40]
	s_clause 0x4
	buffer_load_dword v40, off, s[0:3], 0 offset:524
	buffer_load_dword v59, off, s[0:3], 0 offset:536
	;; [unrolled: 1-line block ×5, first 2 shown]
	s_waitcnt vmcnt(57) lgkmcnt(0)
	v_mul_f64 v[189:190], v[21:22], v[67:68]
	v_mul_f64 v[66:67], v[23:24], v[67:68]
	s_waitcnt vmcnt(56)
	v_fma_f64 v[47:48], v[1:2], v[49:50], -v[47:48]
	ds_read_b128 v[5:8], v85 offset:1056
	v_fma_f64 v[45:46], v[3:4], v[49:50], v[45:46]
	s_clause 0x2
	buffer_load_dword v60, off, s[0:3], 0 offset:540
	buffer_load_dword v50, off, s[0:3], 0 offset:516
	;; [unrolled: 1-line block ×3, first 2 shown]
	ds_read_b128 v[1:4], v85 offset:1072
	v_add_f64 v[25:26], v[25:26], v[55:56]
	v_add_f64 v[27:28], v[27:28], v[51:52]
	s_waitcnt vmcnt(58) lgkmcnt(1)
	v_mul_f64 v[55:56], v[7:8], v[71:72]
	s_waitcnt vmcnt(56)
	v_fma_f64 v[67:68], v[21:22], v[77:78], -v[66:67]
	v_mul_f64 v[51:52], v[5:6], v[71:72]
	v_add_f64 v[25:26], v[25:26], v[47:48]
	v_fma_f64 v[47:48], v[23:24], v[77:78], v[189:190]
	v_add_f64 v[27:28], v[27:28], v[45:46]
	s_clause 0x4
	buffer_load_dword v46, off, s[0:3], 0 offset:556
	buffer_load_dword v71, off, s[0:3], 0 offset:568
	;; [unrolled: 1-line block ×5, first 2 shown]
	s_waitcnt vmcnt(57) lgkmcnt(0)
	v_mul_f64 v[189:190], v[1:2], v[79:80]
	v_mul_f64 v[78:79], v[3:4], v[79:80]
	s_waitcnt vmcnt(56)
	v_fma_f64 v[55:56], v[5:6], v[57:58], -v[55:56]
	ds_read_b128 v[21:24], v85 offset:1088
	v_fma_f64 v[51:52], v[7:8], v[57:58], v[51:52]
	v_add_f64 v[25:26], v[25:26], v[67:68]
	v_add_f64 v[27:28], v[27:28], v[47:48]
	s_clause 0x2
	buffer_load_dword v72, off, s[0:3], 0 offset:572
	buffer_load_dword v48, off, s[0:3], 0 offset:548
	;; [unrolled: 1-line block ×3, first 2 shown]
	ds_read_b128 v[5:8], v85 offset:1104
	s_waitcnt vmcnt(58) lgkmcnt(1)
	v_mul_f64 v[67:68], v[23:24], v[81:82]
	s_waitcnt vmcnt(56)
	v_fma_f64 v[79:80], v[1:2], v[83:84], -v[78:79]
	v_mul_f64 v[57:58], v[21:22], v[81:82]
	v_add_f64 v[25:26], v[25:26], v[55:56]
	v_fma_f64 v[55:56], v[3:4], v[83:84], v[189:190]
	v_add_f64 v[27:28], v[27:28], v[51:52]
	s_clause 0x4
	buffer_load_dword v52, off, s[0:3], 0 offset:588
	buffer_load_dword v81, off, s[0:3], 0 offset:600
	buffer_load_dword v83, off, s[0:3], 0 offset:592
	buffer_load_dword v51, off, s[0:3], 0 offset:584
	buffer_load_dword v78, off, s[0:3], 0 offset:564
	s_waitcnt vmcnt(57) lgkmcnt(0)
	v_mul_f64 v[189:190], v[5:6], v[174:175]
	v_mul_f64 v[174:175], v[7:8], v[174:175]
	s_waitcnt vmcnt(56)
	v_fma_f64 v[67:68], v[21:22], v[69:70], -v[67:68]
	ds_read_b128 v[1:4], v85 offset:1120
	v_fma_f64 v[57:58], v[23:24], v[69:70], v[57:58]
	v_add_f64 v[25:26], v[25:26], v[79:80]
	v_add_f64 v[27:28], v[27:28], v[55:56]
	s_clause 0x2
	buffer_load_dword v82, off, s[0:3], 0 offset:604
	buffer_load_dword v56, off, s[0:3], 0 offset:580
	;; [unrolled: 1-line block ×3, first 2 shown]
	ds_read_b128 v[21:24], v85 offset:1136
	s_waitcnt vmcnt(58) lgkmcnt(1)
	v_mul_f64 v[79:80], v[3:4], v[176:177]
	s_waitcnt vmcnt(56)
	v_fma_f64 v[174:175], v[5:6], v[181:182], -v[174:175]
	v_mul_f64 v[69:70], v[1:2], v[176:177]
	v_add_f64 v[25:26], v[25:26], v[67:68]
	v_fma_f64 v[67:68], v[7:8], v[181:182], v[189:190]
	v_add_f64 v[27:28], v[27:28], v[57:58]
	s_clause 0x4
	buffer_load_dword v58, off, s[0:3], 0 offset:620
	buffer_load_dword v176, off, s[0:3], 0 offset:632
	;; [unrolled: 1-line block ×5, first 2 shown]
	ds_read_b128 v[5:8], v85 offset:1152
	s_waitcnt vmcnt(57) lgkmcnt(1)
	v_mul_f64 v[181:182], v[21:22], v[168:169]
	v_mul_f64 v[168:169], v[23:24], v[168:169]
	s_waitcnt vmcnt(56)
	v_fma_f64 v[79:80], v[1:2], v[178:179], -v[79:80]
	v_fma_f64 v[69:70], v[3:4], v[178:179], v[69:70]
	v_add_f64 v[25:26], v[25:26], v[174:175]
	v_add_f64 v[27:28], v[27:28], v[67:68]
	s_clause 0x2
	buffer_load_dword v177, off, s[0:3], 0 offset:636
	buffer_load_dword v68, off, s[0:3], 0 offset:612
	;; [unrolled: 1-line block ×3, first 2 shown]
	ds_read_b128 v[1:4], v85 offset:1168
	s_waitcnt vmcnt(58) lgkmcnt(1)
	v_mul_f64 v[178:179], v[7:8], v[185:186]
	v_mul_f64 v[174:175], v[5:6], v[185:186]
	s_waitcnt vmcnt(56)
	v_fma_f64 v[168:169], v[21:22], v[166:167], -v[168:169]
	v_add_f64 v[25:26], v[25:26], v[79:80]
	v_fma_f64 v[79:80], v[23:24], v[166:167], v[181:182]
	v_add_f64 v[27:28], v[27:28], v[69:70]
	s_clause 0x4
	buffer_load_dword v70, off, s[0:3], 0 offset:652
	buffer_load_dword v166, off, s[0:3], 0 offset:664
	buffer_load_dword v185, off, s[0:3], 0 offset:656
	buffer_load_dword v69, off, s[0:3], 0 offset:648
	buffer_load_dword v181, off, s[0:3], 0 offset:628
	ds_read_b128 v[21:24], v85 offset:1184
	s_waitcnt vmcnt(57) lgkmcnt(1)
	v_mul_f64 v[189:190], v[1:2], v[41:42]
	v_mul_f64 v[41:42], v[3:4], v[41:42]
	s_waitcnt vmcnt(56)
	v_fma_f64 v[178:179], v[5:6], v[187:188], -v[178:179]
	v_add_f64 v[25:26], v[25:26], v[168:169]
	v_fma_f64 v[168:169], v[7:8], v[187:188], v[174:175]
	v_add_f64 v[27:28], v[27:28], v[79:80]
	s_clause 0x2
	buffer_load_dword v167, off, s[0:3], 0 offset:668
	buffer_load_dword v80, off, s[0:3], 0 offset:644
	buffer_load_dword v79, off, s[0:3], 0 offset:640
	ds_read_b128 v[5:8], v85 offset:1200
	s_waitcnt vmcnt(58) lgkmcnt(1)
	v_mul_f64 v[174:175], v[21:22], v[170:171]
	v_mul_f64 v[170:171], v[23:24], v[170:171]
	s_waitcnt vmcnt(56)
	v_fma_f64 v[41:42], v[1:2], v[31:32], -v[41:42]
	v_fma_f64 v[31:32], v[3:4], v[31:32], v[189:190]
	v_add_f64 v[25:26], v[25:26], v[178:179]
	v_add_f64 v[27:28], v[27:28], v[168:169]
	s_clause 0x4
	buffer_load_dword v169, off, s[0:3], 0 offset:684
	buffer_load_dword v178, off, s[0:3], 0 offset:696
	buffer_load_dword v182, off, s[0:3], 0 offset:688
	buffer_load_dword v168, off, s[0:3], 0 offset:680
	buffer_load_dword v186, off, s[0:3], 0 offset:660
	ds_read_b128 v[1:4], v85 offset:1216
	s_waitcnt vmcnt(57) lgkmcnt(1)
	v_mul_f64 v[187:188], v[5:6], v[161:162]
	v_mul_f64 v[161:162], v[7:8], v[161:162]
	s_waitcnt vmcnt(56)
	v_fma_f64 v[170:171], v[21:22], v[183:184], -v[170:171]
	v_add_f64 v[25:26], v[25:26], v[41:42]
	v_fma_f64 v[41:42], v[23:24], v[183:184], v[174:175]
	v_add_f64 v[27:28], v[27:28], v[31:32]
	s_clause 0x2
	buffer_load_dword v179, off, s[0:3], 0 offset:700
	buffer_load_dword v32, off, s[0:3], 0 offset:676
	buffer_load_dword v31, off, s[0:3], 0 offset:672
	ds_read_b128 v[21:24], v85 offset:1232
	s_waitcnt vmcnt(58) lgkmcnt(1)
	v_mul_f64 v[174:175], v[1:2], v[163:164]
	v_mul_f64 v[163:164], v[3:4], v[163:164]
	s_waitcnt vmcnt(56)
	v_fma_f64 v[161:162], v[5:6], v[37:38], -v[161:162]
	v_fma_f64 v[37:38], v[7:8], v[37:38], v[187:188]
	v_add_f64 v[25:26], v[25:26], v[170:171]
	;; [unrolled: 28-line block ×3, first 2 shown]
	v_add_f64 v[27:28], v[27:28], v[161:162]
	s_clause 0x4
	buffer_load_dword v162, off, s[0:3], 0 offset:748
	buffer_load_dword v163, off, s[0:3], 0 offset:760
	;; [unrolled: 1-line block ×5, first 2 shown]
	ds_read_b128 v[21:24], v85 offset:1280
	s_waitcnt vmcnt(57) lgkmcnt(1)
	v_mul_f64 v[189:190], v[1:2], v[39:40]
	v_mul_f64 v[39:40], v[3:4], v[39:40]
	s_waitcnt vmcnt(56)
	v_fma_f64 v[53:54], v[5:6], v[86:87], -v[53:54]
	v_add_f64 v[25:26], v[25:26], v[29:30]
	v_fma_f64 v[29:30], v[7:8], v[86:87], v[172:173]
	v_add_f64 v[27:28], v[27:28], v[43:44]
	s_clause 0x2
	buffer_load_dword v164, off, s[0:3], 0 offset:764
	buffer_load_dword v44, off, s[0:3], 0 offset:740
	;; [unrolled: 1-line block ×3, first 2 shown]
	s_waitcnt vmcnt(58) lgkmcnt(0)
	v_mul_f64 v[86:87], v[21:22], v[59:60]
	v_mul_f64 v[59:60], v[23:24], v[59:60]
	ds_read_b128 v[5:8], v85 offset:1296
	s_waitcnt vmcnt(56)
	v_fma_f64 v[39:40], v[1:2], v[49:50], -v[39:40]
	v_fma_f64 v[49:50], v[3:4], v[49:50], v[189:190]
	v_add_f64 v[25:26], v[25:26], v[53:54]
	v_add_f64 v[27:28], v[27:28], v[29:30]
	s_clause 0x2
	buffer_load_dword v30, off, s[0:3], 0 offset:780
	buffer_load_dword v29, off, s[0:3], 0 offset:776
	buffer_load_dword v175, off, s[0:3], 0 offset:756
	ds_read_b128 v[1:4], v85 offset:1312
	s_waitcnt vmcnt(55) lgkmcnt(1)
	v_mul_f64 v[53:54], v[5:6], v[45:46]
	v_mul_f64 v[45:46], v[7:8], v[45:46]
	s_waitcnt vmcnt(54)
	v_fma_f64 v[59:60], v[21:22], v[65:66], -v[59:60]
	v_add_f64 v[25:26], v[25:26], v[39:40]
	v_fma_f64 v[39:40], v[23:24], v[65:66], v[86:87]
	v_add_f64 v[27:28], v[27:28], v[49:50]
	s_clause 0x1
	buffer_load_dword v50, off, s[0:3], 0 offset:772
	buffer_load_dword v49, off, s[0:3], 0 offset:768
	ds_read_b128 v[21:24], v85 offset:1328
	s_waitcnt vmcnt(55) lgkmcnt(1)
	v_mul_f64 v[65:66], v[1:2], v[71:72]
	v_mul_f64 v[71:72], v[3:4], v[71:72]
	s_waitcnt vmcnt(53)
	v_fma_f64 v[45:46], v[5:6], v[47:48], -v[45:46]
	v_fma_f64 v[47:48], v[7:8], v[47:48], v[53:54]
	ds_read_b128 v[5:8], v85 offset:1344
	v_add_f64 v[25:26], v[25:26], v[59:60]
	v_add_f64 v[27:28], v[27:28], v[39:40]
	s_waitcnt vmcnt(49) lgkmcnt(1)
	v_mul_f64 v[39:40], v[21:22], v[51:52]
	v_mul_f64 v[51:52], v[23:24], v[51:52]
	s_waitcnt vmcnt(48)
	v_fma_f64 v[53:54], v[1:2], v[77:78], -v[71:72]
	v_add_f64 v[25:26], v[25:26], v[45:46]
	v_fma_f64 v[45:46], v[3:4], v[77:78], v[65:66]
	v_add_f64 v[27:28], v[27:28], v[47:48]
	s_clause 0x3
	buffer_load_dword v47, off, s[0:3], 0 offset:96
	buffer_load_dword v48, off, s[0:3], 0 offset:100
	;; [unrolled: 1-line block ×4, first 2 shown]
	ds_read_b128 v[1:4], v85 offset:1360
	s_waitcnt vmcnt(51) lgkmcnt(1)
	v_mul_f64 v[71:72], v[7:8], v[81:82]
	v_mul_f64 v[65:66], v[5:6], v[81:82]
	s_waitcnt vmcnt(49)
	v_fma_f64 v[51:52], v[21:22], v[55:56], -v[51:52]
	v_fma_f64 v[39:40], v[23:24], v[55:56], v[39:40]
	ds_read_b128 v[21:24], v85 offset:1376
	v_add_f64 v[25:26], v[25:26], v[53:54]
	v_add_f64 v[27:28], v[27:28], v[45:46]
	s_waitcnt vmcnt(45) lgkmcnt(1)
	v_mul_f64 v[53:54], v[3:4], v[57:58]
	s_waitcnt vmcnt(44)
	v_fma_f64 v[55:56], v[5:6], v[83:84], -v[71:72]
	v_mul_f64 v[45:46], v[1:2], v[57:58]
	v_add_f64 v[25:26], v[25:26], v[51:52]
	v_fma_f64 v[51:52], v[7:8], v[83:84], v[65:66]
	v_add_f64 v[27:28], v[27:28], v[39:40]
	ds_read_b128 v[5:8], v85 offset:1392
	s_waitcnt vmcnt(43) lgkmcnt(1)
	v_mul_f64 v[57:58], v[23:24], v[176:177]
	v_mul_f64 v[39:40], v[21:22], v[176:177]
	s_waitcnt vmcnt(41)
	v_fma_f64 v[53:54], v[1:2], v[67:68], -v[53:54]
	v_fma_f64 v[45:46], v[3:4], v[67:68], v[45:46]
	ds_read_b128 v[1:4], v85 offset:1408
	v_add_f64 v[25:26], v[25:26], v[55:56]
	v_add_f64 v[27:28], v[27:28], v[51:52]
	s_waitcnt vmcnt(37) lgkmcnt(1)
	v_mul_f64 v[55:56], v[7:8], v[69:70]
	s_waitcnt vmcnt(36)
	v_fma_f64 v[57:58], v[21:22], v[180:181], -v[57:58]
	v_mul_f64 v[51:52], v[5:6], v[69:70]
	v_fma_f64 v[39:40], v[23:24], v[180:181], v[39:40]
	ds_read_b128 v[21:24], v85 offset:1424
	v_add_f64 v[25:26], v[25:26], v[53:54]
	v_add_f64 v[27:28], v[27:28], v[45:46]
	s_waitcnt vmcnt(35) lgkmcnt(1)
	v_mul_f64 v[53:54], v[3:4], v[166:167]
	v_mul_f64 v[45:46], v[1:2], v[166:167]
	s_waitcnt vmcnt(33)
	v_fma_f64 v[55:56], v[5:6], v[79:80], -v[55:56]
	v_fma_f64 v[51:52], v[7:8], v[79:80], v[51:52]
	ds_read_b128 v[5:8], v85 offset:1440
	v_add_f64 v[25:26], v[25:26], v[57:58]
	v_add_f64 v[27:28], v[27:28], v[39:40]
	s_waitcnt vmcnt(29) lgkmcnt(1)
	v_mul_f64 v[57:58], v[23:24], v[168:169]
	s_waitcnt vmcnt(28)
	v_fma_f64 v[53:54], v[1:2], v[185:186], -v[53:54]
	v_mul_f64 v[39:40], v[21:22], v[168:169]
	v_fma_f64 v[45:46], v[3:4], v[185:186], v[45:46]
	ds_read_b128 v[1:4], v85 offset:1456
	v_add_f64 v[25:26], v[25:26], v[55:56]
	v_add_f64 v[27:28], v[27:28], v[51:52]
	s_waitcnt vmcnt(27) lgkmcnt(1)
	v_mul_f64 v[55:56], v[7:8], v[178:179]
	v_mul_f64 v[51:52], v[5:6], v[178:179]
	s_waitcnt vmcnt(25)
	v_fma_f64 v[57:58], v[21:22], v[31:32], -v[57:58]
	v_fma_f64 v[31:32], v[23:24], v[31:32], v[39:40]
	ds_read_b128 v[21:24], v85 offset:1472
	v_add_f64 v[25:26], v[25:26], v[53:54]
	v_add_f64 v[27:28], v[27:28], v[45:46]
	s_waitcnt vmcnt(21) lgkmcnt(1)
	v_mul_f64 v[39:40], v[1:2], v[41:42]
	v_mul_f64 v[41:42], v[3:4], v[41:42]
	s_waitcnt vmcnt(20)
	v_fma_f64 v[45:46], v[5:6], v[182:183], -v[55:56]
	;; [unrolled: 9-line block ×3, first 2 shown]
	v_fma_f64 v[37:38], v[3:4], v[37:38], v[39:40]
	ds_read_b128 v[1:4], v85 offset:1504
	v_add_f64 v[25:26], v[25:26], v[45:46]
	v_add_f64 v[27:28], v[27:28], v[51:52]
	s_waitcnt vmcnt(13) lgkmcnt(1)
	v_mul_f64 v[45:46], v[7:8], v[161:162]
	s_waitcnt vmcnt(12)
	v_fma_f64 v[51:52], v[21:22], v[187:188], -v[53:54]
	v_mul_f64 v[39:40], v[5:6], v[161:162]
	v_fma_f64 v[31:32], v[23:24], v[187:188], v[31:32]
	ds_read_b128 v[21:24], v85 offset:1520
	v_add_f64 v[25:26], v[25:26], v[41:42]
	v_add_f64 v[27:28], v[27:28], v[37:38]
	s_waitcnt vmcnt(11) lgkmcnt(1)
	v_mul_f64 v[41:42], v[3:4], v[163:164]
	v_mul_f64 v[37:38], v[1:2], v[163:164]
	s_waitcnt vmcnt(9)
	v_fma_f64 v[5:6], v[5:6], v[43:44], -v[45:46]
	v_fma_f64 v[7:8], v[7:8], v[43:44], v[39:40]
	v_add_f64 v[25:26], v[25:26], v[51:52]
	v_add_f64 v[27:28], v[27:28], v[31:32]
	s_waitcnt vmcnt(7) lgkmcnt(0)
	v_mul_f64 v[31:32], v[21:22], v[29:30]
	v_mul_f64 v[29:30], v[23:24], v[29:30]
	s_waitcnt vmcnt(6)
	v_fma_f64 v[1:2], v[1:2], v[174:175], -v[41:42]
	v_fma_f64 v[3:4], v[3:4], v[174:175], v[37:38]
	v_add_f64 v[5:6], v[25:26], v[5:6]
	v_add_f64 v[7:8], v[27:28], v[7:8]
	s_waitcnt vmcnt(4)
	v_fma_f64 v[21:22], v[21:22], v[49:50], -v[29:30]
	v_add_f64 v[1:2], v[5:6], v[1:2]
	v_fma_f64 v[5:6], v[23:24], v[49:50], v[31:32]
	v_add_f64 v[3:4], v[7:8], v[3:4]
	v_add_f64 v[1:2], v[1:2], v[21:22]
	;; [unrolled: 1-line block ×3, first 2 shown]
	s_waitcnt vmcnt(2)
	v_add_f64 v[1:2], v[47:48], -v[1:2]
	s_waitcnt vmcnt(0)
	v_add_f64 v[3:4], v[59:60], -v[3:4]
	buffer_store_dword v2, off, s[0:3], 0 offset:100
	buffer_store_dword v1, off, s[0:3], 0 offset:96
	;; [unrolled: 1-line block ×4, first 2 shown]
	v_cmpx_lt_u32_e32 4, v0
	s_cbranch_execz .LBB47_293
; %bb.292:
	v_mov_b32_e32 v4, s56
	v_mov_b32_e32 v5, 0
	s_clause 0x3
	buffer_load_dword v1, v4, s[0:3], 0 offen
	buffer_load_dword v2, v4, s[0:3], 0 offen offset:4
	buffer_load_dword v3, v4, s[0:3], 0 offen offset:8
	buffer_load_dword v4, v4, s[0:3], 0 offen offset:12
	buffer_store_dword v5, off, s[0:3], 0 offset:80
	buffer_store_dword v5, off, s[0:3], 0 offset:84
	;; [unrolled: 1-line block ×4, first 2 shown]
	s_waitcnt vmcnt(0)
	ds_write_b128 v165, v[1:4]
.LBB47_293:
	s_or_b32 exec_lo, exec_lo, s4
	s_waitcnt lgkmcnt(0)
	s_waitcnt_vscnt null, 0x0
	s_barrier
	buffer_gl0_inv
	s_clause 0x37
	buffer_load_dword v21, off, s[0:3], 0 offset:104
	buffer_load_dword v22, off, s[0:3], 0 offset:108
	;; [unrolled: 1-line block ×56, first 2 shown]
	v_mov_b32_e32 v85, 0
	s_mov_b32 s4, exec_lo
	ds_read_b128 v[161:164], v85 offset:848
	s_clause 0x2
	buffer_load_dword v82, off, s[0:3], 0 offset:332
	buffer_load_dword v84, off, s[0:3], 0 offset:308
	;; [unrolled: 1-line block ×3, first 2 shown]
	ds_read_b128 v[166:169], v85 offset:864
	s_clause 0x4
	buffer_load_dword v175, off, s[0:3], 0 offset:348
	buffer_load_dword v176, off, s[0:3], 0 offset:360
	;; [unrolled: 1-line block ×5, first 2 shown]
	ds_read_b128 v[170:173], v85 offset:880
	s_clause 0x2
	buffer_load_dword v177, off, s[0:3], 0 offset:364
	buffer_load_dword v182, off, s[0:3], 0 offset:340
	;; [unrolled: 1-line block ×3, first 2 shown]
	s_waitcnt vmcnt(62) lgkmcnt(2)
	v_mul_f64 v[86:87], v[163:164], v[21:22]
	v_mul_f64 v[21:22], v[161:162], v[21:22]
	s_waitcnt lgkmcnt(1)
	v_mul_f64 v[179:180], v[168:169], v[5:6]
	s_waitcnt vmcnt(59) lgkmcnt(0)
	v_mul_f64 v[183:184], v[172:173], v[3:4]
	v_fma_f64 v[86:87], v[161:162], v[7:8], -v[86:87]
	v_mul_f64 v[161:162], v[166:167], v[5:6]
	v_fma_f64 v[21:22], v[163:164], v[7:8], v[21:22]
	s_waitcnt vmcnt(57)
	v_fma_f64 v[166:167], v[166:167], v[1:2], -v[179:180]
	ds_read_b128 v[5:8], v85 offset:896
	v_mul_f64 v[163:164], v[170:171], v[3:4]
	s_waitcnt vmcnt(51)
	v_fma_f64 v[170:171], v[170:171], v[41:42], -v[183:184]
	v_add_f64 v[86:87], v[86:87], 0
	v_fma_f64 v[161:162], v[168:169], v[1:2], v[161:162]
	v_add_f64 v[21:22], v[21:22], 0
	s_clause 0x4
	buffer_load_dword v169, off, s[0:3], 0 offset:380
	buffer_load_dword v185, off, s[0:3], 0 offset:392
	;; [unrolled: 1-line block ×5, first 2 shown]
	s_waitcnt lgkmcnt(0)
	v_mul_f64 v[188:189], v[5:6], v[25:26]
	v_mul_f64 v[25:26], v[7:8], v[25:26]
	ds_read_b128 v[1:4], v85 offset:912
	v_fma_f64 v[41:42], v[172:173], v[41:42], v[163:164]
	v_add_f64 v[86:87], v[86:87], v[166:167]
	s_clause 0x2
	buffer_load_dword v186, off, s[0:3], 0 offset:396
	buffer_load_dword v167, off, s[0:3], 0 offset:372
	;; [unrolled: 1-line block ×3, first 2 shown]
	v_add_f64 v[21:22], v[21:22], v[161:162]
	ds_read_b128 v[161:164], v85 offset:928
	s_waitcnt vmcnt(58) lgkmcnt(1)
	v_mul_f64 v[172:173], v[1:2], v[29:30]
	v_mul_f64 v[29:30], v[3:4], v[29:30]
	s_waitcnt vmcnt(56)
	v_fma_f64 v[25:26], v[5:6], v[31:32], -v[25:26]
	v_fma_f64 v[31:32], v[7:8], v[31:32], v[188:189]
	v_add_f64 v[86:87], v[86:87], v[170:171]
	s_waitcnt vmcnt(52) lgkmcnt(0)
	v_mul_f64 v[189:190], v[161:162], v[37:38]
	v_add_f64 v[21:22], v[21:22], v[41:42]
	s_clause 0x4
	buffer_load_dword v42, off, s[0:3], 0 offset:412
	buffer_load_dword v170, off, s[0:3], 0 offset:424
	;; [unrolled: 1-line block ×5, first 2 shown]
	v_mul_f64 v[37:38], v[163:164], v[37:38]
	s_waitcnt vmcnt(56)
	v_fma_f64 v[29:30], v[1:2], v[23:24], -v[29:30]
	ds_read_b128 v[5:8], v85 offset:944
	v_fma_f64 v[23:24], v[3:4], v[23:24], v[172:173]
	v_add_f64 v[25:26], v[86:87], v[25:26]
	v_add_f64 v[21:22], v[21:22], v[31:32]
	s_clause 0x2
	buffer_load_dword v171, off, s[0:3], 0 offset:428
	buffer_load_dword v32, off, s[0:3], 0 offset:404
	;; [unrolled: 1-line block ×3, first 2 shown]
	s_waitcnt vmcnt(58) lgkmcnt(0)
	v_mul_f64 v[86:87], v[5:6], v[43:44]
	v_mul_f64 v[43:44], v[7:8], v[43:44]
	s_waitcnt vmcnt(56)
	v_fma_f64 v[37:38], v[161:162], v[45:46], -v[37:38]
	ds_read_b128 v[1:4], v85 offset:960
	v_add_f64 v[25:26], v[25:26], v[29:30]
	v_fma_f64 v[29:30], v[163:164], v[45:46], v[189:190]
	v_add_f64 v[45:46], v[21:22], v[23:24]
	s_clause 0x4
	buffer_load_dword v162, off, s[0:3], 0 offset:444
	buffer_load_dword v163, off, s[0:3], 0 offset:456
	;; [unrolled: 1-line block ×5, first 2 shown]
	ds_read_b128 v[21:24], v85 offset:976
	s_waitcnt vmcnt(57) lgkmcnt(1)
	v_mul_f64 v[189:190], v[1:2], v[47:48]
	v_mul_f64 v[47:48], v[3:4], v[47:48]
	s_waitcnt vmcnt(56)
	v_fma_f64 v[43:44], v[5:6], v[27:28], -v[43:44]
	v_fma_f64 v[27:28], v[7:8], v[27:28], v[86:87]
	v_add_f64 v[25:26], v[25:26], v[37:38]
	s_clause 0x2
	buffer_load_dword v164, off, s[0:3], 0 offset:460
	buffer_load_dword v38, off, s[0:3], 0 offset:436
	;; [unrolled: 1-line block ×3, first 2 shown]
	v_add_f64 v[29:30], v[45:46], v[29:30]
	s_waitcnt vmcnt(58) lgkmcnt(0)
	v_mul_f64 v[45:46], v[21:22], v[51:52]
	v_mul_f64 v[51:52], v[23:24], v[51:52]
	ds_read_b128 v[5:8], v85 offset:992
	s_waitcnt vmcnt(56)
	v_fma_f64 v[47:48], v[1:2], v[53:54], -v[47:48]
	v_add_f64 v[25:26], v[25:26], v[43:44]
	v_fma_f64 v[43:44], v[3:4], v[53:54], v[189:190]
	v_add_f64 v[27:28], v[29:30], v[27:28]
	s_clause 0x4
	buffer_load_dword v30, off, s[0:3], 0 offset:476
	buffer_load_dword v53, off, s[0:3], 0 offset:488
	buffer_load_dword v86, off, s[0:3], 0 offset:480
	buffer_load_dword v29, off, s[0:3], 0 offset:472
	buffer_load_dword v173, off, s[0:3], 0 offset:452
	s_waitcnt vmcnt(57) lgkmcnt(0)
	v_mul_f64 v[87:88], v[5:6], v[55:56]
	v_mul_f64 v[55:56], v[7:8], v[55:56]
	s_waitcnt vmcnt(56)
	v_fma_f64 v[51:52], v[21:22], v[39:40], -v[51:52]
	ds_read_b128 v[1:4], v85 offset:1008
	v_fma_f64 v[39:40], v[23:24], v[39:40], v[45:46]
	v_add_f64 v[25:26], v[25:26], v[47:48]
	v_add_f64 v[27:28], v[27:28], v[43:44]
	s_clause 0x2
	buffer_load_dword v54, off, s[0:3], 0 offset:492
	buffer_load_dword v44, off, s[0:3], 0 offset:468
	;; [unrolled: 1-line block ×3, first 2 shown]
	ds_read_b128 v[21:24], v85 offset:1024
	s_waitcnt vmcnt(58) lgkmcnt(1)
	v_mul_f64 v[47:48], v[3:4], v[59:60]
	s_waitcnt vmcnt(56)
	v_fma_f64 v[55:56], v[5:6], v[65:66], -v[55:56]
	v_mul_f64 v[45:46], v[1:2], v[59:60]
	v_add_f64 v[25:26], v[25:26], v[51:52]
	v_fma_f64 v[51:52], v[7:8], v[65:66], v[87:88]
	v_add_f64 v[27:28], v[27:28], v[39:40]
	s_clause 0x4
	buffer_load_dword v40, off, s[0:3], 0 offset:508
	buffer_load_dword v59, off, s[0:3], 0 offset:520
	;; [unrolled: 1-line block ×5, first 2 shown]
	s_waitcnt vmcnt(57) lgkmcnt(0)
	v_mul_f64 v[189:190], v[21:22], v[67:68]
	v_mul_f64 v[66:67], v[23:24], v[67:68]
	s_waitcnt vmcnt(56)
	v_fma_f64 v[47:48], v[1:2], v[49:50], -v[47:48]
	ds_read_b128 v[5:8], v85 offset:1040
	v_fma_f64 v[45:46], v[3:4], v[49:50], v[45:46]
	s_clause 0x2
	buffer_load_dword v60, off, s[0:3], 0 offset:524
	buffer_load_dword v50, off, s[0:3], 0 offset:500
	;; [unrolled: 1-line block ×3, first 2 shown]
	ds_read_b128 v[1:4], v85 offset:1056
	v_add_f64 v[25:26], v[25:26], v[55:56]
	v_add_f64 v[27:28], v[27:28], v[51:52]
	s_waitcnt vmcnt(58) lgkmcnt(1)
	v_mul_f64 v[55:56], v[7:8], v[71:72]
	s_waitcnt vmcnt(56)
	v_fma_f64 v[67:68], v[21:22], v[77:78], -v[66:67]
	v_mul_f64 v[51:52], v[5:6], v[71:72]
	v_add_f64 v[25:26], v[25:26], v[47:48]
	v_fma_f64 v[47:48], v[23:24], v[77:78], v[189:190]
	v_add_f64 v[27:28], v[27:28], v[45:46]
	s_clause 0x4
	buffer_load_dword v46, off, s[0:3], 0 offset:540
	buffer_load_dword v71, off, s[0:3], 0 offset:552
	buffer_load_dword v77, off, s[0:3], 0 offset:544
	buffer_load_dword v45, off, s[0:3], 0 offset:536
	buffer_load_dword v66, off, s[0:3], 0 offset:516
	s_waitcnt vmcnt(57) lgkmcnt(0)
	v_mul_f64 v[189:190], v[1:2], v[79:80]
	v_mul_f64 v[78:79], v[3:4], v[79:80]
	s_waitcnt vmcnt(56)
	v_fma_f64 v[55:56], v[5:6], v[57:58], -v[55:56]
	ds_read_b128 v[21:24], v85 offset:1072
	v_fma_f64 v[51:52], v[7:8], v[57:58], v[51:52]
	v_add_f64 v[25:26], v[25:26], v[67:68]
	v_add_f64 v[27:28], v[27:28], v[47:48]
	s_clause 0x2
	buffer_load_dword v72, off, s[0:3], 0 offset:556
	buffer_load_dword v48, off, s[0:3], 0 offset:532
	;; [unrolled: 1-line block ×3, first 2 shown]
	ds_read_b128 v[5:8], v85 offset:1088
	s_waitcnt vmcnt(58) lgkmcnt(1)
	v_mul_f64 v[67:68], v[23:24], v[81:82]
	s_waitcnt vmcnt(56)
	v_fma_f64 v[79:80], v[1:2], v[83:84], -v[78:79]
	v_mul_f64 v[57:58], v[21:22], v[81:82]
	v_add_f64 v[25:26], v[25:26], v[55:56]
	v_fma_f64 v[55:56], v[3:4], v[83:84], v[189:190]
	v_add_f64 v[27:28], v[27:28], v[51:52]
	s_clause 0x4
	buffer_load_dword v52, off, s[0:3], 0 offset:572
	buffer_load_dword v81, off, s[0:3], 0 offset:584
	;; [unrolled: 1-line block ×5, first 2 shown]
	s_waitcnt vmcnt(57) lgkmcnt(0)
	v_mul_f64 v[189:190], v[5:6], v[174:175]
	v_mul_f64 v[174:175], v[7:8], v[174:175]
	s_waitcnt vmcnt(56)
	v_fma_f64 v[67:68], v[21:22], v[69:70], -v[67:68]
	ds_read_b128 v[1:4], v85 offset:1104
	v_fma_f64 v[57:58], v[23:24], v[69:70], v[57:58]
	v_add_f64 v[25:26], v[25:26], v[79:80]
	v_add_f64 v[27:28], v[27:28], v[55:56]
	s_clause 0x2
	buffer_load_dword v82, off, s[0:3], 0 offset:588
	buffer_load_dword v56, off, s[0:3], 0 offset:564
	;; [unrolled: 1-line block ×3, first 2 shown]
	ds_read_b128 v[21:24], v85 offset:1120
	s_waitcnt vmcnt(58) lgkmcnt(1)
	v_mul_f64 v[79:80], v[3:4], v[176:177]
	s_waitcnt vmcnt(56)
	v_fma_f64 v[174:175], v[5:6], v[181:182], -v[174:175]
	v_mul_f64 v[69:70], v[1:2], v[176:177]
	v_add_f64 v[25:26], v[25:26], v[67:68]
	v_fma_f64 v[67:68], v[7:8], v[181:182], v[189:190]
	v_add_f64 v[27:28], v[27:28], v[57:58]
	s_clause 0x4
	buffer_load_dword v58, off, s[0:3], 0 offset:604
	buffer_load_dword v176, off, s[0:3], 0 offset:616
	;; [unrolled: 1-line block ×5, first 2 shown]
	ds_read_b128 v[5:8], v85 offset:1136
	s_waitcnt vmcnt(57) lgkmcnt(1)
	v_mul_f64 v[181:182], v[21:22], v[168:169]
	v_mul_f64 v[168:169], v[23:24], v[168:169]
	s_waitcnt vmcnt(56)
	v_fma_f64 v[79:80], v[1:2], v[178:179], -v[79:80]
	v_fma_f64 v[69:70], v[3:4], v[178:179], v[69:70]
	v_add_f64 v[25:26], v[25:26], v[174:175]
	v_add_f64 v[27:28], v[27:28], v[67:68]
	s_clause 0x2
	buffer_load_dword v177, off, s[0:3], 0 offset:620
	buffer_load_dword v68, off, s[0:3], 0 offset:596
	;; [unrolled: 1-line block ×3, first 2 shown]
	ds_read_b128 v[1:4], v85 offset:1152
	s_waitcnt vmcnt(58) lgkmcnt(1)
	v_mul_f64 v[178:179], v[7:8], v[185:186]
	v_mul_f64 v[174:175], v[5:6], v[185:186]
	s_waitcnt vmcnt(56)
	v_fma_f64 v[168:169], v[21:22], v[166:167], -v[168:169]
	v_add_f64 v[25:26], v[25:26], v[79:80]
	v_fma_f64 v[79:80], v[23:24], v[166:167], v[181:182]
	v_add_f64 v[27:28], v[27:28], v[69:70]
	s_clause 0x4
	buffer_load_dword v70, off, s[0:3], 0 offset:636
	buffer_load_dword v166, off, s[0:3], 0 offset:648
	buffer_load_dword v185, off, s[0:3], 0 offset:640
	buffer_load_dword v69, off, s[0:3], 0 offset:632
	buffer_load_dword v181, off, s[0:3], 0 offset:612
	ds_read_b128 v[21:24], v85 offset:1168
	s_waitcnt vmcnt(57) lgkmcnt(1)
	v_mul_f64 v[189:190], v[1:2], v[41:42]
	v_mul_f64 v[41:42], v[3:4], v[41:42]
	s_waitcnt vmcnt(56)
	v_fma_f64 v[178:179], v[5:6], v[187:188], -v[178:179]
	v_add_f64 v[25:26], v[25:26], v[168:169]
	v_fma_f64 v[168:169], v[7:8], v[187:188], v[174:175]
	v_add_f64 v[27:28], v[27:28], v[79:80]
	s_clause 0x2
	buffer_load_dword v167, off, s[0:3], 0 offset:652
	buffer_load_dword v80, off, s[0:3], 0 offset:628
	buffer_load_dword v79, off, s[0:3], 0 offset:624
	ds_read_b128 v[5:8], v85 offset:1184
	s_waitcnt vmcnt(58) lgkmcnt(1)
	v_mul_f64 v[174:175], v[21:22], v[170:171]
	v_mul_f64 v[170:171], v[23:24], v[170:171]
	s_waitcnt vmcnt(56)
	v_fma_f64 v[41:42], v[1:2], v[31:32], -v[41:42]
	v_fma_f64 v[31:32], v[3:4], v[31:32], v[189:190]
	v_add_f64 v[25:26], v[25:26], v[178:179]
	v_add_f64 v[27:28], v[27:28], v[168:169]
	s_clause 0x4
	buffer_load_dword v169, off, s[0:3], 0 offset:668
	buffer_load_dword v178, off, s[0:3], 0 offset:680
	buffer_load_dword v182, off, s[0:3], 0 offset:672
	buffer_load_dword v168, off, s[0:3], 0 offset:664
	buffer_load_dword v186, off, s[0:3], 0 offset:644
	ds_read_b128 v[1:4], v85 offset:1200
	s_waitcnt vmcnt(57) lgkmcnt(1)
	v_mul_f64 v[187:188], v[5:6], v[161:162]
	v_mul_f64 v[161:162], v[7:8], v[161:162]
	s_waitcnt vmcnt(56)
	v_fma_f64 v[170:171], v[21:22], v[183:184], -v[170:171]
	v_add_f64 v[25:26], v[25:26], v[41:42]
	v_fma_f64 v[41:42], v[23:24], v[183:184], v[174:175]
	v_add_f64 v[27:28], v[27:28], v[31:32]
	s_clause 0x2
	buffer_load_dword v179, off, s[0:3], 0 offset:684
	buffer_load_dword v32, off, s[0:3], 0 offset:660
	buffer_load_dword v31, off, s[0:3], 0 offset:656
	ds_read_b128 v[21:24], v85 offset:1216
	s_waitcnt vmcnt(58) lgkmcnt(1)
	v_mul_f64 v[174:175], v[1:2], v[163:164]
	v_mul_f64 v[163:164], v[3:4], v[163:164]
	s_waitcnt vmcnt(56)
	v_fma_f64 v[161:162], v[5:6], v[37:38], -v[161:162]
	v_fma_f64 v[37:38], v[7:8], v[37:38], v[187:188]
	v_add_f64 v[25:26], v[25:26], v[170:171]
	;; [unrolled: 28-line block ×3, first 2 shown]
	v_add_f64 v[27:28], v[27:28], v[161:162]
	s_clause 0x4
	buffer_load_dword v162, off, s[0:3], 0 offset:732
	buffer_load_dword v163, off, s[0:3], 0 offset:744
	;; [unrolled: 1-line block ×5, first 2 shown]
	ds_read_b128 v[21:24], v85 offset:1264
	s_waitcnt vmcnt(57) lgkmcnt(1)
	v_mul_f64 v[189:190], v[1:2], v[39:40]
	v_mul_f64 v[39:40], v[3:4], v[39:40]
	s_waitcnt vmcnt(56)
	v_fma_f64 v[53:54], v[5:6], v[86:87], -v[53:54]
	v_add_f64 v[25:26], v[25:26], v[29:30]
	v_fma_f64 v[29:30], v[7:8], v[86:87], v[172:173]
	v_add_f64 v[27:28], v[27:28], v[43:44]
	s_clause 0x2
	buffer_load_dword v164, off, s[0:3], 0 offset:748
	buffer_load_dword v44, off, s[0:3], 0 offset:724
	;; [unrolled: 1-line block ×3, first 2 shown]
	s_waitcnt vmcnt(58) lgkmcnt(0)
	v_mul_f64 v[86:87], v[21:22], v[59:60]
	v_mul_f64 v[59:60], v[23:24], v[59:60]
	ds_read_b128 v[5:8], v85 offset:1280
	s_waitcnt vmcnt(56)
	v_fma_f64 v[39:40], v[1:2], v[49:50], -v[39:40]
	v_fma_f64 v[49:50], v[3:4], v[49:50], v[189:190]
	v_add_f64 v[25:26], v[25:26], v[53:54]
	v_add_f64 v[27:28], v[27:28], v[29:30]
	s_clause 0x4
	buffer_load_dword v30, off, s[0:3], 0 offset:764
	buffer_load_dword v53, off, s[0:3], 0 offset:776
	buffer_load_dword v172, off, s[0:3], 0 offset:768
	buffer_load_dword v29, off, s[0:3], 0 offset:760
	buffer_load_dword v175, off, s[0:3], 0 offset:740
	ds_read_b128 v[1:4], v85 offset:1296
	s_waitcnt vmcnt(57) lgkmcnt(1)
	v_mul_f64 v[189:190], v[5:6], v[45:46]
	v_mul_f64 v[45:46], v[7:8], v[45:46]
	s_waitcnt vmcnt(56)
	v_fma_f64 v[59:60], v[21:22], v[65:66], -v[59:60]
	v_add_f64 v[25:26], v[25:26], v[39:40]
	v_fma_f64 v[39:40], v[23:24], v[65:66], v[86:87]
	v_add_f64 v[27:28], v[27:28], v[49:50]
	s_clause 0x2
	buffer_load_dword v54, off, s[0:3], 0 offset:780
	buffer_load_dword v50, off, s[0:3], 0 offset:756
	;; [unrolled: 1-line block ×3, first 2 shown]
	ds_read_b128 v[21:24], v85 offset:1312
	buffer_load_dword v173, off, s[0:3], 0 offset:772
	s_waitcnt vmcnt(59) lgkmcnt(1)
	v_mul_f64 v[65:66], v[1:2], v[71:72]
	v_mul_f64 v[71:72], v[3:4], v[71:72]
	s_waitcnt vmcnt(57)
	v_fma_f64 v[45:46], v[5:6], v[47:48], -v[45:46]
	v_fma_f64 v[47:48], v[7:8], v[47:48], v[189:190]
	ds_read_b128 v[5:8], v85 offset:1328
	v_add_f64 v[25:26], v[25:26], v[59:60]
	v_add_f64 v[27:28], v[27:28], v[39:40]
	s_waitcnt vmcnt(53) lgkmcnt(1)
	v_mul_f64 v[39:40], v[21:22], v[51:52]
	v_mul_f64 v[51:52], v[23:24], v[51:52]
	s_waitcnt vmcnt(52)
	v_fma_f64 v[59:60], v[1:2], v[77:78], -v[71:72]
	v_add_f64 v[25:26], v[25:26], v[45:46]
	v_fma_f64 v[45:46], v[3:4], v[77:78], v[65:66]
	v_add_f64 v[27:28], v[27:28], v[47:48]
	ds_read_b128 v[1:4], v85 offset:1344
	s_waitcnt vmcnt(51) lgkmcnt(1)
	v_mul_f64 v[65:66], v[7:8], v[81:82]
	v_mul_f64 v[47:48], v[5:6], v[81:82]
	s_waitcnt vmcnt(49)
	v_fma_f64 v[51:52], v[21:22], v[55:56], -v[51:52]
	v_fma_f64 v[39:40], v[23:24], v[55:56], v[39:40]
	v_add_f64 v[25:26], v[25:26], v[59:60]
	v_add_f64 v[27:28], v[27:28], v[45:46]
	s_clause 0x3
	buffer_load_dword v45, off, s[0:3], 0 offset:80
	buffer_load_dword v46, off, s[0:3], 0 offset:84
	;; [unrolled: 1-line block ×4, first 2 shown]
	ds_read_b128 v[21:24], v85 offset:1360
	s_waitcnt vmcnt(49) lgkmcnt(1)
	v_mul_f64 v[59:60], v[1:2], v[57:58]
	v_mul_f64 v[57:58], v[3:4], v[57:58]
	s_waitcnt vmcnt(48)
	v_fma_f64 v[65:66], v[5:6], v[83:84], -v[65:66]
	v_fma_f64 v[47:48], v[7:8], v[83:84], v[47:48]
	ds_read_b128 v[5:8], v85 offset:1376
	v_add_f64 v[25:26], v[25:26], v[51:52]
	v_add_f64 v[27:28], v[27:28], v[39:40]
	s_waitcnt vmcnt(47) lgkmcnt(1)
	v_mul_f64 v[51:52], v[23:24], v[176:177]
	v_mul_f64 v[39:40], v[21:22], v[176:177]
	s_waitcnt vmcnt(45)
	v_fma_f64 v[57:58], v[1:2], v[67:68], -v[57:58]
	v_fma_f64 v[59:60], v[3:4], v[67:68], v[59:60]
	ds_read_b128 v[1:4], v85 offset:1392
	v_add_f64 v[25:26], v[25:26], v[65:66]
	v_add_f64 v[27:28], v[27:28], v[47:48]
	s_waitcnt vmcnt(41) lgkmcnt(1)
	v_mul_f64 v[65:66], v[7:8], v[69:70]
	s_waitcnt vmcnt(40)
	v_fma_f64 v[51:52], v[21:22], v[180:181], -v[51:52]
	v_mul_f64 v[47:48], v[5:6], v[69:70]
	v_fma_f64 v[39:40], v[23:24], v[180:181], v[39:40]
	ds_read_b128 v[21:24], v85 offset:1408
	v_add_f64 v[25:26], v[25:26], v[57:58]
	v_add_f64 v[27:28], v[27:28], v[59:60]
	s_waitcnt vmcnt(39) lgkmcnt(1)
	v_mul_f64 v[59:60], v[3:4], v[166:167]
	v_mul_f64 v[57:58], v[1:2], v[166:167]
	s_waitcnt vmcnt(37)
	v_fma_f64 v[65:66], v[5:6], v[79:80], -v[65:66]
	v_fma_f64 v[47:48], v[7:8], v[79:80], v[47:48]
	ds_read_b128 v[5:8], v85 offset:1424
	v_add_f64 v[25:26], v[25:26], v[51:52]
	v_add_f64 v[27:28], v[27:28], v[39:40]
	s_waitcnt vmcnt(33) lgkmcnt(1)
	v_mul_f64 v[51:52], v[23:24], v[168:169]
	s_waitcnt vmcnt(32)
	v_fma_f64 v[59:60], v[1:2], v[185:186], -v[59:60]
	v_mul_f64 v[39:40], v[21:22], v[168:169]
	v_fma_f64 v[57:58], v[3:4], v[185:186], v[57:58]
	ds_read_b128 v[1:4], v85 offset:1440
	v_add_f64 v[25:26], v[25:26], v[65:66]
	v_add_f64 v[27:28], v[27:28], v[47:48]
	s_waitcnt vmcnt(31) lgkmcnt(1)
	v_mul_f64 v[65:66], v[7:8], v[178:179]
	v_mul_f64 v[47:48], v[5:6], v[178:179]
	s_waitcnt vmcnt(29)
	v_fma_f64 v[51:52], v[21:22], v[31:32], -v[51:52]
	v_fma_f64 v[31:32], v[23:24], v[31:32], v[39:40]
	ds_read_b128 v[21:24], v85 offset:1456
	v_add_f64 v[25:26], v[25:26], v[59:60]
	v_add_f64 v[27:28], v[27:28], v[57:58]
	s_waitcnt vmcnt(25) lgkmcnt(1)
	v_mul_f64 v[39:40], v[1:2], v[41:42]
	v_mul_f64 v[41:42], v[3:4], v[41:42]
	s_waitcnt vmcnt(24)
	v_fma_f64 v[57:58], v[5:6], v[182:183], -v[65:66]
	;; [unrolled: 9-line block ×3, first 2 shown]
	v_fma_f64 v[37:38], v[3:4], v[37:38], v[39:40]
	ds_read_b128 v[1:4], v85 offset:1488
	v_add_f64 v[25:26], v[25:26], v[57:58]
	v_add_f64 v[27:28], v[27:28], v[47:48]
	s_waitcnt vmcnt(17) lgkmcnt(1)
	v_mul_f64 v[47:48], v[7:8], v[161:162]
	s_waitcnt vmcnt(16)
	v_fma_f64 v[51:52], v[21:22], v[187:188], -v[51:52]
	v_mul_f64 v[39:40], v[5:6], v[161:162]
	v_fma_f64 v[31:32], v[23:24], v[187:188], v[31:32]
	ds_read_b128 v[21:24], v85 offset:1504
	v_add_f64 v[25:26], v[25:26], v[41:42]
	v_add_f64 v[27:28], v[27:28], v[37:38]
	s_waitcnt vmcnt(15) lgkmcnt(1)
	v_mul_f64 v[41:42], v[3:4], v[163:164]
	v_mul_f64 v[37:38], v[1:2], v[163:164]
	s_waitcnt vmcnt(13)
	v_fma_f64 v[47:48], v[5:6], v[43:44], -v[47:48]
	v_fma_f64 v[39:40], v[7:8], v[43:44], v[39:40]
	ds_read_b128 v[5:8], v85 offset:1520
	v_add_f64 v[25:26], v[25:26], v[51:52]
	v_add_f64 v[27:28], v[27:28], v[31:32]
	s_waitcnt vmcnt(9) lgkmcnt(1)
	v_mul_f64 v[31:32], v[21:22], v[29:30]
	v_mul_f64 v[29:30], v[23:24], v[29:30]
	s_waitcnt vmcnt(8)
	v_fma_f64 v[1:2], v[1:2], v[174:175], -v[41:42]
	v_fma_f64 v[3:4], v[3:4], v[174:175], v[37:38]
	v_add_f64 v[25:26], v[25:26], v[47:48]
	v_add_f64 v[27:28], v[27:28], v[39:40]
	s_waitcnt vmcnt(7) lgkmcnt(0)
	v_mul_f64 v[39:40], v[7:8], v[53:54]
	v_mul_f64 v[37:38], v[5:6], v[53:54]
	s_waitcnt vmcnt(5)
	v_fma_f64 v[21:22], v[21:22], v[49:50], -v[29:30]
	v_fma_f64 v[23:24], v[23:24], v[49:50], v[31:32]
	v_add_f64 v[1:2], v[25:26], v[1:2]
	v_add_f64 v[3:4], v[27:28], v[3:4]
	s_waitcnt vmcnt(4)
	v_fma_f64 v[5:6], v[5:6], v[172:173], -v[39:40]
	v_fma_f64 v[7:8], v[7:8], v[172:173], v[37:38]
	v_add_f64 v[1:2], v[1:2], v[21:22]
	v_add_f64 v[3:4], v[3:4], v[23:24]
	;; [unrolled: 1-line block ×4, first 2 shown]
	s_waitcnt vmcnt(2)
	v_add_f64 v[1:2], v[45:46], -v[1:2]
	s_waitcnt vmcnt(0)
	v_add_f64 v[3:4], v[55:56], -v[3:4]
	buffer_store_dword v2, off, s[0:3], 0 offset:84
	buffer_store_dword v1, off, s[0:3], 0 offset:80
	;; [unrolled: 1-line block ×4, first 2 shown]
	v_cmpx_lt_u32_e32 3, v0
	s_cbranch_execz .LBB47_295
; %bb.294:
	v_mov_b32_e32 v4, s57
	s_clause 0x3
	buffer_load_dword v1, v4, s[0:3], 0 offen
	buffer_load_dword v2, v4, s[0:3], 0 offen offset:4
	buffer_load_dword v3, v4, s[0:3], 0 offen offset:8
	;; [unrolled: 1-line block ×3, first 2 shown]
	buffer_store_dword v85, off, s[0:3], 0 offset:64
	buffer_store_dword v85, off, s[0:3], 0 offset:68
	;; [unrolled: 1-line block ×4, first 2 shown]
	s_waitcnt vmcnt(0)
	ds_write_b128 v165, v[1:4]
.LBB47_295:
	s_or_b32 exec_lo, exec_lo, s4
	s_waitcnt lgkmcnt(0)
	s_waitcnt_vscnt null, 0x0
	s_barrier
	buffer_gl0_inv
	s_clause 0x37
	buffer_load_dword v21, off, s[0:3], 0 offset:88
	buffer_load_dword v22, off, s[0:3], 0 offset:92
	;; [unrolled: 1-line block ×56, first 2 shown]
	ds_read_b128 v[161:164], v85 offset:832
	s_clause 0x2
	buffer_load_dword v82, off, s[0:3], 0 offset:316
	buffer_load_dword v84, off, s[0:3], 0 offset:292
	buffer_load_dword v83, off, s[0:3], 0 offset:288
	ds_read_b128 v[166:169], v85 offset:848
	s_clause 0x4
	buffer_load_dword v175, off, s[0:3], 0 offset:332
	buffer_load_dword v176, off, s[0:3], 0 offset:344
	;; [unrolled: 1-line block ×5, first 2 shown]
	ds_read_b128 v[170:173], v85 offset:864
	s_clause 0x2
	buffer_load_dword v177, off, s[0:3], 0 offset:348
	buffer_load_dword v182, off, s[0:3], 0 offset:324
	;; [unrolled: 1-line block ×3, first 2 shown]
	s_mov_b32 s4, exec_lo
	s_waitcnt vmcnt(62) lgkmcnt(2)
	v_mul_f64 v[86:87], v[163:164], v[21:22]
	v_mul_f64 v[21:22], v[161:162], v[21:22]
	s_waitcnt lgkmcnt(1)
	v_mul_f64 v[179:180], v[168:169], v[5:6]
	s_waitcnt vmcnt(59) lgkmcnt(0)
	v_mul_f64 v[183:184], v[172:173], v[3:4]
	v_fma_f64 v[86:87], v[161:162], v[7:8], -v[86:87]
	v_mul_f64 v[161:162], v[166:167], v[5:6]
	v_fma_f64 v[21:22], v[163:164], v[7:8], v[21:22]
	s_waitcnt vmcnt(57)
	v_fma_f64 v[166:167], v[166:167], v[1:2], -v[179:180]
	ds_read_b128 v[5:8], v85 offset:880
	v_mul_f64 v[163:164], v[170:171], v[3:4]
	s_waitcnt vmcnt(51)
	v_fma_f64 v[170:171], v[170:171], v[41:42], -v[183:184]
	v_add_f64 v[86:87], v[86:87], 0
	v_fma_f64 v[161:162], v[168:169], v[1:2], v[161:162]
	v_add_f64 v[21:22], v[21:22], 0
	s_clause 0x4
	buffer_load_dword v169, off, s[0:3], 0 offset:364
	buffer_load_dword v185, off, s[0:3], 0 offset:376
	;; [unrolled: 1-line block ×5, first 2 shown]
	s_waitcnt lgkmcnt(0)
	v_mul_f64 v[188:189], v[5:6], v[25:26]
	v_mul_f64 v[25:26], v[7:8], v[25:26]
	ds_read_b128 v[1:4], v85 offset:896
	v_fma_f64 v[41:42], v[172:173], v[41:42], v[163:164]
	v_add_f64 v[86:87], v[86:87], v[166:167]
	s_clause 0x2
	buffer_load_dword v186, off, s[0:3], 0 offset:380
	buffer_load_dword v167, off, s[0:3], 0 offset:356
	;; [unrolled: 1-line block ×3, first 2 shown]
	v_add_f64 v[21:22], v[21:22], v[161:162]
	ds_read_b128 v[161:164], v85 offset:912
	s_waitcnt vmcnt(58) lgkmcnt(1)
	v_mul_f64 v[172:173], v[1:2], v[29:30]
	v_mul_f64 v[29:30], v[3:4], v[29:30]
	s_waitcnt vmcnt(56)
	v_fma_f64 v[25:26], v[5:6], v[31:32], -v[25:26]
	v_fma_f64 v[31:32], v[7:8], v[31:32], v[188:189]
	v_add_f64 v[86:87], v[86:87], v[170:171]
	s_waitcnt vmcnt(52) lgkmcnt(0)
	v_mul_f64 v[189:190], v[161:162], v[37:38]
	v_add_f64 v[21:22], v[21:22], v[41:42]
	s_clause 0x4
	buffer_load_dword v42, off, s[0:3], 0 offset:396
	buffer_load_dword v170, off, s[0:3], 0 offset:408
	;; [unrolled: 1-line block ×5, first 2 shown]
	v_mul_f64 v[37:38], v[163:164], v[37:38]
	s_waitcnt vmcnt(56)
	v_fma_f64 v[29:30], v[1:2], v[23:24], -v[29:30]
	ds_read_b128 v[5:8], v85 offset:928
	v_fma_f64 v[23:24], v[3:4], v[23:24], v[172:173]
	v_add_f64 v[25:26], v[86:87], v[25:26]
	v_add_f64 v[21:22], v[21:22], v[31:32]
	s_clause 0x2
	buffer_load_dword v171, off, s[0:3], 0 offset:412
	buffer_load_dword v32, off, s[0:3], 0 offset:388
	;; [unrolled: 1-line block ×3, first 2 shown]
	s_waitcnt vmcnt(58) lgkmcnt(0)
	v_mul_f64 v[86:87], v[5:6], v[43:44]
	v_mul_f64 v[43:44], v[7:8], v[43:44]
	s_waitcnt vmcnt(56)
	v_fma_f64 v[37:38], v[161:162], v[45:46], -v[37:38]
	ds_read_b128 v[1:4], v85 offset:944
	v_add_f64 v[25:26], v[25:26], v[29:30]
	v_fma_f64 v[29:30], v[163:164], v[45:46], v[189:190]
	v_add_f64 v[45:46], v[21:22], v[23:24]
	s_clause 0x4
	buffer_load_dword v162, off, s[0:3], 0 offset:428
	buffer_load_dword v163, off, s[0:3], 0 offset:440
	buffer_load_dword v172, off, s[0:3], 0 offset:432
	buffer_load_dword v161, off, s[0:3], 0 offset:424
	buffer_load_dword v184, off, s[0:3], 0 offset:404
	ds_read_b128 v[21:24], v85 offset:960
	s_waitcnt vmcnt(57) lgkmcnt(1)
	v_mul_f64 v[189:190], v[1:2], v[47:48]
	v_mul_f64 v[47:48], v[3:4], v[47:48]
	s_waitcnt vmcnt(56)
	v_fma_f64 v[43:44], v[5:6], v[27:28], -v[43:44]
	v_fma_f64 v[27:28], v[7:8], v[27:28], v[86:87]
	v_add_f64 v[25:26], v[25:26], v[37:38]
	s_clause 0x2
	buffer_load_dword v164, off, s[0:3], 0 offset:444
	buffer_load_dword v38, off, s[0:3], 0 offset:420
	;; [unrolled: 1-line block ×3, first 2 shown]
	v_add_f64 v[29:30], v[45:46], v[29:30]
	s_waitcnt vmcnt(58) lgkmcnt(0)
	v_mul_f64 v[45:46], v[21:22], v[51:52]
	v_mul_f64 v[51:52], v[23:24], v[51:52]
	ds_read_b128 v[5:8], v85 offset:976
	s_waitcnt vmcnt(56)
	v_fma_f64 v[47:48], v[1:2], v[53:54], -v[47:48]
	v_add_f64 v[25:26], v[25:26], v[43:44]
	v_fma_f64 v[43:44], v[3:4], v[53:54], v[189:190]
	v_add_f64 v[27:28], v[29:30], v[27:28]
	s_clause 0x4
	buffer_load_dword v30, off, s[0:3], 0 offset:460
	buffer_load_dword v53, off, s[0:3], 0 offset:472
	buffer_load_dword v86, off, s[0:3], 0 offset:464
	buffer_load_dword v29, off, s[0:3], 0 offset:456
	buffer_load_dword v173, off, s[0:3], 0 offset:436
	s_waitcnt vmcnt(57) lgkmcnt(0)
	v_mul_f64 v[87:88], v[5:6], v[55:56]
	v_mul_f64 v[55:56], v[7:8], v[55:56]
	s_waitcnt vmcnt(56)
	v_fma_f64 v[51:52], v[21:22], v[39:40], -v[51:52]
	ds_read_b128 v[1:4], v85 offset:992
	v_fma_f64 v[39:40], v[23:24], v[39:40], v[45:46]
	v_add_f64 v[25:26], v[25:26], v[47:48]
	v_add_f64 v[27:28], v[27:28], v[43:44]
	s_clause 0x2
	buffer_load_dword v54, off, s[0:3], 0 offset:476
	buffer_load_dword v44, off, s[0:3], 0 offset:452
	buffer_load_dword v43, off, s[0:3], 0 offset:448
	ds_read_b128 v[21:24], v85 offset:1008
	s_waitcnt vmcnt(58) lgkmcnt(1)
	v_mul_f64 v[47:48], v[3:4], v[59:60]
	s_waitcnt vmcnt(56)
	v_fma_f64 v[55:56], v[5:6], v[65:66], -v[55:56]
	v_mul_f64 v[45:46], v[1:2], v[59:60]
	v_add_f64 v[25:26], v[25:26], v[51:52]
	v_fma_f64 v[51:52], v[7:8], v[65:66], v[87:88]
	v_add_f64 v[27:28], v[27:28], v[39:40]
	s_clause 0x4
	buffer_load_dword v40, off, s[0:3], 0 offset:492
	buffer_load_dword v59, off, s[0:3], 0 offset:504
	buffer_load_dword v65, off, s[0:3], 0 offset:496
	buffer_load_dword v39, off, s[0:3], 0 offset:488
	buffer_load_dword v87, off, s[0:3], 0 offset:468
	s_waitcnt vmcnt(57) lgkmcnt(0)
	v_mul_f64 v[189:190], v[21:22], v[67:68]
	v_mul_f64 v[66:67], v[23:24], v[67:68]
	s_waitcnt vmcnt(56)
	v_fma_f64 v[47:48], v[1:2], v[49:50], -v[47:48]
	ds_read_b128 v[5:8], v85 offset:1024
	v_fma_f64 v[45:46], v[3:4], v[49:50], v[45:46]
	s_clause 0x2
	buffer_load_dword v60, off, s[0:3], 0 offset:508
	buffer_load_dword v50, off, s[0:3], 0 offset:484
	;; [unrolled: 1-line block ×3, first 2 shown]
	ds_read_b128 v[1:4], v85 offset:1040
	v_add_f64 v[25:26], v[25:26], v[55:56]
	v_add_f64 v[27:28], v[27:28], v[51:52]
	s_waitcnt vmcnt(58) lgkmcnt(1)
	v_mul_f64 v[55:56], v[7:8], v[71:72]
	s_waitcnt vmcnt(56)
	v_fma_f64 v[67:68], v[21:22], v[77:78], -v[66:67]
	v_mul_f64 v[51:52], v[5:6], v[71:72]
	v_add_f64 v[25:26], v[25:26], v[47:48]
	v_fma_f64 v[47:48], v[23:24], v[77:78], v[189:190]
	v_add_f64 v[27:28], v[27:28], v[45:46]
	s_clause 0x4
	buffer_load_dword v46, off, s[0:3], 0 offset:524
	buffer_load_dword v71, off, s[0:3], 0 offset:536
	;; [unrolled: 1-line block ×5, first 2 shown]
	s_waitcnt vmcnt(57) lgkmcnt(0)
	v_mul_f64 v[189:190], v[1:2], v[79:80]
	v_mul_f64 v[78:79], v[3:4], v[79:80]
	s_waitcnt vmcnt(56)
	v_fma_f64 v[55:56], v[5:6], v[57:58], -v[55:56]
	ds_read_b128 v[21:24], v85 offset:1056
	v_fma_f64 v[51:52], v[7:8], v[57:58], v[51:52]
	v_add_f64 v[25:26], v[25:26], v[67:68]
	v_add_f64 v[27:28], v[27:28], v[47:48]
	s_clause 0x2
	buffer_load_dword v72, off, s[0:3], 0 offset:540
	buffer_load_dword v48, off, s[0:3], 0 offset:516
	;; [unrolled: 1-line block ×3, first 2 shown]
	ds_read_b128 v[5:8], v85 offset:1072
	s_waitcnt vmcnt(58) lgkmcnt(1)
	v_mul_f64 v[67:68], v[23:24], v[81:82]
	s_waitcnt vmcnt(56)
	v_fma_f64 v[79:80], v[1:2], v[83:84], -v[78:79]
	v_mul_f64 v[57:58], v[21:22], v[81:82]
	v_add_f64 v[25:26], v[25:26], v[55:56]
	v_fma_f64 v[55:56], v[3:4], v[83:84], v[189:190]
	v_add_f64 v[27:28], v[27:28], v[51:52]
	s_clause 0x4
	buffer_load_dword v52, off, s[0:3], 0 offset:556
	buffer_load_dword v81, off, s[0:3], 0 offset:568
	buffer_load_dword v83, off, s[0:3], 0 offset:560
	buffer_load_dword v51, off, s[0:3], 0 offset:552
	buffer_load_dword v78, off, s[0:3], 0 offset:532
	s_waitcnt vmcnt(57) lgkmcnt(0)
	v_mul_f64 v[189:190], v[5:6], v[174:175]
	v_mul_f64 v[174:175], v[7:8], v[174:175]
	s_waitcnt vmcnt(56)
	v_fma_f64 v[67:68], v[21:22], v[69:70], -v[67:68]
	ds_read_b128 v[1:4], v85 offset:1088
	v_fma_f64 v[57:58], v[23:24], v[69:70], v[57:58]
	v_add_f64 v[25:26], v[25:26], v[79:80]
	v_add_f64 v[27:28], v[27:28], v[55:56]
	s_clause 0x2
	buffer_load_dword v82, off, s[0:3], 0 offset:572
	buffer_load_dword v56, off, s[0:3], 0 offset:548
	;; [unrolled: 1-line block ×3, first 2 shown]
	ds_read_b128 v[21:24], v85 offset:1104
	s_waitcnt vmcnt(58) lgkmcnt(1)
	v_mul_f64 v[79:80], v[3:4], v[176:177]
	s_waitcnt vmcnt(56)
	v_fma_f64 v[174:175], v[5:6], v[181:182], -v[174:175]
	v_mul_f64 v[69:70], v[1:2], v[176:177]
	v_add_f64 v[25:26], v[25:26], v[67:68]
	v_fma_f64 v[67:68], v[7:8], v[181:182], v[189:190]
	v_add_f64 v[27:28], v[27:28], v[57:58]
	s_clause 0x4
	buffer_load_dword v58, off, s[0:3], 0 offset:588
	buffer_load_dword v176, off, s[0:3], 0 offset:600
	;; [unrolled: 1-line block ×5, first 2 shown]
	ds_read_b128 v[5:8], v85 offset:1120
	s_waitcnt vmcnt(57) lgkmcnt(1)
	v_mul_f64 v[181:182], v[21:22], v[168:169]
	v_mul_f64 v[168:169], v[23:24], v[168:169]
	s_waitcnt vmcnt(56)
	v_fma_f64 v[79:80], v[1:2], v[178:179], -v[79:80]
	v_fma_f64 v[69:70], v[3:4], v[178:179], v[69:70]
	v_add_f64 v[25:26], v[25:26], v[174:175]
	v_add_f64 v[27:28], v[27:28], v[67:68]
	s_clause 0x2
	buffer_load_dword v177, off, s[0:3], 0 offset:604
	buffer_load_dword v68, off, s[0:3], 0 offset:580
	buffer_load_dword v67, off, s[0:3], 0 offset:576
	ds_read_b128 v[1:4], v85 offset:1136
	s_waitcnt vmcnt(58) lgkmcnt(1)
	v_mul_f64 v[178:179], v[7:8], v[185:186]
	v_mul_f64 v[174:175], v[5:6], v[185:186]
	s_waitcnt vmcnt(56)
	v_fma_f64 v[168:169], v[21:22], v[166:167], -v[168:169]
	v_add_f64 v[25:26], v[25:26], v[79:80]
	v_fma_f64 v[79:80], v[23:24], v[166:167], v[181:182]
	v_add_f64 v[27:28], v[27:28], v[69:70]
	s_clause 0x4
	buffer_load_dword v70, off, s[0:3], 0 offset:620
	buffer_load_dword v166, off, s[0:3], 0 offset:632
	buffer_load_dword v185, off, s[0:3], 0 offset:624
	buffer_load_dword v69, off, s[0:3], 0 offset:616
	buffer_load_dword v181, off, s[0:3], 0 offset:596
	ds_read_b128 v[21:24], v85 offset:1152
	s_waitcnt vmcnt(57) lgkmcnt(1)
	v_mul_f64 v[189:190], v[1:2], v[41:42]
	v_mul_f64 v[41:42], v[3:4], v[41:42]
	s_waitcnt vmcnt(56)
	v_fma_f64 v[178:179], v[5:6], v[187:188], -v[178:179]
	v_add_f64 v[25:26], v[25:26], v[168:169]
	v_fma_f64 v[168:169], v[7:8], v[187:188], v[174:175]
	v_add_f64 v[27:28], v[27:28], v[79:80]
	s_clause 0x2
	buffer_load_dword v167, off, s[0:3], 0 offset:636
	buffer_load_dword v80, off, s[0:3], 0 offset:612
	buffer_load_dword v79, off, s[0:3], 0 offset:608
	ds_read_b128 v[5:8], v85 offset:1168
	s_waitcnt vmcnt(58) lgkmcnt(1)
	v_mul_f64 v[174:175], v[21:22], v[170:171]
	v_mul_f64 v[170:171], v[23:24], v[170:171]
	s_waitcnt vmcnt(56)
	v_fma_f64 v[41:42], v[1:2], v[31:32], -v[41:42]
	v_fma_f64 v[31:32], v[3:4], v[31:32], v[189:190]
	v_add_f64 v[25:26], v[25:26], v[178:179]
	v_add_f64 v[27:28], v[27:28], v[168:169]
	s_clause 0x4
	buffer_load_dword v169, off, s[0:3], 0 offset:652
	buffer_load_dword v178, off, s[0:3], 0 offset:664
	buffer_load_dword v182, off, s[0:3], 0 offset:656
	buffer_load_dword v168, off, s[0:3], 0 offset:648
	buffer_load_dword v186, off, s[0:3], 0 offset:628
	ds_read_b128 v[1:4], v85 offset:1184
	s_waitcnt vmcnt(57) lgkmcnt(1)
	v_mul_f64 v[187:188], v[5:6], v[161:162]
	v_mul_f64 v[161:162], v[7:8], v[161:162]
	s_waitcnt vmcnt(56)
	v_fma_f64 v[170:171], v[21:22], v[183:184], -v[170:171]
	v_add_f64 v[25:26], v[25:26], v[41:42]
	v_fma_f64 v[41:42], v[23:24], v[183:184], v[174:175]
	v_add_f64 v[27:28], v[27:28], v[31:32]
	s_clause 0x2
	buffer_load_dword v179, off, s[0:3], 0 offset:668
	buffer_load_dword v32, off, s[0:3], 0 offset:644
	buffer_load_dword v31, off, s[0:3], 0 offset:640
	ds_read_b128 v[21:24], v85 offset:1200
	s_waitcnt vmcnt(58) lgkmcnt(1)
	v_mul_f64 v[174:175], v[1:2], v[163:164]
	v_mul_f64 v[163:164], v[3:4], v[163:164]
	s_waitcnt vmcnt(56)
	v_fma_f64 v[161:162], v[5:6], v[37:38], -v[161:162]
	v_fma_f64 v[37:38], v[7:8], v[37:38], v[187:188]
	v_add_f64 v[25:26], v[25:26], v[170:171]
	;; [unrolled: 28-line block ×3, first 2 shown]
	v_add_f64 v[27:28], v[27:28], v[161:162]
	s_clause 0x4
	buffer_load_dword v162, off, s[0:3], 0 offset:716
	buffer_load_dword v163, off, s[0:3], 0 offset:728
	;; [unrolled: 1-line block ×5, first 2 shown]
	ds_read_b128 v[21:24], v85 offset:1248
	s_waitcnt vmcnt(57) lgkmcnt(1)
	v_mul_f64 v[189:190], v[1:2], v[39:40]
	v_mul_f64 v[39:40], v[3:4], v[39:40]
	s_waitcnt vmcnt(56)
	v_fma_f64 v[53:54], v[5:6], v[86:87], -v[53:54]
	v_add_f64 v[25:26], v[25:26], v[29:30]
	v_fma_f64 v[29:30], v[7:8], v[86:87], v[172:173]
	v_add_f64 v[27:28], v[27:28], v[43:44]
	s_clause 0x2
	buffer_load_dword v164, off, s[0:3], 0 offset:732
	buffer_load_dword v44, off, s[0:3], 0 offset:708
	;; [unrolled: 1-line block ×3, first 2 shown]
	s_waitcnt vmcnt(58) lgkmcnt(0)
	v_mul_f64 v[86:87], v[21:22], v[59:60]
	v_mul_f64 v[59:60], v[23:24], v[59:60]
	ds_read_b128 v[5:8], v85 offset:1264
	s_waitcnt vmcnt(56)
	v_fma_f64 v[39:40], v[1:2], v[49:50], -v[39:40]
	v_fma_f64 v[49:50], v[3:4], v[49:50], v[189:190]
	v_add_f64 v[25:26], v[25:26], v[53:54]
	v_add_f64 v[27:28], v[27:28], v[29:30]
	s_clause 0x4
	buffer_load_dword v30, off, s[0:3], 0 offset:748
	buffer_load_dword v53, off, s[0:3], 0 offset:760
	;; [unrolled: 1-line block ×5, first 2 shown]
	ds_read_b128 v[1:4], v85 offset:1280
	s_waitcnt vmcnt(57) lgkmcnt(1)
	v_mul_f64 v[189:190], v[5:6], v[45:46]
	v_mul_f64 v[45:46], v[7:8], v[45:46]
	s_waitcnt vmcnt(56)
	v_fma_f64 v[59:60], v[21:22], v[65:66], -v[59:60]
	v_add_f64 v[25:26], v[25:26], v[39:40]
	v_fma_f64 v[39:40], v[23:24], v[65:66], v[86:87]
	v_add_f64 v[27:28], v[27:28], v[49:50]
	s_clause 0x2
	buffer_load_dword v54, off, s[0:3], 0 offset:764
	buffer_load_dword v50, off, s[0:3], 0 offset:740
	;; [unrolled: 1-line block ×3, first 2 shown]
	ds_read_b128 v[21:24], v85 offset:1296
	s_waitcnt vmcnt(58) lgkmcnt(1)
	v_mul_f64 v[65:66], v[1:2], v[71:72]
	v_mul_f64 v[71:72], v[3:4], v[71:72]
	s_waitcnt vmcnt(56)
	v_fma_f64 v[45:46], v[5:6], v[47:48], -v[45:46]
	v_fma_f64 v[47:48], v[7:8], v[47:48], v[189:190]
	v_add_f64 v[25:26], v[25:26], v[59:60]
	v_add_f64 v[27:28], v[27:28], v[39:40]
	s_clause 0x2
	buffer_load_dword v40, off, s[0:3], 0 offset:780
	buffer_load_dword v39, off, s[0:3], 0 offset:776
	;; [unrolled: 1-line block ×3, first 2 shown]
	ds_read_b128 v[5:8], v85 offset:1312
	s_waitcnt vmcnt(55) lgkmcnt(1)
	v_mul_f64 v[59:60], v[21:22], v[51:52]
	v_mul_f64 v[51:52], v[23:24], v[51:52]
	s_waitcnt vmcnt(54)
	v_fma_f64 v[71:72], v[1:2], v[77:78], -v[71:72]
	v_add_f64 v[25:26], v[25:26], v[45:46]
	v_fma_f64 v[45:46], v[3:4], v[77:78], v[65:66]
	v_add_f64 v[27:28], v[27:28], v[47:48]
	s_clause 0x1
	buffer_load_dword v48, off, s[0:3], 0 offset:772
	buffer_load_dword v47, off, s[0:3], 0 offset:768
	ds_read_b128 v[1:4], v85 offset:1328
	s_waitcnt vmcnt(55) lgkmcnt(1)
	v_mul_f64 v[77:78], v[7:8], v[81:82]
	v_mul_f64 v[65:66], v[5:6], v[81:82]
	s_waitcnt vmcnt(53)
	v_fma_f64 v[51:52], v[21:22], v[55:56], -v[51:52]
	v_fma_f64 v[55:56], v[23:24], v[55:56], v[59:60]
	ds_read_b128 v[21:24], v85 offset:1344
	v_add_f64 v[25:26], v[25:26], v[71:72]
	v_add_f64 v[27:28], v[27:28], v[45:46]
	s_waitcnt vmcnt(49) lgkmcnt(1)
	v_mul_f64 v[45:46], v[1:2], v[57:58]
	v_mul_f64 v[57:58], v[3:4], v[57:58]
	s_waitcnt vmcnt(48)
	v_fma_f64 v[59:60], v[5:6], v[83:84], -v[77:78]
	v_add_f64 v[25:26], v[25:26], v[51:52]
	v_fma_f64 v[51:52], v[7:8], v[83:84], v[65:66]
	v_add_f64 v[27:28], v[27:28], v[55:56]
	s_clause 0x3
	buffer_load_dword v55, off, s[0:3], 0 offset:64
	buffer_load_dword v56, off, s[0:3], 0 offset:68
	;; [unrolled: 1-line block ×4, first 2 shown]
	ds_read_b128 v[5:8], v85 offset:1360
	s_waitcnt vmcnt(51) lgkmcnt(1)
	v_mul_f64 v[77:78], v[23:24], v[176:177]
	v_mul_f64 v[71:72], v[21:22], v[176:177]
	s_waitcnt vmcnt(49)
	v_fma_f64 v[57:58], v[1:2], v[67:68], -v[57:58]
	v_fma_f64 v[45:46], v[3:4], v[67:68], v[45:46]
	ds_read_b128 v[1:4], v85 offset:1376
	v_add_f64 v[25:26], v[25:26], v[59:60]
	v_add_f64 v[27:28], v[27:28], v[51:52]
	s_waitcnt vmcnt(45) lgkmcnt(1)
	v_mul_f64 v[59:60], v[7:8], v[69:70]
	s_waitcnt vmcnt(44)
	v_fma_f64 v[67:68], v[21:22], v[180:181], -v[77:78]
	v_mul_f64 v[51:52], v[5:6], v[69:70]
	v_add_f64 v[25:26], v[25:26], v[57:58]
	v_fma_f64 v[57:58], v[23:24], v[180:181], v[71:72]
	v_add_f64 v[27:28], v[27:28], v[45:46]
	ds_read_b128 v[21:24], v85 offset:1392
	s_waitcnt vmcnt(43) lgkmcnt(1)
	v_mul_f64 v[69:70], v[3:4], v[166:167]
	v_mul_f64 v[45:46], v[1:2], v[166:167]
	s_waitcnt vmcnt(41)
	v_fma_f64 v[59:60], v[5:6], v[79:80], -v[59:60]
	v_fma_f64 v[51:52], v[7:8], v[79:80], v[51:52]
	ds_read_b128 v[5:8], v85 offset:1408
	v_add_f64 v[25:26], v[25:26], v[67:68]
	v_add_f64 v[27:28], v[27:28], v[57:58]
	s_waitcnt vmcnt(37) lgkmcnt(1)
	v_mul_f64 v[67:68], v[23:24], v[168:169]
	s_waitcnt vmcnt(36)
	v_fma_f64 v[69:70], v[1:2], v[185:186], -v[69:70]
	v_mul_f64 v[57:58], v[21:22], v[168:169]
	v_fma_f64 v[45:46], v[3:4], v[185:186], v[45:46]
	ds_read_b128 v[1:4], v85 offset:1424
	v_add_f64 v[25:26], v[25:26], v[59:60]
	v_add_f64 v[27:28], v[27:28], v[51:52]
	s_waitcnt vmcnt(35) lgkmcnt(1)
	v_mul_f64 v[59:60], v[7:8], v[178:179]
	v_mul_f64 v[51:52], v[5:6], v[178:179]
	s_waitcnt vmcnt(33)
	v_fma_f64 v[67:68], v[21:22], v[31:32], -v[67:68]
	v_fma_f64 v[31:32], v[23:24], v[31:32], v[57:58]
	ds_read_b128 v[21:24], v85 offset:1440
	v_add_f64 v[25:26], v[25:26], v[69:70]
	v_add_f64 v[27:28], v[27:28], v[45:46]
	s_waitcnt vmcnt(29) lgkmcnt(1)
	v_mul_f64 v[45:46], v[1:2], v[41:42]
	v_mul_f64 v[41:42], v[3:4], v[41:42]
	s_waitcnt vmcnt(28)
	v_fma_f64 v[57:58], v[5:6], v[182:183], -v[59:60]
	;; [unrolled: 9-line block ×3, first 2 shown]
	v_fma_f64 v[37:38], v[3:4], v[37:38], v[45:46]
	ds_read_b128 v[1:4], v85 offset:1472
	v_add_f64 v[25:26], v[25:26], v[57:58]
	v_add_f64 v[27:28], v[27:28], v[51:52]
	s_waitcnt vmcnt(21) lgkmcnt(1)
	v_mul_f64 v[51:52], v[7:8], v[161:162]
	s_waitcnt vmcnt(20)
	v_fma_f64 v[57:58], v[21:22], v[187:188], -v[59:60]
	v_mul_f64 v[45:46], v[5:6], v[161:162]
	v_fma_f64 v[31:32], v[23:24], v[187:188], v[31:32]
	ds_read_b128 v[21:24], v85 offset:1488
	v_add_f64 v[25:26], v[25:26], v[41:42]
	v_add_f64 v[27:28], v[27:28], v[37:38]
	s_waitcnt vmcnt(19) lgkmcnt(1)
	v_mul_f64 v[41:42], v[3:4], v[163:164]
	v_mul_f64 v[37:38], v[1:2], v[163:164]
	s_waitcnt vmcnt(17)
	v_fma_f64 v[51:52], v[5:6], v[43:44], -v[51:52]
	v_fma_f64 v[43:44], v[7:8], v[43:44], v[45:46]
	ds_read_b128 v[5:8], v85 offset:1504
	v_add_f64 v[25:26], v[25:26], v[57:58]
	v_add_f64 v[27:28], v[27:28], v[31:32]
	s_waitcnt vmcnt(13) lgkmcnt(1)
	v_mul_f64 v[31:32], v[21:22], v[29:30]
	v_mul_f64 v[29:30], v[23:24], v[29:30]
	s_waitcnt vmcnt(12)
	v_fma_f64 v[41:42], v[1:2], v[174:175], -v[41:42]
	;; [unrolled: 9-line block ×3, first 2 shown]
	v_fma_f64 v[23:24], v[23:24], v[49:50], v[31:32]
	v_add_f64 v[25:26], v[25:26], v[41:42]
	v_add_f64 v[27:28], v[27:28], v[37:38]
	s_waitcnt vmcnt(7) lgkmcnt(0)
	v_mul_f64 v[31:32], v[3:4], v[39:40]
	s_waitcnt vmcnt(6)
	v_fma_f64 v[5:6], v[5:6], v[172:173], -v[45:46]
	v_mul_f64 v[29:30], v[1:2], v[39:40]
	v_fma_f64 v[7:8], v[7:8], v[172:173], v[43:44]
	v_add_f64 v[21:22], v[25:26], v[21:22]
	v_add_f64 v[23:24], v[27:28], v[23:24]
	s_waitcnt vmcnt(4)
	v_fma_f64 v[1:2], v[1:2], v[47:48], -v[31:32]
	v_fma_f64 v[3:4], v[3:4], v[47:48], v[29:30]
	v_add_f64 v[5:6], v[21:22], v[5:6]
	v_add_f64 v[7:8], v[23:24], v[7:8]
	;; [unrolled: 1-line block ×4, first 2 shown]
	s_waitcnt vmcnt(2)
	v_add_f64 v[1:2], v[55:56], -v[1:2]
	s_waitcnt vmcnt(0)
	v_add_f64 v[3:4], v[65:66], -v[3:4]
	buffer_store_dword v2, off, s[0:3], 0 offset:68
	buffer_store_dword v1, off, s[0:3], 0 offset:64
	;; [unrolled: 1-line block ×4, first 2 shown]
	v_cmpx_lt_u32_e32 2, v0
	s_cbranch_execz .LBB47_297
; %bb.296:
	v_mov_b32_e32 v4, s58
	v_mov_b32_e32 v5, 0
	s_clause 0x3
	buffer_load_dword v1, v4, s[0:3], 0 offen
	buffer_load_dword v2, v4, s[0:3], 0 offen offset:4
	buffer_load_dword v3, v4, s[0:3], 0 offen offset:8
	;; [unrolled: 1-line block ×3, first 2 shown]
	buffer_store_dword v5, off, s[0:3], 0 offset:48
	buffer_store_dword v5, off, s[0:3], 0 offset:52
	;; [unrolled: 1-line block ×4, first 2 shown]
	s_waitcnt vmcnt(0)
	ds_write_b128 v165, v[1:4]
.LBB47_297:
	s_or_b32 exec_lo, exec_lo, s4
	s_waitcnt lgkmcnt(0)
	s_waitcnt_vscnt null, 0x0
	s_barrier
	buffer_gl0_inv
	s_clause 0x37
	buffer_load_dword v25, off, s[0:3], 0 offset:72
	buffer_load_dword v26, off, s[0:3], 0 offset:76
	;; [unrolled: 1-line block ×56, first 2 shown]
	v_mov_b32_e32 v166, 0
	s_mov_b32 s4, exec_lo
	ds_read_b128 v[161:164], v166 offset:816
	s_clause 0x2
	buffer_load_dword v86, off, s[0:3], 0 offset:300
	buffer_load_dword v88, off, s[0:3], 0 offset:276
	;; [unrolled: 1-line block ×3, first 2 shown]
	ds_read_b128 v[1:4], v166 offset:832
	s_clause 0x4
	buffer_load_dword v174, off, s[0:3], 0 offset:316
	buffer_load_dword v175, off, s[0:3], 0 offset:328
	;; [unrolled: 1-line block ×5, first 2 shown]
	ds_read_b128 v[167:170], v166 offset:848
	s_waitcnt vmcnt(62) lgkmcnt(2)
	v_mul_f64 v[171:172], v[163:164], v[25:26]
	v_mul_f64 v[25:26], v[161:162], v[25:26]
	s_waitcnt vmcnt(60) lgkmcnt(1)
	v_mul_f64 v[178:179], v[3:4], v[21:22]
	s_waitcnt vmcnt(56) lgkmcnt(0)
	v_mul_f64 v[180:181], v[167:168], v[7:8]
	v_mul_f64 v[7:8], v[169:170], v[7:8]
	v_fma_f64 v[161:162], v[161:162], v[23:24], -v[171:172]
	v_mul_f64 v[171:172], v[1:2], v[21:22]
	v_fma_f64 v[25:26], v[163:164], v[23:24], v[25:26]
	s_clause 0x2
	buffer_load_dword v176, off, s[0:3], 0 offset:332
	buffer_load_dword v164, off, s[0:3], 0 offset:308
	;; [unrolled: 1-line block ×3, first 2 shown]
	s_waitcnt vmcnt(57)
	v_fma_f64 v[182:183], v[1:2], v[5:6], -v[178:179]
	ds_read_b128 v[21:24], v166 offset:864
	s_waitcnt vmcnt(51)
	v_fma_f64 v[167:168], v[167:168], v[45:46], -v[7:8]
	v_fma_f64 v[45:46], v[169:170], v[45:46], v[180:181]
	v_add_f64 v[161:162], v[161:162], 0
	v_fma_f64 v[5:6], v[3:4], v[5:6], v[171:172]
	v_add_f64 v[25:26], v[25:26], 0
	s_clause 0x4
	buffer_load_dword v172, off, s[0:3], 0 offset:348
	buffer_load_dword v179, off, s[0:3], 0 offset:360
	;; [unrolled: 1-line block ×5, first 2 shown]
	s_waitcnt lgkmcnt(0)
	v_mul_f64 v[185:186], v[21:22], v[29:30]
	v_mul_f64 v[29:30], v[23:24], v[29:30]
	ds_read_b128 v[1:4], v166 offset:880
	s_clause 0x2
	buffer_load_dword v180, off, s[0:3], 0 offset:364
	buffer_load_dword v170, off, s[0:3], 0 offset:340
	;; [unrolled: 1-line block ×3, first 2 shown]
	v_add_f64 v[161:162], v[161:162], v[182:183]
	v_add_f64 v[25:26], v[25:26], v[5:6]
	ds_read_b128 v[5:8], v166 offset:896
	s_waitcnt vmcnt(58) lgkmcnt(1)
	v_mul_f64 v[181:182], v[1:2], v[37:38]
	v_mul_f64 v[37:38], v[3:4], v[37:38]
	s_waitcnt vmcnt(56)
	v_fma_f64 v[29:30], v[21:22], v[39:40], -v[29:30]
	v_fma_f64 v[39:40], v[23:24], v[39:40], v[185:186]
	v_add_f64 v[161:162], v[161:162], v[167:168]
	s_waitcnt vmcnt(52) lgkmcnt(0)
	v_mul_f64 v[187:188], v[5:6], v[41:42]
	v_add_f64 v[25:26], v[25:26], v[45:46]
	s_clause 0x4
	buffer_load_dword v46, off, s[0:3], 0 offset:380
	buffer_load_dword v167, off, s[0:3], 0 offset:392
	;; [unrolled: 1-line block ×5, first 2 shown]
	v_mul_f64 v[41:42], v[7:8], v[41:42]
	s_waitcnt vmcnt(56)
	v_fma_f64 v[37:38], v[1:2], v[27:28], -v[37:38]
	ds_read_b128 v[21:24], v166 offset:912
	v_fma_f64 v[27:28], v[3:4], v[27:28], v[181:182]
	v_add_f64 v[29:30], v[161:162], v[29:30]
	v_add_f64 v[25:26], v[25:26], v[39:40]
	s_clause 0x2
	buffer_load_dword v168, off, s[0:3], 0 offset:396
	buffer_load_dword v40, off, s[0:3], 0 offset:372
	;; [unrolled: 1-line block ×3, first 2 shown]
	s_waitcnt vmcnt(58) lgkmcnt(0)
	v_mul_f64 v[161:162], v[21:22], v[47:48]
	v_mul_f64 v[47:48], v[23:24], v[47:48]
	s_waitcnt vmcnt(56)
	v_fma_f64 v[41:42], v[5:6], v[49:50], -v[41:42]
	ds_read_b128 v[1:4], v166 offset:928
	v_add_f64 v[29:30], v[29:30], v[37:38]
	v_fma_f64 v[37:38], v[7:8], v[49:50], v[187:188]
	v_add_f64 v[25:26], v[25:26], v[27:28]
	s_clause 0x4
	buffer_load_dword v28, off, s[0:3], 0 offset:412
	buffer_load_dword v49, off, s[0:3], 0 offset:424
	buffer_load_dword v181, off, s[0:3], 0 offset:416
	buffer_load_dword v27, off, s[0:3], 0 offset:408
	buffer_load_dword v187, off, s[0:3], 0 offset:388
	ds_read_b128 v[5:8], v166 offset:944
	s_waitcnt vmcnt(57) lgkmcnt(1)
	v_mul_f64 v[182:183], v[1:2], v[51:52]
	v_mul_f64 v[51:52], v[3:4], v[51:52]
	s_waitcnt vmcnt(56)
	v_fma_f64 v[47:48], v[21:22], v[31:32], -v[47:48]
	v_fma_f64 v[31:32], v[23:24], v[31:32], v[161:162]
	v_add_f64 v[29:30], v[29:30], v[41:42]
	v_add_f64 v[25:26], v[25:26], v[37:38]
	s_clause 0x2
	buffer_load_dword v50, off, s[0:3], 0 offset:428
	buffer_load_dword v38, off, s[0:3], 0 offset:404
	;; [unrolled: 1-line block ×3, first 2 shown]
	s_waitcnt vmcnt(58) lgkmcnt(0)
	v_mul_f64 v[41:42], v[5:6], v[55:56]
	v_mul_f64 v[55:56], v[7:8], v[55:56]
	s_waitcnt vmcnt(56)
	v_fma_f64 v[51:52], v[1:2], v[57:58], -v[51:52]
	ds_read_b128 v[21:24], v166 offset:960
	v_add_f64 v[29:30], v[29:30], v[47:48]
	v_fma_f64 v[47:48], v[3:4], v[57:58], v[182:183]
	v_add_f64 v[25:26], v[25:26], v[31:32]
	s_clause 0x4
	buffer_load_dword v32, off, s[0:3], 0 offset:444
	buffer_load_dword v57, off, s[0:3], 0 offset:456
	;; [unrolled: 1-line block ×5, first 2 shown]
	ds_read_b128 v[1:4], v166 offset:976
	s_waitcnt vmcnt(57) lgkmcnt(1)
	v_mul_f64 v[188:189], v[21:22], v[59:60]
	v_mul_f64 v[59:60], v[23:24], v[59:60]
	s_waitcnt vmcnt(56)
	v_fma_f64 v[55:56], v[5:6], v[43:44], -v[55:56]
	v_fma_f64 v[41:42], v[7:8], v[43:44], v[41:42]
	s_clause 0x2
	buffer_load_dword v58, off, s[0:3], 0 offset:460
	buffer_load_dword v44, off, s[0:3], 0 offset:436
	;; [unrolled: 1-line block ×3, first 2 shown]
	ds_read_b128 v[5:8], v166 offset:992
	v_add_f64 v[29:30], v[29:30], v[51:52]
	v_add_f64 v[25:26], v[25:26], v[47:48]
	s_waitcnt vmcnt(58) lgkmcnt(1)
	v_mul_f64 v[51:52], v[3:4], v[67:68]
	v_mul_f64 v[47:48], v[1:2], v[67:68]
	s_waitcnt vmcnt(56)
	v_fma_f64 v[59:60], v[21:22], v[69:70], -v[59:60]
	v_add_f64 v[29:30], v[29:30], v[55:56]
	v_fma_f64 v[55:56], v[23:24], v[69:70], v[188:189]
	v_add_f64 v[25:26], v[25:26], v[41:42]
	s_clause 0x4
	buffer_load_dword v42, off, s[0:3], 0 offset:476
	buffer_load_dword v67, off, s[0:3], 0 offset:488
	;; [unrolled: 1-line block ×5, first 2 shown]
	s_waitcnt vmcnt(57) lgkmcnt(0)
	v_mul_f64 v[188:189], v[5:6], v[71:72]
	v_mul_f64 v[70:71], v[7:8], v[71:72]
	s_waitcnt vmcnt(56)
	v_fma_f64 v[51:52], v[1:2], v[53:54], -v[51:52]
	ds_read_b128 v[21:24], v166 offset:1008
	v_fma_f64 v[47:48], v[3:4], v[53:54], v[47:48]
	s_clause 0x2
	buffer_load_dword v68, off, s[0:3], 0 offset:492
	buffer_load_dword v54, off, s[0:3], 0 offset:468
	buffer_load_dword v53, off, s[0:3], 0 offset:464
	ds_read_b128 v[1:4], v166 offset:1024
	v_add_f64 v[29:30], v[29:30], v[59:60]
	v_add_f64 v[25:26], v[25:26], v[55:56]
	s_waitcnt vmcnt(58) lgkmcnt(1)
	v_mul_f64 v[59:60], v[23:24], v[79:80]
	s_waitcnt vmcnt(56)
	v_fma_f64 v[71:72], v[5:6], v[81:82], -v[70:71]
	v_mul_f64 v[55:56], v[21:22], v[79:80]
	v_add_f64 v[29:30], v[29:30], v[51:52]
	v_fma_f64 v[51:52], v[7:8], v[81:82], v[188:189]
	v_add_f64 v[25:26], v[25:26], v[47:48]
	s_clause 0x4
	buffer_load_dword v48, off, s[0:3], 0 offset:508
	buffer_load_dword v79, off, s[0:3], 0 offset:520
	;; [unrolled: 1-line block ×5, first 2 shown]
	s_waitcnt vmcnt(57) lgkmcnt(0)
	v_mul_f64 v[188:189], v[1:2], v[83:84]
	v_mul_f64 v[82:83], v[3:4], v[83:84]
	s_waitcnt vmcnt(56)
	v_fma_f64 v[59:60], v[21:22], v[65:66], -v[59:60]
	ds_read_b128 v[5:8], v166 offset:1040
	v_fma_f64 v[55:56], v[23:24], v[65:66], v[55:56]
	v_add_f64 v[29:30], v[29:30], v[71:72]
	v_add_f64 v[25:26], v[25:26], v[51:52]
	s_clause 0x2
	buffer_load_dword v80, off, s[0:3], 0 offset:524
	buffer_load_dword v52, off, s[0:3], 0 offset:500
	;; [unrolled: 1-line block ×3, first 2 shown]
	ds_read_b128 v[21:24], v166 offset:1056
	s_waitcnt vmcnt(58) lgkmcnt(1)
	v_mul_f64 v[71:72], v[7:8], v[85:86]
	s_waitcnt vmcnt(56)
	v_fma_f64 v[83:84], v[1:2], v[87:88], -v[82:83]
	v_mul_f64 v[65:66], v[5:6], v[85:86]
	v_add_f64 v[29:30], v[29:30], v[59:60]
	v_fma_f64 v[59:60], v[3:4], v[87:88], v[188:189]
	v_add_f64 v[25:26], v[25:26], v[55:56]
	s_clause 0x4
	buffer_load_dword v56, off, s[0:3], 0 offset:540
	buffer_load_dword v85, off, s[0:3], 0 offset:552
	;; [unrolled: 1-line block ×5, first 2 shown]
	s_waitcnt vmcnt(57) lgkmcnt(0)
	v_mul_f64 v[188:189], v[21:22], v[173:174]
	v_mul_f64 v[173:174], v[23:24], v[173:174]
	s_waitcnt vmcnt(56)
	v_fma_f64 v[71:72], v[5:6], v[77:78], -v[71:72]
	ds_read_b128 v[1:4], v166 offset:1072
	v_fma_f64 v[65:66], v[7:8], v[77:78], v[65:66]
	v_add_f64 v[29:30], v[29:30], v[83:84]
	v_add_f64 v[25:26], v[25:26], v[59:60]
	s_clause 0x2
	buffer_load_dword v86, off, s[0:3], 0 offset:556
	buffer_load_dword v60, off, s[0:3], 0 offset:532
	;; [unrolled: 1-line block ×3, first 2 shown]
	ds_read_b128 v[5:8], v166 offset:1088
	s_waitcnt vmcnt(58) lgkmcnt(1)
	v_mul_f64 v[83:84], v[3:4], v[175:176]
	v_mul_f64 v[77:78], v[1:2], v[175:176]
	s_waitcnt vmcnt(56)
	v_fma_f64 v[173:174], v[21:22], v[163:164], -v[173:174]
	v_add_f64 v[29:30], v[29:30], v[71:72]
	v_fma_f64 v[71:72], v[23:24], v[163:164], v[188:189]
	v_add_f64 v[25:26], v[25:26], v[65:66]
	s_clause 0x4
	buffer_load_dword v66, off, s[0:3], 0 offset:572
	buffer_load_dword v163, off, s[0:3], 0 offset:584
	;; [unrolled: 1-line block ×5, first 2 shown]
	ds_read_b128 v[21:24], v166 offset:1104
	s_waitcnt vmcnt(57) lgkmcnt(1)
	v_mul_f64 v[188:189], v[5:6], v[171:172]
	v_mul_f64 v[171:172], v[7:8], v[171:172]
	s_waitcnt vmcnt(56)
	v_fma_f64 v[83:84], v[1:2], v[177:178], -v[83:84]
	v_fma_f64 v[77:78], v[3:4], v[177:178], v[77:78]
	v_add_f64 v[29:30], v[29:30], v[173:174]
	v_add_f64 v[25:26], v[25:26], v[71:72]
	s_clause 0x2
	buffer_load_dword v164, off, s[0:3], 0 offset:588
	buffer_load_dword v72, off, s[0:3], 0 offset:564
	;; [unrolled: 1-line block ×3, first 2 shown]
	s_waitcnt vmcnt(58) lgkmcnt(0)
	v_mul_f64 v[177:178], v[23:24], v[179:180]
	ds_read_b128 v[1:4], v166 offset:1120
	v_mul_f64 v[173:174], v[21:22], v[179:180]
	s_waitcnt vmcnt(56)
	v_fma_f64 v[171:172], v[5:6], v[169:170], -v[171:172]
	v_add_f64 v[29:30], v[29:30], v[83:84]
	v_fma_f64 v[83:84], v[7:8], v[169:170], v[188:189]
	v_add_f64 v[25:26], v[25:26], v[77:78]
	s_clause 0x4
	buffer_load_dword v78, off, s[0:3], 0 offset:604
	buffer_load_dword v169, off, s[0:3], 0 offset:616
	;; [unrolled: 1-line block ×5, first 2 shown]
	ds_read_b128 v[5:8], v166 offset:1136
	s_waitcnt vmcnt(57) lgkmcnt(1)
	v_mul_f64 v[188:189], v[1:2], v[45:46]
	v_mul_f64 v[45:46], v[3:4], v[45:46]
	s_waitcnt vmcnt(56)
	v_fma_f64 v[177:178], v[21:22], v[184:185], -v[177:178]
	v_add_f64 v[29:30], v[29:30], v[171:172]
	v_fma_f64 v[171:172], v[23:24], v[184:185], v[173:174]
	v_add_f64 v[25:26], v[25:26], v[83:84]
	s_clause 0x2
	buffer_load_dword v170, off, s[0:3], 0 offset:620
	buffer_load_dword v84, off, s[0:3], 0 offset:596
	;; [unrolled: 1-line block ×3, first 2 shown]
	ds_read_b128 v[21:24], v166 offset:1152
	s_waitcnt vmcnt(58) lgkmcnt(1)
	v_mul_f64 v[173:174], v[5:6], v[167:168]
	v_mul_f64 v[167:168], v[7:8], v[167:168]
	s_waitcnt vmcnt(56)
	v_fma_f64 v[45:46], v[1:2], v[39:40], -v[45:46]
	v_fma_f64 v[39:40], v[3:4], v[39:40], v[188:189]
	v_add_f64 v[29:30], v[29:30], v[177:178]
	v_add_f64 v[25:26], v[25:26], v[171:172]
	s_clause 0x4
	buffer_load_dword v172, off, s[0:3], 0 offset:636
	buffer_load_dword v177, off, s[0:3], 0 offset:648
	;; [unrolled: 1-line block ×5, first 2 shown]
	ds_read_b128 v[1:4], v166 offset:1168
	s_waitcnt vmcnt(57) lgkmcnt(1)
	v_mul_f64 v[184:185], v[21:22], v[27:28]
	v_mul_f64 v[27:28], v[23:24], v[27:28]
	s_waitcnt vmcnt(56)
	v_fma_f64 v[167:168], v[5:6], v[186:187], -v[167:168]
	v_add_f64 v[29:30], v[29:30], v[45:46]
	v_fma_f64 v[45:46], v[7:8], v[186:187], v[173:174]
	v_add_f64 v[25:26], v[25:26], v[39:40]
	s_clause 0x2
	buffer_load_dword v178, off, s[0:3], 0 offset:652
	buffer_load_dword v40, off, s[0:3], 0 offset:628
	;; [unrolled: 1-line block ×3, first 2 shown]
	ds_read_b128 v[5:8], v166 offset:1184
	s_waitcnt vmcnt(58) lgkmcnt(1)
	v_mul_f64 v[173:174], v[1:2], v[49:50]
	v_mul_f64 v[49:50], v[3:4], v[49:50]
	s_waitcnt vmcnt(56)
	v_fma_f64 v[27:28], v[21:22], v[37:38], -v[27:28]
	v_fma_f64 v[37:38], v[23:24], v[37:38], v[184:185]
	v_add_f64 v[29:30], v[29:30], v[167:168]
	v_add_f64 v[25:26], v[25:26], v[45:46]
	s_clause 0x4
	buffer_load_dword v46, off, s[0:3], 0 offset:668
	buffer_load_dword v167, off, s[0:3], 0 offset:680
	;; [unrolled: 1-line block ×5, first 2 shown]
	ds_read_b128 v[21:24], v166 offset:1200
	s_waitcnt vmcnt(57) lgkmcnt(1)
	v_mul_f64 v[186:187], v[5:6], v[31:32]
	v_mul_f64 v[31:32], v[7:8], v[31:32]
	s_waitcnt vmcnt(56)
	v_fma_f64 v[49:50], v[1:2], v[181:182], -v[49:50]
	v_add_f64 v[27:28], v[29:30], v[27:28]
	v_fma_f64 v[29:30], v[3:4], v[181:182], v[173:174]
	v_add_f64 v[25:26], v[25:26], v[37:38]
	s_clause 0x2
	buffer_load_dword v168, off, s[0:3], 0 offset:684
	buffer_load_dword v38, off, s[0:3], 0 offset:660
	;; [unrolled: 1-line block ×3, first 2 shown]
	s_waitcnt vmcnt(58) lgkmcnt(0)
	v_mul_f64 v[173:174], v[21:22], v[57:58]
	v_mul_f64 v[57:58], v[23:24], v[57:58]
	ds_read_b128 v[1:4], v166 offset:1216
	s_waitcnt vmcnt(56)
	v_fma_f64 v[31:32], v[5:6], v[43:44], -v[31:32]
	v_fma_f64 v[43:44], v[7:8], v[43:44], v[186:187]
	v_add_f64 v[27:28], v[27:28], v[49:50]
	v_add_f64 v[25:26], v[25:26], v[29:30]
	s_clause 0x4
	buffer_load_dword v30, off, s[0:3], 0 offset:700
	buffer_load_dword v49, off, s[0:3], 0 offset:712
	;; [unrolled: 1-line block ×5, first 2 shown]
	ds_read_b128 v[5:8], v166 offset:1232
	s_waitcnt vmcnt(57) lgkmcnt(1)
	v_mul_f64 v[187:188], v[1:2], v[41:42]
	v_mul_f64 v[41:42], v[3:4], v[41:42]
	s_waitcnt vmcnt(56)
	v_fma_f64 v[57:58], v[21:22], v[161:162], -v[57:58]
	v_add_f64 v[27:28], v[27:28], v[31:32]
	v_fma_f64 v[31:32], v[23:24], v[161:162], v[173:174]
	v_add_f64 v[25:26], v[25:26], v[43:44]
	s_clause 0x2
	buffer_load_dword v50, off, s[0:3], 0 offset:716
	buffer_load_dword v44, off, s[0:3], 0 offset:692
	;; [unrolled: 1-line block ×3, first 2 shown]
	s_waitcnt vmcnt(58) lgkmcnt(0)
	v_mul_f64 v[161:162], v[5:6], v[67:68]
	v_mul_f64 v[67:68], v[7:8], v[67:68]
	ds_read_b128 v[21:24], v166 offset:1248
	s_waitcnt vmcnt(56)
	v_fma_f64 v[41:42], v[1:2], v[53:54], -v[41:42]
	v_fma_f64 v[53:54], v[3:4], v[53:54], v[187:188]
	v_add_f64 v[27:28], v[27:28], v[57:58]
	v_add_f64 v[25:26], v[25:26], v[31:32]
	s_clause 0x4
	buffer_load_dword v32, off, s[0:3], 0 offset:732
	buffer_load_dword v57, off, s[0:3], 0 offset:744
	;; [unrolled: 1-line block ×5, first 2 shown]
	ds_read_b128 v[1:4], v166 offset:1264
	s_waitcnt vmcnt(57) lgkmcnt(1)
	v_mul_f64 v[187:188], v[21:22], v[47:48]
	v_mul_f64 v[47:48], v[23:24], v[47:48]
	s_waitcnt vmcnt(56)
	v_fma_f64 v[67:68], v[5:6], v[69:70], -v[67:68]
	v_add_f64 v[27:28], v[27:28], v[41:42]
	v_fma_f64 v[41:42], v[7:8], v[69:70], v[161:162]
	v_add_f64 v[25:26], v[25:26], v[53:54]
	s_clause 0x2
	buffer_load_dword v58, off, s[0:3], 0 offset:748
	buffer_load_dword v54, off, s[0:3], 0 offset:724
	;; [unrolled: 1-line block ×3, first 2 shown]
	ds_read_b128 v[5:8], v166 offset:1280
	s_waitcnt vmcnt(58) lgkmcnt(1)
	v_mul_f64 v[69:70], v[1:2], v[79:80]
	v_mul_f64 v[79:80], v[3:4], v[79:80]
	s_waitcnt vmcnt(56)
	v_fma_f64 v[47:48], v[21:22], v[51:52], -v[47:48]
	v_fma_f64 v[51:52], v[23:24], v[51:52], v[187:188]
	v_add_f64 v[27:28], v[27:28], v[67:68]
	v_add_f64 v[25:26], v[25:26], v[41:42]
	s_clause 0x4
	buffer_load_dword v42, off, s[0:3], 0 offset:764
	buffer_load_dword v67, off, s[0:3], 0 offset:776
	;; [unrolled: 1-line block ×5, first 2 shown]
	ds_read_b128 v[21:24], v166 offset:1296
	s_waitcnt vmcnt(57) lgkmcnt(1)
	v_mul_f64 v[187:188], v[5:6], v[55:56]
	v_mul_f64 v[55:56], v[7:8], v[55:56]
	s_waitcnt vmcnt(56)
	v_fma_f64 v[79:80], v[1:2], v[81:82], -v[79:80]
	v_add_f64 v[27:28], v[27:28], v[47:48]
	v_fma_f64 v[47:48], v[3:4], v[81:82], v[69:70]
	v_add_f64 v[25:26], v[25:26], v[51:52]
	s_clause 0x2
	buffer_load_dword v68, off, s[0:3], 0 offset:780
	buffer_load_dword v52, off, s[0:3], 0 offset:756
	;; [unrolled: 1-line block ×3, first 2 shown]
	ds_read_b128 v[1:4], v166 offset:1312
	buffer_load_dword v162, off, s[0:3], 0 offset:772
	s_waitcnt vmcnt(59) lgkmcnt(1)
	v_mul_f64 v[81:82], v[23:24], v[85:86]
	v_mul_f64 v[69:70], v[21:22], v[85:86]
	s_waitcnt vmcnt(57)
	v_fma_f64 v[55:56], v[5:6], v[59:60], -v[55:56]
	v_fma_f64 v[59:60], v[7:8], v[59:60], v[187:188]
	ds_read_b128 v[5:8], v166 offset:1328
	v_add_f64 v[27:28], v[27:28], v[79:80]
	v_add_f64 v[25:26], v[25:26], v[47:48]
	s_waitcnt vmcnt(53) lgkmcnt(1)
	v_mul_f64 v[47:48], v[1:2], v[65:66]
	v_mul_f64 v[65:66], v[3:4], v[65:66]
	s_waitcnt vmcnt(52)
	v_fma_f64 v[79:80], v[21:22], v[87:88], -v[81:82]
	v_add_f64 v[27:28], v[27:28], v[55:56]
	v_fma_f64 v[55:56], v[23:24], v[87:88], v[69:70]
	v_add_f64 v[25:26], v[25:26], v[59:60]
	ds_read_b128 v[21:24], v166 offset:1344
	s_waitcnt vmcnt(51) lgkmcnt(1)
	v_mul_f64 v[69:70], v[7:8], v[163:164]
	v_mul_f64 v[59:60], v[5:6], v[163:164]
	s_waitcnt vmcnt(49)
	v_fma_f64 v[65:66], v[1:2], v[71:72], -v[65:66]
	v_fma_f64 v[47:48], v[3:4], v[71:72], v[47:48]
	v_add_f64 v[27:28], v[27:28], v[79:80]
	v_add_f64 v[25:26], v[25:26], v[55:56]
	s_clause 0x3
	buffer_load_dword v55, off, s[0:3], 0 offset:48
	buffer_load_dword v56, off, s[0:3], 0 offset:52
	;; [unrolled: 1-line block ×4, first 2 shown]
	ds_read_b128 v[1:4], v166 offset:1360
	s_waitcnt vmcnt(49) lgkmcnt(1)
	v_mul_f64 v[79:80], v[21:22], v[77:78]
	v_mul_f64 v[77:78], v[23:24], v[77:78]
	s_waitcnt vmcnt(48)
	v_fma_f64 v[69:70], v[5:6], v[175:176], -v[69:70]
	v_fma_f64 v[59:60], v[7:8], v[175:176], v[59:60]
	ds_read_b128 v[5:8], v166 offset:1376
	v_add_f64 v[27:28], v[27:28], v[65:66]
	v_add_f64 v[25:26], v[25:26], v[47:48]
	s_waitcnt vmcnt(47) lgkmcnt(1)
	v_mul_f64 v[65:66], v[3:4], v[169:170]
	v_mul_f64 v[47:48], v[1:2], v[169:170]
	s_waitcnt vmcnt(45)
	v_fma_f64 v[77:78], v[21:22], v[83:84], -v[77:78]
	v_add_f64 v[27:28], v[27:28], v[69:70]
	v_fma_f64 v[69:70], v[23:24], v[83:84], v[79:80]
	v_add_f64 v[25:26], v[25:26], v[59:60]
	ds_read_b128 v[21:24], v166 offset:1392
	s_waitcnt vmcnt(41) lgkmcnt(1)
	v_mul_f64 v[79:80], v[7:8], v[171:172]
	s_waitcnt vmcnt(40)
	v_fma_f64 v[65:66], v[1:2], v[179:180], -v[65:66]
	v_mul_f64 v[59:60], v[5:6], v[171:172]
	v_fma_f64 v[47:48], v[3:4], v[179:180], v[47:48]
	ds_read_b128 v[1:4], v166 offset:1408
	v_add_f64 v[27:28], v[27:28], v[77:78]
	v_add_f64 v[25:26], v[25:26], v[69:70]
	s_waitcnt vmcnt(39) lgkmcnt(1)
	v_mul_f64 v[77:78], v[23:24], v[177:178]
	v_mul_f64 v[69:70], v[21:22], v[177:178]
	s_waitcnt vmcnt(37)
	v_fma_f64 v[79:80], v[5:6], v[39:40], -v[79:80]
	v_fma_f64 v[39:40], v[7:8], v[39:40], v[59:60]
	ds_read_b128 v[5:8], v166 offset:1424
	v_add_f64 v[27:28], v[27:28], v[65:66]
	v_add_f64 v[25:26], v[25:26], v[47:48]
	s_waitcnt vmcnt(33) lgkmcnt(1)
	v_mul_f64 v[47:48], v[1:2], v[45:46]
	v_mul_f64 v[45:46], v[3:4], v[45:46]
	s_waitcnt vmcnt(32)
	v_fma_f64 v[59:60], v[21:22], v[183:184], -v[77:78]
	;; [unrolled: 9-line block ×6, first 2 shown]
	v_add_f64 v[27:28], v[27:28], v[29:30]
	v_fma_f64 v[29:30], v[3:4], v[181:182], v[37:38]
	v_add_f64 v[25:26], v[25:26], v[43:44]
	ds_read_b128 v[1:4], v166 offset:1504
	s_waitcnt vmcnt(15) lgkmcnt(1)
	v_mul_f64 v[43:44], v[23:24], v[57:58]
	v_mul_f64 v[37:38], v[21:22], v[57:58]
	s_waitcnt vmcnt(13)
	v_fma_f64 v[31:32], v[5:6], v[53:54], -v[31:32]
	v_fma_f64 v[39:40], v[7:8], v[53:54], v[39:40]
	ds_read_b128 v[5:8], v166 offset:1520
	v_add_f64 v[27:28], v[27:28], v[45:46]
	v_add_f64 v[25:26], v[25:26], v[29:30]
	s_waitcnt vmcnt(9) lgkmcnt(1)
	v_mul_f64 v[29:30], v[1:2], v[41:42]
	v_mul_f64 v[41:42], v[3:4], v[41:42]
	s_waitcnt vmcnt(8)
	v_fma_f64 v[21:22], v[21:22], v[173:174], -v[43:44]
	v_fma_f64 v[23:24], v[23:24], v[173:174], v[37:38]
	v_add_f64 v[27:28], v[27:28], v[31:32]
	v_add_f64 v[25:26], v[25:26], v[39:40]
	s_waitcnt vmcnt(7) lgkmcnt(0)
	v_mul_f64 v[37:38], v[7:8], v[67:68]
	v_mul_f64 v[31:32], v[5:6], v[67:68]
	s_waitcnt vmcnt(5)
	v_fma_f64 v[1:2], v[1:2], v[51:52], -v[41:42]
	v_fma_f64 v[3:4], v[3:4], v[51:52], v[29:30]
	v_add_f64 v[21:22], v[27:28], v[21:22]
	v_add_f64 v[23:24], v[25:26], v[23:24]
	s_waitcnt vmcnt(4)
	v_fma_f64 v[5:6], v[5:6], v[161:162], -v[37:38]
	v_fma_f64 v[7:8], v[7:8], v[161:162], v[31:32]
	v_add_f64 v[1:2], v[21:22], v[1:2]
	v_add_f64 v[3:4], v[23:24], v[3:4]
	;; [unrolled: 1-line block ×4, first 2 shown]
	s_waitcnt vmcnt(2)
	v_add_f64 v[1:2], v[55:56], -v[1:2]
	s_waitcnt vmcnt(0)
	v_add_f64 v[3:4], v[71:72], -v[3:4]
	buffer_store_dword v2, off, s[0:3], 0 offset:52
	buffer_store_dword v1, off, s[0:3], 0 offset:48
	;; [unrolled: 1-line block ×4, first 2 shown]
	v_cmpx_lt_u32_e32 1, v0
	s_cbranch_execz .LBB47_299
; %bb.298:
	v_mov_b32_e32 v4, s59
	s_clause 0x3
	buffer_load_dword v1, v4, s[0:3], 0 offen
	buffer_load_dword v2, v4, s[0:3], 0 offen offset:4
	buffer_load_dword v3, v4, s[0:3], 0 offen offset:8
	;; [unrolled: 1-line block ×3, first 2 shown]
	buffer_store_dword v166, off, s[0:3], 0 offset:32
	buffer_store_dword v166, off, s[0:3], 0 offset:36
	;; [unrolled: 1-line block ×4, first 2 shown]
	s_waitcnt vmcnt(0)
	ds_write_b128 v165, v[1:4]
.LBB47_299:
	s_or_b32 exec_lo, exec_lo, s4
	s_waitcnt lgkmcnt(0)
	s_waitcnt_vscnt null, 0x0
	s_barrier
	buffer_gl0_inv
	s_clause 0x37
	buffer_load_dword v29, off, s[0:3], 0 offset:56
	buffer_load_dword v30, off, s[0:3], 0 offset:60
	;; [unrolled: 1-line block ×56, first 2 shown]
	ds_read_b128 v[5:8], v166 offset:800
	s_clause 0x2
	buffer_load_dword v162, off, s[0:3], 0 offset:284
	buffer_load_dword v164, off, s[0:3], 0 offset:260
	;; [unrolled: 1-line block ×3, first 2 shown]
	ds_read_b128 v[1:4], v166 offset:816
	s_clause 0x4
	buffer_load_dword v174, off, s[0:3], 0 offset:300
	buffer_load_dword v175, off, s[0:3], 0 offset:312
	;; [unrolled: 1-line block ×5, first 2 shown]
	ds_read_b128 v[167:170], v166 offset:832
	s_mov_b32 s4, exec_lo
	s_waitcnt vmcnt(62) lgkmcnt(2)
	v_mul_f64 v[171:172], v[7:8], v[29:30]
	v_mul_f64 v[29:30], v[5:6], v[29:30]
	s_waitcnt vmcnt(60) lgkmcnt(1)
	v_mul_f64 v[178:179], v[3:4], v[25:26]
	v_mul_f64 v[25:26], v[1:2], v[25:26]
	;; [unrolled: 3-line block ×3, first 2 shown]
	v_fma_f64 v[171:172], v[5:6], v[27:28], -v[171:172]
	v_fma_f64 v[27:28], v[7:8], v[27:28], v[29:30]
	s_clause 0x2
	buffer_load_dword v176, off, s[0:3], 0 offset:316
	buffer_load_dword v30, off, s[0:3], 0 offset:292
	;; [unrolled: 1-line block ×3, first 2 shown]
	s_waitcnt vmcnt(57)
	v_fma_f64 v[182:183], v[1:2], v[21:22], -v[178:179]
	ds_read_b128 v[5:8], v166 offset:848
	v_fma_f64 v[21:22], v[3:4], v[21:22], v[25:26]
	s_waitcnt vmcnt(51)
	v_fma_f64 v[167:168], v[167:168], v[49:50], -v[23:24]
	v_fma_f64 v[49:50], v[169:170], v[49:50], v[180:181]
	v_add_f64 v[171:172], v[171:172], 0
	v_add_f64 v[25:26], v[27:28], 0
	s_clause 0x4
	buffer_load_dword v28, off, s[0:3], 0 offset:332
	buffer_load_dword v179, off, s[0:3], 0 offset:344
	;; [unrolled: 1-line block ×5, first 2 shown]
	s_waitcnt lgkmcnt(0)
	v_mul_f64 v[185:186], v[5:6], v[37:38]
	v_mul_f64 v[37:38], v[7:8], v[37:38]
	ds_read_b128 v[1:4], v166 offset:864
	s_clause 0x2
	buffer_load_dword v180, off, s[0:3], 0 offset:348
	buffer_load_dword v170, off, s[0:3], 0 offset:324
	buffer_load_dword v169, off, s[0:3], 0 offset:320
	v_add_f64 v[171:172], v[171:172], v[182:183]
	v_add_f64 v[25:26], v[25:26], v[21:22]
	ds_read_b128 v[21:24], v166 offset:880
	s_waitcnt vmcnt(58) lgkmcnt(1)
	v_mul_f64 v[181:182], v[1:2], v[41:42]
	v_mul_f64 v[41:42], v[3:4], v[41:42]
	s_waitcnt vmcnt(56)
	v_fma_f64 v[37:38], v[5:6], v[43:44], -v[37:38]
	v_fma_f64 v[43:44], v[7:8], v[43:44], v[185:186]
	s_waitcnt vmcnt(52) lgkmcnt(0)
	v_mul_f64 v[187:188], v[21:22], v[45:46]
	v_add_f64 v[167:168], v[171:172], v[167:168]
	v_add_f64 v[25:26], v[25:26], v[49:50]
	s_clause 0x4
	buffer_load_dword v50, off, s[0:3], 0 offset:364
	buffer_load_dword v171, off, s[0:3], 0 offset:376
	;; [unrolled: 1-line block ×5, first 2 shown]
	v_mul_f64 v[45:46], v[23:24], v[45:46]
	s_waitcnt vmcnt(56)
	v_fma_f64 v[41:42], v[1:2], v[31:32], -v[41:42]
	ds_read_b128 v[5:8], v166 offset:896
	v_fma_f64 v[31:32], v[3:4], v[31:32], v[181:182]
	v_add_f64 v[37:38], v[167:168], v[37:38]
	v_add_f64 v[25:26], v[25:26], v[43:44]
	s_clause 0x2
	buffer_load_dword v172, off, s[0:3], 0 offset:380
	buffer_load_dword v44, off, s[0:3], 0 offset:356
	;; [unrolled: 1-line block ×3, first 2 shown]
	s_waitcnt vmcnt(58) lgkmcnt(0)
	v_mul_f64 v[167:168], v[5:6], v[51:52]
	v_mul_f64 v[51:52], v[7:8], v[51:52]
	s_waitcnt vmcnt(56)
	v_fma_f64 v[45:46], v[21:22], v[53:54], -v[45:46]
	ds_read_b128 v[1:4], v166 offset:912
	v_add_f64 v[37:38], v[37:38], v[41:42]
	v_fma_f64 v[41:42], v[23:24], v[53:54], v[187:188]
	v_add_f64 v[25:26], v[25:26], v[31:32]
	s_clause 0x4
	buffer_load_dword v32, off, s[0:3], 0 offset:396
	buffer_load_dword v53, off, s[0:3], 0 offset:408
	;; [unrolled: 1-line block ×5, first 2 shown]
	s_waitcnt vmcnt(57) lgkmcnt(0)
	v_mul_f64 v[182:183], v[1:2], v[55:56]
	v_mul_f64 v[55:56], v[3:4], v[55:56]
	s_waitcnt vmcnt(56)
	v_fma_f64 v[51:52], v[5:6], v[39:40], -v[51:52]
	ds_read_b128 v[21:24], v166 offset:928
	v_fma_f64 v[39:40], v[7:8], v[39:40], v[167:168]
	v_add_f64 v[37:38], v[37:38], v[45:46]
	v_add_f64 v[25:26], v[25:26], v[41:42]
	s_clause 0x2
	buffer_load_dword v54, off, s[0:3], 0 offset:412
	buffer_load_dword v42, off, s[0:3], 0 offset:388
	;; [unrolled: 1-line block ×3, first 2 shown]
	ds_read_b128 v[5:8], v166 offset:944
	s_waitcnt vmcnt(58) lgkmcnt(1)
	v_mul_f64 v[45:46], v[21:22], v[59:60]
	v_mul_f64 v[59:60], v[23:24], v[59:60]
	s_waitcnt vmcnt(56)
	v_fma_f64 v[55:56], v[1:2], v[65:66], -v[55:56]
	v_add_f64 v[37:38], v[37:38], v[51:52]
	v_fma_f64 v[51:52], v[3:4], v[65:66], v[182:183]
	v_add_f64 v[25:26], v[25:26], v[39:40]
	s_clause 0x4
	buffer_load_dword v40, off, s[0:3], 0 offset:428
	buffer_load_dword v65, off, s[0:3], 0 offset:440
	;; [unrolled: 1-line block ×5, first 2 shown]
	s_waitcnt vmcnt(57) lgkmcnt(0)
	v_mul_f64 v[188:189], v[5:6], v[67:68]
	v_mul_f64 v[67:68], v[7:8], v[67:68]
	s_waitcnt vmcnt(56)
	v_fma_f64 v[59:60], v[21:22], v[47:48], -v[59:60]
	ds_read_b128 v[1:4], v166 offset:960
	v_fma_f64 v[45:46], v[23:24], v[47:48], v[45:46]
	s_clause 0x2
	buffer_load_dword v66, off, s[0:3], 0 offset:444
	buffer_load_dword v48, off, s[0:3], 0 offset:420
	buffer_load_dword v47, off, s[0:3], 0 offset:416
	ds_read_b128 v[21:24], v166 offset:976
	v_add_f64 v[37:38], v[37:38], v[55:56]
	v_add_f64 v[25:26], v[25:26], v[51:52]
	s_waitcnt vmcnt(58) lgkmcnt(1)
	v_mul_f64 v[55:56], v[3:4], v[71:72]
	s_waitcnt vmcnt(56)
	v_fma_f64 v[67:68], v[5:6], v[77:78], -v[67:68]
	v_mul_f64 v[51:52], v[1:2], v[71:72]
	v_add_f64 v[37:38], v[37:38], v[59:60]
	v_fma_f64 v[59:60], v[7:8], v[77:78], v[188:189]
	v_add_f64 v[25:26], v[25:26], v[45:46]
	s_clause 0x4
	buffer_load_dword v46, off, s[0:3], 0 offset:460
	buffer_load_dword v71, off, s[0:3], 0 offset:472
	;; [unrolled: 1-line block ×5, first 2 shown]
	s_waitcnt vmcnt(57) lgkmcnt(0)
	v_mul_f64 v[188:189], v[21:22], v[79:80]
	v_mul_f64 v[78:79], v[23:24], v[79:80]
	s_waitcnt vmcnt(56)
	v_fma_f64 v[55:56], v[1:2], v[57:58], -v[55:56]
	ds_read_b128 v[5:8], v166 offset:992
	v_fma_f64 v[51:52], v[3:4], v[57:58], v[51:52]
	s_clause 0x2
	buffer_load_dword v72, off, s[0:3], 0 offset:476
	buffer_load_dword v58, off, s[0:3], 0 offset:452
	;; [unrolled: 1-line block ×3, first 2 shown]
	ds_read_b128 v[1:4], v166 offset:1008
	v_add_f64 v[37:38], v[37:38], v[67:68]
	v_add_f64 v[25:26], v[25:26], v[59:60]
	s_waitcnt vmcnt(58) lgkmcnt(1)
	v_mul_f64 v[67:68], v[7:8], v[83:84]
	s_waitcnt vmcnt(56)
	v_fma_f64 v[79:80], v[21:22], v[85:86], -v[78:79]
	v_mul_f64 v[59:60], v[5:6], v[83:84]
	v_add_f64 v[37:38], v[37:38], v[55:56]
	v_fma_f64 v[55:56], v[23:24], v[85:86], v[188:189]
	v_add_f64 v[25:26], v[25:26], v[51:52]
	s_clause 0x4
	buffer_load_dword v52, off, s[0:3], 0 offset:492
	buffer_load_dword v83, off, s[0:3], 0 offset:504
	;; [unrolled: 1-line block ×5, first 2 shown]
	s_waitcnt vmcnt(57) lgkmcnt(0)
	v_mul_f64 v[188:189], v[1:2], v[87:88]
	v_mul_f64 v[86:87], v[3:4], v[87:88]
	s_waitcnt vmcnt(56)
	v_fma_f64 v[67:68], v[5:6], v[69:70], -v[67:68]
	ds_read_b128 v[21:24], v166 offset:1024
	v_fma_f64 v[59:60], v[7:8], v[69:70], v[59:60]
	v_add_f64 v[37:38], v[37:38], v[79:80]
	v_add_f64 v[25:26], v[25:26], v[55:56]
	s_clause 0x2
	buffer_load_dword v84, off, s[0:3], 0 offset:508
	buffer_load_dword v56, off, s[0:3], 0 offset:484
	;; [unrolled: 1-line block ×3, first 2 shown]
	ds_read_b128 v[5:8], v166 offset:1040
	s_waitcnt vmcnt(58) lgkmcnt(1)
	v_mul_f64 v[79:80], v[23:24], v[161:162]
	s_waitcnt vmcnt(56)
	v_fma_f64 v[87:88], v[1:2], v[163:164], -v[86:87]
	v_mul_f64 v[69:70], v[21:22], v[161:162]
	v_add_f64 v[37:38], v[37:38], v[67:68]
	v_fma_f64 v[67:68], v[3:4], v[163:164], v[188:189]
	v_add_f64 v[25:26], v[25:26], v[59:60]
	s_clause 0x4
	buffer_load_dword v60, off, s[0:3], 0 offset:524
	buffer_load_dword v161, off, s[0:3], 0 offset:536
	;; [unrolled: 1-line block ×5, first 2 shown]
	s_waitcnt vmcnt(57) lgkmcnt(0)
	v_mul_f64 v[188:189], v[5:6], v[173:174]
	v_mul_f64 v[173:174], v[7:8], v[173:174]
	s_waitcnt vmcnt(56)
	v_fma_f64 v[79:80], v[21:22], v[81:82], -v[79:80]
	ds_read_b128 v[1:4], v166 offset:1056
	v_fma_f64 v[69:70], v[23:24], v[81:82], v[69:70]
	v_add_f64 v[37:38], v[37:38], v[87:88]
	v_add_f64 v[25:26], v[25:26], v[67:68]
	s_clause 0x2
	buffer_load_dword v162, off, s[0:3], 0 offset:540
	buffer_load_dword v68, off, s[0:3], 0 offset:516
	buffer_load_dword v67, off, s[0:3], 0 offset:512
	ds_read_b128 v[21:24], v166 offset:1072
	s_waitcnt vmcnt(58) lgkmcnt(1)
	v_mul_f64 v[87:88], v[3:4], v[175:176]
	v_mul_f64 v[81:82], v[1:2], v[175:176]
	s_waitcnt vmcnt(56)
	v_fma_f64 v[173:174], v[5:6], v[29:30], -v[173:174]
	v_fma_f64 v[29:30], v[7:8], v[29:30], v[188:189]
	v_add_f64 v[37:38], v[37:38], v[79:80]
	v_add_f64 v[25:26], v[25:26], v[69:70]
	s_clause 0x4
	buffer_load_dword v70, off, s[0:3], 0 offset:556
	buffer_load_dword v79, off, s[0:3], 0 offset:568
	;; [unrolled: 1-line block ×5, first 2 shown]
	ds_read_b128 v[5:8], v166 offset:1088
	s_waitcnt vmcnt(57) lgkmcnt(1)
	v_mul_f64 v[188:189], v[21:22], v[27:28]
	v_mul_f64 v[27:28], v[23:24], v[27:28]
	s_waitcnt vmcnt(56)
	v_fma_f64 v[87:88], v[1:2], v[177:178], -v[87:88]
	v_fma_f64 v[81:82], v[3:4], v[177:178], v[81:82]
	v_add_f64 v[37:38], v[37:38], v[173:174]
	v_add_f64 v[25:26], v[25:26], v[29:30]
	s_clause 0x2
	buffer_load_dword v80, off, s[0:3], 0 offset:572
	buffer_load_dword v30, off, s[0:3], 0 offset:548
	;; [unrolled: 1-line block ×3, first 2 shown]
	s_waitcnt vmcnt(58) lgkmcnt(0)
	v_mul_f64 v[177:178], v[7:8], v[179:180]
	ds_read_b128 v[1:4], v166 offset:1104
	v_mul_f64 v[173:174], v[5:6], v[179:180]
	s_waitcnt vmcnt(56)
	v_fma_f64 v[27:28], v[21:22], v[169:170], -v[27:28]
	v_add_f64 v[37:38], v[37:38], v[87:88]
	v_fma_f64 v[87:88], v[23:24], v[169:170], v[188:189]
	v_add_f64 v[25:26], v[25:26], v[81:82]
	s_clause 0x4
	buffer_load_dword v82, off, s[0:3], 0 offset:588
	buffer_load_dword v169, off, s[0:3], 0 offset:600
	;; [unrolled: 1-line block ×5, first 2 shown]
	ds_read_b128 v[21:24], v166 offset:1120
	s_waitcnt vmcnt(57) lgkmcnt(1)
	v_mul_f64 v[188:189], v[1:2], v[49:50]
	v_mul_f64 v[49:50], v[3:4], v[49:50]
	s_waitcnt vmcnt(56)
	v_fma_f64 v[177:178], v[5:6], v[184:185], -v[177:178]
	v_add_f64 v[27:28], v[37:38], v[27:28]
	v_fma_f64 v[37:38], v[7:8], v[184:185], v[173:174]
	v_add_f64 v[25:26], v[25:26], v[87:88]
	s_clause 0x2
	buffer_load_dword v170, off, s[0:3], 0 offset:604
	buffer_load_dword v88, off, s[0:3], 0 offset:580
	;; [unrolled: 1-line block ×3, first 2 shown]
	ds_read_b128 v[5:8], v166 offset:1136
	s_waitcnt vmcnt(58) lgkmcnt(1)
	v_mul_f64 v[173:174], v[21:22], v[171:172]
	v_mul_f64 v[171:172], v[23:24], v[171:172]
	s_waitcnt vmcnt(56)
	v_fma_f64 v[49:50], v[1:2], v[43:44], -v[49:50]
	v_fma_f64 v[43:44], v[3:4], v[43:44], v[188:189]
	v_add_f64 v[27:28], v[27:28], v[177:178]
	v_add_f64 v[25:26], v[25:26], v[37:38]
	s_clause 0x4
	buffer_load_dword v38, off, s[0:3], 0 offset:620
	buffer_load_dword v177, off, s[0:3], 0 offset:632
	;; [unrolled: 1-line block ×5, first 2 shown]
	ds_read_b128 v[1:4], v166 offset:1152
	s_waitcnt vmcnt(57) lgkmcnt(1)
	v_mul_f64 v[184:185], v[5:6], v[31:32]
	v_mul_f64 v[31:32], v[7:8], v[31:32]
	s_waitcnt vmcnt(56)
	v_fma_f64 v[171:172], v[21:22], v[186:187], -v[171:172]
	v_add_f64 v[27:28], v[27:28], v[49:50]
	v_fma_f64 v[49:50], v[23:24], v[186:187], v[173:174]
	v_add_f64 v[25:26], v[25:26], v[43:44]
	s_clause 0x2
	buffer_load_dword v178, off, s[0:3], 0 offset:636
	buffer_load_dword v44, off, s[0:3], 0 offset:612
	;; [unrolled: 1-line block ×3, first 2 shown]
	ds_read_b128 v[21:24], v166 offset:1168
	s_waitcnt vmcnt(58) lgkmcnt(1)
	v_mul_f64 v[173:174], v[1:2], v[53:54]
	v_mul_f64 v[53:54], v[3:4], v[53:54]
	s_waitcnt vmcnt(56)
	v_fma_f64 v[31:32], v[5:6], v[41:42], -v[31:32]
	v_fma_f64 v[41:42], v[7:8], v[41:42], v[184:185]
	v_add_f64 v[27:28], v[27:28], v[171:172]
	v_add_f64 v[25:26], v[25:26], v[49:50]
	s_clause 0x4
	buffer_load_dword v50, off, s[0:3], 0 offset:652
	buffer_load_dword v171, off, s[0:3], 0 offset:664
	;; [unrolled: 1-line block ×5, first 2 shown]
	ds_read_b128 v[5:8], v166 offset:1184
	s_waitcnt vmcnt(57) lgkmcnt(1)
	v_mul_f64 v[186:187], v[21:22], v[39:40]
	v_mul_f64 v[39:40], v[23:24], v[39:40]
	s_waitcnt vmcnt(56)
	v_fma_f64 v[53:54], v[1:2], v[181:182], -v[53:54]
	v_add_f64 v[27:28], v[27:28], v[31:32]
	v_fma_f64 v[31:32], v[3:4], v[181:182], v[173:174]
	v_add_f64 v[25:26], v[25:26], v[41:42]
	s_clause 0x2
	buffer_load_dword v172, off, s[0:3], 0 offset:668
	buffer_load_dword v42, off, s[0:3], 0 offset:644
	;; [unrolled: 1-line block ×3, first 2 shown]
	s_waitcnt vmcnt(58) lgkmcnt(0)
	v_mul_f64 v[173:174], v[5:6], v[65:66]
	v_mul_f64 v[65:66], v[7:8], v[65:66]
	ds_read_b128 v[1:4], v166 offset:1200
	s_waitcnt vmcnt(56)
	v_fma_f64 v[39:40], v[21:22], v[47:48], -v[39:40]
	v_fma_f64 v[47:48], v[23:24], v[47:48], v[186:187]
	v_add_f64 v[27:28], v[27:28], v[53:54]
	v_add_f64 v[25:26], v[25:26], v[31:32]
	s_clause 0x4
	buffer_load_dword v32, off, s[0:3], 0 offset:684
	buffer_load_dword v53, off, s[0:3], 0 offset:696
	;; [unrolled: 1-line block ×5, first 2 shown]
	ds_read_b128 v[21:24], v166 offset:1216
	s_waitcnt vmcnt(57) lgkmcnt(1)
	v_mul_f64 v[187:188], v[1:2], v[45:46]
	v_mul_f64 v[45:46], v[3:4], v[45:46]
	s_waitcnt vmcnt(56)
	v_fma_f64 v[65:66], v[5:6], v[167:168], -v[65:66]
	v_add_f64 v[27:28], v[27:28], v[39:40]
	v_fma_f64 v[39:40], v[7:8], v[167:168], v[173:174]
	v_add_f64 v[25:26], v[25:26], v[47:48]
	s_clause 0x2
	buffer_load_dword v54, off, s[0:3], 0 offset:700
	buffer_load_dword v48, off, s[0:3], 0 offset:676
	;; [unrolled: 1-line block ×3, first 2 shown]
	s_waitcnt vmcnt(58) lgkmcnt(0)
	v_mul_f64 v[167:168], v[21:22], v[71:72]
	v_mul_f64 v[71:72], v[23:24], v[71:72]
	ds_read_b128 v[5:8], v166 offset:1232
	s_waitcnt vmcnt(56)
	v_fma_f64 v[45:46], v[1:2], v[57:58], -v[45:46]
	v_fma_f64 v[57:58], v[3:4], v[57:58], v[187:188]
	v_add_f64 v[27:28], v[27:28], v[65:66]
	v_add_f64 v[25:26], v[25:26], v[39:40]
	s_clause 0x4
	buffer_load_dword v40, off, s[0:3], 0 offset:716
	buffer_load_dword v65, off, s[0:3], 0 offset:728
	;; [unrolled: 1-line block ×5, first 2 shown]
	ds_read_b128 v[1:4], v166 offset:1248
	s_waitcnt vmcnt(57) lgkmcnt(1)
	v_mul_f64 v[187:188], v[5:6], v[51:52]
	v_mul_f64 v[51:52], v[7:8], v[51:52]
	s_waitcnt vmcnt(56)
	v_fma_f64 v[71:72], v[21:22], v[77:78], -v[71:72]
	v_add_f64 v[27:28], v[27:28], v[45:46]
	v_fma_f64 v[45:46], v[23:24], v[77:78], v[167:168]
	v_add_f64 v[25:26], v[25:26], v[57:58]
	s_clause 0x2
	buffer_load_dword v66, off, s[0:3], 0 offset:732
	buffer_load_dword v58, off, s[0:3], 0 offset:708
	;; [unrolled: 1-line block ×3, first 2 shown]
	ds_read_b128 v[21:24], v166 offset:1264
	s_waitcnt vmcnt(58) lgkmcnt(1)
	v_mul_f64 v[77:78], v[1:2], v[83:84]
	v_mul_f64 v[83:84], v[3:4], v[83:84]
	s_waitcnt vmcnt(56)
	v_fma_f64 v[51:52], v[5:6], v[55:56], -v[51:52]
	v_fma_f64 v[55:56], v[7:8], v[55:56], v[187:188]
	v_add_f64 v[27:28], v[27:28], v[71:72]
	v_add_f64 v[25:26], v[25:26], v[45:46]
	s_clause 0x4
	buffer_load_dword v46, off, s[0:3], 0 offset:748
	buffer_load_dword v71, off, s[0:3], 0 offset:760
	;; [unrolled: 1-line block ×5, first 2 shown]
	ds_read_b128 v[5:8], v166 offset:1280
	s_waitcnt vmcnt(57) lgkmcnt(1)
	v_mul_f64 v[187:188], v[21:22], v[59:60]
	v_mul_f64 v[59:60], v[23:24], v[59:60]
	s_waitcnt vmcnt(56)
	v_fma_f64 v[83:84], v[1:2], v[85:86], -v[83:84]
	v_add_f64 v[27:28], v[27:28], v[51:52]
	v_fma_f64 v[51:52], v[3:4], v[85:86], v[77:78]
	v_add_f64 v[25:26], v[25:26], v[55:56]
	s_clause 0x2
	buffer_load_dword v72, off, s[0:3], 0 offset:764
	buffer_load_dword v56, off, s[0:3], 0 offset:740
	buffer_load_dword v55, off, s[0:3], 0 offset:736
	ds_read_b128 v[1:4], v166 offset:1296
	s_waitcnt vmcnt(58) lgkmcnt(1)
	v_mul_f64 v[85:86], v[7:8], v[161:162]
	v_mul_f64 v[77:78], v[5:6], v[161:162]
	s_waitcnt vmcnt(56)
	v_fma_f64 v[59:60], v[21:22], v[67:68], -v[59:60]
	v_fma_f64 v[67:68], v[23:24], v[67:68], v[187:188]
	v_add_f64 v[27:28], v[27:28], v[83:84]
	v_add_f64 v[25:26], v[25:26], v[51:52]
	s_clause 0x2
	buffer_load_dword v52, off, s[0:3], 0 offset:780
	buffer_load_dword v51, off, s[0:3], 0 offset:776
	;; [unrolled: 1-line block ×3, first 2 shown]
	ds_read_b128 v[21:24], v166 offset:1312
	s_waitcnt vmcnt(55) lgkmcnt(1)
	v_mul_f64 v[83:84], v[1:2], v[69:70]
	v_mul_f64 v[69:70], v[3:4], v[69:70]
	s_waitcnt vmcnt(54)
	v_fma_f64 v[85:86], v[5:6], v[163:164], -v[85:86]
	v_add_f64 v[27:28], v[27:28], v[59:60]
	v_fma_f64 v[59:60], v[7:8], v[163:164], v[77:78]
	v_add_f64 v[25:26], v[25:26], v[67:68]
	s_clause 0x1
	buffer_load_dword v68, off, s[0:3], 0 offset:772
	buffer_load_dword v67, off, s[0:3], 0 offset:768
	ds_read_b128 v[5:8], v166 offset:1328
	s_waitcnt vmcnt(55) lgkmcnt(1)
	v_mul_f64 v[77:78], v[21:22], v[79:80]
	v_mul_f64 v[79:80], v[23:24], v[79:80]
	s_waitcnt vmcnt(53)
	v_fma_f64 v[69:70], v[1:2], v[29:30], -v[69:70]
	v_fma_f64 v[29:30], v[3:4], v[29:30], v[83:84]
	ds_read_b128 v[1:4], v166 offset:1344
	v_add_f64 v[27:28], v[27:28], v[85:86]
	v_add_f64 v[25:26], v[25:26], v[59:60]
	s_waitcnt vmcnt(49) lgkmcnt(1)
	v_mul_f64 v[59:60], v[5:6], v[81:82]
	v_mul_f64 v[81:82], v[7:8], v[81:82]
	s_waitcnt vmcnt(48)
	v_fma_f64 v[79:80], v[21:22], v[175:176], -v[79:80]
	v_add_f64 v[27:28], v[27:28], v[69:70]
	v_fma_f64 v[69:70], v[23:24], v[175:176], v[77:78]
	v_add_f64 v[25:26], v[25:26], v[29:30]
	s_clause 0x3
	buffer_load_dword v29, off, s[0:3], 0 offset:32
	buffer_load_dword v30, off, s[0:3], 0 offset:36
	;; [unrolled: 1-line block ×4, first 2 shown]
	ds_read_b128 v[21:24], v166 offset:1360
	s_waitcnt vmcnt(51) lgkmcnt(1)
	v_mul_f64 v[85:86], v[3:4], v[169:170]
	v_mul_f64 v[83:84], v[1:2], v[169:170]
	s_waitcnt vmcnt(49)
	v_fma_f64 v[81:82], v[5:6], v[87:88], -v[81:82]
	v_fma_f64 v[59:60], v[7:8], v[87:88], v[59:60]
	ds_read_b128 v[5:8], v166 offset:1376
	v_add_f64 v[27:28], v[27:28], v[79:80]
	v_add_f64 v[25:26], v[25:26], v[69:70]
	s_waitcnt vmcnt(45) lgkmcnt(1)
	v_mul_f64 v[69:70], v[21:22], v[37:38]
	v_mul_f64 v[37:38], v[23:24], v[37:38]
	s_waitcnt vmcnt(44)
	v_fma_f64 v[79:80], v[1:2], v[179:180], -v[85:86]
	v_add_f64 v[27:28], v[27:28], v[81:82]
	v_fma_f64 v[81:82], v[3:4], v[179:180], v[83:84]
	v_add_f64 v[25:26], v[25:26], v[59:60]
	ds_read_b128 v[1:4], v166 offset:1392
	s_waitcnt vmcnt(43) lgkmcnt(1)
	v_mul_f64 v[83:84], v[7:8], v[177:178]
	v_mul_f64 v[59:60], v[5:6], v[177:178]
	s_waitcnt vmcnt(41)
	v_fma_f64 v[37:38], v[21:22], v[43:44], -v[37:38]
	v_fma_f64 v[43:44], v[23:24], v[43:44], v[69:70]
	ds_read_b128 v[21:24], v166 offset:1408
	v_add_f64 v[27:28], v[27:28], v[79:80]
	v_add_f64 v[25:26], v[25:26], v[81:82]
	s_waitcnt vmcnt(37) lgkmcnt(1)
	v_mul_f64 v[69:70], v[1:2], v[49:50]
	v_mul_f64 v[49:50], v[3:4], v[49:50]
	s_waitcnt vmcnt(36)
	v_fma_f64 v[79:80], v[5:6], v[183:184], -v[83:84]
	v_add_f64 v[27:28], v[27:28], v[37:38]
	v_fma_f64 v[37:38], v[7:8], v[183:184], v[59:60]
	v_add_f64 v[25:26], v[25:26], v[43:44]
	ds_read_b128 v[5:8], v166 offset:1424
	s_waitcnt vmcnt(35) lgkmcnt(1)
	v_mul_f64 v[59:60], v[23:24], v[171:172]
	v_mul_f64 v[43:44], v[21:22], v[171:172]
	s_waitcnt vmcnt(33)
	v_fma_f64 v[49:50], v[1:2], v[41:42], -v[49:50]
	v_fma_f64 v[41:42], v[3:4], v[41:42], v[69:70]
	ds_read_b128 v[1:4], v166 offset:1440
	v_add_f64 v[27:28], v[27:28], v[79:80]
	v_add_f64 v[25:26], v[25:26], v[37:38]
	s_waitcnt vmcnt(29) lgkmcnt(1)
	v_mul_f64 v[37:38], v[5:6], v[31:32]
	v_mul_f64 v[31:32], v[7:8], v[31:32]
	s_waitcnt vmcnt(28)
	v_fma_f64 v[59:60], v[21:22], v[185:186], -v[59:60]
	v_fma_f64 v[43:44], v[23:24], v[185:186], v[43:44]
	ds_read_b128 v[21:24], v166 offset:1456
	v_add_f64 v[27:28], v[27:28], v[49:50]
	v_add_f64 v[25:26], v[25:26], v[41:42]
	s_waitcnt vmcnt(27) lgkmcnt(1)
	v_mul_f64 v[49:50], v[3:4], v[53:54]
	v_mul_f64 v[41:42], v[1:2], v[53:54]
	s_waitcnt vmcnt(25)
	v_fma_f64 v[31:32], v[5:6], v[47:48], -v[31:32]
	v_fma_f64 v[37:38], v[7:8], v[47:48], v[37:38]
	ds_read_b128 v[5:8], v166 offset:1472
	v_add_f64 v[27:28], v[27:28], v[59:60]
	v_add_f64 v[25:26], v[25:26], v[43:44]
	s_waitcnt vmcnt(21) lgkmcnt(1)
	v_mul_f64 v[43:44], v[21:22], v[39:40]
	v_mul_f64 v[39:40], v[23:24], v[39:40]
	s_waitcnt vmcnt(20)
	v_fma_f64 v[47:48], v[1:2], v[181:182], -v[49:50]
	v_add_f64 v[27:28], v[27:28], v[31:32]
	v_fma_f64 v[31:32], v[3:4], v[181:182], v[41:42]
	v_add_f64 v[25:26], v[25:26], v[37:38]
	ds_read_b128 v[1:4], v166 offset:1488
	s_waitcnt vmcnt(19) lgkmcnt(1)
	v_mul_f64 v[41:42], v[7:8], v[65:66]
	v_mul_f64 v[37:38], v[5:6], v[65:66]
	s_waitcnt vmcnt(17)
	v_fma_f64 v[39:40], v[21:22], v[57:58], -v[39:40]
	v_fma_f64 v[43:44], v[23:24], v[57:58], v[43:44]
	ds_read_b128 v[21:24], v166 offset:1504
	v_add_f64 v[27:28], v[27:28], v[47:48]
	v_add_f64 v[25:26], v[25:26], v[31:32]
	s_waitcnt vmcnt(13) lgkmcnt(1)
	v_mul_f64 v[31:32], v[1:2], v[45:46]
	v_mul_f64 v[45:46], v[3:4], v[45:46]
	s_waitcnt vmcnt(12)
	v_fma_f64 v[41:42], v[5:6], v[173:174], -v[41:42]
	v_fma_f64 v[37:38], v[7:8], v[173:174], v[37:38]
	ds_read_b128 v[5:8], v166 offset:1520
	v_add_f64 v[27:28], v[27:28], v[39:40]
	v_add_f64 v[25:26], v[25:26], v[43:44]
	s_waitcnt vmcnt(11) lgkmcnt(1)
	v_mul_f64 v[43:44], v[23:24], v[71:72]
	v_mul_f64 v[39:40], v[21:22], v[71:72]
	s_waitcnt vmcnt(9)
	v_fma_f64 v[1:2], v[1:2], v[55:56], -v[45:46]
	v_fma_f64 v[3:4], v[3:4], v[55:56], v[31:32]
	v_add_f64 v[27:28], v[27:28], v[41:42]
	v_add_f64 v[25:26], v[25:26], v[37:38]
	s_waitcnt vmcnt(7) lgkmcnt(0)
	v_mul_f64 v[37:38], v[7:8], v[51:52]
	s_waitcnt vmcnt(6)
	v_fma_f64 v[21:22], v[21:22], v[167:168], -v[43:44]
	v_mul_f64 v[31:32], v[5:6], v[51:52]
	v_fma_f64 v[23:24], v[23:24], v[167:168], v[39:40]
	v_add_f64 v[1:2], v[27:28], v[1:2]
	v_add_f64 v[3:4], v[25:26], v[3:4]
	s_waitcnt vmcnt(4)
	v_fma_f64 v[5:6], v[5:6], v[67:68], -v[37:38]
	v_fma_f64 v[7:8], v[7:8], v[67:68], v[31:32]
	v_add_f64 v[1:2], v[1:2], v[21:22]
	v_add_f64 v[3:4], v[3:4], v[23:24]
	;; [unrolled: 1-line block ×4, first 2 shown]
	s_waitcnt vmcnt(2)
	v_add_f64 v[1:2], v[29:30], -v[1:2]
	s_waitcnt vmcnt(0)
	v_add_f64 v[3:4], v[77:78], -v[3:4]
	buffer_store_dword v2, off, s[0:3], 0 offset:36
	buffer_store_dword v1, off, s[0:3], 0 offset:32
	;; [unrolled: 1-line block ×4, first 2 shown]
	v_cmpx_ne_u32_e32 0, v0
	s_cbranch_execz .LBB47_301
; %bb.300:
	s_clause 0x3
	buffer_load_dword v0, off, s[0:3], 0 offset:16
	buffer_load_dword v1, off, s[0:3], 0 offset:20
	;; [unrolled: 1-line block ×4, first 2 shown]
	v_mov_b32_e32 v4, 0
	buffer_store_dword v4, off, s[0:3], 0 offset:16
	buffer_store_dword v4, off, s[0:3], 0 offset:20
	;; [unrolled: 1-line block ×4, first 2 shown]
	s_waitcnt vmcnt(0)
	ds_write_b128 v165, v[0:3]
.LBB47_301:
	s_or_b32 exec_lo, exec_lo, s4
	s_waitcnt lgkmcnt(0)
	s_waitcnt_vscnt null, 0x0
	s_barrier
	buffer_gl0_inv
	s_clause 0x37
	buffer_load_dword v29, off, s[0:3], 0 offset:40
	buffer_load_dword v30, off, s[0:3], 0 offset:44
	;; [unrolled: 1-line block ×56, first 2 shown]
	v_mov_b32_e32 v8, 0
	s_and_b32 vcc_lo, exec_lo, s60
	ds_read_b128 v[4:7], v8 offset:784
	s_clause 0x2
	buffer_load_dword v162, off, s[0:3], 0 offset:268
	buffer_load_dword v164, off, s[0:3], 0 offset:244
	;; [unrolled: 1-line block ×3, first 2 shown]
	ds_read_b128 v[0:3], v8 offset:800
	s_clause 0x4
	buffer_load_dword v172, off, s[0:3], 0 offset:284
	buffer_load_dword v173, off, s[0:3], 0 offset:296
	;; [unrolled: 1-line block ×5, first 2 shown]
	ds_read_b128 v[165:168], v8 offset:816
	s_waitcnt vmcnt(62) lgkmcnt(2)
	v_mul_f64 v[169:170], v[6:7], v[29:30]
	v_mul_f64 v[29:30], v[4:5], v[29:30]
	s_waitcnt vmcnt(60) lgkmcnt(1)
	v_mul_f64 v[176:177], v[2:3], v[25:26]
	v_mul_f64 v[25:26], v[0:1], v[25:26]
	;; [unrolled: 3-line block ×3, first 2 shown]
	v_fma_f64 v[169:170], v[4:5], v[27:28], -v[169:170]
	v_fma_f64 v[27:28], v[6:7], v[27:28], v[29:30]
	s_clause 0x2
	buffer_load_dword v174, off, s[0:3], 0 offset:300
	buffer_load_dword v30, off, s[0:3], 0 offset:276
	;; [unrolled: 1-line block ×3, first 2 shown]
	s_waitcnt vmcnt(57)
	v_fma_f64 v[180:181], v[0:1], v[21:22], -v[176:177]
	ds_read_b128 v[4:7], v8 offset:832
	v_fma_f64 v[21:22], v[2:3], v[21:22], v[25:26]
	s_waitcnt vmcnt(51)
	v_fma_f64 v[165:166], v[165:166], v[49:50], -v[23:24]
	v_fma_f64 v[49:50], v[167:168], v[49:50], v[178:179]
	v_add_f64 v[169:170], v[169:170], 0
	v_add_f64 v[25:26], v[27:28], 0
	s_clause 0x4
	buffer_load_dword v28, off, s[0:3], 0 offset:316
	buffer_load_dword v177, off, s[0:3], 0 offset:328
	;; [unrolled: 1-line block ×5, first 2 shown]
	s_waitcnt lgkmcnt(0)
	v_mul_f64 v[183:184], v[4:5], v[37:38]
	v_mul_f64 v[37:38], v[6:7], v[37:38]
	ds_read_b128 v[0:3], v8 offset:848
	s_clause 0x2
	buffer_load_dword v178, off, s[0:3], 0 offset:332
	buffer_load_dword v168, off, s[0:3], 0 offset:308
	;; [unrolled: 1-line block ×3, first 2 shown]
	v_add_f64 v[169:170], v[169:170], v[180:181]
	v_add_f64 v[25:26], v[25:26], v[21:22]
	ds_read_b128 v[21:24], v8 offset:864
	s_waitcnt vmcnt(58) lgkmcnt(1)
	v_mul_f64 v[179:180], v[0:1], v[41:42]
	v_mul_f64 v[41:42], v[2:3], v[41:42]
	s_waitcnt vmcnt(56)
	v_fma_f64 v[37:38], v[4:5], v[43:44], -v[37:38]
	v_fma_f64 v[43:44], v[6:7], v[43:44], v[183:184]
	s_waitcnt vmcnt(52) lgkmcnt(0)
	v_mul_f64 v[185:186], v[21:22], v[45:46]
	v_add_f64 v[165:166], v[169:170], v[165:166]
	v_add_f64 v[25:26], v[25:26], v[49:50]
	s_clause 0x4
	buffer_load_dword v50, off, s[0:3], 0 offset:348
	buffer_load_dword v169, off, s[0:3], 0 offset:360
	;; [unrolled: 1-line block ×5, first 2 shown]
	v_mul_f64 v[45:46], v[23:24], v[45:46]
	s_waitcnt vmcnt(56)
	v_fma_f64 v[41:42], v[0:1], v[31:32], -v[41:42]
	ds_read_b128 v[4:7], v8 offset:880
	v_fma_f64 v[31:32], v[2:3], v[31:32], v[179:180]
	v_add_f64 v[37:38], v[165:166], v[37:38]
	v_add_f64 v[25:26], v[25:26], v[43:44]
	s_clause 0x2
	buffer_load_dword v170, off, s[0:3], 0 offset:364
	buffer_load_dword v44, off, s[0:3], 0 offset:340
	;; [unrolled: 1-line block ×3, first 2 shown]
	s_waitcnt vmcnt(58) lgkmcnt(0)
	v_mul_f64 v[165:166], v[4:5], v[51:52]
	v_mul_f64 v[51:52], v[6:7], v[51:52]
	s_waitcnt vmcnt(56)
	v_fma_f64 v[45:46], v[21:22], v[53:54], -v[45:46]
	ds_read_b128 v[0:3], v8 offset:896
	v_add_f64 v[37:38], v[37:38], v[41:42]
	v_fma_f64 v[41:42], v[23:24], v[53:54], v[185:186]
	v_add_f64 v[25:26], v[25:26], v[31:32]
	s_clause 0x4
	buffer_load_dword v32, off, s[0:3], 0 offset:380
	buffer_load_dword v53, off, s[0:3], 0 offset:392
	;; [unrolled: 1-line block ×5, first 2 shown]
	s_waitcnt vmcnt(57) lgkmcnt(0)
	v_mul_f64 v[180:181], v[0:1], v[55:56]
	v_mul_f64 v[55:56], v[2:3], v[55:56]
	s_waitcnt vmcnt(56)
	v_fma_f64 v[51:52], v[4:5], v[39:40], -v[51:52]
	ds_read_b128 v[21:24], v8 offset:912
	v_fma_f64 v[39:40], v[6:7], v[39:40], v[165:166]
	v_add_f64 v[37:38], v[37:38], v[45:46]
	v_add_f64 v[25:26], v[25:26], v[41:42]
	s_clause 0x2
	buffer_load_dword v54, off, s[0:3], 0 offset:396
	buffer_load_dword v42, off, s[0:3], 0 offset:372
	;; [unrolled: 1-line block ×3, first 2 shown]
	ds_read_b128 v[4:7], v8 offset:928
	s_waitcnt vmcnt(58) lgkmcnt(1)
	v_mul_f64 v[45:46], v[21:22], v[59:60]
	v_mul_f64 v[59:60], v[23:24], v[59:60]
	s_waitcnt vmcnt(56)
	v_fma_f64 v[55:56], v[0:1], v[65:66], -v[55:56]
	v_add_f64 v[37:38], v[37:38], v[51:52]
	v_fma_f64 v[51:52], v[2:3], v[65:66], v[180:181]
	v_add_f64 v[25:26], v[25:26], v[39:40]
	s_clause 0x4
	buffer_load_dword v40, off, s[0:3], 0 offset:412
	buffer_load_dword v65, off, s[0:3], 0 offset:424
	;; [unrolled: 1-line block ×5, first 2 shown]
	s_waitcnt vmcnt(57) lgkmcnt(0)
	v_mul_f64 v[186:187], v[4:5], v[67:68]
	v_mul_f64 v[67:68], v[6:7], v[67:68]
	s_waitcnt vmcnt(56)
	v_fma_f64 v[59:60], v[21:22], v[47:48], -v[59:60]
	ds_read_b128 v[0:3], v8 offset:944
	v_fma_f64 v[45:46], v[23:24], v[47:48], v[45:46]
	s_clause 0x2
	buffer_load_dword v66, off, s[0:3], 0 offset:428
	buffer_load_dword v48, off, s[0:3], 0 offset:404
	;; [unrolled: 1-line block ×3, first 2 shown]
	ds_read_b128 v[21:24], v8 offset:960
	v_add_f64 v[37:38], v[37:38], v[55:56]
	v_add_f64 v[25:26], v[25:26], v[51:52]
	s_waitcnt vmcnt(58) lgkmcnt(1)
	v_mul_f64 v[55:56], v[2:3], v[71:72]
	s_waitcnt vmcnt(56)
	v_fma_f64 v[67:68], v[4:5], v[77:78], -v[67:68]
	v_mul_f64 v[51:52], v[0:1], v[71:72]
	v_add_f64 v[37:38], v[37:38], v[59:60]
	v_fma_f64 v[59:60], v[6:7], v[77:78], v[186:187]
	v_add_f64 v[25:26], v[25:26], v[45:46]
	s_clause 0x4
	buffer_load_dword v46, off, s[0:3], 0 offset:444
	buffer_load_dword v71, off, s[0:3], 0 offset:456
	;; [unrolled: 1-line block ×5, first 2 shown]
	s_waitcnt vmcnt(57) lgkmcnt(0)
	v_mul_f64 v[186:187], v[21:22], v[79:80]
	v_mul_f64 v[78:79], v[23:24], v[79:80]
	s_waitcnt vmcnt(56)
	v_fma_f64 v[55:56], v[0:1], v[57:58], -v[55:56]
	ds_read_b128 v[4:7], v8 offset:976
	v_fma_f64 v[51:52], v[2:3], v[57:58], v[51:52]
	s_clause 0x2
	buffer_load_dword v72, off, s[0:3], 0 offset:460
	buffer_load_dword v58, off, s[0:3], 0 offset:436
	;; [unrolled: 1-line block ×3, first 2 shown]
	ds_read_b128 v[0:3], v8 offset:992
	v_add_f64 v[37:38], v[37:38], v[67:68]
	v_add_f64 v[25:26], v[25:26], v[59:60]
	s_waitcnt vmcnt(58) lgkmcnt(1)
	v_mul_f64 v[67:68], v[6:7], v[83:84]
	s_waitcnt vmcnt(56)
	v_fma_f64 v[79:80], v[21:22], v[85:86], -v[78:79]
	v_mul_f64 v[59:60], v[4:5], v[83:84]
	v_add_f64 v[37:38], v[37:38], v[55:56]
	v_fma_f64 v[55:56], v[23:24], v[85:86], v[186:187]
	v_add_f64 v[25:26], v[25:26], v[51:52]
	s_clause 0x4
	buffer_load_dword v52, off, s[0:3], 0 offset:476
	buffer_load_dword v83, off, s[0:3], 0 offset:488
	;; [unrolled: 1-line block ×5, first 2 shown]
	s_waitcnt vmcnt(57) lgkmcnt(0)
	v_mul_f64 v[186:187], v[0:1], v[87:88]
	v_mul_f64 v[86:87], v[2:3], v[87:88]
	s_waitcnt vmcnt(56)
	v_fma_f64 v[67:68], v[4:5], v[69:70], -v[67:68]
	ds_read_b128 v[21:24], v8 offset:1008
	v_fma_f64 v[59:60], v[6:7], v[69:70], v[59:60]
	v_add_f64 v[37:38], v[37:38], v[79:80]
	v_add_f64 v[25:26], v[25:26], v[55:56]
	s_clause 0x2
	buffer_load_dword v84, off, s[0:3], 0 offset:492
	buffer_load_dword v56, off, s[0:3], 0 offset:468
	;; [unrolled: 1-line block ×3, first 2 shown]
	ds_read_b128 v[4:7], v8 offset:1024
	s_waitcnt vmcnt(58) lgkmcnt(1)
	v_mul_f64 v[79:80], v[23:24], v[161:162]
	s_waitcnt vmcnt(56)
	v_fma_f64 v[87:88], v[0:1], v[163:164], -v[86:87]
	v_mul_f64 v[69:70], v[21:22], v[161:162]
	v_add_f64 v[37:38], v[37:38], v[67:68]
	v_fma_f64 v[67:68], v[2:3], v[163:164], v[186:187]
	v_add_f64 v[25:26], v[25:26], v[59:60]
	s_clause 0x4
	buffer_load_dword v60, off, s[0:3], 0 offset:508
	buffer_load_dword v161, off, s[0:3], 0 offset:520
	buffer_load_dword v163, off, s[0:3], 0 offset:512
	buffer_load_dword v59, off, s[0:3], 0 offset:504
	buffer_load_dword v86, off, s[0:3], 0 offset:484
	s_waitcnt vmcnt(57) lgkmcnt(0)
	v_mul_f64 v[186:187], v[4:5], v[171:172]
	v_mul_f64 v[171:172], v[6:7], v[171:172]
	s_waitcnt vmcnt(56)
	v_fma_f64 v[79:80], v[21:22], v[81:82], -v[79:80]
	ds_read_b128 v[0:3], v8 offset:1040
	v_fma_f64 v[69:70], v[23:24], v[81:82], v[69:70]
	v_add_f64 v[37:38], v[37:38], v[87:88]
	v_add_f64 v[25:26], v[25:26], v[67:68]
	s_clause 0x2
	buffer_load_dword v162, off, s[0:3], 0 offset:524
	buffer_load_dword v68, off, s[0:3], 0 offset:500
	;; [unrolled: 1-line block ×3, first 2 shown]
	ds_read_b128 v[21:24], v8 offset:1056
	s_waitcnt vmcnt(58) lgkmcnt(1)
	v_mul_f64 v[87:88], v[2:3], v[173:174]
	v_mul_f64 v[81:82], v[0:1], v[173:174]
	s_waitcnt vmcnt(56)
	v_fma_f64 v[171:172], v[4:5], v[29:30], -v[171:172]
	v_fma_f64 v[29:30], v[6:7], v[29:30], v[186:187]
	v_add_f64 v[37:38], v[37:38], v[79:80]
	v_add_f64 v[25:26], v[25:26], v[69:70]
	s_clause 0x4
	buffer_load_dword v70, off, s[0:3], 0 offset:540
	buffer_load_dword v79, off, s[0:3], 0 offset:552
	;; [unrolled: 1-line block ×5, first 2 shown]
	ds_read_b128 v[4:7], v8 offset:1072
	s_waitcnt vmcnt(57) lgkmcnt(1)
	v_mul_f64 v[186:187], v[21:22], v[27:28]
	v_mul_f64 v[27:28], v[23:24], v[27:28]
	s_waitcnt vmcnt(56)
	v_fma_f64 v[87:88], v[0:1], v[175:176], -v[87:88]
	v_fma_f64 v[81:82], v[2:3], v[175:176], v[81:82]
	v_add_f64 v[37:38], v[37:38], v[171:172]
	v_add_f64 v[25:26], v[25:26], v[29:30]
	s_clause 0x2
	buffer_load_dword v80, off, s[0:3], 0 offset:556
	buffer_load_dword v30, off, s[0:3], 0 offset:532
	;; [unrolled: 1-line block ×3, first 2 shown]
	s_waitcnt vmcnt(58) lgkmcnt(0)
	v_mul_f64 v[175:176], v[6:7], v[177:178]
	ds_read_b128 v[0:3], v8 offset:1088
	v_mul_f64 v[171:172], v[4:5], v[177:178]
	s_waitcnt vmcnt(56)
	v_fma_f64 v[27:28], v[21:22], v[167:168], -v[27:28]
	v_add_f64 v[37:38], v[37:38], v[87:88]
	v_fma_f64 v[87:88], v[23:24], v[167:168], v[186:187]
	v_add_f64 v[25:26], v[25:26], v[81:82]
	s_clause 0x4
	buffer_load_dword v82, off, s[0:3], 0 offset:572
	buffer_load_dword v167, off, s[0:3], 0 offset:584
	;; [unrolled: 1-line block ×5, first 2 shown]
	ds_read_b128 v[21:24], v8 offset:1104
	s_waitcnt vmcnt(57) lgkmcnt(1)
	v_mul_f64 v[186:187], v[0:1], v[49:50]
	v_mul_f64 v[49:50], v[2:3], v[49:50]
	s_waitcnt vmcnt(56)
	v_fma_f64 v[175:176], v[4:5], v[182:183], -v[175:176]
	v_add_f64 v[27:28], v[37:38], v[27:28]
	v_fma_f64 v[37:38], v[6:7], v[182:183], v[171:172]
	v_add_f64 v[25:26], v[25:26], v[87:88]
	s_clause 0x2
	buffer_load_dword v168, off, s[0:3], 0 offset:588
	buffer_load_dword v88, off, s[0:3], 0 offset:564
	;; [unrolled: 1-line block ×3, first 2 shown]
	ds_read_b128 v[4:7], v8 offset:1120
	s_waitcnt vmcnt(58) lgkmcnt(1)
	v_mul_f64 v[171:172], v[21:22], v[169:170]
	v_mul_f64 v[169:170], v[23:24], v[169:170]
	s_waitcnt vmcnt(56)
	v_fma_f64 v[49:50], v[0:1], v[43:44], -v[49:50]
	v_fma_f64 v[43:44], v[2:3], v[43:44], v[186:187]
	v_add_f64 v[27:28], v[27:28], v[175:176]
	v_add_f64 v[25:26], v[25:26], v[37:38]
	s_clause 0x4
	buffer_load_dword v38, off, s[0:3], 0 offset:604
	buffer_load_dword v175, off, s[0:3], 0 offset:616
	;; [unrolled: 1-line block ×5, first 2 shown]
	ds_read_b128 v[0:3], v8 offset:1136
	s_waitcnt vmcnt(57) lgkmcnt(1)
	v_mul_f64 v[182:183], v[4:5], v[31:32]
	v_mul_f64 v[31:32], v[6:7], v[31:32]
	s_waitcnt vmcnt(56)
	v_fma_f64 v[169:170], v[21:22], v[184:185], -v[169:170]
	v_add_f64 v[27:28], v[27:28], v[49:50]
	v_fma_f64 v[49:50], v[23:24], v[184:185], v[171:172]
	v_add_f64 v[25:26], v[25:26], v[43:44]
	s_clause 0x2
	buffer_load_dword v176, off, s[0:3], 0 offset:620
	buffer_load_dword v44, off, s[0:3], 0 offset:596
	;; [unrolled: 1-line block ×3, first 2 shown]
	ds_read_b128 v[21:24], v8 offset:1152
	s_waitcnt vmcnt(58) lgkmcnt(1)
	v_mul_f64 v[171:172], v[0:1], v[53:54]
	v_mul_f64 v[53:54], v[2:3], v[53:54]
	s_waitcnt vmcnt(56)
	v_fma_f64 v[31:32], v[4:5], v[41:42], -v[31:32]
	v_fma_f64 v[41:42], v[6:7], v[41:42], v[182:183]
	v_add_f64 v[27:28], v[27:28], v[169:170]
	v_add_f64 v[25:26], v[25:26], v[49:50]
	s_clause 0x4
	buffer_load_dword v50, off, s[0:3], 0 offset:636
	buffer_load_dword v169, off, s[0:3], 0 offset:648
	;; [unrolled: 1-line block ×5, first 2 shown]
	ds_read_b128 v[4:7], v8 offset:1168
	s_waitcnt vmcnt(57) lgkmcnt(1)
	v_mul_f64 v[184:185], v[21:22], v[39:40]
	v_mul_f64 v[39:40], v[23:24], v[39:40]
	s_waitcnt vmcnt(56)
	v_fma_f64 v[53:54], v[0:1], v[179:180], -v[53:54]
	v_add_f64 v[27:28], v[27:28], v[31:32]
	v_fma_f64 v[31:32], v[2:3], v[179:180], v[171:172]
	v_add_f64 v[25:26], v[25:26], v[41:42]
	s_clause 0x2
	buffer_load_dword v170, off, s[0:3], 0 offset:652
	buffer_load_dword v42, off, s[0:3], 0 offset:628
	;; [unrolled: 1-line block ×3, first 2 shown]
	s_waitcnt vmcnt(58) lgkmcnt(0)
	v_mul_f64 v[171:172], v[4:5], v[65:66]
	v_mul_f64 v[65:66], v[6:7], v[65:66]
	ds_read_b128 v[0:3], v8 offset:1184
	s_waitcnt vmcnt(56)
	v_fma_f64 v[39:40], v[21:22], v[47:48], -v[39:40]
	v_fma_f64 v[47:48], v[23:24], v[47:48], v[184:185]
	v_add_f64 v[27:28], v[27:28], v[53:54]
	v_add_f64 v[25:26], v[25:26], v[31:32]
	s_clause 0x4
	buffer_load_dword v32, off, s[0:3], 0 offset:668
	buffer_load_dword v53, off, s[0:3], 0 offset:680
	;; [unrolled: 1-line block ×5, first 2 shown]
	ds_read_b128 v[21:24], v8 offset:1200
	s_waitcnt vmcnt(57) lgkmcnt(1)
	v_mul_f64 v[185:186], v[0:1], v[45:46]
	v_mul_f64 v[45:46], v[2:3], v[45:46]
	s_waitcnt vmcnt(56)
	v_fma_f64 v[65:66], v[4:5], v[165:166], -v[65:66]
	v_add_f64 v[27:28], v[27:28], v[39:40]
	v_fma_f64 v[39:40], v[6:7], v[165:166], v[171:172]
	v_add_f64 v[25:26], v[25:26], v[47:48]
	s_clause 0x2
	buffer_load_dword v54, off, s[0:3], 0 offset:684
	buffer_load_dword v48, off, s[0:3], 0 offset:660
	;; [unrolled: 1-line block ×3, first 2 shown]
	s_waitcnt vmcnt(58) lgkmcnt(0)
	v_mul_f64 v[165:166], v[21:22], v[71:72]
	v_mul_f64 v[71:72], v[23:24], v[71:72]
	ds_read_b128 v[4:7], v8 offset:1216
	s_waitcnt vmcnt(56)
	v_fma_f64 v[45:46], v[0:1], v[57:58], -v[45:46]
	v_fma_f64 v[57:58], v[2:3], v[57:58], v[185:186]
	v_add_f64 v[27:28], v[27:28], v[65:66]
	v_add_f64 v[25:26], v[25:26], v[39:40]
	s_clause 0x4
	buffer_load_dword v40, off, s[0:3], 0 offset:700
	buffer_load_dword v65, off, s[0:3], 0 offset:712
	;; [unrolled: 1-line block ×5, first 2 shown]
	ds_read_b128 v[0:3], v8 offset:1232
	s_waitcnt vmcnt(57) lgkmcnt(1)
	v_mul_f64 v[185:186], v[4:5], v[51:52]
	v_mul_f64 v[51:52], v[6:7], v[51:52]
	s_waitcnt vmcnt(56)
	v_fma_f64 v[71:72], v[21:22], v[77:78], -v[71:72]
	v_add_f64 v[27:28], v[27:28], v[45:46]
	v_fma_f64 v[45:46], v[23:24], v[77:78], v[165:166]
	v_add_f64 v[25:26], v[25:26], v[57:58]
	s_clause 0x2
	buffer_load_dword v66, off, s[0:3], 0 offset:716
	buffer_load_dword v58, off, s[0:3], 0 offset:692
	;; [unrolled: 1-line block ×3, first 2 shown]
	ds_read_b128 v[21:24], v8 offset:1248
	s_waitcnt vmcnt(58) lgkmcnt(1)
	v_mul_f64 v[77:78], v[0:1], v[83:84]
	v_mul_f64 v[83:84], v[2:3], v[83:84]
	s_waitcnt vmcnt(56)
	v_fma_f64 v[51:52], v[4:5], v[55:56], -v[51:52]
	v_fma_f64 v[55:56], v[6:7], v[55:56], v[185:186]
	v_add_f64 v[27:28], v[27:28], v[71:72]
	v_add_f64 v[25:26], v[25:26], v[45:46]
	s_clause 0x4
	buffer_load_dword v46, off, s[0:3], 0 offset:732
	buffer_load_dword v71, off, s[0:3], 0 offset:744
	;; [unrolled: 1-line block ×5, first 2 shown]
	ds_read_b128 v[4:7], v8 offset:1264
	s_waitcnt vmcnt(57) lgkmcnt(1)
	v_mul_f64 v[185:186], v[21:22], v[59:60]
	v_mul_f64 v[59:60], v[23:24], v[59:60]
	s_waitcnt vmcnt(56)
	v_fma_f64 v[83:84], v[0:1], v[85:86], -v[83:84]
	v_add_f64 v[27:28], v[27:28], v[51:52]
	v_fma_f64 v[51:52], v[2:3], v[85:86], v[77:78]
	v_add_f64 v[25:26], v[25:26], v[55:56]
	s_clause 0x2
	buffer_load_dword v72, off, s[0:3], 0 offset:748
	buffer_load_dword v56, off, s[0:3], 0 offset:724
	;; [unrolled: 1-line block ×3, first 2 shown]
	ds_read_b128 v[0:3], v8 offset:1280
	s_waitcnt vmcnt(58) lgkmcnt(1)
	v_mul_f64 v[85:86], v[6:7], v[161:162]
	v_mul_f64 v[77:78], v[4:5], v[161:162]
	s_waitcnt vmcnt(56)
	v_fma_f64 v[59:60], v[21:22], v[67:68], -v[59:60]
	v_fma_f64 v[67:68], v[23:24], v[67:68], v[185:186]
	v_add_f64 v[27:28], v[27:28], v[83:84]
	v_add_f64 v[25:26], v[25:26], v[51:52]
	s_clause 0x4
	buffer_load_dword v52, off, s[0:3], 0 offset:764
	buffer_load_dword v83, off, s[0:3], 0 offset:776
	;; [unrolled: 1-line block ×5, first 2 shown]
	ds_read_b128 v[21:24], v8 offset:1296
	s_waitcnt vmcnt(57) lgkmcnt(1)
	v_mul_f64 v[185:186], v[0:1], v[69:70]
	v_mul_f64 v[69:70], v[2:3], v[69:70]
	s_waitcnt vmcnt(56)
	v_fma_f64 v[85:86], v[4:5], v[163:164], -v[85:86]
	v_add_f64 v[27:28], v[27:28], v[59:60]
	v_fma_f64 v[59:60], v[6:7], v[163:164], v[77:78]
	v_add_f64 v[25:26], v[25:26], v[67:68]
	s_clause 0x2
	buffer_load_dword v84, off, s[0:3], 0 offset:780
	buffer_load_dword v68, off, s[0:3], 0 offset:756
	;; [unrolled: 1-line block ×3, first 2 shown]
	ds_read_b128 v[4:7], v8 offset:1312
	buffer_load_dword v162, off, s[0:3], 0 offset:772
	s_waitcnt vmcnt(59) lgkmcnt(1)
	v_mul_f64 v[77:78], v[21:22], v[79:80]
	v_mul_f64 v[79:80], v[23:24], v[79:80]
	s_waitcnt vmcnt(57)
	v_fma_f64 v[69:70], v[0:1], v[29:30], -v[69:70]
	v_fma_f64 v[29:30], v[2:3], v[29:30], v[185:186]
	ds_read_b128 v[0:3], v8 offset:1328
	v_add_f64 v[27:28], v[27:28], v[85:86]
	v_add_f64 v[25:26], v[25:26], v[59:60]
	s_waitcnt vmcnt(53) lgkmcnt(1)
	v_mul_f64 v[59:60], v[4:5], v[81:82]
	v_mul_f64 v[81:82], v[6:7], v[81:82]
	s_waitcnt vmcnt(52)
	v_fma_f64 v[79:80], v[21:22], v[173:174], -v[79:80]
	v_add_f64 v[27:28], v[27:28], v[69:70]
	v_fma_f64 v[69:70], v[23:24], v[173:174], v[77:78]
	v_add_f64 v[25:26], v[25:26], v[29:30]
	ds_read_b128 v[21:24], v8 offset:1344
	s_waitcnt vmcnt(51) lgkmcnt(1)
	v_mul_f64 v[77:78], v[2:3], v[167:168]
	v_mul_f64 v[29:30], v[0:1], v[167:168]
	s_waitcnt vmcnt(49)
	v_fma_f64 v[81:82], v[4:5], v[87:88], -v[81:82]
	v_fma_f64 v[59:60], v[6:7], v[87:88], v[59:60]
	v_add_f64 v[27:28], v[27:28], v[79:80]
	v_add_f64 v[25:26], v[25:26], v[69:70]
	s_clause 0x3
	buffer_load_dword v69, off, s[0:3], 0 offset:16
	buffer_load_dword v70, off, s[0:3], 0 offset:20
	;; [unrolled: 1-line block ×4, first 2 shown]
	ds_read_b128 v[4:7], v8 offset:1360
	s_waitcnt vmcnt(49) lgkmcnt(1)
	v_mul_f64 v[85:86], v[21:22], v[37:38]
	v_mul_f64 v[37:38], v[23:24], v[37:38]
	s_waitcnt vmcnt(48)
	v_fma_f64 v[77:78], v[0:1], v[177:178], -v[77:78]
	v_fma_f64 v[29:30], v[2:3], v[177:178], v[29:30]
	ds_read_b128 v[0:3], v8 offset:1376
	v_add_f64 v[27:28], v[27:28], v[81:82]
	v_add_f64 v[25:26], v[25:26], v[59:60]
	s_waitcnt vmcnt(47) lgkmcnt(1)
	v_mul_f64 v[81:82], v[6:7], v[175:176]
	v_mul_f64 v[59:60], v[4:5], v[175:176]
	s_waitcnt vmcnt(45)
	v_fma_f64 v[37:38], v[21:22], v[43:44], -v[37:38]
	v_fma_f64 v[43:44], v[23:24], v[43:44], v[85:86]
	ds_read_b128 v[21:24], v8 offset:1392
	v_add_f64 v[27:28], v[27:28], v[77:78]
	v_add_f64 v[25:26], v[25:26], v[29:30]
	s_waitcnt vmcnt(41) lgkmcnt(1)
	v_mul_f64 v[29:30], v[0:1], v[49:50]
	v_mul_f64 v[49:50], v[2:3], v[49:50]
	s_waitcnt vmcnt(40)
	v_fma_f64 v[77:78], v[4:5], v[181:182], -v[81:82]
	v_add_f64 v[27:28], v[27:28], v[37:38]
	v_fma_f64 v[37:38], v[6:7], v[181:182], v[59:60]
	v_add_f64 v[25:26], v[25:26], v[43:44]
	ds_read_b128 v[4:7], v8 offset:1408
	s_waitcnt vmcnt(39) lgkmcnt(1)
	v_mul_f64 v[59:60], v[23:24], v[169:170]
	v_mul_f64 v[43:44], v[21:22], v[169:170]
	s_waitcnt vmcnt(37)
	v_fma_f64 v[49:50], v[0:1], v[41:42], -v[49:50]
	v_fma_f64 v[29:30], v[2:3], v[41:42], v[29:30]
	ds_read_b128 v[0:3], v8 offset:1424
	v_add_f64 v[27:28], v[27:28], v[77:78]
	v_add_f64 v[25:26], v[25:26], v[37:38]
	s_waitcnt vmcnt(33) lgkmcnt(1)
	v_mul_f64 v[37:38], v[4:5], v[31:32]
	v_mul_f64 v[31:32], v[6:7], v[31:32]
	s_waitcnt vmcnt(32)
	v_fma_f64 v[41:42], v[21:22], v[183:184], -v[59:60]
	v_fma_f64 v[43:44], v[23:24], v[183:184], v[43:44]
	ds_read_b128 v[21:24], v8 offset:1440
	v_add_f64 v[27:28], v[27:28], v[49:50]
	v_add_f64 v[25:26], v[25:26], v[29:30]
	;; [unrolled: 9-line block ×5, first 2 shown]
	s_waitcnt vmcnt(17) lgkmcnt(1)
	v_mul_f64 v[43:44], v[2:3], v[45:46]
	s_waitcnt vmcnt(16)
	v_fma_f64 v[37:38], v[4:5], v[171:172], -v[37:38]
	v_mul_f64 v[29:30], v[0:1], v[45:46]
	v_fma_f64 v[31:32], v[6:7], v[171:172], v[31:32]
	ds_read_b128 v[4:7], v8 offset:1504
	v_add_f64 v[27:28], v[27:28], v[39:40]
	v_add_f64 v[25:26], v[25:26], v[41:42]
	s_waitcnt vmcnt(15) lgkmcnt(1)
	v_mul_f64 v[41:42], v[23:24], v[71:72]
	v_mul_f64 v[39:40], v[21:22], v[71:72]
	s_waitcnt vmcnt(13)
	v_fma_f64 v[43:44], v[0:1], v[55:56], -v[43:44]
	v_fma_f64 v[29:30], v[2:3], v[55:56], v[29:30]
	ds_read_b128 v[0:3], v8 offset:1520
	v_add_f64 v[27:28], v[27:28], v[37:38]
	v_add_f64 v[25:26], v[25:26], v[31:32]
	s_waitcnt vmcnt(9) lgkmcnt(1)
	v_mul_f64 v[37:38], v[6:7], v[51:52]
	s_waitcnt vmcnt(8)
	v_fma_f64 v[21:22], v[21:22], v[165:166], -v[41:42]
	v_mul_f64 v[31:32], v[4:5], v[51:52]
	v_fma_f64 v[23:24], v[23:24], v[165:166], v[39:40]
	v_add_f64 v[27:28], v[27:28], v[43:44]
	v_add_f64 v[25:26], v[25:26], v[29:30]
	s_waitcnt vmcnt(7) lgkmcnt(0)
	v_mul_f64 v[39:40], v[2:3], v[83:84]
	v_mul_f64 v[29:30], v[0:1], v[83:84]
	s_waitcnt vmcnt(5)
	v_fma_f64 v[4:5], v[4:5], v[67:68], -v[37:38]
	v_fma_f64 v[6:7], v[6:7], v[67:68], v[31:32]
	v_add_f64 v[21:22], v[27:28], v[21:22]
	v_add_f64 v[23:24], v[25:26], v[23:24]
	s_waitcnt vmcnt(4)
	v_fma_f64 v[0:1], v[0:1], v[161:162], -v[39:40]
	v_fma_f64 v[2:3], v[2:3], v[161:162], v[29:30]
	v_add_f64 v[4:5], v[21:22], v[4:5]
	v_add_f64 v[6:7], v[23:24], v[6:7]
	;; [unrolled: 1-line block ×4, first 2 shown]
	s_waitcnt vmcnt(2)
	v_add_f64 v[0:1], v[69:70], -v[0:1]
	s_waitcnt vmcnt(0)
	v_add_f64 v[2:3], v[79:80], -v[2:3]
	buffer_store_dword v1, off, s[0:3], 0 offset:20
	buffer_store_dword v0, off, s[0:3], 0 offset:16
	;; [unrolled: 1-line block ×4, first 2 shown]
	s_cbranch_vccz .LBB47_396
; %bb.302:
	global_load_dword v0, v8, s[20:21] offset:184
	s_waitcnt vmcnt(0)
	v_add_nc_u32_e32 v0, -1, v0
	v_cmp_ne_u32_e32 vcc_lo, 46, v0
	s_cbranch_vccz .LBB47_304
; %bb.303:
	v_lshlrev_b32_e32 v0, 4, v0
	v_mov_b32_e32 v1, s9
	v_add_nc_u32_e32 v0, 16, v0
	s_clause 0x7
	buffer_load_dword v2, v0, s[0:3], 0 offen
	buffer_load_dword v3, v0, s[0:3], 0 offen offset:4
	buffer_load_dword v4, v0, s[0:3], 0 offen offset:8
	;; [unrolled: 1-line block ×6, first 2 shown]
	buffer_load_dword v21, v1, s[0:3], 0 offen
	s_waitcnt vmcnt(7)
	buffer_store_dword v2, v1, s[0:3], 0 offen
	s_waitcnt vmcnt(6)
	buffer_store_dword v3, v1, s[0:3], 0 offen offset:4
	s_waitcnt vmcnt(5)
	buffer_store_dword v4, v1, s[0:3], 0 offen offset:8
	s_waitcnt vmcnt(4)
	buffer_store_dword v5, v1, s[0:3], 0 offen offset:12
	s_waitcnt vmcnt(3)
	buffer_store_dword v6, v0, s[0:3], 0 offen offset:12
	s_waitcnt vmcnt(2)
	buffer_store_dword v7, v0, s[0:3], 0 offen offset:8
	s_waitcnt vmcnt(1)
	buffer_store_dword v8, v0, s[0:3], 0 offen offset:4
	s_waitcnt vmcnt(0)
	buffer_store_dword v21, v0, s[0:3], 0 offen
.LBB47_304:
	v_mov_b32_e32 v0, 0
	global_load_dword v1, v0, s[20:21] offset:180
	s_waitcnt vmcnt(0)
	v_add_nc_u32_e32 v1, -1, v1
	v_cmp_eq_u32_e32 vcc_lo, 45, v1
	s_cbranch_vccnz .LBB47_306
; %bb.305:
	v_lshlrev_b32_e32 v1, 4, v1
	v_mov_b32_e32 v2, s12
	v_add_nc_u32_e32 v1, 16, v1
	s_clause 0x7
	buffer_load_dword v3, v1, s[0:3], 0 offen
	buffer_load_dword v4, v1, s[0:3], 0 offen offset:4
	buffer_load_dword v5, v1, s[0:3], 0 offen offset:8
	;; [unrolled: 1-line block ×6, first 2 shown]
	buffer_load_dword v22, v2, s[0:3], 0 offen
	s_waitcnt vmcnt(7)
	buffer_store_dword v3, v2, s[0:3], 0 offen
	s_waitcnt vmcnt(6)
	buffer_store_dword v4, v2, s[0:3], 0 offen offset:4
	s_waitcnt vmcnt(5)
	buffer_store_dword v5, v2, s[0:3], 0 offen offset:8
	;; [unrolled: 2-line block ×6, first 2 shown]
	s_waitcnt vmcnt(0)
	buffer_store_dword v22, v1, s[0:3], 0 offen
.LBB47_306:
	global_load_dword v0, v0, s[20:21] offset:176
	s_waitcnt vmcnt(0)
	v_add_nc_u32_e32 v0, -1, v0
	v_cmp_eq_u32_e32 vcc_lo, 44, v0
	s_cbranch_vccnz .LBB47_308
; %bb.307:
	v_lshlrev_b32_e32 v0, 4, v0
	v_mov_b32_e32 v1, s13
	v_add_nc_u32_e32 v0, 16, v0
	s_clause 0x7
	buffer_load_dword v2, v0, s[0:3], 0 offen
	buffer_load_dword v3, v0, s[0:3], 0 offen offset:4
	buffer_load_dword v4, v0, s[0:3], 0 offen offset:8
	;; [unrolled: 1-line block ×6, first 2 shown]
	buffer_load_dword v21, v1, s[0:3], 0 offen
	s_waitcnt vmcnt(7)
	buffer_store_dword v2, v1, s[0:3], 0 offen
	s_waitcnt vmcnt(6)
	buffer_store_dword v3, v1, s[0:3], 0 offen offset:4
	s_waitcnt vmcnt(5)
	buffer_store_dword v4, v1, s[0:3], 0 offen offset:8
	;; [unrolled: 2-line block ×6, first 2 shown]
	s_waitcnt vmcnt(0)
	buffer_store_dword v21, v0, s[0:3], 0 offen
.LBB47_308:
	v_mov_b32_e32 v0, 0
	global_load_dword v1, v0, s[20:21] offset:172
	s_waitcnt vmcnt(0)
	v_add_nc_u32_e32 v1, -1, v1
	v_cmp_eq_u32_e32 vcc_lo, 43, v1
	s_cbranch_vccnz .LBB47_310
; %bb.309:
	v_lshlrev_b32_e32 v1, 4, v1
	v_mov_b32_e32 v2, s14
	v_add_nc_u32_e32 v1, 16, v1
	s_clause 0x7
	buffer_load_dword v3, v1, s[0:3], 0 offen
	buffer_load_dword v4, v1, s[0:3], 0 offen offset:4
	buffer_load_dword v5, v1, s[0:3], 0 offen offset:8
	;; [unrolled: 1-line block ×6, first 2 shown]
	buffer_load_dword v22, v2, s[0:3], 0 offen
	s_waitcnt vmcnt(7)
	buffer_store_dword v3, v2, s[0:3], 0 offen
	s_waitcnt vmcnt(6)
	buffer_store_dword v4, v2, s[0:3], 0 offen offset:4
	s_waitcnt vmcnt(5)
	buffer_store_dword v5, v2, s[0:3], 0 offen offset:8
	;; [unrolled: 2-line block ×6, first 2 shown]
	s_waitcnt vmcnt(0)
	buffer_store_dword v22, v1, s[0:3], 0 offen
.LBB47_310:
	global_load_dword v0, v0, s[20:21] offset:168
	s_waitcnt vmcnt(0)
	v_add_nc_u32_e32 v0, -1, v0
	v_cmp_eq_u32_e32 vcc_lo, 42, v0
	s_cbranch_vccnz .LBB47_312
; %bb.311:
	v_lshlrev_b32_e32 v0, 4, v0
	v_mov_b32_e32 v1, s15
	v_add_nc_u32_e32 v0, 16, v0
	s_clause 0x7
	buffer_load_dword v2, v0, s[0:3], 0 offen
	buffer_load_dword v3, v0, s[0:3], 0 offen offset:4
	buffer_load_dword v4, v0, s[0:3], 0 offen offset:8
	;; [unrolled: 1-line block ×6, first 2 shown]
	buffer_load_dword v21, v1, s[0:3], 0 offen
	s_waitcnt vmcnt(7)
	buffer_store_dword v2, v1, s[0:3], 0 offen
	s_waitcnt vmcnt(6)
	buffer_store_dword v3, v1, s[0:3], 0 offen offset:4
	s_waitcnt vmcnt(5)
	buffer_store_dword v4, v1, s[0:3], 0 offen offset:8
	;; [unrolled: 2-line block ×6, first 2 shown]
	s_waitcnt vmcnt(0)
	buffer_store_dword v21, v0, s[0:3], 0 offen
.LBB47_312:
	v_mov_b32_e32 v0, 0
	global_load_dword v1, v0, s[20:21] offset:164
	s_waitcnt vmcnt(0)
	v_add_nc_u32_e32 v1, -1, v1
	v_cmp_eq_u32_e32 vcc_lo, 41, v1
	s_cbranch_vccnz .LBB47_314
; %bb.313:
	v_lshlrev_b32_e32 v1, 4, v1
	v_mov_b32_e32 v2, s16
	v_add_nc_u32_e32 v1, 16, v1
	s_clause 0x7
	buffer_load_dword v3, v1, s[0:3], 0 offen
	buffer_load_dword v4, v1, s[0:3], 0 offen offset:4
	buffer_load_dword v5, v1, s[0:3], 0 offen offset:8
	;; [unrolled: 1-line block ×6, first 2 shown]
	buffer_load_dword v22, v2, s[0:3], 0 offen
	s_waitcnt vmcnt(7)
	buffer_store_dword v3, v2, s[0:3], 0 offen
	s_waitcnt vmcnt(6)
	buffer_store_dword v4, v2, s[0:3], 0 offen offset:4
	s_waitcnt vmcnt(5)
	buffer_store_dword v5, v2, s[0:3], 0 offen offset:8
	;; [unrolled: 2-line block ×6, first 2 shown]
	s_waitcnt vmcnt(0)
	buffer_store_dword v22, v1, s[0:3], 0 offen
.LBB47_314:
	global_load_dword v0, v0, s[20:21] offset:160
	s_waitcnt vmcnt(0)
	v_add_nc_u32_e32 v0, -1, v0
	v_cmp_eq_u32_e32 vcc_lo, 40, v0
	s_cbranch_vccnz .LBB47_316
; %bb.315:
	v_lshlrev_b32_e32 v0, 4, v0
	v_mov_b32_e32 v1, s17
	v_add_nc_u32_e32 v0, 16, v0
	s_clause 0x7
	buffer_load_dword v2, v0, s[0:3], 0 offen
	buffer_load_dword v3, v0, s[0:3], 0 offen offset:4
	buffer_load_dword v4, v0, s[0:3], 0 offen offset:8
	;; [unrolled: 1-line block ×6, first 2 shown]
	buffer_load_dword v21, v1, s[0:3], 0 offen
	s_waitcnt vmcnt(7)
	buffer_store_dword v2, v1, s[0:3], 0 offen
	s_waitcnt vmcnt(6)
	buffer_store_dword v3, v1, s[0:3], 0 offen offset:4
	s_waitcnt vmcnt(5)
	buffer_store_dword v4, v1, s[0:3], 0 offen offset:8
	;; [unrolled: 2-line block ×6, first 2 shown]
	s_waitcnt vmcnt(0)
	buffer_store_dword v21, v0, s[0:3], 0 offen
.LBB47_316:
	v_mov_b32_e32 v0, 0
	global_load_dword v1, v0, s[20:21] offset:156
	s_waitcnt vmcnt(0)
	v_add_nc_u32_e32 v1, -1, v1
	v_cmp_eq_u32_e32 vcc_lo, 39, v1
	s_cbranch_vccnz .LBB47_318
; %bb.317:
	v_lshlrev_b32_e32 v1, 4, v1
	v_mov_b32_e32 v2, s18
	v_add_nc_u32_e32 v1, 16, v1
	s_clause 0x7
	buffer_load_dword v3, v1, s[0:3], 0 offen
	buffer_load_dword v4, v1, s[0:3], 0 offen offset:4
	buffer_load_dword v5, v1, s[0:3], 0 offen offset:8
	;; [unrolled: 1-line block ×6, first 2 shown]
	buffer_load_dword v22, v2, s[0:3], 0 offen
	s_waitcnt vmcnt(7)
	buffer_store_dword v3, v2, s[0:3], 0 offen
	s_waitcnt vmcnt(6)
	buffer_store_dword v4, v2, s[0:3], 0 offen offset:4
	s_waitcnt vmcnt(5)
	buffer_store_dword v5, v2, s[0:3], 0 offen offset:8
	;; [unrolled: 2-line block ×6, first 2 shown]
	s_waitcnt vmcnt(0)
	buffer_store_dword v22, v1, s[0:3], 0 offen
.LBB47_318:
	global_load_dword v0, v0, s[20:21] offset:152
	s_waitcnt vmcnt(0)
	v_add_nc_u32_e32 v0, -1, v0
	v_cmp_eq_u32_e32 vcc_lo, 38, v0
	s_cbranch_vccnz .LBB47_320
; %bb.319:
	v_lshlrev_b32_e32 v0, 4, v0
	v_mov_b32_e32 v1, s19
	v_add_nc_u32_e32 v0, 16, v0
	s_clause 0x7
	buffer_load_dword v2, v0, s[0:3], 0 offen
	buffer_load_dword v3, v0, s[0:3], 0 offen offset:4
	buffer_load_dword v4, v0, s[0:3], 0 offen offset:8
	;; [unrolled: 1-line block ×6, first 2 shown]
	buffer_load_dword v21, v1, s[0:3], 0 offen
	s_waitcnt vmcnt(7)
	buffer_store_dword v2, v1, s[0:3], 0 offen
	s_waitcnt vmcnt(6)
	buffer_store_dword v3, v1, s[0:3], 0 offen offset:4
	s_waitcnt vmcnt(5)
	buffer_store_dword v4, v1, s[0:3], 0 offen offset:8
	;; [unrolled: 2-line block ×6, first 2 shown]
	s_waitcnt vmcnt(0)
	buffer_store_dword v21, v0, s[0:3], 0 offen
.LBB47_320:
	v_mov_b32_e32 v0, 0
	global_load_dword v1, v0, s[20:21] offset:148
	s_waitcnt vmcnt(0)
	v_add_nc_u32_e32 v1, -1, v1
	v_cmp_eq_u32_e32 vcc_lo, 37, v1
	s_cbranch_vccnz .LBB47_322
; %bb.321:
	v_lshlrev_b32_e32 v1, 4, v1
	v_mov_b32_e32 v2, s22
	v_add_nc_u32_e32 v1, 16, v1
	s_clause 0x7
	buffer_load_dword v3, v1, s[0:3], 0 offen
	buffer_load_dword v4, v1, s[0:3], 0 offen offset:4
	buffer_load_dword v5, v1, s[0:3], 0 offen offset:8
	;; [unrolled: 1-line block ×6, first 2 shown]
	buffer_load_dword v22, v2, s[0:3], 0 offen
	s_waitcnt vmcnt(7)
	buffer_store_dword v3, v2, s[0:3], 0 offen
	s_waitcnt vmcnt(6)
	buffer_store_dword v4, v2, s[0:3], 0 offen offset:4
	s_waitcnt vmcnt(5)
	buffer_store_dword v5, v2, s[0:3], 0 offen offset:8
	;; [unrolled: 2-line block ×6, first 2 shown]
	s_waitcnt vmcnt(0)
	buffer_store_dword v22, v1, s[0:3], 0 offen
.LBB47_322:
	global_load_dword v0, v0, s[20:21] offset:144
	s_waitcnt vmcnt(0)
	v_add_nc_u32_e32 v0, -1, v0
	v_cmp_eq_u32_e32 vcc_lo, 36, v0
	s_cbranch_vccnz .LBB47_324
; %bb.323:
	v_lshlrev_b32_e32 v0, 4, v0
	v_mov_b32_e32 v1, s23
	v_add_nc_u32_e32 v0, 16, v0
	s_clause 0x7
	buffer_load_dword v2, v0, s[0:3], 0 offen
	buffer_load_dword v3, v0, s[0:3], 0 offen offset:4
	buffer_load_dword v4, v0, s[0:3], 0 offen offset:8
	;; [unrolled: 1-line block ×6, first 2 shown]
	buffer_load_dword v21, v1, s[0:3], 0 offen
	s_waitcnt vmcnt(7)
	buffer_store_dword v2, v1, s[0:3], 0 offen
	s_waitcnt vmcnt(6)
	buffer_store_dword v3, v1, s[0:3], 0 offen offset:4
	s_waitcnt vmcnt(5)
	buffer_store_dword v4, v1, s[0:3], 0 offen offset:8
	;; [unrolled: 2-line block ×6, first 2 shown]
	s_waitcnt vmcnt(0)
	buffer_store_dword v21, v0, s[0:3], 0 offen
.LBB47_324:
	v_mov_b32_e32 v0, 0
	global_load_dword v1, v0, s[20:21] offset:140
	s_waitcnt vmcnt(0)
	v_add_nc_u32_e32 v1, -1, v1
	v_cmp_eq_u32_e32 vcc_lo, 35, v1
	s_cbranch_vccnz .LBB47_326
; %bb.325:
	v_lshlrev_b32_e32 v1, 4, v1
	v_mov_b32_e32 v2, s24
	v_add_nc_u32_e32 v1, 16, v1
	s_clause 0x7
	buffer_load_dword v3, v1, s[0:3], 0 offen
	buffer_load_dword v4, v1, s[0:3], 0 offen offset:4
	buffer_load_dword v5, v1, s[0:3], 0 offen offset:8
	;; [unrolled: 1-line block ×6, first 2 shown]
	buffer_load_dword v22, v2, s[0:3], 0 offen
	s_waitcnt vmcnt(7)
	buffer_store_dword v3, v2, s[0:3], 0 offen
	s_waitcnt vmcnt(6)
	buffer_store_dword v4, v2, s[0:3], 0 offen offset:4
	s_waitcnt vmcnt(5)
	buffer_store_dword v5, v2, s[0:3], 0 offen offset:8
	;; [unrolled: 2-line block ×6, first 2 shown]
	s_waitcnt vmcnt(0)
	buffer_store_dword v22, v1, s[0:3], 0 offen
.LBB47_326:
	global_load_dword v0, v0, s[20:21] offset:136
	s_waitcnt vmcnt(0)
	v_add_nc_u32_e32 v0, -1, v0
	v_cmp_eq_u32_e32 vcc_lo, 34, v0
	s_cbranch_vccnz .LBB47_328
; %bb.327:
	v_lshlrev_b32_e32 v0, 4, v0
	v_mov_b32_e32 v1, s25
	v_add_nc_u32_e32 v0, 16, v0
	s_clause 0x7
	buffer_load_dword v2, v0, s[0:3], 0 offen
	buffer_load_dword v3, v0, s[0:3], 0 offen offset:4
	buffer_load_dword v4, v0, s[0:3], 0 offen offset:8
	;; [unrolled: 1-line block ×6, first 2 shown]
	buffer_load_dword v21, v1, s[0:3], 0 offen
	s_waitcnt vmcnt(7)
	buffer_store_dword v2, v1, s[0:3], 0 offen
	s_waitcnt vmcnt(6)
	buffer_store_dword v3, v1, s[0:3], 0 offen offset:4
	s_waitcnt vmcnt(5)
	buffer_store_dword v4, v1, s[0:3], 0 offen offset:8
	;; [unrolled: 2-line block ×6, first 2 shown]
	s_waitcnt vmcnt(0)
	buffer_store_dword v21, v0, s[0:3], 0 offen
.LBB47_328:
	v_mov_b32_e32 v0, 0
	global_load_dword v1, v0, s[20:21] offset:132
	s_waitcnt vmcnt(0)
	v_add_nc_u32_e32 v1, -1, v1
	v_cmp_eq_u32_e32 vcc_lo, 33, v1
	s_cbranch_vccnz .LBB47_330
; %bb.329:
	v_lshlrev_b32_e32 v1, 4, v1
	v_mov_b32_e32 v2, s26
	v_add_nc_u32_e32 v1, 16, v1
	s_clause 0x7
	buffer_load_dword v3, v1, s[0:3], 0 offen
	buffer_load_dword v4, v1, s[0:3], 0 offen offset:4
	buffer_load_dword v5, v1, s[0:3], 0 offen offset:8
	;; [unrolled: 1-line block ×6, first 2 shown]
	buffer_load_dword v22, v2, s[0:3], 0 offen
	s_waitcnt vmcnt(7)
	buffer_store_dword v3, v2, s[0:3], 0 offen
	s_waitcnt vmcnt(6)
	buffer_store_dword v4, v2, s[0:3], 0 offen offset:4
	s_waitcnt vmcnt(5)
	buffer_store_dword v5, v2, s[0:3], 0 offen offset:8
	;; [unrolled: 2-line block ×6, first 2 shown]
	s_waitcnt vmcnt(0)
	buffer_store_dword v22, v1, s[0:3], 0 offen
.LBB47_330:
	global_load_dword v0, v0, s[20:21] offset:128
	s_waitcnt vmcnt(0)
	v_add_nc_u32_e32 v0, -1, v0
	v_cmp_eq_u32_e32 vcc_lo, 32, v0
	s_cbranch_vccnz .LBB47_332
; %bb.331:
	v_lshlrev_b32_e32 v0, 4, v0
	v_mov_b32_e32 v1, s27
	v_add_nc_u32_e32 v0, 16, v0
	s_clause 0x7
	buffer_load_dword v2, v0, s[0:3], 0 offen
	buffer_load_dword v3, v0, s[0:3], 0 offen offset:4
	buffer_load_dword v4, v0, s[0:3], 0 offen offset:8
	;; [unrolled: 1-line block ×6, first 2 shown]
	buffer_load_dword v21, v1, s[0:3], 0 offen
	s_waitcnt vmcnt(7)
	buffer_store_dword v2, v1, s[0:3], 0 offen
	s_waitcnt vmcnt(6)
	buffer_store_dword v3, v1, s[0:3], 0 offen offset:4
	s_waitcnt vmcnt(5)
	buffer_store_dword v4, v1, s[0:3], 0 offen offset:8
	;; [unrolled: 2-line block ×6, first 2 shown]
	s_waitcnt vmcnt(0)
	buffer_store_dword v21, v0, s[0:3], 0 offen
.LBB47_332:
	v_mov_b32_e32 v0, 0
	global_load_dword v1, v0, s[20:21] offset:124
	s_waitcnt vmcnt(0)
	v_add_nc_u32_e32 v1, -1, v1
	v_cmp_eq_u32_e32 vcc_lo, 31, v1
	s_cbranch_vccnz .LBB47_334
; %bb.333:
	v_lshlrev_b32_e32 v1, 4, v1
	v_mov_b32_e32 v2, s28
	v_add_nc_u32_e32 v1, 16, v1
	s_clause 0x7
	buffer_load_dword v3, v1, s[0:3], 0 offen
	buffer_load_dword v4, v1, s[0:3], 0 offen offset:4
	buffer_load_dword v5, v1, s[0:3], 0 offen offset:8
	;; [unrolled: 1-line block ×6, first 2 shown]
	buffer_load_dword v22, v2, s[0:3], 0 offen
	s_waitcnt vmcnt(7)
	buffer_store_dword v3, v2, s[0:3], 0 offen
	s_waitcnt vmcnt(6)
	buffer_store_dword v4, v2, s[0:3], 0 offen offset:4
	s_waitcnt vmcnt(5)
	buffer_store_dword v5, v2, s[0:3], 0 offen offset:8
	;; [unrolled: 2-line block ×6, first 2 shown]
	s_waitcnt vmcnt(0)
	buffer_store_dword v22, v1, s[0:3], 0 offen
.LBB47_334:
	global_load_dword v0, v0, s[20:21] offset:120
	s_waitcnt vmcnt(0)
	v_add_nc_u32_e32 v0, -1, v0
	v_cmp_eq_u32_e32 vcc_lo, 30, v0
	s_cbranch_vccnz .LBB47_336
; %bb.335:
	v_lshlrev_b32_e32 v0, 4, v0
	v_mov_b32_e32 v1, s29
	v_add_nc_u32_e32 v0, 16, v0
	s_clause 0x7
	buffer_load_dword v2, v0, s[0:3], 0 offen
	buffer_load_dword v3, v0, s[0:3], 0 offen offset:4
	buffer_load_dword v4, v0, s[0:3], 0 offen offset:8
	buffer_load_dword v5, v0, s[0:3], 0 offen offset:12
	buffer_load_dword v6, v1, s[0:3], 0 offen offset:12
	buffer_load_dword v7, v1, s[0:3], 0 offen offset:8
	buffer_load_dword v8, v1, s[0:3], 0 offen offset:4
	buffer_load_dword v21, v1, s[0:3], 0 offen
	s_waitcnt vmcnt(7)
	buffer_store_dword v2, v1, s[0:3], 0 offen
	s_waitcnt vmcnt(6)
	buffer_store_dword v3, v1, s[0:3], 0 offen offset:4
	s_waitcnt vmcnt(5)
	buffer_store_dword v4, v1, s[0:3], 0 offen offset:8
	s_waitcnt vmcnt(4)
	buffer_store_dword v5, v1, s[0:3], 0 offen offset:12
	s_waitcnt vmcnt(3)
	buffer_store_dword v6, v0, s[0:3], 0 offen offset:12
	s_waitcnt vmcnt(2)
	buffer_store_dword v7, v0, s[0:3], 0 offen offset:8
	s_waitcnt vmcnt(1)
	buffer_store_dword v8, v0, s[0:3], 0 offen offset:4
	s_waitcnt vmcnt(0)
	buffer_store_dword v21, v0, s[0:3], 0 offen
.LBB47_336:
	v_mov_b32_e32 v0, 0
	global_load_dword v1, v0, s[20:21] offset:116
	s_waitcnt vmcnt(0)
	v_add_nc_u32_e32 v1, -1, v1
	v_cmp_eq_u32_e32 vcc_lo, 29, v1
	s_cbranch_vccnz .LBB47_338
; %bb.337:
	v_lshlrev_b32_e32 v1, 4, v1
	v_mov_b32_e32 v2, s30
	v_add_nc_u32_e32 v1, 16, v1
	s_clause 0x7
	buffer_load_dword v3, v1, s[0:3], 0 offen
	buffer_load_dword v4, v1, s[0:3], 0 offen offset:4
	buffer_load_dword v5, v1, s[0:3], 0 offen offset:8
	;; [unrolled: 1-line block ×6, first 2 shown]
	buffer_load_dword v22, v2, s[0:3], 0 offen
	s_waitcnt vmcnt(7)
	buffer_store_dword v3, v2, s[0:3], 0 offen
	s_waitcnt vmcnt(6)
	buffer_store_dword v4, v2, s[0:3], 0 offen offset:4
	s_waitcnt vmcnt(5)
	buffer_store_dword v5, v2, s[0:3], 0 offen offset:8
	;; [unrolled: 2-line block ×6, first 2 shown]
	s_waitcnt vmcnt(0)
	buffer_store_dword v22, v1, s[0:3], 0 offen
.LBB47_338:
	global_load_dword v0, v0, s[20:21] offset:112
	s_waitcnt vmcnt(0)
	v_add_nc_u32_e32 v0, -1, v0
	v_cmp_eq_u32_e32 vcc_lo, 28, v0
	s_cbranch_vccnz .LBB47_340
; %bb.339:
	v_lshlrev_b32_e32 v0, 4, v0
	v_mov_b32_e32 v1, s31
	v_add_nc_u32_e32 v0, 16, v0
	s_clause 0x7
	buffer_load_dword v2, v0, s[0:3], 0 offen
	buffer_load_dword v3, v0, s[0:3], 0 offen offset:4
	buffer_load_dword v4, v0, s[0:3], 0 offen offset:8
	;; [unrolled: 1-line block ×6, first 2 shown]
	buffer_load_dword v21, v1, s[0:3], 0 offen
	s_waitcnt vmcnt(7)
	buffer_store_dword v2, v1, s[0:3], 0 offen
	s_waitcnt vmcnt(6)
	buffer_store_dword v3, v1, s[0:3], 0 offen offset:4
	s_waitcnt vmcnt(5)
	buffer_store_dword v4, v1, s[0:3], 0 offen offset:8
	;; [unrolled: 2-line block ×6, first 2 shown]
	s_waitcnt vmcnt(0)
	buffer_store_dword v21, v0, s[0:3], 0 offen
.LBB47_340:
	v_mov_b32_e32 v0, 0
	global_load_dword v1, v0, s[20:21] offset:108
	s_waitcnt vmcnt(0)
	v_add_nc_u32_e32 v1, -1, v1
	v_cmp_eq_u32_e32 vcc_lo, 27, v1
	s_cbranch_vccnz .LBB47_342
; %bb.341:
	v_lshlrev_b32_e32 v1, 4, v1
	v_mov_b32_e32 v2, s33
	v_add_nc_u32_e32 v1, 16, v1
	s_clause 0x7
	buffer_load_dword v3, v1, s[0:3], 0 offen
	buffer_load_dword v4, v1, s[0:3], 0 offen offset:4
	buffer_load_dword v5, v1, s[0:3], 0 offen offset:8
	;; [unrolled: 1-line block ×6, first 2 shown]
	buffer_load_dword v22, v2, s[0:3], 0 offen
	s_waitcnt vmcnt(7)
	buffer_store_dword v3, v2, s[0:3], 0 offen
	s_waitcnt vmcnt(6)
	buffer_store_dword v4, v2, s[0:3], 0 offen offset:4
	s_waitcnt vmcnt(5)
	buffer_store_dword v5, v2, s[0:3], 0 offen offset:8
	;; [unrolled: 2-line block ×6, first 2 shown]
	s_waitcnt vmcnt(0)
	buffer_store_dword v22, v1, s[0:3], 0 offen
.LBB47_342:
	global_load_dword v0, v0, s[20:21] offset:104
	s_waitcnt vmcnt(0)
	v_add_nc_u32_e32 v0, -1, v0
	v_cmp_eq_u32_e32 vcc_lo, 26, v0
	s_cbranch_vccnz .LBB47_344
; %bb.343:
	v_lshlrev_b32_e32 v0, 4, v0
	v_mov_b32_e32 v1, s34
	v_add_nc_u32_e32 v0, 16, v0
	s_clause 0x7
	buffer_load_dword v2, v0, s[0:3], 0 offen
	buffer_load_dword v3, v0, s[0:3], 0 offen offset:4
	buffer_load_dword v4, v0, s[0:3], 0 offen offset:8
	;; [unrolled: 1-line block ×6, first 2 shown]
	buffer_load_dword v21, v1, s[0:3], 0 offen
	s_waitcnt vmcnt(7)
	buffer_store_dword v2, v1, s[0:3], 0 offen
	s_waitcnt vmcnt(6)
	buffer_store_dword v3, v1, s[0:3], 0 offen offset:4
	s_waitcnt vmcnt(5)
	buffer_store_dword v4, v1, s[0:3], 0 offen offset:8
	;; [unrolled: 2-line block ×6, first 2 shown]
	s_waitcnt vmcnt(0)
	buffer_store_dword v21, v0, s[0:3], 0 offen
.LBB47_344:
	v_mov_b32_e32 v0, 0
	global_load_dword v1, v0, s[20:21] offset:100
	s_waitcnt vmcnt(0)
	v_add_nc_u32_e32 v1, -1, v1
	v_cmp_eq_u32_e32 vcc_lo, 25, v1
	s_cbranch_vccnz .LBB47_346
; %bb.345:
	v_lshlrev_b32_e32 v1, 4, v1
	v_mov_b32_e32 v2, s35
	v_add_nc_u32_e32 v1, 16, v1
	s_clause 0x7
	buffer_load_dword v3, v1, s[0:3], 0 offen
	buffer_load_dword v4, v1, s[0:3], 0 offen offset:4
	buffer_load_dword v5, v1, s[0:3], 0 offen offset:8
	;; [unrolled: 1-line block ×6, first 2 shown]
	buffer_load_dword v22, v2, s[0:3], 0 offen
	s_waitcnt vmcnt(7)
	buffer_store_dword v3, v2, s[0:3], 0 offen
	s_waitcnt vmcnt(6)
	buffer_store_dword v4, v2, s[0:3], 0 offen offset:4
	s_waitcnt vmcnt(5)
	buffer_store_dword v5, v2, s[0:3], 0 offen offset:8
	;; [unrolled: 2-line block ×6, first 2 shown]
	s_waitcnt vmcnt(0)
	buffer_store_dword v22, v1, s[0:3], 0 offen
.LBB47_346:
	global_load_dword v0, v0, s[20:21] offset:96
	s_waitcnt vmcnt(0)
	v_add_nc_u32_e32 v0, -1, v0
	v_cmp_eq_u32_e32 vcc_lo, 24, v0
	s_cbranch_vccnz .LBB47_348
; %bb.347:
	v_lshlrev_b32_e32 v0, 4, v0
	v_mov_b32_e32 v1, s36
	v_add_nc_u32_e32 v0, 16, v0
	s_clause 0x7
	buffer_load_dword v2, v0, s[0:3], 0 offen
	buffer_load_dword v3, v0, s[0:3], 0 offen offset:4
	buffer_load_dword v4, v0, s[0:3], 0 offen offset:8
	;; [unrolled: 1-line block ×6, first 2 shown]
	buffer_load_dword v21, v1, s[0:3], 0 offen
	s_waitcnt vmcnt(7)
	buffer_store_dword v2, v1, s[0:3], 0 offen
	s_waitcnt vmcnt(6)
	buffer_store_dword v3, v1, s[0:3], 0 offen offset:4
	s_waitcnt vmcnt(5)
	buffer_store_dword v4, v1, s[0:3], 0 offen offset:8
	;; [unrolled: 2-line block ×6, first 2 shown]
	s_waitcnt vmcnt(0)
	buffer_store_dword v21, v0, s[0:3], 0 offen
.LBB47_348:
	v_mov_b32_e32 v0, 0
	global_load_dword v1, v0, s[20:21] offset:92
	s_waitcnt vmcnt(0)
	v_add_nc_u32_e32 v1, -1, v1
	v_cmp_eq_u32_e32 vcc_lo, 23, v1
	s_cbranch_vccnz .LBB47_350
; %bb.349:
	v_lshlrev_b32_e32 v1, 4, v1
	v_mov_b32_e32 v2, s37
	v_add_nc_u32_e32 v1, 16, v1
	s_clause 0x7
	buffer_load_dword v3, v1, s[0:3], 0 offen
	buffer_load_dword v4, v1, s[0:3], 0 offen offset:4
	buffer_load_dword v5, v1, s[0:3], 0 offen offset:8
	;; [unrolled: 1-line block ×6, first 2 shown]
	buffer_load_dword v22, v2, s[0:3], 0 offen
	s_waitcnt vmcnt(7)
	buffer_store_dword v3, v2, s[0:3], 0 offen
	s_waitcnt vmcnt(6)
	buffer_store_dword v4, v2, s[0:3], 0 offen offset:4
	s_waitcnt vmcnt(5)
	buffer_store_dword v5, v2, s[0:3], 0 offen offset:8
	;; [unrolled: 2-line block ×6, first 2 shown]
	s_waitcnt vmcnt(0)
	buffer_store_dword v22, v1, s[0:3], 0 offen
.LBB47_350:
	global_load_dword v0, v0, s[20:21] offset:88
	s_waitcnt vmcnt(0)
	v_add_nc_u32_e32 v0, -1, v0
	v_cmp_eq_u32_e32 vcc_lo, 22, v0
	s_cbranch_vccnz .LBB47_352
; %bb.351:
	v_lshlrev_b32_e32 v0, 4, v0
	v_mov_b32_e32 v1, s38
	v_add_nc_u32_e32 v0, 16, v0
	s_clause 0x7
	buffer_load_dword v2, v0, s[0:3], 0 offen
	buffer_load_dword v3, v0, s[0:3], 0 offen offset:4
	buffer_load_dword v4, v0, s[0:3], 0 offen offset:8
	;; [unrolled: 1-line block ×6, first 2 shown]
	buffer_load_dword v21, v1, s[0:3], 0 offen
	s_waitcnt vmcnt(7)
	buffer_store_dword v2, v1, s[0:3], 0 offen
	s_waitcnt vmcnt(6)
	buffer_store_dword v3, v1, s[0:3], 0 offen offset:4
	s_waitcnt vmcnt(5)
	buffer_store_dword v4, v1, s[0:3], 0 offen offset:8
	;; [unrolled: 2-line block ×6, first 2 shown]
	s_waitcnt vmcnt(0)
	buffer_store_dword v21, v0, s[0:3], 0 offen
.LBB47_352:
	v_mov_b32_e32 v0, 0
	global_load_dword v1, v0, s[20:21] offset:84
	s_waitcnt vmcnt(0)
	v_add_nc_u32_e32 v1, -1, v1
	v_cmp_eq_u32_e32 vcc_lo, 21, v1
	s_cbranch_vccnz .LBB47_354
; %bb.353:
	v_lshlrev_b32_e32 v1, 4, v1
	v_mov_b32_e32 v2, s39
	v_add_nc_u32_e32 v1, 16, v1
	s_clause 0x7
	buffer_load_dword v3, v1, s[0:3], 0 offen
	buffer_load_dword v4, v1, s[0:3], 0 offen offset:4
	buffer_load_dword v5, v1, s[0:3], 0 offen offset:8
	;; [unrolled: 1-line block ×6, first 2 shown]
	buffer_load_dword v22, v2, s[0:3], 0 offen
	s_waitcnt vmcnt(7)
	buffer_store_dword v3, v2, s[0:3], 0 offen
	s_waitcnt vmcnt(6)
	buffer_store_dword v4, v2, s[0:3], 0 offen offset:4
	s_waitcnt vmcnt(5)
	buffer_store_dword v5, v2, s[0:3], 0 offen offset:8
	;; [unrolled: 2-line block ×6, first 2 shown]
	s_waitcnt vmcnt(0)
	buffer_store_dword v22, v1, s[0:3], 0 offen
.LBB47_354:
	global_load_dword v0, v0, s[20:21] offset:80
	s_waitcnt vmcnt(0)
	v_add_nc_u32_e32 v0, -1, v0
	v_cmp_eq_u32_e32 vcc_lo, 20, v0
	s_cbranch_vccnz .LBB47_356
; %bb.355:
	v_lshlrev_b32_e32 v0, 4, v0
	v_mov_b32_e32 v1, s40
	v_add_nc_u32_e32 v0, 16, v0
	s_clause 0x7
	buffer_load_dword v2, v0, s[0:3], 0 offen
	buffer_load_dword v3, v0, s[0:3], 0 offen offset:4
	buffer_load_dword v4, v0, s[0:3], 0 offen offset:8
	buffer_load_dword v5, v0, s[0:3], 0 offen offset:12
	buffer_load_dword v6, v1, s[0:3], 0 offen offset:12
	buffer_load_dword v7, v1, s[0:3], 0 offen offset:8
	buffer_load_dword v8, v1, s[0:3], 0 offen offset:4
	buffer_load_dword v21, v1, s[0:3], 0 offen
	s_waitcnt vmcnt(7)
	buffer_store_dword v2, v1, s[0:3], 0 offen
	s_waitcnt vmcnt(6)
	buffer_store_dword v3, v1, s[0:3], 0 offen offset:4
	s_waitcnt vmcnt(5)
	buffer_store_dword v4, v1, s[0:3], 0 offen offset:8
	;; [unrolled: 2-line block ×6, first 2 shown]
	s_waitcnt vmcnt(0)
	buffer_store_dword v21, v0, s[0:3], 0 offen
.LBB47_356:
	v_mov_b32_e32 v0, 0
	global_load_dword v1, v0, s[20:21] offset:76
	s_waitcnt vmcnt(0)
	v_add_nc_u32_e32 v1, -1, v1
	v_cmp_eq_u32_e32 vcc_lo, 19, v1
	s_cbranch_vccnz .LBB47_358
; %bb.357:
	v_lshlrev_b32_e32 v1, 4, v1
	v_mov_b32_e32 v2, s41
	v_add_nc_u32_e32 v1, 16, v1
	s_clause 0x7
	buffer_load_dword v3, v1, s[0:3], 0 offen
	buffer_load_dword v4, v1, s[0:3], 0 offen offset:4
	buffer_load_dword v5, v1, s[0:3], 0 offen offset:8
	buffer_load_dword v6, v1, s[0:3], 0 offen offset:12
	buffer_load_dword v7, v2, s[0:3], 0 offen offset:12
	buffer_load_dword v8, v2, s[0:3], 0 offen offset:8
	buffer_load_dword v21, v2, s[0:3], 0 offen offset:4
	buffer_load_dword v22, v2, s[0:3], 0 offen
	s_waitcnt vmcnt(7)
	buffer_store_dword v3, v2, s[0:3], 0 offen
	s_waitcnt vmcnt(6)
	buffer_store_dword v4, v2, s[0:3], 0 offen offset:4
	s_waitcnt vmcnt(5)
	buffer_store_dword v5, v2, s[0:3], 0 offen offset:8
	;; [unrolled: 2-line block ×6, first 2 shown]
	s_waitcnt vmcnt(0)
	buffer_store_dword v22, v1, s[0:3], 0 offen
.LBB47_358:
	global_load_dword v0, v0, s[20:21] offset:72
	s_waitcnt vmcnt(0)
	v_add_nc_u32_e32 v0, -1, v0
	v_cmp_eq_u32_e32 vcc_lo, 18, v0
	s_cbranch_vccnz .LBB47_360
; %bb.359:
	v_lshlrev_b32_e32 v0, 4, v0
	v_mov_b32_e32 v1, s42
	v_add_nc_u32_e32 v0, 16, v0
	s_clause 0x7
	buffer_load_dword v2, v0, s[0:3], 0 offen
	buffer_load_dword v3, v0, s[0:3], 0 offen offset:4
	buffer_load_dword v4, v0, s[0:3], 0 offen offset:8
	buffer_load_dword v5, v0, s[0:3], 0 offen offset:12
	buffer_load_dword v6, v1, s[0:3], 0 offen offset:12
	buffer_load_dword v7, v1, s[0:3], 0 offen offset:8
	buffer_load_dword v8, v1, s[0:3], 0 offen offset:4
	buffer_load_dword v21, v1, s[0:3], 0 offen
	s_waitcnt vmcnt(7)
	buffer_store_dword v2, v1, s[0:3], 0 offen
	s_waitcnt vmcnt(6)
	buffer_store_dword v3, v1, s[0:3], 0 offen offset:4
	s_waitcnt vmcnt(5)
	buffer_store_dword v4, v1, s[0:3], 0 offen offset:8
	;; [unrolled: 2-line block ×6, first 2 shown]
	s_waitcnt vmcnt(0)
	buffer_store_dword v21, v0, s[0:3], 0 offen
.LBB47_360:
	v_mov_b32_e32 v0, 0
	global_load_dword v1, v0, s[20:21] offset:68
	s_waitcnt vmcnt(0)
	v_add_nc_u32_e32 v1, -1, v1
	v_cmp_eq_u32_e32 vcc_lo, 17, v1
	s_cbranch_vccnz .LBB47_362
; %bb.361:
	v_lshlrev_b32_e32 v1, 4, v1
	v_mov_b32_e32 v2, s43
	v_add_nc_u32_e32 v1, 16, v1
	s_clause 0x7
	buffer_load_dword v3, v1, s[0:3], 0 offen
	buffer_load_dword v4, v1, s[0:3], 0 offen offset:4
	buffer_load_dword v5, v1, s[0:3], 0 offen offset:8
	;; [unrolled: 1-line block ×6, first 2 shown]
	buffer_load_dword v22, v2, s[0:3], 0 offen
	s_waitcnt vmcnt(7)
	buffer_store_dword v3, v2, s[0:3], 0 offen
	s_waitcnt vmcnt(6)
	buffer_store_dword v4, v2, s[0:3], 0 offen offset:4
	s_waitcnt vmcnt(5)
	buffer_store_dword v5, v2, s[0:3], 0 offen offset:8
	;; [unrolled: 2-line block ×6, first 2 shown]
	s_waitcnt vmcnt(0)
	buffer_store_dword v22, v1, s[0:3], 0 offen
.LBB47_362:
	global_load_dword v0, v0, s[20:21] offset:64
	s_waitcnt vmcnt(0)
	v_add_nc_u32_e32 v0, -1, v0
	v_cmp_eq_u32_e32 vcc_lo, 16, v0
	s_cbranch_vccnz .LBB47_364
; %bb.363:
	v_lshlrev_b32_e32 v0, 4, v0
	v_mov_b32_e32 v1, s44
	v_add_nc_u32_e32 v0, 16, v0
	s_clause 0x7
	buffer_load_dword v2, v0, s[0:3], 0 offen
	buffer_load_dword v3, v0, s[0:3], 0 offen offset:4
	buffer_load_dword v4, v0, s[0:3], 0 offen offset:8
	;; [unrolled: 1-line block ×6, first 2 shown]
	buffer_load_dword v21, v1, s[0:3], 0 offen
	s_waitcnt vmcnt(7)
	buffer_store_dword v2, v1, s[0:3], 0 offen
	s_waitcnt vmcnt(6)
	buffer_store_dword v3, v1, s[0:3], 0 offen offset:4
	s_waitcnt vmcnt(5)
	buffer_store_dword v4, v1, s[0:3], 0 offen offset:8
	;; [unrolled: 2-line block ×6, first 2 shown]
	s_waitcnt vmcnt(0)
	buffer_store_dword v21, v0, s[0:3], 0 offen
.LBB47_364:
	v_mov_b32_e32 v0, 0
	global_load_dword v1, v0, s[20:21] offset:60
	s_waitcnt vmcnt(0)
	v_add_nc_u32_e32 v1, -1, v1
	v_cmp_eq_u32_e32 vcc_lo, 15, v1
	s_cbranch_vccnz .LBB47_366
; %bb.365:
	v_lshlrev_b32_e32 v1, 4, v1
	v_mov_b32_e32 v2, s45
	v_add_nc_u32_e32 v1, 16, v1
	s_clause 0x7
	buffer_load_dword v3, v1, s[0:3], 0 offen
	buffer_load_dword v4, v1, s[0:3], 0 offen offset:4
	buffer_load_dword v5, v1, s[0:3], 0 offen offset:8
	;; [unrolled: 1-line block ×6, first 2 shown]
	buffer_load_dword v22, v2, s[0:3], 0 offen
	s_waitcnt vmcnt(7)
	buffer_store_dword v3, v2, s[0:3], 0 offen
	s_waitcnt vmcnt(6)
	buffer_store_dword v4, v2, s[0:3], 0 offen offset:4
	s_waitcnt vmcnt(5)
	buffer_store_dword v5, v2, s[0:3], 0 offen offset:8
	;; [unrolled: 2-line block ×6, first 2 shown]
	s_waitcnt vmcnt(0)
	buffer_store_dword v22, v1, s[0:3], 0 offen
.LBB47_366:
	global_load_dword v0, v0, s[20:21] offset:56
	s_waitcnt vmcnt(0)
	v_add_nc_u32_e32 v0, -1, v0
	v_cmp_eq_u32_e32 vcc_lo, 14, v0
	s_cbranch_vccnz .LBB47_368
; %bb.367:
	v_lshlrev_b32_e32 v0, 4, v0
	v_mov_b32_e32 v1, s46
	v_add_nc_u32_e32 v0, 16, v0
	s_clause 0x7
	buffer_load_dword v2, v0, s[0:3], 0 offen
	buffer_load_dword v3, v0, s[0:3], 0 offen offset:4
	buffer_load_dword v4, v0, s[0:3], 0 offen offset:8
	buffer_load_dword v5, v0, s[0:3], 0 offen offset:12
	buffer_load_dword v6, v1, s[0:3], 0 offen offset:12
	buffer_load_dword v7, v1, s[0:3], 0 offen offset:8
	buffer_load_dword v8, v1, s[0:3], 0 offen offset:4
	buffer_load_dword v21, v1, s[0:3], 0 offen
	s_waitcnt vmcnt(7)
	buffer_store_dword v2, v1, s[0:3], 0 offen
	s_waitcnt vmcnt(6)
	buffer_store_dword v3, v1, s[0:3], 0 offen offset:4
	s_waitcnt vmcnt(5)
	buffer_store_dword v4, v1, s[0:3], 0 offen offset:8
	;; [unrolled: 2-line block ×6, first 2 shown]
	s_waitcnt vmcnt(0)
	buffer_store_dword v21, v0, s[0:3], 0 offen
.LBB47_368:
	v_mov_b32_e32 v0, 0
	global_load_dword v1, v0, s[20:21] offset:52
	s_waitcnt vmcnt(0)
	v_add_nc_u32_e32 v1, -1, v1
	v_cmp_eq_u32_e32 vcc_lo, 13, v1
	s_cbranch_vccnz .LBB47_370
; %bb.369:
	v_lshlrev_b32_e32 v1, 4, v1
	v_mov_b32_e32 v2, s47
	v_add_nc_u32_e32 v1, 16, v1
	s_clause 0x7
	buffer_load_dword v3, v1, s[0:3], 0 offen
	buffer_load_dword v4, v1, s[0:3], 0 offen offset:4
	buffer_load_dword v5, v1, s[0:3], 0 offen offset:8
	buffer_load_dword v6, v1, s[0:3], 0 offen offset:12
	buffer_load_dword v7, v2, s[0:3], 0 offen offset:12
	buffer_load_dword v8, v2, s[0:3], 0 offen offset:8
	buffer_load_dword v21, v2, s[0:3], 0 offen offset:4
	buffer_load_dword v22, v2, s[0:3], 0 offen
	s_waitcnt vmcnt(7)
	buffer_store_dword v3, v2, s[0:3], 0 offen
	s_waitcnt vmcnt(6)
	buffer_store_dword v4, v2, s[0:3], 0 offen offset:4
	s_waitcnt vmcnt(5)
	buffer_store_dword v5, v2, s[0:3], 0 offen offset:8
	;; [unrolled: 2-line block ×6, first 2 shown]
	s_waitcnt vmcnt(0)
	buffer_store_dword v22, v1, s[0:3], 0 offen
.LBB47_370:
	global_load_dword v0, v0, s[20:21] offset:48
	s_waitcnt vmcnt(0)
	v_add_nc_u32_e32 v0, -1, v0
	v_cmp_eq_u32_e32 vcc_lo, 12, v0
	s_cbranch_vccnz .LBB47_372
; %bb.371:
	v_lshlrev_b32_e32 v0, 4, v0
	v_mov_b32_e32 v1, s48
	v_add_nc_u32_e32 v0, 16, v0
	s_clause 0x7
	buffer_load_dword v2, v0, s[0:3], 0 offen
	buffer_load_dword v3, v0, s[0:3], 0 offen offset:4
	buffer_load_dword v4, v0, s[0:3], 0 offen offset:8
	;; [unrolled: 1-line block ×6, first 2 shown]
	buffer_load_dword v21, v1, s[0:3], 0 offen
	s_waitcnt vmcnt(7)
	buffer_store_dword v2, v1, s[0:3], 0 offen
	s_waitcnt vmcnt(6)
	buffer_store_dword v3, v1, s[0:3], 0 offen offset:4
	s_waitcnt vmcnt(5)
	buffer_store_dword v4, v1, s[0:3], 0 offen offset:8
	;; [unrolled: 2-line block ×6, first 2 shown]
	s_waitcnt vmcnt(0)
	buffer_store_dword v21, v0, s[0:3], 0 offen
.LBB47_372:
	v_mov_b32_e32 v0, 0
	global_load_dword v1, v0, s[20:21] offset:44
	s_waitcnt vmcnt(0)
	v_add_nc_u32_e32 v1, -1, v1
	v_cmp_eq_u32_e32 vcc_lo, 11, v1
	s_cbranch_vccnz .LBB47_374
; %bb.373:
	v_lshlrev_b32_e32 v1, 4, v1
	v_mov_b32_e32 v2, s49
	v_add_nc_u32_e32 v1, 16, v1
	s_clause 0x7
	buffer_load_dword v3, v1, s[0:3], 0 offen
	buffer_load_dword v4, v1, s[0:3], 0 offen offset:4
	buffer_load_dword v5, v1, s[0:3], 0 offen offset:8
	buffer_load_dword v6, v1, s[0:3], 0 offen offset:12
	buffer_load_dword v7, v2, s[0:3], 0 offen offset:12
	buffer_load_dword v8, v2, s[0:3], 0 offen offset:8
	buffer_load_dword v21, v2, s[0:3], 0 offen offset:4
	buffer_load_dword v22, v2, s[0:3], 0 offen
	s_waitcnt vmcnt(7)
	buffer_store_dword v3, v2, s[0:3], 0 offen
	s_waitcnt vmcnt(6)
	buffer_store_dword v4, v2, s[0:3], 0 offen offset:4
	s_waitcnt vmcnt(5)
	buffer_store_dword v5, v2, s[0:3], 0 offen offset:8
	;; [unrolled: 2-line block ×6, first 2 shown]
	s_waitcnt vmcnt(0)
	buffer_store_dword v22, v1, s[0:3], 0 offen
.LBB47_374:
	global_load_dword v0, v0, s[20:21] offset:40
	s_waitcnt vmcnt(0)
	v_add_nc_u32_e32 v0, -1, v0
	v_cmp_eq_u32_e32 vcc_lo, 10, v0
	s_cbranch_vccnz .LBB47_376
; %bb.375:
	v_lshlrev_b32_e32 v0, 4, v0
	v_mov_b32_e32 v1, s50
	v_add_nc_u32_e32 v0, 16, v0
	s_clause 0x7
	buffer_load_dword v2, v0, s[0:3], 0 offen
	buffer_load_dword v3, v0, s[0:3], 0 offen offset:4
	buffer_load_dword v4, v0, s[0:3], 0 offen offset:8
	buffer_load_dword v5, v0, s[0:3], 0 offen offset:12
	buffer_load_dword v6, v1, s[0:3], 0 offen offset:12
	buffer_load_dword v7, v1, s[0:3], 0 offen offset:8
	buffer_load_dword v8, v1, s[0:3], 0 offen offset:4
	buffer_load_dword v21, v1, s[0:3], 0 offen
	s_waitcnt vmcnt(7)
	buffer_store_dword v2, v1, s[0:3], 0 offen
	s_waitcnt vmcnt(6)
	buffer_store_dword v3, v1, s[0:3], 0 offen offset:4
	s_waitcnt vmcnt(5)
	buffer_store_dword v4, v1, s[0:3], 0 offen offset:8
	;; [unrolled: 2-line block ×6, first 2 shown]
	s_waitcnt vmcnt(0)
	buffer_store_dword v21, v0, s[0:3], 0 offen
.LBB47_376:
	v_mov_b32_e32 v0, 0
	global_load_dword v1, v0, s[20:21] offset:36
	s_waitcnt vmcnt(0)
	v_add_nc_u32_e32 v1, -1, v1
	v_cmp_eq_u32_e32 vcc_lo, 9, v1
	s_cbranch_vccnz .LBB47_378
; %bb.377:
	v_lshlrev_b32_e32 v1, 4, v1
	v_mov_b32_e32 v2, s51
	v_add_nc_u32_e32 v1, 16, v1
	s_clause 0x7
	buffer_load_dword v3, v1, s[0:3], 0 offen
	buffer_load_dword v4, v1, s[0:3], 0 offen offset:4
	buffer_load_dword v5, v1, s[0:3], 0 offen offset:8
	;; [unrolled: 1-line block ×6, first 2 shown]
	buffer_load_dword v22, v2, s[0:3], 0 offen
	s_waitcnt vmcnt(7)
	buffer_store_dword v3, v2, s[0:3], 0 offen
	s_waitcnt vmcnt(6)
	buffer_store_dword v4, v2, s[0:3], 0 offen offset:4
	s_waitcnt vmcnt(5)
	buffer_store_dword v5, v2, s[0:3], 0 offen offset:8
	;; [unrolled: 2-line block ×6, first 2 shown]
	s_waitcnt vmcnt(0)
	buffer_store_dword v22, v1, s[0:3], 0 offen
.LBB47_378:
	global_load_dword v0, v0, s[20:21] offset:32
	s_waitcnt vmcnt(0)
	v_add_nc_u32_e32 v0, -1, v0
	v_cmp_eq_u32_e32 vcc_lo, 8, v0
	s_cbranch_vccnz .LBB47_380
; %bb.379:
	v_lshlrev_b32_e32 v0, 4, v0
	v_mov_b32_e32 v1, s52
	v_add_nc_u32_e32 v0, 16, v0
	s_clause 0x7
	buffer_load_dword v2, v0, s[0:3], 0 offen
	buffer_load_dword v3, v0, s[0:3], 0 offen offset:4
	buffer_load_dword v4, v0, s[0:3], 0 offen offset:8
	;; [unrolled: 1-line block ×6, first 2 shown]
	buffer_load_dword v21, v1, s[0:3], 0 offen
	s_waitcnt vmcnt(7)
	buffer_store_dword v2, v1, s[0:3], 0 offen
	s_waitcnt vmcnt(6)
	buffer_store_dword v3, v1, s[0:3], 0 offen offset:4
	s_waitcnt vmcnt(5)
	buffer_store_dword v4, v1, s[0:3], 0 offen offset:8
	;; [unrolled: 2-line block ×6, first 2 shown]
	s_waitcnt vmcnt(0)
	buffer_store_dword v21, v0, s[0:3], 0 offen
.LBB47_380:
	v_mov_b32_e32 v0, 0
	global_load_dword v1, v0, s[20:21] offset:28
	s_waitcnt vmcnt(0)
	v_add_nc_u32_e32 v1, -1, v1
	v_cmp_eq_u32_e32 vcc_lo, 7, v1
	s_cbranch_vccnz .LBB47_382
; %bb.381:
	v_lshlrev_b32_e32 v1, 4, v1
	v_mov_b32_e32 v2, s53
	v_add_nc_u32_e32 v1, 16, v1
	s_clause 0x7
	buffer_load_dword v3, v1, s[0:3], 0 offen
	buffer_load_dword v4, v1, s[0:3], 0 offen offset:4
	buffer_load_dword v5, v1, s[0:3], 0 offen offset:8
	;; [unrolled: 1-line block ×6, first 2 shown]
	buffer_load_dword v22, v2, s[0:3], 0 offen
	s_waitcnt vmcnt(7)
	buffer_store_dword v3, v2, s[0:3], 0 offen
	s_waitcnt vmcnt(6)
	buffer_store_dword v4, v2, s[0:3], 0 offen offset:4
	s_waitcnt vmcnt(5)
	buffer_store_dword v5, v2, s[0:3], 0 offen offset:8
	;; [unrolled: 2-line block ×6, first 2 shown]
	s_waitcnt vmcnt(0)
	buffer_store_dword v22, v1, s[0:3], 0 offen
.LBB47_382:
	global_load_dword v0, v0, s[20:21] offset:24
	s_waitcnt vmcnt(0)
	v_add_nc_u32_e32 v0, -1, v0
	v_cmp_eq_u32_e32 vcc_lo, 6, v0
	s_cbranch_vccnz .LBB47_384
; %bb.383:
	v_lshlrev_b32_e32 v0, 4, v0
	v_mov_b32_e32 v1, s54
	v_add_nc_u32_e32 v0, 16, v0
	s_clause 0x7
	buffer_load_dword v2, v0, s[0:3], 0 offen
	buffer_load_dword v3, v0, s[0:3], 0 offen offset:4
	buffer_load_dword v4, v0, s[0:3], 0 offen offset:8
	;; [unrolled: 1-line block ×6, first 2 shown]
	buffer_load_dword v21, v1, s[0:3], 0 offen
	s_waitcnt vmcnt(7)
	buffer_store_dword v2, v1, s[0:3], 0 offen
	s_waitcnt vmcnt(6)
	buffer_store_dword v3, v1, s[0:3], 0 offen offset:4
	s_waitcnt vmcnt(5)
	buffer_store_dword v4, v1, s[0:3], 0 offen offset:8
	;; [unrolled: 2-line block ×6, first 2 shown]
	s_waitcnt vmcnt(0)
	buffer_store_dword v21, v0, s[0:3], 0 offen
.LBB47_384:
	v_mov_b32_e32 v0, 0
	global_load_dword v1, v0, s[20:21] offset:20
	s_waitcnt vmcnt(0)
	v_add_nc_u32_e32 v1, -1, v1
	v_cmp_eq_u32_e32 vcc_lo, 5, v1
	s_cbranch_vccnz .LBB47_386
; %bb.385:
	v_lshlrev_b32_e32 v1, 4, v1
	v_mov_b32_e32 v2, s55
	v_add_nc_u32_e32 v1, 16, v1
	s_clause 0x7
	buffer_load_dword v3, v1, s[0:3], 0 offen
	buffer_load_dword v4, v1, s[0:3], 0 offen offset:4
	buffer_load_dword v5, v1, s[0:3], 0 offen offset:8
	;; [unrolled: 1-line block ×6, first 2 shown]
	buffer_load_dword v22, v2, s[0:3], 0 offen
	s_waitcnt vmcnt(7)
	buffer_store_dword v3, v2, s[0:3], 0 offen
	s_waitcnt vmcnt(6)
	buffer_store_dword v4, v2, s[0:3], 0 offen offset:4
	s_waitcnt vmcnt(5)
	buffer_store_dword v5, v2, s[0:3], 0 offen offset:8
	;; [unrolled: 2-line block ×6, first 2 shown]
	s_waitcnt vmcnt(0)
	buffer_store_dword v22, v1, s[0:3], 0 offen
.LBB47_386:
	global_load_dword v0, v0, s[20:21] offset:16
	s_waitcnt vmcnt(0)
	v_add_nc_u32_e32 v0, -1, v0
	v_cmp_eq_u32_e32 vcc_lo, 4, v0
	s_cbranch_vccnz .LBB47_388
; %bb.387:
	v_lshlrev_b32_e32 v0, 4, v0
	v_mov_b32_e32 v1, s56
	v_add_nc_u32_e32 v0, 16, v0
	s_clause 0x7
	buffer_load_dword v2, v0, s[0:3], 0 offen
	buffer_load_dword v3, v0, s[0:3], 0 offen offset:4
	buffer_load_dword v4, v0, s[0:3], 0 offen offset:8
	;; [unrolled: 1-line block ×6, first 2 shown]
	buffer_load_dword v21, v1, s[0:3], 0 offen
	s_waitcnt vmcnt(7)
	buffer_store_dword v2, v1, s[0:3], 0 offen
	s_waitcnt vmcnt(6)
	buffer_store_dword v3, v1, s[0:3], 0 offen offset:4
	s_waitcnt vmcnt(5)
	buffer_store_dword v4, v1, s[0:3], 0 offen offset:8
	;; [unrolled: 2-line block ×6, first 2 shown]
	s_waitcnt vmcnt(0)
	buffer_store_dword v21, v0, s[0:3], 0 offen
.LBB47_388:
	v_mov_b32_e32 v0, 0
	global_load_dword v1, v0, s[20:21] offset:12
	s_waitcnt vmcnt(0)
	v_add_nc_u32_e32 v1, -1, v1
	v_cmp_eq_u32_e32 vcc_lo, 3, v1
	s_cbranch_vccnz .LBB47_390
; %bb.389:
	v_lshlrev_b32_e32 v1, 4, v1
	v_mov_b32_e32 v2, s57
	v_add_nc_u32_e32 v1, 16, v1
	s_clause 0x7
	buffer_load_dword v3, v1, s[0:3], 0 offen
	buffer_load_dword v4, v1, s[0:3], 0 offen offset:4
	buffer_load_dword v5, v1, s[0:3], 0 offen offset:8
	;; [unrolled: 1-line block ×6, first 2 shown]
	buffer_load_dword v22, v2, s[0:3], 0 offen
	s_waitcnt vmcnt(7)
	buffer_store_dword v3, v2, s[0:3], 0 offen
	s_waitcnt vmcnt(6)
	buffer_store_dword v4, v2, s[0:3], 0 offen offset:4
	s_waitcnt vmcnt(5)
	buffer_store_dword v5, v2, s[0:3], 0 offen offset:8
	;; [unrolled: 2-line block ×6, first 2 shown]
	s_waitcnt vmcnt(0)
	buffer_store_dword v22, v1, s[0:3], 0 offen
.LBB47_390:
	global_load_dword v0, v0, s[20:21] offset:8
	s_waitcnt vmcnt(0)
	v_add_nc_u32_e32 v0, -1, v0
	v_cmp_eq_u32_e32 vcc_lo, 2, v0
	s_cbranch_vccnz .LBB47_392
; %bb.391:
	v_lshlrev_b32_e32 v0, 4, v0
	v_mov_b32_e32 v1, s58
	v_add_nc_u32_e32 v0, 16, v0
	s_clause 0x7
	buffer_load_dword v2, v0, s[0:3], 0 offen
	buffer_load_dword v3, v0, s[0:3], 0 offen offset:4
	buffer_load_dword v4, v0, s[0:3], 0 offen offset:8
	;; [unrolled: 1-line block ×6, first 2 shown]
	buffer_load_dword v21, v1, s[0:3], 0 offen
	s_waitcnt vmcnt(7)
	buffer_store_dword v2, v1, s[0:3], 0 offen
	s_waitcnt vmcnt(6)
	buffer_store_dword v3, v1, s[0:3], 0 offen offset:4
	s_waitcnt vmcnt(5)
	buffer_store_dword v4, v1, s[0:3], 0 offen offset:8
	s_waitcnt vmcnt(4)
	buffer_store_dword v5, v1, s[0:3], 0 offen offset:12
	s_waitcnt vmcnt(3)
	buffer_store_dword v6, v0, s[0:3], 0 offen offset:12
	s_waitcnt vmcnt(2)
	buffer_store_dword v7, v0, s[0:3], 0 offen offset:8
	s_waitcnt vmcnt(1)
	buffer_store_dword v8, v0, s[0:3], 0 offen offset:4
	s_waitcnt vmcnt(0)
	buffer_store_dword v21, v0, s[0:3], 0 offen
.LBB47_392:
	v_mov_b32_e32 v0, 0
	global_load_dword v1, v0, s[20:21] offset:4
	s_waitcnt vmcnt(0)
	v_add_nc_u32_e32 v1, -1, v1
	v_cmp_eq_u32_e32 vcc_lo, 1, v1
	s_cbranch_vccnz .LBB47_394
; %bb.393:
	v_lshlrev_b32_e32 v1, 4, v1
	v_mov_b32_e32 v2, s59
	v_add_nc_u32_e32 v1, 16, v1
	s_clause 0x7
	buffer_load_dword v3, v1, s[0:3], 0 offen
	buffer_load_dword v4, v1, s[0:3], 0 offen offset:4
	buffer_load_dword v5, v1, s[0:3], 0 offen offset:8
	;; [unrolled: 1-line block ×6, first 2 shown]
	buffer_load_dword v22, v2, s[0:3], 0 offen
	s_waitcnt vmcnt(7)
	buffer_store_dword v3, v2, s[0:3], 0 offen
	s_waitcnt vmcnt(6)
	buffer_store_dword v4, v2, s[0:3], 0 offen offset:4
	s_waitcnt vmcnt(5)
	buffer_store_dword v5, v2, s[0:3], 0 offen offset:8
	;; [unrolled: 2-line block ×6, first 2 shown]
	s_waitcnt vmcnt(0)
	buffer_store_dword v22, v1, s[0:3], 0 offen
.LBB47_394:
	global_load_dword v0, v0, s[20:21]
	s_waitcnt vmcnt(0)
	v_add_nc_u32_e32 v0, -1, v0
	v_cmp_eq_u32_e32 vcc_lo, 0, v0
	s_cbranch_vccnz .LBB47_396
; %bb.395:
	v_lshlrev_b32_e32 v0, 4, v0
	v_add_nc_u32_e32 v0, 16, v0
	s_clause 0x7
	buffer_load_dword v1, v0, s[0:3], 0 offen
	buffer_load_dword v2, v0, s[0:3], 0 offen offset:4
	buffer_load_dword v3, v0, s[0:3], 0 offen offset:8
	;; [unrolled: 1-line block ×3, first 2 shown]
	buffer_load_dword v5, off, s[0:3], 0 offset:28
	buffer_load_dword v6, off, s[0:3], 0 offset:24
	;; [unrolled: 1-line block ×4, first 2 shown]
	s_waitcnt vmcnt(7)
	buffer_store_dword v1, off, s[0:3], 0 offset:16
	s_waitcnt vmcnt(6)
	buffer_store_dword v2, off, s[0:3], 0 offset:20
	;; [unrolled: 2-line block ×4, first 2 shown]
	s_waitcnt vmcnt(3)
	buffer_store_dword v5, v0, s[0:3], 0 offen offset:12
	s_waitcnt vmcnt(2)
	buffer_store_dword v6, v0, s[0:3], 0 offen offset:8
	;; [unrolled: 2-line block ×3, first 2 shown]
	s_waitcnt vmcnt(0)
	buffer_store_dword v8, v0, s[0:3], 0 offen
.LBB47_396:
	v_mov_b32_e32 v7, s59
	v_mov_b32_e32 v8, s58
	s_clause 0x3
	buffer_load_dword v0, off, s[0:3], 0 offset:16
	buffer_load_dword v1, off, s[0:3], 0 offset:20
	;; [unrolled: 1-line block ×4, first 2 shown]
	v_mov_b32_e32 v165, s42
	v_mov_b32_e32 v167, s40
	s_clause 0x7
	buffer_load_dword v4, v7, s[0:3], 0 offen
	buffer_load_dword v5, v7, s[0:3], 0 offen offset:4
	buffer_load_dword v6, v7, s[0:3], 0 offen offset:8
	;; [unrolled: 1-line block ×3, first 2 shown]
	buffer_load_dword v21, v8, s[0:3], 0 offen
	buffer_load_dword v22, v8, s[0:3], 0 offen offset:4
	buffer_load_dword v23, v8, s[0:3], 0 offen offset:8
	;; [unrolled: 1-line block ×3, first 2 shown]
	v_mov_b32_e32 v8, s57
	v_mov_b32_e32 v169, s38
	;; [unrolled: 1-line block ×4, first 2 shown]
	s_clause 0x3
	buffer_load_dword v25, v8, s[0:3], 0 offen
	buffer_load_dword v26, v8, s[0:3], 0 offen offset:4
	buffer_load_dword v27, v8, s[0:3], 0 offen offset:8
	;; [unrolled: 1-line block ×3, first 2 shown]
	v_mov_b32_e32 v8, s56
	v_mov_b32_e32 v173, s34
	;; [unrolled: 1-line block ×3, first 2 shown]
	s_clause 0x3
	buffer_load_dword v29, v8, s[0:3], 0 offen
	buffer_load_dword v30, v8, s[0:3], 0 offen offset:4
	buffer_load_dword v31, v8, s[0:3], 0 offen offset:8
	;; [unrolled: 1-line block ×3, first 2 shown]
	v_mov_b32_e32 v8, s55
	v_mov_b32_e32 v175, s31
	s_clause 0x3
	buffer_load_dword v37, v8, s[0:3], 0 offen
	buffer_load_dword v38, v8, s[0:3], 0 offen offset:4
	buffer_load_dword v39, v8, s[0:3], 0 offen offset:8
	buffer_load_dword v40, v8, s[0:3], 0 offen offset:12
	v_mov_b32_e32 v8, s54
	s_clause 0x3
	buffer_load_dword v41, v8, s[0:3], 0 offen
	buffer_load_dword v42, v8, s[0:3], 0 offen offset:4
	buffer_load_dword v43, v8, s[0:3], 0 offen offset:8
	buffer_load_dword v44, v8, s[0:3], 0 offen offset:12
	v_mov_b32_e32 v8, s53
	s_clause 0x3
	buffer_load_dword v45, v8, s[0:3], 0 offen
	buffer_load_dword v46, v8, s[0:3], 0 offen offset:4
	buffer_load_dword v47, v8, s[0:3], 0 offen offset:8
	buffer_load_dword v48, v8, s[0:3], 0 offen offset:12
	v_mov_b32_e32 v8, s52
	s_clause 0x3
	buffer_load_dword v49, v8, s[0:3], 0 offen
	buffer_load_dword v50, v8, s[0:3], 0 offen offset:4
	buffer_load_dword v51, v8, s[0:3], 0 offen offset:8
	buffer_load_dword v52, v8, s[0:3], 0 offen offset:12
	v_mov_b32_e32 v8, s51
	s_clause 0x3
	buffer_load_dword v53, v8, s[0:3], 0 offen
	buffer_load_dword v54, v8, s[0:3], 0 offen offset:4
	buffer_load_dword v55, v8, s[0:3], 0 offen offset:8
	buffer_load_dword v56, v8, s[0:3], 0 offen offset:12
	v_mov_b32_e32 v8, s50
	s_clause 0x3
	buffer_load_dword v57, v8, s[0:3], 0 offen
	buffer_load_dword v58, v8, s[0:3], 0 offen offset:4
	buffer_load_dword v59, v8, s[0:3], 0 offen offset:8
	buffer_load_dword v60, v8, s[0:3], 0 offen offset:12
	v_mov_b32_e32 v8, s49
	s_clause 0x3
	buffer_load_dword v65, v8, s[0:3], 0 offen
	buffer_load_dword v66, v8, s[0:3], 0 offen offset:4
	buffer_load_dword v67, v8, s[0:3], 0 offen offset:8
	buffer_load_dword v68, v8, s[0:3], 0 offen offset:12
	v_mov_b32_e32 v8, s48
	s_clause 0x3
	buffer_load_dword v69, v8, s[0:3], 0 offen
	buffer_load_dword v70, v8, s[0:3], 0 offen offset:4
	buffer_load_dword v71, v8, s[0:3], 0 offen offset:8
	buffer_load_dword v72, v8, s[0:3], 0 offen offset:12
	v_mov_b32_e32 v8, s47
	s_clause 0x3
	buffer_load_dword v77, v8, s[0:3], 0 offen
	buffer_load_dword v78, v8, s[0:3], 0 offen offset:4
	buffer_load_dword v79, v8, s[0:3], 0 offen offset:8
	buffer_load_dword v80, v8, s[0:3], 0 offen offset:12
	v_mov_b32_e32 v8, s46
	s_clause 0x3
	buffer_load_dword v81, v8, s[0:3], 0 offen
	buffer_load_dword v82, v8, s[0:3], 0 offen offset:4
	buffer_load_dword v83, v8, s[0:3], 0 offen offset:8
	buffer_load_dword v84, v8, s[0:3], 0 offen offset:12
	v_mov_b32_e32 v8, s45
	s_clause 0x3
	buffer_load_dword v85, v8, s[0:3], 0 offen
	buffer_load_dword v86, v8, s[0:3], 0 offen offset:4
	buffer_load_dword v87, v8, s[0:3], 0 offen offset:8
	buffer_load_dword v88, v8, s[0:3], 0 offen offset:12
	v_mov_b32_e32 v8, s44
	s_clause 0x3
	buffer_load_dword v161, v8, s[0:3], 0 offen
	buffer_load_dword v162, v8, s[0:3], 0 offen offset:4
	buffer_load_dword v163, v8, s[0:3], 0 offen offset:8
	buffer_load_dword v164, v8, s[0:3], 0 offen offset:12
	v_mov_b32_e32 v8, s43
	v_mov_b32_e32 v170, s37
	;; [unrolled: 1-line block ×23, first 2 shown]
	s_waitcnt vmcnt(62)
	global_store_dwordx4 v[91:92], v[0:3], off
	s_waitcnt vmcnt(60)
	global_store_dwordx4 v[89:90], v[4:7], off
	s_clause 0x3
	buffer_load_dword v0, v8, s[0:3], 0 offen
	buffer_load_dword v1, v8, s[0:3], 0 offen offset:4
	buffer_load_dword v2, v8, s[0:3], 0 offen offset:8
	buffer_load_dword v3, v8, s[0:3], 0 offen offset:12
	s_waitcnt vmcnt(60)
	global_store_dwordx4 v[95:96], v[21:24], off
	s_clause 0x7
	buffer_load_dword v4, v165, s[0:3], 0 offen
	buffer_load_dword v5, v165, s[0:3], 0 offen offset:4
	buffer_load_dword v6, v165, s[0:3], 0 offen offset:8
	buffer_load_dword v7, v165, s[0:3], 0 offen offset:12
	buffer_load_dword v21, v166, s[0:3], 0 offen
	buffer_load_dword v22, v166, s[0:3], 0 offen offset:4
	buffer_load_dword v23, v166, s[0:3], 0 offen offset:8
	buffer_load_dword v24, v166, s[0:3], 0 offen offset:12
	s_waitcnt vmcnt(62)
	global_store_dwordx4 v[101:102], v[25:28], off
	s_clause 0x7
	buffer_load_dword v25, v167, s[0:3], 0 offen
	buffer_load_dword v26, v167, s[0:3], 0 offen offset:4
	buffer_load_dword v27, v167, s[0:3], 0 offen offset:8
	buffer_load_dword v28, v167, s[0:3], 0 offen offset:12
	;; [unrolled: 11-line block ×3, first 2 shown]
	buffer_load_dword v93, v170, s[0:3], 0 offen
	buffer_load_dword v94, v170, s[0:3], 0 offen offset:4
	buffer_load_dword v95, v170, s[0:3], 0 offen offset:8
	;; [unrolled: 1-line block ×3, first 2 shown]
	global_store_dwordx4 v[99:100], v[37:40], off
	s_clause 0x7
	buffer_load_dword v37, v171, s[0:3], 0 offen
	buffer_load_dword v38, v171, s[0:3], 0 offen offset:4
	buffer_load_dword v39, v171, s[0:3], 0 offen offset:8
	;; [unrolled: 1-line block ×3, first 2 shown]
	buffer_load_dword v99, v172, s[0:3], 0 offen
	buffer_load_dword v100, v172, s[0:3], 0 offen offset:4
	buffer_load_dword v101, v172, s[0:3], 0 offen offset:8
	;; [unrolled: 1-line block ×3, first 2 shown]
	s_waitcnt vmcnt(62)
	global_store_dwordx4 v[107:108], v[41:44], off
	s_clause 0x7
	buffer_load_dword v41, v173, s[0:3], 0 offen
	buffer_load_dword v42, v173, s[0:3], 0 offen offset:4
	buffer_load_dword v43, v173, s[0:3], 0 offen offset:8
	buffer_load_dword v44, v173, s[0:3], 0 offen offset:12
	buffer_load_dword v165, v174, s[0:3], 0 offen
	buffer_load_dword v166, v174, s[0:3], 0 offen offset:4
	buffer_load_dword v167, v174, s[0:3], 0 offen offset:8
	buffer_load_dword v168, v174, s[0:3], 0 offen offset:12
	global_store_dwordx4 v[97:98], v[45:48], off
	s_clause 0x7
	buffer_load_dword v45, v175, s[0:3], 0 offen
	buffer_load_dword v46, v175, s[0:3], 0 offen offset:4
	buffer_load_dword v47, v175, s[0:3], 0 offen offset:8
	buffer_load_dword v48, v175, s[0:3], 0 offen offset:12
	buffer_load_dword v169, v176, s[0:3], 0 offen
	buffer_load_dword v170, v176, s[0:3], 0 offen offset:4
	buffer_load_dword v171, v176, s[0:3], 0 offen offset:8
	buffer_load_dword v172, v176, s[0:3], 0 offen offset:12
	;; [unrolled: 10-line block ×4, first 2 shown]
	s_waitcnt vmcnt(62)
	global_store_dwordx4 v[103:104], v[57:60], off
	s_clause 0x7
	buffer_load_dword v57, v181, s[0:3], 0 offen
	buffer_load_dword v58, v181, s[0:3], 0 offen offset:4
	buffer_load_dword v59, v181, s[0:3], 0 offen offset:8
	buffer_load_dword v60, v181, s[0:3], 0 offen offset:12
	buffer_load_dword v177, v182, s[0:3], 0 offen
	buffer_load_dword v178, v182, s[0:3], 0 offen offset:4
	buffer_load_dword v179, v182, s[0:3], 0 offen offset:8
	buffer_load_dword v180, v182, s[0:3], 0 offen offset:12
	global_store_dwordx4 v[117:118], v[65:68], off
	s_clause 0x7
	buffer_load_dword v65, v183, s[0:3], 0 offen
	buffer_load_dword v66, v183, s[0:3], 0 offen offset:4
	buffer_load_dword v67, v183, s[0:3], 0 offen offset:8
	buffer_load_dword v68, v183, s[0:3], 0 offen offset:12
	buffer_load_dword v115, v184, s[0:3], 0 offen
	buffer_load_dword v116, v184, s[0:3], 0 offen offset:4
	buffer_load_dword v117, v184, s[0:3], 0 offen offset:8
	buffer_load_dword v118, v184, s[0:3], 0 offen offset:12
	;; [unrolled: 10-line block ×7, first 2 shown]
	global_store_dwordx4 v[109:110], v[0:3], off
	s_waitcnt vmcnt(62)
	global_store_dwordx4 v[125:126], v[4:7], off
	global_store_dwordx4 v[127:128], v[21:24], off
	;; [unrolled: 1-line block ×14, first 2 shown]
	s_waitcnt vmcnt(60)
	global_store_dwordx4 v[153:154], v[53:56], off
	s_waitcnt vmcnt(56)
	global_store_dwordx4 v[155:156], v[173:176], off
	;; [unrolled: 2-line block ×16, first 2 shown]
	s_endpgm
	.section	.rodata,"a",@progbits
	.p2align	6, 0x0
	.amdhsa_kernel _ZN9rocsolver6v33100L18getri_kernel_smallILi48E19rocblas_complex_numIdEPS3_EEvT1_iilPiilS6_bb
		.amdhsa_group_segment_fixed_size 1544
		.amdhsa_private_segment_fixed_size 800
		.amdhsa_kernarg_size 60
		.amdhsa_user_sgpr_count 6
		.amdhsa_user_sgpr_private_segment_buffer 1
		.amdhsa_user_sgpr_dispatch_ptr 0
		.amdhsa_user_sgpr_queue_ptr 0
		.amdhsa_user_sgpr_kernarg_segment_ptr 1
		.amdhsa_user_sgpr_dispatch_id 0
		.amdhsa_user_sgpr_flat_scratch_init 0
		.amdhsa_user_sgpr_private_segment_size 0
		.amdhsa_wavefront_size32 1
		.amdhsa_uses_dynamic_stack 0
		.amdhsa_system_sgpr_private_segment_wavefront_offset 1
		.amdhsa_system_sgpr_workgroup_id_x 1
		.amdhsa_system_sgpr_workgroup_id_y 0
		.amdhsa_system_sgpr_workgroup_id_z 0
		.amdhsa_system_sgpr_workgroup_info 0
		.amdhsa_system_vgpr_workitem_id 0
		.amdhsa_next_free_vgpr 196
		.amdhsa_next_free_sgpr 64
		.amdhsa_reserve_vcc 1
		.amdhsa_reserve_flat_scratch 0
		.amdhsa_float_round_mode_32 0
		.amdhsa_float_round_mode_16_64 0
		.amdhsa_float_denorm_mode_32 3
		.amdhsa_float_denorm_mode_16_64 3
		.amdhsa_dx10_clamp 1
		.amdhsa_ieee_mode 1
		.amdhsa_fp16_overflow 0
		.amdhsa_workgroup_processor_mode 1
		.amdhsa_memory_ordered 1
		.amdhsa_forward_progress 1
		.amdhsa_shared_vgpr_count 0
		.amdhsa_exception_fp_ieee_invalid_op 0
		.amdhsa_exception_fp_denorm_src 0
		.amdhsa_exception_fp_ieee_div_zero 0
		.amdhsa_exception_fp_ieee_overflow 0
		.amdhsa_exception_fp_ieee_underflow 0
		.amdhsa_exception_fp_ieee_inexact 0
		.amdhsa_exception_int_div_zero 0
	.end_amdhsa_kernel
	.section	.text._ZN9rocsolver6v33100L18getri_kernel_smallILi48E19rocblas_complex_numIdEPS3_EEvT1_iilPiilS6_bb,"axG",@progbits,_ZN9rocsolver6v33100L18getri_kernel_smallILi48E19rocblas_complex_numIdEPS3_EEvT1_iilPiilS6_bb,comdat
.Lfunc_end47:
	.size	_ZN9rocsolver6v33100L18getri_kernel_smallILi48E19rocblas_complex_numIdEPS3_EEvT1_iilPiilS6_bb, .Lfunc_end47-_ZN9rocsolver6v33100L18getri_kernel_smallILi48E19rocblas_complex_numIdEPS3_EEvT1_iilPiilS6_bb
                                        ; -- End function
	.set _ZN9rocsolver6v33100L18getri_kernel_smallILi48E19rocblas_complex_numIdEPS3_EEvT1_iilPiilS6_bb.num_vgpr, 196
	.set _ZN9rocsolver6v33100L18getri_kernel_smallILi48E19rocblas_complex_numIdEPS3_EEvT1_iilPiilS6_bb.num_agpr, 0
	.set _ZN9rocsolver6v33100L18getri_kernel_smallILi48E19rocblas_complex_numIdEPS3_EEvT1_iilPiilS6_bb.numbered_sgpr, 64
	.set _ZN9rocsolver6v33100L18getri_kernel_smallILi48E19rocblas_complex_numIdEPS3_EEvT1_iilPiilS6_bb.num_named_barrier, 0
	.set _ZN9rocsolver6v33100L18getri_kernel_smallILi48E19rocblas_complex_numIdEPS3_EEvT1_iilPiilS6_bb.private_seg_size, 800
	.set _ZN9rocsolver6v33100L18getri_kernel_smallILi48E19rocblas_complex_numIdEPS3_EEvT1_iilPiilS6_bb.uses_vcc, 1
	.set _ZN9rocsolver6v33100L18getri_kernel_smallILi48E19rocblas_complex_numIdEPS3_EEvT1_iilPiilS6_bb.uses_flat_scratch, 0
	.set _ZN9rocsolver6v33100L18getri_kernel_smallILi48E19rocblas_complex_numIdEPS3_EEvT1_iilPiilS6_bb.has_dyn_sized_stack, 0
	.set _ZN9rocsolver6v33100L18getri_kernel_smallILi48E19rocblas_complex_numIdEPS3_EEvT1_iilPiilS6_bb.has_recursion, 0
	.set _ZN9rocsolver6v33100L18getri_kernel_smallILi48E19rocblas_complex_numIdEPS3_EEvT1_iilPiilS6_bb.has_indirect_call, 0
	.section	.AMDGPU.csdata,"",@progbits
; Kernel info:
; codeLenInByte = 155740
; TotalNumSgprs: 66
; NumVgprs: 196
; ScratchSize: 800
; MemoryBound: 0
; FloatMode: 240
; IeeeMode: 1
; LDSByteSize: 1544 bytes/workgroup (compile time only)
; SGPRBlocks: 0
; VGPRBlocks: 24
; NumSGPRsForWavesPerEU: 66
; NumVGPRsForWavesPerEU: 196
; Occupancy: 4
; WaveLimiterHint : 1
; COMPUTE_PGM_RSRC2:SCRATCH_EN: 1
; COMPUTE_PGM_RSRC2:USER_SGPR: 6
; COMPUTE_PGM_RSRC2:TRAP_HANDLER: 0
; COMPUTE_PGM_RSRC2:TGID_X_EN: 1
; COMPUTE_PGM_RSRC2:TGID_Y_EN: 0
; COMPUTE_PGM_RSRC2:TGID_Z_EN: 0
; COMPUTE_PGM_RSRC2:TIDIG_COMP_CNT: 0
	.section	.text._ZN9rocsolver6v33100L18getri_kernel_smallILi49E19rocblas_complex_numIdEPS3_EEvT1_iilPiilS6_bb,"axG",@progbits,_ZN9rocsolver6v33100L18getri_kernel_smallILi49E19rocblas_complex_numIdEPS3_EEvT1_iilPiilS6_bb,comdat
	.globl	_ZN9rocsolver6v33100L18getri_kernel_smallILi49E19rocblas_complex_numIdEPS3_EEvT1_iilPiilS6_bb ; -- Begin function _ZN9rocsolver6v33100L18getri_kernel_smallILi49E19rocblas_complex_numIdEPS3_EEvT1_iilPiilS6_bb
	.p2align	8
	.type	_ZN9rocsolver6v33100L18getri_kernel_smallILi49E19rocblas_complex_numIdEPS3_EEvT1_iilPiilS6_bb,@function
_ZN9rocsolver6v33100L18getri_kernel_smallILi49E19rocblas_complex_numIdEPS3_EEvT1_iilPiilS6_bb: ; @_ZN9rocsolver6v33100L18getri_kernel_smallILi49E19rocblas_complex_numIdEPS3_EEvT1_iilPiilS6_bb
; %bb.0:
	s_add_u32 s0, s0, s7
	s_addc_u32 s1, s1, 0
	s_mov_b32 s7, exec_lo
	v_cmpx_gt_u32_e32 49, v0
	s_cbranch_execz .LBB48_210
; %bb.1:
	s_clause 0x2
	s_load_dword s7, s[4:5], 0x38
	s_load_dwordx4 s[16:19], s[4:5], 0x10
	s_load_dwordx4 s[8:11], s[4:5], 0x28
                                        ; implicit-def: $sgpr20_sgpr21
	s_waitcnt lgkmcnt(0)
	s_bitcmp1_b32 s7, 8
	s_cselect_b32 s61, -1, 0
	s_bfe_u32 s12, s7, 0x10008
	s_ashr_i32 s7, s6, 31
	s_cmp_eq_u32 s12, 0
	s_cbranch_scc1 .LBB48_3
; %bb.2:
	s_load_dword s12, s[4:5], 0x20
	s_mul_i32 s13, s8, s7
	s_mul_hi_u32 s14, s8, s6
	s_mul_i32 s9, s9, s6
	s_add_i32 s13, s14, s13
	s_mul_i32 s8, s8, s6
	s_add_i32 s9, s13, s9
	s_lshl_b64 s[8:9], s[8:9], 2
	s_waitcnt lgkmcnt(0)
	s_ashr_i32 s13, s12, 31
	s_add_u32 s14, s18, s8
	s_addc_u32 s15, s19, s9
	s_lshl_b64 s[8:9], s[12:13], 2
	s_add_u32 s20, s14, s8
	s_addc_u32 s21, s15, s9
.LBB48_3:
	s_clause 0x1
	s_load_dwordx4 s[12:15], s[4:5], 0x0
	s_load_dword s62, s[4:5], 0x38
	s_mul_i32 s4, s16, s7
	s_mul_hi_u32 s5, s16, s6
	s_mul_i32 s8, s17, s6
	s_add_i32 s5, s5, s4
	s_mul_i32 s4, s16, s6
	s_add_i32 s5, s5, s8
	v_lshlrev_b32_e32 v161, 4, v0
	s_lshl_b64 s[4:5], s[4:5], 4
	s_mov_b32 s60, 32
	s_mov_b32 s59, 48
	;; [unrolled: 1-line block ×3, first 2 shown]
	s_movk_i32 s57, 0x50
	s_waitcnt lgkmcnt(0)
	v_add3_u32 v1, s15, s15, v0
	s_ashr_i32 s9, s14, 31
	s_mov_b32 s8, s14
	s_add_u32 s12, s12, s4
	s_addc_u32 s13, s13, s5
	s_lshl_b64 s[4:5], s[8:9], 4
	v_ashrrev_i32_e32 v2, 31, v1
	s_add_u32 s4, s12, s4
	s_addc_u32 s5, s13, s5
	v_add_nc_u32_e32 v5, s15, v1
	v_add_co_u32 v91, s12, s4, v161
	s_mov_b32 s8, s15
	s_ashr_i32 s9, s15, 31
	v_lshlrev_b64 v[6:7], 4, v[1:2]
	v_add_co_ci_u32_e64 v92, null, s5, 0, s12
	s_lshl_b64 s[8:9], s[8:9], 4
	v_add_nc_u32_e32 v8, s15, v5
	v_add_co_u32 v89, vcc_lo, v91, s8
	v_add_co_ci_u32_e64 v90, null, s9, v92, vcc_lo
	v_add_co_u32 v95, vcc_lo, s4, v6
	v_ashrrev_i32_e32 v6, 31, v5
	v_add_co_ci_u32_e64 v96, null, s5, v7, vcc_lo
	v_ashrrev_i32_e32 v9, 31, v8
	v_add_nc_u32_e32 v7, s15, v8
	v_lshlrev_b64 v[5:6], 4, v[5:6]
	s_clause 0x1
	global_load_dwordx4 v[1:4], v161, s[4:5]
	global_load_dwordx4 v[153:156], v[89:90], off
	v_lshlrev_b64 v[9:10], 4, v[8:9]
	v_ashrrev_i32_e32 v8, 31, v7
	v_add_nc_u32_e32 v11, s15, v7
	v_add_co_u32 v101, vcc_lo, s4, v5
	v_add_co_ci_u32_e64 v102, null, s5, v6, vcc_lo
	v_lshlrev_b64 v[5:6], 4, v[7:8]
	v_add_nc_u32_e32 v7, s15, v11
	v_add_co_u32 v93, vcc_lo, s4, v9
	v_add_co_ci_u32_e64 v94, null, s5, v10, vcc_lo
	v_add_co_u32 v99, vcc_lo, s4, v5
	v_ashrrev_i32_e32 v12, 31, v11
	v_add_nc_u32_e32 v5, s15, v7
	v_ashrrev_i32_e32 v8, 31, v7
	v_add_co_ci_u32_e64 v100, null, s5, v6, vcc_lo
	v_lshlrev_b64 v[9:10], 4, v[11:12]
	v_ashrrev_i32_e32 v6, 31, v5
	v_add_nc_u32_e32 v11, s15, v5
	v_lshlrev_b64 v[7:8], 4, v[7:8]
	s_clause 0x1
	global_load_dwordx4 v[157:160], v[95:96], off
	global_load_dwordx4 v[166:169], v[93:94], off
	v_lshlrev_b64 v[5:6], 4, v[5:6]
	v_add_co_u32 v105, vcc_lo, s4, v9
	v_add_nc_u32_e32 v9, s15, v11
	v_add_co_ci_u32_e64 v106, null, s5, v10, vcc_lo
	v_add_co_u32 v97, vcc_lo, s4, v7
	v_add_co_ci_u32_e64 v98, null, s5, v8, vcc_lo
	v_ashrrev_i32_e32 v12, 31, v11
	v_add_co_u32 v107, vcc_lo, s4, v5
	v_add_nc_u32_e32 v5, s15, v9
	v_ashrrev_i32_e32 v10, 31, v9
	v_add_co_ci_u32_e64 v108, null, s5, v6, vcc_lo
	v_lshlrev_b64 v[7:8], 4, v[11:12]
	v_ashrrev_i32_e32 v6, 31, v5
	v_add_nc_u32_e32 v11, s15, v5
	v_lshlrev_b64 v[9:10], 4, v[9:10]
	s_clause 0x1
	global_load_dwordx4 v[162:165], v[101:102], off
	global_load_dwordx4 v[77:80], v[105:106], off
	v_lshlrev_b64 v[5:6], 4, v[5:6]
	v_add_co_u32 v113, vcc_lo, s4, v7
	v_add_nc_u32_e32 v7, s15, v11
	v_ashrrev_i32_e32 v12, 31, v11
	v_add_co_ci_u32_e64 v114, null, s5, v8, vcc_lo
	v_add_co_u32 v103, vcc_lo, s4, v9
	v_add_co_ci_u32_e64 v104, null, s5, v10, vcc_lo
	v_add_nc_u32_e32 v9, s15, v7
	v_add_co_u32 v119, vcc_lo, s4, v5
	v_ashrrev_i32_e32 v8, 31, v7
	v_add_co_ci_u32_e64 v120, null, s5, v6, vcc_lo
	v_lshlrev_b64 v[5:6], 4, v[11:12]
	v_ashrrev_i32_e32 v10, 31, v9
	v_add_nc_u32_e32 v11, s15, v9
	v_lshlrev_b64 v[7:8], 4, v[7:8]
	s_clause 0x1
	global_load_dwordx4 v[170:173], v[99:100], off
	global_load_dwordx4 v[81:84], v[97:98], off
	v_add_co_u32 v125, vcc_lo, s4, v5
	v_add_co_ci_u32_e64 v126, null, s5, v6, vcc_lo
	v_lshlrev_b64 v[5:6], 4, v[9:10]
	v_ashrrev_i32_e32 v12, 31, v11
	v_add_nc_u32_e32 v9, s15, v11
	v_add_co_u32 v111, vcc_lo, s4, v7
	v_add_co_ci_u32_e64 v112, null, s5, v8, vcc_lo
	v_lshlrev_b64 v[7:8], 4, v[11:12]
	v_ashrrev_i32_e32 v10, 31, v9
	v_add_nc_u32_e32 v11, s15, v9
	;; [unrolled: 5-line block ×5, first 2 shown]
	v_add_co_u32 v109, vcc_lo, s4, v7
	v_add_co_ci_u32_e64 v110, null, s5, v8, vcc_lo
	v_lshlrev_b64 v[7:8], 4, v[11:12]
	v_add_nc_u32_e32 v11, s15, v9
	v_ashrrev_i32_e32 v10, 31, v9
	s_clause 0x2
	global_load_dwordx4 v[85:88], v[107:108], off
	global_load_dwordx4 v[65:68], v[113:114], off
	;; [unrolled: 1-line block ×3, first 2 shown]
	v_add_co_u32 v117, vcc_lo, s4, v5
	v_add_nc_u32_e32 v13, s15, v11
	v_lshlrev_b64 v[9:10], 4, v[9:10]
	v_ashrrev_i32_e32 v12, 31, v11
	v_add_co_ci_u32_e64 v118, null, s5, v6, vcc_lo
	v_add_nc_u32_e32 v37, s15, v13
	v_ashrrev_i32_e32 v14, 31, v13
	v_add_co_u32 v127, vcc_lo, s4, v7
	v_add_co_ci_u32_e64 v128, null, s5, v8, vcc_lo
	v_lshlrev_b64 v[11:12], 4, v[11:12]
	v_add_co_u32 v129, vcc_lo, s4, v9
	v_add_nc_u32_e32 v49, s15, v37
	v_add_co_ci_u32_e64 v130, null, s5, v10, vcc_lo
	v_lshlrev_b64 v[9:10], 4, v[13:14]
	v_ashrrev_i32_e32 v38, 31, v37
	v_ashrrev_i32_e32 v50, 31, v49
	v_add_nc_u32_e32 v51, s15, v49
	s_clause 0x1
	global_load_dwordx4 v[73:76], v[119:120], off
	global_load_dwordx4 v[33:36], v[125:126], off
	v_add_co_u32 v131, vcc_lo, s4, v11
	v_add_co_ci_u32_e64 v132, null, s5, v12, vcc_lo
	v_lshlrev_b64 v[11:12], 4, v[37:38]
	v_add_co_u32 v133, vcc_lo, s4, v9
	s_clause 0x1
	global_load_dwordx4 v[41:44], v[111:112], off
	global_load_dwordx4 v[45:48], v[115:116], off
	v_add_co_ci_u32_e64 v134, null, s5, v10, vcc_lo
	v_lshlrev_b64 v[9:10], 4, v[49:50]
	v_add_nc_u32_e32 v143, s15, v51
	v_ashrrev_i32_e32 v52, 31, v51
	v_add_co_u32 v135, vcc_lo, s4, v11
	s_clause 0x1
	global_load_dwordx4 v[17:20], v[121:122], off
	global_load_dwordx4 v[21:24], v[123:124], off
	v_ashrrev_i32_e32 v144, 31, v143
	v_add_co_ci_u32_e64 v136, null, s5, v12, vcc_lo
	v_add_co_u32 v137, vcc_lo, s4, v9
	v_add_co_ci_u32_e64 v138, null, s5, v10, vcc_lo
	v_lshlrev_b64 v[9:10], 4, v[51:52]
	v_lshlrev_b64 v[11:12], 4, v[143:144]
	s_clause 0x5
	global_load_dwordx4 v[29:32], v[109:110], off
	global_load_dwordx4 v[5:8], v[117:118], off
	global_load_dwordx4 v[25:28], v[127:128], off
	global_load_dwordx4 v[13:16], v[129:130], off
	global_load_dwordx4 v[37:40], v[131:132], off
	global_load_dwordx4 v[49:52], v[133:134], off
	v_add_co_u32 v139, vcc_lo, s4, v9
	v_add_co_ci_u32_e64 v140, null, s5, v10, vcc_lo
	v_add_co_u32 v141, vcc_lo, s4, v11
	v_add_co_ci_u32_e64 v142, null, s5, v12, vcc_lo
	s_clause 0x3
	global_load_dwordx4 v[61:64], v[135:136], off
	global_load_dwordx4 v[53:56], v[137:138], off
	;; [unrolled: 1-line block ×4, first 2 shown]
	v_add_nc_u32_e32 v143, s15, v143
	v_add_nc_u32_e32 v145, s15, v143
	v_ashrrev_i32_e32 v144, 31, v143
	v_add_nc_u32_e32 v147, s15, v145
	v_ashrrev_i32_e32 v146, 31, v145
	v_lshlrev_b64 v[143:144], 4, v[143:144]
	v_add_nc_u32_e32 v149, s15, v147
	v_ashrrev_i32_e32 v148, 31, v147
	v_lshlrev_b64 v[145:146], 4, v[145:146]
	v_add_co_u32 v143, vcc_lo, s4, v143
	v_add_nc_u32_e32 v151, s15, v149
	v_ashrrev_i32_e32 v150, 31, v149
	v_lshlrev_b64 v[147:148], 4, v[147:148]
	v_add_co_ci_u32_e64 v144, null, s5, v144, vcc_lo
	v_add_nc_u32_e32 v182, s15, v151
	v_lshlrev_b64 v[149:150], 4, v[149:150]
	v_add_co_u32 v145, vcc_lo, s4, v145
	v_add_co_ci_u32_e64 v146, null, s5, v146, vcc_lo
	v_add_nc_u32_e32 v186, s15, v182
	v_add_co_u32 v147, vcc_lo, s4, v147
	v_add_co_ci_u32_e64 v148, null, s5, v148, vcc_lo
	v_add_co_u32 v149, vcc_lo, s4, v149
	v_ashrrev_i32_e32 v152, 31, v151
	v_ashrrev_i32_e32 v183, 31, v182
	v_add_nc_u32_e32 v190, s15, v186
	v_add_co_ci_u32_e64 v150, null, s5, v150, vcc_lo
	s_clause 0x1
	global_load_dwordx4 v[174:177], v[143:144], off
	global_load_dwordx4 v[178:181], v[145:146], off
	v_lshlrev_b64 v[151:152], 4, v[151:152]
	v_lshlrev_b64 v[188:189], 4, v[182:183]
	v_ashrrev_i32_e32 v187, 31, v186
	v_ashrrev_i32_e32 v191, 31, v190
	s_waitcnt vmcnt(28)
	buffer_store_dword v4, off, s[0:3], 0 offset:28
	buffer_store_dword v3, off, s[0:3], 0 offset:24
	;; [unrolled: 1-line block ×4, first 2 shown]
	s_waitcnt vmcnt(27)
	buffer_store_dword v156, off, s[0:3], 0 offset:44
	buffer_store_dword v155, off, s[0:3], 0 offset:40
	;; [unrolled: 1-line block ×4, first 2 shown]
	s_clause 0x1
	global_load_dwordx4 v[1:4], v[147:148], off
	global_load_dwordx4 v[182:185], v[149:150], off
	s_waitcnt vmcnt(28)
	buffer_store_dword v160, off, s[0:3], 0 offset:60
	buffer_store_dword v159, off, s[0:3], 0 offset:56
	;; [unrolled: 1-line block ×4, first 2 shown]
	v_add_nc_u32_e32 v157, s15, v190
	v_add_co_u32 v151, vcc_lo, s4, v151
	v_lshlrev_b64 v[155:156], 4, v[186:187]
	v_add_co_ci_u32_e64 v152, null, s5, v152, vcc_lo
	v_ashrrev_i32_e32 v158, 31, v157
	v_add_nc_u32_e32 v186, s15, v157
	v_add_co_u32 v153, vcc_lo, s4, v188
	v_lshlrev_b64 v[159:160], 4, v[190:191]
	v_add_co_ci_u32_e64 v154, null, s5, v189, vcc_lo
	v_lshlrev_b64 v[188:189], 4, v[157:158]
	v_add_nc_u32_e32 v190, s15, v186
	v_add_co_u32 v155, vcc_lo, s4, v155
	v_ashrrev_i32_e32 v187, 31, v186
	v_add_co_ci_u32_e64 v156, null, s5, v156, vcc_lo
	v_add_co_u32 v157, vcc_lo, s4, v159
	v_add_co_ci_u32_e64 v158, null, s5, v160, vcc_lo
	v_ashrrev_i32_e32 v191, 31, v190
	v_add_co_u32 v159, vcc_lo, s4, v188
	v_add_nc_u32_e32 v188, s15, v190
	v_lshlrev_b64 v[186:187], 4, v[186:187]
	s_waitcnt vmcnt(26)
	buffer_store_dword v165, off, s[0:3], 0 offset:76
	buffer_store_dword v164, off, s[0:3], 0 offset:72
	;; [unrolled: 1-line block ×8, first 2 shown]
	s_clause 0x1
	global_load_dwordx4 v[162:165], v[151:152], off
	global_load_dwordx4 v[166:169], v[153:154], off
	s_waitcnt vmcnt(26)
	buffer_store_dword v173, off, s[0:3], 0 offset:108
	buffer_store_dword v172, off, s[0:3], 0 offset:104
	;; [unrolled: 1-line block ×4, first 2 shown]
	v_add_co_ci_u32_e64 v160, null, s5, v189, vcc_lo
	buffer_store_dword v80, off, s[0:3], 0 offset:124
	buffer_store_dword v79, off, s[0:3], 0 offset:120
	;; [unrolled: 1-line block ×4, first 2 shown]
	s_waitcnt vmcnt(25)
	buffer_store_dword v84, off, s[0:3], 0 offset:140
	buffer_store_dword v83, off, s[0:3], 0 offset:136
	;; [unrolled: 1-line block ×4, first 2 shown]
	v_lshlrev_b64 v[79:80], 4, v[190:191]
	v_ashrrev_i32_e32 v189, 31, v188
	v_add_nc_u32_e32 v190, s15, v188
	v_add_co_u32 v77, vcc_lo, s4, v186
	v_add_co_ci_u32_e64 v78, null, s5, v187, vcc_lo
	v_lshlrev_b64 v[186:187], 4, v[188:189]
	v_ashrrev_i32_e32 v191, 31, v190
	v_add_nc_u32_e32 v188, s15, v190
	s_clause 0x1
	global_load_dwordx4 v[81:84], v[155:156], off
	global_load_dwordx4 v[170:173], v[157:158], off
	s_waitcnt vmcnt(26)
	buffer_store_dword v88, off, s[0:3], 0 offset:156
	buffer_store_dword v87, off, s[0:3], 0 offset:152
	buffer_store_dword v86, off, s[0:3], 0 offset:148
	buffer_store_dword v85, off, s[0:3], 0 offset:144
	s_waitcnt vmcnt(25)
	buffer_store_dword v65, off, s[0:3], 0 offset:160
	buffer_store_dword v66, off, s[0:3], 0 offset:164
	buffer_store_dword v67, off, s[0:3], 0 offset:168
	buffer_store_dword v68, off, s[0:3], 0 offset:172
	;; [unrolled: 5-line block ×3, first 2 shown]
	v_lshlrev_b64 v[67:68], 4, v[190:191]
	v_ashrrev_i32_e32 v189, 31, v188
	v_add_nc_u32_e32 v190, s15, v188
	v_add_co_u32 v79, vcc_lo, s4, v79
	v_add_co_ci_u32_e64 v80, null, s5, v80, vcc_lo
	v_add_co_u32 v65, vcc_lo, s4, v186
	v_add_co_ci_u32_e64 v66, null, s5, v187, vcc_lo
	v_lshlrev_b64 v[186:187], 4, v[188:189]
	v_ashrrev_i32_e32 v191, 31, v190
	v_add_nc_u32_e32 v188, s15, v190
	s_clause 0x1
	global_load_dwordx4 v[69:72], v[159:160], off
	global_load_dwordx4 v[85:88], v[77:78], off
	s_waitcnt vmcnt(25)
	buffer_store_dword v73, off, s[0:3], 0 offset:192
	buffer_store_dword v74, off, s[0:3], 0 offset:196
	buffer_store_dword v75, off, s[0:3], 0 offset:200
	buffer_store_dword v76, off, s[0:3], 0 offset:204
	s_waitcnt vmcnt(24)
	buffer_store_dword v36, off, s[0:3], 0 offset:220
	buffer_store_dword v35, off, s[0:3], 0 offset:216
	buffer_store_dword v34, off, s[0:3], 0 offset:212
	buffer_store_dword v33, off, s[0:3], 0 offset:208
	;; [unrolled: 5-line block ×3, first 2 shown]
	v_lshlrev_b64 v[35:36], 4, v[190:191]
	v_add_nc_u32_e32 v190, s15, v188
	v_add_co_u32 v67, vcc_lo, s4, v67
	v_ashrrev_i32_e32 v189, 31, v188
	v_add_co_ci_u32_e64 v68, null, s5, v68, vcc_lo
	v_add_nc_u32_e32 v194, s15, v190
	s_clause 0x1
	global_load_dwordx4 v[41:44], v[79:80], off
	global_load_dwordx4 v[73:76], v[65:66], off
	s_waitcnt vmcnt(24)
	buffer_store_dword v48, off, s[0:3], 0 offset:252
	buffer_store_dword v47, off, s[0:3], 0 offset:248
	buffer_store_dword v46, off, s[0:3], 0 offset:244
	buffer_store_dword v45, off, s[0:3], 0 offset:240
	v_add_co_u32 v33, vcc_lo, s4, v186
	s_waitcnt vmcnt(23)
	buffer_store_dword v20, off, s[0:3], 0 offset:268
	buffer_store_dword v19, off, s[0:3], 0 offset:264
	;; [unrolled: 1-line block ×4, first 2 shown]
	s_waitcnt vmcnt(22)
	buffer_store_dword v24, off, s[0:3], 0 offset:284
	buffer_store_dword v23, off, s[0:3], 0 offset:280
	;; [unrolled: 1-line block ×4, first 2 shown]
	v_add_nc_u32_e32 v23, s15, v194
	v_ashrrev_i32_e32 v191, 31, v190
	v_add_co_ci_u32_e64 v34, null, s5, v187, vcc_lo
	v_ashrrev_i32_e32 v195, 31, v194
	v_lshlrev_b64 v[192:193], 4, v[188:189]
	v_ashrrev_i32_e32 v24, 31, v23
	s_clause 0x1
	global_load_dwordx4 v[45:48], v[67:68], off
	global_load_dwordx4 v[186:189], v[33:34], off
	v_lshlrev_b64 v[19:20], 4, v[190:191]
	s_waitcnt vmcnt(23)
	buffer_store_dword v32, off, s[0:3], 0 offset:300
	buffer_store_dword v31, off, s[0:3], 0 offset:296
	;; [unrolled: 1-line block ×4, first 2 shown]
	v_add_nc_u32_e32 v31, s15, v23
	v_add_co_u32 v35, vcc_lo, s4, v35
	v_lshlrev_b64 v[21:22], 4, v[194:195]
	v_add_co_ci_u32_e64 v36, null, s5, v36, vcc_lo
	v_add_co_u32 v17, vcc_lo, s4, v192
	v_lshlrev_b64 v[23:24], 4, v[23:24]
	s_waitcnt vmcnt(22)
	buffer_store_dword v8, off, s[0:3], 0 offset:316
	buffer_store_dword v7, off, s[0:3], 0 offset:312
	;; [unrolled: 1-line block ×4, first 2 shown]
	s_waitcnt vmcnt(21)
	buffer_store_dword v28, off, s[0:3], 0 offset:332
	buffer_store_dword v27, off, s[0:3], 0 offset:328
	buffer_store_dword v26, off, s[0:3], 0 offset:324
	buffer_store_dword v25, off, s[0:3], 0 offset:320
	v_add_nc_u32_e32 v25, s15, v31
	v_add_co_ci_u32_e64 v18, null, s5, v193, vcc_lo
	v_add_co_u32 v19, vcc_lo, s4, v19
	v_add_co_ci_u32_e64 v20, null, s5, v20, vcc_lo
	v_add_co_u32 v21, vcc_lo, s4, v21
	v_add_co_ci_u32_e64 v22, null, s5, v22, vcc_lo
	s_clause 0x1
	global_load_dwordx4 v[5:8], v[35:36], off
	global_load_dwordx4 v[27:30], v[17:18], off
	s_waitcnt vmcnt(22)
	buffer_store_dword v16, off, s[0:3], 0 offset:348
	buffer_store_dword v15, off, s[0:3], 0 offset:344
	buffer_store_dword v14, off, s[0:3], 0 offset:340
	buffer_store_dword v13, off, s[0:3], 0 offset:336
	s_waitcnt vmcnt(21)
	buffer_store_dword v40, off, s[0:3], 0 offset:364
	buffer_store_dword v39, off, s[0:3], 0 offset:360
	buffer_store_dword v38, off, s[0:3], 0 offset:356
	buffer_store_dword v37, off, s[0:3], 0 offset:352
	;; [unrolled: 5-line block ×6, first 2 shown]
	s_waitcnt vmcnt(16)
	buffer_store_dword v12, off, s[0:3], 0 offset:444
	v_add_co_u32 v12, vcc_lo, s4, v23
	v_add_nc_u32_e32 v23, s15, v25
	v_ashrrev_i32_e32 v32, 31, v31
	v_ashrrev_i32_e32 v26, 31, v25
	v_add_co_ci_u32_e64 v13, null, s5, v24, vcc_lo
	v_ashrrev_i32_e32 v24, 31, v23
	v_lshlrev_b64 v[14:15], 4, v[31:32]
	v_lshlrev_b64 v[25:26], 4, v[25:26]
	global_load_dwordx4 v[37:40], v[19:20], off
	v_lshlrev_b64 v[23:24], 4, v[23:24]
	v_add_co_u32 v14, vcc_lo, s4, v14
	v_add_co_ci_u32_e64 v15, null, s5, v15, vcc_lo
	v_add_co_u32 v25, vcc_lo, s4, v25
	v_add_co_ci_u32_e64 v26, null, s5, v26, vcc_lo
	;; [unrolled: 2-line block ×3, first 2 shown]
	s_clause 0x3
	global_load_dwordx4 v[49:52], v[21:22], off
	global_load_dwordx4 v[53:56], v[12:13], off
	;; [unrolled: 1-line block ×4, first 2 shown]
	buffer_store_dword v11, off, s[0:3], 0 offset:440
	buffer_store_dword v10, off, s[0:3], 0 offset:436
	;; [unrolled: 1-line block ×3, first 2 shown]
	global_load_dwordx4 v[190:193], v[23:24], off
	s_movk_i32 s4, 0x50
	s_movk_i32 s5, 0x60
	s_add_i32 s56, s4, 16
	s_add_i32 s55, s5, 16
	s_movk_i32 s4, 0x70
	s_movk_i32 s5, 0x80
	s_add_i32 s54, s4, 16
	s_add_i32 s53, s5, 16
	;; [unrolled: 4-line block ×22, first 2 shown]
	s_bitcmp0_b32 s62, 0
	s_mov_b32 s5, -1
	s_waitcnt vmcnt(21)
	buffer_store_dword v177, off, s[0:3], 0 offset:460
	buffer_store_dword v176, off, s[0:3], 0 offset:456
	buffer_store_dword v175, off, s[0:3], 0 offset:452
	buffer_store_dword v174, off, s[0:3], 0 offset:448
	s_waitcnt vmcnt(20)
	buffer_store_dword v181, off, s[0:3], 0 offset:476
	buffer_store_dword v180, off, s[0:3], 0 offset:472
	buffer_store_dword v179, off, s[0:3], 0 offset:468
	buffer_store_dword v178, off, s[0:3], 0 offset:464
	s_waitcnt vmcnt(19)
	buffer_store_dword v4, off, s[0:3], 0 offset:492
	buffer_store_dword v3, off, s[0:3], 0 offset:488
	buffer_store_dword v2, off, s[0:3], 0 offset:484
	buffer_store_dword v1, off, s[0:3], 0 offset:480
	s_waitcnt vmcnt(18)
	buffer_store_dword v185, off, s[0:3], 0 offset:508
	buffer_store_dword v184, off, s[0:3], 0 offset:504
	buffer_store_dword v183, off, s[0:3], 0 offset:500
	buffer_store_dword v182, off, s[0:3], 0 offset:496
	s_waitcnt vmcnt(17)
	buffer_store_dword v165, off, s[0:3], 0 offset:524
	buffer_store_dword v164, off, s[0:3], 0 offset:520
	buffer_store_dword v163, off, s[0:3], 0 offset:516
	buffer_store_dword v162, off, s[0:3], 0 offset:512
	s_waitcnt vmcnt(16)
	buffer_store_dword v169, off, s[0:3], 0 offset:540
	buffer_store_dword v168, off, s[0:3], 0 offset:536
	buffer_store_dword v167, off, s[0:3], 0 offset:532
	buffer_store_dword v166, off, s[0:3], 0 offset:528
	s_waitcnt vmcnt(15)
	buffer_store_dword v84, off, s[0:3], 0 offset:556
	buffer_store_dword v83, off, s[0:3], 0 offset:552
	buffer_store_dword v82, off, s[0:3], 0 offset:548
	buffer_store_dword v81, off, s[0:3], 0 offset:544
	s_waitcnt vmcnt(14)
	buffer_store_dword v173, off, s[0:3], 0 offset:572
	buffer_store_dword v172, off, s[0:3], 0 offset:568
	buffer_store_dword v171, off, s[0:3], 0 offset:564
	buffer_store_dword v170, off, s[0:3], 0 offset:560
	s_waitcnt vmcnt(13)
	buffer_store_dword v72, off, s[0:3], 0 offset:588
	buffer_store_dword v71, off, s[0:3], 0 offset:584
	buffer_store_dword v70, off, s[0:3], 0 offset:580
	buffer_store_dword v69, off, s[0:3], 0 offset:576
	s_waitcnt vmcnt(12)
	buffer_store_dword v88, off, s[0:3], 0 offset:604
	buffer_store_dword v87, off, s[0:3], 0 offset:600
	buffer_store_dword v86, off, s[0:3], 0 offset:596
	buffer_store_dword v85, off, s[0:3], 0 offset:592
	s_waitcnt vmcnt(11)
	buffer_store_dword v44, off, s[0:3], 0 offset:620
	buffer_store_dword v43, off, s[0:3], 0 offset:616
	buffer_store_dword v42, off, s[0:3], 0 offset:612
	buffer_store_dword v41, off, s[0:3], 0 offset:608
	s_waitcnt vmcnt(10)
	buffer_store_dword v76, off, s[0:3], 0 offset:636
	buffer_store_dword v75, off, s[0:3], 0 offset:632
	buffer_store_dword v74, off, s[0:3], 0 offset:628
	buffer_store_dword v73, off, s[0:3], 0 offset:624
	s_waitcnt vmcnt(9)
	buffer_store_dword v48, off, s[0:3], 0 offset:652
	buffer_store_dword v47, off, s[0:3], 0 offset:648
	buffer_store_dword v46, off, s[0:3], 0 offset:644
	buffer_store_dword v45, off, s[0:3], 0 offset:640
	s_waitcnt vmcnt(8)
	buffer_store_dword v189, off, s[0:3], 0 offset:668
	buffer_store_dword v188, off, s[0:3], 0 offset:664
	buffer_store_dword v187, off, s[0:3], 0 offset:660
	buffer_store_dword v186, off, s[0:3], 0 offset:656
	s_waitcnt vmcnt(7)
	buffer_store_dword v8, off, s[0:3], 0 offset:684
	buffer_store_dword v7, off, s[0:3], 0 offset:680
	buffer_store_dword v6, off, s[0:3], 0 offset:676
	buffer_store_dword v5, off, s[0:3], 0 offset:672
	s_waitcnt vmcnt(6)
	buffer_store_dword v30, off, s[0:3], 0 offset:700
	buffer_store_dword v29, off, s[0:3], 0 offset:696
	buffer_store_dword v28, off, s[0:3], 0 offset:692
	buffer_store_dword v27, off, s[0:3], 0 offset:688
	s_waitcnt vmcnt(5)
	buffer_store_dword v40, off, s[0:3], 0 offset:716
	buffer_store_dword v39, off, s[0:3], 0 offset:712
	buffer_store_dword v38, off, s[0:3], 0 offset:708
	buffer_store_dword v37, off, s[0:3], 0 offset:704
	s_waitcnt vmcnt(4)
	buffer_store_dword v52, off, s[0:3], 0 offset:732
	buffer_store_dword v51, off, s[0:3], 0 offset:728
	buffer_store_dword v50, off, s[0:3], 0 offset:724
	buffer_store_dword v49, off, s[0:3], 0 offset:720
	s_waitcnt vmcnt(3)
	buffer_store_dword v56, off, s[0:3], 0 offset:748
	buffer_store_dword v55, off, s[0:3], 0 offset:744
	buffer_store_dword v54, off, s[0:3], 0 offset:740
	buffer_store_dword v53, off, s[0:3], 0 offset:736
	s_waitcnt vmcnt(2)
	buffer_store_dword v60, off, s[0:3], 0 offset:764
	buffer_store_dword v59, off, s[0:3], 0 offset:760
	buffer_store_dword v58, off, s[0:3], 0 offset:756
	buffer_store_dword v57, off, s[0:3], 0 offset:752
	s_waitcnt vmcnt(1)
	buffer_store_dword v64, off, s[0:3], 0 offset:780
	buffer_store_dword v63, off, s[0:3], 0 offset:776
	buffer_store_dword v62, off, s[0:3], 0 offset:772
	buffer_store_dword v61, off, s[0:3], 0 offset:768
	s_waitcnt vmcnt(0)
	buffer_store_dword v193, off, s[0:3], 0 offset:796
	buffer_store_dword v192, off, s[0:3], 0 offset:792
	buffer_store_dword v191, off, s[0:3], 0 offset:788
	buffer_store_dword v190, off, s[0:3], 0 offset:784
	s_cbranch_scc1 .LBB48_208
; %bb.4:
	v_cmp_eq_u32_e64 s4, 0, v0
	s_and_saveexec_b32 s5, s4
; %bb.5:
	v_mov_b32_e32 v1, 0
	ds_write_b32 v1, v1 offset:1568
; %bb.6:
	s_or_b32 exec_lo, exec_lo, s5
	v_lshl_add_u32 v11, v0, 4, 16
	s_waitcnt lgkmcnt(0)
	s_waitcnt_vscnt null, 0x0
	s_barrier
	buffer_gl0_inv
	s_clause 0x3
	buffer_load_dword v1, v11, s[0:3], 0 offen
	buffer_load_dword v2, v11, s[0:3], 0 offen offset:4
	buffer_load_dword v3, v11, s[0:3], 0 offen offset:8
	;; [unrolled: 1-line block ×3, first 2 shown]
	s_waitcnt vmcnt(2)
	v_cmp_eq_f64_e32 vcc_lo, 0, v[1:2]
	s_waitcnt vmcnt(0)
	v_cmp_eq_f64_e64 s5, 0, v[3:4]
	s_and_b32 s5, vcc_lo, s5
	s_and_saveexec_b32 s62, s5
	s_cbranch_execz .LBB48_10
; %bb.7:
	v_mov_b32_e32 v1, 0
	s_mov_b32 s63, 0
	ds_read_b32 v2, v1 offset:1568
	s_waitcnt lgkmcnt(0)
	v_readfirstlane_b32 s5, v2
	v_add_nc_u32_e32 v2, 1, v0
	s_cmp_eq_u32 s5, 0
	v_cmp_gt_i32_e32 vcc_lo, s5, v2
	s_cselect_b32 s64, -1, 0
	s_or_b32 s64, s64, vcc_lo
	s_and_b32 exec_lo, exec_lo, s64
	s_cbranch_execz .LBB48_10
; %bb.8:
	v_mov_b32_e32 v3, s5
.LBB48_9:                               ; =>This Inner Loop Header: Depth=1
	ds_cmpst_rtn_b32 v3, v1, v3, v2 offset:1568
	s_waitcnt lgkmcnt(0)
	v_cmp_ne_u32_e32 vcc_lo, 0, v3
	v_cmp_le_i32_e64 s5, v3, v2
	s_and_b32 s5, vcc_lo, s5
	s_and_b32 s5, exec_lo, s5
	s_or_b32 s63, s5, s63
	s_andn2_b32 exec_lo, exec_lo, s63
	s_cbranch_execnz .LBB48_9
.LBB48_10:
	s_or_b32 exec_lo, exec_lo, s62
	v_mov_b32_e32 v1, 0
	s_barrier
	buffer_gl0_inv
	ds_read_b32 v2, v1 offset:1568
	s_and_saveexec_b32 s5, s4
	s_cbranch_execz .LBB48_12
; %bb.11:
	s_lshl_b64 s[62:63], s[6:7], 2
	s_add_u32 s62, s10, s62
	s_addc_u32 s63, s11, s63
	s_waitcnt lgkmcnt(0)
	global_store_dword v1, v2, s[62:63]
.LBB48_12:
	s_or_b32 exec_lo, exec_lo, s5
	s_waitcnt lgkmcnt(0)
	v_cmp_ne_u32_e32 vcc_lo, 0, v2
	s_mov_b32 s5, 0
	s_cbranch_vccnz .LBB48_208
; %bb.13:
	s_clause 0x3
	buffer_load_dword v7, v11, s[0:3], 0 offen
	buffer_load_dword v8, v11, s[0:3], 0 offen offset:4
	buffer_load_dword v9, v11, s[0:3], 0 offen offset:8
	;; [unrolled: 1-line block ×3, first 2 shown]
                                        ; implicit-def: $vgpr5_vgpr6
                                        ; implicit-def: $vgpr3_vgpr4
	s_waitcnt vmcnt(0)
	v_cmp_ngt_f64_e64 s5, |v[7:8]|, |v[9:10]|
	s_and_saveexec_b32 s62, s5
	s_xor_b32 s5, exec_lo, s62
	s_cbranch_execz .LBB48_15
; %bb.14:
	v_div_scale_f64 v[1:2], null, v[9:10], v[9:10], v[7:8]
	v_div_scale_f64 v[27:28], vcc_lo, v[7:8], v[9:10], v[7:8]
	v_rcp_f64_e32 v[3:4], v[1:2]
	v_fma_f64 v[5:6], -v[1:2], v[3:4], 1.0
	v_fma_f64 v[3:4], v[3:4], v[5:6], v[3:4]
	v_fma_f64 v[5:6], -v[1:2], v[3:4], 1.0
	v_fma_f64 v[3:4], v[3:4], v[5:6], v[3:4]
	v_mul_f64 v[5:6], v[27:28], v[3:4]
	v_fma_f64 v[1:2], -v[1:2], v[5:6], v[27:28]
	v_div_fmas_f64 v[1:2], v[1:2], v[3:4], v[5:6]
	v_div_fixup_f64 v[1:2], v[1:2], v[9:10], v[7:8]
	v_fma_f64 v[3:4], v[7:8], v[1:2], v[9:10]
	v_div_scale_f64 v[5:6], null, v[3:4], v[3:4], 1.0
	v_div_scale_f64 v[27:28], vcc_lo, 1.0, v[3:4], 1.0
	v_rcp_f64_e32 v[7:8], v[5:6]
	v_fma_f64 v[9:10], -v[5:6], v[7:8], 1.0
	v_fma_f64 v[7:8], v[7:8], v[9:10], v[7:8]
	v_fma_f64 v[9:10], -v[5:6], v[7:8], 1.0
	v_fma_f64 v[7:8], v[7:8], v[9:10], v[7:8]
	v_mul_f64 v[9:10], v[27:28], v[7:8]
	v_fma_f64 v[5:6], -v[5:6], v[9:10], v[27:28]
	v_div_fmas_f64 v[5:6], v[5:6], v[7:8], v[9:10]
                                        ; implicit-def: $vgpr7_vgpr8
                                        ; implicit-def: $vgpr9_vgpr10
	v_div_fixup_f64 v[3:4], v[5:6], v[3:4], 1.0
	v_mul_f64 v[5:6], v[1:2], v[3:4]
	v_xor_b32_e32 v4, 0x80000000, v4
	v_xor_b32_e32 v2, 0x80000000, v6
	v_mov_b32_e32 v1, v5
.LBB48_15:
	s_andn2_saveexec_b32 s5, s5
	s_cbranch_execz .LBB48_17
; %bb.16:
	v_div_scale_f64 v[1:2], null, v[7:8], v[7:8], v[9:10]
	v_div_scale_f64 v[27:28], vcc_lo, v[9:10], v[7:8], v[9:10]
	v_rcp_f64_e32 v[3:4], v[1:2]
	v_fma_f64 v[5:6], -v[1:2], v[3:4], 1.0
	v_fma_f64 v[3:4], v[3:4], v[5:6], v[3:4]
	v_fma_f64 v[5:6], -v[1:2], v[3:4], 1.0
	v_fma_f64 v[3:4], v[3:4], v[5:6], v[3:4]
	v_mul_f64 v[5:6], v[27:28], v[3:4]
	v_fma_f64 v[1:2], -v[1:2], v[5:6], v[27:28]
	v_div_fmas_f64 v[1:2], v[1:2], v[3:4], v[5:6]
	v_div_fixup_f64 v[1:2], v[1:2], v[7:8], v[9:10]
	v_fma_f64 v[3:4], v[9:10], v[1:2], v[7:8]
	v_div_scale_f64 v[5:6], null, v[3:4], v[3:4], 1.0
	v_rcp_f64_e32 v[7:8], v[5:6]
	v_fma_f64 v[9:10], -v[5:6], v[7:8], 1.0
	v_fma_f64 v[7:8], v[7:8], v[9:10], v[7:8]
	v_fma_f64 v[9:10], -v[5:6], v[7:8], 1.0
	v_fma_f64 v[7:8], v[7:8], v[9:10], v[7:8]
	v_div_scale_f64 v[9:10], vcc_lo, 1.0, v[3:4], 1.0
	v_mul_f64 v[27:28], v[9:10], v[7:8]
	v_fma_f64 v[5:6], -v[5:6], v[27:28], v[9:10]
	v_div_fmas_f64 v[5:6], v[5:6], v[7:8], v[27:28]
	v_div_fixup_f64 v[5:6], v[5:6], v[3:4], 1.0
	v_mul_f64 v[3:4], v[1:2], -v[5:6]
	v_xor_b32_e32 v2, 0x80000000, v6
	v_mov_b32_e32 v1, v5
.LBB48_17:
	s_or_b32 exec_lo, exec_lo, s5
	v_mov_b32_e32 v10, s60
	buffer_store_dword v6, v11, s[0:3], 0 offen offset:4
	buffer_store_dword v5, v11, s[0:3], 0 offen
	buffer_store_dword v4, v11, s[0:3], 0 offen offset:12
	buffer_store_dword v3, v11, s[0:3], 0 offen offset:8
	v_xor_b32_e32 v4, 0x80000000, v4
	v_add_nc_u32_e32 v5, 0x310, v161
	s_clause 0x3
	buffer_load_dword v9, v10, s[0:3], 0 offen offset:12
	buffer_load_dword v8, v10, s[0:3], 0 offen offset:8
	;; [unrolled: 1-line block ×3, first 2 shown]
	buffer_load_dword v6, v10, s[0:3], 0 offen
	ds_write_b128 v161, v[1:4]
	s_waitcnt vmcnt(0)
	ds_write_b128 v161, v[6:9] offset:784
	s_waitcnt lgkmcnt(0)
	s_waitcnt_vscnt null, 0x0
	s_barrier
	buffer_gl0_inv
	s_and_saveexec_b32 s5, s4
	s_cbranch_execz .LBB48_19
; %bb.18:
	s_clause 0x3
	buffer_load_dword v27, v11, s[0:3], 0 offen offset:8
	buffer_load_dword v28, v11, s[0:3], 0 offen offset:12
	buffer_load_dword v29, v11, s[0:3], 0 offen
	buffer_load_dword v30, v11, s[0:3], 0 offen offset:4
	ds_read_b128 v[1:4], v5
	v_mov_b32_e32 v6, 0
	ds_read_b128 v[6:9], v6 offset:16
	s_waitcnt vmcnt(2) lgkmcnt(1)
	v_mul_f64 v[31:32], v[1:2], v[27:28]
	v_mul_f64 v[27:28], v[3:4], v[27:28]
	s_waitcnt vmcnt(0)
	v_fma_f64 v[3:4], v[3:4], v[29:30], v[31:32]
	v_fma_f64 v[1:2], v[1:2], v[29:30], -v[27:28]
	v_add_f64 v[3:4], v[3:4], 0
	v_add_f64 v[1:2], v[1:2], 0
	s_waitcnt lgkmcnt(0)
	v_mul_f64 v[27:28], v[3:4], v[8:9]
	v_mul_f64 v[8:9], v[1:2], v[8:9]
	v_fma_f64 v[1:2], v[1:2], v[6:7], -v[27:28]
	v_fma_f64 v[3:4], v[3:4], v[6:7], v[8:9]
	buffer_store_dword v1, off, s[0:3], 0 offset:32
	buffer_store_dword v2, off, s[0:3], 0 offset:36
	;; [unrolled: 1-line block ×4, first 2 shown]
.LBB48_19:
	s_or_b32 exec_lo, exec_lo, s5
	v_mov_b32_e32 v4, s59
	s_waitcnt_vscnt null, 0x0
	s_barrier
	buffer_gl0_inv
	s_mov_b32 s5, exec_lo
	s_clause 0x3
	buffer_load_dword v1, v4, s[0:3], 0 offen
	buffer_load_dword v2, v4, s[0:3], 0 offen offset:4
	buffer_load_dword v3, v4, s[0:3], 0 offen offset:8
	;; [unrolled: 1-line block ×3, first 2 shown]
	s_waitcnt vmcnt(0)
	ds_write_b128 v5, v[1:4]
	s_waitcnt lgkmcnt(0)
	s_barrier
	buffer_gl0_inv
	v_cmpx_gt_u32_e32 2, v0
	s_cbranch_execz .LBB48_23
; %bb.20:
	s_clause 0x3
	buffer_load_dword v6, v11, s[0:3], 0 offen offset:8
	buffer_load_dword v7, v11, s[0:3], 0 offen offset:12
	buffer_load_dword v8, v11, s[0:3], 0 offen
	buffer_load_dword v9, v11, s[0:3], 0 offen offset:4
	ds_read_b128 v[1:4], v5
	s_waitcnt vmcnt(2) lgkmcnt(0)
	v_mul_f64 v[10:11], v[3:4], v[6:7]
	v_mul_f64 v[6:7], v[1:2], v[6:7]
	s_waitcnt vmcnt(0)
	v_fma_f64 v[1:2], v[1:2], v[8:9], -v[10:11]
	v_fma_f64 v[3:4], v[3:4], v[8:9], v[6:7]
	v_add_f64 v[1:2], v[1:2], 0
	v_add_f64 v[3:4], v[3:4], 0
	s_and_saveexec_b32 s62, s4
	s_cbranch_execz .LBB48_22
; %bb.21:
	s_clause 0x3
	buffer_load_dword v10, off, s[0:3], 0 offset:40
	buffer_load_dword v11, off, s[0:3], 0 offset:44
	;; [unrolled: 1-line block ×4, first 2 shown]
	v_mov_b32_e32 v6, 0
	ds_read_b128 v[6:9], v6 offset:800
	s_waitcnt vmcnt(2) lgkmcnt(0)
	v_mul_f64 v[29:30], v[6:7], v[10:11]
	v_mul_f64 v[10:11], v[8:9], v[10:11]
	s_waitcnt vmcnt(0)
	v_fma_f64 v[8:9], v[8:9], v[27:28], v[29:30]
	v_fma_f64 v[6:7], v[6:7], v[27:28], -v[10:11]
	v_add_f64 v[3:4], v[3:4], v[8:9]
	v_add_f64 v[1:2], v[1:2], v[6:7]
.LBB48_22:
	s_or_b32 exec_lo, exec_lo, s62
	v_mov_b32_e32 v6, 0
	ds_read_b128 v[6:9], v6 offset:32
	s_waitcnt lgkmcnt(0)
	v_mul_f64 v[10:11], v[3:4], v[8:9]
	v_mul_f64 v[8:9], v[1:2], v[8:9]
	v_fma_f64 v[1:2], v[1:2], v[6:7], -v[10:11]
	v_fma_f64 v[3:4], v[3:4], v[6:7], v[8:9]
	buffer_store_dword v2, off, s[0:3], 0 offset:52
	buffer_store_dword v1, off, s[0:3], 0 offset:48
	;; [unrolled: 1-line block ×4, first 2 shown]
.LBB48_23:
	s_or_b32 exec_lo, exec_lo, s5
	v_mov_b32_e32 v4, s58
	s_waitcnt_vscnt null, 0x0
	s_barrier
	buffer_gl0_inv
	v_add_nc_u32_e32 v6, -1, v0
	s_clause 0x3
	buffer_load_dword v1, v4, s[0:3], 0 offen
	buffer_load_dword v2, v4, s[0:3], 0 offen offset:4
	buffer_load_dword v3, v4, s[0:3], 0 offen offset:8
	buffer_load_dword v4, v4, s[0:3], 0 offen offset:12
	s_mov_b32 s4, exec_lo
	s_waitcnt vmcnt(0)
	ds_write_b128 v5, v[1:4]
	s_waitcnt lgkmcnt(0)
	s_barrier
	buffer_gl0_inv
	v_cmpx_gt_u32_e32 3, v0
	s_cbranch_execz .LBB48_27
; %bb.24:
	v_mov_b32_e32 v1, 0
	v_mov_b32_e32 v3, 0
	v_add_nc_u32_e32 v7, -1, v0
	v_add_nc_u32_e32 v8, 0x310, v161
	v_mov_b32_e32 v2, 0
	v_mov_b32_e32 v4, 0
	v_add_nc_u32_e32 v9, 16, v161
	s_mov_b32 s5, 0
	.p2align	6
.LBB48_25:                              ; =>This Inner Loop Header: Depth=1
	s_clause 0x3
	buffer_load_dword v10, v9, s[0:3], 0 offen offset:8
	buffer_load_dword v11, v9, s[0:3], 0 offen offset:12
	buffer_load_dword v31, v9, s[0:3], 0 offen
	buffer_load_dword v32, v9, s[0:3], 0 offen offset:4
	ds_read_b128 v[27:30], v8
	v_add_nc_u32_e32 v7, 1, v7
	v_add_nc_u32_e32 v8, 16, v8
	;; [unrolled: 1-line block ×3, first 2 shown]
	v_cmp_lt_u32_e32 vcc_lo, 1, v7
	s_or_b32 s5, vcc_lo, s5
	s_waitcnt vmcnt(2) lgkmcnt(0)
	v_mul_f64 v[37:38], v[29:30], v[10:11]
	v_mul_f64 v[10:11], v[27:28], v[10:11]
	s_waitcnt vmcnt(0)
	v_fma_f64 v[27:28], v[27:28], v[31:32], -v[37:38]
	v_fma_f64 v[10:11], v[29:30], v[31:32], v[10:11]
	v_add_f64 v[3:4], v[3:4], v[27:28]
	v_add_f64 v[1:2], v[1:2], v[10:11]
	s_andn2_b32 exec_lo, exec_lo, s5
	s_cbranch_execnz .LBB48_25
; %bb.26:
	s_or_b32 exec_lo, exec_lo, s5
	v_mov_b32_e32 v7, 0
	ds_read_b128 v[7:10], v7 offset:48
	s_waitcnt lgkmcnt(0)
	v_mul_f64 v[27:28], v[1:2], v[9:10]
	v_mul_f64 v[9:10], v[3:4], v[9:10]
	v_fma_f64 v[3:4], v[3:4], v[7:8], -v[27:28]
	v_fma_f64 v[1:2], v[1:2], v[7:8], v[9:10]
	buffer_store_dword v4, off, s[0:3], 0 offset:68
	buffer_store_dword v3, off, s[0:3], 0 offset:64
	;; [unrolled: 1-line block ×4, first 2 shown]
.LBB48_27:
	s_or_b32 exec_lo, exec_lo, s4
	v_mov_b32_e32 v4, s57
	s_waitcnt_vscnt null, 0x0
	s_barrier
	buffer_gl0_inv
	s_mov_b32 s4, exec_lo
	s_clause 0x3
	buffer_load_dword v1, v4, s[0:3], 0 offen
	buffer_load_dword v2, v4, s[0:3], 0 offen offset:4
	buffer_load_dword v3, v4, s[0:3], 0 offen offset:8
	;; [unrolled: 1-line block ×3, first 2 shown]
	s_waitcnt vmcnt(0)
	ds_write_b128 v5, v[1:4]
	s_waitcnt lgkmcnt(0)
	s_barrier
	buffer_gl0_inv
	v_cmpx_gt_u32_e32 4, v0
	s_cbranch_execz .LBB48_31
; %bb.28:
	v_mov_b32_e32 v1, 0
	v_mov_b32_e32 v3, 0
	v_add_nc_u32_e32 v7, -1, v0
	v_add_nc_u32_e32 v8, 0x310, v161
	v_mov_b32_e32 v2, 0
	v_mov_b32_e32 v4, 0
	v_add_nc_u32_e32 v9, 16, v161
	s_mov_b32 s5, 0
	.p2align	6
.LBB48_29:                              ; =>This Inner Loop Header: Depth=1
	s_clause 0x3
	buffer_load_dword v10, v9, s[0:3], 0 offen offset:8
	buffer_load_dword v11, v9, s[0:3], 0 offen offset:12
	buffer_load_dword v31, v9, s[0:3], 0 offen
	buffer_load_dword v32, v9, s[0:3], 0 offen offset:4
	ds_read_b128 v[27:30], v8
	v_add_nc_u32_e32 v7, 1, v7
	v_add_nc_u32_e32 v8, 16, v8
	v_add_nc_u32_e32 v9, 16, v9
	v_cmp_lt_u32_e32 vcc_lo, 2, v7
	s_or_b32 s5, vcc_lo, s5
	s_waitcnt vmcnt(2) lgkmcnt(0)
	v_mul_f64 v[37:38], v[29:30], v[10:11]
	v_mul_f64 v[10:11], v[27:28], v[10:11]
	s_waitcnt vmcnt(0)
	v_fma_f64 v[27:28], v[27:28], v[31:32], -v[37:38]
	v_fma_f64 v[10:11], v[29:30], v[31:32], v[10:11]
	v_add_f64 v[3:4], v[3:4], v[27:28]
	v_add_f64 v[1:2], v[1:2], v[10:11]
	s_andn2_b32 exec_lo, exec_lo, s5
	s_cbranch_execnz .LBB48_29
; %bb.30:
	s_or_b32 exec_lo, exec_lo, s5
	v_mov_b32_e32 v7, 0
	ds_read_b128 v[7:10], v7 offset:64
	s_waitcnt lgkmcnt(0)
	v_mul_f64 v[27:28], v[1:2], v[9:10]
	v_mul_f64 v[9:10], v[3:4], v[9:10]
	v_fma_f64 v[3:4], v[3:4], v[7:8], -v[27:28]
	v_fma_f64 v[1:2], v[1:2], v[7:8], v[9:10]
	buffer_store_dword v4, off, s[0:3], 0 offset:84
	buffer_store_dword v3, off, s[0:3], 0 offset:80
	buffer_store_dword v2, off, s[0:3], 0 offset:92
	buffer_store_dword v1, off, s[0:3], 0 offset:88
.LBB48_31:
	s_or_b32 exec_lo, exec_lo, s4
	v_mov_b32_e32 v4, s56
	s_waitcnt_vscnt null, 0x0
	s_barrier
	buffer_gl0_inv
	s_mov_b32 s4, exec_lo
	s_clause 0x3
	buffer_load_dword v1, v4, s[0:3], 0 offen
	buffer_load_dword v2, v4, s[0:3], 0 offen offset:4
	buffer_load_dword v3, v4, s[0:3], 0 offen offset:8
	;; [unrolled: 1-line block ×3, first 2 shown]
	s_waitcnt vmcnt(0)
	ds_write_b128 v5, v[1:4]
	s_waitcnt lgkmcnt(0)
	s_barrier
	buffer_gl0_inv
	v_cmpx_gt_u32_e32 5, v0
	s_cbranch_execz .LBB48_35
; %bb.32:
	v_mov_b32_e32 v1, 0
	v_mov_b32_e32 v3, 0
	v_add_nc_u32_e32 v7, -1, v0
	v_add_nc_u32_e32 v8, 0x310, v161
	v_mov_b32_e32 v2, 0
	v_mov_b32_e32 v4, 0
	v_add_nc_u32_e32 v9, 16, v161
	s_mov_b32 s5, 0
	.p2align	6
.LBB48_33:                              ; =>This Inner Loop Header: Depth=1
	s_clause 0x3
	buffer_load_dword v10, v9, s[0:3], 0 offen offset:8
	buffer_load_dword v11, v9, s[0:3], 0 offen offset:12
	buffer_load_dword v31, v9, s[0:3], 0 offen
	buffer_load_dword v32, v9, s[0:3], 0 offen offset:4
	ds_read_b128 v[27:30], v8
	v_add_nc_u32_e32 v7, 1, v7
	v_add_nc_u32_e32 v8, 16, v8
	;; [unrolled: 1-line block ×3, first 2 shown]
	v_cmp_lt_u32_e32 vcc_lo, 3, v7
	s_or_b32 s5, vcc_lo, s5
	s_waitcnt vmcnt(2) lgkmcnt(0)
	v_mul_f64 v[37:38], v[29:30], v[10:11]
	v_mul_f64 v[10:11], v[27:28], v[10:11]
	s_waitcnt vmcnt(0)
	v_fma_f64 v[27:28], v[27:28], v[31:32], -v[37:38]
	v_fma_f64 v[10:11], v[29:30], v[31:32], v[10:11]
	v_add_f64 v[3:4], v[3:4], v[27:28]
	v_add_f64 v[1:2], v[1:2], v[10:11]
	s_andn2_b32 exec_lo, exec_lo, s5
	s_cbranch_execnz .LBB48_33
; %bb.34:
	s_or_b32 exec_lo, exec_lo, s5
	v_mov_b32_e32 v7, 0
	ds_read_b128 v[7:10], v7 offset:80
	s_waitcnt lgkmcnt(0)
	v_mul_f64 v[27:28], v[1:2], v[9:10]
	v_mul_f64 v[9:10], v[3:4], v[9:10]
	v_fma_f64 v[3:4], v[3:4], v[7:8], -v[27:28]
	v_fma_f64 v[1:2], v[1:2], v[7:8], v[9:10]
	buffer_store_dword v4, off, s[0:3], 0 offset:100
	buffer_store_dword v3, off, s[0:3], 0 offset:96
	;; [unrolled: 1-line block ×4, first 2 shown]
.LBB48_35:
	s_or_b32 exec_lo, exec_lo, s4
	v_mov_b32_e32 v4, s55
	s_waitcnt_vscnt null, 0x0
	s_barrier
	buffer_gl0_inv
	s_mov_b32 s4, exec_lo
	s_clause 0x3
	buffer_load_dword v1, v4, s[0:3], 0 offen
	buffer_load_dword v2, v4, s[0:3], 0 offen offset:4
	buffer_load_dword v3, v4, s[0:3], 0 offen offset:8
	buffer_load_dword v4, v4, s[0:3], 0 offen offset:12
	s_waitcnt vmcnt(0)
	ds_write_b128 v5, v[1:4]
	s_waitcnt lgkmcnt(0)
	s_barrier
	buffer_gl0_inv
	v_cmpx_gt_u32_e32 6, v0
	s_cbranch_execz .LBB48_39
; %bb.36:
	v_mov_b32_e32 v1, 0
	v_mov_b32_e32 v3, 0
	v_add_nc_u32_e32 v7, -1, v0
	v_add_nc_u32_e32 v8, 0x310, v161
	v_mov_b32_e32 v2, 0
	v_mov_b32_e32 v4, 0
	v_add_nc_u32_e32 v9, 16, v161
	s_mov_b32 s5, 0
	.p2align	6
.LBB48_37:                              ; =>This Inner Loop Header: Depth=1
	s_clause 0x3
	buffer_load_dword v10, v9, s[0:3], 0 offen offset:8
	buffer_load_dword v11, v9, s[0:3], 0 offen offset:12
	buffer_load_dword v31, v9, s[0:3], 0 offen
	buffer_load_dword v32, v9, s[0:3], 0 offen offset:4
	ds_read_b128 v[27:30], v8
	v_add_nc_u32_e32 v7, 1, v7
	v_add_nc_u32_e32 v8, 16, v8
	;; [unrolled: 1-line block ×3, first 2 shown]
	v_cmp_lt_u32_e32 vcc_lo, 4, v7
	s_or_b32 s5, vcc_lo, s5
	s_waitcnt vmcnt(2) lgkmcnt(0)
	v_mul_f64 v[37:38], v[29:30], v[10:11]
	v_mul_f64 v[10:11], v[27:28], v[10:11]
	s_waitcnt vmcnt(0)
	v_fma_f64 v[27:28], v[27:28], v[31:32], -v[37:38]
	v_fma_f64 v[10:11], v[29:30], v[31:32], v[10:11]
	v_add_f64 v[3:4], v[3:4], v[27:28]
	v_add_f64 v[1:2], v[1:2], v[10:11]
	s_andn2_b32 exec_lo, exec_lo, s5
	s_cbranch_execnz .LBB48_37
; %bb.38:
	s_or_b32 exec_lo, exec_lo, s5
	v_mov_b32_e32 v7, 0
	ds_read_b128 v[7:10], v7 offset:96
	s_waitcnt lgkmcnt(0)
	v_mul_f64 v[27:28], v[1:2], v[9:10]
	v_mul_f64 v[9:10], v[3:4], v[9:10]
	v_fma_f64 v[3:4], v[3:4], v[7:8], -v[27:28]
	v_fma_f64 v[1:2], v[1:2], v[7:8], v[9:10]
	buffer_store_dword v4, off, s[0:3], 0 offset:116
	buffer_store_dword v3, off, s[0:3], 0 offset:112
	;; [unrolled: 1-line block ×4, first 2 shown]
.LBB48_39:
	s_or_b32 exec_lo, exec_lo, s4
	v_mov_b32_e32 v4, s54
	s_waitcnt_vscnt null, 0x0
	s_barrier
	buffer_gl0_inv
	s_mov_b32 s4, exec_lo
	s_clause 0x3
	buffer_load_dword v1, v4, s[0:3], 0 offen
	buffer_load_dword v2, v4, s[0:3], 0 offen offset:4
	buffer_load_dword v3, v4, s[0:3], 0 offen offset:8
	;; [unrolled: 1-line block ×3, first 2 shown]
	s_waitcnt vmcnt(0)
	ds_write_b128 v5, v[1:4]
	s_waitcnt lgkmcnt(0)
	s_barrier
	buffer_gl0_inv
	v_cmpx_gt_u32_e32 7, v0
	s_cbranch_execz .LBB48_43
; %bb.40:
	v_mov_b32_e32 v1, 0
	v_mov_b32_e32 v3, 0
	v_add_nc_u32_e32 v7, -1, v0
	v_add_nc_u32_e32 v8, 0x310, v161
	v_mov_b32_e32 v2, 0
	v_mov_b32_e32 v4, 0
	v_add_nc_u32_e32 v9, 16, v161
	s_mov_b32 s5, 0
	.p2align	6
.LBB48_41:                              ; =>This Inner Loop Header: Depth=1
	s_clause 0x3
	buffer_load_dword v10, v9, s[0:3], 0 offen offset:8
	buffer_load_dword v11, v9, s[0:3], 0 offen offset:12
	buffer_load_dword v31, v9, s[0:3], 0 offen
	buffer_load_dword v32, v9, s[0:3], 0 offen offset:4
	ds_read_b128 v[27:30], v8
	v_add_nc_u32_e32 v7, 1, v7
	v_add_nc_u32_e32 v8, 16, v8
	;; [unrolled: 1-line block ×3, first 2 shown]
	v_cmp_lt_u32_e32 vcc_lo, 5, v7
	s_or_b32 s5, vcc_lo, s5
	s_waitcnt vmcnt(2) lgkmcnt(0)
	v_mul_f64 v[37:38], v[29:30], v[10:11]
	v_mul_f64 v[10:11], v[27:28], v[10:11]
	s_waitcnt vmcnt(0)
	v_fma_f64 v[27:28], v[27:28], v[31:32], -v[37:38]
	v_fma_f64 v[10:11], v[29:30], v[31:32], v[10:11]
	v_add_f64 v[3:4], v[3:4], v[27:28]
	v_add_f64 v[1:2], v[1:2], v[10:11]
	s_andn2_b32 exec_lo, exec_lo, s5
	s_cbranch_execnz .LBB48_41
; %bb.42:
	s_or_b32 exec_lo, exec_lo, s5
	v_mov_b32_e32 v7, 0
	ds_read_b128 v[7:10], v7 offset:112
	s_waitcnt lgkmcnt(0)
	v_mul_f64 v[27:28], v[1:2], v[9:10]
	v_mul_f64 v[9:10], v[3:4], v[9:10]
	v_fma_f64 v[3:4], v[3:4], v[7:8], -v[27:28]
	v_fma_f64 v[1:2], v[1:2], v[7:8], v[9:10]
	buffer_store_dword v4, off, s[0:3], 0 offset:132
	buffer_store_dword v3, off, s[0:3], 0 offset:128
	;; [unrolled: 1-line block ×4, first 2 shown]
.LBB48_43:
	s_or_b32 exec_lo, exec_lo, s4
	v_mov_b32_e32 v4, s53
	s_waitcnt_vscnt null, 0x0
	s_barrier
	buffer_gl0_inv
	s_mov_b32 s4, exec_lo
	s_clause 0x3
	buffer_load_dword v1, v4, s[0:3], 0 offen
	buffer_load_dword v2, v4, s[0:3], 0 offen offset:4
	buffer_load_dword v3, v4, s[0:3], 0 offen offset:8
	;; [unrolled: 1-line block ×3, first 2 shown]
	s_waitcnt vmcnt(0)
	ds_write_b128 v5, v[1:4]
	s_waitcnt lgkmcnt(0)
	s_barrier
	buffer_gl0_inv
	v_cmpx_gt_u32_e32 8, v0
	s_cbranch_execz .LBB48_47
; %bb.44:
	v_mov_b32_e32 v1, 0
	v_mov_b32_e32 v3, 0
	v_add_nc_u32_e32 v7, -1, v0
	v_add_nc_u32_e32 v8, 0x310, v161
	v_mov_b32_e32 v2, 0
	v_mov_b32_e32 v4, 0
	v_add_nc_u32_e32 v9, 16, v161
	s_mov_b32 s5, 0
	.p2align	6
.LBB48_45:                              ; =>This Inner Loop Header: Depth=1
	s_clause 0x3
	buffer_load_dword v10, v9, s[0:3], 0 offen offset:8
	buffer_load_dword v11, v9, s[0:3], 0 offen offset:12
	buffer_load_dword v31, v9, s[0:3], 0 offen
	buffer_load_dword v32, v9, s[0:3], 0 offen offset:4
	ds_read_b128 v[27:30], v8
	v_add_nc_u32_e32 v7, 1, v7
	v_add_nc_u32_e32 v8, 16, v8
	;; [unrolled: 1-line block ×3, first 2 shown]
	v_cmp_lt_u32_e32 vcc_lo, 6, v7
	s_or_b32 s5, vcc_lo, s5
	s_waitcnt vmcnt(2) lgkmcnt(0)
	v_mul_f64 v[37:38], v[29:30], v[10:11]
	v_mul_f64 v[10:11], v[27:28], v[10:11]
	s_waitcnt vmcnt(0)
	v_fma_f64 v[27:28], v[27:28], v[31:32], -v[37:38]
	v_fma_f64 v[10:11], v[29:30], v[31:32], v[10:11]
	v_add_f64 v[3:4], v[3:4], v[27:28]
	v_add_f64 v[1:2], v[1:2], v[10:11]
	s_andn2_b32 exec_lo, exec_lo, s5
	s_cbranch_execnz .LBB48_45
; %bb.46:
	s_or_b32 exec_lo, exec_lo, s5
	v_mov_b32_e32 v7, 0
	ds_read_b128 v[7:10], v7 offset:128
	s_waitcnt lgkmcnt(0)
	v_mul_f64 v[27:28], v[1:2], v[9:10]
	v_mul_f64 v[9:10], v[3:4], v[9:10]
	v_fma_f64 v[3:4], v[3:4], v[7:8], -v[27:28]
	v_fma_f64 v[1:2], v[1:2], v[7:8], v[9:10]
	buffer_store_dword v4, off, s[0:3], 0 offset:148
	buffer_store_dword v3, off, s[0:3], 0 offset:144
	;; [unrolled: 1-line block ×4, first 2 shown]
.LBB48_47:
	s_or_b32 exec_lo, exec_lo, s4
	v_mov_b32_e32 v4, s52
	s_waitcnt_vscnt null, 0x0
	s_barrier
	buffer_gl0_inv
	s_mov_b32 s4, exec_lo
	s_clause 0x3
	buffer_load_dword v1, v4, s[0:3], 0 offen
	buffer_load_dword v2, v4, s[0:3], 0 offen offset:4
	buffer_load_dword v3, v4, s[0:3], 0 offen offset:8
	;; [unrolled: 1-line block ×3, first 2 shown]
	s_waitcnt vmcnt(0)
	ds_write_b128 v5, v[1:4]
	s_waitcnt lgkmcnt(0)
	s_barrier
	buffer_gl0_inv
	v_cmpx_gt_u32_e32 9, v0
	s_cbranch_execz .LBB48_51
; %bb.48:
	v_mov_b32_e32 v1, 0
	v_mov_b32_e32 v3, 0
	v_add_nc_u32_e32 v7, -1, v0
	v_add_nc_u32_e32 v8, 0x310, v161
	v_mov_b32_e32 v2, 0
	v_mov_b32_e32 v4, 0
	v_add_nc_u32_e32 v9, 16, v161
	s_mov_b32 s5, 0
	.p2align	6
.LBB48_49:                              ; =>This Inner Loop Header: Depth=1
	s_clause 0x3
	buffer_load_dword v10, v9, s[0:3], 0 offen offset:8
	buffer_load_dword v11, v9, s[0:3], 0 offen offset:12
	buffer_load_dword v31, v9, s[0:3], 0 offen
	buffer_load_dword v32, v9, s[0:3], 0 offen offset:4
	ds_read_b128 v[27:30], v8
	v_add_nc_u32_e32 v7, 1, v7
	v_add_nc_u32_e32 v8, 16, v8
	;; [unrolled: 1-line block ×3, first 2 shown]
	v_cmp_lt_u32_e32 vcc_lo, 7, v7
	s_or_b32 s5, vcc_lo, s5
	s_waitcnt vmcnt(2) lgkmcnt(0)
	v_mul_f64 v[37:38], v[29:30], v[10:11]
	v_mul_f64 v[10:11], v[27:28], v[10:11]
	s_waitcnt vmcnt(0)
	v_fma_f64 v[27:28], v[27:28], v[31:32], -v[37:38]
	v_fma_f64 v[10:11], v[29:30], v[31:32], v[10:11]
	v_add_f64 v[3:4], v[3:4], v[27:28]
	v_add_f64 v[1:2], v[1:2], v[10:11]
	s_andn2_b32 exec_lo, exec_lo, s5
	s_cbranch_execnz .LBB48_49
; %bb.50:
	s_or_b32 exec_lo, exec_lo, s5
	v_mov_b32_e32 v7, 0
	ds_read_b128 v[7:10], v7 offset:144
	s_waitcnt lgkmcnt(0)
	v_mul_f64 v[27:28], v[1:2], v[9:10]
	v_mul_f64 v[9:10], v[3:4], v[9:10]
	v_fma_f64 v[3:4], v[3:4], v[7:8], -v[27:28]
	v_fma_f64 v[1:2], v[1:2], v[7:8], v[9:10]
	buffer_store_dword v4, off, s[0:3], 0 offset:164
	buffer_store_dword v3, off, s[0:3], 0 offset:160
	;; [unrolled: 1-line block ×4, first 2 shown]
.LBB48_51:
	s_or_b32 exec_lo, exec_lo, s4
	v_mov_b32_e32 v4, s51
	s_waitcnt_vscnt null, 0x0
	s_barrier
	buffer_gl0_inv
	s_mov_b32 s4, exec_lo
	s_clause 0x3
	buffer_load_dword v1, v4, s[0:3], 0 offen
	buffer_load_dword v2, v4, s[0:3], 0 offen offset:4
	buffer_load_dword v3, v4, s[0:3], 0 offen offset:8
	;; [unrolled: 1-line block ×3, first 2 shown]
	s_waitcnt vmcnt(0)
	ds_write_b128 v5, v[1:4]
	s_waitcnt lgkmcnt(0)
	s_barrier
	buffer_gl0_inv
	v_cmpx_gt_u32_e32 10, v0
	s_cbranch_execz .LBB48_55
; %bb.52:
	v_mov_b32_e32 v1, 0
	v_mov_b32_e32 v3, 0
	v_add_nc_u32_e32 v7, -1, v0
	v_add_nc_u32_e32 v8, 0x310, v161
	v_mov_b32_e32 v2, 0
	v_mov_b32_e32 v4, 0
	v_add_nc_u32_e32 v9, 16, v161
	s_mov_b32 s5, 0
	.p2align	6
.LBB48_53:                              ; =>This Inner Loop Header: Depth=1
	s_clause 0x3
	buffer_load_dword v10, v9, s[0:3], 0 offen offset:8
	buffer_load_dword v11, v9, s[0:3], 0 offen offset:12
	buffer_load_dword v31, v9, s[0:3], 0 offen
	buffer_load_dword v32, v9, s[0:3], 0 offen offset:4
	ds_read_b128 v[27:30], v8
	v_add_nc_u32_e32 v7, 1, v7
	v_add_nc_u32_e32 v8, 16, v8
	;; [unrolled: 1-line block ×3, first 2 shown]
	v_cmp_lt_u32_e32 vcc_lo, 8, v7
	s_or_b32 s5, vcc_lo, s5
	s_waitcnt vmcnt(2) lgkmcnt(0)
	v_mul_f64 v[37:38], v[29:30], v[10:11]
	v_mul_f64 v[10:11], v[27:28], v[10:11]
	s_waitcnt vmcnt(0)
	v_fma_f64 v[27:28], v[27:28], v[31:32], -v[37:38]
	v_fma_f64 v[10:11], v[29:30], v[31:32], v[10:11]
	v_add_f64 v[3:4], v[3:4], v[27:28]
	v_add_f64 v[1:2], v[1:2], v[10:11]
	s_andn2_b32 exec_lo, exec_lo, s5
	s_cbranch_execnz .LBB48_53
; %bb.54:
	s_or_b32 exec_lo, exec_lo, s5
	v_mov_b32_e32 v7, 0
	ds_read_b128 v[7:10], v7 offset:160
	s_waitcnt lgkmcnt(0)
	v_mul_f64 v[27:28], v[1:2], v[9:10]
	v_mul_f64 v[9:10], v[3:4], v[9:10]
	v_fma_f64 v[3:4], v[3:4], v[7:8], -v[27:28]
	v_fma_f64 v[1:2], v[1:2], v[7:8], v[9:10]
	buffer_store_dword v4, off, s[0:3], 0 offset:180
	buffer_store_dword v3, off, s[0:3], 0 offset:176
	;; [unrolled: 1-line block ×4, first 2 shown]
.LBB48_55:
	s_or_b32 exec_lo, exec_lo, s4
	v_mov_b32_e32 v4, s50
	s_waitcnt_vscnt null, 0x0
	s_barrier
	buffer_gl0_inv
	s_mov_b32 s4, exec_lo
	s_clause 0x3
	buffer_load_dword v1, v4, s[0:3], 0 offen
	buffer_load_dword v2, v4, s[0:3], 0 offen offset:4
	buffer_load_dword v3, v4, s[0:3], 0 offen offset:8
	;; [unrolled: 1-line block ×3, first 2 shown]
	s_waitcnt vmcnt(0)
	ds_write_b128 v5, v[1:4]
	s_waitcnt lgkmcnt(0)
	s_barrier
	buffer_gl0_inv
	v_cmpx_gt_u32_e32 11, v0
	s_cbranch_execz .LBB48_59
; %bb.56:
	v_mov_b32_e32 v1, 0
	v_mov_b32_e32 v3, 0
	v_add_nc_u32_e32 v7, -1, v0
	v_add_nc_u32_e32 v8, 0x310, v161
	v_mov_b32_e32 v2, 0
	v_mov_b32_e32 v4, 0
	v_add_nc_u32_e32 v9, 16, v161
	s_mov_b32 s5, 0
	.p2align	6
.LBB48_57:                              ; =>This Inner Loop Header: Depth=1
	s_clause 0x3
	buffer_load_dword v10, v9, s[0:3], 0 offen offset:8
	buffer_load_dword v11, v9, s[0:3], 0 offen offset:12
	buffer_load_dword v31, v9, s[0:3], 0 offen
	buffer_load_dword v32, v9, s[0:3], 0 offen offset:4
	ds_read_b128 v[27:30], v8
	v_add_nc_u32_e32 v7, 1, v7
	v_add_nc_u32_e32 v8, 16, v8
	;; [unrolled: 1-line block ×3, first 2 shown]
	v_cmp_lt_u32_e32 vcc_lo, 9, v7
	s_or_b32 s5, vcc_lo, s5
	s_waitcnt vmcnt(2) lgkmcnt(0)
	v_mul_f64 v[37:38], v[29:30], v[10:11]
	v_mul_f64 v[10:11], v[27:28], v[10:11]
	s_waitcnt vmcnt(0)
	v_fma_f64 v[27:28], v[27:28], v[31:32], -v[37:38]
	v_fma_f64 v[10:11], v[29:30], v[31:32], v[10:11]
	v_add_f64 v[3:4], v[3:4], v[27:28]
	v_add_f64 v[1:2], v[1:2], v[10:11]
	s_andn2_b32 exec_lo, exec_lo, s5
	s_cbranch_execnz .LBB48_57
; %bb.58:
	s_or_b32 exec_lo, exec_lo, s5
	v_mov_b32_e32 v7, 0
	ds_read_b128 v[7:10], v7 offset:176
	s_waitcnt lgkmcnt(0)
	v_mul_f64 v[27:28], v[1:2], v[9:10]
	v_mul_f64 v[9:10], v[3:4], v[9:10]
	v_fma_f64 v[3:4], v[3:4], v[7:8], -v[27:28]
	v_fma_f64 v[1:2], v[1:2], v[7:8], v[9:10]
	buffer_store_dword v4, off, s[0:3], 0 offset:196
	buffer_store_dword v3, off, s[0:3], 0 offset:192
	;; [unrolled: 1-line block ×4, first 2 shown]
.LBB48_59:
	s_or_b32 exec_lo, exec_lo, s4
	v_mov_b32_e32 v4, s49
	s_waitcnt_vscnt null, 0x0
	s_barrier
	buffer_gl0_inv
	s_mov_b32 s4, exec_lo
	s_clause 0x3
	buffer_load_dword v1, v4, s[0:3], 0 offen
	buffer_load_dword v2, v4, s[0:3], 0 offen offset:4
	buffer_load_dword v3, v4, s[0:3], 0 offen offset:8
	;; [unrolled: 1-line block ×3, first 2 shown]
	s_waitcnt vmcnt(0)
	ds_write_b128 v5, v[1:4]
	s_waitcnt lgkmcnt(0)
	s_barrier
	buffer_gl0_inv
	v_cmpx_gt_u32_e32 12, v0
	s_cbranch_execz .LBB48_63
; %bb.60:
	v_mov_b32_e32 v1, 0
	v_mov_b32_e32 v3, 0
	v_add_nc_u32_e32 v7, -1, v0
	v_add_nc_u32_e32 v8, 0x310, v161
	v_mov_b32_e32 v2, 0
	v_mov_b32_e32 v4, 0
	v_add_nc_u32_e32 v9, 16, v161
	s_mov_b32 s5, 0
	.p2align	6
.LBB48_61:                              ; =>This Inner Loop Header: Depth=1
	s_clause 0x3
	buffer_load_dword v10, v9, s[0:3], 0 offen offset:8
	buffer_load_dword v11, v9, s[0:3], 0 offen offset:12
	buffer_load_dword v31, v9, s[0:3], 0 offen
	buffer_load_dword v32, v9, s[0:3], 0 offen offset:4
	ds_read_b128 v[27:30], v8
	v_add_nc_u32_e32 v7, 1, v7
	v_add_nc_u32_e32 v8, 16, v8
	;; [unrolled: 1-line block ×3, first 2 shown]
	v_cmp_lt_u32_e32 vcc_lo, 10, v7
	s_or_b32 s5, vcc_lo, s5
	s_waitcnt vmcnt(2) lgkmcnt(0)
	v_mul_f64 v[37:38], v[29:30], v[10:11]
	v_mul_f64 v[10:11], v[27:28], v[10:11]
	s_waitcnt vmcnt(0)
	v_fma_f64 v[27:28], v[27:28], v[31:32], -v[37:38]
	v_fma_f64 v[10:11], v[29:30], v[31:32], v[10:11]
	v_add_f64 v[3:4], v[3:4], v[27:28]
	v_add_f64 v[1:2], v[1:2], v[10:11]
	s_andn2_b32 exec_lo, exec_lo, s5
	s_cbranch_execnz .LBB48_61
; %bb.62:
	s_or_b32 exec_lo, exec_lo, s5
	v_mov_b32_e32 v7, 0
	ds_read_b128 v[7:10], v7 offset:192
	s_waitcnt lgkmcnt(0)
	v_mul_f64 v[27:28], v[1:2], v[9:10]
	v_mul_f64 v[9:10], v[3:4], v[9:10]
	v_fma_f64 v[3:4], v[3:4], v[7:8], -v[27:28]
	v_fma_f64 v[1:2], v[1:2], v[7:8], v[9:10]
	buffer_store_dword v4, off, s[0:3], 0 offset:212
	buffer_store_dword v3, off, s[0:3], 0 offset:208
	;; [unrolled: 1-line block ×4, first 2 shown]
.LBB48_63:
	s_or_b32 exec_lo, exec_lo, s4
	v_mov_b32_e32 v4, s48
	s_waitcnt_vscnt null, 0x0
	s_barrier
	buffer_gl0_inv
	s_mov_b32 s4, exec_lo
	s_clause 0x3
	buffer_load_dword v1, v4, s[0:3], 0 offen
	buffer_load_dword v2, v4, s[0:3], 0 offen offset:4
	buffer_load_dword v3, v4, s[0:3], 0 offen offset:8
	;; [unrolled: 1-line block ×3, first 2 shown]
	s_waitcnt vmcnt(0)
	ds_write_b128 v5, v[1:4]
	s_waitcnt lgkmcnt(0)
	s_barrier
	buffer_gl0_inv
	v_cmpx_gt_u32_e32 13, v0
	s_cbranch_execz .LBB48_67
; %bb.64:
	v_mov_b32_e32 v1, 0
	v_mov_b32_e32 v3, 0
	v_add_nc_u32_e32 v7, -1, v0
	v_add_nc_u32_e32 v8, 0x310, v161
	v_mov_b32_e32 v2, 0
	v_mov_b32_e32 v4, 0
	v_add_nc_u32_e32 v9, 16, v161
	s_mov_b32 s5, 0
	.p2align	6
.LBB48_65:                              ; =>This Inner Loop Header: Depth=1
	s_clause 0x3
	buffer_load_dword v10, v9, s[0:3], 0 offen offset:8
	buffer_load_dword v11, v9, s[0:3], 0 offen offset:12
	buffer_load_dword v31, v9, s[0:3], 0 offen
	buffer_load_dword v32, v9, s[0:3], 0 offen offset:4
	ds_read_b128 v[27:30], v8
	v_add_nc_u32_e32 v7, 1, v7
	v_add_nc_u32_e32 v8, 16, v8
	;; [unrolled: 1-line block ×3, first 2 shown]
	v_cmp_lt_u32_e32 vcc_lo, 11, v7
	s_or_b32 s5, vcc_lo, s5
	s_waitcnt vmcnt(2) lgkmcnt(0)
	v_mul_f64 v[37:38], v[29:30], v[10:11]
	v_mul_f64 v[10:11], v[27:28], v[10:11]
	s_waitcnt vmcnt(0)
	v_fma_f64 v[27:28], v[27:28], v[31:32], -v[37:38]
	v_fma_f64 v[10:11], v[29:30], v[31:32], v[10:11]
	v_add_f64 v[3:4], v[3:4], v[27:28]
	v_add_f64 v[1:2], v[1:2], v[10:11]
	s_andn2_b32 exec_lo, exec_lo, s5
	s_cbranch_execnz .LBB48_65
; %bb.66:
	s_or_b32 exec_lo, exec_lo, s5
	v_mov_b32_e32 v7, 0
	ds_read_b128 v[7:10], v7 offset:208
	s_waitcnt lgkmcnt(0)
	v_mul_f64 v[27:28], v[1:2], v[9:10]
	v_mul_f64 v[9:10], v[3:4], v[9:10]
	v_fma_f64 v[3:4], v[3:4], v[7:8], -v[27:28]
	v_fma_f64 v[1:2], v[1:2], v[7:8], v[9:10]
	buffer_store_dword v4, off, s[0:3], 0 offset:228
	buffer_store_dword v3, off, s[0:3], 0 offset:224
	;; [unrolled: 1-line block ×4, first 2 shown]
.LBB48_67:
	s_or_b32 exec_lo, exec_lo, s4
	v_mov_b32_e32 v4, s47
	s_waitcnt_vscnt null, 0x0
	s_barrier
	buffer_gl0_inv
	s_mov_b32 s4, exec_lo
	s_clause 0x3
	buffer_load_dword v1, v4, s[0:3], 0 offen
	buffer_load_dword v2, v4, s[0:3], 0 offen offset:4
	buffer_load_dword v3, v4, s[0:3], 0 offen offset:8
	;; [unrolled: 1-line block ×3, first 2 shown]
	s_waitcnt vmcnt(0)
	ds_write_b128 v5, v[1:4]
	s_waitcnt lgkmcnt(0)
	s_barrier
	buffer_gl0_inv
	v_cmpx_gt_u32_e32 14, v0
	s_cbranch_execz .LBB48_71
; %bb.68:
	v_mov_b32_e32 v1, 0
	v_mov_b32_e32 v3, 0
	v_add_nc_u32_e32 v7, -1, v0
	v_add_nc_u32_e32 v8, 0x310, v161
	v_mov_b32_e32 v2, 0
	v_mov_b32_e32 v4, 0
	v_add_nc_u32_e32 v9, 16, v161
	s_mov_b32 s5, 0
	.p2align	6
.LBB48_69:                              ; =>This Inner Loop Header: Depth=1
	s_clause 0x3
	buffer_load_dword v10, v9, s[0:3], 0 offen offset:8
	buffer_load_dword v11, v9, s[0:3], 0 offen offset:12
	buffer_load_dword v31, v9, s[0:3], 0 offen
	buffer_load_dword v32, v9, s[0:3], 0 offen offset:4
	ds_read_b128 v[27:30], v8
	v_add_nc_u32_e32 v7, 1, v7
	v_add_nc_u32_e32 v8, 16, v8
	v_add_nc_u32_e32 v9, 16, v9
	v_cmp_lt_u32_e32 vcc_lo, 12, v7
	s_or_b32 s5, vcc_lo, s5
	s_waitcnt vmcnt(2) lgkmcnt(0)
	v_mul_f64 v[37:38], v[29:30], v[10:11]
	v_mul_f64 v[10:11], v[27:28], v[10:11]
	s_waitcnt vmcnt(0)
	v_fma_f64 v[27:28], v[27:28], v[31:32], -v[37:38]
	v_fma_f64 v[10:11], v[29:30], v[31:32], v[10:11]
	v_add_f64 v[3:4], v[3:4], v[27:28]
	v_add_f64 v[1:2], v[1:2], v[10:11]
	s_andn2_b32 exec_lo, exec_lo, s5
	s_cbranch_execnz .LBB48_69
; %bb.70:
	s_or_b32 exec_lo, exec_lo, s5
	v_mov_b32_e32 v7, 0
	ds_read_b128 v[7:10], v7 offset:224
	s_waitcnt lgkmcnt(0)
	v_mul_f64 v[27:28], v[1:2], v[9:10]
	v_mul_f64 v[9:10], v[3:4], v[9:10]
	v_fma_f64 v[3:4], v[3:4], v[7:8], -v[27:28]
	v_fma_f64 v[1:2], v[1:2], v[7:8], v[9:10]
	buffer_store_dword v4, off, s[0:3], 0 offset:244
	buffer_store_dword v3, off, s[0:3], 0 offset:240
	;; [unrolled: 1-line block ×4, first 2 shown]
.LBB48_71:
	s_or_b32 exec_lo, exec_lo, s4
	v_mov_b32_e32 v4, s46
	s_waitcnt_vscnt null, 0x0
	s_barrier
	buffer_gl0_inv
	s_mov_b32 s4, exec_lo
	s_clause 0x3
	buffer_load_dword v1, v4, s[0:3], 0 offen
	buffer_load_dword v2, v4, s[0:3], 0 offen offset:4
	buffer_load_dword v3, v4, s[0:3], 0 offen offset:8
	;; [unrolled: 1-line block ×3, first 2 shown]
	s_waitcnt vmcnt(0)
	ds_write_b128 v5, v[1:4]
	s_waitcnt lgkmcnt(0)
	s_barrier
	buffer_gl0_inv
	v_cmpx_gt_u32_e32 15, v0
	s_cbranch_execz .LBB48_75
; %bb.72:
	v_mov_b32_e32 v1, 0
	v_mov_b32_e32 v3, 0
	v_add_nc_u32_e32 v7, -1, v0
	v_add_nc_u32_e32 v8, 0x310, v161
	v_mov_b32_e32 v2, 0
	v_mov_b32_e32 v4, 0
	v_add_nc_u32_e32 v9, 16, v161
	s_mov_b32 s5, 0
	.p2align	6
.LBB48_73:                              ; =>This Inner Loop Header: Depth=1
	s_clause 0x3
	buffer_load_dword v10, v9, s[0:3], 0 offen offset:8
	buffer_load_dword v11, v9, s[0:3], 0 offen offset:12
	buffer_load_dword v31, v9, s[0:3], 0 offen
	buffer_load_dword v32, v9, s[0:3], 0 offen offset:4
	ds_read_b128 v[27:30], v8
	v_add_nc_u32_e32 v7, 1, v7
	v_add_nc_u32_e32 v8, 16, v8
	;; [unrolled: 1-line block ×3, first 2 shown]
	v_cmp_lt_u32_e32 vcc_lo, 13, v7
	s_or_b32 s5, vcc_lo, s5
	s_waitcnt vmcnt(2) lgkmcnt(0)
	v_mul_f64 v[37:38], v[29:30], v[10:11]
	v_mul_f64 v[10:11], v[27:28], v[10:11]
	s_waitcnt vmcnt(0)
	v_fma_f64 v[27:28], v[27:28], v[31:32], -v[37:38]
	v_fma_f64 v[10:11], v[29:30], v[31:32], v[10:11]
	v_add_f64 v[3:4], v[3:4], v[27:28]
	v_add_f64 v[1:2], v[1:2], v[10:11]
	s_andn2_b32 exec_lo, exec_lo, s5
	s_cbranch_execnz .LBB48_73
; %bb.74:
	s_or_b32 exec_lo, exec_lo, s5
	v_mov_b32_e32 v7, 0
	ds_read_b128 v[7:10], v7 offset:240
	s_waitcnt lgkmcnt(0)
	v_mul_f64 v[27:28], v[1:2], v[9:10]
	v_mul_f64 v[9:10], v[3:4], v[9:10]
	v_fma_f64 v[3:4], v[3:4], v[7:8], -v[27:28]
	v_fma_f64 v[1:2], v[1:2], v[7:8], v[9:10]
	buffer_store_dword v4, off, s[0:3], 0 offset:260
	buffer_store_dword v3, off, s[0:3], 0 offset:256
	buffer_store_dword v2, off, s[0:3], 0 offset:268
	buffer_store_dword v1, off, s[0:3], 0 offset:264
.LBB48_75:
	s_or_b32 exec_lo, exec_lo, s4
	v_mov_b32_e32 v4, s45
	s_waitcnt_vscnt null, 0x0
	s_barrier
	buffer_gl0_inv
	s_mov_b32 s4, exec_lo
	s_clause 0x3
	buffer_load_dword v1, v4, s[0:3], 0 offen
	buffer_load_dword v2, v4, s[0:3], 0 offen offset:4
	buffer_load_dword v3, v4, s[0:3], 0 offen offset:8
	;; [unrolled: 1-line block ×3, first 2 shown]
	s_waitcnt vmcnt(0)
	ds_write_b128 v5, v[1:4]
	s_waitcnt lgkmcnt(0)
	s_barrier
	buffer_gl0_inv
	v_cmpx_gt_u32_e32 16, v0
	s_cbranch_execz .LBB48_79
; %bb.76:
	v_mov_b32_e32 v1, 0
	v_mov_b32_e32 v3, 0
	v_add_nc_u32_e32 v7, -1, v0
	v_add_nc_u32_e32 v8, 0x310, v161
	v_mov_b32_e32 v2, 0
	v_mov_b32_e32 v4, 0
	v_add_nc_u32_e32 v9, 16, v161
	s_mov_b32 s5, 0
	.p2align	6
.LBB48_77:                              ; =>This Inner Loop Header: Depth=1
	s_clause 0x3
	buffer_load_dword v10, v9, s[0:3], 0 offen offset:8
	buffer_load_dword v11, v9, s[0:3], 0 offen offset:12
	buffer_load_dword v31, v9, s[0:3], 0 offen
	buffer_load_dword v32, v9, s[0:3], 0 offen offset:4
	ds_read_b128 v[27:30], v8
	v_add_nc_u32_e32 v7, 1, v7
	v_add_nc_u32_e32 v8, 16, v8
	;; [unrolled: 1-line block ×3, first 2 shown]
	v_cmp_lt_u32_e32 vcc_lo, 14, v7
	s_or_b32 s5, vcc_lo, s5
	s_waitcnt vmcnt(2) lgkmcnt(0)
	v_mul_f64 v[37:38], v[29:30], v[10:11]
	v_mul_f64 v[10:11], v[27:28], v[10:11]
	s_waitcnt vmcnt(0)
	v_fma_f64 v[27:28], v[27:28], v[31:32], -v[37:38]
	v_fma_f64 v[10:11], v[29:30], v[31:32], v[10:11]
	v_add_f64 v[3:4], v[3:4], v[27:28]
	v_add_f64 v[1:2], v[1:2], v[10:11]
	s_andn2_b32 exec_lo, exec_lo, s5
	s_cbranch_execnz .LBB48_77
; %bb.78:
	s_or_b32 exec_lo, exec_lo, s5
	v_mov_b32_e32 v7, 0
	ds_read_b128 v[7:10], v7 offset:256
	s_waitcnt lgkmcnt(0)
	v_mul_f64 v[27:28], v[1:2], v[9:10]
	v_mul_f64 v[9:10], v[3:4], v[9:10]
	v_fma_f64 v[3:4], v[3:4], v[7:8], -v[27:28]
	v_fma_f64 v[1:2], v[1:2], v[7:8], v[9:10]
	buffer_store_dword v4, off, s[0:3], 0 offset:276
	buffer_store_dword v3, off, s[0:3], 0 offset:272
	;; [unrolled: 1-line block ×4, first 2 shown]
.LBB48_79:
	s_or_b32 exec_lo, exec_lo, s4
	v_mov_b32_e32 v4, s44
	s_waitcnt_vscnt null, 0x0
	s_barrier
	buffer_gl0_inv
	s_mov_b32 s4, exec_lo
	s_clause 0x3
	buffer_load_dword v1, v4, s[0:3], 0 offen
	buffer_load_dword v2, v4, s[0:3], 0 offen offset:4
	buffer_load_dword v3, v4, s[0:3], 0 offen offset:8
	buffer_load_dword v4, v4, s[0:3], 0 offen offset:12
	s_waitcnt vmcnt(0)
	ds_write_b128 v5, v[1:4]
	s_waitcnt lgkmcnt(0)
	s_barrier
	buffer_gl0_inv
	v_cmpx_gt_u32_e32 17, v0
	s_cbranch_execz .LBB48_83
; %bb.80:
	v_mov_b32_e32 v1, 0
	v_mov_b32_e32 v3, 0
	v_add_nc_u32_e32 v7, -1, v0
	v_add_nc_u32_e32 v8, 0x310, v161
	v_mov_b32_e32 v2, 0
	v_mov_b32_e32 v4, 0
	v_add_nc_u32_e32 v9, 16, v161
	s_mov_b32 s5, 0
	.p2align	6
.LBB48_81:                              ; =>This Inner Loop Header: Depth=1
	s_clause 0x3
	buffer_load_dword v10, v9, s[0:3], 0 offen offset:8
	buffer_load_dword v11, v9, s[0:3], 0 offen offset:12
	buffer_load_dword v31, v9, s[0:3], 0 offen
	buffer_load_dword v32, v9, s[0:3], 0 offen offset:4
	ds_read_b128 v[27:30], v8
	v_add_nc_u32_e32 v7, 1, v7
	v_add_nc_u32_e32 v8, 16, v8
	v_add_nc_u32_e32 v9, 16, v9
	v_cmp_lt_u32_e32 vcc_lo, 15, v7
	s_or_b32 s5, vcc_lo, s5
	s_waitcnt vmcnt(2) lgkmcnt(0)
	v_mul_f64 v[37:38], v[29:30], v[10:11]
	v_mul_f64 v[10:11], v[27:28], v[10:11]
	s_waitcnt vmcnt(0)
	v_fma_f64 v[27:28], v[27:28], v[31:32], -v[37:38]
	v_fma_f64 v[10:11], v[29:30], v[31:32], v[10:11]
	v_add_f64 v[3:4], v[3:4], v[27:28]
	v_add_f64 v[1:2], v[1:2], v[10:11]
	s_andn2_b32 exec_lo, exec_lo, s5
	s_cbranch_execnz .LBB48_81
; %bb.82:
	s_or_b32 exec_lo, exec_lo, s5
	v_mov_b32_e32 v7, 0
	ds_read_b128 v[7:10], v7 offset:272
	s_waitcnt lgkmcnt(0)
	v_mul_f64 v[27:28], v[1:2], v[9:10]
	v_mul_f64 v[9:10], v[3:4], v[9:10]
	v_fma_f64 v[3:4], v[3:4], v[7:8], -v[27:28]
	v_fma_f64 v[1:2], v[1:2], v[7:8], v[9:10]
	buffer_store_dword v4, off, s[0:3], 0 offset:292
	buffer_store_dword v3, off, s[0:3], 0 offset:288
	;; [unrolled: 1-line block ×4, first 2 shown]
.LBB48_83:
	s_or_b32 exec_lo, exec_lo, s4
	v_mov_b32_e32 v4, s43
	s_waitcnt_vscnt null, 0x0
	s_barrier
	buffer_gl0_inv
	s_mov_b32 s4, exec_lo
	s_clause 0x3
	buffer_load_dword v1, v4, s[0:3], 0 offen
	buffer_load_dword v2, v4, s[0:3], 0 offen offset:4
	buffer_load_dword v3, v4, s[0:3], 0 offen offset:8
	;; [unrolled: 1-line block ×3, first 2 shown]
	s_waitcnt vmcnt(0)
	ds_write_b128 v5, v[1:4]
	s_waitcnt lgkmcnt(0)
	s_barrier
	buffer_gl0_inv
	v_cmpx_gt_u32_e32 18, v0
	s_cbranch_execz .LBB48_87
; %bb.84:
	v_mov_b32_e32 v1, 0
	v_mov_b32_e32 v3, 0
	v_add_nc_u32_e32 v7, -1, v0
	v_add_nc_u32_e32 v8, 0x310, v161
	v_mov_b32_e32 v2, 0
	v_mov_b32_e32 v4, 0
	v_add_nc_u32_e32 v9, 16, v161
	s_mov_b32 s5, 0
	.p2align	6
.LBB48_85:                              ; =>This Inner Loop Header: Depth=1
	s_clause 0x3
	buffer_load_dword v10, v9, s[0:3], 0 offen offset:8
	buffer_load_dword v11, v9, s[0:3], 0 offen offset:12
	buffer_load_dword v31, v9, s[0:3], 0 offen
	buffer_load_dword v32, v9, s[0:3], 0 offen offset:4
	ds_read_b128 v[27:30], v8
	v_add_nc_u32_e32 v7, 1, v7
	v_add_nc_u32_e32 v8, 16, v8
	;; [unrolled: 1-line block ×3, first 2 shown]
	v_cmp_lt_u32_e32 vcc_lo, 16, v7
	s_or_b32 s5, vcc_lo, s5
	s_waitcnt vmcnt(2) lgkmcnt(0)
	v_mul_f64 v[37:38], v[29:30], v[10:11]
	v_mul_f64 v[10:11], v[27:28], v[10:11]
	s_waitcnt vmcnt(0)
	v_fma_f64 v[27:28], v[27:28], v[31:32], -v[37:38]
	v_fma_f64 v[10:11], v[29:30], v[31:32], v[10:11]
	v_add_f64 v[3:4], v[3:4], v[27:28]
	v_add_f64 v[1:2], v[1:2], v[10:11]
	s_andn2_b32 exec_lo, exec_lo, s5
	s_cbranch_execnz .LBB48_85
; %bb.86:
	s_or_b32 exec_lo, exec_lo, s5
	v_mov_b32_e32 v7, 0
	ds_read_b128 v[7:10], v7 offset:288
	s_waitcnt lgkmcnt(0)
	v_mul_f64 v[27:28], v[1:2], v[9:10]
	v_mul_f64 v[9:10], v[3:4], v[9:10]
	v_fma_f64 v[3:4], v[3:4], v[7:8], -v[27:28]
	v_fma_f64 v[1:2], v[1:2], v[7:8], v[9:10]
	buffer_store_dword v4, off, s[0:3], 0 offset:308
	buffer_store_dword v3, off, s[0:3], 0 offset:304
	;; [unrolled: 1-line block ×4, first 2 shown]
.LBB48_87:
	s_or_b32 exec_lo, exec_lo, s4
	v_mov_b32_e32 v4, s42
	s_waitcnt_vscnt null, 0x0
	s_barrier
	buffer_gl0_inv
	s_mov_b32 s4, exec_lo
	s_clause 0x3
	buffer_load_dword v1, v4, s[0:3], 0 offen
	buffer_load_dword v2, v4, s[0:3], 0 offen offset:4
	buffer_load_dword v3, v4, s[0:3], 0 offen offset:8
	;; [unrolled: 1-line block ×3, first 2 shown]
	s_waitcnt vmcnt(0)
	ds_write_b128 v5, v[1:4]
	s_waitcnt lgkmcnt(0)
	s_barrier
	buffer_gl0_inv
	v_cmpx_gt_u32_e32 19, v0
	s_cbranch_execz .LBB48_91
; %bb.88:
	v_mov_b32_e32 v1, 0
	v_mov_b32_e32 v3, 0
	v_add_nc_u32_e32 v7, -1, v0
	v_add_nc_u32_e32 v8, 0x310, v161
	v_mov_b32_e32 v2, 0
	v_mov_b32_e32 v4, 0
	v_add_nc_u32_e32 v9, 16, v161
	s_mov_b32 s5, 0
	.p2align	6
.LBB48_89:                              ; =>This Inner Loop Header: Depth=1
	s_clause 0x3
	buffer_load_dword v10, v9, s[0:3], 0 offen offset:8
	buffer_load_dword v11, v9, s[0:3], 0 offen offset:12
	buffer_load_dword v31, v9, s[0:3], 0 offen
	buffer_load_dword v32, v9, s[0:3], 0 offen offset:4
	ds_read_b128 v[27:30], v8
	v_add_nc_u32_e32 v7, 1, v7
	v_add_nc_u32_e32 v8, 16, v8
	;; [unrolled: 1-line block ×3, first 2 shown]
	v_cmp_lt_u32_e32 vcc_lo, 17, v7
	s_or_b32 s5, vcc_lo, s5
	s_waitcnt vmcnt(2) lgkmcnt(0)
	v_mul_f64 v[37:38], v[29:30], v[10:11]
	v_mul_f64 v[10:11], v[27:28], v[10:11]
	s_waitcnt vmcnt(0)
	v_fma_f64 v[27:28], v[27:28], v[31:32], -v[37:38]
	v_fma_f64 v[10:11], v[29:30], v[31:32], v[10:11]
	v_add_f64 v[3:4], v[3:4], v[27:28]
	v_add_f64 v[1:2], v[1:2], v[10:11]
	s_andn2_b32 exec_lo, exec_lo, s5
	s_cbranch_execnz .LBB48_89
; %bb.90:
	s_or_b32 exec_lo, exec_lo, s5
	v_mov_b32_e32 v7, 0
	ds_read_b128 v[7:10], v7 offset:304
	s_waitcnt lgkmcnt(0)
	v_mul_f64 v[27:28], v[1:2], v[9:10]
	v_mul_f64 v[9:10], v[3:4], v[9:10]
	v_fma_f64 v[3:4], v[3:4], v[7:8], -v[27:28]
	v_fma_f64 v[1:2], v[1:2], v[7:8], v[9:10]
	buffer_store_dword v4, off, s[0:3], 0 offset:324
	buffer_store_dword v3, off, s[0:3], 0 offset:320
	;; [unrolled: 1-line block ×4, first 2 shown]
.LBB48_91:
	s_or_b32 exec_lo, exec_lo, s4
	v_mov_b32_e32 v4, s41
	s_waitcnt_vscnt null, 0x0
	s_barrier
	buffer_gl0_inv
	s_mov_b32 s4, exec_lo
	s_clause 0x3
	buffer_load_dword v1, v4, s[0:3], 0 offen
	buffer_load_dword v2, v4, s[0:3], 0 offen offset:4
	buffer_load_dword v3, v4, s[0:3], 0 offen offset:8
	;; [unrolled: 1-line block ×3, first 2 shown]
	s_waitcnt vmcnt(0)
	ds_write_b128 v5, v[1:4]
	s_waitcnt lgkmcnt(0)
	s_barrier
	buffer_gl0_inv
	v_cmpx_gt_u32_e32 20, v0
	s_cbranch_execz .LBB48_95
; %bb.92:
	v_mov_b32_e32 v1, 0
	v_mov_b32_e32 v3, 0
	v_add_nc_u32_e32 v7, -1, v0
	v_add_nc_u32_e32 v8, 0x310, v161
	v_mov_b32_e32 v2, 0
	v_mov_b32_e32 v4, 0
	v_add_nc_u32_e32 v9, 16, v161
	s_mov_b32 s5, 0
	.p2align	6
.LBB48_93:                              ; =>This Inner Loop Header: Depth=1
	s_clause 0x3
	buffer_load_dword v10, v9, s[0:3], 0 offen offset:8
	buffer_load_dword v11, v9, s[0:3], 0 offen offset:12
	buffer_load_dword v31, v9, s[0:3], 0 offen
	buffer_load_dword v32, v9, s[0:3], 0 offen offset:4
	ds_read_b128 v[27:30], v8
	v_add_nc_u32_e32 v7, 1, v7
	v_add_nc_u32_e32 v8, 16, v8
	;; [unrolled: 1-line block ×3, first 2 shown]
	v_cmp_lt_u32_e32 vcc_lo, 18, v7
	s_or_b32 s5, vcc_lo, s5
	s_waitcnt vmcnt(2) lgkmcnt(0)
	v_mul_f64 v[37:38], v[29:30], v[10:11]
	v_mul_f64 v[10:11], v[27:28], v[10:11]
	s_waitcnt vmcnt(0)
	v_fma_f64 v[27:28], v[27:28], v[31:32], -v[37:38]
	v_fma_f64 v[10:11], v[29:30], v[31:32], v[10:11]
	v_add_f64 v[3:4], v[3:4], v[27:28]
	v_add_f64 v[1:2], v[1:2], v[10:11]
	s_andn2_b32 exec_lo, exec_lo, s5
	s_cbranch_execnz .LBB48_93
; %bb.94:
	s_or_b32 exec_lo, exec_lo, s5
	v_mov_b32_e32 v7, 0
	ds_read_b128 v[7:10], v7 offset:320
	s_waitcnt lgkmcnt(0)
	v_mul_f64 v[27:28], v[1:2], v[9:10]
	v_mul_f64 v[9:10], v[3:4], v[9:10]
	v_fma_f64 v[3:4], v[3:4], v[7:8], -v[27:28]
	v_fma_f64 v[1:2], v[1:2], v[7:8], v[9:10]
	buffer_store_dword v4, off, s[0:3], 0 offset:340
	buffer_store_dword v3, off, s[0:3], 0 offset:336
	;; [unrolled: 1-line block ×4, first 2 shown]
.LBB48_95:
	s_or_b32 exec_lo, exec_lo, s4
	v_mov_b32_e32 v4, s40
	s_waitcnt_vscnt null, 0x0
	s_barrier
	buffer_gl0_inv
	s_mov_b32 s4, exec_lo
	s_clause 0x3
	buffer_load_dword v1, v4, s[0:3], 0 offen
	buffer_load_dword v2, v4, s[0:3], 0 offen offset:4
	buffer_load_dword v3, v4, s[0:3], 0 offen offset:8
	;; [unrolled: 1-line block ×3, first 2 shown]
	s_waitcnt vmcnt(0)
	ds_write_b128 v5, v[1:4]
	s_waitcnt lgkmcnt(0)
	s_barrier
	buffer_gl0_inv
	v_cmpx_gt_u32_e32 21, v0
	s_cbranch_execz .LBB48_99
; %bb.96:
	v_mov_b32_e32 v1, 0
	v_mov_b32_e32 v3, 0
	v_add_nc_u32_e32 v7, -1, v0
	v_add_nc_u32_e32 v8, 0x310, v161
	v_mov_b32_e32 v2, 0
	v_mov_b32_e32 v4, 0
	v_add_nc_u32_e32 v9, 16, v161
	s_mov_b32 s5, 0
	.p2align	6
.LBB48_97:                              ; =>This Inner Loop Header: Depth=1
	s_clause 0x3
	buffer_load_dword v10, v9, s[0:3], 0 offen offset:8
	buffer_load_dword v11, v9, s[0:3], 0 offen offset:12
	buffer_load_dword v31, v9, s[0:3], 0 offen
	buffer_load_dword v32, v9, s[0:3], 0 offen offset:4
	ds_read_b128 v[27:30], v8
	v_add_nc_u32_e32 v7, 1, v7
	v_add_nc_u32_e32 v8, 16, v8
	;; [unrolled: 1-line block ×3, first 2 shown]
	v_cmp_lt_u32_e32 vcc_lo, 19, v7
	s_or_b32 s5, vcc_lo, s5
	s_waitcnt vmcnt(2) lgkmcnt(0)
	v_mul_f64 v[37:38], v[29:30], v[10:11]
	v_mul_f64 v[10:11], v[27:28], v[10:11]
	s_waitcnt vmcnt(0)
	v_fma_f64 v[27:28], v[27:28], v[31:32], -v[37:38]
	v_fma_f64 v[10:11], v[29:30], v[31:32], v[10:11]
	v_add_f64 v[3:4], v[3:4], v[27:28]
	v_add_f64 v[1:2], v[1:2], v[10:11]
	s_andn2_b32 exec_lo, exec_lo, s5
	s_cbranch_execnz .LBB48_97
; %bb.98:
	s_or_b32 exec_lo, exec_lo, s5
	v_mov_b32_e32 v7, 0
	ds_read_b128 v[7:10], v7 offset:336
	s_waitcnt lgkmcnt(0)
	v_mul_f64 v[27:28], v[1:2], v[9:10]
	v_mul_f64 v[9:10], v[3:4], v[9:10]
	v_fma_f64 v[3:4], v[3:4], v[7:8], -v[27:28]
	v_fma_f64 v[1:2], v[1:2], v[7:8], v[9:10]
	buffer_store_dword v4, off, s[0:3], 0 offset:356
	buffer_store_dword v3, off, s[0:3], 0 offset:352
	;; [unrolled: 1-line block ×4, first 2 shown]
.LBB48_99:
	s_or_b32 exec_lo, exec_lo, s4
	v_mov_b32_e32 v4, s39
	s_waitcnt_vscnt null, 0x0
	s_barrier
	buffer_gl0_inv
	s_mov_b32 s4, exec_lo
	s_clause 0x3
	buffer_load_dword v1, v4, s[0:3], 0 offen
	buffer_load_dword v2, v4, s[0:3], 0 offen offset:4
	buffer_load_dword v3, v4, s[0:3], 0 offen offset:8
	;; [unrolled: 1-line block ×3, first 2 shown]
	s_waitcnt vmcnt(0)
	ds_write_b128 v5, v[1:4]
	s_waitcnt lgkmcnt(0)
	s_barrier
	buffer_gl0_inv
	v_cmpx_gt_u32_e32 22, v0
	s_cbranch_execz .LBB48_103
; %bb.100:
	v_mov_b32_e32 v1, 0
	v_mov_b32_e32 v3, 0
	v_add_nc_u32_e32 v7, -1, v0
	v_add_nc_u32_e32 v8, 0x310, v161
	v_mov_b32_e32 v2, 0
	v_mov_b32_e32 v4, 0
	v_add_nc_u32_e32 v9, 16, v161
	s_mov_b32 s5, 0
	.p2align	6
.LBB48_101:                             ; =>This Inner Loop Header: Depth=1
	s_clause 0x3
	buffer_load_dword v10, v9, s[0:3], 0 offen offset:8
	buffer_load_dword v11, v9, s[0:3], 0 offen offset:12
	buffer_load_dword v31, v9, s[0:3], 0 offen
	buffer_load_dword v32, v9, s[0:3], 0 offen offset:4
	ds_read_b128 v[27:30], v8
	v_add_nc_u32_e32 v7, 1, v7
	v_add_nc_u32_e32 v8, 16, v8
	;; [unrolled: 1-line block ×3, first 2 shown]
	v_cmp_lt_u32_e32 vcc_lo, 20, v7
	s_or_b32 s5, vcc_lo, s5
	s_waitcnt vmcnt(2) lgkmcnt(0)
	v_mul_f64 v[37:38], v[29:30], v[10:11]
	v_mul_f64 v[10:11], v[27:28], v[10:11]
	s_waitcnt vmcnt(0)
	v_fma_f64 v[27:28], v[27:28], v[31:32], -v[37:38]
	v_fma_f64 v[10:11], v[29:30], v[31:32], v[10:11]
	v_add_f64 v[3:4], v[3:4], v[27:28]
	v_add_f64 v[1:2], v[1:2], v[10:11]
	s_andn2_b32 exec_lo, exec_lo, s5
	s_cbranch_execnz .LBB48_101
; %bb.102:
	s_or_b32 exec_lo, exec_lo, s5
	v_mov_b32_e32 v7, 0
	ds_read_b128 v[7:10], v7 offset:352
	s_waitcnt lgkmcnt(0)
	v_mul_f64 v[27:28], v[1:2], v[9:10]
	v_mul_f64 v[9:10], v[3:4], v[9:10]
	v_fma_f64 v[3:4], v[3:4], v[7:8], -v[27:28]
	v_fma_f64 v[1:2], v[1:2], v[7:8], v[9:10]
	buffer_store_dword v4, off, s[0:3], 0 offset:372
	buffer_store_dword v3, off, s[0:3], 0 offset:368
	;; [unrolled: 1-line block ×4, first 2 shown]
.LBB48_103:
	s_or_b32 exec_lo, exec_lo, s4
	v_mov_b32_e32 v4, s38
	s_waitcnt_vscnt null, 0x0
	s_barrier
	buffer_gl0_inv
	s_mov_b32 s4, exec_lo
	s_clause 0x3
	buffer_load_dword v1, v4, s[0:3], 0 offen
	buffer_load_dword v2, v4, s[0:3], 0 offen offset:4
	buffer_load_dword v3, v4, s[0:3], 0 offen offset:8
	;; [unrolled: 1-line block ×3, first 2 shown]
	s_waitcnt vmcnt(0)
	ds_write_b128 v5, v[1:4]
	s_waitcnt lgkmcnt(0)
	s_barrier
	buffer_gl0_inv
	v_cmpx_gt_u32_e32 23, v0
	s_cbranch_execz .LBB48_107
; %bb.104:
	v_mov_b32_e32 v1, 0
	v_mov_b32_e32 v3, 0
	v_add_nc_u32_e32 v7, -1, v0
	v_add_nc_u32_e32 v8, 0x310, v161
	v_mov_b32_e32 v2, 0
	v_mov_b32_e32 v4, 0
	v_add_nc_u32_e32 v9, 16, v161
	s_mov_b32 s5, 0
	.p2align	6
.LBB48_105:                             ; =>This Inner Loop Header: Depth=1
	s_clause 0x3
	buffer_load_dword v10, v9, s[0:3], 0 offen offset:8
	buffer_load_dword v11, v9, s[0:3], 0 offen offset:12
	buffer_load_dword v31, v9, s[0:3], 0 offen
	buffer_load_dword v32, v9, s[0:3], 0 offen offset:4
	ds_read_b128 v[27:30], v8
	v_add_nc_u32_e32 v7, 1, v7
	v_add_nc_u32_e32 v8, 16, v8
	;; [unrolled: 1-line block ×3, first 2 shown]
	v_cmp_lt_u32_e32 vcc_lo, 21, v7
	s_or_b32 s5, vcc_lo, s5
	s_waitcnt vmcnt(2) lgkmcnt(0)
	v_mul_f64 v[37:38], v[29:30], v[10:11]
	v_mul_f64 v[10:11], v[27:28], v[10:11]
	s_waitcnt vmcnt(0)
	v_fma_f64 v[27:28], v[27:28], v[31:32], -v[37:38]
	v_fma_f64 v[10:11], v[29:30], v[31:32], v[10:11]
	v_add_f64 v[3:4], v[3:4], v[27:28]
	v_add_f64 v[1:2], v[1:2], v[10:11]
	s_andn2_b32 exec_lo, exec_lo, s5
	s_cbranch_execnz .LBB48_105
; %bb.106:
	s_or_b32 exec_lo, exec_lo, s5
	v_mov_b32_e32 v7, 0
	ds_read_b128 v[7:10], v7 offset:368
	s_waitcnt lgkmcnt(0)
	v_mul_f64 v[27:28], v[1:2], v[9:10]
	v_mul_f64 v[9:10], v[3:4], v[9:10]
	v_fma_f64 v[3:4], v[3:4], v[7:8], -v[27:28]
	v_fma_f64 v[1:2], v[1:2], v[7:8], v[9:10]
	buffer_store_dword v4, off, s[0:3], 0 offset:388
	buffer_store_dword v3, off, s[0:3], 0 offset:384
	;; [unrolled: 1-line block ×4, first 2 shown]
.LBB48_107:
	s_or_b32 exec_lo, exec_lo, s4
	v_mov_b32_e32 v4, s37
	s_waitcnt_vscnt null, 0x0
	s_barrier
	buffer_gl0_inv
	s_mov_b32 s4, exec_lo
	s_clause 0x3
	buffer_load_dword v1, v4, s[0:3], 0 offen
	buffer_load_dword v2, v4, s[0:3], 0 offen offset:4
	buffer_load_dword v3, v4, s[0:3], 0 offen offset:8
	;; [unrolled: 1-line block ×3, first 2 shown]
	s_waitcnt vmcnt(0)
	ds_write_b128 v5, v[1:4]
	s_waitcnt lgkmcnt(0)
	s_barrier
	buffer_gl0_inv
	v_cmpx_gt_u32_e32 24, v0
	s_cbranch_execz .LBB48_111
; %bb.108:
	v_mov_b32_e32 v1, 0
	v_mov_b32_e32 v3, 0
	v_add_nc_u32_e32 v7, -1, v0
	v_add_nc_u32_e32 v8, 0x310, v161
	v_mov_b32_e32 v2, 0
	v_mov_b32_e32 v4, 0
	v_add_nc_u32_e32 v9, 16, v161
	s_mov_b32 s5, 0
	.p2align	6
.LBB48_109:                             ; =>This Inner Loop Header: Depth=1
	s_clause 0x3
	buffer_load_dword v10, v9, s[0:3], 0 offen offset:8
	buffer_load_dword v11, v9, s[0:3], 0 offen offset:12
	buffer_load_dword v31, v9, s[0:3], 0 offen
	buffer_load_dword v32, v9, s[0:3], 0 offen offset:4
	ds_read_b128 v[27:30], v8
	v_add_nc_u32_e32 v7, 1, v7
	v_add_nc_u32_e32 v8, 16, v8
	;; [unrolled: 1-line block ×3, first 2 shown]
	v_cmp_lt_u32_e32 vcc_lo, 22, v7
	s_or_b32 s5, vcc_lo, s5
	s_waitcnt vmcnt(2) lgkmcnt(0)
	v_mul_f64 v[37:38], v[29:30], v[10:11]
	v_mul_f64 v[10:11], v[27:28], v[10:11]
	s_waitcnt vmcnt(0)
	v_fma_f64 v[27:28], v[27:28], v[31:32], -v[37:38]
	v_fma_f64 v[10:11], v[29:30], v[31:32], v[10:11]
	v_add_f64 v[3:4], v[3:4], v[27:28]
	v_add_f64 v[1:2], v[1:2], v[10:11]
	s_andn2_b32 exec_lo, exec_lo, s5
	s_cbranch_execnz .LBB48_109
; %bb.110:
	s_or_b32 exec_lo, exec_lo, s5
	v_mov_b32_e32 v7, 0
	ds_read_b128 v[7:10], v7 offset:384
	s_waitcnt lgkmcnt(0)
	v_mul_f64 v[27:28], v[1:2], v[9:10]
	v_mul_f64 v[9:10], v[3:4], v[9:10]
	v_fma_f64 v[3:4], v[3:4], v[7:8], -v[27:28]
	v_fma_f64 v[1:2], v[1:2], v[7:8], v[9:10]
	buffer_store_dword v4, off, s[0:3], 0 offset:404
	buffer_store_dword v3, off, s[0:3], 0 offset:400
	;; [unrolled: 1-line block ×4, first 2 shown]
.LBB48_111:
	s_or_b32 exec_lo, exec_lo, s4
	v_mov_b32_e32 v4, s36
	s_waitcnt_vscnt null, 0x0
	s_barrier
	buffer_gl0_inv
	s_mov_b32 s4, exec_lo
	s_clause 0x3
	buffer_load_dword v1, v4, s[0:3], 0 offen
	buffer_load_dword v2, v4, s[0:3], 0 offen offset:4
	buffer_load_dword v3, v4, s[0:3], 0 offen offset:8
	;; [unrolled: 1-line block ×3, first 2 shown]
	s_waitcnt vmcnt(0)
	ds_write_b128 v5, v[1:4]
	s_waitcnt lgkmcnt(0)
	s_barrier
	buffer_gl0_inv
	v_cmpx_gt_u32_e32 25, v0
	s_cbranch_execz .LBB48_115
; %bb.112:
	v_mov_b32_e32 v1, 0
	v_mov_b32_e32 v3, 0
	v_add_nc_u32_e32 v7, -1, v0
	v_add_nc_u32_e32 v8, 0x310, v161
	v_mov_b32_e32 v2, 0
	v_mov_b32_e32 v4, 0
	v_add_nc_u32_e32 v9, 16, v161
	s_mov_b32 s5, 0
	.p2align	6
.LBB48_113:                             ; =>This Inner Loop Header: Depth=1
	s_clause 0x3
	buffer_load_dword v10, v9, s[0:3], 0 offen offset:8
	buffer_load_dword v11, v9, s[0:3], 0 offen offset:12
	buffer_load_dword v31, v9, s[0:3], 0 offen
	buffer_load_dword v32, v9, s[0:3], 0 offen offset:4
	ds_read_b128 v[27:30], v8
	v_add_nc_u32_e32 v7, 1, v7
	v_add_nc_u32_e32 v8, 16, v8
	v_add_nc_u32_e32 v9, 16, v9
	v_cmp_lt_u32_e32 vcc_lo, 23, v7
	s_or_b32 s5, vcc_lo, s5
	s_waitcnt vmcnt(2) lgkmcnt(0)
	v_mul_f64 v[37:38], v[29:30], v[10:11]
	v_mul_f64 v[10:11], v[27:28], v[10:11]
	s_waitcnt vmcnt(0)
	v_fma_f64 v[27:28], v[27:28], v[31:32], -v[37:38]
	v_fma_f64 v[10:11], v[29:30], v[31:32], v[10:11]
	v_add_f64 v[3:4], v[3:4], v[27:28]
	v_add_f64 v[1:2], v[1:2], v[10:11]
	s_andn2_b32 exec_lo, exec_lo, s5
	s_cbranch_execnz .LBB48_113
; %bb.114:
	s_or_b32 exec_lo, exec_lo, s5
	v_mov_b32_e32 v7, 0
	ds_read_b128 v[7:10], v7 offset:400
	s_waitcnt lgkmcnt(0)
	v_mul_f64 v[27:28], v[1:2], v[9:10]
	v_mul_f64 v[9:10], v[3:4], v[9:10]
	v_fma_f64 v[3:4], v[3:4], v[7:8], -v[27:28]
	v_fma_f64 v[1:2], v[1:2], v[7:8], v[9:10]
	buffer_store_dword v4, off, s[0:3], 0 offset:420
	buffer_store_dword v3, off, s[0:3], 0 offset:416
	;; [unrolled: 1-line block ×4, first 2 shown]
.LBB48_115:
	s_or_b32 exec_lo, exec_lo, s4
	v_mov_b32_e32 v4, s35
	s_waitcnt_vscnt null, 0x0
	s_barrier
	buffer_gl0_inv
	s_mov_b32 s4, exec_lo
	s_clause 0x3
	buffer_load_dword v1, v4, s[0:3], 0 offen
	buffer_load_dword v2, v4, s[0:3], 0 offen offset:4
	buffer_load_dword v3, v4, s[0:3], 0 offen offset:8
	;; [unrolled: 1-line block ×3, first 2 shown]
	s_waitcnt vmcnt(0)
	ds_write_b128 v5, v[1:4]
	s_waitcnt lgkmcnt(0)
	s_barrier
	buffer_gl0_inv
	v_cmpx_gt_u32_e32 26, v0
	s_cbranch_execz .LBB48_119
; %bb.116:
	v_mov_b32_e32 v1, 0
	v_mov_b32_e32 v3, 0
	v_add_nc_u32_e32 v7, -1, v0
	v_add_nc_u32_e32 v8, 0x310, v161
	v_mov_b32_e32 v2, 0
	v_mov_b32_e32 v4, 0
	v_add_nc_u32_e32 v9, 16, v161
	s_mov_b32 s5, 0
	.p2align	6
.LBB48_117:                             ; =>This Inner Loop Header: Depth=1
	s_clause 0x3
	buffer_load_dword v10, v9, s[0:3], 0 offen offset:8
	buffer_load_dword v11, v9, s[0:3], 0 offen offset:12
	buffer_load_dword v31, v9, s[0:3], 0 offen
	buffer_load_dword v32, v9, s[0:3], 0 offen offset:4
	ds_read_b128 v[27:30], v8
	v_add_nc_u32_e32 v7, 1, v7
	v_add_nc_u32_e32 v8, 16, v8
	;; [unrolled: 1-line block ×3, first 2 shown]
	v_cmp_lt_u32_e32 vcc_lo, 24, v7
	s_or_b32 s5, vcc_lo, s5
	s_waitcnt vmcnt(2) lgkmcnt(0)
	v_mul_f64 v[37:38], v[29:30], v[10:11]
	v_mul_f64 v[10:11], v[27:28], v[10:11]
	s_waitcnt vmcnt(0)
	v_fma_f64 v[27:28], v[27:28], v[31:32], -v[37:38]
	v_fma_f64 v[10:11], v[29:30], v[31:32], v[10:11]
	v_add_f64 v[3:4], v[3:4], v[27:28]
	v_add_f64 v[1:2], v[1:2], v[10:11]
	s_andn2_b32 exec_lo, exec_lo, s5
	s_cbranch_execnz .LBB48_117
; %bb.118:
	s_or_b32 exec_lo, exec_lo, s5
	v_mov_b32_e32 v7, 0
	ds_read_b128 v[7:10], v7 offset:416
	s_waitcnt lgkmcnt(0)
	v_mul_f64 v[27:28], v[1:2], v[9:10]
	v_mul_f64 v[9:10], v[3:4], v[9:10]
	v_fma_f64 v[3:4], v[3:4], v[7:8], -v[27:28]
	v_fma_f64 v[1:2], v[1:2], v[7:8], v[9:10]
	buffer_store_dword v4, off, s[0:3], 0 offset:436
	buffer_store_dword v3, off, s[0:3], 0 offset:432
	;; [unrolled: 1-line block ×4, first 2 shown]
.LBB48_119:
	s_or_b32 exec_lo, exec_lo, s4
	v_mov_b32_e32 v4, s34
	s_waitcnt_vscnt null, 0x0
	s_barrier
	buffer_gl0_inv
	s_mov_b32 s4, exec_lo
	s_clause 0x3
	buffer_load_dword v1, v4, s[0:3], 0 offen
	buffer_load_dword v2, v4, s[0:3], 0 offen offset:4
	buffer_load_dword v3, v4, s[0:3], 0 offen offset:8
	;; [unrolled: 1-line block ×3, first 2 shown]
	s_waitcnt vmcnt(0)
	ds_write_b128 v5, v[1:4]
	s_waitcnt lgkmcnt(0)
	s_barrier
	buffer_gl0_inv
	v_cmpx_gt_u32_e32 27, v0
	s_cbranch_execz .LBB48_123
; %bb.120:
	v_mov_b32_e32 v1, 0
	v_mov_b32_e32 v3, 0
	v_add_nc_u32_e32 v7, -1, v0
	v_add_nc_u32_e32 v8, 0x310, v161
	v_mov_b32_e32 v2, 0
	v_mov_b32_e32 v4, 0
	v_add_nc_u32_e32 v9, 16, v161
	s_mov_b32 s5, 0
	.p2align	6
.LBB48_121:                             ; =>This Inner Loop Header: Depth=1
	s_clause 0x3
	buffer_load_dword v10, v9, s[0:3], 0 offen offset:8
	buffer_load_dword v11, v9, s[0:3], 0 offen offset:12
	buffer_load_dword v31, v9, s[0:3], 0 offen
	buffer_load_dword v32, v9, s[0:3], 0 offen offset:4
	ds_read_b128 v[27:30], v8
	v_add_nc_u32_e32 v7, 1, v7
	v_add_nc_u32_e32 v8, 16, v8
	;; [unrolled: 1-line block ×3, first 2 shown]
	v_cmp_lt_u32_e32 vcc_lo, 25, v7
	s_or_b32 s5, vcc_lo, s5
	s_waitcnt vmcnt(2) lgkmcnt(0)
	v_mul_f64 v[37:38], v[29:30], v[10:11]
	v_mul_f64 v[10:11], v[27:28], v[10:11]
	s_waitcnt vmcnt(0)
	v_fma_f64 v[27:28], v[27:28], v[31:32], -v[37:38]
	v_fma_f64 v[10:11], v[29:30], v[31:32], v[10:11]
	v_add_f64 v[3:4], v[3:4], v[27:28]
	v_add_f64 v[1:2], v[1:2], v[10:11]
	s_andn2_b32 exec_lo, exec_lo, s5
	s_cbranch_execnz .LBB48_121
; %bb.122:
	s_or_b32 exec_lo, exec_lo, s5
	v_mov_b32_e32 v7, 0
	ds_read_b128 v[7:10], v7 offset:432
	s_waitcnt lgkmcnt(0)
	v_mul_f64 v[27:28], v[1:2], v[9:10]
	v_mul_f64 v[9:10], v[3:4], v[9:10]
	v_fma_f64 v[3:4], v[3:4], v[7:8], -v[27:28]
	v_fma_f64 v[1:2], v[1:2], v[7:8], v[9:10]
	buffer_store_dword v4, off, s[0:3], 0 offset:452
	buffer_store_dword v3, off, s[0:3], 0 offset:448
	;; [unrolled: 1-line block ×4, first 2 shown]
.LBB48_123:
	s_or_b32 exec_lo, exec_lo, s4
	v_mov_b32_e32 v4, s33
	s_waitcnt_vscnt null, 0x0
	s_barrier
	buffer_gl0_inv
	s_mov_b32 s4, exec_lo
	s_clause 0x3
	buffer_load_dword v1, v4, s[0:3], 0 offen
	buffer_load_dword v2, v4, s[0:3], 0 offen offset:4
	buffer_load_dword v3, v4, s[0:3], 0 offen offset:8
	;; [unrolled: 1-line block ×3, first 2 shown]
	s_waitcnt vmcnt(0)
	ds_write_b128 v5, v[1:4]
	s_waitcnt lgkmcnt(0)
	s_barrier
	buffer_gl0_inv
	v_cmpx_gt_u32_e32 28, v0
	s_cbranch_execz .LBB48_127
; %bb.124:
	v_mov_b32_e32 v1, 0
	v_mov_b32_e32 v3, 0
	v_add_nc_u32_e32 v7, -1, v0
	v_add_nc_u32_e32 v8, 0x310, v161
	v_mov_b32_e32 v2, 0
	v_mov_b32_e32 v4, 0
	v_add_nc_u32_e32 v9, 16, v161
	s_mov_b32 s5, 0
	.p2align	6
.LBB48_125:                             ; =>This Inner Loop Header: Depth=1
	s_clause 0x3
	buffer_load_dword v10, v9, s[0:3], 0 offen offset:8
	buffer_load_dword v11, v9, s[0:3], 0 offen offset:12
	buffer_load_dword v31, v9, s[0:3], 0 offen
	buffer_load_dword v32, v9, s[0:3], 0 offen offset:4
	ds_read_b128 v[27:30], v8
	v_add_nc_u32_e32 v7, 1, v7
	v_add_nc_u32_e32 v8, 16, v8
	;; [unrolled: 1-line block ×3, first 2 shown]
	v_cmp_lt_u32_e32 vcc_lo, 26, v7
	s_or_b32 s5, vcc_lo, s5
	s_waitcnt vmcnt(2) lgkmcnt(0)
	v_mul_f64 v[37:38], v[29:30], v[10:11]
	v_mul_f64 v[10:11], v[27:28], v[10:11]
	s_waitcnt vmcnt(0)
	v_fma_f64 v[27:28], v[27:28], v[31:32], -v[37:38]
	v_fma_f64 v[10:11], v[29:30], v[31:32], v[10:11]
	v_add_f64 v[3:4], v[3:4], v[27:28]
	v_add_f64 v[1:2], v[1:2], v[10:11]
	s_andn2_b32 exec_lo, exec_lo, s5
	s_cbranch_execnz .LBB48_125
; %bb.126:
	s_or_b32 exec_lo, exec_lo, s5
	v_mov_b32_e32 v7, 0
	ds_read_b128 v[7:10], v7 offset:448
	s_waitcnt lgkmcnt(0)
	v_mul_f64 v[27:28], v[1:2], v[9:10]
	v_mul_f64 v[9:10], v[3:4], v[9:10]
	v_fma_f64 v[3:4], v[3:4], v[7:8], -v[27:28]
	v_fma_f64 v[1:2], v[1:2], v[7:8], v[9:10]
	buffer_store_dword v4, off, s[0:3], 0 offset:468
	buffer_store_dword v3, off, s[0:3], 0 offset:464
	;; [unrolled: 1-line block ×4, first 2 shown]
.LBB48_127:
	s_or_b32 exec_lo, exec_lo, s4
	v_mov_b32_e32 v4, s31
	s_waitcnt_vscnt null, 0x0
	s_barrier
	buffer_gl0_inv
	s_mov_b32 s4, exec_lo
	s_clause 0x3
	buffer_load_dword v1, v4, s[0:3], 0 offen
	buffer_load_dword v2, v4, s[0:3], 0 offen offset:4
	buffer_load_dword v3, v4, s[0:3], 0 offen offset:8
	buffer_load_dword v4, v4, s[0:3], 0 offen offset:12
	s_waitcnt vmcnt(0)
	ds_write_b128 v5, v[1:4]
	s_waitcnt lgkmcnt(0)
	s_barrier
	buffer_gl0_inv
	v_cmpx_gt_u32_e32 29, v0
	s_cbranch_execz .LBB48_131
; %bb.128:
	v_mov_b32_e32 v1, 0
	v_mov_b32_e32 v3, 0
	v_add_nc_u32_e32 v7, -1, v0
	v_add_nc_u32_e32 v8, 0x310, v161
	v_mov_b32_e32 v2, 0
	v_mov_b32_e32 v4, 0
	v_add_nc_u32_e32 v9, 16, v161
	s_mov_b32 s5, 0
	.p2align	6
.LBB48_129:                             ; =>This Inner Loop Header: Depth=1
	s_clause 0x3
	buffer_load_dword v10, v9, s[0:3], 0 offen offset:8
	buffer_load_dword v11, v9, s[0:3], 0 offen offset:12
	buffer_load_dword v31, v9, s[0:3], 0 offen
	buffer_load_dword v32, v9, s[0:3], 0 offen offset:4
	ds_read_b128 v[27:30], v8
	v_add_nc_u32_e32 v7, 1, v7
	v_add_nc_u32_e32 v8, 16, v8
	;; [unrolled: 1-line block ×3, first 2 shown]
	v_cmp_lt_u32_e32 vcc_lo, 27, v7
	s_or_b32 s5, vcc_lo, s5
	s_waitcnt vmcnt(2) lgkmcnt(0)
	v_mul_f64 v[37:38], v[29:30], v[10:11]
	v_mul_f64 v[10:11], v[27:28], v[10:11]
	s_waitcnt vmcnt(0)
	v_fma_f64 v[27:28], v[27:28], v[31:32], -v[37:38]
	v_fma_f64 v[10:11], v[29:30], v[31:32], v[10:11]
	v_add_f64 v[3:4], v[3:4], v[27:28]
	v_add_f64 v[1:2], v[1:2], v[10:11]
	s_andn2_b32 exec_lo, exec_lo, s5
	s_cbranch_execnz .LBB48_129
; %bb.130:
	s_or_b32 exec_lo, exec_lo, s5
	v_mov_b32_e32 v7, 0
	ds_read_b128 v[7:10], v7 offset:464
	s_waitcnt lgkmcnt(0)
	v_mul_f64 v[27:28], v[1:2], v[9:10]
	v_mul_f64 v[9:10], v[3:4], v[9:10]
	v_fma_f64 v[3:4], v[3:4], v[7:8], -v[27:28]
	v_fma_f64 v[1:2], v[1:2], v[7:8], v[9:10]
	buffer_store_dword v4, off, s[0:3], 0 offset:484
	buffer_store_dword v3, off, s[0:3], 0 offset:480
	;; [unrolled: 1-line block ×4, first 2 shown]
.LBB48_131:
	s_or_b32 exec_lo, exec_lo, s4
	v_mov_b32_e32 v4, s30
	s_waitcnt_vscnt null, 0x0
	s_barrier
	buffer_gl0_inv
	s_mov_b32 s4, exec_lo
	s_clause 0x3
	buffer_load_dword v1, v4, s[0:3], 0 offen
	buffer_load_dword v2, v4, s[0:3], 0 offen offset:4
	buffer_load_dword v3, v4, s[0:3], 0 offen offset:8
	;; [unrolled: 1-line block ×3, first 2 shown]
	s_waitcnt vmcnt(0)
	ds_write_b128 v5, v[1:4]
	s_waitcnt lgkmcnt(0)
	s_barrier
	buffer_gl0_inv
	v_cmpx_gt_u32_e32 30, v0
	s_cbranch_execz .LBB48_135
; %bb.132:
	v_mov_b32_e32 v1, 0
	v_mov_b32_e32 v3, 0
	v_add_nc_u32_e32 v7, -1, v0
	v_add_nc_u32_e32 v8, 0x310, v161
	v_mov_b32_e32 v2, 0
	v_mov_b32_e32 v4, 0
	v_add_nc_u32_e32 v9, 16, v161
	s_mov_b32 s5, 0
	.p2align	6
.LBB48_133:                             ; =>This Inner Loop Header: Depth=1
	s_clause 0x3
	buffer_load_dword v10, v9, s[0:3], 0 offen offset:8
	buffer_load_dword v11, v9, s[0:3], 0 offen offset:12
	buffer_load_dword v31, v9, s[0:3], 0 offen
	buffer_load_dword v32, v9, s[0:3], 0 offen offset:4
	ds_read_b128 v[27:30], v8
	v_add_nc_u32_e32 v7, 1, v7
	v_add_nc_u32_e32 v8, 16, v8
	;; [unrolled: 1-line block ×3, first 2 shown]
	v_cmp_lt_u32_e32 vcc_lo, 28, v7
	s_or_b32 s5, vcc_lo, s5
	s_waitcnt vmcnt(2) lgkmcnt(0)
	v_mul_f64 v[37:38], v[29:30], v[10:11]
	v_mul_f64 v[10:11], v[27:28], v[10:11]
	s_waitcnt vmcnt(0)
	v_fma_f64 v[27:28], v[27:28], v[31:32], -v[37:38]
	v_fma_f64 v[10:11], v[29:30], v[31:32], v[10:11]
	v_add_f64 v[3:4], v[3:4], v[27:28]
	v_add_f64 v[1:2], v[1:2], v[10:11]
	s_andn2_b32 exec_lo, exec_lo, s5
	s_cbranch_execnz .LBB48_133
; %bb.134:
	s_or_b32 exec_lo, exec_lo, s5
	v_mov_b32_e32 v7, 0
	ds_read_b128 v[7:10], v7 offset:480
	s_waitcnt lgkmcnt(0)
	v_mul_f64 v[27:28], v[1:2], v[9:10]
	v_mul_f64 v[9:10], v[3:4], v[9:10]
	v_fma_f64 v[3:4], v[3:4], v[7:8], -v[27:28]
	v_fma_f64 v[1:2], v[1:2], v[7:8], v[9:10]
	buffer_store_dword v4, off, s[0:3], 0 offset:500
	buffer_store_dword v3, off, s[0:3], 0 offset:496
	;; [unrolled: 1-line block ×4, first 2 shown]
.LBB48_135:
	s_or_b32 exec_lo, exec_lo, s4
	v_mov_b32_e32 v4, s29
	s_waitcnt_vscnt null, 0x0
	s_barrier
	buffer_gl0_inv
	s_mov_b32 s4, exec_lo
	s_clause 0x3
	buffer_load_dword v1, v4, s[0:3], 0 offen
	buffer_load_dword v2, v4, s[0:3], 0 offen offset:4
	buffer_load_dword v3, v4, s[0:3], 0 offen offset:8
	buffer_load_dword v4, v4, s[0:3], 0 offen offset:12
	s_waitcnt vmcnt(0)
	ds_write_b128 v5, v[1:4]
	s_waitcnt lgkmcnt(0)
	s_barrier
	buffer_gl0_inv
	v_cmpx_gt_u32_e32 31, v0
	s_cbranch_execz .LBB48_139
; %bb.136:
	v_mov_b32_e32 v1, 0
	v_mov_b32_e32 v3, 0
	v_add_nc_u32_e32 v7, -1, v0
	v_add_nc_u32_e32 v8, 0x310, v161
	v_mov_b32_e32 v2, 0
	v_mov_b32_e32 v4, 0
	v_add_nc_u32_e32 v9, 16, v161
	s_mov_b32 s5, 0
	.p2align	6
.LBB48_137:                             ; =>This Inner Loop Header: Depth=1
	s_clause 0x3
	buffer_load_dword v10, v9, s[0:3], 0 offen offset:8
	buffer_load_dword v11, v9, s[0:3], 0 offen offset:12
	buffer_load_dword v31, v9, s[0:3], 0 offen
	buffer_load_dword v32, v9, s[0:3], 0 offen offset:4
	ds_read_b128 v[27:30], v8
	v_add_nc_u32_e32 v7, 1, v7
	v_add_nc_u32_e32 v8, 16, v8
	;; [unrolled: 1-line block ×3, first 2 shown]
	v_cmp_lt_u32_e32 vcc_lo, 29, v7
	s_or_b32 s5, vcc_lo, s5
	s_waitcnt vmcnt(2) lgkmcnt(0)
	v_mul_f64 v[37:38], v[29:30], v[10:11]
	v_mul_f64 v[10:11], v[27:28], v[10:11]
	s_waitcnt vmcnt(0)
	v_fma_f64 v[27:28], v[27:28], v[31:32], -v[37:38]
	v_fma_f64 v[10:11], v[29:30], v[31:32], v[10:11]
	v_add_f64 v[3:4], v[3:4], v[27:28]
	v_add_f64 v[1:2], v[1:2], v[10:11]
	s_andn2_b32 exec_lo, exec_lo, s5
	s_cbranch_execnz .LBB48_137
; %bb.138:
	s_or_b32 exec_lo, exec_lo, s5
	v_mov_b32_e32 v7, 0
	ds_read_b128 v[7:10], v7 offset:496
	s_waitcnt lgkmcnt(0)
	v_mul_f64 v[27:28], v[1:2], v[9:10]
	v_mul_f64 v[9:10], v[3:4], v[9:10]
	v_fma_f64 v[3:4], v[3:4], v[7:8], -v[27:28]
	v_fma_f64 v[1:2], v[1:2], v[7:8], v[9:10]
	buffer_store_dword v4, off, s[0:3], 0 offset:516
	buffer_store_dword v3, off, s[0:3], 0 offset:512
	;; [unrolled: 1-line block ×4, first 2 shown]
.LBB48_139:
	s_or_b32 exec_lo, exec_lo, s4
	v_mov_b32_e32 v4, s28
	s_waitcnt_vscnt null, 0x0
	s_barrier
	buffer_gl0_inv
	s_mov_b32 s4, exec_lo
	s_clause 0x3
	buffer_load_dword v1, v4, s[0:3], 0 offen
	buffer_load_dword v2, v4, s[0:3], 0 offen offset:4
	buffer_load_dword v3, v4, s[0:3], 0 offen offset:8
	;; [unrolled: 1-line block ×3, first 2 shown]
	s_waitcnt vmcnt(0)
	ds_write_b128 v5, v[1:4]
	s_waitcnt lgkmcnt(0)
	s_barrier
	buffer_gl0_inv
	v_cmpx_gt_u32_e32 32, v0
	s_cbranch_execz .LBB48_143
; %bb.140:
	v_mov_b32_e32 v1, 0
	v_mov_b32_e32 v3, 0
	v_add_nc_u32_e32 v7, -1, v0
	v_add_nc_u32_e32 v8, 0x310, v161
	v_mov_b32_e32 v2, 0
	v_mov_b32_e32 v4, 0
	v_add_nc_u32_e32 v9, 16, v161
	s_mov_b32 s5, 0
	.p2align	6
.LBB48_141:                             ; =>This Inner Loop Header: Depth=1
	s_clause 0x3
	buffer_load_dword v10, v9, s[0:3], 0 offen offset:8
	buffer_load_dword v11, v9, s[0:3], 0 offen offset:12
	buffer_load_dword v31, v9, s[0:3], 0 offen
	buffer_load_dword v32, v9, s[0:3], 0 offen offset:4
	ds_read_b128 v[27:30], v8
	v_add_nc_u32_e32 v7, 1, v7
	v_add_nc_u32_e32 v8, 16, v8
	v_add_nc_u32_e32 v9, 16, v9
	v_cmp_lt_u32_e32 vcc_lo, 30, v7
	s_or_b32 s5, vcc_lo, s5
	s_waitcnt vmcnt(2) lgkmcnt(0)
	v_mul_f64 v[37:38], v[29:30], v[10:11]
	v_mul_f64 v[10:11], v[27:28], v[10:11]
	s_waitcnt vmcnt(0)
	v_fma_f64 v[27:28], v[27:28], v[31:32], -v[37:38]
	v_fma_f64 v[10:11], v[29:30], v[31:32], v[10:11]
	v_add_f64 v[3:4], v[3:4], v[27:28]
	v_add_f64 v[1:2], v[1:2], v[10:11]
	s_andn2_b32 exec_lo, exec_lo, s5
	s_cbranch_execnz .LBB48_141
; %bb.142:
	s_or_b32 exec_lo, exec_lo, s5
	v_mov_b32_e32 v7, 0
	ds_read_b128 v[7:10], v7 offset:512
	s_waitcnt lgkmcnt(0)
	v_mul_f64 v[27:28], v[1:2], v[9:10]
	v_mul_f64 v[9:10], v[3:4], v[9:10]
	v_fma_f64 v[3:4], v[3:4], v[7:8], -v[27:28]
	v_fma_f64 v[1:2], v[1:2], v[7:8], v[9:10]
	buffer_store_dword v4, off, s[0:3], 0 offset:532
	buffer_store_dword v3, off, s[0:3], 0 offset:528
	;; [unrolled: 1-line block ×4, first 2 shown]
.LBB48_143:
	s_or_b32 exec_lo, exec_lo, s4
	v_mov_b32_e32 v4, s27
	s_waitcnt_vscnt null, 0x0
	s_barrier
	buffer_gl0_inv
	s_mov_b32 s4, exec_lo
	s_clause 0x3
	buffer_load_dword v1, v4, s[0:3], 0 offen
	buffer_load_dword v2, v4, s[0:3], 0 offen offset:4
	buffer_load_dword v3, v4, s[0:3], 0 offen offset:8
	buffer_load_dword v4, v4, s[0:3], 0 offen offset:12
	s_waitcnt vmcnt(0)
	ds_write_b128 v5, v[1:4]
	s_waitcnt lgkmcnt(0)
	s_barrier
	buffer_gl0_inv
	v_cmpx_gt_u32_e32 33, v0
	s_cbranch_execz .LBB48_147
; %bb.144:
	v_mov_b32_e32 v1, 0
	v_mov_b32_e32 v3, 0
	v_add_nc_u32_e32 v7, -1, v0
	v_add_nc_u32_e32 v8, 0x310, v161
	v_mov_b32_e32 v2, 0
	v_mov_b32_e32 v4, 0
	v_add_nc_u32_e32 v9, 16, v161
	s_mov_b32 s5, 0
	.p2align	6
.LBB48_145:                             ; =>This Inner Loop Header: Depth=1
	s_clause 0x3
	buffer_load_dword v10, v9, s[0:3], 0 offen offset:8
	buffer_load_dword v11, v9, s[0:3], 0 offen offset:12
	buffer_load_dword v31, v9, s[0:3], 0 offen
	buffer_load_dword v32, v9, s[0:3], 0 offen offset:4
	ds_read_b128 v[27:30], v8
	v_add_nc_u32_e32 v7, 1, v7
	v_add_nc_u32_e32 v8, 16, v8
	;; [unrolled: 1-line block ×3, first 2 shown]
	v_cmp_lt_u32_e32 vcc_lo, 31, v7
	s_or_b32 s5, vcc_lo, s5
	s_waitcnt vmcnt(2) lgkmcnt(0)
	v_mul_f64 v[37:38], v[29:30], v[10:11]
	v_mul_f64 v[10:11], v[27:28], v[10:11]
	s_waitcnt vmcnt(0)
	v_fma_f64 v[27:28], v[27:28], v[31:32], -v[37:38]
	v_fma_f64 v[10:11], v[29:30], v[31:32], v[10:11]
	v_add_f64 v[3:4], v[3:4], v[27:28]
	v_add_f64 v[1:2], v[1:2], v[10:11]
	s_andn2_b32 exec_lo, exec_lo, s5
	s_cbranch_execnz .LBB48_145
; %bb.146:
	s_or_b32 exec_lo, exec_lo, s5
	v_mov_b32_e32 v7, 0
	ds_read_b128 v[7:10], v7 offset:528
	s_waitcnt lgkmcnt(0)
	v_mul_f64 v[27:28], v[1:2], v[9:10]
	v_mul_f64 v[9:10], v[3:4], v[9:10]
	v_fma_f64 v[3:4], v[3:4], v[7:8], -v[27:28]
	v_fma_f64 v[1:2], v[1:2], v[7:8], v[9:10]
	buffer_store_dword v4, off, s[0:3], 0 offset:548
	buffer_store_dword v3, off, s[0:3], 0 offset:544
	;; [unrolled: 1-line block ×4, first 2 shown]
.LBB48_147:
	s_or_b32 exec_lo, exec_lo, s4
	v_mov_b32_e32 v4, s26
	s_waitcnt_vscnt null, 0x0
	s_barrier
	buffer_gl0_inv
	s_mov_b32 s4, exec_lo
	s_clause 0x3
	buffer_load_dword v1, v4, s[0:3], 0 offen
	buffer_load_dword v2, v4, s[0:3], 0 offen offset:4
	buffer_load_dword v3, v4, s[0:3], 0 offen offset:8
	;; [unrolled: 1-line block ×3, first 2 shown]
	s_waitcnt vmcnt(0)
	ds_write_b128 v5, v[1:4]
	s_waitcnt lgkmcnt(0)
	s_barrier
	buffer_gl0_inv
	v_cmpx_gt_u32_e32 34, v0
	s_cbranch_execz .LBB48_151
; %bb.148:
	v_mov_b32_e32 v1, 0
	v_mov_b32_e32 v3, 0
	v_add_nc_u32_e32 v7, -1, v0
	v_add_nc_u32_e32 v8, 0x310, v161
	v_mov_b32_e32 v2, 0
	v_mov_b32_e32 v4, 0
	v_add_nc_u32_e32 v9, 16, v161
	s_mov_b32 s5, 0
	.p2align	6
.LBB48_149:                             ; =>This Inner Loop Header: Depth=1
	s_clause 0x3
	buffer_load_dword v10, v9, s[0:3], 0 offen offset:8
	buffer_load_dword v11, v9, s[0:3], 0 offen offset:12
	buffer_load_dword v31, v9, s[0:3], 0 offen
	buffer_load_dword v32, v9, s[0:3], 0 offen offset:4
	ds_read_b128 v[27:30], v8
	v_add_nc_u32_e32 v7, 1, v7
	v_add_nc_u32_e32 v8, 16, v8
	;; [unrolled: 1-line block ×3, first 2 shown]
	v_cmp_lt_u32_e32 vcc_lo, 32, v7
	s_or_b32 s5, vcc_lo, s5
	s_waitcnt vmcnt(2) lgkmcnt(0)
	v_mul_f64 v[37:38], v[29:30], v[10:11]
	v_mul_f64 v[10:11], v[27:28], v[10:11]
	s_waitcnt vmcnt(0)
	v_fma_f64 v[27:28], v[27:28], v[31:32], -v[37:38]
	v_fma_f64 v[10:11], v[29:30], v[31:32], v[10:11]
	v_add_f64 v[3:4], v[3:4], v[27:28]
	v_add_f64 v[1:2], v[1:2], v[10:11]
	s_andn2_b32 exec_lo, exec_lo, s5
	s_cbranch_execnz .LBB48_149
; %bb.150:
	s_or_b32 exec_lo, exec_lo, s5
	v_mov_b32_e32 v7, 0
	ds_read_b128 v[7:10], v7 offset:544
	s_waitcnt lgkmcnt(0)
	v_mul_f64 v[27:28], v[1:2], v[9:10]
	v_mul_f64 v[9:10], v[3:4], v[9:10]
	v_fma_f64 v[3:4], v[3:4], v[7:8], -v[27:28]
	v_fma_f64 v[1:2], v[1:2], v[7:8], v[9:10]
	buffer_store_dword v4, off, s[0:3], 0 offset:564
	buffer_store_dword v3, off, s[0:3], 0 offset:560
	;; [unrolled: 1-line block ×4, first 2 shown]
.LBB48_151:
	s_or_b32 exec_lo, exec_lo, s4
	v_mov_b32_e32 v4, s25
	s_waitcnt_vscnt null, 0x0
	s_barrier
	buffer_gl0_inv
	s_mov_b32 s4, exec_lo
	s_clause 0x3
	buffer_load_dword v1, v4, s[0:3], 0 offen
	buffer_load_dword v2, v4, s[0:3], 0 offen offset:4
	buffer_load_dword v3, v4, s[0:3], 0 offen offset:8
	;; [unrolled: 1-line block ×3, first 2 shown]
	s_waitcnt vmcnt(0)
	ds_write_b128 v5, v[1:4]
	s_waitcnt lgkmcnt(0)
	s_barrier
	buffer_gl0_inv
	v_cmpx_gt_u32_e32 35, v0
	s_cbranch_execz .LBB48_155
; %bb.152:
	v_mov_b32_e32 v1, 0
	v_mov_b32_e32 v3, 0
	v_add_nc_u32_e32 v7, -1, v0
	v_add_nc_u32_e32 v8, 0x310, v161
	v_mov_b32_e32 v2, 0
	v_mov_b32_e32 v4, 0
	v_add_nc_u32_e32 v9, 16, v161
	s_mov_b32 s5, 0
	.p2align	6
.LBB48_153:                             ; =>This Inner Loop Header: Depth=1
	s_clause 0x3
	buffer_load_dword v10, v9, s[0:3], 0 offen offset:8
	buffer_load_dword v11, v9, s[0:3], 0 offen offset:12
	buffer_load_dword v31, v9, s[0:3], 0 offen
	buffer_load_dword v32, v9, s[0:3], 0 offen offset:4
	ds_read_b128 v[27:30], v8
	v_add_nc_u32_e32 v7, 1, v7
	v_add_nc_u32_e32 v8, 16, v8
	;; [unrolled: 1-line block ×3, first 2 shown]
	v_cmp_lt_u32_e32 vcc_lo, 33, v7
	s_or_b32 s5, vcc_lo, s5
	s_waitcnt vmcnt(2) lgkmcnt(0)
	v_mul_f64 v[37:38], v[29:30], v[10:11]
	v_mul_f64 v[10:11], v[27:28], v[10:11]
	s_waitcnt vmcnt(0)
	v_fma_f64 v[27:28], v[27:28], v[31:32], -v[37:38]
	v_fma_f64 v[10:11], v[29:30], v[31:32], v[10:11]
	v_add_f64 v[3:4], v[3:4], v[27:28]
	v_add_f64 v[1:2], v[1:2], v[10:11]
	s_andn2_b32 exec_lo, exec_lo, s5
	s_cbranch_execnz .LBB48_153
; %bb.154:
	s_or_b32 exec_lo, exec_lo, s5
	v_mov_b32_e32 v7, 0
	ds_read_b128 v[7:10], v7 offset:560
	s_waitcnt lgkmcnt(0)
	v_mul_f64 v[27:28], v[1:2], v[9:10]
	v_mul_f64 v[9:10], v[3:4], v[9:10]
	v_fma_f64 v[3:4], v[3:4], v[7:8], -v[27:28]
	v_fma_f64 v[1:2], v[1:2], v[7:8], v[9:10]
	buffer_store_dword v4, off, s[0:3], 0 offset:580
	buffer_store_dword v3, off, s[0:3], 0 offset:576
	;; [unrolled: 1-line block ×4, first 2 shown]
.LBB48_155:
	s_or_b32 exec_lo, exec_lo, s4
	v_mov_b32_e32 v4, s24
	s_waitcnt_vscnt null, 0x0
	s_barrier
	buffer_gl0_inv
	s_mov_b32 s4, exec_lo
	s_clause 0x3
	buffer_load_dword v1, v4, s[0:3], 0 offen
	buffer_load_dword v2, v4, s[0:3], 0 offen offset:4
	buffer_load_dword v3, v4, s[0:3], 0 offen offset:8
	;; [unrolled: 1-line block ×3, first 2 shown]
	s_waitcnt vmcnt(0)
	ds_write_b128 v5, v[1:4]
	s_waitcnt lgkmcnt(0)
	s_barrier
	buffer_gl0_inv
	v_cmpx_gt_u32_e32 36, v0
	s_cbranch_execz .LBB48_159
; %bb.156:
	v_mov_b32_e32 v1, 0
	v_mov_b32_e32 v3, 0
	v_add_nc_u32_e32 v7, -1, v0
	v_add_nc_u32_e32 v8, 0x310, v161
	v_mov_b32_e32 v2, 0
	v_mov_b32_e32 v4, 0
	v_add_nc_u32_e32 v9, 16, v161
	s_mov_b32 s5, 0
	.p2align	6
.LBB48_157:                             ; =>This Inner Loop Header: Depth=1
	s_clause 0x3
	buffer_load_dword v10, v9, s[0:3], 0 offen offset:8
	buffer_load_dword v11, v9, s[0:3], 0 offen offset:12
	buffer_load_dword v31, v9, s[0:3], 0 offen
	buffer_load_dword v32, v9, s[0:3], 0 offen offset:4
	ds_read_b128 v[27:30], v8
	v_add_nc_u32_e32 v7, 1, v7
	v_add_nc_u32_e32 v8, 16, v8
	;; [unrolled: 1-line block ×3, first 2 shown]
	v_cmp_lt_u32_e32 vcc_lo, 34, v7
	s_or_b32 s5, vcc_lo, s5
	s_waitcnt vmcnt(2) lgkmcnt(0)
	v_mul_f64 v[37:38], v[29:30], v[10:11]
	v_mul_f64 v[10:11], v[27:28], v[10:11]
	s_waitcnt vmcnt(0)
	v_fma_f64 v[27:28], v[27:28], v[31:32], -v[37:38]
	v_fma_f64 v[10:11], v[29:30], v[31:32], v[10:11]
	v_add_f64 v[3:4], v[3:4], v[27:28]
	v_add_f64 v[1:2], v[1:2], v[10:11]
	s_andn2_b32 exec_lo, exec_lo, s5
	s_cbranch_execnz .LBB48_157
; %bb.158:
	s_or_b32 exec_lo, exec_lo, s5
	v_mov_b32_e32 v7, 0
	ds_read_b128 v[7:10], v7 offset:576
	s_waitcnt lgkmcnt(0)
	v_mul_f64 v[27:28], v[1:2], v[9:10]
	v_mul_f64 v[9:10], v[3:4], v[9:10]
	v_fma_f64 v[3:4], v[3:4], v[7:8], -v[27:28]
	v_fma_f64 v[1:2], v[1:2], v[7:8], v[9:10]
	buffer_store_dword v4, off, s[0:3], 0 offset:596
	buffer_store_dword v3, off, s[0:3], 0 offset:592
	;; [unrolled: 1-line block ×4, first 2 shown]
.LBB48_159:
	s_or_b32 exec_lo, exec_lo, s4
	v_mov_b32_e32 v4, s23
	s_waitcnt_vscnt null, 0x0
	s_barrier
	buffer_gl0_inv
	s_mov_b32 s4, exec_lo
	s_clause 0x3
	buffer_load_dword v1, v4, s[0:3], 0 offen
	buffer_load_dword v2, v4, s[0:3], 0 offen offset:4
	buffer_load_dword v3, v4, s[0:3], 0 offen offset:8
	;; [unrolled: 1-line block ×3, first 2 shown]
	s_waitcnt vmcnt(0)
	ds_write_b128 v5, v[1:4]
	s_waitcnt lgkmcnt(0)
	s_barrier
	buffer_gl0_inv
	v_cmpx_gt_u32_e32 37, v0
	s_cbranch_execz .LBB48_163
; %bb.160:
	v_mov_b32_e32 v1, 0
	v_mov_b32_e32 v3, 0
	v_add_nc_u32_e32 v7, -1, v0
	v_add_nc_u32_e32 v8, 0x310, v161
	v_mov_b32_e32 v2, 0
	v_mov_b32_e32 v4, 0
	v_add_nc_u32_e32 v9, 16, v161
	s_mov_b32 s5, 0
	.p2align	6
.LBB48_161:                             ; =>This Inner Loop Header: Depth=1
	s_clause 0x3
	buffer_load_dword v10, v9, s[0:3], 0 offen offset:8
	buffer_load_dword v11, v9, s[0:3], 0 offen offset:12
	buffer_load_dword v31, v9, s[0:3], 0 offen
	buffer_load_dword v32, v9, s[0:3], 0 offen offset:4
	ds_read_b128 v[27:30], v8
	v_add_nc_u32_e32 v7, 1, v7
	v_add_nc_u32_e32 v8, 16, v8
	;; [unrolled: 1-line block ×3, first 2 shown]
	v_cmp_lt_u32_e32 vcc_lo, 35, v7
	s_or_b32 s5, vcc_lo, s5
	s_waitcnt vmcnt(2) lgkmcnt(0)
	v_mul_f64 v[37:38], v[29:30], v[10:11]
	v_mul_f64 v[10:11], v[27:28], v[10:11]
	s_waitcnt vmcnt(0)
	v_fma_f64 v[27:28], v[27:28], v[31:32], -v[37:38]
	v_fma_f64 v[10:11], v[29:30], v[31:32], v[10:11]
	v_add_f64 v[3:4], v[3:4], v[27:28]
	v_add_f64 v[1:2], v[1:2], v[10:11]
	s_andn2_b32 exec_lo, exec_lo, s5
	s_cbranch_execnz .LBB48_161
; %bb.162:
	s_or_b32 exec_lo, exec_lo, s5
	v_mov_b32_e32 v7, 0
	ds_read_b128 v[7:10], v7 offset:592
	s_waitcnt lgkmcnt(0)
	v_mul_f64 v[27:28], v[1:2], v[9:10]
	v_mul_f64 v[9:10], v[3:4], v[9:10]
	v_fma_f64 v[3:4], v[3:4], v[7:8], -v[27:28]
	v_fma_f64 v[1:2], v[1:2], v[7:8], v[9:10]
	buffer_store_dword v4, off, s[0:3], 0 offset:612
	buffer_store_dword v3, off, s[0:3], 0 offset:608
	;; [unrolled: 1-line block ×4, first 2 shown]
.LBB48_163:
	s_or_b32 exec_lo, exec_lo, s4
	v_mov_b32_e32 v4, s22
	s_waitcnt_vscnt null, 0x0
	s_barrier
	buffer_gl0_inv
	s_mov_b32 s4, exec_lo
	s_clause 0x3
	buffer_load_dword v1, v4, s[0:3], 0 offen
	buffer_load_dword v2, v4, s[0:3], 0 offen offset:4
	buffer_load_dword v3, v4, s[0:3], 0 offen offset:8
	;; [unrolled: 1-line block ×3, first 2 shown]
	s_waitcnt vmcnt(0)
	ds_write_b128 v5, v[1:4]
	s_waitcnt lgkmcnt(0)
	s_barrier
	buffer_gl0_inv
	v_cmpx_gt_u32_e32 38, v0
	s_cbranch_execz .LBB48_167
; %bb.164:
	v_mov_b32_e32 v1, 0
	v_mov_b32_e32 v3, 0
	v_add_nc_u32_e32 v7, -1, v0
	v_add_nc_u32_e32 v8, 0x310, v161
	v_mov_b32_e32 v2, 0
	v_mov_b32_e32 v4, 0
	v_add_nc_u32_e32 v9, 16, v161
	s_mov_b32 s5, 0
	.p2align	6
.LBB48_165:                             ; =>This Inner Loop Header: Depth=1
	s_clause 0x3
	buffer_load_dword v10, v9, s[0:3], 0 offen offset:8
	buffer_load_dword v11, v9, s[0:3], 0 offen offset:12
	buffer_load_dword v31, v9, s[0:3], 0 offen
	buffer_load_dword v32, v9, s[0:3], 0 offen offset:4
	ds_read_b128 v[27:30], v8
	v_add_nc_u32_e32 v7, 1, v7
	v_add_nc_u32_e32 v8, 16, v8
	;; [unrolled: 1-line block ×3, first 2 shown]
	v_cmp_lt_u32_e32 vcc_lo, 36, v7
	s_or_b32 s5, vcc_lo, s5
	s_waitcnt vmcnt(2) lgkmcnt(0)
	v_mul_f64 v[37:38], v[29:30], v[10:11]
	v_mul_f64 v[10:11], v[27:28], v[10:11]
	s_waitcnt vmcnt(0)
	v_fma_f64 v[27:28], v[27:28], v[31:32], -v[37:38]
	v_fma_f64 v[10:11], v[29:30], v[31:32], v[10:11]
	v_add_f64 v[3:4], v[3:4], v[27:28]
	v_add_f64 v[1:2], v[1:2], v[10:11]
	s_andn2_b32 exec_lo, exec_lo, s5
	s_cbranch_execnz .LBB48_165
; %bb.166:
	s_or_b32 exec_lo, exec_lo, s5
	v_mov_b32_e32 v7, 0
	ds_read_b128 v[7:10], v7 offset:608
	s_waitcnt lgkmcnt(0)
	v_mul_f64 v[27:28], v[1:2], v[9:10]
	v_mul_f64 v[9:10], v[3:4], v[9:10]
	v_fma_f64 v[3:4], v[3:4], v[7:8], -v[27:28]
	v_fma_f64 v[1:2], v[1:2], v[7:8], v[9:10]
	buffer_store_dword v4, off, s[0:3], 0 offset:628
	buffer_store_dword v3, off, s[0:3], 0 offset:624
	buffer_store_dword v2, off, s[0:3], 0 offset:636
	buffer_store_dword v1, off, s[0:3], 0 offset:632
.LBB48_167:
	s_or_b32 exec_lo, exec_lo, s4
	v_mov_b32_e32 v4, s19
	s_waitcnt_vscnt null, 0x0
	s_barrier
	buffer_gl0_inv
	s_mov_b32 s4, exec_lo
	s_clause 0x3
	buffer_load_dword v1, v4, s[0:3], 0 offen
	buffer_load_dword v2, v4, s[0:3], 0 offen offset:4
	buffer_load_dword v3, v4, s[0:3], 0 offen offset:8
	;; [unrolled: 1-line block ×3, first 2 shown]
	s_waitcnt vmcnt(0)
	ds_write_b128 v5, v[1:4]
	s_waitcnt lgkmcnt(0)
	s_barrier
	buffer_gl0_inv
	v_cmpx_gt_u32_e32 39, v0
	s_cbranch_execz .LBB48_171
; %bb.168:
	v_mov_b32_e32 v1, 0
	v_mov_b32_e32 v3, 0
	v_add_nc_u32_e32 v7, -1, v0
	v_add_nc_u32_e32 v8, 0x310, v161
	v_mov_b32_e32 v2, 0
	v_mov_b32_e32 v4, 0
	v_add_nc_u32_e32 v9, 16, v161
	s_mov_b32 s5, 0
	.p2align	6
.LBB48_169:                             ; =>This Inner Loop Header: Depth=1
	s_clause 0x3
	buffer_load_dword v10, v9, s[0:3], 0 offen offset:8
	buffer_load_dword v11, v9, s[0:3], 0 offen offset:12
	buffer_load_dword v31, v9, s[0:3], 0 offen
	buffer_load_dword v32, v9, s[0:3], 0 offen offset:4
	ds_read_b128 v[27:30], v8
	v_add_nc_u32_e32 v7, 1, v7
	v_add_nc_u32_e32 v8, 16, v8
	;; [unrolled: 1-line block ×3, first 2 shown]
	v_cmp_lt_u32_e32 vcc_lo, 37, v7
	s_or_b32 s5, vcc_lo, s5
	s_waitcnt vmcnt(2) lgkmcnt(0)
	v_mul_f64 v[37:38], v[29:30], v[10:11]
	v_mul_f64 v[10:11], v[27:28], v[10:11]
	s_waitcnt vmcnt(0)
	v_fma_f64 v[27:28], v[27:28], v[31:32], -v[37:38]
	v_fma_f64 v[10:11], v[29:30], v[31:32], v[10:11]
	v_add_f64 v[3:4], v[3:4], v[27:28]
	v_add_f64 v[1:2], v[1:2], v[10:11]
	s_andn2_b32 exec_lo, exec_lo, s5
	s_cbranch_execnz .LBB48_169
; %bb.170:
	s_or_b32 exec_lo, exec_lo, s5
	v_mov_b32_e32 v7, 0
	ds_read_b128 v[7:10], v7 offset:624
	s_waitcnt lgkmcnt(0)
	v_mul_f64 v[27:28], v[1:2], v[9:10]
	v_mul_f64 v[9:10], v[3:4], v[9:10]
	v_fma_f64 v[3:4], v[3:4], v[7:8], -v[27:28]
	v_fma_f64 v[1:2], v[1:2], v[7:8], v[9:10]
	buffer_store_dword v4, off, s[0:3], 0 offset:644
	buffer_store_dword v3, off, s[0:3], 0 offset:640
	;; [unrolled: 1-line block ×4, first 2 shown]
.LBB48_171:
	s_or_b32 exec_lo, exec_lo, s4
	v_mov_b32_e32 v4, s18
	s_waitcnt_vscnt null, 0x0
	s_barrier
	buffer_gl0_inv
	s_mov_b32 s4, exec_lo
	s_clause 0x3
	buffer_load_dword v1, v4, s[0:3], 0 offen
	buffer_load_dword v2, v4, s[0:3], 0 offen offset:4
	buffer_load_dword v3, v4, s[0:3], 0 offen offset:8
	;; [unrolled: 1-line block ×3, first 2 shown]
	s_waitcnt vmcnt(0)
	ds_write_b128 v5, v[1:4]
	s_waitcnt lgkmcnt(0)
	s_barrier
	buffer_gl0_inv
	v_cmpx_gt_u32_e32 40, v0
	s_cbranch_execz .LBB48_175
; %bb.172:
	v_mov_b32_e32 v1, 0
	v_mov_b32_e32 v3, 0
	v_add_nc_u32_e32 v7, -1, v0
	v_add_nc_u32_e32 v8, 0x310, v161
	v_mov_b32_e32 v2, 0
	v_mov_b32_e32 v4, 0
	v_add_nc_u32_e32 v9, 16, v161
	s_mov_b32 s5, 0
	.p2align	6
.LBB48_173:                             ; =>This Inner Loop Header: Depth=1
	s_clause 0x3
	buffer_load_dword v10, v9, s[0:3], 0 offen offset:8
	buffer_load_dword v11, v9, s[0:3], 0 offen offset:12
	buffer_load_dword v31, v9, s[0:3], 0 offen
	buffer_load_dword v32, v9, s[0:3], 0 offen offset:4
	ds_read_b128 v[27:30], v8
	v_add_nc_u32_e32 v7, 1, v7
	v_add_nc_u32_e32 v8, 16, v8
	;; [unrolled: 1-line block ×3, first 2 shown]
	v_cmp_lt_u32_e32 vcc_lo, 38, v7
	s_or_b32 s5, vcc_lo, s5
	s_waitcnt vmcnt(2) lgkmcnt(0)
	v_mul_f64 v[37:38], v[29:30], v[10:11]
	v_mul_f64 v[10:11], v[27:28], v[10:11]
	s_waitcnt vmcnt(0)
	v_fma_f64 v[27:28], v[27:28], v[31:32], -v[37:38]
	v_fma_f64 v[10:11], v[29:30], v[31:32], v[10:11]
	v_add_f64 v[3:4], v[3:4], v[27:28]
	v_add_f64 v[1:2], v[1:2], v[10:11]
	s_andn2_b32 exec_lo, exec_lo, s5
	s_cbranch_execnz .LBB48_173
; %bb.174:
	s_or_b32 exec_lo, exec_lo, s5
	v_mov_b32_e32 v7, 0
	ds_read_b128 v[7:10], v7 offset:640
	s_waitcnt lgkmcnt(0)
	v_mul_f64 v[27:28], v[1:2], v[9:10]
	v_mul_f64 v[9:10], v[3:4], v[9:10]
	v_fma_f64 v[3:4], v[3:4], v[7:8], -v[27:28]
	v_fma_f64 v[1:2], v[1:2], v[7:8], v[9:10]
	buffer_store_dword v4, off, s[0:3], 0 offset:660
	buffer_store_dword v3, off, s[0:3], 0 offset:656
	buffer_store_dword v2, off, s[0:3], 0 offset:668
	buffer_store_dword v1, off, s[0:3], 0 offset:664
.LBB48_175:
	s_or_b32 exec_lo, exec_lo, s4
	v_mov_b32_e32 v4, s17
	s_waitcnt_vscnt null, 0x0
	s_barrier
	buffer_gl0_inv
	s_mov_b32 s4, exec_lo
	s_clause 0x3
	buffer_load_dword v1, v4, s[0:3], 0 offen
	buffer_load_dword v2, v4, s[0:3], 0 offen offset:4
	buffer_load_dword v3, v4, s[0:3], 0 offen offset:8
	;; [unrolled: 1-line block ×3, first 2 shown]
	s_waitcnt vmcnt(0)
	ds_write_b128 v5, v[1:4]
	s_waitcnt lgkmcnt(0)
	s_barrier
	buffer_gl0_inv
	v_cmpx_gt_u32_e32 41, v0
	s_cbranch_execz .LBB48_179
; %bb.176:
	v_mov_b32_e32 v1, 0
	v_mov_b32_e32 v3, 0
	v_add_nc_u32_e32 v7, -1, v0
	v_add_nc_u32_e32 v8, 0x310, v161
	v_mov_b32_e32 v2, 0
	v_mov_b32_e32 v4, 0
	v_add_nc_u32_e32 v9, 16, v161
	s_mov_b32 s5, 0
	.p2align	6
.LBB48_177:                             ; =>This Inner Loop Header: Depth=1
	s_clause 0x3
	buffer_load_dword v10, v9, s[0:3], 0 offen offset:8
	buffer_load_dword v11, v9, s[0:3], 0 offen offset:12
	buffer_load_dword v31, v9, s[0:3], 0 offen
	buffer_load_dword v32, v9, s[0:3], 0 offen offset:4
	ds_read_b128 v[27:30], v8
	v_add_nc_u32_e32 v7, 1, v7
	v_add_nc_u32_e32 v8, 16, v8
	;; [unrolled: 1-line block ×3, first 2 shown]
	v_cmp_lt_u32_e32 vcc_lo, 39, v7
	s_or_b32 s5, vcc_lo, s5
	s_waitcnt vmcnt(2) lgkmcnt(0)
	v_mul_f64 v[37:38], v[29:30], v[10:11]
	v_mul_f64 v[10:11], v[27:28], v[10:11]
	s_waitcnt vmcnt(0)
	v_fma_f64 v[27:28], v[27:28], v[31:32], -v[37:38]
	v_fma_f64 v[10:11], v[29:30], v[31:32], v[10:11]
	v_add_f64 v[3:4], v[3:4], v[27:28]
	v_add_f64 v[1:2], v[1:2], v[10:11]
	s_andn2_b32 exec_lo, exec_lo, s5
	s_cbranch_execnz .LBB48_177
; %bb.178:
	s_or_b32 exec_lo, exec_lo, s5
	v_mov_b32_e32 v7, 0
	ds_read_b128 v[7:10], v7 offset:656
	s_waitcnt lgkmcnt(0)
	v_mul_f64 v[27:28], v[1:2], v[9:10]
	v_mul_f64 v[9:10], v[3:4], v[9:10]
	v_fma_f64 v[3:4], v[3:4], v[7:8], -v[27:28]
	v_fma_f64 v[1:2], v[1:2], v[7:8], v[9:10]
	buffer_store_dword v4, off, s[0:3], 0 offset:676
	buffer_store_dword v3, off, s[0:3], 0 offset:672
	;; [unrolled: 1-line block ×4, first 2 shown]
.LBB48_179:
	s_or_b32 exec_lo, exec_lo, s4
	v_mov_b32_e32 v4, s16
	s_waitcnt_vscnt null, 0x0
	s_barrier
	buffer_gl0_inv
	s_mov_b32 s4, exec_lo
	s_clause 0x3
	buffer_load_dword v1, v4, s[0:3], 0 offen
	buffer_load_dword v2, v4, s[0:3], 0 offen offset:4
	buffer_load_dword v3, v4, s[0:3], 0 offen offset:8
	;; [unrolled: 1-line block ×3, first 2 shown]
	s_waitcnt vmcnt(0)
	ds_write_b128 v5, v[1:4]
	s_waitcnt lgkmcnt(0)
	s_barrier
	buffer_gl0_inv
	v_cmpx_gt_u32_e32 42, v0
	s_cbranch_execz .LBB48_183
; %bb.180:
	v_mov_b32_e32 v1, 0
	v_mov_b32_e32 v3, 0
	v_add_nc_u32_e32 v7, -1, v0
	v_add_nc_u32_e32 v8, 0x310, v161
	v_mov_b32_e32 v2, 0
	v_mov_b32_e32 v4, 0
	v_add_nc_u32_e32 v9, 16, v161
	s_mov_b32 s5, 0
	.p2align	6
.LBB48_181:                             ; =>This Inner Loop Header: Depth=1
	s_clause 0x3
	buffer_load_dword v10, v9, s[0:3], 0 offen offset:8
	buffer_load_dword v11, v9, s[0:3], 0 offen offset:12
	buffer_load_dword v31, v9, s[0:3], 0 offen
	buffer_load_dword v32, v9, s[0:3], 0 offen offset:4
	ds_read_b128 v[27:30], v8
	v_add_nc_u32_e32 v7, 1, v7
	v_add_nc_u32_e32 v8, 16, v8
	v_add_nc_u32_e32 v9, 16, v9
	v_cmp_lt_u32_e32 vcc_lo, 40, v7
	s_or_b32 s5, vcc_lo, s5
	s_waitcnt vmcnt(2) lgkmcnt(0)
	v_mul_f64 v[37:38], v[29:30], v[10:11]
	v_mul_f64 v[10:11], v[27:28], v[10:11]
	s_waitcnt vmcnt(0)
	v_fma_f64 v[27:28], v[27:28], v[31:32], -v[37:38]
	v_fma_f64 v[10:11], v[29:30], v[31:32], v[10:11]
	v_add_f64 v[3:4], v[3:4], v[27:28]
	v_add_f64 v[1:2], v[1:2], v[10:11]
	s_andn2_b32 exec_lo, exec_lo, s5
	s_cbranch_execnz .LBB48_181
; %bb.182:
	s_or_b32 exec_lo, exec_lo, s5
	v_mov_b32_e32 v7, 0
	ds_read_b128 v[7:10], v7 offset:672
	s_waitcnt lgkmcnt(0)
	v_mul_f64 v[27:28], v[1:2], v[9:10]
	v_mul_f64 v[9:10], v[3:4], v[9:10]
	v_fma_f64 v[3:4], v[3:4], v[7:8], -v[27:28]
	v_fma_f64 v[1:2], v[1:2], v[7:8], v[9:10]
	buffer_store_dword v4, off, s[0:3], 0 offset:692
	buffer_store_dword v3, off, s[0:3], 0 offset:688
	;; [unrolled: 1-line block ×4, first 2 shown]
.LBB48_183:
	s_or_b32 exec_lo, exec_lo, s4
	v_mov_b32_e32 v4, s15
	s_waitcnt_vscnt null, 0x0
	s_barrier
	buffer_gl0_inv
	s_mov_b32 s4, exec_lo
	s_clause 0x3
	buffer_load_dword v1, v4, s[0:3], 0 offen
	buffer_load_dword v2, v4, s[0:3], 0 offen offset:4
	buffer_load_dword v3, v4, s[0:3], 0 offen offset:8
	;; [unrolled: 1-line block ×3, first 2 shown]
	s_waitcnt vmcnt(0)
	ds_write_b128 v5, v[1:4]
	s_waitcnt lgkmcnt(0)
	s_barrier
	buffer_gl0_inv
	v_cmpx_gt_u32_e32 43, v0
	s_cbranch_execz .LBB48_187
; %bb.184:
	v_mov_b32_e32 v1, 0
	v_mov_b32_e32 v3, 0
	v_add_nc_u32_e32 v7, -1, v0
	v_add_nc_u32_e32 v8, 0x310, v161
	v_mov_b32_e32 v2, 0
	v_mov_b32_e32 v4, 0
	v_add_nc_u32_e32 v9, 16, v161
	s_mov_b32 s5, 0
	.p2align	6
.LBB48_185:                             ; =>This Inner Loop Header: Depth=1
	s_clause 0x3
	buffer_load_dword v10, v9, s[0:3], 0 offen offset:8
	buffer_load_dword v11, v9, s[0:3], 0 offen offset:12
	buffer_load_dword v31, v9, s[0:3], 0 offen
	buffer_load_dword v32, v9, s[0:3], 0 offen offset:4
	ds_read_b128 v[27:30], v8
	v_add_nc_u32_e32 v7, 1, v7
	v_add_nc_u32_e32 v8, 16, v8
	;; [unrolled: 1-line block ×3, first 2 shown]
	v_cmp_lt_u32_e32 vcc_lo, 41, v7
	s_or_b32 s5, vcc_lo, s5
	s_waitcnt vmcnt(2) lgkmcnt(0)
	v_mul_f64 v[37:38], v[29:30], v[10:11]
	v_mul_f64 v[10:11], v[27:28], v[10:11]
	s_waitcnt vmcnt(0)
	v_fma_f64 v[27:28], v[27:28], v[31:32], -v[37:38]
	v_fma_f64 v[10:11], v[29:30], v[31:32], v[10:11]
	v_add_f64 v[3:4], v[3:4], v[27:28]
	v_add_f64 v[1:2], v[1:2], v[10:11]
	s_andn2_b32 exec_lo, exec_lo, s5
	s_cbranch_execnz .LBB48_185
; %bb.186:
	s_or_b32 exec_lo, exec_lo, s5
	v_mov_b32_e32 v7, 0
	ds_read_b128 v[7:10], v7 offset:688
	s_waitcnt lgkmcnt(0)
	v_mul_f64 v[27:28], v[1:2], v[9:10]
	v_mul_f64 v[9:10], v[3:4], v[9:10]
	v_fma_f64 v[3:4], v[3:4], v[7:8], -v[27:28]
	v_fma_f64 v[1:2], v[1:2], v[7:8], v[9:10]
	buffer_store_dword v4, off, s[0:3], 0 offset:708
	buffer_store_dword v3, off, s[0:3], 0 offset:704
	;; [unrolled: 1-line block ×4, first 2 shown]
.LBB48_187:
	s_or_b32 exec_lo, exec_lo, s4
	v_mov_b32_e32 v4, s14
	s_waitcnt_vscnt null, 0x0
	s_barrier
	buffer_gl0_inv
	s_mov_b32 s4, exec_lo
	s_clause 0x3
	buffer_load_dword v1, v4, s[0:3], 0 offen
	buffer_load_dword v2, v4, s[0:3], 0 offen offset:4
	buffer_load_dword v3, v4, s[0:3], 0 offen offset:8
	buffer_load_dword v4, v4, s[0:3], 0 offen offset:12
	s_waitcnt vmcnt(0)
	ds_write_b128 v5, v[1:4]
	s_waitcnt lgkmcnt(0)
	s_barrier
	buffer_gl0_inv
	v_cmpx_gt_u32_e32 44, v0
	s_cbranch_execz .LBB48_191
; %bb.188:
	v_mov_b32_e32 v1, 0
	v_mov_b32_e32 v3, 0
	v_add_nc_u32_e32 v7, -1, v0
	v_add_nc_u32_e32 v8, 0x310, v161
	v_mov_b32_e32 v2, 0
	v_mov_b32_e32 v4, 0
	v_add_nc_u32_e32 v9, 16, v161
	s_mov_b32 s5, 0
	.p2align	6
.LBB48_189:                             ; =>This Inner Loop Header: Depth=1
	s_clause 0x3
	buffer_load_dword v10, v9, s[0:3], 0 offen offset:8
	buffer_load_dword v11, v9, s[0:3], 0 offen offset:12
	buffer_load_dword v31, v9, s[0:3], 0 offen
	buffer_load_dword v32, v9, s[0:3], 0 offen offset:4
	ds_read_b128 v[27:30], v8
	v_add_nc_u32_e32 v7, 1, v7
	v_add_nc_u32_e32 v8, 16, v8
	;; [unrolled: 1-line block ×3, first 2 shown]
	v_cmp_lt_u32_e32 vcc_lo, 42, v7
	s_or_b32 s5, vcc_lo, s5
	s_waitcnt vmcnt(2) lgkmcnt(0)
	v_mul_f64 v[37:38], v[29:30], v[10:11]
	v_mul_f64 v[10:11], v[27:28], v[10:11]
	s_waitcnt vmcnt(0)
	v_fma_f64 v[27:28], v[27:28], v[31:32], -v[37:38]
	v_fma_f64 v[10:11], v[29:30], v[31:32], v[10:11]
	v_add_f64 v[3:4], v[3:4], v[27:28]
	v_add_f64 v[1:2], v[1:2], v[10:11]
	s_andn2_b32 exec_lo, exec_lo, s5
	s_cbranch_execnz .LBB48_189
; %bb.190:
	s_or_b32 exec_lo, exec_lo, s5
	v_mov_b32_e32 v7, 0
	ds_read_b128 v[7:10], v7 offset:704
	s_waitcnt lgkmcnt(0)
	v_mul_f64 v[27:28], v[1:2], v[9:10]
	v_mul_f64 v[9:10], v[3:4], v[9:10]
	v_fma_f64 v[3:4], v[3:4], v[7:8], -v[27:28]
	v_fma_f64 v[1:2], v[1:2], v[7:8], v[9:10]
	buffer_store_dword v4, off, s[0:3], 0 offset:724
	buffer_store_dword v3, off, s[0:3], 0 offset:720
	;; [unrolled: 1-line block ×4, first 2 shown]
.LBB48_191:
	s_or_b32 exec_lo, exec_lo, s4
	v_mov_b32_e32 v4, s13
	s_waitcnt_vscnt null, 0x0
	s_barrier
	buffer_gl0_inv
	s_mov_b32 s4, exec_lo
	s_clause 0x3
	buffer_load_dword v1, v4, s[0:3], 0 offen
	buffer_load_dword v2, v4, s[0:3], 0 offen offset:4
	buffer_load_dword v3, v4, s[0:3], 0 offen offset:8
	;; [unrolled: 1-line block ×3, first 2 shown]
	s_waitcnt vmcnt(0)
	ds_write_b128 v5, v[1:4]
	s_waitcnt lgkmcnt(0)
	s_barrier
	buffer_gl0_inv
	v_cmpx_gt_u32_e32 45, v0
	s_cbranch_execz .LBB48_195
; %bb.192:
	v_mov_b32_e32 v1, 0
	v_mov_b32_e32 v3, 0
	v_add_nc_u32_e32 v7, -1, v0
	v_add_nc_u32_e32 v8, 0x310, v161
	v_mov_b32_e32 v2, 0
	v_mov_b32_e32 v4, 0
	v_add_nc_u32_e32 v9, 16, v161
	s_mov_b32 s5, 0
	.p2align	6
.LBB48_193:                             ; =>This Inner Loop Header: Depth=1
	s_clause 0x3
	buffer_load_dword v10, v9, s[0:3], 0 offen offset:8
	buffer_load_dword v11, v9, s[0:3], 0 offen offset:12
	buffer_load_dword v31, v9, s[0:3], 0 offen
	buffer_load_dword v32, v9, s[0:3], 0 offen offset:4
	ds_read_b128 v[27:30], v8
	v_add_nc_u32_e32 v7, 1, v7
	v_add_nc_u32_e32 v8, 16, v8
	;; [unrolled: 1-line block ×3, first 2 shown]
	v_cmp_lt_u32_e32 vcc_lo, 43, v7
	s_or_b32 s5, vcc_lo, s5
	s_waitcnt vmcnt(2) lgkmcnt(0)
	v_mul_f64 v[37:38], v[29:30], v[10:11]
	v_mul_f64 v[10:11], v[27:28], v[10:11]
	s_waitcnt vmcnt(0)
	v_fma_f64 v[27:28], v[27:28], v[31:32], -v[37:38]
	v_fma_f64 v[10:11], v[29:30], v[31:32], v[10:11]
	v_add_f64 v[3:4], v[3:4], v[27:28]
	v_add_f64 v[1:2], v[1:2], v[10:11]
	s_andn2_b32 exec_lo, exec_lo, s5
	s_cbranch_execnz .LBB48_193
; %bb.194:
	s_or_b32 exec_lo, exec_lo, s5
	v_mov_b32_e32 v7, 0
	ds_read_b128 v[7:10], v7 offset:720
	s_waitcnt lgkmcnt(0)
	v_mul_f64 v[27:28], v[1:2], v[9:10]
	v_mul_f64 v[9:10], v[3:4], v[9:10]
	v_fma_f64 v[3:4], v[3:4], v[7:8], -v[27:28]
	v_fma_f64 v[1:2], v[1:2], v[7:8], v[9:10]
	buffer_store_dword v4, off, s[0:3], 0 offset:740
	buffer_store_dword v3, off, s[0:3], 0 offset:736
	;; [unrolled: 1-line block ×4, first 2 shown]
.LBB48_195:
	s_or_b32 exec_lo, exec_lo, s4
	v_mov_b32_e32 v4, s12
	s_waitcnt_vscnt null, 0x0
	s_barrier
	buffer_gl0_inv
	s_mov_b32 s4, exec_lo
	s_clause 0x3
	buffer_load_dword v1, v4, s[0:3], 0 offen
	buffer_load_dword v2, v4, s[0:3], 0 offen offset:4
	buffer_load_dword v3, v4, s[0:3], 0 offen offset:8
	;; [unrolled: 1-line block ×3, first 2 shown]
	s_waitcnt vmcnt(0)
	ds_write_b128 v5, v[1:4]
	s_waitcnt lgkmcnt(0)
	s_barrier
	buffer_gl0_inv
	v_cmpx_gt_u32_e32 46, v0
	s_cbranch_execz .LBB48_199
; %bb.196:
	v_mov_b32_e32 v1, 0
	v_mov_b32_e32 v3, 0
	v_add_nc_u32_e32 v7, -1, v0
	v_add_nc_u32_e32 v8, 0x310, v161
	v_mov_b32_e32 v2, 0
	v_mov_b32_e32 v4, 0
	v_add_nc_u32_e32 v9, 16, v161
	s_mov_b32 s5, 0
	.p2align	6
.LBB48_197:                             ; =>This Inner Loop Header: Depth=1
	s_clause 0x3
	buffer_load_dword v10, v9, s[0:3], 0 offen offset:8
	buffer_load_dword v11, v9, s[0:3], 0 offen offset:12
	buffer_load_dword v31, v9, s[0:3], 0 offen
	buffer_load_dword v32, v9, s[0:3], 0 offen offset:4
	ds_read_b128 v[27:30], v8
	v_add_nc_u32_e32 v7, 1, v7
	v_add_nc_u32_e32 v8, 16, v8
	;; [unrolled: 1-line block ×3, first 2 shown]
	v_cmp_lt_u32_e32 vcc_lo, 44, v7
	s_or_b32 s5, vcc_lo, s5
	s_waitcnt vmcnt(2) lgkmcnt(0)
	v_mul_f64 v[37:38], v[29:30], v[10:11]
	v_mul_f64 v[10:11], v[27:28], v[10:11]
	s_waitcnt vmcnt(0)
	v_fma_f64 v[27:28], v[27:28], v[31:32], -v[37:38]
	v_fma_f64 v[10:11], v[29:30], v[31:32], v[10:11]
	v_add_f64 v[3:4], v[3:4], v[27:28]
	v_add_f64 v[1:2], v[1:2], v[10:11]
	s_andn2_b32 exec_lo, exec_lo, s5
	s_cbranch_execnz .LBB48_197
; %bb.198:
	s_or_b32 exec_lo, exec_lo, s5
	v_mov_b32_e32 v7, 0
	ds_read_b128 v[7:10], v7 offset:736
	s_waitcnt lgkmcnt(0)
	v_mul_f64 v[27:28], v[1:2], v[9:10]
	v_mul_f64 v[9:10], v[3:4], v[9:10]
	v_fma_f64 v[3:4], v[3:4], v[7:8], -v[27:28]
	v_fma_f64 v[1:2], v[1:2], v[7:8], v[9:10]
	buffer_store_dword v4, off, s[0:3], 0 offset:756
	buffer_store_dword v3, off, s[0:3], 0 offset:752
	;; [unrolled: 1-line block ×4, first 2 shown]
.LBB48_199:
	s_or_b32 exec_lo, exec_lo, s4
	v_mov_b32_e32 v4, s9
	s_waitcnt_vscnt null, 0x0
	s_barrier
	buffer_gl0_inv
	s_mov_b32 s4, exec_lo
	s_clause 0x3
	buffer_load_dword v1, v4, s[0:3], 0 offen
	buffer_load_dword v2, v4, s[0:3], 0 offen offset:4
	buffer_load_dword v3, v4, s[0:3], 0 offen offset:8
	;; [unrolled: 1-line block ×3, first 2 shown]
	s_waitcnt vmcnt(0)
	ds_write_b128 v5, v[1:4]
	s_waitcnt lgkmcnt(0)
	s_barrier
	buffer_gl0_inv
	v_cmpx_gt_u32_e32 47, v0
	s_cbranch_execz .LBB48_203
; %bb.200:
	v_mov_b32_e32 v1, 0
	v_mov_b32_e32 v3, 0
	v_add_nc_u32_e32 v7, -1, v0
	v_add_nc_u32_e32 v8, 0x310, v161
	v_mov_b32_e32 v2, 0
	v_mov_b32_e32 v4, 0
	v_add_nc_u32_e32 v9, 16, v161
	s_mov_b32 s5, 0
	.p2align	6
.LBB48_201:                             ; =>This Inner Loop Header: Depth=1
	s_clause 0x3
	buffer_load_dword v10, v9, s[0:3], 0 offen offset:8
	buffer_load_dword v11, v9, s[0:3], 0 offen offset:12
	buffer_load_dword v31, v9, s[0:3], 0 offen
	buffer_load_dword v32, v9, s[0:3], 0 offen offset:4
	ds_read_b128 v[27:30], v8
	v_add_nc_u32_e32 v7, 1, v7
	v_add_nc_u32_e32 v8, 16, v8
	;; [unrolled: 1-line block ×3, first 2 shown]
	v_cmp_lt_u32_e32 vcc_lo, 45, v7
	s_or_b32 s5, vcc_lo, s5
	s_waitcnt vmcnt(2) lgkmcnt(0)
	v_mul_f64 v[37:38], v[29:30], v[10:11]
	v_mul_f64 v[10:11], v[27:28], v[10:11]
	s_waitcnt vmcnt(0)
	v_fma_f64 v[27:28], v[27:28], v[31:32], -v[37:38]
	v_fma_f64 v[10:11], v[29:30], v[31:32], v[10:11]
	v_add_f64 v[3:4], v[3:4], v[27:28]
	v_add_f64 v[1:2], v[1:2], v[10:11]
	s_andn2_b32 exec_lo, exec_lo, s5
	s_cbranch_execnz .LBB48_201
; %bb.202:
	s_or_b32 exec_lo, exec_lo, s5
	v_mov_b32_e32 v7, 0
	ds_read_b128 v[7:10], v7 offset:752
	s_waitcnt lgkmcnt(0)
	v_mul_f64 v[27:28], v[1:2], v[9:10]
	v_mul_f64 v[9:10], v[3:4], v[9:10]
	v_fma_f64 v[3:4], v[3:4], v[7:8], -v[27:28]
	v_fma_f64 v[1:2], v[1:2], v[7:8], v[9:10]
	buffer_store_dword v4, off, s[0:3], 0 offset:772
	buffer_store_dword v3, off, s[0:3], 0 offset:768
	;; [unrolled: 1-line block ×4, first 2 shown]
.LBB48_203:
	s_or_b32 exec_lo, exec_lo, s4
	v_mov_b32_e32 v4, s8
	s_waitcnt_vscnt null, 0x0
	s_barrier
	buffer_gl0_inv
	s_mov_b32 s4, exec_lo
	s_clause 0x3
	buffer_load_dword v1, v4, s[0:3], 0 offen
	buffer_load_dword v2, v4, s[0:3], 0 offen offset:4
	buffer_load_dword v3, v4, s[0:3], 0 offen offset:8
	;; [unrolled: 1-line block ×3, first 2 shown]
	s_waitcnt vmcnt(0)
	ds_write_b128 v5, v[1:4]
	s_waitcnt lgkmcnt(0)
	s_barrier
	buffer_gl0_inv
	v_cmpx_ne_u32_e32 48, v0
	s_cbranch_execz .LBB48_207
; %bb.204:
	v_mov_b32_e32 v1, 0
	v_mov_b32_e32 v3, 0
	;; [unrolled: 1-line block ×4, first 2 shown]
	v_add_nc_u32_e32 v7, 16, v161
	s_mov_b32 s5, 0
	.p2align	6
.LBB48_205:                             ; =>This Inner Loop Header: Depth=1
	s_clause 0x3
	buffer_load_dword v27, v7, s[0:3], 0 offen offset:8
	buffer_load_dword v28, v7, s[0:3], 0 offen offset:12
	buffer_load_dword v29, v7, s[0:3], 0 offen
	buffer_load_dword v30, v7, s[0:3], 0 offen offset:4
	ds_read_b128 v[8:11], v5
	v_add_nc_u32_e32 v6, 1, v6
	v_add_nc_u32_e32 v5, 16, v5
	;; [unrolled: 1-line block ×3, first 2 shown]
	v_cmp_lt_u32_e32 vcc_lo, 46, v6
	s_or_b32 s5, vcc_lo, s5
	s_waitcnt vmcnt(2) lgkmcnt(0)
	v_mul_f64 v[31:32], v[10:11], v[27:28]
	v_mul_f64 v[27:28], v[8:9], v[27:28]
	s_waitcnt vmcnt(0)
	v_fma_f64 v[8:9], v[8:9], v[29:30], -v[31:32]
	v_fma_f64 v[10:11], v[10:11], v[29:30], v[27:28]
	v_add_f64 v[3:4], v[3:4], v[8:9]
	v_add_f64 v[1:2], v[1:2], v[10:11]
	s_andn2_b32 exec_lo, exec_lo, s5
	s_cbranch_execnz .LBB48_205
; %bb.206:
	s_or_b32 exec_lo, exec_lo, s5
	v_mov_b32_e32 v5, 0
	ds_read_b128 v[5:8], v5 offset:768
	s_waitcnt lgkmcnt(0)
	v_mul_f64 v[9:10], v[1:2], v[7:8]
	v_mul_f64 v[7:8], v[3:4], v[7:8]
	v_fma_f64 v[3:4], v[3:4], v[5:6], -v[9:10]
	v_fma_f64 v[1:2], v[1:2], v[5:6], v[7:8]
	buffer_store_dword v4, off, s[0:3], 0 offset:788
	buffer_store_dword v3, off, s[0:3], 0 offset:784
	;; [unrolled: 1-line block ×4, first 2 shown]
.LBB48_207:
	s_or_b32 exec_lo, exec_lo, s4
	s_mov_b32 s5, -1
	s_waitcnt_vscnt null, 0x0
	s_barrier
	buffer_gl0_inv
.LBB48_208:
	s_and_b32 vcc_lo, exec_lo, s5
	s_cbranch_vccz .LBB48_210
; %bb.209:
	s_lshl_b64 s[4:5], s[6:7], 2
	v_mov_b32_e32 v1, 0
	s_add_u32 s4, s10, s4
	s_addc_u32 s5, s11, s5
	global_load_dword v1, v1, s[4:5]
	s_waitcnt vmcnt(0)
	v_cmp_ne_u32_e32 vcc_lo, 0, v1
	s_cbranch_vccz .LBB48_211
.LBB48_210:
	s_endpgm
.LBB48_211:
	v_lshl_add_u32 v11, v0, 4, 0x310
	s_mov_b32 s4, exec_lo
	v_cmpx_eq_u32_e32 48, v0
	s_cbranch_execz .LBB48_213
; %bb.212:
	v_mov_b32_e32 v4, s9
	v_mov_b32_e32 v5, 0
	s_clause 0x3
	buffer_load_dword v1, v4, s[0:3], 0 offen
	buffer_load_dword v2, v4, s[0:3], 0 offen offset:4
	buffer_load_dword v3, v4, s[0:3], 0 offen offset:8
	buffer_load_dword v4, v4, s[0:3], 0 offen offset:12
	buffer_store_dword v5, off, s[0:3], 0 offset:768
	buffer_store_dword v5, off, s[0:3], 0 offset:772
	;; [unrolled: 1-line block ×4, first 2 shown]
	s_waitcnt vmcnt(0)
	ds_write_b128 v11, v[1:4]
.LBB48_213:
	s_or_b32 exec_lo, exec_lo, s4
	s_waitcnt lgkmcnt(0)
	s_waitcnt_vscnt null, 0x0
	s_barrier
	buffer_gl0_inv
	s_clause 0x7
	buffer_load_dword v6, off, s[0:3], 0 offset:792
	buffer_load_dword v7, off, s[0:3], 0 offset:796
	;; [unrolled: 1-line block ×8, first 2 shown]
	v_mov_b32_e32 v1, 0
	s_mov_b32 s4, exec_lo
	ds_read_b128 v[2:5], v1 offset:1552
	s_waitcnt vmcnt(6) lgkmcnt(0)
	v_mul_f64 v[31:32], v[4:5], v[6:7]
	v_mul_f64 v[6:7], v[2:3], v[6:7]
	s_waitcnt vmcnt(4)
	v_fma_f64 v[2:3], v[2:3], v[8:9], -v[31:32]
	v_fma_f64 v[4:5], v[4:5], v[8:9], v[6:7]
	v_add_f64 v[2:3], v[2:3], 0
	v_add_f64 v[4:5], v[4:5], 0
	s_waitcnt vmcnt(2)
	v_add_f64 v[2:3], v[27:28], -v[2:3]
	s_waitcnt vmcnt(0)
	v_add_f64 v[4:5], v[29:30], -v[4:5]
	buffer_store_dword v2, off, s[0:3], 0 offset:768
	buffer_store_dword v3, off, s[0:3], 0 offset:772
	;; [unrolled: 1-line block ×4, first 2 shown]
	v_cmpx_lt_u32_e32 46, v0
	s_cbranch_execz .LBB48_215
; %bb.214:
	v_mov_b32_e32 v5, s12
	s_clause 0x3
	buffer_load_dword v2, v5, s[0:3], 0 offen
	buffer_load_dword v3, v5, s[0:3], 0 offen offset:4
	buffer_load_dword v4, v5, s[0:3], 0 offen offset:8
	;; [unrolled: 1-line block ×3, first 2 shown]
	buffer_store_dword v1, off, s[0:3], 0 offset:752
	buffer_store_dword v1, off, s[0:3], 0 offset:756
	;; [unrolled: 1-line block ×4, first 2 shown]
	s_waitcnt vmcnt(0)
	ds_write_b128 v11, v[2:5]
.LBB48_215:
	s_or_b32 exec_lo, exec_lo, s4
	s_waitcnt lgkmcnt(0)
	s_waitcnt_vscnt null, 0x0
	s_barrier
	buffer_gl0_inv
	s_clause 0xb
	buffer_load_dword v27, off, s[0:3], 0 offset:776
	buffer_load_dword v28, off, s[0:3], 0 offset:780
	;; [unrolled: 1-line block ×12, first 2 shown]
	ds_read_b128 v[2:5], v1 offset:1536
	ds_read_b128 v[6:9], v1 offset:1552
	s_mov_b32 s4, exec_lo
	s_waitcnt vmcnt(10) lgkmcnt(1)
	v_mul_f64 v[43:44], v[4:5], v[27:28]
	v_mul_f64 v[27:28], v[2:3], v[27:28]
	s_waitcnt vmcnt(8) lgkmcnt(0)
	v_mul_f64 v[45:46], v[8:9], v[29:30]
	v_mul_f64 v[29:30], v[6:7], v[29:30]
	s_waitcnt vmcnt(6)
	v_fma_f64 v[1:2], v[2:3], v[31:32], -v[43:44]
	v_fma_f64 v[3:4], v[4:5], v[31:32], v[27:28]
	s_waitcnt vmcnt(4)
	v_fma_f64 v[5:6], v[6:7], v[37:38], -v[45:46]
	v_fma_f64 v[7:8], v[8:9], v[37:38], v[29:30]
	v_add_f64 v[1:2], v[1:2], 0
	v_add_f64 v[3:4], v[3:4], 0
	;; [unrolled: 1-line block ×4, first 2 shown]
	s_waitcnt vmcnt(2)
	v_add_f64 v[1:2], v[39:40], -v[1:2]
	s_waitcnt vmcnt(0)
	v_add_f64 v[3:4], v[41:42], -v[3:4]
	buffer_store_dword v1, off, s[0:3], 0 offset:752
	buffer_store_dword v2, off, s[0:3], 0 offset:756
	;; [unrolled: 1-line block ×4, first 2 shown]
	v_cmpx_lt_u32_e32 45, v0
	s_cbranch_execz .LBB48_217
; %bb.216:
	v_mov_b32_e32 v4, s13
	v_mov_b32_e32 v5, 0
	s_clause 0x3
	buffer_load_dword v1, v4, s[0:3], 0 offen
	buffer_load_dword v2, v4, s[0:3], 0 offen offset:4
	buffer_load_dword v3, v4, s[0:3], 0 offen offset:8
	;; [unrolled: 1-line block ×3, first 2 shown]
	buffer_store_dword v5, off, s[0:3], 0 offset:736
	buffer_store_dword v5, off, s[0:3], 0 offset:740
	;; [unrolled: 1-line block ×4, first 2 shown]
	s_waitcnt vmcnt(0)
	ds_write_b128 v11, v[1:4]
.LBB48_217:
	s_or_b32 exec_lo, exec_lo, s4
	s_waitcnt lgkmcnt(0)
	s_waitcnt_vscnt null, 0x0
	s_barrier
	buffer_gl0_inv
	s_clause 0xf
	buffer_load_dword v27, off, s[0:3], 0 offset:760
	buffer_load_dword v28, off, s[0:3], 0 offset:764
	;; [unrolled: 1-line block ×16, first 2 shown]
	v_mov_b32_e32 v1, 0
	ds_read_b128 v[2:5], v1 offset:1520
	ds_read_b128 v[6:9], v1 offset:1536
	s_mov_b32 s4, exec_lo
	s_waitcnt vmcnt(14) lgkmcnt(1)
	v_mul_f64 v[49:50], v[4:5], v[27:28]
	v_mul_f64 v[51:52], v[2:3], v[27:28]
	s_waitcnt vmcnt(12) lgkmcnt(0)
	v_mul_f64 v[53:54], v[8:9], v[31:32]
	ds_read_b128 v[27:30], v1 offset:1552
	v_mul_f64 v[31:32], v[6:7], v[31:32]
	s_waitcnt vmcnt(10)
	v_fma_f64 v[2:3], v[2:3], v[37:38], -v[49:50]
	v_fma_f64 v[4:5], v[4:5], v[37:38], v[51:52]
	s_waitcnt vmcnt(8) lgkmcnt(0)
	v_mul_f64 v[37:38], v[27:28], v[39:40]
	v_mul_f64 v[39:40], v[29:30], v[39:40]
	s_waitcnt vmcnt(6)
	v_fma_f64 v[6:7], v[6:7], v[41:42], -v[53:54]
	v_fma_f64 v[8:9], v[8:9], v[41:42], v[31:32]
	v_add_f64 v[2:3], v[2:3], 0
	v_add_f64 v[4:5], v[4:5], 0
	s_waitcnt vmcnt(4)
	v_fma_f64 v[27:28], v[27:28], v[43:44], -v[39:40]
	v_add_f64 v[2:3], v[2:3], v[6:7]
	v_fma_f64 v[6:7], v[29:30], v[43:44], v[37:38]
	v_add_f64 v[4:5], v[4:5], v[8:9]
	v_add_f64 v[2:3], v[2:3], v[27:28]
	;; [unrolled: 1-line block ×3, first 2 shown]
	s_waitcnt vmcnt(2)
	v_add_f64 v[2:3], v[45:46], -v[2:3]
	s_waitcnt vmcnt(0)
	v_add_f64 v[4:5], v[47:48], -v[4:5]
	buffer_store_dword v2, off, s[0:3], 0 offset:736
	buffer_store_dword v3, off, s[0:3], 0 offset:740
	;; [unrolled: 1-line block ×4, first 2 shown]
	v_cmpx_lt_u32_e32 44, v0
	s_cbranch_execz .LBB48_219
; %bb.218:
	v_mov_b32_e32 v5, s14
	s_clause 0x3
	buffer_load_dword v2, v5, s[0:3], 0 offen
	buffer_load_dword v3, v5, s[0:3], 0 offen offset:4
	buffer_load_dword v4, v5, s[0:3], 0 offen offset:8
	;; [unrolled: 1-line block ×3, first 2 shown]
	buffer_store_dword v1, off, s[0:3], 0 offset:720
	buffer_store_dword v1, off, s[0:3], 0 offset:724
	;; [unrolled: 1-line block ×4, first 2 shown]
	s_waitcnt vmcnt(0)
	ds_write_b128 v11, v[2:5]
.LBB48_219:
	s_or_b32 exec_lo, exec_lo, s4
	s_waitcnt lgkmcnt(0)
	s_waitcnt_vscnt null, 0x0
	s_barrier
	buffer_gl0_inv
	s_clause 0x13
	buffer_load_dword v27, off, s[0:3], 0 offset:744
	buffer_load_dword v28, off, s[0:3], 0 offset:748
	;; [unrolled: 1-line block ×20, first 2 shown]
	ds_read_b128 v[2:5], v1 offset:1504
	ds_read_b128 v[6:9], v1 offset:1520
	s_mov_b32 s4, exec_lo
	s_waitcnt vmcnt(18) lgkmcnt(1)
	v_mul_f64 v[53:54], v[4:5], v[27:28]
	v_mul_f64 v[55:56], v[2:3], v[27:28]
	s_waitcnt vmcnt(16) lgkmcnt(0)
	v_mul_f64 v[57:58], v[8:9], v[31:32]
	ds_read_b128 v[27:30], v1 offset:1536
	v_mul_f64 v[31:32], v[6:7], v[31:32]
	s_waitcnt vmcnt(14)
	v_fma_f64 v[53:54], v[2:3], v[37:38], -v[53:54]
	v_fma_f64 v[37:38], v[4:5], v[37:38], v[55:56]
	s_waitcnt vmcnt(12) lgkmcnt(0)
	v_mul_f64 v[55:56], v[27:28], v[39:40]
	v_mul_f64 v[39:40], v[29:30], v[39:40]
	s_waitcnt vmcnt(10)
	v_fma_f64 v[5:6], v[6:7], v[41:42], -v[57:58]
	ds_read_b128 v[1:4], v1 offset:1552
	v_fma_f64 v[7:8], v[8:9], v[41:42], v[31:32]
	v_add_f64 v[53:54], v[53:54], 0
	v_add_f64 v[9:10], v[37:38], 0
	s_waitcnt vmcnt(6)
	v_fma_f64 v[29:30], v[29:30], v[45:46], v[55:56]
	s_waitcnt lgkmcnt(0)
	v_mul_f64 v[37:38], v[3:4], v[43:44]
	v_fma_f64 v[27:28], v[27:28], v[45:46], -v[39:40]
	v_mul_f64 v[31:32], v[1:2], v[43:44]
	v_add_f64 v[5:6], v[53:54], v[5:6]
	v_add_f64 v[7:8], v[9:10], v[7:8]
	s_waitcnt vmcnt(4)
	v_fma_f64 v[1:2], v[1:2], v[47:48], -v[37:38]
	v_fma_f64 v[3:4], v[3:4], v[47:48], v[31:32]
	v_add_f64 v[5:6], v[5:6], v[27:28]
	v_add_f64 v[7:8], v[7:8], v[29:30]
	;; [unrolled: 1-line block ×4, first 2 shown]
	s_waitcnt vmcnt(2)
	v_add_f64 v[1:2], v[49:50], -v[1:2]
	s_waitcnt vmcnt(0)
	v_add_f64 v[3:4], v[51:52], -v[3:4]
	buffer_store_dword v1, off, s[0:3], 0 offset:720
	buffer_store_dword v2, off, s[0:3], 0 offset:724
	;; [unrolled: 1-line block ×4, first 2 shown]
	v_cmpx_lt_u32_e32 43, v0
	s_cbranch_execz .LBB48_221
; %bb.220:
	v_mov_b32_e32 v4, s15
	v_mov_b32_e32 v5, 0
	s_clause 0x3
	buffer_load_dword v1, v4, s[0:3], 0 offen
	buffer_load_dword v2, v4, s[0:3], 0 offen offset:4
	buffer_load_dword v3, v4, s[0:3], 0 offen offset:8
	;; [unrolled: 1-line block ×3, first 2 shown]
	buffer_store_dword v5, off, s[0:3], 0 offset:704
	buffer_store_dword v5, off, s[0:3], 0 offset:708
	;; [unrolled: 1-line block ×4, first 2 shown]
	s_waitcnt vmcnt(0)
	ds_write_b128 v11, v[1:4]
.LBB48_221:
	s_or_b32 exec_lo, exec_lo, s4
	s_waitcnt lgkmcnt(0)
	s_waitcnt_vscnt null, 0x0
	s_barrier
	buffer_gl0_inv
	s_clause 0x17
	buffer_load_dword v27, off, s[0:3], 0 offset:728
	buffer_load_dword v28, off, s[0:3], 0 offset:732
	;; [unrolled: 1-line block ×24, first 2 shown]
	v_mov_b32_e32 v1, 0
	ds_read_b128 v[2:5], v1 offset:1488
	ds_read_b128 v[6:9], v1 offset:1504
	s_mov_b32 s4, exec_lo
	s_waitcnt vmcnt(22) lgkmcnt(1)
	v_mul_f64 v[57:58], v[4:5], v[27:28]
	v_mul_f64 v[59:60], v[2:3], v[27:28]
	s_waitcnt vmcnt(20) lgkmcnt(0)
	v_mul_f64 v[61:62], v[8:9], v[31:32]
	ds_read_b128 v[27:30], v1 offset:1520
	v_mul_f64 v[31:32], v[6:7], v[31:32]
	s_waitcnt vmcnt(18)
	v_fma_f64 v[57:58], v[2:3], v[37:38], -v[57:58]
	v_fma_f64 v[37:38], v[4:5], v[37:38], v[59:60]
	ds_read_b128 v[2:5], v1 offset:1536
	s_waitcnt vmcnt(16) lgkmcnt(1)
	v_mul_f64 v[59:60], v[27:28], v[39:40]
	v_mul_f64 v[39:40], v[29:30], v[39:40]
	s_waitcnt vmcnt(14)
	v_fma_f64 v[61:62], v[6:7], v[41:42], -v[61:62]
	v_fma_f64 v[31:32], v[8:9], v[41:42], v[31:32]
	ds_read_b128 v[6:9], v1 offset:1552
	s_waitcnt vmcnt(10) lgkmcnt(1)
	v_mul_f64 v[41:42], v[2:3], v[43:44]
	v_add_f64 v[57:58], v[57:58], 0
	v_add_f64 v[37:38], v[37:38], 0
	v_mul_f64 v[43:44], v[4:5], v[43:44]
	s_waitcnt vmcnt(8)
	v_fma_f64 v[27:28], v[27:28], v[49:50], -v[39:40]
	v_fma_f64 v[29:30], v[29:30], v[49:50], v[59:60]
	s_waitcnt vmcnt(5)
	v_fma_f64 v[4:5], v[4:5], v[51:52], v[41:42]
	v_add_f64 v[39:40], v[57:58], v[61:62]
	v_add_f64 v[31:32], v[37:38], v[31:32]
	s_waitcnt lgkmcnt(0)
	v_mul_f64 v[37:38], v[6:7], v[45:46]
	v_mul_f64 v[45:46], v[8:9], v[45:46]
	v_fma_f64 v[2:3], v[2:3], v[51:52], -v[43:44]
	v_add_f64 v[27:28], v[39:40], v[27:28]
	v_add_f64 v[29:30], v[31:32], v[29:30]
	s_waitcnt vmcnt(4)
	v_fma_f64 v[8:9], v[8:9], v[47:48], v[37:38]
	v_fma_f64 v[6:7], v[6:7], v[47:48], -v[45:46]
	v_add_f64 v[2:3], v[27:28], v[2:3]
	v_add_f64 v[4:5], v[29:30], v[4:5]
	;; [unrolled: 1-line block ×4, first 2 shown]
	s_waitcnt vmcnt(2)
	v_add_f64 v[2:3], v[53:54], -v[2:3]
	s_waitcnt vmcnt(0)
	v_add_f64 v[4:5], v[55:56], -v[4:5]
	buffer_store_dword v3, off, s[0:3], 0 offset:708
	buffer_store_dword v2, off, s[0:3], 0 offset:704
	;; [unrolled: 1-line block ×4, first 2 shown]
	v_cmpx_lt_u32_e32 42, v0
	s_cbranch_execz .LBB48_223
; %bb.222:
	v_mov_b32_e32 v5, s16
	s_clause 0x3
	buffer_load_dword v2, v5, s[0:3], 0 offen
	buffer_load_dword v3, v5, s[0:3], 0 offen offset:4
	buffer_load_dword v4, v5, s[0:3], 0 offen offset:8
	;; [unrolled: 1-line block ×3, first 2 shown]
	buffer_store_dword v1, off, s[0:3], 0 offset:688
	buffer_store_dword v1, off, s[0:3], 0 offset:692
	;; [unrolled: 1-line block ×4, first 2 shown]
	s_waitcnt vmcnt(0)
	ds_write_b128 v11, v[2:5]
.LBB48_223:
	s_or_b32 exec_lo, exec_lo, s4
	s_waitcnt lgkmcnt(0)
	s_waitcnt_vscnt null, 0x0
	s_barrier
	buffer_gl0_inv
	s_clause 0x1b
	buffer_load_dword v27, off, s[0:3], 0 offset:712
	buffer_load_dword v28, off, s[0:3], 0 offset:716
	;; [unrolled: 1-line block ×28, first 2 shown]
	ds_read_b128 v[2:5], v1 offset:1472
	ds_read_b128 v[6:9], v1 offset:1488
	s_mov_b32 s4, exec_lo
	s_waitcnt vmcnt(26) lgkmcnt(1)
	v_mul_f64 v[61:62], v[4:5], v[27:28]
	v_mul_f64 v[63:64], v[2:3], v[27:28]
	s_waitcnt vmcnt(24) lgkmcnt(0)
	v_mul_f64 v[69:70], v[8:9], v[31:32]
	ds_read_b128 v[27:30], v1 offset:1504
	v_mul_f64 v[31:32], v[6:7], v[31:32]
	s_waitcnt vmcnt(22)
	v_fma_f64 v[61:62], v[2:3], v[37:38], -v[61:62]
	v_fma_f64 v[37:38], v[4:5], v[37:38], v[63:64]
	ds_read_b128 v[2:5], v1 offset:1520
	s_waitcnt vmcnt(20) lgkmcnt(1)
	v_mul_f64 v[63:64], v[27:28], v[39:40]
	v_mul_f64 v[39:40], v[29:30], v[39:40]
	s_waitcnt vmcnt(18)
	v_fma_f64 v[69:70], v[6:7], v[41:42], -v[69:70]
	v_fma_f64 v[31:32], v[8:9], v[41:42], v[31:32]
	ds_read_b128 v[6:9], v1 offset:1536
	s_waitcnt vmcnt(14) lgkmcnt(1)
	v_mul_f64 v[41:42], v[2:3], v[43:44]
	v_add_f64 v[61:62], v[61:62], 0
	v_add_f64 v[37:38], v[37:38], 0
	v_mul_f64 v[43:44], v[4:5], v[43:44]
	s_waitcnt vmcnt(12)
	v_fma_f64 v[39:40], v[27:28], v[49:50], -v[39:40]
	v_fma_f64 v[49:50], v[29:30], v[49:50], v[63:64]
	ds_read_b128 v[27:30], v1 offset:1552
	v_add_f64 v[61:62], v[61:62], v[69:70]
	v_add_f64 v[31:32], v[37:38], v[31:32]
	s_waitcnt vmcnt(11) lgkmcnt(1)
	v_mul_f64 v[37:38], v[6:7], v[45:46]
	v_mul_f64 v[45:46], v[8:9], v[45:46]
	s_waitcnt vmcnt(9)
	v_fma_f64 v[1:2], v[2:3], v[51:52], -v[43:44]
	v_fma_f64 v[3:4], v[4:5], v[51:52], v[41:42]
	s_waitcnt vmcnt(7) lgkmcnt(0)
	v_mul_f64 v[43:44], v[29:30], v[53:54]
	v_mul_f64 v[41:42], v[27:28], v[53:54]
	v_add_f64 v[39:40], v[61:62], v[39:40]
	v_add_f64 v[31:32], v[31:32], v[49:50]
	s_waitcnt vmcnt(6)
	v_fma_f64 v[5:6], v[6:7], v[47:48], -v[45:46]
	v_fma_f64 v[7:8], v[8:9], v[47:48], v[37:38]
	s_waitcnt vmcnt(4)
	v_fma_f64 v[9:10], v[27:28], v[55:56], -v[43:44]
	v_add_f64 v[1:2], v[39:40], v[1:2]
	v_add_f64 v[3:4], v[31:32], v[3:4]
	;; [unrolled: 1-line block ×3, first 2 shown]
	v_fma_f64 v[5:6], v[29:30], v[55:56], v[41:42]
	v_add_f64 v[3:4], v[3:4], v[7:8]
	v_add_f64 v[1:2], v[1:2], v[9:10]
	;; [unrolled: 1-line block ×3, first 2 shown]
	s_waitcnt vmcnt(2)
	v_add_f64 v[1:2], v[57:58], -v[1:2]
	s_waitcnt vmcnt(0)
	v_add_f64 v[3:4], v[59:60], -v[3:4]
	buffer_store_dword v2, off, s[0:3], 0 offset:692
	buffer_store_dword v1, off, s[0:3], 0 offset:688
	;; [unrolled: 1-line block ×4, first 2 shown]
	v_cmpx_lt_u32_e32 41, v0
	s_cbranch_execz .LBB48_225
; %bb.224:
	v_mov_b32_e32 v4, s17
	v_mov_b32_e32 v5, 0
	s_clause 0x3
	buffer_load_dword v1, v4, s[0:3], 0 offen
	buffer_load_dword v2, v4, s[0:3], 0 offen offset:4
	buffer_load_dword v3, v4, s[0:3], 0 offen offset:8
	;; [unrolled: 1-line block ×3, first 2 shown]
	buffer_store_dword v5, off, s[0:3], 0 offset:672
	buffer_store_dword v5, off, s[0:3], 0 offset:676
	;; [unrolled: 1-line block ×4, first 2 shown]
	s_waitcnt vmcnt(0)
	ds_write_b128 v11, v[1:4]
.LBB48_225:
	s_or_b32 exec_lo, exec_lo, s4
	s_waitcnt lgkmcnt(0)
	s_waitcnt_vscnt null, 0x0
	s_barrier
	buffer_gl0_inv
	s_clause 0x1f
	buffer_load_dword v27, off, s[0:3], 0 offset:696
	buffer_load_dword v28, off, s[0:3], 0 offset:700
	;; [unrolled: 1-line block ×32, first 2 shown]
	v_mov_b32_e32 v1, 0
	ds_read_b128 v[2:5], v1 offset:1456
	ds_read_b128 v[6:9], v1 offset:1472
	s_mov_b32 s4, exec_lo
	s_waitcnt vmcnt(30) lgkmcnt(1)
	v_mul_f64 v[69:70], v[4:5], v[27:28]
	v_mul_f64 v[71:72], v[2:3], v[27:28]
	s_waitcnt vmcnt(28) lgkmcnt(0)
	v_mul_f64 v[73:74], v[8:9], v[31:32]
	ds_read_b128 v[27:30], v1 offset:1488
	v_mul_f64 v[31:32], v[6:7], v[31:32]
	s_waitcnt vmcnt(26)
	v_fma_f64 v[69:70], v[2:3], v[37:38], -v[69:70]
	v_fma_f64 v[37:38], v[4:5], v[37:38], v[71:72]
	ds_read_b128 v[2:5], v1 offset:1504
	s_waitcnt vmcnt(24) lgkmcnt(1)
	v_mul_f64 v[71:72], v[27:28], v[39:40]
	v_mul_f64 v[39:40], v[29:30], v[39:40]
	s_waitcnt vmcnt(22)
	v_fma_f64 v[73:74], v[6:7], v[41:42], -v[73:74]
	v_fma_f64 v[31:32], v[8:9], v[41:42], v[31:32]
	ds_read_b128 v[6:9], v1 offset:1520
	s_waitcnt vmcnt(18) lgkmcnt(1)
	v_mul_f64 v[41:42], v[2:3], v[43:44]
	v_add_f64 v[69:70], v[69:70], 0
	v_add_f64 v[37:38], v[37:38], 0
	v_mul_f64 v[43:44], v[4:5], v[43:44]
	s_waitcnt vmcnt(16)
	v_fma_f64 v[39:40], v[27:28], v[49:50], -v[39:40]
	v_fma_f64 v[49:50], v[29:30], v[49:50], v[71:72]
	ds_read_b128 v[27:30], v1 offset:1536
	s_waitcnt vmcnt(13)
	v_fma_f64 v[41:42], v[4:5], v[51:52], v[41:42]
	v_add_f64 v[69:70], v[69:70], v[73:74]
	v_add_f64 v[31:32], v[37:38], v[31:32]
	s_waitcnt lgkmcnt(1)
	v_mul_f64 v[37:38], v[6:7], v[45:46]
	v_mul_f64 v[45:46], v[8:9], v[45:46]
	v_fma_f64 v[43:44], v[2:3], v[51:52], -v[43:44]
	s_waitcnt vmcnt(9) lgkmcnt(0)
	v_mul_f64 v[51:52], v[29:30], v[53:54]
	ds_read_b128 v[2:5], v1 offset:1552
	v_add_f64 v[39:40], v[69:70], v[39:40]
	v_add_f64 v[31:32], v[31:32], v[49:50]
	v_mul_f64 v[49:50], v[27:28], v[53:54]
	s_waitcnt vmcnt(8)
	v_fma_f64 v[6:7], v[6:7], v[47:48], -v[45:46]
	v_fma_f64 v[8:9], v[8:9], v[47:48], v[37:38]
	s_waitcnt vmcnt(5)
	v_fma_f64 v[27:28], v[27:28], v[59:60], -v[51:52]
	s_waitcnt lgkmcnt(0)
	v_mul_f64 v[37:38], v[2:3], v[55:56]
	v_add_f64 v[39:40], v[39:40], v[43:44]
	v_add_f64 v[31:32], v[31:32], v[41:42]
	v_mul_f64 v[41:42], v[4:5], v[55:56]
	v_fma_f64 v[29:30], v[29:30], v[59:60], v[49:50]
	s_waitcnt vmcnt(4)
	v_fma_f64 v[4:5], v[4:5], v[57:58], v[37:38]
	v_add_f64 v[6:7], v[39:40], v[6:7]
	v_add_f64 v[8:9], v[31:32], v[8:9]
	v_fma_f64 v[2:3], v[2:3], v[57:58], -v[41:42]
	v_add_f64 v[6:7], v[6:7], v[27:28]
	v_add_f64 v[8:9], v[8:9], v[29:30]
	;; [unrolled: 1-line block ×4, first 2 shown]
	s_waitcnt vmcnt(2)
	v_add_f64 v[2:3], v[61:62], -v[2:3]
	s_waitcnt vmcnt(0)
	v_add_f64 v[4:5], v[63:64], -v[4:5]
	buffer_store_dword v3, off, s[0:3], 0 offset:676
	buffer_store_dword v2, off, s[0:3], 0 offset:672
	;; [unrolled: 1-line block ×4, first 2 shown]
	v_cmpx_lt_u32_e32 40, v0
	s_cbranch_execz .LBB48_227
; %bb.226:
	v_mov_b32_e32 v5, s18
	s_clause 0x3
	buffer_load_dword v2, v5, s[0:3], 0 offen
	buffer_load_dword v3, v5, s[0:3], 0 offen offset:4
	buffer_load_dword v4, v5, s[0:3], 0 offen offset:8
	;; [unrolled: 1-line block ×3, first 2 shown]
	buffer_store_dword v1, off, s[0:3], 0 offset:656
	buffer_store_dword v1, off, s[0:3], 0 offset:660
	;; [unrolled: 1-line block ×4, first 2 shown]
	s_waitcnt vmcnt(0)
	ds_write_b128 v11, v[2:5]
.LBB48_227:
	s_or_b32 exec_lo, exec_lo, s4
	s_waitcnt lgkmcnt(0)
	s_waitcnt_vscnt null, 0x0
	s_barrier
	buffer_gl0_inv
	s_clause 0x23
	buffer_load_dword v27, off, s[0:3], 0 offset:680
	buffer_load_dword v28, off, s[0:3], 0 offset:684
	;; [unrolled: 1-line block ×36, first 2 shown]
	ds_read_b128 v[2:5], v1 offset:1440
	ds_read_b128 v[6:9], v1 offset:1456
	s_mov_b32 s4, exec_lo
	s_waitcnt vmcnt(34) lgkmcnt(1)
	v_mul_f64 v[73:74], v[4:5], v[27:28]
	v_mul_f64 v[75:76], v[2:3], v[27:28]
	s_waitcnt vmcnt(32) lgkmcnt(0)
	v_mul_f64 v[81:82], v[8:9], v[31:32]
	ds_read_b128 v[27:30], v1 offset:1472
	v_mul_f64 v[31:32], v[6:7], v[31:32]
	s_waitcnt vmcnt(30)
	v_fma_f64 v[73:74], v[2:3], v[37:38], -v[73:74]
	v_fma_f64 v[37:38], v[4:5], v[37:38], v[75:76]
	ds_read_b128 v[2:5], v1 offset:1488
	s_waitcnt vmcnt(28) lgkmcnt(1)
	v_mul_f64 v[75:76], v[27:28], v[39:40]
	v_mul_f64 v[39:40], v[29:30], v[39:40]
	s_waitcnt vmcnt(26)
	v_fma_f64 v[81:82], v[6:7], v[41:42], -v[81:82]
	v_fma_f64 v[31:32], v[8:9], v[41:42], v[31:32]
	ds_read_b128 v[6:9], v1 offset:1504
	s_waitcnt vmcnt(22) lgkmcnt(1)
	v_mul_f64 v[41:42], v[2:3], v[43:44]
	v_add_f64 v[73:74], v[73:74], 0
	v_add_f64 v[37:38], v[37:38], 0
	v_mul_f64 v[43:44], v[4:5], v[43:44]
	s_waitcnt vmcnt(20)
	v_fma_f64 v[39:40], v[27:28], v[49:50], -v[39:40]
	v_fma_f64 v[49:50], v[29:30], v[49:50], v[75:76]
	ds_read_b128 v[27:30], v1 offset:1520
	s_waitcnt vmcnt(17)
	v_fma_f64 v[41:42], v[4:5], v[51:52], v[41:42]
	v_add_f64 v[73:74], v[73:74], v[81:82]
	v_add_f64 v[31:32], v[37:38], v[31:32]
	s_waitcnt lgkmcnt(1)
	v_mul_f64 v[37:38], v[6:7], v[45:46]
	v_mul_f64 v[45:46], v[8:9], v[45:46]
	v_fma_f64 v[43:44], v[2:3], v[51:52], -v[43:44]
	s_waitcnt vmcnt(13) lgkmcnt(0)
	v_mul_f64 v[51:52], v[29:30], v[53:54]
	ds_read_b128 v[2:5], v1 offset:1536
	v_add_f64 v[39:40], v[73:74], v[39:40]
	v_add_f64 v[31:32], v[31:32], v[49:50]
	v_mul_f64 v[49:50], v[27:28], v[53:54]
	s_waitcnt vmcnt(12)
	v_fma_f64 v[45:46], v[6:7], v[47:48], -v[45:46]
	v_fma_f64 v[37:38], v[8:9], v[47:48], v[37:38]
	ds_read_b128 v[6:9], v1 offset:1552
	s_waitcnt vmcnt(9)
	v_fma_f64 v[27:28], v[27:28], v[59:60], -v[51:52]
	v_add_f64 v[39:40], v[39:40], v[43:44]
	v_add_f64 v[31:32], v[31:32], v[41:42]
	s_waitcnt lgkmcnt(1)
	v_mul_f64 v[43:44], v[4:5], v[55:56]
	v_mul_f64 v[41:42], v[2:3], v[55:56]
	v_fma_f64 v[29:30], v[29:30], v[59:60], v[49:50]
	v_add_f64 v[39:40], v[39:40], v[45:46]
	v_add_f64 v[31:32], v[31:32], v[37:38]
	s_waitcnt vmcnt(7) lgkmcnt(0)
	v_mul_f64 v[45:46], v[8:9], v[61:62]
	s_waitcnt vmcnt(6)
	v_fma_f64 v[1:2], v[2:3], v[57:58], -v[43:44]
	v_mul_f64 v[37:38], v[6:7], v[61:62]
	v_fma_f64 v[3:4], v[4:5], v[57:58], v[41:42]
	v_add_f64 v[27:28], v[39:40], v[27:28]
	v_add_f64 v[29:30], v[31:32], v[29:30]
	s_waitcnt vmcnt(4)
	v_fma_f64 v[5:6], v[6:7], v[63:64], -v[45:46]
	v_fma_f64 v[7:8], v[8:9], v[63:64], v[37:38]
	v_add_f64 v[1:2], v[27:28], v[1:2]
	v_add_f64 v[3:4], v[29:30], v[3:4]
	;; [unrolled: 1-line block ×4, first 2 shown]
	s_waitcnt vmcnt(2)
	v_add_f64 v[1:2], v[69:70], -v[1:2]
	s_waitcnt vmcnt(0)
	v_add_f64 v[3:4], v[71:72], -v[3:4]
	buffer_store_dword v2, off, s[0:3], 0 offset:660
	buffer_store_dword v1, off, s[0:3], 0 offset:656
	;; [unrolled: 1-line block ×4, first 2 shown]
	v_cmpx_lt_u32_e32 39, v0
	s_cbranch_execz .LBB48_229
; %bb.228:
	v_mov_b32_e32 v4, s19
	v_mov_b32_e32 v5, 0
	s_clause 0x3
	buffer_load_dword v1, v4, s[0:3], 0 offen
	buffer_load_dword v2, v4, s[0:3], 0 offen offset:4
	buffer_load_dword v3, v4, s[0:3], 0 offen offset:8
	;; [unrolled: 1-line block ×3, first 2 shown]
	buffer_store_dword v5, off, s[0:3], 0 offset:640
	buffer_store_dword v5, off, s[0:3], 0 offset:644
	buffer_store_dword v5, off, s[0:3], 0 offset:648
	buffer_store_dword v5, off, s[0:3], 0 offset:652
	s_waitcnt vmcnt(0)
	ds_write_b128 v11, v[1:4]
.LBB48_229:
	s_or_b32 exec_lo, exec_lo, s4
	s_waitcnt lgkmcnt(0)
	s_waitcnt_vscnt null, 0x0
	s_barrier
	buffer_gl0_inv
	s_clause 0x27
	buffer_load_dword v27, off, s[0:3], 0 offset:664
	buffer_load_dword v28, off, s[0:3], 0 offset:668
	;; [unrolled: 1-line block ×40, first 2 shown]
	v_mov_b32_e32 v1, 0
	ds_read_b128 v[2:5], v1 offset:1424
	ds_read_b128 v[6:9], v1 offset:1440
	s_mov_b32 s4, exec_lo
	s_waitcnt vmcnt(38) lgkmcnt(1)
	v_mul_f64 v[81:82], v[4:5], v[27:28]
	v_mul_f64 v[83:84], v[2:3], v[27:28]
	s_waitcnt vmcnt(36) lgkmcnt(0)
	v_mul_f64 v[85:86], v[8:9], v[31:32]
	ds_read_b128 v[27:30], v1 offset:1456
	v_mul_f64 v[31:32], v[6:7], v[31:32]
	s_waitcnt vmcnt(34)
	v_fma_f64 v[81:82], v[2:3], v[37:38], -v[81:82]
	v_fma_f64 v[37:38], v[4:5], v[37:38], v[83:84]
	ds_read_b128 v[2:5], v1 offset:1472
	s_waitcnt vmcnt(32) lgkmcnt(1)
	v_mul_f64 v[83:84], v[27:28], v[39:40]
	v_mul_f64 v[39:40], v[29:30], v[39:40]
	s_waitcnt vmcnt(30)
	v_fma_f64 v[85:86], v[6:7], v[41:42], -v[85:86]
	v_fma_f64 v[31:32], v[8:9], v[41:42], v[31:32]
	ds_read_b128 v[6:9], v1 offset:1488
	s_waitcnt vmcnt(26) lgkmcnt(1)
	v_mul_f64 v[41:42], v[2:3], v[43:44]
	v_add_f64 v[81:82], v[81:82], 0
	v_add_f64 v[37:38], v[37:38], 0
	v_mul_f64 v[43:44], v[4:5], v[43:44]
	s_waitcnt vmcnt(24)
	v_fma_f64 v[39:40], v[27:28], v[49:50], -v[39:40]
	v_fma_f64 v[49:50], v[29:30], v[49:50], v[83:84]
	ds_read_b128 v[27:30], v1 offset:1504
	s_waitcnt vmcnt(21)
	v_fma_f64 v[41:42], v[4:5], v[51:52], v[41:42]
	v_add_f64 v[81:82], v[81:82], v[85:86]
	v_add_f64 v[31:32], v[37:38], v[31:32]
	s_waitcnt lgkmcnt(1)
	v_mul_f64 v[37:38], v[6:7], v[45:46]
	v_mul_f64 v[45:46], v[8:9], v[45:46]
	v_fma_f64 v[43:44], v[2:3], v[51:52], -v[43:44]
	s_waitcnt vmcnt(17) lgkmcnt(0)
	v_mul_f64 v[51:52], v[29:30], v[53:54]
	ds_read_b128 v[2:5], v1 offset:1520
	v_add_f64 v[39:40], v[81:82], v[39:40]
	v_add_f64 v[31:32], v[31:32], v[49:50]
	v_mul_f64 v[49:50], v[27:28], v[53:54]
	s_waitcnt vmcnt(16)
	v_fma_f64 v[45:46], v[6:7], v[47:48], -v[45:46]
	v_fma_f64 v[37:38], v[8:9], v[47:48], v[37:38]
	ds_read_b128 v[6:9], v1 offset:1536
	s_waitcnt vmcnt(13)
	v_fma_f64 v[47:48], v[27:28], v[59:60], -v[51:52]
	v_add_f64 v[39:40], v[39:40], v[43:44]
	v_add_f64 v[31:32], v[31:32], v[41:42]
	s_waitcnt lgkmcnt(1)
	v_mul_f64 v[43:44], v[4:5], v[55:56]
	v_mul_f64 v[41:42], v[2:3], v[55:56]
	v_add_f64 v[39:40], v[39:40], v[45:46]
	v_fma_f64 v[45:46], v[29:30], v[59:60], v[49:50]
	v_add_f64 v[31:32], v[31:32], v[37:38]
	s_waitcnt vmcnt(9) lgkmcnt(0)
	v_mul_f64 v[49:50], v[8:9], v[61:62]
	s_waitcnt vmcnt(8)
	v_fma_f64 v[2:3], v[2:3], v[57:58], -v[43:44]
	ds_read_b128 v[27:30], v1 offset:1552
	v_mul_f64 v[37:38], v[6:7], v[61:62]
	v_fma_f64 v[4:5], v[4:5], v[57:58], v[41:42]
	v_add_f64 v[39:40], v[39:40], v[47:48]
	v_add_f64 v[31:32], v[31:32], v[45:46]
	s_waitcnt vmcnt(7) lgkmcnt(0)
	v_mul_f64 v[43:44], v[29:30], v[63:64]
	s_waitcnt vmcnt(5)
	v_fma_f64 v[6:7], v[6:7], v[71:72], -v[49:50]
	v_mul_f64 v[41:42], v[27:28], v[63:64]
	v_fma_f64 v[8:9], v[8:9], v[71:72], v[37:38]
	v_add_f64 v[2:3], v[39:40], v[2:3]
	v_add_f64 v[4:5], v[31:32], v[4:5]
	s_waitcnt vmcnt(4)
	v_fma_f64 v[27:28], v[27:28], v[69:70], -v[43:44]
	v_add_f64 v[2:3], v[2:3], v[6:7]
	v_fma_f64 v[6:7], v[29:30], v[69:70], v[41:42]
	v_add_f64 v[4:5], v[4:5], v[8:9]
	v_add_f64 v[2:3], v[2:3], v[27:28]
	v_add_f64 v[4:5], v[4:5], v[6:7]
	s_waitcnt vmcnt(2)
	v_add_f64 v[2:3], v[73:74], -v[2:3]
	s_waitcnt vmcnt(0)
	v_add_f64 v[4:5], v[75:76], -v[4:5]
	buffer_store_dword v3, off, s[0:3], 0 offset:644
	buffer_store_dword v2, off, s[0:3], 0 offset:640
	;; [unrolled: 1-line block ×4, first 2 shown]
	v_cmpx_lt_u32_e32 38, v0
	s_cbranch_execz .LBB48_231
; %bb.230:
	v_mov_b32_e32 v5, s22
	s_clause 0x3
	buffer_load_dword v2, v5, s[0:3], 0 offen
	buffer_load_dword v3, v5, s[0:3], 0 offen offset:4
	buffer_load_dword v4, v5, s[0:3], 0 offen offset:8
	;; [unrolled: 1-line block ×3, first 2 shown]
	buffer_store_dword v1, off, s[0:3], 0 offset:624
	buffer_store_dword v1, off, s[0:3], 0 offset:628
	;; [unrolled: 1-line block ×4, first 2 shown]
	s_waitcnt vmcnt(0)
	ds_write_b128 v11, v[2:5]
.LBB48_231:
	s_or_b32 exec_lo, exec_lo, s4
	s_waitcnt lgkmcnt(0)
	s_waitcnt_vscnt null, 0x0
	s_barrier
	buffer_gl0_inv
	s_clause 0x2b
	buffer_load_dword v27, off, s[0:3], 0 offset:648
	buffer_load_dword v28, off, s[0:3], 0 offset:652
	buffer_load_dword v31, off, s[0:3], 0 offset:664
	buffer_load_dword v32, off, s[0:3], 0 offset:668
	buffer_load_dword v37, off, s[0:3], 0 offset:640
	buffer_load_dword v38, off, s[0:3], 0 offset:644
	buffer_load_dword v39, off, s[0:3], 0 offset:680
	buffer_load_dword v40, off, s[0:3], 0 offset:684
	buffer_load_dword v41, off, s[0:3], 0 offset:656
	buffer_load_dword v42, off, s[0:3], 0 offset:660
	buffer_load_dword v44, off, s[0:3], 0 offset:700
	buffer_load_dword v43, off, s[0:3], 0 offset:696
	buffer_load_dword v45, off, s[0:3], 0 offset:672
	buffer_load_dword v46, off, s[0:3], 0 offset:676
	buffer_load_dword v47, off, s[0:3], 0 offset:712
	buffer_load_dword v48, off, s[0:3], 0 offset:716
	buffer_load_dword v50, off, s[0:3], 0 offset:692
	buffer_load_dword v49, off, s[0:3], 0 offset:688
	buffer_load_dword v52, off, s[0:3], 0 offset:732
	buffer_load_dword v51, off, s[0:3], 0 offset:728
	buffer_load_dword v53, off, s[0:3], 0 offset:704
	buffer_load_dword v54, off, s[0:3], 0 offset:708
	buffer_load_dword v55, off, s[0:3], 0 offset:744
	buffer_load_dword v56, off, s[0:3], 0 offset:748
	buffer_load_dword v58, off, s[0:3], 0 offset:724
	buffer_load_dword v57, off, s[0:3], 0 offset:720
	buffer_load_dword v60, off, s[0:3], 0 offset:764
	buffer_load_dword v59, off, s[0:3], 0 offset:760
	buffer_load_dword v61, off, s[0:3], 0 offset:736
	buffer_load_dword v62, off, s[0:3], 0 offset:740
	buffer_load_dword v63, off, s[0:3], 0 offset:776
	buffer_load_dword v64, off, s[0:3], 0 offset:780
	buffer_load_dword v70, off, s[0:3], 0 offset:756
	buffer_load_dword v69, off, s[0:3], 0 offset:752
	buffer_load_dword v72, off, s[0:3], 0 offset:796
	buffer_load_dword v71, off, s[0:3], 0 offset:792
	buffer_load_dword v73, off, s[0:3], 0 offset:768
	buffer_load_dword v74, off, s[0:3], 0 offset:772
	buffer_load_dword v76, off, s[0:3], 0 offset:788
	buffer_load_dword v75, off, s[0:3], 0 offset:784
	buffer_load_dword v81, off, s[0:3], 0 offset:624
	buffer_load_dword v82, off, s[0:3], 0 offset:628
	buffer_load_dword v83, off, s[0:3], 0 offset:632
	buffer_load_dword v84, off, s[0:3], 0 offset:636
	ds_read_b128 v[2:5], v1 offset:1408
	ds_read_b128 v[6:9], v1 offset:1424
	s_mov_b32 s4, exec_lo
	s_waitcnt vmcnt(42) lgkmcnt(1)
	v_mul_f64 v[85:86], v[4:5], v[27:28]
	v_mul_f64 v[87:88], v[2:3], v[27:28]
	s_waitcnt vmcnt(40) lgkmcnt(0)
	v_mul_f64 v[161:162], v[8:9], v[31:32]
	ds_read_b128 v[27:30], v1 offset:1440
	v_mul_f64 v[31:32], v[6:7], v[31:32]
	s_waitcnt vmcnt(38)
	v_fma_f64 v[85:86], v[2:3], v[37:38], -v[85:86]
	v_fma_f64 v[37:38], v[4:5], v[37:38], v[87:88]
	ds_read_b128 v[2:5], v1 offset:1456
	s_waitcnt vmcnt(36) lgkmcnt(1)
	v_mul_f64 v[87:88], v[27:28], v[39:40]
	v_mul_f64 v[39:40], v[29:30], v[39:40]
	s_waitcnt vmcnt(34)
	v_fma_f64 v[161:162], v[6:7], v[41:42], -v[161:162]
	v_fma_f64 v[31:32], v[8:9], v[41:42], v[31:32]
	ds_read_b128 v[6:9], v1 offset:1472
	s_waitcnt vmcnt(32) lgkmcnt(1)
	v_mul_f64 v[41:42], v[2:3], v[43:44]
	v_add_f64 v[85:86], v[85:86], 0
	v_add_f64 v[37:38], v[37:38], 0
	v_mul_f64 v[43:44], v[4:5], v[43:44]
	s_waitcnt vmcnt(30)
	v_fma_f64 v[39:40], v[27:28], v[45:46], -v[39:40]
	v_fma_f64 v[45:46], v[29:30], v[45:46], v[87:88]
	ds_read_b128 v[27:30], v1 offset:1488
	s_waitcnt vmcnt(26)
	v_fma_f64 v[41:42], v[4:5], v[49:50], v[41:42]
	v_add_f64 v[85:86], v[85:86], v[161:162]
	v_add_f64 v[31:32], v[37:38], v[31:32]
	s_waitcnt lgkmcnt(1)
	v_mul_f64 v[37:38], v[6:7], v[47:48]
	v_mul_f64 v[47:48], v[8:9], v[47:48]
	v_fma_f64 v[43:44], v[2:3], v[49:50], -v[43:44]
	s_waitcnt vmcnt(24) lgkmcnt(0)
	v_mul_f64 v[49:50], v[29:30], v[51:52]
	ds_read_b128 v[2:5], v1 offset:1504
	v_add_f64 v[39:40], v[85:86], v[39:40]
	v_add_f64 v[31:32], v[31:32], v[45:46]
	v_mul_f64 v[45:46], v[27:28], v[51:52]
	s_waitcnt vmcnt(22)
	v_fma_f64 v[47:48], v[6:7], v[53:54], -v[47:48]
	v_fma_f64 v[37:38], v[8:9], v[53:54], v[37:38]
	ds_read_b128 v[6:9], v1 offset:1520
	s_waitcnt vmcnt(18)
	v_fma_f64 v[49:50], v[27:28], v[57:58], -v[49:50]
	v_add_f64 v[39:40], v[39:40], v[43:44]
	v_add_f64 v[31:32], v[31:32], v[41:42]
	s_waitcnt lgkmcnt(1)
	v_mul_f64 v[43:44], v[4:5], v[55:56]
	v_mul_f64 v[41:42], v[2:3], v[55:56]
	v_fma_f64 v[45:46], v[29:30], v[57:58], v[45:46]
	ds_read_b128 v[27:30], v1 offset:1536
	v_add_f64 v[39:40], v[39:40], v[47:48]
	v_add_f64 v[31:32], v[31:32], v[37:38]
	s_waitcnt vmcnt(16) lgkmcnt(1)
	v_mul_f64 v[47:48], v[8:9], v[59:60]
	s_waitcnt vmcnt(14)
	v_fma_f64 v[43:44], v[2:3], v[61:62], -v[43:44]
	v_mul_f64 v[37:38], v[6:7], v[59:60]
	v_fma_f64 v[41:42], v[4:5], v[61:62], v[41:42]
	ds_read_b128 v[1:4], v1 offset:1552
	v_add_f64 v[39:40], v[39:40], v[49:50]
	v_add_f64 v[31:32], v[31:32], v[45:46]
	s_waitcnt vmcnt(12) lgkmcnt(1)
	v_mul_f64 v[49:50], v[29:30], v[63:64]
	s_waitcnt vmcnt(10)
	v_fma_f64 v[5:6], v[6:7], v[69:70], -v[47:48]
	v_mul_f64 v[45:46], v[27:28], v[63:64]
	v_fma_f64 v[7:8], v[8:9], v[69:70], v[37:38]
	s_waitcnt vmcnt(8) lgkmcnt(0)
	v_mul_f64 v[37:38], v[3:4], v[71:72]
	v_add_f64 v[39:40], v[39:40], v[43:44]
	v_add_f64 v[9:10], v[31:32], v[41:42]
	s_waitcnt vmcnt(6)
	v_fma_f64 v[27:28], v[27:28], v[73:74], -v[49:50]
	v_mul_f64 v[31:32], v[1:2], v[71:72]
	v_fma_f64 v[29:30], v[29:30], v[73:74], v[45:46]
	s_waitcnt vmcnt(4)
	v_fma_f64 v[1:2], v[1:2], v[75:76], -v[37:38]
	v_add_f64 v[5:6], v[39:40], v[5:6]
	v_add_f64 v[7:8], v[9:10], v[7:8]
	v_fma_f64 v[3:4], v[3:4], v[75:76], v[31:32]
	v_add_f64 v[5:6], v[5:6], v[27:28]
	v_add_f64 v[7:8], v[7:8], v[29:30]
	;; [unrolled: 1-line block ×4, first 2 shown]
	s_waitcnt vmcnt(2)
	v_add_f64 v[1:2], v[81:82], -v[1:2]
	s_waitcnt vmcnt(0)
	v_add_f64 v[3:4], v[83:84], -v[3:4]
	buffer_store_dword v2, off, s[0:3], 0 offset:628
	buffer_store_dword v1, off, s[0:3], 0 offset:624
	;; [unrolled: 1-line block ×4, first 2 shown]
	v_cmpx_lt_u32_e32 37, v0
	s_cbranch_execz .LBB48_233
; %bb.232:
	v_mov_b32_e32 v4, s23
	v_mov_b32_e32 v5, 0
	s_clause 0x3
	buffer_load_dword v1, v4, s[0:3], 0 offen
	buffer_load_dword v2, v4, s[0:3], 0 offen offset:4
	buffer_load_dword v3, v4, s[0:3], 0 offen offset:8
	;; [unrolled: 1-line block ×3, first 2 shown]
	buffer_store_dword v5, off, s[0:3], 0 offset:608
	buffer_store_dword v5, off, s[0:3], 0 offset:612
	;; [unrolled: 1-line block ×4, first 2 shown]
	s_waitcnt vmcnt(0)
	ds_write_b128 v11, v[1:4]
.LBB48_233:
	s_or_b32 exec_lo, exec_lo, s4
	s_waitcnt lgkmcnt(0)
	s_waitcnt_vscnt null, 0x0
	s_barrier
	buffer_gl0_inv
	s_clause 0x2f
	buffer_load_dword v27, off, s[0:3], 0 offset:632
	buffer_load_dword v28, off, s[0:3], 0 offset:636
	;; [unrolled: 1-line block ×48, first 2 shown]
	v_mov_b32_e32 v1, 0
	ds_read_b128 v[2:5], v1 offset:1392
	ds_read_b128 v[6:9], v1 offset:1408
	s_mov_b32 s4, exec_lo
	s_waitcnt vmcnt(46) lgkmcnt(1)
	v_mul_f64 v[161:162], v[4:5], v[27:28]
	v_mul_f64 v[163:164], v[2:3], v[27:28]
	s_waitcnt vmcnt(44) lgkmcnt(0)
	v_mul_f64 v[165:166], v[8:9], v[31:32]
	ds_read_b128 v[27:30], v1 offset:1424
	v_mul_f64 v[31:32], v[6:7], v[31:32]
	s_waitcnt vmcnt(42)
	v_fma_f64 v[161:162], v[2:3], v[37:38], -v[161:162]
	v_fma_f64 v[37:38], v[4:5], v[37:38], v[163:164]
	ds_read_b128 v[2:5], v1 offset:1440
	s_waitcnt vmcnt(40) lgkmcnt(1)
	v_mul_f64 v[163:164], v[27:28], v[39:40]
	v_mul_f64 v[39:40], v[29:30], v[39:40]
	s_waitcnt vmcnt(38)
	v_fma_f64 v[165:166], v[6:7], v[41:42], -v[165:166]
	v_fma_f64 v[31:32], v[8:9], v[41:42], v[31:32]
	ds_read_b128 v[6:9], v1 offset:1456
	s_waitcnt vmcnt(34) lgkmcnt(1)
	v_mul_f64 v[41:42], v[2:3], v[43:44]
	v_add_f64 v[161:162], v[161:162], 0
	v_add_f64 v[37:38], v[37:38], 0
	v_mul_f64 v[43:44], v[4:5], v[43:44]
	s_waitcnt vmcnt(32)
	v_fma_f64 v[39:40], v[27:28], v[49:50], -v[39:40]
	v_fma_f64 v[49:50], v[29:30], v[49:50], v[163:164]
	ds_read_b128 v[27:30], v1 offset:1472
	s_waitcnt vmcnt(29)
	v_fma_f64 v[41:42], v[4:5], v[51:52], v[41:42]
	v_add_f64 v[161:162], v[161:162], v[165:166]
	v_add_f64 v[31:32], v[37:38], v[31:32]
	s_waitcnt lgkmcnt(1)
	v_mul_f64 v[37:38], v[6:7], v[45:46]
	v_mul_f64 v[45:46], v[8:9], v[45:46]
	v_fma_f64 v[43:44], v[2:3], v[51:52], -v[43:44]
	s_waitcnt vmcnt(25) lgkmcnt(0)
	v_mul_f64 v[51:52], v[29:30], v[53:54]
	ds_read_b128 v[2:5], v1 offset:1488
	v_add_f64 v[39:40], v[161:162], v[39:40]
	v_add_f64 v[31:32], v[31:32], v[49:50]
	v_mul_f64 v[49:50], v[27:28], v[53:54]
	s_waitcnt vmcnt(24)
	v_fma_f64 v[45:46], v[6:7], v[47:48], -v[45:46]
	v_fma_f64 v[37:38], v[8:9], v[47:48], v[37:38]
	ds_read_b128 v[6:9], v1 offset:1504
	s_waitcnt vmcnt(21)
	v_fma_f64 v[47:48], v[27:28], v[59:60], -v[51:52]
	v_add_f64 v[39:40], v[39:40], v[43:44]
	v_add_f64 v[31:32], v[31:32], v[41:42]
	s_waitcnt lgkmcnt(1)
	v_mul_f64 v[43:44], v[4:5], v[55:56]
	v_mul_f64 v[41:42], v[2:3], v[55:56]
	v_add_f64 v[39:40], v[39:40], v[45:46]
	v_fma_f64 v[45:46], v[29:30], v[59:60], v[49:50]
	v_add_f64 v[31:32], v[31:32], v[37:38]
	s_waitcnt vmcnt(17) lgkmcnt(0)
	v_mul_f64 v[49:50], v[8:9], v[61:62]
	s_waitcnt vmcnt(16)
	v_fma_f64 v[43:44], v[2:3], v[57:58], -v[43:44]
	ds_read_b128 v[27:30], v1 offset:1520
	v_mul_f64 v[37:38], v[6:7], v[61:62]
	v_fma_f64 v[41:42], v[4:5], v[57:58], v[41:42]
	ds_read_b128 v[2:5], v1 offset:1536
	v_add_f64 v[39:40], v[39:40], v[47:48]
	v_add_f64 v[31:32], v[31:32], v[45:46]
	s_waitcnt vmcnt(15) lgkmcnt(1)
	v_mul_f64 v[47:48], v[29:30], v[63:64]
	s_waitcnt vmcnt(13)
	v_fma_f64 v[49:50], v[6:7], v[71:72], -v[49:50]
	v_mul_f64 v[45:46], v[27:28], v[63:64]
	v_fma_f64 v[37:38], v[8:9], v[71:72], v[37:38]
	ds_read_b128 v[6:9], v1 offset:1552
	v_add_f64 v[39:40], v[39:40], v[43:44]
	s_waitcnt vmcnt(9) lgkmcnt(1)
	v_mul_f64 v[43:44], v[4:5], v[73:74]
	v_add_f64 v[31:32], v[31:32], v[41:42]
	s_waitcnt vmcnt(8)
	v_fma_f64 v[27:28], v[27:28], v[69:70], -v[47:48]
	v_mul_f64 v[41:42], v[2:3], v[73:74]
	v_fma_f64 v[29:30], v[29:30], v[69:70], v[45:46]
	s_waitcnt vmcnt(7) lgkmcnt(0)
	v_mul_f64 v[45:46], v[8:9], v[75:76]
	v_add_f64 v[39:40], v[39:40], v[49:50]
	s_waitcnt vmcnt(5)
	v_fma_f64 v[2:3], v[2:3], v[83:84], -v[43:44]
	v_add_f64 v[31:32], v[31:32], v[37:38]
	v_mul_f64 v[37:38], v[6:7], v[75:76]
	v_fma_f64 v[4:5], v[4:5], v[83:84], v[41:42]
	s_waitcnt vmcnt(4)
	v_fma_f64 v[6:7], v[6:7], v[81:82], -v[45:46]
	v_add_f64 v[27:28], v[39:40], v[27:28]
	v_add_f64 v[29:30], v[31:32], v[29:30]
	v_fma_f64 v[8:9], v[8:9], v[81:82], v[37:38]
	v_add_f64 v[2:3], v[27:28], v[2:3]
	v_add_f64 v[4:5], v[29:30], v[4:5]
	;; [unrolled: 1-line block ×4, first 2 shown]
	s_waitcnt vmcnt(2)
	v_add_f64 v[2:3], v[85:86], -v[2:3]
	s_waitcnt vmcnt(0)
	v_add_f64 v[4:5], v[87:88], -v[4:5]
	buffer_store_dword v3, off, s[0:3], 0 offset:612
	buffer_store_dword v2, off, s[0:3], 0 offset:608
	;; [unrolled: 1-line block ×4, first 2 shown]
	v_cmpx_lt_u32_e32 36, v0
	s_cbranch_execz .LBB48_235
; %bb.234:
	v_mov_b32_e32 v5, s24
	s_clause 0x3
	buffer_load_dword v2, v5, s[0:3], 0 offen
	buffer_load_dword v3, v5, s[0:3], 0 offen offset:4
	buffer_load_dword v4, v5, s[0:3], 0 offen offset:8
	;; [unrolled: 1-line block ×3, first 2 shown]
	buffer_store_dword v1, off, s[0:3], 0 offset:592
	buffer_store_dword v1, off, s[0:3], 0 offset:596
	;; [unrolled: 1-line block ×4, first 2 shown]
	s_waitcnt vmcnt(0)
	ds_write_b128 v11, v[2:5]
.LBB48_235:
	s_or_b32 exec_lo, exec_lo, s4
	s_waitcnt lgkmcnt(0)
	s_waitcnt_vscnt null, 0x0
	s_barrier
	buffer_gl0_inv
	s_clause 0x2f
	buffer_load_dword v27, off, s[0:3], 0 offset:616
	buffer_load_dword v28, off, s[0:3], 0 offset:620
	;; [unrolled: 1-line block ×48, first 2 shown]
	ds_read_b128 v[2:5], v1 offset:1376
	s_clause 0x3
	buffer_load_dword v161, off, s[0:3], 0 offset:592
	buffer_load_dword v162, off, s[0:3], 0 offset:596
	;; [unrolled: 1-line block ×4, first 2 shown]
	ds_read_b128 v[6:9], v1 offset:1392
	s_mov_b32 s4, exec_lo
	s_waitcnt vmcnt(50) lgkmcnt(1)
	v_mul_f64 v[165:166], v[4:5], v[27:28]
	v_mul_f64 v[167:168], v[2:3], v[27:28]
	ds_read_b128 v[27:30], v1 offset:1408
	s_waitcnt vmcnt(48) lgkmcnt(1)
	v_mul_f64 v[169:170], v[8:9], v[31:32]
	v_mul_f64 v[31:32], v[6:7], v[31:32]
	s_waitcnt vmcnt(46)
	v_fma_f64 v[165:166], v[2:3], v[37:38], -v[165:166]
	v_fma_f64 v[37:38], v[4:5], v[37:38], v[167:168]
	s_waitcnt vmcnt(44) lgkmcnt(0)
	v_mul_f64 v[167:168], v[27:28], v[39:40]
	v_mul_f64 v[39:40], v[29:30], v[39:40]
	s_waitcnt vmcnt(42)
	v_fma_f64 v[169:170], v[6:7], v[41:42], -v[169:170]
	ds_read_b128 v[2:5], v1 offset:1424
	v_fma_f64 v[31:32], v[8:9], v[41:42], v[31:32]
	ds_read_b128 v[6:9], v1 offset:1440
	v_add_f64 v[165:166], v[165:166], 0
	v_add_f64 v[37:38], v[37:38], 0
	s_waitcnt vmcnt(38) lgkmcnt(1)
	v_mul_f64 v[41:42], v[2:3], v[43:44]
	v_mul_f64 v[43:44], v[4:5], v[43:44]
	s_waitcnt vmcnt(36)
	v_fma_f64 v[39:40], v[27:28], v[49:50], -v[39:40]
	v_fma_f64 v[49:50], v[29:30], v[49:50], v[167:168]
	ds_read_b128 v[27:30], v1 offset:1456
	v_add_f64 v[165:166], v[165:166], v[169:170]
	v_add_f64 v[31:32], v[37:38], v[31:32]
	s_waitcnt vmcnt(35) lgkmcnt(1)
	v_mul_f64 v[37:38], v[6:7], v[45:46]
	v_mul_f64 v[45:46], v[8:9], v[45:46]
	s_waitcnt vmcnt(33)
	v_fma_f64 v[43:44], v[2:3], v[51:52], -v[43:44]
	v_fma_f64 v[41:42], v[4:5], v[51:52], v[41:42]
	ds_read_b128 v[2:5], v1 offset:1472
	s_waitcnt vmcnt(29) lgkmcnt(1)
	v_mul_f64 v[51:52], v[29:30], v[53:54]
	v_add_f64 v[39:40], v[165:166], v[39:40]
	v_add_f64 v[31:32], v[31:32], v[49:50]
	v_mul_f64 v[49:50], v[27:28], v[53:54]
	s_waitcnt vmcnt(28)
	v_fma_f64 v[45:46], v[6:7], v[47:48], -v[45:46]
	v_fma_f64 v[37:38], v[8:9], v[47:48], v[37:38]
	ds_read_b128 v[6:9], v1 offset:1488
	s_waitcnt vmcnt(25)
	v_fma_f64 v[47:48], v[27:28], v[59:60], -v[51:52]
	v_add_f64 v[39:40], v[39:40], v[43:44]
	v_add_f64 v[31:32], v[31:32], v[41:42]
	s_waitcnt lgkmcnt(1)
	v_mul_f64 v[43:44], v[4:5], v[55:56]
	v_mul_f64 v[41:42], v[2:3], v[55:56]
	v_add_f64 v[39:40], v[39:40], v[45:46]
	v_fma_f64 v[45:46], v[29:30], v[59:60], v[49:50]
	v_add_f64 v[31:32], v[31:32], v[37:38]
	ds_read_b128 v[27:30], v1 offset:1504
	s_waitcnt vmcnt(21) lgkmcnt(1)
	v_mul_f64 v[49:50], v[8:9], v[61:62]
	s_waitcnt vmcnt(20)
	v_fma_f64 v[43:44], v[2:3], v[57:58], -v[43:44]
	v_mul_f64 v[37:38], v[6:7], v[61:62]
	v_fma_f64 v[41:42], v[4:5], v[57:58], v[41:42]
	ds_read_b128 v[2:5], v1 offset:1520
	v_add_f64 v[39:40], v[39:40], v[47:48]
	s_waitcnt vmcnt(19) lgkmcnt(1)
	v_mul_f64 v[47:48], v[29:30], v[63:64]
	v_add_f64 v[31:32], v[31:32], v[45:46]
	v_mul_f64 v[45:46], v[27:28], v[63:64]
	s_waitcnt vmcnt(17)
	v_fma_f64 v[49:50], v[6:7], v[71:72], -v[49:50]
	v_fma_f64 v[37:38], v[8:9], v[71:72], v[37:38]
	ds_read_b128 v[6:9], v1 offset:1536
	v_add_f64 v[39:40], v[39:40], v[43:44]
	s_waitcnt vmcnt(13) lgkmcnt(1)
	v_mul_f64 v[43:44], v[4:5], v[73:74]
	v_add_f64 v[31:32], v[31:32], v[41:42]
	s_waitcnt vmcnt(12)
	v_fma_f64 v[47:48], v[27:28], v[69:70], -v[47:48]
	v_mul_f64 v[41:42], v[2:3], v[73:74]
	v_fma_f64 v[45:46], v[29:30], v[69:70], v[45:46]
	ds_read_b128 v[27:30], v1 offset:1552
	v_add_f64 v[39:40], v[39:40], v[49:50]
	s_waitcnt vmcnt(11) lgkmcnt(1)
	v_mul_f64 v[49:50], v[8:9], v[75:76]
	v_add_f64 v[31:32], v[31:32], v[37:38]
	s_waitcnt vmcnt(9)
	v_fma_f64 v[1:2], v[2:3], v[83:84], -v[43:44]
	v_mul_f64 v[37:38], v[6:7], v[75:76]
	v_fma_f64 v[3:4], v[4:5], v[83:84], v[41:42]
	s_waitcnt vmcnt(7) lgkmcnt(0)
	v_mul_f64 v[43:44], v[29:30], v[85:86]
	v_mul_f64 v[41:42], v[27:28], v[85:86]
	v_add_f64 v[39:40], v[39:40], v[47:48]
	s_waitcnt vmcnt(6)
	v_fma_f64 v[5:6], v[6:7], v[81:82], -v[49:50]
	v_add_f64 v[31:32], v[31:32], v[45:46]
	v_fma_f64 v[7:8], v[8:9], v[81:82], v[37:38]
	s_waitcnt vmcnt(4)
	v_fma_f64 v[9:10], v[27:28], v[87:88], -v[43:44]
	v_add_f64 v[1:2], v[39:40], v[1:2]
	v_add_f64 v[3:4], v[31:32], v[3:4]
	;; [unrolled: 1-line block ×3, first 2 shown]
	v_fma_f64 v[5:6], v[29:30], v[87:88], v[41:42]
	v_add_f64 v[3:4], v[3:4], v[7:8]
	v_add_f64 v[1:2], v[1:2], v[9:10]
	;; [unrolled: 1-line block ×3, first 2 shown]
	s_waitcnt vmcnt(2)
	v_add_f64 v[1:2], v[161:162], -v[1:2]
	s_waitcnt vmcnt(0)
	v_add_f64 v[3:4], v[163:164], -v[3:4]
	buffer_store_dword v2, off, s[0:3], 0 offset:596
	buffer_store_dword v1, off, s[0:3], 0 offset:592
	;; [unrolled: 1-line block ×4, first 2 shown]
	v_cmpx_lt_u32_e32 35, v0
	s_cbranch_execz .LBB48_237
; %bb.236:
	v_mov_b32_e32 v4, s25
	v_mov_b32_e32 v5, 0
	s_clause 0x3
	buffer_load_dword v1, v4, s[0:3], 0 offen
	buffer_load_dword v2, v4, s[0:3], 0 offen offset:4
	buffer_load_dword v3, v4, s[0:3], 0 offen offset:8
	;; [unrolled: 1-line block ×3, first 2 shown]
	buffer_store_dword v5, off, s[0:3], 0 offset:576
	buffer_store_dword v5, off, s[0:3], 0 offset:580
	;; [unrolled: 1-line block ×4, first 2 shown]
	s_waitcnt vmcnt(0)
	ds_write_b128 v11, v[1:4]
.LBB48_237:
	s_or_b32 exec_lo, exec_lo, s4
	s_waitcnt lgkmcnt(0)
	s_waitcnt_vscnt null, 0x0
	s_barrier
	buffer_gl0_inv
	s_clause 0x33
	buffer_load_dword v27, off, s[0:3], 0 offset:600
	buffer_load_dword v28, off, s[0:3], 0 offset:604
	;; [unrolled: 1-line block ×52, first 2 shown]
	v_mov_b32_e32 v1, 0
	ds_read_b128 v[2:5], v1 offset:1360
	ds_read_b128 v[6:9], v1 offset:1376
	s_clause 0x3
	buffer_load_dword v169, off, s[0:3], 0 offset:576
	buffer_load_dword v170, off, s[0:3], 0 offset:580
	;; [unrolled: 1-line block ×4, first 2 shown]
	s_mov_b32 s4, exec_lo
	s_waitcnt vmcnt(54) lgkmcnt(1)
	v_mul_f64 v[165:166], v[4:5], v[27:28]
	v_mul_f64 v[167:168], v[2:3], v[27:28]
	s_waitcnt vmcnt(52) lgkmcnt(0)
	v_mul_f64 v[173:174], v[8:9], v[31:32]
	ds_read_b128 v[27:30], v1 offset:1392
	v_mul_f64 v[31:32], v[6:7], v[31:32]
	s_waitcnt vmcnt(50)
	v_fma_f64 v[165:166], v[2:3], v[37:38], -v[165:166]
	v_fma_f64 v[37:38], v[4:5], v[37:38], v[167:168]
	ds_read_b128 v[2:5], v1 offset:1408
	s_waitcnt vmcnt(48) lgkmcnt(1)
	v_mul_f64 v[167:168], v[27:28], v[39:40]
	v_mul_f64 v[39:40], v[29:30], v[39:40]
	s_waitcnt vmcnt(46)
	v_fma_f64 v[173:174], v[6:7], v[41:42], -v[173:174]
	v_fma_f64 v[31:32], v[8:9], v[41:42], v[31:32]
	ds_read_b128 v[6:9], v1 offset:1424
	s_waitcnt vmcnt(42) lgkmcnt(1)
	v_mul_f64 v[41:42], v[2:3], v[43:44]
	v_add_f64 v[165:166], v[165:166], 0
	v_add_f64 v[37:38], v[37:38], 0
	v_mul_f64 v[43:44], v[4:5], v[43:44]
	s_waitcnt vmcnt(40)
	v_fma_f64 v[39:40], v[27:28], v[49:50], -v[39:40]
	v_fma_f64 v[49:50], v[29:30], v[49:50], v[167:168]
	ds_read_b128 v[27:30], v1 offset:1440
	s_waitcnt vmcnt(37)
	v_fma_f64 v[41:42], v[4:5], v[51:52], v[41:42]
	v_add_f64 v[165:166], v[165:166], v[173:174]
	v_add_f64 v[31:32], v[37:38], v[31:32]
	s_waitcnt lgkmcnt(1)
	v_mul_f64 v[37:38], v[6:7], v[45:46]
	v_mul_f64 v[45:46], v[8:9], v[45:46]
	v_fma_f64 v[43:44], v[2:3], v[51:52], -v[43:44]
	s_waitcnt vmcnt(33) lgkmcnt(0)
	v_mul_f64 v[51:52], v[29:30], v[53:54]
	ds_read_b128 v[2:5], v1 offset:1456
	v_add_f64 v[39:40], v[165:166], v[39:40]
	v_add_f64 v[31:32], v[31:32], v[49:50]
	v_mul_f64 v[49:50], v[27:28], v[53:54]
	s_waitcnt vmcnt(32)
	v_fma_f64 v[45:46], v[6:7], v[47:48], -v[45:46]
	v_fma_f64 v[37:38], v[8:9], v[47:48], v[37:38]
	ds_read_b128 v[6:9], v1 offset:1472
	s_waitcnt vmcnt(29)
	v_fma_f64 v[47:48], v[27:28], v[59:60], -v[51:52]
	v_add_f64 v[39:40], v[39:40], v[43:44]
	v_add_f64 v[31:32], v[31:32], v[41:42]
	s_waitcnt lgkmcnt(1)
	v_mul_f64 v[43:44], v[4:5], v[55:56]
	v_mul_f64 v[41:42], v[2:3], v[55:56]
	v_add_f64 v[39:40], v[39:40], v[45:46]
	v_fma_f64 v[45:46], v[29:30], v[59:60], v[49:50]
	v_add_f64 v[31:32], v[31:32], v[37:38]
	s_waitcnt vmcnt(25) lgkmcnt(0)
	v_mul_f64 v[49:50], v[8:9], v[61:62]
	s_waitcnt vmcnt(24)
	v_fma_f64 v[43:44], v[2:3], v[57:58], -v[43:44]
	ds_read_b128 v[27:30], v1 offset:1488
	v_mul_f64 v[37:38], v[6:7], v[61:62]
	v_fma_f64 v[41:42], v[4:5], v[57:58], v[41:42]
	ds_read_b128 v[2:5], v1 offset:1504
	v_add_f64 v[39:40], v[39:40], v[47:48]
	v_add_f64 v[31:32], v[31:32], v[45:46]
	s_waitcnt vmcnt(23) lgkmcnt(1)
	v_mul_f64 v[47:48], v[29:30], v[63:64]
	s_waitcnt vmcnt(21)
	v_fma_f64 v[49:50], v[6:7], v[71:72], -v[49:50]
	v_mul_f64 v[45:46], v[27:28], v[63:64]
	v_fma_f64 v[37:38], v[8:9], v[71:72], v[37:38]
	ds_read_b128 v[6:9], v1 offset:1520
	v_add_f64 v[39:40], v[39:40], v[43:44]
	s_waitcnt vmcnt(17) lgkmcnt(1)
	v_mul_f64 v[43:44], v[4:5], v[73:74]
	v_add_f64 v[31:32], v[31:32], v[41:42]
	s_waitcnt vmcnt(16)
	v_fma_f64 v[47:48], v[27:28], v[69:70], -v[47:48]
	v_mul_f64 v[41:42], v[2:3], v[73:74]
	v_fma_f64 v[45:46], v[29:30], v[69:70], v[45:46]
	ds_read_b128 v[27:30], v1 offset:1536
	v_add_f64 v[39:40], v[39:40], v[49:50]
	s_waitcnt vmcnt(15) lgkmcnt(1)
	v_mul_f64 v[49:50], v[8:9], v[75:76]
	v_add_f64 v[31:32], v[31:32], v[37:38]
	s_waitcnt vmcnt(13)
	v_fma_f64 v[43:44], v[2:3], v[83:84], -v[43:44]
	v_mul_f64 v[37:38], v[6:7], v[75:76]
	v_fma_f64 v[41:42], v[4:5], v[83:84], v[41:42]
	ds_read_b128 v[2:5], v1 offset:1552
	v_add_f64 v[39:40], v[39:40], v[47:48]
	s_waitcnt vmcnt(9) lgkmcnt(1)
	v_mul_f64 v[47:48], v[29:30], v[85:86]
	v_add_f64 v[31:32], v[31:32], v[45:46]
	s_waitcnt vmcnt(8)
	v_fma_f64 v[6:7], v[6:7], v[81:82], -v[49:50]
	v_mul_f64 v[45:46], v[27:28], v[85:86]
	v_fma_f64 v[8:9], v[8:9], v[81:82], v[37:38]
	s_waitcnt vmcnt(7) lgkmcnt(0)
	v_mul_f64 v[37:38], v[2:3], v[87:88]
	v_add_f64 v[39:40], v[39:40], v[43:44]
	s_waitcnt vmcnt(5)
	v_fma_f64 v[27:28], v[27:28], v[163:164], -v[47:48]
	v_add_f64 v[31:32], v[31:32], v[41:42]
	v_mul_f64 v[41:42], v[4:5], v[87:88]
	v_fma_f64 v[29:30], v[29:30], v[163:164], v[45:46]
	s_waitcnt vmcnt(4)
	v_fma_f64 v[4:5], v[4:5], v[161:162], v[37:38]
	v_add_f64 v[6:7], v[39:40], v[6:7]
	v_add_f64 v[8:9], v[31:32], v[8:9]
	v_fma_f64 v[2:3], v[2:3], v[161:162], -v[41:42]
	v_add_f64 v[6:7], v[6:7], v[27:28]
	v_add_f64 v[8:9], v[8:9], v[29:30]
	v_add_f64 v[2:3], v[6:7], v[2:3]
	v_add_f64 v[4:5], v[8:9], v[4:5]
	s_waitcnt vmcnt(2)
	v_add_f64 v[2:3], v[169:170], -v[2:3]
	s_waitcnt vmcnt(0)
	v_add_f64 v[4:5], v[171:172], -v[4:5]
	buffer_store_dword v3, off, s[0:3], 0 offset:580
	buffer_store_dword v2, off, s[0:3], 0 offset:576
	;; [unrolled: 1-line block ×4, first 2 shown]
	v_cmpx_lt_u32_e32 34, v0
	s_cbranch_execz .LBB48_239
; %bb.238:
	v_mov_b32_e32 v5, s26
	s_clause 0x3
	buffer_load_dword v2, v5, s[0:3], 0 offen
	buffer_load_dword v3, v5, s[0:3], 0 offen offset:4
	buffer_load_dword v4, v5, s[0:3], 0 offen offset:8
	;; [unrolled: 1-line block ×3, first 2 shown]
	buffer_store_dword v1, off, s[0:3], 0 offset:560
	buffer_store_dword v1, off, s[0:3], 0 offset:564
	;; [unrolled: 1-line block ×4, first 2 shown]
	s_waitcnt vmcnt(0)
	ds_write_b128 v11, v[2:5]
.LBB48_239:
	s_or_b32 exec_lo, exec_lo, s4
	s_waitcnt lgkmcnt(0)
	s_waitcnt_vscnt null, 0x0
	s_barrier
	buffer_gl0_inv
	s_clause 0x35
	buffer_load_dword v27, off, s[0:3], 0 offset:584
	buffer_load_dword v28, off, s[0:3], 0 offset:588
	;; [unrolled: 1-line block ×54, first 2 shown]
	ds_read_b128 v[2:5], v1 offset:1344
	s_clause 0x1
	buffer_load_dword v168, off, s[0:3], 0 offset:788
	buffer_load_dword v167, off, s[0:3], 0 offset:784
	ds_read_b128 v[6:9], v1 offset:1360
	s_mov_b32 s4, exec_lo
	s_waitcnt vmcnt(54) lgkmcnt(1)
	v_mul_f64 v[169:170], v[4:5], v[27:28]
	v_mul_f64 v[171:172], v[2:3], v[27:28]
	ds_read_b128 v[27:30], v1 offset:1376
	s_waitcnt vmcnt(52) lgkmcnt(1)
	v_mul_f64 v[173:174], v[8:9], v[31:32]
	v_mul_f64 v[31:32], v[6:7], v[31:32]
	s_waitcnt vmcnt(48) lgkmcnt(0)
	v_mul_f64 v[177:178], v[27:28], v[39:40]
	v_fma_f64 v[169:170], v[2:3], v[37:38], -v[169:170]
	v_fma_f64 v[37:38], v[4:5], v[37:38], v[171:172]
	s_clause 0x3
	buffer_load_dword v171, off, s[0:3], 0 offset:560
	buffer_load_dword v172, off, s[0:3], 0 offset:564
	;; [unrolled: 1-line block ×4, first 2 shown]
	v_mul_f64 v[39:40], v[29:30], v[39:40]
	s_waitcnt vmcnt(50)
	v_fma_f64 v[173:174], v[6:7], v[41:42], -v[173:174]
	ds_read_b128 v[2:5], v1 offset:1392
	v_fma_f64 v[31:32], v[8:9], v[41:42], v[31:32]
	ds_read_b128 v[6:9], v1 offset:1408
	v_add_f64 v[169:170], v[169:170], 0
	v_add_f64 v[37:38], v[37:38], 0
	s_waitcnt vmcnt(46) lgkmcnt(1)
	v_mul_f64 v[41:42], v[2:3], v[43:44]
	v_mul_f64 v[43:44], v[4:5], v[43:44]
	s_waitcnt vmcnt(44)
	v_fma_f64 v[39:40], v[27:28], v[49:50], -v[39:40]
	v_fma_f64 v[49:50], v[29:30], v[49:50], v[177:178]
	ds_read_b128 v[27:30], v1 offset:1424
	v_add_f64 v[169:170], v[169:170], v[173:174]
	v_add_f64 v[31:32], v[37:38], v[31:32]
	s_waitcnt vmcnt(43) lgkmcnt(1)
	v_mul_f64 v[37:38], v[6:7], v[45:46]
	v_mul_f64 v[45:46], v[8:9], v[45:46]
	s_waitcnt vmcnt(41)
	v_fma_f64 v[43:44], v[2:3], v[51:52], -v[43:44]
	v_fma_f64 v[41:42], v[4:5], v[51:52], v[41:42]
	ds_read_b128 v[2:5], v1 offset:1440
	s_waitcnt vmcnt(37) lgkmcnt(1)
	v_mul_f64 v[51:52], v[29:30], v[53:54]
	v_add_f64 v[39:40], v[169:170], v[39:40]
	v_add_f64 v[31:32], v[31:32], v[49:50]
	v_mul_f64 v[49:50], v[27:28], v[53:54]
	s_waitcnt vmcnt(36)
	v_fma_f64 v[45:46], v[6:7], v[47:48], -v[45:46]
	v_fma_f64 v[37:38], v[8:9], v[47:48], v[37:38]
	ds_read_b128 v[6:9], v1 offset:1456
	s_waitcnt vmcnt(33)
	v_fma_f64 v[47:48], v[27:28], v[59:60], -v[51:52]
	v_add_f64 v[39:40], v[39:40], v[43:44]
	v_add_f64 v[31:32], v[31:32], v[41:42]
	s_waitcnt lgkmcnt(1)
	v_mul_f64 v[43:44], v[4:5], v[55:56]
	v_mul_f64 v[41:42], v[2:3], v[55:56]
	v_add_f64 v[39:40], v[39:40], v[45:46]
	v_fma_f64 v[45:46], v[29:30], v[59:60], v[49:50]
	v_add_f64 v[31:32], v[31:32], v[37:38]
	ds_read_b128 v[27:30], v1 offset:1472
	s_waitcnt vmcnt(29) lgkmcnt(1)
	v_mul_f64 v[49:50], v[8:9], v[61:62]
	s_waitcnt vmcnt(28)
	v_fma_f64 v[43:44], v[2:3], v[57:58], -v[43:44]
	v_mul_f64 v[37:38], v[6:7], v[61:62]
	v_fma_f64 v[41:42], v[4:5], v[57:58], v[41:42]
	ds_read_b128 v[2:5], v1 offset:1488
	v_add_f64 v[39:40], v[39:40], v[47:48]
	s_waitcnt vmcnt(27) lgkmcnt(1)
	v_mul_f64 v[47:48], v[29:30], v[63:64]
	v_add_f64 v[31:32], v[31:32], v[45:46]
	v_mul_f64 v[45:46], v[27:28], v[63:64]
	s_waitcnt vmcnt(25)
	v_fma_f64 v[49:50], v[6:7], v[71:72], -v[49:50]
	v_fma_f64 v[37:38], v[8:9], v[71:72], v[37:38]
	ds_read_b128 v[6:9], v1 offset:1504
	v_add_f64 v[39:40], v[39:40], v[43:44]
	s_waitcnt vmcnt(21) lgkmcnt(1)
	v_mul_f64 v[43:44], v[4:5], v[73:74]
	v_add_f64 v[31:32], v[31:32], v[41:42]
	s_waitcnt vmcnt(20)
	v_fma_f64 v[47:48], v[27:28], v[69:70], -v[47:48]
	v_mul_f64 v[41:42], v[2:3], v[73:74]
	v_fma_f64 v[45:46], v[29:30], v[69:70], v[45:46]
	ds_read_b128 v[27:30], v1 offset:1520
	v_add_f64 v[39:40], v[39:40], v[49:50]
	s_waitcnt vmcnt(19) lgkmcnt(1)
	v_mul_f64 v[49:50], v[8:9], v[75:76]
	v_add_f64 v[31:32], v[31:32], v[37:38]
	s_waitcnt vmcnt(17)
	v_fma_f64 v[43:44], v[2:3], v[83:84], -v[43:44]
	v_mul_f64 v[37:38], v[6:7], v[75:76]
	;; [unrolled: 9-line block ×4, first 2 shown]
	v_fma_f64 v[29:30], v[29:30], v[163:164], v[45:46]
	s_waitcnt vmcnt(7) lgkmcnt(0)
	v_mul_f64 v[45:46], v[8:9], v[165:166]
	v_add_f64 v[39:40], v[39:40], v[49:50]
	s_waitcnt vmcnt(6)
	v_fma_f64 v[1:2], v[2:3], v[161:162], -v[43:44]
	v_add_f64 v[31:32], v[31:32], v[37:38]
	v_mul_f64 v[37:38], v[6:7], v[165:166]
	v_fma_f64 v[3:4], v[4:5], v[161:162], v[41:42]
	s_waitcnt vmcnt(4)
	v_fma_f64 v[5:6], v[6:7], v[167:168], -v[45:46]
	v_add_f64 v[27:28], v[39:40], v[27:28]
	v_add_f64 v[29:30], v[31:32], v[29:30]
	v_fma_f64 v[7:8], v[8:9], v[167:168], v[37:38]
	v_add_f64 v[1:2], v[27:28], v[1:2]
	v_add_f64 v[3:4], v[29:30], v[3:4]
	;; [unrolled: 1-line block ×4, first 2 shown]
	s_waitcnt vmcnt(2)
	v_add_f64 v[1:2], v[171:172], -v[1:2]
	s_waitcnt vmcnt(0)
	v_add_f64 v[3:4], v[175:176], -v[3:4]
	buffer_store_dword v2, off, s[0:3], 0 offset:564
	buffer_store_dword v1, off, s[0:3], 0 offset:560
	;; [unrolled: 1-line block ×4, first 2 shown]
	v_cmpx_lt_u32_e32 33, v0
	s_cbranch_execz .LBB48_241
; %bb.240:
	v_mov_b32_e32 v4, s27
	v_mov_b32_e32 v5, 0
	s_clause 0x3
	buffer_load_dword v1, v4, s[0:3], 0 offen
	buffer_load_dword v2, v4, s[0:3], 0 offen offset:4
	buffer_load_dword v3, v4, s[0:3], 0 offen offset:8
	;; [unrolled: 1-line block ×3, first 2 shown]
	buffer_store_dword v5, off, s[0:3], 0 offset:544
	buffer_store_dword v5, off, s[0:3], 0 offset:548
	;; [unrolled: 1-line block ×4, first 2 shown]
	s_waitcnt vmcnt(0)
	ds_write_b128 v11, v[1:4]
.LBB48_241:
	s_or_b32 exec_lo, exec_lo, s4
	s_waitcnt lgkmcnt(0)
	s_waitcnt_vscnt null, 0x0
	s_barrier
	buffer_gl0_inv
	s_clause 0x37
	buffer_load_dword v27, off, s[0:3], 0 offset:568
	buffer_load_dword v28, off, s[0:3], 0 offset:572
	;; [unrolled: 1-line block ×56, first 2 shown]
	v_mov_b32_e32 v1, 0
	s_mov_b32 s4, exec_lo
	ds_read_b128 v[2:5], v1 offset:1328
	s_clause 0x2
	buffer_load_dword v168, off, s[0:3], 0 offset:796
	buffer_load_dword v172, off, s[0:3], 0 offset:772
	;; [unrolled: 1-line block ×3, first 2 shown]
	ds_read_b128 v[6:9], v1 offset:1344
	buffer_load_dword v170, off, s[0:3], 0 offset:788
	s_waitcnt vmcnt(58) lgkmcnt(1)
	v_mul_f64 v[173:174], v[4:5], v[27:28]
	v_mul_f64 v[175:176], v[2:3], v[27:28]
	ds_read_b128 v[27:30], v1 offset:1360
	s_waitcnt vmcnt(56) lgkmcnt(1)
	v_mul_f64 v[177:178], v[8:9], v[31:32]
	v_mul_f64 v[31:32], v[6:7], v[31:32]
	s_waitcnt vmcnt(54)
	v_fma_f64 v[173:174], v[2:3], v[37:38], -v[173:174]
	v_fma_f64 v[37:38], v[4:5], v[37:38], v[175:176]
	s_waitcnt vmcnt(52) lgkmcnt(0)
	v_mul_f64 v[175:176], v[27:28], v[39:40]
	v_mul_f64 v[39:40], v[29:30], v[39:40]
	s_waitcnt vmcnt(50)
	v_fma_f64 v[177:178], v[6:7], v[41:42], -v[177:178]
	ds_read_b128 v[2:5], v1 offset:1376
	v_fma_f64 v[31:32], v[8:9], v[41:42], v[31:32]
	s_clause 0x3
	buffer_load_dword v41, off, s[0:3], 0 offset:544
	buffer_load_dword v42, off, s[0:3], 0 offset:548
	;; [unrolled: 1-line block ×4, first 2 shown]
	ds_read_b128 v[6:9], v1 offset:1392
	v_add_f64 v[173:174], v[173:174], 0
	v_add_f64 v[37:38], v[37:38], 0
	s_waitcnt vmcnt(50) lgkmcnt(1)
	v_mul_f64 v[181:182], v[2:3], v[43:44]
	v_mul_f64 v[43:44], v[4:5], v[43:44]
	s_waitcnt vmcnt(48)
	v_fma_f64 v[39:40], v[27:28], v[49:50], -v[39:40]
	v_fma_f64 v[49:50], v[29:30], v[49:50], v[175:176]
	ds_read_b128 v[27:30], v1 offset:1408
	v_add_f64 v[173:174], v[173:174], v[177:178]
	v_add_f64 v[31:32], v[37:38], v[31:32]
	s_waitcnt vmcnt(47) lgkmcnt(1)
	v_mul_f64 v[37:38], v[6:7], v[45:46]
	v_mul_f64 v[45:46], v[8:9], v[45:46]
	s_waitcnt vmcnt(45)
	v_fma_f64 v[43:44], v[2:3], v[51:52], -v[43:44]
	v_fma_f64 v[51:52], v[4:5], v[51:52], v[181:182]
	;; [unrolled: 9-line block ×3, first 2 shown]
	ds_read_b128 v[6:9], v1 offset:1440
	s_waitcnt vmcnt(39) lgkmcnt(1)
	v_mul_f64 v[47:48], v[4:5], v[55:56]
	v_add_f64 v[39:40], v[39:40], v[43:44]
	v_add_f64 v[31:32], v[31:32], v[51:52]
	v_mul_f64 v[43:44], v[2:3], v[55:56]
	s_waitcnt vmcnt(37)
	v_fma_f64 v[51:52], v[27:28], v[59:60], -v[53:54]
	s_waitcnt vmcnt(32)
	v_fma_f64 v[47:48], v[2:3], v[57:58], -v[47:48]
	v_add_f64 v[39:40], v[39:40], v[45:46]
	v_fma_f64 v[45:46], v[29:30], v[59:60], v[49:50]
	v_add_f64 v[31:32], v[31:32], v[37:38]
	s_waitcnt lgkmcnt(0)
	v_mul_f64 v[49:50], v[8:9], v[61:62]
	ds_read_b128 v[27:30], v1 offset:1456
	v_mul_f64 v[37:38], v[6:7], v[61:62]
	v_fma_f64 v[43:44], v[4:5], v[57:58], v[43:44]
	ds_read_b128 v[2:5], v1 offset:1472
	v_add_f64 v[39:40], v[39:40], v[51:52]
	v_add_f64 v[31:32], v[31:32], v[45:46]
	s_waitcnt vmcnt(31) lgkmcnt(1)
	v_mul_f64 v[51:52], v[29:30], v[63:64]
	s_waitcnt vmcnt(29)
	v_fma_f64 v[49:50], v[6:7], v[71:72], -v[49:50]
	v_mul_f64 v[45:46], v[27:28], v[63:64]
	v_fma_f64 v[37:38], v[8:9], v[71:72], v[37:38]
	ds_read_b128 v[6:9], v1 offset:1488
	v_add_f64 v[39:40], v[39:40], v[47:48]
	s_waitcnt vmcnt(25) lgkmcnt(1)
	v_mul_f64 v[47:48], v[4:5], v[73:74]
	v_add_f64 v[31:32], v[31:32], v[43:44]
	s_waitcnt vmcnt(24)
	v_fma_f64 v[51:52], v[27:28], v[69:70], -v[51:52]
	v_mul_f64 v[43:44], v[2:3], v[73:74]
	v_fma_f64 v[45:46], v[29:30], v[69:70], v[45:46]
	ds_read_b128 v[27:30], v1 offset:1504
	v_add_f64 v[39:40], v[39:40], v[49:50]
	s_waitcnt vmcnt(23) lgkmcnt(1)
	v_mul_f64 v[49:50], v[8:9], v[75:76]
	v_add_f64 v[31:32], v[31:32], v[37:38]
	;; [unrolled: 9-line block ×5, first 2 shown]
	s_waitcnt vmcnt(8)
	v_fma_f64 v[2:3], v[2:3], v[161:162], -v[47:48]
	v_mul_f64 v[37:38], v[6:7], v[165:166]
	v_fma_f64 v[4:5], v[4:5], v[161:162], v[43:44]
	s_waitcnt vmcnt(7) lgkmcnt(0)
	v_mul_f64 v[43:44], v[27:28], v[167:168]
	v_add_f64 v[39:40], v[39:40], v[51:52]
	s_waitcnt vmcnt(5)
	v_fma_f64 v[6:7], v[6:7], v[171:172], -v[49:50]
	v_add_f64 v[31:32], v[31:32], v[45:46]
	v_mul_f64 v[45:46], v[29:30], v[167:168]
	v_fma_f64 v[8:9], v[8:9], v[171:172], v[37:38]
	v_add_f64 v[2:3], v[39:40], v[2:3]
	v_add_f64 v[4:5], v[31:32], v[4:5]
	s_waitcnt vmcnt(4)
	v_fma_f64 v[27:28], v[27:28], v[169:170], -v[45:46]
	v_add_f64 v[2:3], v[2:3], v[6:7]
	v_fma_f64 v[6:7], v[29:30], v[169:170], v[43:44]
	v_add_f64 v[4:5], v[4:5], v[8:9]
	v_add_f64 v[2:3], v[2:3], v[27:28]
	;; [unrolled: 1-line block ×3, first 2 shown]
	s_waitcnt vmcnt(2)
	v_add_f64 v[2:3], v[41:42], -v[2:3]
	s_waitcnt vmcnt(0)
	v_add_f64 v[4:5], v[179:180], -v[4:5]
	buffer_store_dword v3, off, s[0:3], 0 offset:548
	buffer_store_dword v2, off, s[0:3], 0 offset:544
	buffer_store_dword v5, off, s[0:3], 0 offset:556
	buffer_store_dword v4, off, s[0:3], 0 offset:552
	v_cmpx_lt_u32_e32 32, v0
	s_cbranch_execz .LBB48_243
; %bb.242:
	v_mov_b32_e32 v5, s28
	s_clause 0x3
	buffer_load_dword v2, v5, s[0:3], 0 offen
	buffer_load_dword v3, v5, s[0:3], 0 offen offset:4
	buffer_load_dword v4, v5, s[0:3], 0 offen offset:8
	;; [unrolled: 1-line block ×3, first 2 shown]
	buffer_store_dword v1, off, s[0:3], 0 offset:528
	buffer_store_dword v1, off, s[0:3], 0 offset:532
	;; [unrolled: 1-line block ×4, first 2 shown]
	s_waitcnt vmcnt(0)
	ds_write_b128 v11, v[2:5]
.LBB48_243:
	s_or_b32 exec_lo, exec_lo, s4
	s_waitcnt lgkmcnt(0)
	s_waitcnt_vscnt null, 0x0
	s_barrier
	buffer_gl0_inv
	s_clause 0x37
	buffer_load_dword v27, off, s[0:3], 0 offset:552
	buffer_load_dword v28, off, s[0:3], 0 offset:556
	;; [unrolled: 1-line block ×56, first 2 shown]
	ds_read_b128 v[2:5], v1 offset:1312
	s_clause 0x2
	buffer_load_dword v168, off, s[0:3], 0 offset:780
	buffer_load_dword v172, off, s[0:3], 0 offset:756
	;; [unrolled: 1-line block ×3, first 2 shown]
	ds_read_b128 v[6:9], v1 offset:1328
	s_clause 0x2
	buffer_load_dword v178, off, s[0:3], 0 offset:796
	buffer_load_dword v177, off, s[0:3], 0 offset:792
	;; [unrolled: 1-line block ×3, first 2 shown]
	s_mov_b32 s4, exec_lo
	s_waitcnt vmcnt(60) lgkmcnt(1)
	v_mul_f64 v[173:174], v[4:5], v[27:28]
	v_mul_f64 v[175:176], v[2:3], v[27:28]
	s_waitcnt vmcnt(58) lgkmcnt(0)
	v_mul_f64 v[179:180], v[8:9], v[31:32]
	ds_read_b128 v[27:30], v1 offset:1344
	v_mul_f64 v[31:32], v[6:7], v[31:32]
	s_waitcnt vmcnt(56)
	v_fma_f64 v[173:174], v[2:3], v[37:38], -v[173:174]
	v_fma_f64 v[37:38], v[4:5], v[37:38], v[175:176]
	s_clause 0x1
	buffer_load_dword v176, off, s[0:3], 0 offset:788
	buffer_load_dword v175, off, s[0:3], 0 offset:784
	s_waitcnt vmcnt(56) lgkmcnt(0)
	v_mul_f64 v[181:182], v[27:28], v[39:40]
	v_mul_f64 v[39:40], v[29:30], v[39:40]
	s_waitcnt vmcnt(54)
	v_fma_f64 v[179:180], v[6:7], v[41:42], -v[179:180]
	ds_read_b128 v[2:5], v1 offset:1360
	v_fma_f64 v[31:32], v[8:9], v[41:42], v[31:32]
	ds_read_b128 v[6:9], v1 offset:1376
	v_add_f64 v[173:174], v[173:174], 0
	v_add_f64 v[37:38], v[37:38], 0
	s_waitcnt vmcnt(50) lgkmcnt(1)
	v_mul_f64 v[41:42], v[2:3], v[43:44]
	v_mul_f64 v[43:44], v[4:5], v[43:44]
	s_waitcnt vmcnt(48)
	v_fma_f64 v[39:40], v[27:28], v[49:50], -v[39:40]
	v_fma_f64 v[49:50], v[29:30], v[49:50], v[181:182]
	s_waitcnt vmcnt(47) lgkmcnt(0)
	v_mul_f64 v[181:182], v[6:7], v[45:46]
	v_mul_f64 v[45:46], v[8:9], v[45:46]
	v_add_f64 v[173:174], v[173:174], v[179:180]
	v_add_f64 v[31:32], v[37:38], v[31:32]
	s_clause 0x3
	buffer_load_dword v37, off, s[0:3], 0 offset:528
	buffer_load_dword v38, off, s[0:3], 0 offset:532
	;; [unrolled: 1-line block ×4, first 2 shown]
	ds_read_b128 v[27:30], v1 offset:1392
	s_waitcnt vmcnt(49)
	v_fma_f64 v[41:42], v[4:5], v[51:52], v[41:42]
	v_fma_f64 v[43:44], v[2:3], v[51:52], -v[43:44]
	ds_read_b128 v[2:5], v1 offset:1408
	s_waitcnt vmcnt(44)
	v_fma_f64 v[45:46], v[6:7], v[47:48], -v[45:46]
	v_add_f64 v[39:40], v[173:174], v[39:40]
	v_add_f64 v[31:32], v[31:32], v[49:50]
	s_waitcnt lgkmcnt(1)
	v_mul_f64 v[51:52], v[29:30], v[53:54]
	v_mul_f64 v[49:50], v[27:28], v[53:54]
	v_add_f64 v[39:40], v[39:40], v[43:44]
	v_fma_f64 v[43:44], v[8:9], v[47:48], v[181:182]
	v_add_f64 v[31:32], v[31:32], v[41:42]
	s_waitcnt vmcnt(43) lgkmcnt(0)
	v_mul_f64 v[47:48], v[4:5], v[55:56]
	s_waitcnt vmcnt(41)
	v_fma_f64 v[51:52], v[27:28], v[59:60], -v[51:52]
	ds_read_b128 v[6:9], v1 offset:1424
	v_mul_f64 v[41:42], v[2:3], v[55:56]
	v_add_f64 v[39:40], v[39:40], v[45:46]
	v_fma_f64 v[45:46], v[29:30], v[59:60], v[49:50]
	v_add_f64 v[31:32], v[31:32], v[43:44]
	ds_read_b128 v[27:30], v1 offset:1440
	s_waitcnt vmcnt(37) lgkmcnt(1)
	v_mul_f64 v[49:50], v[8:9], v[61:62]
	s_waitcnt vmcnt(36)
	v_fma_f64 v[47:48], v[2:3], v[57:58], -v[47:48]
	v_mul_f64 v[43:44], v[6:7], v[61:62]
	v_fma_f64 v[41:42], v[4:5], v[57:58], v[41:42]
	ds_read_b128 v[2:5], v1 offset:1456
	v_add_f64 v[39:40], v[39:40], v[51:52]
	s_waitcnt vmcnt(35) lgkmcnt(1)
	v_mul_f64 v[51:52], v[29:30], v[63:64]
	v_add_f64 v[31:32], v[31:32], v[45:46]
	v_mul_f64 v[45:46], v[27:28], v[63:64]
	s_waitcnt vmcnt(33)
	v_fma_f64 v[49:50], v[6:7], v[71:72], -v[49:50]
	v_fma_f64 v[43:44], v[8:9], v[71:72], v[43:44]
	ds_read_b128 v[6:9], v1 offset:1472
	v_add_f64 v[39:40], v[39:40], v[47:48]
	s_waitcnt vmcnt(29) lgkmcnt(1)
	v_mul_f64 v[47:48], v[4:5], v[73:74]
	v_add_f64 v[31:32], v[31:32], v[41:42]
	s_waitcnt vmcnt(28)
	v_fma_f64 v[51:52], v[27:28], v[69:70], -v[51:52]
	v_mul_f64 v[41:42], v[2:3], v[73:74]
	v_fma_f64 v[45:46], v[29:30], v[69:70], v[45:46]
	ds_read_b128 v[27:30], v1 offset:1488
	v_add_f64 v[39:40], v[39:40], v[49:50]
	s_waitcnt vmcnt(27) lgkmcnt(1)
	v_mul_f64 v[49:50], v[8:9], v[75:76]
	v_add_f64 v[31:32], v[31:32], v[43:44]
	s_waitcnt vmcnt(25)
	v_fma_f64 v[47:48], v[2:3], v[83:84], -v[47:48]
	v_mul_f64 v[43:44], v[6:7], v[75:76]
	;; [unrolled: 9-line block ×6, first 2 shown]
	v_fma_f64 v[7:8], v[8:9], v[171:172], v[43:44]
	v_add_f64 v[39:40], v[39:40], v[47:48]
	s_waitcnt vmcnt(6)
	v_fma_f64 v[27:28], v[27:28], v[169:170], -v[51:52]
	v_add_f64 v[9:10], v[31:32], v[41:42]
	s_waitcnt lgkmcnt(0)
	v_mul_f64 v[41:42], v[3:4], v[177:178]
	v_mul_f64 v[31:32], v[1:2], v[177:178]
	v_fma_f64 v[29:30], v[29:30], v[169:170], v[45:46]
	v_add_f64 v[5:6], v[39:40], v[5:6]
	v_add_f64 v[7:8], v[9:10], v[7:8]
	s_waitcnt vmcnt(4)
	v_fma_f64 v[1:2], v[1:2], v[175:176], -v[41:42]
	v_fma_f64 v[3:4], v[3:4], v[175:176], v[31:32]
	v_add_f64 v[5:6], v[5:6], v[27:28]
	v_add_f64 v[7:8], v[7:8], v[29:30]
	;; [unrolled: 1-line block ×4, first 2 shown]
	s_waitcnt vmcnt(2)
	v_add_f64 v[1:2], v[37:38], -v[1:2]
	s_waitcnt vmcnt(0)
	v_add_f64 v[3:4], v[179:180], -v[3:4]
	buffer_store_dword v2, off, s[0:3], 0 offset:532
	buffer_store_dword v1, off, s[0:3], 0 offset:528
	;; [unrolled: 1-line block ×4, first 2 shown]
	v_cmpx_lt_u32_e32 31, v0
	s_cbranch_execz .LBB48_245
; %bb.244:
	v_mov_b32_e32 v4, s29
	v_mov_b32_e32 v5, 0
	s_clause 0x3
	buffer_load_dword v1, v4, s[0:3], 0 offen
	buffer_load_dword v2, v4, s[0:3], 0 offen offset:4
	buffer_load_dword v3, v4, s[0:3], 0 offen offset:8
	;; [unrolled: 1-line block ×3, first 2 shown]
	buffer_store_dword v5, off, s[0:3], 0 offset:512
	buffer_store_dword v5, off, s[0:3], 0 offset:516
	;; [unrolled: 1-line block ×4, first 2 shown]
	s_waitcnt vmcnt(0)
	ds_write_b128 v11, v[1:4]
.LBB48_245:
	s_or_b32 exec_lo, exec_lo, s4
	s_waitcnt lgkmcnt(0)
	s_waitcnt_vscnt null, 0x0
	s_barrier
	buffer_gl0_inv
	s_clause 0x37
	buffer_load_dword v27, off, s[0:3], 0 offset:536
	buffer_load_dword v28, off, s[0:3], 0 offset:540
	;; [unrolled: 1-line block ×56, first 2 shown]
	v_mov_b32_e32 v1, 0
	s_mov_b32 s4, exec_lo
	ds_read_b128 v[2:5], v1 offset:1296
	s_clause 0x2
	buffer_load_dword v168, off, s[0:3], 0 offset:764
	buffer_load_dword v172, off, s[0:3], 0 offset:740
	;; [unrolled: 1-line block ×3, first 2 shown]
	ds_read_b128 v[6:9], v1 offset:1312
	s_clause 0x4
	buffer_load_dword v178, off, s[0:3], 0 offset:780
	buffer_load_dword v179, off, s[0:3], 0 offset:792
	;; [unrolled: 1-line block ×5, first 2 shown]
	s_waitcnt vmcnt(62) lgkmcnt(1)
	v_mul_f64 v[173:174], v[4:5], v[27:28]
	v_mul_f64 v[175:176], v[2:3], v[27:28]
	s_waitcnt vmcnt(60) lgkmcnt(0)
	v_mul_f64 v[182:183], v[8:9], v[31:32]
	ds_read_b128 v[27:30], v1 offset:1328
	v_mul_f64 v[31:32], v[6:7], v[31:32]
	s_waitcnt vmcnt(58)
	v_fma_f64 v[173:174], v[2:3], v[37:38], -v[173:174]
	v_fma_f64 v[37:38], v[4:5], v[37:38], v[175:176]
	s_clause 0x2
	buffer_load_dword v180, off, s[0:3], 0 offset:796
	buffer_load_dword v176, off, s[0:3], 0 offset:772
	;; [unrolled: 1-line block ×3, first 2 shown]
	s_waitcnt vmcnt(59) lgkmcnt(0)
	v_mul_f64 v[184:185], v[27:28], v[39:40]
	v_mul_f64 v[39:40], v[29:30], v[39:40]
	s_waitcnt vmcnt(57)
	v_fma_f64 v[186:187], v[6:7], v[41:42], -v[182:183]
	ds_read_b128 v[2:5], v1 offset:1344
	v_fma_f64 v[31:32], v[8:9], v[41:42], v[31:32]
	buffer_load_dword v182, off, s[0:3], 0 offset:788
	ds_read_b128 v[6:9], v1 offset:1360
	v_add_f64 v[173:174], v[173:174], 0
	v_add_f64 v[37:38], v[37:38], 0
	s_waitcnt vmcnt(54) lgkmcnt(1)
	v_mul_f64 v[41:42], v[2:3], v[43:44]
	v_mul_f64 v[43:44], v[4:5], v[43:44]
	s_waitcnt vmcnt(52)
	v_fma_f64 v[39:40], v[27:28], v[49:50], -v[39:40]
	v_fma_f64 v[49:50], v[29:30], v[49:50], v[184:185]
	ds_read_b128 v[27:30], v1 offset:1376
	v_add_f64 v[173:174], v[173:174], v[186:187]
	v_add_f64 v[31:32], v[37:38], v[31:32]
	s_waitcnt vmcnt(51) lgkmcnt(1)
	v_mul_f64 v[37:38], v[6:7], v[45:46]
	v_mul_f64 v[45:46], v[8:9], v[45:46]
	s_waitcnt vmcnt(49)
	v_fma_f64 v[41:42], v[4:5], v[51:52], v[41:42]
	v_fma_f64 v[43:44], v[2:3], v[51:52], -v[43:44]
	v_add_f64 v[39:40], v[173:174], v[39:40]
	v_add_f64 v[31:32], v[31:32], v[49:50]
	s_clause 0x3
	buffer_load_dword v49, off, s[0:3], 0 offset:512
	buffer_load_dword v50, off, s[0:3], 0 offset:516
	;; [unrolled: 1-line block ×4, first 2 shown]
	s_waitcnt vmcnt(49) lgkmcnt(0)
	v_mul_f64 v[173:174], v[27:28], v[53:54]
	v_mul_f64 v[53:54], v[29:30], v[53:54]
	s_waitcnt vmcnt(48)
	v_fma_f64 v[45:46], v[6:7], v[47:48], -v[45:46]
	ds_read_b128 v[2:5], v1 offset:1392
	v_fma_f64 v[37:38], v[8:9], v[47:48], v[37:38]
	ds_read_b128 v[6:9], v1 offset:1408
	v_add_f64 v[39:40], v[39:40], v[43:44]
	v_add_f64 v[31:32], v[31:32], v[41:42]
	s_waitcnt vmcnt(47) lgkmcnt(1)
	v_mul_f64 v[43:44], v[4:5], v[55:56]
	s_waitcnt vmcnt(45)
	v_fma_f64 v[47:48], v[27:28], v[59:60], -v[53:54]
	v_mul_f64 v[41:42], v[2:3], v[55:56]
	s_waitcnt vmcnt(41) lgkmcnt(0)
	v_mul_f64 v[53:54], v[8:9], v[61:62]
	v_add_f64 v[39:40], v[39:40], v[45:46]
	v_fma_f64 v[45:46], v[29:30], v[59:60], v[173:174]
	v_add_f64 v[31:32], v[31:32], v[37:38]
	ds_read_b128 v[27:30], v1 offset:1424
	s_waitcnt vmcnt(40)
	v_fma_f64 v[43:44], v[2:3], v[57:58], -v[43:44]
	v_mul_f64 v[37:38], v[6:7], v[61:62]
	v_fma_f64 v[41:42], v[4:5], v[57:58], v[41:42]
	ds_read_b128 v[2:5], v1 offset:1440
	s_waitcnt vmcnt(37)
	v_fma_f64 v[53:54], v[6:7], v[71:72], -v[53:54]
	v_add_f64 v[39:40], v[39:40], v[47:48]
	s_waitcnt lgkmcnt(1)
	v_mul_f64 v[47:48], v[29:30], v[63:64]
	v_add_f64 v[31:32], v[31:32], v[45:46]
	v_mul_f64 v[45:46], v[27:28], v[63:64]
	v_fma_f64 v[37:38], v[8:9], v[71:72], v[37:38]
	ds_read_b128 v[6:9], v1 offset:1456
	v_add_f64 v[39:40], v[39:40], v[43:44]
	s_waitcnt vmcnt(33) lgkmcnt(1)
	v_mul_f64 v[43:44], v[4:5], v[73:74]
	v_add_f64 v[31:32], v[31:32], v[41:42]
	s_waitcnt vmcnt(32)
	v_fma_f64 v[47:48], v[27:28], v[69:70], -v[47:48]
	v_mul_f64 v[41:42], v[2:3], v[73:74]
	v_fma_f64 v[45:46], v[29:30], v[69:70], v[45:46]
	ds_read_b128 v[27:30], v1 offset:1472
	v_add_f64 v[39:40], v[39:40], v[53:54]
	s_waitcnt vmcnt(31) lgkmcnt(1)
	v_mul_f64 v[53:54], v[8:9], v[75:76]
	v_add_f64 v[31:32], v[31:32], v[37:38]
	s_waitcnt vmcnt(29)
	v_fma_f64 v[43:44], v[2:3], v[83:84], -v[43:44]
	;; [unrolled: 9-line block ×7, first 2 shown]
	v_mul_f64 v[41:42], v[2:3], v[177:178]
	v_fma_f64 v[29:30], v[29:30], v[169:170], v[45:46]
	v_add_f64 v[39:40], v[39:40], v[53:54]
	v_add_f64 v[31:32], v[31:32], v[37:38]
	s_waitcnt vmcnt(7) lgkmcnt(0)
	v_mul_f64 v[45:46], v[8:9], v[179:180]
	v_mul_f64 v[37:38], v[6:7], v[179:180]
	s_waitcnt vmcnt(5)
	v_fma_f64 v[2:3], v[2:3], v[175:176], -v[43:44]
	v_fma_f64 v[4:5], v[4:5], v[175:176], v[41:42]
	v_add_f64 v[27:28], v[39:40], v[27:28]
	v_add_f64 v[29:30], v[31:32], v[29:30]
	s_waitcnt vmcnt(4)
	v_fma_f64 v[6:7], v[6:7], v[181:182], -v[45:46]
	v_fma_f64 v[8:9], v[8:9], v[181:182], v[37:38]
	v_add_f64 v[2:3], v[27:28], v[2:3]
	v_add_f64 v[4:5], v[29:30], v[4:5]
	;; [unrolled: 1-line block ×4, first 2 shown]
	s_waitcnt vmcnt(2)
	v_add_f64 v[2:3], v[49:50], -v[2:3]
	s_waitcnt vmcnt(0)
	v_add_f64 v[4:5], v[51:52], -v[4:5]
	buffer_store_dword v3, off, s[0:3], 0 offset:516
	buffer_store_dword v2, off, s[0:3], 0 offset:512
	;; [unrolled: 1-line block ×4, first 2 shown]
	v_cmpx_lt_u32_e32 30, v0
	s_cbranch_execz .LBB48_247
; %bb.246:
	v_mov_b32_e32 v5, s30
	s_clause 0x3
	buffer_load_dword v2, v5, s[0:3], 0 offen
	buffer_load_dword v3, v5, s[0:3], 0 offen offset:4
	buffer_load_dword v4, v5, s[0:3], 0 offen offset:8
	;; [unrolled: 1-line block ×3, first 2 shown]
	buffer_store_dword v1, off, s[0:3], 0 offset:496
	buffer_store_dword v1, off, s[0:3], 0 offset:500
	buffer_store_dword v1, off, s[0:3], 0 offset:504
	buffer_store_dword v1, off, s[0:3], 0 offset:508
	s_waitcnt vmcnt(0)
	ds_write_b128 v11, v[2:5]
.LBB48_247:
	s_or_b32 exec_lo, exec_lo, s4
	s_waitcnt lgkmcnt(0)
	s_waitcnt_vscnt null, 0x0
	s_barrier
	buffer_gl0_inv
	s_clause 0x37
	buffer_load_dword v27, off, s[0:3], 0 offset:520
	buffer_load_dword v28, off, s[0:3], 0 offset:524
	;; [unrolled: 1-line block ×56, first 2 shown]
	ds_read_b128 v[2:5], v1 offset:1280
	s_clause 0x2
	buffer_load_dword v168, off, s[0:3], 0 offset:748
	buffer_load_dword v172, off, s[0:3], 0 offset:724
	;; [unrolled: 1-line block ×3, first 2 shown]
	ds_read_b128 v[6:9], v1 offset:1296
	s_clause 0x4
	buffer_load_dword v178, off, s[0:3], 0 offset:764
	buffer_load_dword v179, off, s[0:3], 0 offset:776
	;; [unrolled: 1-line block ×5, first 2 shown]
	s_mov_b32 s4, exec_lo
	s_waitcnt vmcnt(62) lgkmcnt(1)
	v_mul_f64 v[173:174], v[4:5], v[27:28]
	v_mul_f64 v[175:176], v[2:3], v[27:28]
	s_waitcnt vmcnt(60) lgkmcnt(0)
	v_mul_f64 v[182:183], v[8:9], v[31:32]
	ds_read_b128 v[27:30], v1 offset:1312
	v_mul_f64 v[31:32], v[6:7], v[31:32]
	s_waitcnt vmcnt(58)
	v_fma_f64 v[173:174], v[2:3], v[37:38], -v[173:174]
	v_fma_f64 v[37:38], v[4:5], v[37:38], v[175:176]
	s_clause 0x2
	buffer_load_dword v180, off, s[0:3], 0 offset:780
	buffer_load_dword v176, off, s[0:3], 0 offset:756
	;; [unrolled: 1-line block ×3, first 2 shown]
	s_waitcnt vmcnt(59) lgkmcnt(0)
	v_mul_f64 v[184:185], v[27:28], v[39:40]
	v_mul_f64 v[39:40], v[29:30], v[39:40]
	s_waitcnt vmcnt(57)
	v_fma_f64 v[186:187], v[6:7], v[41:42], -v[182:183]
	ds_read_b128 v[2:5], v1 offset:1328
	v_fma_f64 v[31:32], v[8:9], v[41:42], v[31:32]
	s_clause 0x2
	buffer_load_dword v42, off, s[0:3], 0 offset:796
	buffer_load_dword v41, off, s[0:3], 0 offset:792
	;; [unrolled: 1-line block ×3, first 2 shown]
	ds_read_b128 v[6:9], v1 offset:1344
	v_add_f64 v[173:174], v[173:174], 0
	v_add_f64 v[37:38], v[37:38], 0
	s_waitcnt vmcnt(56) lgkmcnt(1)
	v_mul_f64 v[188:189], v[2:3], v[43:44]
	v_mul_f64 v[43:44], v[4:5], v[43:44]
	s_waitcnt vmcnt(54)
	v_fma_f64 v[39:40], v[27:28], v[49:50], -v[39:40]
	v_fma_f64 v[49:50], v[29:30], v[49:50], v[184:185]
	s_waitcnt vmcnt(53) lgkmcnt(0)
	v_mul_f64 v[183:184], v[6:7], v[45:46]
	v_mul_f64 v[45:46], v[8:9], v[45:46]
	v_add_f64 v[173:174], v[173:174], v[186:187]
	v_add_f64 v[31:32], v[37:38], v[31:32]
	s_clause 0x1
	buffer_load_dword v38, off, s[0:3], 0 offset:788
	buffer_load_dword v37, off, s[0:3], 0 offset:784
	ds_read_b128 v[27:30], v1 offset:1360
	s_waitcnt vmcnt(53)
	v_fma_f64 v[43:44], v[2:3], v[51:52], -v[43:44]
	v_fma_f64 v[51:52], v[4:5], v[51:52], v[188:189]
	ds_read_b128 v[2:5], v1 offset:1376
	s_waitcnt vmcnt(48)
	v_fma_f64 v[45:46], v[6:7], v[47:48], -v[45:46]
	v_add_f64 v[39:40], v[173:174], v[39:40]
	v_add_f64 v[31:32], v[31:32], v[49:50]
	s_waitcnt lgkmcnt(1)
	v_mul_f64 v[49:50], v[27:28], v[53:54]
	v_mul_f64 v[53:54], v[29:30], v[53:54]
	s_waitcnt vmcnt(47) lgkmcnt(0)
	v_mul_f64 v[173:174], v[2:3], v[55:56]
	v_mul_f64 v[55:56], v[4:5], v[55:56]
	v_add_f64 v[39:40], v[39:40], v[43:44]
	v_fma_f64 v[43:44], v[8:9], v[47:48], v[183:184]
	v_add_f64 v[31:32], v[31:32], v[51:52]
	s_clause 0x3
	buffer_load_dword v47, off, s[0:3], 0 offset:496
	buffer_load_dword v48, off, s[0:3], 0 offset:500
	buffer_load_dword v51, off, s[0:3], 0 offset:504
	buffer_load_dword v52, off, s[0:3], 0 offset:508
	s_waitcnt vmcnt(49)
	v_fma_f64 v[53:54], v[27:28], v[59:60], -v[53:54]
	ds_read_b128 v[6:9], v1 offset:1392
	s_waitcnt vmcnt(44)
	v_fma_f64 v[55:56], v[2:3], v[57:58], -v[55:56]
	v_add_f64 v[39:40], v[39:40], v[45:46]
	v_fma_f64 v[45:46], v[29:30], v[59:60], v[49:50]
	v_add_f64 v[31:32], v[31:32], v[43:44]
	ds_read_b128 v[27:30], v1 offset:1408
	s_waitcnt lgkmcnt(1)
	v_mul_f64 v[49:50], v[8:9], v[61:62]
	v_mul_f64 v[43:44], v[6:7], v[61:62]
	v_add_f64 v[39:40], v[39:40], v[53:54]
	v_fma_f64 v[53:54], v[4:5], v[57:58], v[173:174]
	v_add_f64 v[31:32], v[31:32], v[45:46]
	s_waitcnt vmcnt(43) lgkmcnt(0)
	v_mul_f64 v[57:58], v[29:30], v[63:64]
	s_waitcnt vmcnt(41)
	v_fma_f64 v[49:50], v[6:7], v[71:72], -v[49:50]
	ds_read_b128 v[2:5], v1 offset:1424
	v_mul_f64 v[45:46], v[27:28], v[63:64]
	v_fma_f64 v[43:44], v[8:9], v[71:72], v[43:44]
	ds_read_b128 v[6:9], v1 offset:1440
	v_add_f64 v[39:40], v[39:40], v[55:56]
	v_add_f64 v[31:32], v[31:32], v[53:54]
	s_waitcnt vmcnt(37) lgkmcnt(1)
	v_mul_f64 v[55:56], v[4:5], v[73:74]
	s_waitcnt vmcnt(36)
	v_fma_f64 v[57:58], v[27:28], v[69:70], -v[57:58]
	v_mul_f64 v[53:54], v[2:3], v[73:74]
	v_fma_f64 v[45:46], v[29:30], v[69:70], v[45:46]
	ds_read_b128 v[27:30], v1 offset:1456
	v_add_f64 v[39:40], v[39:40], v[49:50]
	s_waitcnt vmcnt(35) lgkmcnt(1)
	v_mul_f64 v[49:50], v[8:9], v[75:76]
	v_add_f64 v[31:32], v[31:32], v[43:44]
	s_waitcnt vmcnt(33)
	v_fma_f64 v[55:56], v[2:3], v[83:84], -v[55:56]
	v_mul_f64 v[43:44], v[6:7], v[75:76]
	v_fma_f64 v[53:54], v[4:5], v[83:84], v[53:54]
	ds_read_b128 v[2:5], v1 offset:1472
	v_add_f64 v[39:40], v[39:40], v[57:58]
	s_waitcnt vmcnt(29) lgkmcnt(1)
	v_mul_f64 v[57:58], v[29:30], v[85:86]
	v_add_f64 v[31:32], v[31:32], v[45:46]
	;; [unrolled: 9-line block ×6, first 2 shown]
	s_waitcnt vmcnt(12)
	v_fma_f64 v[57:58], v[27:28], v[169:170], -v[57:58]
	v_mul_f64 v[53:54], v[2:3], v[177:178]
	v_fma_f64 v[45:46], v[29:30], v[169:170], v[45:46]
	ds_read_b128 v[27:30], v1 offset:1552
	v_add_f64 v[39:40], v[39:40], v[49:50]
	v_add_f64 v[31:32], v[31:32], v[43:44]
	s_waitcnt vmcnt(11) lgkmcnt(1)
	v_mul_f64 v[49:50], v[8:9], v[179:180]
	v_mul_f64 v[43:44], v[6:7], v[179:180]
	s_waitcnt vmcnt(9)
	v_fma_f64 v[1:2], v[2:3], v[175:176], -v[55:56]
	v_fma_f64 v[3:4], v[4:5], v[175:176], v[53:54]
	v_add_f64 v[39:40], v[39:40], v[57:58]
	v_add_f64 v[31:32], v[31:32], v[45:46]
	s_waitcnt vmcnt(7) lgkmcnt(0)
	v_mul_f64 v[45:46], v[27:28], v[41:42]
	v_mul_f64 v[41:42], v[29:30], v[41:42]
	s_waitcnt vmcnt(6)
	v_fma_f64 v[5:6], v[6:7], v[181:182], -v[49:50]
	v_fma_f64 v[7:8], v[8:9], v[181:182], v[43:44]
	v_add_f64 v[1:2], v[39:40], v[1:2]
	v_add_f64 v[3:4], v[31:32], v[3:4]
	s_waitcnt vmcnt(4)
	v_fma_f64 v[9:10], v[27:28], v[37:38], -v[41:42]
	v_add_f64 v[1:2], v[1:2], v[5:6]
	v_fma_f64 v[5:6], v[29:30], v[37:38], v[45:46]
	v_add_f64 v[3:4], v[3:4], v[7:8]
	v_add_f64 v[1:2], v[1:2], v[9:10]
	;; [unrolled: 1-line block ×3, first 2 shown]
	s_waitcnt vmcnt(2)
	v_add_f64 v[1:2], v[47:48], -v[1:2]
	s_waitcnt vmcnt(0)
	v_add_f64 v[3:4], v[51:52], -v[3:4]
	buffer_store_dword v2, off, s[0:3], 0 offset:500
	buffer_store_dword v1, off, s[0:3], 0 offset:496
	;; [unrolled: 1-line block ×4, first 2 shown]
	v_cmpx_lt_u32_e32 29, v0
	s_cbranch_execz .LBB48_249
; %bb.248:
	v_mov_b32_e32 v4, s31
	v_mov_b32_e32 v5, 0
	s_clause 0x3
	buffer_load_dword v1, v4, s[0:3], 0 offen
	buffer_load_dword v2, v4, s[0:3], 0 offen offset:4
	buffer_load_dword v3, v4, s[0:3], 0 offen offset:8
	;; [unrolled: 1-line block ×3, first 2 shown]
	buffer_store_dword v5, off, s[0:3], 0 offset:480
	buffer_store_dword v5, off, s[0:3], 0 offset:484
	;; [unrolled: 1-line block ×4, first 2 shown]
	s_waitcnt vmcnt(0)
	ds_write_b128 v11, v[1:4]
.LBB48_249:
	s_or_b32 exec_lo, exec_lo, s4
	s_waitcnt lgkmcnt(0)
	s_waitcnt_vscnt null, 0x0
	s_barrier
	buffer_gl0_inv
	s_clause 0x37
	buffer_load_dword v27, off, s[0:3], 0 offset:504
	buffer_load_dword v28, off, s[0:3], 0 offset:508
	buffer_load_dword v31, off, s[0:3], 0 offset:520
	buffer_load_dword v32, off, s[0:3], 0 offset:524
	buffer_load_dword v37, off, s[0:3], 0 offset:496
	buffer_load_dword v38, off, s[0:3], 0 offset:500
	buffer_load_dword v39, off, s[0:3], 0 offset:536
	buffer_load_dword v40, off, s[0:3], 0 offset:540
	buffer_load_dword v41, off, s[0:3], 0 offset:512
	buffer_load_dword v42, off, s[0:3], 0 offset:516
	buffer_load_dword v44, off, s[0:3], 0 offset:556
	buffer_load_dword v45, off, s[0:3], 0 offset:568
	buffer_load_dword v47, off, s[0:3], 0 offset:560
	buffer_load_dword v43, off, s[0:3], 0 offset:552
	buffer_load_dword v49, off, s[0:3], 0 offset:528
	buffer_load_dword v50, off, s[0:3], 0 offset:532
	buffer_load_dword v46, off, s[0:3], 0 offset:572
	buffer_load_dword v52, off, s[0:3], 0 offset:548
	buffer_load_dword v51, off, s[0:3], 0 offset:544
	buffer_load_dword v54, off, s[0:3], 0 offset:588
	buffer_load_dword v55, off, s[0:3], 0 offset:600
	buffer_load_dword v57, off, s[0:3], 0 offset:592
	buffer_load_dword v53, off, s[0:3], 0 offset:584
	buffer_load_dword v48, off, s[0:3], 0 offset:564
	buffer_load_dword v56, off, s[0:3], 0 offset:604
	buffer_load_dword v60, off, s[0:3], 0 offset:580
	buffer_load_dword v59, off, s[0:3], 0 offset:576
	buffer_load_dword v62, off, s[0:3], 0 offset:620
	buffer_load_dword v63, off, s[0:3], 0 offset:632
	buffer_load_dword v69, off, s[0:3], 0 offset:624
	buffer_load_dword v61, off, s[0:3], 0 offset:616
	buffer_load_dword v58, off, s[0:3], 0 offset:596
	buffer_load_dword v64, off, s[0:3], 0 offset:636
	buffer_load_dword v72, off, s[0:3], 0 offset:612
	buffer_load_dword v71, off, s[0:3], 0 offset:608
	buffer_load_dword v74, off, s[0:3], 0 offset:652
	buffer_load_dword v75, off, s[0:3], 0 offset:664
	buffer_load_dword v81, off, s[0:3], 0 offset:656
	buffer_load_dword v73, off, s[0:3], 0 offset:648
	buffer_load_dword v70, off, s[0:3], 0 offset:628
	buffer_load_dword v76, off, s[0:3], 0 offset:668
	buffer_load_dword v84, off, s[0:3], 0 offset:644
	buffer_load_dword v83, off, s[0:3], 0 offset:640
	buffer_load_dword v86, off, s[0:3], 0 offset:684
	buffer_load_dword v87, off, s[0:3], 0 offset:696
	buffer_load_dword v161, off, s[0:3], 0 offset:688
	buffer_load_dword v85, off, s[0:3], 0 offset:680
	buffer_load_dword v82, off, s[0:3], 0 offset:660
	buffer_load_dword v88, off, s[0:3], 0 offset:700
	buffer_load_dword v164, off, s[0:3], 0 offset:676
	buffer_load_dword v163, off, s[0:3], 0 offset:672
	buffer_load_dword v166, off, s[0:3], 0 offset:716
	buffer_load_dword v167, off, s[0:3], 0 offset:728
	buffer_load_dword v169, off, s[0:3], 0 offset:720
	buffer_load_dword v165, off, s[0:3], 0 offset:712
	buffer_load_dword v162, off, s[0:3], 0 offset:692
	v_mov_b32_e32 v1, 0
	s_mov_b32 s4, exec_lo
	ds_read_b128 v[2:5], v1 offset:1264
	s_clause 0x2
	buffer_load_dword v168, off, s[0:3], 0 offset:732
	buffer_load_dword v172, off, s[0:3], 0 offset:708
	;; [unrolled: 1-line block ×3, first 2 shown]
	ds_read_b128 v[6:9], v1 offset:1280
	s_clause 0x4
	buffer_load_dword v178, off, s[0:3], 0 offset:748
	buffer_load_dword v179, off, s[0:3], 0 offset:760
	;; [unrolled: 1-line block ×5, first 2 shown]
	s_waitcnt vmcnt(62) lgkmcnt(1)
	v_mul_f64 v[173:174], v[4:5], v[27:28]
	v_mul_f64 v[175:176], v[2:3], v[27:28]
	s_waitcnt vmcnt(60) lgkmcnt(0)
	v_mul_f64 v[182:183], v[8:9], v[31:32]
	ds_read_b128 v[27:30], v1 offset:1296
	v_mul_f64 v[31:32], v[6:7], v[31:32]
	s_waitcnt vmcnt(58)
	v_fma_f64 v[173:174], v[2:3], v[37:38], -v[173:174]
	v_fma_f64 v[37:38], v[4:5], v[37:38], v[175:176]
	s_clause 0x2
	buffer_load_dword v180, off, s[0:3], 0 offset:764
	buffer_load_dword v176, off, s[0:3], 0 offset:740
	;; [unrolled: 1-line block ×3, first 2 shown]
	s_waitcnt vmcnt(59) lgkmcnt(0)
	v_mul_f64 v[184:185], v[27:28], v[39:40]
	v_mul_f64 v[39:40], v[29:30], v[39:40]
	s_waitcnt vmcnt(57)
	v_fma_f64 v[186:187], v[6:7], v[41:42], -v[182:183]
	ds_read_b128 v[2:5], v1 offset:1312
	v_fma_f64 v[31:32], v[8:9], v[41:42], v[31:32]
	s_clause 0x4
	buffer_load_dword v42, off, s[0:3], 0 offset:780
	buffer_load_dword v183, off, s[0:3], 0 offset:792
	buffer_load_dword v188, off, s[0:3], 0 offset:784
	buffer_load_dword v41, off, s[0:3], 0 offset:776
	buffer_load_dword v182, off, s[0:3], 0 offset:756
	ds_read_b128 v[6:9], v1 offset:1328
	v_add_f64 v[173:174], v[173:174], 0
	v_add_f64 v[37:38], v[37:38], 0
	s_waitcnt vmcnt(58) lgkmcnt(1)
	v_mul_f64 v[189:190], v[2:3], v[43:44]
	v_mul_f64 v[43:44], v[4:5], v[43:44]
	s_waitcnt vmcnt(56)
	v_fma_f64 v[39:40], v[27:28], v[49:50], -v[39:40]
	v_fma_f64 v[49:50], v[29:30], v[49:50], v[184:185]
	v_add_f64 v[173:174], v[173:174], v[186:187]
	v_add_f64 v[31:32], v[37:38], v[31:32]
	s_clause 0x2
	buffer_load_dword v184, off, s[0:3], 0 offset:796
	buffer_load_dword v38, off, s[0:3], 0 offset:772
	;; [unrolled: 1-line block ×3, first 2 shown]
	s_waitcnt vmcnt(58) lgkmcnt(0)
	v_mul_f64 v[185:186], v[6:7], v[45:46]
	v_mul_f64 v[45:46], v[8:9], v[45:46]
	s_waitcnt vmcnt(56)
	v_fma_f64 v[43:44], v[2:3], v[51:52], -v[43:44]
	ds_read_b128 v[27:30], v1 offset:1344
	v_fma_f64 v[51:52], v[4:5], v[51:52], v[189:190]
	buffer_load_dword v189, off, s[0:3], 0 offset:788
	ds_read_b128 v[2:5], v1 offset:1360
	v_add_f64 v[39:40], v[173:174], v[39:40]
	v_add_f64 v[31:32], v[31:32], v[49:50]
	s_waitcnt vmcnt(53) lgkmcnt(1)
	v_mul_f64 v[49:50], v[27:28], v[53:54]
	v_mul_f64 v[53:54], v[29:30], v[53:54]
	s_waitcnt vmcnt(52)
	v_fma_f64 v[45:46], v[6:7], v[47:48], -v[45:46]
	v_add_f64 v[39:40], v[39:40], v[43:44]
	v_fma_f64 v[43:44], v[8:9], v[47:48], v[185:186]
	v_add_f64 v[31:32], v[31:32], v[51:52]
	s_waitcnt vmcnt(51) lgkmcnt(0)
	v_mul_f64 v[51:52], v[4:5], v[55:56]
	ds_read_b128 v[6:9], v1 offset:1376
	s_waitcnt vmcnt(49)
	v_fma_f64 v[53:54], v[27:28], v[59:60], -v[53:54]
	v_mul_f64 v[47:48], v[2:3], v[55:56]
	v_add_f64 v[39:40], v[39:40], v[45:46]
	v_fma_f64 v[45:46], v[29:30], v[59:60], v[49:50]
	v_add_f64 v[31:32], v[31:32], v[43:44]
	s_clause 0x3
	buffer_load_dword v43, off, s[0:3], 0 offset:480
	buffer_load_dword v44, off, s[0:3], 0 offset:484
	;; [unrolled: 1-line block ×4, first 2 shown]
	s_waitcnt vmcnt(49) lgkmcnt(0)
	v_mul_f64 v[59:60], v[8:9], v[61:62]
	s_waitcnt vmcnt(48)
	v_fma_f64 v[51:52], v[2:3], v[57:58], -v[51:52]
	ds_read_b128 v[27:30], v1 offset:1392
	v_mul_f64 v[55:56], v[6:7], v[61:62]
	v_fma_f64 v[47:48], v[4:5], v[57:58], v[47:48]
	ds_read_b128 v[2:5], v1 offset:1408
	v_add_f64 v[39:40], v[39:40], v[53:54]
	v_add_f64 v[31:32], v[31:32], v[45:46]
	s_waitcnt vmcnt(47) lgkmcnt(1)
	v_mul_f64 v[53:54], v[29:30], v[63:64]
	s_waitcnt vmcnt(45)
	v_fma_f64 v[57:58], v[6:7], v[71:72], -v[59:60]
	v_mul_f64 v[45:46], v[27:28], v[63:64]
	v_add_f64 v[39:40], v[39:40], v[51:52]
	v_fma_f64 v[51:52], v[8:9], v[71:72], v[55:56]
	v_add_f64 v[31:32], v[31:32], v[47:48]
	s_waitcnt vmcnt(41) lgkmcnt(0)
	v_mul_f64 v[55:56], v[4:5], v[73:74]
	s_waitcnt vmcnt(40)
	v_fma_f64 v[53:54], v[27:28], v[69:70], -v[53:54]
	ds_read_b128 v[6:9], v1 offset:1424
	v_mul_f64 v[47:48], v[2:3], v[73:74]
	v_fma_f64 v[45:46], v[29:30], v[69:70], v[45:46]
	ds_read_b128 v[27:30], v1 offset:1440
	v_add_f64 v[39:40], v[39:40], v[57:58]
	v_add_f64 v[31:32], v[31:32], v[51:52]
	s_waitcnt vmcnt(39) lgkmcnt(1)
	v_mul_f64 v[57:58], v[8:9], v[75:76]
	s_waitcnt vmcnt(37)
	v_fma_f64 v[55:56], v[2:3], v[83:84], -v[55:56]
	v_mul_f64 v[51:52], v[6:7], v[75:76]
	v_fma_f64 v[47:48], v[4:5], v[83:84], v[47:48]
	ds_read_b128 v[2:5], v1 offset:1456
	v_add_f64 v[39:40], v[39:40], v[53:54]
	s_waitcnt vmcnt(33) lgkmcnt(1)
	v_mul_f64 v[53:54], v[29:30], v[85:86]
	v_add_f64 v[31:32], v[31:32], v[45:46]
	s_waitcnt vmcnt(32)
	v_fma_f64 v[57:58], v[6:7], v[81:82], -v[57:58]
	v_mul_f64 v[45:46], v[27:28], v[85:86]
	v_fma_f64 v[51:52], v[8:9], v[81:82], v[51:52]
	ds_read_b128 v[6:9], v1 offset:1472
	v_add_f64 v[39:40], v[39:40], v[55:56]
	s_waitcnt vmcnt(31) lgkmcnt(1)
	v_mul_f64 v[55:56], v[4:5], v[87:88]
	v_add_f64 v[31:32], v[31:32], v[47:48]
	;; [unrolled: 9-line block ×5, first 2 shown]
	s_waitcnt vmcnt(16)
	v_fma_f64 v[53:54], v[27:28], v[169:170], -v[53:54]
	v_mul_f64 v[47:48], v[2:3], v[177:178]
	v_fma_f64 v[45:46], v[29:30], v[169:170], v[45:46]
	ds_read_b128 v[27:30], v1 offset:1536
	v_add_f64 v[39:40], v[39:40], v[57:58]
	v_add_f64 v[31:32], v[31:32], v[51:52]
	s_waitcnt vmcnt(15) lgkmcnt(1)
	v_mul_f64 v[57:58], v[8:9], v[179:180]
	v_mul_f64 v[51:52], v[6:7], v[179:180]
	s_waitcnt vmcnt(13)
	v_fma_f64 v[55:56], v[2:3], v[175:176], -v[55:56]
	v_fma_f64 v[47:48], v[4:5], v[175:176], v[47:48]
	ds_read_b128 v[2:5], v1 offset:1552
	v_add_f64 v[39:40], v[39:40], v[53:54]
	v_add_f64 v[31:32], v[31:32], v[45:46]
	s_waitcnt vmcnt(9) lgkmcnt(1)
	v_mul_f64 v[45:46], v[27:28], v[41:42]
	v_mul_f64 v[41:42], v[29:30], v[41:42]
	s_waitcnt vmcnt(8)
	v_fma_f64 v[6:7], v[6:7], v[181:182], -v[57:58]
	v_fma_f64 v[8:9], v[8:9], v[181:182], v[51:52]
	v_add_f64 v[39:40], v[39:40], v[55:56]
	v_add_f64 v[31:32], v[31:32], v[47:48]
	s_waitcnt vmcnt(7) lgkmcnt(0)
	v_mul_f64 v[51:52], v[4:5], v[183:184]
	v_mul_f64 v[47:48], v[2:3], v[183:184]
	s_waitcnt vmcnt(5)
	v_fma_f64 v[27:28], v[27:28], v[37:38], -v[41:42]
	v_fma_f64 v[29:30], v[29:30], v[37:38], v[45:46]
	v_add_f64 v[6:7], v[39:40], v[6:7]
	v_add_f64 v[8:9], v[31:32], v[8:9]
	s_waitcnt vmcnt(4)
	v_fma_f64 v[2:3], v[2:3], v[188:189], -v[51:52]
	v_fma_f64 v[4:5], v[4:5], v[188:189], v[47:48]
	v_add_f64 v[6:7], v[6:7], v[27:28]
	v_add_f64 v[8:9], v[8:9], v[29:30]
	v_add_f64 v[2:3], v[6:7], v[2:3]
	v_add_f64 v[4:5], v[8:9], v[4:5]
	s_waitcnt vmcnt(2)
	v_add_f64 v[2:3], v[43:44], -v[2:3]
	s_waitcnt vmcnt(0)
	v_add_f64 v[4:5], v[49:50], -v[4:5]
	buffer_store_dword v3, off, s[0:3], 0 offset:484
	buffer_store_dword v2, off, s[0:3], 0 offset:480
	;; [unrolled: 1-line block ×4, first 2 shown]
	v_cmpx_lt_u32_e32 28, v0
	s_cbranch_execz .LBB48_251
; %bb.250:
	v_mov_b32_e32 v5, s33
	s_clause 0x3
	buffer_load_dword v2, v5, s[0:3], 0 offen
	buffer_load_dword v3, v5, s[0:3], 0 offen offset:4
	buffer_load_dword v4, v5, s[0:3], 0 offen offset:8
	;; [unrolled: 1-line block ×3, first 2 shown]
	buffer_store_dword v1, off, s[0:3], 0 offset:464
	buffer_store_dword v1, off, s[0:3], 0 offset:468
	buffer_store_dword v1, off, s[0:3], 0 offset:472
	buffer_store_dword v1, off, s[0:3], 0 offset:476
	s_waitcnt vmcnt(0)
	ds_write_b128 v11, v[2:5]
.LBB48_251:
	s_or_b32 exec_lo, exec_lo, s4
	s_waitcnt lgkmcnt(0)
	s_waitcnt_vscnt null, 0x0
	s_barrier
	buffer_gl0_inv
	s_clause 0x37
	buffer_load_dword v27, off, s[0:3], 0 offset:488
	buffer_load_dword v28, off, s[0:3], 0 offset:492
	;; [unrolled: 1-line block ×56, first 2 shown]
	ds_read_b128 v[2:5], v1 offset:1248
	s_clause 0x2
	buffer_load_dword v168, off, s[0:3], 0 offset:716
	buffer_load_dword v172, off, s[0:3], 0 offset:692
	buffer_load_dword v171, off, s[0:3], 0 offset:688
	ds_read_b128 v[6:9], v1 offset:1264
	s_clause 0x4
	buffer_load_dword v178, off, s[0:3], 0 offset:732
	buffer_load_dword v179, off, s[0:3], 0 offset:744
	;; [unrolled: 1-line block ×5, first 2 shown]
	s_mov_b32 s4, exec_lo
	s_waitcnt vmcnt(62) lgkmcnt(1)
	v_mul_f64 v[173:174], v[4:5], v[27:28]
	v_mul_f64 v[175:176], v[2:3], v[27:28]
	s_waitcnt vmcnt(60) lgkmcnt(0)
	v_mul_f64 v[182:183], v[8:9], v[31:32]
	ds_read_b128 v[27:30], v1 offset:1280
	v_mul_f64 v[31:32], v[6:7], v[31:32]
	s_waitcnt vmcnt(58)
	v_fma_f64 v[173:174], v[2:3], v[37:38], -v[173:174]
	v_fma_f64 v[37:38], v[4:5], v[37:38], v[175:176]
	s_clause 0x2
	buffer_load_dword v180, off, s[0:3], 0 offset:748
	buffer_load_dword v176, off, s[0:3], 0 offset:724
	;; [unrolled: 1-line block ×3, first 2 shown]
	s_waitcnt vmcnt(59) lgkmcnt(0)
	v_mul_f64 v[184:185], v[27:28], v[39:40]
	v_mul_f64 v[39:40], v[29:30], v[39:40]
	s_waitcnt vmcnt(57)
	v_fma_f64 v[186:187], v[6:7], v[41:42], -v[182:183]
	ds_read_b128 v[2:5], v1 offset:1296
	v_fma_f64 v[31:32], v[8:9], v[41:42], v[31:32]
	s_clause 0x4
	buffer_load_dword v42, off, s[0:3], 0 offset:764
	buffer_load_dword v183, off, s[0:3], 0 offset:776
	;; [unrolled: 1-line block ×5, first 2 shown]
	ds_read_b128 v[6:9], v1 offset:1312
	v_add_f64 v[173:174], v[173:174], 0
	v_add_f64 v[37:38], v[37:38], 0
	s_waitcnt vmcnt(58) lgkmcnt(1)
	v_mul_f64 v[189:190], v[2:3], v[43:44]
	v_mul_f64 v[43:44], v[4:5], v[43:44]
	s_waitcnt vmcnt(56)
	v_fma_f64 v[39:40], v[27:28], v[49:50], -v[39:40]
	v_fma_f64 v[49:50], v[29:30], v[49:50], v[184:185]
	v_add_f64 v[173:174], v[173:174], v[186:187]
	v_add_f64 v[31:32], v[37:38], v[31:32]
	s_clause 0x2
	buffer_load_dword v184, off, s[0:3], 0 offset:780
	buffer_load_dword v38, off, s[0:3], 0 offset:756
	;; [unrolled: 1-line block ×3, first 2 shown]
	s_waitcnt vmcnt(58) lgkmcnt(0)
	v_mul_f64 v[185:186], v[6:7], v[45:46]
	v_mul_f64 v[45:46], v[8:9], v[45:46]
	s_waitcnt vmcnt(56)
	v_fma_f64 v[43:44], v[2:3], v[51:52], -v[43:44]
	ds_read_b128 v[27:30], v1 offset:1328
	v_fma_f64 v[51:52], v[4:5], v[51:52], v[189:190]
	v_add_f64 v[39:40], v[173:174], v[39:40]
	v_add_f64 v[31:32], v[31:32], v[49:50]
	s_clause 0x2
	buffer_load_dword v50, off, s[0:3], 0 offset:796
	buffer_load_dword v49, off, s[0:3], 0 offset:792
	;; [unrolled: 1-line block ×3, first 2 shown]
	ds_read_b128 v[2:5], v1 offset:1344
	s_waitcnt vmcnt(55) lgkmcnt(1)
	v_mul_f64 v[173:174], v[27:28], v[53:54]
	v_mul_f64 v[53:54], v[29:30], v[53:54]
	s_waitcnt vmcnt(54)
	v_fma_f64 v[45:46], v[6:7], v[47:48], -v[45:46]
	v_add_f64 v[39:40], v[39:40], v[43:44]
	v_fma_f64 v[43:44], v[8:9], v[47:48], v[185:186]
	v_add_f64 v[31:32], v[31:32], v[51:52]
	s_clause 0x1
	buffer_load_dword v48, off, s[0:3], 0 offset:788
	buffer_load_dword v47, off, s[0:3], 0 offset:784
	s_waitcnt vmcnt(55) lgkmcnt(0)
	v_mul_f64 v[51:52], v[2:3], v[55:56]
	v_mul_f64 v[55:56], v[4:5], v[55:56]
	s_waitcnt vmcnt(53)
	v_fma_f64 v[53:54], v[27:28], v[59:60], -v[53:54]
	ds_read_b128 v[6:9], v1 offset:1360
	v_add_f64 v[39:40], v[39:40], v[45:46]
	v_fma_f64 v[45:46], v[29:30], v[59:60], v[173:174]
	v_add_f64 v[31:32], v[31:32], v[43:44]
	ds_read_b128 v[27:30], v1 offset:1376
	s_waitcnt vmcnt(48)
	v_fma_f64 v[51:52], v[4:5], v[57:58], v[51:52]
	s_waitcnt lgkmcnt(1)
	v_mul_f64 v[59:60], v[8:9], v[61:62]
	v_fma_f64 v[55:56], v[2:3], v[57:58], -v[55:56]
	v_mul_f64 v[43:44], v[6:7], v[61:62]
	v_add_f64 v[39:40], v[39:40], v[53:54]
	s_waitcnt vmcnt(47) lgkmcnt(0)
	v_mul_f64 v[61:62], v[29:30], v[63:64]
	v_add_f64 v[31:32], v[31:32], v[45:46]
	s_clause 0x3
	buffer_load_dword v45, off, s[0:3], 0 offset:464
	buffer_load_dword v46, off, s[0:3], 0 offset:468
	;; [unrolled: 1-line block ×4, first 2 shown]
	ds_read_b128 v[2:5], v1 offset:1392
	s_waitcnt vmcnt(49)
	v_fma_f64 v[59:60], v[6:7], v[71:72], -v[59:60]
	v_mul_f64 v[57:58], v[27:28], v[63:64]
	v_fma_f64 v[43:44], v[8:9], v[71:72], v[43:44]
	ds_read_b128 v[6:9], v1 offset:1408
	v_add_f64 v[39:40], v[39:40], v[55:56]
	s_waitcnt vmcnt(44)
	v_fma_f64 v[61:62], v[27:28], v[69:70], -v[61:62]
	v_add_f64 v[31:32], v[31:32], v[51:52]
	s_waitcnt lgkmcnt(1)
	v_mul_f64 v[55:56], v[4:5], v[73:74]
	v_mul_f64 v[51:52], v[2:3], v[73:74]
	v_fma_f64 v[57:58], v[29:30], v[69:70], v[57:58]
	ds_read_b128 v[27:30], v1 offset:1424
	v_add_f64 v[39:40], v[39:40], v[59:60]
	s_waitcnt vmcnt(43) lgkmcnt(1)
	v_mul_f64 v[59:60], v[8:9], v[75:76]
	v_add_f64 v[31:32], v[31:32], v[43:44]
	s_waitcnt vmcnt(41)
	v_fma_f64 v[55:56], v[2:3], v[83:84], -v[55:56]
	v_mul_f64 v[43:44], v[6:7], v[75:76]
	v_fma_f64 v[51:52], v[4:5], v[83:84], v[51:52]
	ds_read_b128 v[2:5], v1 offset:1440
	v_add_f64 v[39:40], v[39:40], v[61:62]
	s_waitcnt vmcnt(37) lgkmcnt(1)
	v_mul_f64 v[61:62], v[29:30], v[85:86]
	v_add_f64 v[31:32], v[31:32], v[57:58]
	s_waitcnt vmcnt(36)
	v_fma_f64 v[59:60], v[6:7], v[81:82], -v[59:60]
	;; [unrolled: 9-line block ×6, first 2 shown]
	v_mul_f64 v[51:52], v[2:3], v[177:178]
	v_fma_f64 v[57:58], v[29:30], v[169:170], v[57:58]
	ds_read_b128 v[27:30], v1 offset:1520
	v_add_f64 v[39:40], v[39:40], v[59:60]
	v_add_f64 v[31:32], v[31:32], v[43:44]
	s_waitcnt vmcnt(19) lgkmcnt(1)
	v_mul_f64 v[59:60], v[8:9], v[179:180]
	v_mul_f64 v[43:44], v[6:7], v[179:180]
	s_waitcnt vmcnt(17)
	v_fma_f64 v[55:56], v[2:3], v[175:176], -v[55:56]
	v_fma_f64 v[51:52], v[4:5], v[175:176], v[51:52]
	ds_read_b128 v[2:5], v1 offset:1536
	v_add_f64 v[39:40], v[39:40], v[61:62]
	v_add_f64 v[31:32], v[31:32], v[57:58]
	s_waitcnt vmcnt(13) lgkmcnt(1)
	v_mul_f64 v[57:58], v[27:28], v[41:42]
	v_mul_f64 v[41:42], v[29:30], v[41:42]
	s_waitcnt vmcnt(12)
	v_fma_f64 v[59:60], v[6:7], v[181:182], -v[59:60]
	;; [unrolled: 9-line block ×3, first 2 shown]
	v_fma_f64 v[29:30], v[29:30], v[37:38], v[57:58]
	v_add_f64 v[39:40], v[39:40], v[59:60]
	v_add_f64 v[31:32], v[31:32], v[43:44]
	s_waitcnt vmcnt(7) lgkmcnt(0)
	v_mul_f64 v[41:42], v[8:9], v[49:50]
	s_waitcnt vmcnt(6)
	v_fma_f64 v[1:2], v[2:3], v[188:189], -v[55:56]
	v_mul_f64 v[37:38], v[6:7], v[49:50]
	v_fma_f64 v[3:4], v[4:5], v[188:189], v[51:52]
	v_add_f64 v[27:28], v[39:40], v[27:28]
	v_add_f64 v[29:30], v[31:32], v[29:30]
	s_waitcnt vmcnt(4)
	v_fma_f64 v[5:6], v[6:7], v[47:48], -v[41:42]
	v_fma_f64 v[7:8], v[8:9], v[47:48], v[37:38]
	v_add_f64 v[1:2], v[27:28], v[1:2]
	v_add_f64 v[3:4], v[29:30], v[3:4]
	;; [unrolled: 1-line block ×4, first 2 shown]
	s_waitcnt vmcnt(2)
	v_add_f64 v[1:2], v[45:46], -v[1:2]
	s_waitcnt vmcnt(0)
	v_add_f64 v[3:4], v[53:54], -v[3:4]
	buffer_store_dword v2, off, s[0:3], 0 offset:468
	buffer_store_dword v1, off, s[0:3], 0 offset:464
	;; [unrolled: 1-line block ×4, first 2 shown]
	v_cmpx_lt_u32_e32 27, v0
	s_cbranch_execz .LBB48_253
; %bb.252:
	v_mov_b32_e32 v4, s34
	v_mov_b32_e32 v5, 0
	s_clause 0x3
	buffer_load_dword v1, v4, s[0:3], 0 offen
	buffer_load_dword v2, v4, s[0:3], 0 offen offset:4
	buffer_load_dword v3, v4, s[0:3], 0 offen offset:8
	;; [unrolled: 1-line block ×3, first 2 shown]
	buffer_store_dword v5, off, s[0:3], 0 offset:448
	buffer_store_dword v5, off, s[0:3], 0 offset:452
	;; [unrolled: 1-line block ×4, first 2 shown]
	s_waitcnt vmcnt(0)
	ds_write_b128 v11, v[1:4]
.LBB48_253:
	s_or_b32 exec_lo, exec_lo, s4
	s_waitcnt lgkmcnt(0)
	s_waitcnt_vscnt null, 0x0
	s_barrier
	buffer_gl0_inv
	s_clause 0x37
	buffer_load_dword v27, off, s[0:3], 0 offset:472
	buffer_load_dword v28, off, s[0:3], 0 offset:476
	;; [unrolled: 1-line block ×56, first 2 shown]
	v_mov_b32_e32 v1, 0
	s_mov_b32 s4, exec_lo
	ds_read_b128 v[2:5], v1 offset:1232
	s_clause 0x2
	buffer_load_dword v168, off, s[0:3], 0 offset:700
	buffer_load_dword v172, off, s[0:3], 0 offset:676
	;; [unrolled: 1-line block ×3, first 2 shown]
	ds_read_b128 v[6:9], v1 offset:1248
	s_clause 0x4
	buffer_load_dword v178, off, s[0:3], 0 offset:716
	buffer_load_dword v179, off, s[0:3], 0 offset:728
	;; [unrolled: 1-line block ×5, first 2 shown]
	s_waitcnt vmcnt(62) lgkmcnt(1)
	v_mul_f64 v[173:174], v[4:5], v[27:28]
	v_mul_f64 v[175:176], v[2:3], v[27:28]
	s_waitcnt vmcnt(60) lgkmcnt(0)
	v_mul_f64 v[182:183], v[8:9], v[31:32]
	ds_read_b128 v[27:30], v1 offset:1264
	v_mul_f64 v[31:32], v[6:7], v[31:32]
	s_waitcnt vmcnt(58)
	v_fma_f64 v[173:174], v[2:3], v[37:38], -v[173:174]
	v_fma_f64 v[37:38], v[4:5], v[37:38], v[175:176]
	s_clause 0x2
	buffer_load_dword v180, off, s[0:3], 0 offset:732
	buffer_load_dword v176, off, s[0:3], 0 offset:708
	;; [unrolled: 1-line block ×3, first 2 shown]
	s_waitcnt vmcnt(59) lgkmcnt(0)
	v_mul_f64 v[184:185], v[27:28], v[39:40]
	v_mul_f64 v[39:40], v[29:30], v[39:40]
	s_waitcnt vmcnt(57)
	v_fma_f64 v[186:187], v[6:7], v[41:42], -v[182:183]
	ds_read_b128 v[2:5], v1 offset:1280
	v_fma_f64 v[31:32], v[8:9], v[41:42], v[31:32]
	s_clause 0x4
	buffer_load_dword v42, off, s[0:3], 0 offset:748
	buffer_load_dword v183, off, s[0:3], 0 offset:760
	;; [unrolled: 1-line block ×5, first 2 shown]
	ds_read_b128 v[6:9], v1 offset:1296
	v_add_f64 v[173:174], v[173:174], 0
	v_add_f64 v[37:38], v[37:38], 0
	s_waitcnt vmcnt(58) lgkmcnt(1)
	v_mul_f64 v[189:190], v[2:3], v[43:44]
	v_mul_f64 v[43:44], v[4:5], v[43:44]
	s_waitcnt vmcnt(56)
	v_fma_f64 v[39:40], v[27:28], v[49:50], -v[39:40]
	v_fma_f64 v[49:50], v[29:30], v[49:50], v[184:185]
	v_add_f64 v[173:174], v[173:174], v[186:187]
	v_add_f64 v[31:32], v[37:38], v[31:32]
	s_clause 0x2
	buffer_load_dword v184, off, s[0:3], 0 offset:764
	buffer_load_dword v38, off, s[0:3], 0 offset:740
	;; [unrolled: 1-line block ×3, first 2 shown]
	s_waitcnt vmcnt(58) lgkmcnt(0)
	v_mul_f64 v[185:186], v[6:7], v[45:46]
	v_mul_f64 v[45:46], v[8:9], v[45:46]
	s_waitcnt vmcnt(56)
	v_fma_f64 v[43:44], v[2:3], v[51:52], -v[43:44]
	ds_read_b128 v[27:30], v1 offset:1312
	v_fma_f64 v[51:52], v[4:5], v[51:52], v[189:190]
	v_add_f64 v[39:40], v[173:174], v[39:40]
	v_add_f64 v[31:32], v[31:32], v[49:50]
	s_clause 0x4
	buffer_load_dword v50, off, s[0:3], 0 offset:780
	buffer_load_dword v173, off, s[0:3], 0 offset:792
	;; [unrolled: 1-line block ×5, first 2 shown]
	ds_read_b128 v[2:5], v1 offset:1328
	s_waitcnt vmcnt(57) lgkmcnt(1)
	v_mul_f64 v[191:192], v[27:28], v[53:54]
	v_mul_f64 v[53:54], v[29:30], v[53:54]
	s_waitcnt vmcnt(56)
	v_fma_f64 v[45:46], v[6:7], v[47:48], -v[45:46]
	v_add_f64 v[39:40], v[39:40], v[43:44]
	v_fma_f64 v[43:44], v[8:9], v[47:48], v[185:186]
	v_add_f64 v[31:32], v[31:32], v[51:52]
	s_clause 0x2
	buffer_load_dword v174, off, s[0:3], 0 offset:796
	buffer_load_dword v48, off, s[0:3], 0 offset:772
	;; [unrolled: 1-line block ×3, first 2 shown]
	s_waitcnt vmcnt(58) lgkmcnt(0)
	v_mul_f64 v[51:52], v[2:3], v[55:56]
	v_mul_f64 v[55:56], v[4:5], v[55:56]
	s_waitcnt vmcnt(56)
	v_fma_f64 v[53:54], v[27:28], v[59:60], -v[53:54]
	ds_read_b128 v[6:9], v1 offset:1344
	v_add_f64 v[39:40], v[39:40], v[45:46]
	v_fma_f64 v[45:46], v[29:30], v[59:60], v[191:192]
	v_add_f64 v[31:32], v[31:32], v[43:44]
	buffer_load_dword v191, off, s[0:3], 0 offset:788
	ds_read_b128 v[27:30], v1 offset:1360
	s_waitcnt vmcnt(53) lgkmcnt(1)
	v_mul_f64 v[59:60], v[8:9], v[61:62]
	s_waitcnt vmcnt(52)
	v_fma_f64 v[55:56], v[2:3], v[57:58], -v[55:56]
	v_mul_f64 v[43:44], v[6:7], v[61:62]
	v_fma_f64 v[51:52], v[4:5], v[57:58], v[51:52]
	ds_read_b128 v[2:5], v1 offset:1376
	v_add_f64 v[39:40], v[39:40], v[53:54]
	v_add_f64 v[31:32], v[31:32], v[45:46]
	s_waitcnt vmcnt(51) lgkmcnt(1)
	v_mul_f64 v[53:54], v[29:30], v[63:64]
	v_mul_f64 v[45:46], v[27:28], v[63:64]
	s_waitcnt vmcnt(49)
	v_fma_f64 v[57:58], v[6:7], v[71:72], -v[59:60]
	v_fma_f64 v[43:44], v[8:9], v[71:72], v[43:44]
	s_waitcnt vmcnt(45) lgkmcnt(0)
	v_mul_f64 v[61:62], v[4:5], v[73:74]
	v_mul_f64 v[59:60], v[2:3], v[73:74]
	v_add_f64 v[39:40], v[39:40], v[55:56]
	v_add_f64 v[31:32], v[31:32], v[51:52]
	s_clause 0x3
	buffer_load_dword v51, off, s[0:3], 0 offset:448
	buffer_load_dword v52, off, s[0:3], 0 offset:452
	;; [unrolled: 1-line block ×4, first 2 shown]
	s_waitcnt vmcnt(48)
	v_fma_f64 v[53:54], v[27:28], v[69:70], -v[53:54]
	ds_read_b128 v[6:9], v1 offset:1392
	v_fma_f64 v[45:46], v[29:30], v[69:70], v[45:46]
	ds_read_b128 v[27:30], v1 offset:1408
	s_waitcnt vmcnt(45)
	v_fma_f64 v[61:62], v[2:3], v[83:84], -v[61:62]
	v_add_f64 v[39:40], v[39:40], v[57:58]
	v_add_f64 v[31:32], v[31:32], v[43:44]
	s_waitcnt lgkmcnt(1)
	v_mul_f64 v[57:58], v[8:9], v[75:76]
	v_mul_f64 v[43:44], v[6:7], v[75:76]
	v_add_f64 v[39:40], v[39:40], v[53:54]
	v_fma_f64 v[53:54], v[4:5], v[83:84], v[59:60]
	v_add_f64 v[31:32], v[31:32], v[45:46]
	s_waitcnt vmcnt(41) lgkmcnt(0)
	v_mul_f64 v[59:60], v[29:30], v[85:86]
	s_waitcnt vmcnt(40)
	v_fma_f64 v[57:58], v[6:7], v[81:82], -v[57:58]
	ds_read_b128 v[2:5], v1 offset:1424
	v_mul_f64 v[45:46], v[27:28], v[85:86]
	v_fma_f64 v[43:44], v[8:9], v[81:82], v[43:44]
	ds_read_b128 v[6:9], v1 offset:1440
	v_add_f64 v[39:40], v[39:40], v[61:62]
	v_add_f64 v[31:32], v[31:32], v[53:54]
	s_waitcnt vmcnt(39) lgkmcnt(1)
	v_mul_f64 v[61:62], v[4:5], v[87:88]
	s_waitcnt vmcnt(37)
	v_fma_f64 v[59:60], v[27:28], v[163:164], -v[59:60]
	v_mul_f64 v[53:54], v[2:3], v[87:88]
	v_fma_f64 v[45:46], v[29:30], v[163:164], v[45:46]
	ds_read_b128 v[27:30], v1 offset:1456
	v_add_f64 v[39:40], v[39:40], v[57:58]
	s_waitcnt vmcnt(33) lgkmcnt(1)
	v_mul_f64 v[57:58], v[8:9], v[165:166]
	v_add_f64 v[31:32], v[31:32], v[43:44]
	s_waitcnt vmcnt(32)
	v_fma_f64 v[61:62], v[2:3], v[161:162], -v[61:62]
	v_mul_f64 v[43:44], v[6:7], v[165:166]
	v_fma_f64 v[53:54], v[4:5], v[161:162], v[53:54]
	ds_read_b128 v[2:5], v1 offset:1472
	v_add_f64 v[39:40], v[39:40], v[59:60]
	s_waitcnt vmcnt(31) lgkmcnt(1)
	v_mul_f64 v[59:60], v[29:30], v[167:168]
	v_add_f64 v[31:32], v[31:32], v[45:46]
	;; [unrolled: 9-line block ×3, first 2 shown]
	s_waitcnt vmcnt(24)
	v_fma_f64 v[59:60], v[27:28], v[169:170], -v[59:60]
	v_mul_f64 v[53:54], v[2:3], v[177:178]
	v_fma_f64 v[45:46], v[29:30], v[169:170], v[45:46]
	ds_read_b128 v[27:30], v1 offset:1504
	v_add_f64 v[39:40], v[39:40], v[57:58]
	v_add_f64 v[31:32], v[31:32], v[43:44]
	s_waitcnt vmcnt(23) lgkmcnt(1)
	v_mul_f64 v[57:58], v[8:9], v[179:180]
	v_mul_f64 v[43:44], v[6:7], v[179:180]
	s_waitcnt vmcnt(21)
	v_fma_f64 v[61:62], v[2:3], v[175:176], -v[61:62]
	v_fma_f64 v[53:54], v[4:5], v[175:176], v[53:54]
	ds_read_b128 v[2:5], v1 offset:1520
	v_add_f64 v[39:40], v[39:40], v[59:60]
	v_add_f64 v[31:32], v[31:32], v[45:46]
	s_waitcnt vmcnt(17) lgkmcnt(1)
	v_mul_f64 v[45:46], v[27:28], v[41:42]
	v_mul_f64 v[41:42], v[29:30], v[41:42]
	s_waitcnt vmcnt(16)
	v_fma_f64 v[57:58], v[6:7], v[181:182], -v[57:58]
	;; [unrolled: 9-line block ×3, first 2 shown]
	v_fma_f64 v[37:38], v[29:30], v[37:38], v[45:46]
	ds_read_b128 v[27:30], v1 offset:1552
	v_add_f64 v[39:40], v[39:40], v[57:58]
	v_add_f64 v[31:32], v[31:32], v[43:44]
	s_waitcnt vmcnt(9) lgkmcnt(1)
	v_mul_f64 v[45:46], v[8:9], v[49:50]
	s_waitcnt vmcnt(8)
	v_fma_f64 v[2:3], v[2:3], v[188:189], -v[59:60]
	v_mul_f64 v[43:44], v[6:7], v[49:50]
	v_fma_f64 v[4:5], v[4:5], v[188:189], v[53:54]
	v_add_f64 v[39:40], v[39:40], v[41:42]
	v_add_f64 v[31:32], v[31:32], v[37:38]
	s_waitcnt vmcnt(7) lgkmcnt(0)
	v_mul_f64 v[41:42], v[29:30], v[173:174]
	v_mul_f64 v[37:38], v[27:28], v[173:174]
	s_waitcnt vmcnt(5)
	v_fma_f64 v[6:7], v[6:7], v[47:48], -v[45:46]
	v_fma_f64 v[8:9], v[8:9], v[47:48], v[43:44]
	v_add_f64 v[2:3], v[39:40], v[2:3]
	v_add_f64 v[4:5], v[31:32], v[4:5]
	s_waitcnt vmcnt(4)
	v_fma_f64 v[27:28], v[27:28], v[190:191], -v[41:42]
	v_add_f64 v[2:3], v[2:3], v[6:7]
	v_fma_f64 v[6:7], v[29:30], v[190:191], v[37:38]
	v_add_f64 v[4:5], v[4:5], v[8:9]
	v_add_f64 v[2:3], v[2:3], v[27:28]
	;; [unrolled: 1-line block ×3, first 2 shown]
	s_waitcnt vmcnt(2)
	v_add_f64 v[2:3], v[51:52], -v[2:3]
	s_waitcnt vmcnt(0)
	v_add_f64 v[4:5], v[55:56], -v[4:5]
	buffer_store_dword v3, off, s[0:3], 0 offset:452
	buffer_store_dword v2, off, s[0:3], 0 offset:448
	;; [unrolled: 1-line block ×4, first 2 shown]
	v_cmpx_lt_u32_e32 26, v0
	s_cbranch_execz .LBB48_255
; %bb.254:
	v_mov_b32_e32 v5, s35
	s_clause 0x3
	buffer_load_dword v2, v5, s[0:3], 0 offen
	buffer_load_dword v3, v5, s[0:3], 0 offen offset:4
	buffer_load_dword v4, v5, s[0:3], 0 offen offset:8
	buffer_load_dword v5, v5, s[0:3], 0 offen offset:12
	buffer_store_dword v1, off, s[0:3], 0 offset:432
	buffer_store_dword v1, off, s[0:3], 0 offset:436
	;; [unrolled: 1-line block ×4, first 2 shown]
	s_waitcnt vmcnt(0)
	ds_write_b128 v11, v[2:5]
.LBB48_255:
	s_or_b32 exec_lo, exec_lo, s4
	s_waitcnt lgkmcnt(0)
	s_waitcnt_vscnt null, 0x0
	s_barrier
	buffer_gl0_inv
	s_clause 0x37
	buffer_load_dword v27, off, s[0:3], 0 offset:456
	buffer_load_dword v28, off, s[0:3], 0 offset:460
	;; [unrolled: 1-line block ×56, first 2 shown]
	ds_read_b128 v[2:5], v1 offset:1216
	s_clause 0x2
	buffer_load_dword v168, off, s[0:3], 0 offset:684
	buffer_load_dword v172, off, s[0:3], 0 offset:660
	;; [unrolled: 1-line block ×3, first 2 shown]
	ds_read_b128 v[6:9], v1 offset:1232
	s_clause 0x4
	buffer_load_dword v178, off, s[0:3], 0 offset:700
	buffer_load_dword v179, off, s[0:3], 0 offset:712
	;; [unrolled: 1-line block ×5, first 2 shown]
	s_mov_b32 s4, exec_lo
	s_waitcnt vmcnt(62) lgkmcnt(1)
	v_mul_f64 v[173:174], v[4:5], v[27:28]
	v_mul_f64 v[175:176], v[2:3], v[27:28]
	s_waitcnt vmcnt(60) lgkmcnt(0)
	v_mul_f64 v[182:183], v[8:9], v[31:32]
	ds_read_b128 v[27:30], v1 offset:1248
	v_mul_f64 v[31:32], v[6:7], v[31:32]
	s_waitcnt vmcnt(58)
	v_fma_f64 v[173:174], v[2:3], v[37:38], -v[173:174]
	v_fma_f64 v[37:38], v[4:5], v[37:38], v[175:176]
	s_clause 0x2
	buffer_load_dword v180, off, s[0:3], 0 offset:716
	buffer_load_dword v176, off, s[0:3], 0 offset:692
	buffer_load_dword v175, off, s[0:3], 0 offset:688
	s_waitcnt vmcnt(59) lgkmcnt(0)
	v_mul_f64 v[184:185], v[27:28], v[39:40]
	v_mul_f64 v[39:40], v[29:30], v[39:40]
	s_waitcnt vmcnt(57)
	v_fma_f64 v[186:187], v[6:7], v[41:42], -v[182:183]
	ds_read_b128 v[2:5], v1 offset:1264
	v_fma_f64 v[31:32], v[8:9], v[41:42], v[31:32]
	s_clause 0x4
	buffer_load_dword v42, off, s[0:3], 0 offset:732
	buffer_load_dword v183, off, s[0:3], 0 offset:744
	;; [unrolled: 1-line block ×5, first 2 shown]
	ds_read_b128 v[6:9], v1 offset:1280
	v_add_f64 v[173:174], v[173:174], 0
	v_add_f64 v[37:38], v[37:38], 0
	s_waitcnt vmcnt(58) lgkmcnt(1)
	v_mul_f64 v[189:190], v[2:3], v[43:44]
	v_mul_f64 v[43:44], v[4:5], v[43:44]
	s_waitcnt vmcnt(56)
	v_fma_f64 v[39:40], v[27:28], v[49:50], -v[39:40]
	v_fma_f64 v[49:50], v[29:30], v[49:50], v[184:185]
	v_add_f64 v[173:174], v[173:174], v[186:187]
	v_add_f64 v[31:32], v[37:38], v[31:32]
	s_clause 0x2
	buffer_load_dword v184, off, s[0:3], 0 offset:748
	buffer_load_dword v38, off, s[0:3], 0 offset:724
	;; [unrolled: 1-line block ×3, first 2 shown]
	s_waitcnt vmcnt(58) lgkmcnt(0)
	v_mul_f64 v[185:186], v[6:7], v[45:46]
	v_mul_f64 v[45:46], v[8:9], v[45:46]
	s_waitcnt vmcnt(56)
	v_fma_f64 v[43:44], v[2:3], v[51:52], -v[43:44]
	ds_read_b128 v[27:30], v1 offset:1296
	v_fma_f64 v[51:52], v[4:5], v[51:52], v[189:190]
	v_add_f64 v[39:40], v[173:174], v[39:40]
	v_add_f64 v[31:32], v[31:32], v[49:50]
	s_clause 0x4
	buffer_load_dword v50, off, s[0:3], 0 offset:764
	buffer_load_dword v173, off, s[0:3], 0 offset:776
	;; [unrolled: 1-line block ×5, first 2 shown]
	ds_read_b128 v[2:5], v1 offset:1312
	s_waitcnt vmcnt(57) lgkmcnt(1)
	v_mul_f64 v[191:192], v[27:28], v[53:54]
	v_mul_f64 v[53:54], v[29:30], v[53:54]
	s_waitcnt vmcnt(56)
	v_fma_f64 v[45:46], v[6:7], v[47:48], -v[45:46]
	v_add_f64 v[39:40], v[39:40], v[43:44]
	v_fma_f64 v[43:44], v[8:9], v[47:48], v[185:186]
	v_add_f64 v[31:32], v[31:32], v[51:52]
	s_clause 0x2
	buffer_load_dword v174, off, s[0:3], 0 offset:780
	buffer_load_dword v48, off, s[0:3], 0 offset:756
	;; [unrolled: 1-line block ×3, first 2 shown]
	s_waitcnt vmcnt(58) lgkmcnt(0)
	v_mul_f64 v[51:52], v[2:3], v[55:56]
	v_mul_f64 v[55:56], v[4:5], v[55:56]
	s_waitcnt vmcnt(56)
	v_fma_f64 v[53:54], v[27:28], v[59:60], -v[53:54]
	ds_read_b128 v[6:9], v1 offset:1328
	v_add_f64 v[39:40], v[39:40], v[45:46]
	v_fma_f64 v[45:46], v[29:30], v[59:60], v[191:192]
	v_add_f64 v[31:32], v[31:32], v[43:44]
	s_clause 0x2
	buffer_load_dword v44, off, s[0:3], 0 offset:796
	buffer_load_dword v43, off, s[0:3], 0 offset:792
	;; [unrolled: 1-line block ×3, first 2 shown]
	ds_read_b128 v[27:30], v1 offset:1344
	s_waitcnt vmcnt(55) lgkmcnt(1)
	v_mul_f64 v[59:60], v[6:7], v[61:62]
	v_mul_f64 v[61:62], v[8:9], v[61:62]
	s_waitcnt vmcnt(54)
	v_fma_f64 v[55:56], v[2:3], v[57:58], -v[55:56]
	v_fma_f64 v[51:52], v[4:5], v[57:58], v[51:52]
	v_add_f64 v[39:40], v[39:40], v[53:54]
	v_add_f64 v[31:32], v[31:32], v[45:46]
	s_clause 0x1
	buffer_load_dword v46, off, s[0:3], 0 offset:788
	buffer_load_dword v45, off, s[0:3], 0 offset:784
	s_waitcnt vmcnt(55) lgkmcnt(0)
	v_mul_f64 v[57:58], v[29:30], v[63:64]
	ds_read_b128 v[2:5], v1 offset:1360
	s_waitcnt vmcnt(53)
	v_fma_f64 v[61:62], v[6:7], v[71:72], -v[61:62]
	v_mul_f64 v[53:54], v[27:28], v[63:64]
	v_add_f64 v[39:40], v[39:40], v[55:56]
	v_fma_f64 v[55:56], v[8:9], v[71:72], v[59:60]
	v_add_f64 v[31:32], v[31:32], v[51:52]
	ds_read_b128 v[6:9], v1 offset:1376
	s_waitcnt vmcnt(49) lgkmcnt(1)
	v_mul_f64 v[59:60], v[4:5], v[73:74]
	s_waitcnt vmcnt(48)
	v_fma_f64 v[57:58], v[27:28], v[69:70], -v[57:58]
	v_mul_f64 v[51:52], v[2:3], v[73:74]
	v_fma_f64 v[53:54], v[29:30], v[69:70], v[53:54]
	v_add_f64 v[39:40], v[39:40], v[61:62]
	s_waitcnt vmcnt(47) lgkmcnt(0)
	v_mul_f64 v[69:70], v[8:9], v[75:76]
	v_add_f64 v[31:32], v[31:32], v[55:56]
	s_clause 0x3
	buffer_load_dword v55, off, s[0:3], 0 offset:432
	buffer_load_dword v56, off, s[0:3], 0 offset:436
	;; [unrolled: 1-line block ×4, first 2 shown]
	s_waitcnt vmcnt(49)
	v_fma_f64 v[59:60], v[2:3], v[83:84], -v[59:60]
	ds_read_b128 v[27:30], v1 offset:1392
	v_mul_f64 v[63:64], v[6:7], v[75:76]
	v_fma_f64 v[51:52], v[4:5], v[83:84], v[51:52]
	ds_read_b128 v[2:5], v1 offset:1408
	v_add_f64 v[39:40], v[39:40], v[57:58]
	s_waitcnt vmcnt(44)
	v_fma_f64 v[69:70], v[6:7], v[81:82], -v[69:70]
	v_add_f64 v[31:32], v[31:32], v[53:54]
	s_waitcnt lgkmcnt(1)
	v_mul_f64 v[57:58], v[29:30], v[85:86]
	v_mul_f64 v[53:54], v[27:28], v[85:86]
	v_add_f64 v[39:40], v[39:40], v[59:60]
	v_fma_f64 v[59:60], v[8:9], v[81:82], v[63:64]
	v_add_f64 v[31:32], v[31:32], v[51:52]
	s_waitcnt vmcnt(43) lgkmcnt(0)
	v_mul_f64 v[63:64], v[4:5], v[87:88]
	s_waitcnt vmcnt(41)
	v_fma_f64 v[57:58], v[27:28], v[163:164], -v[57:58]
	ds_read_b128 v[6:9], v1 offset:1424
	v_mul_f64 v[51:52], v[2:3], v[87:88]
	v_fma_f64 v[53:54], v[29:30], v[163:164], v[53:54]
	ds_read_b128 v[27:30], v1 offset:1440
	v_add_f64 v[39:40], v[39:40], v[69:70]
	v_add_f64 v[31:32], v[31:32], v[59:60]
	s_waitcnt vmcnt(37) lgkmcnt(1)
	v_mul_f64 v[69:70], v[8:9], v[165:166]
	s_waitcnt vmcnt(36)
	v_fma_f64 v[63:64], v[2:3], v[161:162], -v[63:64]
	v_mul_f64 v[59:60], v[6:7], v[165:166]
	v_fma_f64 v[51:52], v[4:5], v[161:162], v[51:52]
	ds_read_b128 v[2:5], v1 offset:1456
	v_add_f64 v[39:40], v[39:40], v[57:58]
	s_waitcnt vmcnt(35) lgkmcnt(1)
	v_mul_f64 v[57:58], v[29:30], v[167:168]
	v_add_f64 v[31:32], v[31:32], v[53:54]
	s_waitcnt vmcnt(33)
	v_fma_f64 v[69:70], v[6:7], v[171:172], -v[69:70]
	v_mul_f64 v[53:54], v[27:28], v[167:168]
	v_fma_f64 v[59:60], v[8:9], v[171:172], v[59:60]
	ds_read_b128 v[6:9], v1 offset:1472
	v_add_f64 v[39:40], v[39:40], v[63:64]
	s_waitcnt vmcnt(29) lgkmcnt(1)
	v_mul_f64 v[63:64], v[4:5], v[177:178]
	v_add_f64 v[31:32], v[31:32], v[51:52]
	s_waitcnt vmcnt(28)
	v_fma_f64 v[57:58], v[27:28], v[169:170], -v[57:58]
	v_mul_f64 v[51:52], v[2:3], v[177:178]
	v_fma_f64 v[53:54], v[29:30], v[169:170], v[53:54]
	ds_read_b128 v[27:30], v1 offset:1488
	v_add_f64 v[39:40], v[39:40], v[69:70]
	v_add_f64 v[31:32], v[31:32], v[59:60]
	s_waitcnt vmcnt(27) lgkmcnt(1)
	v_mul_f64 v[69:70], v[8:9], v[179:180]
	v_mul_f64 v[59:60], v[6:7], v[179:180]
	s_waitcnt vmcnt(25)
	v_fma_f64 v[63:64], v[2:3], v[175:176], -v[63:64]
	v_fma_f64 v[51:52], v[4:5], v[175:176], v[51:52]
	ds_read_b128 v[2:5], v1 offset:1504
	v_add_f64 v[39:40], v[39:40], v[57:58]
	v_add_f64 v[31:32], v[31:32], v[53:54]
	s_waitcnt vmcnt(21) lgkmcnt(1)
	v_mul_f64 v[53:54], v[27:28], v[41:42]
	v_mul_f64 v[41:42], v[29:30], v[41:42]
	s_waitcnt vmcnt(20)
	v_fma_f64 v[57:58], v[6:7], v[181:182], -v[69:70]
	;; [unrolled: 9-line block ×4, first 2 shown]
	v_add_f64 v[39:40], v[39:40], v[41:42]
	v_fma_f64 v[41:42], v[4:5], v[188:189], v[51:52]
	v_add_f64 v[31:32], v[31:32], v[37:38]
	ds_read_b128 v[1:4], v1 offset:1552
	s_waitcnt vmcnt(11) lgkmcnt(1)
	v_mul_f64 v[51:52], v[29:30], v[173:174]
	v_mul_f64 v[37:38], v[27:28], v[173:174]
	s_waitcnt vmcnt(9)
	v_fma_f64 v[5:6], v[6:7], v[47:48], -v[49:50]
	v_fma_f64 v[7:8], v[8:9], v[47:48], v[53:54]
	v_add_f64 v[39:40], v[39:40], v[57:58]
	v_add_f64 v[9:10], v[31:32], v[41:42]
	s_waitcnt vmcnt(7) lgkmcnt(0)
	v_mul_f64 v[41:42], v[3:4], v[43:44]
	s_waitcnt vmcnt(6)
	v_fma_f64 v[27:28], v[27:28], v[190:191], -v[51:52]
	v_mul_f64 v[31:32], v[1:2], v[43:44]
	v_fma_f64 v[29:30], v[29:30], v[190:191], v[37:38]
	v_add_f64 v[5:6], v[39:40], v[5:6]
	v_add_f64 v[7:8], v[9:10], v[7:8]
	s_waitcnt vmcnt(4)
	v_fma_f64 v[1:2], v[1:2], v[45:46], -v[41:42]
	v_fma_f64 v[3:4], v[3:4], v[45:46], v[31:32]
	v_add_f64 v[5:6], v[5:6], v[27:28]
	v_add_f64 v[7:8], v[7:8], v[29:30]
	;; [unrolled: 1-line block ×4, first 2 shown]
	s_waitcnt vmcnt(2)
	v_add_f64 v[1:2], v[55:56], -v[1:2]
	s_waitcnt vmcnt(0)
	v_add_f64 v[3:4], v[61:62], -v[3:4]
	buffer_store_dword v2, off, s[0:3], 0 offset:436
	buffer_store_dword v1, off, s[0:3], 0 offset:432
	;; [unrolled: 1-line block ×4, first 2 shown]
	v_cmpx_lt_u32_e32 25, v0
	s_cbranch_execz .LBB48_257
; %bb.256:
	v_mov_b32_e32 v4, s36
	v_mov_b32_e32 v5, 0
	s_clause 0x3
	buffer_load_dword v1, v4, s[0:3], 0 offen
	buffer_load_dword v2, v4, s[0:3], 0 offen offset:4
	buffer_load_dword v3, v4, s[0:3], 0 offen offset:8
	;; [unrolled: 1-line block ×3, first 2 shown]
	buffer_store_dword v5, off, s[0:3], 0 offset:416
	buffer_store_dword v5, off, s[0:3], 0 offset:420
	buffer_store_dword v5, off, s[0:3], 0 offset:424
	buffer_store_dword v5, off, s[0:3], 0 offset:428
	s_waitcnt vmcnt(0)
	ds_write_b128 v11, v[1:4]
.LBB48_257:
	s_or_b32 exec_lo, exec_lo, s4
	s_waitcnt lgkmcnt(0)
	s_waitcnt_vscnt null, 0x0
	s_barrier
	buffer_gl0_inv
	s_clause 0x37
	buffer_load_dword v27, off, s[0:3], 0 offset:440
	buffer_load_dword v28, off, s[0:3], 0 offset:444
	;; [unrolled: 1-line block ×56, first 2 shown]
	v_mov_b32_e32 v1, 0
	s_mov_b32 s4, exec_lo
	ds_read_b128 v[2:5], v1 offset:1200
	s_clause 0x2
	buffer_load_dword v168, off, s[0:3], 0 offset:668
	buffer_load_dword v172, off, s[0:3], 0 offset:644
	;; [unrolled: 1-line block ×3, first 2 shown]
	ds_read_b128 v[6:9], v1 offset:1216
	s_clause 0x4
	buffer_load_dword v178, off, s[0:3], 0 offset:684
	buffer_load_dword v179, off, s[0:3], 0 offset:696
	buffer_load_dword v181, off, s[0:3], 0 offset:688
	buffer_load_dword v177, off, s[0:3], 0 offset:680
	buffer_load_dword v170, off, s[0:3], 0 offset:660
	s_waitcnt vmcnt(62) lgkmcnt(1)
	v_mul_f64 v[173:174], v[4:5], v[27:28]
	v_mul_f64 v[175:176], v[2:3], v[27:28]
	s_waitcnt vmcnt(60) lgkmcnt(0)
	v_mul_f64 v[182:183], v[8:9], v[31:32]
	ds_read_b128 v[27:30], v1 offset:1232
	v_mul_f64 v[31:32], v[6:7], v[31:32]
	s_waitcnt vmcnt(58)
	v_fma_f64 v[173:174], v[2:3], v[37:38], -v[173:174]
	v_fma_f64 v[37:38], v[4:5], v[37:38], v[175:176]
	s_clause 0x2
	buffer_load_dword v180, off, s[0:3], 0 offset:700
	buffer_load_dword v176, off, s[0:3], 0 offset:676
	;; [unrolled: 1-line block ×3, first 2 shown]
	s_waitcnt vmcnt(59) lgkmcnt(0)
	v_mul_f64 v[184:185], v[27:28], v[39:40]
	v_mul_f64 v[39:40], v[29:30], v[39:40]
	s_waitcnt vmcnt(57)
	v_fma_f64 v[186:187], v[6:7], v[41:42], -v[182:183]
	ds_read_b128 v[2:5], v1 offset:1248
	v_fma_f64 v[31:32], v[8:9], v[41:42], v[31:32]
	s_clause 0x4
	buffer_load_dword v42, off, s[0:3], 0 offset:716
	buffer_load_dword v183, off, s[0:3], 0 offset:728
	;; [unrolled: 1-line block ×5, first 2 shown]
	ds_read_b128 v[6:9], v1 offset:1264
	v_add_f64 v[173:174], v[173:174], 0
	v_add_f64 v[37:38], v[37:38], 0
	s_waitcnt vmcnt(58) lgkmcnt(1)
	v_mul_f64 v[189:190], v[2:3], v[43:44]
	v_mul_f64 v[43:44], v[4:5], v[43:44]
	s_waitcnt vmcnt(56)
	v_fma_f64 v[39:40], v[27:28], v[49:50], -v[39:40]
	v_fma_f64 v[49:50], v[29:30], v[49:50], v[184:185]
	v_add_f64 v[173:174], v[173:174], v[186:187]
	v_add_f64 v[31:32], v[37:38], v[31:32]
	s_clause 0x2
	buffer_load_dword v184, off, s[0:3], 0 offset:732
	buffer_load_dword v38, off, s[0:3], 0 offset:708
	;; [unrolled: 1-line block ×3, first 2 shown]
	s_waitcnt vmcnt(58) lgkmcnt(0)
	v_mul_f64 v[185:186], v[6:7], v[45:46]
	v_mul_f64 v[45:46], v[8:9], v[45:46]
	s_waitcnt vmcnt(56)
	v_fma_f64 v[43:44], v[2:3], v[51:52], -v[43:44]
	ds_read_b128 v[27:30], v1 offset:1280
	v_fma_f64 v[51:52], v[4:5], v[51:52], v[189:190]
	v_add_f64 v[39:40], v[173:174], v[39:40]
	v_add_f64 v[31:32], v[31:32], v[49:50]
	s_clause 0x4
	buffer_load_dword v50, off, s[0:3], 0 offset:748
	buffer_load_dword v173, off, s[0:3], 0 offset:760
	;; [unrolled: 1-line block ×5, first 2 shown]
	ds_read_b128 v[2:5], v1 offset:1296
	s_waitcnt vmcnt(57) lgkmcnt(1)
	v_mul_f64 v[191:192], v[27:28], v[53:54]
	v_mul_f64 v[53:54], v[29:30], v[53:54]
	s_waitcnt vmcnt(56)
	v_fma_f64 v[45:46], v[6:7], v[47:48], -v[45:46]
	v_add_f64 v[39:40], v[39:40], v[43:44]
	v_fma_f64 v[43:44], v[8:9], v[47:48], v[185:186]
	v_add_f64 v[31:32], v[31:32], v[51:52]
	s_clause 0x2
	buffer_load_dword v174, off, s[0:3], 0 offset:764
	buffer_load_dword v48, off, s[0:3], 0 offset:740
	;; [unrolled: 1-line block ×3, first 2 shown]
	s_waitcnt vmcnt(58) lgkmcnt(0)
	v_mul_f64 v[51:52], v[2:3], v[55:56]
	v_mul_f64 v[55:56], v[4:5], v[55:56]
	s_waitcnt vmcnt(56)
	v_fma_f64 v[53:54], v[27:28], v[59:60], -v[53:54]
	ds_read_b128 v[6:9], v1 offset:1312
	v_add_f64 v[39:40], v[39:40], v[45:46]
	v_fma_f64 v[45:46], v[29:30], v[59:60], v[191:192]
	v_add_f64 v[31:32], v[31:32], v[43:44]
	s_clause 0x4
	buffer_load_dword v44, off, s[0:3], 0 offset:780
	buffer_load_dword v59, off, s[0:3], 0 offset:792
	;; [unrolled: 1-line block ×5, first 2 shown]
	ds_read_b128 v[27:30], v1 offset:1328
	s_waitcnt vmcnt(57) lgkmcnt(1)
	v_mul_f64 v[186:187], v[6:7], v[61:62]
	v_mul_f64 v[61:62], v[8:9], v[61:62]
	s_waitcnt vmcnt(56)
	v_fma_f64 v[55:56], v[2:3], v[57:58], -v[55:56]
	v_fma_f64 v[51:52], v[4:5], v[57:58], v[51:52]
	v_add_f64 v[39:40], v[39:40], v[53:54]
	v_add_f64 v[31:32], v[31:32], v[45:46]
	s_clause 0x2
	buffer_load_dword v60, off, s[0:3], 0 offset:796
	buffer_load_dword v46, off, s[0:3], 0 offset:772
	;; [unrolled: 1-line block ×3, first 2 shown]
	s_waitcnt vmcnt(58) lgkmcnt(0)
	v_mul_f64 v[57:58], v[29:30], v[63:64]
	ds_read_b128 v[2:5], v1 offset:1344
	s_waitcnt vmcnt(56)
	v_fma_f64 v[61:62], v[6:7], v[71:72], -v[61:62]
	v_mul_f64 v[53:54], v[27:28], v[63:64]
	v_add_f64 v[39:40], v[39:40], v[55:56]
	v_fma_f64 v[55:56], v[8:9], v[71:72], v[186:187]
	v_add_f64 v[31:32], v[31:32], v[51:52]
	buffer_load_dword v186, off, s[0:3], 0 offset:788
	ds_read_b128 v[6:9], v1 offset:1360
	s_waitcnt vmcnt(53) lgkmcnt(1)
	v_mul_f64 v[63:64], v[4:5], v[73:74]
	s_waitcnt vmcnt(52)
	v_fma_f64 v[57:58], v[27:28], v[69:70], -v[57:58]
	v_mul_f64 v[51:52], v[2:3], v[73:74]
	v_fma_f64 v[53:54], v[29:30], v[69:70], v[53:54]
	ds_read_b128 v[27:30], v1 offset:1376
	v_add_f64 v[39:40], v[39:40], v[61:62]
	v_add_f64 v[31:32], v[31:32], v[55:56]
	s_waitcnt vmcnt(51) lgkmcnt(1)
	v_mul_f64 v[61:62], v[8:9], v[75:76]
	v_mul_f64 v[55:56], v[6:7], v[75:76]
	s_waitcnt vmcnt(49)
	v_fma_f64 v[63:64], v[2:3], v[83:84], -v[63:64]
	v_fma_f64 v[51:52], v[4:5], v[83:84], v[51:52]
	s_waitcnt vmcnt(45) lgkmcnt(0)
	v_mul_f64 v[71:72], v[29:30], v[85:86]
	v_mul_f64 v[69:70], v[27:28], v[85:86]
	v_add_f64 v[39:40], v[39:40], v[57:58]
	v_add_f64 v[31:32], v[31:32], v[53:54]
	s_clause 0x3
	buffer_load_dword v53, off, s[0:3], 0 offset:416
	buffer_load_dword v54, off, s[0:3], 0 offset:420
	;; [unrolled: 1-line block ×4, first 2 shown]
	s_waitcnt vmcnt(48)
	v_fma_f64 v[61:62], v[6:7], v[81:82], -v[61:62]
	ds_read_b128 v[2:5], v1 offset:1392
	v_fma_f64 v[55:56], v[8:9], v[81:82], v[55:56]
	ds_read_b128 v[6:9], v1 offset:1408
	s_waitcnt vmcnt(45)
	v_fma_f64 v[71:72], v[27:28], v[163:164], -v[71:72]
	v_add_f64 v[39:40], v[39:40], v[63:64]
	v_add_f64 v[31:32], v[31:32], v[51:52]
	s_waitcnt lgkmcnt(1)
	v_mul_f64 v[63:64], v[4:5], v[87:88]
	v_mul_f64 v[51:52], v[2:3], v[87:88]
	v_add_f64 v[39:40], v[39:40], v[61:62]
	v_fma_f64 v[61:62], v[29:30], v[163:164], v[69:70]
	v_add_f64 v[31:32], v[31:32], v[55:56]
	s_waitcnt vmcnt(41) lgkmcnt(0)
	v_mul_f64 v[69:70], v[8:9], v[165:166]
	s_waitcnt vmcnt(40)
	v_fma_f64 v[63:64], v[2:3], v[161:162], -v[63:64]
	ds_read_b128 v[27:30], v1 offset:1424
	v_mul_f64 v[55:56], v[6:7], v[165:166]
	v_fma_f64 v[51:52], v[4:5], v[161:162], v[51:52]
	ds_read_b128 v[2:5], v1 offset:1440
	v_add_f64 v[39:40], v[39:40], v[71:72]
	v_add_f64 v[31:32], v[31:32], v[61:62]
	s_waitcnt vmcnt(39) lgkmcnt(1)
	v_mul_f64 v[71:72], v[29:30], v[167:168]
	s_waitcnt vmcnt(37)
	v_fma_f64 v[69:70], v[6:7], v[171:172], -v[69:70]
	v_mul_f64 v[61:62], v[27:28], v[167:168]
	v_fma_f64 v[55:56], v[8:9], v[171:172], v[55:56]
	ds_read_b128 v[6:9], v1 offset:1456
	v_add_f64 v[39:40], v[39:40], v[63:64]
	s_waitcnt vmcnt(33) lgkmcnt(1)
	v_mul_f64 v[63:64], v[4:5], v[177:178]
	v_add_f64 v[31:32], v[31:32], v[51:52]
	s_waitcnt vmcnt(32)
	v_fma_f64 v[71:72], v[27:28], v[169:170], -v[71:72]
	v_mul_f64 v[51:52], v[2:3], v[177:178]
	v_fma_f64 v[61:62], v[29:30], v[169:170], v[61:62]
	ds_read_b128 v[27:30], v1 offset:1472
	v_add_f64 v[39:40], v[39:40], v[69:70]
	v_add_f64 v[31:32], v[31:32], v[55:56]
	s_waitcnt vmcnt(31) lgkmcnt(1)
	v_mul_f64 v[69:70], v[8:9], v[179:180]
	v_mul_f64 v[55:56], v[6:7], v[179:180]
	s_waitcnt vmcnt(29)
	v_fma_f64 v[63:64], v[2:3], v[175:176], -v[63:64]
	v_fma_f64 v[51:52], v[4:5], v[175:176], v[51:52]
	ds_read_b128 v[2:5], v1 offset:1488
	v_add_f64 v[39:40], v[39:40], v[71:72]
	v_add_f64 v[31:32], v[31:32], v[61:62]
	s_waitcnt vmcnt(25) lgkmcnt(1)
	v_mul_f64 v[61:62], v[27:28], v[41:42]
	v_mul_f64 v[41:42], v[29:30], v[41:42]
	s_waitcnt vmcnt(24)
	v_fma_f64 v[69:70], v[6:7], v[181:182], -v[69:70]
	;; [unrolled: 9-line block ×4, first 2 shown]
	v_add_f64 v[39:40], v[39:40], v[41:42]
	v_fma_f64 v[41:42], v[4:5], v[188:189], v[51:52]
	v_add_f64 v[31:32], v[31:32], v[37:38]
	ds_read_b128 v[2:5], v1 offset:1536
	s_waitcnt vmcnt(15) lgkmcnt(1)
	v_mul_f64 v[51:52], v[29:30], v[173:174]
	v_mul_f64 v[37:38], v[27:28], v[173:174]
	s_waitcnt vmcnt(13)
	v_fma_f64 v[49:50], v[6:7], v[47:48], -v[49:50]
	v_fma_f64 v[47:48], v[8:9], v[47:48], v[55:56]
	ds_read_b128 v[6:9], v1 offset:1552
	v_add_f64 v[39:40], v[39:40], v[61:62]
	v_add_f64 v[31:32], v[31:32], v[41:42]
	s_waitcnt vmcnt(9) lgkmcnt(1)
	v_mul_f64 v[41:42], v[2:3], v[43:44]
	v_mul_f64 v[43:44], v[4:5], v[43:44]
	s_waitcnt vmcnt(8)
	v_fma_f64 v[27:28], v[27:28], v[190:191], -v[51:52]
	v_fma_f64 v[29:30], v[29:30], v[190:191], v[37:38]
	v_add_f64 v[39:40], v[39:40], v[49:50]
	v_add_f64 v[31:32], v[31:32], v[47:48]
	s_waitcnt vmcnt(7) lgkmcnt(0)
	v_mul_f64 v[47:48], v[8:9], v[59:60]
	v_mul_f64 v[37:38], v[6:7], v[59:60]
	s_waitcnt vmcnt(5)
	v_fma_f64 v[2:3], v[2:3], v[45:46], -v[43:44]
	v_fma_f64 v[4:5], v[4:5], v[45:46], v[41:42]
	v_add_f64 v[27:28], v[39:40], v[27:28]
	v_add_f64 v[29:30], v[31:32], v[29:30]
	s_waitcnt vmcnt(4)
	v_fma_f64 v[6:7], v[6:7], v[185:186], -v[47:48]
	v_fma_f64 v[8:9], v[8:9], v[185:186], v[37:38]
	v_add_f64 v[2:3], v[27:28], v[2:3]
	v_add_f64 v[4:5], v[29:30], v[4:5]
	;; [unrolled: 1-line block ×4, first 2 shown]
	s_waitcnt vmcnt(2)
	v_add_f64 v[2:3], v[53:54], -v[2:3]
	s_waitcnt vmcnt(0)
	v_add_f64 v[4:5], v[57:58], -v[4:5]
	buffer_store_dword v3, off, s[0:3], 0 offset:420
	buffer_store_dword v2, off, s[0:3], 0 offset:416
	;; [unrolled: 1-line block ×4, first 2 shown]
	v_cmpx_lt_u32_e32 24, v0
	s_cbranch_execz .LBB48_259
; %bb.258:
	v_mov_b32_e32 v5, s37
	s_clause 0x3
	buffer_load_dword v2, v5, s[0:3], 0 offen
	buffer_load_dword v3, v5, s[0:3], 0 offen offset:4
	buffer_load_dword v4, v5, s[0:3], 0 offen offset:8
	;; [unrolled: 1-line block ×3, first 2 shown]
	buffer_store_dword v1, off, s[0:3], 0 offset:400
	buffer_store_dword v1, off, s[0:3], 0 offset:404
	;; [unrolled: 1-line block ×4, first 2 shown]
	s_waitcnt vmcnt(0)
	ds_write_b128 v11, v[2:5]
.LBB48_259:
	s_or_b32 exec_lo, exec_lo, s4
	s_waitcnt lgkmcnt(0)
	s_waitcnt_vscnt null, 0x0
	s_barrier
	buffer_gl0_inv
	s_clause 0x37
	buffer_load_dword v27, off, s[0:3], 0 offset:424
	buffer_load_dword v28, off, s[0:3], 0 offset:428
	buffer_load_dword v31, off, s[0:3], 0 offset:440
	buffer_load_dword v32, off, s[0:3], 0 offset:444
	buffer_load_dword v37, off, s[0:3], 0 offset:416
	buffer_load_dword v38, off, s[0:3], 0 offset:420
	buffer_load_dword v39, off, s[0:3], 0 offset:456
	buffer_load_dword v40, off, s[0:3], 0 offset:460
	buffer_load_dword v41, off, s[0:3], 0 offset:432
	buffer_load_dword v42, off, s[0:3], 0 offset:436
	buffer_load_dword v44, off, s[0:3], 0 offset:476
	buffer_load_dword v45, off, s[0:3], 0 offset:488
	buffer_load_dword v47, off, s[0:3], 0 offset:480
	buffer_load_dword v43, off, s[0:3], 0 offset:472
	buffer_load_dword v49, off, s[0:3], 0 offset:448
	buffer_load_dword v50, off, s[0:3], 0 offset:452
	buffer_load_dword v46, off, s[0:3], 0 offset:492
	buffer_load_dword v52, off, s[0:3], 0 offset:468
	buffer_load_dword v51, off, s[0:3], 0 offset:464
	buffer_load_dword v54, off, s[0:3], 0 offset:508
	buffer_load_dword v55, off, s[0:3], 0 offset:520
	buffer_load_dword v57, off, s[0:3], 0 offset:512
	buffer_load_dword v53, off, s[0:3], 0 offset:504
	buffer_load_dword v48, off, s[0:3], 0 offset:484
	buffer_load_dword v56, off, s[0:3], 0 offset:524
	buffer_load_dword v60, off, s[0:3], 0 offset:500
	buffer_load_dword v59, off, s[0:3], 0 offset:496
	buffer_load_dword v62, off, s[0:3], 0 offset:540
	buffer_load_dword v63, off, s[0:3], 0 offset:552
	buffer_load_dword v69, off, s[0:3], 0 offset:544
	buffer_load_dword v61, off, s[0:3], 0 offset:536
	buffer_load_dword v58, off, s[0:3], 0 offset:516
	buffer_load_dword v64, off, s[0:3], 0 offset:556
	buffer_load_dword v72, off, s[0:3], 0 offset:532
	buffer_load_dword v71, off, s[0:3], 0 offset:528
	buffer_load_dword v74, off, s[0:3], 0 offset:572
	buffer_load_dword v75, off, s[0:3], 0 offset:584
	buffer_load_dword v81, off, s[0:3], 0 offset:576
	buffer_load_dword v73, off, s[0:3], 0 offset:568
	buffer_load_dword v70, off, s[0:3], 0 offset:548
	buffer_load_dword v76, off, s[0:3], 0 offset:588
	buffer_load_dword v84, off, s[0:3], 0 offset:564
	buffer_load_dword v83, off, s[0:3], 0 offset:560
	buffer_load_dword v86, off, s[0:3], 0 offset:604
	buffer_load_dword v87, off, s[0:3], 0 offset:616
	buffer_load_dword v161, off, s[0:3], 0 offset:608
	buffer_load_dword v85, off, s[0:3], 0 offset:600
	buffer_load_dword v82, off, s[0:3], 0 offset:580
	buffer_load_dword v88, off, s[0:3], 0 offset:620
	buffer_load_dword v164, off, s[0:3], 0 offset:596
	buffer_load_dword v163, off, s[0:3], 0 offset:592
	buffer_load_dword v166, off, s[0:3], 0 offset:636
	buffer_load_dword v167, off, s[0:3], 0 offset:648
	buffer_load_dword v169, off, s[0:3], 0 offset:640
	buffer_load_dword v165, off, s[0:3], 0 offset:632
	buffer_load_dword v162, off, s[0:3], 0 offset:612
	ds_read_b128 v[2:5], v1 offset:1184
	s_clause 0x2
	buffer_load_dword v168, off, s[0:3], 0 offset:652
	buffer_load_dword v172, off, s[0:3], 0 offset:628
	;; [unrolled: 1-line block ×3, first 2 shown]
	ds_read_b128 v[6:9], v1 offset:1200
	s_clause 0x4
	buffer_load_dword v178, off, s[0:3], 0 offset:668
	buffer_load_dword v179, off, s[0:3], 0 offset:680
	buffer_load_dword v181, off, s[0:3], 0 offset:672
	buffer_load_dword v177, off, s[0:3], 0 offset:664
	buffer_load_dword v170, off, s[0:3], 0 offset:644
	s_mov_b32 s4, exec_lo
	s_waitcnt vmcnt(62) lgkmcnt(1)
	v_mul_f64 v[173:174], v[4:5], v[27:28]
	v_mul_f64 v[175:176], v[2:3], v[27:28]
	s_waitcnt vmcnt(60) lgkmcnt(0)
	v_mul_f64 v[182:183], v[8:9], v[31:32]
	ds_read_b128 v[27:30], v1 offset:1216
	v_mul_f64 v[31:32], v[6:7], v[31:32]
	s_waitcnt vmcnt(58)
	v_fma_f64 v[173:174], v[2:3], v[37:38], -v[173:174]
	v_fma_f64 v[37:38], v[4:5], v[37:38], v[175:176]
	s_clause 0x2
	buffer_load_dword v180, off, s[0:3], 0 offset:684
	buffer_load_dword v176, off, s[0:3], 0 offset:660
	;; [unrolled: 1-line block ×3, first 2 shown]
	s_waitcnt vmcnt(59) lgkmcnt(0)
	v_mul_f64 v[184:185], v[27:28], v[39:40]
	v_mul_f64 v[39:40], v[29:30], v[39:40]
	s_waitcnt vmcnt(57)
	v_fma_f64 v[186:187], v[6:7], v[41:42], -v[182:183]
	ds_read_b128 v[2:5], v1 offset:1232
	v_fma_f64 v[31:32], v[8:9], v[41:42], v[31:32]
	s_clause 0x4
	buffer_load_dword v42, off, s[0:3], 0 offset:700
	buffer_load_dword v183, off, s[0:3], 0 offset:712
	;; [unrolled: 1-line block ×5, first 2 shown]
	ds_read_b128 v[6:9], v1 offset:1248
	v_add_f64 v[173:174], v[173:174], 0
	v_add_f64 v[37:38], v[37:38], 0
	s_waitcnt vmcnt(58) lgkmcnt(1)
	v_mul_f64 v[189:190], v[2:3], v[43:44]
	v_mul_f64 v[43:44], v[4:5], v[43:44]
	s_waitcnt vmcnt(56)
	v_fma_f64 v[39:40], v[27:28], v[49:50], -v[39:40]
	v_fma_f64 v[49:50], v[29:30], v[49:50], v[184:185]
	v_add_f64 v[173:174], v[173:174], v[186:187]
	v_add_f64 v[31:32], v[37:38], v[31:32]
	s_clause 0x2
	buffer_load_dword v184, off, s[0:3], 0 offset:716
	buffer_load_dword v38, off, s[0:3], 0 offset:692
	buffer_load_dword v37, off, s[0:3], 0 offset:688
	s_waitcnt vmcnt(58) lgkmcnt(0)
	v_mul_f64 v[185:186], v[6:7], v[45:46]
	v_mul_f64 v[45:46], v[8:9], v[45:46]
	s_waitcnt vmcnt(56)
	v_fma_f64 v[43:44], v[2:3], v[51:52], -v[43:44]
	ds_read_b128 v[27:30], v1 offset:1264
	v_fma_f64 v[51:52], v[4:5], v[51:52], v[189:190]
	v_add_f64 v[39:40], v[173:174], v[39:40]
	v_add_f64 v[31:32], v[31:32], v[49:50]
	s_clause 0x4
	buffer_load_dword v50, off, s[0:3], 0 offset:732
	buffer_load_dword v173, off, s[0:3], 0 offset:744
	;; [unrolled: 1-line block ×5, first 2 shown]
	ds_read_b128 v[2:5], v1 offset:1280
	s_waitcnt vmcnt(57) lgkmcnt(1)
	v_mul_f64 v[191:192], v[27:28], v[53:54]
	v_mul_f64 v[53:54], v[29:30], v[53:54]
	s_waitcnt vmcnt(56)
	v_fma_f64 v[45:46], v[6:7], v[47:48], -v[45:46]
	v_add_f64 v[39:40], v[39:40], v[43:44]
	v_fma_f64 v[43:44], v[8:9], v[47:48], v[185:186]
	v_add_f64 v[31:32], v[31:32], v[51:52]
	s_clause 0x2
	buffer_load_dword v174, off, s[0:3], 0 offset:748
	buffer_load_dword v48, off, s[0:3], 0 offset:724
	;; [unrolled: 1-line block ×3, first 2 shown]
	s_waitcnt vmcnt(58) lgkmcnt(0)
	v_mul_f64 v[51:52], v[2:3], v[55:56]
	v_mul_f64 v[55:56], v[4:5], v[55:56]
	s_waitcnt vmcnt(56)
	v_fma_f64 v[53:54], v[27:28], v[59:60], -v[53:54]
	ds_read_b128 v[6:9], v1 offset:1296
	v_add_f64 v[39:40], v[39:40], v[45:46]
	v_fma_f64 v[45:46], v[29:30], v[59:60], v[191:192]
	v_add_f64 v[31:32], v[31:32], v[43:44]
	s_clause 0x4
	buffer_load_dword v44, off, s[0:3], 0 offset:764
	buffer_load_dword v59, off, s[0:3], 0 offset:776
	;; [unrolled: 1-line block ×5, first 2 shown]
	ds_read_b128 v[27:30], v1 offset:1312
	s_waitcnt vmcnt(57) lgkmcnt(1)
	v_mul_f64 v[186:187], v[6:7], v[61:62]
	v_mul_f64 v[61:62], v[8:9], v[61:62]
	s_waitcnt vmcnt(56)
	v_fma_f64 v[55:56], v[2:3], v[57:58], -v[55:56]
	v_fma_f64 v[51:52], v[4:5], v[57:58], v[51:52]
	v_add_f64 v[39:40], v[39:40], v[53:54]
	v_add_f64 v[31:32], v[31:32], v[45:46]
	s_clause 0x2
	buffer_load_dword v60, off, s[0:3], 0 offset:780
	buffer_load_dword v46, off, s[0:3], 0 offset:756
	;; [unrolled: 1-line block ×3, first 2 shown]
	s_waitcnt vmcnt(58) lgkmcnt(0)
	v_mul_f64 v[57:58], v[29:30], v[63:64]
	ds_read_b128 v[2:5], v1 offset:1328
	s_waitcnt vmcnt(56)
	v_fma_f64 v[61:62], v[6:7], v[71:72], -v[61:62]
	v_mul_f64 v[53:54], v[27:28], v[63:64]
	v_add_f64 v[39:40], v[39:40], v[55:56]
	v_fma_f64 v[55:56], v[8:9], v[71:72], v[186:187]
	v_add_f64 v[31:32], v[31:32], v[51:52]
	s_clause 0x2
	buffer_load_dword v52, off, s[0:3], 0 offset:796
	buffer_load_dword v51, off, s[0:3], 0 offset:792
	;; [unrolled: 1-line block ×3, first 2 shown]
	s_waitcnt vmcnt(55) lgkmcnt(0)
	v_mul_f64 v[71:72], v[4:5], v[73:74]
	s_waitcnt vmcnt(54)
	v_fma_f64 v[57:58], v[27:28], v[69:70], -v[57:58]
	ds_read_b128 v[6:9], v1 offset:1344
	v_mul_f64 v[63:64], v[2:3], v[73:74]
	v_fma_f64 v[53:54], v[29:30], v[69:70], v[53:54]
	v_add_f64 v[39:40], v[39:40], v[61:62]
	v_add_f64 v[31:32], v[31:32], v[55:56]
	s_clause 0x1
	buffer_load_dword v56, off, s[0:3], 0 offset:788
	buffer_load_dword v55, off, s[0:3], 0 offset:784
	s_waitcnt vmcnt(55) lgkmcnt(0)
	v_mul_f64 v[69:70], v[8:9], v[75:76]
	s_waitcnt vmcnt(53)
	v_fma_f64 v[71:72], v[2:3], v[83:84], -v[71:72]
	ds_read_b128 v[27:30], v1 offset:1360
	v_mul_f64 v[61:62], v[6:7], v[75:76]
	v_add_f64 v[39:40], v[39:40], v[57:58]
	v_fma_f64 v[57:58], v[4:5], v[83:84], v[63:64]
	v_add_f64 v[31:32], v[31:32], v[53:54]
	ds_read_b128 v[2:5], v1 offset:1376
	s_waitcnt vmcnt(49) lgkmcnt(1)
	v_mul_f64 v[63:64], v[29:30], v[85:86]
	s_waitcnt vmcnt(48)
	v_fma_f64 v[69:70], v[6:7], v[81:82], -v[69:70]
	v_mul_f64 v[53:54], v[27:28], v[85:86]
	v_fma_f64 v[61:62], v[8:9], v[81:82], v[61:62]
	v_add_f64 v[39:40], v[39:40], v[71:72]
	s_waitcnt vmcnt(47) lgkmcnt(0)
	v_mul_f64 v[75:76], v[4:5], v[87:88]
	v_add_f64 v[31:32], v[31:32], v[57:58]
	s_clause 0x3
	buffer_load_dword v57, off, s[0:3], 0 offset:400
	buffer_load_dword v58, off, s[0:3], 0 offset:404
	;; [unrolled: 1-line block ×4, first 2 shown]
	s_waitcnt vmcnt(49)
	v_fma_f64 v[63:64], v[27:28], v[163:164], -v[63:64]
	ds_read_b128 v[6:9], v1 offset:1392
	v_mul_f64 v[73:74], v[2:3], v[87:88]
	v_fma_f64 v[53:54], v[29:30], v[163:164], v[53:54]
	ds_read_b128 v[27:30], v1 offset:1408
	v_add_f64 v[39:40], v[39:40], v[69:70]
	s_waitcnt vmcnt(44)
	v_fma_f64 v[75:76], v[2:3], v[161:162], -v[75:76]
	v_add_f64 v[31:32], v[31:32], v[61:62]
	s_waitcnt lgkmcnt(1)
	v_mul_f64 v[69:70], v[8:9], v[165:166]
	v_mul_f64 v[61:62], v[6:7], v[165:166]
	v_add_f64 v[39:40], v[39:40], v[63:64]
	v_fma_f64 v[63:64], v[4:5], v[161:162], v[73:74]
	v_add_f64 v[31:32], v[31:32], v[53:54]
	s_waitcnt vmcnt(43) lgkmcnt(0)
	v_mul_f64 v[73:74], v[29:30], v[167:168]
	s_waitcnt vmcnt(41)
	v_fma_f64 v[69:70], v[6:7], v[171:172], -v[69:70]
	ds_read_b128 v[2:5], v1 offset:1424
	v_mul_f64 v[53:54], v[27:28], v[167:168]
	v_fma_f64 v[61:62], v[8:9], v[171:172], v[61:62]
	ds_read_b128 v[6:9], v1 offset:1440
	v_add_f64 v[39:40], v[39:40], v[75:76]
	v_add_f64 v[31:32], v[31:32], v[63:64]
	s_waitcnt vmcnt(37) lgkmcnt(1)
	v_mul_f64 v[75:76], v[4:5], v[177:178]
	s_waitcnt vmcnt(36)
	v_fma_f64 v[73:74], v[27:28], v[169:170], -v[73:74]
	v_mul_f64 v[63:64], v[2:3], v[177:178]
	v_fma_f64 v[53:54], v[29:30], v[169:170], v[53:54]
	ds_read_b128 v[27:30], v1 offset:1456
	v_add_f64 v[39:40], v[39:40], v[69:70]
	v_add_f64 v[31:32], v[31:32], v[61:62]
	s_waitcnt vmcnt(35) lgkmcnt(1)
	v_mul_f64 v[69:70], v[8:9], v[179:180]
	v_mul_f64 v[61:62], v[6:7], v[179:180]
	s_waitcnt vmcnt(33)
	v_fma_f64 v[75:76], v[2:3], v[175:176], -v[75:76]
	v_fma_f64 v[63:64], v[4:5], v[175:176], v[63:64]
	ds_read_b128 v[2:5], v1 offset:1472
	v_add_f64 v[39:40], v[39:40], v[73:74]
	v_add_f64 v[31:32], v[31:32], v[53:54]
	s_waitcnt vmcnt(29) lgkmcnt(1)
	v_mul_f64 v[53:54], v[27:28], v[41:42]
	v_mul_f64 v[41:42], v[29:30], v[41:42]
	s_waitcnt vmcnt(28)
	v_fma_f64 v[69:70], v[6:7], v[181:182], -v[69:70]
	;; [unrolled: 9-line block ×4, first 2 shown]
	v_add_f64 v[39:40], v[39:40], v[41:42]
	v_fma_f64 v[41:42], v[4:5], v[188:189], v[63:64]
	v_add_f64 v[31:32], v[31:32], v[37:38]
	ds_read_b128 v[2:5], v1 offset:1520
	s_waitcnt vmcnt(19) lgkmcnt(1)
	v_mul_f64 v[63:64], v[29:30], v[173:174]
	v_mul_f64 v[37:38], v[27:28], v[173:174]
	s_waitcnt vmcnt(17)
	v_fma_f64 v[49:50], v[6:7], v[47:48], -v[49:50]
	v_fma_f64 v[47:48], v[8:9], v[47:48], v[53:54]
	ds_read_b128 v[6:9], v1 offset:1536
	v_add_f64 v[39:40], v[39:40], v[61:62]
	v_add_f64 v[31:32], v[31:32], v[41:42]
	s_waitcnt vmcnt(13) lgkmcnt(1)
	v_mul_f64 v[41:42], v[2:3], v[43:44]
	v_mul_f64 v[43:44], v[4:5], v[43:44]
	s_waitcnt vmcnt(12)
	v_fma_f64 v[53:54], v[27:28], v[190:191], -v[63:64]
	v_fma_f64 v[37:38], v[29:30], v[190:191], v[37:38]
	ds_read_b128 v[27:30], v1 offset:1552
	v_add_f64 v[39:40], v[39:40], v[49:50]
	v_add_f64 v[31:32], v[31:32], v[47:48]
	s_waitcnt vmcnt(11) lgkmcnt(1)
	v_mul_f64 v[49:50], v[8:9], v[59:60]
	v_mul_f64 v[47:48], v[6:7], v[59:60]
	s_waitcnt vmcnt(9)
	v_fma_f64 v[1:2], v[2:3], v[45:46], -v[43:44]
	v_fma_f64 v[3:4], v[4:5], v[45:46], v[41:42]
	v_add_f64 v[39:40], v[39:40], v[53:54]
	v_add_f64 v[31:32], v[31:32], v[37:38]
	s_waitcnt vmcnt(7) lgkmcnt(0)
	v_mul_f64 v[41:42], v[29:30], v[51:52]
	s_waitcnt vmcnt(6)
	v_fma_f64 v[5:6], v[6:7], v[185:186], -v[49:50]
	v_mul_f64 v[37:38], v[27:28], v[51:52]
	v_fma_f64 v[7:8], v[8:9], v[185:186], v[47:48]
	v_add_f64 v[1:2], v[39:40], v[1:2]
	v_add_f64 v[3:4], v[31:32], v[3:4]
	s_waitcnt vmcnt(4)
	v_fma_f64 v[9:10], v[27:28], v[55:56], -v[41:42]
	v_add_f64 v[1:2], v[1:2], v[5:6]
	v_fma_f64 v[5:6], v[29:30], v[55:56], v[37:38]
	v_add_f64 v[3:4], v[3:4], v[7:8]
	v_add_f64 v[1:2], v[1:2], v[9:10]
	;; [unrolled: 1-line block ×3, first 2 shown]
	s_waitcnt vmcnt(2)
	v_add_f64 v[1:2], v[57:58], -v[1:2]
	s_waitcnt vmcnt(0)
	v_add_f64 v[3:4], v[71:72], -v[3:4]
	buffer_store_dword v2, off, s[0:3], 0 offset:404
	buffer_store_dword v1, off, s[0:3], 0 offset:400
	;; [unrolled: 1-line block ×4, first 2 shown]
	v_cmpx_lt_u32_e32 23, v0
	s_cbranch_execz .LBB48_261
; %bb.260:
	v_mov_b32_e32 v4, s38
	v_mov_b32_e32 v5, 0
	s_clause 0x3
	buffer_load_dword v1, v4, s[0:3], 0 offen
	buffer_load_dword v2, v4, s[0:3], 0 offen offset:4
	buffer_load_dword v3, v4, s[0:3], 0 offen offset:8
	;; [unrolled: 1-line block ×3, first 2 shown]
	buffer_store_dword v5, off, s[0:3], 0 offset:384
	buffer_store_dword v5, off, s[0:3], 0 offset:388
	;; [unrolled: 1-line block ×4, first 2 shown]
	s_waitcnt vmcnt(0)
	ds_write_b128 v11, v[1:4]
.LBB48_261:
	s_or_b32 exec_lo, exec_lo, s4
	s_waitcnt lgkmcnt(0)
	s_waitcnt_vscnt null, 0x0
	s_barrier
	buffer_gl0_inv
	s_clause 0x37
	buffer_load_dword v27, off, s[0:3], 0 offset:408
	buffer_load_dword v28, off, s[0:3], 0 offset:412
	;; [unrolled: 1-line block ×56, first 2 shown]
	v_mov_b32_e32 v1, 0
	s_mov_b32 s4, exec_lo
	ds_read_b128 v[2:5], v1 offset:1168
	s_clause 0x2
	buffer_load_dword v168, off, s[0:3], 0 offset:636
	buffer_load_dword v172, off, s[0:3], 0 offset:612
	;; [unrolled: 1-line block ×3, first 2 shown]
	ds_read_b128 v[6:9], v1 offset:1184
	s_clause 0x4
	buffer_load_dword v178, off, s[0:3], 0 offset:652
	buffer_load_dword v179, off, s[0:3], 0 offset:664
	;; [unrolled: 1-line block ×5, first 2 shown]
	s_waitcnt vmcnt(62) lgkmcnt(1)
	v_mul_f64 v[173:174], v[4:5], v[27:28]
	v_mul_f64 v[175:176], v[2:3], v[27:28]
	s_waitcnt vmcnt(60) lgkmcnt(0)
	v_mul_f64 v[182:183], v[8:9], v[31:32]
	ds_read_b128 v[27:30], v1 offset:1200
	v_mul_f64 v[31:32], v[6:7], v[31:32]
	s_waitcnt vmcnt(58)
	v_fma_f64 v[173:174], v[2:3], v[37:38], -v[173:174]
	v_fma_f64 v[37:38], v[4:5], v[37:38], v[175:176]
	s_clause 0x2
	buffer_load_dword v180, off, s[0:3], 0 offset:668
	buffer_load_dword v176, off, s[0:3], 0 offset:644
	;; [unrolled: 1-line block ×3, first 2 shown]
	s_waitcnt vmcnt(59) lgkmcnt(0)
	v_mul_f64 v[184:185], v[27:28], v[39:40]
	v_mul_f64 v[39:40], v[29:30], v[39:40]
	s_waitcnt vmcnt(57)
	v_fma_f64 v[186:187], v[6:7], v[41:42], -v[182:183]
	ds_read_b128 v[2:5], v1 offset:1216
	v_fma_f64 v[31:32], v[8:9], v[41:42], v[31:32]
	s_clause 0x4
	buffer_load_dword v42, off, s[0:3], 0 offset:684
	buffer_load_dword v183, off, s[0:3], 0 offset:696
	;; [unrolled: 1-line block ×5, first 2 shown]
	ds_read_b128 v[6:9], v1 offset:1232
	v_add_f64 v[173:174], v[173:174], 0
	v_add_f64 v[37:38], v[37:38], 0
	s_waitcnt vmcnt(58) lgkmcnt(1)
	v_mul_f64 v[189:190], v[2:3], v[43:44]
	v_mul_f64 v[43:44], v[4:5], v[43:44]
	s_waitcnt vmcnt(56)
	v_fma_f64 v[39:40], v[27:28], v[49:50], -v[39:40]
	v_fma_f64 v[49:50], v[29:30], v[49:50], v[184:185]
	v_add_f64 v[173:174], v[173:174], v[186:187]
	v_add_f64 v[31:32], v[37:38], v[31:32]
	s_clause 0x2
	buffer_load_dword v184, off, s[0:3], 0 offset:700
	buffer_load_dword v38, off, s[0:3], 0 offset:676
	;; [unrolled: 1-line block ×3, first 2 shown]
	s_waitcnt vmcnt(58) lgkmcnt(0)
	v_mul_f64 v[185:186], v[6:7], v[45:46]
	v_mul_f64 v[45:46], v[8:9], v[45:46]
	s_waitcnt vmcnt(56)
	v_fma_f64 v[43:44], v[2:3], v[51:52], -v[43:44]
	ds_read_b128 v[27:30], v1 offset:1248
	v_fma_f64 v[51:52], v[4:5], v[51:52], v[189:190]
	v_add_f64 v[39:40], v[173:174], v[39:40]
	v_add_f64 v[31:32], v[31:32], v[49:50]
	s_clause 0x4
	buffer_load_dword v50, off, s[0:3], 0 offset:716
	buffer_load_dword v173, off, s[0:3], 0 offset:728
	;; [unrolled: 1-line block ×5, first 2 shown]
	ds_read_b128 v[2:5], v1 offset:1264
	s_waitcnt vmcnt(57) lgkmcnt(1)
	v_mul_f64 v[191:192], v[27:28], v[53:54]
	v_mul_f64 v[53:54], v[29:30], v[53:54]
	s_waitcnt vmcnt(56)
	v_fma_f64 v[45:46], v[6:7], v[47:48], -v[45:46]
	v_add_f64 v[39:40], v[39:40], v[43:44]
	v_fma_f64 v[43:44], v[8:9], v[47:48], v[185:186]
	v_add_f64 v[31:32], v[31:32], v[51:52]
	s_clause 0x2
	buffer_load_dword v174, off, s[0:3], 0 offset:732
	buffer_load_dword v48, off, s[0:3], 0 offset:708
	;; [unrolled: 1-line block ×3, first 2 shown]
	s_waitcnt vmcnt(58) lgkmcnt(0)
	v_mul_f64 v[51:52], v[2:3], v[55:56]
	v_mul_f64 v[55:56], v[4:5], v[55:56]
	s_waitcnt vmcnt(56)
	v_fma_f64 v[53:54], v[27:28], v[59:60], -v[53:54]
	ds_read_b128 v[6:9], v1 offset:1280
	v_add_f64 v[39:40], v[39:40], v[45:46]
	v_fma_f64 v[45:46], v[29:30], v[59:60], v[191:192]
	v_add_f64 v[31:32], v[31:32], v[43:44]
	s_clause 0x4
	buffer_load_dword v44, off, s[0:3], 0 offset:748
	buffer_load_dword v59, off, s[0:3], 0 offset:760
	;; [unrolled: 1-line block ×5, first 2 shown]
	ds_read_b128 v[27:30], v1 offset:1296
	s_waitcnt vmcnt(57) lgkmcnt(1)
	v_mul_f64 v[186:187], v[6:7], v[61:62]
	v_mul_f64 v[61:62], v[8:9], v[61:62]
	s_waitcnt vmcnt(56)
	v_fma_f64 v[55:56], v[2:3], v[57:58], -v[55:56]
	v_fma_f64 v[51:52], v[4:5], v[57:58], v[51:52]
	v_add_f64 v[39:40], v[39:40], v[53:54]
	v_add_f64 v[31:32], v[31:32], v[45:46]
	s_clause 0x2
	buffer_load_dword v60, off, s[0:3], 0 offset:764
	buffer_load_dword v46, off, s[0:3], 0 offset:740
	buffer_load_dword v45, off, s[0:3], 0 offset:736
	s_waitcnt vmcnt(58) lgkmcnt(0)
	v_mul_f64 v[57:58], v[29:30], v[63:64]
	ds_read_b128 v[2:5], v1 offset:1312
	s_waitcnt vmcnt(56)
	v_fma_f64 v[61:62], v[6:7], v[71:72], -v[61:62]
	v_mul_f64 v[53:54], v[27:28], v[63:64]
	v_add_f64 v[39:40], v[39:40], v[55:56]
	v_fma_f64 v[55:56], v[8:9], v[71:72], v[186:187]
	v_add_f64 v[31:32], v[31:32], v[51:52]
	s_clause 0x4
	buffer_load_dword v52, off, s[0:3], 0 offset:780
	buffer_load_dword v63, off, s[0:3], 0 offset:792
	;; [unrolled: 1-line block ×5, first 2 shown]
	s_waitcnt vmcnt(57) lgkmcnt(0)
	v_mul_f64 v[192:193], v[2:3], v[73:74]
	v_mul_f64 v[72:73], v[4:5], v[73:74]
	s_waitcnt vmcnt(56)
	v_fma_f64 v[57:58], v[27:28], v[69:70], -v[57:58]
	ds_read_b128 v[6:9], v1 offset:1328
	v_fma_f64 v[53:54], v[29:30], v[69:70], v[53:54]
	v_add_f64 v[39:40], v[39:40], v[61:62]
	v_add_f64 v[31:32], v[31:32], v[55:56]
	s_clause 0x2
	buffer_load_dword v64, off, s[0:3], 0 offset:796
	buffer_load_dword v56, off, s[0:3], 0 offset:772
	;; [unrolled: 1-line block ×3, first 2 shown]
	ds_read_b128 v[27:30], v1 offset:1344
	s_waitcnt vmcnt(58) lgkmcnt(1)
	v_mul_f64 v[69:70], v[8:9], v[75:76]
	s_waitcnt vmcnt(56)
	v_fma_f64 v[73:74], v[2:3], v[83:84], -v[72:73]
	v_mul_f64 v[61:62], v[6:7], v[75:76]
	buffer_load_dword v72, off, s[0:3], 0 offset:788
	v_add_f64 v[39:40], v[39:40], v[57:58]
	v_fma_f64 v[57:58], v[4:5], v[83:84], v[192:193]
	v_add_f64 v[31:32], v[31:32], v[53:54]
	ds_read_b128 v[2:5], v1 offset:1360
	s_waitcnt vmcnt(53) lgkmcnt(1)
	v_mul_f64 v[75:76], v[29:30], v[85:86]
	s_waitcnt vmcnt(52)
	v_fma_f64 v[69:70], v[6:7], v[81:82], -v[69:70]
	v_mul_f64 v[53:54], v[27:28], v[85:86]
	v_fma_f64 v[61:62], v[8:9], v[81:82], v[61:62]
	ds_read_b128 v[6:9], v1 offset:1376
	v_add_f64 v[39:40], v[39:40], v[73:74]
	s_waitcnt vmcnt(51) lgkmcnt(1)
	v_mul_f64 v[73:74], v[4:5], v[87:88]
	v_add_f64 v[31:32], v[31:32], v[57:58]
	v_mul_f64 v[57:58], v[2:3], v[87:88]
	s_waitcnt vmcnt(49)
	v_fma_f64 v[75:76], v[27:28], v[163:164], -v[75:76]
	v_fma_f64 v[53:54], v[29:30], v[163:164], v[53:54]
	s_waitcnt vmcnt(45) lgkmcnt(0)
	v_mul_f64 v[83:84], v[8:9], v[165:166]
	v_mul_f64 v[81:82], v[6:7], v[165:166]
	v_add_f64 v[39:40], v[39:40], v[69:70]
	s_waitcnt vmcnt(44)
	v_fma_f64 v[73:74], v[2:3], v[161:162], -v[73:74]
	v_add_f64 v[31:32], v[31:32], v[61:62]
	s_clause 0x3
	buffer_load_dword v61, off, s[0:3], 0 offset:384
	buffer_load_dword v62, off, s[0:3], 0 offset:388
	;; [unrolled: 1-line block ×4, first 2 shown]
	ds_read_b128 v[27:30], v1 offset:1392
	v_fma_f64 v[57:58], v[4:5], v[161:162], v[57:58]
	ds_read_b128 v[2:5], v1 offset:1408
	s_waitcnt vmcnt(45)
	v_fma_f64 v[83:84], v[6:7], v[171:172], -v[83:84]
	v_add_f64 v[39:40], v[39:40], v[75:76]
	v_add_f64 v[31:32], v[31:32], v[53:54]
	s_waitcnt lgkmcnt(1)
	v_mul_f64 v[75:76], v[29:30], v[167:168]
	v_mul_f64 v[53:54], v[27:28], v[167:168]
	v_add_f64 v[39:40], v[39:40], v[73:74]
	v_fma_f64 v[73:74], v[8:9], v[171:172], v[81:82]
	v_add_f64 v[31:32], v[31:32], v[57:58]
	s_waitcnt vmcnt(41) lgkmcnt(0)
	v_mul_f64 v[81:82], v[4:5], v[177:178]
	s_waitcnt vmcnt(40)
	v_fma_f64 v[75:76], v[27:28], v[169:170], -v[75:76]
	ds_read_b128 v[6:9], v1 offset:1424
	v_mul_f64 v[57:58], v[2:3], v[177:178]
	v_fma_f64 v[53:54], v[29:30], v[169:170], v[53:54]
	ds_read_b128 v[27:30], v1 offset:1440
	v_add_f64 v[39:40], v[39:40], v[83:84]
	v_add_f64 v[31:32], v[31:32], v[73:74]
	s_waitcnt vmcnt(39) lgkmcnt(1)
	v_mul_f64 v[83:84], v[8:9], v[179:180]
	v_mul_f64 v[73:74], v[6:7], v[179:180]
	s_waitcnt vmcnt(37)
	v_fma_f64 v[81:82], v[2:3], v[175:176], -v[81:82]
	v_fma_f64 v[57:58], v[4:5], v[175:176], v[57:58]
	ds_read_b128 v[2:5], v1 offset:1456
	v_add_f64 v[39:40], v[39:40], v[75:76]
	v_add_f64 v[31:32], v[31:32], v[53:54]
	s_waitcnt vmcnt(33) lgkmcnt(1)
	v_mul_f64 v[53:54], v[27:28], v[41:42]
	v_mul_f64 v[41:42], v[29:30], v[41:42]
	s_waitcnt vmcnt(32)
	v_fma_f64 v[75:76], v[6:7], v[181:182], -v[83:84]
	;; [unrolled: 9-line block ×4, first 2 shown]
	v_add_f64 v[39:40], v[39:40], v[41:42]
	v_fma_f64 v[41:42], v[4:5], v[188:189], v[57:58]
	v_add_f64 v[31:32], v[31:32], v[37:38]
	ds_read_b128 v[2:5], v1 offset:1504
	s_waitcnt vmcnt(23) lgkmcnt(1)
	v_mul_f64 v[57:58], v[29:30], v[173:174]
	v_mul_f64 v[37:38], v[27:28], v[173:174]
	s_waitcnt vmcnt(21)
	v_fma_f64 v[49:50], v[6:7], v[47:48], -v[49:50]
	v_fma_f64 v[47:48], v[8:9], v[47:48], v[53:54]
	ds_read_b128 v[6:9], v1 offset:1520
	v_add_f64 v[39:40], v[39:40], v[73:74]
	v_add_f64 v[31:32], v[31:32], v[41:42]
	s_waitcnt vmcnt(17) lgkmcnt(1)
	v_mul_f64 v[41:42], v[2:3], v[43:44]
	v_mul_f64 v[43:44], v[4:5], v[43:44]
	s_waitcnt vmcnt(16)
	v_fma_f64 v[53:54], v[27:28], v[190:191], -v[57:58]
	v_fma_f64 v[37:38], v[29:30], v[190:191], v[37:38]
	ds_read_b128 v[27:30], v1 offset:1536
	v_add_f64 v[39:40], v[39:40], v[49:50]
	v_add_f64 v[31:32], v[31:32], v[47:48]
	;; [unrolled: 9-line block ×3, first 2 shown]
	s_waitcnt vmcnt(9) lgkmcnt(1)
	v_mul_f64 v[45:46], v[29:30], v[51:52]
	s_waitcnt vmcnt(8)
	v_fma_f64 v[6:7], v[6:7], v[185:186], -v[49:50]
	v_mul_f64 v[37:38], v[27:28], v[51:52]
	v_fma_f64 v[8:9], v[8:9], v[185:186], v[47:48]
	v_add_f64 v[39:40], v[39:40], v[43:44]
	v_add_f64 v[31:32], v[31:32], v[41:42]
	s_waitcnt vmcnt(7) lgkmcnt(0)
	v_mul_f64 v[43:44], v[4:5], v[63:64]
	v_mul_f64 v[41:42], v[2:3], v[63:64]
	s_waitcnt vmcnt(5)
	v_fma_f64 v[27:28], v[27:28], v[55:56], -v[45:46]
	v_fma_f64 v[29:30], v[29:30], v[55:56], v[37:38]
	v_add_f64 v[6:7], v[39:40], v[6:7]
	v_add_f64 v[8:9], v[31:32], v[8:9]
	s_waitcnt vmcnt(4)
	v_fma_f64 v[2:3], v[2:3], v[71:72], -v[43:44]
	v_fma_f64 v[4:5], v[4:5], v[71:72], v[41:42]
	v_add_f64 v[6:7], v[6:7], v[27:28]
	v_add_f64 v[8:9], v[8:9], v[29:30]
	;; [unrolled: 1-line block ×4, first 2 shown]
	s_waitcnt vmcnt(2)
	v_add_f64 v[2:3], v[61:62], -v[2:3]
	s_waitcnt vmcnt(0)
	v_add_f64 v[4:5], v[69:70], -v[4:5]
	buffer_store_dword v3, off, s[0:3], 0 offset:388
	buffer_store_dword v2, off, s[0:3], 0 offset:384
	;; [unrolled: 1-line block ×4, first 2 shown]
	v_cmpx_lt_u32_e32 22, v0
	s_cbranch_execz .LBB48_263
; %bb.262:
	v_mov_b32_e32 v5, s39
	s_clause 0x3
	buffer_load_dword v2, v5, s[0:3], 0 offen
	buffer_load_dword v3, v5, s[0:3], 0 offen offset:4
	buffer_load_dword v4, v5, s[0:3], 0 offen offset:8
	;; [unrolled: 1-line block ×3, first 2 shown]
	buffer_store_dword v1, off, s[0:3], 0 offset:368
	buffer_store_dword v1, off, s[0:3], 0 offset:372
	;; [unrolled: 1-line block ×4, first 2 shown]
	s_waitcnt vmcnt(0)
	ds_write_b128 v11, v[2:5]
.LBB48_263:
	s_or_b32 exec_lo, exec_lo, s4
	s_waitcnt lgkmcnt(0)
	s_waitcnt_vscnt null, 0x0
	s_barrier
	buffer_gl0_inv
	s_clause 0x37
	buffer_load_dword v27, off, s[0:3], 0 offset:392
	buffer_load_dword v28, off, s[0:3], 0 offset:396
	;; [unrolled: 1-line block ×56, first 2 shown]
	ds_read_b128 v[2:5], v1 offset:1152
	s_clause 0x2
	buffer_load_dword v168, off, s[0:3], 0 offset:620
	buffer_load_dword v172, off, s[0:3], 0 offset:596
	;; [unrolled: 1-line block ×3, first 2 shown]
	ds_read_b128 v[6:9], v1 offset:1168
	s_clause 0x4
	buffer_load_dword v178, off, s[0:3], 0 offset:636
	buffer_load_dword v179, off, s[0:3], 0 offset:648
	;; [unrolled: 1-line block ×5, first 2 shown]
	s_mov_b32 s4, exec_lo
	s_waitcnt vmcnt(62) lgkmcnt(1)
	v_mul_f64 v[173:174], v[4:5], v[27:28]
	v_mul_f64 v[175:176], v[2:3], v[27:28]
	s_waitcnt vmcnt(60) lgkmcnt(0)
	v_mul_f64 v[182:183], v[8:9], v[31:32]
	ds_read_b128 v[27:30], v1 offset:1184
	v_mul_f64 v[31:32], v[6:7], v[31:32]
	s_waitcnt vmcnt(58)
	v_fma_f64 v[173:174], v[2:3], v[37:38], -v[173:174]
	v_fma_f64 v[37:38], v[4:5], v[37:38], v[175:176]
	s_clause 0x2
	buffer_load_dword v180, off, s[0:3], 0 offset:652
	buffer_load_dword v176, off, s[0:3], 0 offset:628
	;; [unrolled: 1-line block ×3, first 2 shown]
	s_waitcnt vmcnt(59) lgkmcnt(0)
	v_mul_f64 v[184:185], v[27:28], v[39:40]
	v_mul_f64 v[39:40], v[29:30], v[39:40]
	s_waitcnt vmcnt(57)
	v_fma_f64 v[186:187], v[6:7], v[41:42], -v[182:183]
	ds_read_b128 v[2:5], v1 offset:1200
	v_fma_f64 v[31:32], v[8:9], v[41:42], v[31:32]
	s_clause 0x4
	buffer_load_dword v42, off, s[0:3], 0 offset:668
	buffer_load_dword v183, off, s[0:3], 0 offset:680
	;; [unrolled: 1-line block ×5, first 2 shown]
	ds_read_b128 v[6:9], v1 offset:1216
	v_add_f64 v[173:174], v[173:174], 0
	v_add_f64 v[37:38], v[37:38], 0
	s_waitcnt vmcnt(58) lgkmcnt(1)
	v_mul_f64 v[189:190], v[2:3], v[43:44]
	v_mul_f64 v[43:44], v[4:5], v[43:44]
	s_waitcnt vmcnt(56)
	v_fma_f64 v[39:40], v[27:28], v[49:50], -v[39:40]
	v_fma_f64 v[49:50], v[29:30], v[49:50], v[184:185]
	v_add_f64 v[173:174], v[173:174], v[186:187]
	v_add_f64 v[31:32], v[37:38], v[31:32]
	s_clause 0x2
	buffer_load_dword v184, off, s[0:3], 0 offset:684
	buffer_load_dword v38, off, s[0:3], 0 offset:660
	;; [unrolled: 1-line block ×3, first 2 shown]
	s_waitcnt vmcnt(58) lgkmcnt(0)
	v_mul_f64 v[185:186], v[6:7], v[45:46]
	v_mul_f64 v[45:46], v[8:9], v[45:46]
	s_waitcnt vmcnt(56)
	v_fma_f64 v[43:44], v[2:3], v[51:52], -v[43:44]
	ds_read_b128 v[27:30], v1 offset:1232
	v_fma_f64 v[51:52], v[4:5], v[51:52], v[189:190]
	v_add_f64 v[39:40], v[173:174], v[39:40]
	v_add_f64 v[31:32], v[31:32], v[49:50]
	s_clause 0x4
	buffer_load_dword v50, off, s[0:3], 0 offset:700
	buffer_load_dword v173, off, s[0:3], 0 offset:712
	;; [unrolled: 1-line block ×5, first 2 shown]
	ds_read_b128 v[2:5], v1 offset:1248
	s_waitcnt vmcnt(57) lgkmcnt(1)
	v_mul_f64 v[191:192], v[27:28], v[53:54]
	v_mul_f64 v[53:54], v[29:30], v[53:54]
	s_waitcnt vmcnt(56)
	v_fma_f64 v[45:46], v[6:7], v[47:48], -v[45:46]
	v_add_f64 v[39:40], v[39:40], v[43:44]
	v_fma_f64 v[43:44], v[8:9], v[47:48], v[185:186]
	v_add_f64 v[31:32], v[31:32], v[51:52]
	s_clause 0x2
	buffer_load_dword v174, off, s[0:3], 0 offset:716
	buffer_load_dword v48, off, s[0:3], 0 offset:692
	;; [unrolled: 1-line block ×3, first 2 shown]
	s_waitcnt vmcnt(58) lgkmcnt(0)
	v_mul_f64 v[51:52], v[2:3], v[55:56]
	v_mul_f64 v[55:56], v[4:5], v[55:56]
	s_waitcnt vmcnt(56)
	v_fma_f64 v[53:54], v[27:28], v[59:60], -v[53:54]
	ds_read_b128 v[6:9], v1 offset:1264
	v_add_f64 v[39:40], v[39:40], v[45:46]
	v_fma_f64 v[45:46], v[29:30], v[59:60], v[191:192]
	v_add_f64 v[31:32], v[31:32], v[43:44]
	s_clause 0x4
	buffer_load_dword v44, off, s[0:3], 0 offset:732
	buffer_load_dword v59, off, s[0:3], 0 offset:744
	;; [unrolled: 1-line block ×5, first 2 shown]
	ds_read_b128 v[27:30], v1 offset:1280
	s_waitcnt vmcnt(57) lgkmcnt(1)
	v_mul_f64 v[186:187], v[6:7], v[61:62]
	v_mul_f64 v[61:62], v[8:9], v[61:62]
	s_waitcnt vmcnt(56)
	v_fma_f64 v[55:56], v[2:3], v[57:58], -v[55:56]
	v_fma_f64 v[51:52], v[4:5], v[57:58], v[51:52]
	v_add_f64 v[39:40], v[39:40], v[53:54]
	v_add_f64 v[31:32], v[31:32], v[45:46]
	s_clause 0x2
	buffer_load_dword v60, off, s[0:3], 0 offset:748
	buffer_load_dword v46, off, s[0:3], 0 offset:724
	;; [unrolled: 1-line block ×3, first 2 shown]
	s_waitcnt vmcnt(58) lgkmcnt(0)
	v_mul_f64 v[57:58], v[29:30], v[63:64]
	ds_read_b128 v[2:5], v1 offset:1296
	s_waitcnt vmcnt(56)
	v_fma_f64 v[61:62], v[6:7], v[71:72], -v[61:62]
	v_mul_f64 v[53:54], v[27:28], v[63:64]
	v_add_f64 v[39:40], v[39:40], v[55:56]
	v_fma_f64 v[55:56], v[8:9], v[71:72], v[186:187]
	v_add_f64 v[31:32], v[31:32], v[51:52]
	s_clause 0x4
	buffer_load_dword v52, off, s[0:3], 0 offset:764
	buffer_load_dword v63, off, s[0:3], 0 offset:776
	;; [unrolled: 1-line block ×5, first 2 shown]
	s_waitcnt vmcnt(57) lgkmcnt(0)
	v_mul_f64 v[192:193], v[2:3], v[73:74]
	v_mul_f64 v[72:73], v[4:5], v[73:74]
	s_waitcnt vmcnt(56)
	v_fma_f64 v[57:58], v[27:28], v[69:70], -v[57:58]
	ds_read_b128 v[6:9], v1 offset:1312
	v_fma_f64 v[53:54], v[29:30], v[69:70], v[53:54]
	v_add_f64 v[39:40], v[39:40], v[61:62]
	v_add_f64 v[31:32], v[31:32], v[55:56]
	s_clause 0x2
	buffer_load_dword v64, off, s[0:3], 0 offset:780
	buffer_load_dword v56, off, s[0:3], 0 offset:756
	;; [unrolled: 1-line block ×3, first 2 shown]
	ds_read_b128 v[27:30], v1 offset:1328
	s_waitcnt vmcnt(58) lgkmcnt(1)
	v_mul_f64 v[69:70], v[8:9], v[75:76]
	s_waitcnt vmcnt(56)
	v_fma_f64 v[73:74], v[2:3], v[83:84], -v[72:73]
	v_mul_f64 v[61:62], v[6:7], v[75:76]
	v_add_f64 v[39:40], v[39:40], v[57:58]
	v_fma_f64 v[57:58], v[4:5], v[83:84], v[192:193]
	v_add_f64 v[31:32], v[31:32], v[53:54]
	s_clause 0x2
	buffer_load_dword v54, off, s[0:3], 0 offset:796
	buffer_load_dword v53, off, s[0:3], 0 offset:792
	;; [unrolled: 1-line block ×3, first 2 shown]
	s_waitcnt vmcnt(55) lgkmcnt(0)
	v_mul_f64 v[83:84], v[29:30], v[85:86]
	s_waitcnt vmcnt(54)
	v_fma_f64 v[69:70], v[6:7], v[81:82], -v[69:70]
	ds_read_b128 v[2:5], v1 offset:1344
	v_mul_f64 v[75:76], v[27:28], v[85:86]
	v_fma_f64 v[61:62], v[8:9], v[81:82], v[61:62]
	v_add_f64 v[39:40], v[39:40], v[73:74]
	v_add_f64 v[31:32], v[31:32], v[57:58]
	s_clause 0x1
	buffer_load_dword v58, off, s[0:3], 0 offset:788
	buffer_load_dword v57, off, s[0:3], 0 offset:784
	s_waitcnt vmcnt(55) lgkmcnt(0)
	v_mul_f64 v[81:82], v[4:5], v[87:88]
	s_waitcnt vmcnt(53)
	v_fma_f64 v[83:84], v[27:28], v[163:164], -v[83:84]
	ds_read_b128 v[6:9], v1 offset:1360
	v_mul_f64 v[73:74], v[2:3], v[87:88]
	v_add_f64 v[39:40], v[39:40], v[69:70]
	v_fma_f64 v[69:70], v[29:30], v[163:164], v[75:76]
	v_add_f64 v[31:32], v[31:32], v[61:62]
	ds_read_b128 v[27:30], v1 offset:1376
	s_waitcnt vmcnt(49) lgkmcnt(1)
	v_mul_f64 v[75:76], v[8:9], v[165:166]
	s_waitcnt vmcnt(48)
	v_fma_f64 v[81:82], v[2:3], v[161:162], -v[81:82]
	v_mul_f64 v[61:62], v[6:7], v[165:166]
	v_fma_f64 v[73:74], v[4:5], v[161:162], v[73:74]
	v_add_f64 v[39:40], v[39:40], v[83:84]
	s_waitcnt vmcnt(47) lgkmcnt(0)
	v_mul_f64 v[87:88], v[29:30], v[167:168]
	v_add_f64 v[31:32], v[31:32], v[69:70]
	s_clause 0x3
	buffer_load_dword v69, off, s[0:3], 0 offset:368
	buffer_load_dword v70, off, s[0:3], 0 offset:372
	;; [unrolled: 1-line block ×4, first 2 shown]
	s_waitcnt vmcnt(49)
	v_fma_f64 v[75:76], v[6:7], v[171:172], -v[75:76]
	ds_read_b128 v[2:5], v1 offset:1392
	v_mul_f64 v[85:86], v[27:28], v[167:168]
	v_fma_f64 v[61:62], v[8:9], v[171:172], v[61:62]
	ds_read_b128 v[6:9], v1 offset:1408
	v_add_f64 v[39:40], v[39:40], v[81:82]
	s_waitcnt vmcnt(44)
	v_fma_f64 v[87:88], v[27:28], v[169:170], -v[87:88]
	v_add_f64 v[31:32], v[31:32], v[73:74]
	s_waitcnt lgkmcnt(1)
	v_mul_f64 v[81:82], v[4:5], v[177:178]
	v_mul_f64 v[73:74], v[2:3], v[177:178]
	v_add_f64 v[39:40], v[39:40], v[75:76]
	v_fma_f64 v[75:76], v[29:30], v[169:170], v[85:86]
	v_add_f64 v[31:32], v[31:32], v[61:62]
	ds_read_b128 v[27:30], v1 offset:1424
	s_waitcnt vmcnt(43) lgkmcnt(1)
	v_mul_f64 v[85:86], v[8:9], v[179:180]
	v_mul_f64 v[61:62], v[6:7], v[179:180]
	s_waitcnt vmcnt(41)
	v_fma_f64 v[81:82], v[2:3], v[175:176], -v[81:82]
	v_fma_f64 v[73:74], v[4:5], v[175:176], v[73:74]
	ds_read_b128 v[2:5], v1 offset:1440
	v_add_f64 v[39:40], v[39:40], v[87:88]
	v_add_f64 v[31:32], v[31:32], v[75:76]
	s_waitcnt vmcnt(37) lgkmcnt(1)
	v_mul_f64 v[75:76], v[27:28], v[41:42]
	v_mul_f64 v[41:42], v[29:30], v[41:42]
	s_waitcnt vmcnt(36)
	v_fma_f64 v[85:86], v[6:7], v[181:182], -v[85:86]
	v_fma_f64 v[61:62], v[8:9], v[181:182], v[61:62]
	ds_read_b128 v[6:9], v1 offset:1456
	v_add_f64 v[39:40], v[39:40], v[81:82]
	v_add_f64 v[31:32], v[31:32], v[73:74]
	;; [unrolled: 9-line block ×3, first 2 shown]
	s_waitcnt vmcnt(29) lgkmcnt(1)
	v_mul_f64 v[61:62], v[6:7], v[49:50]
	v_mul_f64 v[49:50], v[8:9], v[49:50]
	s_waitcnt vmcnt(28)
	v_fma_f64 v[75:76], v[2:3], v[188:189], -v[81:82]
	v_add_f64 v[39:40], v[39:40], v[41:42]
	v_fma_f64 v[41:42], v[4:5], v[188:189], v[73:74]
	v_add_f64 v[31:32], v[31:32], v[37:38]
	ds_read_b128 v[2:5], v1 offset:1488
	s_waitcnt vmcnt(27) lgkmcnt(1)
	v_mul_f64 v[73:74], v[29:30], v[173:174]
	v_mul_f64 v[37:38], v[27:28], v[173:174]
	s_waitcnt vmcnt(25)
	v_fma_f64 v[49:50], v[6:7], v[47:48], -v[49:50]
	v_fma_f64 v[47:48], v[8:9], v[47:48], v[61:62]
	ds_read_b128 v[6:9], v1 offset:1504
	v_add_f64 v[39:40], v[39:40], v[75:76]
	v_add_f64 v[31:32], v[31:32], v[41:42]
	s_waitcnt vmcnt(21) lgkmcnt(1)
	v_mul_f64 v[41:42], v[2:3], v[43:44]
	v_mul_f64 v[43:44], v[4:5], v[43:44]
	s_waitcnt vmcnt(20)
	v_fma_f64 v[61:62], v[27:28], v[190:191], -v[73:74]
	v_fma_f64 v[37:38], v[29:30], v[190:191], v[37:38]
	ds_read_b128 v[27:30], v1 offset:1520
	v_add_f64 v[39:40], v[39:40], v[49:50]
	v_add_f64 v[31:32], v[31:32], v[47:48]
	;; [unrolled: 9-line block ×3, first 2 shown]
	s_waitcnt vmcnt(13) lgkmcnt(1)
	v_mul_f64 v[45:46], v[29:30], v[51:52]
	s_waitcnt vmcnt(12)
	v_fma_f64 v[49:50], v[6:7], v[185:186], -v[49:50]
	v_mul_f64 v[37:38], v[27:28], v[51:52]
	v_add_f64 v[39:40], v[39:40], v[43:44]
	v_fma_f64 v[43:44], v[8:9], v[185:186], v[47:48]
	v_add_f64 v[31:32], v[31:32], v[41:42]
	ds_read_b128 v[6:9], v1 offset:1552
	s_waitcnt vmcnt(11) lgkmcnt(1)
	v_mul_f64 v[47:48], v[4:5], v[63:64]
	v_mul_f64 v[41:42], v[2:3], v[63:64]
	s_waitcnt vmcnt(9)
	v_fma_f64 v[27:28], v[27:28], v[55:56], -v[45:46]
	v_fma_f64 v[29:30], v[29:30], v[55:56], v[37:38]
	v_add_f64 v[39:40], v[39:40], v[49:50]
	v_add_f64 v[31:32], v[31:32], v[43:44]
	s_waitcnt vmcnt(7) lgkmcnt(0)
	v_mul_f64 v[43:44], v[8:9], v[53:54]
	s_waitcnt vmcnt(6)
	v_fma_f64 v[1:2], v[2:3], v[71:72], -v[47:48]
	v_mul_f64 v[37:38], v[6:7], v[53:54]
	v_fma_f64 v[3:4], v[4:5], v[71:72], v[41:42]
	v_add_f64 v[27:28], v[39:40], v[27:28]
	v_add_f64 v[29:30], v[31:32], v[29:30]
	s_waitcnt vmcnt(4)
	v_fma_f64 v[5:6], v[6:7], v[57:58], -v[43:44]
	v_fma_f64 v[7:8], v[8:9], v[57:58], v[37:38]
	v_add_f64 v[1:2], v[27:28], v[1:2]
	v_add_f64 v[3:4], v[29:30], v[3:4]
	;; [unrolled: 1-line block ×4, first 2 shown]
	s_waitcnt vmcnt(2)
	v_add_f64 v[1:2], v[69:70], -v[1:2]
	s_waitcnt vmcnt(0)
	v_add_f64 v[3:4], v[83:84], -v[3:4]
	buffer_store_dword v2, off, s[0:3], 0 offset:372
	buffer_store_dword v1, off, s[0:3], 0 offset:368
	;; [unrolled: 1-line block ×4, first 2 shown]
	v_cmpx_lt_u32_e32 21, v0
	s_cbranch_execz .LBB48_265
; %bb.264:
	v_mov_b32_e32 v4, s40
	v_mov_b32_e32 v5, 0
	s_clause 0x3
	buffer_load_dword v1, v4, s[0:3], 0 offen
	buffer_load_dword v2, v4, s[0:3], 0 offen offset:4
	buffer_load_dword v3, v4, s[0:3], 0 offen offset:8
	;; [unrolled: 1-line block ×3, first 2 shown]
	buffer_store_dword v5, off, s[0:3], 0 offset:352
	buffer_store_dword v5, off, s[0:3], 0 offset:356
	;; [unrolled: 1-line block ×4, first 2 shown]
	s_waitcnt vmcnt(0)
	ds_write_b128 v11, v[1:4]
.LBB48_265:
	s_or_b32 exec_lo, exec_lo, s4
	s_waitcnt lgkmcnt(0)
	s_waitcnt_vscnt null, 0x0
	s_barrier
	buffer_gl0_inv
	s_clause 0x37
	buffer_load_dword v27, off, s[0:3], 0 offset:376
	buffer_load_dword v28, off, s[0:3], 0 offset:380
	;; [unrolled: 1-line block ×56, first 2 shown]
	v_mov_b32_e32 v1, 0
	s_mov_b32 s4, exec_lo
	ds_read_b128 v[2:5], v1 offset:1136
	s_clause 0x2
	buffer_load_dword v168, off, s[0:3], 0 offset:604
	buffer_load_dword v172, off, s[0:3], 0 offset:580
	;; [unrolled: 1-line block ×3, first 2 shown]
	ds_read_b128 v[6:9], v1 offset:1152
	s_clause 0x4
	buffer_load_dword v178, off, s[0:3], 0 offset:620
	buffer_load_dword v179, off, s[0:3], 0 offset:632
	;; [unrolled: 1-line block ×5, first 2 shown]
	s_waitcnt vmcnt(62) lgkmcnt(1)
	v_mul_f64 v[173:174], v[4:5], v[27:28]
	v_mul_f64 v[175:176], v[2:3], v[27:28]
	s_waitcnt vmcnt(60) lgkmcnt(0)
	v_mul_f64 v[182:183], v[8:9], v[31:32]
	ds_read_b128 v[27:30], v1 offset:1168
	v_mul_f64 v[31:32], v[6:7], v[31:32]
	s_waitcnt vmcnt(58)
	v_fma_f64 v[173:174], v[2:3], v[37:38], -v[173:174]
	v_fma_f64 v[37:38], v[4:5], v[37:38], v[175:176]
	s_clause 0x2
	buffer_load_dword v180, off, s[0:3], 0 offset:636
	buffer_load_dword v176, off, s[0:3], 0 offset:612
	;; [unrolled: 1-line block ×3, first 2 shown]
	s_waitcnt vmcnt(59) lgkmcnt(0)
	v_mul_f64 v[184:185], v[27:28], v[39:40]
	v_mul_f64 v[39:40], v[29:30], v[39:40]
	s_waitcnt vmcnt(57)
	v_fma_f64 v[186:187], v[6:7], v[41:42], -v[182:183]
	ds_read_b128 v[2:5], v1 offset:1184
	v_fma_f64 v[31:32], v[8:9], v[41:42], v[31:32]
	s_clause 0x4
	buffer_load_dword v42, off, s[0:3], 0 offset:652
	buffer_load_dword v183, off, s[0:3], 0 offset:664
	;; [unrolled: 1-line block ×5, first 2 shown]
	ds_read_b128 v[6:9], v1 offset:1200
	v_add_f64 v[173:174], v[173:174], 0
	v_add_f64 v[37:38], v[37:38], 0
	s_waitcnt vmcnt(58) lgkmcnt(1)
	v_mul_f64 v[189:190], v[2:3], v[43:44]
	v_mul_f64 v[43:44], v[4:5], v[43:44]
	s_waitcnt vmcnt(56)
	v_fma_f64 v[39:40], v[27:28], v[49:50], -v[39:40]
	v_fma_f64 v[49:50], v[29:30], v[49:50], v[184:185]
	v_add_f64 v[173:174], v[173:174], v[186:187]
	v_add_f64 v[31:32], v[37:38], v[31:32]
	s_clause 0x2
	buffer_load_dword v184, off, s[0:3], 0 offset:668
	buffer_load_dword v38, off, s[0:3], 0 offset:644
	;; [unrolled: 1-line block ×3, first 2 shown]
	s_waitcnt vmcnt(58) lgkmcnt(0)
	v_mul_f64 v[185:186], v[6:7], v[45:46]
	v_mul_f64 v[45:46], v[8:9], v[45:46]
	s_waitcnt vmcnt(56)
	v_fma_f64 v[43:44], v[2:3], v[51:52], -v[43:44]
	ds_read_b128 v[27:30], v1 offset:1216
	v_fma_f64 v[51:52], v[4:5], v[51:52], v[189:190]
	v_add_f64 v[39:40], v[173:174], v[39:40]
	v_add_f64 v[31:32], v[31:32], v[49:50]
	s_clause 0x4
	buffer_load_dword v50, off, s[0:3], 0 offset:684
	buffer_load_dword v173, off, s[0:3], 0 offset:696
	;; [unrolled: 1-line block ×5, first 2 shown]
	ds_read_b128 v[2:5], v1 offset:1232
	s_waitcnt vmcnt(57) lgkmcnt(1)
	v_mul_f64 v[191:192], v[27:28], v[53:54]
	v_mul_f64 v[53:54], v[29:30], v[53:54]
	s_waitcnt vmcnt(56)
	v_fma_f64 v[45:46], v[6:7], v[47:48], -v[45:46]
	v_add_f64 v[39:40], v[39:40], v[43:44]
	v_fma_f64 v[43:44], v[8:9], v[47:48], v[185:186]
	v_add_f64 v[31:32], v[31:32], v[51:52]
	s_clause 0x2
	buffer_load_dword v174, off, s[0:3], 0 offset:700
	buffer_load_dword v48, off, s[0:3], 0 offset:676
	;; [unrolled: 1-line block ×3, first 2 shown]
	s_waitcnt vmcnt(58) lgkmcnt(0)
	v_mul_f64 v[51:52], v[2:3], v[55:56]
	v_mul_f64 v[55:56], v[4:5], v[55:56]
	s_waitcnt vmcnt(56)
	v_fma_f64 v[53:54], v[27:28], v[59:60], -v[53:54]
	ds_read_b128 v[6:9], v1 offset:1248
	v_add_f64 v[39:40], v[39:40], v[45:46]
	v_fma_f64 v[45:46], v[29:30], v[59:60], v[191:192]
	v_add_f64 v[31:32], v[31:32], v[43:44]
	s_clause 0x4
	buffer_load_dword v44, off, s[0:3], 0 offset:716
	buffer_load_dword v59, off, s[0:3], 0 offset:728
	;; [unrolled: 1-line block ×5, first 2 shown]
	ds_read_b128 v[27:30], v1 offset:1264
	s_waitcnt vmcnt(57) lgkmcnt(1)
	v_mul_f64 v[186:187], v[6:7], v[61:62]
	v_mul_f64 v[61:62], v[8:9], v[61:62]
	s_waitcnt vmcnt(56)
	v_fma_f64 v[55:56], v[2:3], v[57:58], -v[55:56]
	v_fma_f64 v[51:52], v[4:5], v[57:58], v[51:52]
	v_add_f64 v[39:40], v[39:40], v[53:54]
	v_add_f64 v[31:32], v[31:32], v[45:46]
	s_clause 0x2
	buffer_load_dword v60, off, s[0:3], 0 offset:732
	buffer_load_dword v46, off, s[0:3], 0 offset:708
	;; [unrolled: 1-line block ×3, first 2 shown]
	s_waitcnt vmcnt(58) lgkmcnt(0)
	v_mul_f64 v[57:58], v[29:30], v[63:64]
	ds_read_b128 v[2:5], v1 offset:1280
	s_waitcnt vmcnt(56)
	v_fma_f64 v[61:62], v[6:7], v[71:72], -v[61:62]
	v_mul_f64 v[53:54], v[27:28], v[63:64]
	v_add_f64 v[39:40], v[39:40], v[55:56]
	v_fma_f64 v[55:56], v[8:9], v[71:72], v[186:187]
	v_add_f64 v[31:32], v[31:32], v[51:52]
	s_clause 0x4
	buffer_load_dword v52, off, s[0:3], 0 offset:748
	buffer_load_dword v63, off, s[0:3], 0 offset:760
	;; [unrolled: 1-line block ×5, first 2 shown]
	s_waitcnt vmcnt(57) lgkmcnt(0)
	v_mul_f64 v[192:193], v[2:3], v[73:74]
	v_mul_f64 v[72:73], v[4:5], v[73:74]
	s_waitcnt vmcnt(56)
	v_fma_f64 v[57:58], v[27:28], v[69:70], -v[57:58]
	ds_read_b128 v[6:9], v1 offset:1296
	v_fma_f64 v[53:54], v[29:30], v[69:70], v[53:54]
	v_add_f64 v[39:40], v[39:40], v[61:62]
	v_add_f64 v[31:32], v[31:32], v[55:56]
	s_clause 0x2
	buffer_load_dword v64, off, s[0:3], 0 offset:764
	buffer_load_dword v56, off, s[0:3], 0 offset:740
	;; [unrolled: 1-line block ×3, first 2 shown]
	ds_read_b128 v[27:30], v1 offset:1312
	s_waitcnt vmcnt(58) lgkmcnt(1)
	v_mul_f64 v[69:70], v[8:9], v[75:76]
	s_waitcnt vmcnt(56)
	v_fma_f64 v[73:74], v[2:3], v[83:84], -v[72:73]
	v_mul_f64 v[61:62], v[6:7], v[75:76]
	v_add_f64 v[39:40], v[39:40], v[57:58]
	v_fma_f64 v[57:58], v[4:5], v[83:84], v[192:193]
	v_add_f64 v[31:32], v[31:32], v[53:54]
	s_clause 0x4
	buffer_load_dword v54, off, s[0:3], 0 offset:780
	buffer_load_dword v75, off, s[0:3], 0 offset:792
	;; [unrolled: 1-line block ×5, first 2 shown]
	s_waitcnt vmcnt(57) lgkmcnt(0)
	v_mul_f64 v[192:193], v[27:28], v[85:86]
	v_mul_f64 v[84:85], v[29:30], v[85:86]
	s_waitcnt vmcnt(56)
	v_fma_f64 v[69:70], v[6:7], v[81:82], -v[69:70]
	ds_read_b128 v[2:5], v1 offset:1328
	v_fma_f64 v[61:62], v[8:9], v[81:82], v[61:62]
	v_add_f64 v[39:40], v[39:40], v[73:74]
	v_add_f64 v[31:32], v[31:32], v[57:58]
	s_clause 0x2
	buffer_load_dword v76, off, s[0:3], 0 offset:796
	buffer_load_dword v58, off, s[0:3], 0 offset:772
	;; [unrolled: 1-line block ×3, first 2 shown]
	ds_read_b128 v[6:9], v1 offset:1344
	s_waitcnt vmcnt(58) lgkmcnt(1)
	v_mul_f64 v[81:82], v[4:5], v[87:88]
	s_waitcnt vmcnt(56)
	v_fma_f64 v[85:86], v[27:28], v[163:164], -v[84:85]
	v_mul_f64 v[73:74], v[2:3], v[87:88]
	buffer_load_dword v84, off, s[0:3], 0 offset:788
	v_add_f64 v[39:40], v[39:40], v[69:70]
	v_fma_f64 v[69:70], v[29:30], v[163:164], v[192:193]
	v_add_f64 v[31:32], v[31:32], v[61:62]
	ds_read_b128 v[27:30], v1 offset:1360
	s_waitcnt vmcnt(53) lgkmcnt(1)
	v_mul_f64 v[87:88], v[8:9], v[165:166]
	s_waitcnt vmcnt(52)
	v_fma_f64 v[81:82], v[2:3], v[161:162], -v[81:82]
	v_mul_f64 v[61:62], v[6:7], v[165:166]
	v_fma_f64 v[73:74], v[4:5], v[161:162], v[73:74]
	ds_read_b128 v[2:5], v1 offset:1376
	v_add_f64 v[39:40], v[39:40], v[85:86]
	s_waitcnt vmcnt(51) lgkmcnt(1)
	v_mul_f64 v[85:86], v[29:30], v[167:168]
	v_add_f64 v[31:32], v[31:32], v[69:70]
	v_mul_f64 v[69:70], v[27:28], v[167:168]
	s_waitcnt vmcnt(49)
	v_fma_f64 v[87:88], v[6:7], v[171:172], -v[87:88]
	v_fma_f64 v[61:62], v[8:9], v[171:172], v[61:62]
	s_waitcnt vmcnt(45) lgkmcnt(0)
	v_mul_f64 v[163:164], v[4:5], v[177:178]
	v_mul_f64 v[161:162], v[2:3], v[177:178]
	v_add_f64 v[39:40], v[39:40], v[81:82]
	s_waitcnt vmcnt(44)
	v_fma_f64 v[85:86], v[27:28], v[169:170], -v[85:86]
	v_add_f64 v[31:32], v[31:32], v[73:74]
	s_clause 0x3
	buffer_load_dword v73, off, s[0:3], 0 offset:352
	buffer_load_dword v74, off, s[0:3], 0 offset:356
	;; [unrolled: 1-line block ×4, first 2 shown]
	ds_read_b128 v[6:9], v1 offset:1392
	v_fma_f64 v[69:70], v[29:30], v[169:170], v[69:70]
	ds_read_b128 v[27:30], v1 offset:1408
	v_add_f64 v[39:40], v[39:40], v[87:88]
	v_add_f64 v[31:32], v[31:32], v[61:62]
	s_waitcnt vmcnt(47) lgkmcnt(1)
	v_mul_f64 v[87:88], v[8:9], v[179:180]
	v_mul_f64 v[61:62], v[6:7], v[179:180]
	s_waitcnt vmcnt(45)
	v_fma_f64 v[163:164], v[2:3], v[175:176], -v[163:164]
	v_add_f64 v[39:40], v[39:40], v[85:86]
	v_fma_f64 v[85:86], v[4:5], v[175:176], v[161:162]
	v_add_f64 v[31:32], v[31:32], v[69:70]
	s_waitcnt vmcnt(41) lgkmcnt(0)
	v_mul_f64 v[69:70], v[27:28], v[41:42]
	v_mul_f64 v[41:42], v[29:30], v[41:42]
	ds_read_b128 v[2:5], v1 offset:1424
	s_waitcnt vmcnt(40)
	v_fma_f64 v[87:88], v[6:7], v[181:182], -v[87:88]
	v_fma_f64 v[61:62], v[8:9], v[181:182], v[61:62]
	ds_read_b128 v[6:9], v1 offset:1440
	v_add_f64 v[39:40], v[39:40], v[163:164]
	v_add_f64 v[31:32], v[31:32], v[85:86]
	s_waitcnt vmcnt(39) lgkmcnt(1)
	v_mul_f64 v[161:162], v[4:5], v[183:184]
	v_mul_f64 v[85:86], v[2:3], v[183:184]
	s_waitcnt vmcnt(37)
	v_fma_f64 v[41:42], v[27:28], v[37:38], -v[41:42]
	v_fma_f64 v[37:38], v[29:30], v[37:38], v[69:70]
	ds_read_b128 v[27:30], v1 offset:1456
	v_add_f64 v[39:40], v[39:40], v[87:88]
	v_add_f64 v[31:32], v[31:32], v[61:62]
	s_waitcnt vmcnt(33) lgkmcnt(1)
	v_mul_f64 v[61:62], v[6:7], v[49:50]
	v_mul_f64 v[49:50], v[8:9], v[49:50]
	s_waitcnt vmcnt(32)
	v_fma_f64 v[69:70], v[2:3], v[188:189], -v[161:162]
	v_add_f64 v[39:40], v[39:40], v[41:42]
	v_fma_f64 v[41:42], v[4:5], v[188:189], v[85:86]
	v_add_f64 v[31:32], v[31:32], v[37:38]
	ds_read_b128 v[2:5], v1 offset:1472
	s_waitcnt vmcnt(31) lgkmcnt(1)
	v_mul_f64 v[85:86], v[29:30], v[173:174]
	v_mul_f64 v[37:38], v[27:28], v[173:174]
	s_waitcnt vmcnt(29)
	v_fma_f64 v[49:50], v[6:7], v[47:48], -v[49:50]
	v_fma_f64 v[47:48], v[8:9], v[47:48], v[61:62]
	ds_read_b128 v[6:9], v1 offset:1488
	v_add_f64 v[39:40], v[39:40], v[69:70]
	v_add_f64 v[31:32], v[31:32], v[41:42]
	s_waitcnt vmcnt(25) lgkmcnt(1)
	v_mul_f64 v[41:42], v[2:3], v[43:44]
	v_mul_f64 v[43:44], v[4:5], v[43:44]
	s_waitcnt vmcnt(24)
	v_fma_f64 v[61:62], v[27:28], v[190:191], -v[85:86]
	v_fma_f64 v[37:38], v[29:30], v[190:191], v[37:38]
	ds_read_b128 v[27:30], v1 offset:1504
	v_add_f64 v[39:40], v[39:40], v[49:50]
	v_add_f64 v[31:32], v[31:32], v[47:48]
	;; [unrolled: 9-line block ×3, first 2 shown]
	s_waitcnt vmcnt(17) lgkmcnt(1)
	v_mul_f64 v[45:46], v[29:30], v[51:52]
	s_waitcnt vmcnt(16)
	v_fma_f64 v[49:50], v[6:7], v[185:186], -v[49:50]
	v_mul_f64 v[37:38], v[27:28], v[51:52]
	v_add_f64 v[39:40], v[39:40], v[43:44]
	v_fma_f64 v[43:44], v[8:9], v[185:186], v[47:48]
	v_add_f64 v[31:32], v[31:32], v[41:42]
	ds_read_b128 v[6:9], v1 offset:1536
	s_waitcnt vmcnt(15) lgkmcnt(1)
	v_mul_f64 v[47:48], v[4:5], v[63:64]
	v_mul_f64 v[41:42], v[2:3], v[63:64]
	s_waitcnt vmcnt(13)
	v_fma_f64 v[45:46], v[27:28], v[55:56], -v[45:46]
	v_fma_f64 v[37:38], v[29:30], v[55:56], v[37:38]
	ds_read_b128 v[27:30], v1 offset:1552
	v_add_f64 v[39:40], v[39:40], v[49:50]
	v_add_f64 v[31:32], v[31:32], v[43:44]
	s_waitcnt vmcnt(9) lgkmcnt(1)
	v_mul_f64 v[49:50], v[8:9], v[53:54]
	s_waitcnt vmcnt(8)
	v_fma_f64 v[2:3], v[2:3], v[71:72], -v[47:48]
	v_mul_f64 v[43:44], v[6:7], v[53:54]
	v_fma_f64 v[4:5], v[4:5], v[71:72], v[41:42]
	v_add_f64 v[39:40], v[39:40], v[45:46]
	v_add_f64 v[31:32], v[31:32], v[37:38]
	s_waitcnt vmcnt(7) lgkmcnt(0)
	v_mul_f64 v[41:42], v[29:30], v[75:76]
	v_mul_f64 v[37:38], v[27:28], v[75:76]
	s_waitcnt vmcnt(5)
	v_fma_f64 v[6:7], v[6:7], v[57:58], -v[49:50]
	v_fma_f64 v[8:9], v[8:9], v[57:58], v[43:44]
	v_add_f64 v[2:3], v[39:40], v[2:3]
	v_add_f64 v[4:5], v[31:32], v[4:5]
	s_waitcnt vmcnt(4)
	v_fma_f64 v[27:28], v[27:28], v[83:84], -v[41:42]
	v_add_f64 v[2:3], v[2:3], v[6:7]
	v_fma_f64 v[6:7], v[29:30], v[83:84], v[37:38]
	v_add_f64 v[4:5], v[4:5], v[8:9]
	v_add_f64 v[2:3], v[2:3], v[27:28]
	;; [unrolled: 1-line block ×3, first 2 shown]
	s_waitcnt vmcnt(2)
	v_add_f64 v[2:3], v[73:74], -v[2:3]
	s_waitcnt vmcnt(0)
	v_add_f64 v[4:5], v[81:82], -v[4:5]
	buffer_store_dword v3, off, s[0:3], 0 offset:356
	buffer_store_dword v2, off, s[0:3], 0 offset:352
	;; [unrolled: 1-line block ×4, first 2 shown]
	v_cmpx_lt_u32_e32 20, v0
	s_cbranch_execz .LBB48_267
; %bb.266:
	v_mov_b32_e32 v5, s41
	s_clause 0x3
	buffer_load_dword v2, v5, s[0:3], 0 offen
	buffer_load_dword v3, v5, s[0:3], 0 offen offset:4
	buffer_load_dword v4, v5, s[0:3], 0 offen offset:8
	;; [unrolled: 1-line block ×3, first 2 shown]
	buffer_store_dword v1, off, s[0:3], 0 offset:336
	buffer_store_dword v1, off, s[0:3], 0 offset:340
	;; [unrolled: 1-line block ×4, first 2 shown]
	s_waitcnt vmcnt(0)
	ds_write_b128 v11, v[2:5]
.LBB48_267:
	s_or_b32 exec_lo, exec_lo, s4
	s_waitcnt lgkmcnt(0)
	s_waitcnt_vscnt null, 0x0
	s_barrier
	buffer_gl0_inv
	s_clause 0x37
	buffer_load_dword v27, off, s[0:3], 0 offset:360
	buffer_load_dword v28, off, s[0:3], 0 offset:364
	;; [unrolled: 1-line block ×56, first 2 shown]
	ds_read_b128 v[2:5], v1 offset:1120
	s_clause 0x2
	buffer_load_dword v168, off, s[0:3], 0 offset:588
	buffer_load_dword v172, off, s[0:3], 0 offset:564
	;; [unrolled: 1-line block ×3, first 2 shown]
	ds_read_b128 v[6:9], v1 offset:1136
	s_clause 0x4
	buffer_load_dword v178, off, s[0:3], 0 offset:604
	buffer_load_dword v179, off, s[0:3], 0 offset:616
	buffer_load_dword v181, off, s[0:3], 0 offset:608
	buffer_load_dword v177, off, s[0:3], 0 offset:600
	buffer_load_dword v170, off, s[0:3], 0 offset:580
	s_mov_b32 s4, exec_lo
	s_waitcnt vmcnt(62) lgkmcnt(1)
	v_mul_f64 v[173:174], v[4:5], v[27:28]
	v_mul_f64 v[175:176], v[2:3], v[27:28]
	s_waitcnt vmcnt(60) lgkmcnt(0)
	v_mul_f64 v[182:183], v[8:9], v[31:32]
	ds_read_b128 v[27:30], v1 offset:1152
	v_mul_f64 v[31:32], v[6:7], v[31:32]
	s_waitcnt vmcnt(58)
	v_fma_f64 v[173:174], v[2:3], v[37:38], -v[173:174]
	v_fma_f64 v[37:38], v[4:5], v[37:38], v[175:176]
	s_clause 0x2
	buffer_load_dword v180, off, s[0:3], 0 offset:620
	buffer_load_dword v176, off, s[0:3], 0 offset:596
	;; [unrolled: 1-line block ×3, first 2 shown]
	s_waitcnt vmcnt(59) lgkmcnt(0)
	v_mul_f64 v[184:185], v[27:28], v[39:40]
	v_mul_f64 v[39:40], v[29:30], v[39:40]
	s_waitcnt vmcnt(57)
	v_fma_f64 v[186:187], v[6:7], v[41:42], -v[182:183]
	ds_read_b128 v[2:5], v1 offset:1168
	v_fma_f64 v[31:32], v[8:9], v[41:42], v[31:32]
	s_clause 0x4
	buffer_load_dword v42, off, s[0:3], 0 offset:636
	buffer_load_dword v183, off, s[0:3], 0 offset:648
	;; [unrolled: 1-line block ×5, first 2 shown]
	ds_read_b128 v[6:9], v1 offset:1184
	v_add_f64 v[173:174], v[173:174], 0
	v_add_f64 v[37:38], v[37:38], 0
	s_waitcnt vmcnt(58) lgkmcnt(1)
	v_mul_f64 v[189:190], v[2:3], v[43:44]
	v_mul_f64 v[43:44], v[4:5], v[43:44]
	s_waitcnt vmcnt(56)
	v_fma_f64 v[39:40], v[27:28], v[49:50], -v[39:40]
	v_fma_f64 v[49:50], v[29:30], v[49:50], v[184:185]
	v_add_f64 v[173:174], v[173:174], v[186:187]
	v_add_f64 v[31:32], v[37:38], v[31:32]
	s_clause 0x2
	buffer_load_dword v184, off, s[0:3], 0 offset:652
	buffer_load_dword v38, off, s[0:3], 0 offset:628
	;; [unrolled: 1-line block ×3, first 2 shown]
	s_waitcnt vmcnt(58) lgkmcnt(0)
	v_mul_f64 v[185:186], v[6:7], v[45:46]
	v_mul_f64 v[45:46], v[8:9], v[45:46]
	s_waitcnt vmcnt(56)
	v_fma_f64 v[43:44], v[2:3], v[51:52], -v[43:44]
	ds_read_b128 v[27:30], v1 offset:1200
	v_fma_f64 v[51:52], v[4:5], v[51:52], v[189:190]
	v_add_f64 v[39:40], v[173:174], v[39:40]
	v_add_f64 v[31:32], v[31:32], v[49:50]
	s_clause 0x4
	buffer_load_dword v50, off, s[0:3], 0 offset:668
	buffer_load_dword v173, off, s[0:3], 0 offset:680
	;; [unrolled: 1-line block ×5, first 2 shown]
	ds_read_b128 v[2:5], v1 offset:1216
	s_waitcnt vmcnt(57) lgkmcnt(1)
	v_mul_f64 v[191:192], v[27:28], v[53:54]
	v_mul_f64 v[53:54], v[29:30], v[53:54]
	s_waitcnt vmcnt(56)
	v_fma_f64 v[45:46], v[6:7], v[47:48], -v[45:46]
	v_add_f64 v[39:40], v[39:40], v[43:44]
	v_fma_f64 v[43:44], v[8:9], v[47:48], v[185:186]
	v_add_f64 v[31:32], v[31:32], v[51:52]
	s_clause 0x2
	buffer_load_dword v174, off, s[0:3], 0 offset:684
	buffer_load_dword v48, off, s[0:3], 0 offset:660
	;; [unrolled: 1-line block ×3, first 2 shown]
	s_waitcnt vmcnt(58) lgkmcnt(0)
	v_mul_f64 v[51:52], v[2:3], v[55:56]
	v_mul_f64 v[55:56], v[4:5], v[55:56]
	s_waitcnt vmcnt(56)
	v_fma_f64 v[53:54], v[27:28], v[59:60], -v[53:54]
	ds_read_b128 v[6:9], v1 offset:1232
	v_add_f64 v[39:40], v[39:40], v[45:46]
	v_fma_f64 v[45:46], v[29:30], v[59:60], v[191:192]
	v_add_f64 v[31:32], v[31:32], v[43:44]
	s_clause 0x4
	buffer_load_dword v44, off, s[0:3], 0 offset:700
	buffer_load_dword v59, off, s[0:3], 0 offset:712
	;; [unrolled: 1-line block ×5, first 2 shown]
	ds_read_b128 v[27:30], v1 offset:1248
	s_waitcnt vmcnt(57) lgkmcnt(1)
	v_mul_f64 v[186:187], v[6:7], v[61:62]
	v_mul_f64 v[61:62], v[8:9], v[61:62]
	s_waitcnt vmcnt(56)
	v_fma_f64 v[55:56], v[2:3], v[57:58], -v[55:56]
	v_fma_f64 v[51:52], v[4:5], v[57:58], v[51:52]
	v_add_f64 v[39:40], v[39:40], v[53:54]
	v_add_f64 v[31:32], v[31:32], v[45:46]
	s_clause 0x2
	buffer_load_dword v60, off, s[0:3], 0 offset:716
	buffer_load_dword v46, off, s[0:3], 0 offset:692
	;; [unrolled: 1-line block ×3, first 2 shown]
	s_waitcnt vmcnt(58) lgkmcnt(0)
	v_mul_f64 v[57:58], v[29:30], v[63:64]
	ds_read_b128 v[2:5], v1 offset:1264
	s_waitcnt vmcnt(56)
	v_fma_f64 v[61:62], v[6:7], v[71:72], -v[61:62]
	v_mul_f64 v[53:54], v[27:28], v[63:64]
	v_add_f64 v[39:40], v[39:40], v[55:56]
	v_fma_f64 v[55:56], v[8:9], v[71:72], v[186:187]
	v_add_f64 v[31:32], v[31:32], v[51:52]
	s_clause 0x4
	buffer_load_dword v52, off, s[0:3], 0 offset:732
	buffer_load_dword v63, off, s[0:3], 0 offset:744
	;; [unrolled: 1-line block ×5, first 2 shown]
	s_waitcnt vmcnt(57) lgkmcnt(0)
	v_mul_f64 v[192:193], v[2:3], v[73:74]
	v_mul_f64 v[72:73], v[4:5], v[73:74]
	s_waitcnt vmcnt(56)
	v_fma_f64 v[57:58], v[27:28], v[69:70], -v[57:58]
	ds_read_b128 v[6:9], v1 offset:1280
	v_fma_f64 v[53:54], v[29:30], v[69:70], v[53:54]
	v_add_f64 v[39:40], v[39:40], v[61:62]
	v_add_f64 v[31:32], v[31:32], v[55:56]
	s_clause 0x2
	buffer_load_dword v64, off, s[0:3], 0 offset:748
	buffer_load_dword v56, off, s[0:3], 0 offset:724
	;; [unrolled: 1-line block ×3, first 2 shown]
	ds_read_b128 v[27:30], v1 offset:1296
	s_waitcnt vmcnt(58) lgkmcnt(1)
	v_mul_f64 v[69:70], v[8:9], v[75:76]
	s_waitcnt vmcnt(56)
	v_fma_f64 v[73:74], v[2:3], v[83:84], -v[72:73]
	v_mul_f64 v[61:62], v[6:7], v[75:76]
	v_add_f64 v[39:40], v[39:40], v[57:58]
	v_fma_f64 v[57:58], v[4:5], v[83:84], v[192:193]
	v_add_f64 v[31:32], v[31:32], v[53:54]
	s_clause 0x4
	buffer_load_dword v54, off, s[0:3], 0 offset:764
	buffer_load_dword v75, off, s[0:3], 0 offset:776
	;; [unrolled: 1-line block ×5, first 2 shown]
	s_waitcnt vmcnt(57) lgkmcnt(0)
	v_mul_f64 v[192:193], v[27:28], v[85:86]
	v_mul_f64 v[84:85], v[29:30], v[85:86]
	s_waitcnt vmcnt(56)
	v_fma_f64 v[69:70], v[6:7], v[81:82], -v[69:70]
	ds_read_b128 v[2:5], v1 offset:1312
	v_fma_f64 v[61:62], v[8:9], v[81:82], v[61:62]
	v_add_f64 v[39:40], v[39:40], v[73:74]
	v_add_f64 v[31:32], v[31:32], v[57:58]
	s_clause 0x2
	buffer_load_dword v76, off, s[0:3], 0 offset:780
	buffer_load_dword v58, off, s[0:3], 0 offset:756
	;; [unrolled: 1-line block ×3, first 2 shown]
	ds_read_b128 v[6:9], v1 offset:1328
	s_waitcnt vmcnt(58) lgkmcnt(1)
	v_mul_f64 v[81:82], v[4:5], v[87:88]
	s_waitcnt vmcnt(56)
	v_fma_f64 v[85:86], v[27:28], v[163:164], -v[84:85]
	v_mul_f64 v[73:74], v[2:3], v[87:88]
	v_add_f64 v[39:40], v[39:40], v[69:70]
	v_fma_f64 v[69:70], v[29:30], v[163:164], v[192:193]
	v_add_f64 v[31:32], v[31:32], v[61:62]
	s_clause 0x2
	buffer_load_dword v62, off, s[0:3], 0 offset:796
	buffer_load_dword v61, off, s[0:3], 0 offset:792
	;; [unrolled: 1-line block ×3, first 2 shown]
	s_waitcnt vmcnt(55) lgkmcnt(0)
	v_mul_f64 v[163:164], v[8:9], v[165:166]
	s_waitcnt vmcnt(54)
	v_fma_f64 v[81:82], v[2:3], v[161:162], -v[81:82]
	ds_read_b128 v[27:30], v1 offset:1344
	v_mul_f64 v[87:88], v[6:7], v[165:166]
	v_fma_f64 v[73:74], v[4:5], v[161:162], v[73:74]
	v_add_f64 v[39:40], v[39:40], v[85:86]
	v_add_f64 v[31:32], v[31:32], v[69:70]
	s_clause 0x1
	buffer_load_dword v70, off, s[0:3], 0 offset:788
	buffer_load_dword v69, off, s[0:3], 0 offset:784
	s_waitcnt vmcnt(55) lgkmcnt(0)
	v_mul_f64 v[161:162], v[29:30], v[167:168]
	s_waitcnt vmcnt(53)
	v_fma_f64 v[163:164], v[6:7], v[171:172], -v[163:164]
	ds_read_b128 v[2:5], v1 offset:1360
	v_mul_f64 v[85:86], v[27:28], v[167:168]
	v_add_f64 v[39:40], v[39:40], v[81:82]
	v_fma_f64 v[81:82], v[8:9], v[171:172], v[87:88]
	v_add_f64 v[31:32], v[31:32], v[73:74]
	ds_read_b128 v[6:9], v1 offset:1376
	s_waitcnt vmcnt(49) lgkmcnt(1)
	v_mul_f64 v[87:88], v[4:5], v[177:178]
	s_waitcnt vmcnt(48)
	v_fma_f64 v[161:162], v[27:28], v[169:170], -v[161:162]
	v_mul_f64 v[73:74], v[2:3], v[177:178]
	v_fma_f64 v[85:86], v[29:30], v[169:170], v[85:86]
	v_add_f64 v[39:40], v[39:40], v[163:164]
	v_add_f64 v[31:32], v[31:32], v[81:82]
	s_clause 0x3
	buffer_load_dword v81, off, s[0:3], 0 offset:336
	buffer_load_dword v82, off, s[0:3], 0 offset:340
	;; [unrolled: 1-line block ×4, first 2 shown]
	ds_read_b128 v[27:30], v1 offset:1392
	s_waitcnt vmcnt(51) lgkmcnt(1)
	v_mul_f64 v[167:168], v[8:9], v[179:180]
	v_mul_f64 v[165:166], v[6:7], v[179:180]
	s_waitcnt vmcnt(49)
	v_fma_f64 v[87:88], v[2:3], v[175:176], -v[87:88]
	v_fma_f64 v[73:74], v[4:5], v[175:176], v[73:74]
	ds_read_b128 v[2:5], v1 offset:1408
	v_add_f64 v[39:40], v[39:40], v[161:162]
	v_add_f64 v[31:32], v[31:32], v[85:86]
	s_waitcnt vmcnt(45) lgkmcnt(1)
	v_mul_f64 v[85:86], v[27:28], v[41:42]
	v_mul_f64 v[41:42], v[29:30], v[41:42]
	s_waitcnt vmcnt(44)
	v_fma_f64 v[161:162], v[6:7], v[181:182], -v[167:168]
	v_add_f64 v[39:40], v[39:40], v[87:88]
	v_fma_f64 v[87:88], v[8:9], v[181:182], v[165:166]
	v_add_f64 v[31:32], v[31:32], v[73:74]
	ds_read_b128 v[6:9], v1 offset:1424
	s_waitcnt vmcnt(43) lgkmcnt(1)
	v_mul_f64 v[165:166], v[4:5], v[183:184]
	v_mul_f64 v[73:74], v[2:3], v[183:184]
	s_waitcnt vmcnt(41)
	v_fma_f64 v[41:42], v[27:28], v[37:38], -v[41:42]
	v_fma_f64 v[37:38], v[29:30], v[37:38], v[85:86]
	ds_read_b128 v[27:30], v1 offset:1440
	v_add_f64 v[39:40], v[39:40], v[161:162]
	v_add_f64 v[31:32], v[31:32], v[87:88]
	s_waitcnt vmcnt(37) lgkmcnt(1)
	v_mul_f64 v[85:86], v[6:7], v[49:50]
	v_mul_f64 v[49:50], v[8:9], v[49:50]
	s_waitcnt vmcnt(36)
	v_fma_f64 v[87:88], v[2:3], v[188:189], -v[165:166]
	v_add_f64 v[39:40], v[39:40], v[41:42]
	v_fma_f64 v[41:42], v[4:5], v[188:189], v[73:74]
	v_add_f64 v[31:32], v[31:32], v[37:38]
	ds_read_b128 v[2:5], v1 offset:1456
	s_waitcnt vmcnt(35) lgkmcnt(1)
	v_mul_f64 v[73:74], v[29:30], v[173:174]
	v_mul_f64 v[37:38], v[27:28], v[173:174]
	s_waitcnt vmcnt(33)
	v_fma_f64 v[49:50], v[6:7], v[47:48], -v[49:50]
	v_fma_f64 v[47:48], v[8:9], v[47:48], v[85:86]
	ds_read_b128 v[6:9], v1 offset:1472
	v_add_f64 v[39:40], v[39:40], v[87:88]
	v_add_f64 v[31:32], v[31:32], v[41:42]
	s_waitcnt vmcnt(29) lgkmcnt(1)
	v_mul_f64 v[41:42], v[2:3], v[43:44]
	v_mul_f64 v[43:44], v[4:5], v[43:44]
	s_waitcnt vmcnt(28)
	v_fma_f64 v[73:74], v[27:28], v[190:191], -v[73:74]
	v_fma_f64 v[37:38], v[29:30], v[190:191], v[37:38]
	ds_read_b128 v[27:30], v1 offset:1488
	v_add_f64 v[39:40], v[39:40], v[49:50]
	v_add_f64 v[31:32], v[31:32], v[47:48]
	s_waitcnt vmcnt(27) lgkmcnt(1)
	v_mul_f64 v[49:50], v[8:9], v[59:60]
	v_mul_f64 v[47:48], v[6:7], v[59:60]
	s_waitcnt vmcnt(25)
	v_fma_f64 v[43:44], v[2:3], v[45:46], -v[43:44]
	v_fma_f64 v[41:42], v[4:5], v[45:46], v[41:42]
	ds_read_b128 v[2:5], v1 offset:1504
	v_add_f64 v[39:40], v[39:40], v[73:74]
	v_add_f64 v[31:32], v[31:32], v[37:38]
	s_waitcnt vmcnt(21) lgkmcnt(1)
	v_mul_f64 v[45:46], v[29:30], v[51:52]
	s_waitcnt vmcnt(20)
	v_fma_f64 v[49:50], v[6:7], v[185:186], -v[49:50]
	v_mul_f64 v[37:38], v[27:28], v[51:52]
	v_add_f64 v[39:40], v[39:40], v[43:44]
	v_fma_f64 v[43:44], v[8:9], v[185:186], v[47:48]
	v_add_f64 v[31:32], v[31:32], v[41:42]
	ds_read_b128 v[6:9], v1 offset:1520
	s_waitcnt vmcnt(19) lgkmcnt(1)
	v_mul_f64 v[47:48], v[4:5], v[63:64]
	v_mul_f64 v[41:42], v[2:3], v[63:64]
	s_waitcnt vmcnt(17)
	v_fma_f64 v[45:46], v[27:28], v[55:56], -v[45:46]
	v_fma_f64 v[37:38], v[29:30], v[55:56], v[37:38]
	ds_read_b128 v[27:30], v1 offset:1536
	v_add_f64 v[39:40], v[39:40], v[49:50]
	v_add_f64 v[31:32], v[31:32], v[43:44]
	s_waitcnt vmcnt(13) lgkmcnt(1)
	v_mul_f64 v[49:50], v[8:9], v[53:54]
	s_waitcnt vmcnt(12)
	v_fma_f64 v[47:48], v[2:3], v[71:72], -v[47:48]
	v_mul_f64 v[43:44], v[6:7], v[53:54]
	v_fma_f64 v[41:42], v[4:5], v[71:72], v[41:42]
	ds_read_b128 v[1:4], v1 offset:1552
	v_add_f64 v[39:40], v[39:40], v[45:46]
	v_add_f64 v[31:32], v[31:32], v[37:38]
	s_waitcnt vmcnt(11) lgkmcnt(1)
	v_mul_f64 v[45:46], v[29:30], v[75:76]
	v_mul_f64 v[37:38], v[27:28], v[75:76]
	s_waitcnt vmcnt(9)
	v_fma_f64 v[5:6], v[6:7], v[57:58], -v[49:50]
	v_fma_f64 v[7:8], v[8:9], v[57:58], v[43:44]
	v_add_f64 v[39:40], v[39:40], v[47:48]
	v_add_f64 v[9:10], v[31:32], v[41:42]
	s_waitcnt vmcnt(7) lgkmcnt(0)
	v_mul_f64 v[41:42], v[3:4], v[61:62]
	s_waitcnt vmcnt(6)
	v_fma_f64 v[27:28], v[27:28], v[83:84], -v[45:46]
	v_mul_f64 v[31:32], v[1:2], v[61:62]
	v_fma_f64 v[29:30], v[29:30], v[83:84], v[37:38]
	v_add_f64 v[5:6], v[39:40], v[5:6]
	v_add_f64 v[7:8], v[9:10], v[7:8]
	s_waitcnt vmcnt(4)
	v_fma_f64 v[1:2], v[1:2], v[69:70], -v[41:42]
	v_fma_f64 v[3:4], v[3:4], v[69:70], v[31:32]
	v_add_f64 v[5:6], v[5:6], v[27:28]
	v_add_f64 v[7:8], v[7:8], v[29:30]
	;; [unrolled: 1-line block ×4, first 2 shown]
	s_waitcnt vmcnt(2)
	v_add_f64 v[1:2], v[81:82], -v[1:2]
	s_waitcnt vmcnt(0)
	v_add_f64 v[3:4], v[163:164], -v[3:4]
	buffer_store_dword v2, off, s[0:3], 0 offset:340
	buffer_store_dword v1, off, s[0:3], 0 offset:336
	;; [unrolled: 1-line block ×4, first 2 shown]
	v_cmpx_lt_u32_e32 19, v0
	s_cbranch_execz .LBB48_269
; %bb.268:
	v_mov_b32_e32 v4, s42
	v_mov_b32_e32 v5, 0
	s_clause 0x3
	buffer_load_dword v1, v4, s[0:3], 0 offen
	buffer_load_dword v2, v4, s[0:3], 0 offen offset:4
	buffer_load_dword v3, v4, s[0:3], 0 offen offset:8
	;; [unrolled: 1-line block ×3, first 2 shown]
	buffer_store_dword v5, off, s[0:3], 0 offset:320
	buffer_store_dword v5, off, s[0:3], 0 offset:324
	buffer_store_dword v5, off, s[0:3], 0 offset:328
	buffer_store_dword v5, off, s[0:3], 0 offset:332
	s_waitcnt vmcnt(0)
	ds_write_b128 v11, v[1:4]
.LBB48_269:
	s_or_b32 exec_lo, exec_lo, s4
	s_waitcnt lgkmcnt(0)
	s_waitcnt_vscnt null, 0x0
	s_barrier
	buffer_gl0_inv
	s_clause 0x37
	buffer_load_dword v9, off, s[0:3], 0 offset:344
	buffer_load_dword v10, off, s[0:3], 0 offset:348
	;; [unrolled: 1-line block ×56, first 2 shown]
	v_mov_b32_e32 v16, 0
	s_mov_b32 s4, exec_lo
	ds_read_b128 v[5:8], v16 offset:1104
	s_clause 0x2
	buffer_load_dword v168, off, s[0:3], 0 offset:572
	buffer_load_dword v172, off, s[0:3], 0 offset:548
	;; [unrolled: 1-line block ×3, first 2 shown]
	ds_read_b128 v[27:30], v16 offset:1120
	s_clause 0x4
	buffer_load_dword v176, off, s[0:3], 0 offset:588
	buffer_load_dword v177, off, s[0:3], 0 offset:600
	;; [unrolled: 1-line block ×5, first 2 shown]
	ds_read_b128 v[37:40], v16 offset:1136
	s_waitcnt vmcnt(62) lgkmcnt(2)
	v_mul_f64 v[173:174], v[7:8], v[9:10]
	v_mul_f64 v[9:10], v[5:6], v[9:10]
	s_waitcnt vmcnt(60) lgkmcnt(1)
	v_mul_f64 v[180:181], v[29:30], v[31:32]
	v_mul_f64 v[31:32], v[27:28], v[31:32]
	;; [unrolled: 3-line block ×3, first 2 shown]
	v_fma_f64 v[173:174], v[5:6], v[41:42], -v[173:174]
	v_fma_f64 v[9:10], v[7:8], v[41:42], v[9:10]
	s_clause 0x2
	buffer_load_dword v178, off, s[0:3], 0 offset:604
	buffer_load_dword v42, off, s[0:3], 0 offset:580
	;; [unrolled: 1-line block ×3, first 2 shown]
	s_waitcnt vmcnt(57)
	v_fma_f64 v[27:28], v[27:28], v[1:2], -v[180:181]
	ds_read_b128 v[5:8], v16 offset:1152
	v_fma_f64 v[29:30], v[29:30], v[1:2], v[31:32]
	s_clause 0x4
	buffer_load_dword v32, off, s[0:3], 0 offset:620
	buffer_load_dword v181, off, s[0:3], 0 offset:632
	;; [unrolled: 1-line block ×5, first 2 shown]
	s_waitcnt vmcnt(56)
	v_fma_f64 v[37:38], v[37:38], v[49:50], -v[184:185]
	ds_read_b128 v[1:4], v16 offset:1168
	v_fma_f64 v[39:40], v[39:40], v[49:50], v[182:183]
	s_clause 0x2
	buffer_load_dword v182, off, s[0:3], 0 offset:636
	buffer_load_dword v50, off, s[0:3], 0 offset:612
	;; [unrolled: 1-line block ×3, first 2 shown]
	v_add_f64 v[173:174], v[173:174], 0
	v_add_f64 v[9:10], v[9:10], 0
	s_waitcnt lgkmcnt(1)
	v_mul_f64 v[187:188], v[5:6], v[43:44]
	v_mul_f64 v[43:44], v[7:8], v[43:44]
	s_waitcnt vmcnt(58) lgkmcnt(0)
	v_mul_f64 v[183:184], v[1:2], v[45:46]
	v_mul_f64 v[45:46], v[3:4], v[45:46]
	v_add_f64 v[173:174], v[173:174], v[27:28]
	v_add_f64 v[9:10], v[9:10], v[29:30]
	ds_read_b128 v[27:30], v16 offset:1184
	s_waitcnt vmcnt(56)
	v_fma_f64 v[43:44], v[5:6], v[51:52], -v[43:44]
	v_fma_f64 v[51:52], v[7:8], v[51:52], v[187:188]
	s_waitcnt vmcnt(51)
	v_fma_f64 v[45:46], v[1:2], v[47:48], -v[45:46]
	s_waitcnt lgkmcnt(0)
	v_mul_f64 v[189:190], v[27:28], v[53:54]
	v_add_f64 v[37:38], v[173:174], v[37:38]
	v_add_f64 v[9:10], v[9:10], v[39:40]
	s_clause 0x4
	buffer_load_dword v40, off, s[0:3], 0 offset:652
	buffer_load_dword v173, off, s[0:3], 0 offset:664
	;; [unrolled: 1-line block ×5, first 2 shown]
	v_mul_f64 v[53:54], v[29:30], v[53:54]
	ds_read_b128 v[5:8], v16 offset:1200
	v_add_f64 v[37:38], v[37:38], v[43:44]
	v_fma_f64 v[43:44], v[3:4], v[47:48], v[183:184]
	v_add_f64 v[9:10], v[9:10], v[51:52]
	s_clause 0x2
	buffer_load_dword v174, off, s[0:3], 0 offset:668
	buffer_load_dword v48, off, s[0:3], 0 offset:644
	;; [unrolled: 1-line block ×3, first 2 shown]
	s_waitcnt vmcnt(58) lgkmcnt(0)
	v_mul_f64 v[51:52], v[5:6], v[55:56]
	v_mul_f64 v[55:56], v[7:8], v[55:56]
	s_waitcnt vmcnt(56)
	v_fma_f64 v[53:54], v[27:28], v[59:60], -v[53:54]
	ds_read_b128 v[1:4], v16 offset:1216
	v_add_f64 v[37:38], v[37:38], v[45:46]
	v_fma_f64 v[45:46], v[29:30], v[59:60], v[189:190]
	v_add_f64 v[9:10], v[9:10], v[43:44]
	s_clause 0x4
	buffer_load_dword v44, off, s[0:3], 0 offset:684
	buffer_load_dword v59, off, s[0:3], 0 offset:696
	buffer_load_dword v183, off, s[0:3], 0 offset:688
	buffer_load_dword v43, off, s[0:3], 0 offset:680
	buffer_load_dword v189, off, s[0:3], 0 offset:660
	ds_read_b128 v[27:30], v16 offset:1232
	s_waitcnt vmcnt(57) lgkmcnt(1)
	v_mul_f64 v[184:185], v[1:2], v[61:62]
	v_mul_f64 v[61:62], v[3:4], v[61:62]
	s_waitcnt vmcnt(56)
	v_fma_f64 v[55:56], v[5:6], v[57:58], -v[55:56]
	v_fma_f64 v[51:52], v[7:8], v[57:58], v[51:52]
	v_add_f64 v[37:38], v[37:38], v[53:54]
	v_add_f64 v[9:10], v[9:10], v[45:46]
	s_clause 0x2
	buffer_load_dword v60, off, s[0:3], 0 offset:700
	buffer_load_dword v46, off, s[0:3], 0 offset:676
	;; [unrolled: 1-line block ×3, first 2 shown]
	s_waitcnt vmcnt(58) lgkmcnt(0)
	v_mul_f64 v[57:58], v[29:30], v[63:64]
	ds_read_b128 v[5:8], v16 offset:1248
	s_waitcnt vmcnt(56)
	v_fma_f64 v[61:62], v[1:2], v[71:72], -v[61:62]
	v_mul_f64 v[53:54], v[27:28], v[63:64]
	v_add_f64 v[37:38], v[37:38], v[55:56]
	v_fma_f64 v[55:56], v[3:4], v[71:72], v[184:185]
	v_add_f64 v[9:10], v[9:10], v[51:52]
	s_clause 0x4
	buffer_load_dword v52, off, s[0:3], 0 offset:716
	buffer_load_dword v63, off, s[0:3], 0 offset:728
	buffer_load_dword v71, off, s[0:3], 0 offset:720
	buffer_load_dword v51, off, s[0:3], 0 offset:712
	buffer_load_dword v184, off, s[0:3], 0 offset:692
	s_waitcnt vmcnt(57) lgkmcnt(0)
	v_mul_f64 v[190:191], v[5:6], v[73:74]
	v_mul_f64 v[72:73], v[7:8], v[73:74]
	s_waitcnt vmcnt(56)
	v_fma_f64 v[57:58], v[27:28], v[69:70], -v[57:58]
	ds_read_b128 v[1:4], v16 offset:1264
	v_fma_f64 v[53:54], v[29:30], v[69:70], v[53:54]
	v_add_f64 v[37:38], v[37:38], v[61:62]
	v_add_f64 v[9:10], v[9:10], v[55:56]
	s_clause 0x2
	buffer_load_dword v64, off, s[0:3], 0 offset:732
	buffer_load_dword v56, off, s[0:3], 0 offset:708
	buffer_load_dword v55, off, s[0:3], 0 offset:704
	ds_read_b128 v[27:30], v16 offset:1280
	s_waitcnt vmcnt(58) lgkmcnt(1)
	v_mul_f64 v[69:70], v[3:4], v[75:76]
	s_waitcnt vmcnt(56)
	v_fma_f64 v[73:74], v[5:6], v[83:84], -v[72:73]
	v_mul_f64 v[61:62], v[1:2], v[75:76]
	v_add_f64 v[37:38], v[37:38], v[57:58]
	v_fma_f64 v[57:58], v[7:8], v[83:84], v[190:191]
	v_add_f64 v[9:10], v[9:10], v[53:54]
	s_clause 0x4
	buffer_load_dword v54, off, s[0:3], 0 offset:748
	buffer_load_dword v75, off, s[0:3], 0 offset:760
	buffer_load_dword v83, off, s[0:3], 0 offset:752
	buffer_load_dword v53, off, s[0:3], 0 offset:744
	buffer_load_dword v72, off, s[0:3], 0 offset:724
	s_waitcnt vmcnt(57) lgkmcnt(0)
	v_mul_f64 v[190:191], v[27:28], v[85:86]
	v_mul_f64 v[84:85], v[29:30], v[85:86]
	s_waitcnt vmcnt(56)
	v_fma_f64 v[69:70], v[1:2], v[81:82], -v[69:70]
	ds_read_b128 v[5:8], v16 offset:1296
	v_fma_f64 v[61:62], v[3:4], v[81:82], v[61:62]
	v_add_f64 v[37:38], v[37:38], v[73:74]
	v_add_f64 v[9:10], v[9:10], v[57:58]
	s_clause 0x2
	buffer_load_dword v76, off, s[0:3], 0 offset:764
	buffer_load_dword v58, off, s[0:3], 0 offset:740
	buffer_load_dword v57, off, s[0:3], 0 offset:736
	ds_read_b128 v[1:4], v16 offset:1312
	s_waitcnt vmcnt(58) lgkmcnt(1)
	v_mul_f64 v[81:82], v[7:8], v[87:88]
	;; [unrolled: 28-line block ×3, first 2 shown]
	s_waitcnt vmcnt(56)
	v_fma_f64 v[165:166], v[1:2], v[171:172], -v[164:165]
	v_mul_f64 v[85:86], v[27:28], v[167:168]
	buffer_load_dword v164, off, s[0:3], 0 offset:788
	v_add_f64 v[37:38], v[37:38], v[81:82]
	v_fma_f64 v[81:82], v[3:4], v[171:172], v[190:191]
	v_add_f64 v[9:10], v[9:10], v[73:74]
	ds_read_b128 v[1:4], v16 offset:1360
	s_waitcnt vmcnt(53) lgkmcnt(1)
	v_mul_f64 v[167:168], v[7:8], v[175:176]
	s_waitcnt vmcnt(52)
	v_fma_f64 v[161:162], v[27:28], v[169:170], -v[161:162]
	v_mul_f64 v[73:74], v[5:6], v[175:176]
	v_fma_f64 v[85:86], v[29:30], v[169:170], v[85:86]
	ds_read_b128 v[27:30], v16 offset:1376
	v_add_f64 v[37:38], v[37:38], v[165:166]
	v_add_f64 v[9:10], v[9:10], v[81:82]
	s_waitcnt vmcnt(51) lgkmcnt(1)
	v_mul_f64 v[165:166], v[3:4], v[177:178]
	v_mul_f64 v[81:82], v[1:2], v[177:178]
	s_waitcnt vmcnt(49)
	v_fma_f64 v[167:168], v[5:6], v[41:42], -v[167:168]
	v_fma_f64 v[41:42], v[7:8], v[41:42], v[73:74]
	v_add_f64 v[37:38], v[37:38], v[161:162]
	s_waitcnt vmcnt(45) lgkmcnt(0)
	v_mul_f64 v[161:162], v[27:28], v[31:32]
	v_add_f64 v[9:10], v[9:10], v[85:86]
	s_clause 0x3
	buffer_load_dword v73, off, s[0:3], 0 offset:320
	buffer_load_dword v74, off, s[0:3], 0 offset:324
	buffer_load_dword v85, off, s[0:3], 0 offset:328
	buffer_load_dword v86, off, s[0:3], 0 offset:332
	v_mul_f64 v[31:32], v[29:30], v[31:32]
	ds_read_b128 v[5:8], v16 offset:1392
	s_waitcnt vmcnt(48)
	v_fma_f64 v[165:166], v[1:2], v[179:180], -v[165:166]
	v_fma_f64 v[81:82], v[3:4], v[179:180], v[81:82]
	ds_read_b128 v[1:4], v16 offset:1408
	v_add_f64 v[37:38], v[37:38], v[167:168]
	v_add_f64 v[9:10], v[9:10], v[41:42]
	s_waitcnt vmcnt(47) lgkmcnt(1)
	v_mul_f64 v[167:168], v[7:8], v[181:182]
	s_waitcnt vmcnt(45)
	v_fma_f64 v[31:32], v[27:28], v[49:50], -v[31:32]
	v_mul_f64 v[41:42], v[5:6], v[181:182]
	v_fma_f64 v[49:50], v[29:30], v[49:50], v[161:162]
	ds_read_b128 v[27:30], v16 offset:1424
	v_add_f64 v[37:38], v[37:38], v[165:166]
	v_add_f64 v[9:10], v[9:10], v[81:82]
	s_waitcnt vmcnt(41) lgkmcnt(1)
	v_mul_f64 v[81:82], v[1:2], v[39:40]
	v_mul_f64 v[39:40], v[3:4], v[39:40]
	s_waitcnt vmcnt(40)
	v_fma_f64 v[161:162], v[5:6], v[186:187], -v[167:168]
	v_add_f64 v[31:32], v[37:38], v[31:32]
	v_fma_f64 v[37:38], v[7:8], v[186:187], v[41:42]
	v_add_f64 v[9:10], v[9:10], v[49:50]
	ds_read_b128 v[5:8], v16 offset:1440
	s_waitcnt vmcnt(39) lgkmcnt(1)
	v_mul_f64 v[49:50], v[29:30], v[173:174]
	v_mul_f64 v[41:42], v[27:28], v[173:174]
	s_waitcnt vmcnt(37)
	v_fma_f64 v[39:40], v[1:2], v[47:48], -v[39:40]
	v_fma_f64 v[47:48], v[3:4], v[47:48], v[81:82]
	ds_read_b128 v[1:4], v16 offset:1456
	v_add_f64 v[31:32], v[31:32], v[161:162]
	v_add_f64 v[9:10], v[9:10], v[37:38]
	s_waitcnt vmcnt(33) lgkmcnt(1)
	v_mul_f64 v[37:38], v[5:6], v[43:44]
	v_mul_f64 v[43:44], v[7:8], v[43:44]
	s_waitcnt vmcnt(32)
	v_fma_f64 v[49:50], v[27:28], v[188:189], -v[49:50]
	v_add_f64 v[31:32], v[31:32], v[39:40]
	v_fma_f64 v[39:40], v[29:30], v[188:189], v[41:42]
	v_add_f64 v[9:10], v[9:10], v[47:48]
	ds_read_b128 v[27:30], v16 offset:1472
	s_waitcnt vmcnt(31) lgkmcnt(1)
	v_mul_f64 v[47:48], v[3:4], v[59:60]
	v_mul_f64 v[41:42], v[1:2], v[59:60]
	s_waitcnt vmcnt(29)
	v_fma_f64 v[43:44], v[5:6], v[45:46], -v[43:44]
	v_fma_f64 v[37:38], v[7:8], v[45:46], v[37:38]
	ds_read_b128 v[5:8], v16 offset:1488
	v_add_f64 v[31:32], v[31:32], v[49:50]
	v_add_f64 v[9:10], v[9:10], v[39:40]
	s_waitcnt vmcnt(25) lgkmcnt(1)
	v_mul_f64 v[45:46], v[29:30], v[51:52]
	s_waitcnt vmcnt(24)
	v_fma_f64 v[47:48], v[1:2], v[183:184], -v[47:48]
	v_mul_f64 v[39:40], v[27:28], v[51:52]
	v_fma_f64 v[41:42], v[3:4], v[183:184], v[41:42]
	ds_read_b128 v[1:4], v16 offset:1504
	v_add_f64 v[31:32], v[31:32], v[43:44]
	v_add_f64 v[9:10], v[9:10], v[37:38]
	s_waitcnt vmcnt(23) lgkmcnt(1)
	v_mul_f64 v[43:44], v[7:8], v[63:64]
	v_mul_f64 v[37:38], v[5:6], v[63:64]
	s_waitcnt vmcnt(21)
	v_fma_f64 v[45:46], v[27:28], v[55:56], -v[45:46]
	v_fma_f64 v[39:40], v[29:30], v[55:56], v[39:40]
	ds_read_b128 v[27:30], v16 offset:1520
	v_add_f64 v[31:32], v[31:32], v[47:48]
	v_add_f64 v[9:10], v[9:10], v[41:42]
	s_waitcnt vmcnt(17) lgkmcnt(1)
	v_mul_f64 v[47:48], v[3:4], v[53:54]
	s_waitcnt vmcnt(16)
	v_fma_f64 v[43:44], v[5:6], v[71:72], -v[43:44]
	v_mul_f64 v[41:42], v[1:2], v[53:54]
	v_fma_f64 v[37:38], v[7:8], v[71:72], v[37:38]
	ds_read_b128 v[5:8], v16 offset:1536
	v_add_f64 v[31:32], v[31:32], v[45:46]
	v_add_f64 v[9:10], v[9:10], v[39:40]
	s_waitcnt vmcnt(15) lgkmcnt(1)
	v_mul_f64 v[45:46], v[29:30], v[75:76]
	v_mul_f64 v[39:40], v[27:28], v[75:76]
	s_waitcnt vmcnt(13)
	v_fma_f64 v[47:48], v[1:2], v[57:58], -v[47:48]
	v_fma_f64 v[41:42], v[3:4], v[57:58], v[41:42]
	ds_read_b128 v[1:4], v16 offset:1552
	v_add_f64 v[31:32], v[31:32], v[43:44]
	v_add_f64 v[9:10], v[9:10], v[37:38]
	s_waitcnt vmcnt(9) lgkmcnt(1)
	v_mul_f64 v[43:44], v[7:8], v[61:62]
	s_waitcnt vmcnt(8)
	v_fma_f64 v[27:28], v[27:28], v[83:84], -v[45:46]
	v_mul_f64 v[37:38], v[5:6], v[61:62]
	v_fma_f64 v[29:30], v[29:30], v[83:84], v[39:40]
	v_add_f64 v[31:32], v[31:32], v[47:48]
	v_add_f64 v[9:10], v[9:10], v[41:42]
	s_waitcnt vmcnt(7) lgkmcnt(0)
	v_mul_f64 v[41:42], v[3:4], v[87:88]
	v_mul_f64 v[39:40], v[1:2], v[87:88]
	s_waitcnt vmcnt(5)
	v_fma_f64 v[5:6], v[5:6], v[69:70], -v[43:44]
	v_fma_f64 v[7:8], v[7:8], v[69:70], v[37:38]
	v_add_f64 v[27:28], v[31:32], v[27:28]
	v_add_f64 v[9:10], v[9:10], v[29:30]
	s_waitcnt vmcnt(4)
	v_fma_f64 v[1:2], v[1:2], v[163:164], -v[41:42]
	v_fma_f64 v[3:4], v[3:4], v[163:164], v[39:40]
	v_add_f64 v[5:6], v[27:28], v[5:6]
	v_add_f64 v[7:8], v[9:10], v[7:8]
	;; [unrolled: 1-line block ×4, first 2 shown]
	s_waitcnt vmcnt(2)
	v_add_f64 v[1:2], v[73:74], -v[1:2]
	s_waitcnt vmcnt(0)
	v_add_f64 v[3:4], v[85:86], -v[3:4]
	buffer_store_dword v2, off, s[0:3], 0 offset:324
	buffer_store_dword v1, off, s[0:3], 0 offset:320
	;; [unrolled: 1-line block ×4, first 2 shown]
	v_cmpx_lt_u32_e32 18, v0
	s_cbranch_execz .LBB48_271
; %bb.270:
	v_mov_b32_e32 v4, s43
	s_clause 0x3
	buffer_load_dword v1, v4, s[0:3], 0 offen
	buffer_load_dword v2, v4, s[0:3], 0 offen offset:4
	buffer_load_dword v3, v4, s[0:3], 0 offen offset:8
	;; [unrolled: 1-line block ×3, first 2 shown]
	buffer_store_dword v16, off, s[0:3], 0 offset:304
	buffer_store_dword v16, off, s[0:3], 0 offset:308
	;; [unrolled: 1-line block ×4, first 2 shown]
	s_waitcnt vmcnt(0)
	ds_write_b128 v11, v[1:4]
.LBB48_271:
	s_or_b32 exec_lo, exec_lo, s4
	s_waitcnt lgkmcnt(0)
	s_waitcnt_vscnt null, 0x0
	s_barrier
	buffer_gl0_inv
	s_clause 0x37
	buffer_load_dword v9, off, s[0:3], 0 offset:328
	buffer_load_dword v10, off, s[0:3], 0 offset:332
	;; [unrolled: 1-line block ×56, first 2 shown]
	ds_read_b128 v[27:30], v16 offset:1088
	s_clause 0x2
	buffer_load_dword v168, off, s[0:3], 0 offset:556
	buffer_load_dword v172, off, s[0:3], 0 offset:532
	;; [unrolled: 1-line block ×3, first 2 shown]
	ds_read_b128 v[37:40], v16 offset:1104
	s_clause 0x4
	buffer_load_dword v176, off, s[0:3], 0 offset:572
	buffer_load_dword v177, off, s[0:3], 0 offset:584
	;; [unrolled: 1-line block ×5, first 2 shown]
	ds_read_b128 v[41:44], v16 offset:1120
	s_clause 0x2
	buffer_load_dword v178, off, s[0:3], 0 offset:588
	buffer_load_dword v183, off, s[0:3], 0 offset:564
	;; [unrolled: 1-line block ×3, first 2 shown]
	s_mov_b32 s4, exec_lo
	s_waitcnt vmcnt(62) lgkmcnt(2)
	v_mul_f64 v[173:174], v[29:30], v[9:10]
	v_mul_f64 v[9:10], v[27:28], v[9:10]
	s_waitcnt lgkmcnt(1)
	v_mul_f64 v[180:181], v[39:40], v[5:6]
	s_waitcnt vmcnt(59) lgkmcnt(0)
	v_mul_f64 v[184:185], v[43:44], v[3:4]
	v_fma_f64 v[27:28], v[27:28], v[7:8], -v[173:174]
	v_mul_f64 v[173:174], v[37:38], v[5:6]
	v_fma_f64 v[9:10], v[29:30], v[7:8], v[9:10]
	s_waitcnt vmcnt(57)
	v_fma_f64 v[37:38], v[37:38], v[1:2], -v[180:181]
	ds_read_b128 v[5:8], v16 offset:1136
	v_mul_f64 v[29:30], v[41:42], v[3:4]
	s_waitcnt vmcnt(51)
	v_fma_f64 v[41:42], v[41:42], v[49:50], -v[184:185]
	v_add_f64 v[27:28], v[27:28], 0
	v_fma_f64 v[39:40], v[39:40], v[1:2], v[173:174]
	v_add_f64 v[9:10], v[9:10], 0
	s_clause 0x4
	buffer_load_dword v174, off, s[0:3], 0 offset:604
	buffer_load_dword v186, off, s[0:3], 0 offset:616
	;; [unrolled: 1-line block ×5, first 2 shown]
	s_waitcnt lgkmcnt(0)
	v_mul_f64 v[189:190], v[5:6], v[31:32]
	v_mul_f64 v[31:32], v[7:8], v[31:32]
	ds_read_b128 v[1:4], v16 offset:1152
	v_fma_f64 v[43:44], v[43:44], v[49:50], v[29:30]
	v_add_f64 v[37:38], v[27:28], v[37:38]
	v_add_f64 v[9:10], v[9:10], v[39:40]
	s_clause 0x2
	buffer_load_dword v187, off, s[0:3], 0 offset:620
	buffer_load_dword v40, off, s[0:3], 0 offset:596
	;; [unrolled: 1-line block ×3, first 2 shown]
	s_waitcnt vmcnt(58) lgkmcnt(0)
	v_mul_f64 v[49:50], v[1:2], v[45:46]
	v_mul_f64 v[45:46], v[3:4], v[45:46]
	s_waitcnt vmcnt(56)
	v_fma_f64 v[31:32], v[5:6], v[51:52], -v[31:32]
	ds_read_b128 v[27:30], v16 offset:1168
	v_add_f64 v[37:38], v[37:38], v[41:42]
	v_fma_f64 v[41:42], v[7:8], v[51:52], v[189:190]
	v_add_f64 v[9:10], v[9:10], v[43:44]
	s_clause 0x4
	buffer_load_dword v44, off, s[0:3], 0 offset:636
	buffer_load_dword v51, off, s[0:3], 0 offset:648
	buffer_load_dword v184, off, s[0:3], 0 offset:640
	buffer_load_dword v43, off, s[0:3], 0 offset:632
	buffer_load_dword v189, off, s[0:3], 0 offset:612
	ds_read_b128 v[5:8], v16 offset:1184
	s_waitcnt vmcnt(57) lgkmcnt(1)
	v_mul_f64 v[190:191], v[27:28], v[53:54]
	v_mul_f64 v[53:54], v[29:30], v[53:54]
	s_waitcnt vmcnt(56)
	v_fma_f64 v[45:46], v[1:2], v[47:48], -v[45:46]
	v_add_f64 v[31:32], v[37:38], v[31:32]
	v_fma_f64 v[37:38], v[3:4], v[47:48], v[49:50]
	v_add_f64 v[9:10], v[9:10], v[41:42]
	s_clause 0x2
	buffer_load_dword v52, off, s[0:3], 0 offset:652
	buffer_load_dword v42, off, s[0:3], 0 offset:628
	;; [unrolled: 1-line block ×3, first 2 shown]
	s_waitcnt vmcnt(58) lgkmcnt(0)
	v_mul_f64 v[49:50], v[7:8], v[55:56]
	ds_read_b128 v[1:4], v16 offset:1200
	s_waitcnt vmcnt(56)
	v_fma_f64 v[53:54], v[27:28], v[59:60], -v[53:54]
	v_mul_f64 v[47:48], v[5:6], v[55:56]
	v_add_f64 v[31:32], v[31:32], v[45:46]
	v_fma_f64 v[45:46], v[29:30], v[59:60], v[190:191]
	v_add_f64 v[9:10], v[9:10], v[37:38]
	s_clause 0x4
	buffer_load_dword v38, off, s[0:3], 0 offset:668
	buffer_load_dword v55, off, s[0:3], 0 offset:680
	buffer_load_dword v59, off, s[0:3], 0 offset:672
	buffer_load_dword v37, off, s[0:3], 0 offset:664
	buffer_load_dword v185, off, s[0:3], 0 offset:644
	s_waitcnt vmcnt(57) lgkmcnt(0)
	v_mul_f64 v[190:191], v[1:2], v[61:62]
	v_mul_f64 v[60:61], v[3:4], v[61:62]
	s_waitcnt vmcnt(56)
	v_fma_f64 v[49:50], v[5:6], v[57:58], -v[49:50]
	ds_read_b128 v[27:30], v16 offset:1216
	v_fma_f64 v[47:48], v[7:8], v[57:58], v[47:48]
	v_add_f64 v[31:32], v[31:32], v[53:54]
	v_add_f64 v[9:10], v[9:10], v[45:46]
	s_clause 0x2
	buffer_load_dword v56, off, s[0:3], 0 offset:684
	buffer_load_dword v46, off, s[0:3], 0 offset:660
	buffer_load_dword v45, off, s[0:3], 0 offset:656
	ds_read_b128 v[5:8], v16 offset:1232
	s_waitcnt vmcnt(58) lgkmcnt(1)
	v_mul_f64 v[57:58], v[29:30], v[63:64]
	s_waitcnt vmcnt(56)
	v_fma_f64 v[61:62], v[1:2], v[71:72], -v[60:61]
	v_mul_f64 v[53:54], v[27:28], v[63:64]
	v_add_f64 v[31:32], v[31:32], v[49:50]
	v_fma_f64 v[49:50], v[3:4], v[71:72], v[190:191]
	v_add_f64 v[9:10], v[9:10], v[47:48]
	s_clause 0x4
	buffer_load_dword v48, off, s[0:3], 0 offset:700
	buffer_load_dword v63, off, s[0:3], 0 offset:712
	buffer_load_dword v71, off, s[0:3], 0 offset:704
	buffer_load_dword v47, off, s[0:3], 0 offset:696
	buffer_load_dword v60, off, s[0:3], 0 offset:676
	s_waitcnt vmcnt(57) lgkmcnt(0)
	v_mul_f64 v[190:191], v[5:6], v[73:74]
	v_mul_f64 v[72:73], v[7:8], v[73:74]
	s_waitcnt vmcnt(56)
	v_fma_f64 v[57:58], v[27:28], v[69:70], -v[57:58]
	ds_read_b128 v[1:4], v16 offset:1248
	v_fma_f64 v[53:54], v[29:30], v[69:70], v[53:54]
	v_add_f64 v[31:32], v[31:32], v[61:62]
	v_add_f64 v[9:10], v[9:10], v[49:50]
	s_clause 0x2
	buffer_load_dword v64, off, s[0:3], 0 offset:716
	buffer_load_dword v50, off, s[0:3], 0 offset:692
	buffer_load_dword v49, off, s[0:3], 0 offset:688
	ds_read_b128 v[27:30], v16 offset:1264
	s_waitcnt vmcnt(58) lgkmcnt(1)
	v_mul_f64 v[69:70], v[3:4], v[75:76]
	;; [unrolled: 28-line block ×4, first 2 shown]
	s_waitcnt vmcnt(56)
	v_fma_f64 v[165:166], v[1:2], v[171:172], -v[164:165]
	v_mul_f64 v[85:86], v[27:28], v[167:168]
	v_add_f64 v[31:32], v[31:32], v[81:82]
	v_fma_f64 v[81:82], v[3:4], v[171:172], v[190:191]
	v_add_f64 v[9:10], v[9:10], v[73:74]
	s_clause 0x2
	buffer_load_dword v74, off, s[0:3], 0 offset:796
	buffer_load_dword v73, off, s[0:3], 0 offset:792
	;; [unrolled: 1-line block ×3, first 2 shown]
	s_waitcnt vmcnt(55) lgkmcnt(0)
	v_mul_f64 v[171:172], v[7:8], v[175:176]
	s_waitcnt vmcnt(54)
	v_fma_f64 v[161:162], v[27:28], v[169:170], -v[161:162]
	ds_read_b128 v[1:4], v16 offset:1344
	v_mul_f64 v[167:168], v[5:6], v[175:176]
	v_fma_f64 v[85:86], v[29:30], v[169:170], v[85:86]
	v_add_f64 v[31:32], v[31:32], v[165:166]
	v_add_f64 v[9:10], v[9:10], v[81:82]
	s_clause 0x1
	buffer_load_dword v82, off, s[0:3], 0 offset:788
	buffer_load_dword v81, off, s[0:3], 0 offset:784
	s_waitcnt vmcnt(55) lgkmcnt(0)
	v_mul_f64 v[169:170], v[3:4], v[177:178]
	s_waitcnt vmcnt(53)
	v_fma_f64 v[171:172], v[5:6], v[182:183], -v[171:172]
	ds_read_b128 v[27:30], v16 offset:1360
	v_mul_f64 v[165:166], v[1:2], v[177:178]
	v_add_f64 v[31:32], v[31:32], v[161:162]
	v_fma_f64 v[161:162], v[7:8], v[182:183], v[167:168]
	v_add_f64 v[9:10], v[9:10], v[85:86]
	ds_read_b128 v[5:8], v16 offset:1376
	s_waitcnt vmcnt(49) lgkmcnt(1)
	v_mul_f64 v[167:168], v[29:30], v[173:174]
	s_waitcnt vmcnt(48)
	v_fma_f64 v[169:170], v[1:2], v[179:180], -v[169:170]
	v_mul_f64 v[85:86], v[27:28], v[173:174]
	v_fma_f64 v[165:166], v[3:4], v[179:180], v[165:166]
	v_add_f64 v[31:32], v[31:32], v[171:172]
	v_add_f64 v[9:10], v[9:10], v[161:162]
	s_clause 0x3
	buffer_load_dword v161, off, s[0:3], 0 offset:304
	buffer_load_dword v162, off, s[0:3], 0 offset:308
	;; [unrolled: 1-line block ×4, first 2 shown]
	ds_read_b128 v[1:4], v16 offset:1392
	s_waitcnt vmcnt(51) lgkmcnt(1)
	v_mul_f64 v[175:176], v[7:8], v[186:187]
	v_mul_f64 v[173:174], v[5:6], v[186:187]
	s_waitcnt vmcnt(49)
	v_fma_f64 v[167:168], v[27:28], v[39:40], -v[167:168]
	v_fma_f64 v[39:40], v[29:30], v[39:40], v[85:86]
	ds_read_b128 v[27:30], v16 offset:1408
	v_add_f64 v[31:32], v[31:32], v[169:170]
	v_add_f64 v[9:10], v[9:10], v[165:166]
	s_waitcnt vmcnt(45) lgkmcnt(1)
	v_mul_f64 v[85:86], v[1:2], v[43:44]
	v_mul_f64 v[43:44], v[3:4], v[43:44]
	s_waitcnt vmcnt(44)
	v_fma_f64 v[165:166], v[5:6], v[188:189], -v[175:176]
	v_add_f64 v[31:32], v[31:32], v[167:168]
	v_fma_f64 v[167:168], v[7:8], v[188:189], v[173:174]
	v_add_f64 v[9:10], v[9:10], v[39:40]
	ds_read_b128 v[5:8], v16 offset:1424
	s_waitcnt vmcnt(43) lgkmcnt(1)
	v_mul_f64 v[39:40], v[27:28], v[51:52]
	v_mul_f64 v[51:52], v[29:30], v[51:52]
	s_waitcnt vmcnt(41)
	v_fma_f64 v[43:44], v[1:2], v[41:42], -v[43:44]
	v_fma_f64 v[41:42], v[3:4], v[41:42], v[85:86]
	ds_read_b128 v[1:4], v16 offset:1440
	v_add_f64 v[31:32], v[31:32], v[165:166]
	v_add_f64 v[9:10], v[9:10], v[167:168]
	s_waitcnt vmcnt(37) lgkmcnt(1)
	v_mul_f64 v[85:86], v[5:6], v[37:38]
	v_mul_f64 v[37:38], v[7:8], v[37:38]
	s_waitcnt vmcnt(36)
	v_fma_f64 v[51:52], v[27:28], v[184:185], -v[51:52]
	v_fma_f64 v[39:40], v[29:30], v[184:185], v[39:40]
	ds_read_b128 v[27:30], v16 offset:1456
	v_add_f64 v[31:32], v[31:32], v[43:44]
	v_add_f64 v[9:10], v[9:10], v[41:42]
	;; [unrolled: 9-line block ×3, first 2 shown]
	s_waitcnt vmcnt(29) lgkmcnt(1)
	v_mul_f64 v[39:40], v[27:28], v[47:48]
	v_mul_f64 v[47:48], v[29:30], v[47:48]
	s_waitcnt vmcnt(28)
	v_fma_f64 v[43:44], v[1:2], v[59:60], -v[43:44]
	v_add_f64 v[31:32], v[31:32], v[37:38]
	v_fma_f64 v[37:38], v[3:4], v[59:60], v[41:42]
	v_add_f64 v[9:10], v[9:10], v[45:46]
	ds_read_b128 v[1:4], v16 offset:1488
	s_waitcnt vmcnt(27) lgkmcnt(1)
	v_mul_f64 v[45:46], v[7:8], v[63:64]
	v_mul_f64 v[41:42], v[5:6], v[63:64]
	s_waitcnt vmcnt(25)
	v_fma_f64 v[47:48], v[27:28], v[49:50], -v[47:48]
	v_fma_f64 v[39:40], v[29:30], v[49:50], v[39:40]
	ds_read_b128 v[27:30], v16 offset:1504
	v_add_f64 v[31:32], v[31:32], v[43:44]
	v_add_f64 v[9:10], v[9:10], v[37:38]
	s_waitcnt vmcnt(21) lgkmcnt(1)
	v_mul_f64 v[43:44], v[3:4], v[53:54]
	s_waitcnt vmcnt(20)
	v_fma_f64 v[45:46], v[5:6], v[71:72], -v[45:46]
	v_mul_f64 v[37:38], v[1:2], v[53:54]
	v_fma_f64 v[41:42], v[7:8], v[71:72], v[41:42]
	ds_read_b128 v[5:8], v16 offset:1520
	v_add_f64 v[31:32], v[31:32], v[47:48]
	v_add_f64 v[9:10], v[9:10], v[39:40]
	s_waitcnt vmcnt(19) lgkmcnt(1)
	v_mul_f64 v[47:48], v[29:30], v[75:76]
	v_mul_f64 v[39:40], v[27:28], v[75:76]
	s_waitcnt vmcnt(17)
	v_fma_f64 v[43:44], v[1:2], v[57:58], -v[43:44]
	v_fma_f64 v[37:38], v[3:4], v[57:58], v[37:38]
	ds_read_b128 v[1:4], v16 offset:1536
	v_add_f64 v[31:32], v[31:32], v[45:46]
	v_add_f64 v[9:10], v[9:10], v[41:42]
	s_waitcnt vmcnt(13) lgkmcnt(1)
	v_mul_f64 v[45:46], v[7:8], v[61:62]
	s_waitcnt vmcnt(12)
	v_fma_f64 v[47:48], v[27:28], v[83:84], -v[47:48]
	v_mul_f64 v[41:42], v[5:6], v[61:62]
	v_fma_f64 v[39:40], v[29:30], v[83:84], v[39:40]
	ds_read_b128 v[27:30], v16 offset:1552
	v_add_f64 v[31:32], v[31:32], v[43:44]
	v_add_f64 v[9:10], v[9:10], v[37:38]
	s_waitcnt vmcnt(11) lgkmcnt(1)
	v_mul_f64 v[43:44], v[3:4], v[87:88]
	v_mul_f64 v[37:38], v[1:2], v[87:88]
	s_waitcnt vmcnt(9)
	v_fma_f64 v[5:6], v[5:6], v[69:70], -v[45:46]
	v_fma_f64 v[7:8], v[7:8], v[69:70], v[41:42]
	v_add_f64 v[31:32], v[31:32], v[47:48]
	v_add_f64 v[9:10], v[9:10], v[39:40]
	s_waitcnt vmcnt(7) lgkmcnt(0)
	v_mul_f64 v[41:42], v[29:30], v[73:74]
	s_waitcnt vmcnt(6)
	v_fma_f64 v[1:2], v[1:2], v[163:164], -v[43:44]
	v_mul_f64 v[39:40], v[27:28], v[73:74]
	v_fma_f64 v[3:4], v[3:4], v[163:164], v[37:38]
	v_add_f64 v[5:6], v[31:32], v[5:6]
	v_add_f64 v[7:8], v[9:10], v[7:8]
	s_waitcnt vmcnt(4)
	v_fma_f64 v[9:10], v[27:28], v[81:82], -v[41:42]
	v_add_f64 v[1:2], v[5:6], v[1:2]
	v_fma_f64 v[5:6], v[29:30], v[81:82], v[39:40]
	v_add_f64 v[3:4], v[7:8], v[3:4]
	v_add_f64 v[1:2], v[1:2], v[9:10]
	;; [unrolled: 1-line block ×3, first 2 shown]
	s_waitcnt vmcnt(2)
	v_add_f64 v[1:2], v[161:162], -v[1:2]
	s_waitcnt vmcnt(0)
	v_add_f64 v[3:4], v[171:172], -v[3:4]
	buffer_store_dword v2, off, s[0:3], 0 offset:308
	buffer_store_dword v1, off, s[0:3], 0 offset:304
	;; [unrolled: 1-line block ×4, first 2 shown]
	v_cmpx_lt_u32_e32 17, v0
	s_cbranch_execz .LBB48_273
; %bb.272:
	v_mov_b32_e32 v4, s44
	v_mov_b32_e32 v5, 0
	s_clause 0x3
	buffer_load_dword v1, v4, s[0:3], 0 offen
	buffer_load_dword v2, v4, s[0:3], 0 offen offset:4
	buffer_load_dword v3, v4, s[0:3], 0 offen offset:8
	buffer_load_dword v4, v4, s[0:3], 0 offen offset:12
	buffer_store_dword v5, off, s[0:3], 0 offset:288
	buffer_store_dword v5, off, s[0:3], 0 offset:292
	;; [unrolled: 1-line block ×4, first 2 shown]
	s_waitcnt vmcnt(0)
	ds_write_b128 v11, v[1:4]
.LBB48_273:
	s_or_b32 exec_lo, exec_lo, s4
	s_waitcnt lgkmcnt(0)
	s_waitcnt_vscnt null, 0x0
	s_barrier
	buffer_gl0_inv
	s_clause 0x37
	buffer_load_dword v9, off, s[0:3], 0 offset:312
	buffer_load_dword v10, off, s[0:3], 0 offset:316
	;; [unrolled: 1-line block ×56, first 2 shown]
	v_mov_b32_e32 v16, 0
	s_mov_b32 s4, exec_lo
	ds_read_b128 v[37:40], v16 offset:1072
	s_clause 0x2
	buffer_load_dword v168, off, s[0:3], 0 offset:540
	buffer_load_dword v172, off, s[0:3], 0 offset:516
	;; [unrolled: 1-line block ×3, first 2 shown]
	ds_read_b128 v[41:44], v16 offset:1088
	s_clause 0x4
	buffer_load_dword v176, off, s[0:3], 0 offset:556
	buffer_load_dword v177, off, s[0:3], 0 offset:568
	buffer_load_dword v179, off, s[0:3], 0 offset:560
	buffer_load_dword v175, off, s[0:3], 0 offset:552
	buffer_load_dword v170, off, s[0:3], 0 offset:532
	ds_read_b128 v[45:48], v16 offset:1104
	s_clause 0x2
	buffer_load_dword v178, off, s[0:3], 0 offset:572
	buffer_load_dword v183, off, s[0:3], 0 offset:548
	;; [unrolled: 1-line block ×3, first 2 shown]
	s_waitcnt vmcnt(62) lgkmcnt(2)
	v_mul_f64 v[173:174], v[39:40], v[9:10]
	v_mul_f64 v[9:10], v[37:38], v[9:10]
	s_waitcnt lgkmcnt(1)
	v_mul_f64 v[180:181], v[43:44], v[5:6]
	s_waitcnt vmcnt(59) lgkmcnt(0)
	v_mul_f64 v[184:185], v[47:48], v[3:4]
	v_fma_f64 v[37:38], v[37:38], v[7:8], -v[173:174]
	v_mul_f64 v[173:174], v[41:42], v[5:6]
	v_fma_f64 v[9:10], v[39:40], v[7:8], v[9:10]
	s_waitcnt vmcnt(57)
	v_fma_f64 v[41:42], v[41:42], v[1:2], -v[180:181]
	ds_read_b128 v[5:8], v16 offset:1120
	v_mul_f64 v[39:40], v[45:46], v[3:4]
	s_waitcnt vmcnt(51)
	v_fma_f64 v[45:46], v[45:46], v[51:52], -v[184:185]
	v_add_f64 v[37:38], v[37:38], 0
	v_fma_f64 v[43:44], v[43:44], v[1:2], v[173:174]
	v_add_f64 v[9:10], v[9:10], 0
	s_clause 0x4
	buffer_load_dword v174, off, s[0:3], 0 offset:588
	buffer_load_dword v186, off, s[0:3], 0 offset:600
	;; [unrolled: 1-line block ×5, first 2 shown]
	s_waitcnt lgkmcnt(0)
	v_mul_f64 v[189:190], v[5:6], v[29:30]
	v_mul_f64 v[29:30], v[7:8], v[29:30]
	ds_read_b128 v[1:4], v16 offset:1136
	v_fma_f64 v[47:48], v[47:48], v[51:52], v[39:40]
	v_add_f64 v[41:42], v[37:38], v[41:42]
	v_add_f64 v[9:10], v[9:10], v[43:44]
	s_clause 0x2
	buffer_load_dword v187, off, s[0:3], 0 offset:604
	buffer_load_dword v44, off, s[0:3], 0 offset:580
	;; [unrolled: 1-line block ×3, first 2 shown]
	s_waitcnt vmcnt(58) lgkmcnt(0)
	v_mul_f64 v[51:52], v[1:2], v[49:50]
	v_mul_f64 v[49:50], v[3:4], v[49:50]
	s_waitcnt vmcnt(56)
	v_fma_f64 v[29:30], v[5:6], v[53:54], -v[29:30]
	ds_read_b128 v[37:40], v16 offset:1152
	v_add_f64 v[41:42], v[41:42], v[45:46]
	v_fma_f64 v[45:46], v[7:8], v[53:54], v[189:190]
	v_add_f64 v[9:10], v[9:10], v[47:48]
	s_clause 0x4
	buffer_load_dword v48, off, s[0:3], 0 offset:620
	buffer_load_dword v53, off, s[0:3], 0 offset:632
	;; [unrolled: 1-line block ×5, first 2 shown]
	ds_read_b128 v[5:8], v16 offset:1168
	s_waitcnt vmcnt(57) lgkmcnt(1)
	v_mul_f64 v[190:191], v[37:38], v[55:56]
	v_mul_f64 v[55:56], v[39:40], v[55:56]
	s_waitcnt vmcnt(56)
	v_fma_f64 v[49:50], v[1:2], v[27:28], -v[49:50]
	v_fma_f64 v[27:28], v[3:4], v[27:28], v[51:52]
	v_add_f64 v[29:30], v[41:42], v[29:30]
	s_clause 0x2
	buffer_load_dword v54, off, s[0:3], 0 offset:636
	buffer_load_dword v42, off, s[0:3], 0 offset:612
	;; [unrolled: 1-line block ×3, first 2 shown]
	v_add_f64 v[9:10], v[9:10], v[45:46]
	s_waitcnt vmcnt(58) lgkmcnt(0)
	v_mul_f64 v[51:52], v[7:8], v[57:58]
	ds_read_b128 v[1:4], v16 offset:1184
	v_mul_f64 v[45:46], v[5:6], v[57:58]
	s_waitcnt vmcnt(56)
	v_fma_f64 v[37:38], v[37:38], v[59:60], -v[55:56]
	v_fma_f64 v[39:40], v[39:40], v[59:60], v[190:191]
	s_clause 0x4
	buffer_load_dword v56, off, s[0:3], 0 offset:652
	buffer_load_dword v57, off, s[0:3], 0 offset:664
	;; [unrolled: 1-line block ×5, first 2 shown]
	v_add_f64 v[49:50], v[29:30], v[49:50]
	v_add_f64 v[9:10], v[9:10], v[27:28]
	s_waitcnt vmcnt(57) lgkmcnt(0)
	v_mul_f64 v[190:191], v[1:2], v[61:62]
	v_mul_f64 v[60:61], v[3:4], v[61:62]
	s_waitcnt vmcnt(56)
	v_fma_f64 v[51:52], v[5:6], v[31:32], -v[51:52]
	ds_read_b128 v[27:30], v16 offset:1200
	v_fma_f64 v[31:32], v[7:8], v[31:32], v[45:46]
	v_add_f64 v[37:38], v[49:50], v[37:38]
	v_add_f64 v[9:10], v[9:10], v[39:40]
	s_clause 0x2
	buffer_load_dword v58, off, s[0:3], 0 offset:668
	buffer_load_dword v40, off, s[0:3], 0 offset:644
	;; [unrolled: 1-line block ×3, first 2 shown]
	s_waitcnt vmcnt(58) lgkmcnt(0)
	v_mul_f64 v[49:50], v[29:30], v[63:64]
	s_waitcnt vmcnt(56)
	v_fma_f64 v[61:62], v[1:2], v[71:72], -v[60:61]
	ds_read_b128 v[5:8], v16 offset:1216
	v_mul_f64 v[45:46], v[27:28], v[63:64]
	v_add_f64 v[37:38], v[37:38], v[51:52]
	v_fma_f64 v[51:52], v[3:4], v[71:72], v[190:191]
	v_add_f64 v[9:10], v[9:10], v[31:32]
	s_clause 0x4
	buffer_load_dword v32, off, s[0:3], 0 offset:684
	buffer_load_dword v63, off, s[0:3], 0 offset:696
	buffer_load_dword v71, off, s[0:3], 0 offset:688
	buffer_load_dword v31, off, s[0:3], 0 offset:680
	buffer_load_dword v60, off, s[0:3], 0 offset:660
	s_waitcnt vmcnt(57) lgkmcnt(0)
	v_mul_f64 v[190:191], v[5:6], v[73:74]
	v_mul_f64 v[72:73], v[7:8], v[73:74]
	s_waitcnt vmcnt(56)
	v_fma_f64 v[49:50], v[27:28], v[69:70], -v[49:50]
	ds_read_b128 v[1:4], v16 offset:1232
	v_fma_f64 v[45:46], v[29:30], v[69:70], v[45:46]
	v_add_f64 v[37:38], v[37:38], v[61:62]
	v_add_f64 v[9:10], v[9:10], v[51:52]
	s_clause 0x2
	buffer_load_dword v64, off, s[0:3], 0 offset:700
	buffer_load_dword v52, off, s[0:3], 0 offset:676
	buffer_load_dword v51, off, s[0:3], 0 offset:672
	ds_read_b128 v[27:30], v16 offset:1248
	s_waitcnt vmcnt(58) lgkmcnt(1)
	v_mul_f64 v[69:70], v[3:4], v[75:76]
	s_waitcnt vmcnt(56)
	v_fma_f64 v[73:74], v[5:6], v[83:84], -v[72:73]
	v_mul_f64 v[61:62], v[1:2], v[75:76]
	v_add_f64 v[37:38], v[37:38], v[49:50]
	v_fma_f64 v[49:50], v[7:8], v[83:84], v[190:191]
	v_add_f64 v[9:10], v[9:10], v[45:46]
	s_clause 0x4
	buffer_load_dword v46, off, s[0:3], 0 offset:716
	buffer_load_dword v75, off, s[0:3], 0 offset:728
	buffer_load_dword v83, off, s[0:3], 0 offset:720
	buffer_load_dword v45, off, s[0:3], 0 offset:712
	buffer_load_dword v72, off, s[0:3], 0 offset:692
	s_waitcnt vmcnt(57) lgkmcnt(0)
	v_mul_f64 v[190:191], v[27:28], v[85:86]
	v_mul_f64 v[84:85], v[29:30], v[85:86]
	s_waitcnt vmcnt(56)
	v_fma_f64 v[69:70], v[1:2], v[81:82], -v[69:70]
	ds_read_b128 v[5:8], v16 offset:1264
	v_fma_f64 v[61:62], v[3:4], v[81:82], v[61:62]
	v_add_f64 v[37:38], v[37:38], v[73:74]
	v_add_f64 v[9:10], v[9:10], v[49:50]
	s_clause 0x2
	buffer_load_dword v76, off, s[0:3], 0 offset:732
	buffer_load_dword v50, off, s[0:3], 0 offset:708
	buffer_load_dword v49, off, s[0:3], 0 offset:704
	ds_read_b128 v[1:4], v16 offset:1280
	s_waitcnt vmcnt(58) lgkmcnt(1)
	v_mul_f64 v[81:82], v[7:8], v[87:88]
	s_waitcnt vmcnt(56)
	v_fma_f64 v[85:86], v[27:28], v[163:164], -v[84:85]
	;; [unrolled: 28-line block ×4, first 2 shown]
	v_mul_f64 v[165:166], v[1:2], v[177:178]
	buffer_load_dword v172, off, s[0:3], 0 offset:788
	v_add_f64 v[37:38], v[37:38], v[161:162]
	v_fma_f64 v[161:162], v[7:8], v[182:183], v[190:191]
	v_add_f64 v[9:10], v[9:10], v[85:86]
	ds_read_b128 v[5:8], v16 offset:1360
	s_waitcnt vmcnt(53) lgkmcnt(1)
	v_mul_f64 v[85:86], v[27:28], v[173:174]
	v_mul_f64 v[173:174], v[29:30], v[173:174]
	s_waitcnt vmcnt(52)
	v_fma_f64 v[169:170], v[1:2], v[179:180], -v[169:170]
	v_fma_f64 v[165:166], v[3:4], v[179:180], v[165:166]
	ds_read_b128 v[1:4], v16 offset:1376
	v_add_f64 v[37:38], v[37:38], v[175:176]
	v_add_f64 v[9:10], v[9:10], v[161:162]
	s_waitcnt vmcnt(51) lgkmcnt(1)
	v_mul_f64 v[175:176], v[7:8], v[186:187]
	v_mul_f64 v[161:162], v[5:6], v[186:187]
	s_waitcnt vmcnt(49)
	v_fma_f64 v[173:174], v[27:28], v[43:44], -v[173:174]
	v_fma_f64 v[43:44], v[29:30], v[43:44], v[85:86]
	v_add_f64 v[37:38], v[37:38], v[169:170]
	v_add_f64 v[9:10], v[9:10], v[165:166]
	s_clause 0x3
	buffer_load_dword v85, off, s[0:3], 0 offset:288
	buffer_load_dword v86, off, s[0:3], 0 offset:292
	;; [unrolled: 1-line block ×4, first 2 shown]
	ds_read_b128 v[27:30], v16 offset:1392
	s_waitcnt vmcnt(49) lgkmcnt(1)
	v_mul_f64 v[169:170], v[1:2], v[47:48]
	v_mul_f64 v[47:48], v[3:4], v[47:48]
	s_waitcnt vmcnt(48)
	v_fma_f64 v[175:176], v[5:6], v[188:189], -v[175:176]
	v_fma_f64 v[161:162], v[7:8], v[188:189], v[161:162]
	ds_read_b128 v[5:8], v16 offset:1408
	v_add_f64 v[37:38], v[37:38], v[173:174]
	v_add_f64 v[9:10], v[9:10], v[43:44]
	s_waitcnt vmcnt(47) lgkmcnt(1)
	v_mul_f64 v[43:44], v[27:28], v[53:54]
	v_mul_f64 v[53:54], v[29:30], v[53:54]
	s_waitcnt vmcnt(45)
	v_fma_f64 v[47:48], v[1:2], v[41:42], -v[47:48]
	v_fma_f64 v[41:42], v[3:4], v[41:42], v[169:170]
	ds_read_b128 v[1:4], v16 offset:1424
	v_add_f64 v[37:38], v[37:38], v[175:176]
	v_add_f64 v[9:10], v[9:10], v[161:162]
	s_waitcnt vmcnt(41) lgkmcnt(1)
	v_mul_f64 v[161:162], v[5:6], v[55:56]
	v_mul_f64 v[55:56], v[7:8], v[55:56]
	s_waitcnt vmcnt(40)
	v_fma_f64 v[43:44], v[29:30], v[184:185], v[43:44]
	v_fma_f64 v[53:54], v[27:28], v[184:185], -v[53:54]
	ds_read_b128 v[27:30], v16 offset:1440
	v_add_f64 v[37:38], v[37:38], v[47:48]
	v_add_f64 v[9:10], v[9:10], v[41:42]
	s_waitcnt vmcnt(39) lgkmcnt(1)
	v_mul_f64 v[47:48], v[3:4], v[57:58]
	v_mul_f64 v[41:42], v[1:2], v[57:58]
	s_waitcnt vmcnt(37)
	v_fma_f64 v[55:56], v[5:6], v[39:40], -v[55:56]
	v_fma_f64 v[39:40], v[7:8], v[39:40], v[161:162]
	ds_read_b128 v[5:8], v16 offset:1456
	v_add_f64 v[37:38], v[37:38], v[53:54]
	v_add_f64 v[9:10], v[9:10], v[43:44]
	s_waitcnt vmcnt(33) lgkmcnt(1)
	v_mul_f64 v[43:44], v[27:28], v[31:32]
	v_mul_f64 v[31:32], v[29:30], v[31:32]
	s_waitcnt vmcnt(32)
	v_fma_f64 v[47:48], v[1:2], v[59:60], -v[47:48]
	v_fma_f64 v[41:42], v[3:4], v[59:60], v[41:42]
	;; [unrolled: 9-line block ×3, first 2 shown]
	ds_read_b128 v[27:30], v16 offset:1488
	v_add_f64 v[37:38], v[37:38], v[47:48]
	v_add_f64 v[9:10], v[9:10], v[41:42]
	s_waitcnt vmcnt(25) lgkmcnt(1)
	v_mul_f64 v[41:42], v[1:2], v[45:46]
	v_mul_f64 v[45:46], v[3:4], v[45:46]
	s_waitcnt vmcnt(24)
	v_fma_f64 v[47:48], v[5:6], v[71:72], -v[53:54]
	v_add_f64 v[31:32], v[37:38], v[31:32]
	v_fma_f64 v[37:38], v[7:8], v[71:72], v[39:40]
	v_add_f64 v[9:10], v[9:10], v[43:44]
	ds_read_b128 v[5:8], v16 offset:1504
	s_waitcnt vmcnt(23) lgkmcnt(1)
	v_mul_f64 v[43:44], v[29:30], v[75:76]
	v_mul_f64 v[39:40], v[27:28], v[75:76]
	s_waitcnt vmcnt(21)
	v_fma_f64 v[45:46], v[1:2], v[49:50], -v[45:46]
	v_fma_f64 v[41:42], v[3:4], v[49:50], v[41:42]
	ds_read_b128 v[1:4], v16 offset:1520
	v_add_f64 v[31:32], v[31:32], v[47:48]
	v_add_f64 v[9:10], v[9:10], v[37:38]
	s_waitcnt vmcnt(17) lgkmcnt(1)
	v_mul_f64 v[47:48], v[7:8], v[61:62]
	s_waitcnt vmcnt(16)
	v_fma_f64 v[43:44], v[27:28], v[83:84], -v[43:44]
	v_mul_f64 v[37:38], v[5:6], v[61:62]
	v_fma_f64 v[39:40], v[29:30], v[83:84], v[39:40]
	ds_read_b128 v[27:30], v16 offset:1536
	v_add_f64 v[31:32], v[31:32], v[45:46]
	v_add_f64 v[9:10], v[9:10], v[41:42]
	s_waitcnt vmcnt(15) lgkmcnt(1)
	v_mul_f64 v[45:46], v[3:4], v[87:88]
	v_mul_f64 v[41:42], v[1:2], v[87:88]
	s_waitcnt vmcnt(13)
	v_fma_f64 v[47:48], v[5:6], v[69:70], -v[47:48]
	v_fma_f64 v[37:38], v[7:8], v[69:70], v[37:38]
	ds_read_b128 v[5:8], v16 offset:1552
	v_add_f64 v[31:32], v[31:32], v[43:44]
	v_add_f64 v[9:10], v[9:10], v[39:40]
	s_waitcnt vmcnt(9) lgkmcnt(1)
	v_mul_f64 v[43:44], v[29:30], v[73:74]
	s_waitcnt vmcnt(8)
	v_fma_f64 v[1:2], v[1:2], v[163:164], -v[45:46]
	v_mul_f64 v[39:40], v[27:28], v[73:74]
	v_fma_f64 v[3:4], v[3:4], v[163:164], v[41:42]
	v_add_f64 v[31:32], v[31:32], v[47:48]
	v_add_f64 v[9:10], v[9:10], v[37:38]
	s_waitcnt vmcnt(7) lgkmcnt(0)
	v_mul_f64 v[41:42], v[7:8], v[167:168]
	v_mul_f64 v[37:38], v[5:6], v[167:168]
	s_waitcnt vmcnt(5)
	v_fma_f64 v[27:28], v[27:28], v[81:82], -v[43:44]
	v_fma_f64 v[29:30], v[29:30], v[81:82], v[39:40]
	v_add_f64 v[1:2], v[31:32], v[1:2]
	v_add_f64 v[3:4], v[9:10], v[3:4]
	s_waitcnt vmcnt(4)
	v_fma_f64 v[5:6], v[5:6], v[171:172], -v[41:42]
	v_fma_f64 v[7:8], v[7:8], v[171:172], v[37:38]
	v_add_f64 v[1:2], v[1:2], v[27:28]
	v_add_f64 v[3:4], v[3:4], v[29:30]
	v_add_f64 v[1:2], v[1:2], v[5:6]
	v_add_f64 v[3:4], v[3:4], v[7:8]
	s_waitcnt vmcnt(2)
	v_add_f64 v[1:2], v[85:86], -v[1:2]
	s_waitcnt vmcnt(0)
	v_add_f64 v[3:4], v[165:166], -v[3:4]
	buffer_store_dword v2, off, s[0:3], 0 offset:292
	buffer_store_dword v1, off, s[0:3], 0 offset:288
	;; [unrolled: 1-line block ×4, first 2 shown]
	v_cmpx_lt_u32_e32 16, v0
	s_cbranch_execz .LBB48_275
; %bb.274:
	v_mov_b32_e32 v4, s45
	s_clause 0x3
	buffer_load_dword v1, v4, s[0:3], 0 offen
	buffer_load_dword v2, v4, s[0:3], 0 offen offset:4
	buffer_load_dword v3, v4, s[0:3], 0 offen offset:8
	;; [unrolled: 1-line block ×3, first 2 shown]
	buffer_store_dword v16, off, s[0:3], 0 offset:272
	buffer_store_dword v16, off, s[0:3], 0 offset:276
	;; [unrolled: 1-line block ×4, first 2 shown]
	s_waitcnt vmcnt(0)
	ds_write_b128 v11, v[1:4]
.LBB48_275:
	s_or_b32 exec_lo, exec_lo, s4
	s_waitcnt lgkmcnt(0)
	s_waitcnt_vscnt null, 0x0
	s_barrier
	buffer_gl0_inv
	s_clause 0x37
	buffer_load_dword v9, off, s[0:3], 0 offset:296
	buffer_load_dword v10, off, s[0:3], 0 offset:300
	;; [unrolled: 1-line block ×56, first 2 shown]
	ds_read_b128 v[49:52], v16 offset:1056
	s_clause 0x2
	buffer_load_dword v168, off, s[0:3], 0 offset:524
	buffer_load_dword v172, off, s[0:3], 0 offset:500
	;; [unrolled: 1-line block ×3, first 2 shown]
	ds_read_b128 v[53:56], v16 offset:1072
	s_clause 0x4
	buffer_load_dword v176, off, s[0:3], 0 offset:540
	buffer_load_dword v177, off, s[0:3], 0 offset:552
	;; [unrolled: 1-line block ×5, first 2 shown]
	ds_read_b128 v[57:60], v16 offset:1088
	s_clause 0x2
	buffer_load_dword v178, off, s[0:3], 0 offset:556
	buffer_load_dword v183, off, s[0:3], 0 offset:532
	buffer_load_dword v182, off, s[0:3], 0 offset:528
	s_mov_b32 s4, exec_lo
	s_waitcnt vmcnt(62) lgkmcnt(2)
	v_mul_f64 v[173:174], v[51:52], v[9:10]
	v_mul_f64 v[9:10], v[49:50], v[9:10]
	s_waitcnt lgkmcnt(1)
	v_mul_f64 v[180:181], v[55:56], v[5:6]
	s_waitcnt vmcnt(59) lgkmcnt(0)
	v_mul_f64 v[184:185], v[59:60], v[3:4]
	v_fma_f64 v[49:50], v[49:50], v[7:8], -v[173:174]
	v_mul_f64 v[173:174], v[53:54], v[5:6]
	v_fma_f64 v[9:10], v[51:52], v[7:8], v[9:10]
	s_waitcnt vmcnt(57)
	v_fma_f64 v[53:54], v[53:54], v[1:2], -v[180:181]
	ds_read_b128 v[5:8], v16 offset:1104
	v_mul_f64 v[51:52], v[57:58], v[3:4]
	s_waitcnt vmcnt(51)
	v_fma_f64 v[57:58], v[57:58], v[45:46], -v[184:185]
	v_add_f64 v[49:50], v[49:50], 0
	v_fma_f64 v[55:56], v[55:56], v[1:2], v[173:174]
	v_add_f64 v[9:10], v[9:10], 0
	s_clause 0x4
	buffer_load_dword v174, off, s[0:3], 0 offset:572
	buffer_load_dword v186, off, s[0:3], 0 offset:584
	;; [unrolled: 1-line block ×5, first 2 shown]
	s_waitcnt lgkmcnt(0)
	v_mul_f64 v[189:190], v[5:6], v[29:30]
	v_mul_f64 v[29:30], v[7:8], v[29:30]
	ds_read_b128 v[1:4], v16 offset:1120
	v_fma_f64 v[45:46], v[59:60], v[45:46], v[51:52]
	v_add_f64 v[53:54], v[49:50], v[53:54]
	v_add_f64 v[9:10], v[9:10], v[55:56]
	s_clause 0x2
	buffer_load_dword v187, off, s[0:3], 0 offset:588
	buffer_load_dword v56, off, s[0:3], 0 offset:564
	;; [unrolled: 1-line block ×3, first 2 shown]
	s_waitcnt vmcnt(58) lgkmcnt(0)
	v_mul_f64 v[59:60], v[1:2], v[37:38]
	v_mul_f64 v[37:38], v[3:4], v[37:38]
	s_waitcnt vmcnt(56)
	v_fma_f64 v[29:30], v[5:6], v[39:40], -v[29:30]
	ds_read_b128 v[49:52], v16 offset:1136
	v_fma_f64 v[39:40], v[7:8], v[39:40], v[189:190]
	v_add_f64 v[53:54], v[53:54], v[57:58]
	v_add_f64 v[9:10], v[9:10], v[45:46]
	s_clause 0x4
	buffer_load_dword v46, off, s[0:3], 0 offset:604
	buffer_load_dword v57, off, s[0:3], 0 offset:616
	;; [unrolled: 1-line block ×5, first 2 shown]
	ds_read_b128 v[5:8], v16 offset:1152
	s_waitcnt vmcnt(57) lgkmcnt(1)
	v_mul_f64 v[190:191], v[49:50], v[41:42]
	v_mul_f64 v[41:42], v[51:52], v[41:42]
	s_waitcnt vmcnt(56)
	v_fma_f64 v[37:38], v[1:2], v[27:28], -v[37:38]
	v_fma_f64 v[27:28], v[3:4], v[27:28], v[59:60]
	v_add_f64 v[29:30], v[53:54], v[29:30]
	v_add_f64 v[9:10], v[9:10], v[39:40]
	s_clause 0x2
	buffer_load_dword v58, off, s[0:3], 0 offset:620
	buffer_load_dword v40, off, s[0:3], 0 offset:596
	;; [unrolled: 1-line block ×3, first 2 shown]
	s_waitcnt vmcnt(58) lgkmcnt(0)
	v_mul_f64 v[53:54], v[5:6], v[47:48]
	v_mul_f64 v[47:48], v[7:8], v[47:48]
	s_waitcnt vmcnt(56)
	v_fma_f64 v[41:42], v[49:50], v[61:62], -v[41:42]
	ds_read_b128 v[1:4], v16 offset:1168
	v_fma_f64 v[49:50], v[51:52], v[61:62], v[190:191]
	s_clause 0x4
	buffer_load_dword v52, off, s[0:3], 0 offset:636
	buffer_load_dword v59, off, s[0:3], 0 offset:648
	;; [unrolled: 1-line block ×5, first 2 shown]
	v_add_f64 v[37:38], v[29:30], v[37:38]
	v_add_f64 v[9:10], v[9:10], v[27:28]
	ds_read_b128 v[27:30], v16 offset:1184
	s_waitcnt vmcnt(57) lgkmcnt(1)
	v_mul_f64 v[190:191], v[1:2], v[63:64]
	v_mul_f64 v[62:63], v[3:4], v[63:64]
	s_waitcnt vmcnt(56)
	v_fma_f64 v[47:48], v[5:6], v[31:32], -v[47:48]
	v_fma_f64 v[31:32], v[7:8], v[31:32], v[53:54]
	v_add_f64 v[37:38], v[37:38], v[41:42]
	s_clause 0x2
	buffer_load_dword v60, off, s[0:3], 0 offset:652
	buffer_load_dword v42, off, s[0:3], 0 offset:628
	;; [unrolled: 1-line block ×3, first 2 shown]
	v_add_f64 v[9:10], v[9:10], v[49:50]
	s_waitcnt vmcnt(58) lgkmcnt(0)
	v_mul_f64 v[53:54], v[29:30], v[69:70]
	ds_read_b128 v[5:8], v16 offset:1200
	v_mul_f64 v[49:50], v[27:28], v[69:70]
	s_waitcnt vmcnt(56)
	v_fma_f64 v[63:64], v[1:2], v[71:72], -v[62:63]
	v_add_f64 v[37:38], v[37:38], v[47:48]
	v_fma_f64 v[47:48], v[3:4], v[71:72], v[190:191]
	v_add_f64 v[9:10], v[9:10], v[31:32]
	s_clause 0x4
	buffer_load_dword v32, off, s[0:3], 0 offset:668
	buffer_load_dword v69, off, s[0:3], 0 offset:680
	buffer_load_dword v71, off, s[0:3], 0 offset:672
	buffer_load_dword v31, off, s[0:3], 0 offset:664
	buffer_load_dword v62, off, s[0:3], 0 offset:644
	s_waitcnt vmcnt(57) lgkmcnt(0)
	v_mul_f64 v[190:191], v[5:6], v[73:74]
	v_mul_f64 v[72:73], v[7:8], v[73:74]
	s_waitcnt vmcnt(56)
	v_fma_f64 v[53:54], v[27:28], v[43:44], -v[53:54]
	ds_read_b128 v[1:4], v16 offset:1216
	v_fma_f64 v[43:44], v[29:30], v[43:44], v[49:50]
	v_add_f64 v[37:38], v[37:38], v[63:64]
	v_add_f64 v[9:10], v[9:10], v[47:48]
	s_clause 0x2
	buffer_load_dword v70, off, s[0:3], 0 offset:684
	buffer_load_dword v48, off, s[0:3], 0 offset:660
	buffer_load_dword v47, off, s[0:3], 0 offset:656
	ds_read_b128 v[27:30], v16 offset:1232
	s_waitcnt vmcnt(58) lgkmcnt(1)
	v_mul_f64 v[63:64], v[3:4], v[75:76]
	s_waitcnt vmcnt(56)
	v_fma_f64 v[73:74], v[5:6], v[83:84], -v[72:73]
	v_mul_f64 v[49:50], v[1:2], v[75:76]
	v_add_f64 v[37:38], v[37:38], v[53:54]
	v_fma_f64 v[53:54], v[7:8], v[83:84], v[190:191]
	v_add_f64 v[9:10], v[9:10], v[43:44]
	s_clause 0x4
	buffer_load_dword v44, off, s[0:3], 0 offset:700
	buffer_load_dword v75, off, s[0:3], 0 offset:712
	buffer_load_dword v83, off, s[0:3], 0 offset:704
	buffer_load_dword v43, off, s[0:3], 0 offset:696
	buffer_load_dword v72, off, s[0:3], 0 offset:676
	s_waitcnt vmcnt(57) lgkmcnt(0)
	v_mul_f64 v[190:191], v[27:28], v[85:86]
	v_mul_f64 v[84:85], v[29:30], v[85:86]
	s_waitcnt vmcnt(56)
	v_fma_f64 v[63:64], v[1:2], v[81:82], -v[63:64]
	ds_read_b128 v[5:8], v16 offset:1248
	v_fma_f64 v[49:50], v[3:4], v[81:82], v[49:50]
	v_add_f64 v[37:38], v[37:38], v[73:74]
	v_add_f64 v[9:10], v[9:10], v[53:54]
	s_clause 0x2
	buffer_load_dword v76, off, s[0:3], 0 offset:716
	buffer_load_dword v54, off, s[0:3], 0 offset:692
	buffer_load_dword v53, off, s[0:3], 0 offset:688
	ds_read_b128 v[1:4], v16 offset:1264
	s_waitcnt vmcnt(58) lgkmcnt(1)
	v_mul_f64 v[81:82], v[7:8], v[87:88]
	s_waitcnt vmcnt(56)
	v_fma_f64 v[85:86], v[27:28], v[163:164], -v[84:85]
	v_mul_f64 v[73:74], v[5:6], v[87:88]
	;; [unrolled: 28-line block ×4, first 2 shown]
	v_add_f64 v[37:38], v[37:38], v[161:162]
	v_fma_f64 v[161:162], v[7:8], v[182:183], v[190:191]
	v_add_f64 v[9:10], v[9:10], v[85:86]
	s_clause 0x2
	buffer_load_dword v86, off, s[0:3], 0 offset:796
	buffer_load_dword v85, off, s[0:3], 0 offset:792
	;; [unrolled: 1-line block ×3, first 2 shown]
	ds_read_b128 v[5:8], v16 offset:1344
	s_waitcnt vmcnt(55) lgkmcnt(1)
	v_mul_f64 v[177:178], v[27:28], v[173:174]
	v_mul_f64 v[173:174], v[29:30], v[173:174]
	s_waitcnt vmcnt(54)
	v_fma_f64 v[169:170], v[1:2], v[179:180], -v[169:170]
	v_fma_f64 v[165:166], v[3:4], v[179:180], v[165:166]
	v_add_f64 v[37:38], v[37:38], v[175:176]
	v_add_f64 v[9:10], v[9:10], v[161:162]
	s_clause 0x1
	buffer_load_dword v162, off, s[0:3], 0 offset:788
	buffer_load_dword v161, off, s[0:3], 0 offset:784
	ds_read_b128 v[1:4], v16 offset:1360
	s_waitcnt vmcnt(55) lgkmcnt(1)
	v_mul_f64 v[179:180], v[7:8], v[186:187]
	v_mul_f64 v[175:176], v[5:6], v[186:187]
	s_waitcnt vmcnt(53)
	v_fma_f64 v[173:174], v[27:28], v[55:56], -v[173:174]
	v_fma_f64 v[55:56], v[29:30], v[55:56], v[177:178]
	ds_read_b128 v[27:30], v16 offset:1376
	v_add_f64 v[37:38], v[37:38], v[169:170]
	v_add_f64 v[9:10], v[9:10], v[165:166]
	s_waitcnt vmcnt(49) lgkmcnt(1)
	v_mul_f64 v[165:166], v[1:2], v[45:46]
	v_mul_f64 v[45:46], v[3:4], v[45:46]
	s_waitcnt vmcnt(48)
	v_fma_f64 v[169:170], v[5:6], v[188:189], -v[179:180]
	v_add_f64 v[37:38], v[37:38], v[173:174]
	v_fma_f64 v[173:174], v[7:8], v[188:189], v[175:176]
	v_add_f64 v[9:10], v[9:10], v[55:56]
	s_clause 0x3
	buffer_load_dword v55, off, s[0:3], 0 offset:272
	buffer_load_dword v56, off, s[0:3], 0 offset:276
	;; [unrolled: 1-line block ×4, first 2 shown]
	ds_read_b128 v[5:8], v16 offset:1392
	s_waitcnt vmcnt(51) lgkmcnt(1)
	v_mul_f64 v[177:178], v[27:28], v[57:58]
	v_mul_f64 v[57:58], v[29:30], v[57:58]
	s_waitcnt vmcnt(49)
	v_fma_f64 v[45:46], v[1:2], v[39:40], -v[45:46]
	v_fma_f64 v[39:40], v[3:4], v[39:40], v[165:166]
	ds_read_b128 v[1:4], v16 offset:1408
	v_add_f64 v[37:38], v[37:38], v[169:170]
	v_add_f64 v[9:10], v[9:10], v[173:174]
	s_waitcnt vmcnt(45) lgkmcnt(1)
	v_mul_f64 v[165:166], v[5:6], v[51:52]
	v_mul_f64 v[51:52], v[7:8], v[51:52]
	s_waitcnt vmcnt(44)
	v_fma_f64 v[57:58], v[27:28], v[184:185], -v[57:58]
	v_add_f64 v[37:38], v[37:38], v[45:46]
	v_fma_f64 v[45:46], v[29:30], v[184:185], v[177:178]
	v_add_f64 v[9:10], v[9:10], v[39:40]
	ds_read_b128 v[27:30], v16 offset:1424
	s_waitcnt vmcnt(43) lgkmcnt(1)
	v_mul_f64 v[39:40], v[1:2], v[59:60]
	v_mul_f64 v[59:60], v[3:4], v[59:60]
	s_waitcnt vmcnt(41)
	v_fma_f64 v[51:52], v[5:6], v[41:42], -v[51:52]
	v_fma_f64 v[41:42], v[7:8], v[41:42], v[165:166]
	ds_read_b128 v[5:8], v16 offset:1440
	v_add_f64 v[37:38], v[37:38], v[57:58]
	v_add_f64 v[9:10], v[9:10], v[45:46]
	s_waitcnt vmcnt(37) lgkmcnt(1)
	v_mul_f64 v[45:46], v[27:28], v[31:32]
	v_mul_f64 v[31:32], v[29:30], v[31:32]
	s_waitcnt vmcnt(36)
	v_fma_f64 v[57:58], v[1:2], v[61:62], -v[59:60]
	v_fma_f64 v[39:40], v[3:4], v[61:62], v[39:40]
	ds_read_b128 v[1:4], v16 offset:1456
	v_add_f64 v[37:38], v[37:38], v[51:52]
	v_add_f64 v[9:10], v[9:10], v[41:42]
	;; [unrolled: 9-line block ×3, first 2 shown]
	s_waitcnt vmcnt(29) lgkmcnt(1)
	v_mul_f64 v[39:40], v[1:2], v[43:44]
	v_mul_f64 v[43:44], v[3:4], v[43:44]
	s_waitcnt vmcnt(28)
	v_fma_f64 v[47:48], v[5:6], v[71:72], -v[51:52]
	v_add_f64 v[31:32], v[37:38], v[31:32]
	v_fma_f64 v[37:38], v[7:8], v[71:72], v[41:42]
	v_add_f64 v[9:10], v[9:10], v[45:46]
	ds_read_b128 v[5:8], v16 offset:1488
	s_waitcnt vmcnt(27) lgkmcnt(1)
	v_mul_f64 v[45:46], v[29:30], v[75:76]
	v_mul_f64 v[41:42], v[27:28], v[75:76]
	s_waitcnt vmcnt(25)
	v_fma_f64 v[43:44], v[1:2], v[53:54], -v[43:44]
	v_fma_f64 v[39:40], v[3:4], v[53:54], v[39:40]
	ds_read_b128 v[1:4], v16 offset:1504
	v_add_f64 v[31:32], v[31:32], v[47:48]
	v_add_f64 v[9:10], v[9:10], v[37:38]
	s_waitcnt vmcnt(21) lgkmcnt(1)
	v_mul_f64 v[47:48], v[7:8], v[49:50]
	s_waitcnt vmcnt(20)
	v_fma_f64 v[45:46], v[27:28], v[83:84], -v[45:46]
	v_mul_f64 v[37:38], v[5:6], v[49:50]
	v_fma_f64 v[41:42], v[29:30], v[83:84], v[41:42]
	ds_read_b128 v[27:30], v16 offset:1520
	v_add_f64 v[31:32], v[31:32], v[43:44]
	v_add_f64 v[9:10], v[9:10], v[39:40]
	s_waitcnt vmcnt(19) lgkmcnt(1)
	v_mul_f64 v[43:44], v[3:4], v[87:88]
	v_mul_f64 v[39:40], v[1:2], v[87:88]
	s_waitcnt vmcnt(17)
	v_fma_f64 v[47:48], v[5:6], v[63:64], -v[47:48]
	v_fma_f64 v[37:38], v[7:8], v[63:64], v[37:38]
	ds_read_b128 v[5:8], v16 offset:1536
	v_add_f64 v[31:32], v[31:32], v[45:46]
	v_add_f64 v[9:10], v[9:10], v[41:42]
	s_waitcnt vmcnt(13) lgkmcnt(1)
	v_mul_f64 v[45:46], v[29:30], v[73:74]
	s_waitcnt vmcnt(12)
	v_fma_f64 v[43:44], v[1:2], v[163:164], -v[43:44]
	v_mul_f64 v[41:42], v[27:28], v[73:74]
	v_fma_f64 v[39:40], v[3:4], v[163:164], v[39:40]
	ds_read_b128 v[1:4], v16 offset:1552
	v_add_f64 v[31:32], v[31:32], v[47:48]
	v_add_f64 v[9:10], v[9:10], v[37:38]
	s_waitcnt vmcnt(11) lgkmcnt(1)
	v_mul_f64 v[47:48], v[7:8], v[167:168]
	v_mul_f64 v[37:38], v[5:6], v[167:168]
	s_waitcnt vmcnt(9)
	v_fma_f64 v[27:28], v[27:28], v[81:82], -v[45:46]
	v_fma_f64 v[29:30], v[29:30], v[81:82], v[41:42]
	v_add_f64 v[31:32], v[31:32], v[43:44]
	v_add_f64 v[9:10], v[9:10], v[39:40]
	s_waitcnt vmcnt(7) lgkmcnt(0)
	v_mul_f64 v[41:42], v[3:4], v[85:86]
	s_waitcnt vmcnt(6)
	v_fma_f64 v[5:6], v[5:6], v[171:172], -v[47:48]
	v_mul_f64 v[39:40], v[1:2], v[85:86]
	v_fma_f64 v[7:8], v[7:8], v[171:172], v[37:38]
	v_add_f64 v[27:28], v[31:32], v[27:28]
	v_add_f64 v[9:10], v[9:10], v[29:30]
	s_waitcnt vmcnt(4)
	v_fma_f64 v[1:2], v[1:2], v[161:162], -v[41:42]
	v_fma_f64 v[3:4], v[3:4], v[161:162], v[39:40]
	v_add_f64 v[5:6], v[27:28], v[5:6]
	v_add_f64 v[7:8], v[9:10], v[7:8]
	;; [unrolled: 1-line block ×4, first 2 shown]
	s_waitcnt vmcnt(2)
	v_add_f64 v[1:2], v[55:56], -v[1:2]
	s_waitcnt vmcnt(0)
	v_add_f64 v[3:4], v[175:176], -v[3:4]
	buffer_store_dword v2, off, s[0:3], 0 offset:276
	buffer_store_dword v1, off, s[0:3], 0 offset:272
	;; [unrolled: 1-line block ×4, first 2 shown]
	v_cmpx_lt_u32_e32 15, v0
	s_cbranch_execz .LBB48_277
; %bb.276:
	v_mov_b32_e32 v4, s46
	v_mov_b32_e32 v5, 0
	s_clause 0x3
	buffer_load_dword v1, v4, s[0:3], 0 offen
	buffer_load_dword v2, v4, s[0:3], 0 offen offset:4
	buffer_load_dword v3, v4, s[0:3], 0 offen offset:8
	;; [unrolled: 1-line block ×3, first 2 shown]
	buffer_store_dword v5, off, s[0:3], 0 offset:256
	buffer_store_dword v5, off, s[0:3], 0 offset:260
	buffer_store_dword v5, off, s[0:3], 0 offset:264
	buffer_store_dword v5, off, s[0:3], 0 offset:268
	s_waitcnt vmcnt(0)
	ds_write_b128 v11, v[1:4]
.LBB48_277:
	s_or_b32 exec_lo, exec_lo, s4
	s_waitcnt lgkmcnt(0)
	s_waitcnt_vscnt null, 0x0
	s_barrier
	buffer_gl0_inv
	s_clause 0x37
	buffer_load_dword v9, off, s[0:3], 0 offset:280
	buffer_load_dword v10, off, s[0:3], 0 offset:284
	;; [unrolled: 1-line block ×56, first 2 shown]
	v_mov_b32_e32 v16, 0
	s_mov_b32 s4, exec_lo
	ds_read_b128 v[59:62], v16 offset:1040
	s_clause 0x2
	buffer_load_dword v168, off, s[0:3], 0 offset:508
	buffer_load_dword v172, off, s[0:3], 0 offset:484
	;; [unrolled: 1-line block ×3, first 2 shown]
	ds_read_b128 v[69:72], v16 offset:1056
	s_clause 0x4
	buffer_load_dword v176, off, s[0:3], 0 offset:524
	buffer_load_dword v177, off, s[0:3], 0 offset:536
	;; [unrolled: 1-line block ×5, first 2 shown]
	ds_read_b128 v[73:76], v16 offset:1072
	s_clause 0x2
	buffer_load_dword v178, off, s[0:3], 0 offset:540
	buffer_load_dword v183, off, s[0:3], 0 offset:516
	;; [unrolled: 1-line block ×3, first 2 shown]
	s_waitcnt vmcnt(62) lgkmcnt(2)
	v_mul_f64 v[173:174], v[61:62], v[9:10]
	v_mul_f64 v[9:10], v[59:60], v[9:10]
	s_waitcnt lgkmcnt(1)
	v_mul_f64 v[180:181], v[71:72], v[5:6]
	s_waitcnt vmcnt(59) lgkmcnt(0)
	v_mul_f64 v[184:185], v[75:76], v[3:4]
	v_fma_f64 v[59:60], v[59:60], v[7:8], -v[173:174]
	v_mul_f64 v[173:174], v[69:70], v[5:6]
	v_fma_f64 v[9:10], v[61:62], v[7:8], v[9:10]
	s_waitcnt vmcnt(57)
	v_fma_f64 v[69:70], v[69:70], v[1:2], -v[180:181]
	ds_read_b128 v[5:8], v16 offset:1088
	v_mul_f64 v[61:62], v[73:74], v[3:4]
	s_waitcnt vmcnt(51)
	v_fma_f64 v[73:74], v[73:74], v[45:46], -v[184:185]
	v_add_f64 v[59:60], v[59:60], 0
	v_fma_f64 v[71:72], v[71:72], v[1:2], v[173:174]
	v_add_f64 v[9:10], v[9:10], 0
	s_clause 0x4
	buffer_load_dword v174, off, s[0:3], 0 offset:556
	buffer_load_dword v186, off, s[0:3], 0 offset:568
	buffer_load_dword v188, off, s[0:3], 0 offset:560
	buffer_load_dword v173, off, s[0:3], 0 offset:552
	buffer_load_dword v180, off, s[0:3], 0 offset:532
	s_waitcnt lgkmcnt(0)
	v_mul_f64 v[189:190], v[5:6], v[29:30]
	v_mul_f64 v[29:30], v[7:8], v[29:30]
	ds_read_b128 v[1:4], v16 offset:1104
	v_fma_f64 v[45:46], v[75:76], v[45:46], v[61:62]
	v_add_f64 v[69:70], v[59:60], v[69:70]
	v_add_f64 v[9:10], v[9:10], v[71:72]
	s_clause 0x2
	buffer_load_dword v187, off, s[0:3], 0 offset:572
	buffer_load_dword v72, off, s[0:3], 0 offset:548
	;; [unrolled: 1-line block ×3, first 2 shown]
	s_waitcnt vmcnt(58) lgkmcnt(0)
	v_mul_f64 v[75:76], v[1:2], v[37:38]
	v_mul_f64 v[37:38], v[3:4], v[37:38]
	s_waitcnt vmcnt(56)
	v_fma_f64 v[29:30], v[5:6], v[39:40], -v[29:30]
	ds_read_b128 v[59:62], v16 offset:1120
	v_fma_f64 v[39:40], v[7:8], v[39:40], v[189:190]
	v_add_f64 v[69:70], v[69:70], v[73:74]
	v_add_f64 v[9:10], v[9:10], v[45:46]
	s_clause 0x4
	buffer_load_dword v46, off, s[0:3], 0 offset:588
	buffer_load_dword v73, off, s[0:3], 0 offset:600
	;; [unrolled: 1-line block ×5, first 2 shown]
	ds_read_b128 v[5:8], v16 offset:1136
	s_waitcnt vmcnt(57) lgkmcnt(1)
	v_mul_f64 v[190:191], v[59:60], v[41:42]
	v_mul_f64 v[41:42], v[61:62], v[41:42]
	s_waitcnt vmcnt(56)
	v_fma_f64 v[37:38], v[1:2], v[27:28], -v[37:38]
	v_fma_f64 v[27:28], v[3:4], v[27:28], v[75:76]
	v_add_f64 v[29:30], v[69:70], v[29:30]
	v_add_f64 v[9:10], v[9:10], v[39:40]
	s_clause 0x2
	buffer_load_dword v74, off, s[0:3], 0 offset:604
	buffer_load_dword v40, off, s[0:3], 0 offset:580
	;; [unrolled: 1-line block ×3, first 2 shown]
	s_waitcnt vmcnt(58) lgkmcnt(0)
	v_mul_f64 v[69:70], v[5:6], v[47:48]
	v_mul_f64 v[47:48], v[7:8], v[47:48]
	s_waitcnt vmcnt(56)
	v_fma_f64 v[41:42], v[59:60], v[49:50], -v[41:42]
	ds_read_b128 v[1:4], v16 offset:1152
	v_fma_f64 v[49:50], v[61:62], v[49:50], v[190:191]
	s_clause 0x4
	buffer_load_dword v60, off, s[0:3], 0 offset:620
	buffer_load_dword v61, off, s[0:3], 0 offset:632
	;; [unrolled: 1-line block ×5, first 2 shown]
	v_add_f64 v[37:38], v[29:30], v[37:38]
	v_add_f64 v[9:10], v[9:10], v[27:28]
	ds_read_b128 v[27:30], v16 offset:1168
	s_waitcnt vmcnt(57) lgkmcnt(1)
	v_mul_f64 v[190:191], v[1:2], v[51:52]
	v_mul_f64 v[51:52], v[3:4], v[51:52]
	s_waitcnt vmcnt(56)
	v_fma_f64 v[47:48], v[5:6], v[31:32], -v[47:48]
	v_fma_f64 v[31:32], v[7:8], v[31:32], v[69:70]
	v_add_f64 v[37:38], v[37:38], v[41:42]
	s_clause 0x2
	buffer_load_dword v62, off, s[0:3], 0 offset:636
	buffer_load_dword v42, off, s[0:3], 0 offset:612
	;; [unrolled: 1-line block ×3, first 2 shown]
	v_add_f64 v[9:10], v[9:10], v[49:50]
	s_waitcnt vmcnt(58) lgkmcnt(0)
	v_mul_f64 v[49:50], v[27:28], v[55:56]
	v_mul_f64 v[55:56], v[29:30], v[55:56]
	ds_read_b128 v[5:8], v16 offset:1184
	s_waitcnt vmcnt(56)
	v_fma_f64 v[51:52], v[1:2], v[57:58], -v[51:52]
	v_add_f64 v[37:38], v[37:38], v[47:48]
	v_fma_f64 v[47:48], v[3:4], v[57:58], v[190:191]
	v_add_f64 v[9:10], v[9:10], v[31:32]
	s_clause 0x4
	buffer_load_dword v32, off, s[0:3], 0 offset:652
	buffer_load_dword v57, off, s[0:3], 0 offset:664
	;; [unrolled: 1-line block ×5, first 2 shown]
	s_waitcnt vmcnt(57) lgkmcnt(0)
	v_mul_f64 v[190:191], v[5:6], v[63:64]
	v_mul_f64 v[63:64], v[7:8], v[63:64]
	s_waitcnt vmcnt(56)
	v_fma_f64 v[55:56], v[27:28], v[43:44], -v[55:56]
	ds_read_b128 v[1:4], v16 offset:1200
	v_fma_f64 v[43:44], v[29:30], v[43:44], v[49:50]
	v_add_f64 v[37:38], v[37:38], v[51:52]
	v_add_f64 v[9:10], v[9:10], v[47:48]
	s_clause 0x2
	buffer_load_dword v58, off, s[0:3], 0 offset:668
	buffer_load_dword v48, off, s[0:3], 0 offset:644
	buffer_load_dword v47, off, s[0:3], 0 offset:640
	ds_read_b128 v[27:30], v16 offset:1216
	s_waitcnt vmcnt(58) lgkmcnt(1)
	v_mul_f64 v[51:52], v[3:4], v[81:82]
	s_waitcnt vmcnt(56)
	v_fma_f64 v[63:64], v[5:6], v[83:84], -v[63:64]
	v_mul_f64 v[49:50], v[1:2], v[81:82]
	v_add_f64 v[37:38], v[37:38], v[55:56]
	v_fma_f64 v[55:56], v[7:8], v[83:84], v[190:191]
	v_add_f64 v[9:10], v[9:10], v[43:44]
	s_clause 0x4
	buffer_load_dword v44, off, s[0:3], 0 offset:684
	buffer_load_dword v81, off, s[0:3], 0 offset:696
	;; [unrolled: 1-line block ×5, first 2 shown]
	s_waitcnt vmcnt(57) lgkmcnt(0)
	v_mul_f64 v[190:191], v[27:28], v[85:86]
	v_mul_f64 v[84:85], v[29:30], v[85:86]
	s_waitcnt vmcnt(56)
	v_fma_f64 v[51:52], v[1:2], v[53:54], -v[51:52]
	ds_read_b128 v[5:8], v16 offset:1232
	v_fma_f64 v[49:50], v[3:4], v[53:54], v[49:50]
	s_clause 0x2
	buffer_load_dword v82, off, s[0:3], 0 offset:700
	buffer_load_dword v54, off, s[0:3], 0 offset:676
	buffer_load_dword v53, off, s[0:3], 0 offset:672
	ds_read_b128 v[1:4], v16 offset:1248
	v_add_f64 v[37:38], v[37:38], v[63:64]
	v_add_f64 v[9:10], v[9:10], v[55:56]
	s_waitcnt vmcnt(58) lgkmcnt(1)
	v_mul_f64 v[63:64], v[7:8], v[87:88]
	s_waitcnt vmcnt(56)
	v_fma_f64 v[85:86], v[27:28], v[163:164], -v[84:85]
	v_mul_f64 v[55:56], v[5:6], v[87:88]
	v_add_f64 v[37:38], v[37:38], v[51:52]
	v_fma_f64 v[51:52], v[29:30], v[163:164], v[190:191]
	v_add_f64 v[9:10], v[9:10], v[49:50]
	s_clause 0x4
	buffer_load_dword v50, off, s[0:3], 0 offset:716
	buffer_load_dword v87, off, s[0:3], 0 offset:728
	;; [unrolled: 1-line block ×5, first 2 shown]
	s_waitcnt vmcnt(57) lgkmcnt(0)
	v_mul_f64 v[190:191], v[1:2], v[165:166]
	v_mul_f64 v[164:165], v[3:4], v[165:166]
	s_waitcnt vmcnt(56)
	v_fma_f64 v[63:64], v[5:6], v[161:162], -v[63:64]
	ds_read_b128 v[27:30], v16 offset:1264
	v_fma_f64 v[55:56], v[7:8], v[161:162], v[55:56]
	v_add_f64 v[37:38], v[37:38], v[85:86]
	v_add_f64 v[9:10], v[9:10], v[51:52]
	s_clause 0x2
	buffer_load_dword v88, off, s[0:3], 0 offset:732
	buffer_load_dword v52, off, s[0:3], 0 offset:708
	;; [unrolled: 1-line block ×3, first 2 shown]
	ds_read_b128 v[5:8], v16 offset:1280
	s_waitcnt vmcnt(58) lgkmcnt(1)
	v_mul_f64 v[161:162], v[29:30], v[167:168]
	s_waitcnt vmcnt(56)
	v_fma_f64 v[165:166], v[1:2], v[171:172], -v[164:165]
	v_mul_f64 v[85:86], v[27:28], v[167:168]
	v_add_f64 v[37:38], v[37:38], v[63:64]
	v_fma_f64 v[63:64], v[3:4], v[171:172], v[190:191]
	v_add_f64 v[9:10], v[9:10], v[55:56]
	s_clause 0x4
	buffer_load_dword v56, off, s[0:3], 0 offset:748
	buffer_load_dword v167, off, s[0:3], 0 offset:760
	;; [unrolled: 1-line block ×5, first 2 shown]
	s_waitcnt vmcnt(57) lgkmcnt(0)
	v_mul_f64 v[190:191], v[5:6], v[175:176]
	v_mul_f64 v[175:176], v[7:8], v[175:176]
	s_waitcnt vmcnt(56)
	v_fma_f64 v[161:162], v[27:28], v[169:170], -v[161:162]
	ds_read_b128 v[1:4], v16 offset:1296
	v_fma_f64 v[85:86], v[29:30], v[169:170], v[85:86]
	v_add_f64 v[37:38], v[37:38], v[165:166]
	v_add_f64 v[9:10], v[9:10], v[63:64]
	s_clause 0x2
	buffer_load_dword v168, off, s[0:3], 0 offset:764
	buffer_load_dword v64, off, s[0:3], 0 offset:740
	;; [unrolled: 1-line block ×3, first 2 shown]
	ds_read_b128 v[27:30], v16 offset:1312
	s_waitcnt vmcnt(58) lgkmcnt(1)
	v_mul_f64 v[169:170], v[3:4], v[177:178]
	s_waitcnt vmcnt(56)
	v_fma_f64 v[175:176], v[5:6], v[182:183], -v[175:176]
	v_mul_f64 v[165:166], v[1:2], v[177:178]
	v_add_f64 v[37:38], v[37:38], v[161:162]
	v_fma_f64 v[161:162], v[7:8], v[182:183], v[190:191]
	v_add_f64 v[9:10], v[9:10], v[85:86]
	s_clause 0x4
	buffer_load_dword v86, off, s[0:3], 0 offset:780
	buffer_load_dword v177, off, s[0:3], 0 offset:792
	;; [unrolled: 1-line block ×5, first 2 shown]
	ds_read_b128 v[5:8], v16 offset:1328
	s_waitcnt vmcnt(57) lgkmcnt(1)
	v_mul_f64 v[182:183], v[27:28], v[173:174]
	v_mul_f64 v[173:174], v[29:30], v[173:174]
	s_waitcnt vmcnt(56)
	v_fma_f64 v[169:170], v[1:2], v[179:180], -v[169:170]
	v_fma_f64 v[165:166], v[3:4], v[179:180], v[165:166]
	v_add_f64 v[37:38], v[37:38], v[175:176]
	v_add_f64 v[9:10], v[9:10], v[161:162]
	s_clause 0x2
	buffer_load_dword v178, off, s[0:3], 0 offset:796
	buffer_load_dword v162, off, s[0:3], 0 offset:772
	;; [unrolled: 1-line block ×3, first 2 shown]
	ds_read_b128 v[1:4], v16 offset:1344
	s_waitcnt vmcnt(58) lgkmcnt(1)
	v_mul_f64 v[179:180], v[7:8], v[186:187]
	v_mul_f64 v[175:176], v[5:6], v[186:187]
	s_waitcnt vmcnt(56)
	v_fma_f64 v[173:174], v[27:28], v[71:72], -v[173:174]
	v_fma_f64 v[71:72], v[29:30], v[71:72], v[182:183]
	buffer_load_dword v182, off, s[0:3], 0 offset:788
	ds_read_b128 v[27:30], v16 offset:1360
	v_add_f64 v[37:38], v[37:38], v[169:170]
	v_add_f64 v[9:10], v[9:10], v[165:166]
	s_waitcnt vmcnt(53) lgkmcnt(1)
	v_mul_f64 v[165:166], v[1:2], v[45:46]
	v_mul_f64 v[45:46], v[3:4], v[45:46]
	s_waitcnt vmcnt(52)
	v_fma_f64 v[169:170], v[5:6], v[188:189], -v[179:180]
	v_add_f64 v[37:38], v[37:38], v[173:174]
	v_fma_f64 v[173:174], v[7:8], v[188:189], v[175:176]
	v_add_f64 v[9:10], v[9:10], v[71:72]
	ds_read_b128 v[5:8], v16 offset:1376
	s_waitcnt vmcnt(51) lgkmcnt(1)
	v_mul_f64 v[71:72], v[27:28], v[73:74]
	v_mul_f64 v[73:74], v[29:30], v[73:74]
	s_waitcnt vmcnt(49)
	v_fma_f64 v[45:46], v[1:2], v[39:40], -v[45:46]
	v_fma_f64 v[39:40], v[3:4], v[39:40], v[165:166]
	v_add_f64 v[37:38], v[37:38], v[169:170]
	s_clause 0x3
	buffer_load_dword v165, off, s[0:3], 0 offset:256
	buffer_load_dword v166, off, s[0:3], 0 offset:260
	;; [unrolled: 1-line block ×4, first 2 shown]
	v_add_f64 v[9:10], v[9:10], v[173:174]
	s_waitcnt vmcnt(49) lgkmcnt(0)
	v_mul_f64 v[173:174], v[5:6], v[59:60]
	v_mul_f64 v[59:60], v[7:8], v[59:60]
	ds_read_b128 v[1:4], v16 offset:1392
	s_waitcnt vmcnt(48)
	v_fma_f64 v[73:74], v[27:28], v[184:185], -v[73:74]
	v_add_f64 v[37:38], v[37:38], v[45:46]
	v_fma_f64 v[45:46], v[29:30], v[184:185], v[71:72]
	v_add_f64 v[9:10], v[9:10], v[39:40]
	ds_read_b128 v[27:30], v16 offset:1408
	s_waitcnt vmcnt(47) lgkmcnt(1)
	v_mul_f64 v[39:40], v[1:2], v[61:62]
	v_mul_f64 v[61:62], v[3:4], v[61:62]
	s_waitcnt vmcnt(45)
	v_fma_f64 v[59:60], v[5:6], v[41:42], -v[59:60]
	v_fma_f64 v[41:42], v[7:8], v[41:42], v[173:174]
	ds_read_b128 v[5:8], v16 offset:1424
	v_add_f64 v[37:38], v[37:38], v[73:74]
	v_add_f64 v[9:10], v[9:10], v[45:46]
	s_waitcnt vmcnt(41) lgkmcnt(1)
	v_mul_f64 v[45:46], v[27:28], v[31:32]
	v_mul_f64 v[31:32], v[29:30], v[31:32]
	s_waitcnt vmcnt(40)
	v_fma_f64 v[61:62], v[1:2], v[75:76], -v[61:62]
	v_fma_f64 v[39:40], v[3:4], v[75:76], v[39:40]
	ds_read_b128 v[1:4], v16 offset:1440
	v_add_f64 v[37:38], v[37:38], v[59:60]
	v_add_f64 v[9:10], v[9:10], v[41:42]
	;; [unrolled: 9-line block ×3, first 2 shown]
	s_waitcnt vmcnt(33) lgkmcnt(1)
	v_mul_f64 v[39:40], v[1:2], v[43:44]
	v_mul_f64 v[43:44], v[3:4], v[43:44]
	s_waitcnt vmcnt(32)
	v_fma_f64 v[47:48], v[5:6], v[69:70], -v[57:58]
	v_add_f64 v[31:32], v[37:38], v[31:32]
	v_fma_f64 v[37:38], v[7:8], v[69:70], v[41:42]
	v_add_f64 v[9:10], v[9:10], v[45:46]
	ds_read_b128 v[5:8], v16 offset:1472
	s_waitcnt vmcnt(31) lgkmcnt(1)
	v_mul_f64 v[45:46], v[29:30], v[81:82]
	v_mul_f64 v[41:42], v[27:28], v[81:82]
	s_waitcnt vmcnt(29)
	v_fma_f64 v[39:40], v[3:4], v[53:54], v[39:40]
	v_fma_f64 v[43:44], v[1:2], v[53:54], -v[43:44]
	ds_read_b128 v[1:4], v16 offset:1488
	v_add_f64 v[31:32], v[31:32], v[47:48]
	v_add_f64 v[9:10], v[9:10], v[37:38]
	s_waitcnt vmcnt(25) lgkmcnt(1)
	v_mul_f64 v[47:48], v[7:8], v[49:50]
	s_waitcnt vmcnt(24)
	v_fma_f64 v[45:46], v[27:28], v[83:84], -v[45:46]
	v_mul_f64 v[37:38], v[5:6], v[49:50]
	v_fma_f64 v[41:42], v[29:30], v[83:84], v[41:42]
	ds_read_b128 v[27:30], v16 offset:1504
	v_add_f64 v[31:32], v[31:32], v[43:44]
	v_add_f64 v[9:10], v[9:10], v[39:40]
	s_waitcnt vmcnt(23) lgkmcnt(1)
	v_mul_f64 v[43:44], v[3:4], v[87:88]
	v_mul_f64 v[39:40], v[1:2], v[87:88]
	s_waitcnt vmcnt(21)
	v_fma_f64 v[47:48], v[5:6], v[51:52], -v[47:48]
	v_fma_f64 v[37:38], v[7:8], v[51:52], v[37:38]
	ds_read_b128 v[5:8], v16 offset:1520
	v_add_f64 v[31:32], v[31:32], v[45:46]
	v_add_f64 v[9:10], v[9:10], v[41:42]
	s_waitcnt vmcnt(17) lgkmcnt(1)
	v_mul_f64 v[45:46], v[29:30], v[55:56]
	s_waitcnt vmcnt(16)
	v_fma_f64 v[43:44], v[1:2], v[163:164], -v[43:44]
	v_mul_f64 v[41:42], v[27:28], v[55:56]
	v_fma_f64 v[39:40], v[3:4], v[163:164], v[39:40]
	ds_read_b128 v[1:4], v16 offset:1536
	v_add_f64 v[31:32], v[31:32], v[47:48]
	v_add_f64 v[9:10], v[9:10], v[37:38]
	s_waitcnt vmcnt(15) lgkmcnt(1)
	v_mul_f64 v[47:48], v[7:8], v[167:168]
	v_mul_f64 v[37:38], v[5:6], v[167:168]
	s_waitcnt vmcnt(13)
	v_fma_f64 v[45:46], v[27:28], v[63:64], -v[45:46]
	v_fma_f64 v[41:42], v[29:30], v[63:64], v[41:42]
	ds_read_b128 v[27:30], v16 offset:1552
	v_add_f64 v[31:32], v[31:32], v[43:44]
	v_add_f64 v[9:10], v[9:10], v[39:40]
	s_waitcnt vmcnt(9) lgkmcnt(1)
	v_mul_f64 v[43:44], v[3:4], v[85:86]
	s_waitcnt vmcnt(8)
	v_fma_f64 v[5:6], v[5:6], v[171:172], -v[47:48]
	v_mul_f64 v[39:40], v[1:2], v[85:86]
	v_fma_f64 v[7:8], v[7:8], v[171:172], v[37:38]
	v_add_f64 v[31:32], v[31:32], v[45:46]
	v_add_f64 v[9:10], v[9:10], v[41:42]
	s_waitcnt vmcnt(7) lgkmcnt(0)
	v_mul_f64 v[41:42], v[29:30], v[177:178]
	v_mul_f64 v[37:38], v[27:28], v[177:178]
	s_waitcnt vmcnt(5)
	v_fma_f64 v[1:2], v[1:2], v[161:162], -v[43:44]
	v_fma_f64 v[3:4], v[3:4], v[161:162], v[39:40]
	v_add_f64 v[5:6], v[31:32], v[5:6]
	v_add_f64 v[7:8], v[9:10], v[7:8]
	s_waitcnt vmcnt(4)
	v_fma_f64 v[9:10], v[27:28], v[181:182], -v[41:42]
	v_add_f64 v[1:2], v[5:6], v[1:2]
	v_fma_f64 v[5:6], v[29:30], v[181:182], v[37:38]
	v_add_f64 v[3:4], v[7:8], v[3:4]
	v_add_f64 v[1:2], v[1:2], v[9:10]
	;; [unrolled: 1-line block ×3, first 2 shown]
	s_waitcnt vmcnt(2)
	v_add_f64 v[1:2], v[165:166], -v[1:2]
	s_waitcnt vmcnt(0)
	v_add_f64 v[3:4], v[169:170], -v[3:4]
	buffer_store_dword v2, off, s[0:3], 0 offset:260
	buffer_store_dword v1, off, s[0:3], 0 offset:256
	;; [unrolled: 1-line block ×4, first 2 shown]
	v_cmpx_lt_u32_e32 14, v0
	s_cbranch_execz .LBB48_279
; %bb.278:
	v_mov_b32_e32 v4, s47
	s_clause 0x3
	buffer_load_dword v1, v4, s[0:3], 0 offen
	buffer_load_dword v2, v4, s[0:3], 0 offen offset:4
	buffer_load_dword v3, v4, s[0:3], 0 offen offset:8
	buffer_load_dword v4, v4, s[0:3], 0 offen offset:12
	buffer_store_dword v16, off, s[0:3], 0 offset:240
	buffer_store_dword v16, off, s[0:3], 0 offset:244
	;; [unrolled: 1-line block ×4, first 2 shown]
	s_waitcnt vmcnt(0)
	ds_write_b128 v11, v[1:4]
.LBB48_279:
	s_or_b32 exec_lo, exec_lo, s4
	s_waitcnt lgkmcnt(0)
	s_waitcnt_vscnt null, 0x0
	s_barrier
	buffer_gl0_inv
	s_clause 0x37
	buffer_load_dword v9, off, s[0:3], 0 offset:264
	buffer_load_dword v10, off, s[0:3], 0 offset:268
	;; [unrolled: 1-line block ×56, first 2 shown]
	ds_read_b128 v[81:84], v16 offset:1024
	s_clause 0x2
	buffer_load_dword v170, off, s[0:3], 0 offset:492
	buffer_load_dword v172, off, s[0:3], 0 offset:468
	;; [unrolled: 1-line block ×3, first 2 shown]
	ds_read_b128 v[85:88], v16 offset:1040
	s_clause 0x4
	buffer_load_dword v176, off, s[0:3], 0 offset:508
	buffer_load_dword v177, off, s[0:3], 0 offset:520
	;; [unrolled: 1-line block ×5, first 2 shown]
	ds_read_b128 v[161:164], v16 offset:1056
	s_clause 0x2
	buffer_load_dword v178, off, s[0:3], 0 offset:524
	buffer_load_dword v183, off, s[0:3], 0 offset:500
	;; [unrolled: 1-line block ×3, first 2 shown]
	s_mov_b32 s4, exec_lo
	s_waitcnt vmcnt(62) lgkmcnt(2)
	v_mul_f64 v[173:174], v[83:84], v[9:10]
	v_mul_f64 v[9:10], v[81:82], v[9:10]
	s_waitcnt lgkmcnt(1)
	v_mul_f64 v[180:181], v[87:88], v[5:6]
	s_waitcnt vmcnt(59) lgkmcnt(0)
	v_mul_f64 v[184:185], v[163:164], v[3:4]
	v_fma_f64 v[81:82], v[81:82], v[7:8], -v[173:174]
	v_mul_f64 v[173:174], v[85:86], v[5:6]
	v_fma_f64 v[9:10], v[83:84], v[7:8], v[9:10]
	s_waitcnt vmcnt(57)
	v_fma_f64 v[85:86], v[85:86], v[1:2], -v[180:181]
	ds_read_b128 v[5:8], v16 offset:1072
	v_mul_f64 v[83:84], v[161:162], v[3:4]
	s_waitcnt vmcnt(51)
	v_fma_f64 v[161:162], v[161:162], v[45:46], -v[184:185]
	v_add_f64 v[81:82], v[81:82], 0
	v_fma_f64 v[87:88], v[87:88], v[1:2], v[173:174]
	v_add_f64 v[9:10], v[9:10], 0
	s_clause 0x4
	buffer_load_dword v174, off, s[0:3], 0 offset:540
	buffer_load_dword v186, off, s[0:3], 0 offset:552
	buffer_load_dword v188, off, s[0:3], 0 offset:544
	buffer_load_dword v173, off, s[0:3], 0 offset:536
	buffer_load_dword v180, off, s[0:3], 0 offset:516
	s_waitcnt lgkmcnt(0)
	v_mul_f64 v[189:190], v[5:6], v[29:30]
	v_mul_f64 v[29:30], v[7:8], v[29:30]
	ds_read_b128 v[1:4], v16 offset:1088
	v_fma_f64 v[45:46], v[163:164], v[45:46], v[83:84]
	v_add_f64 v[85:86], v[81:82], v[85:86]
	v_add_f64 v[9:10], v[9:10], v[87:88]
	s_clause 0x2
	buffer_load_dword v187, off, s[0:3], 0 offset:556
	buffer_load_dword v88, off, s[0:3], 0 offset:532
	;; [unrolled: 1-line block ×3, first 2 shown]
	s_waitcnt vmcnt(58) lgkmcnt(0)
	v_mul_f64 v[163:164], v[1:2], v[37:38]
	v_mul_f64 v[37:38], v[3:4], v[37:38]
	s_waitcnt vmcnt(56)
	v_fma_f64 v[29:30], v[5:6], v[39:40], -v[29:30]
	ds_read_b128 v[81:84], v16 offset:1104
	v_fma_f64 v[39:40], v[7:8], v[39:40], v[189:190]
	v_add_f64 v[85:86], v[85:86], v[161:162]
	v_add_f64 v[9:10], v[9:10], v[45:46]
	s_clause 0x4
	buffer_load_dword v46, off, s[0:3], 0 offset:572
	buffer_load_dword v161, off, s[0:3], 0 offset:584
	;; [unrolled: 1-line block ×5, first 2 shown]
	ds_read_b128 v[5:8], v16 offset:1120
	s_waitcnt vmcnt(57) lgkmcnt(1)
	v_mul_f64 v[190:191], v[81:82], v[41:42]
	v_mul_f64 v[41:42], v[83:84], v[41:42]
	s_waitcnt vmcnt(56)
	v_fma_f64 v[37:38], v[1:2], v[27:28], -v[37:38]
	v_fma_f64 v[27:28], v[3:4], v[27:28], v[163:164]
	v_add_f64 v[29:30], v[85:86], v[29:30]
	v_add_f64 v[9:10], v[9:10], v[39:40]
	s_clause 0x2
	buffer_load_dword v162, off, s[0:3], 0 offset:588
	buffer_load_dword v40, off, s[0:3], 0 offset:564
	;; [unrolled: 1-line block ×3, first 2 shown]
	s_waitcnt vmcnt(58) lgkmcnt(0)
	v_mul_f64 v[85:86], v[5:6], v[47:48]
	v_mul_f64 v[47:48], v[7:8], v[47:48]
	s_waitcnt vmcnt(56)
	v_fma_f64 v[41:42], v[81:82], v[49:50], -v[41:42]
	ds_read_b128 v[1:4], v16 offset:1136
	v_fma_f64 v[49:50], v[83:84], v[49:50], v[190:191]
	s_clause 0x4
	buffer_load_dword v82, off, s[0:3], 0 offset:604
	buffer_load_dword v83, off, s[0:3], 0 offset:616
	;; [unrolled: 1-line block ×5, first 2 shown]
	v_add_f64 v[37:38], v[29:30], v[37:38]
	v_add_f64 v[9:10], v[9:10], v[27:28]
	ds_read_b128 v[27:30], v16 offset:1152
	s_waitcnt vmcnt(57) lgkmcnt(1)
	v_mul_f64 v[190:191], v[1:2], v[51:52]
	v_mul_f64 v[51:52], v[3:4], v[51:52]
	s_waitcnt vmcnt(56)
	v_fma_f64 v[47:48], v[5:6], v[31:32], -v[47:48]
	v_fma_f64 v[31:32], v[7:8], v[31:32], v[85:86]
	v_add_f64 v[37:38], v[37:38], v[41:42]
	s_clause 0x2
	buffer_load_dword v84, off, s[0:3], 0 offset:620
	buffer_load_dword v42, off, s[0:3], 0 offset:596
	;; [unrolled: 1-line block ×3, first 2 shown]
	v_add_f64 v[9:10], v[9:10], v[49:50]
	s_waitcnt vmcnt(58) lgkmcnt(0)
	v_mul_f64 v[49:50], v[27:28], v[55:56]
	v_mul_f64 v[55:56], v[29:30], v[55:56]
	ds_read_b128 v[5:8], v16 offset:1168
	s_waitcnt vmcnt(56)
	v_fma_f64 v[51:52], v[1:2], v[57:58], -v[51:52]
	v_add_f64 v[37:38], v[37:38], v[47:48]
	v_fma_f64 v[47:48], v[3:4], v[57:58], v[190:191]
	v_add_f64 v[9:10], v[9:10], v[31:32]
	s_clause 0x4
	buffer_load_dword v32, off, s[0:3], 0 offset:636
	buffer_load_dword v57, off, s[0:3], 0 offset:648
	;; [unrolled: 1-line block ×5, first 2 shown]
	s_waitcnt vmcnt(57) lgkmcnt(0)
	v_mul_f64 v[190:191], v[5:6], v[59:60]
	v_mul_f64 v[59:60], v[7:8], v[59:60]
	s_waitcnt vmcnt(56)
	v_fma_f64 v[55:56], v[27:28], v[43:44], -v[55:56]
	ds_read_b128 v[1:4], v16 offset:1184
	v_fma_f64 v[43:44], v[29:30], v[43:44], v[49:50]
	v_add_f64 v[37:38], v[37:38], v[51:52]
	v_add_f64 v[9:10], v[9:10], v[47:48]
	s_clause 0x2
	buffer_load_dword v58, off, s[0:3], 0 offset:652
	buffer_load_dword v48, off, s[0:3], 0 offset:628
	;; [unrolled: 1-line block ×3, first 2 shown]
	ds_read_b128 v[27:30], v16 offset:1200
	s_waitcnt vmcnt(58) lgkmcnt(1)
	v_mul_f64 v[51:52], v[3:4], v[63:64]
	s_waitcnt vmcnt(56)
	v_fma_f64 v[59:60], v[5:6], v[69:70], -v[59:60]
	v_mul_f64 v[49:50], v[1:2], v[63:64]
	v_add_f64 v[37:38], v[37:38], v[55:56]
	v_fma_f64 v[55:56], v[7:8], v[69:70], v[190:191]
	v_add_f64 v[9:10], v[9:10], v[43:44]
	s_clause 0x4
	buffer_load_dword v44, off, s[0:3], 0 offset:668
	buffer_load_dword v63, off, s[0:3], 0 offset:680
	;; [unrolled: 1-line block ×5, first 2 shown]
	s_waitcnt vmcnt(57) lgkmcnt(0)
	v_mul_f64 v[190:191], v[27:28], v[71:72]
	v_mul_f64 v[70:71], v[29:30], v[71:72]
	s_waitcnt vmcnt(56)
	v_fma_f64 v[51:52], v[1:2], v[53:54], -v[51:52]
	ds_read_b128 v[5:8], v16 offset:1216
	v_fma_f64 v[49:50], v[3:4], v[53:54], v[49:50]
	s_clause 0x2
	buffer_load_dword v64, off, s[0:3], 0 offset:684
	buffer_load_dword v54, off, s[0:3], 0 offset:660
	;; [unrolled: 1-line block ×3, first 2 shown]
	ds_read_b128 v[1:4], v16 offset:1232
	v_add_f64 v[37:38], v[37:38], v[59:60]
	v_add_f64 v[9:10], v[9:10], v[55:56]
	s_waitcnt vmcnt(58) lgkmcnt(1)
	v_mul_f64 v[59:60], v[7:8], v[75:76]
	s_waitcnt vmcnt(56)
	v_fma_f64 v[71:72], v[27:28], v[165:166], -v[70:71]
	v_mul_f64 v[55:56], v[5:6], v[75:76]
	v_add_f64 v[37:38], v[37:38], v[51:52]
	v_fma_f64 v[51:52], v[29:30], v[165:166], v[190:191]
	v_add_f64 v[9:10], v[9:10], v[49:50]
	s_clause 0x4
	buffer_load_dword v50, off, s[0:3], 0 offset:700
	buffer_load_dword v75, off, s[0:3], 0 offset:712
	;; [unrolled: 1-line block ×5, first 2 shown]
	s_waitcnt vmcnt(57) lgkmcnt(0)
	v_mul_f64 v[190:191], v[1:2], v[167:168]
	v_mul_f64 v[166:167], v[3:4], v[167:168]
	s_waitcnt vmcnt(56)
	v_fma_f64 v[59:60], v[5:6], v[61:62], -v[59:60]
	ds_read_b128 v[27:30], v16 offset:1248
	v_fma_f64 v[55:56], v[7:8], v[61:62], v[55:56]
	v_add_f64 v[37:38], v[37:38], v[71:72]
	v_add_f64 v[9:10], v[9:10], v[51:52]
	s_clause 0x2
	buffer_load_dword v76, off, s[0:3], 0 offset:716
	buffer_load_dword v52, off, s[0:3], 0 offset:692
	;; [unrolled: 1-line block ×3, first 2 shown]
	ds_read_b128 v[5:8], v16 offset:1264
	s_waitcnt vmcnt(58) lgkmcnt(1)
	v_mul_f64 v[71:72], v[29:30], v[169:170]
	s_waitcnt vmcnt(56)
	v_fma_f64 v[167:168], v[1:2], v[171:172], -v[166:167]
	v_mul_f64 v[61:62], v[27:28], v[169:170]
	v_add_f64 v[37:38], v[37:38], v[59:60]
	v_fma_f64 v[59:60], v[3:4], v[171:172], v[190:191]
	v_add_f64 v[9:10], v[9:10], v[55:56]
	s_clause 0x4
	buffer_load_dword v56, off, s[0:3], 0 offset:732
	buffer_load_dword v169, off, s[0:3], 0 offset:744
	buffer_load_dword v171, off, s[0:3], 0 offset:736
	buffer_load_dword v55, off, s[0:3], 0 offset:728
	buffer_load_dword v166, off, s[0:3], 0 offset:708
	s_waitcnt vmcnt(57) lgkmcnt(0)
	v_mul_f64 v[190:191], v[5:6], v[175:176]
	v_mul_f64 v[175:176], v[7:8], v[175:176]
	s_waitcnt vmcnt(56)
	v_fma_f64 v[71:72], v[27:28], v[73:74], -v[71:72]
	ds_read_b128 v[1:4], v16 offset:1280
	v_fma_f64 v[61:62], v[29:30], v[73:74], v[61:62]
	v_add_f64 v[37:38], v[37:38], v[167:168]
	v_add_f64 v[9:10], v[9:10], v[59:60]
	s_clause 0x2
	buffer_load_dword v170, off, s[0:3], 0 offset:748
	buffer_load_dword v60, off, s[0:3], 0 offset:724
	;; [unrolled: 1-line block ×3, first 2 shown]
	ds_read_b128 v[27:30], v16 offset:1296
	s_waitcnt vmcnt(58) lgkmcnt(1)
	v_mul_f64 v[167:168], v[3:4], v[177:178]
	s_waitcnt vmcnt(56)
	v_fma_f64 v[175:176], v[5:6], v[182:183], -v[175:176]
	v_mul_f64 v[73:74], v[1:2], v[177:178]
	v_add_f64 v[37:38], v[37:38], v[71:72]
	v_fma_f64 v[71:72], v[7:8], v[182:183], v[190:191]
	v_add_f64 v[9:10], v[9:10], v[61:62]
	s_clause 0x4
	buffer_load_dword v62, off, s[0:3], 0 offset:764
	buffer_load_dword v177, off, s[0:3], 0 offset:776
	;; [unrolled: 1-line block ×5, first 2 shown]
	ds_read_b128 v[5:8], v16 offset:1312
	s_waitcnt vmcnt(57) lgkmcnt(1)
	v_mul_f64 v[182:183], v[27:28], v[173:174]
	v_mul_f64 v[173:174], v[29:30], v[173:174]
	s_waitcnt vmcnt(56)
	v_fma_f64 v[167:168], v[1:2], v[179:180], -v[167:168]
	v_fma_f64 v[73:74], v[3:4], v[179:180], v[73:74]
	v_add_f64 v[37:38], v[37:38], v[175:176]
	v_add_f64 v[9:10], v[9:10], v[71:72]
	s_clause 0x2
	buffer_load_dword v178, off, s[0:3], 0 offset:780
	buffer_load_dword v72, off, s[0:3], 0 offset:756
	;; [unrolled: 1-line block ×3, first 2 shown]
	ds_read_b128 v[1:4], v16 offset:1328
	s_waitcnt vmcnt(58) lgkmcnt(1)
	v_mul_f64 v[179:180], v[7:8], v[186:187]
	v_mul_f64 v[175:176], v[5:6], v[186:187]
	s_waitcnt vmcnt(56)
	v_fma_f64 v[173:174], v[27:28], v[87:88], -v[173:174]
	v_fma_f64 v[87:88], v[29:30], v[87:88], v[182:183]
	v_add_f64 v[37:38], v[37:38], v[167:168]
	v_add_f64 v[9:10], v[9:10], v[73:74]
	s_clause 0x2
	buffer_load_dword v74, off, s[0:3], 0 offset:796
	buffer_load_dword v73, off, s[0:3], 0 offset:792
	;; [unrolled: 1-line block ×3, first 2 shown]
	ds_read_b128 v[27:30], v16 offset:1344
	s_waitcnt vmcnt(55) lgkmcnt(1)
	v_mul_f64 v[167:168], v[1:2], v[45:46]
	v_mul_f64 v[45:46], v[3:4], v[45:46]
	s_waitcnt vmcnt(54)
	v_fma_f64 v[179:180], v[5:6], v[188:189], -v[179:180]
	v_add_f64 v[37:38], v[37:38], v[173:174]
	v_fma_f64 v[173:174], v[7:8], v[188:189], v[175:176]
	v_add_f64 v[9:10], v[9:10], v[87:88]
	s_clause 0x1
	buffer_load_dword v88, off, s[0:3], 0 offset:788
	buffer_load_dword v87, off, s[0:3], 0 offset:784
	ds_read_b128 v[5:8], v16 offset:1360
	s_waitcnt vmcnt(55) lgkmcnt(1)
	v_mul_f64 v[175:176], v[27:28], v[161:162]
	v_mul_f64 v[161:162], v[29:30], v[161:162]
	s_waitcnt vmcnt(53)
	v_fma_f64 v[45:46], v[1:2], v[39:40], -v[45:46]
	v_fma_f64 v[39:40], v[3:4], v[39:40], v[167:168]
	ds_read_b128 v[1:4], v16 offset:1376
	v_add_f64 v[37:38], v[37:38], v[179:180]
	v_add_f64 v[9:10], v[9:10], v[173:174]
	s_waitcnt vmcnt(49) lgkmcnt(1)
	v_mul_f64 v[167:168], v[5:6], v[81:82]
	v_mul_f64 v[81:82], v[7:8], v[81:82]
	s_waitcnt vmcnt(48)
	v_fma_f64 v[161:162], v[27:28], v[184:185], -v[161:162]
	v_add_f64 v[37:38], v[37:38], v[45:46]
	v_fma_f64 v[45:46], v[29:30], v[184:185], v[175:176]
	v_add_f64 v[9:10], v[9:10], v[39:40]
	s_clause 0x3
	buffer_load_dword v39, off, s[0:3], 0 offset:240
	buffer_load_dword v40, off, s[0:3], 0 offset:244
	;; [unrolled: 1-line block ×4, first 2 shown]
	ds_read_b128 v[27:30], v16 offset:1392
	s_waitcnt vmcnt(51) lgkmcnt(1)
	v_mul_f64 v[175:176], v[1:2], v[83:84]
	v_mul_f64 v[83:84], v[3:4], v[83:84]
	s_waitcnt vmcnt(49)
	v_fma_f64 v[81:82], v[5:6], v[41:42], -v[81:82]
	v_fma_f64 v[41:42], v[7:8], v[41:42], v[167:168]
	ds_read_b128 v[5:8], v16 offset:1408
	v_add_f64 v[37:38], v[37:38], v[161:162]
	v_add_f64 v[9:10], v[9:10], v[45:46]
	s_waitcnt vmcnt(45) lgkmcnt(1)
	v_mul_f64 v[45:46], v[27:28], v[31:32]
	v_mul_f64 v[31:32], v[29:30], v[31:32]
	s_waitcnt vmcnt(44)
	v_fma_f64 v[83:84], v[1:2], v[163:164], -v[83:84]
	v_add_f64 v[37:38], v[37:38], v[81:82]
	v_fma_f64 v[81:82], v[3:4], v[163:164], v[175:176]
	v_add_f64 v[9:10], v[9:10], v[41:42]
	ds_read_b128 v[1:4], v16 offset:1424
	s_waitcnt vmcnt(43) lgkmcnt(1)
	v_mul_f64 v[41:42], v[5:6], v[57:58]
	v_mul_f64 v[57:58], v[7:8], v[57:58]
	s_waitcnt vmcnt(41)
	v_fma_f64 v[31:32], v[27:28], v[47:48], -v[31:32]
	v_fma_f64 v[45:46], v[29:30], v[47:48], v[45:46]
	ds_read_b128 v[27:30], v16 offset:1440
	v_add_f64 v[37:38], v[37:38], v[83:84]
	v_add_f64 v[9:10], v[9:10], v[81:82]
	s_waitcnt vmcnt(37) lgkmcnt(1)
	v_mul_f64 v[47:48], v[1:2], v[43:44]
	v_mul_f64 v[43:44], v[3:4], v[43:44]
	s_waitcnt vmcnt(36)
	v_fma_f64 v[57:58], v[5:6], v[85:86], -v[57:58]
	v_add_f64 v[31:32], v[37:38], v[31:32]
	v_fma_f64 v[37:38], v[7:8], v[85:86], v[41:42]
	v_add_f64 v[9:10], v[9:10], v[45:46]
	s_waitcnt vmcnt(35) lgkmcnt(0)
	v_mul_f64 v[45:46], v[29:30], v[63:64]
	ds_read_b128 v[5:8], v16 offset:1456
	v_mul_f64 v[41:42], v[27:28], v[63:64]
	s_waitcnt vmcnt(33)
	v_fma_f64 v[47:48], v[3:4], v[53:54], v[47:48]
	v_fma_f64 v[43:44], v[1:2], v[53:54], -v[43:44]
	ds_read_b128 v[1:4], v16 offset:1472
	v_add_f64 v[31:32], v[31:32], v[57:58]
	v_add_f64 v[9:10], v[9:10], v[37:38]
	s_waitcnt vmcnt(29) lgkmcnt(1)
	v_mul_f64 v[37:38], v[5:6], v[49:50]
	v_mul_f64 v[49:50], v[7:8], v[49:50]
	s_waitcnt vmcnt(28)
	v_fma_f64 v[45:46], v[27:28], v[69:70], -v[45:46]
	v_fma_f64 v[41:42], v[29:30], v[69:70], v[41:42]
	ds_read_b128 v[27:30], v16 offset:1488
	v_add_f64 v[31:32], v[31:32], v[43:44]
	v_add_f64 v[9:10], v[9:10], v[47:48]
	s_waitcnt vmcnt(27) lgkmcnt(1)
	v_mul_f64 v[47:48], v[3:4], v[75:76]
	v_mul_f64 v[43:44], v[1:2], v[75:76]
	s_waitcnt vmcnt(25)
	v_fma_f64 v[49:50], v[5:6], v[51:52], -v[49:50]
	v_fma_f64 v[37:38], v[7:8], v[51:52], v[37:38]
	ds_read_b128 v[5:8], v16 offset:1504
	v_add_f64 v[31:32], v[31:32], v[45:46]
	v_add_f64 v[9:10], v[9:10], v[41:42]
	s_waitcnt vmcnt(21) lgkmcnt(1)
	v_mul_f64 v[45:46], v[29:30], v[55:56]
	s_waitcnt vmcnt(20)
	v_fma_f64 v[47:48], v[1:2], v[165:166], -v[47:48]
	v_mul_f64 v[41:42], v[27:28], v[55:56]
	v_fma_f64 v[43:44], v[3:4], v[165:166], v[43:44]
	ds_read_b128 v[1:4], v16 offset:1520
	v_add_f64 v[31:32], v[31:32], v[49:50]
	v_add_f64 v[9:10], v[9:10], v[37:38]
	s_waitcnt vmcnt(19) lgkmcnt(1)
	v_mul_f64 v[49:50], v[7:8], v[169:170]
	v_mul_f64 v[37:38], v[5:6], v[169:170]
	s_waitcnt vmcnt(17)
	v_fma_f64 v[45:46], v[27:28], v[59:60], -v[45:46]
	v_fma_f64 v[41:42], v[29:30], v[59:60], v[41:42]
	ds_read_b128 v[27:30], v16 offset:1536
	v_add_f64 v[31:32], v[31:32], v[47:48]
	v_add_f64 v[9:10], v[9:10], v[43:44]
	s_waitcnt vmcnt(13) lgkmcnt(1)
	v_mul_f64 v[47:48], v[3:4], v[61:62]
	s_waitcnt vmcnt(12)
	v_fma_f64 v[49:50], v[5:6], v[171:172], -v[49:50]
	v_mul_f64 v[43:44], v[1:2], v[61:62]
	v_fma_f64 v[37:38], v[7:8], v[171:172], v[37:38]
	ds_read_b128 v[5:8], v16 offset:1552
	v_add_f64 v[31:32], v[31:32], v[45:46]
	v_add_f64 v[9:10], v[9:10], v[41:42]
	s_waitcnt vmcnt(11) lgkmcnt(1)
	v_mul_f64 v[45:46], v[29:30], v[177:178]
	v_mul_f64 v[41:42], v[27:28], v[177:178]
	s_waitcnt vmcnt(9)
	v_fma_f64 v[1:2], v[1:2], v[71:72], -v[47:48]
	v_fma_f64 v[3:4], v[3:4], v[71:72], v[43:44]
	v_add_f64 v[31:32], v[31:32], v[49:50]
	v_add_f64 v[9:10], v[9:10], v[37:38]
	s_waitcnt vmcnt(7) lgkmcnt(0)
	v_mul_f64 v[43:44], v[7:8], v[73:74]
	s_waitcnt vmcnt(6)
	v_fma_f64 v[27:28], v[27:28], v[181:182], -v[45:46]
	v_mul_f64 v[37:38], v[5:6], v[73:74]
	v_fma_f64 v[29:30], v[29:30], v[181:182], v[41:42]
	v_add_f64 v[1:2], v[31:32], v[1:2]
	v_add_f64 v[3:4], v[9:10], v[3:4]
	s_waitcnt vmcnt(4)
	v_fma_f64 v[5:6], v[5:6], v[87:88], -v[43:44]
	v_fma_f64 v[7:8], v[7:8], v[87:88], v[37:38]
	v_add_f64 v[1:2], v[1:2], v[27:28]
	v_add_f64 v[3:4], v[3:4], v[29:30]
	;; [unrolled: 1-line block ×4, first 2 shown]
	s_waitcnt vmcnt(2)
	v_add_f64 v[1:2], v[39:40], -v[1:2]
	s_waitcnt vmcnt(0)
	v_add_f64 v[3:4], v[173:174], -v[3:4]
	buffer_store_dword v2, off, s[0:3], 0 offset:244
	buffer_store_dword v1, off, s[0:3], 0 offset:240
	;; [unrolled: 1-line block ×4, first 2 shown]
	v_cmpx_lt_u32_e32 13, v0
	s_cbranch_execz .LBB48_281
; %bb.280:
	v_mov_b32_e32 v4, s48
	v_mov_b32_e32 v5, 0
	s_clause 0x3
	buffer_load_dword v1, v4, s[0:3], 0 offen
	buffer_load_dword v2, v4, s[0:3], 0 offen offset:4
	buffer_load_dword v3, v4, s[0:3], 0 offen offset:8
	;; [unrolled: 1-line block ×3, first 2 shown]
	buffer_store_dword v5, off, s[0:3], 0 offset:224
	buffer_store_dword v5, off, s[0:3], 0 offset:228
	;; [unrolled: 1-line block ×4, first 2 shown]
	s_waitcnt vmcnt(0)
	ds_write_b128 v11, v[1:4]
.LBB48_281:
	s_or_b32 exec_lo, exec_lo, s4
	s_waitcnt lgkmcnt(0)
	s_waitcnt_vscnt null, 0x0
	s_barrier
	buffer_gl0_inv
	s_clause 0x37
	buffer_load_dword v9, off, s[0:3], 0 offset:248
	buffer_load_dword v10, off, s[0:3], 0 offset:252
	;; [unrolled: 1-line block ×56, first 2 shown]
	v_mov_b32_e32 v16, 0
	s_mov_b32 s4, exec_lo
	ds_read_b128 v[161:164], v16 offset:1008
	s_clause 0x2
	buffer_load_dword v86, off, s[0:3], 0 offset:476
	buffer_load_dword v88, off, s[0:3], 0 offset:452
	;; [unrolled: 1-line block ×3, first 2 shown]
	ds_read_b128 v[165:168], v16 offset:1024
	s_clause 0x4
	buffer_load_dword v176, off, s[0:3], 0 offset:492
	buffer_load_dword v177, off, s[0:3], 0 offset:504
	buffer_load_dword v179, off, s[0:3], 0 offset:496
	buffer_load_dword v175, off, s[0:3], 0 offset:488
	buffer_load_dword v74, off, s[0:3], 0 offset:468
	ds_read_b128 v[169:172], v16 offset:1040
	s_clause 0x2
	buffer_load_dword v178, off, s[0:3], 0 offset:508
	buffer_load_dword v183, off, s[0:3], 0 offset:484
	;; [unrolled: 1-line block ×3, first 2 shown]
	s_waitcnt vmcnt(62) lgkmcnt(2)
	v_mul_f64 v[173:174], v[163:164], v[9:10]
	v_mul_f64 v[9:10], v[161:162], v[9:10]
	s_waitcnt lgkmcnt(1)
	v_mul_f64 v[180:181], v[167:168], v[5:6]
	s_waitcnt vmcnt(59) lgkmcnt(0)
	v_mul_f64 v[184:185], v[171:172], v[3:4]
	v_fma_f64 v[161:162], v[161:162], v[7:8], -v[173:174]
	v_mul_f64 v[173:174], v[165:166], v[5:6]
	v_fma_f64 v[9:10], v[163:164], v[7:8], v[9:10]
	s_waitcnt vmcnt(57)
	v_fma_f64 v[165:166], v[165:166], v[1:2], -v[180:181]
	ds_read_b128 v[5:8], v16 offset:1056
	v_mul_f64 v[163:164], v[169:170], v[3:4]
	s_waitcnt vmcnt(51)
	v_fma_f64 v[169:170], v[169:170], v[45:46], -v[184:185]
	v_add_f64 v[161:162], v[161:162], 0
	v_fma_f64 v[167:168], v[167:168], v[1:2], v[173:174]
	v_add_f64 v[9:10], v[9:10], 0
	s_clause 0x4
	buffer_load_dword v174, off, s[0:3], 0 offset:524
	buffer_load_dword v186, off, s[0:3], 0 offset:536
	;; [unrolled: 1-line block ×5, first 2 shown]
	s_waitcnt lgkmcnt(0)
	v_mul_f64 v[189:190], v[5:6], v[29:30]
	v_mul_f64 v[29:30], v[7:8], v[29:30]
	ds_read_b128 v[1:4], v16 offset:1072
	v_fma_f64 v[45:46], v[171:172], v[45:46], v[163:164]
	v_add_f64 v[165:166], v[161:162], v[165:166]
	v_add_f64 v[9:10], v[9:10], v[167:168]
	s_clause 0x2
	buffer_load_dword v187, off, s[0:3], 0 offset:540
	buffer_load_dword v168, off, s[0:3], 0 offset:516
	;; [unrolled: 1-line block ×3, first 2 shown]
	s_waitcnt vmcnt(58) lgkmcnt(0)
	v_mul_f64 v[171:172], v[1:2], v[37:38]
	v_mul_f64 v[37:38], v[3:4], v[37:38]
	s_waitcnt vmcnt(56)
	v_fma_f64 v[29:30], v[5:6], v[39:40], -v[29:30]
	ds_read_b128 v[161:164], v16 offset:1088
	v_fma_f64 v[39:40], v[7:8], v[39:40], v[189:190]
	v_add_f64 v[165:166], v[165:166], v[169:170]
	v_add_f64 v[9:10], v[9:10], v[45:46]
	s_clause 0x4
	buffer_load_dword v46, off, s[0:3], 0 offset:556
	buffer_load_dword v169, off, s[0:3], 0 offset:568
	;; [unrolled: 1-line block ×5, first 2 shown]
	ds_read_b128 v[5:8], v16 offset:1104
	s_waitcnt vmcnt(57) lgkmcnt(1)
	v_mul_f64 v[190:191], v[161:162], v[41:42]
	v_mul_f64 v[41:42], v[163:164], v[41:42]
	s_waitcnt vmcnt(56)
	v_fma_f64 v[37:38], v[1:2], v[27:28], -v[37:38]
	v_fma_f64 v[27:28], v[3:4], v[27:28], v[171:172]
	v_add_f64 v[29:30], v[165:166], v[29:30]
	v_add_f64 v[9:10], v[9:10], v[39:40]
	s_clause 0x2
	buffer_load_dword v170, off, s[0:3], 0 offset:572
	buffer_load_dword v40, off, s[0:3], 0 offset:548
	;; [unrolled: 1-line block ×3, first 2 shown]
	s_waitcnt vmcnt(58) lgkmcnt(0)
	v_mul_f64 v[165:166], v[5:6], v[47:48]
	v_mul_f64 v[47:48], v[7:8], v[47:48]
	s_waitcnt vmcnt(56)
	v_fma_f64 v[41:42], v[161:162], v[49:50], -v[41:42]
	ds_read_b128 v[1:4], v16 offset:1120
	v_fma_f64 v[49:50], v[163:164], v[49:50], v[190:191]
	s_clause 0x4
	buffer_load_dword v162, off, s[0:3], 0 offset:588
	buffer_load_dword v163, off, s[0:3], 0 offset:600
	;; [unrolled: 1-line block ×5, first 2 shown]
	v_add_f64 v[37:38], v[29:30], v[37:38]
	v_add_f64 v[9:10], v[9:10], v[27:28]
	ds_read_b128 v[27:30], v16 offset:1136
	s_waitcnt vmcnt(57) lgkmcnt(1)
	v_mul_f64 v[190:191], v[1:2], v[51:52]
	v_mul_f64 v[51:52], v[3:4], v[51:52]
	s_waitcnt vmcnt(56)
	v_fma_f64 v[47:48], v[5:6], v[31:32], -v[47:48]
	v_fma_f64 v[31:32], v[7:8], v[31:32], v[165:166]
	v_add_f64 v[37:38], v[37:38], v[41:42]
	s_clause 0x2
	buffer_load_dword v164, off, s[0:3], 0 offset:604
	buffer_load_dword v42, off, s[0:3], 0 offset:580
	buffer_load_dword v41, off, s[0:3], 0 offset:576
	v_add_f64 v[9:10], v[9:10], v[49:50]
	s_waitcnt vmcnt(58) lgkmcnt(0)
	v_mul_f64 v[49:50], v[27:28], v[55:56]
	v_mul_f64 v[55:56], v[29:30], v[55:56]
	ds_read_b128 v[5:8], v16 offset:1152
	s_waitcnt vmcnt(56)
	v_fma_f64 v[51:52], v[1:2], v[57:58], -v[51:52]
	v_add_f64 v[37:38], v[37:38], v[47:48]
	v_fma_f64 v[47:48], v[3:4], v[57:58], v[190:191]
	v_add_f64 v[9:10], v[9:10], v[31:32]
	s_clause 0x4
	buffer_load_dword v32, off, s[0:3], 0 offset:620
	buffer_load_dword v57, off, s[0:3], 0 offset:632
	;; [unrolled: 1-line block ×5, first 2 shown]
	s_waitcnt vmcnt(57) lgkmcnt(0)
	v_mul_f64 v[190:191], v[5:6], v[59:60]
	v_mul_f64 v[59:60], v[7:8], v[59:60]
	s_waitcnt vmcnt(56)
	v_fma_f64 v[55:56], v[27:28], v[43:44], -v[55:56]
	ds_read_b128 v[1:4], v16 offset:1168
	v_fma_f64 v[43:44], v[29:30], v[43:44], v[49:50]
	v_add_f64 v[37:38], v[37:38], v[51:52]
	v_add_f64 v[9:10], v[9:10], v[47:48]
	s_clause 0x2
	buffer_load_dword v58, off, s[0:3], 0 offset:636
	buffer_load_dword v48, off, s[0:3], 0 offset:612
	;; [unrolled: 1-line block ×3, first 2 shown]
	ds_read_b128 v[27:30], v16 offset:1184
	s_waitcnt vmcnt(58) lgkmcnt(1)
	v_mul_f64 v[51:52], v[3:4], v[63:64]
	s_waitcnt vmcnt(56)
	v_fma_f64 v[59:60], v[5:6], v[69:70], -v[59:60]
	v_mul_f64 v[49:50], v[1:2], v[63:64]
	v_add_f64 v[37:38], v[37:38], v[55:56]
	v_fma_f64 v[55:56], v[7:8], v[69:70], v[190:191]
	v_add_f64 v[9:10], v[9:10], v[43:44]
	s_clause 0x4
	buffer_load_dword v44, off, s[0:3], 0 offset:652
	buffer_load_dword v63, off, s[0:3], 0 offset:664
	;; [unrolled: 1-line block ×5, first 2 shown]
	s_waitcnt vmcnt(57) lgkmcnt(0)
	v_mul_f64 v[190:191], v[27:28], v[71:72]
	v_mul_f64 v[70:71], v[29:30], v[71:72]
	s_waitcnt vmcnt(56)
	v_fma_f64 v[51:52], v[1:2], v[53:54], -v[51:52]
	ds_read_b128 v[5:8], v16 offset:1200
	v_fma_f64 v[49:50], v[3:4], v[53:54], v[49:50]
	s_clause 0x2
	buffer_load_dword v64, off, s[0:3], 0 offset:668
	buffer_load_dword v54, off, s[0:3], 0 offset:644
	;; [unrolled: 1-line block ×3, first 2 shown]
	ds_read_b128 v[1:4], v16 offset:1216
	v_add_f64 v[37:38], v[37:38], v[59:60]
	v_add_f64 v[9:10], v[9:10], v[55:56]
	s_waitcnt vmcnt(58) lgkmcnt(1)
	v_mul_f64 v[59:60], v[7:8], v[75:76]
	s_waitcnt vmcnt(56)
	v_fma_f64 v[71:72], v[27:28], v[81:82], -v[70:71]
	v_mul_f64 v[55:56], v[5:6], v[75:76]
	v_add_f64 v[37:38], v[37:38], v[51:52]
	v_fma_f64 v[51:52], v[29:30], v[81:82], v[190:191]
	v_add_f64 v[9:10], v[9:10], v[49:50]
	s_clause 0x4
	buffer_load_dword v50, off, s[0:3], 0 offset:684
	buffer_load_dword v75, off, s[0:3], 0 offset:696
	;; [unrolled: 1-line block ×5, first 2 shown]
	s_waitcnt vmcnt(57) lgkmcnt(0)
	v_mul_f64 v[190:191], v[1:2], v[83:84]
	v_mul_f64 v[82:83], v[3:4], v[83:84]
	s_waitcnt vmcnt(56)
	v_fma_f64 v[59:60], v[5:6], v[61:62], -v[59:60]
	ds_read_b128 v[27:30], v16 offset:1232
	v_fma_f64 v[55:56], v[7:8], v[61:62], v[55:56]
	v_add_f64 v[37:38], v[37:38], v[71:72]
	v_add_f64 v[9:10], v[9:10], v[51:52]
	s_clause 0x2
	buffer_load_dword v76, off, s[0:3], 0 offset:700
	buffer_load_dword v52, off, s[0:3], 0 offset:676
	;; [unrolled: 1-line block ×3, first 2 shown]
	ds_read_b128 v[5:8], v16 offset:1248
	s_waitcnt vmcnt(58) lgkmcnt(1)
	v_mul_f64 v[71:72], v[29:30], v[85:86]
	s_waitcnt vmcnt(56)
	v_fma_f64 v[83:84], v[1:2], v[87:88], -v[82:83]
	v_mul_f64 v[61:62], v[27:28], v[85:86]
	v_add_f64 v[37:38], v[37:38], v[59:60]
	v_fma_f64 v[59:60], v[3:4], v[87:88], v[190:191]
	v_add_f64 v[9:10], v[9:10], v[55:56]
	s_clause 0x4
	buffer_load_dword v56, off, s[0:3], 0 offset:716
	buffer_load_dword v85, off, s[0:3], 0 offset:728
	buffer_load_dword v87, off, s[0:3], 0 offset:720
	buffer_load_dword v55, off, s[0:3], 0 offset:712
	buffer_load_dword v82, off, s[0:3], 0 offset:692
	s_waitcnt vmcnt(57) lgkmcnt(0)
	v_mul_f64 v[190:191], v[5:6], v[175:176]
	v_mul_f64 v[175:176], v[7:8], v[175:176]
	s_waitcnt vmcnt(56)
	v_fma_f64 v[71:72], v[27:28], v[73:74], -v[71:72]
	ds_read_b128 v[1:4], v16 offset:1264
	v_fma_f64 v[61:62], v[29:30], v[73:74], v[61:62]
	v_add_f64 v[37:38], v[37:38], v[83:84]
	v_add_f64 v[9:10], v[9:10], v[59:60]
	s_clause 0x2
	buffer_load_dword v86, off, s[0:3], 0 offset:732
	buffer_load_dword v60, off, s[0:3], 0 offset:708
	;; [unrolled: 1-line block ×3, first 2 shown]
	ds_read_b128 v[27:30], v16 offset:1280
	s_waitcnt vmcnt(58) lgkmcnt(1)
	v_mul_f64 v[83:84], v[3:4], v[177:178]
	s_waitcnt vmcnt(56)
	v_fma_f64 v[175:176], v[5:6], v[182:183], -v[175:176]
	v_mul_f64 v[73:74], v[1:2], v[177:178]
	v_add_f64 v[37:38], v[37:38], v[71:72]
	v_fma_f64 v[71:72], v[7:8], v[182:183], v[190:191]
	v_add_f64 v[9:10], v[9:10], v[61:62]
	s_clause 0x4
	buffer_load_dword v62, off, s[0:3], 0 offset:748
	buffer_load_dword v177, off, s[0:3], 0 offset:760
	;; [unrolled: 1-line block ×5, first 2 shown]
	ds_read_b128 v[5:8], v16 offset:1296
	s_waitcnt vmcnt(57) lgkmcnt(1)
	v_mul_f64 v[182:183], v[27:28], v[173:174]
	v_mul_f64 v[173:174], v[29:30], v[173:174]
	s_waitcnt vmcnt(56)
	v_fma_f64 v[83:84], v[1:2], v[179:180], -v[83:84]
	v_fma_f64 v[73:74], v[3:4], v[179:180], v[73:74]
	v_add_f64 v[37:38], v[37:38], v[175:176]
	v_add_f64 v[9:10], v[9:10], v[71:72]
	s_clause 0x2
	buffer_load_dword v178, off, s[0:3], 0 offset:764
	buffer_load_dword v72, off, s[0:3], 0 offset:740
	;; [unrolled: 1-line block ×3, first 2 shown]
	ds_read_b128 v[1:4], v16 offset:1312
	s_waitcnt vmcnt(58) lgkmcnt(1)
	v_mul_f64 v[179:180], v[7:8], v[186:187]
	v_mul_f64 v[175:176], v[5:6], v[186:187]
	s_waitcnt vmcnt(56)
	v_fma_f64 v[173:174], v[27:28], v[167:168], -v[173:174]
	v_add_f64 v[37:38], v[37:38], v[83:84]
	v_fma_f64 v[83:84], v[29:30], v[167:168], v[182:183]
	v_add_f64 v[9:10], v[9:10], v[73:74]
	s_clause 0x4
	buffer_load_dword v74, off, s[0:3], 0 offset:780
	buffer_load_dword v167, off, s[0:3], 0 offset:792
	;; [unrolled: 1-line block ×5, first 2 shown]
	ds_read_b128 v[27:30], v16 offset:1328
	s_waitcnt vmcnt(57) lgkmcnt(1)
	v_mul_f64 v[190:191], v[1:2], v[45:46]
	v_mul_f64 v[45:46], v[3:4], v[45:46]
	s_waitcnt vmcnt(56)
	v_fma_f64 v[179:180], v[5:6], v[188:189], -v[179:180]
	v_add_f64 v[37:38], v[37:38], v[173:174]
	v_fma_f64 v[173:174], v[7:8], v[188:189], v[175:176]
	v_add_f64 v[9:10], v[9:10], v[83:84]
	s_clause 0x2
	buffer_load_dword v168, off, s[0:3], 0 offset:796
	buffer_load_dword v84, off, s[0:3], 0 offset:772
	;; [unrolled: 1-line block ×3, first 2 shown]
	ds_read_b128 v[5:8], v16 offset:1344
	buffer_load_dword v187, off, s[0:3], 0 offset:788
	s_waitcnt vmcnt(59) lgkmcnt(1)
	v_mul_f64 v[175:176], v[27:28], v[169:170]
	v_mul_f64 v[169:170], v[29:30], v[169:170]
	s_waitcnt vmcnt(57)
	v_fma_f64 v[45:46], v[1:2], v[39:40], -v[45:46]
	v_fma_f64 v[39:40], v[3:4], v[39:40], v[190:191]
	ds_read_b128 v[1:4], v16 offset:1360
	v_add_f64 v[37:38], v[37:38], v[179:180]
	v_add_f64 v[9:10], v[9:10], v[173:174]
	s_waitcnt vmcnt(53) lgkmcnt(1)
	v_mul_f64 v[173:174], v[5:6], v[161:162]
	v_mul_f64 v[161:162], v[7:8], v[161:162]
	s_waitcnt vmcnt(52)
	v_fma_f64 v[169:170], v[27:28], v[184:185], -v[169:170]
	v_add_f64 v[37:38], v[37:38], v[45:46]
	v_fma_f64 v[45:46], v[29:30], v[184:185], v[175:176]
	v_add_f64 v[9:10], v[9:10], v[39:40]
	ds_read_b128 v[27:30], v16 offset:1376
	s_waitcnt vmcnt(51) lgkmcnt(1)
	v_mul_f64 v[39:40], v[1:2], v[163:164]
	v_mul_f64 v[163:164], v[3:4], v[163:164]
	s_waitcnt vmcnt(49)
	v_fma_f64 v[161:162], v[5:6], v[41:42], -v[161:162]
	v_fma_f64 v[41:42], v[7:8], v[41:42], v[173:174]
	v_add_f64 v[37:38], v[37:38], v[169:170]
	v_add_f64 v[9:10], v[9:10], v[45:46]
	s_clause 0x3
	buffer_load_dword v45, off, s[0:3], 0 offset:224
	buffer_load_dword v46, off, s[0:3], 0 offset:228
	;; [unrolled: 1-line block ×4, first 2 shown]
	ds_read_b128 v[5:8], v16 offset:1392
	s_waitcnt vmcnt(49) lgkmcnt(1)
	v_mul_f64 v[173:174], v[27:28], v[31:32]
	v_mul_f64 v[31:32], v[29:30], v[31:32]
	s_waitcnt vmcnt(48)
	v_fma_f64 v[163:164], v[1:2], v[171:172], -v[163:164]
	v_fma_f64 v[39:40], v[3:4], v[171:172], v[39:40]
	ds_read_b128 v[1:4], v16 offset:1408
	v_add_f64 v[37:38], v[37:38], v[161:162]
	v_add_f64 v[9:10], v[9:10], v[41:42]
	s_waitcnt vmcnt(47) lgkmcnt(1)
	v_mul_f64 v[41:42], v[5:6], v[57:58]
	v_mul_f64 v[57:58], v[7:8], v[57:58]
	s_waitcnt vmcnt(45)
	v_fma_f64 v[31:32], v[27:28], v[47:48], -v[31:32]
	v_fma_f64 v[47:48], v[29:30], v[47:48], v[173:174]
	ds_read_b128 v[27:30], v16 offset:1424
	v_add_f64 v[37:38], v[37:38], v[163:164]
	v_add_f64 v[9:10], v[9:10], v[39:40]
	s_waitcnt vmcnt(41) lgkmcnt(1)
	v_mul_f64 v[39:40], v[1:2], v[43:44]
	v_mul_f64 v[43:44], v[3:4], v[43:44]
	s_waitcnt vmcnt(40)
	v_fma_f64 v[57:58], v[5:6], v[165:166], -v[57:58]
	v_add_f64 v[31:32], v[37:38], v[31:32]
	v_fma_f64 v[37:38], v[7:8], v[165:166], v[41:42]
	v_add_f64 v[9:10], v[9:10], v[47:48]
	ds_read_b128 v[5:8], v16 offset:1440
	s_waitcnt vmcnt(39) lgkmcnt(1)
	v_mul_f64 v[47:48], v[29:30], v[63:64]
	v_mul_f64 v[41:42], v[27:28], v[63:64]
	s_waitcnt vmcnt(37)
	v_fma_f64 v[39:40], v[3:4], v[53:54], v[39:40]
	v_fma_f64 v[43:44], v[1:2], v[53:54], -v[43:44]
	ds_read_b128 v[1:4], v16 offset:1456
	v_add_f64 v[31:32], v[31:32], v[57:58]
	v_add_f64 v[9:10], v[9:10], v[37:38]
	s_waitcnt vmcnt(33) lgkmcnt(1)
	v_mul_f64 v[37:38], v[5:6], v[49:50]
	v_mul_f64 v[49:50], v[7:8], v[49:50]
	s_waitcnt vmcnt(32)
	v_fma_f64 v[47:48], v[27:28], v[69:70], -v[47:48]
	v_fma_f64 v[41:42], v[29:30], v[69:70], v[41:42]
	ds_read_b128 v[27:30], v16 offset:1472
	v_add_f64 v[31:32], v[31:32], v[43:44]
	v_add_f64 v[9:10], v[9:10], v[39:40]
	s_waitcnt vmcnt(31) lgkmcnt(1)
	v_mul_f64 v[43:44], v[3:4], v[75:76]
	v_mul_f64 v[39:40], v[1:2], v[75:76]
	s_waitcnt vmcnt(29)
	v_fma_f64 v[49:50], v[5:6], v[51:52], -v[49:50]
	v_fma_f64 v[37:38], v[7:8], v[51:52], v[37:38]
	ds_read_b128 v[5:8], v16 offset:1488
	v_add_f64 v[31:32], v[31:32], v[47:48]
	v_add_f64 v[9:10], v[9:10], v[41:42]
	s_waitcnt vmcnt(25) lgkmcnt(1)
	v_mul_f64 v[47:48], v[29:30], v[55:56]
	s_waitcnt vmcnt(24)
	v_fma_f64 v[43:44], v[1:2], v[81:82], -v[43:44]
	v_mul_f64 v[41:42], v[27:28], v[55:56]
	v_fma_f64 v[39:40], v[3:4], v[81:82], v[39:40]
	ds_read_b128 v[1:4], v16 offset:1504
	v_add_f64 v[31:32], v[31:32], v[49:50]
	v_add_f64 v[9:10], v[9:10], v[37:38]
	s_waitcnt vmcnt(23) lgkmcnt(1)
	v_mul_f64 v[49:50], v[7:8], v[85:86]
	v_mul_f64 v[37:38], v[5:6], v[85:86]
	s_waitcnt vmcnt(21)
	v_fma_f64 v[47:48], v[27:28], v[59:60], -v[47:48]
	v_fma_f64 v[41:42], v[29:30], v[59:60], v[41:42]
	ds_read_b128 v[27:30], v16 offset:1520
	v_add_f64 v[31:32], v[31:32], v[43:44]
	v_add_f64 v[9:10], v[9:10], v[39:40]
	s_waitcnt vmcnt(17) lgkmcnt(1)
	v_mul_f64 v[43:44], v[3:4], v[61:62]
	s_waitcnt vmcnt(16)
	v_fma_f64 v[49:50], v[5:6], v[87:88], -v[49:50]
	v_mul_f64 v[39:40], v[1:2], v[61:62]
	;; [unrolled: 18-line block ×3, first 2 shown]
	v_fma_f64 v[29:30], v[29:30], v[181:182], v[41:42]
	v_add_f64 v[31:32], v[31:32], v[43:44]
	v_add_f64 v[9:10], v[9:10], v[39:40]
	s_waitcnt vmcnt(7) lgkmcnt(0)
	v_mul_f64 v[41:42], v[3:4], v[167:168]
	v_mul_f64 v[39:40], v[1:2], v[167:168]
	s_waitcnt vmcnt(5)
	v_fma_f64 v[5:6], v[5:6], v[83:84], -v[49:50]
	v_fma_f64 v[7:8], v[7:8], v[83:84], v[37:38]
	v_add_f64 v[27:28], v[31:32], v[27:28]
	v_add_f64 v[9:10], v[9:10], v[29:30]
	s_waitcnt vmcnt(4)
	v_fma_f64 v[1:2], v[1:2], v[186:187], -v[41:42]
	v_fma_f64 v[3:4], v[3:4], v[186:187], v[39:40]
	v_add_f64 v[5:6], v[27:28], v[5:6]
	v_add_f64 v[7:8], v[9:10], v[7:8]
	;; [unrolled: 1-line block ×4, first 2 shown]
	s_waitcnt vmcnt(2)
	v_add_f64 v[1:2], v[45:46], -v[1:2]
	s_waitcnt vmcnt(0)
	v_add_f64 v[3:4], v[169:170], -v[3:4]
	buffer_store_dword v2, off, s[0:3], 0 offset:228
	buffer_store_dword v1, off, s[0:3], 0 offset:224
	buffer_store_dword v4, off, s[0:3], 0 offset:236
	buffer_store_dword v3, off, s[0:3], 0 offset:232
	v_cmpx_lt_u32_e32 12, v0
	s_cbranch_execz .LBB48_283
; %bb.282:
	v_mov_b32_e32 v4, s49
	s_clause 0x3
	buffer_load_dword v1, v4, s[0:3], 0 offen
	buffer_load_dword v2, v4, s[0:3], 0 offen offset:4
	buffer_load_dword v3, v4, s[0:3], 0 offen offset:8
	;; [unrolled: 1-line block ×3, first 2 shown]
	buffer_store_dword v16, off, s[0:3], 0 offset:208
	buffer_store_dword v16, off, s[0:3], 0 offset:212
	;; [unrolled: 1-line block ×4, first 2 shown]
	s_waitcnt vmcnt(0)
	ds_write_b128 v11, v[1:4]
.LBB48_283:
	s_or_b32 exec_lo, exec_lo, s4
	s_waitcnt lgkmcnt(0)
	s_waitcnt_vscnt null, 0x0
	s_barrier
	buffer_gl0_inv
	s_clause 0x37
	buffer_load_dword v9, off, s[0:3], 0 offset:232
	buffer_load_dword v10, off, s[0:3], 0 offset:236
	;; [unrolled: 1-line block ×56, first 2 shown]
	ds_read_b128 v[161:164], v16 offset:992
	s_clause 0x2
	buffer_load_dword v86, off, s[0:3], 0 offset:460
	buffer_load_dword v88, off, s[0:3], 0 offset:436
	;; [unrolled: 1-line block ×3, first 2 shown]
	ds_read_b128 v[165:168], v16 offset:1008
	s_clause 0x4
	buffer_load_dword v176, off, s[0:3], 0 offset:476
	buffer_load_dword v177, off, s[0:3], 0 offset:488
	;; [unrolled: 1-line block ×5, first 2 shown]
	ds_read_b128 v[169:172], v16 offset:1024
	s_clause 0x2
	buffer_load_dword v178, off, s[0:3], 0 offset:492
	buffer_load_dword v183, off, s[0:3], 0 offset:468
	buffer_load_dword v182, off, s[0:3], 0 offset:464
	s_mov_b32 s4, exec_lo
	s_waitcnt vmcnt(62) lgkmcnt(2)
	v_mul_f64 v[173:174], v[163:164], v[9:10]
	v_mul_f64 v[9:10], v[161:162], v[9:10]
	s_waitcnt lgkmcnt(1)
	v_mul_f64 v[180:181], v[167:168], v[5:6]
	s_waitcnt vmcnt(59) lgkmcnt(0)
	v_mul_f64 v[184:185], v[171:172], v[3:4]
	v_fma_f64 v[161:162], v[161:162], v[7:8], -v[173:174]
	v_mul_f64 v[173:174], v[165:166], v[5:6]
	v_fma_f64 v[9:10], v[163:164], v[7:8], v[9:10]
	s_waitcnt vmcnt(57)
	v_fma_f64 v[165:166], v[165:166], v[1:2], -v[180:181]
	ds_read_b128 v[5:8], v16 offset:1040
	v_mul_f64 v[163:164], v[169:170], v[3:4]
	s_waitcnt vmcnt(51)
	v_fma_f64 v[169:170], v[169:170], v[45:46], -v[184:185]
	v_add_f64 v[161:162], v[161:162], 0
	v_fma_f64 v[167:168], v[167:168], v[1:2], v[173:174]
	v_add_f64 v[9:10], v[9:10], 0
	s_clause 0x4
	buffer_load_dword v174, off, s[0:3], 0 offset:508
	buffer_load_dword v186, off, s[0:3], 0 offset:520
	;; [unrolled: 1-line block ×5, first 2 shown]
	s_waitcnt lgkmcnt(0)
	v_mul_f64 v[189:190], v[5:6], v[29:30]
	v_mul_f64 v[29:30], v[7:8], v[29:30]
	ds_read_b128 v[1:4], v16 offset:1056
	v_fma_f64 v[45:46], v[171:172], v[45:46], v[163:164]
	v_add_f64 v[165:166], v[161:162], v[165:166]
	v_add_f64 v[9:10], v[9:10], v[167:168]
	s_clause 0x2
	buffer_load_dword v187, off, s[0:3], 0 offset:524
	buffer_load_dword v168, off, s[0:3], 0 offset:500
	;; [unrolled: 1-line block ×3, first 2 shown]
	s_waitcnt vmcnt(58) lgkmcnt(0)
	v_mul_f64 v[171:172], v[1:2], v[37:38]
	v_mul_f64 v[37:38], v[3:4], v[37:38]
	s_waitcnt vmcnt(56)
	v_fma_f64 v[29:30], v[5:6], v[39:40], -v[29:30]
	ds_read_b128 v[161:164], v16 offset:1072
	v_fma_f64 v[39:40], v[7:8], v[39:40], v[189:190]
	v_add_f64 v[165:166], v[165:166], v[169:170]
	v_add_f64 v[9:10], v[9:10], v[45:46]
	s_clause 0x4
	buffer_load_dword v46, off, s[0:3], 0 offset:540
	buffer_load_dword v169, off, s[0:3], 0 offset:552
	;; [unrolled: 1-line block ×5, first 2 shown]
	ds_read_b128 v[5:8], v16 offset:1088
	s_waitcnt vmcnt(57) lgkmcnt(1)
	v_mul_f64 v[190:191], v[161:162], v[41:42]
	v_mul_f64 v[41:42], v[163:164], v[41:42]
	s_waitcnt vmcnt(56)
	v_fma_f64 v[37:38], v[1:2], v[27:28], -v[37:38]
	v_fma_f64 v[27:28], v[3:4], v[27:28], v[171:172]
	v_add_f64 v[29:30], v[165:166], v[29:30]
	v_add_f64 v[9:10], v[9:10], v[39:40]
	s_clause 0x2
	buffer_load_dword v170, off, s[0:3], 0 offset:556
	buffer_load_dword v40, off, s[0:3], 0 offset:532
	;; [unrolled: 1-line block ×3, first 2 shown]
	s_waitcnt vmcnt(58) lgkmcnt(0)
	v_mul_f64 v[165:166], v[5:6], v[47:48]
	v_mul_f64 v[47:48], v[7:8], v[47:48]
	s_waitcnt vmcnt(56)
	v_fma_f64 v[41:42], v[161:162], v[49:50], -v[41:42]
	ds_read_b128 v[1:4], v16 offset:1104
	v_fma_f64 v[49:50], v[163:164], v[49:50], v[190:191]
	s_clause 0x4
	buffer_load_dword v162, off, s[0:3], 0 offset:572
	buffer_load_dword v163, off, s[0:3], 0 offset:584
	;; [unrolled: 1-line block ×5, first 2 shown]
	v_add_f64 v[37:38], v[29:30], v[37:38]
	v_add_f64 v[9:10], v[9:10], v[27:28]
	ds_read_b128 v[27:30], v16 offset:1120
	s_waitcnt vmcnt(57) lgkmcnt(1)
	v_mul_f64 v[190:191], v[1:2], v[51:52]
	v_mul_f64 v[51:52], v[3:4], v[51:52]
	s_waitcnt vmcnt(56)
	v_fma_f64 v[47:48], v[5:6], v[31:32], -v[47:48]
	v_fma_f64 v[31:32], v[7:8], v[31:32], v[165:166]
	v_add_f64 v[37:38], v[37:38], v[41:42]
	s_clause 0x2
	buffer_load_dword v164, off, s[0:3], 0 offset:588
	buffer_load_dword v42, off, s[0:3], 0 offset:564
	;; [unrolled: 1-line block ×3, first 2 shown]
	v_add_f64 v[9:10], v[9:10], v[49:50]
	s_waitcnt vmcnt(58) lgkmcnt(0)
	v_mul_f64 v[49:50], v[27:28], v[55:56]
	v_mul_f64 v[55:56], v[29:30], v[55:56]
	ds_read_b128 v[5:8], v16 offset:1136
	s_waitcnt vmcnt(56)
	v_fma_f64 v[51:52], v[1:2], v[57:58], -v[51:52]
	v_add_f64 v[37:38], v[37:38], v[47:48]
	v_fma_f64 v[47:48], v[3:4], v[57:58], v[190:191]
	v_add_f64 v[9:10], v[9:10], v[31:32]
	s_clause 0x4
	buffer_load_dword v32, off, s[0:3], 0 offset:604
	buffer_load_dword v57, off, s[0:3], 0 offset:616
	;; [unrolled: 1-line block ×5, first 2 shown]
	s_waitcnt vmcnt(57) lgkmcnt(0)
	v_mul_f64 v[190:191], v[5:6], v[59:60]
	v_mul_f64 v[59:60], v[7:8], v[59:60]
	s_waitcnt vmcnt(56)
	v_fma_f64 v[55:56], v[27:28], v[43:44], -v[55:56]
	ds_read_b128 v[1:4], v16 offset:1152
	v_fma_f64 v[43:44], v[29:30], v[43:44], v[49:50]
	v_add_f64 v[37:38], v[37:38], v[51:52]
	v_add_f64 v[9:10], v[9:10], v[47:48]
	s_clause 0x2
	buffer_load_dword v58, off, s[0:3], 0 offset:620
	buffer_load_dword v48, off, s[0:3], 0 offset:596
	;; [unrolled: 1-line block ×3, first 2 shown]
	ds_read_b128 v[27:30], v16 offset:1168
	s_waitcnt vmcnt(58) lgkmcnt(1)
	v_mul_f64 v[51:52], v[3:4], v[63:64]
	s_waitcnt vmcnt(56)
	v_fma_f64 v[59:60], v[5:6], v[69:70], -v[59:60]
	v_mul_f64 v[49:50], v[1:2], v[63:64]
	v_add_f64 v[37:38], v[37:38], v[55:56]
	v_fma_f64 v[55:56], v[7:8], v[69:70], v[190:191]
	v_add_f64 v[9:10], v[9:10], v[43:44]
	s_clause 0x4
	buffer_load_dword v44, off, s[0:3], 0 offset:636
	buffer_load_dword v63, off, s[0:3], 0 offset:648
	;; [unrolled: 1-line block ×5, first 2 shown]
	s_waitcnt vmcnt(57) lgkmcnt(0)
	v_mul_f64 v[190:191], v[27:28], v[71:72]
	v_mul_f64 v[70:71], v[29:30], v[71:72]
	s_waitcnt vmcnt(56)
	v_fma_f64 v[51:52], v[1:2], v[53:54], -v[51:52]
	ds_read_b128 v[5:8], v16 offset:1184
	v_fma_f64 v[49:50], v[3:4], v[53:54], v[49:50]
	s_clause 0x2
	buffer_load_dword v64, off, s[0:3], 0 offset:652
	buffer_load_dword v54, off, s[0:3], 0 offset:628
	;; [unrolled: 1-line block ×3, first 2 shown]
	ds_read_b128 v[1:4], v16 offset:1200
	v_add_f64 v[37:38], v[37:38], v[59:60]
	v_add_f64 v[9:10], v[9:10], v[55:56]
	s_waitcnt vmcnt(58) lgkmcnt(1)
	v_mul_f64 v[59:60], v[7:8], v[75:76]
	s_waitcnt vmcnt(56)
	v_fma_f64 v[71:72], v[27:28], v[81:82], -v[70:71]
	v_mul_f64 v[55:56], v[5:6], v[75:76]
	v_add_f64 v[37:38], v[37:38], v[51:52]
	v_fma_f64 v[51:52], v[29:30], v[81:82], v[190:191]
	v_add_f64 v[9:10], v[9:10], v[49:50]
	s_clause 0x4
	buffer_load_dword v50, off, s[0:3], 0 offset:668
	buffer_load_dword v75, off, s[0:3], 0 offset:680
	;; [unrolled: 1-line block ×5, first 2 shown]
	s_waitcnt vmcnt(57) lgkmcnt(0)
	v_mul_f64 v[190:191], v[1:2], v[83:84]
	v_mul_f64 v[82:83], v[3:4], v[83:84]
	s_waitcnt vmcnt(56)
	v_fma_f64 v[59:60], v[5:6], v[61:62], -v[59:60]
	ds_read_b128 v[27:30], v16 offset:1216
	v_fma_f64 v[55:56], v[7:8], v[61:62], v[55:56]
	v_add_f64 v[37:38], v[37:38], v[71:72]
	v_add_f64 v[9:10], v[9:10], v[51:52]
	s_clause 0x2
	buffer_load_dword v76, off, s[0:3], 0 offset:684
	buffer_load_dword v52, off, s[0:3], 0 offset:660
	;; [unrolled: 1-line block ×3, first 2 shown]
	ds_read_b128 v[5:8], v16 offset:1232
	s_waitcnt vmcnt(58) lgkmcnt(1)
	v_mul_f64 v[71:72], v[29:30], v[85:86]
	s_waitcnt vmcnt(56)
	v_fma_f64 v[83:84], v[1:2], v[87:88], -v[82:83]
	v_mul_f64 v[61:62], v[27:28], v[85:86]
	v_add_f64 v[37:38], v[37:38], v[59:60]
	v_fma_f64 v[59:60], v[3:4], v[87:88], v[190:191]
	v_add_f64 v[9:10], v[9:10], v[55:56]
	s_clause 0x4
	buffer_load_dword v56, off, s[0:3], 0 offset:700
	buffer_load_dword v85, off, s[0:3], 0 offset:712
	;; [unrolled: 1-line block ×5, first 2 shown]
	s_waitcnt vmcnt(57) lgkmcnt(0)
	v_mul_f64 v[190:191], v[5:6], v[175:176]
	v_mul_f64 v[175:176], v[7:8], v[175:176]
	s_waitcnt vmcnt(56)
	v_fma_f64 v[71:72], v[27:28], v[73:74], -v[71:72]
	ds_read_b128 v[1:4], v16 offset:1248
	v_fma_f64 v[61:62], v[29:30], v[73:74], v[61:62]
	v_add_f64 v[37:38], v[37:38], v[83:84]
	v_add_f64 v[9:10], v[9:10], v[59:60]
	s_clause 0x2
	buffer_load_dword v86, off, s[0:3], 0 offset:716
	buffer_load_dword v60, off, s[0:3], 0 offset:692
	;; [unrolled: 1-line block ×3, first 2 shown]
	ds_read_b128 v[27:30], v16 offset:1264
	s_waitcnt vmcnt(58) lgkmcnt(1)
	v_mul_f64 v[83:84], v[3:4], v[177:178]
	s_waitcnt vmcnt(56)
	v_fma_f64 v[175:176], v[5:6], v[182:183], -v[175:176]
	v_mul_f64 v[73:74], v[1:2], v[177:178]
	v_add_f64 v[37:38], v[37:38], v[71:72]
	v_fma_f64 v[71:72], v[7:8], v[182:183], v[190:191]
	v_add_f64 v[9:10], v[9:10], v[61:62]
	s_clause 0x4
	buffer_load_dword v62, off, s[0:3], 0 offset:732
	buffer_load_dword v177, off, s[0:3], 0 offset:744
	buffer_load_dword v181, off, s[0:3], 0 offset:736
	buffer_load_dword v61, off, s[0:3], 0 offset:728
	buffer_load_dword v88, off, s[0:3], 0 offset:708
	ds_read_b128 v[5:8], v16 offset:1280
	s_waitcnt vmcnt(57) lgkmcnt(1)
	v_mul_f64 v[182:183], v[27:28], v[173:174]
	v_mul_f64 v[173:174], v[29:30], v[173:174]
	s_waitcnt vmcnt(56)
	v_fma_f64 v[83:84], v[1:2], v[179:180], -v[83:84]
	v_fma_f64 v[73:74], v[3:4], v[179:180], v[73:74]
	v_add_f64 v[37:38], v[37:38], v[175:176]
	v_add_f64 v[9:10], v[9:10], v[71:72]
	s_clause 0x2
	buffer_load_dword v178, off, s[0:3], 0 offset:748
	buffer_load_dword v72, off, s[0:3], 0 offset:724
	;; [unrolled: 1-line block ×3, first 2 shown]
	ds_read_b128 v[1:4], v16 offset:1296
	s_waitcnt vmcnt(58) lgkmcnt(1)
	v_mul_f64 v[179:180], v[7:8], v[186:187]
	v_mul_f64 v[175:176], v[5:6], v[186:187]
	s_waitcnt vmcnt(56)
	v_fma_f64 v[173:174], v[27:28], v[167:168], -v[173:174]
	v_add_f64 v[37:38], v[37:38], v[83:84]
	v_fma_f64 v[83:84], v[29:30], v[167:168], v[182:183]
	v_add_f64 v[9:10], v[9:10], v[73:74]
	s_clause 0x4
	buffer_load_dword v74, off, s[0:3], 0 offset:764
	buffer_load_dword v167, off, s[0:3], 0 offset:776
	;; [unrolled: 1-line block ×5, first 2 shown]
	ds_read_b128 v[27:30], v16 offset:1312
	s_waitcnt vmcnt(57) lgkmcnt(1)
	v_mul_f64 v[190:191], v[1:2], v[45:46]
	v_mul_f64 v[45:46], v[3:4], v[45:46]
	s_waitcnt vmcnt(56)
	v_fma_f64 v[179:180], v[5:6], v[188:189], -v[179:180]
	v_add_f64 v[37:38], v[37:38], v[173:174]
	v_fma_f64 v[173:174], v[7:8], v[188:189], v[175:176]
	v_add_f64 v[9:10], v[9:10], v[83:84]
	s_clause 0x2
	buffer_load_dword v168, off, s[0:3], 0 offset:780
	buffer_load_dword v84, off, s[0:3], 0 offset:756
	buffer_load_dword v83, off, s[0:3], 0 offset:752
	ds_read_b128 v[5:8], v16 offset:1328
	s_waitcnt vmcnt(58) lgkmcnt(1)
	v_mul_f64 v[175:176], v[27:28], v[169:170]
	v_mul_f64 v[169:170], v[29:30], v[169:170]
	s_waitcnt vmcnt(56)
	v_fma_f64 v[45:46], v[1:2], v[39:40], -v[45:46]
	v_fma_f64 v[39:40], v[3:4], v[39:40], v[190:191]
	v_add_f64 v[37:38], v[37:38], v[179:180]
	v_add_f64 v[9:10], v[9:10], v[173:174]
	s_clause 0x2
	buffer_load_dword v174, off, s[0:3], 0 offset:796
	buffer_load_dword v173, off, s[0:3], 0 offset:792
	;; [unrolled: 1-line block ×3, first 2 shown]
	s_waitcnt vmcnt(55) lgkmcnt(0)
	v_mul_f64 v[179:180], v[5:6], v[161:162]
	v_mul_f64 v[161:162], v[7:8], v[161:162]
	ds_read_b128 v[1:4], v16 offset:1344
	s_waitcnt vmcnt(54)
	v_fma_f64 v[169:170], v[27:28], v[184:185], -v[169:170]
	v_add_f64 v[37:38], v[37:38], v[45:46]
	v_fma_f64 v[45:46], v[29:30], v[184:185], v[175:176]
	v_add_f64 v[9:10], v[9:10], v[39:40]
	s_clause 0x1
	buffer_load_dword v40, off, s[0:3], 0 offset:788
	buffer_load_dword v39, off, s[0:3], 0 offset:784
	ds_read_b128 v[27:30], v16 offset:1360
	s_waitcnt vmcnt(55) lgkmcnt(1)
	v_mul_f64 v[175:176], v[1:2], v[163:164]
	v_mul_f64 v[163:164], v[3:4], v[163:164]
	s_waitcnt vmcnt(53)
	v_fma_f64 v[161:162], v[5:6], v[41:42], -v[161:162]
	v_fma_f64 v[41:42], v[7:8], v[41:42], v[179:180]
	ds_read_b128 v[5:8], v16 offset:1376
	v_add_f64 v[37:38], v[37:38], v[169:170]
	v_add_f64 v[9:10], v[9:10], v[45:46]
	s_waitcnt vmcnt(49) lgkmcnt(1)
	v_mul_f64 v[45:46], v[27:28], v[31:32]
	v_mul_f64 v[31:32], v[29:30], v[31:32]
	s_waitcnt vmcnt(48)
	v_fma_f64 v[163:164], v[1:2], v[171:172], -v[163:164]
	v_add_f64 v[37:38], v[37:38], v[161:162]
	v_fma_f64 v[161:162], v[3:4], v[171:172], v[175:176]
	v_add_f64 v[9:10], v[9:10], v[41:42]
	s_clause 0x3
	buffer_load_dword v41, off, s[0:3], 0 offset:208
	buffer_load_dword v42, off, s[0:3], 0 offset:212
	;; [unrolled: 1-line block ×4, first 2 shown]
	ds_read_b128 v[1:4], v16 offset:1392
	s_waitcnt vmcnt(51) lgkmcnt(1)
	v_mul_f64 v[171:172], v[5:6], v[57:58]
	v_mul_f64 v[57:58], v[7:8], v[57:58]
	s_waitcnt vmcnt(49)
	v_fma_f64 v[31:32], v[27:28], v[47:48], -v[31:32]
	v_fma_f64 v[45:46], v[29:30], v[47:48], v[45:46]
	ds_read_b128 v[27:30], v16 offset:1408
	v_add_f64 v[37:38], v[37:38], v[163:164]
	v_add_f64 v[9:10], v[9:10], v[161:162]
	s_waitcnt vmcnt(45) lgkmcnt(1)
	v_mul_f64 v[47:48], v[1:2], v[43:44]
	v_mul_f64 v[43:44], v[3:4], v[43:44]
	s_waitcnt vmcnt(44)
	v_fma_f64 v[57:58], v[5:6], v[165:166], -v[57:58]
	v_add_f64 v[31:32], v[37:38], v[31:32]
	v_fma_f64 v[37:38], v[7:8], v[165:166], v[171:172]
	v_add_f64 v[9:10], v[9:10], v[45:46]
	s_waitcnt vmcnt(43) lgkmcnt(0)
	v_mul_f64 v[45:46], v[27:28], v[63:64]
	v_mul_f64 v[63:64], v[29:30], v[63:64]
	ds_read_b128 v[5:8], v16 offset:1424
	s_waitcnt vmcnt(41)
	v_fma_f64 v[47:48], v[3:4], v[53:54], v[47:48]
	v_fma_f64 v[43:44], v[1:2], v[53:54], -v[43:44]
	ds_read_b128 v[1:4], v16 offset:1440
	v_add_f64 v[31:32], v[31:32], v[57:58]
	v_add_f64 v[9:10], v[9:10], v[37:38]
	s_waitcnt vmcnt(37) lgkmcnt(1)
	v_mul_f64 v[37:38], v[5:6], v[49:50]
	v_mul_f64 v[49:50], v[7:8], v[49:50]
	s_waitcnt vmcnt(36)
	v_fma_f64 v[53:54], v[27:28], v[69:70], -v[63:64]
	v_add_f64 v[31:32], v[31:32], v[43:44]
	v_fma_f64 v[43:44], v[29:30], v[69:70], v[45:46]
	v_add_f64 v[9:10], v[9:10], v[47:48]
	ds_read_b128 v[27:30], v16 offset:1456
	s_waitcnt vmcnt(35) lgkmcnt(1)
	v_mul_f64 v[47:48], v[3:4], v[75:76]
	v_mul_f64 v[45:46], v[1:2], v[75:76]
	s_waitcnt vmcnt(33)
	v_fma_f64 v[49:50], v[5:6], v[51:52], -v[49:50]
	v_fma_f64 v[37:38], v[7:8], v[51:52], v[37:38]
	ds_read_b128 v[5:8], v16 offset:1472
	v_add_f64 v[31:32], v[31:32], v[53:54]
	v_add_f64 v[9:10], v[9:10], v[43:44]
	s_waitcnt vmcnt(29) lgkmcnt(1)
	v_mul_f64 v[51:52], v[29:30], v[55:56]
	s_waitcnt vmcnt(28)
	v_fma_f64 v[47:48], v[1:2], v[81:82], -v[47:48]
	v_mul_f64 v[43:44], v[27:28], v[55:56]
	v_fma_f64 v[45:46], v[3:4], v[81:82], v[45:46]
	ds_read_b128 v[1:4], v16 offset:1488
	v_add_f64 v[31:32], v[31:32], v[49:50]
	v_add_f64 v[9:10], v[9:10], v[37:38]
	s_waitcnt vmcnt(27) lgkmcnt(1)
	v_mul_f64 v[49:50], v[7:8], v[85:86]
	v_mul_f64 v[37:38], v[5:6], v[85:86]
	s_waitcnt vmcnt(25)
	v_fma_f64 v[51:52], v[27:28], v[59:60], -v[51:52]
	v_fma_f64 v[43:44], v[29:30], v[59:60], v[43:44]
	ds_read_b128 v[27:30], v16 offset:1504
	v_add_f64 v[31:32], v[31:32], v[47:48]
	v_add_f64 v[9:10], v[9:10], v[45:46]
	s_waitcnt vmcnt(21) lgkmcnt(1)
	v_mul_f64 v[47:48], v[3:4], v[61:62]
	s_waitcnt vmcnt(20)
	v_fma_f64 v[49:50], v[5:6], v[87:88], -v[49:50]
	v_mul_f64 v[45:46], v[1:2], v[61:62]
	v_fma_f64 v[37:38], v[7:8], v[87:88], v[37:38]
	ds_read_b128 v[5:8], v16 offset:1520
	v_add_f64 v[31:32], v[31:32], v[51:52]
	v_add_f64 v[9:10], v[9:10], v[43:44]
	;; [unrolled: 18-line block ×3, first 2 shown]
	s_waitcnt vmcnt(11) lgkmcnt(1)
	v_mul_f64 v[47:48], v[3:4], v[167:168]
	v_mul_f64 v[45:46], v[1:2], v[167:168]
	s_waitcnt vmcnt(9)
	v_fma_f64 v[5:6], v[5:6], v[83:84], -v[49:50]
	v_fma_f64 v[7:8], v[7:8], v[83:84], v[37:38]
	v_add_f64 v[31:32], v[31:32], v[51:52]
	v_add_f64 v[9:10], v[9:10], v[43:44]
	s_waitcnt vmcnt(7) lgkmcnt(0)
	v_mul_f64 v[43:44], v[29:30], v[173:174]
	s_waitcnt vmcnt(6)
	v_fma_f64 v[1:2], v[1:2], v[186:187], -v[47:48]
	v_mul_f64 v[37:38], v[27:28], v[173:174]
	v_fma_f64 v[3:4], v[3:4], v[186:187], v[45:46]
	v_add_f64 v[5:6], v[31:32], v[5:6]
	v_add_f64 v[7:8], v[9:10], v[7:8]
	s_waitcnt vmcnt(4)
	v_fma_f64 v[9:10], v[27:28], v[39:40], -v[43:44]
	v_add_f64 v[1:2], v[5:6], v[1:2]
	v_fma_f64 v[5:6], v[29:30], v[39:40], v[37:38]
	v_add_f64 v[3:4], v[7:8], v[3:4]
	v_add_f64 v[1:2], v[1:2], v[9:10]
	;; [unrolled: 1-line block ×3, first 2 shown]
	s_waitcnt vmcnt(2)
	v_add_f64 v[1:2], v[41:42], -v[1:2]
	s_waitcnt vmcnt(0)
	v_add_f64 v[3:4], v[169:170], -v[3:4]
	buffer_store_dword v2, off, s[0:3], 0 offset:212
	buffer_store_dword v1, off, s[0:3], 0 offset:208
	;; [unrolled: 1-line block ×4, first 2 shown]
	v_cmpx_lt_u32_e32 11, v0
	s_cbranch_execz .LBB48_285
; %bb.284:
	v_mov_b32_e32 v4, s50
	v_mov_b32_e32 v5, 0
	s_clause 0x3
	buffer_load_dword v1, v4, s[0:3], 0 offen
	buffer_load_dword v2, v4, s[0:3], 0 offen offset:4
	buffer_load_dword v3, v4, s[0:3], 0 offen offset:8
	;; [unrolled: 1-line block ×3, first 2 shown]
	buffer_store_dword v5, off, s[0:3], 0 offset:192
	buffer_store_dword v5, off, s[0:3], 0 offset:196
	buffer_store_dword v5, off, s[0:3], 0 offset:200
	buffer_store_dword v5, off, s[0:3], 0 offset:204
	s_waitcnt vmcnt(0)
	ds_write_b128 v11, v[1:4]
.LBB48_285:
	s_or_b32 exec_lo, exec_lo, s4
	s_waitcnt lgkmcnt(0)
	s_waitcnt_vscnt null, 0x0
	s_barrier
	buffer_gl0_inv
	s_clause 0x37
	buffer_load_dword v9, off, s[0:3], 0 offset:216
	buffer_load_dword v10, off, s[0:3], 0 offset:220
	;; [unrolled: 1-line block ×56, first 2 shown]
	v_mov_b32_e32 v16, 0
	s_mov_b32 s4, exec_lo
	ds_read_b128 v[161:164], v16 offset:976
	s_clause 0x2
	buffer_load_dword v86, off, s[0:3], 0 offset:444
	buffer_load_dword v88, off, s[0:3], 0 offset:420
	;; [unrolled: 1-line block ×3, first 2 shown]
	ds_read_b128 v[165:168], v16 offset:992
	s_clause 0x4
	buffer_load_dword v176, off, s[0:3], 0 offset:460
	buffer_load_dword v177, off, s[0:3], 0 offset:472
	;; [unrolled: 1-line block ×5, first 2 shown]
	ds_read_b128 v[169:172], v16 offset:1008
	s_clause 0x2
	buffer_load_dword v178, off, s[0:3], 0 offset:476
	buffer_load_dword v183, off, s[0:3], 0 offset:452
	;; [unrolled: 1-line block ×3, first 2 shown]
	s_waitcnt vmcnt(62) lgkmcnt(2)
	v_mul_f64 v[173:174], v[163:164], v[9:10]
	v_mul_f64 v[9:10], v[161:162], v[9:10]
	s_waitcnt lgkmcnt(1)
	v_mul_f64 v[180:181], v[167:168], v[5:6]
	s_waitcnt vmcnt(59) lgkmcnt(0)
	v_mul_f64 v[184:185], v[171:172], v[3:4]
	v_fma_f64 v[161:162], v[161:162], v[7:8], -v[173:174]
	v_mul_f64 v[173:174], v[165:166], v[5:6]
	v_fma_f64 v[9:10], v[163:164], v[7:8], v[9:10]
	s_waitcnt vmcnt(57)
	v_fma_f64 v[165:166], v[165:166], v[1:2], -v[180:181]
	ds_read_b128 v[5:8], v16 offset:1024
	v_mul_f64 v[163:164], v[169:170], v[3:4]
	s_waitcnt vmcnt(51)
	v_fma_f64 v[169:170], v[169:170], v[45:46], -v[184:185]
	v_add_f64 v[161:162], v[161:162], 0
	v_fma_f64 v[167:168], v[167:168], v[1:2], v[173:174]
	v_add_f64 v[9:10], v[9:10], 0
	s_clause 0x4
	buffer_load_dword v174, off, s[0:3], 0 offset:492
	buffer_load_dword v186, off, s[0:3], 0 offset:504
	;; [unrolled: 1-line block ×5, first 2 shown]
	s_waitcnt lgkmcnt(0)
	v_mul_f64 v[189:190], v[5:6], v[29:30]
	v_mul_f64 v[29:30], v[7:8], v[29:30]
	ds_read_b128 v[1:4], v16 offset:1040
	v_fma_f64 v[45:46], v[171:172], v[45:46], v[163:164]
	v_add_f64 v[165:166], v[161:162], v[165:166]
	v_add_f64 v[9:10], v[9:10], v[167:168]
	s_clause 0x2
	buffer_load_dword v187, off, s[0:3], 0 offset:508
	buffer_load_dword v168, off, s[0:3], 0 offset:484
	;; [unrolled: 1-line block ×3, first 2 shown]
	s_waitcnt vmcnt(58) lgkmcnt(0)
	v_mul_f64 v[171:172], v[1:2], v[37:38]
	v_mul_f64 v[37:38], v[3:4], v[37:38]
	s_waitcnt vmcnt(56)
	v_fma_f64 v[29:30], v[5:6], v[39:40], -v[29:30]
	ds_read_b128 v[161:164], v16 offset:1056
	v_fma_f64 v[39:40], v[7:8], v[39:40], v[189:190]
	v_add_f64 v[165:166], v[165:166], v[169:170]
	v_add_f64 v[9:10], v[9:10], v[45:46]
	s_clause 0x4
	buffer_load_dword v46, off, s[0:3], 0 offset:524
	buffer_load_dword v169, off, s[0:3], 0 offset:536
	;; [unrolled: 1-line block ×5, first 2 shown]
	ds_read_b128 v[5:8], v16 offset:1072
	s_waitcnt vmcnt(57) lgkmcnt(1)
	v_mul_f64 v[190:191], v[161:162], v[41:42]
	v_mul_f64 v[41:42], v[163:164], v[41:42]
	s_waitcnt vmcnt(56)
	v_fma_f64 v[37:38], v[1:2], v[27:28], -v[37:38]
	v_fma_f64 v[27:28], v[3:4], v[27:28], v[171:172]
	v_add_f64 v[29:30], v[165:166], v[29:30]
	v_add_f64 v[9:10], v[9:10], v[39:40]
	s_clause 0x2
	buffer_load_dword v170, off, s[0:3], 0 offset:540
	buffer_load_dword v40, off, s[0:3], 0 offset:516
	;; [unrolled: 1-line block ×3, first 2 shown]
	s_waitcnt vmcnt(58) lgkmcnt(0)
	v_mul_f64 v[165:166], v[5:6], v[47:48]
	v_mul_f64 v[47:48], v[7:8], v[47:48]
	s_waitcnt vmcnt(56)
	v_fma_f64 v[41:42], v[161:162], v[49:50], -v[41:42]
	ds_read_b128 v[1:4], v16 offset:1088
	v_fma_f64 v[49:50], v[163:164], v[49:50], v[190:191]
	s_clause 0x4
	buffer_load_dword v162, off, s[0:3], 0 offset:556
	buffer_load_dword v163, off, s[0:3], 0 offset:568
	;; [unrolled: 1-line block ×5, first 2 shown]
	v_add_f64 v[37:38], v[29:30], v[37:38]
	v_add_f64 v[9:10], v[9:10], v[27:28]
	ds_read_b128 v[27:30], v16 offset:1104
	s_waitcnt vmcnt(57) lgkmcnt(1)
	v_mul_f64 v[190:191], v[1:2], v[51:52]
	v_mul_f64 v[51:52], v[3:4], v[51:52]
	s_waitcnt vmcnt(56)
	v_fma_f64 v[47:48], v[5:6], v[31:32], -v[47:48]
	v_fma_f64 v[31:32], v[7:8], v[31:32], v[165:166]
	v_add_f64 v[37:38], v[37:38], v[41:42]
	s_clause 0x2
	buffer_load_dword v164, off, s[0:3], 0 offset:572
	buffer_load_dword v42, off, s[0:3], 0 offset:548
	;; [unrolled: 1-line block ×3, first 2 shown]
	v_add_f64 v[9:10], v[9:10], v[49:50]
	s_waitcnt vmcnt(58) lgkmcnt(0)
	v_mul_f64 v[49:50], v[27:28], v[55:56]
	v_mul_f64 v[55:56], v[29:30], v[55:56]
	ds_read_b128 v[5:8], v16 offset:1120
	s_waitcnt vmcnt(56)
	v_fma_f64 v[51:52], v[1:2], v[57:58], -v[51:52]
	v_add_f64 v[37:38], v[37:38], v[47:48]
	v_fma_f64 v[47:48], v[3:4], v[57:58], v[190:191]
	v_add_f64 v[9:10], v[9:10], v[31:32]
	s_clause 0x4
	buffer_load_dword v32, off, s[0:3], 0 offset:588
	buffer_load_dword v57, off, s[0:3], 0 offset:600
	;; [unrolled: 1-line block ×5, first 2 shown]
	s_waitcnt vmcnt(57) lgkmcnt(0)
	v_mul_f64 v[190:191], v[5:6], v[59:60]
	v_mul_f64 v[59:60], v[7:8], v[59:60]
	s_waitcnt vmcnt(56)
	v_fma_f64 v[55:56], v[27:28], v[43:44], -v[55:56]
	ds_read_b128 v[1:4], v16 offset:1136
	v_fma_f64 v[43:44], v[29:30], v[43:44], v[49:50]
	v_add_f64 v[37:38], v[37:38], v[51:52]
	v_add_f64 v[9:10], v[9:10], v[47:48]
	s_clause 0x2
	buffer_load_dword v58, off, s[0:3], 0 offset:604
	buffer_load_dword v48, off, s[0:3], 0 offset:580
	;; [unrolled: 1-line block ×3, first 2 shown]
	ds_read_b128 v[27:30], v16 offset:1152
	s_waitcnt vmcnt(58) lgkmcnt(1)
	v_mul_f64 v[51:52], v[3:4], v[63:64]
	s_waitcnt vmcnt(56)
	v_fma_f64 v[59:60], v[5:6], v[69:70], -v[59:60]
	v_mul_f64 v[49:50], v[1:2], v[63:64]
	v_add_f64 v[37:38], v[37:38], v[55:56]
	v_fma_f64 v[55:56], v[7:8], v[69:70], v[190:191]
	v_add_f64 v[9:10], v[9:10], v[43:44]
	s_clause 0x4
	buffer_load_dword v44, off, s[0:3], 0 offset:620
	buffer_load_dword v63, off, s[0:3], 0 offset:632
	;; [unrolled: 1-line block ×5, first 2 shown]
	s_waitcnt vmcnt(57) lgkmcnt(0)
	v_mul_f64 v[190:191], v[27:28], v[71:72]
	v_mul_f64 v[70:71], v[29:30], v[71:72]
	s_waitcnt vmcnt(56)
	v_fma_f64 v[51:52], v[1:2], v[53:54], -v[51:52]
	ds_read_b128 v[5:8], v16 offset:1168
	v_fma_f64 v[49:50], v[3:4], v[53:54], v[49:50]
	s_clause 0x2
	buffer_load_dword v64, off, s[0:3], 0 offset:636
	buffer_load_dword v54, off, s[0:3], 0 offset:612
	;; [unrolled: 1-line block ×3, first 2 shown]
	ds_read_b128 v[1:4], v16 offset:1184
	v_add_f64 v[37:38], v[37:38], v[59:60]
	v_add_f64 v[9:10], v[9:10], v[55:56]
	s_waitcnt vmcnt(58) lgkmcnt(1)
	v_mul_f64 v[59:60], v[7:8], v[75:76]
	s_waitcnt vmcnt(56)
	v_fma_f64 v[71:72], v[27:28], v[81:82], -v[70:71]
	v_mul_f64 v[55:56], v[5:6], v[75:76]
	v_add_f64 v[37:38], v[37:38], v[51:52]
	v_fma_f64 v[51:52], v[29:30], v[81:82], v[190:191]
	v_add_f64 v[9:10], v[9:10], v[49:50]
	s_clause 0x4
	buffer_load_dword v50, off, s[0:3], 0 offset:652
	buffer_load_dword v75, off, s[0:3], 0 offset:664
	;; [unrolled: 1-line block ×5, first 2 shown]
	s_waitcnt vmcnt(57) lgkmcnt(0)
	v_mul_f64 v[190:191], v[1:2], v[83:84]
	v_mul_f64 v[82:83], v[3:4], v[83:84]
	s_waitcnt vmcnt(56)
	v_fma_f64 v[59:60], v[5:6], v[61:62], -v[59:60]
	ds_read_b128 v[27:30], v16 offset:1200
	v_fma_f64 v[55:56], v[7:8], v[61:62], v[55:56]
	v_add_f64 v[37:38], v[37:38], v[71:72]
	v_add_f64 v[9:10], v[9:10], v[51:52]
	s_clause 0x2
	buffer_load_dword v76, off, s[0:3], 0 offset:668
	buffer_load_dword v52, off, s[0:3], 0 offset:644
	;; [unrolled: 1-line block ×3, first 2 shown]
	ds_read_b128 v[5:8], v16 offset:1216
	s_waitcnt vmcnt(58) lgkmcnt(1)
	v_mul_f64 v[71:72], v[29:30], v[85:86]
	s_waitcnt vmcnt(56)
	v_fma_f64 v[83:84], v[1:2], v[87:88], -v[82:83]
	v_mul_f64 v[61:62], v[27:28], v[85:86]
	v_add_f64 v[37:38], v[37:38], v[59:60]
	v_fma_f64 v[59:60], v[3:4], v[87:88], v[190:191]
	v_add_f64 v[9:10], v[9:10], v[55:56]
	s_clause 0x4
	buffer_load_dword v56, off, s[0:3], 0 offset:684
	buffer_load_dword v85, off, s[0:3], 0 offset:696
	;; [unrolled: 1-line block ×5, first 2 shown]
	s_waitcnt vmcnt(57) lgkmcnt(0)
	v_mul_f64 v[190:191], v[5:6], v[175:176]
	v_mul_f64 v[175:176], v[7:8], v[175:176]
	s_waitcnt vmcnt(56)
	v_fma_f64 v[71:72], v[27:28], v[73:74], -v[71:72]
	ds_read_b128 v[1:4], v16 offset:1232
	v_fma_f64 v[61:62], v[29:30], v[73:74], v[61:62]
	v_add_f64 v[37:38], v[37:38], v[83:84]
	v_add_f64 v[9:10], v[9:10], v[59:60]
	s_clause 0x2
	buffer_load_dword v86, off, s[0:3], 0 offset:700
	buffer_load_dword v60, off, s[0:3], 0 offset:676
	;; [unrolled: 1-line block ×3, first 2 shown]
	ds_read_b128 v[27:30], v16 offset:1248
	s_waitcnt vmcnt(58) lgkmcnt(1)
	v_mul_f64 v[83:84], v[3:4], v[177:178]
	s_waitcnt vmcnt(56)
	v_fma_f64 v[175:176], v[5:6], v[182:183], -v[175:176]
	v_mul_f64 v[73:74], v[1:2], v[177:178]
	v_add_f64 v[37:38], v[37:38], v[71:72]
	v_fma_f64 v[71:72], v[7:8], v[182:183], v[190:191]
	v_add_f64 v[9:10], v[9:10], v[61:62]
	s_clause 0x4
	buffer_load_dword v62, off, s[0:3], 0 offset:716
	buffer_load_dword v177, off, s[0:3], 0 offset:728
	;; [unrolled: 1-line block ×5, first 2 shown]
	ds_read_b128 v[5:8], v16 offset:1264
	s_waitcnt vmcnt(57) lgkmcnt(1)
	v_mul_f64 v[182:183], v[27:28], v[173:174]
	v_mul_f64 v[173:174], v[29:30], v[173:174]
	s_waitcnt vmcnt(56)
	v_fma_f64 v[83:84], v[1:2], v[179:180], -v[83:84]
	v_fma_f64 v[73:74], v[3:4], v[179:180], v[73:74]
	v_add_f64 v[37:38], v[37:38], v[175:176]
	v_add_f64 v[9:10], v[9:10], v[71:72]
	s_clause 0x2
	buffer_load_dword v178, off, s[0:3], 0 offset:732
	buffer_load_dword v72, off, s[0:3], 0 offset:708
	;; [unrolled: 1-line block ×3, first 2 shown]
	ds_read_b128 v[1:4], v16 offset:1280
	s_waitcnt vmcnt(58) lgkmcnt(1)
	v_mul_f64 v[179:180], v[7:8], v[186:187]
	v_mul_f64 v[175:176], v[5:6], v[186:187]
	s_waitcnt vmcnt(56)
	v_fma_f64 v[173:174], v[27:28], v[167:168], -v[173:174]
	v_add_f64 v[37:38], v[37:38], v[83:84]
	v_fma_f64 v[83:84], v[29:30], v[167:168], v[182:183]
	v_add_f64 v[9:10], v[9:10], v[73:74]
	s_clause 0x4
	buffer_load_dword v74, off, s[0:3], 0 offset:748
	buffer_load_dword v167, off, s[0:3], 0 offset:760
	;; [unrolled: 1-line block ×5, first 2 shown]
	ds_read_b128 v[27:30], v16 offset:1296
	s_waitcnt vmcnt(57) lgkmcnt(1)
	v_mul_f64 v[190:191], v[1:2], v[45:46]
	v_mul_f64 v[45:46], v[3:4], v[45:46]
	s_waitcnt vmcnt(56)
	v_fma_f64 v[179:180], v[5:6], v[188:189], -v[179:180]
	v_add_f64 v[37:38], v[37:38], v[173:174]
	v_fma_f64 v[173:174], v[7:8], v[188:189], v[175:176]
	v_add_f64 v[9:10], v[9:10], v[83:84]
	s_clause 0x2
	buffer_load_dword v168, off, s[0:3], 0 offset:764
	buffer_load_dword v84, off, s[0:3], 0 offset:740
	;; [unrolled: 1-line block ×3, first 2 shown]
	ds_read_b128 v[5:8], v16 offset:1312
	s_waitcnt vmcnt(58) lgkmcnt(1)
	v_mul_f64 v[175:176], v[27:28], v[169:170]
	v_mul_f64 v[169:170], v[29:30], v[169:170]
	s_waitcnt vmcnt(56)
	v_fma_f64 v[45:46], v[1:2], v[39:40], -v[45:46]
	v_fma_f64 v[39:40], v[3:4], v[39:40], v[190:191]
	v_add_f64 v[37:38], v[37:38], v[179:180]
	v_add_f64 v[9:10], v[9:10], v[173:174]
	s_clause 0x4
	buffer_load_dword v174, off, s[0:3], 0 offset:780
	buffer_load_dword v179, off, s[0:3], 0 offset:792
	;; [unrolled: 1-line block ×5, first 2 shown]
	s_waitcnt vmcnt(57) lgkmcnt(0)
	v_mul_f64 v[188:189], v[5:6], v[161:162]
	v_mul_f64 v[161:162], v[7:8], v[161:162]
	ds_read_b128 v[1:4], v16 offset:1328
	s_waitcnt vmcnt(56)
	v_fma_f64 v[169:170], v[27:28], v[184:185], -v[169:170]
	v_add_f64 v[37:38], v[37:38], v[45:46]
	v_fma_f64 v[45:46], v[29:30], v[184:185], v[175:176]
	v_add_f64 v[9:10], v[9:10], v[39:40]
	s_clause 0x2
	buffer_load_dword v180, off, s[0:3], 0 offset:796
	buffer_load_dword v40, off, s[0:3], 0 offset:772
	;; [unrolled: 1-line block ×3, first 2 shown]
	ds_read_b128 v[27:30], v16 offset:1344
	buffer_load_dword v184, off, s[0:3], 0 offset:788
	s_waitcnt vmcnt(59) lgkmcnt(1)
	v_mul_f64 v[175:176], v[1:2], v[163:164]
	v_mul_f64 v[163:164], v[3:4], v[163:164]
	s_waitcnt vmcnt(57)
	v_fma_f64 v[161:162], v[5:6], v[41:42], -v[161:162]
	v_fma_f64 v[41:42], v[7:8], v[41:42], v[188:189]
	ds_read_b128 v[5:8], v16 offset:1360
	v_add_f64 v[37:38], v[37:38], v[169:170]
	v_add_f64 v[9:10], v[9:10], v[45:46]
	s_waitcnt vmcnt(53) lgkmcnt(1)
	v_mul_f64 v[45:46], v[27:28], v[31:32]
	v_mul_f64 v[31:32], v[29:30], v[31:32]
	s_waitcnt vmcnt(52)
	v_fma_f64 v[163:164], v[1:2], v[171:172], -v[163:164]
	v_add_f64 v[37:38], v[37:38], v[161:162]
	v_fma_f64 v[161:162], v[3:4], v[171:172], v[175:176]
	v_add_f64 v[9:10], v[9:10], v[41:42]
	ds_read_b128 v[1:4], v16 offset:1376
	s_waitcnt vmcnt(51) lgkmcnt(1)
	v_mul_f64 v[41:42], v[5:6], v[57:58]
	v_mul_f64 v[57:58], v[7:8], v[57:58]
	s_waitcnt vmcnt(49)
	v_fma_f64 v[31:32], v[27:28], v[47:48], -v[31:32]
	v_fma_f64 v[45:46], v[29:30], v[47:48], v[45:46]
	v_add_f64 v[37:38], v[37:38], v[163:164]
	v_add_f64 v[9:10], v[9:10], v[161:162]
	s_clause 0x3
	buffer_load_dword v47, off, s[0:3], 0 offset:192
	buffer_load_dword v48, off, s[0:3], 0 offset:196
	;; [unrolled: 1-line block ×4, first 2 shown]
	ds_read_b128 v[27:30], v16 offset:1392
	s_waitcnt vmcnt(49) lgkmcnt(1)
	v_mul_f64 v[163:164], v[1:2], v[43:44]
	v_mul_f64 v[43:44], v[3:4], v[43:44]
	s_waitcnt vmcnt(48)
	v_fma_f64 v[57:58], v[5:6], v[165:166], -v[57:58]
	v_add_f64 v[31:32], v[37:38], v[31:32]
	v_fma_f64 v[37:38], v[7:8], v[165:166], v[41:42]
	v_add_f64 v[9:10], v[9:10], v[45:46]
	ds_read_b128 v[5:8], v16 offset:1408
	s_waitcnt vmcnt(47) lgkmcnt(1)
	v_mul_f64 v[45:46], v[29:30], v[63:64]
	v_mul_f64 v[41:42], v[27:28], v[63:64]
	s_waitcnt vmcnt(45)
	v_fma_f64 v[43:44], v[1:2], v[53:54], -v[43:44]
	v_fma_f64 v[53:54], v[3:4], v[53:54], v[163:164]
	ds_read_b128 v[1:4], v16 offset:1424
	v_add_f64 v[31:32], v[31:32], v[57:58]
	v_add_f64 v[9:10], v[9:10], v[37:38]
	s_waitcnt vmcnt(41) lgkmcnt(1)
	v_mul_f64 v[37:38], v[5:6], v[49:50]
	v_mul_f64 v[49:50], v[7:8], v[49:50]
	s_waitcnt vmcnt(40)
	v_fma_f64 v[45:46], v[27:28], v[69:70], -v[45:46]
	v_fma_f64 v[41:42], v[29:30], v[69:70], v[41:42]
	ds_read_b128 v[27:30], v16 offset:1440
	v_add_f64 v[31:32], v[31:32], v[43:44]
	v_add_f64 v[9:10], v[9:10], v[53:54]
	s_waitcnt vmcnt(39) lgkmcnt(1)
	v_mul_f64 v[53:54], v[3:4], v[75:76]
	v_mul_f64 v[43:44], v[1:2], v[75:76]
	s_waitcnt vmcnt(37)
	v_fma_f64 v[49:50], v[5:6], v[51:52], -v[49:50]
	v_fma_f64 v[37:38], v[7:8], v[51:52], v[37:38]
	ds_read_b128 v[5:8], v16 offset:1456
	v_add_f64 v[31:32], v[31:32], v[45:46]
	v_add_f64 v[9:10], v[9:10], v[41:42]
	s_waitcnt vmcnt(33) lgkmcnt(1)
	v_mul_f64 v[45:46], v[29:30], v[55:56]
	s_waitcnt vmcnt(32)
	v_fma_f64 v[51:52], v[1:2], v[81:82], -v[53:54]
	v_mul_f64 v[41:42], v[27:28], v[55:56]
	v_fma_f64 v[43:44], v[3:4], v[81:82], v[43:44]
	ds_read_b128 v[1:4], v16 offset:1472
	v_add_f64 v[31:32], v[31:32], v[49:50]
	v_add_f64 v[9:10], v[9:10], v[37:38]
	s_waitcnt vmcnt(31) lgkmcnt(1)
	v_mul_f64 v[49:50], v[7:8], v[85:86]
	v_mul_f64 v[37:38], v[5:6], v[85:86]
	s_waitcnt vmcnt(29)
	v_fma_f64 v[45:46], v[27:28], v[59:60], -v[45:46]
	v_fma_f64 v[41:42], v[29:30], v[59:60], v[41:42]
	ds_read_b128 v[27:30], v16 offset:1488
	v_add_f64 v[31:32], v[31:32], v[51:52]
	v_add_f64 v[9:10], v[9:10], v[43:44]
	s_waitcnt vmcnt(25) lgkmcnt(1)
	v_mul_f64 v[51:52], v[3:4], v[61:62]
	s_waitcnt vmcnt(24)
	v_fma_f64 v[49:50], v[5:6], v[87:88], -v[49:50]
	v_mul_f64 v[43:44], v[1:2], v[61:62]
	v_fma_f64 v[37:38], v[7:8], v[87:88], v[37:38]
	ds_read_b128 v[5:8], v16 offset:1504
	v_add_f64 v[31:32], v[31:32], v[45:46]
	v_add_f64 v[9:10], v[9:10], v[41:42]
	s_waitcnt vmcnt(23) lgkmcnt(1)
	v_mul_f64 v[45:46], v[29:30], v[177:178]
	v_mul_f64 v[41:42], v[27:28], v[177:178]
	s_waitcnt vmcnt(21)
	v_fma_f64 v[51:52], v[1:2], v[71:72], -v[51:52]
	v_fma_f64 v[43:44], v[3:4], v[71:72], v[43:44]
	ds_read_b128 v[1:4], v16 offset:1520
	v_add_f64 v[31:32], v[31:32], v[49:50]
	v_add_f64 v[9:10], v[9:10], v[37:38]
	;; [unrolled: 18-line block ×3, first 2 shown]
	s_waitcnt vmcnt(9) lgkmcnt(1)
	v_mul_f64 v[45:46], v[29:30], v[173:174]
	s_waitcnt vmcnt(8)
	v_fma_f64 v[1:2], v[1:2], v[186:187], -v[51:52]
	v_mul_f64 v[41:42], v[27:28], v[173:174]
	v_fma_f64 v[3:4], v[3:4], v[186:187], v[43:44]
	v_add_f64 v[31:32], v[31:32], v[49:50]
	v_add_f64 v[9:10], v[9:10], v[37:38]
	s_waitcnt vmcnt(7) lgkmcnt(0)
	v_mul_f64 v[43:44], v[7:8], v[179:180]
	v_mul_f64 v[37:38], v[5:6], v[179:180]
	s_waitcnt vmcnt(5)
	v_fma_f64 v[27:28], v[27:28], v[39:40], -v[45:46]
	v_fma_f64 v[29:30], v[29:30], v[39:40], v[41:42]
	v_add_f64 v[1:2], v[31:32], v[1:2]
	v_add_f64 v[3:4], v[9:10], v[3:4]
	s_waitcnt vmcnt(4)
	v_fma_f64 v[5:6], v[5:6], v[183:184], -v[43:44]
	v_fma_f64 v[7:8], v[7:8], v[183:184], v[37:38]
	v_add_f64 v[1:2], v[1:2], v[27:28]
	v_add_f64 v[3:4], v[3:4], v[29:30]
	;; [unrolled: 1-line block ×4, first 2 shown]
	s_waitcnt vmcnt(2)
	v_add_f64 v[1:2], v[47:48], -v[1:2]
	s_waitcnt vmcnt(0)
	v_add_f64 v[3:4], v[161:162], -v[3:4]
	buffer_store_dword v2, off, s[0:3], 0 offset:196
	buffer_store_dword v1, off, s[0:3], 0 offset:192
	;; [unrolled: 1-line block ×4, first 2 shown]
	v_cmpx_lt_u32_e32 10, v0
	s_cbranch_execz .LBB48_287
; %bb.286:
	v_mov_b32_e32 v4, s51
	s_clause 0x3
	buffer_load_dword v1, v4, s[0:3], 0 offen
	buffer_load_dword v2, v4, s[0:3], 0 offen offset:4
	buffer_load_dword v3, v4, s[0:3], 0 offen offset:8
	;; [unrolled: 1-line block ×3, first 2 shown]
	buffer_store_dword v16, off, s[0:3], 0 offset:176
	buffer_store_dword v16, off, s[0:3], 0 offset:180
	;; [unrolled: 1-line block ×4, first 2 shown]
	s_waitcnt vmcnt(0)
	ds_write_b128 v11, v[1:4]
.LBB48_287:
	s_or_b32 exec_lo, exec_lo, s4
	s_waitcnt lgkmcnt(0)
	s_waitcnt_vscnt null, 0x0
	s_barrier
	buffer_gl0_inv
	s_clause 0x37
	buffer_load_dword v9, off, s[0:3], 0 offset:200
	buffer_load_dword v10, off, s[0:3], 0 offset:204
	;; [unrolled: 1-line block ×56, first 2 shown]
	ds_read_b128 v[161:164], v16 offset:960
	s_clause 0x2
	buffer_load_dword v86, off, s[0:3], 0 offset:428
	buffer_load_dword v88, off, s[0:3], 0 offset:404
	;; [unrolled: 1-line block ×3, first 2 shown]
	ds_read_b128 v[165:168], v16 offset:976
	s_clause 0x4
	buffer_load_dword v176, off, s[0:3], 0 offset:444
	buffer_load_dword v177, off, s[0:3], 0 offset:456
	;; [unrolled: 1-line block ×5, first 2 shown]
	ds_read_b128 v[169:172], v16 offset:992
	s_clause 0x2
	buffer_load_dword v178, off, s[0:3], 0 offset:460
	buffer_load_dword v183, off, s[0:3], 0 offset:436
	;; [unrolled: 1-line block ×3, first 2 shown]
	s_mov_b32 s4, exec_lo
	s_waitcnt vmcnt(62) lgkmcnt(2)
	v_mul_f64 v[173:174], v[163:164], v[9:10]
	v_mul_f64 v[9:10], v[161:162], v[9:10]
	s_waitcnt lgkmcnt(1)
	v_mul_f64 v[180:181], v[167:168], v[5:6]
	s_waitcnt vmcnt(59) lgkmcnt(0)
	v_mul_f64 v[184:185], v[171:172], v[3:4]
	v_fma_f64 v[161:162], v[161:162], v[7:8], -v[173:174]
	v_mul_f64 v[173:174], v[165:166], v[5:6]
	v_fma_f64 v[9:10], v[163:164], v[7:8], v[9:10]
	s_waitcnt vmcnt(57)
	v_fma_f64 v[165:166], v[165:166], v[1:2], -v[180:181]
	ds_read_b128 v[5:8], v16 offset:1008
	v_mul_f64 v[163:164], v[169:170], v[3:4]
	s_waitcnt vmcnt(51)
	v_fma_f64 v[169:170], v[169:170], v[45:46], -v[184:185]
	v_add_f64 v[161:162], v[161:162], 0
	v_fma_f64 v[167:168], v[167:168], v[1:2], v[173:174]
	v_add_f64 v[9:10], v[9:10], 0
	s_clause 0x4
	buffer_load_dword v174, off, s[0:3], 0 offset:476
	buffer_load_dword v186, off, s[0:3], 0 offset:488
	;; [unrolled: 1-line block ×5, first 2 shown]
	s_waitcnt lgkmcnt(0)
	v_mul_f64 v[189:190], v[5:6], v[29:30]
	v_mul_f64 v[29:30], v[7:8], v[29:30]
	ds_read_b128 v[1:4], v16 offset:1024
	v_fma_f64 v[45:46], v[171:172], v[45:46], v[163:164]
	v_add_f64 v[165:166], v[161:162], v[165:166]
	v_add_f64 v[9:10], v[9:10], v[167:168]
	s_clause 0x2
	buffer_load_dword v187, off, s[0:3], 0 offset:492
	buffer_load_dword v168, off, s[0:3], 0 offset:468
	;; [unrolled: 1-line block ×3, first 2 shown]
	s_waitcnt vmcnt(58) lgkmcnt(0)
	v_mul_f64 v[171:172], v[1:2], v[37:38]
	v_mul_f64 v[37:38], v[3:4], v[37:38]
	s_waitcnt vmcnt(56)
	v_fma_f64 v[29:30], v[5:6], v[39:40], -v[29:30]
	ds_read_b128 v[161:164], v16 offset:1040
	v_fma_f64 v[39:40], v[7:8], v[39:40], v[189:190]
	v_add_f64 v[165:166], v[165:166], v[169:170]
	v_add_f64 v[9:10], v[9:10], v[45:46]
	s_clause 0x4
	buffer_load_dword v46, off, s[0:3], 0 offset:508
	buffer_load_dword v169, off, s[0:3], 0 offset:520
	;; [unrolled: 1-line block ×5, first 2 shown]
	ds_read_b128 v[5:8], v16 offset:1056
	s_waitcnt vmcnt(57) lgkmcnt(1)
	v_mul_f64 v[190:191], v[161:162], v[41:42]
	v_mul_f64 v[41:42], v[163:164], v[41:42]
	s_waitcnt vmcnt(56)
	v_fma_f64 v[37:38], v[1:2], v[27:28], -v[37:38]
	v_fma_f64 v[27:28], v[3:4], v[27:28], v[171:172]
	v_add_f64 v[29:30], v[165:166], v[29:30]
	v_add_f64 v[9:10], v[9:10], v[39:40]
	s_clause 0x2
	buffer_load_dword v170, off, s[0:3], 0 offset:524
	buffer_load_dword v40, off, s[0:3], 0 offset:500
	;; [unrolled: 1-line block ×3, first 2 shown]
	s_waitcnt vmcnt(58) lgkmcnt(0)
	v_mul_f64 v[165:166], v[5:6], v[47:48]
	v_mul_f64 v[47:48], v[7:8], v[47:48]
	s_waitcnt vmcnt(56)
	v_fma_f64 v[41:42], v[161:162], v[49:50], -v[41:42]
	ds_read_b128 v[1:4], v16 offset:1072
	v_fma_f64 v[49:50], v[163:164], v[49:50], v[190:191]
	s_clause 0x4
	buffer_load_dword v162, off, s[0:3], 0 offset:540
	buffer_load_dword v163, off, s[0:3], 0 offset:552
	;; [unrolled: 1-line block ×5, first 2 shown]
	v_add_f64 v[37:38], v[29:30], v[37:38]
	v_add_f64 v[9:10], v[9:10], v[27:28]
	ds_read_b128 v[27:30], v16 offset:1088
	s_waitcnt vmcnt(57) lgkmcnt(1)
	v_mul_f64 v[190:191], v[1:2], v[51:52]
	v_mul_f64 v[51:52], v[3:4], v[51:52]
	s_waitcnt vmcnt(56)
	v_fma_f64 v[47:48], v[5:6], v[31:32], -v[47:48]
	v_fma_f64 v[31:32], v[7:8], v[31:32], v[165:166]
	v_add_f64 v[37:38], v[37:38], v[41:42]
	s_clause 0x2
	buffer_load_dword v164, off, s[0:3], 0 offset:556
	buffer_load_dword v42, off, s[0:3], 0 offset:532
	;; [unrolled: 1-line block ×3, first 2 shown]
	v_add_f64 v[9:10], v[9:10], v[49:50]
	s_waitcnt vmcnt(58) lgkmcnt(0)
	v_mul_f64 v[49:50], v[27:28], v[55:56]
	v_mul_f64 v[55:56], v[29:30], v[55:56]
	ds_read_b128 v[5:8], v16 offset:1104
	s_waitcnt vmcnt(56)
	v_fma_f64 v[51:52], v[1:2], v[57:58], -v[51:52]
	v_add_f64 v[37:38], v[37:38], v[47:48]
	v_fma_f64 v[47:48], v[3:4], v[57:58], v[190:191]
	v_add_f64 v[9:10], v[9:10], v[31:32]
	s_clause 0x4
	buffer_load_dword v32, off, s[0:3], 0 offset:572
	buffer_load_dword v57, off, s[0:3], 0 offset:584
	;; [unrolled: 1-line block ×5, first 2 shown]
	s_waitcnt vmcnt(57) lgkmcnt(0)
	v_mul_f64 v[190:191], v[5:6], v[59:60]
	v_mul_f64 v[59:60], v[7:8], v[59:60]
	s_waitcnt vmcnt(56)
	v_fma_f64 v[55:56], v[27:28], v[43:44], -v[55:56]
	ds_read_b128 v[1:4], v16 offset:1120
	v_fma_f64 v[43:44], v[29:30], v[43:44], v[49:50]
	v_add_f64 v[37:38], v[37:38], v[51:52]
	v_add_f64 v[9:10], v[9:10], v[47:48]
	s_clause 0x2
	buffer_load_dword v58, off, s[0:3], 0 offset:588
	buffer_load_dword v48, off, s[0:3], 0 offset:564
	;; [unrolled: 1-line block ×3, first 2 shown]
	ds_read_b128 v[27:30], v16 offset:1136
	s_waitcnt vmcnt(58) lgkmcnt(1)
	v_mul_f64 v[51:52], v[3:4], v[63:64]
	s_waitcnt vmcnt(56)
	v_fma_f64 v[59:60], v[5:6], v[69:70], -v[59:60]
	v_mul_f64 v[49:50], v[1:2], v[63:64]
	v_add_f64 v[37:38], v[37:38], v[55:56]
	v_fma_f64 v[55:56], v[7:8], v[69:70], v[190:191]
	v_add_f64 v[9:10], v[9:10], v[43:44]
	s_clause 0x4
	buffer_load_dword v44, off, s[0:3], 0 offset:604
	buffer_load_dword v63, off, s[0:3], 0 offset:616
	;; [unrolled: 1-line block ×5, first 2 shown]
	s_waitcnt vmcnt(57) lgkmcnt(0)
	v_mul_f64 v[190:191], v[27:28], v[71:72]
	v_mul_f64 v[70:71], v[29:30], v[71:72]
	s_waitcnt vmcnt(56)
	v_fma_f64 v[51:52], v[1:2], v[53:54], -v[51:52]
	ds_read_b128 v[5:8], v16 offset:1152
	v_fma_f64 v[49:50], v[3:4], v[53:54], v[49:50]
	s_clause 0x2
	buffer_load_dword v64, off, s[0:3], 0 offset:620
	buffer_load_dword v54, off, s[0:3], 0 offset:596
	;; [unrolled: 1-line block ×3, first 2 shown]
	ds_read_b128 v[1:4], v16 offset:1168
	v_add_f64 v[37:38], v[37:38], v[59:60]
	v_add_f64 v[9:10], v[9:10], v[55:56]
	s_waitcnt vmcnt(58) lgkmcnt(1)
	v_mul_f64 v[59:60], v[7:8], v[75:76]
	s_waitcnt vmcnt(56)
	v_fma_f64 v[71:72], v[27:28], v[81:82], -v[70:71]
	v_mul_f64 v[55:56], v[5:6], v[75:76]
	v_add_f64 v[37:38], v[37:38], v[51:52]
	v_fma_f64 v[51:52], v[29:30], v[81:82], v[190:191]
	v_add_f64 v[9:10], v[9:10], v[49:50]
	s_clause 0x4
	buffer_load_dword v50, off, s[0:3], 0 offset:636
	buffer_load_dword v75, off, s[0:3], 0 offset:648
	;; [unrolled: 1-line block ×5, first 2 shown]
	s_waitcnt vmcnt(57) lgkmcnt(0)
	v_mul_f64 v[190:191], v[1:2], v[83:84]
	v_mul_f64 v[82:83], v[3:4], v[83:84]
	s_waitcnt vmcnt(56)
	v_fma_f64 v[59:60], v[5:6], v[61:62], -v[59:60]
	ds_read_b128 v[27:30], v16 offset:1184
	v_fma_f64 v[55:56], v[7:8], v[61:62], v[55:56]
	v_add_f64 v[37:38], v[37:38], v[71:72]
	v_add_f64 v[9:10], v[9:10], v[51:52]
	s_clause 0x2
	buffer_load_dword v76, off, s[0:3], 0 offset:652
	buffer_load_dword v52, off, s[0:3], 0 offset:628
	;; [unrolled: 1-line block ×3, first 2 shown]
	ds_read_b128 v[5:8], v16 offset:1200
	s_waitcnt vmcnt(58) lgkmcnt(1)
	v_mul_f64 v[71:72], v[29:30], v[85:86]
	s_waitcnt vmcnt(56)
	v_fma_f64 v[83:84], v[1:2], v[87:88], -v[82:83]
	v_mul_f64 v[61:62], v[27:28], v[85:86]
	v_add_f64 v[37:38], v[37:38], v[59:60]
	v_fma_f64 v[59:60], v[3:4], v[87:88], v[190:191]
	v_add_f64 v[9:10], v[9:10], v[55:56]
	s_clause 0x4
	buffer_load_dword v56, off, s[0:3], 0 offset:668
	buffer_load_dword v85, off, s[0:3], 0 offset:680
	;; [unrolled: 1-line block ×5, first 2 shown]
	s_waitcnt vmcnt(57) lgkmcnt(0)
	v_mul_f64 v[190:191], v[5:6], v[175:176]
	v_mul_f64 v[175:176], v[7:8], v[175:176]
	s_waitcnt vmcnt(56)
	v_fma_f64 v[71:72], v[27:28], v[73:74], -v[71:72]
	ds_read_b128 v[1:4], v16 offset:1216
	v_fma_f64 v[61:62], v[29:30], v[73:74], v[61:62]
	v_add_f64 v[37:38], v[37:38], v[83:84]
	v_add_f64 v[9:10], v[9:10], v[59:60]
	s_clause 0x2
	buffer_load_dword v86, off, s[0:3], 0 offset:684
	buffer_load_dword v60, off, s[0:3], 0 offset:660
	;; [unrolled: 1-line block ×3, first 2 shown]
	ds_read_b128 v[27:30], v16 offset:1232
	s_waitcnt vmcnt(58) lgkmcnt(1)
	v_mul_f64 v[83:84], v[3:4], v[177:178]
	s_waitcnt vmcnt(56)
	v_fma_f64 v[175:176], v[5:6], v[182:183], -v[175:176]
	v_mul_f64 v[73:74], v[1:2], v[177:178]
	v_add_f64 v[37:38], v[37:38], v[71:72]
	v_fma_f64 v[71:72], v[7:8], v[182:183], v[190:191]
	v_add_f64 v[9:10], v[9:10], v[61:62]
	s_clause 0x4
	buffer_load_dword v62, off, s[0:3], 0 offset:700
	buffer_load_dword v177, off, s[0:3], 0 offset:712
	;; [unrolled: 1-line block ×5, first 2 shown]
	ds_read_b128 v[5:8], v16 offset:1248
	s_waitcnt vmcnt(57) lgkmcnt(1)
	v_mul_f64 v[182:183], v[27:28], v[173:174]
	v_mul_f64 v[173:174], v[29:30], v[173:174]
	s_waitcnt vmcnt(56)
	v_fma_f64 v[83:84], v[1:2], v[179:180], -v[83:84]
	v_fma_f64 v[73:74], v[3:4], v[179:180], v[73:74]
	v_add_f64 v[37:38], v[37:38], v[175:176]
	v_add_f64 v[9:10], v[9:10], v[71:72]
	s_clause 0x2
	buffer_load_dword v178, off, s[0:3], 0 offset:716
	buffer_load_dword v72, off, s[0:3], 0 offset:692
	;; [unrolled: 1-line block ×3, first 2 shown]
	ds_read_b128 v[1:4], v16 offset:1264
	s_waitcnt vmcnt(58) lgkmcnt(1)
	v_mul_f64 v[179:180], v[7:8], v[186:187]
	v_mul_f64 v[175:176], v[5:6], v[186:187]
	s_waitcnt vmcnt(56)
	v_fma_f64 v[173:174], v[27:28], v[167:168], -v[173:174]
	v_add_f64 v[37:38], v[37:38], v[83:84]
	v_fma_f64 v[83:84], v[29:30], v[167:168], v[182:183]
	v_add_f64 v[9:10], v[9:10], v[73:74]
	s_clause 0x4
	buffer_load_dword v74, off, s[0:3], 0 offset:732
	buffer_load_dword v167, off, s[0:3], 0 offset:744
	;; [unrolled: 1-line block ×5, first 2 shown]
	ds_read_b128 v[27:30], v16 offset:1280
	s_waitcnt vmcnt(57) lgkmcnt(1)
	v_mul_f64 v[190:191], v[1:2], v[45:46]
	v_mul_f64 v[45:46], v[3:4], v[45:46]
	s_waitcnt vmcnt(56)
	v_fma_f64 v[179:180], v[5:6], v[188:189], -v[179:180]
	v_add_f64 v[37:38], v[37:38], v[173:174]
	v_fma_f64 v[173:174], v[7:8], v[188:189], v[175:176]
	v_add_f64 v[9:10], v[9:10], v[83:84]
	s_clause 0x2
	buffer_load_dword v168, off, s[0:3], 0 offset:748
	buffer_load_dword v84, off, s[0:3], 0 offset:724
	;; [unrolled: 1-line block ×3, first 2 shown]
	ds_read_b128 v[5:8], v16 offset:1296
	s_waitcnt vmcnt(58) lgkmcnt(1)
	v_mul_f64 v[175:176], v[27:28], v[169:170]
	v_mul_f64 v[169:170], v[29:30], v[169:170]
	s_waitcnt vmcnt(56)
	v_fma_f64 v[45:46], v[1:2], v[39:40], -v[45:46]
	v_fma_f64 v[39:40], v[3:4], v[39:40], v[190:191]
	v_add_f64 v[37:38], v[37:38], v[179:180]
	v_add_f64 v[9:10], v[9:10], v[173:174]
	s_clause 0x4
	buffer_load_dword v174, off, s[0:3], 0 offset:764
	buffer_load_dword v179, off, s[0:3], 0 offset:776
	;; [unrolled: 1-line block ×5, first 2 shown]
	s_waitcnt vmcnt(57) lgkmcnt(0)
	v_mul_f64 v[188:189], v[5:6], v[161:162]
	v_mul_f64 v[161:162], v[7:8], v[161:162]
	ds_read_b128 v[1:4], v16 offset:1312
	s_waitcnt vmcnt(56)
	v_fma_f64 v[169:170], v[27:28], v[184:185], -v[169:170]
	v_add_f64 v[37:38], v[37:38], v[45:46]
	v_fma_f64 v[45:46], v[29:30], v[184:185], v[175:176]
	v_add_f64 v[9:10], v[9:10], v[39:40]
	s_clause 0x2
	buffer_load_dword v180, off, s[0:3], 0 offset:780
	buffer_load_dword v40, off, s[0:3], 0 offset:756
	;; [unrolled: 1-line block ×3, first 2 shown]
	ds_read_b128 v[27:30], v16 offset:1328
	s_waitcnt vmcnt(58) lgkmcnt(1)
	v_mul_f64 v[175:176], v[1:2], v[163:164]
	v_mul_f64 v[163:164], v[3:4], v[163:164]
	s_waitcnt vmcnt(56)
	v_fma_f64 v[161:162], v[5:6], v[41:42], -v[161:162]
	v_fma_f64 v[41:42], v[7:8], v[41:42], v[188:189]
	v_add_f64 v[37:38], v[37:38], v[169:170]
	v_add_f64 v[9:10], v[9:10], v[45:46]
	s_clause 0x2
	buffer_load_dword v46, off, s[0:3], 0 offset:796
	buffer_load_dword v45, off, s[0:3], 0 offset:792
	;; [unrolled: 1-line block ×3, first 2 shown]
	ds_read_b128 v[5:8], v16 offset:1344
	s_waitcnt vmcnt(55) lgkmcnt(1)
	v_mul_f64 v[169:170], v[27:28], v[31:32]
	v_mul_f64 v[31:32], v[29:30], v[31:32]
	s_waitcnt vmcnt(54)
	v_fma_f64 v[163:164], v[1:2], v[171:172], -v[163:164]
	v_add_f64 v[37:38], v[37:38], v[161:162]
	v_fma_f64 v[161:162], v[3:4], v[171:172], v[175:176]
	v_add_f64 v[9:10], v[9:10], v[41:42]
	s_clause 0x1
	buffer_load_dword v42, off, s[0:3], 0 offset:788
	buffer_load_dword v41, off, s[0:3], 0 offset:784
	ds_read_b128 v[1:4], v16 offset:1360
	s_waitcnt vmcnt(55) lgkmcnt(1)
	v_mul_f64 v[171:172], v[5:6], v[57:58]
	v_mul_f64 v[57:58], v[7:8], v[57:58]
	s_waitcnt vmcnt(53)
	v_fma_f64 v[31:32], v[27:28], v[47:48], -v[31:32]
	v_fma_f64 v[47:48], v[29:30], v[47:48], v[169:170]
	ds_read_b128 v[27:30], v16 offset:1376
	v_add_f64 v[37:38], v[37:38], v[163:164]
	v_add_f64 v[9:10], v[9:10], v[161:162]
	s_waitcnt vmcnt(49) lgkmcnt(1)
	v_mul_f64 v[161:162], v[1:2], v[43:44]
	v_mul_f64 v[43:44], v[3:4], v[43:44]
	s_waitcnt vmcnt(48)
	v_fma_f64 v[57:58], v[5:6], v[165:166], -v[57:58]
	v_add_f64 v[31:32], v[37:38], v[31:32]
	v_fma_f64 v[37:38], v[7:8], v[165:166], v[171:172]
	v_add_f64 v[9:10], v[9:10], v[47:48]
	s_clause 0x3
	buffer_load_dword v47, off, s[0:3], 0 offset:176
	buffer_load_dword v48, off, s[0:3], 0 offset:180
	;; [unrolled: 1-line block ×4, first 2 shown]
	s_waitcnt vmcnt(51) lgkmcnt(0)
	v_mul_f64 v[165:166], v[27:28], v[63:64]
	v_mul_f64 v[63:64], v[29:30], v[63:64]
	ds_read_b128 v[5:8], v16 offset:1392
	s_waitcnt vmcnt(49)
	v_fma_f64 v[43:44], v[1:2], v[53:54], -v[43:44]
	v_fma_f64 v[53:54], v[3:4], v[53:54], v[161:162]
	ds_read_b128 v[1:4], v16 offset:1408
	v_add_f64 v[31:32], v[31:32], v[57:58]
	v_add_f64 v[9:10], v[9:10], v[37:38]
	s_waitcnt vmcnt(45) lgkmcnt(1)
	v_mul_f64 v[37:38], v[5:6], v[49:50]
	v_mul_f64 v[49:50], v[7:8], v[49:50]
	s_waitcnt vmcnt(44)
	v_fma_f64 v[57:58], v[27:28], v[69:70], -v[63:64]
	v_add_f64 v[31:32], v[31:32], v[43:44]
	v_fma_f64 v[43:44], v[29:30], v[69:70], v[165:166]
	v_add_f64 v[9:10], v[9:10], v[53:54]
	ds_read_b128 v[27:30], v16 offset:1424
	s_waitcnt vmcnt(43) lgkmcnt(1)
	v_mul_f64 v[63:64], v[3:4], v[75:76]
	v_mul_f64 v[53:54], v[1:2], v[75:76]
	s_waitcnt vmcnt(41)
	v_fma_f64 v[49:50], v[5:6], v[51:52], -v[49:50]
	v_fma_f64 v[37:38], v[7:8], v[51:52], v[37:38]
	ds_read_b128 v[5:8], v16 offset:1440
	v_add_f64 v[31:32], v[31:32], v[57:58]
	v_add_f64 v[9:10], v[9:10], v[43:44]
	s_waitcnt vmcnt(37) lgkmcnt(1)
	v_mul_f64 v[43:44], v[27:28], v[55:56]
	v_mul_f64 v[51:52], v[29:30], v[55:56]
	s_waitcnt vmcnt(36)
	v_fma_f64 v[55:56], v[1:2], v[81:82], -v[63:64]
	v_add_f64 v[31:32], v[31:32], v[49:50]
	v_fma_f64 v[49:50], v[3:4], v[81:82], v[53:54]
	v_add_f64 v[9:10], v[9:10], v[37:38]
	ds_read_b128 v[1:4], v16 offset:1456
	s_waitcnt vmcnt(35) lgkmcnt(1)
	v_mul_f64 v[53:54], v[7:8], v[85:86]
	v_mul_f64 v[37:38], v[5:6], v[85:86]
	s_waitcnt vmcnt(33)
	v_fma_f64 v[51:52], v[27:28], v[59:60], -v[51:52]
	v_fma_f64 v[43:44], v[29:30], v[59:60], v[43:44]
	ds_read_b128 v[27:30], v16 offset:1472
	v_add_f64 v[31:32], v[31:32], v[55:56]
	v_add_f64 v[9:10], v[9:10], v[49:50]
	s_waitcnt vmcnt(29) lgkmcnt(1)
	v_mul_f64 v[55:56], v[3:4], v[61:62]
	s_waitcnt vmcnt(28)
	v_fma_f64 v[53:54], v[5:6], v[87:88], -v[53:54]
	v_mul_f64 v[49:50], v[1:2], v[61:62]
	v_fma_f64 v[37:38], v[7:8], v[87:88], v[37:38]
	ds_read_b128 v[5:8], v16 offset:1488
	v_add_f64 v[31:32], v[31:32], v[51:52]
	v_add_f64 v[9:10], v[9:10], v[43:44]
	s_waitcnt vmcnt(27) lgkmcnt(1)
	v_mul_f64 v[51:52], v[29:30], v[177:178]
	v_mul_f64 v[43:44], v[27:28], v[177:178]
	s_waitcnt vmcnt(25)
	v_fma_f64 v[55:56], v[1:2], v[71:72], -v[55:56]
	v_fma_f64 v[49:50], v[3:4], v[71:72], v[49:50]
	ds_read_b128 v[1:4], v16 offset:1504
	v_add_f64 v[31:32], v[31:32], v[53:54]
	v_add_f64 v[9:10], v[9:10], v[37:38]
	s_waitcnt vmcnt(21) lgkmcnt(1)
	v_mul_f64 v[53:54], v[7:8], v[73:74]
	s_waitcnt vmcnt(20)
	v_fma_f64 v[51:52], v[27:28], v[181:182], -v[51:52]
	v_mul_f64 v[37:38], v[5:6], v[73:74]
	v_fma_f64 v[43:44], v[29:30], v[181:182], v[43:44]
	ds_read_b128 v[27:30], v16 offset:1520
	v_add_f64 v[31:32], v[31:32], v[55:56]
	v_add_f64 v[9:10], v[9:10], v[49:50]
	s_waitcnt vmcnt(19) lgkmcnt(1)
	v_mul_f64 v[55:56], v[3:4], v[167:168]
	v_mul_f64 v[49:50], v[1:2], v[167:168]
	s_waitcnt vmcnt(17)
	v_fma_f64 v[53:54], v[5:6], v[83:84], -v[53:54]
	v_fma_f64 v[37:38], v[7:8], v[83:84], v[37:38]
	ds_read_b128 v[5:8], v16 offset:1536
	v_add_f64 v[31:32], v[31:32], v[51:52]
	v_add_f64 v[9:10], v[9:10], v[43:44]
	s_waitcnt vmcnt(13) lgkmcnt(1)
	v_mul_f64 v[51:52], v[29:30], v[173:174]
	s_waitcnt vmcnt(12)
	v_fma_f64 v[55:56], v[1:2], v[186:187], -v[55:56]
	v_mul_f64 v[43:44], v[27:28], v[173:174]
	v_fma_f64 v[49:50], v[3:4], v[186:187], v[49:50]
	ds_read_b128 v[1:4], v16 offset:1552
	v_add_f64 v[31:32], v[31:32], v[53:54]
	v_add_f64 v[9:10], v[9:10], v[37:38]
	s_waitcnt vmcnt(11) lgkmcnt(1)
	v_mul_f64 v[53:54], v[7:8], v[179:180]
	v_mul_f64 v[37:38], v[5:6], v[179:180]
	s_waitcnt vmcnt(9)
	v_fma_f64 v[27:28], v[27:28], v[39:40], -v[51:52]
	v_fma_f64 v[29:30], v[29:30], v[39:40], v[43:44]
	v_add_f64 v[31:32], v[31:32], v[55:56]
	v_add_f64 v[9:10], v[9:10], v[49:50]
	s_waitcnt vmcnt(7) lgkmcnt(0)
	v_mul_f64 v[43:44], v[3:4], v[45:46]
	s_waitcnt vmcnt(6)
	v_fma_f64 v[5:6], v[5:6], v[183:184], -v[53:54]
	v_mul_f64 v[39:40], v[1:2], v[45:46]
	v_fma_f64 v[7:8], v[7:8], v[183:184], v[37:38]
	v_add_f64 v[27:28], v[31:32], v[27:28]
	v_add_f64 v[9:10], v[9:10], v[29:30]
	s_waitcnt vmcnt(4)
	v_fma_f64 v[1:2], v[1:2], v[41:42], -v[43:44]
	v_fma_f64 v[3:4], v[3:4], v[41:42], v[39:40]
	v_add_f64 v[5:6], v[27:28], v[5:6]
	v_add_f64 v[7:8], v[9:10], v[7:8]
	;; [unrolled: 1-line block ×4, first 2 shown]
	s_waitcnt vmcnt(2)
	v_add_f64 v[1:2], v[47:48], -v[1:2]
	s_waitcnt vmcnt(0)
	v_add_f64 v[3:4], v[163:164], -v[3:4]
	buffer_store_dword v2, off, s[0:3], 0 offset:180
	buffer_store_dword v1, off, s[0:3], 0 offset:176
	;; [unrolled: 1-line block ×4, first 2 shown]
	v_cmpx_lt_u32_e32 9, v0
	s_cbranch_execz .LBB48_289
; %bb.288:
	v_mov_b32_e32 v4, s52
	v_mov_b32_e32 v5, 0
	s_clause 0x3
	buffer_load_dword v1, v4, s[0:3], 0 offen
	buffer_load_dword v2, v4, s[0:3], 0 offen offset:4
	buffer_load_dword v3, v4, s[0:3], 0 offen offset:8
	;; [unrolled: 1-line block ×3, first 2 shown]
	buffer_store_dword v5, off, s[0:3], 0 offset:160
	buffer_store_dword v5, off, s[0:3], 0 offset:164
	;; [unrolled: 1-line block ×4, first 2 shown]
	s_waitcnt vmcnt(0)
	ds_write_b128 v11, v[1:4]
.LBB48_289:
	s_or_b32 exec_lo, exec_lo, s4
	s_waitcnt lgkmcnt(0)
	s_waitcnt_vscnt null, 0x0
	s_barrier
	buffer_gl0_inv
	s_clause 0x37
	buffer_load_dword v9, off, s[0:3], 0 offset:184
	buffer_load_dword v10, off, s[0:3], 0 offset:188
	;; [unrolled: 1-line block ×56, first 2 shown]
	v_mov_b32_e32 v16, 0
	s_mov_b32 s4, exec_lo
	ds_read_b128 v[161:164], v16 offset:944
	s_clause 0x2
	buffer_load_dword v86, off, s[0:3], 0 offset:412
	buffer_load_dword v88, off, s[0:3], 0 offset:388
	;; [unrolled: 1-line block ×3, first 2 shown]
	ds_read_b128 v[165:168], v16 offset:960
	s_clause 0x4
	buffer_load_dword v176, off, s[0:3], 0 offset:428
	buffer_load_dword v177, off, s[0:3], 0 offset:440
	;; [unrolled: 1-line block ×5, first 2 shown]
	ds_read_b128 v[169:172], v16 offset:976
	s_clause 0x2
	buffer_load_dword v178, off, s[0:3], 0 offset:444
	buffer_load_dword v183, off, s[0:3], 0 offset:420
	buffer_load_dword v182, off, s[0:3], 0 offset:416
	s_waitcnt vmcnt(62) lgkmcnt(2)
	v_mul_f64 v[173:174], v[163:164], v[9:10]
	v_mul_f64 v[9:10], v[161:162], v[9:10]
	s_waitcnt lgkmcnt(1)
	v_mul_f64 v[180:181], v[167:168], v[5:6]
	s_waitcnt vmcnt(59) lgkmcnt(0)
	v_mul_f64 v[184:185], v[171:172], v[3:4]
	v_fma_f64 v[161:162], v[161:162], v[7:8], -v[173:174]
	v_mul_f64 v[173:174], v[165:166], v[5:6]
	v_fma_f64 v[9:10], v[163:164], v[7:8], v[9:10]
	s_waitcnt vmcnt(57)
	v_fma_f64 v[165:166], v[165:166], v[1:2], -v[180:181]
	ds_read_b128 v[5:8], v16 offset:992
	v_mul_f64 v[163:164], v[169:170], v[3:4]
	s_waitcnt vmcnt(51)
	v_fma_f64 v[169:170], v[169:170], v[45:46], -v[184:185]
	v_add_f64 v[161:162], v[161:162], 0
	v_fma_f64 v[167:168], v[167:168], v[1:2], v[173:174]
	v_add_f64 v[9:10], v[9:10], 0
	s_clause 0x4
	buffer_load_dword v174, off, s[0:3], 0 offset:460
	buffer_load_dword v186, off, s[0:3], 0 offset:472
	;; [unrolled: 1-line block ×5, first 2 shown]
	s_waitcnt lgkmcnt(0)
	v_mul_f64 v[189:190], v[5:6], v[29:30]
	v_mul_f64 v[29:30], v[7:8], v[29:30]
	ds_read_b128 v[1:4], v16 offset:1008
	v_fma_f64 v[45:46], v[171:172], v[45:46], v[163:164]
	v_add_f64 v[165:166], v[161:162], v[165:166]
	v_add_f64 v[9:10], v[9:10], v[167:168]
	s_clause 0x2
	buffer_load_dword v187, off, s[0:3], 0 offset:476
	buffer_load_dword v168, off, s[0:3], 0 offset:452
	;; [unrolled: 1-line block ×3, first 2 shown]
	s_waitcnt vmcnt(58) lgkmcnt(0)
	v_mul_f64 v[171:172], v[1:2], v[37:38]
	v_mul_f64 v[37:38], v[3:4], v[37:38]
	s_waitcnt vmcnt(56)
	v_fma_f64 v[29:30], v[5:6], v[39:40], -v[29:30]
	ds_read_b128 v[161:164], v16 offset:1024
	v_fma_f64 v[39:40], v[7:8], v[39:40], v[189:190]
	v_add_f64 v[165:166], v[165:166], v[169:170]
	v_add_f64 v[9:10], v[9:10], v[45:46]
	s_clause 0x4
	buffer_load_dword v46, off, s[0:3], 0 offset:492
	buffer_load_dword v169, off, s[0:3], 0 offset:504
	buffer_load_dword v184, off, s[0:3], 0 offset:496
	buffer_load_dword v45, off, s[0:3], 0 offset:488
	buffer_load_dword v189, off, s[0:3], 0 offset:468
	ds_read_b128 v[5:8], v16 offset:1040
	s_waitcnt vmcnt(57) lgkmcnt(1)
	v_mul_f64 v[190:191], v[161:162], v[41:42]
	v_mul_f64 v[41:42], v[163:164], v[41:42]
	s_waitcnt vmcnt(56)
	v_fma_f64 v[37:38], v[1:2], v[27:28], -v[37:38]
	v_fma_f64 v[27:28], v[3:4], v[27:28], v[171:172]
	v_add_f64 v[29:30], v[165:166], v[29:30]
	v_add_f64 v[9:10], v[9:10], v[39:40]
	s_clause 0x2
	buffer_load_dword v170, off, s[0:3], 0 offset:508
	buffer_load_dword v40, off, s[0:3], 0 offset:484
	;; [unrolled: 1-line block ×3, first 2 shown]
	s_waitcnt vmcnt(58) lgkmcnt(0)
	v_mul_f64 v[165:166], v[5:6], v[47:48]
	v_mul_f64 v[47:48], v[7:8], v[47:48]
	s_waitcnt vmcnt(56)
	v_fma_f64 v[41:42], v[161:162], v[49:50], -v[41:42]
	ds_read_b128 v[1:4], v16 offset:1056
	v_fma_f64 v[49:50], v[163:164], v[49:50], v[190:191]
	s_clause 0x4
	buffer_load_dword v162, off, s[0:3], 0 offset:524
	buffer_load_dword v163, off, s[0:3], 0 offset:536
	;; [unrolled: 1-line block ×5, first 2 shown]
	v_add_f64 v[37:38], v[29:30], v[37:38]
	v_add_f64 v[9:10], v[9:10], v[27:28]
	ds_read_b128 v[27:30], v16 offset:1072
	s_waitcnt vmcnt(57) lgkmcnt(1)
	v_mul_f64 v[190:191], v[1:2], v[51:52]
	v_mul_f64 v[51:52], v[3:4], v[51:52]
	s_waitcnt vmcnt(56)
	v_fma_f64 v[47:48], v[5:6], v[31:32], -v[47:48]
	v_fma_f64 v[31:32], v[7:8], v[31:32], v[165:166]
	v_add_f64 v[37:38], v[37:38], v[41:42]
	s_clause 0x2
	buffer_load_dword v164, off, s[0:3], 0 offset:540
	buffer_load_dword v42, off, s[0:3], 0 offset:516
	;; [unrolled: 1-line block ×3, first 2 shown]
	v_add_f64 v[9:10], v[9:10], v[49:50]
	s_waitcnt vmcnt(58) lgkmcnt(0)
	v_mul_f64 v[49:50], v[27:28], v[55:56]
	v_mul_f64 v[55:56], v[29:30], v[55:56]
	ds_read_b128 v[5:8], v16 offset:1088
	s_waitcnt vmcnt(56)
	v_fma_f64 v[51:52], v[1:2], v[57:58], -v[51:52]
	v_add_f64 v[37:38], v[37:38], v[47:48]
	v_fma_f64 v[47:48], v[3:4], v[57:58], v[190:191]
	v_add_f64 v[9:10], v[9:10], v[31:32]
	s_clause 0x4
	buffer_load_dword v32, off, s[0:3], 0 offset:556
	buffer_load_dword v57, off, s[0:3], 0 offset:568
	;; [unrolled: 1-line block ×5, first 2 shown]
	s_waitcnt vmcnt(57) lgkmcnt(0)
	v_mul_f64 v[190:191], v[5:6], v[59:60]
	v_mul_f64 v[59:60], v[7:8], v[59:60]
	s_waitcnt vmcnt(56)
	v_fma_f64 v[55:56], v[27:28], v[43:44], -v[55:56]
	ds_read_b128 v[1:4], v16 offset:1104
	v_fma_f64 v[43:44], v[29:30], v[43:44], v[49:50]
	v_add_f64 v[37:38], v[37:38], v[51:52]
	v_add_f64 v[9:10], v[9:10], v[47:48]
	s_clause 0x2
	buffer_load_dword v58, off, s[0:3], 0 offset:572
	buffer_load_dword v48, off, s[0:3], 0 offset:548
	;; [unrolled: 1-line block ×3, first 2 shown]
	ds_read_b128 v[27:30], v16 offset:1120
	s_waitcnt vmcnt(58) lgkmcnt(1)
	v_mul_f64 v[51:52], v[3:4], v[63:64]
	s_waitcnt vmcnt(56)
	v_fma_f64 v[59:60], v[5:6], v[69:70], -v[59:60]
	v_mul_f64 v[49:50], v[1:2], v[63:64]
	v_add_f64 v[37:38], v[37:38], v[55:56]
	v_fma_f64 v[55:56], v[7:8], v[69:70], v[190:191]
	v_add_f64 v[9:10], v[9:10], v[43:44]
	s_clause 0x4
	buffer_load_dword v44, off, s[0:3], 0 offset:588
	buffer_load_dword v63, off, s[0:3], 0 offset:600
	;; [unrolled: 1-line block ×5, first 2 shown]
	s_waitcnt vmcnt(57) lgkmcnt(0)
	v_mul_f64 v[190:191], v[27:28], v[71:72]
	v_mul_f64 v[70:71], v[29:30], v[71:72]
	s_waitcnt vmcnt(56)
	v_fma_f64 v[51:52], v[1:2], v[53:54], -v[51:52]
	ds_read_b128 v[5:8], v16 offset:1136
	v_fma_f64 v[49:50], v[3:4], v[53:54], v[49:50]
	s_clause 0x2
	buffer_load_dword v64, off, s[0:3], 0 offset:604
	buffer_load_dword v54, off, s[0:3], 0 offset:580
	;; [unrolled: 1-line block ×3, first 2 shown]
	ds_read_b128 v[1:4], v16 offset:1152
	v_add_f64 v[37:38], v[37:38], v[59:60]
	v_add_f64 v[9:10], v[9:10], v[55:56]
	s_waitcnt vmcnt(58) lgkmcnt(1)
	v_mul_f64 v[59:60], v[7:8], v[75:76]
	s_waitcnt vmcnt(56)
	v_fma_f64 v[71:72], v[27:28], v[81:82], -v[70:71]
	v_mul_f64 v[55:56], v[5:6], v[75:76]
	v_add_f64 v[37:38], v[37:38], v[51:52]
	v_fma_f64 v[51:52], v[29:30], v[81:82], v[190:191]
	v_add_f64 v[9:10], v[9:10], v[49:50]
	s_clause 0x4
	buffer_load_dword v50, off, s[0:3], 0 offset:620
	buffer_load_dword v75, off, s[0:3], 0 offset:632
	buffer_load_dword v81, off, s[0:3], 0 offset:624
	buffer_load_dword v49, off, s[0:3], 0 offset:616
	buffer_load_dword v70, off, s[0:3], 0 offset:596
	s_waitcnt vmcnt(57) lgkmcnt(0)
	v_mul_f64 v[190:191], v[1:2], v[83:84]
	v_mul_f64 v[82:83], v[3:4], v[83:84]
	s_waitcnt vmcnt(56)
	v_fma_f64 v[59:60], v[5:6], v[61:62], -v[59:60]
	ds_read_b128 v[27:30], v16 offset:1168
	v_fma_f64 v[55:56], v[7:8], v[61:62], v[55:56]
	v_add_f64 v[37:38], v[37:38], v[71:72]
	v_add_f64 v[9:10], v[9:10], v[51:52]
	s_clause 0x2
	buffer_load_dword v76, off, s[0:3], 0 offset:636
	buffer_load_dword v52, off, s[0:3], 0 offset:612
	;; [unrolled: 1-line block ×3, first 2 shown]
	ds_read_b128 v[5:8], v16 offset:1184
	s_waitcnt vmcnt(58) lgkmcnt(1)
	v_mul_f64 v[71:72], v[29:30], v[85:86]
	s_waitcnt vmcnt(56)
	v_fma_f64 v[83:84], v[1:2], v[87:88], -v[82:83]
	v_mul_f64 v[61:62], v[27:28], v[85:86]
	v_add_f64 v[37:38], v[37:38], v[59:60]
	v_fma_f64 v[59:60], v[3:4], v[87:88], v[190:191]
	v_add_f64 v[9:10], v[9:10], v[55:56]
	s_clause 0x4
	buffer_load_dword v56, off, s[0:3], 0 offset:652
	buffer_load_dword v85, off, s[0:3], 0 offset:664
	;; [unrolled: 1-line block ×5, first 2 shown]
	s_waitcnt vmcnt(57) lgkmcnt(0)
	v_mul_f64 v[190:191], v[5:6], v[175:176]
	v_mul_f64 v[175:176], v[7:8], v[175:176]
	s_waitcnt vmcnt(56)
	v_fma_f64 v[71:72], v[27:28], v[73:74], -v[71:72]
	ds_read_b128 v[1:4], v16 offset:1200
	v_fma_f64 v[61:62], v[29:30], v[73:74], v[61:62]
	v_add_f64 v[37:38], v[37:38], v[83:84]
	v_add_f64 v[9:10], v[9:10], v[59:60]
	s_clause 0x2
	buffer_load_dword v86, off, s[0:3], 0 offset:668
	buffer_load_dword v60, off, s[0:3], 0 offset:644
	;; [unrolled: 1-line block ×3, first 2 shown]
	ds_read_b128 v[27:30], v16 offset:1216
	s_waitcnt vmcnt(58) lgkmcnt(1)
	v_mul_f64 v[83:84], v[3:4], v[177:178]
	s_waitcnt vmcnt(56)
	v_fma_f64 v[175:176], v[5:6], v[182:183], -v[175:176]
	v_mul_f64 v[73:74], v[1:2], v[177:178]
	v_add_f64 v[37:38], v[37:38], v[71:72]
	v_fma_f64 v[71:72], v[7:8], v[182:183], v[190:191]
	v_add_f64 v[9:10], v[9:10], v[61:62]
	s_clause 0x4
	buffer_load_dword v62, off, s[0:3], 0 offset:684
	buffer_load_dword v177, off, s[0:3], 0 offset:696
	buffer_load_dword v181, off, s[0:3], 0 offset:688
	buffer_load_dword v61, off, s[0:3], 0 offset:680
	buffer_load_dword v88, off, s[0:3], 0 offset:660
	ds_read_b128 v[5:8], v16 offset:1232
	s_waitcnt vmcnt(57) lgkmcnt(1)
	v_mul_f64 v[182:183], v[27:28], v[173:174]
	v_mul_f64 v[173:174], v[29:30], v[173:174]
	s_waitcnt vmcnt(56)
	v_fma_f64 v[83:84], v[1:2], v[179:180], -v[83:84]
	v_fma_f64 v[73:74], v[3:4], v[179:180], v[73:74]
	v_add_f64 v[37:38], v[37:38], v[175:176]
	v_add_f64 v[9:10], v[9:10], v[71:72]
	s_clause 0x2
	buffer_load_dword v178, off, s[0:3], 0 offset:700
	buffer_load_dword v72, off, s[0:3], 0 offset:676
	;; [unrolled: 1-line block ×3, first 2 shown]
	ds_read_b128 v[1:4], v16 offset:1248
	s_waitcnt vmcnt(58) lgkmcnt(1)
	v_mul_f64 v[179:180], v[7:8], v[186:187]
	v_mul_f64 v[175:176], v[5:6], v[186:187]
	s_waitcnt vmcnt(56)
	v_fma_f64 v[173:174], v[27:28], v[167:168], -v[173:174]
	v_add_f64 v[37:38], v[37:38], v[83:84]
	v_fma_f64 v[83:84], v[29:30], v[167:168], v[182:183]
	v_add_f64 v[9:10], v[9:10], v[73:74]
	s_clause 0x4
	buffer_load_dword v74, off, s[0:3], 0 offset:716
	buffer_load_dword v167, off, s[0:3], 0 offset:728
	;; [unrolled: 1-line block ×5, first 2 shown]
	ds_read_b128 v[27:30], v16 offset:1264
	s_waitcnt vmcnt(57) lgkmcnt(1)
	v_mul_f64 v[190:191], v[1:2], v[45:46]
	v_mul_f64 v[45:46], v[3:4], v[45:46]
	s_waitcnt vmcnt(56)
	v_fma_f64 v[179:180], v[5:6], v[188:189], -v[179:180]
	v_add_f64 v[37:38], v[37:38], v[173:174]
	v_fma_f64 v[173:174], v[7:8], v[188:189], v[175:176]
	v_add_f64 v[9:10], v[9:10], v[83:84]
	s_clause 0x2
	buffer_load_dword v168, off, s[0:3], 0 offset:732
	buffer_load_dword v84, off, s[0:3], 0 offset:708
	;; [unrolled: 1-line block ×3, first 2 shown]
	ds_read_b128 v[5:8], v16 offset:1280
	s_waitcnt vmcnt(58) lgkmcnt(1)
	v_mul_f64 v[175:176], v[27:28], v[169:170]
	v_mul_f64 v[169:170], v[29:30], v[169:170]
	s_waitcnt vmcnt(56)
	v_fma_f64 v[45:46], v[1:2], v[39:40], -v[45:46]
	v_fma_f64 v[39:40], v[3:4], v[39:40], v[190:191]
	v_add_f64 v[37:38], v[37:38], v[179:180]
	v_add_f64 v[9:10], v[9:10], v[173:174]
	s_clause 0x4
	buffer_load_dword v174, off, s[0:3], 0 offset:748
	buffer_load_dword v179, off, s[0:3], 0 offset:760
	;; [unrolled: 1-line block ×5, first 2 shown]
	s_waitcnt vmcnt(57) lgkmcnt(0)
	v_mul_f64 v[188:189], v[5:6], v[161:162]
	v_mul_f64 v[161:162], v[7:8], v[161:162]
	ds_read_b128 v[1:4], v16 offset:1296
	s_waitcnt vmcnt(56)
	v_fma_f64 v[169:170], v[27:28], v[184:185], -v[169:170]
	v_add_f64 v[37:38], v[37:38], v[45:46]
	v_fma_f64 v[45:46], v[29:30], v[184:185], v[175:176]
	v_add_f64 v[9:10], v[9:10], v[39:40]
	s_clause 0x2
	buffer_load_dword v180, off, s[0:3], 0 offset:764
	buffer_load_dword v40, off, s[0:3], 0 offset:740
	;; [unrolled: 1-line block ×3, first 2 shown]
	ds_read_b128 v[27:30], v16 offset:1312
	s_waitcnt vmcnt(58) lgkmcnt(1)
	v_mul_f64 v[175:176], v[1:2], v[163:164]
	v_mul_f64 v[163:164], v[3:4], v[163:164]
	s_waitcnt vmcnt(56)
	v_fma_f64 v[161:162], v[5:6], v[41:42], -v[161:162]
	v_fma_f64 v[41:42], v[7:8], v[41:42], v[188:189]
	v_add_f64 v[37:38], v[37:38], v[169:170]
	v_add_f64 v[9:10], v[9:10], v[45:46]
	s_clause 0x4
	buffer_load_dword v46, off, s[0:3], 0 offset:780
	buffer_load_dword v169, off, s[0:3], 0 offset:792
	;; [unrolled: 1-line block ×5, first 2 shown]
	ds_read_b128 v[5:8], v16 offset:1328
	s_waitcnt vmcnt(57) lgkmcnt(1)
	v_mul_f64 v[189:190], v[27:28], v[31:32]
	v_mul_f64 v[31:32], v[29:30], v[31:32]
	s_waitcnt vmcnt(56)
	v_fma_f64 v[163:164], v[1:2], v[171:172], -v[163:164]
	v_add_f64 v[37:38], v[37:38], v[161:162]
	v_fma_f64 v[161:162], v[3:4], v[171:172], v[175:176]
	v_add_f64 v[9:10], v[9:10], v[41:42]
	s_clause 0x2
	buffer_load_dword v170, off, s[0:3], 0 offset:796
	buffer_load_dword v42, off, s[0:3], 0 offset:772
	;; [unrolled: 1-line block ×3, first 2 shown]
	ds_read_b128 v[1:4], v16 offset:1344
	s_waitcnt vmcnt(58) lgkmcnt(1)
	v_mul_f64 v[171:172], v[5:6], v[57:58]
	v_mul_f64 v[57:58], v[7:8], v[57:58]
	s_waitcnt vmcnt(56)
	v_fma_f64 v[31:32], v[27:28], v[47:48], -v[31:32]
	v_fma_f64 v[47:48], v[29:30], v[47:48], v[189:190]
	buffer_load_dword v189, off, s[0:3], 0 offset:788
	ds_read_b128 v[27:30], v16 offset:1360
	v_add_f64 v[37:38], v[37:38], v[163:164]
	v_add_f64 v[9:10], v[9:10], v[161:162]
	s_waitcnt vmcnt(53) lgkmcnt(1)
	v_mul_f64 v[161:162], v[1:2], v[43:44]
	v_mul_f64 v[43:44], v[3:4], v[43:44]
	s_waitcnt vmcnt(52)
	v_fma_f64 v[57:58], v[5:6], v[165:166], -v[57:58]
	v_add_f64 v[31:32], v[37:38], v[31:32]
	v_fma_f64 v[37:38], v[7:8], v[165:166], v[171:172]
	v_add_f64 v[9:10], v[9:10], v[47:48]
	s_waitcnt vmcnt(51) lgkmcnt(0)
	v_mul_f64 v[47:48], v[27:28], v[63:64]
	v_mul_f64 v[63:64], v[29:30], v[63:64]
	ds_read_b128 v[5:8], v16 offset:1376
	s_waitcnt vmcnt(49)
	v_fma_f64 v[43:44], v[1:2], v[53:54], -v[43:44]
	v_fma_f64 v[53:54], v[3:4], v[53:54], v[161:162]
	v_add_f64 v[31:32], v[31:32], v[57:58]
	v_add_f64 v[9:10], v[9:10], v[37:38]
	s_clause 0x3
	buffer_load_dword v37, off, s[0:3], 0 offset:160
	buffer_load_dword v38, off, s[0:3], 0 offset:164
	buffer_load_dword v57, off, s[0:3], 0 offset:168
	buffer_load_dword v58, off, s[0:3], 0 offset:172
	ds_read_b128 v[1:4], v16 offset:1392
	s_waitcnt vmcnt(49) lgkmcnt(1)
	v_mul_f64 v[161:162], v[5:6], v[49:50]
	v_mul_f64 v[49:50], v[7:8], v[49:50]
	s_waitcnt vmcnt(48)
	v_fma_f64 v[63:64], v[27:28], v[69:70], -v[63:64]
	v_add_f64 v[31:32], v[31:32], v[43:44]
	v_fma_f64 v[43:44], v[29:30], v[69:70], v[47:48]
	v_add_f64 v[9:10], v[9:10], v[53:54]
	ds_read_b128 v[27:30], v16 offset:1408
	s_waitcnt vmcnt(47) lgkmcnt(1)
	v_mul_f64 v[53:54], v[3:4], v[75:76]
	v_mul_f64 v[47:48], v[1:2], v[75:76]
	s_waitcnt vmcnt(45)
	v_fma_f64 v[49:50], v[5:6], v[51:52], -v[49:50]
	v_fma_f64 v[51:52], v[7:8], v[51:52], v[161:162]
	ds_read_b128 v[5:8], v16 offset:1424
	v_add_f64 v[31:32], v[31:32], v[63:64]
	v_add_f64 v[9:10], v[9:10], v[43:44]
	s_waitcnt vmcnt(41) lgkmcnt(1)
	v_mul_f64 v[43:44], v[27:28], v[55:56]
	v_mul_f64 v[55:56], v[29:30], v[55:56]
	s_waitcnt vmcnt(40)
	v_fma_f64 v[53:54], v[1:2], v[81:82], -v[53:54]
	v_fma_f64 v[47:48], v[3:4], v[81:82], v[47:48]
	ds_read_b128 v[1:4], v16 offset:1440
	v_add_f64 v[31:32], v[31:32], v[49:50]
	v_add_f64 v[9:10], v[9:10], v[51:52]
	s_waitcnt vmcnt(39) lgkmcnt(1)
	v_mul_f64 v[51:52], v[7:8], v[85:86]
	v_mul_f64 v[49:50], v[5:6], v[85:86]
	s_waitcnt vmcnt(37)
	v_fma_f64 v[55:56], v[27:28], v[59:60], -v[55:56]
	v_fma_f64 v[43:44], v[29:30], v[59:60], v[43:44]
	ds_read_b128 v[27:30], v16 offset:1456
	v_add_f64 v[31:32], v[31:32], v[53:54]
	v_add_f64 v[9:10], v[9:10], v[47:48]
	s_waitcnt vmcnt(33) lgkmcnt(1)
	v_mul_f64 v[53:54], v[3:4], v[61:62]
	s_waitcnt vmcnt(32)
	v_fma_f64 v[51:52], v[5:6], v[87:88], -v[51:52]
	v_mul_f64 v[47:48], v[1:2], v[61:62]
	v_fma_f64 v[49:50], v[7:8], v[87:88], v[49:50]
	ds_read_b128 v[5:8], v16 offset:1472
	v_add_f64 v[31:32], v[31:32], v[55:56]
	v_add_f64 v[9:10], v[9:10], v[43:44]
	s_waitcnt vmcnt(31) lgkmcnt(1)
	v_mul_f64 v[55:56], v[29:30], v[177:178]
	v_mul_f64 v[43:44], v[27:28], v[177:178]
	s_waitcnt vmcnt(29)
	v_fma_f64 v[53:54], v[1:2], v[71:72], -v[53:54]
	v_fma_f64 v[47:48], v[3:4], v[71:72], v[47:48]
	ds_read_b128 v[1:4], v16 offset:1488
	v_add_f64 v[31:32], v[31:32], v[51:52]
	v_add_f64 v[9:10], v[9:10], v[49:50]
	s_waitcnt vmcnt(25) lgkmcnt(1)
	v_mul_f64 v[51:52], v[7:8], v[73:74]
	s_waitcnt vmcnt(24)
	v_fma_f64 v[55:56], v[27:28], v[181:182], -v[55:56]
	v_mul_f64 v[49:50], v[5:6], v[73:74]
	v_fma_f64 v[43:44], v[29:30], v[181:182], v[43:44]
	ds_read_b128 v[27:30], v16 offset:1504
	v_add_f64 v[31:32], v[31:32], v[53:54]
	v_add_f64 v[9:10], v[9:10], v[47:48]
	s_waitcnt vmcnt(23) lgkmcnt(1)
	v_mul_f64 v[53:54], v[3:4], v[167:168]
	v_mul_f64 v[47:48], v[1:2], v[167:168]
	s_waitcnt vmcnt(21)
	v_fma_f64 v[51:52], v[5:6], v[83:84], -v[51:52]
	v_fma_f64 v[49:50], v[7:8], v[83:84], v[49:50]
	ds_read_b128 v[5:8], v16 offset:1520
	v_add_f64 v[31:32], v[31:32], v[55:56]
	v_add_f64 v[9:10], v[9:10], v[43:44]
	;; [unrolled: 18-line block ×3, first 2 shown]
	s_waitcnt vmcnt(9) lgkmcnt(1)
	v_mul_f64 v[43:44], v[1:2], v[45:46]
	v_mul_f64 v[45:46], v[3:4], v[45:46]
	s_waitcnt vmcnt(8)
	v_fma_f64 v[5:6], v[5:6], v[183:184], -v[51:52]
	v_fma_f64 v[7:8], v[7:8], v[183:184], v[49:50]
	v_add_f64 v[31:32], v[31:32], v[55:56]
	v_add_f64 v[9:10], v[9:10], v[39:40]
	s_waitcnt vmcnt(7) lgkmcnt(0)
	v_mul_f64 v[47:48], v[29:30], v[169:170]
	v_mul_f64 v[39:40], v[27:28], v[169:170]
	s_waitcnt vmcnt(5)
	v_fma_f64 v[1:2], v[1:2], v[41:42], -v[45:46]
	v_fma_f64 v[3:4], v[3:4], v[41:42], v[43:44]
	v_add_f64 v[5:6], v[31:32], v[5:6]
	v_add_f64 v[7:8], v[9:10], v[7:8]
	s_waitcnt vmcnt(4)
	v_fma_f64 v[9:10], v[27:28], v[188:189], -v[47:48]
	v_add_f64 v[1:2], v[5:6], v[1:2]
	v_fma_f64 v[5:6], v[29:30], v[188:189], v[39:40]
	v_add_f64 v[3:4], v[7:8], v[3:4]
	v_add_f64 v[1:2], v[1:2], v[9:10]
	;; [unrolled: 1-line block ×3, first 2 shown]
	s_waitcnt vmcnt(2)
	v_add_f64 v[1:2], v[37:38], -v[1:2]
	s_waitcnt vmcnt(0)
	v_add_f64 v[3:4], v[57:58], -v[3:4]
	buffer_store_dword v2, off, s[0:3], 0 offset:164
	buffer_store_dword v1, off, s[0:3], 0 offset:160
	;; [unrolled: 1-line block ×4, first 2 shown]
	v_cmpx_lt_u32_e32 8, v0
	s_cbranch_execz .LBB48_291
; %bb.290:
	v_mov_b32_e32 v4, s53
	s_clause 0x3
	buffer_load_dword v1, v4, s[0:3], 0 offen
	buffer_load_dword v2, v4, s[0:3], 0 offen offset:4
	buffer_load_dword v3, v4, s[0:3], 0 offen offset:8
	;; [unrolled: 1-line block ×3, first 2 shown]
	buffer_store_dword v16, off, s[0:3], 0 offset:144
	buffer_store_dword v16, off, s[0:3], 0 offset:148
	;; [unrolled: 1-line block ×4, first 2 shown]
	s_waitcnt vmcnt(0)
	ds_write_b128 v11, v[1:4]
.LBB48_291:
	s_or_b32 exec_lo, exec_lo, s4
	s_waitcnt lgkmcnt(0)
	s_waitcnt_vscnt null, 0x0
	s_barrier
	buffer_gl0_inv
	s_clause 0x37
	buffer_load_dword v9, off, s[0:3], 0 offset:168
	buffer_load_dword v10, off, s[0:3], 0 offset:172
	;; [unrolled: 1-line block ×56, first 2 shown]
	ds_read_b128 v[161:164], v16 offset:928
	s_clause 0x2
	buffer_load_dword v86, off, s[0:3], 0 offset:396
	buffer_load_dword v88, off, s[0:3], 0 offset:372
	;; [unrolled: 1-line block ×3, first 2 shown]
	ds_read_b128 v[165:168], v16 offset:944
	s_clause 0x4
	buffer_load_dword v176, off, s[0:3], 0 offset:412
	buffer_load_dword v177, off, s[0:3], 0 offset:424
	;; [unrolled: 1-line block ×5, first 2 shown]
	ds_read_b128 v[169:172], v16 offset:960
	s_clause 0x2
	buffer_load_dword v178, off, s[0:3], 0 offset:428
	buffer_load_dword v183, off, s[0:3], 0 offset:404
	;; [unrolled: 1-line block ×3, first 2 shown]
	s_mov_b32 s4, exec_lo
	s_waitcnt vmcnt(62) lgkmcnt(2)
	v_mul_f64 v[173:174], v[163:164], v[9:10]
	v_mul_f64 v[9:10], v[161:162], v[9:10]
	s_waitcnt lgkmcnt(1)
	v_mul_f64 v[180:181], v[167:168], v[5:6]
	s_waitcnt vmcnt(59) lgkmcnt(0)
	v_mul_f64 v[184:185], v[171:172], v[3:4]
	v_fma_f64 v[161:162], v[161:162], v[7:8], -v[173:174]
	v_mul_f64 v[173:174], v[165:166], v[5:6]
	v_fma_f64 v[9:10], v[163:164], v[7:8], v[9:10]
	s_waitcnt vmcnt(57)
	v_fma_f64 v[165:166], v[165:166], v[1:2], -v[180:181]
	ds_read_b128 v[5:8], v16 offset:976
	v_mul_f64 v[163:164], v[169:170], v[3:4]
	s_waitcnt vmcnt(51)
	v_fma_f64 v[169:170], v[169:170], v[45:46], -v[184:185]
	v_add_f64 v[161:162], v[161:162], 0
	v_fma_f64 v[167:168], v[167:168], v[1:2], v[173:174]
	v_add_f64 v[9:10], v[9:10], 0
	s_clause 0x4
	buffer_load_dword v174, off, s[0:3], 0 offset:444
	buffer_load_dword v186, off, s[0:3], 0 offset:456
	;; [unrolled: 1-line block ×5, first 2 shown]
	s_waitcnt lgkmcnt(0)
	v_mul_f64 v[189:190], v[5:6], v[29:30]
	v_mul_f64 v[29:30], v[7:8], v[29:30]
	ds_read_b128 v[1:4], v16 offset:992
	v_fma_f64 v[45:46], v[171:172], v[45:46], v[163:164]
	v_add_f64 v[165:166], v[161:162], v[165:166]
	v_add_f64 v[9:10], v[9:10], v[167:168]
	s_clause 0x2
	buffer_load_dword v187, off, s[0:3], 0 offset:460
	buffer_load_dword v168, off, s[0:3], 0 offset:436
	;; [unrolled: 1-line block ×3, first 2 shown]
	s_waitcnt vmcnt(58) lgkmcnt(0)
	v_mul_f64 v[171:172], v[1:2], v[37:38]
	v_mul_f64 v[37:38], v[3:4], v[37:38]
	s_waitcnt vmcnt(56)
	v_fma_f64 v[29:30], v[5:6], v[39:40], -v[29:30]
	ds_read_b128 v[161:164], v16 offset:1008
	v_fma_f64 v[39:40], v[7:8], v[39:40], v[189:190]
	v_add_f64 v[165:166], v[165:166], v[169:170]
	v_add_f64 v[9:10], v[9:10], v[45:46]
	s_clause 0x4
	buffer_load_dword v46, off, s[0:3], 0 offset:476
	buffer_load_dword v169, off, s[0:3], 0 offset:488
	;; [unrolled: 1-line block ×5, first 2 shown]
	ds_read_b128 v[5:8], v16 offset:1024
	s_waitcnt vmcnt(57) lgkmcnt(1)
	v_mul_f64 v[190:191], v[161:162], v[41:42]
	v_mul_f64 v[41:42], v[163:164], v[41:42]
	s_waitcnt vmcnt(56)
	v_fma_f64 v[37:38], v[1:2], v[27:28], -v[37:38]
	v_fma_f64 v[27:28], v[3:4], v[27:28], v[171:172]
	v_add_f64 v[29:30], v[165:166], v[29:30]
	v_add_f64 v[9:10], v[9:10], v[39:40]
	s_clause 0x2
	buffer_load_dword v170, off, s[0:3], 0 offset:492
	buffer_load_dword v40, off, s[0:3], 0 offset:468
	;; [unrolled: 1-line block ×3, first 2 shown]
	s_waitcnt vmcnt(58) lgkmcnt(0)
	v_mul_f64 v[165:166], v[5:6], v[47:48]
	v_mul_f64 v[47:48], v[7:8], v[47:48]
	s_waitcnt vmcnt(56)
	v_fma_f64 v[41:42], v[161:162], v[49:50], -v[41:42]
	ds_read_b128 v[1:4], v16 offset:1040
	v_fma_f64 v[49:50], v[163:164], v[49:50], v[190:191]
	s_clause 0x4
	buffer_load_dword v162, off, s[0:3], 0 offset:508
	buffer_load_dword v163, off, s[0:3], 0 offset:520
	;; [unrolled: 1-line block ×5, first 2 shown]
	v_add_f64 v[37:38], v[29:30], v[37:38]
	v_add_f64 v[9:10], v[9:10], v[27:28]
	ds_read_b128 v[27:30], v16 offset:1056
	s_waitcnt vmcnt(57) lgkmcnt(1)
	v_mul_f64 v[190:191], v[1:2], v[51:52]
	v_mul_f64 v[51:52], v[3:4], v[51:52]
	s_waitcnt vmcnt(56)
	v_fma_f64 v[47:48], v[5:6], v[31:32], -v[47:48]
	v_fma_f64 v[31:32], v[7:8], v[31:32], v[165:166]
	v_add_f64 v[37:38], v[37:38], v[41:42]
	s_clause 0x2
	buffer_load_dword v164, off, s[0:3], 0 offset:524
	buffer_load_dword v42, off, s[0:3], 0 offset:500
	buffer_load_dword v41, off, s[0:3], 0 offset:496
	v_add_f64 v[9:10], v[9:10], v[49:50]
	s_waitcnt vmcnt(58) lgkmcnt(0)
	v_mul_f64 v[49:50], v[27:28], v[55:56]
	v_mul_f64 v[55:56], v[29:30], v[55:56]
	ds_read_b128 v[5:8], v16 offset:1072
	s_waitcnt vmcnt(56)
	v_fma_f64 v[51:52], v[1:2], v[57:58], -v[51:52]
	v_add_f64 v[37:38], v[37:38], v[47:48]
	v_fma_f64 v[47:48], v[3:4], v[57:58], v[190:191]
	v_add_f64 v[9:10], v[9:10], v[31:32]
	s_clause 0x4
	buffer_load_dword v32, off, s[0:3], 0 offset:540
	buffer_load_dword v57, off, s[0:3], 0 offset:552
	buffer_load_dword v165, off, s[0:3], 0 offset:544
	buffer_load_dword v31, off, s[0:3], 0 offset:536
	buffer_load_dword v172, off, s[0:3], 0 offset:516
	s_waitcnt vmcnt(57) lgkmcnt(0)
	v_mul_f64 v[190:191], v[5:6], v[59:60]
	v_mul_f64 v[59:60], v[7:8], v[59:60]
	s_waitcnt vmcnt(56)
	v_fma_f64 v[55:56], v[27:28], v[43:44], -v[55:56]
	ds_read_b128 v[1:4], v16 offset:1088
	v_fma_f64 v[43:44], v[29:30], v[43:44], v[49:50]
	v_add_f64 v[37:38], v[37:38], v[51:52]
	v_add_f64 v[9:10], v[9:10], v[47:48]
	s_clause 0x2
	buffer_load_dword v58, off, s[0:3], 0 offset:556
	buffer_load_dword v48, off, s[0:3], 0 offset:532
	;; [unrolled: 1-line block ×3, first 2 shown]
	ds_read_b128 v[27:30], v16 offset:1104
	s_waitcnt vmcnt(58) lgkmcnt(1)
	v_mul_f64 v[51:52], v[3:4], v[63:64]
	s_waitcnt vmcnt(56)
	v_fma_f64 v[59:60], v[5:6], v[69:70], -v[59:60]
	v_mul_f64 v[49:50], v[1:2], v[63:64]
	v_add_f64 v[37:38], v[37:38], v[55:56]
	v_fma_f64 v[55:56], v[7:8], v[69:70], v[190:191]
	v_add_f64 v[9:10], v[9:10], v[43:44]
	s_clause 0x4
	buffer_load_dword v44, off, s[0:3], 0 offset:572
	buffer_load_dword v63, off, s[0:3], 0 offset:584
	;; [unrolled: 1-line block ×5, first 2 shown]
	s_waitcnt vmcnt(57) lgkmcnt(0)
	v_mul_f64 v[190:191], v[27:28], v[71:72]
	v_mul_f64 v[70:71], v[29:30], v[71:72]
	s_waitcnt vmcnt(56)
	v_fma_f64 v[51:52], v[1:2], v[53:54], -v[51:52]
	ds_read_b128 v[5:8], v16 offset:1120
	v_fma_f64 v[49:50], v[3:4], v[53:54], v[49:50]
	s_clause 0x2
	buffer_load_dword v64, off, s[0:3], 0 offset:588
	buffer_load_dword v54, off, s[0:3], 0 offset:564
	;; [unrolled: 1-line block ×3, first 2 shown]
	ds_read_b128 v[1:4], v16 offset:1136
	v_add_f64 v[37:38], v[37:38], v[59:60]
	v_add_f64 v[9:10], v[9:10], v[55:56]
	s_waitcnt vmcnt(58) lgkmcnt(1)
	v_mul_f64 v[59:60], v[7:8], v[75:76]
	s_waitcnt vmcnt(56)
	v_fma_f64 v[71:72], v[27:28], v[81:82], -v[70:71]
	v_mul_f64 v[55:56], v[5:6], v[75:76]
	v_add_f64 v[37:38], v[37:38], v[51:52]
	v_fma_f64 v[51:52], v[29:30], v[81:82], v[190:191]
	v_add_f64 v[9:10], v[9:10], v[49:50]
	s_clause 0x4
	buffer_load_dword v50, off, s[0:3], 0 offset:604
	buffer_load_dword v75, off, s[0:3], 0 offset:616
	buffer_load_dword v81, off, s[0:3], 0 offset:608
	buffer_load_dword v49, off, s[0:3], 0 offset:600
	buffer_load_dword v70, off, s[0:3], 0 offset:580
	s_waitcnt vmcnt(57) lgkmcnt(0)
	v_mul_f64 v[190:191], v[1:2], v[83:84]
	v_mul_f64 v[82:83], v[3:4], v[83:84]
	s_waitcnt vmcnt(56)
	v_fma_f64 v[59:60], v[5:6], v[61:62], -v[59:60]
	ds_read_b128 v[27:30], v16 offset:1152
	v_fma_f64 v[55:56], v[7:8], v[61:62], v[55:56]
	v_add_f64 v[37:38], v[37:38], v[71:72]
	v_add_f64 v[9:10], v[9:10], v[51:52]
	s_clause 0x2
	buffer_load_dword v76, off, s[0:3], 0 offset:620
	buffer_load_dword v52, off, s[0:3], 0 offset:596
	;; [unrolled: 1-line block ×3, first 2 shown]
	ds_read_b128 v[5:8], v16 offset:1168
	s_waitcnt vmcnt(58) lgkmcnt(1)
	v_mul_f64 v[71:72], v[29:30], v[85:86]
	s_waitcnt vmcnt(56)
	v_fma_f64 v[83:84], v[1:2], v[87:88], -v[82:83]
	v_mul_f64 v[61:62], v[27:28], v[85:86]
	v_add_f64 v[37:38], v[37:38], v[59:60]
	v_fma_f64 v[59:60], v[3:4], v[87:88], v[190:191]
	v_add_f64 v[9:10], v[9:10], v[55:56]
	s_clause 0x4
	buffer_load_dword v56, off, s[0:3], 0 offset:636
	buffer_load_dword v85, off, s[0:3], 0 offset:648
	;; [unrolled: 1-line block ×5, first 2 shown]
	s_waitcnt vmcnt(57) lgkmcnt(0)
	v_mul_f64 v[190:191], v[5:6], v[175:176]
	v_mul_f64 v[175:176], v[7:8], v[175:176]
	s_waitcnt vmcnt(56)
	v_fma_f64 v[71:72], v[27:28], v[73:74], -v[71:72]
	ds_read_b128 v[1:4], v16 offset:1184
	v_fma_f64 v[61:62], v[29:30], v[73:74], v[61:62]
	v_add_f64 v[37:38], v[37:38], v[83:84]
	v_add_f64 v[9:10], v[9:10], v[59:60]
	s_clause 0x2
	buffer_load_dword v86, off, s[0:3], 0 offset:652
	buffer_load_dword v60, off, s[0:3], 0 offset:628
	;; [unrolled: 1-line block ×3, first 2 shown]
	ds_read_b128 v[27:30], v16 offset:1200
	s_waitcnt vmcnt(58) lgkmcnt(1)
	v_mul_f64 v[83:84], v[3:4], v[177:178]
	s_waitcnt vmcnt(56)
	v_fma_f64 v[175:176], v[5:6], v[182:183], -v[175:176]
	v_mul_f64 v[73:74], v[1:2], v[177:178]
	v_add_f64 v[37:38], v[37:38], v[71:72]
	v_fma_f64 v[71:72], v[7:8], v[182:183], v[190:191]
	v_add_f64 v[9:10], v[9:10], v[61:62]
	s_clause 0x4
	buffer_load_dword v62, off, s[0:3], 0 offset:668
	buffer_load_dword v177, off, s[0:3], 0 offset:680
	;; [unrolled: 1-line block ×5, first 2 shown]
	ds_read_b128 v[5:8], v16 offset:1216
	s_waitcnt vmcnt(57) lgkmcnt(1)
	v_mul_f64 v[182:183], v[27:28], v[173:174]
	v_mul_f64 v[173:174], v[29:30], v[173:174]
	s_waitcnt vmcnt(56)
	v_fma_f64 v[83:84], v[1:2], v[179:180], -v[83:84]
	v_fma_f64 v[73:74], v[3:4], v[179:180], v[73:74]
	v_add_f64 v[37:38], v[37:38], v[175:176]
	v_add_f64 v[9:10], v[9:10], v[71:72]
	s_clause 0x2
	buffer_load_dword v178, off, s[0:3], 0 offset:684
	buffer_load_dword v72, off, s[0:3], 0 offset:660
	;; [unrolled: 1-line block ×3, first 2 shown]
	ds_read_b128 v[1:4], v16 offset:1232
	s_waitcnt vmcnt(58) lgkmcnt(1)
	v_mul_f64 v[179:180], v[7:8], v[186:187]
	v_mul_f64 v[175:176], v[5:6], v[186:187]
	s_waitcnt vmcnt(56)
	v_fma_f64 v[173:174], v[27:28], v[167:168], -v[173:174]
	v_add_f64 v[37:38], v[37:38], v[83:84]
	v_fma_f64 v[83:84], v[29:30], v[167:168], v[182:183]
	v_add_f64 v[9:10], v[9:10], v[73:74]
	s_clause 0x4
	buffer_load_dword v74, off, s[0:3], 0 offset:700
	buffer_load_dword v167, off, s[0:3], 0 offset:712
	;; [unrolled: 1-line block ×5, first 2 shown]
	ds_read_b128 v[27:30], v16 offset:1248
	s_waitcnt vmcnt(57) lgkmcnt(1)
	v_mul_f64 v[190:191], v[1:2], v[45:46]
	v_mul_f64 v[45:46], v[3:4], v[45:46]
	s_waitcnt vmcnt(56)
	v_fma_f64 v[179:180], v[5:6], v[188:189], -v[179:180]
	v_add_f64 v[37:38], v[37:38], v[173:174]
	v_fma_f64 v[173:174], v[7:8], v[188:189], v[175:176]
	v_add_f64 v[9:10], v[9:10], v[83:84]
	s_clause 0x2
	buffer_load_dword v168, off, s[0:3], 0 offset:716
	buffer_load_dword v84, off, s[0:3], 0 offset:692
	;; [unrolled: 1-line block ×3, first 2 shown]
	ds_read_b128 v[5:8], v16 offset:1264
	s_waitcnt vmcnt(58) lgkmcnt(1)
	v_mul_f64 v[175:176], v[27:28], v[169:170]
	v_mul_f64 v[169:170], v[29:30], v[169:170]
	s_waitcnt vmcnt(56)
	v_fma_f64 v[45:46], v[1:2], v[39:40], -v[45:46]
	v_fma_f64 v[39:40], v[3:4], v[39:40], v[190:191]
	v_add_f64 v[37:38], v[37:38], v[179:180]
	v_add_f64 v[9:10], v[9:10], v[173:174]
	s_clause 0x4
	buffer_load_dword v174, off, s[0:3], 0 offset:732
	buffer_load_dword v179, off, s[0:3], 0 offset:744
	;; [unrolled: 1-line block ×5, first 2 shown]
	s_waitcnt vmcnt(57) lgkmcnt(0)
	v_mul_f64 v[188:189], v[5:6], v[161:162]
	v_mul_f64 v[161:162], v[7:8], v[161:162]
	ds_read_b128 v[1:4], v16 offset:1280
	s_waitcnt vmcnt(56)
	v_fma_f64 v[169:170], v[27:28], v[184:185], -v[169:170]
	v_add_f64 v[37:38], v[37:38], v[45:46]
	v_fma_f64 v[45:46], v[29:30], v[184:185], v[175:176]
	v_add_f64 v[9:10], v[9:10], v[39:40]
	s_clause 0x2
	buffer_load_dword v180, off, s[0:3], 0 offset:748
	buffer_load_dword v40, off, s[0:3], 0 offset:724
	;; [unrolled: 1-line block ×3, first 2 shown]
	ds_read_b128 v[27:30], v16 offset:1296
	s_waitcnt vmcnt(58) lgkmcnt(1)
	v_mul_f64 v[175:176], v[1:2], v[163:164]
	v_mul_f64 v[163:164], v[3:4], v[163:164]
	s_waitcnt vmcnt(56)
	v_fma_f64 v[161:162], v[5:6], v[41:42], -v[161:162]
	v_fma_f64 v[41:42], v[7:8], v[41:42], v[188:189]
	v_add_f64 v[37:38], v[37:38], v[169:170]
	v_add_f64 v[9:10], v[9:10], v[45:46]
	s_clause 0x4
	buffer_load_dword v46, off, s[0:3], 0 offset:764
	buffer_load_dword v169, off, s[0:3], 0 offset:776
	;; [unrolled: 1-line block ×5, first 2 shown]
	ds_read_b128 v[5:8], v16 offset:1312
	s_waitcnt vmcnt(57) lgkmcnt(1)
	v_mul_f64 v[189:190], v[27:28], v[31:32]
	v_mul_f64 v[31:32], v[29:30], v[31:32]
	s_waitcnt vmcnt(56)
	v_fma_f64 v[163:164], v[1:2], v[171:172], -v[163:164]
	v_add_f64 v[37:38], v[37:38], v[161:162]
	v_fma_f64 v[161:162], v[3:4], v[171:172], v[175:176]
	v_add_f64 v[9:10], v[9:10], v[41:42]
	s_clause 0x2
	buffer_load_dword v170, off, s[0:3], 0 offset:780
	buffer_load_dword v42, off, s[0:3], 0 offset:756
	;; [unrolled: 1-line block ×3, first 2 shown]
	ds_read_b128 v[1:4], v16 offset:1328
	s_waitcnt vmcnt(58) lgkmcnt(1)
	v_mul_f64 v[171:172], v[5:6], v[57:58]
	v_mul_f64 v[57:58], v[7:8], v[57:58]
	s_waitcnt vmcnt(56)
	v_fma_f64 v[31:32], v[27:28], v[47:48], -v[31:32]
	v_fma_f64 v[47:48], v[29:30], v[47:48], v[189:190]
	v_add_f64 v[37:38], v[37:38], v[163:164]
	v_add_f64 v[9:10], v[9:10], v[161:162]
	s_clause 0x2
	buffer_load_dword v162, off, s[0:3], 0 offset:796
	buffer_load_dword v161, off, s[0:3], 0 offset:792
	;; [unrolled: 1-line block ×3, first 2 shown]
	ds_read_b128 v[27:30], v16 offset:1344
	s_waitcnt vmcnt(55) lgkmcnt(1)
	v_mul_f64 v[163:164], v[1:2], v[43:44]
	v_mul_f64 v[43:44], v[3:4], v[43:44]
	s_waitcnt vmcnt(54)
	v_fma_f64 v[57:58], v[5:6], v[165:166], -v[57:58]
	v_add_f64 v[31:32], v[37:38], v[31:32]
	v_fma_f64 v[37:38], v[7:8], v[165:166], v[171:172]
	v_add_f64 v[9:10], v[9:10], v[47:48]
	s_clause 0x1
	buffer_load_dword v48, off, s[0:3], 0 offset:788
	buffer_load_dword v47, off, s[0:3], 0 offset:784
	s_waitcnt vmcnt(55) lgkmcnt(0)
	v_mul_f64 v[165:166], v[27:28], v[63:64]
	v_mul_f64 v[63:64], v[29:30], v[63:64]
	ds_read_b128 v[5:8], v16 offset:1360
	s_waitcnt vmcnt(53)
	v_fma_f64 v[43:44], v[1:2], v[53:54], -v[43:44]
	v_fma_f64 v[53:54], v[3:4], v[53:54], v[163:164]
	ds_read_b128 v[1:4], v16 offset:1376
	v_add_f64 v[31:32], v[31:32], v[57:58]
	v_add_f64 v[9:10], v[9:10], v[37:38]
	s_waitcnt vmcnt(49) lgkmcnt(1)
	v_mul_f64 v[37:38], v[5:6], v[49:50]
	v_mul_f64 v[49:50], v[7:8], v[49:50]
	s_waitcnt vmcnt(48)
	v_fma_f64 v[57:58], v[27:28], v[69:70], -v[63:64]
	v_add_f64 v[31:32], v[31:32], v[43:44]
	v_fma_f64 v[43:44], v[29:30], v[69:70], v[165:166]
	v_add_f64 v[9:10], v[9:10], v[53:54]
	s_clause 0x3
	buffer_load_dword v53, off, s[0:3], 0 offset:144
	buffer_load_dword v54, off, s[0:3], 0 offset:148
	;; [unrolled: 1-line block ×4, first 2 shown]
	ds_read_b128 v[27:30], v16 offset:1392
	s_waitcnt vmcnt(51) lgkmcnt(1)
	v_mul_f64 v[69:70], v[1:2], v[75:76]
	v_mul_f64 v[75:76], v[3:4], v[75:76]
	s_waitcnt vmcnt(49)
	v_fma_f64 v[49:50], v[5:6], v[51:52], -v[49:50]
	v_fma_f64 v[37:38], v[7:8], v[51:52], v[37:38]
	ds_read_b128 v[5:8], v16 offset:1408
	v_add_f64 v[31:32], v[31:32], v[57:58]
	v_add_f64 v[9:10], v[9:10], v[43:44]
	s_waitcnt vmcnt(45) lgkmcnt(1)
	v_mul_f64 v[43:44], v[27:28], v[55:56]
	v_mul_f64 v[51:52], v[29:30], v[55:56]
	s_waitcnt vmcnt(44)
	v_fma_f64 v[55:56], v[1:2], v[81:82], -v[75:76]
	v_add_f64 v[31:32], v[31:32], v[49:50]
	v_fma_f64 v[49:50], v[3:4], v[81:82], v[69:70]
	v_add_f64 v[9:10], v[9:10], v[37:38]
	ds_read_b128 v[1:4], v16 offset:1424
	s_waitcnt vmcnt(43) lgkmcnt(1)
	v_mul_f64 v[57:58], v[7:8], v[85:86]
	v_mul_f64 v[37:38], v[5:6], v[85:86]
	s_waitcnt vmcnt(41)
	v_fma_f64 v[51:52], v[27:28], v[59:60], -v[51:52]
	v_fma_f64 v[43:44], v[29:30], v[59:60], v[43:44]
	ds_read_b128 v[27:30], v16 offset:1440
	v_add_f64 v[31:32], v[31:32], v[55:56]
	v_add_f64 v[9:10], v[9:10], v[49:50]
	s_waitcnt vmcnt(37) lgkmcnt(1)
	v_mul_f64 v[55:56], v[3:4], v[61:62]
	s_waitcnt vmcnt(36)
	v_fma_f64 v[57:58], v[5:6], v[87:88], -v[57:58]
	v_mul_f64 v[49:50], v[1:2], v[61:62]
	v_fma_f64 v[37:38], v[7:8], v[87:88], v[37:38]
	ds_read_b128 v[5:8], v16 offset:1456
	v_add_f64 v[31:32], v[31:32], v[51:52]
	v_add_f64 v[9:10], v[9:10], v[43:44]
	s_waitcnt vmcnt(35) lgkmcnt(1)
	v_mul_f64 v[51:52], v[29:30], v[177:178]
	v_mul_f64 v[43:44], v[27:28], v[177:178]
	s_waitcnt vmcnt(33)
	v_fma_f64 v[55:56], v[1:2], v[71:72], -v[55:56]
	v_fma_f64 v[49:50], v[3:4], v[71:72], v[49:50]
	ds_read_b128 v[1:4], v16 offset:1472
	v_add_f64 v[31:32], v[31:32], v[57:58]
	v_add_f64 v[9:10], v[9:10], v[37:38]
	s_waitcnt vmcnt(29) lgkmcnt(1)
	v_mul_f64 v[57:58], v[7:8], v[73:74]
	s_waitcnt vmcnt(28)
	v_fma_f64 v[51:52], v[27:28], v[181:182], -v[51:52]
	v_mul_f64 v[37:38], v[5:6], v[73:74]
	v_fma_f64 v[43:44], v[29:30], v[181:182], v[43:44]
	ds_read_b128 v[27:30], v16 offset:1488
	v_add_f64 v[31:32], v[31:32], v[55:56]
	v_add_f64 v[9:10], v[9:10], v[49:50]
	;; [unrolled: 18-line block ×3, first 2 shown]
	s_waitcnt vmcnt(19) lgkmcnt(1)
	v_mul_f64 v[57:58], v[7:8], v[179:180]
	v_mul_f64 v[37:38], v[5:6], v[179:180]
	s_waitcnt vmcnt(17)
	v_fma_f64 v[51:52], v[27:28], v[39:40], -v[51:52]
	v_fma_f64 v[39:40], v[29:30], v[39:40], v[43:44]
	ds_read_b128 v[27:30], v16 offset:1536
	v_add_f64 v[31:32], v[31:32], v[55:56]
	v_add_f64 v[9:10], v[9:10], v[49:50]
	s_waitcnt vmcnt(13) lgkmcnt(1)
	v_mul_f64 v[43:44], v[1:2], v[45:46]
	v_mul_f64 v[45:46], v[3:4], v[45:46]
	s_waitcnt vmcnt(12)
	v_fma_f64 v[49:50], v[5:6], v[183:184], -v[57:58]
	v_fma_f64 v[37:38], v[7:8], v[183:184], v[37:38]
	ds_read_b128 v[5:8], v16 offset:1552
	v_add_f64 v[31:32], v[31:32], v[51:52]
	v_add_f64 v[9:10], v[9:10], v[39:40]
	s_waitcnt vmcnt(11) lgkmcnt(1)
	v_mul_f64 v[51:52], v[29:30], v[169:170]
	v_mul_f64 v[39:40], v[27:28], v[169:170]
	s_waitcnt vmcnt(9)
	v_fma_f64 v[1:2], v[1:2], v[41:42], -v[45:46]
	v_fma_f64 v[3:4], v[3:4], v[41:42], v[43:44]
	v_add_f64 v[31:32], v[31:32], v[49:50]
	v_add_f64 v[9:10], v[9:10], v[37:38]
	s_waitcnt vmcnt(7) lgkmcnt(0)
	v_mul_f64 v[41:42], v[7:8], v[161:162]
	s_waitcnt vmcnt(6)
	v_fma_f64 v[27:28], v[27:28], v[188:189], -v[51:52]
	v_mul_f64 v[37:38], v[5:6], v[161:162]
	v_fma_f64 v[29:30], v[29:30], v[188:189], v[39:40]
	v_add_f64 v[1:2], v[31:32], v[1:2]
	v_add_f64 v[3:4], v[9:10], v[3:4]
	s_waitcnt vmcnt(4)
	v_fma_f64 v[5:6], v[5:6], v[47:48], -v[41:42]
	v_fma_f64 v[7:8], v[7:8], v[47:48], v[37:38]
	v_add_f64 v[1:2], v[1:2], v[27:28]
	v_add_f64 v[3:4], v[3:4], v[29:30]
	v_add_f64 v[1:2], v[1:2], v[5:6]
	v_add_f64 v[3:4], v[3:4], v[7:8]
	s_waitcnt vmcnt(2)
	v_add_f64 v[1:2], v[53:54], -v[1:2]
	s_waitcnt vmcnt(0)
	v_add_f64 v[3:4], v[63:64], -v[3:4]
	buffer_store_dword v2, off, s[0:3], 0 offset:148
	buffer_store_dword v1, off, s[0:3], 0 offset:144
	;; [unrolled: 1-line block ×4, first 2 shown]
	v_cmpx_lt_u32_e32 7, v0
	s_cbranch_execz .LBB48_293
; %bb.292:
	v_mov_b32_e32 v4, s54
	v_mov_b32_e32 v5, 0
	s_clause 0x3
	buffer_load_dword v1, v4, s[0:3], 0 offen
	buffer_load_dword v2, v4, s[0:3], 0 offen offset:4
	buffer_load_dword v3, v4, s[0:3], 0 offen offset:8
	;; [unrolled: 1-line block ×3, first 2 shown]
	buffer_store_dword v5, off, s[0:3], 0 offset:128
	buffer_store_dword v5, off, s[0:3], 0 offset:132
	;; [unrolled: 1-line block ×4, first 2 shown]
	s_waitcnt vmcnt(0)
	ds_write_b128 v11, v[1:4]
.LBB48_293:
	s_or_b32 exec_lo, exec_lo, s4
	s_waitcnt lgkmcnt(0)
	s_waitcnt_vscnt null, 0x0
	s_barrier
	buffer_gl0_inv
	s_clause 0x37
	buffer_load_dword v9, off, s[0:3], 0 offset:152
	buffer_load_dword v10, off, s[0:3], 0 offset:156
	;; [unrolled: 1-line block ×56, first 2 shown]
	v_mov_b32_e32 v16, 0
	s_mov_b32 s4, exec_lo
	ds_read_b128 v[161:164], v16 offset:912
	s_clause 0x2
	buffer_load_dword v86, off, s[0:3], 0 offset:380
	buffer_load_dword v88, off, s[0:3], 0 offset:356
	;; [unrolled: 1-line block ×3, first 2 shown]
	ds_read_b128 v[165:168], v16 offset:928
	s_clause 0x4
	buffer_load_dword v176, off, s[0:3], 0 offset:396
	buffer_load_dword v177, off, s[0:3], 0 offset:408
	buffer_load_dword v179, off, s[0:3], 0 offset:400
	buffer_load_dword v175, off, s[0:3], 0 offset:392
	buffer_load_dword v74, off, s[0:3], 0 offset:372
	ds_read_b128 v[169:172], v16 offset:944
	s_clause 0x2
	buffer_load_dword v178, off, s[0:3], 0 offset:412
	buffer_load_dword v183, off, s[0:3], 0 offset:388
	;; [unrolled: 1-line block ×3, first 2 shown]
	s_waitcnt vmcnt(62) lgkmcnt(2)
	v_mul_f64 v[173:174], v[163:164], v[9:10]
	v_mul_f64 v[9:10], v[161:162], v[9:10]
	s_waitcnt lgkmcnt(1)
	v_mul_f64 v[180:181], v[167:168], v[5:6]
	s_waitcnt vmcnt(59) lgkmcnt(0)
	v_mul_f64 v[184:185], v[171:172], v[3:4]
	v_fma_f64 v[161:162], v[161:162], v[7:8], -v[173:174]
	v_mul_f64 v[173:174], v[165:166], v[5:6]
	v_fma_f64 v[9:10], v[163:164], v[7:8], v[9:10]
	s_waitcnt vmcnt(57)
	v_fma_f64 v[165:166], v[165:166], v[1:2], -v[180:181]
	ds_read_b128 v[5:8], v16 offset:960
	v_mul_f64 v[163:164], v[169:170], v[3:4]
	s_waitcnt vmcnt(51)
	v_fma_f64 v[169:170], v[169:170], v[45:46], -v[184:185]
	v_add_f64 v[161:162], v[161:162], 0
	v_fma_f64 v[167:168], v[167:168], v[1:2], v[173:174]
	v_add_f64 v[9:10], v[9:10], 0
	s_clause 0x4
	buffer_load_dword v174, off, s[0:3], 0 offset:428
	buffer_load_dword v186, off, s[0:3], 0 offset:440
	;; [unrolled: 1-line block ×5, first 2 shown]
	s_waitcnt lgkmcnt(0)
	v_mul_f64 v[189:190], v[5:6], v[29:30]
	v_mul_f64 v[29:30], v[7:8], v[29:30]
	ds_read_b128 v[1:4], v16 offset:976
	v_fma_f64 v[45:46], v[171:172], v[45:46], v[163:164]
	v_add_f64 v[165:166], v[161:162], v[165:166]
	v_add_f64 v[9:10], v[9:10], v[167:168]
	s_clause 0x2
	buffer_load_dword v187, off, s[0:3], 0 offset:444
	buffer_load_dword v168, off, s[0:3], 0 offset:420
	;; [unrolled: 1-line block ×3, first 2 shown]
	s_waitcnt vmcnt(58) lgkmcnt(0)
	v_mul_f64 v[171:172], v[1:2], v[37:38]
	v_mul_f64 v[37:38], v[3:4], v[37:38]
	s_waitcnt vmcnt(56)
	v_fma_f64 v[29:30], v[5:6], v[39:40], -v[29:30]
	ds_read_b128 v[161:164], v16 offset:992
	v_fma_f64 v[39:40], v[7:8], v[39:40], v[189:190]
	v_add_f64 v[165:166], v[165:166], v[169:170]
	v_add_f64 v[9:10], v[9:10], v[45:46]
	s_clause 0x4
	buffer_load_dword v46, off, s[0:3], 0 offset:460
	buffer_load_dword v169, off, s[0:3], 0 offset:472
	;; [unrolled: 1-line block ×5, first 2 shown]
	ds_read_b128 v[5:8], v16 offset:1008
	s_waitcnt vmcnt(57) lgkmcnt(1)
	v_mul_f64 v[190:191], v[161:162], v[41:42]
	v_mul_f64 v[41:42], v[163:164], v[41:42]
	s_waitcnt vmcnt(56)
	v_fma_f64 v[37:38], v[1:2], v[27:28], -v[37:38]
	v_fma_f64 v[27:28], v[3:4], v[27:28], v[171:172]
	v_add_f64 v[29:30], v[165:166], v[29:30]
	v_add_f64 v[9:10], v[9:10], v[39:40]
	s_clause 0x2
	buffer_load_dword v170, off, s[0:3], 0 offset:476
	buffer_load_dword v40, off, s[0:3], 0 offset:452
	;; [unrolled: 1-line block ×3, first 2 shown]
	s_waitcnt vmcnt(58) lgkmcnt(0)
	v_mul_f64 v[165:166], v[5:6], v[47:48]
	v_mul_f64 v[47:48], v[7:8], v[47:48]
	s_waitcnt vmcnt(56)
	v_fma_f64 v[41:42], v[161:162], v[49:50], -v[41:42]
	ds_read_b128 v[1:4], v16 offset:1024
	v_fma_f64 v[49:50], v[163:164], v[49:50], v[190:191]
	s_clause 0x4
	buffer_load_dword v162, off, s[0:3], 0 offset:492
	buffer_load_dword v163, off, s[0:3], 0 offset:504
	;; [unrolled: 1-line block ×5, first 2 shown]
	v_add_f64 v[37:38], v[29:30], v[37:38]
	v_add_f64 v[9:10], v[9:10], v[27:28]
	ds_read_b128 v[27:30], v16 offset:1040
	s_waitcnt vmcnt(57) lgkmcnt(1)
	v_mul_f64 v[190:191], v[1:2], v[51:52]
	v_mul_f64 v[51:52], v[3:4], v[51:52]
	s_waitcnt vmcnt(56)
	v_fma_f64 v[47:48], v[5:6], v[31:32], -v[47:48]
	v_fma_f64 v[31:32], v[7:8], v[31:32], v[165:166]
	v_add_f64 v[37:38], v[37:38], v[41:42]
	s_clause 0x2
	buffer_load_dword v164, off, s[0:3], 0 offset:508
	buffer_load_dword v42, off, s[0:3], 0 offset:484
	;; [unrolled: 1-line block ×3, first 2 shown]
	v_add_f64 v[9:10], v[9:10], v[49:50]
	s_waitcnt vmcnt(58) lgkmcnt(0)
	v_mul_f64 v[49:50], v[27:28], v[55:56]
	v_mul_f64 v[55:56], v[29:30], v[55:56]
	ds_read_b128 v[5:8], v16 offset:1056
	s_waitcnt vmcnt(56)
	v_fma_f64 v[51:52], v[1:2], v[57:58], -v[51:52]
	v_add_f64 v[37:38], v[37:38], v[47:48]
	v_fma_f64 v[47:48], v[3:4], v[57:58], v[190:191]
	v_add_f64 v[9:10], v[9:10], v[31:32]
	s_clause 0x4
	buffer_load_dword v32, off, s[0:3], 0 offset:524
	buffer_load_dword v57, off, s[0:3], 0 offset:536
	buffer_load_dword v165, off, s[0:3], 0 offset:528
	buffer_load_dword v31, off, s[0:3], 0 offset:520
	buffer_load_dword v172, off, s[0:3], 0 offset:500
	s_waitcnt vmcnt(57) lgkmcnt(0)
	v_mul_f64 v[190:191], v[5:6], v[59:60]
	v_mul_f64 v[59:60], v[7:8], v[59:60]
	s_waitcnt vmcnt(56)
	v_fma_f64 v[55:56], v[27:28], v[43:44], -v[55:56]
	ds_read_b128 v[1:4], v16 offset:1072
	v_fma_f64 v[43:44], v[29:30], v[43:44], v[49:50]
	v_add_f64 v[37:38], v[37:38], v[51:52]
	v_add_f64 v[9:10], v[9:10], v[47:48]
	s_clause 0x2
	buffer_load_dword v58, off, s[0:3], 0 offset:540
	buffer_load_dword v48, off, s[0:3], 0 offset:516
	;; [unrolled: 1-line block ×3, first 2 shown]
	ds_read_b128 v[27:30], v16 offset:1088
	s_waitcnt vmcnt(58) lgkmcnt(1)
	v_mul_f64 v[51:52], v[3:4], v[63:64]
	s_waitcnt vmcnt(56)
	v_fma_f64 v[59:60], v[5:6], v[69:70], -v[59:60]
	v_mul_f64 v[49:50], v[1:2], v[63:64]
	v_add_f64 v[37:38], v[37:38], v[55:56]
	v_fma_f64 v[55:56], v[7:8], v[69:70], v[190:191]
	v_add_f64 v[9:10], v[9:10], v[43:44]
	s_clause 0x4
	buffer_load_dword v44, off, s[0:3], 0 offset:556
	buffer_load_dword v63, off, s[0:3], 0 offset:568
	;; [unrolled: 1-line block ×5, first 2 shown]
	s_waitcnt vmcnt(57) lgkmcnt(0)
	v_mul_f64 v[190:191], v[27:28], v[71:72]
	v_mul_f64 v[70:71], v[29:30], v[71:72]
	s_waitcnt vmcnt(56)
	v_fma_f64 v[51:52], v[1:2], v[53:54], -v[51:52]
	ds_read_b128 v[5:8], v16 offset:1104
	v_fma_f64 v[49:50], v[3:4], v[53:54], v[49:50]
	s_clause 0x2
	buffer_load_dword v64, off, s[0:3], 0 offset:572
	buffer_load_dword v54, off, s[0:3], 0 offset:548
	;; [unrolled: 1-line block ×3, first 2 shown]
	ds_read_b128 v[1:4], v16 offset:1120
	v_add_f64 v[37:38], v[37:38], v[59:60]
	v_add_f64 v[9:10], v[9:10], v[55:56]
	s_waitcnt vmcnt(58) lgkmcnt(1)
	v_mul_f64 v[59:60], v[7:8], v[75:76]
	s_waitcnt vmcnt(56)
	v_fma_f64 v[71:72], v[27:28], v[81:82], -v[70:71]
	v_mul_f64 v[55:56], v[5:6], v[75:76]
	v_add_f64 v[37:38], v[37:38], v[51:52]
	v_fma_f64 v[51:52], v[29:30], v[81:82], v[190:191]
	v_add_f64 v[9:10], v[9:10], v[49:50]
	s_clause 0x4
	buffer_load_dword v50, off, s[0:3], 0 offset:588
	buffer_load_dword v75, off, s[0:3], 0 offset:600
	buffer_load_dword v81, off, s[0:3], 0 offset:592
	buffer_load_dword v49, off, s[0:3], 0 offset:584
	buffer_load_dword v70, off, s[0:3], 0 offset:564
	s_waitcnt vmcnt(57) lgkmcnt(0)
	v_mul_f64 v[190:191], v[1:2], v[83:84]
	v_mul_f64 v[82:83], v[3:4], v[83:84]
	s_waitcnt vmcnt(56)
	v_fma_f64 v[59:60], v[5:6], v[61:62], -v[59:60]
	ds_read_b128 v[27:30], v16 offset:1136
	v_fma_f64 v[55:56], v[7:8], v[61:62], v[55:56]
	v_add_f64 v[37:38], v[37:38], v[71:72]
	v_add_f64 v[9:10], v[9:10], v[51:52]
	s_clause 0x2
	buffer_load_dword v76, off, s[0:3], 0 offset:604
	buffer_load_dword v52, off, s[0:3], 0 offset:580
	;; [unrolled: 1-line block ×3, first 2 shown]
	ds_read_b128 v[5:8], v16 offset:1152
	s_waitcnt vmcnt(58) lgkmcnt(1)
	v_mul_f64 v[71:72], v[29:30], v[85:86]
	s_waitcnt vmcnt(56)
	v_fma_f64 v[83:84], v[1:2], v[87:88], -v[82:83]
	v_mul_f64 v[61:62], v[27:28], v[85:86]
	v_add_f64 v[37:38], v[37:38], v[59:60]
	v_fma_f64 v[59:60], v[3:4], v[87:88], v[190:191]
	v_add_f64 v[9:10], v[9:10], v[55:56]
	s_clause 0x4
	buffer_load_dword v56, off, s[0:3], 0 offset:620
	buffer_load_dword v85, off, s[0:3], 0 offset:632
	buffer_load_dword v87, off, s[0:3], 0 offset:624
	buffer_load_dword v55, off, s[0:3], 0 offset:616
	buffer_load_dword v82, off, s[0:3], 0 offset:596
	s_waitcnt vmcnt(57) lgkmcnt(0)
	v_mul_f64 v[190:191], v[5:6], v[175:176]
	v_mul_f64 v[175:176], v[7:8], v[175:176]
	s_waitcnt vmcnt(56)
	v_fma_f64 v[71:72], v[27:28], v[73:74], -v[71:72]
	ds_read_b128 v[1:4], v16 offset:1168
	v_fma_f64 v[61:62], v[29:30], v[73:74], v[61:62]
	v_add_f64 v[37:38], v[37:38], v[83:84]
	v_add_f64 v[9:10], v[9:10], v[59:60]
	s_clause 0x2
	buffer_load_dword v86, off, s[0:3], 0 offset:636
	buffer_load_dword v60, off, s[0:3], 0 offset:612
	;; [unrolled: 1-line block ×3, first 2 shown]
	ds_read_b128 v[27:30], v16 offset:1184
	s_waitcnt vmcnt(58) lgkmcnt(1)
	v_mul_f64 v[83:84], v[3:4], v[177:178]
	s_waitcnt vmcnt(56)
	v_fma_f64 v[175:176], v[5:6], v[182:183], -v[175:176]
	v_mul_f64 v[73:74], v[1:2], v[177:178]
	v_add_f64 v[37:38], v[37:38], v[71:72]
	v_fma_f64 v[71:72], v[7:8], v[182:183], v[190:191]
	v_add_f64 v[9:10], v[9:10], v[61:62]
	s_clause 0x4
	buffer_load_dword v62, off, s[0:3], 0 offset:652
	buffer_load_dword v177, off, s[0:3], 0 offset:664
	;; [unrolled: 1-line block ×5, first 2 shown]
	ds_read_b128 v[5:8], v16 offset:1200
	s_waitcnt vmcnt(57) lgkmcnt(1)
	v_mul_f64 v[182:183], v[27:28], v[173:174]
	v_mul_f64 v[173:174], v[29:30], v[173:174]
	s_waitcnt vmcnt(56)
	v_fma_f64 v[83:84], v[1:2], v[179:180], -v[83:84]
	v_fma_f64 v[73:74], v[3:4], v[179:180], v[73:74]
	v_add_f64 v[37:38], v[37:38], v[175:176]
	v_add_f64 v[9:10], v[9:10], v[71:72]
	s_clause 0x2
	buffer_load_dword v178, off, s[0:3], 0 offset:668
	buffer_load_dword v72, off, s[0:3], 0 offset:644
	;; [unrolled: 1-line block ×3, first 2 shown]
	ds_read_b128 v[1:4], v16 offset:1216
	s_waitcnt vmcnt(58) lgkmcnt(1)
	v_mul_f64 v[179:180], v[7:8], v[186:187]
	v_mul_f64 v[175:176], v[5:6], v[186:187]
	s_waitcnt vmcnt(56)
	v_fma_f64 v[173:174], v[27:28], v[167:168], -v[173:174]
	v_add_f64 v[37:38], v[37:38], v[83:84]
	v_fma_f64 v[83:84], v[29:30], v[167:168], v[182:183]
	v_add_f64 v[9:10], v[9:10], v[73:74]
	s_clause 0x4
	buffer_load_dword v74, off, s[0:3], 0 offset:684
	buffer_load_dword v167, off, s[0:3], 0 offset:696
	;; [unrolled: 1-line block ×5, first 2 shown]
	ds_read_b128 v[27:30], v16 offset:1232
	s_waitcnt vmcnt(57) lgkmcnt(1)
	v_mul_f64 v[190:191], v[1:2], v[45:46]
	v_mul_f64 v[45:46], v[3:4], v[45:46]
	s_waitcnt vmcnt(56)
	v_fma_f64 v[179:180], v[5:6], v[188:189], -v[179:180]
	v_add_f64 v[37:38], v[37:38], v[173:174]
	v_fma_f64 v[173:174], v[7:8], v[188:189], v[175:176]
	v_add_f64 v[9:10], v[9:10], v[83:84]
	s_clause 0x2
	buffer_load_dword v168, off, s[0:3], 0 offset:700
	buffer_load_dword v84, off, s[0:3], 0 offset:676
	;; [unrolled: 1-line block ×3, first 2 shown]
	ds_read_b128 v[5:8], v16 offset:1248
	s_waitcnt vmcnt(58) lgkmcnt(1)
	v_mul_f64 v[175:176], v[27:28], v[169:170]
	v_mul_f64 v[169:170], v[29:30], v[169:170]
	s_waitcnt vmcnt(56)
	v_fma_f64 v[45:46], v[1:2], v[39:40], -v[45:46]
	v_fma_f64 v[39:40], v[3:4], v[39:40], v[190:191]
	v_add_f64 v[37:38], v[37:38], v[179:180]
	v_add_f64 v[9:10], v[9:10], v[173:174]
	s_clause 0x4
	buffer_load_dword v174, off, s[0:3], 0 offset:716
	buffer_load_dword v179, off, s[0:3], 0 offset:728
	;; [unrolled: 1-line block ×5, first 2 shown]
	s_waitcnt vmcnt(57) lgkmcnt(0)
	v_mul_f64 v[188:189], v[5:6], v[161:162]
	v_mul_f64 v[161:162], v[7:8], v[161:162]
	ds_read_b128 v[1:4], v16 offset:1264
	s_waitcnt vmcnt(56)
	v_fma_f64 v[169:170], v[27:28], v[184:185], -v[169:170]
	v_add_f64 v[37:38], v[37:38], v[45:46]
	v_fma_f64 v[45:46], v[29:30], v[184:185], v[175:176]
	v_add_f64 v[9:10], v[9:10], v[39:40]
	s_clause 0x2
	buffer_load_dword v180, off, s[0:3], 0 offset:732
	buffer_load_dword v40, off, s[0:3], 0 offset:708
	;; [unrolled: 1-line block ×3, first 2 shown]
	ds_read_b128 v[27:30], v16 offset:1280
	s_waitcnt vmcnt(58) lgkmcnt(1)
	v_mul_f64 v[175:176], v[1:2], v[163:164]
	v_mul_f64 v[163:164], v[3:4], v[163:164]
	s_waitcnt vmcnt(56)
	v_fma_f64 v[161:162], v[5:6], v[41:42], -v[161:162]
	v_fma_f64 v[41:42], v[7:8], v[41:42], v[188:189]
	v_add_f64 v[37:38], v[37:38], v[169:170]
	v_add_f64 v[9:10], v[9:10], v[45:46]
	s_clause 0x4
	buffer_load_dword v46, off, s[0:3], 0 offset:748
	buffer_load_dword v169, off, s[0:3], 0 offset:760
	buffer_load_dword v188, off, s[0:3], 0 offset:752
	buffer_load_dword v45, off, s[0:3], 0 offset:744
	buffer_load_dword v184, off, s[0:3], 0 offset:724
	ds_read_b128 v[5:8], v16 offset:1296
	s_waitcnt vmcnt(57) lgkmcnt(1)
	v_mul_f64 v[189:190], v[27:28], v[31:32]
	v_mul_f64 v[31:32], v[29:30], v[31:32]
	s_waitcnt vmcnt(56)
	v_fma_f64 v[163:164], v[1:2], v[171:172], -v[163:164]
	v_add_f64 v[37:38], v[37:38], v[161:162]
	v_fma_f64 v[161:162], v[3:4], v[171:172], v[175:176]
	v_add_f64 v[9:10], v[9:10], v[41:42]
	s_clause 0x2
	buffer_load_dword v170, off, s[0:3], 0 offset:764
	buffer_load_dword v42, off, s[0:3], 0 offset:740
	;; [unrolled: 1-line block ×3, first 2 shown]
	ds_read_b128 v[1:4], v16 offset:1312
	s_waitcnt vmcnt(58) lgkmcnt(1)
	v_mul_f64 v[171:172], v[5:6], v[57:58]
	v_mul_f64 v[57:58], v[7:8], v[57:58]
	s_waitcnt vmcnt(56)
	v_fma_f64 v[31:32], v[27:28], v[47:48], -v[31:32]
	v_fma_f64 v[47:48], v[29:30], v[47:48], v[189:190]
	v_add_f64 v[37:38], v[37:38], v[163:164]
	v_add_f64 v[9:10], v[9:10], v[161:162]
	s_clause 0x4
	buffer_load_dword v162, off, s[0:3], 0 offset:780
	buffer_load_dword v163, off, s[0:3], 0 offset:792
	;; [unrolled: 1-line block ×5, first 2 shown]
	ds_read_b128 v[27:30], v16 offset:1328
	s_waitcnt vmcnt(57) lgkmcnt(1)
	v_mul_f64 v[190:191], v[1:2], v[43:44]
	v_mul_f64 v[43:44], v[3:4], v[43:44]
	s_waitcnt vmcnt(56)
	v_fma_f64 v[57:58], v[5:6], v[165:166], -v[57:58]
	v_add_f64 v[31:32], v[37:38], v[31:32]
	v_fma_f64 v[37:38], v[7:8], v[165:166], v[171:172]
	v_add_f64 v[9:10], v[9:10], v[47:48]
	s_clause 0x2
	buffer_load_dword v164, off, s[0:3], 0 offset:796
	buffer_load_dword v48, off, s[0:3], 0 offset:772
	;; [unrolled: 1-line block ×3, first 2 shown]
	s_waitcnt vmcnt(58) lgkmcnt(0)
	v_mul_f64 v[165:166], v[27:28], v[63:64]
	v_mul_f64 v[63:64], v[29:30], v[63:64]
	ds_read_b128 v[5:8], v16 offset:1344
	buffer_load_dword v176, off, s[0:3], 0 offset:788
	s_waitcnt vmcnt(57)
	v_fma_f64 v[43:44], v[1:2], v[53:54], -v[43:44]
	v_fma_f64 v[53:54], v[3:4], v[53:54], v[190:191]
	ds_read_b128 v[1:4], v16 offset:1360
	v_add_f64 v[31:32], v[31:32], v[57:58]
	v_add_f64 v[9:10], v[9:10], v[37:38]
	s_waitcnt vmcnt(53) lgkmcnt(1)
	v_mul_f64 v[37:38], v[5:6], v[49:50]
	v_mul_f64 v[49:50], v[7:8], v[49:50]
	s_waitcnt vmcnt(52)
	v_fma_f64 v[57:58], v[27:28], v[69:70], -v[63:64]
	v_add_f64 v[31:32], v[31:32], v[43:44]
	v_fma_f64 v[43:44], v[29:30], v[69:70], v[165:166]
	v_add_f64 v[9:10], v[9:10], v[53:54]
	ds_read_b128 v[27:30], v16 offset:1376
	s_waitcnt vmcnt(51) lgkmcnt(1)
	v_mul_f64 v[63:64], v[3:4], v[75:76]
	v_mul_f64 v[53:54], v[1:2], v[75:76]
	s_waitcnt vmcnt(49)
	v_fma_f64 v[49:50], v[5:6], v[51:52], -v[49:50]
	v_fma_f64 v[37:38], v[7:8], v[51:52], v[37:38]
	v_add_f64 v[31:32], v[31:32], v[57:58]
	v_add_f64 v[9:10], v[9:10], v[43:44]
	s_clause 0x3
	buffer_load_dword v43, off, s[0:3], 0 offset:128
	buffer_load_dword v44, off, s[0:3], 0 offset:132
	;; [unrolled: 1-line block ×4, first 2 shown]
	ds_read_b128 v[5:8], v16 offset:1392
	s_waitcnt vmcnt(49) lgkmcnt(1)
	v_mul_f64 v[57:58], v[27:28], v[55:56]
	v_mul_f64 v[55:56], v[29:30], v[55:56]
	s_waitcnt vmcnt(48)
	v_fma_f64 v[63:64], v[1:2], v[81:82], -v[63:64]
	v_add_f64 v[31:32], v[31:32], v[49:50]
	v_fma_f64 v[49:50], v[3:4], v[81:82], v[53:54]
	v_add_f64 v[9:10], v[9:10], v[37:38]
	ds_read_b128 v[1:4], v16 offset:1408
	s_waitcnt vmcnt(47) lgkmcnt(1)
	v_mul_f64 v[53:54], v[7:8], v[85:86]
	v_mul_f64 v[37:38], v[5:6], v[85:86]
	s_waitcnt vmcnt(45)
	v_fma_f64 v[55:56], v[27:28], v[59:60], -v[55:56]
	v_fma_f64 v[57:58], v[29:30], v[59:60], v[57:58]
	ds_read_b128 v[27:30], v16 offset:1424
	v_add_f64 v[31:32], v[31:32], v[63:64]
	v_add_f64 v[9:10], v[9:10], v[49:50]
	s_waitcnt vmcnt(41) lgkmcnt(1)
	v_mul_f64 v[59:60], v[3:4], v[61:62]
	s_waitcnt vmcnt(40)
	v_fma_f64 v[53:54], v[5:6], v[87:88], -v[53:54]
	v_mul_f64 v[49:50], v[1:2], v[61:62]
	v_fma_f64 v[37:38], v[7:8], v[87:88], v[37:38]
	ds_read_b128 v[5:8], v16 offset:1440
	v_add_f64 v[31:32], v[31:32], v[55:56]
	v_add_f64 v[9:10], v[9:10], v[57:58]
	s_waitcnt vmcnt(39) lgkmcnt(1)
	v_mul_f64 v[57:58], v[29:30], v[177:178]
	v_mul_f64 v[55:56], v[27:28], v[177:178]
	s_waitcnt vmcnt(37)
	v_fma_f64 v[59:60], v[1:2], v[71:72], -v[59:60]
	v_fma_f64 v[49:50], v[3:4], v[71:72], v[49:50]
	ds_read_b128 v[1:4], v16 offset:1456
	v_add_f64 v[31:32], v[31:32], v[53:54]
	v_add_f64 v[9:10], v[9:10], v[37:38]
	s_waitcnt vmcnt(33) lgkmcnt(1)
	v_mul_f64 v[53:54], v[7:8], v[73:74]
	s_waitcnt vmcnt(32)
	v_fma_f64 v[57:58], v[27:28], v[181:182], -v[57:58]
	v_mul_f64 v[37:38], v[5:6], v[73:74]
	v_fma_f64 v[55:56], v[29:30], v[181:182], v[55:56]
	ds_read_b128 v[27:30], v16 offset:1472
	v_add_f64 v[31:32], v[31:32], v[59:60]
	v_add_f64 v[9:10], v[9:10], v[49:50]
	;; [unrolled: 18-line block ×3, first 2 shown]
	s_waitcnt vmcnt(23) lgkmcnt(1)
	v_mul_f64 v[53:54], v[7:8], v[179:180]
	v_mul_f64 v[37:38], v[5:6], v[179:180]
	s_waitcnt vmcnt(21)
	v_fma_f64 v[57:58], v[27:28], v[39:40], -v[57:58]
	v_fma_f64 v[39:40], v[29:30], v[39:40], v[55:56]
	ds_read_b128 v[27:30], v16 offset:1520
	v_add_f64 v[31:32], v[31:32], v[59:60]
	v_add_f64 v[9:10], v[9:10], v[49:50]
	s_waitcnt vmcnt(17) lgkmcnt(1)
	v_mul_f64 v[49:50], v[1:2], v[45:46]
	v_mul_f64 v[45:46], v[3:4], v[45:46]
	s_waitcnt vmcnt(16)
	v_fma_f64 v[53:54], v[5:6], v[183:184], -v[53:54]
	v_fma_f64 v[37:38], v[7:8], v[183:184], v[37:38]
	ds_read_b128 v[5:8], v16 offset:1536
	v_add_f64 v[31:32], v[31:32], v[57:58]
	v_add_f64 v[9:10], v[9:10], v[39:40]
	;; [unrolled: 9-line block ×3, first 2 shown]
	s_waitcnt vmcnt(9) lgkmcnt(1)
	v_mul_f64 v[49:50], v[7:8], v[161:162]
	s_waitcnt vmcnt(8)
	v_fma_f64 v[27:28], v[27:28], v[188:189], -v[55:56]
	v_mul_f64 v[37:38], v[5:6], v[161:162]
	v_fma_f64 v[29:30], v[29:30], v[188:189], v[39:40]
	v_add_f64 v[31:32], v[31:32], v[45:46]
	v_add_f64 v[9:10], v[9:10], v[41:42]
	s_waitcnt vmcnt(7) lgkmcnt(0)
	v_mul_f64 v[41:42], v[3:4], v[163:164]
	v_mul_f64 v[39:40], v[1:2], v[163:164]
	s_waitcnt vmcnt(5)
	v_fma_f64 v[5:6], v[5:6], v[47:48], -v[49:50]
	v_fma_f64 v[7:8], v[7:8], v[47:48], v[37:38]
	v_add_f64 v[27:28], v[31:32], v[27:28]
	v_add_f64 v[9:10], v[9:10], v[29:30]
	s_waitcnt vmcnt(4)
	v_fma_f64 v[1:2], v[1:2], v[175:176], -v[41:42]
	v_fma_f64 v[3:4], v[3:4], v[175:176], v[39:40]
	v_add_f64 v[5:6], v[27:28], v[5:6]
	v_add_f64 v[7:8], v[9:10], v[7:8]
	;; [unrolled: 1-line block ×4, first 2 shown]
	s_waitcnt vmcnt(2)
	v_add_f64 v[1:2], v[43:44], -v[1:2]
	s_waitcnt vmcnt(0)
	v_add_f64 v[3:4], v[51:52], -v[3:4]
	buffer_store_dword v2, off, s[0:3], 0 offset:132
	buffer_store_dword v1, off, s[0:3], 0 offset:128
	;; [unrolled: 1-line block ×4, first 2 shown]
	v_cmpx_lt_u32_e32 6, v0
	s_cbranch_execz .LBB48_295
; %bb.294:
	v_mov_b32_e32 v4, s55
	s_clause 0x3
	buffer_load_dword v1, v4, s[0:3], 0 offen
	buffer_load_dword v2, v4, s[0:3], 0 offen offset:4
	buffer_load_dword v3, v4, s[0:3], 0 offen offset:8
	;; [unrolled: 1-line block ×3, first 2 shown]
	buffer_store_dword v16, off, s[0:3], 0 offset:112
	buffer_store_dword v16, off, s[0:3], 0 offset:116
	buffer_store_dword v16, off, s[0:3], 0 offset:120
	buffer_store_dword v16, off, s[0:3], 0 offset:124
	s_waitcnt vmcnt(0)
	ds_write_b128 v11, v[1:4]
.LBB48_295:
	s_or_b32 exec_lo, exec_lo, s4
	s_waitcnt lgkmcnt(0)
	s_waitcnt_vscnt null, 0x0
	s_barrier
	buffer_gl0_inv
	s_clause 0x37
	buffer_load_dword v9, off, s[0:3], 0 offset:136
	buffer_load_dword v10, off, s[0:3], 0 offset:140
	;; [unrolled: 1-line block ×56, first 2 shown]
	ds_read_b128 v[161:164], v16 offset:896
	s_clause 0x2
	buffer_load_dword v86, off, s[0:3], 0 offset:364
	buffer_load_dword v88, off, s[0:3], 0 offset:340
	;; [unrolled: 1-line block ×3, first 2 shown]
	ds_read_b128 v[165:168], v16 offset:912
	s_clause 0x4
	buffer_load_dword v176, off, s[0:3], 0 offset:380
	buffer_load_dword v177, off, s[0:3], 0 offset:392
	;; [unrolled: 1-line block ×5, first 2 shown]
	ds_read_b128 v[169:172], v16 offset:928
	s_clause 0x2
	buffer_load_dword v178, off, s[0:3], 0 offset:396
	buffer_load_dword v183, off, s[0:3], 0 offset:372
	;; [unrolled: 1-line block ×3, first 2 shown]
	s_mov_b32 s4, exec_lo
	s_waitcnt vmcnt(62) lgkmcnt(2)
	v_mul_f64 v[173:174], v[163:164], v[9:10]
	v_mul_f64 v[9:10], v[161:162], v[9:10]
	s_waitcnt lgkmcnt(1)
	v_mul_f64 v[180:181], v[167:168], v[5:6]
	s_waitcnt vmcnt(59) lgkmcnt(0)
	v_mul_f64 v[184:185], v[171:172], v[3:4]
	v_fma_f64 v[161:162], v[161:162], v[7:8], -v[173:174]
	v_mul_f64 v[173:174], v[165:166], v[5:6]
	v_fma_f64 v[9:10], v[163:164], v[7:8], v[9:10]
	s_waitcnt vmcnt(57)
	v_fma_f64 v[165:166], v[165:166], v[1:2], -v[180:181]
	ds_read_b128 v[5:8], v16 offset:944
	v_mul_f64 v[163:164], v[169:170], v[3:4]
	s_waitcnt vmcnt(51)
	v_fma_f64 v[169:170], v[169:170], v[45:46], -v[184:185]
	v_add_f64 v[161:162], v[161:162], 0
	v_fma_f64 v[167:168], v[167:168], v[1:2], v[173:174]
	v_add_f64 v[9:10], v[9:10], 0
	s_clause 0x4
	buffer_load_dword v174, off, s[0:3], 0 offset:412
	buffer_load_dword v186, off, s[0:3], 0 offset:424
	;; [unrolled: 1-line block ×5, first 2 shown]
	s_waitcnt lgkmcnt(0)
	v_mul_f64 v[189:190], v[5:6], v[29:30]
	v_mul_f64 v[29:30], v[7:8], v[29:30]
	ds_read_b128 v[1:4], v16 offset:960
	v_fma_f64 v[45:46], v[171:172], v[45:46], v[163:164]
	v_add_f64 v[165:166], v[161:162], v[165:166]
	v_add_f64 v[9:10], v[9:10], v[167:168]
	s_clause 0x2
	buffer_load_dword v187, off, s[0:3], 0 offset:428
	buffer_load_dword v168, off, s[0:3], 0 offset:404
	;; [unrolled: 1-line block ×3, first 2 shown]
	s_waitcnt vmcnt(58) lgkmcnt(0)
	v_mul_f64 v[171:172], v[1:2], v[37:38]
	v_mul_f64 v[37:38], v[3:4], v[37:38]
	s_waitcnt vmcnt(56)
	v_fma_f64 v[29:30], v[5:6], v[39:40], -v[29:30]
	ds_read_b128 v[161:164], v16 offset:976
	v_fma_f64 v[39:40], v[7:8], v[39:40], v[189:190]
	v_add_f64 v[165:166], v[165:166], v[169:170]
	v_add_f64 v[9:10], v[9:10], v[45:46]
	s_clause 0x4
	buffer_load_dword v46, off, s[0:3], 0 offset:444
	buffer_load_dword v169, off, s[0:3], 0 offset:456
	;; [unrolled: 1-line block ×5, first 2 shown]
	ds_read_b128 v[5:8], v16 offset:992
	s_waitcnt vmcnt(57) lgkmcnt(1)
	v_mul_f64 v[190:191], v[161:162], v[41:42]
	v_mul_f64 v[41:42], v[163:164], v[41:42]
	s_waitcnt vmcnt(56)
	v_fma_f64 v[37:38], v[1:2], v[27:28], -v[37:38]
	v_fma_f64 v[27:28], v[3:4], v[27:28], v[171:172]
	v_add_f64 v[29:30], v[165:166], v[29:30]
	v_add_f64 v[9:10], v[9:10], v[39:40]
	s_clause 0x2
	buffer_load_dword v170, off, s[0:3], 0 offset:460
	buffer_load_dword v40, off, s[0:3], 0 offset:436
	;; [unrolled: 1-line block ×3, first 2 shown]
	s_waitcnt vmcnt(58) lgkmcnt(0)
	v_mul_f64 v[165:166], v[5:6], v[47:48]
	v_mul_f64 v[47:48], v[7:8], v[47:48]
	s_waitcnt vmcnt(56)
	v_fma_f64 v[41:42], v[161:162], v[49:50], -v[41:42]
	ds_read_b128 v[1:4], v16 offset:1008
	v_fma_f64 v[49:50], v[163:164], v[49:50], v[190:191]
	s_clause 0x4
	buffer_load_dword v162, off, s[0:3], 0 offset:476
	buffer_load_dword v163, off, s[0:3], 0 offset:488
	;; [unrolled: 1-line block ×5, first 2 shown]
	v_add_f64 v[37:38], v[29:30], v[37:38]
	v_add_f64 v[9:10], v[9:10], v[27:28]
	ds_read_b128 v[27:30], v16 offset:1024
	s_waitcnt vmcnt(57) lgkmcnt(1)
	v_mul_f64 v[190:191], v[1:2], v[51:52]
	v_mul_f64 v[51:52], v[3:4], v[51:52]
	s_waitcnt vmcnt(56)
	v_fma_f64 v[47:48], v[5:6], v[31:32], -v[47:48]
	v_fma_f64 v[31:32], v[7:8], v[31:32], v[165:166]
	v_add_f64 v[37:38], v[37:38], v[41:42]
	s_clause 0x2
	buffer_load_dword v164, off, s[0:3], 0 offset:492
	buffer_load_dword v42, off, s[0:3], 0 offset:468
	;; [unrolled: 1-line block ×3, first 2 shown]
	v_add_f64 v[9:10], v[9:10], v[49:50]
	s_waitcnt vmcnt(58) lgkmcnt(0)
	v_mul_f64 v[49:50], v[27:28], v[55:56]
	v_mul_f64 v[55:56], v[29:30], v[55:56]
	ds_read_b128 v[5:8], v16 offset:1040
	s_waitcnt vmcnt(56)
	v_fma_f64 v[51:52], v[1:2], v[57:58], -v[51:52]
	v_add_f64 v[37:38], v[37:38], v[47:48]
	v_fma_f64 v[47:48], v[3:4], v[57:58], v[190:191]
	v_add_f64 v[9:10], v[9:10], v[31:32]
	s_clause 0x4
	buffer_load_dword v32, off, s[0:3], 0 offset:508
	buffer_load_dword v57, off, s[0:3], 0 offset:520
	;; [unrolled: 1-line block ×5, first 2 shown]
	s_waitcnt vmcnt(57) lgkmcnt(0)
	v_mul_f64 v[190:191], v[5:6], v[59:60]
	v_mul_f64 v[59:60], v[7:8], v[59:60]
	s_waitcnt vmcnt(56)
	v_fma_f64 v[55:56], v[27:28], v[43:44], -v[55:56]
	ds_read_b128 v[1:4], v16 offset:1056
	v_fma_f64 v[43:44], v[29:30], v[43:44], v[49:50]
	v_add_f64 v[37:38], v[37:38], v[51:52]
	v_add_f64 v[9:10], v[9:10], v[47:48]
	s_clause 0x2
	buffer_load_dword v58, off, s[0:3], 0 offset:524
	buffer_load_dword v48, off, s[0:3], 0 offset:500
	;; [unrolled: 1-line block ×3, first 2 shown]
	ds_read_b128 v[27:30], v16 offset:1072
	s_waitcnt vmcnt(58) lgkmcnt(1)
	v_mul_f64 v[51:52], v[3:4], v[63:64]
	s_waitcnt vmcnt(56)
	v_fma_f64 v[59:60], v[5:6], v[69:70], -v[59:60]
	v_mul_f64 v[49:50], v[1:2], v[63:64]
	v_add_f64 v[37:38], v[37:38], v[55:56]
	v_fma_f64 v[55:56], v[7:8], v[69:70], v[190:191]
	v_add_f64 v[9:10], v[9:10], v[43:44]
	s_clause 0x4
	buffer_load_dword v44, off, s[0:3], 0 offset:540
	buffer_load_dword v63, off, s[0:3], 0 offset:552
	;; [unrolled: 1-line block ×5, first 2 shown]
	s_waitcnt vmcnt(57) lgkmcnt(0)
	v_mul_f64 v[190:191], v[27:28], v[71:72]
	v_mul_f64 v[70:71], v[29:30], v[71:72]
	s_waitcnt vmcnt(56)
	v_fma_f64 v[51:52], v[1:2], v[53:54], -v[51:52]
	ds_read_b128 v[5:8], v16 offset:1088
	v_fma_f64 v[49:50], v[3:4], v[53:54], v[49:50]
	s_clause 0x2
	buffer_load_dword v64, off, s[0:3], 0 offset:556
	buffer_load_dword v54, off, s[0:3], 0 offset:532
	;; [unrolled: 1-line block ×3, first 2 shown]
	ds_read_b128 v[1:4], v16 offset:1104
	v_add_f64 v[37:38], v[37:38], v[59:60]
	v_add_f64 v[9:10], v[9:10], v[55:56]
	s_waitcnt vmcnt(58) lgkmcnt(1)
	v_mul_f64 v[59:60], v[7:8], v[75:76]
	s_waitcnt vmcnt(56)
	v_fma_f64 v[71:72], v[27:28], v[81:82], -v[70:71]
	v_mul_f64 v[55:56], v[5:6], v[75:76]
	v_add_f64 v[37:38], v[37:38], v[51:52]
	v_fma_f64 v[51:52], v[29:30], v[81:82], v[190:191]
	v_add_f64 v[9:10], v[9:10], v[49:50]
	s_clause 0x4
	buffer_load_dword v50, off, s[0:3], 0 offset:572
	buffer_load_dword v75, off, s[0:3], 0 offset:584
	;; [unrolled: 1-line block ×5, first 2 shown]
	s_waitcnt vmcnt(57) lgkmcnt(0)
	v_mul_f64 v[190:191], v[1:2], v[83:84]
	v_mul_f64 v[82:83], v[3:4], v[83:84]
	s_waitcnt vmcnt(56)
	v_fma_f64 v[59:60], v[5:6], v[61:62], -v[59:60]
	ds_read_b128 v[27:30], v16 offset:1120
	v_fma_f64 v[55:56], v[7:8], v[61:62], v[55:56]
	v_add_f64 v[37:38], v[37:38], v[71:72]
	v_add_f64 v[9:10], v[9:10], v[51:52]
	s_clause 0x2
	buffer_load_dword v76, off, s[0:3], 0 offset:588
	buffer_load_dword v52, off, s[0:3], 0 offset:564
	;; [unrolled: 1-line block ×3, first 2 shown]
	ds_read_b128 v[5:8], v16 offset:1136
	s_waitcnt vmcnt(58) lgkmcnt(1)
	v_mul_f64 v[71:72], v[29:30], v[85:86]
	s_waitcnt vmcnt(56)
	v_fma_f64 v[83:84], v[1:2], v[87:88], -v[82:83]
	v_mul_f64 v[61:62], v[27:28], v[85:86]
	v_add_f64 v[37:38], v[37:38], v[59:60]
	v_fma_f64 v[59:60], v[3:4], v[87:88], v[190:191]
	v_add_f64 v[9:10], v[9:10], v[55:56]
	s_clause 0x4
	buffer_load_dword v56, off, s[0:3], 0 offset:604
	buffer_load_dword v85, off, s[0:3], 0 offset:616
	;; [unrolled: 1-line block ×5, first 2 shown]
	s_waitcnt vmcnt(57) lgkmcnt(0)
	v_mul_f64 v[190:191], v[5:6], v[175:176]
	v_mul_f64 v[175:176], v[7:8], v[175:176]
	s_waitcnt vmcnt(56)
	v_fma_f64 v[71:72], v[27:28], v[73:74], -v[71:72]
	ds_read_b128 v[1:4], v16 offset:1152
	v_fma_f64 v[61:62], v[29:30], v[73:74], v[61:62]
	v_add_f64 v[37:38], v[37:38], v[83:84]
	v_add_f64 v[9:10], v[9:10], v[59:60]
	s_clause 0x2
	buffer_load_dword v86, off, s[0:3], 0 offset:620
	buffer_load_dword v60, off, s[0:3], 0 offset:596
	;; [unrolled: 1-line block ×3, first 2 shown]
	ds_read_b128 v[27:30], v16 offset:1168
	s_waitcnt vmcnt(58) lgkmcnt(1)
	v_mul_f64 v[83:84], v[3:4], v[177:178]
	s_waitcnt vmcnt(56)
	v_fma_f64 v[175:176], v[5:6], v[182:183], -v[175:176]
	v_mul_f64 v[73:74], v[1:2], v[177:178]
	v_add_f64 v[37:38], v[37:38], v[71:72]
	v_fma_f64 v[71:72], v[7:8], v[182:183], v[190:191]
	v_add_f64 v[9:10], v[9:10], v[61:62]
	s_clause 0x4
	buffer_load_dword v62, off, s[0:3], 0 offset:636
	buffer_load_dword v177, off, s[0:3], 0 offset:648
	;; [unrolled: 1-line block ×5, first 2 shown]
	ds_read_b128 v[5:8], v16 offset:1184
	s_waitcnt vmcnt(57) lgkmcnt(1)
	v_mul_f64 v[182:183], v[27:28], v[173:174]
	v_mul_f64 v[173:174], v[29:30], v[173:174]
	s_waitcnt vmcnt(56)
	v_fma_f64 v[83:84], v[1:2], v[179:180], -v[83:84]
	v_fma_f64 v[73:74], v[3:4], v[179:180], v[73:74]
	v_add_f64 v[37:38], v[37:38], v[175:176]
	v_add_f64 v[9:10], v[9:10], v[71:72]
	s_clause 0x2
	buffer_load_dword v178, off, s[0:3], 0 offset:652
	buffer_load_dword v72, off, s[0:3], 0 offset:628
	buffer_load_dword v71, off, s[0:3], 0 offset:624
	ds_read_b128 v[1:4], v16 offset:1200
	s_waitcnt vmcnt(58) lgkmcnt(1)
	v_mul_f64 v[179:180], v[7:8], v[186:187]
	v_mul_f64 v[175:176], v[5:6], v[186:187]
	s_waitcnt vmcnt(56)
	v_fma_f64 v[173:174], v[27:28], v[167:168], -v[173:174]
	v_add_f64 v[37:38], v[37:38], v[83:84]
	v_fma_f64 v[83:84], v[29:30], v[167:168], v[182:183]
	v_add_f64 v[9:10], v[9:10], v[73:74]
	s_clause 0x4
	buffer_load_dword v74, off, s[0:3], 0 offset:668
	buffer_load_dword v167, off, s[0:3], 0 offset:680
	;; [unrolled: 1-line block ×5, first 2 shown]
	ds_read_b128 v[27:30], v16 offset:1216
	s_waitcnt vmcnt(57) lgkmcnt(1)
	v_mul_f64 v[190:191], v[1:2], v[45:46]
	v_mul_f64 v[45:46], v[3:4], v[45:46]
	s_waitcnt vmcnt(56)
	v_fma_f64 v[179:180], v[5:6], v[188:189], -v[179:180]
	v_add_f64 v[37:38], v[37:38], v[173:174]
	v_fma_f64 v[173:174], v[7:8], v[188:189], v[175:176]
	v_add_f64 v[9:10], v[9:10], v[83:84]
	s_clause 0x2
	buffer_load_dword v168, off, s[0:3], 0 offset:684
	buffer_load_dword v84, off, s[0:3], 0 offset:660
	;; [unrolled: 1-line block ×3, first 2 shown]
	ds_read_b128 v[5:8], v16 offset:1232
	s_waitcnt vmcnt(58) lgkmcnt(1)
	v_mul_f64 v[175:176], v[27:28], v[169:170]
	v_mul_f64 v[169:170], v[29:30], v[169:170]
	s_waitcnt vmcnt(56)
	v_fma_f64 v[45:46], v[1:2], v[39:40], -v[45:46]
	v_fma_f64 v[39:40], v[3:4], v[39:40], v[190:191]
	v_add_f64 v[37:38], v[37:38], v[179:180]
	v_add_f64 v[9:10], v[9:10], v[173:174]
	s_clause 0x4
	buffer_load_dword v174, off, s[0:3], 0 offset:700
	buffer_load_dword v179, off, s[0:3], 0 offset:712
	;; [unrolled: 1-line block ×5, first 2 shown]
	s_waitcnt vmcnt(57) lgkmcnt(0)
	v_mul_f64 v[188:189], v[5:6], v[161:162]
	v_mul_f64 v[161:162], v[7:8], v[161:162]
	ds_read_b128 v[1:4], v16 offset:1248
	s_waitcnt vmcnt(56)
	v_fma_f64 v[169:170], v[27:28], v[184:185], -v[169:170]
	v_add_f64 v[37:38], v[37:38], v[45:46]
	v_fma_f64 v[45:46], v[29:30], v[184:185], v[175:176]
	v_add_f64 v[9:10], v[9:10], v[39:40]
	s_clause 0x2
	buffer_load_dword v180, off, s[0:3], 0 offset:716
	buffer_load_dword v40, off, s[0:3], 0 offset:692
	;; [unrolled: 1-line block ×3, first 2 shown]
	ds_read_b128 v[27:30], v16 offset:1264
	s_waitcnt vmcnt(58) lgkmcnt(1)
	v_mul_f64 v[175:176], v[1:2], v[163:164]
	v_mul_f64 v[163:164], v[3:4], v[163:164]
	s_waitcnt vmcnt(56)
	v_fma_f64 v[161:162], v[5:6], v[41:42], -v[161:162]
	v_fma_f64 v[41:42], v[7:8], v[41:42], v[188:189]
	v_add_f64 v[37:38], v[37:38], v[169:170]
	v_add_f64 v[9:10], v[9:10], v[45:46]
	s_clause 0x4
	buffer_load_dword v46, off, s[0:3], 0 offset:732
	buffer_load_dword v169, off, s[0:3], 0 offset:744
	;; [unrolled: 1-line block ×5, first 2 shown]
	ds_read_b128 v[5:8], v16 offset:1280
	s_waitcnt vmcnt(57) lgkmcnt(1)
	v_mul_f64 v[189:190], v[27:28], v[31:32]
	v_mul_f64 v[31:32], v[29:30], v[31:32]
	s_waitcnt vmcnt(56)
	v_fma_f64 v[163:164], v[1:2], v[171:172], -v[163:164]
	v_add_f64 v[37:38], v[37:38], v[161:162]
	v_fma_f64 v[161:162], v[3:4], v[171:172], v[175:176]
	v_add_f64 v[9:10], v[9:10], v[41:42]
	s_clause 0x2
	buffer_load_dword v170, off, s[0:3], 0 offset:748
	buffer_load_dword v42, off, s[0:3], 0 offset:724
	;; [unrolled: 1-line block ×3, first 2 shown]
	ds_read_b128 v[1:4], v16 offset:1296
	s_waitcnt vmcnt(58) lgkmcnt(1)
	v_mul_f64 v[171:172], v[5:6], v[57:58]
	v_mul_f64 v[57:58], v[7:8], v[57:58]
	s_waitcnt vmcnt(56)
	v_fma_f64 v[31:32], v[27:28], v[47:48], -v[31:32]
	v_fma_f64 v[47:48], v[29:30], v[47:48], v[189:190]
	v_add_f64 v[37:38], v[37:38], v[163:164]
	v_add_f64 v[9:10], v[9:10], v[161:162]
	s_clause 0x4
	buffer_load_dword v162, off, s[0:3], 0 offset:764
	buffer_load_dword v163, off, s[0:3], 0 offset:776
	;; [unrolled: 1-line block ×5, first 2 shown]
	ds_read_b128 v[27:30], v16 offset:1312
	s_waitcnt vmcnt(57) lgkmcnt(1)
	v_mul_f64 v[190:191], v[1:2], v[43:44]
	v_mul_f64 v[43:44], v[3:4], v[43:44]
	s_waitcnt vmcnt(56)
	v_fma_f64 v[57:58], v[5:6], v[165:166], -v[57:58]
	v_add_f64 v[31:32], v[37:38], v[31:32]
	v_fma_f64 v[37:38], v[7:8], v[165:166], v[171:172]
	v_add_f64 v[9:10], v[9:10], v[47:48]
	s_clause 0x2
	buffer_load_dword v164, off, s[0:3], 0 offset:780
	buffer_load_dword v48, off, s[0:3], 0 offset:756
	;; [unrolled: 1-line block ×3, first 2 shown]
	s_waitcnt vmcnt(58) lgkmcnt(0)
	v_mul_f64 v[165:166], v[27:28], v[63:64]
	v_mul_f64 v[63:64], v[29:30], v[63:64]
	ds_read_b128 v[5:8], v16 offset:1328
	s_waitcnt vmcnt(56)
	v_fma_f64 v[43:44], v[1:2], v[53:54], -v[43:44]
	v_fma_f64 v[53:54], v[3:4], v[53:54], v[190:191]
	v_add_f64 v[31:32], v[31:32], v[57:58]
	v_add_f64 v[9:10], v[9:10], v[37:38]
	s_clause 0x2
	buffer_load_dword v38, off, s[0:3], 0 offset:796
	buffer_load_dword v37, off, s[0:3], 0 offset:792
	;; [unrolled: 1-line block ×3, first 2 shown]
	ds_read_b128 v[1:4], v16 offset:1344
	s_waitcnt vmcnt(55) lgkmcnt(1)
	v_mul_f64 v[57:58], v[5:6], v[49:50]
	v_mul_f64 v[49:50], v[7:8], v[49:50]
	s_waitcnt vmcnt(54)
	v_fma_f64 v[63:64], v[27:28], v[69:70], -v[63:64]
	v_add_f64 v[31:32], v[31:32], v[43:44]
	v_fma_f64 v[43:44], v[29:30], v[69:70], v[165:166]
	v_add_f64 v[9:10], v[9:10], v[53:54]
	s_clause 0x1
	buffer_load_dword v54, off, s[0:3], 0 offset:788
	buffer_load_dword v53, off, s[0:3], 0 offset:784
	ds_read_b128 v[27:30], v16 offset:1360
	s_waitcnt vmcnt(55) lgkmcnt(1)
	v_mul_f64 v[69:70], v[1:2], v[75:76]
	v_mul_f64 v[75:76], v[3:4], v[75:76]
	s_waitcnt vmcnt(53)
	v_fma_f64 v[49:50], v[5:6], v[51:52], -v[49:50]
	v_fma_f64 v[51:52], v[7:8], v[51:52], v[57:58]
	ds_read_b128 v[5:8], v16 offset:1376
	v_add_f64 v[31:32], v[31:32], v[63:64]
	v_add_f64 v[9:10], v[9:10], v[43:44]
	s_waitcnt vmcnt(49) lgkmcnt(1)
	v_mul_f64 v[43:44], v[27:28], v[55:56]
	v_mul_f64 v[55:56], v[29:30], v[55:56]
	s_waitcnt vmcnt(48)
	v_fma_f64 v[57:58], v[1:2], v[81:82], -v[75:76]
	v_add_f64 v[31:32], v[31:32], v[49:50]
	v_fma_f64 v[49:50], v[3:4], v[81:82], v[69:70]
	v_add_f64 v[9:10], v[9:10], v[51:52]
	s_clause 0x3
	buffer_load_dword v51, off, s[0:3], 0 offset:112
	buffer_load_dword v52, off, s[0:3], 0 offset:116
	;; [unrolled: 1-line block ×4, first 2 shown]
	ds_read_b128 v[1:4], v16 offset:1392
	s_waitcnt vmcnt(51) lgkmcnt(1)
	v_mul_f64 v[75:76], v[7:8], v[85:86]
	v_mul_f64 v[69:70], v[5:6], v[85:86]
	s_waitcnt vmcnt(49)
	v_fma_f64 v[55:56], v[27:28], v[59:60], -v[55:56]
	v_fma_f64 v[43:44], v[29:30], v[59:60], v[43:44]
	ds_read_b128 v[27:30], v16 offset:1408
	v_add_f64 v[31:32], v[31:32], v[57:58]
	v_add_f64 v[9:10], v[9:10], v[49:50]
	s_waitcnt vmcnt(45) lgkmcnt(1)
	v_mul_f64 v[57:58], v[3:4], v[61:62]
	s_waitcnt vmcnt(44)
	v_fma_f64 v[59:60], v[5:6], v[87:88], -v[75:76]
	v_mul_f64 v[49:50], v[1:2], v[61:62]
	v_add_f64 v[31:32], v[31:32], v[55:56]
	v_fma_f64 v[55:56], v[7:8], v[87:88], v[69:70]
	v_add_f64 v[9:10], v[9:10], v[43:44]
	ds_read_b128 v[5:8], v16 offset:1424
	s_waitcnt vmcnt(43) lgkmcnt(1)
	v_mul_f64 v[61:62], v[29:30], v[177:178]
	v_mul_f64 v[43:44], v[27:28], v[177:178]
	s_waitcnt vmcnt(41)
	v_fma_f64 v[57:58], v[1:2], v[71:72], -v[57:58]
	v_fma_f64 v[49:50], v[3:4], v[71:72], v[49:50]
	ds_read_b128 v[1:4], v16 offset:1440
	v_add_f64 v[31:32], v[31:32], v[59:60]
	v_add_f64 v[9:10], v[9:10], v[55:56]
	s_waitcnt vmcnt(37) lgkmcnt(1)
	v_mul_f64 v[59:60], v[7:8], v[73:74]
	s_waitcnt vmcnt(36)
	v_fma_f64 v[61:62], v[27:28], v[181:182], -v[61:62]
	v_mul_f64 v[55:56], v[5:6], v[73:74]
	v_fma_f64 v[43:44], v[29:30], v[181:182], v[43:44]
	ds_read_b128 v[27:30], v16 offset:1456
	v_add_f64 v[31:32], v[31:32], v[57:58]
	v_add_f64 v[9:10], v[9:10], v[49:50]
	s_waitcnt vmcnt(35) lgkmcnt(1)
	v_mul_f64 v[57:58], v[3:4], v[167:168]
	v_mul_f64 v[49:50], v[1:2], v[167:168]
	s_waitcnt vmcnt(33)
	v_fma_f64 v[59:60], v[5:6], v[83:84], -v[59:60]
	v_fma_f64 v[55:56], v[7:8], v[83:84], v[55:56]
	ds_read_b128 v[5:8], v16 offset:1472
	v_add_f64 v[31:32], v[31:32], v[61:62]
	v_add_f64 v[9:10], v[9:10], v[43:44]
	s_waitcnt vmcnt(29) lgkmcnt(1)
	v_mul_f64 v[61:62], v[29:30], v[173:174]
	s_waitcnt vmcnt(28)
	v_fma_f64 v[57:58], v[1:2], v[186:187], -v[57:58]
	v_mul_f64 v[43:44], v[27:28], v[173:174]
	v_fma_f64 v[49:50], v[3:4], v[186:187], v[49:50]
	ds_read_b128 v[1:4], v16 offset:1488
	v_add_f64 v[31:32], v[31:32], v[59:60]
	v_add_f64 v[9:10], v[9:10], v[55:56]
	s_waitcnt vmcnt(27) lgkmcnt(1)
	v_mul_f64 v[59:60], v[7:8], v[179:180]
	v_mul_f64 v[55:56], v[5:6], v[179:180]
	s_waitcnt vmcnt(25)
	v_fma_f64 v[61:62], v[27:28], v[39:40], -v[61:62]
	v_fma_f64 v[39:40], v[29:30], v[39:40], v[43:44]
	ds_read_b128 v[27:30], v16 offset:1504
	v_add_f64 v[31:32], v[31:32], v[57:58]
	v_add_f64 v[9:10], v[9:10], v[49:50]
	s_waitcnt vmcnt(21) lgkmcnt(1)
	v_mul_f64 v[43:44], v[1:2], v[45:46]
	v_mul_f64 v[45:46], v[3:4], v[45:46]
	s_waitcnt vmcnt(20)
	v_fma_f64 v[49:50], v[5:6], v[183:184], -v[59:60]
	;; [unrolled: 9-line block ×3, first 2 shown]
	v_fma_f64 v[41:42], v[3:4], v[41:42], v[43:44]
	ds_read_b128 v[1:4], v16 offset:1536
	v_add_f64 v[31:32], v[31:32], v[49:50]
	v_add_f64 v[9:10], v[9:10], v[55:56]
	s_waitcnt vmcnt(13) lgkmcnt(1)
	v_mul_f64 v[49:50], v[7:8], v[161:162]
	s_waitcnt vmcnt(12)
	v_fma_f64 v[55:56], v[27:28], v[188:189], -v[57:58]
	v_mul_f64 v[43:44], v[5:6], v[161:162]
	v_fma_f64 v[39:40], v[29:30], v[188:189], v[39:40]
	ds_read_b128 v[27:30], v16 offset:1552
	v_add_f64 v[31:32], v[31:32], v[45:46]
	v_add_f64 v[9:10], v[9:10], v[41:42]
	s_waitcnt vmcnt(11) lgkmcnt(1)
	v_mul_f64 v[45:46], v[3:4], v[163:164]
	v_mul_f64 v[41:42], v[1:2], v[163:164]
	s_waitcnt vmcnt(9)
	v_fma_f64 v[5:6], v[5:6], v[47:48], -v[49:50]
	v_fma_f64 v[7:8], v[7:8], v[47:48], v[43:44]
	v_add_f64 v[31:32], v[31:32], v[55:56]
	v_add_f64 v[9:10], v[9:10], v[39:40]
	s_waitcnt vmcnt(7) lgkmcnt(0)
	v_mul_f64 v[39:40], v[27:28], v[37:38]
	v_mul_f64 v[37:38], v[29:30], v[37:38]
	s_waitcnt vmcnt(6)
	v_fma_f64 v[1:2], v[1:2], v[175:176], -v[45:46]
	v_fma_f64 v[3:4], v[3:4], v[175:176], v[41:42]
	v_add_f64 v[5:6], v[31:32], v[5:6]
	v_add_f64 v[7:8], v[9:10], v[7:8]
	s_waitcnt vmcnt(4)
	v_fma_f64 v[9:10], v[27:28], v[53:54], -v[37:38]
	v_add_f64 v[1:2], v[5:6], v[1:2]
	v_fma_f64 v[5:6], v[29:30], v[53:54], v[39:40]
	v_add_f64 v[3:4], v[7:8], v[3:4]
	v_add_f64 v[1:2], v[1:2], v[9:10]
	v_add_f64 v[3:4], v[3:4], v[5:6]
	s_waitcnt vmcnt(2)
	v_add_f64 v[1:2], v[51:52], -v[1:2]
	s_waitcnt vmcnt(0)
	v_add_f64 v[3:4], v[63:64], -v[3:4]
	buffer_store_dword v2, off, s[0:3], 0 offset:116
	buffer_store_dword v1, off, s[0:3], 0 offset:112
	;; [unrolled: 1-line block ×4, first 2 shown]
	v_cmpx_lt_u32_e32 5, v0
	s_cbranch_execz .LBB48_297
; %bb.296:
	v_mov_b32_e32 v4, s56
	v_mov_b32_e32 v5, 0
	s_clause 0x3
	buffer_load_dword v1, v4, s[0:3], 0 offen
	buffer_load_dword v2, v4, s[0:3], 0 offen offset:4
	buffer_load_dword v3, v4, s[0:3], 0 offen offset:8
	;; [unrolled: 1-line block ×3, first 2 shown]
	buffer_store_dword v5, off, s[0:3], 0 offset:96
	buffer_store_dword v5, off, s[0:3], 0 offset:100
	;; [unrolled: 1-line block ×4, first 2 shown]
	s_waitcnt vmcnt(0)
	ds_write_b128 v11, v[1:4]
.LBB48_297:
	s_or_b32 exec_lo, exec_lo, s4
	s_waitcnt lgkmcnt(0)
	s_waitcnt_vscnt null, 0x0
	s_barrier
	buffer_gl0_inv
	s_clause 0x37
	buffer_load_dword v9, off, s[0:3], 0 offset:120
	buffer_load_dword v10, off, s[0:3], 0 offset:124
	;; [unrolled: 1-line block ×56, first 2 shown]
	v_mov_b32_e32 v16, 0
	s_mov_b32 s4, exec_lo
	ds_read_b128 v[161:164], v16 offset:880
	s_clause 0x2
	buffer_load_dword v86, off, s[0:3], 0 offset:348
	buffer_load_dword v88, off, s[0:3], 0 offset:324
	;; [unrolled: 1-line block ×3, first 2 shown]
	ds_read_b128 v[165:168], v16 offset:896
	s_clause 0x4
	buffer_load_dword v176, off, s[0:3], 0 offset:364
	buffer_load_dword v177, off, s[0:3], 0 offset:376
	;; [unrolled: 1-line block ×5, first 2 shown]
	ds_read_b128 v[169:172], v16 offset:912
	s_clause 0x2
	buffer_load_dword v178, off, s[0:3], 0 offset:380
	buffer_load_dword v183, off, s[0:3], 0 offset:356
	;; [unrolled: 1-line block ×3, first 2 shown]
	s_waitcnt vmcnt(62) lgkmcnt(2)
	v_mul_f64 v[173:174], v[163:164], v[9:10]
	v_mul_f64 v[9:10], v[161:162], v[9:10]
	s_waitcnt lgkmcnt(1)
	v_mul_f64 v[180:181], v[167:168], v[5:6]
	s_waitcnt vmcnt(59) lgkmcnt(0)
	v_mul_f64 v[184:185], v[171:172], v[3:4]
	v_fma_f64 v[161:162], v[161:162], v[7:8], -v[173:174]
	v_mul_f64 v[173:174], v[165:166], v[5:6]
	v_fma_f64 v[9:10], v[163:164], v[7:8], v[9:10]
	s_waitcnt vmcnt(57)
	v_fma_f64 v[165:166], v[165:166], v[1:2], -v[180:181]
	ds_read_b128 v[5:8], v16 offset:928
	v_mul_f64 v[163:164], v[169:170], v[3:4]
	s_waitcnt vmcnt(51)
	v_fma_f64 v[169:170], v[169:170], v[45:46], -v[184:185]
	v_add_f64 v[161:162], v[161:162], 0
	v_fma_f64 v[167:168], v[167:168], v[1:2], v[173:174]
	v_add_f64 v[9:10], v[9:10], 0
	s_clause 0x4
	buffer_load_dword v174, off, s[0:3], 0 offset:396
	buffer_load_dword v186, off, s[0:3], 0 offset:408
	;; [unrolled: 1-line block ×5, first 2 shown]
	s_waitcnt lgkmcnt(0)
	v_mul_f64 v[189:190], v[5:6], v[29:30]
	v_mul_f64 v[29:30], v[7:8], v[29:30]
	ds_read_b128 v[1:4], v16 offset:944
	v_fma_f64 v[45:46], v[171:172], v[45:46], v[163:164]
	v_add_f64 v[165:166], v[161:162], v[165:166]
	v_add_f64 v[9:10], v[9:10], v[167:168]
	s_clause 0x2
	buffer_load_dword v187, off, s[0:3], 0 offset:412
	buffer_load_dword v168, off, s[0:3], 0 offset:388
	;; [unrolled: 1-line block ×3, first 2 shown]
	s_waitcnt vmcnt(58) lgkmcnt(0)
	v_mul_f64 v[171:172], v[1:2], v[37:38]
	v_mul_f64 v[37:38], v[3:4], v[37:38]
	s_waitcnt vmcnt(56)
	v_fma_f64 v[29:30], v[5:6], v[39:40], -v[29:30]
	ds_read_b128 v[161:164], v16 offset:960
	v_fma_f64 v[39:40], v[7:8], v[39:40], v[189:190]
	v_add_f64 v[165:166], v[165:166], v[169:170]
	v_add_f64 v[9:10], v[9:10], v[45:46]
	s_clause 0x4
	buffer_load_dword v46, off, s[0:3], 0 offset:428
	buffer_load_dword v169, off, s[0:3], 0 offset:440
	;; [unrolled: 1-line block ×5, first 2 shown]
	ds_read_b128 v[5:8], v16 offset:976
	s_waitcnt vmcnt(57) lgkmcnt(1)
	v_mul_f64 v[190:191], v[161:162], v[41:42]
	v_mul_f64 v[41:42], v[163:164], v[41:42]
	s_waitcnt vmcnt(56)
	v_fma_f64 v[37:38], v[1:2], v[27:28], -v[37:38]
	v_fma_f64 v[27:28], v[3:4], v[27:28], v[171:172]
	v_add_f64 v[29:30], v[165:166], v[29:30]
	v_add_f64 v[9:10], v[9:10], v[39:40]
	s_clause 0x2
	buffer_load_dword v170, off, s[0:3], 0 offset:444
	buffer_load_dword v40, off, s[0:3], 0 offset:420
	;; [unrolled: 1-line block ×3, first 2 shown]
	s_waitcnt vmcnt(58) lgkmcnt(0)
	v_mul_f64 v[165:166], v[5:6], v[47:48]
	v_mul_f64 v[47:48], v[7:8], v[47:48]
	s_waitcnt vmcnt(56)
	v_fma_f64 v[41:42], v[161:162], v[49:50], -v[41:42]
	ds_read_b128 v[1:4], v16 offset:992
	v_fma_f64 v[49:50], v[163:164], v[49:50], v[190:191]
	s_clause 0x4
	buffer_load_dword v162, off, s[0:3], 0 offset:460
	buffer_load_dword v163, off, s[0:3], 0 offset:472
	;; [unrolled: 1-line block ×5, first 2 shown]
	v_add_f64 v[37:38], v[29:30], v[37:38]
	v_add_f64 v[9:10], v[9:10], v[27:28]
	ds_read_b128 v[27:30], v16 offset:1008
	s_waitcnt vmcnt(57) lgkmcnt(1)
	v_mul_f64 v[190:191], v[1:2], v[51:52]
	v_mul_f64 v[51:52], v[3:4], v[51:52]
	s_waitcnt vmcnt(56)
	v_fma_f64 v[47:48], v[5:6], v[31:32], -v[47:48]
	v_fma_f64 v[31:32], v[7:8], v[31:32], v[165:166]
	v_add_f64 v[37:38], v[37:38], v[41:42]
	s_clause 0x2
	buffer_load_dword v164, off, s[0:3], 0 offset:476
	buffer_load_dword v42, off, s[0:3], 0 offset:452
	;; [unrolled: 1-line block ×3, first 2 shown]
	v_add_f64 v[9:10], v[9:10], v[49:50]
	s_waitcnt vmcnt(58) lgkmcnt(0)
	v_mul_f64 v[49:50], v[27:28], v[55:56]
	v_mul_f64 v[55:56], v[29:30], v[55:56]
	ds_read_b128 v[5:8], v16 offset:1024
	s_waitcnt vmcnt(56)
	v_fma_f64 v[51:52], v[1:2], v[57:58], -v[51:52]
	v_add_f64 v[37:38], v[37:38], v[47:48]
	v_fma_f64 v[47:48], v[3:4], v[57:58], v[190:191]
	v_add_f64 v[9:10], v[9:10], v[31:32]
	s_clause 0x4
	buffer_load_dword v32, off, s[0:3], 0 offset:492
	buffer_load_dword v57, off, s[0:3], 0 offset:504
	;; [unrolled: 1-line block ×5, first 2 shown]
	s_waitcnt vmcnt(57) lgkmcnt(0)
	v_mul_f64 v[190:191], v[5:6], v[59:60]
	v_mul_f64 v[59:60], v[7:8], v[59:60]
	s_waitcnt vmcnt(56)
	v_fma_f64 v[55:56], v[27:28], v[43:44], -v[55:56]
	ds_read_b128 v[1:4], v16 offset:1040
	v_fma_f64 v[43:44], v[29:30], v[43:44], v[49:50]
	v_add_f64 v[37:38], v[37:38], v[51:52]
	v_add_f64 v[9:10], v[9:10], v[47:48]
	s_clause 0x2
	buffer_load_dword v58, off, s[0:3], 0 offset:508
	buffer_load_dword v48, off, s[0:3], 0 offset:484
	;; [unrolled: 1-line block ×3, first 2 shown]
	ds_read_b128 v[27:30], v16 offset:1056
	s_waitcnt vmcnt(58) lgkmcnt(1)
	v_mul_f64 v[51:52], v[3:4], v[63:64]
	s_waitcnt vmcnt(56)
	v_fma_f64 v[59:60], v[5:6], v[69:70], -v[59:60]
	v_mul_f64 v[49:50], v[1:2], v[63:64]
	v_add_f64 v[37:38], v[37:38], v[55:56]
	v_fma_f64 v[55:56], v[7:8], v[69:70], v[190:191]
	v_add_f64 v[9:10], v[9:10], v[43:44]
	s_clause 0x4
	buffer_load_dword v44, off, s[0:3], 0 offset:524
	buffer_load_dword v63, off, s[0:3], 0 offset:536
	;; [unrolled: 1-line block ×5, first 2 shown]
	s_waitcnt vmcnt(57) lgkmcnt(0)
	v_mul_f64 v[190:191], v[27:28], v[71:72]
	v_mul_f64 v[70:71], v[29:30], v[71:72]
	s_waitcnt vmcnt(56)
	v_fma_f64 v[51:52], v[1:2], v[53:54], -v[51:52]
	ds_read_b128 v[5:8], v16 offset:1072
	v_fma_f64 v[49:50], v[3:4], v[53:54], v[49:50]
	s_clause 0x2
	buffer_load_dword v64, off, s[0:3], 0 offset:540
	buffer_load_dword v54, off, s[0:3], 0 offset:516
	;; [unrolled: 1-line block ×3, first 2 shown]
	ds_read_b128 v[1:4], v16 offset:1088
	v_add_f64 v[37:38], v[37:38], v[59:60]
	v_add_f64 v[9:10], v[9:10], v[55:56]
	s_waitcnt vmcnt(58) lgkmcnt(1)
	v_mul_f64 v[59:60], v[7:8], v[75:76]
	s_waitcnt vmcnt(56)
	v_fma_f64 v[71:72], v[27:28], v[81:82], -v[70:71]
	v_mul_f64 v[55:56], v[5:6], v[75:76]
	v_add_f64 v[37:38], v[37:38], v[51:52]
	v_fma_f64 v[51:52], v[29:30], v[81:82], v[190:191]
	v_add_f64 v[9:10], v[9:10], v[49:50]
	s_clause 0x4
	buffer_load_dword v50, off, s[0:3], 0 offset:556
	buffer_load_dword v75, off, s[0:3], 0 offset:568
	;; [unrolled: 1-line block ×5, first 2 shown]
	s_waitcnt vmcnt(57) lgkmcnt(0)
	v_mul_f64 v[190:191], v[1:2], v[83:84]
	v_mul_f64 v[82:83], v[3:4], v[83:84]
	s_waitcnt vmcnt(56)
	v_fma_f64 v[59:60], v[5:6], v[61:62], -v[59:60]
	ds_read_b128 v[27:30], v16 offset:1104
	v_fma_f64 v[55:56], v[7:8], v[61:62], v[55:56]
	v_add_f64 v[37:38], v[37:38], v[71:72]
	v_add_f64 v[9:10], v[9:10], v[51:52]
	s_clause 0x2
	buffer_load_dword v76, off, s[0:3], 0 offset:572
	buffer_load_dword v52, off, s[0:3], 0 offset:548
	;; [unrolled: 1-line block ×3, first 2 shown]
	ds_read_b128 v[5:8], v16 offset:1120
	s_waitcnt vmcnt(58) lgkmcnt(1)
	v_mul_f64 v[71:72], v[29:30], v[85:86]
	s_waitcnt vmcnt(56)
	v_fma_f64 v[83:84], v[1:2], v[87:88], -v[82:83]
	v_mul_f64 v[61:62], v[27:28], v[85:86]
	v_add_f64 v[37:38], v[37:38], v[59:60]
	v_fma_f64 v[59:60], v[3:4], v[87:88], v[190:191]
	v_add_f64 v[9:10], v[9:10], v[55:56]
	s_clause 0x4
	buffer_load_dword v56, off, s[0:3], 0 offset:588
	buffer_load_dword v85, off, s[0:3], 0 offset:600
	;; [unrolled: 1-line block ×5, first 2 shown]
	s_waitcnt vmcnt(57) lgkmcnt(0)
	v_mul_f64 v[190:191], v[5:6], v[175:176]
	v_mul_f64 v[175:176], v[7:8], v[175:176]
	s_waitcnt vmcnt(56)
	v_fma_f64 v[71:72], v[27:28], v[73:74], -v[71:72]
	ds_read_b128 v[1:4], v16 offset:1136
	v_fma_f64 v[61:62], v[29:30], v[73:74], v[61:62]
	v_add_f64 v[37:38], v[37:38], v[83:84]
	v_add_f64 v[9:10], v[9:10], v[59:60]
	s_clause 0x2
	buffer_load_dword v86, off, s[0:3], 0 offset:604
	buffer_load_dword v60, off, s[0:3], 0 offset:580
	;; [unrolled: 1-line block ×3, first 2 shown]
	ds_read_b128 v[27:30], v16 offset:1152
	s_waitcnt vmcnt(58) lgkmcnt(1)
	v_mul_f64 v[83:84], v[3:4], v[177:178]
	s_waitcnt vmcnt(56)
	v_fma_f64 v[175:176], v[5:6], v[182:183], -v[175:176]
	v_mul_f64 v[73:74], v[1:2], v[177:178]
	v_add_f64 v[37:38], v[37:38], v[71:72]
	v_fma_f64 v[71:72], v[7:8], v[182:183], v[190:191]
	v_add_f64 v[9:10], v[9:10], v[61:62]
	s_clause 0x4
	buffer_load_dword v62, off, s[0:3], 0 offset:620
	buffer_load_dword v177, off, s[0:3], 0 offset:632
	;; [unrolled: 1-line block ×5, first 2 shown]
	ds_read_b128 v[5:8], v16 offset:1168
	s_waitcnt vmcnt(57) lgkmcnt(1)
	v_mul_f64 v[182:183], v[27:28], v[173:174]
	v_mul_f64 v[173:174], v[29:30], v[173:174]
	s_waitcnt vmcnt(56)
	v_fma_f64 v[83:84], v[1:2], v[179:180], -v[83:84]
	v_fma_f64 v[73:74], v[3:4], v[179:180], v[73:74]
	v_add_f64 v[37:38], v[37:38], v[175:176]
	v_add_f64 v[9:10], v[9:10], v[71:72]
	s_clause 0x2
	buffer_load_dword v178, off, s[0:3], 0 offset:636
	buffer_load_dword v72, off, s[0:3], 0 offset:612
	;; [unrolled: 1-line block ×3, first 2 shown]
	ds_read_b128 v[1:4], v16 offset:1184
	s_waitcnt vmcnt(58) lgkmcnt(1)
	v_mul_f64 v[179:180], v[7:8], v[186:187]
	v_mul_f64 v[175:176], v[5:6], v[186:187]
	s_waitcnt vmcnt(56)
	v_fma_f64 v[173:174], v[27:28], v[167:168], -v[173:174]
	v_add_f64 v[37:38], v[37:38], v[83:84]
	v_fma_f64 v[83:84], v[29:30], v[167:168], v[182:183]
	v_add_f64 v[9:10], v[9:10], v[73:74]
	s_clause 0x4
	buffer_load_dword v74, off, s[0:3], 0 offset:652
	buffer_load_dword v167, off, s[0:3], 0 offset:664
	;; [unrolled: 1-line block ×5, first 2 shown]
	ds_read_b128 v[27:30], v16 offset:1200
	s_waitcnt vmcnt(57) lgkmcnt(1)
	v_mul_f64 v[190:191], v[1:2], v[45:46]
	v_mul_f64 v[45:46], v[3:4], v[45:46]
	s_waitcnt vmcnt(56)
	v_fma_f64 v[179:180], v[5:6], v[188:189], -v[179:180]
	v_add_f64 v[37:38], v[37:38], v[173:174]
	v_fma_f64 v[173:174], v[7:8], v[188:189], v[175:176]
	v_add_f64 v[9:10], v[9:10], v[83:84]
	s_clause 0x2
	buffer_load_dword v168, off, s[0:3], 0 offset:668
	buffer_load_dword v84, off, s[0:3], 0 offset:644
	;; [unrolled: 1-line block ×3, first 2 shown]
	ds_read_b128 v[5:8], v16 offset:1216
	s_waitcnt vmcnt(58) lgkmcnt(1)
	v_mul_f64 v[175:176], v[27:28], v[169:170]
	v_mul_f64 v[169:170], v[29:30], v[169:170]
	s_waitcnt vmcnt(56)
	v_fma_f64 v[45:46], v[1:2], v[39:40], -v[45:46]
	v_fma_f64 v[39:40], v[3:4], v[39:40], v[190:191]
	v_add_f64 v[37:38], v[37:38], v[179:180]
	v_add_f64 v[9:10], v[9:10], v[173:174]
	s_clause 0x4
	buffer_load_dword v174, off, s[0:3], 0 offset:684
	buffer_load_dword v179, off, s[0:3], 0 offset:696
	;; [unrolled: 1-line block ×5, first 2 shown]
	s_waitcnt vmcnt(57) lgkmcnt(0)
	v_mul_f64 v[188:189], v[5:6], v[161:162]
	v_mul_f64 v[161:162], v[7:8], v[161:162]
	ds_read_b128 v[1:4], v16 offset:1232
	s_waitcnt vmcnt(56)
	v_fma_f64 v[169:170], v[27:28], v[184:185], -v[169:170]
	v_add_f64 v[37:38], v[37:38], v[45:46]
	v_fma_f64 v[45:46], v[29:30], v[184:185], v[175:176]
	v_add_f64 v[9:10], v[9:10], v[39:40]
	s_clause 0x2
	buffer_load_dword v180, off, s[0:3], 0 offset:700
	buffer_load_dword v40, off, s[0:3], 0 offset:676
	;; [unrolled: 1-line block ×3, first 2 shown]
	ds_read_b128 v[27:30], v16 offset:1248
	s_waitcnt vmcnt(58) lgkmcnt(1)
	v_mul_f64 v[175:176], v[1:2], v[163:164]
	v_mul_f64 v[163:164], v[3:4], v[163:164]
	s_waitcnt vmcnt(56)
	v_fma_f64 v[161:162], v[5:6], v[41:42], -v[161:162]
	v_fma_f64 v[41:42], v[7:8], v[41:42], v[188:189]
	v_add_f64 v[37:38], v[37:38], v[169:170]
	v_add_f64 v[9:10], v[9:10], v[45:46]
	s_clause 0x4
	buffer_load_dword v46, off, s[0:3], 0 offset:716
	buffer_load_dword v169, off, s[0:3], 0 offset:728
	;; [unrolled: 1-line block ×5, first 2 shown]
	ds_read_b128 v[5:8], v16 offset:1264
	s_waitcnt vmcnt(57) lgkmcnt(1)
	v_mul_f64 v[189:190], v[27:28], v[31:32]
	v_mul_f64 v[31:32], v[29:30], v[31:32]
	s_waitcnt vmcnt(56)
	v_fma_f64 v[163:164], v[1:2], v[171:172], -v[163:164]
	v_add_f64 v[37:38], v[37:38], v[161:162]
	v_fma_f64 v[161:162], v[3:4], v[171:172], v[175:176]
	v_add_f64 v[9:10], v[9:10], v[41:42]
	s_clause 0x2
	buffer_load_dword v170, off, s[0:3], 0 offset:732
	buffer_load_dword v42, off, s[0:3], 0 offset:708
	;; [unrolled: 1-line block ×3, first 2 shown]
	ds_read_b128 v[1:4], v16 offset:1280
	s_waitcnt vmcnt(58) lgkmcnt(1)
	v_mul_f64 v[171:172], v[5:6], v[57:58]
	v_mul_f64 v[57:58], v[7:8], v[57:58]
	s_waitcnt vmcnt(56)
	v_fma_f64 v[31:32], v[27:28], v[47:48], -v[31:32]
	v_fma_f64 v[47:48], v[29:30], v[47:48], v[189:190]
	v_add_f64 v[37:38], v[37:38], v[163:164]
	v_add_f64 v[9:10], v[9:10], v[161:162]
	s_clause 0x4
	buffer_load_dword v162, off, s[0:3], 0 offset:748
	buffer_load_dword v163, off, s[0:3], 0 offset:760
	;; [unrolled: 1-line block ×5, first 2 shown]
	ds_read_b128 v[27:30], v16 offset:1296
	s_waitcnt vmcnt(57) lgkmcnt(1)
	v_mul_f64 v[190:191], v[1:2], v[43:44]
	v_mul_f64 v[43:44], v[3:4], v[43:44]
	s_waitcnt vmcnt(56)
	v_fma_f64 v[57:58], v[5:6], v[165:166], -v[57:58]
	v_add_f64 v[31:32], v[37:38], v[31:32]
	v_fma_f64 v[37:38], v[7:8], v[165:166], v[171:172]
	v_add_f64 v[9:10], v[9:10], v[47:48]
	s_clause 0x2
	buffer_load_dword v164, off, s[0:3], 0 offset:764
	buffer_load_dword v48, off, s[0:3], 0 offset:740
	;; [unrolled: 1-line block ×3, first 2 shown]
	s_waitcnt vmcnt(58) lgkmcnt(0)
	v_mul_f64 v[165:166], v[27:28], v[63:64]
	v_mul_f64 v[63:64], v[29:30], v[63:64]
	ds_read_b128 v[5:8], v16 offset:1312
	s_waitcnt vmcnt(56)
	v_fma_f64 v[43:44], v[1:2], v[53:54], -v[43:44]
	v_fma_f64 v[53:54], v[3:4], v[53:54], v[190:191]
	v_add_f64 v[31:32], v[31:32], v[57:58]
	v_add_f64 v[9:10], v[9:10], v[37:38]
	s_clause 0x4
	buffer_load_dword v38, off, s[0:3], 0 offset:780
	buffer_load_dword v57, off, s[0:3], 0 offset:792
	;; [unrolled: 1-line block ×5, first 2 shown]
	ds_read_b128 v[1:4], v16 offset:1328
	s_waitcnt vmcnt(57) lgkmcnt(1)
	v_mul_f64 v[190:191], v[5:6], v[49:50]
	v_mul_f64 v[49:50], v[7:8], v[49:50]
	s_waitcnt vmcnt(56)
	v_fma_f64 v[63:64], v[27:28], v[69:70], -v[63:64]
	v_add_f64 v[31:32], v[31:32], v[43:44]
	v_fma_f64 v[43:44], v[29:30], v[69:70], v[165:166]
	v_add_f64 v[9:10], v[9:10], v[53:54]
	s_clause 0x2
	buffer_load_dword v58, off, s[0:3], 0 offset:796
	buffer_load_dword v54, off, s[0:3], 0 offset:772
	;; [unrolled: 1-line block ×3, first 2 shown]
	ds_read_b128 v[27:30], v16 offset:1344
	buffer_load_dword v172, off, s[0:3], 0 offset:788
	s_waitcnt vmcnt(59) lgkmcnt(1)
	v_mul_f64 v[69:70], v[1:2], v[75:76]
	v_mul_f64 v[75:76], v[3:4], v[75:76]
	s_waitcnt vmcnt(57)
	v_fma_f64 v[49:50], v[5:6], v[51:52], -v[49:50]
	v_fma_f64 v[51:52], v[7:8], v[51:52], v[190:191]
	ds_read_b128 v[5:8], v16 offset:1360
	v_add_f64 v[31:32], v[31:32], v[63:64]
	v_add_f64 v[9:10], v[9:10], v[43:44]
	s_waitcnt vmcnt(53) lgkmcnt(1)
	v_mul_f64 v[43:44], v[27:28], v[55:56]
	v_mul_f64 v[55:56], v[29:30], v[55:56]
	s_waitcnt vmcnt(52)
	v_fma_f64 v[63:64], v[1:2], v[81:82], -v[75:76]
	v_add_f64 v[31:32], v[31:32], v[49:50]
	v_fma_f64 v[49:50], v[3:4], v[81:82], v[69:70]
	v_add_f64 v[9:10], v[9:10], v[51:52]
	ds_read_b128 v[1:4], v16 offset:1376
	s_waitcnt vmcnt(51) lgkmcnt(1)
	v_mul_f64 v[69:70], v[7:8], v[85:86]
	v_mul_f64 v[51:52], v[5:6], v[85:86]
	s_waitcnt vmcnt(49)
	v_fma_f64 v[55:56], v[27:28], v[59:60], -v[55:56]
	v_fma_f64 v[43:44], v[29:30], v[59:60], v[43:44]
	v_add_f64 v[31:32], v[31:32], v[63:64]
	v_add_f64 v[9:10], v[9:10], v[49:50]
	s_clause 0x3
	buffer_load_dword v49, off, s[0:3], 0 offset:96
	buffer_load_dword v50, off, s[0:3], 0 offset:100
	;; [unrolled: 1-line block ×4, first 2 shown]
	ds_read_b128 v[27:30], v16 offset:1392
	s_waitcnt vmcnt(49) lgkmcnt(1)
	v_mul_f64 v[63:64], v[1:2], v[61:62]
	v_mul_f64 v[61:62], v[3:4], v[61:62]
	s_waitcnt vmcnt(48)
	v_fma_f64 v[69:70], v[5:6], v[87:88], -v[69:70]
	v_fma_f64 v[51:52], v[7:8], v[87:88], v[51:52]
	ds_read_b128 v[5:8], v16 offset:1408
	v_add_f64 v[31:32], v[31:32], v[55:56]
	v_add_f64 v[9:10], v[9:10], v[43:44]
	s_waitcnt vmcnt(47) lgkmcnt(1)
	v_mul_f64 v[55:56], v[29:30], v[177:178]
	v_mul_f64 v[43:44], v[27:28], v[177:178]
	s_waitcnt vmcnt(45)
	v_fma_f64 v[61:62], v[1:2], v[71:72], -v[61:62]
	v_fma_f64 v[63:64], v[3:4], v[71:72], v[63:64]
	ds_read_b128 v[1:4], v16 offset:1424
	v_add_f64 v[31:32], v[31:32], v[69:70]
	v_add_f64 v[9:10], v[9:10], v[51:52]
	s_waitcnt vmcnt(41) lgkmcnt(1)
	v_mul_f64 v[69:70], v[7:8], v[73:74]
	s_waitcnt vmcnt(40)
	v_fma_f64 v[55:56], v[27:28], v[181:182], -v[55:56]
	v_mul_f64 v[51:52], v[5:6], v[73:74]
	v_fma_f64 v[43:44], v[29:30], v[181:182], v[43:44]
	ds_read_b128 v[27:30], v16 offset:1440
	v_add_f64 v[31:32], v[31:32], v[61:62]
	v_add_f64 v[9:10], v[9:10], v[63:64]
	s_waitcnt vmcnt(39) lgkmcnt(1)
	v_mul_f64 v[63:64], v[3:4], v[167:168]
	v_mul_f64 v[61:62], v[1:2], v[167:168]
	s_waitcnt vmcnt(37)
	v_fma_f64 v[69:70], v[5:6], v[83:84], -v[69:70]
	v_fma_f64 v[51:52], v[7:8], v[83:84], v[51:52]
	ds_read_b128 v[5:8], v16 offset:1456
	v_add_f64 v[31:32], v[31:32], v[55:56]
	v_add_f64 v[9:10], v[9:10], v[43:44]
	s_waitcnt vmcnt(33) lgkmcnt(1)
	v_mul_f64 v[55:56], v[29:30], v[173:174]
	s_waitcnt vmcnt(32)
	v_fma_f64 v[63:64], v[1:2], v[186:187], -v[63:64]
	v_mul_f64 v[43:44], v[27:28], v[173:174]
	v_fma_f64 v[61:62], v[3:4], v[186:187], v[61:62]
	ds_read_b128 v[1:4], v16 offset:1472
	v_add_f64 v[31:32], v[31:32], v[69:70]
	v_add_f64 v[9:10], v[9:10], v[51:52]
	s_waitcnt vmcnt(31) lgkmcnt(1)
	v_mul_f64 v[69:70], v[7:8], v[179:180]
	v_mul_f64 v[51:52], v[5:6], v[179:180]
	s_waitcnt vmcnt(29)
	v_fma_f64 v[55:56], v[27:28], v[39:40], -v[55:56]
	v_fma_f64 v[39:40], v[29:30], v[39:40], v[43:44]
	ds_read_b128 v[27:30], v16 offset:1488
	v_add_f64 v[31:32], v[31:32], v[63:64]
	v_add_f64 v[9:10], v[9:10], v[61:62]
	s_waitcnt vmcnt(25) lgkmcnt(1)
	v_mul_f64 v[43:44], v[1:2], v[45:46]
	v_mul_f64 v[45:46], v[3:4], v[45:46]
	s_waitcnt vmcnt(24)
	v_fma_f64 v[61:62], v[5:6], v[183:184], -v[69:70]
	;; [unrolled: 9-line block ×3, first 2 shown]
	v_fma_f64 v[41:42], v[3:4], v[41:42], v[43:44]
	ds_read_b128 v[1:4], v16 offset:1520
	v_add_f64 v[31:32], v[31:32], v[61:62]
	v_add_f64 v[9:10], v[9:10], v[51:52]
	s_waitcnt vmcnt(17) lgkmcnt(1)
	v_mul_f64 v[51:52], v[7:8], v[161:162]
	s_waitcnt vmcnt(16)
	v_fma_f64 v[55:56], v[27:28], v[188:189], -v[55:56]
	v_mul_f64 v[43:44], v[5:6], v[161:162]
	v_fma_f64 v[39:40], v[29:30], v[188:189], v[39:40]
	ds_read_b128 v[27:30], v16 offset:1536
	v_add_f64 v[31:32], v[31:32], v[45:46]
	v_add_f64 v[9:10], v[9:10], v[41:42]
	s_waitcnt vmcnt(15) lgkmcnt(1)
	v_mul_f64 v[45:46], v[3:4], v[163:164]
	v_mul_f64 v[41:42], v[1:2], v[163:164]
	s_waitcnt vmcnt(13)
	v_fma_f64 v[51:52], v[5:6], v[47:48], -v[51:52]
	v_fma_f64 v[43:44], v[7:8], v[47:48], v[43:44]
	ds_read_b128 v[5:8], v16 offset:1552
	v_add_f64 v[31:32], v[31:32], v[55:56]
	v_add_f64 v[9:10], v[9:10], v[39:40]
	s_waitcnt vmcnt(9) lgkmcnt(1)
	v_mul_f64 v[39:40], v[27:28], v[37:38]
	v_mul_f64 v[37:38], v[29:30], v[37:38]
	s_waitcnt vmcnt(8)
	v_fma_f64 v[1:2], v[1:2], v[175:176], -v[45:46]
	v_fma_f64 v[3:4], v[3:4], v[175:176], v[41:42]
	v_add_f64 v[31:32], v[31:32], v[51:52]
	v_add_f64 v[9:10], v[9:10], v[43:44]
	s_waitcnt vmcnt(7) lgkmcnt(0)
	v_mul_f64 v[43:44], v[7:8], v[57:58]
	v_mul_f64 v[41:42], v[5:6], v[57:58]
	s_waitcnt vmcnt(5)
	v_fma_f64 v[27:28], v[27:28], v[53:54], -v[37:38]
	v_fma_f64 v[29:30], v[29:30], v[53:54], v[39:40]
	v_add_f64 v[1:2], v[31:32], v[1:2]
	v_add_f64 v[3:4], v[9:10], v[3:4]
	s_waitcnt vmcnt(4)
	v_fma_f64 v[5:6], v[5:6], v[171:172], -v[43:44]
	v_fma_f64 v[7:8], v[7:8], v[171:172], v[41:42]
	v_add_f64 v[1:2], v[1:2], v[27:28]
	v_add_f64 v[3:4], v[3:4], v[29:30]
	v_add_f64 v[1:2], v[1:2], v[5:6]
	v_add_f64 v[3:4], v[3:4], v[7:8]
	s_waitcnt vmcnt(2)
	v_add_f64 v[1:2], v[49:50], -v[1:2]
	s_waitcnt vmcnt(0)
	v_add_f64 v[3:4], v[59:60], -v[3:4]
	buffer_store_dword v2, off, s[0:3], 0 offset:100
	buffer_store_dword v1, off, s[0:3], 0 offset:96
	;; [unrolled: 1-line block ×4, first 2 shown]
	v_cmpx_lt_u32_e32 4, v0
	s_cbranch_execz .LBB48_299
; %bb.298:
	v_mov_b32_e32 v4, s57
	s_clause 0x3
	buffer_load_dword v1, v4, s[0:3], 0 offen
	buffer_load_dword v2, v4, s[0:3], 0 offen offset:4
	buffer_load_dword v3, v4, s[0:3], 0 offen offset:8
	;; [unrolled: 1-line block ×3, first 2 shown]
	buffer_store_dword v16, off, s[0:3], 0 offset:80
	buffer_store_dword v16, off, s[0:3], 0 offset:84
	;; [unrolled: 1-line block ×4, first 2 shown]
	s_waitcnt vmcnt(0)
	ds_write_b128 v11, v[1:4]
.LBB48_299:
	s_or_b32 exec_lo, exec_lo, s4
	s_waitcnt lgkmcnt(0)
	s_waitcnt_vscnt null, 0x0
	s_barrier
	buffer_gl0_inv
	s_clause 0x37
	buffer_load_dword v9, off, s[0:3], 0 offset:104
	buffer_load_dword v10, off, s[0:3], 0 offset:108
	;; [unrolled: 1-line block ×56, first 2 shown]
	ds_read_b128 v[161:164], v16 offset:864
	s_clause 0x2
	buffer_load_dword v86, off, s[0:3], 0 offset:332
	buffer_load_dword v88, off, s[0:3], 0 offset:308
	;; [unrolled: 1-line block ×3, first 2 shown]
	ds_read_b128 v[165:168], v16 offset:880
	s_clause 0x4
	buffer_load_dword v176, off, s[0:3], 0 offset:348
	buffer_load_dword v177, off, s[0:3], 0 offset:360
	;; [unrolled: 1-line block ×5, first 2 shown]
	ds_read_b128 v[169:172], v16 offset:896
	s_clause 0x2
	buffer_load_dword v178, off, s[0:3], 0 offset:364
	buffer_load_dword v183, off, s[0:3], 0 offset:340
	;; [unrolled: 1-line block ×3, first 2 shown]
	s_mov_b32 s4, exec_lo
	s_waitcnt vmcnt(62) lgkmcnt(2)
	v_mul_f64 v[173:174], v[163:164], v[9:10]
	v_mul_f64 v[9:10], v[161:162], v[9:10]
	s_waitcnt lgkmcnt(1)
	v_mul_f64 v[180:181], v[167:168], v[5:6]
	s_waitcnt vmcnt(59) lgkmcnt(0)
	v_mul_f64 v[184:185], v[171:172], v[3:4]
	v_fma_f64 v[161:162], v[161:162], v[7:8], -v[173:174]
	v_mul_f64 v[173:174], v[165:166], v[5:6]
	v_fma_f64 v[9:10], v[163:164], v[7:8], v[9:10]
	s_waitcnt vmcnt(57)
	v_fma_f64 v[165:166], v[165:166], v[1:2], -v[180:181]
	ds_read_b128 v[5:8], v16 offset:912
	v_mul_f64 v[163:164], v[169:170], v[3:4]
	s_waitcnt vmcnt(51)
	v_fma_f64 v[169:170], v[169:170], v[45:46], -v[184:185]
	v_add_f64 v[161:162], v[161:162], 0
	v_fma_f64 v[167:168], v[167:168], v[1:2], v[173:174]
	v_add_f64 v[9:10], v[9:10], 0
	s_clause 0x4
	buffer_load_dword v174, off, s[0:3], 0 offset:380
	buffer_load_dword v186, off, s[0:3], 0 offset:392
	;; [unrolled: 1-line block ×5, first 2 shown]
	s_waitcnt lgkmcnt(0)
	v_mul_f64 v[189:190], v[5:6], v[29:30]
	v_mul_f64 v[29:30], v[7:8], v[29:30]
	ds_read_b128 v[1:4], v16 offset:928
	v_fma_f64 v[45:46], v[171:172], v[45:46], v[163:164]
	v_add_f64 v[165:166], v[161:162], v[165:166]
	v_add_f64 v[9:10], v[9:10], v[167:168]
	s_clause 0x2
	buffer_load_dword v187, off, s[0:3], 0 offset:396
	buffer_load_dword v168, off, s[0:3], 0 offset:372
	;; [unrolled: 1-line block ×3, first 2 shown]
	s_waitcnt vmcnt(58) lgkmcnt(0)
	v_mul_f64 v[171:172], v[1:2], v[37:38]
	v_mul_f64 v[37:38], v[3:4], v[37:38]
	s_waitcnt vmcnt(56)
	v_fma_f64 v[29:30], v[5:6], v[39:40], -v[29:30]
	ds_read_b128 v[161:164], v16 offset:944
	v_fma_f64 v[39:40], v[7:8], v[39:40], v[189:190]
	v_add_f64 v[165:166], v[165:166], v[169:170]
	v_add_f64 v[9:10], v[9:10], v[45:46]
	s_clause 0x4
	buffer_load_dword v46, off, s[0:3], 0 offset:412
	buffer_load_dword v169, off, s[0:3], 0 offset:424
	;; [unrolled: 1-line block ×5, first 2 shown]
	ds_read_b128 v[5:8], v16 offset:960
	s_waitcnt vmcnt(57) lgkmcnt(1)
	v_mul_f64 v[190:191], v[161:162], v[41:42]
	v_mul_f64 v[41:42], v[163:164], v[41:42]
	s_waitcnt vmcnt(56)
	v_fma_f64 v[37:38], v[1:2], v[27:28], -v[37:38]
	v_fma_f64 v[27:28], v[3:4], v[27:28], v[171:172]
	v_add_f64 v[29:30], v[165:166], v[29:30]
	v_add_f64 v[9:10], v[9:10], v[39:40]
	s_clause 0x2
	buffer_load_dword v170, off, s[0:3], 0 offset:428
	buffer_load_dword v40, off, s[0:3], 0 offset:404
	;; [unrolled: 1-line block ×3, first 2 shown]
	s_waitcnt vmcnt(58) lgkmcnt(0)
	v_mul_f64 v[165:166], v[5:6], v[47:48]
	v_mul_f64 v[47:48], v[7:8], v[47:48]
	s_waitcnt vmcnt(56)
	v_fma_f64 v[41:42], v[161:162], v[49:50], -v[41:42]
	ds_read_b128 v[1:4], v16 offset:976
	v_fma_f64 v[49:50], v[163:164], v[49:50], v[190:191]
	s_clause 0x4
	buffer_load_dword v162, off, s[0:3], 0 offset:444
	buffer_load_dword v163, off, s[0:3], 0 offset:456
	;; [unrolled: 1-line block ×5, first 2 shown]
	v_add_f64 v[37:38], v[29:30], v[37:38]
	v_add_f64 v[9:10], v[9:10], v[27:28]
	ds_read_b128 v[27:30], v16 offset:992
	s_waitcnt vmcnt(57) lgkmcnt(1)
	v_mul_f64 v[190:191], v[1:2], v[51:52]
	v_mul_f64 v[51:52], v[3:4], v[51:52]
	s_waitcnt vmcnt(56)
	v_fma_f64 v[47:48], v[5:6], v[31:32], -v[47:48]
	v_fma_f64 v[31:32], v[7:8], v[31:32], v[165:166]
	v_add_f64 v[37:38], v[37:38], v[41:42]
	s_clause 0x2
	buffer_load_dword v164, off, s[0:3], 0 offset:460
	buffer_load_dword v42, off, s[0:3], 0 offset:436
	;; [unrolled: 1-line block ×3, first 2 shown]
	v_add_f64 v[9:10], v[9:10], v[49:50]
	s_waitcnt vmcnt(58) lgkmcnt(0)
	v_mul_f64 v[49:50], v[27:28], v[55:56]
	v_mul_f64 v[55:56], v[29:30], v[55:56]
	ds_read_b128 v[5:8], v16 offset:1008
	s_waitcnt vmcnt(56)
	v_fma_f64 v[51:52], v[1:2], v[57:58], -v[51:52]
	v_add_f64 v[37:38], v[37:38], v[47:48]
	v_fma_f64 v[47:48], v[3:4], v[57:58], v[190:191]
	v_add_f64 v[9:10], v[9:10], v[31:32]
	s_clause 0x4
	buffer_load_dword v32, off, s[0:3], 0 offset:476
	buffer_load_dword v57, off, s[0:3], 0 offset:488
	;; [unrolled: 1-line block ×5, first 2 shown]
	s_waitcnt vmcnt(57) lgkmcnt(0)
	v_mul_f64 v[190:191], v[5:6], v[59:60]
	v_mul_f64 v[59:60], v[7:8], v[59:60]
	s_waitcnt vmcnt(56)
	v_fma_f64 v[55:56], v[27:28], v[43:44], -v[55:56]
	ds_read_b128 v[1:4], v16 offset:1024
	v_fma_f64 v[43:44], v[29:30], v[43:44], v[49:50]
	v_add_f64 v[37:38], v[37:38], v[51:52]
	v_add_f64 v[9:10], v[9:10], v[47:48]
	s_clause 0x2
	buffer_load_dword v58, off, s[0:3], 0 offset:492
	buffer_load_dword v48, off, s[0:3], 0 offset:468
	;; [unrolled: 1-line block ×3, first 2 shown]
	ds_read_b128 v[27:30], v16 offset:1040
	s_waitcnt vmcnt(58) lgkmcnt(1)
	v_mul_f64 v[51:52], v[3:4], v[63:64]
	s_waitcnt vmcnt(56)
	v_fma_f64 v[59:60], v[5:6], v[69:70], -v[59:60]
	v_mul_f64 v[49:50], v[1:2], v[63:64]
	v_add_f64 v[37:38], v[37:38], v[55:56]
	v_fma_f64 v[55:56], v[7:8], v[69:70], v[190:191]
	v_add_f64 v[9:10], v[9:10], v[43:44]
	s_clause 0x4
	buffer_load_dword v44, off, s[0:3], 0 offset:508
	buffer_load_dword v63, off, s[0:3], 0 offset:520
	;; [unrolled: 1-line block ×5, first 2 shown]
	s_waitcnt vmcnt(57) lgkmcnt(0)
	v_mul_f64 v[190:191], v[27:28], v[71:72]
	v_mul_f64 v[70:71], v[29:30], v[71:72]
	s_waitcnt vmcnt(56)
	v_fma_f64 v[51:52], v[1:2], v[53:54], -v[51:52]
	ds_read_b128 v[5:8], v16 offset:1056
	v_fma_f64 v[49:50], v[3:4], v[53:54], v[49:50]
	s_clause 0x2
	buffer_load_dword v64, off, s[0:3], 0 offset:524
	buffer_load_dword v54, off, s[0:3], 0 offset:500
	;; [unrolled: 1-line block ×3, first 2 shown]
	ds_read_b128 v[1:4], v16 offset:1072
	v_add_f64 v[37:38], v[37:38], v[59:60]
	v_add_f64 v[9:10], v[9:10], v[55:56]
	s_waitcnt vmcnt(58) lgkmcnt(1)
	v_mul_f64 v[59:60], v[7:8], v[75:76]
	s_waitcnt vmcnt(56)
	v_fma_f64 v[71:72], v[27:28], v[81:82], -v[70:71]
	v_mul_f64 v[55:56], v[5:6], v[75:76]
	v_add_f64 v[37:38], v[37:38], v[51:52]
	v_fma_f64 v[51:52], v[29:30], v[81:82], v[190:191]
	v_add_f64 v[9:10], v[9:10], v[49:50]
	s_clause 0x4
	buffer_load_dword v50, off, s[0:3], 0 offset:540
	buffer_load_dword v75, off, s[0:3], 0 offset:552
	;; [unrolled: 1-line block ×5, first 2 shown]
	s_waitcnt vmcnt(57) lgkmcnt(0)
	v_mul_f64 v[190:191], v[1:2], v[83:84]
	v_mul_f64 v[82:83], v[3:4], v[83:84]
	s_waitcnt vmcnt(56)
	v_fma_f64 v[59:60], v[5:6], v[61:62], -v[59:60]
	ds_read_b128 v[27:30], v16 offset:1088
	v_fma_f64 v[55:56], v[7:8], v[61:62], v[55:56]
	v_add_f64 v[37:38], v[37:38], v[71:72]
	v_add_f64 v[9:10], v[9:10], v[51:52]
	s_clause 0x2
	buffer_load_dword v76, off, s[0:3], 0 offset:556
	buffer_load_dword v52, off, s[0:3], 0 offset:532
	;; [unrolled: 1-line block ×3, first 2 shown]
	ds_read_b128 v[5:8], v16 offset:1104
	s_waitcnt vmcnt(58) lgkmcnt(1)
	v_mul_f64 v[71:72], v[29:30], v[85:86]
	s_waitcnt vmcnt(56)
	v_fma_f64 v[83:84], v[1:2], v[87:88], -v[82:83]
	v_mul_f64 v[61:62], v[27:28], v[85:86]
	v_add_f64 v[37:38], v[37:38], v[59:60]
	v_fma_f64 v[59:60], v[3:4], v[87:88], v[190:191]
	v_add_f64 v[9:10], v[9:10], v[55:56]
	s_clause 0x4
	buffer_load_dword v56, off, s[0:3], 0 offset:572
	buffer_load_dword v85, off, s[0:3], 0 offset:584
	;; [unrolled: 1-line block ×5, first 2 shown]
	s_waitcnt vmcnt(57) lgkmcnt(0)
	v_mul_f64 v[190:191], v[5:6], v[175:176]
	v_mul_f64 v[175:176], v[7:8], v[175:176]
	s_waitcnt vmcnt(56)
	v_fma_f64 v[71:72], v[27:28], v[73:74], -v[71:72]
	ds_read_b128 v[1:4], v16 offset:1120
	v_fma_f64 v[61:62], v[29:30], v[73:74], v[61:62]
	v_add_f64 v[37:38], v[37:38], v[83:84]
	v_add_f64 v[9:10], v[9:10], v[59:60]
	s_clause 0x2
	buffer_load_dword v86, off, s[0:3], 0 offset:588
	buffer_load_dword v60, off, s[0:3], 0 offset:564
	;; [unrolled: 1-line block ×3, first 2 shown]
	ds_read_b128 v[27:30], v16 offset:1136
	s_waitcnt vmcnt(58) lgkmcnt(1)
	v_mul_f64 v[83:84], v[3:4], v[177:178]
	s_waitcnt vmcnt(56)
	v_fma_f64 v[175:176], v[5:6], v[182:183], -v[175:176]
	v_mul_f64 v[73:74], v[1:2], v[177:178]
	v_add_f64 v[37:38], v[37:38], v[71:72]
	v_fma_f64 v[71:72], v[7:8], v[182:183], v[190:191]
	v_add_f64 v[9:10], v[9:10], v[61:62]
	s_clause 0x4
	buffer_load_dword v62, off, s[0:3], 0 offset:604
	buffer_load_dword v177, off, s[0:3], 0 offset:616
	;; [unrolled: 1-line block ×5, first 2 shown]
	ds_read_b128 v[5:8], v16 offset:1152
	s_waitcnt vmcnt(57) lgkmcnt(1)
	v_mul_f64 v[182:183], v[27:28], v[173:174]
	v_mul_f64 v[173:174], v[29:30], v[173:174]
	s_waitcnt vmcnt(56)
	v_fma_f64 v[83:84], v[1:2], v[179:180], -v[83:84]
	v_fma_f64 v[73:74], v[3:4], v[179:180], v[73:74]
	v_add_f64 v[37:38], v[37:38], v[175:176]
	v_add_f64 v[9:10], v[9:10], v[71:72]
	s_clause 0x2
	buffer_load_dword v178, off, s[0:3], 0 offset:620
	buffer_load_dword v72, off, s[0:3], 0 offset:596
	;; [unrolled: 1-line block ×3, first 2 shown]
	ds_read_b128 v[1:4], v16 offset:1168
	s_waitcnt vmcnt(58) lgkmcnt(1)
	v_mul_f64 v[179:180], v[7:8], v[186:187]
	v_mul_f64 v[175:176], v[5:6], v[186:187]
	s_waitcnt vmcnt(56)
	v_fma_f64 v[173:174], v[27:28], v[167:168], -v[173:174]
	v_add_f64 v[37:38], v[37:38], v[83:84]
	v_fma_f64 v[83:84], v[29:30], v[167:168], v[182:183]
	v_add_f64 v[9:10], v[9:10], v[73:74]
	s_clause 0x4
	buffer_load_dword v74, off, s[0:3], 0 offset:636
	buffer_load_dword v167, off, s[0:3], 0 offset:648
	;; [unrolled: 1-line block ×5, first 2 shown]
	ds_read_b128 v[27:30], v16 offset:1184
	s_waitcnt vmcnt(57) lgkmcnt(1)
	v_mul_f64 v[190:191], v[1:2], v[45:46]
	v_mul_f64 v[45:46], v[3:4], v[45:46]
	s_waitcnt vmcnt(56)
	v_fma_f64 v[179:180], v[5:6], v[188:189], -v[179:180]
	v_add_f64 v[37:38], v[37:38], v[173:174]
	v_fma_f64 v[173:174], v[7:8], v[188:189], v[175:176]
	v_add_f64 v[9:10], v[9:10], v[83:84]
	s_clause 0x2
	buffer_load_dword v168, off, s[0:3], 0 offset:652
	buffer_load_dword v84, off, s[0:3], 0 offset:628
	buffer_load_dword v83, off, s[0:3], 0 offset:624
	ds_read_b128 v[5:8], v16 offset:1200
	s_waitcnt vmcnt(58) lgkmcnt(1)
	v_mul_f64 v[175:176], v[27:28], v[169:170]
	v_mul_f64 v[169:170], v[29:30], v[169:170]
	s_waitcnt vmcnt(56)
	v_fma_f64 v[45:46], v[1:2], v[39:40], -v[45:46]
	v_fma_f64 v[39:40], v[3:4], v[39:40], v[190:191]
	v_add_f64 v[37:38], v[37:38], v[179:180]
	v_add_f64 v[9:10], v[9:10], v[173:174]
	s_clause 0x4
	buffer_load_dword v174, off, s[0:3], 0 offset:668
	buffer_load_dword v179, off, s[0:3], 0 offset:680
	;; [unrolled: 1-line block ×5, first 2 shown]
	s_waitcnt vmcnt(57) lgkmcnt(0)
	v_mul_f64 v[188:189], v[5:6], v[161:162]
	v_mul_f64 v[161:162], v[7:8], v[161:162]
	ds_read_b128 v[1:4], v16 offset:1216
	s_waitcnt vmcnt(56)
	v_fma_f64 v[169:170], v[27:28], v[184:185], -v[169:170]
	v_add_f64 v[37:38], v[37:38], v[45:46]
	v_fma_f64 v[45:46], v[29:30], v[184:185], v[175:176]
	v_add_f64 v[9:10], v[9:10], v[39:40]
	s_clause 0x2
	buffer_load_dword v180, off, s[0:3], 0 offset:684
	buffer_load_dword v40, off, s[0:3], 0 offset:660
	;; [unrolled: 1-line block ×3, first 2 shown]
	ds_read_b128 v[27:30], v16 offset:1232
	s_waitcnt vmcnt(58) lgkmcnt(1)
	v_mul_f64 v[175:176], v[1:2], v[163:164]
	v_mul_f64 v[163:164], v[3:4], v[163:164]
	s_waitcnt vmcnt(56)
	v_fma_f64 v[161:162], v[5:6], v[41:42], -v[161:162]
	v_fma_f64 v[41:42], v[7:8], v[41:42], v[188:189]
	v_add_f64 v[37:38], v[37:38], v[169:170]
	v_add_f64 v[9:10], v[9:10], v[45:46]
	s_clause 0x4
	buffer_load_dword v46, off, s[0:3], 0 offset:700
	buffer_load_dword v169, off, s[0:3], 0 offset:712
	;; [unrolled: 1-line block ×5, first 2 shown]
	ds_read_b128 v[5:8], v16 offset:1248
	s_waitcnt vmcnt(57) lgkmcnt(1)
	v_mul_f64 v[189:190], v[27:28], v[31:32]
	v_mul_f64 v[31:32], v[29:30], v[31:32]
	s_waitcnt vmcnt(56)
	v_fma_f64 v[163:164], v[1:2], v[171:172], -v[163:164]
	v_add_f64 v[37:38], v[37:38], v[161:162]
	v_fma_f64 v[161:162], v[3:4], v[171:172], v[175:176]
	v_add_f64 v[9:10], v[9:10], v[41:42]
	s_clause 0x2
	buffer_load_dword v170, off, s[0:3], 0 offset:716
	buffer_load_dword v42, off, s[0:3], 0 offset:692
	;; [unrolled: 1-line block ×3, first 2 shown]
	ds_read_b128 v[1:4], v16 offset:1264
	s_waitcnt vmcnt(58) lgkmcnt(1)
	v_mul_f64 v[171:172], v[5:6], v[57:58]
	v_mul_f64 v[57:58], v[7:8], v[57:58]
	s_waitcnt vmcnt(56)
	v_fma_f64 v[31:32], v[27:28], v[47:48], -v[31:32]
	v_fma_f64 v[47:48], v[29:30], v[47:48], v[189:190]
	v_add_f64 v[37:38], v[37:38], v[163:164]
	v_add_f64 v[9:10], v[9:10], v[161:162]
	s_clause 0x4
	buffer_load_dword v162, off, s[0:3], 0 offset:732
	buffer_load_dword v163, off, s[0:3], 0 offset:744
	;; [unrolled: 1-line block ×5, first 2 shown]
	ds_read_b128 v[27:30], v16 offset:1280
	s_waitcnt vmcnt(57) lgkmcnt(1)
	v_mul_f64 v[190:191], v[1:2], v[43:44]
	v_mul_f64 v[43:44], v[3:4], v[43:44]
	s_waitcnt vmcnt(56)
	v_fma_f64 v[57:58], v[5:6], v[165:166], -v[57:58]
	v_add_f64 v[31:32], v[37:38], v[31:32]
	v_fma_f64 v[37:38], v[7:8], v[165:166], v[171:172]
	v_add_f64 v[9:10], v[9:10], v[47:48]
	s_clause 0x2
	buffer_load_dword v164, off, s[0:3], 0 offset:748
	buffer_load_dword v48, off, s[0:3], 0 offset:724
	;; [unrolled: 1-line block ×3, first 2 shown]
	s_waitcnt vmcnt(58) lgkmcnt(0)
	v_mul_f64 v[165:166], v[27:28], v[63:64]
	v_mul_f64 v[63:64], v[29:30], v[63:64]
	ds_read_b128 v[5:8], v16 offset:1296
	s_waitcnt vmcnt(56)
	v_fma_f64 v[43:44], v[1:2], v[53:54], -v[43:44]
	v_fma_f64 v[53:54], v[3:4], v[53:54], v[190:191]
	v_add_f64 v[31:32], v[31:32], v[57:58]
	v_add_f64 v[9:10], v[9:10], v[37:38]
	s_clause 0x4
	buffer_load_dword v38, off, s[0:3], 0 offset:764
	buffer_load_dword v57, off, s[0:3], 0 offset:776
	;; [unrolled: 1-line block ×5, first 2 shown]
	ds_read_b128 v[1:4], v16 offset:1312
	s_waitcnt vmcnt(57) lgkmcnt(1)
	v_mul_f64 v[190:191], v[5:6], v[49:50]
	v_mul_f64 v[49:50], v[7:8], v[49:50]
	s_waitcnt vmcnt(56)
	v_fma_f64 v[63:64], v[27:28], v[69:70], -v[63:64]
	v_add_f64 v[31:32], v[31:32], v[43:44]
	v_fma_f64 v[43:44], v[29:30], v[69:70], v[165:166]
	v_add_f64 v[9:10], v[9:10], v[53:54]
	s_clause 0x2
	buffer_load_dword v58, off, s[0:3], 0 offset:780
	buffer_load_dword v54, off, s[0:3], 0 offset:756
	;; [unrolled: 1-line block ×3, first 2 shown]
	ds_read_b128 v[27:30], v16 offset:1328
	s_waitcnt vmcnt(58) lgkmcnt(1)
	v_mul_f64 v[69:70], v[1:2], v[75:76]
	v_mul_f64 v[75:76], v[3:4], v[75:76]
	s_waitcnt vmcnt(56)
	v_fma_f64 v[49:50], v[5:6], v[51:52], -v[49:50]
	v_fma_f64 v[51:52], v[7:8], v[51:52], v[190:191]
	v_add_f64 v[31:32], v[31:32], v[63:64]
	v_add_f64 v[9:10], v[9:10], v[43:44]
	s_clause 0x2
	buffer_load_dword v44, off, s[0:3], 0 offset:796
	buffer_load_dword v43, off, s[0:3], 0 offset:792
	;; [unrolled: 1-line block ×3, first 2 shown]
	ds_read_b128 v[5:8], v16 offset:1344
	s_waitcnt vmcnt(55) lgkmcnt(1)
	v_mul_f64 v[63:64], v[27:28], v[55:56]
	v_mul_f64 v[55:56], v[29:30], v[55:56]
	s_waitcnt vmcnt(54)
	v_fma_f64 v[75:76], v[1:2], v[81:82], -v[75:76]
	v_add_f64 v[31:32], v[31:32], v[49:50]
	v_fma_f64 v[49:50], v[3:4], v[81:82], v[69:70]
	v_add_f64 v[9:10], v[9:10], v[51:52]
	s_clause 0x1
	buffer_load_dword v52, off, s[0:3], 0 offset:788
	buffer_load_dword v51, off, s[0:3], 0 offset:784
	ds_read_b128 v[1:4], v16 offset:1360
	s_waitcnt vmcnt(55) lgkmcnt(1)
	v_mul_f64 v[81:82], v[7:8], v[85:86]
	v_mul_f64 v[69:70], v[5:6], v[85:86]
	s_waitcnt vmcnt(53)
	v_fma_f64 v[55:56], v[27:28], v[59:60], -v[55:56]
	v_fma_f64 v[59:60], v[29:30], v[59:60], v[63:64]
	ds_read_b128 v[27:30], v16 offset:1376
	v_add_f64 v[31:32], v[31:32], v[75:76]
	v_add_f64 v[9:10], v[9:10], v[49:50]
	s_waitcnt vmcnt(49) lgkmcnt(1)
	v_mul_f64 v[49:50], v[1:2], v[61:62]
	v_mul_f64 v[61:62], v[3:4], v[61:62]
	s_waitcnt vmcnt(48)
	v_fma_f64 v[63:64], v[5:6], v[87:88], -v[81:82]
	v_add_f64 v[31:32], v[31:32], v[55:56]
	v_fma_f64 v[55:56], v[7:8], v[87:88], v[69:70]
	v_add_f64 v[9:10], v[9:10], v[59:60]
	s_clause 0x3
	buffer_load_dword v59, off, s[0:3], 0 offset:80
	buffer_load_dword v60, off, s[0:3], 0 offset:84
	;; [unrolled: 1-line block ×4, first 2 shown]
	ds_read_b128 v[5:8], v16 offset:1392
	s_waitcnt vmcnt(51) lgkmcnt(1)
	v_mul_f64 v[81:82], v[29:30], v[177:178]
	v_mul_f64 v[75:76], v[27:28], v[177:178]
	s_waitcnt vmcnt(49)
	v_fma_f64 v[61:62], v[1:2], v[71:72], -v[61:62]
	v_fma_f64 v[49:50], v[3:4], v[71:72], v[49:50]
	ds_read_b128 v[1:4], v16 offset:1408
	v_add_f64 v[31:32], v[31:32], v[63:64]
	v_add_f64 v[9:10], v[9:10], v[55:56]
	s_waitcnt vmcnt(45) lgkmcnt(1)
	v_mul_f64 v[63:64], v[7:8], v[73:74]
	s_waitcnt vmcnt(44)
	v_fma_f64 v[71:72], v[27:28], v[181:182], -v[81:82]
	v_mul_f64 v[55:56], v[5:6], v[73:74]
	v_add_f64 v[31:32], v[31:32], v[61:62]
	v_fma_f64 v[61:62], v[29:30], v[181:182], v[75:76]
	v_add_f64 v[9:10], v[9:10], v[49:50]
	ds_read_b128 v[27:30], v16 offset:1424
	s_waitcnt vmcnt(43) lgkmcnt(1)
	v_mul_f64 v[73:74], v[3:4], v[167:168]
	v_mul_f64 v[49:50], v[1:2], v[167:168]
	s_waitcnt vmcnt(41)
	v_fma_f64 v[63:64], v[5:6], v[83:84], -v[63:64]
	v_fma_f64 v[55:56], v[7:8], v[83:84], v[55:56]
	ds_read_b128 v[5:8], v16 offset:1440
	v_add_f64 v[31:32], v[31:32], v[71:72]
	v_add_f64 v[9:10], v[9:10], v[61:62]
	s_waitcnt vmcnt(37) lgkmcnt(1)
	v_mul_f64 v[71:72], v[29:30], v[173:174]
	s_waitcnt vmcnt(36)
	v_fma_f64 v[73:74], v[1:2], v[186:187], -v[73:74]
	v_mul_f64 v[61:62], v[27:28], v[173:174]
	v_fma_f64 v[49:50], v[3:4], v[186:187], v[49:50]
	ds_read_b128 v[1:4], v16 offset:1456
	v_add_f64 v[31:32], v[31:32], v[63:64]
	v_add_f64 v[9:10], v[9:10], v[55:56]
	s_waitcnt vmcnt(35) lgkmcnt(1)
	v_mul_f64 v[63:64], v[7:8], v[179:180]
	v_mul_f64 v[55:56], v[5:6], v[179:180]
	s_waitcnt vmcnt(33)
	v_fma_f64 v[71:72], v[27:28], v[39:40], -v[71:72]
	v_fma_f64 v[39:40], v[29:30], v[39:40], v[61:62]
	ds_read_b128 v[27:30], v16 offset:1472
	v_add_f64 v[31:32], v[31:32], v[73:74]
	v_add_f64 v[9:10], v[9:10], v[49:50]
	s_waitcnt vmcnt(29) lgkmcnt(1)
	v_mul_f64 v[49:50], v[1:2], v[45:46]
	v_mul_f64 v[45:46], v[3:4], v[45:46]
	s_waitcnt vmcnt(28)
	v_fma_f64 v[61:62], v[5:6], v[183:184], -v[63:64]
	;; [unrolled: 9-line block ×3, first 2 shown]
	v_fma_f64 v[41:42], v[3:4], v[41:42], v[49:50]
	ds_read_b128 v[1:4], v16 offset:1504
	v_add_f64 v[31:32], v[31:32], v[61:62]
	v_add_f64 v[9:10], v[9:10], v[55:56]
	s_waitcnt vmcnt(21) lgkmcnt(1)
	v_mul_f64 v[55:56], v[7:8], v[161:162]
	s_waitcnt vmcnt(20)
	v_fma_f64 v[61:62], v[27:28], v[188:189], -v[63:64]
	v_mul_f64 v[49:50], v[5:6], v[161:162]
	v_fma_f64 v[39:40], v[29:30], v[188:189], v[39:40]
	ds_read_b128 v[27:30], v16 offset:1520
	v_add_f64 v[31:32], v[31:32], v[45:46]
	v_add_f64 v[9:10], v[9:10], v[41:42]
	s_waitcnt vmcnt(19) lgkmcnt(1)
	v_mul_f64 v[45:46], v[3:4], v[163:164]
	v_mul_f64 v[41:42], v[1:2], v[163:164]
	s_waitcnt vmcnt(17)
	v_fma_f64 v[55:56], v[5:6], v[47:48], -v[55:56]
	v_fma_f64 v[47:48], v[7:8], v[47:48], v[49:50]
	ds_read_b128 v[5:8], v16 offset:1536
	v_add_f64 v[31:32], v[31:32], v[61:62]
	v_add_f64 v[9:10], v[9:10], v[39:40]
	s_waitcnt vmcnt(13) lgkmcnt(1)
	v_mul_f64 v[39:40], v[27:28], v[37:38]
	v_mul_f64 v[37:38], v[29:30], v[37:38]
	s_waitcnt vmcnt(12)
	v_fma_f64 v[45:46], v[1:2], v[175:176], -v[45:46]
	;; [unrolled: 9-line block ×3, first 2 shown]
	v_fma_f64 v[29:30], v[29:30], v[53:54], v[39:40]
	v_add_f64 v[31:32], v[31:32], v[45:46]
	v_add_f64 v[9:10], v[9:10], v[41:42]
	s_waitcnt vmcnt(7) lgkmcnt(0)
	v_mul_f64 v[39:40], v[3:4], v[43:44]
	s_waitcnt vmcnt(6)
	v_fma_f64 v[5:6], v[5:6], v[171:172], -v[49:50]
	v_mul_f64 v[37:38], v[1:2], v[43:44]
	v_fma_f64 v[7:8], v[7:8], v[171:172], v[47:48]
	v_add_f64 v[27:28], v[31:32], v[27:28]
	v_add_f64 v[9:10], v[9:10], v[29:30]
	s_waitcnt vmcnt(4)
	v_fma_f64 v[1:2], v[1:2], v[51:52], -v[39:40]
	v_fma_f64 v[3:4], v[3:4], v[51:52], v[37:38]
	v_add_f64 v[5:6], v[27:28], v[5:6]
	v_add_f64 v[7:8], v[9:10], v[7:8]
	;; [unrolled: 1-line block ×4, first 2 shown]
	s_waitcnt vmcnt(2)
	v_add_f64 v[1:2], v[59:60], -v[1:2]
	s_waitcnt vmcnt(0)
	v_add_f64 v[3:4], v[69:70], -v[3:4]
	buffer_store_dword v2, off, s[0:3], 0 offset:84
	buffer_store_dword v1, off, s[0:3], 0 offset:80
	;; [unrolled: 1-line block ×4, first 2 shown]
	v_cmpx_lt_u32_e32 3, v0
	s_cbranch_execz .LBB48_301
; %bb.300:
	v_mov_b32_e32 v4, s58
	v_mov_b32_e32 v5, 0
	s_clause 0x3
	buffer_load_dword v1, v4, s[0:3], 0 offen
	buffer_load_dword v2, v4, s[0:3], 0 offen offset:4
	buffer_load_dword v3, v4, s[0:3], 0 offen offset:8
	;; [unrolled: 1-line block ×3, first 2 shown]
	buffer_store_dword v5, off, s[0:3], 0 offset:64
	buffer_store_dword v5, off, s[0:3], 0 offset:68
	;; [unrolled: 1-line block ×4, first 2 shown]
	s_waitcnt vmcnt(0)
	ds_write_b128 v11, v[1:4]
.LBB48_301:
	s_or_b32 exec_lo, exec_lo, s4
	s_waitcnt lgkmcnt(0)
	s_waitcnt_vscnt null, 0x0
	s_barrier
	buffer_gl0_inv
	s_clause 0x37
	buffer_load_dword v29, off, s[0:3], 0 offset:88
	buffer_load_dword v30, off, s[0:3], 0 offset:92
	;; [unrolled: 1-line block ×56, first 2 shown]
	v_mov_b32_e32 v16, 0
	s_mov_b32 s4, exec_lo
	ds_read_b128 v[165:168], v16 offset:848
	s_clause 0x2
	buffer_load_dword v162, off, s[0:3], 0 offset:316
	buffer_load_dword v164, off, s[0:3], 0 offset:292
	buffer_load_dword v163, off, s[0:3], 0 offset:288
	ds_read_b128 v[1:4], v16 offset:864
	s_clause 0x4
	buffer_load_dword v176, off, s[0:3], 0 offset:332
	buffer_load_dword v177, off, s[0:3], 0 offset:344
	;; [unrolled: 1-line block ×5, first 2 shown]
	ds_read_b128 v[169:172], v16 offset:880
	s_waitcnt vmcnt(62) lgkmcnt(2)
	v_mul_f64 v[173:174], v[167:168], v[29:30]
	v_mul_f64 v[29:30], v[165:166], v[29:30]
	s_waitcnt vmcnt(60) lgkmcnt(1)
	v_mul_f64 v[180:181], v[3:4], v[9:10]
	v_mul_f64 v[9:10], v[1:2], v[9:10]
	;; [unrolled: 3-line block ×3, first 2 shown]
	v_fma_f64 v[165:166], v[165:166], v[27:28], -v[173:174]
	v_fma_f64 v[167:168], v[167:168], v[27:28], v[29:30]
	s_clause 0x2
	buffer_load_dword v178, off, s[0:3], 0 offset:348
	buffer_load_dword v174, off, s[0:3], 0 offset:324
	;; [unrolled: 1-line block ×3, first 2 shown]
	s_waitcnt vmcnt(57)
	v_fma_f64 v[184:185], v[1:2], v[5:6], -v[180:181]
	ds_read_b128 v[27:30], v16 offset:896
	v_fma_f64 v[5:6], v[3:4], v[5:6], v[9:10]
	s_waitcnt vmcnt(51)
	v_fma_f64 v[169:170], v[169:170], v[49:50], -v[7:8]
	v_fma_f64 v[49:50], v[171:172], v[49:50], v[182:183]
	v_add_f64 v[165:166], v[165:166], 0
	v_add_f64 v[9:10], v[167:168], 0
	s_clause 0x4
	buffer_load_dword v168, off, s[0:3], 0 offset:364
	buffer_load_dword v181, off, s[0:3], 0 offset:376
	;; [unrolled: 1-line block ×5, first 2 shown]
	s_waitcnt lgkmcnt(0)
	v_mul_f64 v[187:188], v[27:28], v[37:38]
	v_mul_f64 v[37:38], v[29:30], v[37:38]
	ds_read_b128 v[1:4], v16 offset:912
	s_clause 0x2
	buffer_load_dword v182, off, s[0:3], 0 offset:380
	buffer_load_dword v172, off, s[0:3], 0 offset:356
	;; [unrolled: 1-line block ×3, first 2 shown]
	v_add_f64 v[165:166], v[165:166], v[184:185]
	v_add_f64 v[9:10], v[9:10], v[5:6]
	ds_read_b128 v[5:8], v16 offset:928
	s_waitcnt vmcnt(58) lgkmcnt(1)
	v_mul_f64 v[183:184], v[1:2], v[41:42]
	v_mul_f64 v[41:42], v[3:4], v[41:42]
	s_waitcnt vmcnt(56)
	v_fma_f64 v[37:38], v[27:28], v[43:44], -v[37:38]
	v_fma_f64 v[43:44], v[29:30], v[43:44], v[187:188]
	s_waitcnt vmcnt(52) lgkmcnt(0)
	v_mul_f64 v[189:190], v[5:6], v[45:46]
	v_add_f64 v[165:166], v[165:166], v[169:170]
	v_add_f64 v[9:10], v[9:10], v[49:50]
	s_clause 0x4
	buffer_load_dword v50, off, s[0:3], 0 offset:396
	buffer_load_dword v169, off, s[0:3], 0 offset:408
	;; [unrolled: 1-line block ×5, first 2 shown]
	v_mul_f64 v[45:46], v[7:8], v[45:46]
	s_waitcnt vmcnt(56)
	v_fma_f64 v[41:42], v[1:2], v[31:32], -v[41:42]
	ds_read_b128 v[27:30], v16 offset:944
	v_fma_f64 v[31:32], v[3:4], v[31:32], v[183:184]
	v_add_f64 v[37:38], v[165:166], v[37:38]
	v_add_f64 v[9:10], v[9:10], v[43:44]
	s_clause 0x2
	buffer_load_dword v170, off, s[0:3], 0 offset:412
	buffer_load_dword v44, off, s[0:3], 0 offset:388
	;; [unrolled: 1-line block ×3, first 2 shown]
	s_waitcnt vmcnt(58) lgkmcnt(0)
	v_mul_f64 v[165:166], v[27:28], v[51:52]
	v_mul_f64 v[51:52], v[29:30], v[51:52]
	s_waitcnt vmcnt(56)
	v_fma_f64 v[45:46], v[5:6], v[53:54], -v[45:46]
	ds_read_b128 v[1:4], v16 offset:960
	v_add_f64 v[37:38], v[37:38], v[41:42]
	v_fma_f64 v[41:42], v[7:8], v[53:54], v[189:190]
	v_add_f64 v[9:10], v[9:10], v[31:32]
	s_clause 0x4
	buffer_load_dword v32, off, s[0:3], 0 offset:428
	buffer_load_dword v53, off, s[0:3], 0 offset:440
	;; [unrolled: 1-line block ×5, first 2 shown]
	s_waitcnt vmcnt(57) lgkmcnt(0)
	v_mul_f64 v[184:185], v[1:2], v[55:56]
	v_mul_f64 v[55:56], v[3:4], v[55:56]
	s_waitcnt vmcnt(56)
	v_fma_f64 v[51:52], v[27:28], v[39:40], -v[51:52]
	ds_read_b128 v[5:8], v16 offset:976
	v_fma_f64 v[39:40], v[29:30], v[39:40], v[165:166]
	v_add_f64 v[37:38], v[37:38], v[45:46]
	v_add_f64 v[9:10], v[9:10], v[41:42]
	s_clause 0x2
	buffer_load_dword v54, off, s[0:3], 0 offset:444
	buffer_load_dword v42, off, s[0:3], 0 offset:420
	;; [unrolled: 1-line block ×3, first 2 shown]
	ds_read_b128 v[27:30], v16 offset:992
	s_waitcnt vmcnt(58) lgkmcnt(1)
	v_mul_f64 v[45:46], v[5:6], v[59:60]
	v_mul_f64 v[59:60], v[7:8], v[59:60]
	s_waitcnt vmcnt(56)
	v_fma_f64 v[55:56], v[1:2], v[61:62], -v[55:56]
	v_add_f64 v[37:38], v[37:38], v[51:52]
	v_fma_f64 v[51:52], v[3:4], v[61:62], v[184:185]
	v_add_f64 v[9:10], v[9:10], v[39:40]
	s_clause 0x4
	buffer_load_dword v40, off, s[0:3], 0 offset:460
	buffer_load_dword v61, off, s[0:3], 0 offset:472
	;; [unrolled: 1-line block ×5, first 2 shown]
	s_waitcnt vmcnt(57) lgkmcnt(0)
	v_mul_f64 v[190:191], v[27:28], v[63:64]
	v_mul_f64 v[63:64], v[29:30], v[63:64]
	s_waitcnt vmcnt(56)
	v_fma_f64 v[59:60], v[5:6], v[47:48], -v[59:60]
	ds_read_b128 v[1:4], v16 offset:1008
	v_fma_f64 v[45:46], v[7:8], v[47:48], v[45:46]
	s_clause 0x2
	buffer_load_dword v62, off, s[0:3], 0 offset:476
	buffer_load_dword v48, off, s[0:3], 0 offset:452
	;; [unrolled: 1-line block ×3, first 2 shown]
	ds_read_b128 v[5:8], v16 offset:1024
	v_add_f64 v[37:38], v[37:38], v[55:56]
	v_add_f64 v[9:10], v[9:10], v[51:52]
	s_waitcnt vmcnt(58) lgkmcnt(1)
	v_mul_f64 v[55:56], v[3:4], v[71:72]
	s_waitcnt vmcnt(56)
	v_fma_f64 v[63:64], v[27:28], v[73:74], -v[63:64]
	v_mul_f64 v[51:52], v[1:2], v[71:72]
	v_add_f64 v[37:38], v[37:38], v[59:60]
	v_fma_f64 v[59:60], v[29:30], v[73:74], v[190:191]
	v_add_f64 v[9:10], v[9:10], v[45:46]
	s_clause 0x4
	buffer_load_dword v46, off, s[0:3], 0 offset:492
	buffer_load_dword v71, off, s[0:3], 0 offset:504
	;; [unrolled: 1-line block ×5, first 2 shown]
	s_waitcnt vmcnt(57) lgkmcnt(0)
	v_mul_f64 v[190:191], v[5:6], v[75:76]
	v_mul_f64 v[74:75], v[7:8], v[75:76]
	s_waitcnt vmcnt(56)
	v_fma_f64 v[55:56], v[1:2], v[57:58], -v[55:56]
	ds_read_b128 v[27:30], v16 offset:1040
	v_fma_f64 v[51:52], v[3:4], v[57:58], v[51:52]
	s_clause 0x2
	buffer_load_dword v72, off, s[0:3], 0 offset:508
	buffer_load_dword v58, off, s[0:3], 0 offset:484
	buffer_load_dword v57, off, s[0:3], 0 offset:480
	ds_read_b128 v[1:4], v16 offset:1056
	v_add_f64 v[37:38], v[37:38], v[63:64]
	v_add_f64 v[9:10], v[9:10], v[59:60]
	s_waitcnt vmcnt(58) lgkmcnt(1)
	v_mul_f64 v[63:64], v[29:30], v[83:84]
	s_waitcnt vmcnt(56)
	v_fma_f64 v[75:76], v[5:6], v[85:86], -v[74:75]
	v_mul_f64 v[59:60], v[27:28], v[83:84]
	v_add_f64 v[37:38], v[37:38], v[55:56]
	v_fma_f64 v[55:56], v[7:8], v[85:86], v[190:191]
	v_add_f64 v[9:10], v[9:10], v[51:52]
	s_clause 0x4
	buffer_load_dword v52, off, s[0:3], 0 offset:524
	buffer_load_dword v83, off, s[0:3], 0 offset:536
	;; [unrolled: 1-line block ×5, first 2 shown]
	s_waitcnt vmcnt(57) lgkmcnt(0)
	v_mul_f64 v[190:191], v[1:2], v[87:88]
	v_mul_f64 v[86:87], v[3:4], v[87:88]
	s_waitcnt vmcnt(56)
	v_fma_f64 v[63:64], v[27:28], v[69:70], -v[63:64]
	ds_read_b128 v[5:8], v16 offset:1072
	v_fma_f64 v[59:60], v[29:30], v[69:70], v[59:60]
	v_add_f64 v[37:38], v[37:38], v[75:76]
	v_add_f64 v[9:10], v[9:10], v[55:56]
	s_clause 0x2
	buffer_load_dword v84, off, s[0:3], 0 offset:540
	buffer_load_dword v56, off, s[0:3], 0 offset:516
	;; [unrolled: 1-line block ×3, first 2 shown]
	ds_read_b128 v[27:30], v16 offset:1088
	s_waitcnt vmcnt(58) lgkmcnt(1)
	v_mul_f64 v[75:76], v[7:8], v[161:162]
	s_waitcnt vmcnt(56)
	v_fma_f64 v[87:88], v[1:2], v[163:164], -v[86:87]
	v_mul_f64 v[69:70], v[5:6], v[161:162]
	v_add_f64 v[37:38], v[37:38], v[63:64]
	v_fma_f64 v[63:64], v[3:4], v[163:164], v[190:191]
	v_add_f64 v[9:10], v[9:10], v[59:60]
	s_clause 0x4
	buffer_load_dword v60, off, s[0:3], 0 offset:556
	buffer_load_dword v161, off, s[0:3], 0 offset:568
	;; [unrolled: 1-line block ×5, first 2 shown]
	s_waitcnt vmcnt(57) lgkmcnt(0)
	v_mul_f64 v[190:191], v[27:28], v[175:176]
	v_mul_f64 v[175:176], v[29:30], v[175:176]
	s_waitcnt vmcnt(56)
	v_fma_f64 v[75:76], v[5:6], v[81:82], -v[75:76]
	ds_read_b128 v[1:4], v16 offset:1104
	v_fma_f64 v[69:70], v[7:8], v[81:82], v[69:70]
	v_add_f64 v[37:38], v[37:38], v[87:88]
	v_add_f64 v[9:10], v[9:10], v[63:64]
	s_clause 0x2
	buffer_load_dword v162, off, s[0:3], 0 offset:572
	buffer_load_dword v64, off, s[0:3], 0 offset:548
	;; [unrolled: 1-line block ×3, first 2 shown]
	ds_read_b128 v[5:8], v16 offset:1120
	s_waitcnt vmcnt(58) lgkmcnt(1)
	v_mul_f64 v[87:88], v[3:4], v[177:178]
	v_mul_f64 v[81:82], v[1:2], v[177:178]
	s_waitcnt vmcnt(56)
	v_fma_f64 v[175:176], v[27:28], v[173:174], -v[175:176]
	v_add_f64 v[37:38], v[37:38], v[75:76]
	v_fma_f64 v[75:76], v[29:30], v[173:174], v[190:191]
	v_add_f64 v[9:10], v[9:10], v[69:70]
	s_clause 0x4
	buffer_load_dword v70, off, s[0:3], 0 offset:588
	buffer_load_dword v173, off, s[0:3], 0 offset:600
	;; [unrolled: 1-line block ×5, first 2 shown]
	ds_read_b128 v[27:30], v16 offset:1136
	s_waitcnt vmcnt(57) lgkmcnt(1)
	v_mul_f64 v[190:191], v[5:6], v[167:168]
	v_mul_f64 v[167:168], v[7:8], v[167:168]
	s_waitcnt vmcnt(56)
	v_fma_f64 v[87:88], v[1:2], v[179:180], -v[87:88]
	v_fma_f64 v[81:82], v[3:4], v[179:180], v[81:82]
	v_add_f64 v[37:38], v[37:38], v[175:176]
	v_add_f64 v[9:10], v[9:10], v[75:76]
	s_clause 0x2
	buffer_load_dword v174, off, s[0:3], 0 offset:604
	buffer_load_dword v76, off, s[0:3], 0 offset:580
	;; [unrolled: 1-line block ×3, first 2 shown]
	s_waitcnt vmcnt(58) lgkmcnt(0)
	v_mul_f64 v[179:180], v[29:30], v[181:182]
	ds_read_b128 v[1:4], v16 offset:1152
	v_mul_f64 v[175:176], v[27:28], v[181:182]
	s_waitcnt vmcnt(56)
	v_fma_f64 v[167:168], v[5:6], v[171:172], -v[167:168]
	v_add_f64 v[37:38], v[37:38], v[87:88]
	v_fma_f64 v[87:88], v[7:8], v[171:172], v[190:191]
	v_add_f64 v[9:10], v[9:10], v[81:82]
	s_clause 0x4
	buffer_load_dword v82, off, s[0:3], 0 offset:620
	buffer_load_dword v171, off, s[0:3], 0 offset:632
	;; [unrolled: 1-line block ×5, first 2 shown]
	ds_read_b128 v[5:8], v16 offset:1168
	s_waitcnt vmcnt(57) lgkmcnt(1)
	v_mul_f64 v[190:191], v[1:2], v[49:50]
	v_mul_f64 v[49:50], v[3:4], v[49:50]
	s_waitcnt vmcnt(56)
	v_fma_f64 v[179:180], v[27:28], v[186:187], -v[179:180]
	v_add_f64 v[37:38], v[37:38], v[167:168]
	v_fma_f64 v[167:168], v[29:30], v[186:187], v[175:176]
	v_add_f64 v[9:10], v[9:10], v[87:88]
	s_clause 0x2
	buffer_load_dword v172, off, s[0:3], 0 offset:636
	buffer_load_dword v88, off, s[0:3], 0 offset:612
	;; [unrolled: 1-line block ×3, first 2 shown]
	ds_read_b128 v[27:30], v16 offset:1184
	s_waitcnt vmcnt(58) lgkmcnt(1)
	v_mul_f64 v[175:176], v[5:6], v[169:170]
	v_mul_f64 v[169:170], v[7:8], v[169:170]
	s_waitcnt vmcnt(56)
	v_fma_f64 v[49:50], v[1:2], v[43:44], -v[49:50]
	v_fma_f64 v[43:44], v[3:4], v[43:44], v[190:191]
	v_add_f64 v[37:38], v[37:38], v[179:180]
	v_add_f64 v[9:10], v[9:10], v[167:168]
	s_clause 0x4
	buffer_load_dword v168, off, s[0:3], 0 offset:652
	buffer_load_dword v179, off, s[0:3], 0 offset:664
	;; [unrolled: 1-line block ×5, first 2 shown]
	ds_read_b128 v[1:4], v16 offset:1200
	s_waitcnt vmcnt(57) lgkmcnt(1)
	v_mul_f64 v[186:187], v[27:28], v[31:32]
	v_mul_f64 v[31:32], v[29:30], v[31:32]
	s_waitcnt vmcnt(56)
	v_fma_f64 v[169:170], v[5:6], v[188:189], -v[169:170]
	v_add_f64 v[37:38], v[37:38], v[49:50]
	v_fma_f64 v[49:50], v[7:8], v[188:189], v[175:176]
	v_add_f64 v[9:10], v[9:10], v[43:44]
	s_clause 0x2
	buffer_load_dword v180, off, s[0:3], 0 offset:668
	buffer_load_dword v44, off, s[0:3], 0 offset:644
	;; [unrolled: 1-line block ×3, first 2 shown]
	ds_read_b128 v[5:8], v16 offset:1216
	s_waitcnt vmcnt(58) lgkmcnt(1)
	v_mul_f64 v[175:176], v[1:2], v[53:54]
	v_mul_f64 v[53:54], v[3:4], v[53:54]
	s_waitcnt vmcnt(56)
	v_fma_f64 v[31:32], v[27:28], v[41:42], -v[31:32]
	v_fma_f64 v[41:42], v[29:30], v[41:42], v[186:187]
	v_add_f64 v[37:38], v[37:38], v[169:170]
	v_add_f64 v[9:10], v[9:10], v[49:50]
	s_clause 0x4
	buffer_load_dword v50, off, s[0:3], 0 offset:684
	buffer_load_dword v169, off, s[0:3], 0 offset:696
	;; [unrolled: 1-line block ×5, first 2 shown]
	ds_read_b128 v[27:30], v16 offset:1232
	s_waitcnt vmcnt(57) lgkmcnt(1)
	v_mul_f64 v[188:189], v[5:6], v[39:40]
	v_mul_f64 v[39:40], v[7:8], v[39:40]
	s_waitcnt vmcnt(56)
	v_fma_f64 v[53:54], v[1:2], v[183:184], -v[53:54]
	v_add_f64 v[31:32], v[37:38], v[31:32]
	v_fma_f64 v[37:38], v[3:4], v[183:184], v[175:176]
	v_add_f64 v[9:10], v[9:10], v[41:42]
	s_clause 0x2
	buffer_load_dword v170, off, s[0:3], 0 offset:700
	buffer_load_dword v42, off, s[0:3], 0 offset:676
	;; [unrolled: 1-line block ×3, first 2 shown]
	s_waitcnt vmcnt(58) lgkmcnt(0)
	v_mul_f64 v[175:176], v[27:28], v[61:62]
	v_mul_f64 v[61:62], v[29:30], v[61:62]
	ds_read_b128 v[1:4], v16 offset:1248
	s_waitcnt vmcnt(56)
	v_fma_f64 v[39:40], v[5:6], v[47:48], -v[39:40]
	v_fma_f64 v[47:48], v[7:8], v[47:48], v[188:189]
	v_add_f64 v[31:32], v[31:32], v[53:54]
	v_add_f64 v[9:10], v[9:10], v[37:38]
	s_clause 0x4
	buffer_load_dword v38, off, s[0:3], 0 offset:716
	buffer_load_dword v53, off, s[0:3], 0 offset:728
	;; [unrolled: 1-line block ×5, first 2 shown]
	ds_read_b128 v[5:8], v16 offset:1264
	s_waitcnt vmcnt(57) lgkmcnt(1)
	v_mul_f64 v[189:190], v[1:2], v[45:46]
	v_mul_f64 v[45:46], v[3:4], v[45:46]
	s_waitcnt vmcnt(56)
	v_fma_f64 v[61:62], v[27:28], v[165:166], -v[61:62]
	v_add_f64 v[31:32], v[31:32], v[39:40]
	v_fma_f64 v[39:40], v[29:30], v[165:166], v[175:176]
	v_add_f64 v[9:10], v[9:10], v[47:48]
	s_clause 0x2
	buffer_load_dword v54, off, s[0:3], 0 offset:732
	buffer_load_dword v48, off, s[0:3], 0 offset:708
	;; [unrolled: 1-line block ×3, first 2 shown]
	s_waitcnt vmcnt(58) lgkmcnt(0)
	v_mul_f64 v[165:166], v[5:6], v[71:72]
	v_mul_f64 v[71:72], v[7:8], v[71:72]
	ds_read_b128 v[27:30], v16 offset:1280
	s_waitcnt vmcnt(56)
	v_fma_f64 v[45:46], v[1:2], v[57:58], -v[45:46]
	v_fma_f64 v[57:58], v[3:4], v[57:58], v[189:190]
	v_add_f64 v[31:32], v[31:32], v[61:62]
	v_add_f64 v[9:10], v[9:10], v[39:40]
	s_clause 0x4
	buffer_load_dword v40, off, s[0:3], 0 offset:748
	buffer_load_dword v61, off, s[0:3], 0 offset:760
	;; [unrolled: 1-line block ×5, first 2 shown]
	ds_read_b128 v[1:4], v16 offset:1296
	s_waitcnt vmcnt(57) lgkmcnt(1)
	v_mul_f64 v[189:190], v[27:28], v[51:52]
	v_mul_f64 v[51:52], v[29:30], v[51:52]
	s_waitcnt vmcnt(56)
	v_fma_f64 v[71:72], v[5:6], v[73:74], -v[71:72]
	v_add_f64 v[31:32], v[31:32], v[45:46]
	v_fma_f64 v[45:46], v[7:8], v[73:74], v[165:166]
	v_add_f64 v[9:10], v[9:10], v[57:58]
	s_clause 0x2
	buffer_load_dword v62, off, s[0:3], 0 offset:764
	buffer_load_dword v58, off, s[0:3], 0 offset:740
	;; [unrolled: 1-line block ×3, first 2 shown]
	ds_read_b128 v[5:8], v16 offset:1312
	s_waitcnt vmcnt(58) lgkmcnt(1)
	v_mul_f64 v[73:74], v[1:2], v[83:84]
	v_mul_f64 v[83:84], v[3:4], v[83:84]
	s_waitcnt vmcnt(56)
	v_fma_f64 v[51:52], v[27:28], v[55:56], -v[51:52]
	v_fma_f64 v[55:56], v[29:30], v[55:56], v[189:190]
	v_add_f64 v[31:32], v[31:32], v[71:72]
	v_add_f64 v[9:10], v[9:10], v[45:46]
	s_clause 0x4
	buffer_load_dword v46, off, s[0:3], 0 offset:780
	buffer_load_dword v71, off, s[0:3], 0 offset:792
	;; [unrolled: 1-line block ×5, first 2 shown]
	ds_read_b128 v[27:30], v16 offset:1328
	s_waitcnt vmcnt(57) lgkmcnt(1)
	v_mul_f64 v[189:190], v[5:6], v[59:60]
	v_mul_f64 v[59:60], v[7:8], v[59:60]
	s_waitcnt vmcnt(56)
	v_fma_f64 v[83:84], v[1:2], v[85:86], -v[83:84]
	v_add_f64 v[31:32], v[31:32], v[51:52]
	v_fma_f64 v[51:52], v[3:4], v[85:86], v[73:74]
	v_add_f64 v[9:10], v[9:10], v[55:56]
	s_clause 0x2
	buffer_load_dword v72, off, s[0:3], 0 offset:796
	buffer_load_dword v56, off, s[0:3], 0 offset:772
	;; [unrolled: 1-line block ×3, first 2 shown]
	ds_read_b128 v[1:4], v16 offset:1344
	buffer_load_dword v166, off, s[0:3], 0 offset:788
	s_waitcnt vmcnt(59) lgkmcnt(1)
	v_mul_f64 v[85:86], v[29:30], v[161:162]
	v_mul_f64 v[73:74], v[27:28], v[161:162]
	s_waitcnt vmcnt(57)
	v_fma_f64 v[59:60], v[5:6], v[63:64], -v[59:60]
	v_fma_f64 v[63:64], v[7:8], v[63:64], v[189:190]
	ds_read_b128 v[5:8], v16 offset:1360
	v_add_f64 v[31:32], v[31:32], v[83:84]
	v_add_f64 v[9:10], v[9:10], v[51:52]
	s_waitcnt vmcnt(53) lgkmcnt(1)
	v_mul_f64 v[51:52], v[1:2], v[69:70]
	v_mul_f64 v[69:70], v[3:4], v[69:70]
	s_waitcnt vmcnt(52)
	v_fma_f64 v[83:84], v[27:28], v[163:164], -v[85:86]
	v_add_f64 v[31:32], v[31:32], v[59:60]
	v_fma_f64 v[59:60], v[29:30], v[163:164], v[73:74]
	v_add_f64 v[9:10], v[9:10], v[63:64]
	ds_read_b128 v[27:30], v16 offset:1376
	s_waitcnt vmcnt(51) lgkmcnt(1)
	v_mul_f64 v[73:74], v[7:8], v[173:174]
	v_mul_f64 v[63:64], v[5:6], v[173:174]
	s_waitcnt vmcnt(49)
	v_fma_f64 v[69:70], v[1:2], v[75:76], -v[69:70]
	v_fma_f64 v[51:52], v[3:4], v[75:76], v[51:52]
	v_add_f64 v[31:32], v[31:32], v[83:84]
	v_add_f64 v[9:10], v[9:10], v[59:60]
	s_clause 0x3
	buffer_load_dword v59, off, s[0:3], 0 offset:64
	buffer_load_dword v60, off, s[0:3], 0 offset:68
	;; [unrolled: 1-line block ×4, first 2 shown]
	ds_read_b128 v[1:4], v16 offset:1392
	s_waitcnt vmcnt(49) lgkmcnt(1)
	v_mul_f64 v[83:84], v[27:28], v[81:82]
	v_mul_f64 v[81:82], v[29:30], v[81:82]
	s_waitcnt vmcnt(48)
	v_fma_f64 v[73:74], v[5:6], v[177:178], -v[73:74]
	v_fma_f64 v[63:64], v[7:8], v[177:178], v[63:64]
	ds_read_b128 v[5:8], v16 offset:1408
	v_add_f64 v[31:32], v[31:32], v[69:70]
	v_add_f64 v[9:10], v[9:10], v[51:52]
	s_waitcnt vmcnt(47) lgkmcnt(1)
	v_mul_f64 v[69:70], v[3:4], v[171:172]
	v_mul_f64 v[51:52], v[1:2], v[171:172]
	s_waitcnt vmcnt(45)
	v_fma_f64 v[81:82], v[27:28], v[87:88], -v[81:82]
	v_add_f64 v[31:32], v[31:32], v[73:74]
	v_fma_f64 v[73:74], v[29:30], v[87:88], v[83:84]
	v_add_f64 v[9:10], v[9:10], v[63:64]
	ds_read_b128 v[27:30], v16 offset:1424
	s_waitcnt vmcnt(41) lgkmcnt(1)
	v_mul_f64 v[83:84], v[7:8], v[167:168]
	s_waitcnt vmcnt(40)
	v_fma_f64 v[69:70], v[1:2], v[181:182], -v[69:70]
	v_mul_f64 v[63:64], v[5:6], v[167:168]
	v_fma_f64 v[51:52], v[3:4], v[181:182], v[51:52]
	ds_read_b128 v[1:4], v16 offset:1440
	v_add_f64 v[31:32], v[31:32], v[81:82]
	v_add_f64 v[9:10], v[9:10], v[73:74]
	s_waitcnt vmcnt(39) lgkmcnt(1)
	v_mul_f64 v[81:82], v[29:30], v[179:180]
	v_mul_f64 v[73:74], v[27:28], v[179:180]
	s_waitcnt vmcnt(37)
	v_fma_f64 v[83:84], v[5:6], v[43:44], -v[83:84]
	v_fma_f64 v[43:44], v[7:8], v[43:44], v[63:64]
	ds_read_b128 v[5:8], v16 offset:1456
	v_add_f64 v[31:32], v[31:32], v[69:70]
	v_add_f64 v[9:10], v[9:10], v[51:52]
	s_waitcnt vmcnt(33) lgkmcnt(1)
	v_mul_f64 v[51:52], v[1:2], v[49:50]
	v_mul_f64 v[49:50], v[3:4], v[49:50]
	s_waitcnt vmcnt(32)
	v_fma_f64 v[63:64], v[27:28], v[185:186], -v[81:82]
	;; [unrolled: 9-line block ×6, first 2 shown]
	v_add_f64 v[31:32], v[31:32], v[37:38]
	v_fma_f64 v[37:38], v[3:4], v[183:184], v[41:42]
	v_add_f64 v[9:10], v[9:10], v[47:48]
	ds_read_b128 v[1:4], v16 offset:1536
	s_waitcnt vmcnt(15) lgkmcnt(1)
	v_mul_f64 v[47:48], v[29:30], v[61:62]
	v_mul_f64 v[41:42], v[27:28], v[61:62]
	s_waitcnt vmcnt(13)
	v_fma_f64 v[39:40], v[5:6], v[57:58], -v[39:40]
	v_fma_f64 v[43:44], v[7:8], v[57:58], v[43:44]
	ds_read_b128 v[5:8], v16 offset:1552
	v_add_f64 v[31:32], v[31:32], v[49:50]
	v_add_f64 v[9:10], v[9:10], v[37:38]
	s_waitcnt vmcnt(9) lgkmcnt(1)
	v_mul_f64 v[37:38], v[1:2], v[45:46]
	v_mul_f64 v[45:46], v[3:4], v[45:46]
	s_waitcnt vmcnt(8)
	v_fma_f64 v[27:28], v[27:28], v[175:176], -v[47:48]
	v_fma_f64 v[29:30], v[29:30], v[175:176], v[41:42]
	v_add_f64 v[31:32], v[31:32], v[39:40]
	v_add_f64 v[9:10], v[9:10], v[43:44]
	s_waitcnt vmcnt(7) lgkmcnt(0)
	v_mul_f64 v[41:42], v[7:8], v[71:72]
	v_mul_f64 v[39:40], v[5:6], v[71:72]
	s_waitcnt vmcnt(5)
	v_fma_f64 v[1:2], v[1:2], v[55:56], -v[45:46]
	v_fma_f64 v[3:4], v[3:4], v[55:56], v[37:38]
	v_add_f64 v[27:28], v[31:32], v[27:28]
	v_add_f64 v[9:10], v[9:10], v[29:30]
	s_waitcnt vmcnt(4)
	v_fma_f64 v[5:6], v[5:6], v[165:166], -v[41:42]
	v_fma_f64 v[7:8], v[7:8], v[165:166], v[39:40]
	v_add_f64 v[1:2], v[27:28], v[1:2]
	v_add_f64 v[3:4], v[9:10], v[3:4]
	;; [unrolled: 1-line block ×4, first 2 shown]
	s_waitcnt vmcnt(2)
	v_add_f64 v[1:2], v[59:60], -v[1:2]
	s_waitcnt vmcnt(0)
	v_add_f64 v[3:4], v[75:76], -v[3:4]
	buffer_store_dword v2, off, s[0:3], 0 offset:68
	buffer_store_dword v1, off, s[0:3], 0 offset:64
	;; [unrolled: 1-line block ×4, first 2 shown]
	v_cmpx_lt_u32_e32 2, v0
	s_cbranch_execz .LBB48_303
; %bb.302:
	v_mov_b32_e32 v4, s59
	s_clause 0x3
	buffer_load_dword v1, v4, s[0:3], 0 offen
	buffer_load_dword v2, v4, s[0:3], 0 offen offset:4
	buffer_load_dword v3, v4, s[0:3], 0 offen offset:8
	;; [unrolled: 1-line block ×3, first 2 shown]
	buffer_store_dword v16, off, s[0:3], 0 offset:48
	buffer_store_dword v16, off, s[0:3], 0 offset:52
	;; [unrolled: 1-line block ×4, first 2 shown]
	s_waitcnt vmcnt(0)
	ds_write_b128 v11, v[1:4]
.LBB48_303:
	s_or_b32 exec_lo, exec_lo, s4
	s_waitcnt lgkmcnt(0)
	s_waitcnt_vscnt null, 0x0
	s_barrier
	buffer_gl0_inv
	s_clause 0x37
	buffer_load_dword v37, off, s[0:3], 0 offset:72
	buffer_load_dword v38, off, s[0:3], 0 offset:76
	;; [unrolled: 1-line block ×56, first 2 shown]
	ds_read_b128 v[5:8], v16 offset:832
	s_clause 0x2
	buffer_load_dword v166, off, s[0:3], 0 offset:300
	buffer_load_dword v168, off, s[0:3], 0 offset:276
	;; [unrolled: 1-line block ×3, first 2 shown]
	ds_read_b128 v[1:4], v16 offset:848
	s_clause 0x4
	buffer_load_dword v176, off, s[0:3], 0 offset:316
	buffer_load_dword v177, off, s[0:3], 0 offset:328
	;; [unrolled: 1-line block ×5, first 2 shown]
	ds_read_b128 v[169:172], v16 offset:864
	s_mov_b32 s4, exec_lo
	s_waitcnt vmcnt(62) lgkmcnt(2)
	v_mul_f64 v[173:174], v[7:8], v[37:38]
	v_mul_f64 v[37:38], v[5:6], v[37:38]
	s_waitcnt vmcnt(60) lgkmcnt(1)
	v_mul_f64 v[180:181], v[3:4], v[29:30]
	v_mul_f64 v[29:30], v[1:2], v[29:30]
	;; [unrolled: 3-line block ×3, first 2 shown]
	v_fma_f64 v[173:174], v[5:6], v[31:32], -v[173:174]
	v_fma_f64 v[31:32], v[7:8], v[31:32], v[37:38]
	s_clause 0x2
	buffer_load_dword v178, off, s[0:3], 0 offset:332
	buffer_load_dword v38, off, s[0:3], 0 offset:308
	;; [unrolled: 1-line block ×3, first 2 shown]
	s_waitcnt vmcnt(57)
	v_fma_f64 v[184:185], v[1:2], v[9:10], -v[180:181]
	ds_read_b128 v[5:8], v16 offset:880
	v_fma_f64 v[9:10], v[3:4], v[9:10], v[29:30]
	s_waitcnt vmcnt(51)
	v_fma_f64 v[169:170], v[169:170], v[53:54], -v[27:28]
	v_fma_f64 v[53:54], v[171:172], v[53:54], v[182:183]
	v_add_f64 v[173:174], v[173:174], 0
	v_add_f64 v[29:30], v[31:32], 0
	s_clause 0x4
	buffer_load_dword v32, off, s[0:3], 0 offset:348
	buffer_load_dword v181, off, s[0:3], 0 offset:360
	;; [unrolled: 1-line block ×5, first 2 shown]
	s_waitcnt lgkmcnt(0)
	v_mul_f64 v[187:188], v[5:6], v[41:42]
	v_mul_f64 v[41:42], v[7:8], v[41:42]
	ds_read_b128 v[1:4], v16 offset:896
	s_clause 0x2
	buffer_load_dword v182, off, s[0:3], 0 offset:364
	buffer_load_dword v172, off, s[0:3], 0 offset:340
	buffer_load_dword v171, off, s[0:3], 0 offset:336
	v_add_f64 v[173:174], v[173:174], v[184:185]
	v_add_f64 v[9:10], v[29:30], v[9:10]
	ds_read_b128 v[27:30], v16 offset:912
	s_waitcnt vmcnt(58) lgkmcnt(1)
	v_mul_f64 v[183:184], v[1:2], v[45:46]
	v_mul_f64 v[45:46], v[3:4], v[45:46]
	s_waitcnt vmcnt(56)
	v_fma_f64 v[41:42], v[5:6], v[47:48], -v[41:42]
	v_fma_f64 v[47:48], v[7:8], v[47:48], v[187:188]
	s_waitcnt vmcnt(52) lgkmcnt(0)
	v_mul_f64 v[189:190], v[27:28], v[49:50]
	v_add_f64 v[169:170], v[173:174], v[169:170]
	v_add_f64 v[9:10], v[9:10], v[53:54]
	s_clause 0x4
	buffer_load_dword v54, off, s[0:3], 0 offset:380
	buffer_load_dword v173, off, s[0:3], 0 offset:392
	;; [unrolled: 1-line block ×5, first 2 shown]
	v_mul_f64 v[49:50], v[29:30], v[49:50]
	s_waitcnt vmcnt(56)
	v_fma_f64 v[45:46], v[1:2], v[39:40], -v[45:46]
	ds_read_b128 v[5:8], v16 offset:928
	v_fma_f64 v[39:40], v[3:4], v[39:40], v[183:184]
	v_add_f64 v[41:42], v[169:170], v[41:42]
	v_add_f64 v[9:10], v[9:10], v[47:48]
	s_clause 0x2
	buffer_load_dword v174, off, s[0:3], 0 offset:396
	buffer_load_dword v48, off, s[0:3], 0 offset:372
	;; [unrolled: 1-line block ×3, first 2 shown]
	s_waitcnt vmcnt(58) lgkmcnt(0)
	v_mul_f64 v[169:170], v[5:6], v[55:56]
	v_mul_f64 v[55:56], v[7:8], v[55:56]
	s_waitcnt vmcnt(56)
	v_fma_f64 v[49:50], v[27:28], v[57:58], -v[49:50]
	ds_read_b128 v[1:4], v16 offset:944
	v_add_f64 v[41:42], v[41:42], v[45:46]
	v_fma_f64 v[45:46], v[29:30], v[57:58], v[189:190]
	v_add_f64 v[9:10], v[9:10], v[39:40]
	s_clause 0x4
	buffer_load_dword v40, off, s[0:3], 0 offset:412
	buffer_load_dword v57, off, s[0:3], 0 offset:424
	buffer_load_dword v183, off, s[0:3], 0 offset:416
	buffer_load_dword v39, off, s[0:3], 0 offset:408
	buffer_load_dword v189, off, s[0:3], 0 offset:388
	s_waitcnt vmcnt(57) lgkmcnt(0)
	v_mul_f64 v[184:185], v[1:2], v[59:60]
	v_mul_f64 v[59:60], v[3:4], v[59:60]
	s_waitcnt vmcnt(56)
	v_fma_f64 v[55:56], v[5:6], v[43:44], -v[55:56]
	ds_read_b128 v[27:30], v16 offset:960
	v_fma_f64 v[43:44], v[7:8], v[43:44], v[169:170]
	v_add_f64 v[41:42], v[41:42], v[49:50]
	v_add_f64 v[9:10], v[9:10], v[45:46]
	s_clause 0x2
	buffer_load_dword v58, off, s[0:3], 0 offset:428
	buffer_load_dword v46, off, s[0:3], 0 offset:404
	;; [unrolled: 1-line block ×3, first 2 shown]
	ds_read_b128 v[5:8], v16 offset:976
	s_waitcnt vmcnt(58) lgkmcnt(1)
	v_mul_f64 v[49:50], v[27:28], v[63:64]
	v_mul_f64 v[63:64], v[29:30], v[63:64]
	s_waitcnt vmcnt(56)
	v_fma_f64 v[59:60], v[1:2], v[69:70], -v[59:60]
	v_add_f64 v[41:42], v[41:42], v[55:56]
	v_fma_f64 v[55:56], v[3:4], v[69:70], v[184:185]
	v_add_f64 v[9:10], v[9:10], v[43:44]
	s_clause 0x4
	buffer_load_dword v44, off, s[0:3], 0 offset:444
	buffer_load_dword v69, off, s[0:3], 0 offset:456
	;; [unrolled: 1-line block ×5, first 2 shown]
	s_waitcnt vmcnt(57) lgkmcnt(0)
	v_mul_f64 v[190:191], v[5:6], v[71:72]
	v_mul_f64 v[71:72], v[7:8], v[71:72]
	s_waitcnt vmcnt(56)
	v_fma_f64 v[63:64], v[27:28], v[51:52], -v[63:64]
	ds_read_b128 v[1:4], v16 offset:992
	v_fma_f64 v[49:50], v[29:30], v[51:52], v[49:50]
	s_clause 0x2
	buffer_load_dword v70, off, s[0:3], 0 offset:460
	buffer_load_dword v52, off, s[0:3], 0 offset:436
	;; [unrolled: 1-line block ×3, first 2 shown]
	ds_read_b128 v[27:30], v16 offset:1008
	v_add_f64 v[41:42], v[41:42], v[59:60]
	v_add_f64 v[9:10], v[9:10], v[55:56]
	s_waitcnt vmcnt(58) lgkmcnt(1)
	v_mul_f64 v[59:60], v[3:4], v[75:76]
	s_waitcnt vmcnt(56)
	v_fma_f64 v[71:72], v[5:6], v[81:82], -v[71:72]
	v_mul_f64 v[55:56], v[1:2], v[75:76]
	v_add_f64 v[41:42], v[41:42], v[63:64]
	v_fma_f64 v[63:64], v[7:8], v[81:82], v[190:191]
	v_add_f64 v[9:10], v[9:10], v[49:50]
	s_clause 0x4
	buffer_load_dword v50, off, s[0:3], 0 offset:476
	buffer_load_dword v75, off, s[0:3], 0 offset:488
	;; [unrolled: 1-line block ×5, first 2 shown]
	s_waitcnt vmcnt(57) lgkmcnt(0)
	v_mul_f64 v[190:191], v[27:28], v[83:84]
	v_mul_f64 v[82:83], v[29:30], v[83:84]
	s_waitcnt vmcnt(56)
	v_fma_f64 v[59:60], v[1:2], v[61:62], -v[59:60]
	ds_read_b128 v[5:8], v16 offset:1024
	v_fma_f64 v[55:56], v[3:4], v[61:62], v[55:56]
	s_clause 0x2
	buffer_load_dword v76, off, s[0:3], 0 offset:492
	buffer_load_dword v62, off, s[0:3], 0 offset:468
	;; [unrolled: 1-line block ×3, first 2 shown]
	ds_read_b128 v[1:4], v16 offset:1040
	v_add_f64 v[41:42], v[41:42], v[71:72]
	v_add_f64 v[9:10], v[9:10], v[63:64]
	s_waitcnt vmcnt(58) lgkmcnt(1)
	v_mul_f64 v[71:72], v[7:8], v[87:88]
	s_waitcnt vmcnt(56)
	v_fma_f64 v[83:84], v[27:28], v[161:162], -v[82:83]
	v_mul_f64 v[63:64], v[5:6], v[87:88]
	v_add_f64 v[41:42], v[41:42], v[59:60]
	v_fma_f64 v[59:60], v[29:30], v[161:162], v[190:191]
	v_add_f64 v[9:10], v[9:10], v[55:56]
	s_clause 0x4
	buffer_load_dword v56, off, s[0:3], 0 offset:508
	buffer_load_dword v87, off, s[0:3], 0 offset:520
	;; [unrolled: 1-line block ×5, first 2 shown]
	s_waitcnt vmcnt(57) lgkmcnt(0)
	v_mul_f64 v[190:191], v[1:2], v[163:164]
	v_mul_f64 v[162:163], v[3:4], v[163:164]
	s_waitcnt vmcnt(56)
	v_fma_f64 v[71:72], v[5:6], v[73:74], -v[71:72]
	ds_read_b128 v[27:30], v16 offset:1056
	v_fma_f64 v[63:64], v[7:8], v[73:74], v[63:64]
	v_add_f64 v[41:42], v[41:42], v[83:84]
	v_add_f64 v[9:10], v[9:10], v[59:60]
	s_clause 0x2
	buffer_load_dword v88, off, s[0:3], 0 offset:524
	buffer_load_dword v60, off, s[0:3], 0 offset:500
	;; [unrolled: 1-line block ×3, first 2 shown]
	ds_read_b128 v[5:8], v16 offset:1072
	s_waitcnt vmcnt(58) lgkmcnt(1)
	v_mul_f64 v[83:84], v[29:30], v[165:166]
	s_waitcnt vmcnt(56)
	v_fma_f64 v[163:164], v[1:2], v[167:168], -v[162:163]
	v_mul_f64 v[73:74], v[27:28], v[165:166]
	v_add_f64 v[41:42], v[41:42], v[71:72]
	v_fma_f64 v[71:72], v[3:4], v[167:168], v[190:191]
	v_add_f64 v[9:10], v[9:10], v[63:64]
	s_clause 0x4
	buffer_load_dword v64, off, s[0:3], 0 offset:540
	buffer_load_dword v165, off, s[0:3], 0 offset:552
	buffer_load_dword v167, off, s[0:3], 0 offset:544
	buffer_load_dword v63, off, s[0:3], 0 offset:536
	buffer_load_dword v162, off, s[0:3], 0 offset:516
	s_waitcnt vmcnt(57) lgkmcnt(0)
	v_mul_f64 v[190:191], v[5:6], v[175:176]
	v_mul_f64 v[175:176], v[7:8], v[175:176]
	s_waitcnt vmcnt(56)
	v_fma_f64 v[83:84], v[27:28], v[85:86], -v[83:84]
	ds_read_b128 v[1:4], v16 offset:1088
	v_fma_f64 v[73:74], v[29:30], v[85:86], v[73:74]
	v_add_f64 v[41:42], v[41:42], v[163:164]
	v_add_f64 v[9:10], v[9:10], v[71:72]
	s_clause 0x2
	buffer_load_dword v166, off, s[0:3], 0 offset:556
	buffer_load_dword v72, off, s[0:3], 0 offset:532
	;; [unrolled: 1-line block ×3, first 2 shown]
	ds_read_b128 v[27:30], v16 offset:1104
	s_waitcnt vmcnt(58) lgkmcnt(1)
	v_mul_f64 v[163:164], v[3:4], v[177:178]
	v_mul_f64 v[85:86], v[1:2], v[177:178]
	s_waitcnt vmcnt(56)
	v_fma_f64 v[175:176], v[5:6], v[37:38], -v[175:176]
	v_fma_f64 v[37:38], v[7:8], v[37:38], v[190:191]
	v_add_f64 v[41:42], v[41:42], v[83:84]
	v_add_f64 v[9:10], v[9:10], v[73:74]
	s_clause 0x4
	buffer_load_dword v74, off, s[0:3], 0 offset:572
	buffer_load_dword v83, off, s[0:3], 0 offset:584
	;; [unrolled: 1-line block ×5, first 2 shown]
	ds_read_b128 v[5:8], v16 offset:1120
	s_waitcnt vmcnt(57) lgkmcnt(1)
	v_mul_f64 v[190:191], v[27:28], v[31:32]
	v_mul_f64 v[31:32], v[29:30], v[31:32]
	s_waitcnt vmcnt(56)
	v_fma_f64 v[163:164], v[1:2], v[179:180], -v[163:164]
	v_fma_f64 v[85:86], v[3:4], v[179:180], v[85:86]
	v_add_f64 v[41:42], v[41:42], v[175:176]
	v_add_f64 v[9:10], v[9:10], v[37:38]
	s_clause 0x2
	buffer_load_dword v84, off, s[0:3], 0 offset:588
	buffer_load_dword v38, off, s[0:3], 0 offset:564
	;; [unrolled: 1-line block ×3, first 2 shown]
	s_waitcnt vmcnt(58) lgkmcnt(0)
	v_mul_f64 v[179:180], v[7:8], v[181:182]
	ds_read_b128 v[1:4], v16 offset:1136
	v_mul_f64 v[175:176], v[5:6], v[181:182]
	s_waitcnt vmcnt(56)
	v_fma_f64 v[31:32], v[27:28], v[171:172], -v[31:32]
	v_add_f64 v[41:42], v[41:42], v[163:164]
	v_fma_f64 v[163:164], v[29:30], v[171:172], v[190:191]
	v_add_f64 v[9:10], v[9:10], v[85:86]
	s_clause 0x4
	buffer_load_dword v86, off, s[0:3], 0 offset:604
	buffer_load_dword v171, off, s[0:3], 0 offset:616
	;; [unrolled: 1-line block ×5, first 2 shown]
	ds_read_b128 v[27:30], v16 offset:1152
	s_waitcnt vmcnt(57) lgkmcnt(1)
	v_mul_f64 v[190:191], v[1:2], v[53:54]
	v_mul_f64 v[53:54], v[3:4], v[53:54]
	s_waitcnt vmcnt(56)
	v_fma_f64 v[179:180], v[5:6], v[186:187], -v[179:180]
	v_add_f64 v[31:32], v[41:42], v[31:32]
	v_fma_f64 v[41:42], v[7:8], v[186:187], v[175:176]
	v_add_f64 v[9:10], v[9:10], v[163:164]
	s_clause 0x2
	buffer_load_dword v172, off, s[0:3], 0 offset:620
	buffer_load_dword v164, off, s[0:3], 0 offset:596
	;; [unrolled: 1-line block ×3, first 2 shown]
	ds_read_b128 v[5:8], v16 offset:1168
	s_waitcnt vmcnt(58) lgkmcnt(1)
	v_mul_f64 v[175:176], v[27:28], v[173:174]
	v_mul_f64 v[173:174], v[29:30], v[173:174]
	s_waitcnt vmcnt(56)
	v_fma_f64 v[53:54], v[1:2], v[47:48], -v[53:54]
	v_fma_f64 v[47:48], v[3:4], v[47:48], v[190:191]
	v_add_f64 v[31:32], v[31:32], v[179:180]
	v_add_f64 v[9:10], v[9:10], v[41:42]
	s_clause 0x4
	buffer_load_dword v42, off, s[0:3], 0 offset:636
	buffer_load_dword v179, off, s[0:3], 0 offset:648
	;; [unrolled: 1-line block ×5, first 2 shown]
	ds_read_b128 v[1:4], v16 offset:1184
	s_waitcnt vmcnt(57) lgkmcnt(1)
	v_mul_f64 v[186:187], v[5:6], v[39:40]
	v_mul_f64 v[39:40], v[7:8], v[39:40]
	s_waitcnt vmcnt(56)
	v_fma_f64 v[173:174], v[27:28], v[188:189], -v[173:174]
	v_add_f64 v[31:32], v[31:32], v[53:54]
	v_fma_f64 v[53:54], v[29:30], v[188:189], v[175:176]
	v_add_f64 v[9:10], v[9:10], v[47:48]
	s_clause 0x2
	buffer_load_dword v180, off, s[0:3], 0 offset:652
	buffer_load_dword v48, off, s[0:3], 0 offset:628
	;; [unrolled: 1-line block ×3, first 2 shown]
	ds_read_b128 v[27:30], v16 offset:1200
	s_waitcnt vmcnt(58) lgkmcnt(1)
	v_mul_f64 v[175:176], v[1:2], v[57:58]
	v_mul_f64 v[57:58], v[3:4], v[57:58]
	s_waitcnt vmcnt(56)
	v_fma_f64 v[39:40], v[5:6], v[45:46], -v[39:40]
	v_fma_f64 v[45:46], v[7:8], v[45:46], v[186:187]
	v_add_f64 v[31:32], v[31:32], v[173:174]
	v_add_f64 v[9:10], v[9:10], v[53:54]
	s_clause 0x4
	buffer_load_dword v54, off, s[0:3], 0 offset:668
	buffer_load_dword v173, off, s[0:3], 0 offset:680
	;; [unrolled: 1-line block ×5, first 2 shown]
	ds_read_b128 v[5:8], v16 offset:1216
	s_waitcnt vmcnt(57) lgkmcnt(1)
	v_mul_f64 v[188:189], v[27:28], v[43:44]
	v_mul_f64 v[43:44], v[29:30], v[43:44]
	s_waitcnt vmcnt(56)
	v_fma_f64 v[57:58], v[1:2], v[183:184], -v[57:58]
	v_add_f64 v[31:32], v[31:32], v[39:40]
	v_fma_f64 v[39:40], v[3:4], v[183:184], v[175:176]
	v_add_f64 v[9:10], v[9:10], v[45:46]
	s_clause 0x2
	buffer_load_dword v174, off, s[0:3], 0 offset:684
	buffer_load_dword v46, off, s[0:3], 0 offset:660
	;; [unrolled: 1-line block ×3, first 2 shown]
	s_waitcnt vmcnt(58) lgkmcnt(0)
	v_mul_f64 v[175:176], v[5:6], v[69:70]
	v_mul_f64 v[69:70], v[7:8], v[69:70]
	ds_read_b128 v[1:4], v16 offset:1232
	s_waitcnt vmcnt(56)
	v_fma_f64 v[43:44], v[27:28], v[51:52], -v[43:44]
	v_fma_f64 v[51:52], v[29:30], v[51:52], v[188:189]
	v_add_f64 v[31:32], v[31:32], v[57:58]
	v_add_f64 v[9:10], v[9:10], v[39:40]
	s_clause 0x4
	buffer_load_dword v40, off, s[0:3], 0 offset:700
	buffer_load_dword v57, off, s[0:3], 0 offset:712
	;; [unrolled: 1-line block ×5, first 2 shown]
	ds_read_b128 v[27:30], v16 offset:1248
	s_waitcnt vmcnt(57) lgkmcnt(1)
	v_mul_f64 v[189:190], v[1:2], v[49:50]
	v_mul_f64 v[49:50], v[3:4], v[49:50]
	s_waitcnt vmcnt(56)
	v_fma_f64 v[69:70], v[5:6], v[169:170], -v[69:70]
	v_add_f64 v[31:32], v[31:32], v[43:44]
	v_fma_f64 v[43:44], v[7:8], v[169:170], v[175:176]
	v_add_f64 v[9:10], v[9:10], v[51:52]
	s_clause 0x2
	buffer_load_dword v58, off, s[0:3], 0 offset:716
	buffer_load_dword v52, off, s[0:3], 0 offset:692
	buffer_load_dword v51, off, s[0:3], 0 offset:688
	s_waitcnt vmcnt(58) lgkmcnt(0)
	v_mul_f64 v[169:170], v[27:28], v[75:76]
	v_mul_f64 v[75:76], v[29:30], v[75:76]
	ds_read_b128 v[5:8], v16 offset:1264
	s_waitcnt vmcnt(56)
	v_fma_f64 v[49:50], v[1:2], v[61:62], -v[49:50]
	v_fma_f64 v[61:62], v[3:4], v[61:62], v[189:190]
	v_add_f64 v[31:32], v[31:32], v[69:70]
	v_add_f64 v[9:10], v[9:10], v[43:44]
	s_clause 0x4
	buffer_load_dword v44, off, s[0:3], 0 offset:732
	buffer_load_dword v69, off, s[0:3], 0 offset:744
	;; [unrolled: 1-line block ×5, first 2 shown]
	ds_read_b128 v[1:4], v16 offset:1280
	s_waitcnt vmcnt(57) lgkmcnt(1)
	v_mul_f64 v[189:190], v[5:6], v[55:56]
	v_mul_f64 v[55:56], v[7:8], v[55:56]
	s_waitcnt vmcnt(56)
	v_fma_f64 v[75:76], v[27:28], v[81:82], -v[75:76]
	v_add_f64 v[31:32], v[31:32], v[49:50]
	v_fma_f64 v[49:50], v[29:30], v[81:82], v[169:170]
	v_add_f64 v[9:10], v[9:10], v[61:62]
	s_clause 0x2
	buffer_load_dword v70, off, s[0:3], 0 offset:748
	buffer_load_dword v62, off, s[0:3], 0 offset:724
	;; [unrolled: 1-line block ×3, first 2 shown]
	ds_read_b128 v[27:30], v16 offset:1296
	s_waitcnt vmcnt(58) lgkmcnt(1)
	v_mul_f64 v[81:82], v[1:2], v[87:88]
	v_mul_f64 v[87:88], v[3:4], v[87:88]
	s_waitcnt vmcnt(56)
	v_fma_f64 v[55:56], v[5:6], v[59:60], -v[55:56]
	v_fma_f64 v[59:60], v[7:8], v[59:60], v[189:190]
	v_add_f64 v[31:32], v[31:32], v[75:76]
	v_add_f64 v[9:10], v[9:10], v[49:50]
	s_clause 0x4
	buffer_load_dword v50, off, s[0:3], 0 offset:764
	buffer_load_dword v75, off, s[0:3], 0 offset:776
	;; [unrolled: 1-line block ×5, first 2 shown]
	ds_read_b128 v[5:8], v16 offset:1312
	s_waitcnt vmcnt(57) lgkmcnt(1)
	v_mul_f64 v[189:190], v[27:28], v[63:64]
	v_mul_f64 v[63:64], v[29:30], v[63:64]
	s_waitcnt vmcnt(56)
	v_fma_f64 v[87:88], v[1:2], v[161:162], -v[87:88]
	v_add_f64 v[31:32], v[31:32], v[55:56]
	v_fma_f64 v[55:56], v[3:4], v[161:162], v[81:82]
	v_add_f64 v[9:10], v[9:10], v[59:60]
	s_clause 0x2
	buffer_load_dword v76, off, s[0:3], 0 offset:780
	buffer_load_dword v60, off, s[0:3], 0 offset:756
	;; [unrolled: 1-line block ×3, first 2 shown]
	ds_read_b128 v[1:4], v16 offset:1328
	s_waitcnt vmcnt(58) lgkmcnt(1)
	v_mul_f64 v[161:162], v[7:8], v[165:166]
	v_mul_f64 v[81:82], v[5:6], v[165:166]
	s_waitcnt vmcnt(56)
	v_fma_f64 v[63:64], v[27:28], v[71:72], -v[63:64]
	v_fma_f64 v[71:72], v[29:30], v[71:72], v[189:190]
	v_add_f64 v[31:32], v[31:32], v[87:88]
	v_add_f64 v[9:10], v[9:10], v[55:56]
	s_clause 0x2
	buffer_load_dword v56, off, s[0:3], 0 offset:796
	buffer_load_dword v55, off, s[0:3], 0 offset:792
	;; [unrolled: 1-line block ×3, first 2 shown]
	ds_read_b128 v[27:30], v16 offset:1344
	s_waitcnt vmcnt(55) lgkmcnt(1)
	v_mul_f64 v[87:88], v[1:2], v[73:74]
	v_mul_f64 v[73:74], v[3:4], v[73:74]
	s_waitcnt vmcnt(54)
	v_fma_f64 v[161:162], v[5:6], v[167:168], -v[161:162]
	v_add_f64 v[31:32], v[31:32], v[63:64]
	v_fma_f64 v[63:64], v[7:8], v[167:168], v[81:82]
	v_add_f64 v[9:10], v[9:10], v[71:72]
	s_clause 0x1
	buffer_load_dword v72, off, s[0:3], 0 offset:788
	buffer_load_dword v71, off, s[0:3], 0 offset:784
	ds_read_b128 v[5:8], v16 offset:1360
	s_waitcnt vmcnt(55) lgkmcnt(1)
	v_mul_f64 v[81:82], v[27:28], v[83:84]
	v_mul_f64 v[83:84], v[29:30], v[83:84]
	s_waitcnt vmcnt(53)
	v_fma_f64 v[73:74], v[1:2], v[37:38], -v[73:74]
	v_fma_f64 v[37:38], v[3:4], v[37:38], v[87:88]
	ds_read_b128 v[1:4], v16 offset:1376
	v_add_f64 v[31:32], v[31:32], v[161:162]
	v_add_f64 v[9:10], v[9:10], v[63:64]
	s_waitcnt vmcnt(49) lgkmcnt(1)
	v_mul_f64 v[63:64], v[5:6], v[85:86]
	v_mul_f64 v[85:86], v[7:8], v[85:86]
	s_waitcnt vmcnt(48)
	v_fma_f64 v[83:84], v[27:28], v[177:178], -v[83:84]
	v_add_f64 v[31:32], v[31:32], v[73:74]
	v_fma_f64 v[73:74], v[29:30], v[177:178], v[81:82]
	v_add_f64 v[9:10], v[9:10], v[37:38]
	s_clause 0x3
	buffer_load_dword v37, off, s[0:3], 0 offset:48
	buffer_load_dword v38, off, s[0:3], 0 offset:52
	;; [unrolled: 1-line block ×4, first 2 shown]
	ds_read_b128 v[27:30], v16 offset:1392
	s_waitcnt vmcnt(51) lgkmcnt(1)
	v_mul_f64 v[161:162], v[3:4], v[171:172]
	v_mul_f64 v[87:88], v[1:2], v[171:172]
	s_waitcnt vmcnt(49)
	v_fma_f64 v[85:86], v[5:6], v[163:164], -v[85:86]
	v_fma_f64 v[63:64], v[7:8], v[163:164], v[63:64]
	ds_read_b128 v[5:8], v16 offset:1408
	v_add_f64 v[31:32], v[31:32], v[83:84]
	v_add_f64 v[9:10], v[9:10], v[73:74]
	s_waitcnt vmcnt(45) lgkmcnt(1)
	v_mul_f64 v[73:74], v[27:28], v[41:42]
	v_mul_f64 v[41:42], v[29:30], v[41:42]
	s_waitcnt vmcnt(44)
	v_fma_f64 v[83:84], v[1:2], v[181:182], -v[161:162]
	v_add_f64 v[31:32], v[31:32], v[85:86]
	v_fma_f64 v[85:86], v[3:4], v[181:182], v[87:88]
	v_add_f64 v[9:10], v[9:10], v[63:64]
	ds_read_b128 v[1:4], v16 offset:1424
	s_waitcnt vmcnt(43) lgkmcnt(1)
	v_mul_f64 v[87:88], v[7:8], v[179:180]
	v_mul_f64 v[63:64], v[5:6], v[179:180]
	s_waitcnt vmcnt(41)
	v_fma_f64 v[41:42], v[27:28], v[47:48], -v[41:42]
	v_fma_f64 v[47:48], v[29:30], v[47:48], v[73:74]
	ds_read_b128 v[27:30], v16 offset:1440
	v_add_f64 v[31:32], v[31:32], v[83:84]
	v_add_f64 v[9:10], v[9:10], v[85:86]
	s_waitcnt vmcnt(37) lgkmcnt(1)
	v_mul_f64 v[73:74], v[1:2], v[53:54]
	v_mul_f64 v[53:54], v[3:4], v[53:54]
	s_waitcnt vmcnt(36)
	v_fma_f64 v[83:84], v[5:6], v[185:186], -v[87:88]
	v_add_f64 v[31:32], v[31:32], v[41:42]
	v_fma_f64 v[41:42], v[7:8], v[185:186], v[63:64]
	v_add_f64 v[9:10], v[9:10], v[47:48]
	ds_read_b128 v[5:8], v16 offset:1456
	s_waitcnt vmcnt(35) lgkmcnt(1)
	v_mul_f64 v[63:64], v[29:30], v[173:174]
	v_mul_f64 v[47:48], v[27:28], v[173:174]
	s_waitcnt vmcnt(33)
	v_fma_f64 v[53:54], v[1:2], v[45:46], -v[53:54]
	v_fma_f64 v[45:46], v[3:4], v[45:46], v[73:74]
	ds_read_b128 v[1:4], v16 offset:1472
	v_add_f64 v[31:32], v[31:32], v[83:84]
	v_add_f64 v[9:10], v[9:10], v[41:42]
	s_waitcnt vmcnt(29) lgkmcnt(1)
	v_mul_f64 v[41:42], v[5:6], v[39:40]
	v_mul_f64 v[39:40], v[7:8], v[39:40]
	s_waitcnt vmcnt(28)
	v_fma_f64 v[63:64], v[27:28], v[187:188], -v[63:64]
	v_fma_f64 v[47:48], v[29:30], v[187:188], v[47:48]
	ds_read_b128 v[27:30], v16 offset:1488
	v_add_f64 v[31:32], v[31:32], v[53:54]
	v_add_f64 v[9:10], v[9:10], v[45:46]
	;; [unrolled: 9-line block ×3, first 2 shown]
	s_waitcnt vmcnt(21) lgkmcnt(1)
	v_mul_f64 v[47:48], v[27:28], v[43:44]
	v_mul_f64 v[43:44], v[29:30], v[43:44]
	s_waitcnt vmcnt(20)
	v_fma_f64 v[51:52], v[1:2], v[183:184], -v[53:54]
	v_add_f64 v[31:32], v[31:32], v[39:40]
	v_fma_f64 v[39:40], v[3:4], v[183:184], v[45:46]
	v_add_f64 v[9:10], v[9:10], v[41:42]
	ds_read_b128 v[1:4], v16 offset:1520
	s_waitcnt vmcnt(19) lgkmcnt(1)
	v_mul_f64 v[45:46], v[7:8], v[69:70]
	v_mul_f64 v[41:42], v[5:6], v[69:70]
	s_waitcnt vmcnt(17)
	v_fma_f64 v[43:44], v[27:28], v[61:62], -v[43:44]
	v_fma_f64 v[47:48], v[29:30], v[61:62], v[47:48]
	ds_read_b128 v[27:30], v16 offset:1536
	v_add_f64 v[31:32], v[31:32], v[51:52]
	v_add_f64 v[9:10], v[9:10], v[39:40]
	s_waitcnt vmcnt(13) lgkmcnt(1)
	v_mul_f64 v[39:40], v[1:2], v[49:50]
	v_mul_f64 v[49:50], v[3:4], v[49:50]
	s_waitcnt vmcnt(12)
	v_fma_f64 v[45:46], v[5:6], v[175:176], -v[45:46]
	v_fma_f64 v[41:42], v[7:8], v[175:176], v[41:42]
	ds_read_b128 v[5:8], v16 offset:1552
	v_add_f64 v[31:32], v[31:32], v[43:44]
	v_add_f64 v[9:10], v[9:10], v[47:48]
	s_waitcnt vmcnt(11) lgkmcnt(1)
	v_mul_f64 v[47:48], v[29:30], v[75:76]
	v_mul_f64 v[43:44], v[27:28], v[75:76]
	s_waitcnt vmcnt(9)
	v_fma_f64 v[1:2], v[1:2], v[59:60], -v[49:50]
	v_fma_f64 v[3:4], v[3:4], v[59:60], v[39:40]
	v_add_f64 v[31:32], v[31:32], v[45:46]
	v_add_f64 v[9:10], v[9:10], v[41:42]
	s_waitcnt vmcnt(7) lgkmcnt(0)
	v_mul_f64 v[41:42], v[7:8], v[55:56]
	s_waitcnt vmcnt(6)
	v_fma_f64 v[27:28], v[27:28], v[169:170], -v[47:48]
	v_mul_f64 v[39:40], v[5:6], v[55:56]
	v_fma_f64 v[29:30], v[29:30], v[169:170], v[43:44]
	v_add_f64 v[1:2], v[31:32], v[1:2]
	v_add_f64 v[3:4], v[9:10], v[3:4]
	s_waitcnt vmcnt(4)
	v_fma_f64 v[5:6], v[5:6], v[71:72], -v[41:42]
	v_fma_f64 v[7:8], v[7:8], v[71:72], v[39:40]
	v_add_f64 v[1:2], v[1:2], v[27:28]
	v_add_f64 v[3:4], v[3:4], v[29:30]
	;; [unrolled: 1-line block ×4, first 2 shown]
	s_waitcnt vmcnt(2)
	v_add_f64 v[1:2], v[37:38], -v[1:2]
	s_waitcnt vmcnt(0)
	v_add_f64 v[3:4], v[81:82], -v[3:4]
	buffer_store_dword v2, off, s[0:3], 0 offset:52
	buffer_store_dword v1, off, s[0:3], 0 offset:48
	buffer_store_dword v4, off, s[0:3], 0 offset:60
	buffer_store_dword v3, off, s[0:3], 0 offset:56
	v_cmpx_lt_u32_e32 1, v0
	s_cbranch_execz .LBB48_305
; %bb.304:
	v_mov_b32_e32 v4, s60
	v_mov_b32_e32 v5, 0
	s_clause 0x3
	buffer_load_dword v1, v4, s[0:3], 0 offen
	buffer_load_dword v2, v4, s[0:3], 0 offen offset:4
	buffer_load_dword v3, v4, s[0:3], 0 offen offset:8
	;; [unrolled: 1-line block ×3, first 2 shown]
	buffer_store_dword v5, off, s[0:3], 0 offset:32
	buffer_store_dword v5, off, s[0:3], 0 offset:36
	;; [unrolled: 1-line block ×4, first 2 shown]
	s_waitcnt vmcnt(0)
	ds_write_b128 v11, v[1:4]
.LBB48_305:
	s_or_b32 exec_lo, exec_lo, s4
	s_waitcnt lgkmcnt(0)
	s_waitcnt_vscnt null, 0x0
	s_barrier
	buffer_gl0_inv
	s_clause 0x37
	buffer_load_dword v37, off, s[0:3], 0 offset:56
	buffer_load_dword v38, off, s[0:3], 0 offset:60
	;; [unrolled: 1-line block ×56, first 2 shown]
	v_mov_b32_e32 v16, 0
	s_mov_b32 s4, exec_lo
	ds_read_b128 v[5:8], v16 offset:816
	s_clause 0x2
	buffer_load_dword v166, off, s[0:3], 0 offset:284
	buffer_load_dword v168, off, s[0:3], 0 offset:260
	;; [unrolled: 1-line block ×3, first 2 shown]
	ds_read_b128 v[1:4], v16 offset:832
	s_clause 0x4
	buffer_load_dword v176, off, s[0:3], 0 offset:300
	buffer_load_dword v177, off, s[0:3], 0 offset:312
	;; [unrolled: 1-line block ×5, first 2 shown]
	ds_read_b128 v[169:172], v16 offset:848
	s_waitcnt vmcnt(62) lgkmcnt(2)
	v_mul_f64 v[173:174], v[7:8], v[37:38]
	v_mul_f64 v[37:38], v[5:6], v[37:38]
	s_waitcnt vmcnt(60) lgkmcnt(1)
	v_mul_f64 v[180:181], v[3:4], v[29:30]
	v_mul_f64 v[29:30], v[1:2], v[29:30]
	;; [unrolled: 3-line block ×3, first 2 shown]
	v_fma_f64 v[173:174], v[5:6], v[31:32], -v[173:174]
	v_fma_f64 v[31:32], v[7:8], v[31:32], v[37:38]
	s_clause 0x2
	buffer_load_dword v178, off, s[0:3], 0 offset:316
	buffer_load_dword v38, off, s[0:3], 0 offset:292
	;; [unrolled: 1-line block ×3, first 2 shown]
	s_waitcnt vmcnt(57)
	v_fma_f64 v[184:185], v[1:2], v[9:10], -v[180:181]
	ds_read_b128 v[5:8], v16 offset:864
	v_fma_f64 v[9:10], v[3:4], v[9:10], v[29:30]
	s_waitcnt vmcnt(51)
	v_fma_f64 v[169:170], v[169:170], v[53:54], -v[27:28]
	v_fma_f64 v[53:54], v[171:172], v[53:54], v[182:183]
	v_add_f64 v[173:174], v[173:174], 0
	v_add_f64 v[29:30], v[31:32], 0
	s_clause 0x4
	buffer_load_dword v32, off, s[0:3], 0 offset:332
	buffer_load_dword v181, off, s[0:3], 0 offset:344
	;; [unrolled: 1-line block ×5, first 2 shown]
	s_waitcnt lgkmcnt(0)
	v_mul_f64 v[187:188], v[5:6], v[41:42]
	v_mul_f64 v[41:42], v[7:8], v[41:42]
	ds_read_b128 v[1:4], v16 offset:880
	s_clause 0x2
	buffer_load_dword v182, off, s[0:3], 0 offset:348
	buffer_load_dword v172, off, s[0:3], 0 offset:324
	;; [unrolled: 1-line block ×3, first 2 shown]
	v_add_f64 v[173:174], v[173:174], v[184:185]
	v_add_f64 v[9:10], v[29:30], v[9:10]
	ds_read_b128 v[27:30], v16 offset:896
	s_waitcnt vmcnt(58) lgkmcnt(1)
	v_mul_f64 v[183:184], v[1:2], v[45:46]
	v_mul_f64 v[45:46], v[3:4], v[45:46]
	s_waitcnt vmcnt(56)
	v_fma_f64 v[41:42], v[5:6], v[47:48], -v[41:42]
	v_fma_f64 v[47:48], v[7:8], v[47:48], v[187:188]
	s_waitcnt vmcnt(52) lgkmcnt(0)
	v_mul_f64 v[189:190], v[27:28], v[49:50]
	v_add_f64 v[169:170], v[173:174], v[169:170]
	v_add_f64 v[9:10], v[9:10], v[53:54]
	s_clause 0x4
	buffer_load_dword v54, off, s[0:3], 0 offset:364
	buffer_load_dword v173, off, s[0:3], 0 offset:376
	;; [unrolled: 1-line block ×5, first 2 shown]
	v_mul_f64 v[49:50], v[29:30], v[49:50]
	s_waitcnt vmcnt(56)
	v_fma_f64 v[45:46], v[1:2], v[39:40], -v[45:46]
	ds_read_b128 v[5:8], v16 offset:912
	v_fma_f64 v[39:40], v[3:4], v[39:40], v[183:184]
	v_add_f64 v[41:42], v[169:170], v[41:42]
	v_add_f64 v[9:10], v[9:10], v[47:48]
	s_clause 0x2
	buffer_load_dword v174, off, s[0:3], 0 offset:380
	buffer_load_dword v48, off, s[0:3], 0 offset:356
	;; [unrolled: 1-line block ×3, first 2 shown]
	s_waitcnt vmcnt(58) lgkmcnt(0)
	v_mul_f64 v[169:170], v[5:6], v[55:56]
	v_mul_f64 v[55:56], v[7:8], v[55:56]
	s_waitcnt vmcnt(56)
	v_fma_f64 v[49:50], v[27:28], v[57:58], -v[49:50]
	ds_read_b128 v[1:4], v16 offset:928
	v_add_f64 v[41:42], v[41:42], v[45:46]
	v_fma_f64 v[45:46], v[29:30], v[57:58], v[189:190]
	v_add_f64 v[9:10], v[9:10], v[39:40]
	s_clause 0x4
	buffer_load_dword v40, off, s[0:3], 0 offset:396
	buffer_load_dword v57, off, s[0:3], 0 offset:408
	;; [unrolled: 1-line block ×5, first 2 shown]
	s_waitcnt vmcnt(57) lgkmcnt(0)
	v_mul_f64 v[184:185], v[1:2], v[59:60]
	v_mul_f64 v[59:60], v[3:4], v[59:60]
	s_waitcnt vmcnt(56)
	v_fma_f64 v[55:56], v[5:6], v[43:44], -v[55:56]
	ds_read_b128 v[27:30], v16 offset:944
	v_fma_f64 v[43:44], v[7:8], v[43:44], v[169:170]
	v_add_f64 v[41:42], v[41:42], v[49:50]
	v_add_f64 v[9:10], v[9:10], v[45:46]
	s_clause 0x2
	buffer_load_dword v58, off, s[0:3], 0 offset:412
	buffer_load_dword v46, off, s[0:3], 0 offset:388
	;; [unrolled: 1-line block ×3, first 2 shown]
	ds_read_b128 v[5:8], v16 offset:960
	s_waitcnt vmcnt(58) lgkmcnt(1)
	v_mul_f64 v[49:50], v[27:28], v[63:64]
	v_mul_f64 v[63:64], v[29:30], v[63:64]
	s_waitcnt vmcnt(56)
	v_fma_f64 v[59:60], v[1:2], v[69:70], -v[59:60]
	v_add_f64 v[41:42], v[41:42], v[55:56]
	v_fma_f64 v[55:56], v[3:4], v[69:70], v[184:185]
	v_add_f64 v[9:10], v[9:10], v[43:44]
	s_clause 0x4
	buffer_load_dword v44, off, s[0:3], 0 offset:428
	buffer_load_dword v69, off, s[0:3], 0 offset:440
	;; [unrolled: 1-line block ×5, first 2 shown]
	s_waitcnt vmcnt(57) lgkmcnt(0)
	v_mul_f64 v[190:191], v[5:6], v[71:72]
	v_mul_f64 v[71:72], v[7:8], v[71:72]
	s_waitcnt vmcnt(56)
	v_fma_f64 v[63:64], v[27:28], v[51:52], -v[63:64]
	ds_read_b128 v[1:4], v16 offset:976
	v_fma_f64 v[49:50], v[29:30], v[51:52], v[49:50]
	s_clause 0x2
	buffer_load_dword v70, off, s[0:3], 0 offset:444
	buffer_load_dword v52, off, s[0:3], 0 offset:420
	;; [unrolled: 1-line block ×3, first 2 shown]
	ds_read_b128 v[27:30], v16 offset:992
	v_add_f64 v[41:42], v[41:42], v[59:60]
	v_add_f64 v[9:10], v[9:10], v[55:56]
	s_waitcnt vmcnt(58) lgkmcnt(1)
	v_mul_f64 v[59:60], v[3:4], v[75:76]
	s_waitcnt vmcnt(56)
	v_fma_f64 v[71:72], v[5:6], v[81:82], -v[71:72]
	v_mul_f64 v[55:56], v[1:2], v[75:76]
	v_add_f64 v[41:42], v[41:42], v[63:64]
	v_fma_f64 v[63:64], v[7:8], v[81:82], v[190:191]
	v_add_f64 v[9:10], v[9:10], v[49:50]
	s_clause 0x4
	buffer_load_dword v50, off, s[0:3], 0 offset:460
	buffer_load_dword v75, off, s[0:3], 0 offset:472
	buffer_load_dword v81, off, s[0:3], 0 offset:464
	buffer_load_dword v49, off, s[0:3], 0 offset:456
	buffer_load_dword v170, off, s[0:3], 0 offset:436
	s_waitcnt vmcnt(57) lgkmcnt(0)
	v_mul_f64 v[190:191], v[27:28], v[83:84]
	v_mul_f64 v[82:83], v[29:30], v[83:84]
	s_waitcnt vmcnt(56)
	v_fma_f64 v[59:60], v[1:2], v[61:62], -v[59:60]
	ds_read_b128 v[5:8], v16 offset:1008
	v_fma_f64 v[55:56], v[3:4], v[61:62], v[55:56]
	s_clause 0x2
	buffer_load_dword v76, off, s[0:3], 0 offset:476
	buffer_load_dword v62, off, s[0:3], 0 offset:452
	;; [unrolled: 1-line block ×3, first 2 shown]
	ds_read_b128 v[1:4], v16 offset:1024
	v_add_f64 v[41:42], v[41:42], v[71:72]
	v_add_f64 v[9:10], v[9:10], v[63:64]
	s_waitcnt vmcnt(58) lgkmcnt(1)
	v_mul_f64 v[71:72], v[7:8], v[87:88]
	s_waitcnt vmcnt(56)
	v_fma_f64 v[83:84], v[27:28], v[161:162], -v[82:83]
	v_mul_f64 v[63:64], v[5:6], v[87:88]
	v_add_f64 v[41:42], v[41:42], v[59:60]
	v_fma_f64 v[59:60], v[29:30], v[161:162], v[190:191]
	v_add_f64 v[9:10], v[9:10], v[55:56]
	s_clause 0x4
	buffer_load_dword v56, off, s[0:3], 0 offset:492
	buffer_load_dword v87, off, s[0:3], 0 offset:504
	;; [unrolled: 1-line block ×5, first 2 shown]
	s_waitcnt vmcnt(57) lgkmcnt(0)
	v_mul_f64 v[190:191], v[1:2], v[163:164]
	v_mul_f64 v[162:163], v[3:4], v[163:164]
	s_waitcnt vmcnt(56)
	v_fma_f64 v[71:72], v[5:6], v[73:74], -v[71:72]
	ds_read_b128 v[27:30], v16 offset:1040
	v_fma_f64 v[63:64], v[7:8], v[73:74], v[63:64]
	v_add_f64 v[41:42], v[41:42], v[83:84]
	v_add_f64 v[9:10], v[9:10], v[59:60]
	s_clause 0x2
	buffer_load_dword v88, off, s[0:3], 0 offset:508
	buffer_load_dword v60, off, s[0:3], 0 offset:484
	;; [unrolled: 1-line block ×3, first 2 shown]
	ds_read_b128 v[5:8], v16 offset:1056
	s_waitcnt vmcnt(58) lgkmcnt(1)
	v_mul_f64 v[83:84], v[29:30], v[165:166]
	s_waitcnt vmcnt(56)
	v_fma_f64 v[163:164], v[1:2], v[167:168], -v[162:163]
	v_mul_f64 v[73:74], v[27:28], v[165:166]
	v_add_f64 v[41:42], v[41:42], v[71:72]
	v_fma_f64 v[71:72], v[3:4], v[167:168], v[190:191]
	v_add_f64 v[9:10], v[9:10], v[63:64]
	s_clause 0x4
	buffer_load_dword v64, off, s[0:3], 0 offset:524
	buffer_load_dword v165, off, s[0:3], 0 offset:536
	;; [unrolled: 1-line block ×5, first 2 shown]
	s_waitcnt vmcnt(57) lgkmcnt(0)
	v_mul_f64 v[190:191], v[5:6], v[175:176]
	v_mul_f64 v[175:176], v[7:8], v[175:176]
	s_waitcnt vmcnt(56)
	v_fma_f64 v[83:84], v[27:28], v[85:86], -v[83:84]
	ds_read_b128 v[1:4], v16 offset:1072
	v_fma_f64 v[73:74], v[29:30], v[85:86], v[73:74]
	v_add_f64 v[41:42], v[41:42], v[163:164]
	v_add_f64 v[9:10], v[9:10], v[71:72]
	s_clause 0x2
	buffer_load_dword v166, off, s[0:3], 0 offset:540
	buffer_load_dword v72, off, s[0:3], 0 offset:516
	;; [unrolled: 1-line block ×3, first 2 shown]
	ds_read_b128 v[27:30], v16 offset:1088
	s_waitcnt vmcnt(58) lgkmcnt(1)
	v_mul_f64 v[163:164], v[3:4], v[177:178]
	v_mul_f64 v[85:86], v[1:2], v[177:178]
	s_waitcnt vmcnt(56)
	v_fma_f64 v[175:176], v[5:6], v[37:38], -v[175:176]
	v_fma_f64 v[37:38], v[7:8], v[37:38], v[190:191]
	v_add_f64 v[41:42], v[41:42], v[83:84]
	v_add_f64 v[9:10], v[9:10], v[73:74]
	s_clause 0x4
	buffer_load_dword v74, off, s[0:3], 0 offset:556
	buffer_load_dword v83, off, s[0:3], 0 offset:568
	;; [unrolled: 1-line block ×5, first 2 shown]
	ds_read_b128 v[5:8], v16 offset:1104
	s_waitcnt vmcnt(57) lgkmcnt(1)
	v_mul_f64 v[190:191], v[27:28], v[31:32]
	v_mul_f64 v[31:32], v[29:30], v[31:32]
	s_waitcnt vmcnt(56)
	v_fma_f64 v[163:164], v[1:2], v[179:180], -v[163:164]
	v_fma_f64 v[85:86], v[3:4], v[179:180], v[85:86]
	v_add_f64 v[41:42], v[41:42], v[175:176]
	v_add_f64 v[9:10], v[9:10], v[37:38]
	s_clause 0x2
	buffer_load_dword v84, off, s[0:3], 0 offset:572
	buffer_load_dword v38, off, s[0:3], 0 offset:548
	;; [unrolled: 1-line block ×3, first 2 shown]
	s_waitcnt vmcnt(58) lgkmcnt(0)
	v_mul_f64 v[179:180], v[7:8], v[181:182]
	ds_read_b128 v[1:4], v16 offset:1120
	v_mul_f64 v[175:176], v[5:6], v[181:182]
	s_waitcnt vmcnt(56)
	v_fma_f64 v[31:32], v[27:28], v[171:172], -v[31:32]
	v_add_f64 v[41:42], v[41:42], v[163:164]
	v_fma_f64 v[163:164], v[29:30], v[171:172], v[190:191]
	v_add_f64 v[9:10], v[9:10], v[85:86]
	s_clause 0x4
	buffer_load_dword v86, off, s[0:3], 0 offset:588
	buffer_load_dword v171, off, s[0:3], 0 offset:600
	;; [unrolled: 1-line block ×5, first 2 shown]
	ds_read_b128 v[27:30], v16 offset:1136
	s_waitcnt vmcnt(57) lgkmcnt(1)
	v_mul_f64 v[190:191], v[1:2], v[53:54]
	v_mul_f64 v[53:54], v[3:4], v[53:54]
	s_waitcnt vmcnt(56)
	v_fma_f64 v[179:180], v[5:6], v[186:187], -v[179:180]
	v_add_f64 v[31:32], v[41:42], v[31:32]
	v_fma_f64 v[41:42], v[7:8], v[186:187], v[175:176]
	v_add_f64 v[9:10], v[9:10], v[163:164]
	s_clause 0x2
	buffer_load_dword v172, off, s[0:3], 0 offset:604
	buffer_load_dword v164, off, s[0:3], 0 offset:580
	;; [unrolled: 1-line block ×3, first 2 shown]
	ds_read_b128 v[5:8], v16 offset:1152
	s_waitcnt vmcnt(58) lgkmcnt(1)
	v_mul_f64 v[175:176], v[27:28], v[173:174]
	v_mul_f64 v[173:174], v[29:30], v[173:174]
	s_waitcnt vmcnt(56)
	v_fma_f64 v[53:54], v[1:2], v[47:48], -v[53:54]
	v_fma_f64 v[47:48], v[3:4], v[47:48], v[190:191]
	v_add_f64 v[31:32], v[31:32], v[179:180]
	v_add_f64 v[9:10], v[9:10], v[41:42]
	s_clause 0x4
	buffer_load_dword v42, off, s[0:3], 0 offset:620
	buffer_load_dword v179, off, s[0:3], 0 offset:632
	;; [unrolled: 1-line block ×5, first 2 shown]
	ds_read_b128 v[1:4], v16 offset:1168
	s_waitcnt vmcnt(57) lgkmcnt(1)
	v_mul_f64 v[186:187], v[5:6], v[39:40]
	v_mul_f64 v[39:40], v[7:8], v[39:40]
	s_waitcnt vmcnt(56)
	v_fma_f64 v[173:174], v[27:28], v[188:189], -v[173:174]
	v_add_f64 v[31:32], v[31:32], v[53:54]
	v_fma_f64 v[53:54], v[29:30], v[188:189], v[175:176]
	v_add_f64 v[9:10], v[9:10], v[47:48]
	s_clause 0x2
	buffer_load_dword v180, off, s[0:3], 0 offset:636
	buffer_load_dword v48, off, s[0:3], 0 offset:612
	;; [unrolled: 1-line block ×3, first 2 shown]
	ds_read_b128 v[27:30], v16 offset:1184
	s_waitcnt vmcnt(58) lgkmcnt(1)
	v_mul_f64 v[175:176], v[1:2], v[57:58]
	v_mul_f64 v[57:58], v[3:4], v[57:58]
	s_waitcnt vmcnt(56)
	v_fma_f64 v[39:40], v[5:6], v[45:46], -v[39:40]
	v_fma_f64 v[45:46], v[7:8], v[45:46], v[186:187]
	v_add_f64 v[31:32], v[31:32], v[173:174]
	v_add_f64 v[9:10], v[9:10], v[53:54]
	s_clause 0x4
	buffer_load_dword v54, off, s[0:3], 0 offset:652
	buffer_load_dword v173, off, s[0:3], 0 offset:664
	;; [unrolled: 1-line block ×5, first 2 shown]
	ds_read_b128 v[5:8], v16 offset:1200
	s_waitcnt vmcnt(57) lgkmcnt(1)
	v_mul_f64 v[188:189], v[27:28], v[43:44]
	v_mul_f64 v[43:44], v[29:30], v[43:44]
	s_waitcnt vmcnt(56)
	v_fma_f64 v[57:58], v[1:2], v[183:184], -v[57:58]
	v_add_f64 v[31:32], v[31:32], v[39:40]
	v_fma_f64 v[39:40], v[3:4], v[183:184], v[175:176]
	v_add_f64 v[9:10], v[9:10], v[45:46]
	s_clause 0x2
	buffer_load_dword v174, off, s[0:3], 0 offset:668
	buffer_load_dword v46, off, s[0:3], 0 offset:644
	buffer_load_dword v45, off, s[0:3], 0 offset:640
	s_waitcnt vmcnt(58) lgkmcnt(0)
	v_mul_f64 v[175:176], v[5:6], v[69:70]
	v_mul_f64 v[69:70], v[7:8], v[69:70]
	ds_read_b128 v[1:4], v16 offset:1216
	s_waitcnt vmcnt(56)
	v_fma_f64 v[43:44], v[27:28], v[51:52], -v[43:44]
	v_fma_f64 v[51:52], v[29:30], v[51:52], v[188:189]
	v_add_f64 v[31:32], v[31:32], v[57:58]
	v_add_f64 v[9:10], v[9:10], v[39:40]
	s_clause 0x4
	buffer_load_dword v40, off, s[0:3], 0 offset:684
	buffer_load_dword v57, off, s[0:3], 0 offset:696
	;; [unrolled: 1-line block ×5, first 2 shown]
	ds_read_b128 v[27:30], v16 offset:1232
	s_waitcnt vmcnt(57) lgkmcnt(1)
	v_mul_f64 v[189:190], v[1:2], v[49:50]
	v_mul_f64 v[49:50], v[3:4], v[49:50]
	s_waitcnt vmcnt(56)
	v_fma_f64 v[69:70], v[5:6], v[169:170], -v[69:70]
	v_add_f64 v[31:32], v[31:32], v[43:44]
	v_fma_f64 v[43:44], v[7:8], v[169:170], v[175:176]
	v_add_f64 v[9:10], v[9:10], v[51:52]
	s_clause 0x2
	buffer_load_dword v58, off, s[0:3], 0 offset:700
	buffer_load_dword v52, off, s[0:3], 0 offset:676
	;; [unrolled: 1-line block ×3, first 2 shown]
	s_waitcnt vmcnt(58) lgkmcnt(0)
	v_mul_f64 v[169:170], v[27:28], v[75:76]
	v_mul_f64 v[75:76], v[29:30], v[75:76]
	ds_read_b128 v[5:8], v16 offset:1248
	s_waitcnt vmcnt(56)
	v_fma_f64 v[49:50], v[1:2], v[61:62], -v[49:50]
	v_fma_f64 v[61:62], v[3:4], v[61:62], v[189:190]
	v_add_f64 v[31:32], v[31:32], v[69:70]
	v_add_f64 v[9:10], v[9:10], v[43:44]
	s_clause 0x4
	buffer_load_dword v44, off, s[0:3], 0 offset:716
	buffer_load_dword v69, off, s[0:3], 0 offset:728
	;; [unrolled: 1-line block ×5, first 2 shown]
	ds_read_b128 v[1:4], v16 offset:1264
	s_waitcnt vmcnt(57) lgkmcnt(1)
	v_mul_f64 v[189:190], v[5:6], v[55:56]
	v_mul_f64 v[55:56], v[7:8], v[55:56]
	s_waitcnt vmcnt(56)
	v_fma_f64 v[75:76], v[27:28], v[81:82], -v[75:76]
	v_add_f64 v[31:32], v[31:32], v[49:50]
	v_fma_f64 v[49:50], v[29:30], v[81:82], v[169:170]
	v_add_f64 v[9:10], v[9:10], v[61:62]
	s_clause 0x2
	buffer_load_dword v70, off, s[0:3], 0 offset:732
	buffer_load_dword v62, off, s[0:3], 0 offset:708
	;; [unrolled: 1-line block ×3, first 2 shown]
	ds_read_b128 v[27:30], v16 offset:1280
	s_waitcnt vmcnt(58) lgkmcnt(1)
	v_mul_f64 v[81:82], v[1:2], v[87:88]
	v_mul_f64 v[87:88], v[3:4], v[87:88]
	s_waitcnt vmcnt(56)
	v_fma_f64 v[55:56], v[5:6], v[59:60], -v[55:56]
	v_fma_f64 v[59:60], v[7:8], v[59:60], v[189:190]
	v_add_f64 v[31:32], v[31:32], v[75:76]
	v_add_f64 v[9:10], v[9:10], v[49:50]
	s_clause 0x4
	buffer_load_dword v50, off, s[0:3], 0 offset:748
	buffer_load_dword v75, off, s[0:3], 0 offset:760
	;; [unrolled: 1-line block ×5, first 2 shown]
	ds_read_b128 v[5:8], v16 offset:1296
	s_waitcnt vmcnt(57) lgkmcnt(1)
	v_mul_f64 v[189:190], v[27:28], v[63:64]
	v_mul_f64 v[63:64], v[29:30], v[63:64]
	s_waitcnt vmcnt(56)
	v_fma_f64 v[87:88], v[1:2], v[161:162], -v[87:88]
	v_add_f64 v[31:32], v[31:32], v[55:56]
	v_fma_f64 v[55:56], v[3:4], v[161:162], v[81:82]
	v_add_f64 v[9:10], v[9:10], v[59:60]
	s_clause 0x2
	buffer_load_dword v76, off, s[0:3], 0 offset:764
	buffer_load_dword v60, off, s[0:3], 0 offset:740
	;; [unrolled: 1-line block ×3, first 2 shown]
	ds_read_b128 v[1:4], v16 offset:1312
	s_waitcnt vmcnt(58) lgkmcnt(1)
	v_mul_f64 v[161:162], v[7:8], v[165:166]
	v_mul_f64 v[81:82], v[5:6], v[165:166]
	s_waitcnt vmcnt(56)
	v_fma_f64 v[63:64], v[27:28], v[71:72], -v[63:64]
	v_fma_f64 v[71:72], v[29:30], v[71:72], v[189:190]
	v_add_f64 v[31:32], v[31:32], v[87:88]
	v_add_f64 v[9:10], v[9:10], v[55:56]
	s_clause 0x4
	buffer_load_dword v56, off, s[0:3], 0 offset:780
	buffer_load_dword v87, off, s[0:3], 0 offset:792
	;; [unrolled: 1-line block ×5, first 2 shown]
	ds_read_b128 v[27:30], v16 offset:1328
	s_waitcnt vmcnt(57) lgkmcnt(1)
	v_mul_f64 v[189:190], v[1:2], v[73:74]
	v_mul_f64 v[73:74], v[3:4], v[73:74]
	s_waitcnt vmcnt(56)
	v_fma_f64 v[161:162], v[5:6], v[167:168], -v[161:162]
	v_add_f64 v[31:32], v[31:32], v[63:64]
	v_fma_f64 v[63:64], v[7:8], v[167:168], v[81:82]
	v_add_f64 v[9:10], v[9:10], v[71:72]
	s_clause 0x2
	buffer_load_dword v88, off, s[0:3], 0 offset:796
	buffer_load_dword v72, off, s[0:3], 0 offset:772
	;; [unrolled: 1-line block ×3, first 2 shown]
	ds_read_b128 v[5:8], v16 offset:1344
	buffer_load_dword v166, off, s[0:3], 0 offset:788
	s_waitcnt vmcnt(59) lgkmcnt(1)
	v_mul_f64 v[81:82], v[27:28], v[83:84]
	v_mul_f64 v[83:84], v[29:30], v[83:84]
	s_waitcnt vmcnt(57)
	v_fma_f64 v[73:74], v[1:2], v[37:38], -v[73:74]
	v_fma_f64 v[37:38], v[3:4], v[37:38], v[189:190]
	ds_read_b128 v[1:4], v16 offset:1360
	v_add_f64 v[31:32], v[31:32], v[161:162]
	v_add_f64 v[9:10], v[9:10], v[63:64]
	s_waitcnt vmcnt(53) lgkmcnt(1)
	v_mul_f64 v[63:64], v[5:6], v[85:86]
	v_mul_f64 v[85:86], v[7:8], v[85:86]
	s_waitcnt vmcnt(52)
	v_fma_f64 v[83:84], v[27:28], v[177:178], -v[83:84]
	v_add_f64 v[31:32], v[31:32], v[73:74]
	v_fma_f64 v[73:74], v[29:30], v[177:178], v[81:82]
	v_add_f64 v[9:10], v[9:10], v[37:38]
	ds_read_b128 v[27:30], v16 offset:1376
	s_waitcnt vmcnt(51) lgkmcnt(1)
	v_mul_f64 v[81:82], v[3:4], v[171:172]
	v_mul_f64 v[37:38], v[1:2], v[171:172]
	s_waitcnt vmcnt(49)
	v_fma_f64 v[85:86], v[5:6], v[163:164], -v[85:86]
	v_fma_f64 v[63:64], v[7:8], v[163:164], v[63:64]
	v_add_f64 v[31:32], v[31:32], v[83:84]
	v_add_f64 v[9:10], v[9:10], v[73:74]
	s_clause 0x3
	buffer_load_dword v73, off, s[0:3], 0 offset:32
	buffer_load_dword v74, off, s[0:3], 0 offset:36
	;; [unrolled: 1-line block ×4, first 2 shown]
	ds_read_b128 v[5:8], v16 offset:1392
	s_waitcnt vmcnt(49) lgkmcnt(1)
	v_mul_f64 v[161:162], v[27:28], v[41:42]
	v_mul_f64 v[41:42], v[29:30], v[41:42]
	s_waitcnt vmcnt(48)
	v_fma_f64 v[81:82], v[1:2], v[181:182], -v[81:82]
	v_fma_f64 v[37:38], v[3:4], v[181:182], v[37:38]
	ds_read_b128 v[1:4], v16 offset:1408
	v_add_f64 v[31:32], v[31:32], v[85:86]
	v_add_f64 v[9:10], v[9:10], v[63:64]
	s_waitcnt vmcnt(47) lgkmcnt(1)
	v_mul_f64 v[85:86], v[7:8], v[179:180]
	v_mul_f64 v[63:64], v[5:6], v[179:180]
	s_waitcnt vmcnt(45)
	v_fma_f64 v[41:42], v[27:28], v[47:48], -v[41:42]
	v_fma_f64 v[47:48], v[29:30], v[47:48], v[161:162]
	ds_read_b128 v[27:30], v16 offset:1424
	v_add_f64 v[31:32], v[31:32], v[81:82]
	v_add_f64 v[9:10], v[9:10], v[37:38]
	s_waitcnt vmcnt(41) lgkmcnt(1)
	v_mul_f64 v[37:38], v[1:2], v[53:54]
	v_mul_f64 v[53:54], v[3:4], v[53:54]
	s_waitcnt vmcnt(40)
	v_fma_f64 v[81:82], v[5:6], v[185:186], -v[85:86]
	v_add_f64 v[31:32], v[31:32], v[41:42]
	v_fma_f64 v[41:42], v[7:8], v[185:186], v[63:64]
	v_add_f64 v[9:10], v[9:10], v[47:48]
	ds_read_b128 v[5:8], v16 offset:1440
	s_waitcnt vmcnt(39) lgkmcnt(1)
	v_mul_f64 v[63:64], v[29:30], v[173:174]
	v_mul_f64 v[47:48], v[27:28], v[173:174]
	s_waitcnt vmcnt(37)
	v_fma_f64 v[53:54], v[1:2], v[45:46], -v[53:54]
	v_fma_f64 v[37:38], v[3:4], v[45:46], v[37:38]
	ds_read_b128 v[1:4], v16 offset:1456
	v_add_f64 v[31:32], v[31:32], v[81:82]
	v_add_f64 v[9:10], v[9:10], v[41:42]
	s_waitcnt vmcnt(33) lgkmcnt(1)
	v_mul_f64 v[41:42], v[5:6], v[39:40]
	v_mul_f64 v[39:40], v[7:8], v[39:40]
	s_waitcnt vmcnt(32)
	v_fma_f64 v[45:46], v[27:28], v[187:188], -v[63:64]
	v_fma_f64 v[47:48], v[29:30], v[187:188], v[47:48]
	ds_read_b128 v[27:30], v16 offset:1472
	v_add_f64 v[31:32], v[31:32], v[53:54]
	v_add_f64 v[9:10], v[9:10], v[37:38]
	;; [unrolled: 9-line block ×5, first 2 shown]
	s_waitcnt vmcnt(17) lgkmcnt(1)
	v_mul_f64 v[47:48], v[3:4], v[49:50]
	s_waitcnt vmcnt(16)
	v_fma_f64 v[41:42], v[5:6], v[175:176], -v[41:42]
	v_mul_f64 v[37:38], v[1:2], v[49:50]
	v_fma_f64 v[39:40], v[7:8], v[175:176], v[39:40]
	ds_read_b128 v[5:8], v16 offset:1536
	v_add_f64 v[31:32], v[31:32], v[43:44]
	v_add_f64 v[9:10], v[9:10], v[45:46]
	s_waitcnt vmcnt(15) lgkmcnt(1)
	v_mul_f64 v[45:46], v[29:30], v[75:76]
	v_mul_f64 v[43:44], v[27:28], v[75:76]
	s_waitcnt vmcnt(13)
	v_fma_f64 v[47:48], v[1:2], v[59:60], -v[47:48]
	v_fma_f64 v[37:38], v[3:4], v[59:60], v[37:38]
	ds_read_b128 v[1:4], v16 offset:1552
	v_add_f64 v[31:32], v[31:32], v[41:42]
	v_add_f64 v[9:10], v[9:10], v[39:40]
	s_waitcnt vmcnt(9) lgkmcnt(1)
	v_mul_f64 v[41:42], v[7:8], v[55:56]
	s_waitcnt vmcnt(8)
	v_fma_f64 v[27:28], v[27:28], v[169:170], -v[45:46]
	v_mul_f64 v[39:40], v[5:6], v[55:56]
	v_fma_f64 v[29:30], v[29:30], v[169:170], v[43:44]
	v_add_f64 v[31:32], v[31:32], v[47:48]
	v_add_f64 v[9:10], v[9:10], v[37:38]
	s_waitcnt vmcnt(7) lgkmcnt(0)
	v_mul_f64 v[43:44], v[3:4], v[87:88]
	v_mul_f64 v[37:38], v[1:2], v[87:88]
	s_waitcnt vmcnt(5)
	v_fma_f64 v[5:6], v[5:6], v[71:72], -v[41:42]
	v_fma_f64 v[7:8], v[7:8], v[71:72], v[39:40]
	v_add_f64 v[27:28], v[31:32], v[27:28]
	v_add_f64 v[9:10], v[9:10], v[29:30]
	s_waitcnt vmcnt(4)
	v_fma_f64 v[1:2], v[1:2], v[165:166], -v[43:44]
	v_fma_f64 v[3:4], v[3:4], v[165:166], v[37:38]
	v_add_f64 v[5:6], v[27:28], v[5:6]
	v_add_f64 v[7:8], v[9:10], v[7:8]
	v_add_f64 v[1:2], v[5:6], v[1:2]
	v_add_f64 v[3:4], v[7:8], v[3:4]
	s_waitcnt vmcnt(2)
	v_add_f64 v[1:2], v[73:74], -v[1:2]
	s_waitcnt vmcnt(0)
	v_add_f64 v[3:4], v[83:84], -v[3:4]
	buffer_store_dword v2, off, s[0:3], 0 offset:36
	buffer_store_dword v1, off, s[0:3], 0 offset:32
	;; [unrolled: 1-line block ×4, first 2 shown]
	v_cmpx_ne_u32_e32 0, v0
	s_cbranch_execz .LBB48_307
; %bb.306:
	s_clause 0x3
	buffer_load_dword v0, off, s[0:3], 0 offset:16
	buffer_load_dword v1, off, s[0:3], 0 offset:20
	;; [unrolled: 1-line block ×4, first 2 shown]
	buffer_store_dword v16, off, s[0:3], 0 offset:16
	buffer_store_dword v16, off, s[0:3], 0 offset:20
	;; [unrolled: 1-line block ×4, first 2 shown]
	s_waitcnt vmcnt(0)
	ds_write_b128 v11, v[0:3]
.LBB48_307:
	s_or_b32 exec_lo, exec_lo, s4
	s_waitcnt lgkmcnt(0)
	s_waitcnt_vscnt null, 0x0
	s_barrier
	buffer_gl0_inv
	s_clause 0x37
	buffer_load_dword v31, off, s[0:3], 0 offset:40
	buffer_load_dword v32, off, s[0:3], 0 offset:44
	;; [unrolled: 1-line block ×56, first 2 shown]
	ds_read_b128 v[4:7], v16 offset:800
	s_clause 0x2
	buffer_load_dword v164, off, s[0:3], 0 offset:268
	buffer_load_dword v166, off, s[0:3], 0 offset:244
	;; [unrolled: 1-line block ×3, first 2 shown]
	ds_read_b128 v[0:3], v16 offset:816
	s_clause 0x4
	buffer_load_dword v174, off, s[0:3], 0 offset:284
	buffer_load_dword v175, off, s[0:3], 0 offset:296
	;; [unrolled: 1-line block ×5, first 2 shown]
	ds_read_b128 v[167:170], v16 offset:832
	s_and_b32 vcc_lo, exec_lo, s61
	s_waitcnt vmcnt(62) lgkmcnt(2)
	v_mul_f64 v[171:172], v[6:7], v[31:32]
	v_mul_f64 v[31:32], v[4:5], v[31:32]
	s_waitcnt vmcnt(60) lgkmcnt(1)
	v_mul_f64 v[178:179], v[2:3], v[27:28]
	v_mul_f64 v[27:28], v[0:1], v[27:28]
	;; [unrolled: 3-line block ×3, first 2 shown]
	v_fma_f64 v[171:172], v[4:5], v[29:30], -v[171:172]
	v_fma_f64 v[29:30], v[6:7], v[29:30], v[31:32]
	s_clause 0x2
	buffer_load_dword v176, off, s[0:3], 0 offset:300
	buffer_load_dword v32, off, s[0:3], 0 offset:276
	;; [unrolled: 1-line block ×3, first 2 shown]
	s_waitcnt vmcnt(57)
	v_fma_f64 v[182:183], v[0:1], v[8:9], -v[178:179]
	ds_read_b128 v[4:7], v16 offset:848
	v_fma_f64 v[8:9], v[2:3], v[8:9], v[27:28]
	s_waitcnt vmcnt(51)
	v_fma_f64 v[167:168], v[167:168], v[51:52], -v[10:11]
	v_fma_f64 v[51:52], v[169:170], v[51:52], v[180:181]
	v_add_f64 v[171:172], v[171:172], 0
	v_add_f64 v[27:28], v[29:30], 0
	s_clause 0x4
	buffer_load_dword v30, off, s[0:3], 0 offset:316
	buffer_load_dword v179, off, s[0:3], 0 offset:328
	;; [unrolled: 1-line block ×5, first 2 shown]
	s_waitcnt lgkmcnt(0)
	v_mul_f64 v[185:186], v[4:5], v[39:40]
	v_mul_f64 v[39:40], v[6:7], v[39:40]
	ds_read_b128 v[0:3], v16 offset:864
	s_clause 0x2
	buffer_load_dword v180, off, s[0:3], 0 offset:332
	buffer_load_dword v170, off, s[0:3], 0 offset:308
	;; [unrolled: 1-line block ×3, first 2 shown]
	v_add_f64 v[171:172], v[171:172], v[182:183]
	v_add_f64 v[27:28], v[27:28], v[8:9]
	ds_read_b128 v[8:11], v16 offset:880
	s_waitcnt vmcnt(58) lgkmcnt(1)
	v_mul_f64 v[181:182], v[0:1], v[43:44]
	v_mul_f64 v[43:44], v[2:3], v[43:44]
	s_waitcnt vmcnt(56)
	v_fma_f64 v[39:40], v[4:5], v[45:46], -v[39:40]
	v_fma_f64 v[45:46], v[6:7], v[45:46], v[185:186]
	s_waitcnt vmcnt(52) lgkmcnt(0)
	v_mul_f64 v[187:188], v[8:9], v[47:48]
	v_add_f64 v[167:168], v[171:172], v[167:168]
	v_add_f64 v[27:28], v[27:28], v[51:52]
	s_clause 0x4
	buffer_load_dword v52, off, s[0:3], 0 offset:348
	buffer_load_dword v171, off, s[0:3], 0 offset:360
	;; [unrolled: 1-line block ×5, first 2 shown]
	v_mul_f64 v[47:48], v[10:11], v[47:48]
	s_waitcnt vmcnt(56)
	v_fma_f64 v[43:44], v[0:1], v[37:38], -v[43:44]
	ds_read_b128 v[4:7], v16 offset:896
	v_fma_f64 v[37:38], v[2:3], v[37:38], v[181:182]
	v_add_f64 v[39:40], v[167:168], v[39:40]
	v_add_f64 v[27:28], v[27:28], v[45:46]
	s_clause 0x2
	buffer_load_dword v172, off, s[0:3], 0 offset:364
	buffer_load_dword v46, off, s[0:3], 0 offset:340
	;; [unrolled: 1-line block ×3, first 2 shown]
	s_waitcnt vmcnt(58) lgkmcnt(0)
	v_mul_f64 v[167:168], v[4:5], v[53:54]
	v_mul_f64 v[53:54], v[6:7], v[53:54]
	s_waitcnt vmcnt(56)
	v_fma_f64 v[47:48], v[8:9], v[55:56], -v[47:48]
	ds_read_b128 v[0:3], v16 offset:912
	v_add_f64 v[39:40], v[39:40], v[43:44]
	v_fma_f64 v[43:44], v[10:11], v[55:56], v[187:188]
	v_add_f64 v[27:28], v[27:28], v[37:38]
	s_clause 0x4
	buffer_load_dword v38, off, s[0:3], 0 offset:380
	buffer_load_dword v55, off, s[0:3], 0 offset:392
	;; [unrolled: 1-line block ×5, first 2 shown]
	s_waitcnt vmcnt(57) lgkmcnt(0)
	v_mul_f64 v[182:183], v[0:1], v[57:58]
	v_mul_f64 v[57:58], v[2:3], v[57:58]
	s_waitcnt vmcnt(56)
	v_fma_f64 v[53:54], v[4:5], v[41:42], -v[53:54]
	ds_read_b128 v[8:11], v16 offset:928
	v_fma_f64 v[41:42], v[6:7], v[41:42], v[167:168]
	v_add_f64 v[39:40], v[39:40], v[47:48]
	v_add_f64 v[27:28], v[27:28], v[43:44]
	s_clause 0x2
	buffer_load_dword v56, off, s[0:3], 0 offset:396
	buffer_load_dword v44, off, s[0:3], 0 offset:372
	;; [unrolled: 1-line block ×3, first 2 shown]
	ds_read_b128 v[4:7], v16 offset:944
	s_waitcnt vmcnt(58) lgkmcnt(1)
	v_mul_f64 v[47:48], v[8:9], v[61:62]
	v_mul_f64 v[61:62], v[10:11], v[61:62]
	s_waitcnt vmcnt(56)
	v_fma_f64 v[57:58], v[0:1], v[63:64], -v[57:58]
	v_add_f64 v[39:40], v[39:40], v[53:54]
	v_fma_f64 v[53:54], v[2:3], v[63:64], v[182:183]
	v_add_f64 v[27:28], v[27:28], v[41:42]
	s_clause 0x4
	buffer_load_dword v42, off, s[0:3], 0 offset:412
	buffer_load_dword v63, off, s[0:3], 0 offset:424
	;; [unrolled: 1-line block ×5, first 2 shown]
	s_waitcnt vmcnt(57) lgkmcnt(0)
	v_mul_f64 v[188:189], v[4:5], v[69:70]
	v_mul_f64 v[69:70], v[6:7], v[69:70]
	s_waitcnt vmcnt(56)
	v_fma_f64 v[61:62], v[8:9], v[49:50], -v[61:62]
	ds_read_b128 v[0:3], v16 offset:960
	v_fma_f64 v[47:48], v[10:11], v[49:50], v[47:48]
	s_clause 0x2
	buffer_load_dword v64, off, s[0:3], 0 offset:428
	buffer_load_dword v50, off, s[0:3], 0 offset:404
	buffer_load_dword v49, off, s[0:3], 0 offset:400
	ds_read_b128 v[8:11], v16 offset:976
	v_add_f64 v[39:40], v[39:40], v[57:58]
	v_add_f64 v[27:28], v[27:28], v[53:54]
	s_waitcnt vmcnt(58) lgkmcnt(1)
	v_mul_f64 v[57:58], v[2:3], v[73:74]
	s_waitcnt vmcnt(56)
	v_fma_f64 v[69:70], v[4:5], v[75:76], -v[69:70]
	v_mul_f64 v[53:54], v[0:1], v[73:74]
	v_add_f64 v[39:40], v[39:40], v[61:62]
	v_fma_f64 v[61:62], v[6:7], v[75:76], v[188:189]
	v_add_f64 v[27:28], v[27:28], v[47:48]
	s_clause 0x4
	buffer_load_dword v48, off, s[0:3], 0 offset:444
	buffer_load_dword v73, off, s[0:3], 0 offset:456
	;; [unrolled: 1-line block ×5, first 2 shown]
	s_waitcnt vmcnt(57) lgkmcnt(0)
	v_mul_f64 v[188:189], v[8:9], v[81:82]
	v_mul_f64 v[81:82], v[10:11], v[81:82]
	s_waitcnt vmcnt(56)
	v_fma_f64 v[57:58], v[0:1], v[59:60], -v[57:58]
	ds_read_b128 v[4:7], v16 offset:992
	v_fma_f64 v[53:54], v[2:3], v[59:60], v[53:54]
	s_clause 0x2
	buffer_load_dword v74, off, s[0:3], 0 offset:460
	buffer_load_dword v60, off, s[0:3], 0 offset:436
	;; [unrolled: 1-line block ×3, first 2 shown]
	ds_read_b128 v[0:3], v16 offset:1008
	v_add_f64 v[39:40], v[39:40], v[69:70]
	v_add_f64 v[27:28], v[27:28], v[61:62]
	s_waitcnt vmcnt(58) lgkmcnt(1)
	v_mul_f64 v[69:70], v[6:7], v[85:86]
	s_waitcnt vmcnt(56)
	v_fma_f64 v[81:82], v[8:9], v[87:88], -v[81:82]
	v_mul_f64 v[61:62], v[4:5], v[85:86]
	v_add_f64 v[39:40], v[39:40], v[57:58]
	v_fma_f64 v[57:58], v[10:11], v[87:88], v[188:189]
	v_add_f64 v[27:28], v[27:28], v[53:54]
	s_clause 0x4
	buffer_load_dword v54, off, s[0:3], 0 offset:476
	buffer_load_dword v85, off, s[0:3], 0 offset:488
	;; [unrolled: 1-line block ×5, first 2 shown]
	s_waitcnt vmcnt(57) lgkmcnt(0)
	v_mul_f64 v[188:189], v[0:1], v[161:162]
	v_mul_f64 v[161:162], v[2:3], v[161:162]
	s_waitcnt vmcnt(56)
	v_fma_f64 v[69:70], v[4:5], v[71:72], -v[69:70]
	ds_read_b128 v[8:11], v16 offset:1024
	v_fma_f64 v[61:62], v[6:7], v[71:72], v[61:62]
	v_add_f64 v[39:40], v[39:40], v[81:82]
	v_add_f64 v[27:28], v[27:28], v[57:58]
	s_clause 0x2
	buffer_load_dword v86, off, s[0:3], 0 offset:492
	buffer_load_dword v58, off, s[0:3], 0 offset:468
	;; [unrolled: 1-line block ×3, first 2 shown]
	ds_read_b128 v[4:7], v16 offset:1040
	s_waitcnt vmcnt(58) lgkmcnt(1)
	v_mul_f64 v[81:82], v[10:11], v[163:164]
	s_waitcnt vmcnt(56)
	v_fma_f64 v[161:162], v[0:1], v[165:166], -v[161:162]
	v_mul_f64 v[71:72], v[8:9], v[163:164]
	v_add_f64 v[39:40], v[39:40], v[69:70]
	v_fma_f64 v[69:70], v[2:3], v[165:166], v[188:189]
	v_add_f64 v[27:28], v[27:28], v[61:62]
	s_clause 0x4
	buffer_load_dword v62, off, s[0:3], 0 offset:508
	buffer_load_dword v163, off, s[0:3], 0 offset:520
	;; [unrolled: 1-line block ×5, first 2 shown]
	s_waitcnt vmcnt(57) lgkmcnt(0)
	v_mul_f64 v[188:189], v[4:5], v[173:174]
	v_mul_f64 v[173:174], v[6:7], v[173:174]
	s_waitcnt vmcnt(56)
	v_fma_f64 v[81:82], v[8:9], v[83:84], -v[81:82]
	ds_read_b128 v[0:3], v16 offset:1056
	v_fma_f64 v[71:72], v[10:11], v[83:84], v[71:72]
	v_add_f64 v[39:40], v[39:40], v[161:162]
	v_add_f64 v[27:28], v[27:28], v[69:70]
	s_clause 0x2
	buffer_load_dword v164, off, s[0:3], 0 offset:524
	buffer_load_dword v70, off, s[0:3], 0 offset:500
	;; [unrolled: 1-line block ×3, first 2 shown]
	ds_read_b128 v[8:11], v16 offset:1072
	s_waitcnt vmcnt(58) lgkmcnt(1)
	v_mul_f64 v[161:162], v[2:3], v[175:176]
	v_mul_f64 v[83:84], v[0:1], v[175:176]
	s_waitcnt vmcnt(56)
	v_fma_f64 v[173:174], v[4:5], v[31:32], -v[173:174]
	v_fma_f64 v[31:32], v[6:7], v[31:32], v[188:189]
	v_add_f64 v[39:40], v[39:40], v[81:82]
	v_add_f64 v[27:28], v[27:28], v[71:72]
	s_clause 0x4
	buffer_load_dword v72, off, s[0:3], 0 offset:540
	buffer_load_dword v81, off, s[0:3], 0 offset:552
	;; [unrolled: 1-line block ×5, first 2 shown]
	ds_read_b128 v[4:7], v16 offset:1088
	s_waitcnt vmcnt(57) lgkmcnt(1)
	v_mul_f64 v[188:189], v[8:9], v[29:30]
	v_mul_f64 v[29:30], v[10:11], v[29:30]
	s_waitcnt vmcnt(56)
	v_fma_f64 v[161:162], v[0:1], v[177:178], -v[161:162]
	v_fma_f64 v[83:84], v[2:3], v[177:178], v[83:84]
	v_add_f64 v[39:40], v[39:40], v[173:174]
	v_add_f64 v[27:28], v[27:28], v[31:32]
	s_clause 0x2
	buffer_load_dword v82, off, s[0:3], 0 offset:556
	buffer_load_dword v32, off, s[0:3], 0 offset:532
	;; [unrolled: 1-line block ×3, first 2 shown]
	s_waitcnt vmcnt(58) lgkmcnt(0)
	v_mul_f64 v[177:178], v[6:7], v[179:180]
	ds_read_b128 v[0:3], v16 offset:1104
	v_mul_f64 v[173:174], v[4:5], v[179:180]
	s_waitcnt vmcnt(56)
	v_fma_f64 v[29:30], v[8:9], v[169:170], -v[29:30]
	v_add_f64 v[39:40], v[39:40], v[161:162]
	v_fma_f64 v[161:162], v[10:11], v[169:170], v[188:189]
	v_add_f64 v[27:28], v[27:28], v[83:84]
	s_clause 0x4
	buffer_load_dword v84, off, s[0:3], 0 offset:572
	buffer_load_dword v169, off, s[0:3], 0 offset:584
	;; [unrolled: 1-line block ×5, first 2 shown]
	ds_read_b128 v[8:11], v16 offset:1120
	s_waitcnt vmcnt(57) lgkmcnt(1)
	v_mul_f64 v[188:189], v[0:1], v[51:52]
	v_mul_f64 v[51:52], v[2:3], v[51:52]
	s_waitcnt vmcnt(56)
	v_fma_f64 v[177:178], v[4:5], v[184:185], -v[177:178]
	v_add_f64 v[29:30], v[39:40], v[29:30]
	v_fma_f64 v[39:40], v[6:7], v[184:185], v[173:174]
	v_add_f64 v[27:28], v[27:28], v[161:162]
	s_clause 0x2
	buffer_load_dword v170, off, s[0:3], 0 offset:588
	buffer_load_dword v162, off, s[0:3], 0 offset:564
	;; [unrolled: 1-line block ×3, first 2 shown]
	ds_read_b128 v[4:7], v16 offset:1136
	s_waitcnt vmcnt(58) lgkmcnt(1)
	v_mul_f64 v[173:174], v[8:9], v[171:172]
	v_mul_f64 v[171:172], v[10:11], v[171:172]
	s_waitcnt vmcnt(56)
	v_fma_f64 v[51:52], v[0:1], v[45:46], -v[51:52]
	v_fma_f64 v[45:46], v[2:3], v[45:46], v[188:189]
	v_add_f64 v[29:30], v[29:30], v[177:178]
	v_add_f64 v[27:28], v[27:28], v[39:40]
	s_clause 0x4
	buffer_load_dword v40, off, s[0:3], 0 offset:604
	buffer_load_dword v177, off, s[0:3], 0 offset:616
	;; [unrolled: 1-line block ×5, first 2 shown]
	ds_read_b128 v[0:3], v16 offset:1152
	s_waitcnt vmcnt(57) lgkmcnt(1)
	v_mul_f64 v[184:185], v[4:5], v[37:38]
	v_mul_f64 v[37:38], v[6:7], v[37:38]
	s_waitcnt vmcnt(56)
	v_fma_f64 v[171:172], v[8:9], v[186:187], -v[171:172]
	v_add_f64 v[29:30], v[29:30], v[51:52]
	v_fma_f64 v[51:52], v[10:11], v[186:187], v[173:174]
	v_add_f64 v[27:28], v[27:28], v[45:46]
	s_clause 0x2
	buffer_load_dword v178, off, s[0:3], 0 offset:620
	buffer_load_dword v46, off, s[0:3], 0 offset:596
	;; [unrolled: 1-line block ×3, first 2 shown]
	ds_read_b128 v[8:11], v16 offset:1168
	s_waitcnt vmcnt(58) lgkmcnt(1)
	v_mul_f64 v[173:174], v[0:1], v[55:56]
	v_mul_f64 v[55:56], v[2:3], v[55:56]
	s_waitcnt vmcnt(56)
	v_fma_f64 v[37:38], v[4:5], v[43:44], -v[37:38]
	v_fma_f64 v[43:44], v[6:7], v[43:44], v[184:185]
	v_add_f64 v[29:30], v[29:30], v[171:172]
	v_add_f64 v[27:28], v[27:28], v[51:52]
	s_clause 0x4
	buffer_load_dword v52, off, s[0:3], 0 offset:636
	buffer_load_dword v171, off, s[0:3], 0 offset:648
	;; [unrolled: 1-line block ×5, first 2 shown]
	ds_read_b128 v[4:7], v16 offset:1184
	s_waitcnt vmcnt(57) lgkmcnt(1)
	v_mul_f64 v[186:187], v[8:9], v[41:42]
	v_mul_f64 v[41:42], v[10:11], v[41:42]
	s_waitcnt vmcnt(56)
	v_fma_f64 v[55:56], v[0:1], v[181:182], -v[55:56]
	v_add_f64 v[29:30], v[29:30], v[37:38]
	v_fma_f64 v[37:38], v[2:3], v[181:182], v[173:174]
	v_add_f64 v[27:28], v[27:28], v[43:44]
	s_clause 0x2
	buffer_load_dword v172, off, s[0:3], 0 offset:652
	buffer_load_dword v44, off, s[0:3], 0 offset:628
	buffer_load_dword v43, off, s[0:3], 0 offset:624
	s_waitcnt vmcnt(58) lgkmcnt(0)
	v_mul_f64 v[173:174], v[4:5], v[63:64]
	v_mul_f64 v[63:64], v[6:7], v[63:64]
	ds_read_b128 v[0:3], v16 offset:1200
	s_waitcnt vmcnt(56)
	v_fma_f64 v[41:42], v[8:9], v[49:50], -v[41:42]
	v_fma_f64 v[49:50], v[10:11], v[49:50], v[186:187]
	v_add_f64 v[29:30], v[29:30], v[55:56]
	v_add_f64 v[27:28], v[27:28], v[37:38]
	s_clause 0x4
	buffer_load_dword v38, off, s[0:3], 0 offset:668
	buffer_load_dword v55, off, s[0:3], 0 offset:680
	;; [unrolled: 1-line block ×5, first 2 shown]
	ds_read_b128 v[8:11], v16 offset:1216
	s_waitcnt vmcnt(57) lgkmcnt(1)
	v_mul_f64 v[187:188], v[0:1], v[47:48]
	v_mul_f64 v[47:48], v[2:3], v[47:48]
	s_waitcnt vmcnt(56)
	v_fma_f64 v[63:64], v[4:5], v[167:168], -v[63:64]
	v_add_f64 v[29:30], v[29:30], v[41:42]
	v_fma_f64 v[41:42], v[6:7], v[167:168], v[173:174]
	v_add_f64 v[27:28], v[27:28], v[49:50]
	s_clause 0x2
	buffer_load_dword v56, off, s[0:3], 0 offset:684
	buffer_load_dword v50, off, s[0:3], 0 offset:660
	;; [unrolled: 1-line block ×3, first 2 shown]
	s_waitcnt vmcnt(58) lgkmcnt(0)
	v_mul_f64 v[167:168], v[8:9], v[73:74]
	v_mul_f64 v[73:74], v[10:11], v[73:74]
	ds_read_b128 v[4:7], v16 offset:1232
	s_waitcnt vmcnt(56)
	v_fma_f64 v[47:48], v[0:1], v[59:60], -v[47:48]
	v_fma_f64 v[59:60], v[2:3], v[59:60], v[187:188]
	v_add_f64 v[29:30], v[29:30], v[63:64]
	v_add_f64 v[27:28], v[27:28], v[41:42]
	s_clause 0x4
	buffer_load_dword v42, off, s[0:3], 0 offset:700
	buffer_load_dword v63, off, s[0:3], 0 offset:712
	buffer_load_dword v173, off, s[0:3], 0 offset:704
	buffer_load_dword v41, off, s[0:3], 0 offset:696
	buffer_load_dword v182, off, s[0:3], 0 offset:676
	ds_read_b128 v[0:3], v16 offset:1248
	s_waitcnt vmcnt(57) lgkmcnt(1)
	v_mul_f64 v[187:188], v[4:5], v[53:54]
	v_mul_f64 v[53:54], v[6:7], v[53:54]
	s_waitcnt vmcnt(56)
	v_fma_f64 v[73:74], v[8:9], v[75:76], -v[73:74]
	v_add_f64 v[29:30], v[29:30], v[47:48]
	v_fma_f64 v[47:48], v[10:11], v[75:76], v[167:168]
	v_add_f64 v[27:28], v[27:28], v[59:60]
	s_clause 0x2
	buffer_load_dword v64, off, s[0:3], 0 offset:716
	buffer_load_dword v60, off, s[0:3], 0 offset:692
	buffer_load_dword v59, off, s[0:3], 0 offset:688
	ds_read_b128 v[8:11], v16 offset:1264
	s_waitcnt vmcnt(58) lgkmcnt(1)
	v_mul_f64 v[75:76], v[0:1], v[85:86]
	v_mul_f64 v[85:86], v[2:3], v[85:86]
	s_waitcnt vmcnt(56)
	v_fma_f64 v[53:54], v[4:5], v[57:58], -v[53:54]
	v_fma_f64 v[57:58], v[6:7], v[57:58], v[187:188]
	v_add_f64 v[29:30], v[29:30], v[73:74]
	v_add_f64 v[27:28], v[27:28], v[47:48]
	s_clause 0x4
	buffer_load_dword v48, off, s[0:3], 0 offset:732
	buffer_load_dword v73, off, s[0:3], 0 offset:744
	buffer_load_dword v167, off, s[0:3], 0 offset:736
	buffer_load_dword v47, off, s[0:3], 0 offset:728
	buffer_load_dword v174, off, s[0:3], 0 offset:708
	ds_read_b128 v[4:7], v16 offset:1280
	s_waitcnt vmcnt(57) lgkmcnt(1)
	v_mul_f64 v[187:188], v[8:9], v[61:62]
	v_mul_f64 v[61:62], v[10:11], v[61:62]
	s_waitcnt vmcnt(56)
	v_fma_f64 v[85:86], v[0:1], v[87:88], -v[85:86]
	v_add_f64 v[29:30], v[29:30], v[53:54]
	v_fma_f64 v[53:54], v[2:3], v[87:88], v[75:76]
	v_add_f64 v[27:28], v[27:28], v[57:58]
	s_clause 0x2
	buffer_load_dword v74, off, s[0:3], 0 offset:748
	buffer_load_dword v58, off, s[0:3], 0 offset:724
	buffer_load_dword v57, off, s[0:3], 0 offset:720
	ds_read_b128 v[0:3], v16 offset:1296
	s_waitcnt vmcnt(58) lgkmcnt(1)
	v_mul_f64 v[87:88], v[6:7], v[163:164]
	v_mul_f64 v[75:76], v[4:5], v[163:164]
	;; [unrolled: 28-line block ×3, first 2 shown]
	s_waitcnt vmcnt(56)
	v_fma_f64 v[71:72], v[0:1], v[31:32], -v[71:72]
	v_fma_f64 v[31:32], v[2:3], v[31:32], v[187:188]
	v_add_f64 v[29:30], v[29:30], v[87:88]
	v_add_f64 v[27:28], v[27:28], v[61:62]
	s_clause 0x2
	buffer_load_dword v62, off, s[0:3], 0 offset:796
	buffer_load_dword v61, off, s[0:3], 0 offset:792
	;; [unrolled: 1-line block ×3, first 2 shown]
	ds_read_b128 v[0:3], v16 offset:1344
	s_waitcnt vmcnt(55) lgkmcnt(1)
	v_mul_f64 v[87:88], v[4:5], v[83:84]
	v_mul_f64 v[83:84], v[6:7], v[83:84]
	s_waitcnt vmcnt(54)
	v_fma_f64 v[81:82], v[8:9], v[175:176], -v[81:82]
	v_add_f64 v[29:30], v[29:30], v[71:72]
	v_fma_f64 v[71:72], v[10:11], v[175:176], v[75:76]
	v_add_f64 v[27:28], v[27:28], v[31:32]
	s_clause 0x1
	buffer_load_dword v32, off, s[0:3], 0 offset:788
	buffer_load_dword v31, off, s[0:3], 0 offset:784
	ds_read_b128 v[8:11], v16 offset:1360
	s_waitcnt vmcnt(55) lgkmcnt(1)
	v_mul_f64 v[165:166], v[2:3], v[169:170]
	v_mul_f64 v[75:76], v[0:1], v[169:170]
	s_waitcnt vmcnt(53)
	v_fma_f64 v[83:84], v[4:5], v[161:162], -v[83:84]
	v_add_f64 v[29:30], v[29:30], v[81:82]
	v_fma_f64 v[81:82], v[6:7], v[161:162], v[87:88]
	v_add_f64 v[27:28], v[27:28], v[71:72]
	ds_read_b128 v[4:7], v16 offset:1376
	s_waitcnt vmcnt(49) lgkmcnt(1)
	v_mul_f64 v[71:72], v[8:9], v[39:40]
	v_mul_f64 v[39:40], v[10:11], v[39:40]
	s_waitcnt vmcnt(48)
	v_fma_f64 v[87:88], v[0:1], v[179:180], -v[165:166]
	v_fma_f64 v[75:76], v[2:3], v[179:180], v[75:76]
	v_add_f64 v[29:30], v[29:30], v[83:84]
	v_add_f64 v[27:28], v[27:28], v[81:82]
	s_clause 0x3
	buffer_load_dword v81, off, s[0:3], 0 offset:16
	buffer_load_dword v82, off, s[0:3], 0 offset:20
	buffer_load_dword v83, off, s[0:3], 0 offset:24
	buffer_load_dword v84, off, s[0:3], 0 offset:28
	ds_read_b128 v[0:3], v16 offset:1392
	s_waitcnt vmcnt(51) lgkmcnt(1)
	v_mul_f64 v[165:166], v[6:7], v[177:178]
	v_mul_f64 v[161:162], v[4:5], v[177:178]
	s_waitcnt vmcnt(49)
	v_fma_f64 v[39:40], v[8:9], v[45:46], -v[39:40]
	v_fma_f64 v[45:46], v[10:11], v[45:46], v[71:72]
	ds_read_b128 v[8:11], v16 offset:1408
	v_add_f64 v[29:30], v[29:30], v[87:88]
	v_add_f64 v[27:28], v[27:28], v[75:76]
	s_waitcnt vmcnt(45) lgkmcnt(1)
	v_mul_f64 v[71:72], v[0:1], v[51:52]
	v_mul_f64 v[51:52], v[2:3], v[51:52]
	s_waitcnt vmcnt(44)
	v_fma_f64 v[75:76], v[4:5], v[183:184], -v[165:166]
	v_add_f64 v[29:30], v[29:30], v[39:40]
	v_fma_f64 v[39:40], v[6:7], v[183:184], v[161:162]
	v_add_f64 v[27:28], v[27:28], v[45:46]
	ds_read_b128 v[4:7], v16 offset:1424
	s_waitcnt vmcnt(43) lgkmcnt(1)
	v_mul_f64 v[87:88], v[10:11], v[171:172]
	v_mul_f64 v[45:46], v[8:9], v[171:172]
	s_waitcnt vmcnt(41)
	v_fma_f64 v[51:52], v[0:1], v[43:44], -v[51:52]
	v_fma_f64 v[43:44], v[2:3], v[43:44], v[71:72]
	ds_read_b128 v[0:3], v16 offset:1440
	v_add_f64 v[29:30], v[29:30], v[75:76]
	v_add_f64 v[27:28], v[27:28], v[39:40]
	s_waitcnt vmcnt(37) lgkmcnt(1)
	v_mul_f64 v[39:40], v[4:5], v[37:38]
	v_mul_f64 v[37:38], v[6:7], v[37:38]
	s_waitcnt vmcnt(36)
	v_fma_f64 v[71:72], v[8:9], v[185:186], -v[87:88]
	v_fma_f64 v[45:46], v[10:11], v[185:186], v[45:46]
	ds_read_b128 v[8:11], v16 offset:1456
	v_add_f64 v[29:30], v[29:30], v[51:52]
	v_add_f64 v[27:28], v[27:28], v[43:44]
	;; [unrolled: 9-line block ×3, first 2 shown]
	s_waitcnt vmcnt(29) lgkmcnt(1)
	v_mul_f64 v[45:46], v[8:9], v[41:42]
	v_mul_f64 v[41:42], v[10:11], v[41:42]
	s_waitcnt vmcnt(28)
	v_fma_f64 v[49:50], v[0:1], v[181:182], -v[51:52]
	v_add_f64 v[29:30], v[29:30], v[37:38]
	v_fma_f64 v[37:38], v[2:3], v[181:182], v[43:44]
	v_add_f64 v[27:28], v[27:28], v[39:40]
	ds_read_b128 v[0:3], v16 offset:1488
	s_waitcnt vmcnt(27) lgkmcnt(1)
	v_mul_f64 v[43:44], v[6:7], v[63:64]
	v_mul_f64 v[39:40], v[4:5], v[63:64]
	s_waitcnt vmcnt(25)
	v_fma_f64 v[41:42], v[8:9], v[59:60], -v[41:42]
	v_fma_f64 v[45:46], v[10:11], v[59:60], v[45:46]
	ds_read_b128 v[8:11], v16 offset:1504
	v_add_f64 v[29:30], v[29:30], v[49:50]
	v_add_f64 v[27:28], v[27:28], v[37:38]
	s_waitcnt vmcnt(21) lgkmcnt(1)
	v_mul_f64 v[37:38], v[0:1], v[47:48]
	v_mul_f64 v[47:48], v[2:3], v[47:48]
	s_waitcnt vmcnt(20)
	v_fma_f64 v[43:44], v[4:5], v[173:174], -v[43:44]
	v_fma_f64 v[39:40], v[6:7], v[173:174], v[39:40]
	ds_read_b128 v[4:7], v16 offset:1520
	v_add_f64 v[29:30], v[29:30], v[41:42]
	v_add_f64 v[27:28], v[27:28], v[45:46]
	;; [unrolled: 9-line block ×3, first 2 shown]
	s_waitcnt vmcnt(13) lgkmcnt(1)
	v_mul_f64 v[43:44], v[6:7], v[53:54]
	s_waitcnt vmcnt(12)
	v_fma_f64 v[45:46], v[8:9], v[167:168], -v[45:46]
	v_mul_f64 v[39:40], v[4:5], v[53:54]
	v_fma_f64 v[41:42], v[10:11], v[167:168], v[41:42]
	ds_read_b128 v[8:11], v16 offset:1552
	v_add_f64 v[29:30], v[29:30], v[47:48]
	v_add_f64 v[27:28], v[27:28], v[37:38]
	s_waitcnt vmcnt(11) lgkmcnt(1)
	v_mul_f64 v[47:48], v[2:3], v[85:86]
	v_mul_f64 v[37:38], v[0:1], v[85:86]
	s_waitcnt vmcnt(9)
	v_fma_f64 v[4:5], v[4:5], v[69:70], -v[43:44]
	v_fma_f64 v[6:7], v[6:7], v[69:70], v[39:40]
	v_add_f64 v[29:30], v[29:30], v[45:46]
	v_add_f64 v[27:28], v[27:28], v[41:42]
	s_waitcnt vmcnt(7) lgkmcnt(0)
	v_mul_f64 v[41:42], v[10:11], v[61:62]
	s_waitcnt vmcnt(6)
	v_fma_f64 v[0:1], v[0:1], v[163:164], -v[47:48]
	v_mul_f64 v[39:40], v[8:9], v[61:62]
	v_fma_f64 v[2:3], v[2:3], v[163:164], v[37:38]
	v_add_f64 v[4:5], v[29:30], v[4:5]
	v_add_f64 v[6:7], v[27:28], v[6:7]
	s_waitcnt vmcnt(4)
	v_fma_f64 v[8:9], v[8:9], v[31:32], -v[41:42]
	v_add_f64 v[0:1], v[4:5], v[0:1]
	v_fma_f64 v[4:5], v[10:11], v[31:32], v[39:40]
	v_add_f64 v[2:3], v[6:7], v[2:3]
	v_add_f64 v[0:1], v[0:1], v[8:9]
	;; [unrolled: 1-line block ×3, first 2 shown]
	s_waitcnt vmcnt(2)
	v_add_f64 v[0:1], v[81:82], -v[0:1]
	s_waitcnt vmcnt(0)
	v_add_f64 v[2:3], v[83:84], -v[2:3]
	buffer_store_dword v1, off, s[0:3], 0 offset:20
	buffer_store_dword v0, off, s[0:3], 0 offset:16
	;; [unrolled: 1-line block ×4, first 2 shown]
	s_cbranch_vccz .LBB48_404
; %bb.308:
	v_mov_b32_e32 v0, 0
	global_load_dword v1, v0, s[20:21] offset:188
	s_waitcnt vmcnt(0)
	v_add_nc_u32_e32 v1, -1, v1
	v_cmp_ne_u32_e32 vcc_lo, 47, v1
	s_cbranch_vccz .LBB48_310
; %bb.309:
	v_lshlrev_b32_e32 v1, 4, v1
	v_mov_b32_e32 v2, s9
	v_add_nc_u32_e32 v1, 16, v1
	s_clause 0x7
	buffer_load_dword v3, v1, s[0:3], 0 offen
	buffer_load_dword v4, v1, s[0:3], 0 offen offset:4
	buffer_load_dword v5, v1, s[0:3], 0 offen offset:8
	;; [unrolled: 1-line block ×6, first 2 shown]
	buffer_load_dword v10, v2, s[0:3], 0 offen
	s_waitcnt vmcnt(7)
	buffer_store_dword v3, v2, s[0:3], 0 offen
	s_waitcnt vmcnt(6)
	buffer_store_dword v4, v2, s[0:3], 0 offen offset:4
	s_waitcnt vmcnt(5)
	buffer_store_dword v5, v2, s[0:3], 0 offen offset:8
	s_waitcnt vmcnt(4)
	buffer_store_dword v6, v2, s[0:3], 0 offen offset:12
	s_waitcnt vmcnt(3)
	buffer_store_dword v7, v1, s[0:3], 0 offen offset:12
	s_waitcnt vmcnt(2)
	buffer_store_dword v8, v1, s[0:3], 0 offen offset:8
	s_waitcnt vmcnt(1)
	buffer_store_dword v9, v1, s[0:3], 0 offen offset:4
	s_waitcnt vmcnt(0)
	buffer_store_dword v10, v1, s[0:3], 0 offen
.LBB48_310:
	global_load_dword v0, v0, s[20:21] offset:184
	s_waitcnt vmcnt(0)
	v_add_nc_u32_e32 v0, -1, v0
	v_cmp_eq_u32_e32 vcc_lo, 46, v0
	s_cbranch_vccnz .LBB48_312
; %bb.311:
	v_lshlrev_b32_e32 v0, 4, v0
	v_mov_b32_e32 v1, s12
	v_add_nc_u32_e32 v0, 16, v0
	s_clause 0x7
	buffer_load_dword v2, v0, s[0:3], 0 offen
	buffer_load_dword v3, v0, s[0:3], 0 offen offset:4
	buffer_load_dword v4, v0, s[0:3], 0 offen offset:8
	;; [unrolled: 1-line block ×6, first 2 shown]
	buffer_load_dword v9, v1, s[0:3], 0 offen
	s_waitcnt vmcnt(7)
	buffer_store_dword v2, v1, s[0:3], 0 offen
	s_waitcnt vmcnt(6)
	buffer_store_dword v3, v1, s[0:3], 0 offen offset:4
	s_waitcnt vmcnt(5)
	buffer_store_dword v4, v1, s[0:3], 0 offen offset:8
	s_waitcnt vmcnt(4)
	buffer_store_dword v5, v1, s[0:3], 0 offen offset:12
	s_waitcnt vmcnt(3)
	buffer_store_dword v6, v0, s[0:3], 0 offen offset:12
	s_waitcnt vmcnt(2)
	buffer_store_dword v7, v0, s[0:3], 0 offen offset:8
	s_waitcnt vmcnt(1)
	buffer_store_dword v8, v0, s[0:3], 0 offen offset:4
	s_waitcnt vmcnt(0)
	buffer_store_dword v9, v0, s[0:3], 0 offen
.LBB48_312:
	v_mov_b32_e32 v0, 0
	global_load_dword v1, v0, s[20:21] offset:180
	s_waitcnt vmcnt(0)
	v_add_nc_u32_e32 v1, -1, v1
	v_cmp_eq_u32_e32 vcc_lo, 45, v1
	s_cbranch_vccnz .LBB48_314
; %bb.313:
	v_lshlrev_b32_e32 v1, 4, v1
	v_mov_b32_e32 v2, s13
	v_add_nc_u32_e32 v1, 16, v1
	s_clause 0x7
	buffer_load_dword v3, v1, s[0:3], 0 offen
	buffer_load_dword v4, v1, s[0:3], 0 offen offset:4
	buffer_load_dword v5, v1, s[0:3], 0 offen offset:8
	;; [unrolled: 1-line block ×6, first 2 shown]
	buffer_load_dword v10, v2, s[0:3], 0 offen
	s_waitcnt vmcnt(7)
	buffer_store_dword v3, v2, s[0:3], 0 offen
	s_waitcnt vmcnt(6)
	buffer_store_dword v4, v2, s[0:3], 0 offen offset:4
	s_waitcnt vmcnt(5)
	buffer_store_dword v5, v2, s[0:3], 0 offen offset:8
	;; [unrolled: 2-line block ×6, first 2 shown]
	s_waitcnt vmcnt(0)
	buffer_store_dword v10, v1, s[0:3], 0 offen
.LBB48_314:
	global_load_dword v0, v0, s[20:21] offset:176
	s_waitcnt vmcnt(0)
	v_add_nc_u32_e32 v0, -1, v0
	v_cmp_eq_u32_e32 vcc_lo, 44, v0
	s_cbranch_vccnz .LBB48_316
; %bb.315:
	v_lshlrev_b32_e32 v0, 4, v0
	v_mov_b32_e32 v1, s14
	v_add_nc_u32_e32 v0, 16, v0
	s_clause 0x7
	buffer_load_dword v2, v0, s[0:3], 0 offen
	buffer_load_dword v3, v0, s[0:3], 0 offen offset:4
	buffer_load_dword v4, v0, s[0:3], 0 offen offset:8
	;; [unrolled: 1-line block ×6, first 2 shown]
	buffer_load_dword v9, v1, s[0:3], 0 offen
	s_waitcnt vmcnt(7)
	buffer_store_dword v2, v1, s[0:3], 0 offen
	s_waitcnt vmcnt(6)
	buffer_store_dword v3, v1, s[0:3], 0 offen offset:4
	s_waitcnt vmcnt(5)
	buffer_store_dword v4, v1, s[0:3], 0 offen offset:8
	;; [unrolled: 2-line block ×6, first 2 shown]
	s_waitcnt vmcnt(0)
	buffer_store_dword v9, v0, s[0:3], 0 offen
.LBB48_316:
	v_mov_b32_e32 v0, 0
	global_load_dword v1, v0, s[20:21] offset:172
	s_waitcnt vmcnt(0)
	v_add_nc_u32_e32 v1, -1, v1
	v_cmp_eq_u32_e32 vcc_lo, 43, v1
	s_cbranch_vccnz .LBB48_318
; %bb.317:
	v_lshlrev_b32_e32 v1, 4, v1
	v_mov_b32_e32 v2, s15
	v_add_nc_u32_e32 v1, 16, v1
	s_clause 0x7
	buffer_load_dword v3, v1, s[0:3], 0 offen
	buffer_load_dword v4, v1, s[0:3], 0 offen offset:4
	buffer_load_dword v5, v1, s[0:3], 0 offen offset:8
	buffer_load_dword v6, v1, s[0:3], 0 offen offset:12
	buffer_load_dword v7, v2, s[0:3], 0 offen offset:12
	buffer_load_dword v8, v2, s[0:3], 0 offen offset:8
	buffer_load_dword v9, v2, s[0:3], 0 offen offset:4
	buffer_load_dword v10, v2, s[0:3], 0 offen
	s_waitcnt vmcnt(7)
	buffer_store_dword v3, v2, s[0:3], 0 offen
	s_waitcnt vmcnt(6)
	buffer_store_dword v4, v2, s[0:3], 0 offen offset:4
	s_waitcnt vmcnt(5)
	buffer_store_dword v5, v2, s[0:3], 0 offen offset:8
	;; [unrolled: 2-line block ×6, first 2 shown]
	s_waitcnt vmcnt(0)
	buffer_store_dword v10, v1, s[0:3], 0 offen
.LBB48_318:
	global_load_dword v0, v0, s[20:21] offset:168
	s_waitcnt vmcnt(0)
	v_add_nc_u32_e32 v0, -1, v0
	v_cmp_eq_u32_e32 vcc_lo, 42, v0
	s_cbranch_vccnz .LBB48_320
; %bb.319:
	v_lshlrev_b32_e32 v0, 4, v0
	v_mov_b32_e32 v1, s16
	v_add_nc_u32_e32 v0, 16, v0
	s_clause 0x7
	buffer_load_dword v2, v0, s[0:3], 0 offen
	buffer_load_dword v3, v0, s[0:3], 0 offen offset:4
	buffer_load_dword v4, v0, s[0:3], 0 offen offset:8
	;; [unrolled: 1-line block ×6, first 2 shown]
	buffer_load_dword v9, v1, s[0:3], 0 offen
	s_waitcnt vmcnt(7)
	buffer_store_dword v2, v1, s[0:3], 0 offen
	s_waitcnt vmcnt(6)
	buffer_store_dword v3, v1, s[0:3], 0 offen offset:4
	s_waitcnt vmcnt(5)
	buffer_store_dword v4, v1, s[0:3], 0 offen offset:8
	;; [unrolled: 2-line block ×6, first 2 shown]
	s_waitcnt vmcnt(0)
	buffer_store_dword v9, v0, s[0:3], 0 offen
.LBB48_320:
	v_mov_b32_e32 v0, 0
	global_load_dword v1, v0, s[20:21] offset:164
	s_waitcnt vmcnt(0)
	v_add_nc_u32_e32 v1, -1, v1
	v_cmp_eq_u32_e32 vcc_lo, 41, v1
	s_cbranch_vccnz .LBB48_322
; %bb.321:
	v_lshlrev_b32_e32 v1, 4, v1
	v_mov_b32_e32 v2, s17
	v_add_nc_u32_e32 v1, 16, v1
	s_clause 0x7
	buffer_load_dword v3, v1, s[0:3], 0 offen
	buffer_load_dword v4, v1, s[0:3], 0 offen offset:4
	buffer_load_dword v5, v1, s[0:3], 0 offen offset:8
	;; [unrolled: 1-line block ×6, first 2 shown]
	buffer_load_dword v10, v2, s[0:3], 0 offen
	s_waitcnt vmcnt(7)
	buffer_store_dword v3, v2, s[0:3], 0 offen
	s_waitcnt vmcnt(6)
	buffer_store_dword v4, v2, s[0:3], 0 offen offset:4
	s_waitcnt vmcnt(5)
	buffer_store_dword v5, v2, s[0:3], 0 offen offset:8
	;; [unrolled: 2-line block ×6, first 2 shown]
	s_waitcnt vmcnt(0)
	buffer_store_dword v10, v1, s[0:3], 0 offen
.LBB48_322:
	global_load_dword v0, v0, s[20:21] offset:160
	s_waitcnt vmcnt(0)
	v_add_nc_u32_e32 v0, -1, v0
	v_cmp_eq_u32_e32 vcc_lo, 40, v0
	s_cbranch_vccnz .LBB48_324
; %bb.323:
	v_lshlrev_b32_e32 v0, 4, v0
	v_mov_b32_e32 v1, s18
	v_add_nc_u32_e32 v0, 16, v0
	s_clause 0x7
	buffer_load_dword v2, v0, s[0:3], 0 offen
	buffer_load_dword v3, v0, s[0:3], 0 offen offset:4
	buffer_load_dword v4, v0, s[0:3], 0 offen offset:8
	;; [unrolled: 1-line block ×6, first 2 shown]
	buffer_load_dword v9, v1, s[0:3], 0 offen
	s_waitcnt vmcnt(7)
	buffer_store_dword v2, v1, s[0:3], 0 offen
	s_waitcnt vmcnt(6)
	buffer_store_dword v3, v1, s[0:3], 0 offen offset:4
	s_waitcnt vmcnt(5)
	buffer_store_dword v4, v1, s[0:3], 0 offen offset:8
	;; [unrolled: 2-line block ×6, first 2 shown]
	s_waitcnt vmcnt(0)
	buffer_store_dword v9, v0, s[0:3], 0 offen
.LBB48_324:
	v_mov_b32_e32 v0, 0
	global_load_dword v1, v0, s[20:21] offset:156
	s_waitcnt vmcnt(0)
	v_add_nc_u32_e32 v1, -1, v1
	v_cmp_eq_u32_e32 vcc_lo, 39, v1
	s_cbranch_vccnz .LBB48_326
; %bb.325:
	v_lshlrev_b32_e32 v1, 4, v1
	v_mov_b32_e32 v2, s19
	v_add_nc_u32_e32 v1, 16, v1
	s_clause 0x7
	buffer_load_dword v3, v1, s[0:3], 0 offen
	buffer_load_dword v4, v1, s[0:3], 0 offen offset:4
	buffer_load_dword v5, v1, s[0:3], 0 offen offset:8
	;; [unrolled: 1-line block ×6, first 2 shown]
	buffer_load_dword v10, v2, s[0:3], 0 offen
	s_waitcnt vmcnt(7)
	buffer_store_dword v3, v2, s[0:3], 0 offen
	s_waitcnt vmcnt(6)
	buffer_store_dword v4, v2, s[0:3], 0 offen offset:4
	s_waitcnt vmcnt(5)
	buffer_store_dword v5, v2, s[0:3], 0 offen offset:8
	;; [unrolled: 2-line block ×6, first 2 shown]
	s_waitcnt vmcnt(0)
	buffer_store_dword v10, v1, s[0:3], 0 offen
.LBB48_326:
	global_load_dword v0, v0, s[20:21] offset:152
	s_waitcnt vmcnt(0)
	v_add_nc_u32_e32 v0, -1, v0
	v_cmp_eq_u32_e32 vcc_lo, 38, v0
	s_cbranch_vccnz .LBB48_328
; %bb.327:
	v_lshlrev_b32_e32 v0, 4, v0
	v_mov_b32_e32 v1, s22
	v_add_nc_u32_e32 v0, 16, v0
	s_clause 0x7
	buffer_load_dword v2, v0, s[0:3], 0 offen
	buffer_load_dword v3, v0, s[0:3], 0 offen offset:4
	buffer_load_dword v4, v0, s[0:3], 0 offen offset:8
	;; [unrolled: 1-line block ×6, first 2 shown]
	buffer_load_dword v9, v1, s[0:3], 0 offen
	s_waitcnt vmcnt(7)
	buffer_store_dword v2, v1, s[0:3], 0 offen
	s_waitcnt vmcnt(6)
	buffer_store_dword v3, v1, s[0:3], 0 offen offset:4
	s_waitcnt vmcnt(5)
	buffer_store_dword v4, v1, s[0:3], 0 offen offset:8
	;; [unrolled: 2-line block ×6, first 2 shown]
	s_waitcnt vmcnt(0)
	buffer_store_dword v9, v0, s[0:3], 0 offen
.LBB48_328:
	v_mov_b32_e32 v0, 0
	global_load_dword v1, v0, s[20:21] offset:148
	s_waitcnt vmcnt(0)
	v_add_nc_u32_e32 v1, -1, v1
	v_cmp_eq_u32_e32 vcc_lo, 37, v1
	s_cbranch_vccnz .LBB48_330
; %bb.329:
	v_lshlrev_b32_e32 v1, 4, v1
	v_mov_b32_e32 v2, s23
	v_add_nc_u32_e32 v1, 16, v1
	s_clause 0x7
	buffer_load_dword v3, v1, s[0:3], 0 offen
	buffer_load_dword v4, v1, s[0:3], 0 offen offset:4
	buffer_load_dword v5, v1, s[0:3], 0 offen offset:8
	;; [unrolled: 1-line block ×6, first 2 shown]
	buffer_load_dword v10, v2, s[0:3], 0 offen
	s_waitcnt vmcnt(7)
	buffer_store_dword v3, v2, s[0:3], 0 offen
	s_waitcnt vmcnt(6)
	buffer_store_dword v4, v2, s[0:3], 0 offen offset:4
	s_waitcnt vmcnt(5)
	buffer_store_dword v5, v2, s[0:3], 0 offen offset:8
	;; [unrolled: 2-line block ×6, first 2 shown]
	s_waitcnt vmcnt(0)
	buffer_store_dword v10, v1, s[0:3], 0 offen
.LBB48_330:
	global_load_dword v0, v0, s[20:21] offset:144
	s_waitcnt vmcnt(0)
	v_add_nc_u32_e32 v0, -1, v0
	v_cmp_eq_u32_e32 vcc_lo, 36, v0
	s_cbranch_vccnz .LBB48_332
; %bb.331:
	v_lshlrev_b32_e32 v0, 4, v0
	v_mov_b32_e32 v1, s24
	v_add_nc_u32_e32 v0, 16, v0
	s_clause 0x7
	buffer_load_dword v2, v0, s[0:3], 0 offen
	buffer_load_dword v3, v0, s[0:3], 0 offen offset:4
	buffer_load_dword v4, v0, s[0:3], 0 offen offset:8
	buffer_load_dword v5, v0, s[0:3], 0 offen offset:12
	buffer_load_dword v6, v1, s[0:3], 0 offen offset:12
	buffer_load_dword v7, v1, s[0:3], 0 offen offset:8
	buffer_load_dword v8, v1, s[0:3], 0 offen offset:4
	buffer_load_dword v9, v1, s[0:3], 0 offen
	s_waitcnt vmcnt(7)
	buffer_store_dword v2, v1, s[0:3], 0 offen
	s_waitcnt vmcnt(6)
	buffer_store_dword v3, v1, s[0:3], 0 offen offset:4
	s_waitcnt vmcnt(5)
	buffer_store_dword v4, v1, s[0:3], 0 offen offset:8
	;; [unrolled: 2-line block ×6, first 2 shown]
	s_waitcnt vmcnt(0)
	buffer_store_dword v9, v0, s[0:3], 0 offen
.LBB48_332:
	v_mov_b32_e32 v0, 0
	global_load_dword v1, v0, s[20:21] offset:140
	s_waitcnt vmcnt(0)
	v_add_nc_u32_e32 v1, -1, v1
	v_cmp_eq_u32_e32 vcc_lo, 35, v1
	s_cbranch_vccnz .LBB48_334
; %bb.333:
	v_lshlrev_b32_e32 v1, 4, v1
	v_mov_b32_e32 v2, s25
	v_add_nc_u32_e32 v1, 16, v1
	s_clause 0x7
	buffer_load_dword v3, v1, s[0:3], 0 offen
	buffer_load_dword v4, v1, s[0:3], 0 offen offset:4
	buffer_load_dword v5, v1, s[0:3], 0 offen offset:8
	;; [unrolled: 1-line block ×6, first 2 shown]
	buffer_load_dword v10, v2, s[0:3], 0 offen
	s_waitcnt vmcnt(7)
	buffer_store_dword v3, v2, s[0:3], 0 offen
	s_waitcnt vmcnt(6)
	buffer_store_dword v4, v2, s[0:3], 0 offen offset:4
	s_waitcnt vmcnt(5)
	buffer_store_dword v5, v2, s[0:3], 0 offen offset:8
	;; [unrolled: 2-line block ×6, first 2 shown]
	s_waitcnt vmcnt(0)
	buffer_store_dword v10, v1, s[0:3], 0 offen
.LBB48_334:
	global_load_dword v0, v0, s[20:21] offset:136
	s_waitcnt vmcnt(0)
	v_add_nc_u32_e32 v0, -1, v0
	v_cmp_eq_u32_e32 vcc_lo, 34, v0
	s_cbranch_vccnz .LBB48_336
; %bb.335:
	v_lshlrev_b32_e32 v0, 4, v0
	v_mov_b32_e32 v1, s26
	v_add_nc_u32_e32 v0, 16, v0
	s_clause 0x7
	buffer_load_dword v2, v0, s[0:3], 0 offen
	buffer_load_dword v3, v0, s[0:3], 0 offen offset:4
	buffer_load_dword v4, v0, s[0:3], 0 offen offset:8
	;; [unrolled: 1-line block ×6, first 2 shown]
	buffer_load_dword v9, v1, s[0:3], 0 offen
	s_waitcnt vmcnt(7)
	buffer_store_dword v2, v1, s[0:3], 0 offen
	s_waitcnt vmcnt(6)
	buffer_store_dword v3, v1, s[0:3], 0 offen offset:4
	s_waitcnt vmcnt(5)
	buffer_store_dword v4, v1, s[0:3], 0 offen offset:8
	;; [unrolled: 2-line block ×6, first 2 shown]
	s_waitcnt vmcnt(0)
	buffer_store_dword v9, v0, s[0:3], 0 offen
.LBB48_336:
	v_mov_b32_e32 v0, 0
	global_load_dword v1, v0, s[20:21] offset:132
	s_waitcnt vmcnt(0)
	v_add_nc_u32_e32 v1, -1, v1
	v_cmp_eq_u32_e32 vcc_lo, 33, v1
	s_cbranch_vccnz .LBB48_338
; %bb.337:
	v_lshlrev_b32_e32 v1, 4, v1
	v_mov_b32_e32 v2, s27
	v_add_nc_u32_e32 v1, 16, v1
	s_clause 0x7
	buffer_load_dword v3, v1, s[0:3], 0 offen
	buffer_load_dword v4, v1, s[0:3], 0 offen offset:4
	buffer_load_dword v5, v1, s[0:3], 0 offen offset:8
	;; [unrolled: 1-line block ×6, first 2 shown]
	buffer_load_dword v10, v2, s[0:3], 0 offen
	s_waitcnt vmcnt(7)
	buffer_store_dword v3, v2, s[0:3], 0 offen
	s_waitcnt vmcnt(6)
	buffer_store_dword v4, v2, s[0:3], 0 offen offset:4
	s_waitcnt vmcnt(5)
	buffer_store_dword v5, v2, s[0:3], 0 offen offset:8
	;; [unrolled: 2-line block ×6, first 2 shown]
	s_waitcnt vmcnt(0)
	buffer_store_dword v10, v1, s[0:3], 0 offen
.LBB48_338:
	global_load_dword v0, v0, s[20:21] offset:128
	s_waitcnt vmcnt(0)
	v_add_nc_u32_e32 v0, -1, v0
	v_cmp_eq_u32_e32 vcc_lo, 32, v0
	s_cbranch_vccnz .LBB48_340
; %bb.339:
	v_lshlrev_b32_e32 v0, 4, v0
	v_mov_b32_e32 v1, s28
	v_add_nc_u32_e32 v0, 16, v0
	s_clause 0x7
	buffer_load_dword v2, v0, s[0:3], 0 offen
	buffer_load_dword v3, v0, s[0:3], 0 offen offset:4
	buffer_load_dword v4, v0, s[0:3], 0 offen offset:8
	;; [unrolled: 1-line block ×6, first 2 shown]
	buffer_load_dword v9, v1, s[0:3], 0 offen
	s_waitcnt vmcnt(7)
	buffer_store_dword v2, v1, s[0:3], 0 offen
	s_waitcnt vmcnt(6)
	buffer_store_dword v3, v1, s[0:3], 0 offen offset:4
	s_waitcnt vmcnt(5)
	buffer_store_dword v4, v1, s[0:3], 0 offen offset:8
	;; [unrolled: 2-line block ×6, first 2 shown]
	s_waitcnt vmcnt(0)
	buffer_store_dword v9, v0, s[0:3], 0 offen
.LBB48_340:
	v_mov_b32_e32 v0, 0
	global_load_dword v1, v0, s[20:21] offset:124
	s_waitcnt vmcnt(0)
	v_add_nc_u32_e32 v1, -1, v1
	v_cmp_eq_u32_e32 vcc_lo, 31, v1
	s_cbranch_vccnz .LBB48_342
; %bb.341:
	v_lshlrev_b32_e32 v1, 4, v1
	v_mov_b32_e32 v2, s29
	v_add_nc_u32_e32 v1, 16, v1
	s_clause 0x7
	buffer_load_dword v3, v1, s[0:3], 0 offen
	buffer_load_dword v4, v1, s[0:3], 0 offen offset:4
	buffer_load_dword v5, v1, s[0:3], 0 offen offset:8
	;; [unrolled: 1-line block ×6, first 2 shown]
	buffer_load_dword v10, v2, s[0:3], 0 offen
	s_waitcnt vmcnt(7)
	buffer_store_dword v3, v2, s[0:3], 0 offen
	s_waitcnt vmcnt(6)
	buffer_store_dword v4, v2, s[0:3], 0 offen offset:4
	s_waitcnt vmcnt(5)
	buffer_store_dword v5, v2, s[0:3], 0 offen offset:8
	;; [unrolled: 2-line block ×6, first 2 shown]
	s_waitcnt vmcnt(0)
	buffer_store_dword v10, v1, s[0:3], 0 offen
.LBB48_342:
	global_load_dword v0, v0, s[20:21] offset:120
	s_waitcnt vmcnt(0)
	v_add_nc_u32_e32 v0, -1, v0
	v_cmp_eq_u32_e32 vcc_lo, 30, v0
	s_cbranch_vccnz .LBB48_344
; %bb.343:
	v_lshlrev_b32_e32 v0, 4, v0
	v_mov_b32_e32 v1, s30
	v_add_nc_u32_e32 v0, 16, v0
	s_clause 0x7
	buffer_load_dword v2, v0, s[0:3], 0 offen
	buffer_load_dword v3, v0, s[0:3], 0 offen offset:4
	buffer_load_dword v4, v0, s[0:3], 0 offen offset:8
	;; [unrolled: 1-line block ×6, first 2 shown]
	buffer_load_dword v9, v1, s[0:3], 0 offen
	s_waitcnt vmcnt(7)
	buffer_store_dword v2, v1, s[0:3], 0 offen
	s_waitcnt vmcnt(6)
	buffer_store_dword v3, v1, s[0:3], 0 offen offset:4
	s_waitcnt vmcnt(5)
	buffer_store_dword v4, v1, s[0:3], 0 offen offset:8
	;; [unrolled: 2-line block ×6, first 2 shown]
	s_waitcnt vmcnt(0)
	buffer_store_dword v9, v0, s[0:3], 0 offen
.LBB48_344:
	v_mov_b32_e32 v0, 0
	global_load_dword v1, v0, s[20:21] offset:116
	s_waitcnt vmcnt(0)
	v_add_nc_u32_e32 v1, -1, v1
	v_cmp_eq_u32_e32 vcc_lo, 29, v1
	s_cbranch_vccnz .LBB48_346
; %bb.345:
	v_lshlrev_b32_e32 v1, 4, v1
	v_mov_b32_e32 v2, s31
	v_add_nc_u32_e32 v1, 16, v1
	s_clause 0x7
	buffer_load_dword v3, v1, s[0:3], 0 offen
	buffer_load_dword v4, v1, s[0:3], 0 offen offset:4
	buffer_load_dword v5, v1, s[0:3], 0 offen offset:8
	;; [unrolled: 1-line block ×6, first 2 shown]
	buffer_load_dword v10, v2, s[0:3], 0 offen
	s_waitcnt vmcnt(7)
	buffer_store_dword v3, v2, s[0:3], 0 offen
	s_waitcnt vmcnt(6)
	buffer_store_dword v4, v2, s[0:3], 0 offen offset:4
	s_waitcnt vmcnt(5)
	buffer_store_dword v5, v2, s[0:3], 0 offen offset:8
	;; [unrolled: 2-line block ×6, first 2 shown]
	s_waitcnt vmcnt(0)
	buffer_store_dword v10, v1, s[0:3], 0 offen
.LBB48_346:
	global_load_dword v0, v0, s[20:21] offset:112
	s_waitcnt vmcnt(0)
	v_add_nc_u32_e32 v0, -1, v0
	v_cmp_eq_u32_e32 vcc_lo, 28, v0
	s_cbranch_vccnz .LBB48_348
; %bb.347:
	v_lshlrev_b32_e32 v0, 4, v0
	v_mov_b32_e32 v1, s33
	v_add_nc_u32_e32 v0, 16, v0
	s_clause 0x7
	buffer_load_dword v2, v0, s[0:3], 0 offen
	buffer_load_dword v3, v0, s[0:3], 0 offen offset:4
	buffer_load_dword v4, v0, s[0:3], 0 offen offset:8
	;; [unrolled: 1-line block ×6, first 2 shown]
	buffer_load_dword v9, v1, s[0:3], 0 offen
	s_waitcnt vmcnt(7)
	buffer_store_dword v2, v1, s[0:3], 0 offen
	s_waitcnt vmcnt(6)
	buffer_store_dword v3, v1, s[0:3], 0 offen offset:4
	s_waitcnt vmcnt(5)
	buffer_store_dword v4, v1, s[0:3], 0 offen offset:8
	;; [unrolled: 2-line block ×6, first 2 shown]
	s_waitcnt vmcnt(0)
	buffer_store_dword v9, v0, s[0:3], 0 offen
.LBB48_348:
	v_mov_b32_e32 v0, 0
	global_load_dword v1, v0, s[20:21] offset:108
	s_waitcnt vmcnt(0)
	v_add_nc_u32_e32 v1, -1, v1
	v_cmp_eq_u32_e32 vcc_lo, 27, v1
	s_cbranch_vccnz .LBB48_350
; %bb.349:
	v_lshlrev_b32_e32 v1, 4, v1
	v_mov_b32_e32 v2, s34
	v_add_nc_u32_e32 v1, 16, v1
	s_clause 0x7
	buffer_load_dword v3, v1, s[0:3], 0 offen
	buffer_load_dword v4, v1, s[0:3], 0 offen offset:4
	buffer_load_dword v5, v1, s[0:3], 0 offen offset:8
	;; [unrolled: 1-line block ×6, first 2 shown]
	buffer_load_dword v10, v2, s[0:3], 0 offen
	s_waitcnt vmcnt(7)
	buffer_store_dword v3, v2, s[0:3], 0 offen
	s_waitcnt vmcnt(6)
	buffer_store_dword v4, v2, s[0:3], 0 offen offset:4
	s_waitcnt vmcnt(5)
	buffer_store_dword v5, v2, s[0:3], 0 offen offset:8
	;; [unrolled: 2-line block ×6, first 2 shown]
	s_waitcnt vmcnt(0)
	buffer_store_dword v10, v1, s[0:3], 0 offen
.LBB48_350:
	global_load_dword v0, v0, s[20:21] offset:104
	s_waitcnt vmcnt(0)
	v_add_nc_u32_e32 v0, -1, v0
	v_cmp_eq_u32_e32 vcc_lo, 26, v0
	s_cbranch_vccnz .LBB48_352
; %bb.351:
	v_lshlrev_b32_e32 v0, 4, v0
	v_mov_b32_e32 v1, s35
	v_add_nc_u32_e32 v0, 16, v0
	s_clause 0x7
	buffer_load_dword v2, v0, s[0:3], 0 offen
	buffer_load_dword v3, v0, s[0:3], 0 offen offset:4
	buffer_load_dword v4, v0, s[0:3], 0 offen offset:8
	;; [unrolled: 1-line block ×6, first 2 shown]
	buffer_load_dword v9, v1, s[0:3], 0 offen
	s_waitcnt vmcnt(7)
	buffer_store_dword v2, v1, s[0:3], 0 offen
	s_waitcnt vmcnt(6)
	buffer_store_dword v3, v1, s[0:3], 0 offen offset:4
	s_waitcnt vmcnt(5)
	buffer_store_dword v4, v1, s[0:3], 0 offen offset:8
	;; [unrolled: 2-line block ×6, first 2 shown]
	s_waitcnt vmcnt(0)
	buffer_store_dword v9, v0, s[0:3], 0 offen
.LBB48_352:
	v_mov_b32_e32 v0, 0
	global_load_dword v1, v0, s[20:21] offset:100
	s_waitcnt vmcnt(0)
	v_add_nc_u32_e32 v1, -1, v1
	v_cmp_eq_u32_e32 vcc_lo, 25, v1
	s_cbranch_vccnz .LBB48_354
; %bb.353:
	v_lshlrev_b32_e32 v1, 4, v1
	v_mov_b32_e32 v2, s36
	v_add_nc_u32_e32 v1, 16, v1
	s_clause 0x7
	buffer_load_dword v3, v1, s[0:3], 0 offen
	buffer_load_dword v4, v1, s[0:3], 0 offen offset:4
	buffer_load_dword v5, v1, s[0:3], 0 offen offset:8
	;; [unrolled: 1-line block ×6, first 2 shown]
	buffer_load_dword v10, v2, s[0:3], 0 offen
	s_waitcnt vmcnt(7)
	buffer_store_dword v3, v2, s[0:3], 0 offen
	s_waitcnt vmcnt(6)
	buffer_store_dword v4, v2, s[0:3], 0 offen offset:4
	s_waitcnt vmcnt(5)
	buffer_store_dword v5, v2, s[0:3], 0 offen offset:8
	;; [unrolled: 2-line block ×6, first 2 shown]
	s_waitcnt vmcnt(0)
	buffer_store_dword v10, v1, s[0:3], 0 offen
.LBB48_354:
	global_load_dword v0, v0, s[20:21] offset:96
	s_waitcnt vmcnt(0)
	v_add_nc_u32_e32 v0, -1, v0
	v_cmp_eq_u32_e32 vcc_lo, 24, v0
	s_cbranch_vccnz .LBB48_356
; %bb.355:
	v_lshlrev_b32_e32 v0, 4, v0
	v_mov_b32_e32 v1, s37
	v_add_nc_u32_e32 v0, 16, v0
	s_clause 0x7
	buffer_load_dword v2, v0, s[0:3], 0 offen
	buffer_load_dword v3, v0, s[0:3], 0 offen offset:4
	buffer_load_dword v4, v0, s[0:3], 0 offen offset:8
	;; [unrolled: 1-line block ×6, first 2 shown]
	buffer_load_dword v9, v1, s[0:3], 0 offen
	s_waitcnt vmcnt(7)
	buffer_store_dword v2, v1, s[0:3], 0 offen
	s_waitcnt vmcnt(6)
	buffer_store_dword v3, v1, s[0:3], 0 offen offset:4
	s_waitcnt vmcnt(5)
	buffer_store_dword v4, v1, s[0:3], 0 offen offset:8
	;; [unrolled: 2-line block ×6, first 2 shown]
	s_waitcnt vmcnt(0)
	buffer_store_dword v9, v0, s[0:3], 0 offen
.LBB48_356:
	v_mov_b32_e32 v0, 0
	global_load_dword v1, v0, s[20:21] offset:92
	s_waitcnt vmcnt(0)
	v_add_nc_u32_e32 v1, -1, v1
	v_cmp_eq_u32_e32 vcc_lo, 23, v1
	s_cbranch_vccnz .LBB48_358
; %bb.357:
	v_lshlrev_b32_e32 v1, 4, v1
	v_mov_b32_e32 v2, s38
	v_add_nc_u32_e32 v1, 16, v1
	s_clause 0x7
	buffer_load_dword v3, v1, s[0:3], 0 offen
	buffer_load_dword v4, v1, s[0:3], 0 offen offset:4
	buffer_load_dword v5, v1, s[0:3], 0 offen offset:8
	;; [unrolled: 1-line block ×6, first 2 shown]
	buffer_load_dword v10, v2, s[0:3], 0 offen
	s_waitcnt vmcnt(7)
	buffer_store_dword v3, v2, s[0:3], 0 offen
	s_waitcnt vmcnt(6)
	buffer_store_dword v4, v2, s[0:3], 0 offen offset:4
	s_waitcnt vmcnt(5)
	buffer_store_dword v5, v2, s[0:3], 0 offen offset:8
	;; [unrolled: 2-line block ×6, first 2 shown]
	s_waitcnt vmcnt(0)
	buffer_store_dword v10, v1, s[0:3], 0 offen
.LBB48_358:
	global_load_dword v0, v0, s[20:21] offset:88
	s_waitcnt vmcnt(0)
	v_add_nc_u32_e32 v0, -1, v0
	v_cmp_eq_u32_e32 vcc_lo, 22, v0
	s_cbranch_vccnz .LBB48_360
; %bb.359:
	v_lshlrev_b32_e32 v0, 4, v0
	v_mov_b32_e32 v1, s39
	v_add_nc_u32_e32 v0, 16, v0
	s_clause 0x7
	buffer_load_dword v2, v0, s[0:3], 0 offen
	buffer_load_dword v3, v0, s[0:3], 0 offen offset:4
	buffer_load_dword v4, v0, s[0:3], 0 offen offset:8
	;; [unrolled: 1-line block ×6, first 2 shown]
	buffer_load_dword v9, v1, s[0:3], 0 offen
	s_waitcnt vmcnt(7)
	buffer_store_dword v2, v1, s[0:3], 0 offen
	s_waitcnt vmcnt(6)
	buffer_store_dword v3, v1, s[0:3], 0 offen offset:4
	s_waitcnt vmcnt(5)
	buffer_store_dword v4, v1, s[0:3], 0 offen offset:8
	;; [unrolled: 2-line block ×6, first 2 shown]
	s_waitcnt vmcnt(0)
	buffer_store_dword v9, v0, s[0:3], 0 offen
.LBB48_360:
	v_mov_b32_e32 v0, 0
	global_load_dword v1, v0, s[20:21] offset:84
	s_waitcnt vmcnt(0)
	v_add_nc_u32_e32 v1, -1, v1
	v_cmp_eq_u32_e32 vcc_lo, 21, v1
	s_cbranch_vccnz .LBB48_362
; %bb.361:
	v_lshlrev_b32_e32 v1, 4, v1
	v_mov_b32_e32 v2, s40
	v_add_nc_u32_e32 v1, 16, v1
	s_clause 0x7
	buffer_load_dword v3, v1, s[0:3], 0 offen
	buffer_load_dword v4, v1, s[0:3], 0 offen offset:4
	buffer_load_dword v5, v1, s[0:3], 0 offen offset:8
	;; [unrolled: 1-line block ×6, first 2 shown]
	buffer_load_dword v10, v2, s[0:3], 0 offen
	s_waitcnt vmcnt(7)
	buffer_store_dword v3, v2, s[0:3], 0 offen
	s_waitcnt vmcnt(6)
	buffer_store_dword v4, v2, s[0:3], 0 offen offset:4
	s_waitcnt vmcnt(5)
	buffer_store_dword v5, v2, s[0:3], 0 offen offset:8
	;; [unrolled: 2-line block ×6, first 2 shown]
	s_waitcnt vmcnt(0)
	buffer_store_dword v10, v1, s[0:3], 0 offen
.LBB48_362:
	global_load_dword v0, v0, s[20:21] offset:80
	s_waitcnt vmcnt(0)
	v_add_nc_u32_e32 v0, -1, v0
	v_cmp_eq_u32_e32 vcc_lo, 20, v0
	s_cbranch_vccnz .LBB48_364
; %bb.363:
	v_lshlrev_b32_e32 v0, 4, v0
	v_mov_b32_e32 v1, s41
	v_add_nc_u32_e32 v0, 16, v0
	s_clause 0x7
	buffer_load_dword v2, v0, s[0:3], 0 offen
	buffer_load_dword v3, v0, s[0:3], 0 offen offset:4
	buffer_load_dword v4, v0, s[0:3], 0 offen offset:8
	;; [unrolled: 1-line block ×6, first 2 shown]
	buffer_load_dword v9, v1, s[0:3], 0 offen
	s_waitcnt vmcnt(7)
	buffer_store_dword v2, v1, s[0:3], 0 offen
	s_waitcnt vmcnt(6)
	buffer_store_dword v3, v1, s[0:3], 0 offen offset:4
	s_waitcnt vmcnt(5)
	buffer_store_dword v4, v1, s[0:3], 0 offen offset:8
	;; [unrolled: 2-line block ×6, first 2 shown]
	s_waitcnt vmcnt(0)
	buffer_store_dword v9, v0, s[0:3], 0 offen
.LBB48_364:
	v_mov_b32_e32 v0, 0
	global_load_dword v1, v0, s[20:21] offset:76
	s_waitcnt vmcnt(0)
	v_add_nc_u32_e32 v1, -1, v1
	v_cmp_eq_u32_e32 vcc_lo, 19, v1
	s_cbranch_vccnz .LBB48_366
; %bb.365:
	v_lshlrev_b32_e32 v1, 4, v1
	v_mov_b32_e32 v2, s42
	v_add_nc_u32_e32 v1, 16, v1
	s_clause 0x7
	buffer_load_dword v3, v1, s[0:3], 0 offen
	buffer_load_dword v4, v1, s[0:3], 0 offen offset:4
	buffer_load_dword v5, v1, s[0:3], 0 offen offset:8
	;; [unrolled: 1-line block ×6, first 2 shown]
	buffer_load_dword v10, v2, s[0:3], 0 offen
	s_waitcnt vmcnt(7)
	buffer_store_dword v3, v2, s[0:3], 0 offen
	s_waitcnt vmcnt(6)
	buffer_store_dword v4, v2, s[0:3], 0 offen offset:4
	s_waitcnt vmcnt(5)
	buffer_store_dword v5, v2, s[0:3], 0 offen offset:8
	;; [unrolled: 2-line block ×6, first 2 shown]
	s_waitcnt vmcnt(0)
	buffer_store_dword v10, v1, s[0:3], 0 offen
.LBB48_366:
	global_load_dword v0, v0, s[20:21] offset:72
	s_waitcnt vmcnt(0)
	v_add_nc_u32_e32 v0, -1, v0
	v_cmp_eq_u32_e32 vcc_lo, 18, v0
	s_cbranch_vccnz .LBB48_368
; %bb.367:
	v_lshlrev_b32_e32 v0, 4, v0
	v_mov_b32_e32 v1, s43
	v_add_nc_u32_e32 v0, 16, v0
	s_clause 0x7
	buffer_load_dword v2, v0, s[0:3], 0 offen
	buffer_load_dword v3, v0, s[0:3], 0 offen offset:4
	buffer_load_dword v4, v0, s[0:3], 0 offen offset:8
	buffer_load_dword v5, v0, s[0:3], 0 offen offset:12
	buffer_load_dword v6, v1, s[0:3], 0 offen offset:12
	buffer_load_dword v7, v1, s[0:3], 0 offen offset:8
	buffer_load_dword v8, v1, s[0:3], 0 offen offset:4
	buffer_load_dword v9, v1, s[0:3], 0 offen
	s_waitcnt vmcnt(7)
	buffer_store_dword v2, v1, s[0:3], 0 offen
	s_waitcnt vmcnt(6)
	buffer_store_dword v3, v1, s[0:3], 0 offen offset:4
	s_waitcnt vmcnt(5)
	buffer_store_dword v4, v1, s[0:3], 0 offen offset:8
	;; [unrolled: 2-line block ×6, first 2 shown]
	s_waitcnt vmcnt(0)
	buffer_store_dword v9, v0, s[0:3], 0 offen
.LBB48_368:
	v_mov_b32_e32 v0, 0
	global_load_dword v1, v0, s[20:21] offset:68
	s_waitcnt vmcnt(0)
	v_add_nc_u32_e32 v1, -1, v1
	v_cmp_eq_u32_e32 vcc_lo, 17, v1
	s_cbranch_vccnz .LBB48_370
; %bb.369:
	v_lshlrev_b32_e32 v1, 4, v1
	v_mov_b32_e32 v2, s44
	v_add_nc_u32_e32 v1, 16, v1
	s_clause 0x7
	buffer_load_dword v3, v1, s[0:3], 0 offen
	buffer_load_dword v4, v1, s[0:3], 0 offen offset:4
	buffer_load_dword v5, v1, s[0:3], 0 offen offset:8
	;; [unrolled: 1-line block ×6, first 2 shown]
	buffer_load_dword v10, v2, s[0:3], 0 offen
	s_waitcnt vmcnt(7)
	buffer_store_dword v3, v2, s[0:3], 0 offen
	s_waitcnt vmcnt(6)
	buffer_store_dword v4, v2, s[0:3], 0 offen offset:4
	s_waitcnt vmcnt(5)
	buffer_store_dword v5, v2, s[0:3], 0 offen offset:8
	;; [unrolled: 2-line block ×6, first 2 shown]
	s_waitcnt vmcnt(0)
	buffer_store_dword v10, v1, s[0:3], 0 offen
.LBB48_370:
	global_load_dword v0, v0, s[20:21] offset:64
	s_waitcnt vmcnt(0)
	v_add_nc_u32_e32 v0, -1, v0
	v_cmp_eq_u32_e32 vcc_lo, 16, v0
	s_cbranch_vccnz .LBB48_372
; %bb.371:
	v_lshlrev_b32_e32 v0, 4, v0
	v_mov_b32_e32 v1, s45
	v_add_nc_u32_e32 v0, 16, v0
	s_clause 0x7
	buffer_load_dword v2, v0, s[0:3], 0 offen
	buffer_load_dword v3, v0, s[0:3], 0 offen offset:4
	buffer_load_dword v4, v0, s[0:3], 0 offen offset:8
	buffer_load_dword v5, v0, s[0:3], 0 offen offset:12
	buffer_load_dword v6, v1, s[0:3], 0 offen offset:12
	buffer_load_dword v7, v1, s[0:3], 0 offen offset:8
	buffer_load_dword v8, v1, s[0:3], 0 offen offset:4
	buffer_load_dword v9, v1, s[0:3], 0 offen
	s_waitcnt vmcnt(7)
	buffer_store_dword v2, v1, s[0:3], 0 offen
	s_waitcnt vmcnt(6)
	buffer_store_dword v3, v1, s[0:3], 0 offen offset:4
	s_waitcnt vmcnt(5)
	buffer_store_dword v4, v1, s[0:3], 0 offen offset:8
	s_waitcnt vmcnt(4)
	buffer_store_dword v5, v1, s[0:3], 0 offen offset:12
	s_waitcnt vmcnt(3)
	buffer_store_dword v6, v0, s[0:3], 0 offen offset:12
	s_waitcnt vmcnt(2)
	buffer_store_dword v7, v0, s[0:3], 0 offen offset:8
	s_waitcnt vmcnt(1)
	buffer_store_dword v8, v0, s[0:3], 0 offen offset:4
	s_waitcnt vmcnt(0)
	buffer_store_dword v9, v0, s[0:3], 0 offen
.LBB48_372:
	v_mov_b32_e32 v0, 0
	global_load_dword v1, v0, s[20:21] offset:60
	s_waitcnt vmcnt(0)
	v_add_nc_u32_e32 v1, -1, v1
	v_cmp_eq_u32_e32 vcc_lo, 15, v1
	s_cbranch_vccnz .LBB48_374
; %bb.373:
	v_lshlrev_b32_e32 v1, 4, v1
	v_mov_b32_e32 v2, s46
	v_add_nc_u32_e32 v1, 16, v1
	s_clause 0x7
	buffer_load_dword v3, v1, s[0:3], 0 offen
	buffer_load_dword v4, v1, s[0:3], 0 offen offset:4
	buffer_load_dword v5, v1, s[0:3], 0 offen offset:8
	buffer_load_dword v6, v1, s[0:3], 0 offen offset:12
	buffer_load_dword v7, v2, s[0:3], 0 offen offset:12
	buffer_load_dword v8, v2, s[0:3], 0 offen offset:8
	buffer_load_dword v9, v2, s[0:3], 0 offen offset:4
	buffer_load_dword v10, v2, s[0:3], 0 offen
	s_waitcnt vmcnt(7)
	buffer_store_dword v3, v2, s[0:3], 0 offen
	s_waitcnt vmcnt(6)
	buffer_store_dword v4, v2, s[0:3], 0 offen offset:4
	s_waitcnt vmcnt(5)
	buffer_store_dword v5, v2, s[0:3], 0 offen offset:8
	;; [unrolled: 2-line block ×6, first 2 shown]
	s_waitcnt vmcnt(0)
	buffer_store_dword v10, v1, s[0:3], 0 offen
.LBB48_374:
	global_load_dword v0, v0, s[20:21] offset:56
	s_waitcnt vmcnt(0)
	v_add_nc_u32_e32 v0, -1, v0
	v_cmp_eq_u32_e32 vcc_lo, 14, v0
	s_cbranch_vccnz .LBB48_376
; %bb.375:
	v_lshlrev_b32_e32 v0, 4, v0
	v_mov_b32_e32 v1, s47
	v_add_nc_u32_e32 v0, 16, v0
	s_clause 0x7
	buffer_load_dword v2, v0, s[0:3], 0 offen
	buffer_load_dword v3, v0, s[0:3], 0 offen offset:4
	buffer_load_dword v4, v0, s[0:3], 0 offen offset:8
	;; [unrolled: 1-line block ×6, first 2 shown]
	buffer_load_dword v9, v1, s[0:3], 0 offen
	s_waitcnt vmcnt(7)
	buffer_store_dword v2, v1, s[0:3], 0 offen
	s_waitcnt vmcnt(6)
	buffer_store_dword v3, v1, s[0:3], 0 offen offset:4
	s_waitcnt vmcnt(5)
	buffer_store_dword v4, v1, s[0:3], 0 offen offset:8
	;; [unrolled: 2-line block ×6, first 2 shown]
	s_waitcnt vmcnt(0)
	buffer_store_dword v9, v0, s[0:3], 0 offen
.LBB48_376:
	v_mov_b32_e32 v0, 0
	global_load_dword v1, v0, s[20:21] offset:52
	s_waitcnt vmcnt(0)
	v_add_nc_u32_e32 v1, -1, v1
	v_cmp_eq_u32_e32 vcc_lo, 13, v1
	s_cbranch_vccnz .LBB48_378
; %bb.377:
	v_lshlrev_b32_e32 v1, 4, v1
	v_mov_b32_e32 v2, s48
	v_add_nc_u32_e32 v1, 16, v1
	s_clause 0x7
	buffer_load_dword v3, v1, s[0:3], 0 offen
	buffer_load_dword v4, v1, s[0:3], 0 offen offset:4
	buffer_load_dword v5, v1, s[0:3], 0 offen offset:8
	buffer_load_dword v6, v1, s[0:3], 0 offen offset:12
	buffer_load_dword v7, v2, s[0:3], 0 offen offset:12
	buffer_load_dword v8, v2, s[0:3], 0 offen offset:8
	buffer_load_dword v9, v2, s[0:3], 0 offen offset:4
	buffer_load_dword v10, v2, s[0:3], 0 offen
	s_waitcnt vmcnt(7)
	buffer_store_dword v3, v2, s[0:3], 0 offen
	s_waitcnt vmcnt(6)
	buffer_store_dword v4, v2, s[0:3], 0 offen offset:4
	s_waitcnt vmcnt(5)
	buffer_store_dword v5, v2, s[0:3], 0 offen offset:8
	;; [unrolled: 2-line block ×6, first 2 shown]
	s_waitcnt vmcnt(0)
	buffer_store_dword v10, v1, s[0:3], 0 offen
.LBB48_378:
	global_load_dword v0, v0, s[20:21] offset:48
	s_waitcnt vmcnt(0)
	v_add_nc_u32_e32 v0, -1, v0
	v_cmp_eq_u32_e32 vcc_lo, 12, v0
	s_cbranch_vccnz .LBB48_380
; %bb.379:
	v_lshlrev_b32_e32 v0, 4, v0
	v_mov_b32_e32 v1, s49
	v_add_nc_u32_e32 v0, 16, v0
	s_clause 0x7
	buffer_load_dword v2, v0, s[0:3], 0 offen
	buffer_load_dword v3, v0, s[0:3], 0 offen offset:4
	buffer_load_dword v4, v0, s[0:3], 0 offen offset:8
	buffer_load_dword v5, v0, s[0:3], 0 offen offset:12
	buffer_load_dword v6, v1, s[0:3], 0 offen offset:12
	buffer_load_dword v7, v1, s[0:3], 0 offen offset:8
	buffer_load_dword v8, v1, s[0:3], 0 offen offset:4
	buffer_load_dword v9, v1, s[0:3], 0 offen
	s_waitcnt vmcnt(7)
	buffer_store_dword v2, v1, s[0:3], 0 offen
	s_waitcnt vmcnt(6)
	buffer_store_dword v3, v1, s[0:3], 0 offen offset:4
	s_waitcnt vmcnt(5)
	buffer_store_dword v4, v1, s[0:3], 0 offen offset:8
	s_waitcnt vmcnt(4)
	buffer_store_dword v5, v1, s[0:3], 0 offen offset:12
	s_waitcnt vmcnt(3)
	buffer_store_dword v6, v0, s[0:3], 0 offen offset:12
	s_waitcnt vmcnt(2)
	buffer_store_dword v7, v0, s[0:3], 0 offen offset:8
	s_waitcnt vmcnt(1)
	buffer_store_dword v8, v0, s[0:3], 0 offen offset:4
	s_waitcnt vmcnt(0)
	buffer_store_dword v9, v0, s[0:3], 0 offen
.LBB48_380:
	v_mov_b32_e32 v0, 0
	global_load_dword v1, v0, s[20:21] offset:44
	s_waitcnt vmcnt(0)
	v_add_nc_u32_e32 v1, -1, v1
	v_cmp_eq_u32_e32 vcc_lo, 11, v1
	s_cbranch_vccnz .LBB48_382
; %bb.381:
	v_lshlrev_b32_e32 v1, 4, v1
	v_mov_b32_e32 v2, s50
	v_add_nc_u32_e32 v1, 16, v1
	s_clause 0x7
	buffer_load_dword v3, v1, s[0:3], 0 offen
	buffer_load_dword v4, v1, s[0:3], 0 offen offset:4
	buffer_load_dword v5, v1, s[0:3], 0 offen offset:8
	;; [unrolled: 1-line block ×6, first 2 shown]
	buffer_load_dword v10, v2, s[0:3], 0 offen
	s_waitcnt vmcnt(7)
	buffer_store_dword v3, v2, s[0:3], 0 offen
	s_waitcnt vmcnt(6)
	buffer_store_dword v4, v2, s[0:3], 0 offen offset:4
	s_waitcnt vmcnt(5)
	buffer_store_dword v5, v2, s[0:3], 0 offen offset:8
	;; [unrolled: 2-line block ×6, first 2 shown]
	s_waitcnt vmcnt(0)
	buffer_store_dword v10, v1, s[0:3], 0 offen
.LBB48_382:
	global_load_dword v0, v0, s[20:21] offset:40
	s_waitcnt vmcnt(0)
	v_add_nc_u32_e32 v0, -1, v0
	v_cmp_eq_u32_e32 vcc_lo, 10, v0
	s_cbranch_vccnz .LBB48_384
; %bb.383:
	v_lshlrev_b32_e32 v0, 4, v0
	v_mov_b32_e32 v1, s51
	v_add_nc_u32_e32 v0, 16, v0
	s_clause 0x7
	buffer_load_dword v2, v0, s[0:3], 0 offen
	buffer_load_dword v3, v0, s[0:3], 0 offen offset:4
	buffer_load_dword v4, v0, s[0:3], 0 offen offset:8
	;; [unrolled: 1-line block ×6, first 2 shown]
	buffer_load_dword v9, v1, s[0:3], 0 offen
	s_waitcnt vmcnt(7)
	buffer_store_dword v2, v1, s[0:3], 0 offen
	s_waitcnt vmcnt(6)
	buffer_store_dword v3, v1, s[0:3], 0 offen offset:4
	s_waitcnt vmcnt(5)
	buffer_store_dword v4, v1, s[0:3], 0 offen offset:8
	;; [unrolled: 2-line block ×6, first 2 shown]
	s_waitcnt vmcnt(0)
	buffer_store_dword v9, v0, s[0:3], 0 offen
.LBB48_384:
	v_mov_b32_e32 v0, 0
	global_load_dword v1, v0, s[20:21] offset:36
	s_waitcnt vmcnt(0)
	v_add_nc_u32_e32 v1, -1, v1
	v_cmp_eq_u32_e32 vcc_lo, 9, v1
	s_cbranch_vccnz .LBB48_386
; %bb.385:
	v_lshlrev_b32_e32 v1, 4, v1
	v_mov_b32_e32 v2, s52
	v_add_nc_u32_e32 v1, 16, v1
	s_clause 0x7
	buffer_load_dword v3, v1, s[0:3], 0 offen
	buffer_load_dword v4, v1, s[0:3], 0 offen offset:4
	buffer_load_dword v5, v1, s[0:3], 0 offen offset:8
	buffer_load_dword v6, v1, s[0:3], 0 offen offset:12
	buffer_load_dword v7, v2, s[0:3], 0 offen offset:12
	buffer_load_dword v8, v2, s[0:3], 0 offen offset:8
	buffer_load_dword v9, v2, s[0:3], 0 offen offset:4
	buffer_load_dword v10, v2, s[0:3], 0 offen
	s_waitcnt vmcnt(7)
	buffer_store_dword v3, v2, s[0:3], 0 offen
	s_waitcnt vmcnt(6)
	buffer_store_dword v4, v2, s[0:3], 0 offen offset:4
	s_waitcnt vmcnt(5)
	buffer_store_dword v5, v2, s[0:3], 0 offen offset:8
	s_waitcnt vmcnt(4)
	buffer_store_dword v6, v2, s[0:3], 0 offen offset:12
	s_waitcnt vmcnt(3)
	buffer_store_dword v7, v1, s[0:3], 0 offen offset:12
	s_waitcnt vmcnt(2)
	buffer_store_dword v8, v1, s[0:3], 0 offen offset:8
	s_waitcnt vmcnt(1)
	buffer_store_dword v9, v1, s[0:3], 0 offen offset:4
	s_waitcnt vmcnt(0)
	buffer_store_dword v10, v1, s[0:3], 0 offen
.LBB48_386:
	global_load_dword v0, v0, s[20:21] offset:32
	s_waitcnt vmcnt(0)
	v_add_nc_u32_e32 v0, -1, v0
	v_cmp_eq_u32_e32 vcc_lo, 8, v0
	s_cbranch_vccnz .LBB48_388
; %bb.387:
	v_lshlrev_b32_e32 v0, 4, v0
	v_mov_b32_e32 v1, s53
	v_add_nc_u32_e32 v0, 16, v0
	s_clause 0x7
	buffer_load_dword v2, v0, s[0:3], 0 offen
	buffer_load_dword v3, v0, s[0:3], 0 offen offset:4
	buffer_load_dword v4, v0, s[0:3], 0 offen offset:8
	;; [unrolled: 1-line block ×6, first 2 shown]
	buffer_load_dword v9, v1, s[0:3], 0 offen
	s_waitcnt vmcnt(7)
	buffer_store_dword v2, v1, s[0:3], 0 offen
	s_waitcnt vmcnt(6)
	buffer_store_dword v3, v1, s[0:3], 0 offen offset:4
	s_waitcnt vmcnt(5)
	buffer_store_dword v4, v1, s[0:3], 0 offen offset:8
	;; [unrolled: 2-line block ×6, first 2 shown]
	s_waitcnt vmcnt(0)
	buffer_store_dword v9, v0, s[0:3], 0 offen
.LBB48_388:
	v_mov_b32_e32 v0, 0
	global_load_dword v1, v0, s[20:21] offset:28
	s_waitcnt vmcnt(0)
	v_add_nc_u32_e32 v1, -1, v1
	v_cmp_eq_u32_e32 vcc_lo, 7, v1
	s_cbranch_vccnz .LBB48_390
; %bb.389:
	v_lshlrev_b32_e32 v1, 4, v1
	v_mov_b32_e32 v2, s54
	v_add_nc_u32_e32 v1, 16, v1
	s_clause 0x7
	buffer_load_dword v3, v1, s[0:3], 0 offen
	buffer_load_dword v4, v1, s[0:3], 0 offen offset:4
	buffer_load_dword v5, v1, s[0:3], 0 offen offset:8
	;; [unrolled: 1-line block ×6, first 2 shown]
	buffer_load_dword v10, v2, s[0:3], 0 offen
	s_waitcnt vmcnt(7)
	buffer_store_dword v3, v2, s[0:3], 0 offen
	s_waitcnt vmcnt(6)
	buffer_store_dword v4, v2, s[0:3], 0 offen offset:4
	s_waitcnt vmcnt(5)
	buffer_store_dword v5, v2, s[0:3], 0 offen offset:8
	;; [unrolled: 2-line block ×6, first 2 shown]
	s_waitcnt vmcnt(0)
	buffer_store_dword v10, v1, s[0:3], 0 offen
.LBB48_390:
	global_load_dword v0, v0, s[20:21] offset:24
	s_waitcnt vmcnt(0)
	v_add_nc_u32_e32 v0, -1, v0
	v_cmp_eq_u32_e32 vcc_lo, 6, v0
	s_cbranch_vccnz .LBB48_392
; %bb.391:
	v_lshlrev_b32_e32 v0, 4, v0
	v_mov_b32_e32 v1, s55
	v_add_nc_u32_e32 v0, 16, v0
	s_clause 0x7
	buffer_load_dword v2, v0, s[0:3], 0 offen
	buffer_load_dword v3, v0, s[0:3], 0 offen offset:4
	buffer_load_dword v4, v0, s[0:3], 0 offen offset:8
	;; [unrolled: 1-line block ×6, first 2 shown]
	buffer_load_dword v9, v1, s[0:3], 0 offen
	s_waitcnt vmcnt(7)
	buffer_store_dword v2, v1, s[0:3], 0 offen
	s_waitcnt vmcnt(6)
	buffer_store_dword v3, v1, s[0:3], 0 offen offset:4
	s_waitcnt vmcnt(5)
	buffer_store_dword v4, v1, s[0:3], 0 offen offset:8
	;; [unrolled: 2-line block ×6, first 2 shown]
	s_waitcnt vmcnt(0)
	buffer_store_dword v9, v0, s[0:3], 0 offen
.LBB48_392:
	v_mov_b32_e32 v0, 0
	global_load_dword v1, v0, s[20:21] offset:20
	s_waitcnt vmcnt(0)
	v_add_nc_u32_e32 v1, -1, v1
	v_cmp_eq_u32_e32 vcc_lo, 5, v1
	s_cbranch_vccnz .LBB48_394
; %bb.393:
	v_lshlrev_b32_e32 v1, 4, v1
	v_mov_b32_e32 v2, s56
	v_add_nc_u32_e32 v1, 16, v1
	s_clause 0x7
	buffer_load_dword v3, v1, s[0:3], 0 offen
	buffer_load_dword v4, v1, s[0:3], 0 offen offset:4
	buffer_load_dword v5, v1, s[0:3], 0 offen offset:8
	;; [unrolled: 1-line block ×6, first 2 shown]
	buffer_load_dword v10, v2, s[0:3], 0 offen
	s_waitcnt vmcnt(7)
	buffer_store_dword v3, v2, s[0:3], 0 offen
	s_waitcnt vmcnt(6)
	buffer_store_dword v4, v2, s[0:3], 0 offen offset:4
	s_waitcnt vmcnt(5)
	buffer_store_dword v5, v2, s[0:3], 0 offen offset:8
	;; [unrolled: 2-line block ×6, first 2 shown]
	s_waitcnt vmcnt(0)
	buffer_store_dword v10, v1, s[0:3], 0 offen
.LBB48_394:
	global_load_dword v0, v0, s[20:21] offset:16
	s_waitcnt vmcnt(0)
	v_add_nc_u32_e32 v0, -1, v0
	v_cmp_eq_u32_e32 vcc_lo, 4, v0
	s_cbranch_vccnz .LBB48_396
; %bb.395:
	v_lshlrev_b32_e32 v0, 4, v0
	v_mov_b32_e32 v1, s57
	v_add_nc_u32_e32 v0, 16, v0
	s_clause 0x7
	buffer_load_dword v2, v0, s[0:3], 0 offen
	buffer_load_dword v3, v0, s[0:3], 0 offen offset:4
	buffer_load_dword v4, v0, s[0:3], 0 offen offset:8
	;; [unrolled: 1-line block ×6, first 2 shown]
	buffer_load_dword v9, v1, s[0:3], 0 offen
	s_waitcnt vmcnt(7)
	buffer_store_dword v2, v1, s[0:3], 0 offen
	s_waitcnt vmcnt(6)
	buffer_store_dword v3, v1, s[0:3], 0 offen offset:4
	s_waitcnt vmcnt(5)
	buffer_store_dword v4, v1, s[0:3], 0 offen offset:8
	s_waitcnt vmcnt(4)
	buffer_store_dword v5, v1, s[0:3], 0 offen offset:12
	s_waitcnt vmcnt(3)
	buffer_store_dword v6, v0, s[0:3], 0 offen offset:12
	s_waitcnt vmcnt(2)
	buffer_store_dword v7, v0, s[0:3], 0 offen offset:8
	s_waitcnt vmcnt(1)
	buffer_store_dword v8, v0, s[0:3], 0 offen offset:4
	s_waitcnt vmcnt(0)
	buffer_store_dword v9, v0, s[0:3], 0 offen
.LBB48_396:
	v_mov_b32_e32 v0, 0
	global_load_dword v1, v0, s[20:21] offset:12
	s_waitcnt vmcnt(0)
	v_add_nc_u32_e32 v1, -1, v1
	v_cmp_eq_u32_e32 vcc_lo, 3, v1
	s_cbranch_vccnz .LBB48_398
; %bb.397:
	v_lshlrev_b32_e32 v1, 4, v1
	v_mov_b32_e32 v2, s58
	v_add_nc_u32_e32 v1, 16, v1
	s_clause 0x7
	buffer_load_dword v3, v1, s[0:3], 0 offen
	buffer_load_dword v4, v1, s[0:3], 0 offen offset:4
	buffer_load_dword v5, v1, s[0:3], 0 offen offset:8
	;; [unrolled: 1-line block ×6, first 2 shown]
	buffer_load_dword v10, v2, s[0:3], 0 offen
	s_waitcnt vmcnt(7)
	buffer_store_dword v3, v2, s[0:3], 0 offen
	s_waitcnt vmcnt(6)
	buffer_store_dword v4, v2, s[0:3], 0 offen offset:4
	s_waitcnt vmcnt(5)
	buffer_store_dword v5, v2, s[0:3], 0 offen offset:8
	;; [unrolled: 2-line block ×6, first 2 shown]
	s_waitcnt vmcnt(0)
	buffer_store_dword v10, v1, s[0:3], 0 offen
.LBB48_398:
	global_load_dword v0, v0, s[20:21] offset:8
	s_waitcnt vmcnt(0)
	v_add_nc_u32_e32 v0, -1, v0
	v_cmp_eq_u32_e32 vcc_lo, 2, v0
	s_cbranch_vccnz .LBB48_400
; %bb.399:
	v_lshlrev_b32_e32 v0, 4, v0
	v_mov_b32_e32 v1, s59
	v_add_nc_u32_e32 v0, 16, v0
	s_clause 0x7
	buffer_load_dword v2, v0, s[0:3], 0 offen
	buffer_load_dword v3, v0, s[0:3], 0 offen offset:4
	buffer_load_dword v4, v0, s[0:3], 0 offen offset:8
	;; [unrolled: 1-line block ×6, first 2 shown]
	buffer_load_dword v9, v1, s[0:3], 0 offen
	s_waitcnt vmcnt(7)
	buffer_store_dword v2, v1, s[0:3], 0 offen
	s_waitcnt vmcnt(6)
	buffer_store_dword v3, v1, s[0:3], 0 offen offset:4
	s_waitcnt vmcnt(5)
	buffer_store_dword v4, v1, s[0:3], 0 offen offset:8
	;; [unrolled: 2-line block ×6, first 2 shown]
	s_waitcnt vmcnt(0)
	buffer_store_dword v9, v0, s[0:3], 0 offen
.LBB48_400:
	v_mov_b32_e32 v0, 0
	global_load_dword v1, v0, s[20:21] offset:4
	s_waitcnt vmcnt(0)
	v_add_nc_u32_e32 v1, -1, v1
	v_cmp_eq_u32_e32 vcc_lo, 1, v1
	s_cbranch_vccnz .LBB48_402
; %bb.401:
	v_lshlrev_b32_e32 v1, 4, v1
	v_mov_b32_e32 v2, s60
	v_add_nc_u32_e32 v1, 16, v1
	s_clause 0x7
	buffer_load_dword v3, v1, s[0:3], 0 offen
	buffer_load_dword v4, v1, s[0:3], 0 offen offset:4
	buffer_load_dword v5, v1, s[0:3], 0 offen offset:8
	;; [unrolled: 1-line block ×6, first 2 shown]
	buffer_load_dword v10, v2, s[0:3], 0 offen
	s_waitcnt vmcnt(7)
	buffer_store_dword v3, v2, s[0:3], 0 offen
	s_waitcnt vmcnt(6)
	buffer_store_dword v4, v2, s[0:3], 0 offen offset:4
	s_waitcnt vmcnt(5)
	buffer_store_dword v5, v2, s[0:3], 0 offen offset:8
	;; [unrolled: 2-line block ×6, first 2 shown]
	s_waitcnt vmcnt(0)
	buffer_store_dword v10, v1, s[0:3], 0 offen
.LBB48_402:
	global_load_dword v0, v0, s[20:21]
	s_waitcnt vmcnt(0)
	v_add_nc_u32_e32 v0, -1, v0
	v_cmp_eq_u32_e32 vcc_lo, 0, v0
	s_cbranch_vccnz .LBB48_404
; %bb.403:
	v_lshlrev_b32_e32 v0, 4, v0
	v_add_nc_u32_e32 v0, 16, v0
	s_clause 0x7
	buffer_load_dword v1, v0, s[0:3], 0 offen
	buffer_load_dword v2, v0, s[0:3], 0 offen offset:4
	buffer_load_dword v3, v0, s[0:3], 0 offen offset:8
	buffer_load_dword v4, v0, s[0:3], 0 offen offset:12
	buffer_load_dword v5, off, s[0:3], 0 offset:28
	buffer_load_dword v6, off, s[0:3], 0 offset:24
	;; [unrolled: 1-line block ×4, first 2 shown]
	s_waitcnt vmcnt(7)
	buffer_store_dword v1, off, s[0:3], 0 offset:16
	s_waitcnt vmcnt(6)
	buffer_store_dword v2, off, s[0:3], 0 offset:20
	;; [unrolled: 2-line block ×4, first 2 shown]
	s_waitcnt vmcnt(3)
	buffer_store_dword v5, v0, s[0:3], 0 offen offset:12
	s_waitcnt vmcnt(2)
	buffer_store_dword v6, v0, s[0:3], 0 offen offset:8
	s_waitcnt vmcnt(1)
	buffer_store_dword v7, v0, s[0:3], 0 offen offset:4
	s_waitcnt vmcnt(0)
	buffer_store_dword v8, v0, s[0:3], 0 offen
.LBB48_404:
	v_mov_b32_e32 v7, s60
	v_mov_b32_e32 v11, s59
	;; [unrolled: 1-line block ×3, first 2 shown]
	s_clause 0x3
	buffer_load_dword v0, off, s[0:3], 0 offset:16
	buffer_load_dword v1, off, s[0:3], 0 offset:20
	;; [unrolled: 1-line block ×4, first 2 shown]
	v_mov_b32_e32 v32, s41
	s_clause 0xb
	buffer_load_dword v4, v7, s[0:3], 0 offen
	buffer_load_dword v5, v7, s[0:3], 0 offen offset:4
	buffer_load_dword v6, v7, s[0:3], 0 offen offset:8
	buffer_load_dword v7, v7, s[0:3], 0 offen offset:12
	buffer_load_dword v8, v11, s[0:3], 0 offen
	buffer_load_dword v9, v11, s[0:3], 0 offen offset:4
	buffer_load_dword v10, v11, s[0:3], 0 offen offset:8
	buffer_load_dword v11, v11, s[0:3], 0 offen offset:12
	;; [unrolled: 4-line block ×3, first 2 shown]
	v_mov_b32_e32 v16, s57
	v_mov_b32_e32 v174, s39
	;; [unrolled: 1-line block ×3, first 2 shown]
	s_clause 0x3
	buffer_load_dword v37, v16, s[0:3], 0 offen
	buffer_load_dword v38, v16, s[0:3], 0 offen offset:4
	buffer_load_dword v39, v16, s[0:3], 0 offen offset:8
	;; [unrolled: 1-line block ×3, first 2 shown]
	v_mov_b32_e32 v16, s56
	v_mov_b32_e32 v31, s42
	s_clause 0x3
	buffer_load_dword v41, v16, s[0:3], 0 offen
	buffer_load_dword v42, v16, s[0:3], 0 offen offset:4
	buffer_load_dword v43, v16, s[0:3], 0 offen offset:8
	buffer_load_dword v44, v16, s[0:3], 0 offen offset:12
	v_mov_b32_e32 v16, s55
	s_clause 0x3
	buffer_load_dword v45, v16, s[0:3], 0 offen
	buffer_load_dword v46, v16, s[0:3], 0 offen offset:4
	buffer_load_dword v47, v16, s[0:3], 0 offen offset:8
	buffer_load_dword v48, v16, s[0:3], 0 offen offset:12
	;; [unrolled: 6-line block ×13, first 2 shown]
	v_mov_b32_e32 v16, s43
	v_mov_b32_e32 v178, s35
	;; [unrolled: 1-line block ×27, first 2 shown]
	s_waitcnt vmcnt(62)
	global_store_dwordx4 v[91:92], v[0:3], off
	global_store_dwordx4 v[89:90], v[4:7], off
	s_waitcnt vmcnt(60)
	global_store_dwordx4 v[95:96], v[8:11], off
	s_waitcnt vmcnt(56)
	global_store_dwordx4 v[101:102], v[27:30], off
	s_clause 0x7
	buffer_load_dword v0, v16, s[0:3], 0 offen
	buffer_load_dword v1, v16, s[0:3], 0 offen offset:4
	buffer_load_dword v2, v16, s[0:3], 0 offen offset:8
	buffer_load_dword v3, v16, s[0:3], 0 offen offset:12
	buffer_load_dword v4, v31, s[0:3], 0 offen
	buffer_load_dword v5, v31, s[0:3], 0 offen offset:4
	buffer_load_dword v6, v31, s[0:3], 0 offen offset:8
	buffer_load_dword v7, v31, s[0:3], 0 offen offset:12
	s_waitcnt vmcnt(60)
	global_store_dwordx4 v[93:94], v[37:40], off
	s_clause 0x7
	buffer_load_dword v8, v32, s[0:3], 0 offen
	buffer_load_dword v9, v32, s[0:3], 0 offen offset:4
	buffer_load_dword v10, v32, s[0:3], 0 offen offset:8
	buffer_load_dword v11, v32, s[0:3], 0 offen offset:12
	buffer_load_dword v27, v173, s[0:3], 0 offen
	buffer_load_dword v28, v173, s[0:3], 0 offen offset:4
	buffer_load_dword v29, v173, s[0:3], 0 offen offset:8
	buffer_load_dword v30, v173, s[0:3], 0 offen offset:12
	;; [unrolled: 11-line block ×4, first 2 shown]
	global_store_dwordx4 v[97:98], v[49:52], off
	s_clause 0x7
	buffer_load_dword v49, v178, s[0:3], 0 offen
	buffer_load_dword v50, v178, s[0:3], 0 offen offset:4
	buffer_load_dword v51, v178, s[0:3], 0 offen offset:8
	;; [unrolled: 1-line block ×3, first 2 shown]
	buffer_load_dword v93, v179, s[0:3], 0 offen
	buffer_load_dword v94, v179, s[0:3], 0 offen offset:4
	buffer_load_dword v95, v179, s[0:3], 0 offen offset:8
	buffer_load_dword v96, v179, s[0:3], 0 offen offset:12
	s_waitcnt vmcnt(62)
	global_store_dwordx4 v[107:108], v[53:56], off
	s_clause 0x7
	buffer_load_dword v53, v180, s[0:3], 0 offen
	buffer_load_dword v54, v180, s[0:3], 0 offen offset:4
	buffer_load_dword v55, v180, s[0:3], 0 offen offset:8
	buffer_load_dword v56, v180, s[0:3], 0 offen offset:12
	buffer_load_dword v97, v181, s[0:3], 0 offen
	buffer_load_dword v98, v181, s[0:3], 0 offen offset:4
	buffer_load_dword v99, v181, s[0:3], 0 offen offset:8
	buffer_load_dword v100, v181, s[0:3], 0 offen offset:12
	global_store_dwordx4 v[113:114], v[57:60], off
	s_clause 0x7
	buffer_load_dword v57, v182, s[0:3], 0 offen
	buffer_load_dword v58, v182, s[0:3], 0 offen offset:4
	buffer_load_dword v59, v182, s[0:3], 0 offen offset:8
	buffer_load_dword v60, v182, s[0:3], 0 offen offset:12
	buffer_load_dword v105, v183, s[0:3], 0 offen
	buffer_load_dword v106, v183, s[0:3], 0 offen offset:4
	buffer_load_dword v107, v183, s[0:3], 0 offen offset:8
	buffer_load_dword v108, v183, s[0:3], 0 offen offset:12
	global_store_dwordx4 v[103:104], v[61:64], off
	s_clause 0x7
	buffer_load_dword v61, v184, s[0:3], 0 offen
	buffer_load_dword v62, v184, s[0:3], 0 offen offset:4
	buffer_load_dword v63, v184, s[0:3], 0 offen offset:8
	buffer_load_dword v64, v184, s[0:3], 0 offen offset:12
	buffer_load_dword v101, v185, s[0:3], 0 offen
	buffer_load_dword v102, v185, s[0:3], 0 offen offset:4
	buffer_load_dword v103, v185, s[0:3], 0 offen offset:8
	buffer_load_dword v104, v185, s[0:3], 0 offen offset:12
	global_store_dwordx4 v[119:120], v[69:72], off
	s_clause 0x7
	buffer_load_dword v69, v186, s[0:3], 0 offen
	buffer_load_dword v70, v186, s[0:3], 0 offen offset:4
	buffer_load_dword v71, v186, s[0:3], 0 offen offset:8
	buffer_load_dword v72, v186, s[0:3], 0 offen offset:12
	buffer_load_dword v173, v187, s[0:3], 0 offen
	buffer_load_dword v174, v187, s[0:3], 0 offen offset:4
	buffer_load_dword v175, v187, s[0:3], 0 offen offset:8
	buffer_load_dword v176, v187, s[0:3], 0 offen offset:12
	s_waitcnt vmcnt(62)
	global_store_dwordx4 v[125:126], v[73:76], off
	s_clause 0x7
	buffer_load_dword v73, v188, s[0:3], 0 offen
	buffer_load_dword v74, v188, s[0:3], 0 offen offset:4
	buffer_load_dword v75, v188, s[0:3], 0 offen offset:8
	buffer_load_dword v76, v188, s[0:3], 0 offen offset:12
	buffer_load_dword v177, v189, s[0:3], 0 offen
	buffer_load_dword v178, v189, s[0:3], 0 offen offset:4
	buffer_load_dword v179, v189, s[0:3], 0 offen offset:8
	buffer_load_dword v180, v189, s[0:3], 0 offen offset:12
	global_store_dwordx4 v[111:112], v[81:84], off
	s_clause 0x7
	buffer_load_dword v81, v190, s[0:3], 0 offen
	buffer_load_dword v82, v190, s[0:3], 0 offen offset:4
	buffer_load_dword v83, v190, s[0:3], 0 offen offset:8
	buffer_load_dword v84, v190, s[0:3], 0 offen offset:12
	buffer_load_dword v111, v191, s[0:3], 0 offen
	buffer_load_dword v112, v191, s[0:3], 0 offen offset:4
	buffer_load_dword v113, v191, s[0:3], 0 offen offset:8
	buffer_load_dword v114, v191, s[0:3], 0 offen offset:12
	;; [unrolled: 10-line block ×6, first 2 shown]
	buffer_load_dword v189, v200, s[0:3], 0 offen
	buffer_load_dword v190, v200, s[0:3], 0 offen offset:4
	buffer_load_dword v191, v200, s[0:3], 0 offen offset:8
	;; [unrolled: 1-line block ×3, first 2 shown]
	global_store_dwordx4 v[117:118], v[0:3], off
	global_store_dwordx4 v[127:128], v[4:7], off
	s_waitcnt vmcnt(62)
	global_store_dwordx4 v[129:130], v[8:11], off
	global_store_dwordx4 v[131:132], v[27:30], off
	global_store_dwordx4 v[133:134], v[37:40], off
	global_store_dwordx4 v[135:136], v[41:44], off
	global_store_dwordx4 v[137:138], v[45:48], off
	global_store_dwordx4 v[139:140], v[89:92], off
	global_store_dwordx4 v[141:142], v[49:52], off
	global_store_dwordx4 v[143:144], v[93:96], off
	global_store_dwordx4 v[145:146], v[53:56], off
	global_store_dwordx4 v[147:148], v[97:100], off
	global_store_dwordx4 v[149:150], v[57:60], off
	global_store_dwordx4 v[151:152], v[105:108], off
	global_store_dwordx4 v[153:154], v[61:64], off
	s_waitcnt vmcnt(60)
	global_store_dwordx4 v[155:156], v[101:104], off
	s_waitcnt vmcnt(56)
	global_store_dwordx4 v[157:158], v[69:72], off
	;; [unrolled: 2-line block ×16, first 2 shown]
	s_endpgm
	.section	.rodata,"a",@progbits
	.p2align	6, 0x0
	.amdhsa_kernel _ZN9rocsolver6v33100L18getri_kernel_smallILi49E19rocblas_complex_numIdEPS3_EEvT1_iilPiilS6_bb
		.amdhsa_group_segment_fixed_size 1576
		.amdhsa_private_segment_fixed_size 816
		.amdhsa_kernarg_size 60
		.amdhsa_user_sgpr_count 6
		.amdhsa_user_sgpr_private_segment_buffer 1
		.amdhsa_user_sgpr_dispatch_ptr 0
		.amdhsa_user_sgpr_queue_ptr 0
		.amdhsa_user_sgpr_kernarg_segment_ptr 1
		.amdhsa_user_sgpr_dispatch_id 0
		.amdhsa_user_sgpr_flat_scratch_init 0
		.amdhsa_user_sgpr_private_segment_size 0
		.amdhsa_wavefront_size32 1
		.amdhsa_uses_dynamic_stack 0
		.amdhsa_system_sgpr_private_segment_wavefront_offset 1
		.amdhsa_system_sgpr_workgroup_id_x 1
		.amdhsa_system_sgpr_workgroup_id_y 0
		.amdhsa_system_sgpr_workgroup_id_z 0
		.amdhsa_system_sgpr_workgroup_info 0
		.amdhsa_system_vgpr_workitem_id 0
		.amdhsa_next_free_vgpr 201
		.amdhsa_next_free_sgpr 65
		.amdhsa_reserve_vcc 1
		.amdhsa_reserve_flat_scratch 0
		.amdhsa_float_round_mode_32 0
		.amdhsa_float_round_mode_16_64 0
		.amdhsa_float_denorm_mode_32 3
		.amdhsa_float_denorm_mode_16_64 3
		.amdhsa_dx10_clamp 1
		.amdhsa_ieee_mode 1
		.amdhsa_fp16_overflow 0
		.amdhsa_workgroup_processor_mode 1
		.amdhsa_memory_ordered 1
		.amdhsa_forward_progress 1
		.amdhsa_shared_vgpr_count 0
		.amdhsa_exception_fp_ieee_invalid_op 0
		.amdhsa_exception_fp_denorm_src 0
		.amdhsa_exception_fp_ieee_div_zero 0
		.amdhsa_exception_fp_ieee_overflow 0
		.amdhsa_exception_fp_ieee_underflow 0
		.amdhsa_exception_fp_ieee_inexact 0
		.amdhsa_exception_int_div_zero 0
	.end_amdhsa_kernel
	.section	.text._ZN9rocsolver6v33100L18getri_kernel_smallILi49E19rocblas_complex_numIdEPS3_EEvT1_iilPiilS6_bb,"axG",@progbits,_ZN9rocsolver6v33100L18getri_kernel_smallILi49E19rocblas_complex_numIdEPS3_EEvT1_iilPiilS6_bb,comdat
.Lfunc_end48:
	.size	_ZN9rocsolver6v33100L18getri_kernel_smallILi49E19rocblas_complex_numIdEPS3_EEvT1_iilPiilS6_bb, .Lfunc_end48-_ZN9rocsolver6v33100L18getri_kernel_smallILi49E19rocblas_complex_numIdEPS3_EEvT1_iilPiilS6_bb
                                        ; -- End function
	.set _ZN9rocsolver6v33100L18getri_kernel_smallILi49E19rocblas_complex_numIdEPS3_EEvT1_iilPiilS6_bb.num_vgpr, 201
	.set _ZN9rocsolver6v33100L18getri_kernel_smallILi49E19rocblas_complex_numIdEPS3_EEvT1_iilPiilS6_bb.num_agpr, 0
	.set _ZN9rocsolver6v33100L18getri_kernel_smallILi49E19rocblas_complex_numIdEPS3_EEvT1_iilPiilS6_bb.numbered_sgpr, 65
	.set _ZN9rocsolver6v33100L18getri_kernel_smallILi49E19rocblas_complex_numIdEPS3_EEvT1_iilPiilS6_bb.num_named_barrier, 0
	.set _ZN9rocsolver6v33100L18getri_kernel_smallILi49E19rocblas_complex_numIdEPS3_EEvT1_iilPiilS6_bb.private_seg_size, 816
	.set _ZN9rocsolver6v33100L18getri_kernel_smallILi49E19rocblas_complex_numIdEPS3_EEvT1_iilPiilS6_bb.uses_vcc, 1
	.set _ZN9rocsolver6v33100L18getri_kernel_smallILi49E19rocblas_complex_numIdEPS3_EEvT1_iilPiilS6_bb.uses_flat_scratch, 0
	.set _ZN9rocsolver6v33100L18getri_kernel_smallILi49E19rocblas_complex_numIdEPS3_EEvT1_iilPiilS6_bb.has_dyn_sized_stack, 0
	.set _ZN9rocsolver6v33100L18getri_kernel_smallILi49E19rocblas_complex_numIdEPS3_EEvT1_iilPiilS6_bb.has_recursion, 0
	.set _ZN9rocsolver6v33100L18getri_kernel_smallILi49E19rocblas_complex_numIdEPS3_EEvT1_iilPiilS6_bb.has_indirect_call, 0
	.section	.AMDGPU.csdata,"",@progbits
; Kernel info:
; codeLenInByte = 161448
; TotalNumSgprs: 67
; NumVgprs: 201
; ScratchSize: 816
; MemoryBound: 0
; FloatMode: 240
; IeeeMode: 1
; LDSByteSize: 1576 bytes/workgroup (compile time only)
; SGPRBlocks: 0
; VGPRBlocks: 25
; NumSGPRsForWavesPerEU: 67
; NumVGPRsForWavesPerEU: 201
; Occupancy: 4
; WaveLimiterHint : 1
; COMPUTE_PGM_RSRC2:SCRATCH_EN: 1
; COMPUTE_PGM_RSRC2:USER_SGPR: 6
; COMPUTE_PGM_RSRC2:TRAP_HANDLER: 0
; COMPUTE_PGM_RSRC2:TGID_X_EN: 1
; COMPUTE_PGM_RSRC2:TGID_Y_EN: 0
; COMPUTE_PGM_RSRC2:TGID_Z_EN: 0
; COMPUTE_PGM_RSRC2:TIDIG_COMP_CNT: 0
	.section	.text._ZN9rocsolver6v33100L18getri_kernel_smallILi50E19rocblas_complex_numIdEPS3_EEvT1_iilPiilS6_bb,"axG",@progbits,_ZN9rocsolver6v33100L18getri_kernel_smallILi50E19rocblas_complex_numIdEPS3_EEvT1_iilPiilS6_bb,comdat
	.globl	_ZN9rocsolver6v33100L18getri_kernel_smallILi50E19rocblas_complex_numIdEPS3_EEvT1_iilPiilS6_bb ; -- Begin function _ZN9rocsolver6v33100L18getri_kernel_smallILi50E19rocblas_complex_numIdEPS3_EEvT1_iilPiilS6_bb
	.p2align	8
	.type	_ZN9rocsolver6v33100L18getri_kernel_smallILi50E19rocblas_complex_numIdEPS3_EEvT1_iilPiilS6_bb,@function
_ZN9rocsolver6v33100L18getri_kernel_smallILi50E19rocblas_complex_numIdEPS3_EEvT1_iilPiilS6_bb: ; @_ZN9rocsolver6v33100L18getri_kernel_smallILi50E19rocblas_complex_numIdEPS3_EEvT1_iilPiilS6_bb
; %bb.0:
	s_add_u32 s0, s0, s7
	s_addc_u32 s1, s1, 0
	s_mov_b32 s7, exec_lo
	v_cmpx_gt_u32_e32 50, v0
	s_cbranch_execz .LBB49_214
; %bb.1:
	s_clause 0x2
	s_load_dword s7, s[4:5], 0x38
	s_load_dwordx4 s[16:19], s[4:5], 0x10
	s_load_dwordx4 s[8:11], s[4:5], 0x28
                                        ; implicit-def: $sgpr20_sgpr21
	s_waitcnt lgkmcnt(0)
	s_bitcmp1_b32 s7, 8
	s_cselect_b32 s62, -1, 0
	s_bfe_u32 s12, s7, 0x10008
	s_ashr_i32 s7, s6, 31
	s_cmp_eq_u32 s12, 0
	s_cbranch_scc1 .LBB49_3
; %bb.2:
	s_load_dword s12, s[4:5], 0x20
	s_mul_i32 s13, s8, s7
	s_mul_hi_u32 s14, s8, s6
	s_mul_i32 s9, s9, s6
	s_add_i32 s13, s14, s13
	s_mul_i32 s8, s8, s6
	s_add_i32 s9, s13, s9
	s_lshl_b64 s[8:9], s[8:9], 2
	s_waitcnt lgkmcnt(0)
	s_ashr_i32 s13, s12, 31
	s_add_u32 s14, s18, s8
	s_addc_u32 s15, s19, s9
	s_lshl_b64 s[8:9], s[12:13], 2
	s_add_u32 s20, s14, s8
	s_addc_u32 s21, s15, s9
.LBB49_3:
	s_clause 0x1
	s_load_dwordx4 s[12:15], s[4:5], 0x0
	s_load_dword s63, s[4:5], 0x38
	s_mul_i32 s4, s16, s7
	s_mul_hi_u32 s5, s16, s6
	s_mul_i32 s8, s17, s6
	s_add_i32 s5, s5, s4
	s_mul_i32 s4, s16, s6
	s_add_i32 s5, s5, s8
	v_lshlrev_b32_e32 v145, 4, v0
	s_lshl_b64 s[4:5], s[4:5], 4
	s_mov_b32 s61, 32
	s_mov_b32 s60, 48
	;; [unrolled: 1-line block ×3, first 2 shown]
	s_movk_i32 s58, 0x50
	s_waitcnt lgkmcnt(0)
	v_add3_u32 v1, s15, s15, v0
	s_ashr_i32 s9, s14, 31
	s_mov_b32 s8, s14
	s_add_u32 s12, s12, s4
	s_addc_u32 s13, s13, s5
	s_lshl_b64 s[4:5], s[8:9], 4
	v_ashrrev_i32_e32 v2, 31, v1
	v_add_nc_u32_e32 v5, s15, v1
	s_add_u32 s4, s12, s4
	s_addc_u32 s5, s13, s5
	v_add_co_u32 v73, s12, s4, v145
	s_mov_b32 s8, s15
	s_ashr_i32 s9, s15, 31
	v_lshlrev_b64 v[7:8], 4, v[1:2]
	v_add_co_ci_u32_e64 v74, null, s5, 0, s12
	v_add_nc_u32_e32 v9, s15, v5
	s_lshl_b64 s[8:9], s[8:9], 4
	v_ashrrev_i32_e32 v6, 31, v5
	v_add_co_u32 v75, vcc_lo, v73, s8
	v_add_co_ci_u32_e64 v76, null, s9, v74, vcc_lo
	v_add_co_u32 v115, vcc_lo, s4, v7
	v_add_nc_u32_e32 v7, s15, v9
	v_lshlrev_b64 v[5:6], 4, v[5:6]
	v_ashrrev_i32_e32 v10, 31, v9
	v_add_co_ci_u32_e64 v116, null, s5, v8, vcc_lo
	v_ashrrev_i32_e32 v8, 31, v7
	v_add_nc_u32_e32 v11, s15, v7
	v_lshlrev_b64 v[9:10], 4, v[9:10]
	v_add_co_u32 v113, vcc_lo, s4, v5
	v_add_co_ci_u32_e64 v114, null, s5, v6, vcc_lo
	v_lshlrev_b64 v[5:6], 4, v[7:8]
	v_add_nc_u32_e32 v7, s15, v11
	v_ashrrev_i32_e32 v12, 31, v11
	v_add_co_u32 v101, vcc_lo, s4, v9
	v_add_co_ci_u32_e64 v102, null, s5, v10, vcc_lo
	v_add_nc_u32_e32 v9, s15, v7
	v_add_co_u32 v107, vcc_lo, s4, v5
	v_ashrrev_i32_e32 v8, 31, v7
	v_add_co_ci_u32_e64 v108, null, s5, v6, vcc_lo
	v_lshlrev_b64 v[5:6], 4, v[11:12]
	v_ashrrev_i32_e32 v10, 31, v9
	v_add_nc_u32_e32 v11, s15, v9
	v_lshlrev_b64 v[7:8], 4, v[7:8]
	s_clause 0x1
	global_load_dwordx4 v[1:4], v145, s[4:5]
	global_load_dwordx4 v[137:140], v[75:76], off
	v_add_co_u32 v109, vcc_lo, s4, v5
	v_add_co_ci_u32_e64 v110, null, s5, v6, vcc_lo
	v_lshlrev_b64 v[5:6], 4, v[9:10]
	v_ashrrev_i32_e32 v12, 31, v11
	v_add_nc_u32_e32 v9, s15, v11
	v_add_co_u32 v103, vcc_lo, s4, v7
	v_add_co_ci_u32_e64 v104, null, s5, v8, vcc_lo
	v_lshlrev_b64 v[7:8], 4, v[11:12]
	v_ashrrev_i32_e32 v10, 31, v9
	v_add_nc_u32_e32 v11, s15, v9
	;; [unrolled: 5-line block ×9, first 2 shown]
	v_add_co_u32 v79, vcc_lo, s4, v7
	global_load_dwordx4 v[141:144], v[115:116], off
	v_add_co_ci_u32_e64 v80, null, s5, v8, vcc_lo
	v_lshlrev_b64 v[7:8], 4, v[11:12]
	v_ashrrev_i32_e32 v10, 31, v9
	v_add_nc_u32_e32 v11, s15, v9
	v_add_co_u32 v97, vcc_lo, s4, v5
	v_add_co_ci_u32_e64 v98, null, s5, v6, vcc_lo
	v_lshlrev_b64 v[5:6], 4, v[9:10]
	v_ashrrev_i32_e32 v12, 31, v11
	v_add_nc_u32_e32 v9, s15, v11
	v_add_co_u32 v81, vcc_lo, s4, v7
	v_add_co_ci_u32_e64 v82, null, s5, v8, vcc_lo
	v_lshlrev_b64 v[7:8], 4, v[11:12]
	v_add_nc_u32_e32 v11, s15, v9
	s_clause 0x3
	global_load_dwordx4 v[146:149], v[113:114], off
	global_load_dwordx4 v[69:72], v[109:110], off
	;; [unrolled: 1-line block ×4, first 2 shown]
	v_add_nc_u32_e32 v21, s15, v11
	v_ashrrev_i32_e32 v10, 31, v9
	s_clause 0x1
	global_load_dwordx4 v[150:153], v[101:102], off
	global_load_dwordx4 v[162:165], v[85:86], off
	v_ashrrev_i32_e32 v12, 31, v11
	v_add_nc_u32_e32 v25, s15, v21
	v_ashrrev_i32_e32 v22, 31, v21
	v_lshlrev_b64 v[9:10], 4, v[9:10]
	v_add_co_u32 v99, vcc_lo, s4, v5
	v_add_nc_u32_e32 v45, s15, v25
	v_lshlrev_b64 v[11:12], 4, v[11:12]
	s_clause 0x1
	global_load_dwordx4 v[53:56], v[87:88], off
	global_load_dwordx4 v[57:60], v[89:90], off
	v_add_co_ci_u32_e64 v100, null, s5, v6, vcc_lo
	v_add_nc_u32_e32 v65, s15, v45
	v_add_co_u32 v83, vcc_lo, s4, v7
	v_lshlrev_b64 v[27:28], 4, v[21:22]
	v_ashrrev_i32_e32 v26, 31, v25
	v_add_co_ci_u32_e64 v84, null, s5, v8, vcc_lo
	v_add_co_u32 v105, vcc_lo, s4, v9
	v_ashrrev_i32_e32 v46, 31, v45
	v_add_co_ci_u32_e64 v106, null, s5, v10, vcc_lo
	v_add_co_u32 v111, vcc_lo, s4, v11
	v_add_nc_u32_e32 v123, s15, v65
	v_add_co_ci_u32_e64 v112, null, s5, v12, vcc_lo
	v_lshlrev_b64 v[25:26], 4, v[25:26]
	v_add_co_u32 v117, vcc_lo, s4, v27
	s_clause 0x1
	global_load_dwordx4 v[61:64], v[77:78], off
	global_load_dwordx4 v[33:36], v[91:92], off
	v_add_co_ci_u32_e64 v118, null, s5, v28, vcc_lo
	v_lshlrev_b64 v[27:28], 4, v[45:46]
	s_clause 0x1
	global_load_dwordx4 v[41:44], v[93:94], off
	global_load_dwordx4 v[37:40], v[95:96], off
	v_ashrrev_i32_e32 v66, 31, v65
	v_add_nc_u32_e32 v127, s15, v123
	v_ashrrev_i32_e32 v124, 31, v123
	v_add_co_u32 v119, vcc_lo, s4, v25
	v_add_co_ci_u32_e64 v120, null, s5, v26, vcc_lo
	v_lshlrev_b64 v[25:26], 4, v[65:66]
	v_add_co_u32 v121, vcc_lo, s4, v27
	v_add_nc_u32_e32 v131, s15, v127
	v_add_co_ci_u32_e64 v122, null, s5, v28, vcc_lo
	v_lshlrev_b64 v[27:28], 4, v[123:124]
	v_ashrrev_i32_e32 v128, 31, v127
	v_ashrrev_i32_e32 v132, 31, v131
	v_add_co_u32 v123, vcc_lo, s4, v25
	v_add_co_ci_u32_e64 v124, null, s5, v26, vcc_lo
	v_add_co_u32 v125, vcc_lo, s4, v27
	v_lshlrev_b64 v[25:26], 4, v[127:128]
	s_clause 0x1
	global_load_dwordx4 v[13:16], v[79:80], off
	global_load_dwordx4 v[17:20], v[97:98], off
	v_add_co_ci_u32_e64 v126, null, s5, v28, vcc_lo
	v_lshlrev_b64 v[27:28], 4, v[131:132]
	s_clause 0x1
	global_load_dwordx4 v[29:32], v[81:82], off
	global_load_dwordx4 v[5:8], v[99:100], off
	v_add_co_u32 v127, vcc_lo, s4, v25
	v_add_co_ci_u32_e64 v128, null, s5, v26, vcc_lo
	v_add_co_u32 v129, vcc_lo, s4, v27
	v_add_co_ci_u32_e64 v130, null, s5, v28, vcc_lo
	s_clause 0x9
	global_load_dwordx4 v[21:24], v[83:84], off
	global_load_dwordx4 v[9:12], v[105:106], off
	;; [unrolled: 1-line block ×10, first 2 shown]
	v_add_nc_u32_e32 v131, s15, v131
	s_waitcnt vmcnt(28)
	buffer_store_dword v4, off, s[0:3], 0 offset:28
	buffer_store_dword v3, off, s[0:3], 0 offset:24
	;; [unrolled: 1-line block ×4, first 2 shown]
	s_waitcnt vmcnt(27)
	buffer_store_dword v140, off, s[0:3], 0 offset:44
	buffer_store_dword v139, off, s[0:3], 0 offset:40
	;; [unrolled: 1-line block ×4, first 2 shown]
	v_add_nc_u32_e32 v133, s15, v131
	v_ashrrev_i32_e32 v132, 31, v131
	v_add_nc_u32_e32 v135, s15, v133
	v_ashrrev_i32_e32 v134, 31, v133
	v_lshlrev_b64 v[131:132], 4, v[131:132]
	v_add_nc_u32_e32 v182, s15, v135
	v_lshlrev_b64 v[133:134], 4, v[133:134]
	v_ashrrev_i32_e32 v136, 31, v135
	v_add_co_u32 v131, vcc_lo, s4, v131
	v_add_nc_u32_e32 v186, s15, v182
	v_add_co_ci_u32_e64 v132, null, s5, v132, vcc_lo
	v_add_co_u32 v133, vcc_lo, s4, v133
	v_ashrrev_i32_e32 v183, 31, v182
	v_add_nc_u32_e32 v190, s15, v186
	v_add_co_ci_u32_e64 v134, null, s5, v134, vcc_lo
	v_lshlrev_b64 v[135:136], 4, v[135:136]
	v_lshlrev_b64 v[188:189], 4, v[182:183]
	s_clause 0x1
	global_load_dwordx4 v[1:4], v[131:132], off
	global_load_dwordx4 v[182:185], v[133:134], off
	s_waitcnt vmcnt(28)
	buffer_store_dword v144, off, s[0:3], 0 offset:60
	buffer_store_dword v143, off, s[0:3], 0 offset:56
	;; [unrolled: 1-line block ×4, first 2 shown]
	v_add_nc_u32_e32 v141, s15, v190
	v_ashrrev_i32_e32 v187, 31, v186
	v_ashrrev_i32_e32 v191, 31, v190
	v_add_co_u32 v135, vcc_lo, s4, v135
	v_ashrrev_i32_e32 v142, 31, v141
	v_lshlrev_b64 v[139:140], 4, v[186:187]
	v_add_nc_u32_e32 v186, s15, v141
	v_add_co_ci_u32_e64 v136, null, s5, v136, vcc_lo
	v_add_co_u32 v137, vcc_lo, s4, v188
	v_lshlrev_b64 v[143:144], 4, v[190:191]
	v_add_co_ci_u32_e64 v138, null, s5, v189, vcc_lo
	v_lshlrev_b64 v[188:189], 4, v[141:142]
	v_add_nc_u32_e32 v190, s15, v186
	v_add_co_u32 v139, vcc_lo, s4, v139
	v_ashrrev_i32_e32 v187, 31, v186
	v_add_co_ci_u32_e64 v140, null, s5, v140, vcc_lo
	v_add_co_u32 v141, vcc_lo, s4, v143
	v_add_co_ci_u32_e64 v142, null, s5, v144, vcc_lo
	v_ashrrev_i32_e32 v191, 31, v190
	v_add_co_u32 v143, vcc_lo, s4, v188
	v_add_nc_u32_e32 v188, s15, v190
	v_lshlrev_b64 v[186:187], 4, v[186:187]
	s_waitcnt vmcnt(27)
	buffer_store_dword v149, off, s[0:3], 0 offset:76
	buffer_store_dword v148, off, s[0:3], 0 offset:72
	;; [unrolled: 1-line block ×4, first 2 shown]
	s_waitcnt vmcnt(23)
	buffer_store_dword v153, off, s[0:3], 0 offset:92
	buffer_store_dword v152, off, s[0:3], 0 offset:88
	;; [unrolled: 1-line block ×4, first 2 shown]
	s_clause 0x1
	global_load_dwordx4 v[146:149], v[135:136], off
	global_load_dwordx4 v[150:153], v[137:138], off
	buffer_store_dword v157, off, s[0:3], 0 offset:108
	buffer_store_dword v156, off, s[0:3], 0 offset:104
	;; [unrolled: 1-line block ×4, first 2 shown]
	v_add_co_ci_u32_e64 v144, null, s5, v189, vcc_lo
	buffer_store_dword v72, off, s[0:3], 0 offset:124
	buffer_store_dword v71, off, s[0:3], 0 offset:120
	;; [unrolled: 1-line block ×8, first 2 shown]
	v_lshlrev_b64 v[71:72], 4, v[190:191]
	v_ashrrev_i32_e32 v189, 31, v188
	v_add_nc_u32_e32 v190, s15, v188
	v_add_co_u32 v69, vcc_lo, s4, v186
	v_add_co_ci_u32_e64 v70, null, s5, v187, vcc_lo
	v_lshlrev_b64 v[186:187], 4, v[188:189]
	v_ashrrev_i32_e32 v191, 31, v190
	v_add_nc_u32_e32 v188, s15, v190
	s_clause 0x1
	global_load_dwordx4 v[154:157], v[139:140], off
	global_load_dwordx4 v[158:161], v[141:142], off
	s_waitcnt vmcnt(26)
	buffer_store_dword v165, off, s[0:3], 0 offset:156
	buffer_store_dword v164, off, s[0:3], 0 offset:152
	buffer_store_dword v163, off, s[0:3], 0 offset:148
	buffer_store_dword v162, off, s[0:3], 0 offset:144
	s_waitcnt vmcnt(25)
	buffer_store_dword v53, off, s[0:3], 0 offset:160
	buffer_store_dword v54, off, s[0:3], 0 offset:164
	buffer_store_dword v55, off, s[0:3], 0 offset:168
	buffer_store_dword v56, off, s[0:3], 0 offset:172
	s_waitcnt vmcnt(24)
	buffer_store_dword v57, off, s[0:3], 0 offset:176
	buffer_store_dword v58, off, s[0:3], 0 offset:180
	buffer_store_dword v59, off, s[0:3], 0 offset:184
	buffer_store_dword v60, off, s[0:3], 0 offset:188
	v_lshlrev_b64 v[55:56], 4, v[190:191]
	v_add_nc_u32_e32 v190, s15, v188
	v_add_co_u32 v71, vcc_lo, s4, v71
	v_add_co_ci_u32_e64 v72, null, s5, v72, vcc_lo
	v_add_co_u32 v53, vcc_lo, s4, v186
	v_ashrrev_i32_e32 v189, 31, v188
	v_add_nc_u32_e32 v194, s15, v190
	v_add_co_ci_u32_e64 v54, null, s5, v187, vcc_lo
	s_clause 0x1
	global_load_dwordx4 v[57:60], v[143:144], off
	global_load_dwordx4 v[162:165], v[69:70], off
	s_waitcnt vmcnt(25)
	buffer_store_dword v61, off, s[0:3], 0 offset:192
	buffer_store_dword v62, off, s[0:3], 0 offset:196
	buffer_store_dword v63, off, s[0:3], 0 offset:200
	buffer_store_dword v64, off, s[0:3], 0 offset:204
	s_waitcnt vmcnt(24)
	buffer_store_dword v36, off, s[0:3], 0 offset:220
	buffer_store_dword v35, off, s[0:3], 0 offset:216
	buffer_store_dword v34, off, s[0:3], 0 offset:212
	buffer_store_dword v33, off, s[0:3], 0 offset:208
	;; [unrolled: 5-line block ×3, first 2 shown]
	v_lshlrev_b64 v[192:193], 4, v[188:189]
	s_clause 0x1
	global_load_dwordx4 v[61:64], v[71:72], off
	global_load_dwordx4 v[186:189], v[53:54], off
	s_waitcnt vmcnt(24)
	buffer_store_dword v40, off, s[0:3], 0 offset:252
	buffer_store_dword v39, off, s[0:3], 0 offset:248
	buffer_store_dword v38, off, s[0:3], 0 offset:244
	buffer_store_dword v37, off, s[0:3], 0 offset:240
	v_add_nc_u32_e32 v37, s15, v194
	v_ashrrev_i32_e32 v191, 31, v190
	v_ashrrev_i32_e32 v195, 31, v194
	v_add_co_u32 v55, vcc_lo, s4, v55
	v_add_nc_u32_e32 v41, s15, v37
	v_ashrrev_i32_e32 v38, 31, v37
	v_add_co_ci_u32_e64 v56, null, s5, v56, vcc_lo
	v_lshlrev_b64 v[35:36], 4, v[190:191]
	v_add_co_u32 v33, vcc_lo, s4, v192
	v_ashrrev_i32_e32 v42, 31, v41
	v_add_co_ci_u32_e64 v34, null, s5, v193, vcc_lo
	v_lshlrev_b64 v[39:40], 4, v[194:195]
	v_lshlrev_b64 v[43:44], 4, v[37:38]
	s_waitcnt vmcnt(23)
	buffer_store_dword v16, off, s[0:3], 0 offset:268
	buffer_store_dword v15, off, s[0:3], 0 offset:264
	;; [unrolled: 1-line block ×4, first 2 shown]
	s_waitcnt vmcnt(22)
	buffer_store_dword v20, off, s[0:3], 0 offset:284
	buffer_store_dword v19, off, s[0:3], 0 offset:280
	;; [unrolled: 1-line block ×4, first 2 shown]
	v_add_co_u32 v35, vcc_lo, s4, v35
	s_clause 0x1
	global_load_dwordx4 v[13:16], v[55:56], off
	global_load_dwordx4 v[17:20], v[33:34], off
	s_waitcnt vmcnt(23)
	buffer_store_dword v32, off, s[0:3], 0 offset:300
	buffer_store_dword v31, off, s[0:3], 0 offset:296
	;; [unrolled: 1-line block ×4, first 2 shown]
	v_lshlrev_b64 v[31:32], 4, v[41:42]
	v_add_co_ci_u32_e64 v36, null, s5, v36, vcc_lo
	v_add_nc_u32_e32 v29, s15, v41
	v_add_co_u32 v37, vcc_lo, s4, v39
	v_add_co_ci_u32_e64 v38, null, s5, v40, vcc_lo
	v_add_co_u32 v39, vcc_lo, s4, v43
	v_add_co_ci_u32_e64 v40, null, s5, v44, vcc_lo
	v_add_co_u32 v41, vcc_lo, s4, v31
	v_ashrrev_i32_e32 v30, 31, v29
	v_add_nc_u32_e32 v43, s15, v29
	v_add_co_ci_u32_e64 v42, null, s5, v32, vcc_lo
	s_waitcnt vmcnt(22)
	buffer_store_dword v8, off, s[0:3], 0 offset:316
	buffer_store_dword v7, off, s[0:3], 0 offset:312
	;; [unrolled: 1-line block ×4, first 2 shown]
	s_waitcnt vmcnt(21)
	buffer_store_dword v24, off, s[0:3], 0 offset:332
	buffer_store_dword v23, off, s[0:3], 0 offset:328
	;; [unrolled: 1-line block ×4, first 2 shown]
	s_clause 0x1
	global_load_dwordx4 v[5:8], v[35:36], off
	global_load_dwordx4 v[21:24], v[37:38], off
	s_waitcnt vmcnt(22)
	buffer_store_dword v12, off, s[0:3], 0 offset:348
	buffer_store_dword v11, off, s[0:3], 0 offset:344
	;; [unrolled: 1-line block ×4, first 2 shown]
	s_waitcnt vmcnt(21)
	buffer_store_dword v52, off, s[0:3], 0 offset:364
	buffer_store_dword v51, off, s[0:3], 0 offset:360
	;; [unrolled: 1-line block ×4, first 2 shown]
	v_lshlrev_b64 v[190:191], 4, v[29:30]
	s_clause 0x1
	global_load_dwordx4 v[9:12], v[39:40], off
	global_load_dwordx4 v[29:32], v[41:42], off
	s_waitcnt vmcnt(22)
	buffer_store_dword v48, off, s[0:3], 0 offset:380
	buffer_store_dword v47, off, s[0:3], 0 offset:376
	buffer_store_dword v46, off, s[0:3], 0 offset:372
	buffer_store_dword v45, off, s[0:3], 0 offset:368
	s_waitcnt vmcnt(21)
	buffer_store_dword v68, off, s[0:3], 0 offset:396
	buffer_store_dword v67, off, s[0:3], 0 offset:392
	buffer_store_dword v66, off, s[0:3], 0 offset:388
	buffer_store_dword v65, off, s[0:3], 0 offset:384
	;; [unrolled: 5-line block ×6, first 2 shown]
	s_waitcnt vmcnt(16)
	buffer_store_dword v28, off, s[0:3], 0 offset:476
	v_add_nc_u32_e32 v47, s15, v43
	v_ashrrev_i32_e32 v44, 31, v43
	v_add_nc_u32_e32 v49, s15, v47
	v_ashrrev_i32_e32 v48, 31, v47
	v_lshlrev_b64 v[45:46], 4, v[43:44]
	v_add_co_u32 v43, vcc_lo, s4, v190
	v_add_nc_u32_e32 v51, s15, v49
	v_ashrrev_i32_e32 v50, 31, v49
	v_lshlrev_b64 v[47:48], 4, v[47:48]
	v_add_co_ci_u32_e64 v44, null, s5, v191, vcc_lo
	v_ashrrev_i32_e32 v52, 31, v51
	v_lshlrev_b64 v[49:50], 4, v[49:50]
	v_add_co_u32 v45, vcc_lo, s4, v45
	v_add_co_ci_u32_e64 v46, null, s5, v46, vcc_lo
	v_lshlrev_b64 v[174:175], 4, v[51:52]
	v_add_co_u32 v47, vcc_lo, s4, v47
	v_add_co_ci_u32_e64 v48, null, s5, v48, vcc_lo
	v_add_co_u32 v51, vcc_lo, s4, v49
	v_add_co_ci_u32_e64 v52, null, s5, v50, vcc_lo
	;; [unrolled: 2-line block ×3, first 2 shown]
	s_clause 0x3
	global_load_dwordx4 v[65:68], v[43:44], off
	global_load_dwordx4 v[166:169], v[45:46], off
	;; [unrolled: 1-line block ×4, first 2 shown]
	buffer_store_dword v27, off, s[0:3], 0 offset:472
	buffer_store_dword v26, off, s[0:3], 0 offset:468
	;; [unrolled: 1-line block ×3, first 2 shown]
	global_load_dwordx4 v[25:28], v[49:50], off
	s_movk_i32 s4, 0x50
	s_movk_i32 s5, 0x70
	s_add_i32 s57, s4, 16
	s_movk_i32 s4, 0x60
	s_add_i32 s55, s5, 16
	s_add_i32 s56, s4, 16
	s_movk_i32 s4, 0x80
	s_movk_i32 s5, 0x90
	s_add_i32 s54, s4, 16
	s_add_i32 s53, s5, 16
	s_movk_i32 s4, 0xa0
	s_movk_i32 s5, 0xb0
	s_add_i32 s52, s4, 16
	s_add_i32 s51, s5, 16
	s_movk_i32 s4, 0xc0
	s_movk_i32 s5, 0xd0
	s_add_i32 s50, s4, 16
	s_add_i32 s49, s5, 16
	s_movk_i32 s4, 0xe0
	s_movk_i32 s5, 0xf0
	s_add_i32 s48, s4, 16
	s_add_i32 s47, s5, 16
	s_movk_i32 s4, 0x100
	s_movk_i32 s5, 0x110
	s_add_i32 s46, s4, 16
	s_add_i32 s45, s5, 16
	s_movk_i32 s4, 0x120
	s_movk_i32 s5, 0x130
	s_add_i32 s44, s4, 16
	s_add_i32 s43, s5, 16
	s_movk_i32 s4, 0x140
	s_movk_i32 s5, 0x150
	s_add_i32 s42, s4, 16
	s_add_i32 s33, s5, 16
	s_movk_i32 s4, 0x160
	s_movk_i32 s5, 0x170
	s_add_i32 s36, s4, 16
	s_add_i32 s37, s5, 16
	s_movk_i32 s4, 0x180
	s_movk_i32 s5, 0x190
	s_add_i32 s39, s4, 16
	s_add_i32 s40, s5, 16
	s_movk_i32 s4, 0x1a0
	s_movk_i32 s5, 0x1b0
	s_add_i32 s41, s4, 16
	s_add_i32 s27, s5, 16
	s_movk_i32 s4, 0x1c0
	s_movk_i32 s5, 0x1d0
	s_add_i32 s30, s4, 16
	s_add_i32 s31, s5, 16
	s_movk_i32 s4, 0x1e0
	s_movk_i32 s5, 0x1f0
	s_add_i32 s35, s4, 16
	s_add_i32 s34, s5, 16
	s_movk_i32 s4, 0x200
	s_movk_i32 s5, 0x210
	s_add_i32 s38, s4, 16
	s_add_i32 s19, s5, 16
	s_movk_i32 s4, 0x220
	s_movk_i32 s5, 0x230
	s_add_i32 s24, s4, 16
	s_add_i32 s25, s5, 16
	s_movk_i32 s4, 0x240
	s_movk_i32 s5, 0x250
	s_add_i32 s28, s4, 16
	s_add_i32 s26, s5, 16
	s_movk_i32 s4, 0x260
	s_movk_i32 s5, 0x270
	s_add_i32 s29, s4, 16
	s_add_i32 s14, s5, 16
	s_movk_i32 s4, 0x280
	s_movk_i32 s5, 0x290
	s_add_i32 s16, s4, 16
	s_add_i32 s17, s5, 16
	s_movk_i32 s4, 0x2a0
	s_movk_i32 s5, 0x2b0
	s_add_i32 s22, s4, 16
	s_add_i32 s18, s5, 16
	s_movk_i32 s4, 0x2c0
	s_movk_i32 s5, 0x2d0
	s_add_i32 s23, s4, 16
	s_add_i32 s9, s5, 16
	s_movk_i32 s4, 0x2e0
	s_movk_i32 s5, 0x2f0
	s_add_i32 s12, s4, 16
	s_add_i32 s13, s5, 16
	s_movk_i32 s4, 0x300
	s_movk_i32 s5, 0x310
	s_add_i32 s15, s4, 16
	s_add_i32 s8, s5, 16
	s_bitcmp0_b32 s63, 0
	s_mov_b32 s5, -1
	s_waitcnt vmcnt(20)
	buffer_store_dword v4, off, s[0:3], 0 offset:492
	buffer_store_dword v3, off, s[0:3], 0 offset:488
	buffer_store_dword v2, off, s[0:3], 0 offset:484
	buffer_store_dword v1, off, s[0:3], 0 offset:480
	s_waitcnt vmcnt(19)
	buffer_store_dword v185, off, s[0:3], 0 offset:508
	buffer_store_dword v184, off, s[0:3], 0 offset:504
	buffer_store_dword v183, off, s[0:3], 0 offset:500
	buffer_store_dword v182, off, s[0:3], 0 offset:496
	;; [unrolled: 5-line block ×21, first 2 shown]
	s_cbranch_scc1 .LBB49_212
; %bb.4:
	v_cmp_eq_u32_e64 s4, 0, v0
	s_and_saveexec_b32 s5, s4
; %bb.5:
	v_mov_b32_e32 v1, 0
	ds_write_b32 v1, v1 offset:1600
; %bb.6:
	s_or_b32 exec_lo, exec_lo, s5
	v_lshl_add_u32 v11, v0, 4, 16
	s_waitcnt lgkmcnt(0)
	s_waitcnt_vscnt null, 0x0
	s_barrier
	buffer_gl0_inv
	s_clause 0x3
	buffer_load_dword v1, v11, s[0:3], 0 offen
	buffer_load_dword v2, v11, s[0:3], 0 offen offset:4
	buffer_load_dword v3, v11, s[0:3], 0 offen offset:8
	;; [unrolled: 1-line block ×3, first 2 shown]
	s_waitcnt vmcnt(2)
	v_cmp_eq_f64_e32 vcc_lo, 0, v[1:2]
	s_waitcnt vmcnt(0)
	v_cmp_eq_f64_e64 s5, 0, v[3:4]
	s_and_b32 s5, vcc_lo, s5
	s_and_saveexec_b32 s63, s5
	s_cbranch_execz .LBB49_10
; %bb.7:
	v_mov_b32_e32 v1, 0
	s_mov_b32 s64, 0
	ds_read_b32 v2, v1 offset:1600
	s_waitcnt lgkmcnt(0)
	v_readfirstlane_b32 s5, v2
	v_add_nc_u32_e32 v2, 1, v0
	s_cmp_eq_u32 s5, 0
	v_cmp_gt_i32_e32 vcc_lo, s5, v2
	s_cselect_b32 s65, -1, 0
	s_or_b32 s65, s65, vcc_lo
	s_and_b32 exec_lo, exec_lo, s65
	s_cbranch_execz .LBB49_10
; %bb.8:
	v_mov_b32_e32 v3, s5
.LBB49_9:                               ; =>This Inner Loop Header: Depth=1
	ds_cmpst_rtn_b32 v3, v1, v3, v2 offset:1600
	s_waitcnt lgkmcnt(0)
	v_cmp_ne_u32_e32 vcc_lo, 0, v3
	v_cmp_le_i32_e64 s5, v3, v2
	s_and_b32 s5, vcc_lo, s5
	s_and_b32 s5, exec_lo, s5
	s_or_b32 s64, s5, s64
	s_andn2_b32 exec_lo, exec_lo, s64
	s_cbranch_execnz .LBB49_9
.LBB49_10:
	s_or_b32 exec_lo, exec_lo, s63
	v_mov_b32_e32 v1, 0
	s_barrier
	buffer_gl0_inv
	ds_read_b32 v2, v1 offset:1600
	s_and_saveexec_b32 s5, s4
	s_cbranch_execz .LBB49_12
; %bb.11:
	s_lshl_b64 s[64:65], s[6:7], 2
	s_add_u32 s64, s10, s64
	s_addc_u32 s65, s11, s65
	s_waitcnt lgkmcnt(0)
	global_store_dword v1, v2, s[64:65]
.LBB49_12:
	s_or_b32 exec_lo, exec_lo, s5
	s_waitcnt lgkmcnt(0)
	v_cmp_ne_u32_e32 vcc_lo, 0, v2
	s_mov_b32 s5, 0
	s_cbranch_vccnz .LBB49_212
; %bb.13:
	s_clause 0x3
	buffer_load_dword v7, v11, s[0:3], 0 offen
	buffer_load_dword v8, v11, s[0:3], 0 offen offset:4
	buffer_load_dword v9, v11, s[0:3], 0 offen offset:8
	;; [unrolled: 1-line block ×3, first 2 shown]
                                        ; implicit-def: $vgpr5_vgpr6
                                        ; implicit-def: $vgpr3_vgpr4
	s_waitcnt vmcnt(0)
	v_cmp_ngt_f64_e64 s5, |v[7:8]|, |v[9:10]|
	s_and_saveexec_b32 s63, s5
	s_xor_b32 s5, exec_lo, s63
	s_cbranch_execz .LBB49_15
; %bb.14:
	v_div_scale_f64 v[1:2], null, v[9:10], v[9:10], v[7:8]
	v_div_scale_f64 v[12:13], vcc_lo, v[7:8], v[9:10], v[7:8]
	v_rcp_f64_e32 v[3:4], v[1:2]
	v_fma_f64 v[5:6], -v[1:2], v[3:4], 1.0
	v_fma_f64 v[3:4], v[3:4], v[5:6], v[3:4]
	v_fma_f64 v[5:6], -v[1:2], v[3:4], 1.0
	v_fma_f64 v[3:4], v[3:4], v[5:6], v[3:4]
	v_mul_f64 v[5:6], v[12:13], v[3:4]
	v_fma_f64 v[1:2], -v[1:2], v[5:6], v[12:13]
	v_div_fmas_f64 v[1:2], v[1:2], v[3:4], v[5:6]
	v_div_fixup_f64 v[1:2], v[1:2], v[9:10], v[7:8]
	v_fma_f64 v[3:4], v[7:8], v[1:2], v[9:10]
	v_div_scale_f64 v[5:6], null, v[3:4], v[3:4], 1.0
	v_div_scale_f64 v[12:13], vcc_lo, 1.0, v[3:4], 1.0
	v_rcp_f64_e32 v[7:8], v[5:6]
	v_fma_f64 v[9:10], -v[5:6], v[7:8], 1.0
	v_fma_f64 v[7:8], v[7:8], v[9:10], v[7:8]
	v_fma_f64 v[9:10], -v[5:6], v[7:8], 1.0
	v_fma_f64 v[7:8], v[7:8], v[9:10], v[7:8]
	v_mul_f64 v[9:10], v[12:13], v[7:8]
	v_fma_f64 v[5:6], -v[5:6], v[9:10], v[12:13]
	v_div_fmas_f64 v[5:6], v[5:6], v[7:8], v[9:10]
                                        ; implicit-def: $vgpr7_vgpr8
                                        ; implicit-def: $vgpr9_vgpr10
	v_div_fixup_f64 v[3:4], v[5:6], v[3:4], 1.0
	v_mul_f64 v[5:6], v[1:2], v[3:4]
	v_xor_b32_e32 v4, 0x80000000, v4
	v_xor_b32_e32 v2, 0x80000000, v6
	v_mov_b32_e32 v1, v5
.LBB49_15:
	s_andn2_saveexec_b32 s5, s5
	s_cbranch_execz .LBB49_17
; %bb.16:
	v_div_scale_f64 v[1:2], null, v[7:8], v[7:8], v[9:10]
	v_div_scale_f64 v[12:13], vcc_lo, v[9:10], v[7:8], v[9:10]
	v_rcp_f64_e32 v[3:4], v[1:2]
	v_fma_f64 v[5:6], -v[1:2], v[3:4], 1.0
	v_fma_f64 v[3:4], v[3:4], v[5:6], v[3:4]
	v_fma_f64 v[5:6], -v[1:2], v[3:4], 1.0
	v_fma_f64 v[3:4], v[3:4], v[5:6], v[3:4]
	v_mul_f64 v[5:6], v[12:13], v[3:4]
	v_fma_f64 v[1:2], -v[1:2], v[5:6], v[12:13]
	v_div_fmas_f64 v[1:2], v[1:2], v[3:4], v[5:6]
	v_div_fixup_f64 v[1:2], v[1:2], v[7:8], v[9:10]
	v_fma_f64 v[3:4], v[9:10], v[1:2], v[7:8]
	v_div_scale_f64 v[5:6], null, v[3:4], v[3:4], 1.0
	v_rcp_f64_e32 v[7:8], v[5:6]
	v_fma_f64 v[9:10], -v[5:6], v[7:8], 1.0
	v_fma_f64 v[7:8], v[7:8], v[9:10], v[7:8]
	v_fma_f64 v[9:10], -v[5:6], v[7:8], 1.0
	v_fma_f64 v[7:8], v[7:8], v[9:10], v[7:8]
	v_div_scale_f64 v[9:10], vcc_lo, 1.0, v[3:4], 1.0
	v_mul_f64 v[12:13], v[9:10], v[7:8]
	v_fma_f64 v[5:6], -v[5:6], v[12:13], v[9:10]
	v_div_fmas_f64 v[5:6], v[5:6], v[7:8], v[12:13]
	v_div_fixup_f64 v[5:6], v[5:6], v[3:4], 1.0
	v_mul_f64 v[3:4], v[1:2], -v[5:6]
	v_xor_b32_e32 v2, 0x80000000, v6
	v_mov_b32_e32 v1, v5
.LBB49_17:
	s_or_b32 exec_lo, exec_lo, s5
	v_mov_b32_e32 v10, s61
	buffer_store_dword v6, v11, s[0:3], 0 offen offset:4
	buffer_store_dword v5, v11, s[0:3], 0 offen
	buffer_store_dword v4, v11, s[0:3], 0 offen offset:12
	buffer_store_dword v3, v11, s[0:3], 0 offen offset:8
	v_xor_b32_e32 v4, 0x80000000, v4
	v_add_nc_u32_e32 v5, 0x320, v145
	s_clause 0x3
	buffer_load_dword v9, v10, s[0:3], 0 offen offset:12
	buffer_load_dword v8, v10, s[0:3], 0 offen offset:8
	;; [unrolled: 1-line block ×3, first 2 shown]
	buffer_load_dword v6, v10, s[0:3], 0 offen
	ds_write_b128 v145, v[1:4]
	s_waitcnt vmcnt(0)
	ds_write_b128 v145, v[6:9] offset:800
	s_waitcnt lgkmcnt(0)
	s_waitcnt_vscnt null, 0x0
	s_barrier
	buffer_gl0_inv
	s_and_saveexec_b32 s5, s4
	s_cbranch_execz .LBB49_19
; %bb.18:
	s_clause 0x3
	buffer_load_dword v12, v11, s[0:3], 0 offen offset:8
	buffer_load_dword v13, v11, s[0:3], 0 offen offset:12
	buffer_load_dword v14, v11, s[0:3], 0 offen
	buffer_load_dword v15, v11, s[0:3], 0 offen offset:4
	ds_read_b128 v[1:4], v5
	v_mov_b32_e32 v6, 0
	ds_read_b128 v[6:9], v6 offset:16
	s_waitcnt vmcnt(2) lgkmcnt(1)
	v_mul_f64 v[16:17], v[1:2], v[12:13]
	v_mul_f64 v[12:13], v[3:4], v[12:13]
	s_waitcnt vmcnt(0)
	v_fma_f64 v[3:4], v[3:4], v[14:15], v[16:17]
	v_fma_f64 v[1:2], v[1:2], v[14:15], -v[12:13]
	v_add_f64 v[3:4], v[3:4], 0
	v_add_f64 v[1:2], v[1:2], 0
	s_waitcnt lgkmcnt(0)
	v_mul_f64 v[12:13], v[3:4], v[8:9]
	v_mul_f64 v[8:9], v[1:2], v[8:9]
	v_fma_f64 v[1:2], v[1:2], v[6:7], -v[12:13]
	v_fma_f64 v[3:4], v[3:4], v[6:7], v[8:9]
	buffer_store_dword v1, off, s[0:3], 0 offset:32
	buffer_store_dword v2, off, s[0:3], 0 offset:36
	;; [unrolled: 1-line block ×4, first 2 shown]
.LBB49_19:
	s_or_b32 exec_lo, exec_lo, s5
	v_mov_b32_e32 v4, s60
	s_waitcnt_vscnt null, 0x0
	s_barrier
	buffer_gl0_inv
	s_mov_b32 s5, exec_lo
	s_clause 0x3
	buffer_load_dword v1, v4, s[0:3], 0 offen
	buffer_load_dword v2, v4, s[0:3], 0 offen offset:4
	buffer_load_dword v3, v4, s[0:3], 0 offen offset:8
	;; [unrolled: 1-line block ×3, first 2 shown]
	s_waitcnt vmcnt(0)
	ds_write_b128 v5, v[1:4]
	s_waitcnt lgkmcnt(0)
	s_barrier
	buffer_gl0_inv
	v_cmpx_gt_u32_e32 2, v0
	s_cbranch_execz .LBB49_23
; %bb.20:
	s_clause 0x3
	buffer_load_dword v6, v11, s[0:3], 0 offen offset:8
	buffer_load_dword v7, v11, s[0:3], 0 offen offset:12
	buffer_load_dword v8, v11, s[0:3], 0 offen
	buffer_load_dword v9, v11, s[0:3], 0 offen offset:4
	ds_read_b128 v[1:4], v5
	s_waitcnt vmcnt(2) lgkmcnt(0)
	v_mul_f64 v[10:11], v[3:4], v[6:7]
	v_mul_f64 v[6:7], v[1:2], v[6:7]
	s_waitcnt vmcnt(0)
	v_fma_f64 v[1:2], v[1:2], v[8:9], -v[10:11]
	v_fma_f64 v[3:4], v[3:4], v[8:9], v[6:7]
	v_add_f64 v[1:2], v[1:2], 0
	v_add_f64 v[3:4], v[3:4], 0
	s_and_saveexec_b32 s63, s4
	s_cbranch_execz .LBB49_22
; %bb.21:
	s_clause 0x3
	buffer_load_dword v10, off, s[0:3], 0 offset:40
	buffer_load_dword v11, off, s[0:3], 0 offset:44
	;; [unrolled: 1-line block ×4, first 2 shown]
	v_mov_b32_e32 v6, 0
	ds_read_b128 v[6:9], v6 offset:816
	s_waitcnt vmcnt(2) lgkmcnt(0)
	v_mul_f64 v[14:15], v[6:7], v[10:11]
	v_mul_f64 v[10:11], v[8:9], v[10:11]
	s_waitcnt vmcnt(0)
	v_fma_f64 v[8:9], v[8:9], v[12:13], v[14:15]
	v_fma_f64 v[6:7], v[6:7], v[12:13], -v[10:11]
	v_add_f64 v[3:4], v[3:4], v[8:9]
	v_add_f64 v[1:2], v[1:2], v[6:7]
.LBB49_22:
	s_or_b32 exec_lo, exec_lo, s63
	v_mov_b32_e32 v6, 0
	ds_read_b128 v[6:9], v6 offset:32
	s_waitcnt lgkmcnt(0)
	v_mul_f64 v[10:11], v[3:4], v[8:9]
	v_mul_f64 v[8:9], v[1:2], v[8:9]
	v_fma_f64 v[1:2], v[1:2], v[6:7], -v[10:11]
	v_fma_f64 v[3:4], v[3:4], v[6:7], v[8:9]
	buffer_store_dword v2, off, s[0:3], 0 offset:52
	buffer_store_dword v1, off, s[0:3], 0 offset:48
	;; [unrolled: 1-line block ×4, first 2 shown]
.LBB49_23:
	s_or_b32 exec_lo, exec_lo, s5
	v_mov_b32_e32 v4, s59
	s_waitcnt_vscnt null, 0x0
	s_barrier
	buffer_gl0_inv
	v_add_nc_u32_e32 v6, -1, v0
	s_clause 0x3
	buffer_load_dword v1, v4, s[0:3], 0 offen
	buffer_load_dword v2, v4, s[0:3], 0 offen offset:4
	buffer_load_dword v3, v4, s[0:3], 0 offen offset:8
	;; [unrolled: 1-line block ×3, first 2 shown]
	s_mov_b32 s4, exec_lo
	s_waitcnt vmcnt(0)
	ds_write_b128 v5, v[1:4]
	s_waitcnt lgkmcnt(0)
	s_barrier
	buffer_gl0_inv
	v_cmpx_gt_u32_e32 3, v0
	s_cbranch_execz .LBB49_27
; %bb.24:
	v_mov_b32_e32 v1, 0
	v_mov_b32_e32 v3, 0
	v_add_nc_u32_e32 v7, -1, v0
	v_add_nc_u32_e32 v8, 0x320, v145
	v_mov_b32_e32 v2, 0
	v_mov_b32_e32 v4, 0
	v_add_nc_u32_e32 v9, 16, v145
	s_mov_b32 s5, 0
	.p2align	6
.LBB49_25:                              ; =>This Inner Loop Header: Depth=1
	s_clause 0x3
	buffer_load_dword v14, v9, s[0:3], 0 offen offset:8
	buffer_load_dword v15, v9, s[0:3], 0 offen offset:12
	buffer_load_dword v16, v9, s[0:3], 0 offen
	buffer_load_dword v17, v9, s[0:3], 0 offen offset:4
	ds_read_b128 v[10:13], v8
	v_add_nc_u32_e32 v7, 1, v7
	v_add_nc_u32_e32 v8, 16, v8
	;; [unrolled: 1-line block ×3, first 2 shown]
	v_cmp_lt_u32_e32 vcc_lo, 1, v7
	s_or_b32 s5, vcc_lo, s5
	s_waitcnt vmcnt(2) lgkmcnt(0)
	v_mul_f64 v[18:19], v[12:13], v[14:15]
	v_mul_f64 v[14:15], v[10:11], v[14:15]
	s_waitcnt vmcnt(0)
	v_fma_f64 v[10:11], v[10:11], v[16:17], -v[18:19]
	v_fma_f64 v[12:13], v[12:13], v[16:17], v[14:15]
	v_add_f64 v[3:4], v[3:4], v[10:11]
	v_add_f64 v[1:2], v[1:2], v[12:13]
	s_andn2_b32 exec_lo, exec_lo, s5
	s_cbranch_execnz .LBB49_25
; %bb.26:
	s_or_b32 exec_lo, exec_lo, s5
	v_mov_b32_e32 v7, 0
	ds_read_b128 v[7:10], v7 offset:48
	s_waitcnt lgkmcnt(0)
	v_mul_f64 v[11:12], v[1:2], v[9:10]
	v_mul_f64 v[9:10], v[3:4], v[9:10]
	v_fma_f64 v[3:4], v[3:4], v[7:8], -v[11:12]
	v_fma_f64 v[1:2], v[1:2], v[7:8], v[9:10]
	buffer_store_dword v4, off, s[0:3], 0 offset:68
	buffer_store_dword v3, off, s[0:3], 0 offset:64
	;; [unrolled: 1-line block ×4, first 2 shown]
.LBB49_27:
	s_or_b32 exec_lo, exec_lo, s4
	v_mov_b32_e32 v4, s58
	s_waitcnt_vscnt null, 0x0
	s_barrier
	buffer_gl0_inv
	s_mov_b32 s4, exec_lo
	s_clause 0x3
	buffer_load_dword v1, v4, s[0:3], 0 offen
	buffer_load_dword v2, v4, s[0:3], 0 offen offset:4
	buffer_load_dword v3, v4, s[0:3], 0 offen offset:8
	;; [unrolled: 1-line block ×3, first 2 shown]
	s_waitcnt vmcnt(0)
	ds_write_b128 v5, v[1:4]
	s_waitcnt lgkmcnt(0)
	s_barrier
	buffer_gl0_inv
	v_cmpx_gt_u32_e32 4, v0
	s_cbranch_execz .LBB49_31
; %bb.28:
	v_mov_b32_e32 v1, 0
	v_mov_b32_e32 v3, 0
	v_add_nc_u32_e32 v7, -1, v0
	v_add_nc_u32_e32 v8, 0x320, v145
	v_mov_b32_e32 v2, 0
	v_mov_b32_e32 v4, 0
	v_add_nc_u32_e32 v9, 16, v145
	s_mov_b32 s5, 0
	.p2align	6
.LBB49_29:                              ; =>This Inner Loop Header: Depth=1
	s_clause 0x3
	buffer_load_dword v14, v9, s[0:3], 0 offen offset:8
	buffer_load_dword v15, v9, s[0:3], 0 offen offset:12
	buffer_load_dword v16, v9, s[0:3], 0 offen
	buffer_load_dword v17, v9, s[0:3], 0 offen offset:4
	ds_read_b128 v[10:13], v8
	v_add_nc_u32_e32 v7, 1, v7
	v_add_nc_u32_e32 v8, 16, v8
	;; [unrolled: 1-line block ×3, first 2 shown]
	v_cmp_lt_u32_e32 vcc_lo, 2, v7
	s_or_b32 s5, vcc_lo, s5
	s_waitcnt vmcnt(2) lgkmcnt(0)
	v_mul_f64 v[18:19], v[12:13], v[14:15]
	v_mul_f64 v[14:15], v[10:11], v[14:15]
	s_waitcnt vmcnt(0)
	v_fma_f64 v[10:11], v[10:11], v[16:17], -v[18:19]
	v_fma_f64 v[12:13], v[12:13], v[16:17], v[14:15]
	v_add_f64 v[3:4], v[3:4], v[10:11]
	v_add_f64 v[1:2], v[1:2], v[12:13]
	s_andn2_b32 exec_lo, exec_lo, s5
	s_cbranch_execnz .LBB49_29
; %bb.30:
	s_or_b32 exec_lo, exec_lo, s5
	v_mov_b32_e32 v7, 0
	ds_read_b128 v[7:10], v7 offset:64
	s_waitcnt lgkmcnt(0)
	v_mul_f64 v[11:12], v[1:2], v[9:10]
	v_mul_f64 v[9:10], v[3:4], v[9:10]
	v_fma_f64 v[3:4], v[3:4], v[7:8], -v[11:12]
	v_fma_f64 v[1:2], v[1:2], v[7:8], v[9:10]
	buffer_store_dword v4, off, s[0:3], 0 offset:84
	buffer_store_dword v3, off, s[0:3], 0 offset:80
	;; [unrolled: 1-line block ×4, first 2 shown]
.LBB49_31:
	s_or_b32 exec_lo, exec_lo, s4
	v_mov_b32_e32 v4, s57
	s_waitcnt_vscnt null, 0x0
	s_barrier
	buffer_gl0_inv
	s_mov_b32 s4, exec_lo
	s_clause 0x3
	buffer_load_dword v1, v4, s[0:3], 0 offen
	buffer_load_dword v2, v4, s[0:3], 0 offen offset:4
	buffer_load_dword v3, v4, s[0:3], 0 offen offset:8
	;; [unrolled: 1-line block ×3, first 2 shown]
	s_waitcnt vmcnt(0)
	ds_write_b128 v5, v[1:4]
	s_waitcnt lgkmcnt(0)
	s_barrier
	buffer_gl0_inv
	v_cmpx_gt_u32_e32 5, v0
	s_cbranch_execz .LBB49_35
; %bb.32:
	v_mov_b32_e32 v1, 0
	v_mov_b32_e32 v3, 0
	v_add_nc_u32_e32 v7, -1, v0
	v_add_nc_u32_e32 v8, 0x320, v145
	v_mov_b32_e32 v2, 0
	v_mov_b32_e32 v4, 0
	v_add_nc_u32_e32 v9, 16, v145
	s_mov_b32 s5, 0
	.p2align	6
.LBB49_33:                              ; =>This Inner Loop Header: Depth=1
	s_clause 0x3
	buffer_load_dword v14, v9, s[0:3], 0 offen offset:8
	buffer_load_dword v15, v9, s[0:3], 0 offen offset:12
	buffer_load_dword v16, v9, s[0:3], 0 offen
	buffer_load_dword v17, v9, s[0:3], 0 offen offset:4
	ds_read_b128 v[10:13], v8
	v_add_nc_u32_e32 v7, 1, v7
	v_add_nc_u32_e32 v8, 16, v8
	v_add_nc_u32_e32 v9, 16, v9
	v_cmp_lt_u32_e32 vcc_lo, 3, v7
	s_or_b32 s5, vcc_lo, s5
	s_waitcnt vmcnt(2) lgkmcnt(0)
	v_mul_f64 v[18:19], v[12:13], v[14:15]
	v_mul_f64 v[14:15], v[10:11], v[14:15]
	s_waitcnt vmcnt(0)
	v_fma_f64 v[10:11], v[10:11], v[16:17], -v[18:19]
	v_fma_f64 v[12:13], v[12:13], v[16:17], v[14:15]
	v_add_f64 v[3:4], v[3:4], v[10:11]
	v_add_f64 v[1:2], v[1:2], v[12:13]
	s_andn2_b32 exec_lo, exec_lo, s5
	s_cbranch_execnz .LBB49_33
; %bb.34:
	s_or_b32 exec_lo, exec_lo, s5
	v_mov_b32_e32 v7, 0
	ds_read_b128 v[7:10], v7 offset:80
	s_waitcnt lgkmcnt(0)
	v_mul_f64 v[11:12], v[1:2], v[9:10]
	v_mul_f64 v[9:10], v[3:4], v[9:10]
	v_fma_f64 v[3:4], v[3:4], v[7:8], -v[11:12]
	v_fma_f64 v[1:2], v[1:2], v[7:8], v[9:10]
	buffer_store_dword v4, off, s[0:3], 0 offset:100
	buffer_store_dword v3, off, s[0:3], 0 offset:96
	;; [unrolled: 1-line block ×4, first 2 shown]
.LBB49_35:
	s_or_b32 exec_lo, exec_lo, s4
	v_mov_b32_e32 v4, s56
	s_waitcnt_vscnt null, 0x0
	s_barrier
	buffer_gl0_inv
	s_mov_b32 s4, exec_lo
	s_clause 0x3
	buffer_load_dword v1, v4, s[0:3], 0 offen
	buffer_load_dword v2, v4, s[0:3], 0 offen offset:4
	buffer_load_dword v3, v4, s[0:3], 0 offen offset:8
	;; [unrolled: 1-line block ×3, first 2 shown]
	s_waitcnt vmcnt(0)
	ds_write_b128 v5, v[1:4]
	s_waitcnt lgkmcnt(0)
	s_barrier
	buffer_gl0_inv
	v_cmpx_gt_u32_e32 6, v0
	s_cbranch_execz .LBB49_39
; %bb.36:
	v_mov_b32_e32 v1, 0
	v_mov_b32_e32 v3, 0
	v_add_nc_u32_e32 v7, -1, v0
	v_add_nc_u32_e32 v8, 0x320, v145
	v_mov_b32_e32 v2, 0
	v_mov_b32_e32 v4, 0
	v_add_nc_u32_e32 v9, 16, v145
	s_mov_b32 s5, 0
	.p2align	6
.LBB49_37:                              ; =>This Inner Loop Header: Depth=1
	s_clause 0x3
	buffer_load_dword v14, v9, s[0:3], 0 offen offset:8
	buffer_load_dword v15, v9, s[0:3], 0 offen offset:12
	buffer_load_dword v16, v9, s[0:3], 0 offen
	buffer_load_dword v17, v9, s[0:3], 0 offen offset:4
	ds_read_b128 v[10:13], v8
	v_add_nc_u32_e32 v7, 1, v7
	v_add_nc_u32_e32 v8, 16, v8
	;; [unrolled: 1-line block ×3, first 2 shown]
	v_cmp_lt_u32_e32 vcc_lo, 4, v7
	s_or_b32 s5, vcc_lo, s5
	s_waitcnt vmcnt(2) lgkmcnt(0)
	v_mul_f64 v[18:19], v[12:13], v[14:15]
	v_mul_f64 v[14:15], v[10:11], v[14:15]
	s_waitcnt vmcnt(0)
	v_fma_f64 v[10:11], v[10:11], v[16:17], -v[18:19]
	v_fma_f64 v[12:13], v[12:13], v[16:17], v[14:15]
	v_add_f64 v[3:4], v[3:4], v[10:11]
	v_add_f64 v[1:2], v[1:2], v[12:13]
	s_andn2_b32 exec_lo, exec_lo, s5
	s_cbranch_execnz .LBB49_37
; %bb.38:
	s_or_b32 exec_lo, exec_lo, s5
	v_mov_b32_e32 v7, 0
	ds_read_b128 v[7:10], v7 offset:96
	s_waitcnt lgkmcnt(0)
	v_mul_f64 v[11:12], v[1:2], v[9:10]
	v_mul_f64 v[9:10], v[3:4], v[9:10]
	v_fma_f64 v[3:4], v[3:4], v[7:8], -v[11:12]
	v_fma_f64 v[1:2], v[1:2], v[7:8], v[9:10]
	buffer_store_dword v4, off, s[0:3], 0 offset:116
	buffer_store_dword v3, off, s[0:3], 0 offset:112
	;; [unrolled: 1-line block ×4, first 2 shown]
.LBB49_39:
	s_or_b32 exec_lo, exec_lo, s4
	v_mov_b32_e32 v4, s55
	s_waitcnt_vscnt null, 0x0
	s_barrier
	buffer_gl0_inv
	s_mov_b32 s4, exec_lo
	s_clause 0x3
	buffer_load_dword v1, v4, s[0:3], 0 offen
	buffer_load_dword v2, v4, s[0:3], 0 offen offset:4
	buffer_load_dword v3, v4, s[0:3], 0 offen offset:8
	;; [unrolled: 1-line block ×3, first 2 shown]
	s_waitcnt vmcnt(0)
	ds_write_b128 v5, v[1:4]
	s_waitcnt lgkmcnt(0)
	s_barrier
	buffer_gl0_inv
	v_cmpx_gt_u32_e32 7, v0
	s_cbranch_execz .LBB49_43
; %bb.40:
	v_mov_b32_e32 v1, 0
	v_mov_b32_e32 v3, 0
	v_add_nc_u32_e32 v7, -1, v0
	v_add_nc_u32_e32 v8, 0x320, v145
	v_mov_b32_e32 v2, 0
	v_mov_b32_e32 v4, 0
	v_add_nc_u32_e32 v9, 16, v145
	s_mov_b32 s5, 0
	.p2align	6
.LBB49_41:                              ; =>This Inner Loop Header: Depth=1
	s_clause 0x3
	buffer_load_dword v14, v9, s[0:3], 0 offen offset:8
	buffer_load_dword v15, v9, s[0:3], 0 offen offset:12
	buffer_load_dword v16, v9, s[0:3], 0 offen
	buffer_load_dword v17, v9, s[0:3], 0 offen offset:4
	ds_read_b128 v[10:13], v8
	v_add_nc_u32_e32 v7, 1, v7
	v_add_nc_u32_e32 v8, 16, v8
	;; [unrolled: 1-line block ×3, first 2 shown]
	v_cmp_lt_u32_e32 vcc_lo, 5, v7
	s_or_b32 s5, vcc_lo, s5
	s_waitcnt vmcnt(2) lgkmcnt(0)
	v_mul_f64 v[18:19], v[12:13], v[14:15]
	v_mul_f64 v[14:15], v[10:11], v[14:15]
	s_waitcnt vmcnt(0)
	v_fma_f64 v[10:11], v[10:11], v[16:17], -v[18:19]
	v_fma_f64 v[12:13], v[12:13], v[16:17], v[14:15]
	v_add_f64 v[3:4], v[3:4], v[10:11]
	v_add_f64 v[1:2], v[1:2], v[12:13]
	s_andn2_b32 exec_lo, exec_lo, s5
	s_cbranch_execnz .LBB49_41
; %bb.42:
	s_or_b32 exec_lo, exec_lo, s5
	v_mov_b32_e32 v7, 0
	ds_read_b128 v[7:10], v7 offset:112
	s_waitcnt lgkmcnt(0)
	v_mul_f64 v[11:12], v[1:2], v[9:10]
	v_mul_f64 v[9:10], v[3:4], v[9:10]
	v_fma_f64 v[3:4], v[3:4], v[7:8], -v[11:12]
	v_fma_f64 v[1:2], v[1:2], v[7:8], v[9:10]
	buffer_store_dword v4, off, s[0:3], 0 offset:132
	buffer_store_dword v3, off, s[0:3], 0 offset:128
	buffer_store_dword v2, off, s[0:3], 0 offset:140
	buffer_store_dword v1, off, s[0:3], 0 offset:136
.LBB49_43:
	s_or_b32 exec_lo, exec_lo, s4
	v_mov_b32_e32 v4, s54
	s_waitcnt_vscnt null, 0x0
	s_barrier
	buffer_gl0_inv
	s_mov_b32 s4, exec_lo
	s_clause 0x3
	buffer_load_dword v1, v4, s[0:3], 0 offen
	buffer_load_dword v2, v4, s[0:3], 0 offen offset:4
	buffer_load_dword v3, v4, s[0:3], 0 offen offset:8
	;; [unrolled: 1-line block ×3, first 2 shown]
	s_waitcnt vmcnt(0)
	ds_write_b128 v5, v[1:4]
	s_waitcnt lgkmcnt(0)
	s_barrier
	buffer_gl0_inv
	v_cmpx_gt_u32_e32 8, v0
	s_cbranch_execz .LBB49_47
; %bb.44:
	v_mov_b32_e32 v1, 0
	v_mov_b32_e32 v3, 0
	v_add_nc_u32_e32 v7, -1, v0
	v_add_nc_u32_e32 v8, 0x320, v145
	v_mov_b32_e32 v2, 0
	v_mov_b32_e32 v4, 0
	v_add_nc_u32_e32 v9, 16, v145
	s_mov_b32 s5, 0
	.p2align	6
.LBB49_45:                              ; =>This Inner Loop Header: Depth=1
	s_clause 0x3
	buffer_load_dword v14, v9, s[0:3], 0 offen offset:8
	buffer_load_dword v15, v9, s[0:3], 0 offen offset:12
	buffer_load_dword v16, v9, s[0:3], 0 offen
	buffer_load_dword v17, v9, s[0:3], 0 offen offset:4
	ds_read_b128 v[10:13], v8
	v_add_nc_u32_e32 v7, 1, v7
	v_add_nc_u32_e32 v8, 16, v8
	;; [unrolled: 1-line block ×3, first 2 shown]
	v_cmp_lt_u32_e32 vcc_lo, 6, v7
	s_or_b32 s5, vcc_lo, s5
	s_waitcnt vmcnt(2) lgkmcnt(0)
	v_mul_f64 v[18:19], v[12:13], v[14:15]
	v_mul_f64 v[14:15], v[10:11], v[14:15]
	s_waitcnt vmcnt(0)
	v_fma_f64 v[10:11], v[10:11], v[16:17], -v[18:19]
	v_fma_f64 v[12:13], v[12:13], v[16:17], v[14:15]
	v_add_f64 v[3:4], v[3:4], v[10:11]
	v_add_f64 v[1:2], v[1:2], v[12:13]
	s_andn2_b32 exec_lo, exec_lo, s5
	s_cbranch_execnz .LBB49_45
; %bb.46:
	s_or_b32 exec_lo, exec_lo, s5
	v_mov_b32_e32 v7, 0
	ds_read_b128 v[7:10], v7 offset:128
	s_waitcnt lgkmcnt(0)
	v_mul_f64 v[11:12], v[1:2], v[9:10]
	v_mul_f64 v[9:10], v[3:4], v[9:10]
	v_fma_f64 v[3:4], v[3:4], v[7:8], -v[11:12]
	v_fma_f64 v[1:2], v[1:2], v[7:8], v[9:10]
	buffer_store_dword v4, off, s[0:3], 0 offset:148
	buffer_store_dword v3, off, s[0:3], 0 offset:144
	;; [unrolled: 1-line block ×4, first 2 shown]
.LBB49_47:
	s_or_b32 exec_lo, exec_lo, s4
	v_mov_b32_e32 v4, s53
	s_waitcnt_vscnt null, 0x0
	s_barrier
	buffer_gl0_inv
	s_mov_b32 s4, exec_lo
	s_clause 0x3
	buffer_load_dword v1, v4, s[0:3], 0 offen
	buffer_load_dword v2, v4, s[0:3], 0 offen offset:4
	buffer_load_dword v3, v4, s[0:3], 0 offen offset:8
	;; [unrolled: 1-line block ×3, first 2 shown]
	s_waitcnt vmcnt(0)
	ds_write_b128 v5, v[1:4]
	s_waitcnt lgkmcnt(0)
	s_barrier
	buffer_gl0_inv
	v_cmpx_gt_u32_e32 9, v0
	s_cbranch_execz .LBB49_51
; %bb.48:
	v_mov_b32_e32 v1, 0
	v_mov_b32_e32 v3, 0
	v_add_nc_u32_e32 v7, -1, v0
	v_add_nc_u32_e32 v8, 0x320, v145
	v_mov_b32_e32 v2, 0
	v_mov_b32_e32 v4, 0
	v_add_nc_u32_e32 v9, 16, v145
	s_mov_b32 s5, 0
	.p2align	6
.LBB49_49:                              ; =>This Inner Loop Header: Depth=1
	s_clause 0x3
	buffer_load_dword v14, v9, s[0:3], 0 offen offset:8
	buffer_load_dword v15, v9, s[0:3], 0 offen offset:12
	buffer_load_dword v16, v9, s[0:3], 0 offen
	buffer_load_dword v17, v9, s[0:3], 0 offen offset:4
	ds_read_b128 v[10:13], v8
	v_add_nc_u32_e32 v7, 1, v7
	v_add_nc_u32_e32 v8, 16, v8
	;; [unrolled: 1-line block ×3, first 2 shown]
	v_cmp_lt_u32_e32 vcc_lo, 7, v7
	s_or_b32 s5, vcc_lo, s5
	s_waitcnt vmcnt(2) lgkmcnt(0)
	v_mul_f64 v[18:19], v[12:13], v[14:15]
	v_mul_f64 v[14:15], v[10:11], v[14:15]
	s_waitcnt vmcnt(0)
	v_fma_f64 v[10:11], v[10:11], v[16:17], -v[18:19]
	v_fma_f64 v[12:13], v[12:13], v[16:17], v[14:15]
	v_add_f64 v[3:4], v[3:4], v[10:11]
	v_add_f64 v[1:2], v[1:2], v[12:13]
	s_andn2_b32 exec_lo, exec_lo, s5
	s_cbranch_execnz .LBB49_49
; %bb.50:
	s_or_b32 exec_lo, exec_lo, s5
	v_mov_b32_e32 v7, 0
	ds_read_b128 v[7:10], v7 offset:144
	s_waitcnt lgkmcnt(0)
	v_mul_f64 v[11:12], v[1:2], v[9:10]
	v_mul_f64 v[9:10], v[3:4], v[9:10]
	v_fma_f64 v[3:4], v[3:4], v[7:8], -v[11:12]
	v_fma_f64 v[1:2], v[1:2], v[7:8], v[9:10]
	buffer_store_dword v4, off, s[0:3], 0 offset:164
	buffer_store_dword v3, off, s[0:3], 0 offset:160
	;; [unrolled: 1-line block ×4, first 2 shown]
.LBB49_51:
	s_or_b32 exec_lo, exec_lo, s4
	v_mov_b32_e32 v4, s52
	s_waitcnt_vscnt null, 0x0
	s_barrier
	buffer_gl0_inv
	s_mov_b32 s4, exec_lo
	s_clause 0x3
	buffer_load_dword v1, v4, s[0:3], 0 offen
	buffer_load_dword v2, v4, s[0:3], 0 offen offset:4
	buffer_load_dword v3, v4, s[0:3], 0 offen offset:8
	;; [unrolled: 1-line block ×3, first 2 shown]
	s_waitcnt vmcnt(0)
	ds_write_b128 v5, v[1:4]
	s_waitcnt lgkmcnt(0)
	s_barrier
	buffer_gl0_inv
	v_cmpx_gt_u32_e32 10, v0
	s_cbranch_execz .LBB49_55
; %bb.52:
	v_mov_b32_e32 v1, 0
	v_mov_b32_e32 v3, 0
	v_add_nc_u32_e32 v7, -1, v0
	v_add_nc_u32_e32 v8, 0x320, v145
	v_mov_b32_e32 v2, 0
	v_mov_b32_e32 v4, 0
	v_add_nc_u32_e32 v9, 16, v145
	s_mov_b32 s5, 0
	.p2align	6
.LBB49_53:                              ; =>This Inner Loop Header: Depth=1
	s_clause 0x3
	buffer_load_dword v14, v9, s[0:3], 0 offen offset:8
	buffer_load_dword v15, v9, s[0:3], 0 offen offset:12
	buffer_load_dword v16, v9, s[0:3], 0 offen
	buffer_load_dword v17, v9, s[0:3], 0 offen offset:4
	ds_read_b128 v[10:13], v8
	v_add_nc_u32_e32 v7, 1, v7
	v_add_nc_u32_e32 v8, 16, v8
	;; [unrolled: 1-line block ×3, first 2 shown]
	v_cmp_lt_u32_e32 vcc_lo, 8, v7
	s_or_b32 s5, vcc_lo, s5
	s_waitcnt vmcnt(2) lgkmcnt(0)
	v_mul_f64 v[18:19], v[12:13], v[14:15]
	v_mul_f64 v[14:15], v[10:11], v[14:15]
	s_waitcnt vmcnt(0)
	v_fma_f64 v[10:11], v[10:11], v[16:17], -v[18:19]
	v_fma_f64 v[12:13], v[12:13], v[16:17], v[14:15]
	v_add_f64 v[3:4], v[3:4], v[10:11]
	v_add_f64 v[1:2], v[1:2], v[12:13]
	s_andn2_b32 exec_lo, exec_lo, s5
	s_cbranch_execnz .LBB49_53
; %bb.54:
	s_or_b32 exec_lo, exec_lo, s5
	v_mov_b32_e32 v7, 0
	ds_read_b128 v[7:10], v7 offset:160
	s_waitcnt lgkmcnt(0)
	v_mul_f64 v[11:12], v[1:2], v[9:10]
	v_mul_f64 v[9:10], v[3:4], v[9:10]
	v_fma_f64 v[3:4], v[3:4], v[7:8], -v[11:12]
	v_fma_f64 v[1:2], v[1:2], v[7:8], v[9:10]
	buffer_store_dword v4, off, s[0:3], 0 offset:180
	buffer_store_dword v3, off, s[0:3], 0 offset:176
	;; [unrolled: 1-line block ×4, first 2 shown]
.LBB49_55:
	s_or_b32 exec_lo, exec_lo, s4
	v_mov_b32_e32 v4, s51
	s_waitcnt_vscnt null, 0x0
	s_barrier
	buffer_gl0_inv
	s_mov_b32 s4, exec_lo
	s_clause 0x3
	buffer_load_dword v1, v4, s[0:3], 0 offen
	buffer_load_dword v2, v4, s[0:3], 0 offen offset:4
	buffer_load_dword v3, v4, s[0:3], 0 offen offset:8
	;; [unrolled: 1-line block ×3, first 2 shown]
	s_waitcnt vmcnt(0)
	ds_write_b128 v5, v[1:4]
	s_waitcnt lgkmcnt(0)
	s_barrier
	buffer_gl0_inv
	v_cmpx_gt_u32_e32 11, v0
	s_cbranch_execz .LBB49_59
; %bb.56:
	v_mov_b32_e32 v1, 0
	v_mov_b32_e32 v3, 0
	v_add_nc_u32_e32 v7, -1, v0
	v_add_nc_u32_e32 v8, 0x320, v145
	v_mov_b32_e32 v2, 0
	v_mov_b32_e32 v4, 0
	v_add_nc_u32_e32 v9, 16, v145
	s_mov_b32 s5, 0
	.p2align	6
.LBB49_57:                              ; =>This Inner Loop Header: Depth=1
	s_clause 0x3
	buffer_load_dword v14, v9, s[0:3], 0 offen offset:8
	buffer_load_dword v15, v9, s[0:3], 0 offen offset:12
	buffer_load_dword v16, v9, s[0:3], 0 offen
	buffer_load_dword v17, v9, s[0:3], 0 offen offset:4
	ds_read_b128 v[10:13], v8
	v_add_nc_u32_e32 v7, 1, v7
	v_add_nc_u32_e32 v8, 16, v8
	;; [unrolled: 1-line block ×3, first 2 shown]
	v_cmp_lt_u32_e32 vcc_lo, 9, v7
	s_or_b32 s5, vcc_lo, s5
	s_waitcnt vmcnt(2) lgkmcnt(0)
	v_mul_f64 v[18:19], v[12:13], v[14:15]
	v_mul_f64 v[14:15], v[10:11], v[14:15]
	s_waitcnt vmcnt(0)
	v_fma_f64 v[10:11], v[10:11], v[16:17], -v[18:19]
	v_fma_f64 v[12:13], v[12:13], v[16:17], v[14:15]
	v_add_f64 v[3:4], v[3:4], v[10:11]
	v_add_f64 v[1:2], v[1:2], v[12:13]
	s_andn2_b32 exec_lo, exec_lo, s5
	s_cbranch_execnz .LBB49_57
; %bb.58:
	s_or_b32 exec_lo, exec_lo, s5
	v_mov_b32_e32 v7, 0
	ds_read_b128 v[7:10], v7 offset:176
	s_waitcnt lgkmcnt(0)
	v_mul_f64 v[11:12], v[1:2], v[9:10]
	v_mul_f64 v[9:10], v[3:4], v[9:10]
	v_fma_f64 v[3:4], v[3:4], v[7:8], -v[11:12]
	v_fma_f64 v[1:2], v[1:2], v[7:8], v[9:10]
	buffer_store_dword v4, off, s[0:3], 0 offset:196
	buffer_store_dword v3, off, s[0:3], 0 offset:192
	;; [unrolled: 1-line block ×4, first 2 shown]
.LBB49_59:
	s_or_b32 exec_lo, exec_lo, s4
	v_mov_b32_e32 v4, s50
	s_waitcnt_vscnt null, 0x0
	s_barrier
	buffer_gl0_inv
	s_mov_b32 s4, exec_lo
	s_clause 0x3
	buffer_load_dword v1, v4, s[0:3], 0 offen
	buffer_load_dword v2, v4, s[0:3], 0 offen offset:4
	buffer_load_dword v3, v4, s[0:3], 0 offen offset:8
	buffer_load_dword v4, v4, s[0:3], 0 offen offset:12
	s_waitcnt vmcnt(0)
	ds_write_b128 v5, v[1:4]
	s_waitcnt lgkmcnt(0)
	s_barrier
	buffer_gl0_inv
	v_cmpx_gt_u32_e32 12, v0
	s_cbranch_execz .LBB49_63
; %bb.60:
	v_mov_b32_e32 v1, 0
	v_mov_b32_e32 v3, 0
	v_add_nc_u32_e32 v7, -1, v0
	v_add_nc_u32_e32 v8, 0x320, v145
	v_mov_b32_e32 v2, 0
	v_mov_b32_e32 v4, 0
	v_add_nc_u32_e32 v9, 16, v145
	s_mov_b32 s5, 0
	.p2align	6
.LBB49_61:                              ; =>This Inner Loop Header: Depth=1
	s_clause 0x3
	buffer_load_dword v14, v9, s[0:3], 0 offen offset:8
	buffer_load_dword v15, v9, s[0:3], 0 offen offset:12
	buffer_load_dword v16, v9, s[0:3], 0 offen
	buffer_load_dword v17, v9, s[0:3], 0 offen offset:4
	ds_read_b128 v[10:13], v8
	v_add_nc_u32_e32 v7, 1, v7
	v_add_nc_u32_e32 v8, 16, v8
	;; [unrolled: 1-line block ×3, first 2 shown]
	v_cmp_lt_u32_e32 vcc_lo, 10, v7
	s_or_b32 s5, vcc_lo, s5
	s_waitcnt vmcnt(2) lgkmcnt(0)
	v_mul_f64 v[18:19], v[12:13], v[14:15]
	v_mul_f64 v[14:15], v[10:11], v[14:15]
	s_waitcnt vmcnt(0)
	v_fma_f64 v[10:11], v[10:11], v[16:17], -v[18:19]
	v_fma_f64 v[12:13], v[12:13], v[16:17], v[14:15]
	v_add_f64 v[3:4], v[3:4], v[10:11]
	v_add_f64 v[1:2], v[1:2], v[12:13]
	s_andn2_b32 exec_lo, exec_lo, s5
	s_cbranch_execnz .LBB49_61
; %bb.62:
	s_or_b32 exec_lo, exec_lo, s5
	v_mov_b32_e32 v7, 0
	ds_read_b128 v[7:10], v7 offset:192
	s_waitcnt lgkmcnt(0)
	v_mul_f64 v[11:12], v[1:2], v[9:10]
	v_mul_f64 v[9:10], v[3:4], v[9:10]
	v_fma_f64 v[3:4], v[3:4], v[7:8], -v[11:12]
	v_fma_f64 v[1:2], v[1:2], v[7:8], v[9:10]
	buffer_store_dword v4, off, s[0:3], 0 offset:212
	buffer_store_dword v3, off, s[0:3], 0 offset:208
	;; [unrolled: 1-line block ×4, first 2 shown]
.LBB49_63:
	s_or_b32 exec_lo, exec_lo, s4
	v_mov_b32_e32 v4, s49
	s_waitcnt_vscnt null, 0x0
	s_barrier
	buffer_gl0_inv
	s_mov_b32 s4, exec_lo
	s_clause 0x3
	buffer_load_dword v1, v4, s[0:3], 0 offen
	buffer_load_dword v2, v4, s[0:3], 0 offen offset:4
	buffer_load_dword v3, v4, s[0:3], 0 offen offset:8
	;; [unrolled: 1-line block ×3, first 2 shown]
	s_waitcnt vmcnt(0)
	ds_write_b128 v5, v[1:4]
	s_waitcnt lgkmcnt(0)
	s_barrier
	buffer_gl0_inv
	v_cmpx_gt_u32_e32 13, v0
	s_cbranch_execz .LBB49_67
; %bb.64:
	v_mov_b32_e32 v1, 0
	v_mov_b32_e32 v3, 0
	v_add_nc_u32_e32 v7, -1, v0
	v_add_nc_u32_e32 v8, 0x320, v145
	v_mov_b32_e32 v2, 0
	v_mov_b32_e32 v4, 0
	v_add_nc_u32_e32 v9, 16, v145
	s_mov_b32 s5, 0
	.p2align	6
.LBB49_65:                              ; =>This Inner Loop Header: Depth=1
	s_clause 0x3
	buffer_load_dword v14, v9, s[0:3], 0 offen offset:8
	buffer_load_dword v15, v9, s[0:3], 0 offen offset:12
	buffer_load_dword v16, v9, s[0:3], 0 offen
	buffer_load_dword v17, v9, s[0:3], 0 offen offset:4
	ds_read_b128 v[10:13], v8
	v_add_nc_u32_e32 v7, 1, v7
	v_add_nc_u32_e32 v8, 16, v8
	;; [unrolled: 1-line block ×3, first 2 shown]
	v_cmp_lt_u32_e32 vcc_lo, 11, v7
	s_or_b32 s5, vcc_lo, s5
	s_waitcnt vmcnt(2) lgkmcnt(0)
	v_mul_f64 v[18:19], v[12:13], v[14:15]
	v_mul_f64 v[14:15], v[10:11], v[14:15]
	s_waitcnt vmcnt(0)
	v_fma_f64 v[10:11], v[10:11], v[16:17], -v[18:19]
	v_fma_f64 v[12:13], v[12:13], v[16:17], v[14:15]
	v_add_f64 v[3:4], v[3:4], v[10:11]
	v_add_f64 v[1:2], v[1:2], v[12:13]
	s_andn2_b32 exec_lo, exec_lo, s5
	s_cbranch_execnz .LBB49_65
; %bb.66:
	s_or_b32 exec_lo, exec_lo, s5
	v_mov_b32_e32 v7, 0
	ds_read_b128 v[7:10], v7 offset:208
	s_waitcnt lgkmcnt(0)
	v_mul_f64 v[11:12], v[1:2], v[9:10]
	v_mul_f64 v[9:10], v[3:4], v[9:10]
	v_fma_f64 v[3:4], v[3:4], v[7:8], -v[11:12]
	v_fma_f64 v[1:2], v[1:2], v[7:8], v[9:10]
	buffer_store_dword v4, off, s[0:3], 0 offset:228
	buffer_store_dword v3, off, s[0:3], 0 offset:224
	;; [unrolled: 1-line block ×4, first 2 shown]
.LBB49_67:
	s_or_b32 exec_lo, exec_lo, s4
	v_mov_b32_e32 v4, s48
	s_waitcnt_vscnt null, 0x0
	s_barrier
	buffer_gl0_inv
	s_mov_b32 s4, exec_lo
	s_clause 0x3
	buffer_load_dword v1, v4, s[0:3], 0 offen
	buffer_load_dword v2, v4, s[0:3], 0 offen offset:4
	buffer_load_dword v3, v4, s[0:3], 0 offen offset:8
	buffer_load_dword v4, v4, s[0:3], 0 offen offset:12
	s_waitcnt vmcnt(0)
	ds_write_b128 v5, v[1:4]
	s_waitcnt lgkmcnt(0)
	s_barrier
	buffer_gl0_inv
	v_cmpx_gt_u32_e32 14, v0
	s_cbranch_execz .LBB49_71
; %bb.68:
	v_mov_b32_e32 v1, 0
	v_mov_b32_e32 v3, 0
	v_add_nc_u32_e32 v7, -1, v0
	v_add_nc_u32_e32 v8, 0x320, v145
	v_mov_b32_e32 v2, 0
	v_mov_b32_e32 v4, 0
	v_add_nc_u32_e32 v9, 16, v145
	s_mov_b32 s5, 0
	.p2align	6
.LBB49_69:                              ; =>This Inner Loop Header: Depth=1
	s_clause 0x3
	buffer_load_dword v14, v9, s[0:3], 0 offen offset:8
	buffer_load_dword v15, v9, s[0:3], 0 offen offset:12
	buffer_load_dword v16, v9, s[0:3], 0 offen
	buffer_load_dword v17, v9, s[0:3], 0 offen offset:4
	ds_read_b128 v[10:13], v8
	v_add_nc_u32_e32 v7, 1, v7
	v_add_nc_u32_e32 v8, 16, v8
	;; [unrolled: 1-line block ×3, first 2 shown]
	v_cmp_lt_u32_e32 vcc_lo, 12, v7
	s_or_b32 s5, vcc_lo, s5
	s_waitcnt vmcnt(2) lgkmcnt(0)
	v_mul_f64 v[18:19], v[12:13], v[14:15]
	v_mul_f64 v[14:15], v[10:11], v[14:15]
	s_waitcnt vmcnt(0)
	v_fma_f64 v[10:11], v[10:11], v[16:17], -v[18:19]
	v_fma_f64 v[12:13], v[12:13], v[16:17], v[14:15]
	v_add_f64 v[3:4], v[3:4], v[10:11]
	v_add_f64 v[1:2], v[1:2], v[12:13]
	s_andn2_b32 exec_lo, exec_lo, s5
	s_cbranch_execnz .LBB49_69
; %bb.70:
	s_or_b32 exec_lo, exec_lo, s5
	v_mov_b32_e32 v7, 0
	ds_read_b128 v[7:10], v7 offset:224
	s_waitcnt lgkmcnt(0)
	v_mul_f64 v[11:12], v[1:2], v[9:10]
	v_mul_f64 v[9:10], v[3:4], v[9:10]
	v_fma_f64 v[3:4], v[3:4], v[7:8], -v[11:12]
	v_fma_f64 v[1:2], v[1:2], v[7:8], v[9:10]
	buffer_store_dword v4, off, s[0:3], 0 offset:244
	buffer_store_dword v3, off, s[0:3], 0 offset:240
	;; [unrolled: 1-line block ×4, first 2 shown]
.LBB49_71:
	s_or_b32 exec_lo, exec_lo, s4
	v_mov_b32_e32 v4, s47
	s_waitcnt_vscnt null, 0x0
	s_barrier
	buffer_gl0_inv
	s_mov_b32 s4, exec_lo
	s_clause 0x3
	buffer_load_dword v1, v4, s[0:3], 0 offen
	buffer_load_dword v2, v4, s[0:3], 0 offen offset:4
	buffer_load_dword v3, v4, s[0:3], 0 offen offset:8
	;; [unrolled: 1-line block ×3, first 2 shown]
	s_waitcnt vmcnt(0)
	ds_write_b128 v5, v[1:4]
	s_waitcnt lgkmcnt(0)
	s_barrier
	buffer_gl0_inv
	v_cmpx_gt_u32_e32 15, v0
	s_cbranch_execz .LBB49_75
; %bb.72:
	v_mov_b32_e32 v1, 0
	v_mov_b32_e32 v3, 0
	v_add_nc_u32_e32 v7, -1, v0
	v_add_nc_u32_e32 v8, 0x320, v145
	v_mov_b32_e32 v2, 0
	v_mov_b32_e32 v4, 0
	v_add_nc_u32_e32 v9, 16, v145
	s_mov_b32 s5, 0
	.p2align	6
.LBB49_73:                              ; =>This Inner Loop Header: Depth=1
	s_clause 0x3
	buffer_load_dword v14, v9, s[0:3], 0 offen offset:8
	buffer_load_dword v15, v9, s[0:3], 0 offen offset:12
	buffer_load_dword v16, v9, s[0:3], 0 offen
	buffer_load_dword v17, v9, s[0:3], 0 offen offset:4
	ds_read_b128 v[10:13], v8
	v_add_nc_u32_e32 v7, 1, v7
	v_add_nc_u32_e32 v8, 16, v8
	;; [unrolled: 1-line block ×3, first 2 shown]
	v_cmp_lt_u32_e32 vcc_lo, 13, v7
	s_or_b32 s5, vcc_lo, s5
	s_waitcnt vmcnt(2) lgkmcnt(0)
	v_mul_f64 v[18:19], v[12:13], v[14:15]
	v_mul_f64 v[14:15], v[10:11], v[14:15]
	s_waitcnt vmcnt(0)
	v_fma_f64 v[10:11], v[10:11], v[16:17], -v[18:19]
	v_fma_f64 v[12:13], v[12:13], v[16:17], v[14:15]
	v_add_f64 v[3:4], v[3:4], v[10:11]
	v_add_f64 v[1:2], v[1:2], v[12:13]
	s_andn2_b32 exec_lo, exec_lo, s5
	s_cbranch_execnz .LBB49_73
; %bb.74:
	s_or_b32 exec_lo, exec_lo, s5
	v_mov_b32_e32 v7, 0
	ds_read_b128 v[7:10], v7 offset:240
	s_waitcnt lgkmcnt(0)
	v_mul_f64 v[11:12], v[1:2], v[9:10]
	v_mul_f64 v[9:10], v[3:4], v[9:10]
	v_fma_f64 v[3:4], v[3:4], v[7:8], -v[11:12]
	v_fma_f64 v[1:2], v[1:2], v[7:8], v[9:10]
	buffer_store_dword v4, off, s[0:3], 0 offset:260
	buffer_store_dword v3, off, s[0:3], 0 offset:256
	;; [unrolled: 1-line block ×4, first 2 shown]
.LBB49_75:
	s_or_b32 exec_lo, exec_lo, s4
	v_mov_b32_e32 v4, s46
	s_waitcnt_vscnt null, 0x0
	s_barrier
	buffer_gl0_inv
	s_mov_b32 s4, exec_lo
	s_clause 0x3
	buffer_load_dword v1, v4, s[0:3], 0 offen
	buffer_load_dword v2, v4, s[0:3], 0 offen offset:4
	buffer_load_dword v3, v4, s[0:3], 0 offen offset:8
	;; [unrolled: 1-line block ×3, first 2 shown]
	s_waitcnt vmcnt(0)
	ds_write_b128 v5, v[1:4]
	s_waitcnt lgkmcnt(0)
	s_barrier
	buffer_gl0_inv
	v_cmpx_gt_u32_e32 16, v0
	s_cbranch_execz .LBB49_79
; %bb.76:
	v_mov_b32_e32 v1, 0
	v_mov_b32_e32 v3, 0
	v_add_nc_u32_e32 v7, -1, v0
	v_add_nc_u32_e32 v8, 0x320, v145
	v_mov_b32_e32 v2, 0
	v_mov_b32_e32 v4, 0
	v_add_nc_u32_e32 v9, 16, v145
	s_mov_b32 s5, 0
	.p2align	6
.LBB49_77:                              ; =>This Inner Loop Header: Depth=1
	s_clause 0x3
	buffer_load_dword v14, v9, s[0:3], 0 offen offset:8
	buffer_load_dword v15, v9, s[0:3], 0 offen offset:12
	buffer_load_dword v16, v9, s[0:3], 0 offen
	buffer_load_dword v17, v9, s[0:3], 0 offen offset:4
	ds_read_b128 v[10:13], v8
	v_add_nc_u32_e32 v7, 1, v7
	v_add_nc_u32_e32 v8, 16, v8
	;; [unrolled: 1-line block ×3, first 2 shown]
	v_cmp_lt_u32_e32 vcc_lo, 14, v7
	s_or_b32 s5, vcc_lo, s5
	s_waitcnt vmcnt(2) lgkmcnt(0)
	v_mul_f64 v[18:19], v[12:13], v[14:15]
	v_mul_f64 v[14:15], v[10:11], v[14:15]
	s_waitcnt vmcnt(0)
	v_fma_f64 v[10:11], v[10:11], v[16:17], -v[18:19]
	v_fma_f64 v[12:13], v[12:13], v[16:17], v[14:15]
	v_add_f64 v[3:4], v[3:4], v[10:11]
	v_add_f64 v[1:2], v[1:2], v[12:13]
	s_andn2_b32 exec_lo, exec_lo, s5
	s_cbranch_execnz .LBB49_77
; %bb.78:
	s_or_b32 exec_lo, exec_lo, s5
	v_mov_b32_e32 v7, 0
	ds_read_b128 v[7:10], v7 offset:256
	s_waitcnt lgkmcnt(0)
	v_mul_f64 v[11:12], v[1:2], v[9:10]
	v_mul_f64 v[9:10], v[3:4], v[9:10]
	v_fma_f64 v[3:4], v[3:4], v[7:8], -v[11:12]
	v_fma_f64 v[1:2], v[1:2], v[7:8], v[9:10]
	buffer_store_dword v4, off, s[0:3], 0 offset:276
	buffer_store_dword v3, off, s[0:3], 0 offset:272
	;; [unrolled: 1-line block ×4, first 2 shown]
.LBB49_79:
	s_or_b32 exec_lo, exec_lo, s4
	v_mov_b32_e32 v4, s45
	s_waitcnt_vscnt null, 0x0
	s_barrier
	buffer_gl0_inv
	s_mov_b32 s4, exec_lo
	s_clause 0x3
	buffer_load_dword v1, v4, s[0:3], 0 offen
	buffer_load_dword v2, v4, s[0:3], 0 offen offset:4
	buffer_load_dword v3, v4, s[0:3], 0 offen offset:8
	;; [unrolled: 1-line block ×3, first 2 shown]
	s_waitcnt vmcnt(0)
	ds_write_b128 v5, v[1:4]
	s_waitcnt lgkmcnt(0)
	s_barrier
	buffer_gl0_inv
	v_cmpx_gt_u32_e32 17, v0
	s_cbranch_execz .LBB49_83
; %bb.80:
	v_mov_b32_e32 v1, 0
	v_mov_b32_e32 v3, 0
	v_add_nc_u32_e32 v7, -1, v0
	v_add_nc_u32_e32 v8, 0x320, v145
	v_mov_b32_e32 v2, 0
	v_mov_b32_e32 v4, 0
	v_add_nc_u32_e32 v9, 16, v145
	s_mov_b32 s5, 0
	.p2align	6
.LBB49_81:                              ; =>This Inner Loop Header: Depth=1
	s_clause 0x3
	buffer_load_dword v14, v9, s[0:3], 0 offen offset:8
	buffer_load_dword v15, v9, s[0:3], 0 offen offset:12
	buffer_load_dword v16, v9, s[0:3], 0 offen
	buffer_load_dword v17, v9, s[0:3], 0 offen offset:4
	ds_read_b128 v[10:13], v8
	v_add_nc_u32_e32 v7, 1, v7
	v_add_nc_u32_e32 v8, 16, v8
	;; [unrolled: 1-line block ×3, first 2 shown]
	v_cmp_lt_u32_e32 vcc_lo, 15, v7
	s_or_b32 s5, vcc_lo, s5
	s_waitcnt vmcnt(2) lgkmcnt(0)
	v_mul_f64 v[18:19], v[12:13], v[14:15]
	v_mul_f64 v[14:15], v[10:11], v[14:15]
	s_waitcnt vmcnt(0)
	v_fma_f64 v[10:11], v[10:11], v[16:17], -v[18:19]
	v_fma_f64 v[12:13], v[12:13], v[16:17], v[14:15]
	v_add_f64 v[3:4], v[3:4], v[10:11]
	v_add_f64 v[1:2], v[1:2], v[12:13]
	s_andn2_b32 exec_lo, exec_lo, s5
	s_cbranch_execnz .LBB49_81
; %bb.82:
	s_or_b32 exec_lo, exec_lo, s5
	v_mov_b32_e32 v7, 0
	ds_read_b128 v[7:10], v7 offset:272
	s_waitcnt lgkmcnt(0)
	v_mul_f64 v[11:12], v[1:2], v[9:10]
	v_mul_f64 v[9:10], v[3:4], v[9:10]
	v_fma_f64 v[3:4], v[3:4], v[7:8], -v[11:12]
	v_fma_f64 v[1:2], v[1:2], v[7:8], v[9:10]
	buffer_store_dword v4, off, s[0:3], 0 offset:292
	buffer_store_dword v3, off, s[0:3], 0 offset:288
	;; [unrolled: 1-line block ×4, first 2 shown]
.LBB49_83:
	s_or_b32 exec_lo, exec_lo, s4
	v_mov_b32_e32 v4, s44
	s_waitcnt_vscnt null, 0x0
	s_barrier
	buffer_gl0_inv
	s_mov_b32 s4, exec_lo
	s_clause 0x3
	buffer_load_dword v1, v4, s[0:3], 0 offen
	buffer_load_dword v2, v4, s[0:3], 0 offen offset:4
	buffer_load_dword v3, v4, s[0:3], 0 offen offset:8
	buffer_load_dword v4, v4, s[0:3], 0 offen offset:12
	s_waitcnt vmcnt(0)
	ds_write_b128 v5, v[1:4]
	s_waitcnt lgkmcnt(0)
	s_barrier
	buffer_gl0_inv
	v_cmpx_gt_u32_e32 18, v0
	s_cbranch_execz .LBB49_87
; %bb.84:
	v_mov_b32_e32 v1, 0
	v_mov_b32_e32 v3, 0
	v_add_nc_u32_e32 v7, -1, v0
	v_add_nc_u32_e32 v8, 0x320, v145
	v_mov_b32_e32 v2, 0
	v_mov_b32_e32 v4, 0
	v_add_nc_u32_e32 v9, 16, v145
	s_mov_b32 s5, 0
	.p2align	6
.LBB49_85:                              ; =>This Inner Loop Header: Depth=1
	s_clause 0x3
	buffer_load_dword v14, v9, s[0:3], 0 offen offset:8
	buffer_load_dword v15, v9, s[0:3], 0 offen offset:12
	buffer_load_dword v16, v9, s[0:3], 0 offen
	buffer_load_dword v17, v9, s[0:3], 0 offen offset:4
	ds_read_b128 v[10:13], v8
	v_add_nc_u32_e32 v7, 1, v7
	v_add_nc_u32_e32 v8, 16, v8
	;; [unrolled: 1-line block ×3, first 2 shown]
	v_cmp_lt_u32_e32 vcc_lo, 16, v7
	s_or_b32 s5, vcc_lo, s5
	s_waitcnt vmcnt(2) lgkmcnt(0)
	v_mul_f64 v[18:19], v[12:13], v[14:15]
	v_mul_f64 v[14:15], v[10:11], v[14:15]
	s_waitcnt vmcnt(0)
	v_fma_f64 v[10:11], v[10:11], v[16:17], -v[18:19]
	v_fma_f64 v[12:13], v[12:13], v[16:17], v[14:15]
	v_add_f64 v[3:4], v[3:4], v[10:11]
	v_add_f64 v[1:2], v[1:2], v[12:13]
	s_andn2_b32 exec_lo, exec_lo, s5
	s_cbranch_execnz .LBB49_85
; %bb.86:
	s_or_b32 exec_lo, exec_lo, s5
	v_mov_b32_e32 v7, 0
	ds_read_b128 v[7:10], v7 offset:288
	s_waitcnt lgkmcnt(0)
	v_mul_f64 v[11:12], v[1:2], v[9:10]
	v_mul_f64 v[9:10], v[3:4], v[9:10]
	v_fma_f64 v[3:4], v[3:4], v[7:8], -v[11:12]
	v_fma_f64 v[1:2], v[1:2], v[7:8], v[9:10]
	buffer_store_dword v4, off, s[0:3], 0 offset:308
	buffer_store_dword v3, off, s[0:3], 0 offset:304
	;; [unrolled: 1-line block ×4, first 2 shown]
.LBB49_87:
	s_or_b32 exec_lo, exec_lo, s4
	v_mov_b32_e32 v4, s43
	s_waitcnt_vscnt null, 0x0
	s_barrier
	buffer_gl0_inv
	s_mov_b32 s4, exec_lo
	s_clause 0x3
	buffer_load_dword v1, v4, s[0:3], 0 offen
	buffer_load_dword v2, v4, s[0:3], 0 offen offset:4
	buffer_load_dword v3, v4, s[0:3], 0 offen offset:8
	;; [unrolled: 1-line block ×3, first 2 shown]
	s_waitcnt vmcnt(0)
	ds_write_b128 v5, v[1:4]
	s_waitcnt lgkmcnt(0)
	s_barrier
	buffer_gl0_inv
	v_cmpx_gt_u32_e32 19, v0
	s_cbranch_execz .LBB49_91
; %bb.88:
	v_mov_b32_e32 v1, 0
	v_mov_b32_e32 v3, 0
	v_add_nc_u32_e32 v7, -1, v0
	v_add_nc_u32_e32 v8, 0x320, v145
	v_mov_b32_e32 v2, 0
	v_mov_b32_e32 v4, 0
	v_add_nc_u32_e32 v9, 16, v145
	s_mov_b32 s5, 0
	.p2align	6
.LBB49_89:                              ; =>This Inner Loop Header: Depth=1
	s_clause 0x3
	buffer_load_dword v14, v9, s[0:3], 0 offen offset:8
	buffer_load_dword v15, v9, s[0:3], 0 offen offset:12
	buffer_load_dword v16, v9, s[0:3], 0 offen
	buffer_load_dword v17, v9, s[0:3], 0 offen offset:4
	ds_read_b128 v[10:13], v8
	v_add_nc_u32_e32 v7, 1, v7
	v_add_nc_u32_e32 v8, 16, v8
	;; [unrolled: 1-line block ×3, first 2 shown]
	v_cmp_lt_u32_e32 vcc_lo, 17, v7
	s_or_b32 s5, vcc_lo, s5
	s_waitcnt vmcnt(2) lgkmcnt(0)
	v_mul_f64 v[18:19], v[12:13], v[14:15]
	v_mul_f64 v[14:15], v[10:11], v[14:15]
	s_waitcnt vmcnt(0)
	v_fma_f64 v[10:11], v[10:11], v[16:17], -v[18:19]
	v_fma_f64 v[12:13], v[12:13], v[16:17], v[14:15]
	v_add_f64 v[3:4], v[3:4], v[10:11]
	v_add_f64 v[1:2], v[1:2], v[12:13]
	s_andn2_b32 exec_lo, exec_lo, s5
	s_cbranch_execnz .LBB49_89
; %bb.90:
	s_or_b32 exec_lo, exec_lo, s5
	v_mov_b32_e32 v7, 0
	ds_read_b128 v[7:10], v7 offset:304
	s_waitcnt lgkmcnt(0)
	v_mul_f64 v[11:12], v[1:2], v[9:10]
	v_mul_f64 v[9:10], v[3:4], v[9:10]
	v_fma_f64 v[3:4], v[3:4], v[7:8], -v[11:12]
	v_fma_f64 v[1:2], v[1:2], v[7:8], v[9:10]
	buffer_store_dword v4, off, s[0:3], 0 offset:324
	buffer_store_dword v3, off, s[0:3], 0 offset:320
	;; [unrolled: 1-line block ×4, first 2 shown]
.LBB49_91:
	s_or_b32 exec_lo, exec_lo, s4
	v_mov_b32_e32 v4, s42
	s_waitcnt_vscnt null, 0x0
	s_barrier
	buffer_gl0_inv
	s_mov_b32 s4, exec_lo
	s_clause 0x3
	buffer_load_dword v1, v4, s[0:3], 0 offen
	buffer_load_dword v2, v4, s[0:3], 0 offen offset:4
	buffer_load_dword v3, v4, s[0:3], 0 offen offset:8
	;; [unrolled: 1-line block ×3, first 2 shown]
	s_waitcnt vmcnt(0)
	ds_write_b128 v5, v[1:4]
	s_waitcnt lgkmcnt(0)
	s_barrier
	buffer_gl0_inv
	v_cmpx_gt_u32_e32 20, v0
	s_cbranch_execz .LBB49_95
; %bb.92:
	v_mov_b32_e32 v1, 0
	v_mov_b32_e32 v3, 0
	v_add_nc_u32_e32 v7, -1, v0
	v_add_nc_u32_e32 v8, 0x320, v145
	v_mov_b32_e32 v2, 0
	v_mov_b32_e32 v4, 0
	v_add_nc_u32_e32 v9, 16, v145
	s_mov_b32 s5, 0
	.p2align	6
.LBB49_93:                              ; =>This Inner Loop Header: Depth=1
	s_clause 0x3
	buffer_load_dword v14, v9, s[0:3], 0 offen offset:8
	buffer_load_dword v15, v9, s[0:3], 0 offen offset:12
	buffer_load_dword v16, v9, s[0:3], 0 offen
	buffer_load_dword v17, v9, s[0:3], 0 offen offset:4
	ds_read_b128 v[10:13], v8
	v_add_nc_u32_e32 v7, 1, v7
	v_add_nc_u32_e32 v8, 16, v8
	;; [unrolled: 1-line block ×3, first 2 shown]
	v_cmp_lt_u32_e32 vcc_lo, 18, v7
	s_or_b32 s5, vcc_lo, s5
	s_waitcnt vmcnt(2) lgkmcnt(0)
	v_mul_f64 v[18:19], v[12:13], v[14:15]
	v_mul_f64 v[14:15], v[10:11], v[14:15]
	s_waitcnt vmcnt(0)
	v_fma_f64 v[10:11], v[10:11], v[16:17], -v[18:19]
	v_fma_f64 v[12:13], v[12:13], v[16:17], v[14:15]
	v_add_f64 v[3:4], v[3:4], v[10:11]
	v_add_f64 v[1:2], v[1:2], v[12:13]
	s_andn2_b32 exec_lo, exec_lo, s5
	s_cbranch_execnz .LBB49_93
; %bb.94:
	s_or_b32 exec_lo, exec_lo, s5
	v_mov_b32_e32 v7, 0
	ds_read_b128 v[7:10], v7 offset:320
	s_waitcnt lgkmcnt(0)
	v_mul_f64 v[11:12], v[1:2], v[9:10]
	v_mul_f64 v[9:10], v[3:4], v[9:10]
	v_fma_f64 v[3:4], v[3:4], v[7:8], -v[11:12]
	v_fma_f64 v[1:2], v[1:2], v[7:8], v[9:10]
	buffer_store_dword v4, off, s[0:3], 0 offset:340
	buffer_store_dword v3, off, s[0:3], 0 offset:336
	;; [unrolled: 1-line block ×4, first 2 shown]
.LBB49_95:
	s_or_b32 exec_lo, exec_lo, s4
	v_mov_b32_e32 v4, s33
	s_waitcnt_vscnt null, 0x0
	s_barrier
	buffer_gl0_inv
	s_mov_b32 s4, exec_lo
	s_clause 0x3
	buffer_load_dword v1, v4, s[0:3], 0 offen
	buffer_load_dword v2, v4, s[0:3], 0 offen offset:4
	buffer_load_dword v3, v4, s[0:3], 0 offen offset:8
	;; [unrolled: 1-line block ×3, first 2 shown]
	s_waitcnt vmcnt(0)
	ds_write_b128 v5, v[1:4]
	s_waitcnt lgkmcnt(0)
	s_barrier
	buffer_gl0_inv
	v_cmpx_gt_u32_e32 21, v0
	s_cbranch_execz .LBB49_99
; %bb.96:
	v_mov_b32_e32 v1, 0
	v_mov_b32_e32 v3, 0
	v_add_nc_u32_e32 v7, -1, v0
	v_add_nc_u32_e32 v8, 0x320, v145
	v_mov_b32_e32 v2, 0
	v_mov_b32_e32 v4, 0
	v_add_nc_u32_e32 v9, 16, v145
	s_mov_b32 s5, 0
	.p2align	6
.LBB49_97:                              ; =>This Inner Loop Header: Depth=1
	s_clause 0x3
	buffer_load_dword v14, v9, s[0:3], 0 offen offset:8
	buffer_load_dword v15, v9, s[0:3], 0 offen offset:12
	buffer_load_dword v16, v9, s[0:3], 0 offen
	buffer_load_dword v17, v9, s[0:3], 0 offen offset:4
	ds_read_b128 v[10:13], v8
	v_add_nc_u32_e32 v7, 1, v7
	v_add_nc_u32_e32 v8, 16, v8
	;; [unrolled: 1-line block ×3, first 2 shown]
	v_cmp_lt_u32_e32 vcc_lo, 19, v7
	s_or_b32 s5, vcc_lo, s5
	s_waitcnt vmcnt(2) lgkmcnt(0)
	v_mul_f64 v[18:19], v[12:13], v[14:15]
	v_mul_f64 v[14:15], v[10:11], v[14:15]
	s_waitcnt vmcnt(0)
	v_fma_f64 v[10:11], v[10:11], v[16:17], -v[18:19]
	v_fma_f64 v[12:13], v[12:13], v[16:17], v[14:15]
	v_add_f64 v[3:4], v[3:4], v[10:11]
	v_add_f64 v[1:2], v[1:2], v[12:13]
	s_andn2_b32 exec_lo, exec_lo, s5
	s_cbranch_execnz .LBB49_97
; %bb.98:
	s_or_b32 exec_lo, exec_lo, s5
	v_mov_b32_e32 v7, 0
	ds_read_b128 v[7:10], v7 offset:336
	s_waitcnt lgkmcnt(0)
	v_mul_f64 v[11:12], v[1:2], v[9:10]
	v_mul_f64 v[9:10], v[3:4], v[9:10]
	v_fma_f64 v[3:4], v[3:4], v[7:8], -v[11:12]
	v_fma_f64 v[1:2], v[1:2], v[7:8], v[9:10]
	buffer_store_dword v4, off, s[0:3], 0 offset:356
	buffer_store_dword v3, off, s[0:3], 0 offset:352
	;; [unrolled: 1-line block ×4, first 2 shown]
.LBB49_99:
	s_or_b32 exec_lo, exec_lo, s4
	v_mov_b32_e32 v4, s36
	s_waitcnt_vscnt null, 0x0
	s_barrier
	buffer_gl0_inv
	s_mov_b32 s4, exec_lo
	s_clause 0x3
	buffer_load_dword v1, v4, s[0:3], 0 offen
	buffer_load_dword v2, v4, s[0:3], 0 offen offset:4
	buffer_load_dword v3, v4, s[0:3], 0 offen offset:8
	;; [unrolled: 1-line block ×3, first 2 shown]
	s_waitcnt vmcnt(0)
	ds_write_b128 v5, v[1:4]
	s_waitcnt lgkmcnt(0)
	s_barrier
	buffer_gl0_inv
	v_cmpx_gt_u32_e32 22, v0
	s_cbranch_execz .LBB49_103
; %bb.100:
	v_mov_b32_e32 v1, 0
	v_mov_b32_e32 v3, 0
	v_add_nc_u32_e32 v7, -1, v0
	v_add_nc_u32_e32 v8, 0x320, v145
	v_mov_b32_e32 v2, 0
	v_mov_b32_e32 v4, 0
	v_add_nc_u32_e32 v9, 16, v145
	s_mov_b32 s5, 0
	.p2align	6
.LBB49_101:                             ; =>This Inner Loop Header: Depth=1
	s_clause 0x3
	buffer_load_dword v14, v9, s[0:3], 0 offen offset:8
	buffer_load_dword v15, v9, s[0:3], 0 offen offset:12
	buffer_load_dword v16, v9, s[0:3], 0 offen
	buffer_load_dword v17, v9, s[0:3], 0 offen offset:4
	ds_read_b128 v[10:13], v8
	v_add_nc_u32_e32 v7, 1, v7
	v_add_nc_u32_e32 v8, 16, v8
	;; [unrolled: 1-line block ×3, first 2 shown]
	v_cmp_lt_u32_e32 vcc_lo, 20, v7
	s_or_b32 s5, vcc_lo, s5
	s_waitcnt vmcnt(2) lgkmcnt(0)
	v_mul_f64 v[18:19], v[12:13], v[14:15]
	v_mul_f64 v[14:15], v[10:11], v[14:15]
	s_waitcnt vmcnt(0)
	v_fma_f64 v[10:11], v[10:11], v[16:17], -v[18:19]
	v_fma_f64 v[12:13], v[12:13], v[16:17], v[14:15]
	v_add_f64 v[3:4], v[3:4], v[10:11]
	v_add_f64 v[1:2], v[1:2], v[12:13]
	s_andn2_b32 exec_lo, exec_lo, s5
	s_cbranch_execnz .LBB49_101
; %bb.102:
	s_or_b32 exec_lo, exec_lo, s5
	v_mov_b32_e32 v7, 0
	ds_read_b128 v[7:10], v7 offset:352
	s_waitcnt lgkmcnt(0)
	v_mul_f64 v[11:12], v[1:2], v[9:10]
	v_mul_f64 v[9:10], v[3:4], v[9:10]
	v_fma_f64 v[3:4], v[3:4], v[7:8], -v[11:12]
	v_fma_f64 v[1:2], v[1:2], v[7:8], v[9:10]
	buffer_store_dword v4, off, s[0:3], 0 offset:372
	buffer_store_dword v3, off, s[0:3], 0 offset:368
	;; [unrolled: 1-line block ×4, first 2 shown]
.LBB49_103:
	s_or_b32 exec_lo, exec_lo, s4
	v_mov_b32_e32 v4, s37
	s_waitcnt_vscnt null, 0x0
	s_barrier
	buffer_gl0_inv
	s_mov_b32 s4, exec_lo
	s_clause 0x3
	buffer_load_dword v1, v4, s[0:3], 0 offen
	buffer_load_dword v2, v4, s[0:3], 0 offen offset:4
	buffer_load_dword v3, v4, s[0:3], 0 offen offset:8
	;; [unrolled: 1-line block ×3, first 2 shown]
	s_waitcnt vmcnt(0)
	ds_write_b128 v5, v[1:4]
	s_waitcnt lgkmcnt(0)
	s_barrier
	buffer_gl0_inv
	v_cmpx_gt_u32_e32 23, v0
	s_cbranch_execz .LBB49_107
; %bb.104:
	v_mov_b32_e32 v1, 0
	v_mov_b32_e32 v3, 0
	v_add_nc_u32_e32 v7, -1, v0
	v_add_nc_u32_e32 v8, 0x320, v145
	v_mov_b32_e32 v2, 0
	v_mov_b32_e32 v4, 0
	v_add_nc_u32_e32 v9, 16, v145
	s_mov_b32 s5, 0
	.p2align	6
.LBB49_105:                             ; =>This Inner Loop Header: Depth=1
	s_clause 0x3
	buffer_load_dword v14, v9, s[0:3], 0 offen offset:8
	buffer_load_dword v15, v9, s[0:3], 0 offen offset:12
	buffer_load_dword v16, v9, s[0:3], 0 offen
	buffer_load_dword v17, v9, s[0:3], 0 offen offset:4
	ds_read_b128 v[10:13], v8
	v_add_nc_u32_e32 v7, 1, v7
	v_add_nc_u32_e32 v8, 16, v8
	;; [unrolled: 1-line block ×3, first 2 shown]
	v_cmp_lt_u32_e32 vcc_lo, 21, v7
	s_or_b32 s5, vcc_lo, s5
	s_waitcnt vmcnt(2) lgkmcnt(0)
	v_mul_f64 v[18:19], v[12:13], v[14:15]
	v_mul_f64 v[14:15], v[10:11], v[14:15]
	s_waitcnt vmcnt(0)
	v_fma_f64 v[10:11], v[10:11], v[16:17], -v[18:19]
	v_fma_f64 v[12:13], v[12:13], v[16:17], v[14:15]
	v_add_f64 v[3:4], v[3:4], v[10:11]
	v_add_f64 v[1:2], v[1:2], v[12:13]
	s_andn2_b32 exec_lo, exec_lo, s5
	s_cbranch_execnz .LBB49_105
; %bb.106:
	s_or_b32 exec_lo, exec_lo, s5
	v_mov_b32_e32 v7, 0
	ds_read_b128 v[7:10], v7 offset:368
	s_waitcnt lgkmcnt(0)
	v_mul_f64 v[11:12], v[1:2], v[9:10]
	v_mul_f64 v[9:10], v[3:4], v[9:10]
	v_fma_f64 v[3:4], v[3:4], v[7:8], -v[11:12]
	v_fma_f64 v[1:2], v[1:2], v[7:8], v[9:10]
	buffer_store_dword v4, off, s[0:3], 0 offset:388
	buffer_store_dword v3, off, s[0:3], 0 offset:384
	;; [unrolled: 1-line block ×4, first 2 shown]
.LBB49_107:
	s_or_b32 exec_lo, exec_lo, s4
	v_mov_b32_e32 v4, s39
	s_waitcnt_vscnt null, 0x0
	s_barrier
	buffer_gl0_inv
	s_mov_b32 s4, exec_lo
	s_clause 0x3
	buffer_load_dword v1, v4, s[0:3], 0 offen
	buffer_load_dword v2, v4, s[0:3], 0 offen offset:4
	buffer_load_dword v3, v4, s[0:3], 0 offen offset:8
	;; [unrolled: 1-line block ×3, first 2 shown]
	s_waitcnt vmcnt(0)
	ds_write_b128 v5, v[1:4]
	s_waitcnt lgkmcnt(0)
	s_barrier
	buffer_gl0_inv
	v_cmpx_gt_u32_e32 24, v0
	s_cbranch_execz .LBB49_111
; %bb.108:
	v_mov_b32_e32 v1, 0
	v_mov_b32_e32 v3, 0
	v_add_nc_u32_e32 v7, -1, v0
	v_add_nc_u32_e32 v8, 0x320, v145
	v_mov_b32_e32 v2, 0
	v_mov_b32_e32 v4, 0
	v_add_nc_u32_e32 v9, 16, v145
	s_mov_b32 s5, 0
	.p2align	6
.LBB49_109:                             ; =>This Inner Loop Header: Depth=1
	s_clause 0x3
	buffer_load_dword v14, v9, s[0:3], 0 offen offset:8
	buffer_load_dword v15, v9, s[0:3], 0 offen offset:12
	buffer_load_dword v16, v9, s[0:3], 0 offen
	buffer_load_dword v17, v9, s[0:3], 0 offen offset:4
	ds_read_b128 v[10:13], v8
	v_add_nc_u32_e32 v7, 1, v7
	v_add_nc_u32_e32 v8, 16, v8
	;; [unrolled: 1-line block ×3, first 2 shown]
	v_cmp_lt_u32_e32 vcc_lo, 22, v7
	s_or_b32 s5, vcc_lo, s5
	s_waitcnt vmcnt(2) lgkmcnt(0)
	v_mul_f64 v[18:19], v[12:13], v[14:15]
	v_mul_f64 v[14:15], v[10:11], v[14:15]
	s_waitcnt vmcnt(0)
	v_fma_f64 v[10:11], v[10:11], v[16:17], -v[18:19]
	v_fma_f64 v[12:13], v[12:13], v[16:17], v[14:15]
	v_add_f64 v[3:4], v[3:4], v[10:11]
	v_add_f64 v[1:2], v[1:2], v[12:13]
	s_andn2_b32 exec_lo, exec_lo, s5
	s_cbranch_execnz .LBB49_109
; %bb.110:
	s_or_b32 exec_lo, exec_lo, s5
	v_mov_b32_e32 v7, 0
	ds_read_b128 v[7:10], v7 offset:384
	s_waitcnt lgkmcnt(0)
	v_mul_f64 v[11:12], v[1:2], v[9:10]
	v_mul_f64 v[9:10], v[3:4], v[9:10]
	v_fma_f64 v[3:4], v[3:4], v[7:8], -v[11:12]
	v_fma_f64 v[1:2], v[1:2], v[7:8], v[9:10]
	buffer_store_dword v4, off, s[0:3], 0 offset:404
	buffer_store_dword v3, off, s[0:3], 0 offset:400
	;; [unrolled: 1-line block ×4, first 2 shown]
.LBB49_111:
	s_or_b32 exec_lo, exec_lo, s4
	v_mov_b32_e32 v4, s40
	s_waitcnt_vscnt null, 0x0
	s_barrier
	buffer_gl0_inv
	s_mov_b32 s4, exec_lo
	s_clause 0x3
	buffer_load_dword v1, v4, s[0:3], 0 offen
	buffer_load_dword v2, v4, s[0:3], 0 offen offset:4
	buffer_load_dword v3, v4, s[0:3], 0 offen offset:8
	;; [unrolled: 1-line block ×3, first 2 shown]
	s_waitcnt vmcnt(0)
	ds_write_b128 v5, v[1:4]
	s_waitcnt lgkmcnt(0)
	s_barrier
	buffer_gl0_inv
	v_cmpx_gt_u32_e32 25, v0
	s_cbranch_execz .LBB49_115
; %bb.112:
	v_mov_b32_e32 v1, 0
	v_mov_b32_e32 v3, 0
	v_add_nc_u32_e32 v7, -1, v0
	v_add_nc_u32_e32 v8, 0x320, v145
	v_mov_b32_e32 v2, 0
	v_mov_b32_e32 v4, 0
	v_add_nc_u32_e32 v9, 16, v145
	s_mov_b32 s5, 0
	.p2align	6
.LBB49_113:                             ; =>This Inner Loop Header: Depth=1
	s_clause 0x3
	buffer_load_dword v14, v9, s[0:3], 0 offen offset:8
	buffer_load_dword v15, v9, s[0:3], 0 offen offset:12
	buffer_load_dword v16, v9, s[0:3], 0 offen
	buffer_load_dword v17, v9, s[0:3], 0 offen offset:4
	ds_read_b128 v[10:13], v8
	v_add_nc_u32_e32 v7, 1, v7
	v_add_nc_u32_e32 v8, 16, v8
	;; [unrolled: 1-line block ×3, first 2 shown]
	v_cmp_lt_u32_e32 vcc_lo, 23, v7
	s_or_b32 s5, vcc_lo, s5
	s_waitcnt vmcnt(2) lgkmcnt(0)
	v_mul_f64 v[18:19], v[12:13], v[14:15]
	v_mul_f64 v[14:15], v[10:11], v[14:15]
	s_waitcnt vmcnt(0)
	v_fma_f64 v[10:11], v[10:11], v[16:17], -v[18:19]
	v_fma_f64 v[12:13], v[12:13], v[16:17], v[14:15]
	v_add_f64 v[3:4], v[3:4], v[10:11]
	v_add_f64 v[1:2], v[1:2], v[12:13]
	s_andn2_b32 exec_lo, exec_lo, s5
	s_cbranch_execnz .LBB49_113
; %bb.114:
	s_or_b32 exec_lo, exec_lo, s5
	v_mov_b32_e32 v7, 0
	ds_read_b128 v[7:10], v7 offset:400
	s_waitcnt lgkmcnt(0)
	v_mul_f64 v[11:12], v[1:2], v[9:10]
	v_mul_f64 v[9:10], v[3:4], v[9:10]
	v_fma_f64 v[3:4], v[3:4], v[7:8], -v[11:12]
	v_fma_f64 v[1:2], v[1:2], v[7:8], v[9:10]
	buffer_store_dword v4, off, s[0:3], 0 offset:420
	buffer_store_dword v3, off, s[0:3], 0 offset:416
	buffer_store_dword v2, off, s[0:3], 0 offset:428
	buffer_store_dword v1, off, s[0:3], 0 offset:424
.LBB49_115:
	s_or_b32 exec_lo, exec_lo, s4
	v_mov_b32_e32 v4, s41
	s_waitcnt_vscnt null, 0x0
	s_barrier
	buffer_gl0_inv
	s_mov_b32 s4, exec_lo
	s_clause 0x3
	buffer_load_dword v1, v4, s[0:3], 0 offen
	buffer_load_dword v2, v4, s[0:3], 0 offen offset:4
	buffer_load_dword v3, v4, s[0:3], 0 offen offset:8
	;; [unrolled: 1-line block ×3, first 2 shown]
	s_waitcnt vmcnt(0)
	ds_write_b128 v5, v[1:4]
	s_waitcnt lgkmcnt(0)
	s_barrier
	buffer_gl0_inv
	v_cmpx_gt_u32_e32 26, v0
	s_cbranch_execz .LBB49_119
; %bb.116:
	v_mov_b32_e32 v1, 0
	v_mov_b32_e32 v3, 0
	v_add_nc_u32_e32 v7, -1, v0
	v_add_nc_u32_e32 v8, 0x320, v145
	v_mov_b32_e32 v2, 0
	v_mov_b32_e32 v4, 0
	v_add_nc_u32_e32 v9, 16, v145
	s_mov_b32 s5, 0
	.p2align	6
.LBB49_117:                             ; =>This Inner Loop Header: Depth=1
	s_clause 0x3
	buffer_load_dword v14, v9, s[0:3], 0 offen offset:8
	buffer_load_dword v15, v9, s[0:3], 0 offen offset:12
	buffer_load_dword v16, v9, s[0:3], 0 offen
	buffer_load_dword v17, v9, s[0:3], 0 offen offset:4
	ds_read_b128 v[10:13], v8
	v_add_nc_u32_e32 v7, 1, v7
	v_add_nc_u32_e32 v8, 16, v8
	;; [unrolled: 1-line block ×3, first 2 shown]
	v_cmp_lt_u32_e32 vcc_lo, 24, v7
	s_or_b32 s5, vcc_lo, s5
	s_waitcnt vmcnt(2) lgkmcnt(0)
	v_mul_f64 v[18:19], v[12:13], v[14:15]
	v_mul_f64 v[14:15], v[10:11], v[14:15]
	s_waitcnt vmcnt(0)
	v_fma_f64 v[10:11], v[10:11], v[16:17], -v[18:19]
	v_fma_f64 v[12:13], v[12:13], v[16:17], v[14:15]
	v_add_f64 v[3:4], v[3:4], v[10:11]
	v_add_f64 v[1:2], v[1:2], v[12:13]
	s_andn2_b32 exec_lo, exec_lo, s5
	s_cbranch_execnz .LBB49_117
; %bb.118:
	s_or_b32 exec_lo, exec_lo, s5
	v_mov_b32_e32 v7, 0
	ds_read_b128 v[7:10], v7 offset:416
	s_waitcnt lgkmcnt(0)
	v_mul_f64 v[11:12], v[1:2], v[9:10]
	v_mul_f64 v[9:10], v[3:4], v[9:10]
	v_fma_f64 v[3:4], v[3:4], v[7:8], -v[11:12]
	v_fma_f64 v[1:2], v[1:2], v[7:8], v[9:10]
	buffer_store_dword v4, off, s[0:3], 0 offset:436
	buffer_store_dword v3, off, s[0:3], 0 offset:432
	;; [unrolled: 1-line block ×4, first 2 shown]
.LBB49_119:
	s_or_b32 exec_lo, exec_lo, s4
	v_mov_b32_e32 v4, s27
	s_waitcnt_vscnt null, 0x0
	s_barrier
	buffer_gl0_inv
	s_mov_b32 s4, exec_lo
	s_clause 0x3
	buffer_load_dword v1, v4, s[0:3], 0 offen
	buffer_load_dword v2, v4, s[0:3], 0 offen offset:4
	buffer_load_dword v3, v4, s[0:3], 0 offen offset:8
	;; [unrolled: 1-line block ×3, first 2 shown]
	s_waitcnt vmcnt(0)
	ds_write_b128 v5, v[1:4]
	s_waitcnt lgkmcnt(0)
	s_barrier
	buffer_gl0_inv
	v_cmpx_gt_u32_e32 27, v0
	s_cbranch_execz .LBB49_123
; %bb.120:
	v_mov_b32_e32 v1, 0
	v_mov_b32_e32 v3, 0
	v_add_nc_u32_e32 v7, -1, v0
	v_add_nc_u32_e32 v8, 0x320, v145
	v_mov_b32_e32 v2, 0
	v_mov_b32_e32 v4, 0
	v_add_nc_u32_e32 v9, 16, v145
	s_mov_b32 s5, 0
	.p2align	6
.LBB49_121:                             ; =>This Inner Loop Header: Depth=1
	s_clause 0x3
	buffer_load_dword v14, v9, s[0:3], 0 offen offset:8
	buffer_load_dword v15, v9, s[0:3], 0 offen offset:12
	buffer_load_dword v16, v9, s[0:3], 0 offen
	buffer_load_dword v17, v9, s[0:3], 0 offen offset:4
	ds_read_b128 v[10:13], v8
	v_add_nc_u32_e32 v7, 1, v7
	v_add_nc_u32_e32 v8, 16, v8
	;; [unrolled: 1-line block ×3, first 2 shown]
	v_cmp_lt_u32_e32 vcc_lo, 25, v7
	s_or_b32 s5, vcc_lo, s5
	s_waitcnt vmcnt(2) lgkmcnt(0)
	v_mul_f64 v[18:19], v[12:13], v[14:15]
	v_mul_f64 v[14:15], v[10:11], v[14:15]
	s_waitcnt vmcnt(0)
	v_fma_f64 v[10:11], v[10:11], v[16:17], -v[18:19]
	v_fma_f64 v[12:13], v[12:13], v[16:17], v[14:15]
	v_add_f64 v[3:4], v[3:4], v[10:11]
	v_add_f64 v[1:2], v[1:2], v[12:13]
	s_andn2_b32 exec_lo, exec_lo, s5
	s_cbranch_execnz .LBB49_121
; %bb.122:
	s_or_b32 exec_lo, exec_lo, s5
	v_mov_b32_e32 v7, 0
	ds_read_b128 v[7:10], v7 offset:432
	s_waitcnt lgkmcnt(0)
	v_mul_f64 v[11:12], v[1:2], v[9:10]
	v_mul_f64 v[9:10], v[3:4], v[9:10]
	v_fma_f64 v[3:4], v[3:4], v[7:8], -v[11:12]
	v_fma_f64 v[1:2], v[1:2], v[7:8], v[9:10]
	buffer_store_dword v4, off, s[0:3], 0 offset:452
	buffer_store_dword v3, off, s[0:3], 0 offset:448
	;; [unrolled: 1-line block ×4, first 2 shown]
.LBB49_123:
	s_or_b32 exec_lo, exec_lo, s4
	v_mov_b32_e32 v4, s30
	s_waitcnt_vscnt null, 0x0
	s_barrier
	buffer_gl0_inv
	s_mov_b32 s4, exec_lo
	s_clause 0x3
	buffer_load_dword v1, v4, s[0:3], 0 offen
	buffer_load_dword v2, v4, s[0:3], 0 offen offset:4
	buffer_load_dword v3, v4, s[0:3], 0 offen offset:8
	;; [unrolled: 1-line block ×3, first 2 shown]
	s_waitcnt vmcnt(0)
	ds_write_b128 v5, v[1:4]
	s_waitcnt lgkmcnt(0)
	s_barrier
	buffer_gl0_inv
	v_cmpx_gt_u32_e32 28, v0
	s_cbranch_execz .LBB49_127
; %bb.124:
	v_mov_b32_e32 v1, 0
	v_mov_b32_e32 v3, 0
	v_add_nc_u32_e32 v7, -1, v0
	v_add_nc_u32_e32 v8, 0x320, v145
	v_mov_b32_e32 v2, 0
	v_mov_b32_e32 v4, 0
	v_add_nc_u32_e32 v9, 16, v145
	s_mov_b32 s5, 0
	.p2align	6
.LBB49_125:                             ; =>This Inner Loop Header: Depth=1
	s_clause 0x3
	buffer_load_dword v14, v9, s[0:3], 0 offen offset:8
	buffer_load_dword v15, v9, s[0:3], 0 offen offset:12
	buffer_load_dword v16, v9, s[0:3], 0 offen
	buffer_load_dword v17, v9, s[0:3], 0 offen offset:4
	ds_read_b128 v[10:13], v8
	v_add_nc_u32_e32 v7, 1, v7
	v_add_nc_u32_e32 v8, 16, v8
	;; [unrolled: 1-line block ×3, first 2 shown]
	v_cmp_lt_u32_e32 vcc_lo, 26, v7
	s_or_b32 s5, vcc_lo, s5
	s_waitcnt vmcnt(2) lgkmcnt(0)
	v_mul_f64 v[18:19], v[12:13], v[14:15]
	v_mul_f64 v[14:15], v[10:11], v[14:15]
	s_waitcnt vmcnt(0)
	v_fma_f64 v[10:11], v[10:11], v[16:17], -v[18:19]
	v_fma_f64 v[12:13], v[12:13], v[16:17], v[14:15]
	v_add_f64 v[3:4], v[3:4], v[10:11]
	v_add_f64 v[1:2], v[1:2], v[12:13]
	s_andn2_b32 exec_lo, exec_lo, s5
	s_cbranch_execnz .LBB49_125
; %bb.126:
	s_or_b32 exec_lo, exec_lo, s5
	v_mov_b32_e32 v7, 0
	ds_read_b128 v[7:10], v7 offset:448
	s_waitcnt lgkmcnt(0)
	v_mul_f64 v[11:12], v[1:2], v[9:10]
	v_mul_f64 v[9:10], v[3:4], v[9:10]
	v_fma_f64 v[3:4], v[3:4], v[7:8], -v[11:12]
	v_fma_f64 v[1:2], v[1:2], v[7:8], v[9:10]
	buffer_store_dword v4, off, s[0:3], 0 offset:468
	buffer_store_dword v3, off, s[0:3], 0 offset:464
	;; [unrolled: 1-line block ×4, first 2 shown]
.LBB49_127:
	s_or_b32 exec_lo, exec_lo, s4
	v_mov_b32_e32 v4, s31
	s_waitcnt_vscnt null, 0x0
	s_barrier
	buffer_gl0_inv
	s_mov_b32 s4, exec_lo
	s_clause 0x3
	buffer_load_dword v1, v4, s[0:3], 0 offen
	buffer_load_dword v2, v4, s[0:3], 0 offen offset:4
	buffer_load_dword v3, v4, s[0:3], 0 offen offset:8
	;; [unrolled: 1-line block ×3, first 2 shown]
	s_waitcnt vmcnt(0)
	ds_write_b128 v5, v[1:4]
	s_waitcnt lgkmcnt(0)
	s_barrier
	buffer_gl0_inv
	v_cmpx_gt_u32_e32 29, v0
	s_cbranch_execz .LBB49_131
; %bb.128:
	v_mov_b32_e32 v1, 0
	v_mov_b32_e32 v3, 0
	v_add_nc_u32_e32 v7, -1, v0
	v_add_nc_u32_e32 v8, 0x320, v145
	v_mov_b32_e32 v2, 0
	v_mov_b32_e32 v4, 0
	v_add_nc_u32_e32 v9, 16, v145
	s_mov_b32 s5, 0
	.p2align	6
.LBB49_129:                             ; =>This Inner Loop Header: Depth=1
	s_clause 0x3
	buffer_load_dword v14, v9, s[0:3], 0 offen offset:8
	buffer_load_dword v15, v9, s[0:3], 0 offen offset:12
	buffer_load_dword v16, v9, s[0:3], 0 offen
	buffer_load_dword v17, v9, s[0:3], 0 offen offset:4
	ds_read_b128 v[10:13], v8
	v_add_nc_u32_e32 v7, 1, v7
	v_add_nc_u32_e32 v8, 16, v8
	;; [unrolled: 1-line block ×3, first 2 shown]
	v_cmp_lt_u32_e32 vcc_lo, 27, v7
	s_or_b32 s5, vcc_lo, s5
	s_waitcnt vmcnt(2) lgkmcnt(0)
	v_mul_f64 v[18:19], v[12:13], v[14:15]
	v_mul_f64 v[14:15], v[10:11], v[14:15]
	s_waitcnt vmcnt(0)
	v_fma_f64 v[10:11], v[10:11], v[16:17], -v[18:19]
	v_fma_f64 v[12:13], v[12:13], v[16:17], v[14:15]
	v_add_f64 v[3:4], v[3:4], v[10:11]
	v_add_f64 v[1:2], v[1:2], v[12:13]
	s_andn2_b32 exec_lo, exec_lo, s5
	s_cbranch_execnz .LBB49_129
; %bb.130:
	s_or_b32 exec_lo, exec_lo, s5
	v_mov_b32_e32 v7, 0
	ds_read_b128 v[7:10], v7 offset:464
	s_waitcnt lgkmcnt(0)
	v_mul_f64 v[11:12], v[1:2], v[9:10]
	v_mul_f64 v[9:10], v[3:4], v[9:10]
	v_fma_f64 v[3:4], v[3:4], v[7:8], -v[11:12]
	v_fma_f64 v[1:2], v[1:2], v[7:8], v[9:10]
	buffer_store_dword v4, off, s[0:3], 0 offset:484
	buffer_store_dword v3, off, s[0:3], 0 offset:480
	buffer_store_dword v2, off, s[0:3], 0 offset:492
	buffer_store_dword v1, off, s[0:3], 0 offset:488
.LBB49_131:
	s_or_b32 exec_lo, exec_lo, s4
	v_mov_b32_e32 v4, s35
	s_waitcnt_vscnt null, 0x0
	s_barrier
	buffer_gl0_inv
	s_mov_b32 s4, exec_lo
	s_clause 0x3
	buffer_load_dword v1, v4, s[0:3], 0 offen
	buffer_load_dword v2, v4, s[0:3], 0 offen offset:4
	buffer_load_dword v3, v4, s[0:3], 0 offen offset:8
	;; [unrolled: 1-line block ×3, first 2 shown]
	s_waitcnt vmcnt(0)
	ds_write_b128 v5, v[1:4]
	s_waitcnt lgkmcnt(0)
	s_barrier
	buffer_gl0_inv
	v_cmpx_gt_u32_e32 30, v0
	s_cbranch_execz .LBB49_135
; %bb.132:
	v_mov_b32_e32 v1, 0
	v_mov_b32_e32 v3, 0
	v_add_nc_u32_e32 v7, -1, v0
	v_add_nc_u32_e32 v8, 0x320, v145
	v_mov_b32_e32 v2, 0
	v_mov_b32_e32 v4, 0
	v_add_nc_u32_e32 v9, 16, v145
	s_mov_b32 s5, 0
	.p2align	6
.LBB49_133:                             ; =>This Inner Loop Header: Depth=1
	s_clause 0x3
	buffer_load_dword v14, v9, s[0:3], 0 offen offset:8
	buffer_load_dword v15, v9, s[0:3], 0 offen offset:12
	buffer_load_dword v16, v9, s[0:3], 0 offen
	buffer_load_dword v17, v9, s[0:3], 0 offen offset:4
	ds_read_b128 v[10:13], v8
	v_add_nc_u32_e32 v7, 1, v7
	v_add_nc_u32_e32 v8, 16, v8
	;; [unrolled: 1-line block ×3, first 2 shown]
	v_cmp_lt_u32_e32 vcc_lo, 28, v7
	s_or_b32 s5, vcc_lo, s5
	s_waitcnt vmcnt(2) lgkmcnt(0)
	v_mul_f64 v[18:19], v[12:13], v[14:15]
	v_mul_f64 v[14:15], v[10:11], v[14:15]
	s_waitcnt vmcnt(0)
	v_fma_f64 v[10:11], v[10:11], v[16:17], -v[18:19]
	v_fma_f64 v[12:13], v[12:13], v[16:17], v[14:15]
	v_add_f64 v[3:4], v[3:4], v[10:11]
	v_add_f64 v[1:2], v[1:2], v[12:13]
	s_andn2_b32 exec_lo, exec_lo, s5
	s_cbranch_execnz .LBB49_133
; %bb.134:
	s_or_b32 exec_lo, exec_lo, s5
	v_mov_b32_e32 v7, 0
	ds_read_b128 v[7:10], v7 offset:480
	s_waitcnt lgkmcnt(0)
	v_mul_f64 v[11:12], v[1:2], v[9:10]
	v_mul_f64 v[9:10], v[3:4], v[9:10]
	v_fma_f64 v[3:4], v[3:4], v[7:8], -v[11:12]
	v_fma_f64 v[1:2], v[1:2], v[7:8], v[9:10]
	buffer_store_dword v4, off, s[0:3], 0 offset:500
	buffer_store_dword v3, off, s[0:3], 0 offset:496
	;; [unrolled: 1-line block ×4, first 2 shown]
.LBB49_135:
	s_or_b32 exec_lo, exec_lo, s4
	v_mov_b32_e32 v4, s34
	s_waitcnt_vscnt null, 0x0
	s_barrier
	buffer_gl0_inv
	s_mov_b32 s4, exec_lo
	s_clause 0x3
	buffer_load_dword v1, v4, s[0:3], 0 offen
	buffer_load_dword v2, v4, s[0:3], 0 offen offset:4
	buffer_load_dword v3, v4, s[0:3], 0 offen offset:8
	;; [unrolled: 1-line block ×3, first 2 shown]
	s_waitcnt vmcnt(0)
	ds_write_b128 v5, v[1:4]
	s_waitcnt lgkmcnt(0)
	s_barrier
	buffer_gl0_inv
	v_cmpx_gt_u32_e32 31, v0
	s_cbranch_execz .LBB49_139
; %bb.136:
	v_mov_b32_e32 v1, 0
	v_mov_b32_e32 v3, 0
	v_add_nc_u32_e32 v7, -1, v0
	v_add_nc_u32_e32 v8, 0x320, v145
	v_mov_b32_e32 v2, 0
	v_mov_b32_e32 v4, 0
	v_add_nc_u32_e32 v9, 16, v145
	s_mov_b32 s5, 0
	.p2align	6
.LBB49_137:                             ; =>This Inner Loop Header: Depth=1
	s_clause 0x3
	buffer_load_dword v14, v9, s[0:3], 0 offen offset:8
	buffer_load_dword v15, v9, s[0:3], 0 offen offset:12
	buffer_load_dword v16, v9, s[0:3], 0 offen
	buffer_load_dword v17, v9, s[0:3], 0 offen offset:4
	ds_read_b128 v[10:13], v8
	v_add_nc_u32_e32 v7, 1, v7
	v_add_nc_u32_e32 v8, 16, v8
	;; [unrolled: 1-line block ×3, first 2 shown]
	v_cmp_lt_u32_e32 vcc_lo, 29, v7
	s_or_b32 s5, vcc_lo, s5
	s_waitcnt vmcnt(2) lgkmcnt(0)
	v_mul_f64 v[18:19], v[12:13], v[14:15]
	v_mul_f64 v[14:15], v[10:11], v[14:15]
	s_waitcnt vmcnt(0)
	v_fma_f64 v[10:11], v[10:11], v[16:17], -v[18:19]
	v_fma_f64 v[12:13], v[12:13], v[16:17], v[14:15]
	v_add_f64 v[3:4], v[3:4], v[10:11]
	v_add_f64 v[1:2], v[1:2], v[12:13]
	s_andn2_b32 exec_lo, exec_lo, s5
	s_cbranch_execnz .LBB49_137
; %bb.138:
	s_or_b32 exec_lo, exec_lo, s5
	v_mov_b32_e32 v7, 0
	ds_read_b128 v[7:10], v7 offset:496
	s_waitcnt lgkmcnt(0)
	v_mul_f64 v[11:12], v[1:2], v[9:10]
	v_mul_f64 v[9:10], v[3:4], v[9:10]
	v_fma_f64 v[3:4], v[3:4], v[7:8], -v[11:12]
	v_fma_f64 v[1:2], v[1:2], v[7:8], v[9:10]
	buffer_store_dword v4, off, s[0:3], 0 offset:516
	buffer_store_dword v3, off, s[0:3], 0 offset:512
	;; [unrolled: 1-line block ×4, first 2 shown]
.LBB49_139:
	s_or_b32 exec_lo, exec_lo, s4
	v_mov_b32_e32 v4, s38
	s_waitcnt_vscnt null, 0x0
	s_barrier
	buffer_gl0_inv
	s_mov_b32 s4, exec_lo
	s_clause 0x3
	buffer_load_dword v1, v4, s[0:3], 0 offen
	buffer_load_dword v2, v4, s[0:3], 0 offen offset:4
	buffer_load_dword v3, v4, s[0:3], 0 offen offset:8
	buffer_load_dword v4, v4, s[0:3], 0 offen offset:12
	s_waitcnt vmcnt(0)
	ds_write_b128 v5, v[1:4]
	s_waitcnt lgkmcnt(0)
	s_barrier
	buffer_gl0_inv
	v_cmpx_gt_u32_e32 32, v0
	s_cbranch_execz .LBB49_143
; %bb.140:
	v_mov_b32_e32 v1, 0
	v_mov_b32_e32 v3, 0
	v_add_nc_u32_e32 v7, -1, v0
	v_add_nc_u32_e32 v8, 0x320, v145
	v_mov_b32_e32 v2, 0
	v_mov_b32_e32 v4, 0
	v_add_nc_u32_e32 v9, 16, v145
	s_mov_b32 s5, 0
	.p2align	6
.LBB49_141:                             ; =>This Inner Loop Header: Depth=1
	s_clause 0x3
	buffer_load_dword v14, v9, s[0:3], 0 offen offset:8
	buffer_load_dword v15, v9, s[0:3], 0 offen offset:12
	buffer_load_dword v16, v9, s[0:3], 0 offen
	buffer_load_dword v17, v9, s[0:3], 0 offen offset:4
	ds_read_b128 v[10:13], v8
	v_add_nc_u32_e32 v7, 1, v7
	v_add_nc_u32_e32 v8, 16, v8
	;; [unrolled: 1-line block ×3, first 2 shown]
	v_cmp_lt_u32_e32 vcc_lo, 30, v7
	s_or_b32 s5, vcc_lo, s5
	s_waitcnt vmcnt(2) lgkmcnt(0)
	v_mul_f64 v[18:19], v[12:13], v[14:15]
	v_mul_f64 v[14:15], v[10:11], v[14:15]
	s_waitcnt vmcnt(0)
	v_fma_f64 v[10:11], v[10:11], v[16:17], -v[18:19]
	v_fma_f64 v[12:13], v[12:13], v[16:17], v[14:15]
	v_add_f64 v[3:4], v[3:4], v[10:11]
	v_add_f64 v[1:2], v[1:2], v[12:13]
	s_andn2_b32 exec_lo, exec_lo, s5
	s_cbranch_execnz .LBB49_141
; %bb.142:
	s_or_b32 exec_lo, exec_lo, s5
	v_mov_b32_e32 v7, 0
	ds_read_b128 v[7:10], v7 offset:512
	s_waitcnt lgkmcnt(0)
	v_mul_f64 v[11:12], v[1:2], v[9:10]
	v_mul_f64 v[9:10], v[3:4], v[9:10]
	v_fma_f64 v[3:4], v[3:4], v[7:8], -v[11:12]
	v_fma_f64 v[1:2], v[1:2], v[7:8], v[9:10]
	buffer_store_dword v4, off, s[0:3], 0 offset:532
	buffer_store_dword v3, off, s[0:3], 0 offset:528
	;; [unrolled: 1-line block ×4, first 2 shown]
.LBB49_143:
	s_or_b32 exec_lo, exec_lo, s4
	v_mov_b32_e32 v4, s19
	s_waitcnt_vscnt null, 0x0
	s_barrier
	buffer_gl0_inv
	s_mov_b32 s4, exec_lo
	s_clause 0x3
	buffer_load_dword v1, v4, s[0:3], 0 offen
	buffer_load_dword v2, v4, s[0:3], 0 offen offset:4
	buffer_load_dword v3, v4, s[0:3], 0 offen offset:8
	;; [unrolled: 1-line block ×3, first 2 shown]
	s_waitcnt vmcnt(0)
	ds_write_b128 v5, v[1:4]
	s_waitcnt lgkmcnt(0)
	s_barrier
	buffer_gl0_inv
	v_cmpx_gt_u32_e32 33, v0
	s_cbranch_execz .LBB49_147
; %bb.144:
	v_mov_b32_e32 v1, 0
	v_mov_b32_e32 v3, 0
	v_add_nc_u32_e32 v7, -1, v0
	v_add_nc_u32_e32 v8, 0x320, v145
	v_mov_b32_e32 v2, 0
	v_mov_b32_e32 v4, 0
	v_add_nc_u32_e32 v9, 16, v145
	s_mov_b32 s5, 0
	.p2align	6
.LBB49_145:                             ; =>This Inner Loop Header: Depth=1
	s_clause 0x3
	buffer_load_dword v14, v9, s[0:3], 0 offen offset:8
	buffer_load_dword v15, v9, s[0:3], 0 offen offset:12
	buffer_load_dword v16, v9, s[0:3], 0 offen
	buffer_load_dword v17, v9, s[0:3], 0 offen offset:4
	ds_read_b128 v[10:13], v8
	v_add_nc_u32_e32 v7, 1, v7
	v_add_nc_u32_e32 v8, 16, v8
	;; [unrolled: 1-line block ×3, first 2 shown]
	v_cmp_lt_u32_e32 vcc_lo, 31, v7
	s_or_b32 s5, vcc_lo, s5
	s_waitcnt vmcnt(2) lgkmcnt(0)
	v_mul_f64 v[18:19], v[12:13], v[14:15]
	v_mul_f64 v[14:15], v[10:11], v[14:15]
	s_waitcnt vmcnt(0)
	v_fma_f64 v[10:11], v[10:11], v[16:17], -v[18:19]
	v_fma_f64 v[12:13], v[12:13], v[16:17], v[14:15]
	v_add_f64 v[3:4], v[3:4], v[10:11]
	v_add_f64 v[1:2], v[1:2], v[12:13]
	s_andn2_b32 exec_lo, exec_lo, s5
	s_cbranch_execnz .LBB49_145
; %bb.146:
	s_or_b32 exec_lo, exec_lo, s5
	v_mov_b32_e32 v7, 0
	ds_read_b128 v[7:10], v7 offset:528
	s_waitcnt lgkmcnt(0)
	v_mul_f64 v[11:12], v[1:2], v[9:10]
	v_mul_f64 v[9:10], v[3:4], v[9:10]
	v_fma_f64 v[3:4], v[3:4], v[7:8], -v[11:12]
	v_fma_f64 v[1:2], v[1:2], v[7:8], v[9:10]
	buffer_store_dword v4, off, s[0:3], 0 offset:548
	buffer_store_dword v3, off, s[0:3], 0 offset:544
	;; [unrolled: 1-line block ×4, first 2 shown]
.LBB49_147:
	s_or_b32 exec_lo, exec_lo, s4
	v_mov_b32_e32 v4, s24
	s_waitcnt_vscnt null, 0x0
	s_barrier
	buffer_gl0_inv
	s_mov_b32 s4, exec_lo
	s_clause 0x3
	buffer_load_dword v1, v4, s[0:3], 0 offen
	buffer_load_dword v2, v4, s[0:3], 0 offen offset:4
	buffer_load_dword v3, v4, s[0:3], 0 offen offset:8
	;; [unrolled: 1-line block ×3, first 2 shown]
	s_waitcnt vmcnt(0)
	ds_write_b128 v5, v[1:4]
	s_waitcnt lgkmcnt(0)
	s_barrier
	buffer_gl0_inv
	v_cmpx_gt_u32_e32 34, v0
	s_cbranch_execz .LBB49_151
; %bb.148:
	v_mov_b32_e32 v1, 0
	v_mov_b32_e32 v3, 0
	v_add_nc_u32_e32 v7, -1, v0
	v_add_nc_u32_e32 v8, 0x320, v145
	v_mov_b32_e32 v2, 0
	v_mov_b32_e32 v4, 0
	v_add_nc_u32_e32 v9, 16, v145
	s_mov_b32 s5, 0
	.p2align	6
.LBB49_149:                             ; =>This Inner Loop Header: Depth=1
	s_clause 0x3
	buffer_load_dword v14, v9, s[0:3], 0 offen offset:8
	buffer_load_dword v15, v9, s[0:3], 0 offen offset:12
	buffer_load_dword v16, v9, s[0:3], 0 offen
	buffer_load_dword v17, v9, s[0:3], 0 offen offset:4
	ds_read_b128 v[10:13], v8
	v_add_nc_u32_e32 v7, 1, v7
	v_add_nc_u32_e32 v8, 16, v8
	v_add_nc_u32_e32 v9, 16, v9
	v_cmp_lt_u32_e32 vcc_lo, 32, v7
	s_or_b32 s5, vcc_lo, s5
	s_waitcnt vmcnt(2) lgkmcnt(0)
	v_mul_f64 v[18:19], v[12:13], v[14:15]
	v_mul_f64 v[14:15], v[10:11], v[14:15]
	s_waitcnt vmcnt(0)
	v_fma_f64 v[10:11], v[10:11], v[16:17], -v[18:19]
	v_fma_f64 v[12:13], v[12:13], v[16:17], v[14:15]
	v_add_f64 v[3:4], v[3:4], v[10:11]
	v_add_f64 v[1:2], v[1:2], v[12:13]
	s_andn2_b32 exec_lo, exec_lo, s5
	s_cbranch_execnz .LBB49_149
; %bb.150:
	s_or_b32 exec_lo, exec_lo, s5
	v_mov_b32_e32 v7, 0
	ds_read_b128 v[7:10], v7 offset:544
	s_waitcnt lgkmcnt(0)
	v_mul_f64 v[11:12], v[1:2], v[9:10]
	v_mul_f64 v[9:10], v[3:4], v[9:10]
	v_fma_f64 v[3:4], v[3:4], v[7:8], -v[11:12]
	v_fma_f64 v[1:2], v[1:2], v[7:8], v[9:10]
	buffer_store_dword v4, off, s[0:3], 0 offset:564
	buffer_store_dword v3, off, s[0:3], 0 offset:560
	;; [unrolled: 1-line block ×4, first 2 shown]
.LBB49_151:
	s_or_b32 exec_lo, exec_lo, s4
	v_mov_b32_e32 v4, s25
	s_waitcnt_vscnt null, 0x0
	s_barrier
	buffer_gl0_inv
	s_mov_b32 s4, exec_lo
	s_clause 0x3
	buffer_load_dword v1, v4, s[0:3], 0 offen
	buffer_load_dword v2, v4, s[0:3], 0 offen offset:4
	buffer_load_dword v3, v4, s[0:3], 0 offen offset:8
	;; [unrolled: 1-line block ×3, first 2 shown]
	s_waitcnt vmcnt(0)
	ds_write_b128 v5, v[1:4]
	s_waitcnt lgkmcnt(0)
	s_barrier
	buffer_gl0_inv
	v_cmpx_gt_u32_e32 35, v0
	s_cbranch_execz .LBB49_155
; %bb.152:
	v_mov_b32_e32 v1, 0
	v_mov_b32_e32 v3, 0
	v_add_nc_u32_e32 v7, -1, v0
	v_add_nc_u32_e32 v8, 0x320, v145
	v_mov_b32_e32 v2, 0
	v_mov_b32_e32 v4, 0
	v_add_nc_u32_e32 v9, 16, v145
	s_mov_b32 s5, 0
	.p2align	6
.LBB49_153:                             ; =>This Inner Loop Header: Depth=1
	s_clause 0x3
	buffer_load_dword v14, v9, s[0:3], 0 offen offset:8
	buffer_load_dword v15, v9, s[0:3], 0 offen offset:12
	buffer_load_dword v16, v9, s[0:3], 0 offen
	buffer_load_dword v17, v9, s[0:3], 0 offen offset:4
	ds_read_b128 v[10:13], v8
	v_add_nc_u32_e32 v7, 1, v7
	v_add_nc_u32_e32 v8, 16, v8
	;; [unrolled: 1-line block ×3, first 2 shown]
	v_cmp_lt_u32_e32 vcc_lo, 33, v7
	s_or_b32 s5, vcc_lo, s5
	s_waitcnt vmcnt(2) lgkmcnt(0)
	v_mul_f64 v[18:19], v[12:13], v[14:15]
	v_mul_f64 v[14:15], v[10:11], v[14:15]
	s_waitcnt vmcnt(0)
	v_fma_f64 v[10:11], v[10:11], v[16:17], -v[18:19]
	v_fma_f64 v[12:13], v[12:13], v[16:17], v[14:15]
	v_add_f64 v[3:4], v[3:4], v[10:11]
	v_add_f64 v[1:2], v[1:2], v[12:13]
	s_andn2_b32 exec_lo, exec_lo, s5
	s_cbranch_execnz .LBB49_153
; %bb.154:
	s_or_b32 exec_lo, exec_lo, s5
	v_mov_b32_e32 v7, 0
	ds_read_b128 v[7:10], v7 offset:560
	s_waitcnt lgkmcnt(0)
	v_mul_f64 v[11:12], v[1:2], v[9:10]
	v_mul_f64 v[9:10], v[3:4], v[9:10]
	v_fma_f64 v[3:4], v[3:4], v[7:8], -v[11:12]
	v_fma_f64 v[1:2], v[1:2], v[7:8], v[9:10]
	buffer_store_dword v4, off, s[0:3], 0 offset:580
	buffer_store_dword v3, off, s[0:3], 0 offset:576
	;; [unrolled: 1-line block ×4, first 2 shown]
.LBB49_155:
	s_or_b32 exec_lo, exec_lo, s4
	v_mov_b32_e32 v4, s28
	s_waitcnt_vscnt null, 0x0
	s_barrier
	buffer_gl0_inv
	s_mov_b32 s4, exec_lo
	s_clause 0x3
	buffer_load_dword v1, v4, s[0:3], 0 offen
	buffer_load_dword v2, v4, s[0:3], 0 offen offset:4
	buffer_load_dword v3, v4, s[0:3], 0 offen offset:8
	;; [unrolled: 1-line block ×3, first 2 shown]
	s_waitcnt vmcnt(0)
	ds_write_b128 v5, v[1:4]
	s_waitcnt lgkmcnt(0)
	s_barrier
	buffer_gl0_inv
	v_cmpx_gt_u32_e32 36, v0
	s_cbranch_execz .LBB49_159
; %bb.156:
	v_mov_b32_e32 v1, 0
	v_mov_b32_e32 v3, 0
	v_add_nc_u32_e32 v7, -1, v0
	v_add_nc_u32_e32 v8, 0x320, v145
	v_mov_b32_e32 v2, 0
	v_mov_b32_e32 v4, 0
	v_add_nc_u32_e32 v9, 16, v145
	s_mov_b32 s5, 0
	.p2align	6
.LBB49_157:                             ; =>This Inner Loop Header: Depth=1
	s_clause 0x3
	buffer_load_dword v14, v9, s[0:3], 0 offen offset:8
	buffer_load_dword v15, v9, s[0:3], 0 offen offset:12
	buffer_load_dword v16, v9, s[0:3], 0 offen
	buffer_load_dword v17, v9, s[0:3], 0 offen offset:4
	ds_read_b128 v[10:13], v8
	v_add_nc_u32_e32 v7, 1, v7
	v_add_nc_u32_e32 v8, 16, v8
	;; [unrolled: 1-line block ×3, first 2 shown]
	v_cmp_lt_u32_e32 vcc_lo, 34, v7
	s_or_b32 s5, vcc_lo, s5
	s_waitcnt vmcnt(2) lgkmcnt(0)
	v_mul_f64 v[18:19], v[12:13], v[14:15]
	v_mul_f64 v[14:15], v[10:11], v[14:15]
	s_waitcnt vmcnt(0)
	v_fma_f64 v[10:11], v[10:11], v[16:17], -v[18:19]
	v_fma_f64 v[12:13], v[12:13], v[16:17], v[14:15]
	v_add_f64 v[3:4], v[3:4], v[10:11]
	v_add_f64 v[1:2], v[1:2], v[12:13]
	s_andn2_b32 exec_lo, exec_lo, s5
	s_cbranch_execnz .LBB49_157
; %bb.158:
	s_or_b32 exec_lo, exec_lo, s5
	v_mov_b32_e32 v7, 0
	ds_read_b128 v[7:10], v7 offset:576
	s_waitcnt lgkmcnt(0)
	v_mul_f64 v[11:12], v[1:2], v[9:10]
	v_mul_f64 v[9:10], v[3:4], v[9:10]
	v_fma_f64 v[3:4], v[3:4], v[7:8], -v[11:12]
	v_fma_f64 v[1:2], v[1:2], v[7:8], v[9:10]
	buffer_store_dword v4, off, s[0:3], 0 offset:596
	buffer_store_dword v3, off, s[0:3], 0 offset:592
	;; [unrolled: 1-line block ×4, first 2 shown]
.LBB49_159:
	s_or_b32 exec_lo, exec_lo, s4
	v_mov_b32_e32 v4, s26
	s_waitcnt_vscnt null, 0x0
	s_barrier
	buffer_gl0_inv
	s_mov_b32 s4, exec_lo
	s_clause 0x3
	buffer_load_dword v1, v4, s[0:3], 0 offen
	buffer_load_dword v2, v4, s[0:3], 0 offen offset:4
	buffer_load_dword v3, v4, s[0:3], 0 offen offset:8
	;; [unrolled: 1-line block ×3, first 2 shown]
	s_waitcnt vmcnt(0)
	ds_write_b128 v5, v[1:4]
	s_waitcnt lgkmcnt(0)
	s_barrier
	buffer_gl0_inv
	v_cmpx_gt_u32_e32 37, v0
	s_cbranch_execz .LBB49_163
; %bb.160:
	v_mov_b32_e32 v1, 0
	v_mov_b32_e32 v3, 0
	v_add_nc_u32_e32 v7, -1, v0
	v_add_nc_u32_e32 v8, 0x320, v145
	v_mov_b32_e32 v2, 0
	v_mov_b32_e32 v4, 0
	v_add_nc_u32_e32 v9, 16, v145
	s_mov_b32 s5, 0
	.p2align	6
.LBB49_161:                             ; =>This Inner Loop Header: Depth=1
	s_clause 0x3
	buffer_load_dword v14, v9, s[0:3], 0 offen offset:8
	buffer_load_dword v15, v9, s[0:3], 0 offen offset:12
	buffer_load_dword v16, v9, s[0:3], 0 offen
	buffer_load_dword v17, v9, s[0:3], 0 offen offset:4
	ds_read_b128 v[10:13], v8
	v_add_nc_u32_e32 v7, 1, v7
	v_add_nc_u32_e32 v8, 16, v8
	;; [unrolled: 1-line block ×3, first 2 shown]
	v_cmp_lt_u32_e32 vcc_lo, 35, v7
	s_or_b32 s5, vcc_lo, s5
	s_waitcnt vmcnt(2) lgkmcnt(0)
	v_mul_f64 v[18:19], v[12:13], v[14:15]
	v_mul_f64 v[14:15], v[10:11], v[14:15]
	s_waitcnt vmcnt(0)
	v_fma_f64 v[10:11], v[10:11], v[16:17], -v[18:19]
	v_fma_f64 v[12:13], v[12:13], v[16:17], v[14:15]
	v_add_f64 v[3:4], v[3:4], v[10:11]
	v_add_f64 v[1:2], v[1:2], v[12:13]
	s_andn2_b32 exec_lo, exec_lo, s5
	s_cbranch_execnz .LBB49_161
; %bb.162:
	s_or_b32 exec_lo, exec_lo, s5
	v_mov_b32_e32 v7, 0
	ds_read_b128 v[7:10], v7 offset:592
	s_waitcnt lgkmcnt(0)
	v_mul_f64 v[11:12], v[1:2], v[9:10]
	v_mul_f64 v[9:10], v[3:4], v[9:10]
	v_fma_f64 v[3:4], v[3:4], v[7:8], -v[11:12]
	v_fma_f64 v[1:2], v[1:2], v[7:8], v[9:10]
	buffer_store_dword v4, off, s[0:3], 0 offset:612
	buffer_store_dword v3, off, s[0:3], 0 offset:608
	;; [unrolled: 1-line block ×4, first 2 shown]
.LBB49_163:
	s_or_b32 exec_lo, exec_lo, s4
	v_mov_b32_e32 v4, s29
	s_waitcnt_vscnt null, 0x0
	s_barrier
	buffer_gl0_inv
	s_mov_b32 s4, exec_lo
	s_clause 0x3
	buffer_load_dword v1, v4, s[0:3], 0 offen
	buffer_load_dword v2, v4, s[0:3], 0 offen offset:4
	buffer_load_dword v3, v4, s[0:3], 0 offen offset:8
	buffer_load_dword v4, v4, s[0:3], 0 offen offset:12
	s_waitcnt vmcnt(0)
	ds_write_b128 v5, v[1:4]
	s_waitcnt lgkmcnt(0)
	s_barrier
	buffer_gl0_inv
	v_cmpx_gt_u32_e32 38, v0
	s_cbranch_execz .LBB49_167
; %bb.164:
	v_mov_b32_e32 v1, 0
	v_mov_b32_e32 v3, 0
	v_add_nc_u32_e32 v7, -1, v0
	v_add_nc_u32_e32 v8, 0x320, v145
	v_mov_b32_e32 v2, 0
	v_mov_b32_e32 v4, 0
	v_add_nc_u32_e32 v9, 16, v145
	s_mov_b32 s5, 0
	.p2align	6
.LBB49_165:                             ; =>This Inner Loop Header: Depth=1
	s_clause 0x3
	buffer_load_dword v14, v9, s[0:3], 0 offen offset:8
	buffer_load_dword v15, v9, s[0:3], 0 offen offset:12
	buffer_load_dword v16, v9, s[0:3], 0 offen
	buffer_load_dword v17, v9, s[0:3], 0 offen offset:4
	ds_read_b128 v[10:13], v8
	v_add_nc_u32_e32 v7, 1, v7
	v_add_nc_u32_e32 v8, 16, v8
	;; [unrolled: 1-line block ×3, first 2 shown]
	v_cmp_lt_u32_e32 vcc_lo, 36, v7
	s_or_b32 s5, vcc_lo, s5
	s_waitcnt vmcnt(2) lgkmcnt(0)
	v_mul_f64 v[18:19], v[12:13], v[14:15]
	v_mul_f64 v[14:15], v[10:11], v[14:15]
	s_waitcnt vmcnt(0)
	v_fma_f64 v[10:11], v[10:11], v[16:17], -v[18:19]
	v_fma_f64 v[12:13], v[12:13], v[16:17], v[14:15]
	v_add_f64 v[3:4], v[3:4], v[10:11]
	v_add_f64 v[1:2], v[1:2], v[12:13]
	s_andn2_b32 exec_lo, exec_lo, s5
	s_cbranch_execnz .LBB49_165
; %bb.166:
	s_or_b32 exec_lo, exec_lo, s5
	v_mov_b32_e32 v7, 0
	ds_read_b128 v[7:10], v7 offset:608
	s_waitcnt lgkmcnt(0)
	v_mul_f64 v[11:12], v[1:2], v[9:10]
	v_mul_f64 v[9:10], v[3:4], v[9:10]
	v_fma_f64 v[3:4], v[3:4], v[7:8], -v[11:12]
	v_fma_f64 v[1:2], v[1:2], v[7:8], v[9:10]
	buffer_store_dword v4, off, s[0:3], 0 offset:628
	buffer_store_dword v3, off, s[0:3], 0 offset:624
	;; [unrolled: 1-line block ×4, first 2 shown]
.LBB49_167:
	s_or_b32 exec_lo, exec_lo, s4
	v_mov_b32_e32 v4, s14
	s_waitcnt_vscnt null, 0x0
	s_barrier
	buffer_gl0_inv
	s_mov_b32 s4, exec_lo
	s_clause 0x3
	buffer_load_dword v1, v4, s[0:3], 0 offen
	buffer_load_dword v2, v4, s[0:3], 0 offen offset:4
	buffer_load_dword v3, v4, s[0:3], 0 offen offset:8
	;; [unrolled: 1-line block ×3, first 2 shown]
	s_waitcnt vmcnt(0)
	ds_write_b128 v5, v[1:4]
	s_waitcnt lgkmcnt(0)
	s_barrier
	buffer_gl0_inv
	v_cmpx_gt_u32_e32 39, v0
	s_cbranch_execz .LBB49_171
; %bb.168:
	v_mov_b32_e32 v1, 0
	v_mov_b32_e32 v3, 0
	v_add_nc_u32_e32 v7, -1, v0
	v_add_nc_u32_e32 v8, 0x320, v145
	v_mov_b32_e32 v2, 0
	v_mov_b32_e32 v4, 0
	v_add_nc_u32_e32 v9, 16, v145
	s_mov_b32 s5, 0
	.p2align	6
.LBB49_169:                             ; =>This Inner Loop Header: Depth=1
	s_clause 0x3
	buffer_load_dword v14, v9, s[0:3], 0 offen offset:8
	buffer_load_dword v15, v9, s[0:3], 0 offen offset:12
	buffer_load_dword v16, v9, s[0:3], 0 offen
	buffer_load_dword v17, v9, s[0:3], 0 offen offset:4
	ds_read_b128 v[10:13], v8
	v_add_nc_u32_e32 v7, 1, v7
	v_add_nc_u32_e32 v8, 16, v8
	;; [unrolled: 1-line block ×3, first 2 shown]
	v_cmp_lt_u32_e32 vcc_lo, 37, v7
	s_or_b32 s5, vcc_lo, s5
	s_waitcnt vmcnt(2) lgkmcnt(0)
	v_mul_f64 v[18:19], v[12:13], v[14:15]
	v_mul_f64 v[14:15], v[10:11], v[14:15]
	s_waitcnt vmcnt(0)
	v_fma_f64 v[10:11], v[10:11], v[16:17], -v[18:19]
	v_fma_f64 v[12:13], v[12:13], v[16:17], v[14:15]
	v_add_f64 v[3:4], v[3:4], v[10:11]
	v_add_f64 v[1:2], v[1:2], v[12:13]
	s_andn2_b32 exec_lo, exec_lo, s5
	s_cbranch_execnz .LBB49_169
; %bb.170:
	s_or_b32 exec_lo, exec_lo, s5
	v_mov_b32_e32 v7, 0
	ds_read_b128 v[7:10], v7 offset:624
	s_waitcnt lgkmcnt(0)
	v_mul_f64 v[11:12], v[1:2], v[9:10]
	v_mul_f64 v[9:10], v[3:4], v[9:10]
	v_fma_f64 v[3:4], v[3:4], v[7:8], -v[11:12]
	v_fma_f64 v[1:2], v[1:2], v[7:8], v[9:10]
	buffer_store_dword v4, off, s[0:3], 0 offset:644
	buffer_store_dword v3, off, s[0:3], 0 offset:640
	buffer_store_dword v2, off, s[0:3], 0 offset:652
	buffer_store_dword v1, off, s[0:3], 0 offset:648
.LBB49_171:
	s_or_b32 exec_lo, exec_lo, s4
	v_mov_b32_e32 v4, s16
	s_waitcnt_vscnt null, 0x0
	s_barrier
	buffer_gl0_inv
	s_mov_b32 s4, exec_lo
	s_clause 0x3
	buffer_load_dword v1, v4, s[0:3], 0 offen
	buffer_load_dword v2, v4, s[0:3], 0 offen offset:4
	buffer_load_dword v3, v4, s[0:3], 0 offen offset:8
	;; [unrolled: 1-line block ×3, first 2 shown]
	s_waitcnt vmcnt(0)
	ds_write_b128 v5, v[1:4]
	s_waitcnt lgkmcnt(0)
	s_barrier
	buffer_gl0_inv
	v_cmpx_gt_u32_e32 40, v0
	s_cbranch_execz .LBB49_175
; %bb.172:
	v_mov_b32_e32 v1, 0
	v_mov_b32_e32 v3, 0
	v_add_nc_u32_e32 v7, -1, v0
	v_add_nc_u32_e32 v8, 0x320, v145
	v_mov_b32_e32 v2, 0
	v_mov_b32_e32 v4, 0
	v_add_nc_u32_e32 v9, 16, v145
	s_mov_b32 s5, 0
	.p2align	6
.LBB49_173:                             ; =>This Inner Loop Header: Depth=1
	s_clause 0x3
	buffer_load_dword v14, v9, s[0:3], 0 offen offset:8
	buffer_load_dword v15, v9, s[0:3], 0 offen offset:12
	buffer_load_dword v16, v9, s[0:3], 0 offen
	buffer_load_dword v17, v9, s[0:3], 0 offen offset:4
	ds_read_b128 v[10:13], v8
	v_add_nc_u32_e32 v7, 1, v7
	v_add_nc_u32_e32 v8, 16, v8
	;; [unrolled: 1-line block ×3, first 2 shown]
	v_cmp_lt_u32_e32 vcc_lo, 38, v7
	s_or_b32 s5, vcc_lo, s5
	s_waitcnt vmcnt(2) lgkmcnt(0)
	v_mul_f64 v[18:19], v[12:13], v[14:15]
	v_mul_f64 v[14:15], v[10:11], v[14:15]
	s_waitcnt vmcnt(0)
	v_fma_f64 v[10:11], v[10:11], v[16:17], -v[18:19]
	v_fma_f64 v[12:13], v[12:13], v[16:17], v[14:15]
	v_add_f64 v[3:4], v[3:4], v[10:11]
	v_add_f64 v[1:2], v[1:2], v[12:13]
	s_andn2_b32 exec_lo, exec_lo, s5
	s_cbranch_execnz .LBB49_173
; %bb.174:
	s_or_b32 exec_lo, exec_lo, s5
	v_mov_b32_e32 v7, 0
	ds_read_b128 v[7:10], v7 offset:640
	s_waitcnt lgkmcnt(0)
	v_mul_f64 v[11:12], v[1:2], v[9:10]
	v_mul_f64 v[9:10], v[3:4], v[9:10]
	v_fma_f64 v[3:4], v[3:4], v[7:8], -v[11:12]
	v_fma_f64 v[1:2], v[1:2], v[7:8], v[9:10]
	buffer_store_dword v4, off, s[0:3], 0 offset:660
	buffer_store_dword v3, off, s[0:3], 0 offset:656
	;; [unrolled: 1-line block ×4, first 2 shown]
.LBB49_175:
	s_or_b32 exec_lo, exec_lo, s4
	v_mov_b32_e32 v4, s17
	s_waitcnt_vscnt null, 0x0
	s_barrier
	buffer_gl0_inv
	s_mov_b32 s4, exec_lo
	s_clause 0x3
	buffer_load_dword v1, v4, s[0:3], 0 offen
	buffer_load_dword v2, v4, s[0:3], 0 offen offset:4
	buffer_load_dword v3, v4, s[0:3], 0 offen offset:8
	;; [unrolled: 1-line block ×3, first 2 shown]
	s_waitcnt vmcnt(0)
	ds_write_b128 v5, v[1:4]
	s_waitcnt lgkmcnt(0)
	s_barrier
	buffer_gl0_inv
	v_cmpx_gt_u32_e32 41, v0
	s_cbranch_execz .LBB49_179
; %bb.176:
	v_mov_b32_e32 v1, 0
	v_mov_b32_e32 v3, 0
	v_add_nc_u32_e32 v7, -1, v0
	v_add_nc_u32_e32 v8, 0x320, v145
	v_mov_b32_e32 v2, 0
	v_mov_b32_e32 v4, 0
	v_add_nc_u32_e32 v9, 16, v145
	s_mov_b32 s5, 0
	.p2align	6
.LBB49_177:                             ; =>This Inner Loop Header: Depth=1
	s_clause 0x3
	buffer_load_dword v14, v9, s[0:3], 0 offen offset:8
	buffer_load_dword v15, v9, s[0:3], 0 offen offset:12
	buffer_load_dword v16, v9, s[0:3], 0 offen
	buffer_load_dword v17, v9, s[0:3], 0 offen offset:4
	ds_read_b128 v[10:13], v8
	v_add_nc_u32_e32 v7, 1, v7
	v_add_nc_u32_e32 v8, 16, v8
	;; [unrolled: 1-line block ×3, first 2 shown]
	v_cmp_lt_u32_e32 vcc_lo, 39, v7
	s_or_b32 s5, vcc_lo, s5
	s_waitcnt vmcnt(2) lgkmcnt(0)
	v_mul_f64 v[18:19], v[12:13], v[14:15]
	v_mul_f64 v[14:15], v[10:11], v[14:15]
	s_waitcnt vmcnt(0)
	v_fma_f64 v[10:11], v[10:11], v[16:17], -v[18:19]
	v_fma_f64 v[12:13], v[12:13], v[16:17], v[14:15]
	v_add_f64 v[3:4], v[3:4], v[10:11]
	v_add_f64 v[1:2], v[1:2], v[12:13]
	s_andn2_b32 exec_lo, exec_lo, s5
	s_cbranch_execnz .LBB49_177
; %bb.178:
	s_or_b32 exec_lo, exec_lo, s5
	v_mov_b32_e32 v7, 0
	ds_read_b128 v[7:10], v7 offset:656
	s_waitcnt lgkmcnt(0)
	v_mul_f64 v[11:12], v[1:2], v[9:10]
	v_mul_f64 v[9:10], v[3:4], v[9:10]
	v_fma_f64 v[3:4], v[3:4], v[7:8], -v[11:12]
	v_fma_f64 v[1:2], v[1:2], v[7:8], v[9:10]
	buffer_store_dword v4, off, s[0:3], 0 offset:676
	buffer_store_dword v3, off, s[0:3], 0 offset:672
	;; [unrolled: 1-line block ×4, first 2 shown]
.LBB49_179:
	s_or_b32 exec_lo, exec_lo, s4
	v_mov_b32_e32 v4, s22
	s_waitcnt_vscnt null, 0x0
	s_barrier
	buffer_gl0_inv
	s_mov_b32 s4, exec_lo
	s_clause 0x3
	buffer_load_dword v1, v4, s[0:3], 0 offen
	buffer_load_dword v2, v4, s[0:3], 0 offen offset:4
	buffer_load_dword v3, v4, s[0:3], 0 offen offset:8
	;; [unrolled: 1-line block ×3, first 2 shown]
	s_waitcnt vmcnt(0)
	ds_write_b128 v5, v[1:4]
	s_waitcnt lgkmcnt(0)
	s_barrier
	buffer_gl0_inv
	v_cmpx_gt_u32_e32 42, v0
	s_cbranch_execz .LBB49_183
; %bb.180:
	v_mov_b32_e32 v1, 0
	v_mov_b32_e32 v3, 0
	v_add_nc_u32_e32 v7, -1, v0
	v_add_nc_u32_e32 v8, 0x320, v145
	v_mov_b32_e32 v2, 0
	v_mov_b32_e32 v4, 0
	v_add_nc_u32_e32 v9, 16, v145
	s_mov_b32 s5, 0
	.p2align	6
.LBB49_181:                             ; =>This Inner Loop Header: Depth=1
	s_clause 0x3
	buffer_load_dword v14, v9, s[0:3], 0 offen offset:8
	buffer_load_dword v15, v9, s[0:3], 0 offen offset:12
	buffer_load_dword v16, v9, s[0:3], 0 offen
	buffer_load_dword v17, v9, s[0:3], 0 offen offset:4
	ds_read_b128 v[10:13], v8
	v_add_nc_u32_e32 v7, 1, v7
	v_add_nc_u32_e32 v8, 16, v8
	;; [unrolled: 1-line block ×3, first 2 shown]
	v_cmp_lt_u32_e32 vcc_lo, 40, v7
	s_or_b32 s5, vcc_lo, s5
	s_waitcnt vmcnt(2) lgkmcnt(0)
	v_mul_f64 v[18:19], v[12:13], v[14:15]
	v_mul_f64 v[14:15], v[10:11], v[14:15]
	s_waitcnt vmcnt(0)
	v_fma_f64 v[10:11], v[10:11], v[16:17], -v[18:19]
	v_fma_f64 v[12:13], v[12:13], v[16:17], v[14:15]
	v_add_f64 v[3:4], v[3:4], v[10:11]
	v_add_f64 v[1:2], v[1:2], v[12:13]
	s_andn2_b32 exec_lo, exec_lo, s5
	s_cbranch_execnz .LBB49_181
; %bb.182:
	s_or_b32 exec_lo, exec_lo, s5
	v_mov_b32_e32 v7, 0
	ds_read_b128 v[7:10], v7 offset:672
	s_waitcnt lgkmcnt(0)
	v_mul_f64 v[11:12], v[1:2], v[9:10]
	v_mul_f64 v[9:10], v[3:4], v[9:10]
	v_fma_f64 v[3:4], v[3:4], v[7:8], -v[11:12]
	v_fma_f64 v[1:2], v[1:2], v[7:8], v[9:10]
	buffer_store_dword v4, off, s[0:3], 0 offset:692
	buffer_store_dword v3, off, s[0:3], 0 offset:688
	;; [unrolled: 1-line block ×4, first 2 shown]
.LBB49_183:
	s_or_b32 exec_lo, exec_lo, s4
	v_mov_b32_e32 v4, s18
	s_waitcnt_vscnt null, 0x0
	s_barrier
	buffer_gl0_inv
	s_mov_b32 s4, exec_lo
	s_clause 0x3
	buffer_load_dword v1, v4, s[0:3], 0 offen
	buffer_load_dword v2, v4, s[0:3], 0 offen offset:4
	buffer_load_dword v3, v4, s[0:3], 0 offen offset:8
	;; [unrolled: 1-line block ×3, first 2 shown]
	s_waitcnt vmcnt(0)
	ds_write_b128 v5, v[1:4]
	s_waitcnt lgkmcnt(0)
	s_barrier
	buffer_gl0_inv
	v_cmpx_gt_u32_e32 43, v0
	s_cbranch_execz .LBB49_187
; %bb.184:
	v_mov_b32_e32 v1, 0
	v_mov_b32_e32 v3, 0
	v_add_nc_u32_e32 v7, -1, v0
	v_add_nc_u32_e32 v8, 0x320, v145
	v_mov_b32_e32 v2, 0
	v_mov_b32_e32 v4, 0
	v_add_nc_u32_e32 v9, 16, v145
	s_mov_b32 s5, 0
	.p2align	6
.LBB49_185:                             ; =>This Inner Loop Header: Depth=1
	s_clause 0x3
	buffer_load_dword v14, v9, s[0:3], 0 offen offset:8
	buffer_load_dword v15, v9, s[0:3], 0 offen offset:12
	buffer_load_dword v16, v9, s[0:3], 0 offen
	buffer_load_dword v17, v9, s[0:3], 0 offen offset:4
	ds_read_b128 v[10:13], v8
	v_add_nc_u32_e32 v7, 1, v7
	v_add_nc_u32_e32 v8, 16, v8
	v_add_nc_u32_e32 v9, 16, v9
	v_cmp_lt_u32_e32 vcc_lo, 41, v7
	s_or_b32 s5, vcc_lo, s5
	s_waitcnt vmcnt(2) lgkmcnt(0)
	v_mul_f64 v[18:19], v[12:13], v[14:15]
	v_mul_f64 v[14:15], v[10:11], v[14:15]
	s_waitcnt vmcnt(0)
	v_fma_f64 v[10:11], v[10:11], v[16:17], -v[18:19]
	v_fma_f64 v[12:13], v[12:13], v[16:17], v[14:15]
	v_add_f64 v[3:4], v[3:4], v[10:11]
	v_add_f64 v[1:2], v[1:2], v[12:13]
	s_andn2_b32 exec_lo, exec_lo, s5
	s_cbranch_execnz .LBB49_185
; %bb.186:
	s_or_b32 exec_lo, exec_lo, s5
	v_mov_b32_e32 v7, 0
	ds_read_b128 v[7:10], v7 offset:688
	s_waitcnt lgkmcnt(0)
	v_mul_f64 v[11:12], v[1:2], v[9:10]
	v_mul_f64 v[9:10], v[3:4], v[9:10]
	v_fma_f64 v[3:4], v[3:4], v[7:8], -v[11:12]
	v_fma_f64 v[1:2], v[1:2], v[7:8], v[9:10]
	buffer_store_dword v4, off, s[0:3], 0 offset:708
	buffer_store_dword v3, off, s[0:3], 0 offset:704
	;; [unrolled: 1-line block ×4, first 2 shown]
.LBB49_187:
	s_or_b32 exec_lo, exec_lo, s4
	v_mov_b32_e32 v4, s23
	s_waitcnt_vscnt null, 0x0
	s_barrier
	buffer_gl0_inv
	s_mov_b32 s4, exec_lo
	s_clause 0x3
	buffer_load_dword v1, v4, s[0:3], 0 offen
	buffer_load_dword v2, v4, s[0:3], 0 offen offset:4
	buffer_load_dword v3, v4, s[0:3], 0 offen offset:8
	;; [unrolled: 1-line block ×3, first 2 shown]
	s_waitcnt vmcnt(0)
	ds_write_b128 v5, v[1:4]
	s_waitcnt lgkmcnt(0)
	s_barrier
	buffer_gl0_inv
	v_cmpx_gt_u32_e32 44, v0
	s_cbranch_execz .LBB49_191
; %bb.188:
	v_mov_b32_e32 v1, 0
	v_mov_b32_e32 v3, 0
	v_add_nc_u32_e32 v7, -1, v0
	v_add_nc_u32_e32 v8, 0x320, v145
	v_mov_b32_e32 v2, 0
	v_mov_b32_e32 v4, 0
	v_add_nc_u32_e32 v9, 16, v145
	s_mov_b32 s5, 0
	.p2align	6
.LBB49_189:                             ; =>This Inner Loop Header: Depth=1
	s_clause 0x3
	buffer_load_dword v14, v9, s[0:3], 0 offen offset:8
	buffer_load_dword v15, v9, s[0:3], 0 offen offset:12
	buffer_load_dword v16, v9, s[0:3], 0 offen
	buffer_load_dword v17, v9, s[0:3], 0 offen offset:4
	ds_read_b128 v[10:13], v8
	v_add_nc_u32_e32 v7, 1, v7
	v_add_nc_u32_e32 v8, 16, v8
	;; [unrolled: 1-line block ×3, first 2 shown]
	v_cmp_lt_u32_e32 vcc_lo, 42, v7
	s_or_b32 s5, vcc_lo, s5
	s_waitcnt vmcnt(2) lgkmcnt(0)
	v_mul_f64 v[18:19], v[12:13], v[14:15]
	v_mul_f64 v[14:15], v[10:11], v[14:15]
	s_waitcnt vmcnt(0)
	v_fma_f64 v[10:11], v[10:11], v[16:17], -v[18:19]
	v_fma_f64 v[12:13], v[12:13], v[16:17], v[14:15]
	v_add_f64 v[3:4], v[3:4], v[10:11]
	v_add_f64 v[1:2], v[1:2], v[12:13]
	s_andn2_b32 exec_lo, exec_lo, s5
	s_cbranch_execnz .LBB49_189
; %bb.190:
	s_or_b32 exec_lo, exec_lo, s5
	v_mov_b32_e32 v7, 0
	ds_read_b128 v[7:10], v7 offset:704
	s_waitcnt lgkmcnt(0)
	v_mul_f64 v[11:12], v[1:2], v[9:10]
	v_mul_f64 v[9:10], v[3:4], v[9:10]
	v_fma_f64 v[3:4], v[3:4], v[7:8], -v[11:12]
	v_fma_f64 v[1:2], v[1:2], v[7:8], v[9:10]
	buffer_store_dword v4, off, s[0:3], 0 offset:724
	buffer_store_dword v3, off, s[0:3], 0 offset:720
	;; [unrolled: 1-line block ×4, first 2 shown]
.LBB49_191:
	s_or_b32 exec_lo, exec_lo, s4
	v_mov_b32_e32 v4, s9
	s_waitcnt_vscnt null, 0x0
	s_barrier
	buffer_gl0_inv
	s_mov_b32 s4, exec_lo
	s_clause 0x3
	buffer_load_dword v1, v4, s[0:3], 0 offen
	buffer_load_dword v2, v4, s[0:3], 0 offen offset:4
	buffer_load_dword v3, v4, s[0:3], 0 offen offset:8
	;; [unrolled: 1-line block ×3, first 2 shown]
	s_waitcnt vmcnt(0)
	ds_write_b128 v5, v[1:4]
	s_waitcnt lgkmcnt(0)
	s_barrier
	buffer_gl0_inv
	v_cmpx_gt_u32_e32 45, v0
	s_cbranch_execz .LBB49_195
; %bb.192:
	v_mov_b32_e32 v1, 0
	v_mov_b32_e32 v3, 0
	v_add_nc_u32_e32 v7, -1, v0
	v_add_nc_u32_e32 v8, 0x320, v145
	v_mov_b32_e32 v2, 0
	v_mov_b32_e32 v4, 0
	v_add_nc_u32_e32 v9, 16, v145
	s_mov_b32 s5, 0
	.p2align	6
.LBB49_193:                             ; =>This Inner Loop Header: Depth=1
	s_clause 0x3
	buffer_load_dword v14, v9, s[0:3], 0 offen offset:8
	buffer_load_dword v15, v9, s[0:3], 0 offen offset:12
	buffer_load_dword v16, v9, s[0:3], 0 offen
	buffer_load_dword v17, v9, s[0:3], 0 offen offset:4
	ds_read_b128 v[10:13], v8
	v_add_nc_u32_e32 v7, 1, v7
	v_add_nc_u32_e32 v8, 16, v8
	;; [unrolled: 1-line block ×3, first 2 shown]
	v_cmp_lt_u32_e32 vcc_lo, 43, v7
	s_or_b32 s5, vcc_lo, s5
	s_waitcnt vmcnt(2) lgkmcnt(0)
	v_mul_f64 v[18:19], v[12:13], v[14:15]
	v_mul_f64 v[14:15], v[10:11], v[14:15]
	s_waitcnt vmcnt(0)
	v_fma_f64 v[10:11], v[10:11], v[16:17], -v[18:19]
	v_fma_f64 v[12:13], v[12:13], v[16:17], v[14:15]
	v_add_f64 v[3:4], v[3:4], v[10:11]
	v_add_f64 v[1:2], v[1:2], v[12:13]
	s_andn2_b32 exec_lo, exec_lo, s5
	s_cbranch_execnz .LBB49_193
; %bb.194:
	s_or_b32 exec_lo, exec_lo, s5
	v_mov_b32_e32 v7, 0
	ds_read_b128 v[7:10], v7 offset:720
	s_waitcnt lgkmcnt(0)
	v_mul_f64 v[11:12], v[1:2], v[9:10]
	v_mul_f64 v[9:10], v[3:4], v[9:10]
	v_fma_f64 v[3:4], v[3:4], v[7:8], -v[11:12]
	v_fma_f64 v[1:2], v[1:2], v[7:8], v[9:10]
	buffer_store_dword v4, off, s[0:3], 0 offset:740
	buffer_store_dword v3, off, s[0:3], 0 offset:736
	;; [unrolled: 1-line block ×4, first 2 shown]
.LBB49_195:
	s_or_b32 exec_lo, exec_lo, s4
	v_mov_b32_e32 v4, s12
	s_waitcnt_vscnt null, 0x0
	s_barrier
	buffer_gl0_inv
	s_mov_b32 s4, exec_lo
	s_clause 0x3
	buffer_load_dword v1, v4, s[0:3], 0 offen
	buffer_load_dword v2, v4, s[0:3], 0 offen offset:4
	buffer_load_dword v3, v4, s[0:3], 0 offen offset:8
	;; [unrolled: 1-line block ×3, first 2 shown]
	s_waitcnt vmcnt(0)
	ds_write_b128 v5, v[1:4]
	s_waitcnt lgkmcnt(0)
	s_barrier
	buffer_gl0_inv
	v_cmpx_gt_u32_e32 46, v0
	s_cbranch_execz .LBB49_199
; %bb.196:
	v_mov_b32_e32 v1, 0
	v_mov_b32_e32 v3, 0
	v_add_nc_u32_e32 v7, -1, v0
	v_add_nc_u32_e32 v8, 0x320, v145
	v_mov_b32_e32 v2, 0
	v_mov_b32_e32 v4, 0
	v_add_nc_u32_e32 v9, 16, v145
	s_mov_b32 s5, 0
	.p2align	6
.LBB49_197:                             ; =>This Inner Loop Header: Depth=1
	s_clause 0x3
	buffer_load_dword v14, v9, s[0:3], 0 offen offset:8
	buffer_load_dword v15, v9, s[0:3], 0 offen offset:12
	buffer_load_dword v16, v9, s[0:3], 0 offen
	buffer_load_dword v17, v9, s[0:3], 0 offen offset:4
	ds_read_b128 v[10:13], v8
	v_add_nc_u32_e32 v7, 1, v7
	v_add_nc_u32_e32 v8, 16, v8
	;; [unrolled: 1-line block ×3, first 2 shown]
	v_cmp_lt_u32_e32 vcc_lo, 44, v7
	s_or_b32 s5, vcc_lo, s5
	s_waitcnt vmcnt(2) lgkmcnt(0)
	v_mul_f64 v[18:19], v[12:13], v[14:15]
	v_mul_f64 v[14:15], v[10:11], v[14:15]
	s_waitcnt vmcnt(0)
	v_fma_f64 v[10:11], v[10:11], v[16:17], -v[18:19]
	v_fma_f64 v[12:13], v[12:13], v[16:17], v[14:15]
	v_add_f64 v[3:4], v[3:4], v[10:11]
	v_add_f64 v[1:2], v[1:2], v[12:13]
	s_andn2_b32 exec_lo, exec_lo, s5
	s_cbranch_execnz .LBB49_197
; %bb.198:
	s_or_b32 exec_lo, exec_lo, s5
	v_mov_b32_e32 v7, 0
	ds_read_b128 v[7:10], v7 offset:736
	s_waitcnt lgkmcnt(0)
	v_mul_f64 v[11:12], v[1:2], v[9:10]
	v_mul_f64 v[9:10], v[3:4], v[9:10]
	v_fma_f64 v[3:4], v[3:4], v[7:8], -v[11:12]
	v_fma_f64 v[1:2], v[1:2], v[7:8], v[9:10]
	buffer_store_dword v4, off, s[0:3], 0 offset:756
	buffer_store_dword v3, off, s[0:3], 0 offset:752
	;; [unrolled: 1-line block ×4, first 2 shown]
.LBB49_199:
	s_or_b32 exec_lo, exec_lo, s4
	v_mov_b32_e32 v4, s13
	s_waitcnt_vscnt null, 0x0
	s_barrier
	buffer_gl0_inv
	s_mov_b32 s4, exec_lo
	s_clause 0x3
	buffer_load_dword v1, v4, s[0:3], 0 offen
	buffer_load_dword v2, v4, s[0:3], 0 offen offset:4
	buffer_load_dword v3, v4, s[0:3], 0 offen offset:8
	;; [unrolled: 1-line block ×3, first 2 shown]
	s_waitcnt vmcnt(0)
	ds_write_b128 v5, v[1:4]
	s_waitcnt lgkmcnt(0)
	s_barrier
	buffer_gl0_inv
	v_cmpx_gt_u32_e32 47, v0
	s_cbranch_execz .LBB49_203
; %bb.200:
	v_mov_b32_e32 v1, 0
	v_mov_b32_e32 v3, 0
	v_add_nc_u32_e32 v7, -1, v0
	v_add_nc_u32_e32 v8, 0x320, v145
	v_mov_b32_e32 v2, 0
	v_mov_b32_e32 v4, 0
	v_add_nc_u32_e32 v9, 16, v145
	s_mov_b32 s5, 0
	.p2align	6
.LBB49_201:                             ; =>This Inner Loop Header: Depth=1
	s_clause 0x3
	buffer_load_dword v14, v9, s[0:3], 0 offen offset:8
	buffer_load_dword v15, v9, s[0:3], 0 offen offset:12
	buffer_load_dword v16, v9, s[0:3], 0 offen
	buffer_load_dword v17, v9, s[0:3], 0 offen offset:4
	ds_read_b128 v[10:13], v8
	v_add_nc_u32_e32 v7, 1, v7
	v_add_nc_u32_e32 v8, 16, v8
	;; [unrolled: 1-line block ×3, first 2 shown]
	v_cmp_lt_u32_e32 vcc_lo, 45, v7
	s_or_b32 s5, vcc_lo, s5
	s_waitcnt vmcnt(2) lgkmcnt(0)
	v_mul_f64 v[18:19], v[12:13], v[14:15]
	v_mul_f64 v[14:15], v[10:11], v[14:15]
	s_waitcnt vmcnt(0)
	v_fma_f64 v[10:11], v[10:11], v[16:17], -v[18:19]
	v_fma_f64 v[12:13], v[12:13], v[16:17], v[14:15]
	v_add_f64 v[3:4], v[3:4], v[10:11]
	v_add_f64 v[1:2], v[1:2], v[12:13]
	s_andn2_b32 exec_lo, exec_lo, s5
	s_cbranch_execnz .LBB49_201
; %bb.202:
	s_or_b32 exec_lo, exec_lo, s5
	v_mov_b32_e32 v7, 0
	ds_read_b128 v[7:10], v7 offset:752
	s_waitcnt lgkmcnt(0)
	v_mul_f64 v[11:12], v[1:2], v[9:10]
	v_mul_f64 v[9:10], v[3:4], v[9:10]
	v_fma_f64 v[3:4], v[3:4], v[7:8], -v[11:12]
	v_fma_f64 v[1:2], v[1:2], v[7:8], v[9:10]
	buffer_store_dword v4, off, s[0:3], 0 offset:772
	buffer_store_dword v3, off, s[0:3], 0 offset:768
	;; [unrolled: 1-line block ×4, first 2 shown]
.LBB49_203:
	s_or_b32 exec_lo, exec_lo, s4
	v_mov_b32_e32 v4, s15
	s_waitcnt_vscnt null, 0x0
	s_barrier
	buffer_gl0_inv
	s_mov_b32 s4, exec_lo
	s_clause 0x3
	buffer_load_dword v1, v4, s[0:3], 0 offen
	buffer_load_dword v2, v4, s[0:3], 0 offen offset:4
	buffer_load_dword v3, v4, s[0:3], 0 offen offset:8
	;; [unrolled: 1-line block ×3, first 2 shown]
	s_waitcnt vmcnt(0)
	ds_write_b128 v5, v[1:4]
	s_waitcnt lgkmcnt(0)
	s_barrier
	buffer_gl0_inv
	v_cmpx_gt_u32_e32 48, v0
	s_cbranch_execz .LBB49_207
; %bb.204:
	v_mov_b32_e32 v1, 0
	v_mov_b32_e32 v3, 0
	v_add_nc_u32_e32 v7, -1, v0
	v_add_nc_u32_e32 v8, 0x320, v145
	v_mov_b32_e32 v2, 0
	v_mov_b32_e32 v4, 0
	v_add_nc_u32_e32 v9, 16, v145
	s_mov_b32 s5, 0
	.p2align	6
.LBB49_205:                             ; =>This Inner Loop Header: Depth=1
	s_clause 0x3
	buffer_load_dword v14, v9, s[0:3], 0 offen offset:8
	buffer_load_dword v15, v9, s[0:3], 0 offen offset:12
	buffer_load_dword v16, v9, s[0:3], 0 offen
	buffer_load_dword v17, v9, s[0:3], 0 offen offset:4
	ds_read_b128 v[10:13], v8
	v_add_nc_u32_e32 v7, 1, v7
	v_add_nc_u32_e32 v8, 16, v8
	;; [unrolled: 1-line block ×3, first 2 shown]
	v_cmp_lt_u32_e32 vcc_lo, 46, v7
	s_or_b32 s5, vcc_lo, s5
	s_waitcnt vmcnt(2) lgkmcnt(0)
	v_mul_f64 v[18:19], v[12:13], v[14:15]
	v_mul_f64 v[14:15], v[10:11], v[14:15]
	s_waitcnt vmcnt(0)
	v_fma_f64 v[10:11], v[10:11], v[16:17], -v[18:19]
	v_fma_f64 v[12:13], v[12:13], v[16:17], v[14:15]
	v_add_f64 v[3:4], v[3:4], v[10:11]
	v_add_f64 v[1:2], v[1:2], v[12:13]
	s_andn2_b32 exec_lo, exec_lo, s5
	s_cbranch_execnz .LBB49_205
; %bb.206:
	s_or_b32 exec_lo, exec_lo, s5
	v_mov_b32_e32 v7, 0
	ds_read_b128 v[7:10], v7 offset:768
	s_waitcnt lgkmcnt(0)
	v_mul_f64 v[11:12], v[1:2], v[9:10]
	v_mul_f64 v[9:10], v[3:4], v[9:10]
	v_fma_f64 v[3:4], v[3:4], v[7:8], -v[11:12]
	v_fma_f64 v[1:2], v[1:2], v[7:8], v[9:10]
	buffer_store_dword v4, off, s[0:3], 0 offset:788
	buffer_store_dword v3, off, s[0:3], 0 offset:784
	;; [unrolled: 1-line block ×4, first 2 shown]
.LBB49_207:
	s_or_b32 exec_lo, exec_lo, s4
	v_mov_b32_e32 v4, s8
	s_waitcnt_vscnt null, 0x0
	s_barrier
	buffer_gl0_inv
	s_mov_b32 s4, exec_lo
	s_clause 0x3
	buffer_load_dword v1, v4, s[0:3], 0 offen
	buffer_load_dword v2, v4, s[0:3], 0 offen offset:4
	buffer_load_dword v3, v4, s[0:3], 0 offen offset:8
	;; [unrolled: 1-line block ×3, first 2 shown]
	s_waitcnt vmcnt(0)
	ds_write_b128 v5, v[1:4]
	s_waitcnt lgkmcnt(0)
	s_barrier
	buffer_gl0_inv
	v_cmpx_ne_u32_e32 49, v0
	s_cbranch_execz .LBB49_211
; %bb.208:
	v_mov_b32_e32 v1, 0
	v_mov_b32_e32 v3, 0
	;; [unrolled: 1-line block ×4, first 2 shown]
	v_add_nc_u32_e32 v7, 16, v145
	s_mov_b32 s5, 0
	.p2align	6
.LBB49_209:                             ; =>This Inner Loop Header: Depth=1
	s_clause 0x3
	buffer_load_dword v12, v7, s[0:3], 0 offen offset:8
	buffer_load_dword v13, v7, s[0:3], 0 offen offset:12
	buffer_load_dword v14, v7, s[0:3], 0 offen
	buffer_load_dword v15, v7, s[0:3], 0 offen offset:4
	ds_read_b128 v[8:11], v5
	v_add_nc_u32_e32 v6, 1, v6
	v_add_nc_u32_e32 v5, 16, v5
	;; [unrolled: 1-line block ×3, first 2 shown]
	v_cmp_lt_u32_e32 vcc_lo, 47, v6
	s_or_b32 s5, vcc_lo, s5
	s_waitcnt vmcnt(2) lgkmcnt(0)
	v_mul_f64 v[16:17], v[10:11], v[12:13]
	v_mul_f64 v[12:13], v[8:9], v[12:13]
	s_waitcnt vmcnt(0)
	v_fma_f64 v[8:9], v[8:9], v[14:15], -v[16:17]
	v_fma_f64 v[10:11], v[10:11], v[14:15], v[12:13]
	v_add_f64 v[3:4], v[3:4], v[8:9]
	v_add_f64 v[1:2], v[1:2], v[10:11]
	s_andn2_b32 exec_lo, exec_lo, s5
	s_cbranch_execnz .LBB49_209
; %bb.210:
	s_or_b32 exec_lo, exec_lo, s5
	v_mov_b32_e32 v5, 0
	ds_read_b128 v[5:8], v5 offset:784
	s_waitcnt lgkmcnt(0)
	v_mul_f64 v[9:10], v[1:2], v[7:8]
	v_mul_f64 v[7:8], v[3:4], v[7:8]
	v_fma_f64 v[3:4], v[3:4], v[5:6], -v[9:10]
	v_fma_f64 v[1:2], v[1:2], v[5:6], v[7:8]
	buffer_store_dword v4, off, s[0:3], 0 offset:804
	buffer_store_dword v3, off, s[0:3], 0 offset:800
	;; [unrolled: 1-line block ×4, first 2 shown]
.LBB49_211:
	s_or_b32 exec_lo, exec_lo, s4
	s_mov_b32 s5, -1
	s_waitcnt_vscnt null, 0x0
	s_barrier
	buffer_gl0_inv
.LBB49_212:
	s_and_b32 vcc_lo, exec_lo, s5
	s_cbranch_vccz .LBB49_214
; %bb.213:
	s_lshl_b64 s[4:5], s[6:7], 2
	v_mov_b32_e32 v1, 0
	s_add_u32 s4, s10, s4
	s_addc_u32 s5, s11, s5
	global_load_dword v1, v1, s[4:5]
	s_waitcnt vmcnt(0)
	v_cmp_ne_u32_e32 vcc_lo, 0, v1
	s_cbranch_vccz .LBB49_215
.LBB49_214:
	s_endpgm
.LBB49_215:
	v_lshl_add_u32 v163, v0, 4, 0x320
	s_mov_b32 s4, exec_lo
	v_cmpx_eq_u32_e32 49, v0
	s_cbranch_execz .LBB49_217
; %bb.216:
	v_mov_b32_e32 v4, s15
	v_mov_b32_e32 v5, 0
	s_clause 0x3
	buffer_load_dword v1, v4, s[0:3], 0 offen
	buffer_load_dword v2, v4, s[0:3], 0 offen offset:4
	buffer_load_dword v3, v4, s[0:3], 0 offen offset:8
	;; [unrolled: 1-line block ×3, first 2 shown]
	buffer_store_dword v5, off, s[0:3], 0 offset:784
	buffer_store_dword v5, off, s[0:3], 0 offset:788
	;; [unrolled: 1-line block ×4, first 2 shown]
	s_waitcnt vmcnt(0)
	ds_write_b128 v163, v[1:4]
.LBB49_217:
	s_or_b32 exec_lo, exec_lo, s4
	s_waitcnt lgkmcnt(0)
	s_waitcnt_vscnt null, 0x0
	s_barrier
	buffer_gl0_inv
	s_clause 0x7
	buffer_load_dword v6, off, s[0:3], 0 offset:808
	buffer_load_dword v7, off, s[0:3], 0 offset:812
	;; [unrolled: 1-line block ×8, first 2 shown]
	v_mov_b32_e32 v1, 0
	s_mov_b32 s4, exec_lo
	ds_read_b128 v[2:5], v1 offset:1584
	s_waitcnt vmcnt(6) lgkmcnt(0)
	v_mul_f64 v[14:15], v[4:5], v[6:7]
	v_mul_f64 v[6:7], v[2:3], v[6:7]
	s_waitcnt vmcnt(4)
	v_fma_f64 v[2:3], v[2:3], v[8:9], -v[14:15]
	v_fma_f64 v[4:5], v[4:5], v[8:9], v[6:7]
	v_add_f64 v[2:3], v[2:3], 0
	v_add_f64 v[4:5], v[4:5], 0
	s_waitcnt vmcnt(2)
	v_add_f64 v[2:3], v[10:11], -v[2:3]
	s_waitcnt vmcnt(0)
	v_add_f64 v[4:5], v[12:13], -v[4:5]
	buffer_store_dword v2, off, s[0:3], 0 offset:784
	buffer_store_dword v3, off, s[0:3], 0 offset:788
	;; [unrolled: 1-line block ×4, first 2 shown]
	v_cmpx_lt_u32_e32 47, v0
	s_cbranch_execz .LBB49_219
; %bb.218:
	v_mov_b32_e32 v5, s13
	s_clause 0x3
	buffer_load_dword v2, v5, s[0:3], 0 offen
	buffer_load_dword v3, v5, s[0:3], 0 offen offset:4
	buffer_load_dword v4, v5, s[0:3], 0 offen offset:8
	;; [unrolled: 1-line block ×3, first 2 shown]
	buffer_store_dword v1, off, s[0:3], 0 offset:768
	buffer_store_dword v1, off, s[0:3], 0 offset:772
	;; [unrolled: 1-line block ×4, first 2 shown]
	s_waitcnt vmcnt(0)
	ds_write_b128 v163, v[2:5]
.LBB49_219:
	s_or_b32 exec_lo, exec_lo, s4
	s_waitcnt lgkmcnt(0)
	s_waitcnt_vscnt null, 0x0
	s_barrier
	buffer_gl0_inv
	s_clause 0xb
	buffer_load_dword v10, off, s[0:3], 0 offset:792
	buffer_load_dword v11, off, s[0:3], 0 offset:796
	;; [unrolled: 1-line block ×12, first 2 shown]
	ds_read_b128 v[2:5], v1 offset:1568
	ds_read_b128 v[6:9], v1 offset:1584
	s_mov_b32 s4, exec_lo
	s_waitcnt vmcnt(10) lgkmcnt(1)
	v_mul_f64 v[22:23], v[4:5], v[10:11]
	v_mul_f64 v[10:11], v[2:3], v[10:11]
	s_waitcnt vmcnt(8) lgkmcnt(0)
	v_mul_f64 v[24:25], v[8:9], v[12:13]
	v_mul_f64 v[12:13], v[6:7], v[12:13]
	s_waitcnt vmcnt(6)
	v_fma_f64 v[1:2], v[2:3], v[14:15], -v[22:23]
	v_fma_f64 v[3:4], v[4:5], v[14:15], v[10:11]
	s_waitcnt vmcnt(4)
	v_fma_f64 v[5:6], v[6:7], v[16:17], -v[24:25]
	v_fma_f64 v[7:8], v[8:9], v[16:17], v[12:13]
	v_add_f64 v[1:2], v[1:2], 0
	v_add_f64 v[3:4], v[3:4], 0
	;; [unrolled: 1-line block ×4, first 2 shown]
	s_waitcnt vmcnt(2)
	v_add_f64 v[1:2], v[18:19], -v[1:2]
	s_waitcnt vmcnt(0)
	v_add_f64 v[3:4], v[20:21], -v[3:4]
	buffer_store_dword v1, off, s[0:3], 0 offset:768
	buffer_store_dword v2, off, s[0:3], 0 offset:772
	;; [unrolled: 1-line block ×4, first 2 shown]
	v_cmpx_lt_u32_e32 46, v0
	s_cbranch_execz .LBB49_221
; %bb.220:
	v_mov_b32_e32 v4, s12
	v_mov_b32_e32 v5, 0
	s_clause 0x3
	buffer_load_dword v1, v4, s[0:3], 0 offen
	buffer_load_dword v2, v4, s[0:3], 0 offen offset:4
	buffer_load_dword v3, v4, s[0:3], 0 offen offset:8
	;; [unrolled: 1-line block ×3, first 2 shown]
	buffer_store_dword v5, off, s[0:3], 0 offset:752
	buffer_store_dword v5, off, s[0:3], 0 offset:756
	;; [unrolled: 1-line block ×4, first 2 shown]
	s_waitcnt vmcnt(0)
	ds_write_b128 v163, v[1:4]
.LBB49_221:
	s_or_b32 exec_lo, exec_lo, s4
	s_waitcnt lgkmcnt(0)
	s_waitcnt_vscnt null, 0x0
	s_barrier
	buffer_gl0_inv
	s_clause 0xf
	buffer_load_dword v10, off, s[0:3], 0 offset:776
	buffer_load_dword v11, off, s[0:3], 0 offset:780
	;; [unrolled: 1-line block ×16, first 2 shown]
	v_mov_b32_e32 v1, 0
	ds_read_b128 v[2:5], v1 offset:1552
	ds_read_b128 v[6:9], v1 offset:1568
	s_mov_b32 s4, exec_lo
	s_waitcnt vmcnt(14) lgkmcnt(1)
	v_mul_f64 v[28:29], v[4:5], v[10:11]
	v_mul_f64 v[30:31], v[2:3], v[10:11]
	s_waitcnt vmcnt(12) lgkmcnt(0)
	v_mul_f64 v[57:58], v[8:9], v[14:15]
	ds_read_b128 v[10:13], v1 offset:1584
	v_mul_f64 v[14:15], v[6:7], v[14:15]
	s_waitcnt vmcnt(10)
	v_fma_f64 v[2:3], v[2:3], v[16:17], -v[28:29]
	v_fma_f64 v[4:5], v[4:5], v[16:17], v[30:31]
	s_waitcnt vmcnt(8) lgkmcnt(0)
	v_mul_f64 v[16:17], v[10:11], v[18:19]
	v_mul_f64 v[18:19], v[12:13], v[18:19]
	s_waitcnt vmcnt(6)
	v_fma_f64 v[6:7], v[6:7], v[20:21], -v[57:58]
	v_fma_f64 v[8:9], v[8:9], v[20:21], v[14:15]
	v_add_f64 v[2:3], v[2:3], 0
	v_add_f64 v[4:5], v[4:5], 0
	s_waitcnt vmcnt(4)
	v_fma_f64 v[10:11], v[10:11], v[22:23], -v[18:19]
	v_add_f64 v[2:3], v[2:3], v[6:7]
	v_fma_f64 v[6:7], v[12:13], v[22:23], v[16:17]
	v_add_f64 v[4:5], v[4:5], v[8:9]
	v_add_f64 v[2:3], v[2:3], v[10:11]
	;; [unrolled: 1-line block ×3, first 2 shown]
	s_waitcnt vmcnt(2)
	v_add_f64 v[2:3], v[24:25], -v[2:3]
	s_waitcnt vmcnt(0)
	v_add_f64 v[4:5], v[26:27], -v[4:5]
	buffer_store_dword v2, off, s[0:3], 0 offset:752
	buffer_store_dword v3, off, s[0:3], 0 offset:756
	;; [unrolled: 1-line block ×4, first 2 shown]
	v_cmpx_lt_u32_e32 45, v0
	s_cbranch_execz .LBB49_223
; %bb.222:
	v_mov_b32_e32 v5, s9
	s_clause 0x3
	buffer_load_dword v2, v5, s[0:3], 0 offen
	buffer_load_dword v3, v5, s[0:3], 0 offen offset:4
	buffer_load_dword v4, v5, s[0:3], 0 offen offset:8
	buffer_load_dword v5, v5, s[0:3], 0 offen offset:12
	buffer_store_dword v1, off, s[0:3], 0 offset:736
	buffer_store_dword v1, off, s[0:3], 0 offset:740
	;; [unrolled: 1-line block ×4, first 2 shown]
	s_waitcnt vmcnt(0)
	ds_write_b128 v163, v[2:5]
.LBB49_223:
	s_or_b32 exec_lo, exec_lo, s4
	s_waitcnt lgkmcnt(0)
	s_waitcnt_vscnt null, 0x0
	s_barrier
	buffer_gl0_inv
	s_clause 0x13
	buffer_load_dword v10, off, s[0:3], 0 offset:760
	buffer_load_dword v11, off, s[0:3], 0 offset:764
	;; [unrolled: 1-line block ×20, first 2 shown]
	ds_read_b128 v[2:5], v1 offset:1536
	ds_read_b128 v[6:9], v1 offset:1552
	s_mov_b32 s4, exec_lo
	s_waitcnt vmcnt(18) lgkmcnt(1)
	v_mul_f64 v[57:58], v[4:5], v[10:11]
	v_mul_f64 v[59:60], v[2:3], v[10:11]
	s_waitcnt vmcnt(16) lgkmcnt(0)
	v_mul_f64 v[61:62], v[8:9], v[14:15]
	ds_read_b128 v[10:13], v1 offset:1568
	v_mul_f64 v[14:15], v[6:7], v[14:15]
	s_waitcnt vmcnt(14)
	v_fma_f64 v[57:58], v[2:3], v[16:17], -v[57:58]
	v_fma_f64 v[16:17], v[4:5], v[16:17], v[59:60]
	s_waitcnt vmcnt(12) lgkmcnt(0)
	v_mul_f64 v[59:60], v[10:11], v[18:19]
	v_mul_f64 v[18:19], v[12:13], v[18:19]
	s_waitcnt vmcnt(10)
	v_fma_f64 v[5:6], v[6:7], v[20:21], -v[61:62]
	ds_read_b128 v[1:4], v1 offset:1584
	v_fma_f64 v[7:8], v[8:9], v[20:21], v[14:15]
	v_add_f64 v[57:58], v[57:58], 0
	v_add_f64 v[14:15], v[16:17], 0
	s_waitcnt vmcnt(8) lgkmcnt(0)
	v_mul_f64 v[20:21], v[3:4], v[22:23]
	s_waitcnt vmcnt(6)
	v_fma_f64 v[9:10], v[10:11], v[24:25], -v[18:19]
	v_mul_f64 v[16:17], v[1:2], v[22:23]
	v_fma_f64 v[11:12], v[12:13], v[24:25], v[59:60]
	v_add_f64 v[5:6], v[57:58], v[5:6]
	v_add_f64 v[7:8], v[14:15], v[7:8]
	s_waitcnt vmcnt(4)
	v_fma_f64 v[1:2], v[1:2], v[26:27], -v[20:21]
	v_fma_f64 v[3:4], v[3:4], v[26:27], v[16:17]
	v_add_f64 v[5:6], v[5:6], v[9:10]
	v_add_f64 v[7:8], v[7:8], v[11:12]
	;; [unrolled: 1-line block ×4, first 2 shown]
	s_waitcnt vmcnt(2)
	v_add_f64 v[1:2], v[28:29], -v[1:2]
	s_waitcnt vmcnt(0)
	v_add_f64 v[3:4], v[30:31], -v[3:4]
	buffer_store_dword v1, off, s[0:3], 0 offset:736
	buffer_store_dword v2, off, s[0:3], 0 offset:740
	;; [unrolled: 1-line block ×4, first 2 shown]
	v_cmpx_lt_u32_e32 44, v0
	s_cbranch_execz .LBB49_225
; %bb.224:
	v_mov_b32_e32 v4, s23
	v_mov_b32_e32 v5, 0
	s_clause 0x3
	buffer_load_dword v1, v4, s[0:3], 0 offen
	buffer_load_dword v2, v4, s[0:3], 0 offen offset:4
	buffer_load_dword v3, v4, s[0:3], 0 offen offset:8
	;; [unrolled: 1-line block ×3, first 2 shown]
	buffer_store_dword v5, off, s[0:3], 0 offset:720
	buffer_store_dword v5, off, s[0:3], 0 offset:724
	;; [unrolled: 1-line block ×4, first 2 shown]
	s_waitcnt vmcnt(0)
	ds_write_b128 v163, v[1:4]
.LBB49_225:
	s_or_b32 exec_lo, exec_lo, s4
	s_waitcnt lgkmcnt(0)
	s_waitcnt_vscnt null, 0x0
	s_barrier
	buffer_gl0_inv
	s_clause 0x17
	buffer_load_dword v10, off, s[0:3], 0 offset:744
	buffer_load_dword v11, off, s[0:3], 0 offset:748
	;; [unrolled: 1-line block ×24, first 2 shown]
	v_mov_b32_e32 v1, 0
	ds_read_b128 v[2:5], v1 offset:1520
	ds_read_b128 v[6:9], v1 offset:1536
	s_mov_b32 s4, exec_lo
	s_waitcnt vmcnt(22) lgkmcnt(1)
	v_mul_f64 v[61:62], v[4:5], v[10:11]
	v_mul_f64 v[63:64], v[2:3], v[10:11]
	s_waitcnt vmcnt(20) lgkmcnt(0)
	v_mul_f64 v[65:66], v[8:9], v[14:15]
	ds_read_b128 v[10:13], v1 offset:1552
	v_mul_f64 v[14:15], v[6:7], v[14:15]
	s_waitcnt vmcnt(18)
	v_fma_f64 v[61:62], v[2:3], v[16:17], -v[61:62]
	v_fma_f64 v[16:17], v[4:5], v[16:17], v[63:64]
	ds_read_b128 v[2:5], v1 offset:1568
	s_waitcnt vmcnt(16) lgkmcnt(1)
	v_mul_f64 v[63:64], v[10:11], v[18:19]
	v_mul_f64 v[18:19], v[12:13], v[18:19]
	s_waitcnt vmcnt(14)
	v_fma_f64 v[65:66], v[6:7], v[20:21], -v[65:66]
	v_fma_f64 v[14:15], v[8:9], v[20:21], v[14:15]
	ds_read_b128 v[6:9], v1 offset:1584
	s_waitcnt vmcnt(10) lgkmcnt(1)
	v_mul_f64 v[20:21], v[2:3], v[22:23]
	v_add_f64 v[61:62], v[61:62], 0
	v_add_f64 v[16:17], v[16:17], 0
	v_mul_f64 v[22:23], v[4:5], v[22:23]
	s_waitcnt vmcnt(8)
	v_fma_f64 v[10:11], v[10:11], v[28:29], -v[18:19]
	v_fma_f64 v[12:13], v[12:13], v[28:29], v[63:64]
	s_waitcnt vmcnt(5)
	v_fma_f64 v[4:5], v[4:5], v[30:31], v[20:21]
	v_add_f64 v[18:19], v[61:62], v[65:66]
	v_add_f64 v[14:15], v[16:17], v[14:15]
	s_waitcnt lgkmcnt(0)
	v_mul_f64 v[16:17], v[6:7], v[24:25]
	v_mul_f64 v[24:25], v[8:9], v[24:25]
	v_fma_f64 v[2:3], v[2:3], v[30:31], -v[22:23]
	v_add_f64 v[10:11], v[18:19], v[10:11]
	v_add_f64 v[12:13], v[14:15], v[12:13]
	s_waitcnt vmcnt(4)
	v_fma_f64 v[8:9], v[8:9], v[26:27], v[16:17]
	v_fma_f64 v[6:7], v[6:7], v[26:27], -v[24:25]
	v_add_f64 v[2:3], v[10:11], v[2:3]
	v_add_f64 v[4:5], v[12:13], v[4:5]
	;; [unrolled: 1-line block ×4, first 2 shown]
	s_waitcnt vmcnt(2)
	v_add_f64 v[2:3], v[57:58], -v[2:3]
	s_waitcnt vmcnt(0)
	v_add_f64 v[4:5], v[59:60], -v[4:5]
	buffer_store_dword v3, off, s[0:3], 0 offset:724
	buffer_store_dword v2, off, s[0:3], 0 offset:720
	;; [unrolled: 1-line block ×4, first 2 shown]
	v_cmpx_lt_u32_e32 43, v0
	s_cbranch_execz .LBB49_227
; %bb.226:
	v_mov_b32_e32 v5, s18
	s_clause 0x3
	buffer_load_dword v2, v5, s[0:3], 0 offen
	buffer_load_dword v3, v5, s[0:3], 0 offen offset:4
	buffer_load_dword v4, v5, s[0:3], 0 offen offset:8
	;; [unrolled: 1-line block ×3, first 2 shown]
	buffer_store_dword v1, off, s[0:3], 0 offset:704
	buffer_store_dword v1, off, s[0:3], 0 offset:708
	;; [unrolled: 1-line block ×4, first 2 shown]
	s_waitcnt vmcnt(0)
	ds_write_b128 v163, v[2:5]
.LBB49_227:
	s_or_b32 exec_lo, exec_lo, s4
	s_waitcnt lgkmcnt(0)
	s_waitcnt_vscnt null, 0x0
	s_barrier
	buffer_gl0_inv
	s_clause 0x1b
	buffer_load_dword v10, off, s[0:3], 0 offset:728
	buffer_load_dword v11, off, s[0:3], 0 offset:732
	;; [unrolled: 1-line block ×28, first 2 shown]
	ds_read_b128 v[2:5], v1 offset:1504
	ds_read_b128 v[6:9], v1 offset:1520
	s_mov_b32 s4, exec_lo
	s_waitcnt vmcnt(26) lgkmcnt(1)
	v_mul_f64 v[65:66], v[4:5], v[10:11]
	v_mul_f64 v[67:68], v[2:3], v[10:11]
	s_waitcnt vmcnt(24) lgkmcnt(0)
	v_mul_f64 v[145:146], v[8:9], v[14:15]
	ds_read_b128 v[10:13], v1 offset:1536
	v_mul_f64 v[14:15], v[6:7], v[14:15]
	s_waitcnt vmcnt(22)
	v_fma_f64 v[65:66], v[2:3], v[16:17], -v[65:66]
	v_fma_f64 v[16:17], v[4:5], v[16:17], v[67:68]
	ds_read_b128 v[2:5], v1 offset:1552
	s_waitcnt vmcnt(20) lgkmcnt(1)
	v_mul_f64 v[67:68], v[10:11], v[18:19]
	v_mul_f64 v[18:19], v[12:13], v[18:19]
	s_waitcnt vmcnt(18)
	v_fma_f64 v[145:146], v[6:7], v[20:21], -v[145:146]
	v_fma_f64 v[14:15], v[8:9], v[20:21], v[14:15]
	ds_read_b128 v[6:9], v1 offset:1568
	s_waitcnt vmcnt(14) lgkmcnt(1)
	v_mul_f64 v[20:21], v[2:3], v[22:23]
	v_add_f64 v[65:66], v[65:66], 0
	v_add_f64 v[16:17], v[16:17], 0
	v_mul_f64 v[22:23], v[4:5], v[22:23]
	s_waitcnt vmcnt(12)
	v_fma_f64 v[18:19], v[10:11], v[28:29], -v[18:19]
	v_fma_f64 v[28:29], v[12:13], v[28:29], v[67:68]
	ds_read_b128 v[10:13], v1 offset:1584
	v_add_f64 v[65:66], v[65:66], v[145:146]
	v_add_f64 v[14:15], v[16:17], v[14:15]
	s_waitcnt vmcnt(11) lgkmcnt(1)
	v_mul_f64 v[16:17], v[6:7], v[24:25]
	v_mul_f64 v[24:25], v[8:9], v[24:25]
	s_waitcnt vmcnt(9)
	v_fma_f64 v[1:2], v[2:3], v[30:31], -v[22:23]
	v_fma_f64 v[3:4], v[4:5], v[30:31], v[20:21]
	s_waitcnt vmcnt(7) lgkmcnt(0)
	v_mul_f64 v[22:23], v[12:13], v[57:58]
	v_mul_f64 v[20:21], v[10:11], v[57:58]
	v_add_f64 v[18:19], v[65:66], v[18:19]
	v_add_f64 v[14:15], v[14:15], v[28:29]
	s_waitcnt vmcnt(6)
	v_fma_f64 v[5:6], v[6:7], v[26:27], -v[24:25]
	v_fma_f64 v[7:8], v[8:9], v[26:27], v[16:17]
	s_waitcnt vmcnt(4)
	v_fma_f64 v[9:10], v[10:11], v[59:60], -v[22:23]
	v_add_f64 v[1:2], v[18:19], v[1:2]
	v_add_f64 v[3:4], v[14:15], v[3:4]
	;; [unrolled: 1-line block ×3, first 2 shown]
	v_fma_f64 v[5:6], v[12:13], v[59:60], v[20:21]
	v_add_f64 v[3:4], v[3:4], v[7:8]
	v_add_f64 v[1:2], v[1:2], v[9:10]
	;; [unrolled: 1-line block ×3, first 2 shown]
	s_waitcnt vmcnt(2)
	v_add_f64 v[1:2], v[61:62], -v[1:2]
	s_waitcnt vmcnt(0)
	v_add_f64 v[3:4], v[63:64], -v[3:4]
	buffer_store_dword v2, off, s[0:3], 0 offset:708
	buffer_store_dword v1, off, s[0:3], 0 offset:704
	;; [unrolled: 1-line block ×4, first 2 shown]
	v_cmpx_lt_u32_e32 42, v0
	s_cbranch_execz .LBB49_229
; %bb.228:
	v_mov_b32_e32 v4, s22
	v_mov_b32_e32 v5, 0
	s_clause 0x3
	buffer_load_dword v1, v4, s[0:3], 0 offen
	buffer_load_dword v2, v4, s[0:3], 0 offen offset:4
	buffer_load_dword v3, v4, s[0:3], 0 offen offset:8
	;; [unrolled: 1-line block ×3, first 2 shown]
	buffer_store_dword v5, off, s[0:3], 0 offset:688
	buffer_store_dword v5, off, s[0:3], 0 offset:692
	;; [unrolled: 1-line block ×4, first 2 shown]
	s_waitcnt vmcnt(0)
	ds_write_b128 v163, v[1:4]
.LBB49_229:
	s_or_b32 exec_lo, exec_lo, s4
	s_waitcnt lgkmcnt(0)
	s_waitcnt_vscnt null, 0x0
	s_barrier
	buffer_gl0_inv
	s_clause 0x1f
	buffer_load_dword v10, off, s[0:3], 0 offset:712
	buffer_load_dword v11, off, s[0:3], 0 offset:716
	;; [unrolled: 1-line block ×32, first 2 shown]
	v_mov_b32_e32 v1, 0
	ds_read_b128 v[2:5], v1 offset:1488
	ds_read_b128 v[6:9], v1 offset:1504
	s_mov_b32 s4, exec_lo
	s_waitcnt vmcnt(30) lgkmcnt(1)
	v_mul_f64 v[145:146], v[4:5], v[10:11]
	v_mul_f64 v[147:148], v[2:3], v[10:11]
	s_waitcnt vmcnt(28) lgkmcnt(0)
	v_mul_f64 v[149:150], v[8:9], v[14:15]
	ds_read_b128 v[10:13], v1 offset:1520
	v_mul_f64 v[14:15], v[6:7], v[14:15]
	s_waitcnt vmcnt(26)
	v_fma_f64 v[145:146], v[2:3], v[16:17], -v[145:146]
	v_fma_f64 v[16:17], v[4:5], v[16:17], v[147:148]
	ds_read_b128 v[2:5], v1 offset:1536
	s_waitcnt vmcnt(24) lgkmcnt(1)
	v_mul_f64 v[147:148], v[10:11], v[18:19]
	v_mul_f64 v[18:19], v[12:13], v[18:19]
	s_waitcnt vmcnt(22)
	v_fma_f64 v[149:150], v[6:7], v[20:21], -v[149:150]
	v_fma_f64 v[14:15], v[8:9], v[20:21], v[14:15]
	ds_read_b128 v[6:9], v1 offset:1552
	s_waitcnt vmcnt(18) lgkmcnt(1)
	v_mul_f64 v[20:21], v[2:3], v[22:23]
	v_add_f64 v[145:146], v[145:146], 0
	v_add_f64 v[16:17], v[16:17], 0
	v_mul_f64 v[22:23], v[4:5], v[22:23]
	s_waitcnt vmcnt(16)
	v_fma_f64 v[18:19], v[10:11], v[28:29], -v[18:19]
	v_fma_f64 v[28:29], v[12:13], v[28:29], v[147:148]
	ds_read_b128 v[10:13], v1 offset:1568
	s_waitcnt vmcnt(13)
	v_fma_f64 v[20:21], v[4:5], v[30:31], v[20:21]
	v_add_f64 v[145:146], v[145:146], v[149:150]
	v_add_f64 v[14:15], v[16:17], v[14:15]
	s_waitcnt lgkmcnt(1)
	v_mul_f64 v[16:17], v[6:7], v[24:25]
	v_mul_f64 v[24:25], v[8:9], v[24:25]
	v_fma_f64 v[22:23], v[2:3], v[30:31], -v[22:23]
	s_waitcnt vmcnt(9) lgkmcnt(0)
	v_mul_f64 v[30:31], v[12:13], v[57:58]
	ds_read_b128 v[2:5], v1 offset:1584
	v_add_f64 v[18:19], v[145:146], v[18:19]
	v_add_f64 v[14:15], v[14:15], v[28:29]
	v_mul_f64 v[28:29], v[10:11], v[57:58]
	s_waitcnt vmcnt(8)
	v_fma_f64 v[6:7], v[6:7], v[26:27], -v[24:25]
	v_fma_f64 v[8:9], v[8:9], v[26:27], v[16:17]
	s_waitcnt vmcnt(5)
	v_fma_f64 v[10:11], v[10:11], v[63:64], -v[30:31]
	s_waitcnt lgkmcnt(0)
	v_mul_f64 v[16:17], v[2:3], v[59:60]
	v_add_f64 v[18:19], v[18:19], v[22:23]
	v_add_f64 v[14:15], v[14:15], v[20:21]
	v_mul_f64 v[20:21], v[4:5], v[59:60]
	v_fma_f64 v[12:13], v[12:13], v[63:64], v[28:29]
	s_waitcnt vmcnt(4)
	v_fma_f64 v[4:5], v[4:5], v[61:62], v[16:17]
	v_add_f64 v[6:7], v[18:19], v[6:7]
	v_add_f64 v[8:9], v[14:15], v[8:9]
	v_fma_f64 v[2:3], v[2:3], v[61:62], -v[20:21]
	v_add_f64 v[6:7], v[6:7], v[10:11]
	v_add_f64 v[8:9], v[8:9], v[12:13]
	;; [unrolled: 1-line block ×4, first 2 shown]
	s_waitcnt vmcnt(2)
	v_add_f64 v[2:3], v[65:66], -v[2:3]
	s_waitcnt vmcnt(0)
	v_add_f64 v[4:5], v[67:68], -v[4:5]
	buffer_store_dword v3, off, s[0:3], 0 offset:692
	buffer_store_dword v2, off, s[0:3], 0 offset:688
	;; [unrolled: 1-line block ×4, first 2 shown]
	v_cmpx_lt_u32_e32 41, v0
	s_cbranch_execz .LBB49_231
; %bb.230:
	v_mov_b32_e32 v5, s17
	s_clause 0x3
	buffer_load_dword v2, v5, s[0:3], 0 offen
	buffer_load_dword v3, v5, s[0:3], 0 offen offset:4
	buffer_load_dword v4, v5, s[0:3], 0 offen offset:8
	;; [unrolled: 1-line block ×3, first 2 shown]
	buffer_store_dword v1, off, s[0:3], 0 offset:672
	buffer_store_dword v1, off, s[0:3], 0 offset:676
	buffer_store_dword v1, off, s[0:3], 0 offset:680
	buffer_store_dword v1, off, s[0:3], 0 offset:684
	s_waitcnt vmcnt(0)
	ds_write_b128 v163, v[2:5]
.LBB49_231:
	s_or_b32 exec_lo, exec_lo, s4
	s_waitcnt lgkmcnt(0)
	s_waitcnt_vscnt null, 0x0
	s_barrier
	buffer_gl0_inv
	s_clause 0x23
	buffer_load_dword v10, off, s[0:3], 0 offset:696
	buffer_load_dword v11, off, s[0:3], 0 offset:700
	;; [unrolled: 1-line block ×36, first 2 shown]
	ds_read_b128 v[2:5], v1 offset:1472
	ds_read_b128 v[6:9], v1 offset:1488
	s_mov_b32 s4, exec_lo
	s_waitcnt vmcnt(34) lgkmcnt(1)
	v_mul_f64 v[149:150], v[4:5], v[10:11]
	v_mul_f64 v[151:152], v[2:3], v[10:11]
	s_waitcnt vmcnt(32) lgkmcnt(0)
	v_mul_f64 v[153:154], v[8:9], v[14:15]
	ds_read_b128 v[10:13], v1 offset:1504
	v_mul_f64 v[14:15], v[6:7], v[14:15]
	s_waitcnt vmcnt(30)
	v_fma_f64 v[149:150], v[2:3], v[16:17], -v[149:150]
	v_fma_f64 v[16:17], v[4:5], v[16:17], v[151:152]
	ds_read_b128 v[2:5], v1 offset:1520
	s_waitcnt vmcnt(28) lgkmcnt(1)
	v_mul_f64 v[151:152], v[10:11], v[18:19]
	v_mul_f64 v[18:19], v[12:13], v[18:19]
	s_waitcnt vmcnt(26)
	v_fma_f64 v[153:154], v[6:7], v[20:21], -v[153:154]
	v_fma_f64 v[14:15], v[8:9], v[20:21], v[14:15]
	ds_read_b128 v[6:9], v1 offset:1536
	s_waitcnt vmcnt(22) lgkmcnt(1)
	v_mul_f64 v[20:21], v[2:3], v[22:23]
	v_add_f64 v[149:150], v[149:150], 0
	v_add_f64 v[16:17], v[16:17], 0
	v_mul_f64 v[22:23], v[4:5], v[22:23]
	s_waitcnt vmcnt(20)
	v_fma_f64 v[18:19], v[10:11], v[28:29], -v[18:19]
	v_fma_f64 v[28:29], v[12:13], v[28:29], v[151:152]
	ds_read_b128 v[10:13], v1 offset:1552
	s_waitcnt vmcnt(17)
	v_fma_f64 v[20:21], v[4:5], v[30:31], v[20:21]
	v_add_f64 v[149:150], v[149:150], v[153:154]
	v_add_f64 v[14:15], v[16:17], v[14:15]
	s_waitcnt lgkmcnt(1)
	v_mul_f64 v[16:17], v[6:7], v[24:25]
	v_mul_f64 v[24:25], v[8:9], v[24:25]
	v_fma_f64 v[22:23], v[2:3], v[30:31], -v[22:23]
	s_waitcnt vmcnt(13) lgkmcnt(0)
	v_mul_f64 v[30:31], v[12:13], v[57:58]
	ds_read_b128 v[2:5], v1 offset:1568
	v_add_f64 v[18:19], v[149:150], v[18:19]
	v_add_f64 v[14:15], v[14:15], v[28:29]
	v_mul_f64 v[28:29], v[10:11], v[57:58]
	s_waitcnt vmcnt(12)
	v_fma_f64 v[24:25], v[6:7], v[26:27], -v[24:25]
	v_fma_f64 v[16:17], v[8:9], v[26:27], v[16:17]
	ds_read_b128 v[6:9], v1 offset:1584
	s_waitcnt vmcnt(9)
	v_fma_f64 v[10:11], v[10:11], v[63:64], -v[30:31]
	v_add_f64 v[18:19], v[18:19], v[22:23]
	v_add_f64 v[14:15], v[14:15], v[20:21]
	s_waitcnt lgkmcnt(1)
	v_mul_f64 v[22:23], v[4:5], v[59:60]
	v_mul_f64 v[20:21], v[2:3], v[59:60]
	v_fma_f64 v[12:13], v[12:13], v[63:64], v[28:29]
	v_add_f64 v[18:19], v[18:19], v[24:25]
	v_add_f64 v[14:15], v[14:15], v[16:17]
	s_waitcnt vmcnt(7) lgkmcnt(0)
	v_mul_f64 v[24:25], v[8:9], v[65:66]
	s_waitcnt vmcnt(6)
	v_fma_f64 v[1:2], v[2:3], v[61:62], -v[22:23]
	v_mul_f64 v[16:17], v[6:7], v[65:66]
	v_fma_f64 v[3:4], v[4:5], v[61:62], v[20:21]
	v_add_f64 v[10:11], v[18:19], v[10:11]
	v_add_f64 v[12:13], v[14:15], v[12:13]
	s_waitcnt vmcnt(4)
	v_fma_f64 v[5:6], v[6:7], v[67:68], -v[24:25]
	v_fma_f64 v[7:8], v[8:9], v[67:68], v[16:17]
	v_add_f64 v[1:2], v[10:11], v[1:2]
	v_add_f64 v[3:4], v[12:13], v[3:4]
	v_add_f64 v[1:2], v[1:2], v[5:6]
	v_add_f64 v[3:4], v[3:4], v[7:8]
	s_waitcnt vmcnt(2)
	v_add_f64 v[1:2], v[145:146], -v[1:2]
	s_waitcnt vmcnt(0)
	v_add_f64 v[3:4], v[147:148], -v[3:4]
	buffer_store_dword v2, off, s[0:3], 0 offset:676
	buffer_store_dword v1, off, s[0:3], 0 offset:672
	;; [unrolled: 1-line block ×4, first 2 shown]
	v_cmpx_lt_u32_e32 40, v0
	s_cbranch_execz .LBB49_233
; %bb.232:
	v_mov_b32_e32 v4, s16
	v_mov_b32_e32 v5, 0
	s_clause 0x3
	buffer_load_dword v1, v4, s[0:3], 0 offen
	buffer_load_dword v2, v4, s[0:3], 0 offen offset:4
	buffer_load_dword v3, v4, s[0:3], 0 offen offset:8
	;; [unrolled: 1-line block ×3, first 2 shown]
	buffer_store_dword v5, off, s[0:3], 0 offset:656
	buffer_store_dword v5, off, s[0:3], 0 offset:660
	;; [unrolled: 1-line block ×4, first 2 shown]
	s_waitcnt vmcnt(0)
	ds_write_b128 v163, v[1:4]
.LBB49_233:
	s_or_b32 exec_lo, exec_lo, s4
	s_waitcnt lgkmcnt(0)
	s_waitcnt_vscnt null, 0x0
	s_barrier
	buffer_gl0_inv
	s_clause 0x27
	buffer_load_dword v10, off, s[0:3], 0 offset:680
	buffer_load_dword v11, off, s[0:3], 0 offset:684
	;; [unrolled: 1-line block ×40, first 2 shown]
	v_mov_b32_e32 v1, 0
	ds_read_b128 v[2:5], v1 offset:1456
	ds_read_b128 v[6:9], v1 offset:1472
	s_mov_b32 s4, exec_lo
	s_waitcnt vmcnt(38) lgkmcnt(1)
	v_mul_f64 v[153:154], v[4:5], v[10:11]
	v_mul_f64 v[155:156], v[2:3], v[10:11]
	s_waitcnt vmcnt(36) lgkmcnt(0)
	v_mul_f64 v[157:158], v[8:9], v[14:15]
	ds_read_b128 v[10:13], v1 offset:1488
	v_mul_f64 v[14:15], v[6:7], v[14:15]
	s_waitcnt vmcnt(34)
	v_fma_f64 v[153:154], v[2:3], v[16:17], -v[153:154]
	v_fma_f64 v[16:17], v[4:5], v[16:17], v[155:156]
	ds_read_b128 v[2:5], v1 offset:1504
	s_waitcnt vmcnt(32) lgkmcnt(1)
	v_mul_f64 v[155:156], v[10:11], v[18:19]
	v_mul_f64 v[18:19], v[12:13], v[18:19]
	s_waitcnt vmcnt(30)
	v_fma_f64 v[157:158], v[6:7], v[20:21], -v[157:158]
	v_fma_f64 v[14:15], v[8:9], v[20:21], v[14:15]
	ds_read_b128 v[6:9], v1 offset:1520
	s_waitcnt vmcnt(26) lgkmcnt(1)
	v_mul_f64 v[20:21], v[2:3], v[22:23]
	v_add_f64 v[153:154], v[153:154], 0
	v_add_f64 v[16:17], v[16:17], 0
	v_mul_f64 v[22:23], v[4:5], v[22:23]
	s_waitcnt vmcnt(24)
	v_fma_f64 v[18:19], v[10:11], v[28:29], -v[18:19]
	v_fma_f64 v[28:29], v[12:13], v[28:29], v[155:156]
	ds_read_b128 v[10:13], v1 offset:1536
	s_waitcnt vmcnt(21)
	v_fma_f64 v[20:21], v[4:5], v[30:31], v[20:21]
	v_add_f64 v[153:154], v[153:154], v[157:158]
	v_add_f64 v[14:15], v[16:17], v[14:15]
	s_waitcnt lgkmcnt(1)
	v_mul_f64 v[16:17], v[6:7], v[24:25]
	v_mul_f64 v[24:25], v[8:9], v[24:25]
	v_fma_f64 v[22:23], v[2:3], v[30:31], -v[22:23]
	s_waitcnt vmcnt(17) lgkmcnt(0)
	v_mul_f64 v[30:31], v[12:13], v[57:58]
	ds_read_b128 v[2:5], v1 offset:1552
	v_add_f64 v[18:19], v[153:154], v[18:19]
	v_add_f64 v[14:15], v[14:15], v[28:29]
	v_mul_f64 v[28:29], v[10:11], v[57:58]
	s_waitcnt vmcnt(16)
	v_fma_f64 v[24:25], v[6:7], v[26:27], -v[24:25]
	v_fma_f64 v[16:17], v[8:9], v[26:27], v[16:17]
	ds_read_b128 v[6:9], v1 offset:1568
	s_waitcnt vmcnt(13)
	v_fma_f64 v[26:27], v[10:11], v[63:64], -v[30:31]
	v_add_f64 v[18:19], v[18:19], v[22:23]
	v_add_f64 v[14:15], v[14:15], v[20:21]
	s_waitcnt lgkmcnt(1)
	v_mul_f64 v[22:23], v[4:5], v[59:60]
	v_mul_f64 v[20:21], v[2:3], v[59:60]
	v_add_f64 v[18:19], v[18:19], v[24:25]
	v_fma_f64 v[24:25], v[12:13], v[63:64], v[28:29]
	v_add_f64 v[14:15], v[14:15], v[16:17]
	s_waitcnt vmcnt(9) lgkmcnt(0)
	v_mul_f64 v[28:29], v[8:9], v[65:66]
	s_waitcnt vmcnt(8)
	v_fma_f64 v[2:3], v[2:3], v[61:62], -v[22:23]
	ds_read_b128 v[10:13], v1 offset:1584
	v_mul_f64 v[16:17], v[6:7], v[65:66]
	v_fma_f64 v[4:5], v[4:5], v[61:62], v[20:21]
	v_add_f64 v[18:19], v[18:19], v[26:27]
	v_add_f64 v[14:15], v[14:15], v[24:25]
	s_waitcnt vmcnt(7) lgkmcnt(0)
	v_mul_f64 v[22:23], v[12:13], v[67:68]
	s_waitcnt vmcnt(5)
	v_fma_f64 v[6:7], v[6:7], v[147:148], -v[28:29]
	v_mul_f64 v[20:21], v[10:11], v[67:68]
	v_fma_f64 v[8:9], v[8:9], v[147:148], v[16:17]
	v_add_f64 v[2:3], v[18:19], v[2:3]
	v_add_f64 v[4:5], v[14:15], v[4:5]
	s_waitcnt vmcnt(4)
	v_fma_f64 v[10:11], v[10:11], v[145:146], -v[22:23]
	v_add_f64 v[2:3], v[2:3], v[6:7]
	v_fma_f64 v[6:7], v[12:13], v[145:146], v[20:21]
	v_add_f64 v[4:5], v[4:5], v[8:9]
	v_add_f64 v[2:3], v[2:3], v[10:11]
	;; [unrolled: 1-line block ×3, first 2 shown]
	s_waitcnt vmcnt(2)
	v_add_f64 v[2:3], v[149:150], -v[2:3]
	s_waitcnt vmcnt(0)
	v_add_f64 v[4:5], v[151:152], -v[4:5]
	buffer_store_dword v3, off, s[0:3], 0 offset:660
	buffer_store_dword v2, off, s[0:3], 0 offset:656
	;; [unrolled: 1-line block ×4, first 2 shown]
	v_cmpx_lt_u32_e32 39, v0
	s_cbranch_execz .LBB49_235
; %bb.234:
	v_mov_b32_e32 v5, s14
	s_clause 0x3
	buffer_load_dword v2, v5, s[0:3], 0 offen
	buffer_load_dword v3, v5, s[0:3], 0 offen offset:4
	buffer_load_dword v4, v5, s[0:3], 0 offen offset:8
	;; [unrolled: 1-line block ×3, first 2 shown]
	buffer_store_dword v1, off, s[0:3], 0 offset:640
	buffer_store_dword v1, off, s[0:3], 0 offset:644
	;; [unrolled: 1-line block ×4, first 2 shown]
	s_waitcnt vmcnt(0)
	ds_write_b128 v163, v[2:5]
.LBB49_235:
	s_or_b32 exec_lo, exec_lo, s4
	s_waitcnt lgkmcnt(0)
	s_waitcnt_vscnt null, 0x0
	s_barrier
	buffer_gl0_inv
	s_clause 0x2b
	buffer_load_dword v10, off, s[0:3], 0 offset:664
	buffer_load_dword v11, off, s[0:3], 0 offset:668
	;; [unrolled: 1-line block ×44, first 2 shown]
	ds_read_b128 v[2:5], v1 offset:1440
	ds_read_b128 v[6:9], v1 offset:1456
	s_mov_b32 s4, exec_lo
	s_waitcnt vmcnt(42) lgkmcnt(1)
	v_mul_f64 v[157:158], v[4:5], v[10:11]
	v_mul_f64 v[159:160], v[2:3], v[10:11]
	s_waitcnt vmcnt(40) lgkmcnt(0)
	v_mul_f64 v[161:162], v[8:9], v[14:15]
	ds_read_b128 v[10:13], v1 offset:1472
	v_mul_f64 v[14:15], v[6:7], v[14:15]
	s_waitcnt vmcnt(38)
	v_fma_f64 v[157:158], v[2:3], v[16:17], -v[157:158]
	v_fma_f64 v[16:17], v[4:5], v[16:17], v[159:160]
	ds_read_b128 v[2:5], v1 offset:1488
	s_waitcnt vmcnt(36) lgkmcnt(1)
	v_mul_f64 v[159:160], v[10:11], v[18:19]
	v_mul_f64 v[18:19], v[12:13], v[18:19]
	s_waitcnt vmcnt(34)
	v_fma_f64 v[161:162], v[6:7], v[20:21], -v[161:162]
	v_fma_f64 v[14:15], v[8:9], v[20:21], v[14:15]
	ds_read_b128 v[6:9], v1 offset:1504
	s_waitcnt vmcnt(30) lgkmcnt(1)
	v_mul_f64 v[20:21], v[2:3], v[22:23]
	v_add_f64 v[157:158], v[157:158], 0
	v_add_f64 v[16:17], v[16:17], 0
	v_mul_f64 v[22:23], v[4:5], v[22:23]
	s_waitcnt vmcnt(28)
	v_fma_f64 v[18:19], v[10:11], v[28:29], -v[18:19]
	v_fma_f64 v[28:29], v[12:13], v[28:29], v[159:160]
	ds_read_b128 v[10:13], v1 offset:1520
	s_waitcnt vmcnt(25)
	v_fma_f64 v[20:21], v[4:5], v[30:31], v[20:21]
	v_add_f64 v[157:158], v[157:158], v[161:162]
	v_add_f64 v[14:15], v[16:17], v[14:15]
	s_waitcnt lgkmcnt(1)
	v_mul_f64 v[16:17], v[6:7], v[24:25]
	v_mul_f64 v[24:25], v[8:9], v[24:25]
	v_fma_f64 v[22:23], v[2:3], v[30:31], -v[22:23]
	s_waitcnt vmcnt(21) lgkmcnt(0)
	v_mul_f64 v[30:31], v[12:13], v[57:58]
	ds_read_b128 v[2:5], v1 offset:1536
	v_add_f64 v[18:19], v[157:158], v[18:19]
	v_add_f64 v[14:15], v[14:15], v[28:29]
	v_mul_f64 v[28:29], v[10:11], v[57:58]
	s_waitcnt vmcnt(20)
	v_fma_f64 v[24:25], v[6:7], v[26:27], -v[24:25]
	v_fma_f64 v[16:17], v[8:9], v[26:27], v[16:17]
	ds_read_b128 v[6:9], v1 offset:1552
	s_waitcnt vmcnt(17)
	v_fma_f64 v[26:27], v[10:11], v[63:64], -v[30:31]
	v_add_f64 v[18:19], v[18:19], v[22:23]
	v_add_f64 v[14:15], v[14:15], v[20:21]
	s_waitcnt lgkmcnt(1)
	v_mul_f64 v[22:23], v[4:5], v[59:60]
	v_mul_f64 v[20:21], v[2:3], v[59:60]
	v_add_f64 v[18:19], v[18:19], v[24:25]
	v_fma_f64 v[24:25], v[12:13], v[63:64], v[28:29]
	v_add_f64 v[14:15], v[14:15], v[16:17]
	s_waitcnt vmcnt(13) lgkmcnt(0)
	v_mul_f64 v[28:29], v[8:9], v[65:66]
	s_waitcnt vmcnt(12)
	v_fma_f64 v[22:23], v[2:3], v[61:62], -v[22:23]
	ds_read_b128 v[10:13], v1 offset:1568
	v_mul_f64 v[16:17], v[6:7], v[65:66]
	v_fma_f64 v[20:21], v[4:5], v[61:62], v[20:21]
	ds_read_b128 v[1:4], v1 offset:1584
	v_add_f64 v[18:19], v[18:19], v[26:27]
	v_add_f64 v[14:15], v[14:15], v[24:25]
	s_waitcnt vmcnt(11) lgkmcnt(1)
	v_mul_f64 v[26:27], v[12:13], v[67:68]
	s_waitcnt vmcnt(9)
	v_fma_f64 v[5:6], v[6:7], v[147:148], -v[28:29]
	v_mul_f64 v[24:25], v[10:11], v[67:68]
	v_fma_f64 v[7:8], v[8:9], v[147:148], v[16:17]
	s_waitcnt vmcnt(7) lgkmcnt(0)
	v_mul_f64 v[16:17], v[1:2], v[149:150]
	v_add_f64 v[18:19], v[18:19], v[22:23]
	v_add_f64 v[14:15], v[14:15], v[20:21]
	v_mul_f64 v[20:21], v[3:4], v[149:150]
	s_waitcnt vmcnt(6)
	v_fma_f64 v[9:10], v[10:11], v[145:146], -v[26:27]
	v_fma_f64 v[11:12], v[12:13], v[145:146], v[24:25]
	s_waitcnt vmcnt(4)
	v_fma_f64 v[3:4], v[3:4], v[151:152], v[16:17]
	v_add_f64 v[5:6], v[18:19], v[5:6]
	v_add_f64 v[7:8], v[14:15], v[7:8]
	v_fma_f64 v[1:2], v[1:2], v[151:152], -v[20:21]
	v_add_f64 v[5:6], v[5:6], v[9:10]
	v_add_f64 v[7:8], v[7:8], v[11:12]
	;; [unrolled: 1-line block ×4, first 2 shown]
	s_waitcnt vmcnt(2)
	v_add_f64 v[1:2], v[153:154], -v[1:2]
	s_waitcnt vmcnt(0)
	v_add_f64 v[3:4], v[155:156], -v[3:4]
	buffer_store_dword v2, off, s[0:3], 0 offset:644
	buffer_store_dword v1, off, s[0:3], 0 offset:640
	;; [unrolled: 1-line block ×4, first 2 shown]
	v_cmpx_lt_u32_e32 38, v0
	s_cbranch_execz .LBB49_237
; %bb.236:
	v_mov_b32_e32 v4, s29
	v_mov_b32_e32 v5, 0
	s_clause 0x3
	buffer_load_dword v1, v4, s[0:3], 0 offen
	buffer_load_dword v2, v4, s[0:3], 0 offen offset:4
	buffer_load_dword v3, v4, s[0:3], 0 offen offset:8
	;; [unrolled: 1-line block ×3, first 2 shown]
	buffer_store_dword v5, off, s[0:3], 0 offset:624
	buffer_store_dword v5, off, s[0:3], 0 offset:628
	;; [unrolled: 1-line block ×4, first 2 shown]
	s_waitcnt vmcnt(0)
	ds_write_b128 v163, v[1:4]
.LBB49_237:
	s_or_b32 exec_lo, exec_lo, s4
	s_waitcnt lgkmcnt(0)
	s_waitcnt_vscnt null, 0x0
	s_barrier
	buffer_gl0_inv
	s_clause 0x2f
	buffer_load_dword v10, off, s[0:3], 0 offset:648
	buffer_load_dword v11, off, s[0:3], 0 offset:652
	;; [unrolled: 1-line block ×48, first 2 shown]
	v_mov_b32_e32 v1, 0
	ds_read_b128 v[2:5], v1 offset:1424
	ds_read_b128 v[6:9], v1 offset:1440
	s_mov_b32 s4, exec_lo
	s_waitcnt vmcnt(46) lgkmcnt(1)
	v_mul_f64 v[161:162], v[4:5], v[10:11]
	v_mul_f64 v[164:165], v[2:3], v[10:11]
	s_waitcnt vmcnt(44) lgkmcnt(0)
	v_mul_f64 v[166:167], v[8:9], v[14:15]
	ds_read_b128 v[10:13], v1 offset:1456
	v_mul_f64 v[14:15], v[6:7], v[14:15]
	s_waitcnt vmcnt(42)
	v_fma_f64 v[161:162], v[2:3], v[16:17], -v[161:162]
	v_fma_f64 v[16:17], v[4:5], v[16:17], v[164:165]
	ds_read_b128 v[2:5], v1 offset:1472
	s_waitcnt vmcnt(40) lgkmcnt(1)
	v_mul_f64 v[164:165], v[10:11], v[18:19]
	v_mul_f64 v[18:19], v[12:13], v[18:19]
	s_waitcnt vmcnt(38)
	v_fma_f64 v[166:167], v[6:7], v[20:21], -v[166:167]
	v_fma_f64 v[14:15], v[8:9], v[20:21], v[14:15]
	ds_read_b128 v[6:9], v1 offset:1488
	s_waitcnt vmcnt(34) lgkmcnt(1)
	v_mul_f64 v[20:21], v[2:3], v[22:23]
	v_add_f64 v[161:162], v[161:162], 0
	v_add_f64 v[16:17], v[16:17], 0
	v_mul_f64 v[22:23], v[4:5], v[22:23]
	s_waitcnt vmcnt(32)
	v_fma_f64 v[18:19], v[10:11], v[28:29], -v[18:19]
	v_fma_f64 v[28:29], v[12:13], v[28:29], v[164:165]
	ds_read_b128 v[10:13], v1 offset:1504
	s_waitcnt vmcnt(29)
	v_fma_f64 v[20:21], v[4:5], v[30:31], v[20:21]
	v_add_f64 v[161:162], v[161:162], v[166:167]
	v_add_f64 v[14:15], v[16:17], v[14:15]
	s_waitcnt lgkmcnt(1)
	v_mul_f64 v[16:17], v[6:7], v[24:25]
	v_mul_f64 v[24:25], v[8:9], v[24:25]
	v_fma_f64 v[22:23], v[2:3], v[30:31], -v[22:23]
	s_waitcnt vmcnt(25) lgkmcnt(0)
	v_mul_f64 v[30:31], v[12:13], v[57:58]
	ds_read_b128 v[2:5], v1 offset:1520
	v_add_f64 v[18:19], v[161:162], v[18:19]
	v_add_f64 v[14:15], v[14:15], v[28:29]
	v_mul_f64 v[28:29], v[10:11], v[57:58]
	s_waitcnt vmcnt(24)
	v_fma_f64 v[24:25], v[6:7], v[26:27], -v[24:25]
	v_fma_f64 v[16:17], v[8:9], v[26:27], v[16:17]
	ds_read_b128 v[6:9], v1 offset:1536
	s_waitcnt vmcnt(21)
	v_fma_f64 v[26:27], v[10:11], v[63:64], -v[30:31]
	v_add_f64 v[18:19], v[18:19], v[22:23]
	v_add_f64 v[14:15], v[14:15], v[20:21]
	s_waitcnt lgkmcnt(1)
	v_mul_f64 v[22:23], v[4:5], v[59:60]
	v_mul_f64 v[20:21], v[2:3], v[59:60]
	v_add_f64 v[18:19], v[18:19], v[24:25]
	v_fma_f64 v[24:25], v[12:13], v[63:64], v[28:29]
	v_add_f64 v[14:15], v[14:15], v[16:17]
	s_waitcnt vmcnt(17) lgkmcnt(0)
	v_mul_f64 v[28:29], v[8:9], v[65:66]
	s_waitcnt vmcnt(16)
	v_fma_f64 v[22:23], v[2:3], v[61:62], -v[22:23]
	ds_read_b128 v[10:13], v1 offset:1552
	v_mul_f64 v[16:17], v[6:7], v[65:66]
	v_fma_f64 v[20:21], v[4:5], v[61:62], v[20:21]
	ds_read_b128 v[2:5], v1 offset:1568
	v_add_f64 v[18:19], v[18:19], v[26:27]
	v_add_f64 v[14:15], v[14:15], v[24:25]
	s_waitcnt vmcnt(15) lgkmcnt(1)
	v_mul_f64 v[26:27], v[12:13], v[67:68]
	s_waitcnt vmcnt(13)
	v_fma_f64 v[28:29], v[6:7], v[147:148], -v[28:29]
	v_mul_f64 v[24:25], v[10:11], v[67:68]
	v_fma_f64 v[16:17], v[8:9], v[147:148], v[16:17]
	ds_read_b128 v[6:9], v1 offset:1584
	v_add_f64 v[18:19], v[18:19], v[22:23]
	s_waitcnt vmcnt(9) lgkmcnt(1)
	v_mul_f64 v[22:23], v[4:5], v[149:150]
	v_add_f64 v[14:15], v[14:15], v[20:21]
	s_waitcnt vmcnt(8)
	v_fma_f64 v[10:11], v[10:11], v[145:146], -v[26:27]
	v_mul_f64 v[20:21], v[2:3], v[149:150]
	v_fma_f64 v[12:13], v[12:13], v[145:146], v[24:25]
	s_waitcnt vmcnt(7) lgkmcnt(0)
	v_mul_f64 v[24:25], v[8:9], v[151:152]
	v_add_f64 v[18:19], v[18:19], v[28:29]
	s_waitcnt vmcnt(5)
	v_fma_f64 v[2:3], v[2:3], v[155:156], -v[22:23]
	v_add_f64 v[14:15], v[14:15], v[16:17]
	v_mul_f64 v[16:17], v[6:7], v[151:152]
	v_fma_f64 v[4:5], v[4:5], v[155:156], v[20:21]
	s_waitcnt vmcnt(4)
	v_fma_f64 v[6:7], v[6:7], v[153:154], -v[24:25]
	v_add_f64 v[10:11], v[18:19], v[10:11]
	v_add_f64 v[12:13], v[14:15], v[12:13]
	v_fma_f64 v[8:9], v[8:9], v[153:154], v[16:17]
	v_add_f64 v[2:3], v[10:11], v[2:3]
	v_add_f64 v[4:5], v[12:13], v[4:5]
	;; [unrolled: 1-line block ×4, first 2 shown]
	s_waitcnt vmcnt(2)
	v_add_f64 v[2:3], v[157:158], -v[2:3]
	s_waitcnt vmcnt(0)
	v_add_f64 v[4:5], v[159:160], -v[4:5]
	buffer_store_dword v3, off, s[0:3], 0 offset:628
	buffer_store_dword v2, off, s[0:3], 0 offset:624
	buffer_store_dword v5, off, s[0:3], 0 offset:636
	buffer_store_dword v4, off, s[0:3], 0 offset:632
	v_cmpx_lt_u32_e32 37, v0
	s_cbranch_execz .LBB49_239
; %bb.238:
	v_mov_b32_e32 v5, s26
	s_clause 0x3
	buffer_load_dword v2, v5, s[0:3], 0 offen
	buffer_load_dword v3, v5, s[0:3], 0 offen offset:4
	buffer_load_dword v4, v5, s[0:3], 0 offen offset:8
	;; [unrolled: 1-line block ×3, first 2 shown]
	buffer_store_dword v1, off, s[0:3], 0 offset:608
	buffer_store_dword v1, off, s[0:3], 0 offset:612
	;; [unrolled: 1-line block ×4, first 2 shown]
	s_waitcnt vmcnt(0)
	ds_write_b128 v163, v[2:5]
.LBB49_239:
	s_or_b32 exec_lo, exec_lo, s4
	s_waitcnt lgkmcnt(0)
	s_waitcnt_vscnt null, 0x0
	s_barrier
	buffer_gl0_inv
	s_clause 0x2f
	buffer_load_dword v10, off, s[0:3], 0 offset:632
	buffer_load_dword v11, off, s[0:3], 0 offset:636
	;; [unrolled: 1-line block ×48, first 2 shown]
	ds_read_b128 v[2:5], v1 offset:1408
	s_clause 0x3
	buffer_load_dword v161, off, s[0:3], 0 offset:608
	buffer_load_dword v162, off, s[0:3], 0 offset:612
	;; [unrolled: 1-line block ×4, first 2 shown]
	ds_read_b128 v[6:9], v1 offset:1424
	s_mov_b32 s4, exec_lo
	s_waitcnt vmcnt(50) lgkmcnt(1)
	v_mul_f64 v[166:167], v[4:5], v[10:11]
	v_mul_f64 v[168:169], v[2:3], v[10:11]
	ds_read_b128 v[10:13], v1 offset:1440
	s_waitcnt vmcnt(48) lgkmcnt(1)
	v_mul_f64 v[170:171], v[8:9], v[14:15]
	v_mul_f64 v[14:15], v[6:7], v[14:15]
	s_waitcnt vmcnt(46)
	v_fma_f64 v[166:167], v[2:3], v[16:17], -v[166:167]
	v_fma_f64 v[16:17], v[4:5], v[16:17], v[168:169]
	s_waitcnt vmcnt(44) lgkmcnt(0)
	v_mul_f64 v[168:169], v[10:11], v[18:19]
	v_mul_f64 v[18:19], v[12:13], v[18:19]
	s_waitcnt vmcnt(42)
	v_fma_f64 v[170:171], v[6:7], v[20:21], -v[170:171]
	ds_read_b128 v[2:5], v1 offset:1456
	v_fma_f64 v[14:15], v[8:9], v[20:21], v[14:15]
	ds_read_b128 v[6:9], v1 offset:1472
	v_add_f64 v[166:167], v[166:167], 0
	v_add_f64 v[16:17], v[16:17], 0
	s_waitcnt vmcnt(38) lgkmcnt(1)
	v_mul_f64 v[20:21], v[2:3], v[22:23]
	v_mul_f64 v[22:23], v[4:5], v[22:23]
	s_waitcnt vmcnt(36)
	v_fma_f64 v[18:19], v[10:11], v[28:29], -v[18:19]
	v_fma_f64 v[28:29], v[12:13], v[28:29], v[168:169]
	ds_read_b128 v[10:13], v1 offset:1488
	v_add_f64 v[166:167], v[166:167], v[170:171]
	v_add_f64 v[14:15], v[16:17], v[14:15]
	s_waitcnt vmcnt(35) lgkmcnt(1)
	v_mul_f64 v[16:17], v[6:7], v[24:25]
	v_mul_f64 v[24:25], v[8:9], v[24:25]
	s_waitcnt vmcnt(33)
	v_fma_f64 v[22:23], v[2:3], v[30:31], -v[22:23]
	v_fma_f64 v[20:21], v[4:5], v[30:31], v[20:21]
	ds_read_b128 v[2:5], v1 offset:1504
	s_waitcnt vmcnt(29) lgkmcnt(1)
	v_mul_f64 v[30:31], v[12:13], v[57:58]
	v_add_f64 v[18:19], v[166:167], v[18:19]
	v_add_f64 v[14:15], v[14:15], v[28:29]
	v_mul_f64 v[28:29], v[10:11], v[57:58]
	s_waitcnt vmcnt(28)
	v_fma_f64 v[24:25], v[6:7], v[26:27], -v[24:25]
	v_fma_f64 v[16:17], v[8:9], v[26:27], v[16:17]
	ds_read_b128 v[6:9], v1 offset:1520
	s_waitcnt vmcnt(25)
	v_fma_f64 v[26:27], v[10:11], v[63:64], -v[30:31]
	v_add_f64 v[18:19], v[18:19], v[22:23]
	v_add_f64 v[14:15], v[14:15], v[20:21]
	s_waitcnt lgkmcnt(1)
	v_mul_f64 v[22:23], v[4:5], v[59:60]
	v_mul_f64 v[20:21], v[2:3], v[59:60]
	v_add_f64 v[18:19], v[18:19], v[24:25]
	v_fma_f64 v[24:25], v[12:13], v[63:64], v[28:29]
	v_add_f64 v[14:15], v[14:15], v[16:17]
	ds_read_b128 v[10:13], v1 offset:1536
	s_waitcnt vmcnt(21) lgkmcnt(1)
	v_mul_f64 v[28:29], v[8:9], v[65:66]
	s_waitcnt vmcnt(20)
	v_fma_f64 v[22:23], v[2:3], v[61:62], -v[22:23]
	v_mul_f64 v[16:17], v[6:7], v[65:66]
	v_fma_f64 v[20:21], v[4:5], v[61:62], v[20:21]
	ds_read_b128 v[2:5], v1 offset:1552
	v_add_f64 v[18:19], v[18:19], v[26:27]
	s_waitcnt vmcnt(19) lgkmcnt(1)
	v_mul_f64 v[26:27], v[12:13], v[67:68]
	v_add_f64 v[14:15], v[14:15], v[24:25]
	v_mul_f64 v[24:25], v[10:11], v[67:68]
	s_waitcnt vmcnt(17)
	v_fma_f64 v[28:29], v[6:7], v[147:148], -v[28:29]
	v_fma_f64 v[16:17], v[8:9], v[147:148], v[16:17]
	ds_read_b128 v[6:9], v1 offset:1568
	v_add_f64 v[18:19], v[18:19], v[22:23]
	s_waitcnt vmcnt(13) lgkmcnt(1)
	v_mul_f64 v[22:23], v[4:5], v[149:150]
	v_add_f64 v[14:15], v[14:15], v[20:21]
	s_waitcnt vmcnt(12)
	v_fma_f64 v[26:27], v[10:11], v[145:146], -v[26:27]
	v_mul_f64 v[20:21], v[2:3], v[149:150]
	v_fma_f64 v[24:25], v[12:13], v[145:146], v[24:25]
	ds_read_b128 v[10:13], v1 offset:1584
	v_add_f64 v[18:19], v[18:19], v[28:29]
	s_waitcnt vmcnt(11) lgkmcnt(1)
	v_mul_f64 v[28:29], v[8:9], v[151:152]
	v_add_f64 v[14:15], v[14:15], v[16:17]
	s_waitcnt vmcnt(9)
	v_fma_f64 v[1:2], v[2:3], v[155:156], -v[22:23]
	v_mul_f64 v[16:17], v[6:7], v[151:152]
	v_fma_f64 v[3:4], v[4:5], v[155:156], v[20:21]
	s_waitcnt vmcnt(7) lgkmcnt(0)
	v_mul_f64 v[22:23], v[12:13], v[157:158]
	v_mul_f64 v[20:21], v[10:11], v[157:158]
	v_add_f64 v[18:19], v[18:19], v[26:27]
	s_waitcnt vmcnt(6)
	v_fma_f64 v[5:6], v[6:7], v[153:154], -v[28:29]
	v_add_f64 v[14:15], v[14:15], v[24:25]
	v_fma_f64 v[7:8], v[8:9], v[153:154], v[16:17]
	s_waitcnt vmcnt(4)
	v_fma_f64 v[9:10], v[10:11], v[159:160], -v[22:23]
	v_add_f64 v[1:2], v[18:19], v[1:2]
	v_add_f64 v[3:4], v[14:15], v[3:4]
	;; [unrolled: 1-line block ×3, first 2 shown]
	v_fma_f64 v[5:6], v[12:13], v[159:160], v[20:21]
	v_add_f64 v[3:4], v[3:4], v[7:8]
	v_add_f64 v[1:2], v[1:2], v[9:10]
	;; [unrolled: 1-line block ×3, first 2 shown]
	s_waitcnt vmcnt(2)
	v_add_f64 v[1:2], v[161:162], -v[1:2]
	s_waitcnt vmcnt(0)
	v_add_f64 v[3:4], v[164:165], -v[3:4]
	buffer_store_dword v2, off, s[0:3], 0 offset:612
	buffer_store_dword v1, off, s[0:3], 0 offset:608
	;; [unrolled: 1-line block ×4, first 2 shown]
	v_cmpx_lt_u32_e32 36, v0
	s_cbranch_execz .LBB49_241
; %bb.240:
	v_mov_b32_e32 v4, s28
	v_mov_b32_e32 v5, 0
	s_clause 0x3
	buffer_load_dword v1, v4, s[0:3], 0 offen
	buffer_load_dword v2, v4, s[0:3], 0 offen offset:4
	buffer_load_dword v3, v4, s[0:3], 0 offen offset:8
	buffer_load_dword v4, v4, s[0:3], 0 offen offset:12
	buffer_store_dword v5, off, s[0:3], 0 offset:592
	buffer_store_dword v5, off, s[0:3], 0 offset:596
	;; [unrolled: 1-line block ×4, first 2 shown]
	s_waitcnt vmcnt(0)
	ds_write_b128 v163, v[1:4]
.LBB49_241:
	s_or_b32 exec_lo, exec_lo, s4
	s_waitcnt lgkmcnt(0)
	s_waitcnt_vscnt null, 0x0
	s_barrier
	buffer_gl0_inv
	s_clause 0x33
	buffer_load_dword v10, off, s[0:3], 0 offset:616
	buffer_load_dword v11, off, s[0:3], 0 offset:620
	;; [unrolled: 1-line block ×52, first 2 shown]
	v_mov_b32_e32 v1, 0
	ds_read_b128 v[2:5], v1 offset:1392
	ds_read_b128 v[6:9], v1 offset:1408
	s_clause 0x3
	buffer_load_dword v170, off, s[0:3], 0 offset:592
	buffer_load_dword v171, off, s[0:3], 0 offset:596
	;; [unrolled: 1-line block ×4, first 2 shown]
	s_mov_b32 s4, exec_lo
	s_waitcnt vmcnt(54) lgkmcnt(1)
	v_mul_f64 v[166:167], v[4:5], v[10:11]
	v_mul_f64 v[168:169], v[2:3], v[10:11]
	s_waitcnt vmcnt(52) lgkmcnt(0)
	v_mul_f64 v[174:175], v[8:9], v[14:15]
	ds_read_b128 v[10:13], v1 offset:1424
	v_mul_f64 v[14:15], v[6:7], v[14:15]
	s_waitcnt vmcnt(50)
	v_fma_f64 v[166:167], v[2:3], v[16:17], -v[166:167]
	v_fma_f64 v[16:17], v[4:5], v[16:17], v[168:169]
	ds_read_b128 v[2:5], v1 offset:1440
	s_waitcnt vmcnt(48) lgkmcnt(1)
	v_mul_f64 v[168:169], v[10:11], v[18:19]
	v_mul_f64 v[18:19], v[12:13], v[18:19]
	s_waitcnt vmcnt(46)
	v_fma_f64 v[174:175], v[6:7], v[20:21], -v[174:175]
	v_fma_f64 v[14:15], v[8:9], v[20:21], v[14:15]
	ds_read_b128 v[6:9], v1 offset:1456
	s_waitcnt vmcnt(42) lgkmcnt(1)
	v_mul_f64 v[20:21], v[2:3], v[22:23]
	v_add_f64 v[166:167], v[166:167], 0
	v_add_f64 v[16:17], v[16:17], 0
	v_mul_f64 v[22:23], v[4:5], v[22:23]
	s_waitcnt vmcnt(40)
	v_fma_f64 v[18:19], v[10:11], v[28:29], -v[18:19]
	v_fma_f64 v[28:29], v[12:13], v[28:29], v[168:169]
	ds_read_b128 v[10:13], v1 offset:1472
	s_waitcnt vmcnt(37)
	v_fma_f64 v[20:21], v[4:5], v[30:31], v[20:21]
	v_add_f64 v[166:167], v[166:167], v[174:175]
	v_add_f64 v[14:15], v[16:17], v[14:15]
	s_waitcnt lgkmcnt(1)
	v_mul_f64 v[16:17], v[6:7], v[24:25]
	v_mul_f64 v[24:25], v[8:9], v[24:25]
	v_fma_f64 v[22:23], v[2:3], v[30:31], -v[22:23]
	s_waitcnt vmcnt(33) lgkmcnt(0)
	v_mul_f64 v[30:31], v[12:13], v[57:58]
	ds_read_b128 v[2:5], v1 offset:1488
	v_add_f64 v[18:19], v[166:167], v[18:19]
	v_add_f64 v[14:15], v[14:15], v[28:29]
	v_mul_f64 v[28:29], v[10:11], v[57:58]
	s_waitcnt vmcnt(32)
	v_fma_f64 v[24:25], v[6:7], v[26:27], -v[24:25]
	v_fma_f64 v[16:17], v[8:9], v[26:27], v[16:17]
	ds_read_b128 v[6:9], v1 offset:1504
	s_waitcnt vmcnt(29)
	v_fma_f64 v[26:27], v[10:11], v[63:64], -v[30:31]
	v_add_f64 v[18:19], v[18:19], v[22:23]
	v_add_f64 v[14:15], v[14:15], v[20:21]
	s_waitcnt lgkmcnt(1)
	v_mul_f64 v[22:23], v[4:5], v[59:60]
	v_mul_f64 v[20:21], v[2:3], v[59:60]
	v_add_f64 v[18:19], v[18:19], v[24:25]
	v_fma_f64 v[24:25], v[12:13], v[63:64], v[28:29]
	v_add_f64 v[14:15], v[14:15], v[16:17]
	s_waitcnt vmcnt(25) lgkmcnt(0)
	v_mul_f64 v[28:29], v[8:9], v[65:66]
	s_waitcnt vmcnt(24)
	v_fma_f64 v[22:23], v[2:3], v[61:62], -v[22:23]
	ds_read_b128 v[10:13], v1 offset:1520
	v_mul_f64 v[16:17], v[6:7], v[65:66]
	v_fma_f64 v[20:21], v[4:5], v[61:62], v[20:21]
	ds_read_b128 v[2:5], v1 offset:1536
	v_add_f64 v[18:19], v[18:19], v[26:27]
	v_add_f64 v[14:15], v[14:15], v[24:25]
	s_waitcnt vmcnt(23) lgkmcnt(1)
	v_mul_f64 v[26:27], v[12:13], v[67:68]
	s_waitcnt vmcnt(21)
	v_fma_f64 v[28:29], v[6:7], v[147:148], -v[28:29]
	v_mul_f64 v[24:25], v[10:11], v[67:68]
	v_fma_f64 v[16:17], v[8:9], v[147:148], v[16:17]
	ds_read_b128 v[6:9], v1 offset:1552
	v_add_f64 v[18:19], v[18:19], v[22:23]
	s_waitcnt vmcnt(17) lgkmcnt(1)
	v_mul_f64 v[22:23], v[4:5], v[149:150]
	v_add_f64 v[14:15], v[14:15], v[20:21]
	s_waitcnt vmcnt(16)
	v_fma_f64 v[26:27], v[10:11], v[145:146], -v[26:27]
	v_mul_f64 v[20:21], v[2:3], v[149:150]
	v_fma_f64 v[24:25], v[12:13], v[145:146], v[24:25]
	ds_read_b128 v[10:13], v1 offset:1568
	v_add_f64 v[18:19], v[18:19], v[28:29]
	s_waitcnt vmcnt(15) lgkmcnt(1)
	v_mul_f64 v[28:29], v[8:9], v[151:152]
	v_add_f64 v[14:15], v[14:15], v[16:17]
	;; [unrolled: 9-line block ×3, first 2 shown]
	s_waitcnt vmcnt(8)
	v_fma_f64 v[6:7], v[6:7], v[153:154], -v[28:29]
	v_mul_f64 v[24:25], v[10:11], v[157:158]
	v_fma_f64 v[8:9], v[8:9], v[153:154], v[16:17]
	s_waitcnt vmcnt(7) lgkmcnt(0)
	v_mul_f64 v[16:17], v[2:3], v[159:160]
	v_add_f64 v[18:19], v[18:19], v[22:23]
	s_waitcnt vmcnt(5)
	v_fma_f64 v[10:11], v[10:11], v[164:165], -v[26:27]
	v_add_f64 v[14:15], v[14:15], v[20:21]
	v_mul_f64 v[20:21], v[4:5], v[159:160]
	v_fma_f64 v[12:13], v[12:13], v[164:165], v[24:25]
	s_waitcnt vmcnt(4)
	v_fma_f64 v[4:5], v[4:5], v[161:162], v[16:17]
	v_add_f64 v[6:7], v[18:19], v[6:7]
	v_add_f64 v[8:9], v[14:15], v[8:9]
	v_fma_f64 v[2:3], v[2:3], v[161:162], -v[20:21]
	v_add_f64 v[6:7], v[6:7], v[10:11]
	v_add_f64 v[8:9], v[8:9], v[12:13]
	;; [unrolled: 1-line block ×4, first 2 shown]
	s_waitcnt vmcnt(2)
	v_add_f64 v[2:3], v[170:171], -v[2:3]
	s_waitcnt vmcnt(0)
	v_add_f64 v[4:5], v[172:173], -v[4:5]
	buffer_store_dword v3, off, s[0:3], 0 offset:596
	buffer_store_dword v2, off, s[0:3], 0 offset:592
	buffer_store_dword v5, off, s[0:3], 0 offset:604
	buffer_store_dword v4, off, s[0:3], 0 offset:600
	v_cmpx_lt_u32_e32 35, v0
	s_cbranch_execz .LBB49_243
; %bb.242:
	v_mov_b32_e32 v5, s25
	s_clause 0x3
	buffer_load_dword v2, v5, s[0:3], 0 offen
	buffer_load_dword v3, v5, s[0:3], 0 offen offset:4
	buffer_load_dword v4, v5, s[0:3], 0 offen offset:8
	;; [unrolled: 1-line block ×3, first 2 shown]
	buffer_store_dword v1, off, s[0:3], 0 offset:576
	buffer_store_dword v1, off, s[0:3], 0 offset:580
	;; [unrolled: 1-line block ×4, first 2 shown]
	s_waitcnt vmcnt(0)
	ds_write_b128 v163, v[2:5]
.LBB49_243:
	s_or_b32 exec_lo, exec_lo, s4
	s_waitcnt lgkmcnt(0)
	s_waitcnt_vscnt null, 0x0
	s_barrier
	buffer_gl0_inv
	s_clause 0x35
	buffer_load_dword v10, off, s[0:3], 0 offset:600
	buffer_load_dword v11, off, s[0:3], 0 offset:604
	;; [unrolled: 1-line block ×54, first 2 shown]
	ds_read_b128 v[2:5], v1 offset:1376
	s_clause 0x1
	buffer_load_dword v169, off, s[0:3], 0 offset:804
	buffer_load_dword v168, off, s[0:3], 0 offset:800
	ds_read_b128 v[6:9], v1 offset:1392
	s_mov_b32 s4, exec_lo
	s_waitcnt vmcnt(54) lgkmcnt(1)
	v_mul_f64 v[170:171], v[4:5], v[10:11]
	v_mul_f64 v[172:173], v[2:3], v[10:11]
	ds_read_b128 v[10:13], v1 offset:1408
	s_waitcnt vmcnt(52) lgkmcnt(1)
	v_mul_f64 v[174:175], v[8:9], v[14:15]
	v_mul_f64 v[14:15], v[6:7], v[14:15]
	s_waitcnt vmcnt(48) lgkmcnt(0)
	v_mul_f64 v[178:179], v[10:11], v[18:19]
	v_fma_f64 v[170:171], v[2:3], v[16:17], -v[170:171]
	v_fma_f64 v[16:17], v[4:5], v[16:17], v[172:173]
	s_clause 0x3
	buffer_load_dword v172, off, s[0:3], 0 offset:576
	buffer_load_dword v173, off, s[0:3], 0 offset:580
	;; [unrolled: 1-line block ×4, first 2 shown]
	v_mul_f64 v[18:19], v[12:13], v[18:19]
	s_waitcnt vmcnt(50)
	v_fma_f64 v[174:175], v[6:7], v[20:21], -v[174:175]
	ds_read_b128 v[2:5], v1 offset:1424
	v_fma_f64 v[14:15], v[8:9], v[20:21], v[14:15]
	ds_read_b128 v[6:9], v1 offset:1440
	v_add_f64 v[170:171], v[170:171], 0
	v_add_f64 v[16:17], v[16:17], 0
	s_waitcnt vmcnt(46) lgkmcnt(1)
	v_mul_f64 v[20:21], v[2:3], v[22:23]
	v_mul_f64 v[22:23], v[4:5], v[22:23]
	s_waitcnt vmcnt(44)
	v_fma_f64 v[18:19], v[10:11], v[28:29], -v[18:19]
	v_fma_f64 v[28:29], v[12:13], v[28:29], v[178:179]
	ds_read_b128 v[10:13], v1 offset:1456
	v_add_f64 v[170:171], v[170:171], v[174:175]
	v_add_f64 v[14:15], v[16:17], v[14:15]
	s_waitcnt vmcnt(43) lgkmcnt(1)
	v_mul_f64 v[16:17], v[6:7], v[24:25]
	v_mul_f64 v[24:25], v[8:9], v[24:25]
	s_waitcnt vmcnt(41)
	v_fma_f64 v[22:23], v[2:3], v[30:31], -v[22:23]
	v_fma_f64 v[20:21], v[4:5], v[30:31], v[20:21]
	ds_read_b128 v[2:5], v1 offset:1472
	s_waitcnt vmcnt(37) lgkmcnt(1)
	v_mul_f64 v[30:31], v[12:13], v[57:58]
	v_add_f64 v[18:19], v[170:171], v[18:19]
	v_add_f64 v[14:15], v[14:15], v[28:29]
	v_mul_f64 v[28:29], v[10:11], v[57:58]
	s_waitcnt vmcnt(36)
	v_fma_f64 v[24:25], v[6:7], v[26:27], -v[24:25]
	v_fma_f64 v[16:17], v[8:9], v[26:27], v[16:17]
	ds_read_b128 v[6:9], v1 offset:1488
	s_waitcnt vmcnt(33)
	v_fma_f64 v[26:27], v[10:11], v[63:64], -v[30:31]
	v_add_f64 v[18:19], v[18:19], v[22:23]
	v_add_f64 v[14:15], v[14:15], v[20:21]
	s_waitcnt lgkmcnt(1)
	v_mul_f64 v[22:23], v[4:5], v[59:60]
	v_mul_f64 v[20:21], v[2:3], v[59:60]
	v_add_f64 v[18:19], v[18:19], v[24:25]
	v_fma_f64 v[24:25], v[12:13], v[63:64], v[28:29]
	v_add_f64 v[14:15], v[14:15], v[16:17]
	ds_read_b128 v[10:13], v1 offset:1504
	s_waitcnt vmcnt(29) lgkmcnt(1)
	v_mul_f64 v[28:29], v[8:9], v[65:66]
	s_waitcnt vmcnt(28)
	v_fma_f64 v[22:23], v[2:3], v[61:62], -v[22:23]
	v_mul_f64 v[16:17], v[6:7], v[65:66]
	v_fma_f64 v[20:21], v[4:5], v[61:62], v[20:21]
	ds_read_b128 v[2:5], v1 offset:1520
	v_add_f64 v[18:19], v[18:19], v[26:27]
	s_waitcnt vmcnt(27) lgkmcnt(1)
	v_mul_f64 v[26:27], v[12:13], v[67:68]
	v_add_f64 v[14:15], v[14:15], v[24:25]
	v_mul_f64 v[24:25], v[10:11], v[67:68]
	s_waitcnt vmcnt(25)
	v_fma_f64 v[28:29], v[6:7], v[147:148], -v[28:29]
	v_fma_f64 v[16:17], v[8:9], v[147:148], v[16:17]
	ds_read_b128 v[6:9], v1 offset:1536
	v_add_f64 v[18:19], v[18:19], v[22:23]
	s_waitcnt vmcnt(21) lgkmcnt(1)
	v_mul_f64 v[22:23], v[4:5], v[149:150]
	v_add_f64 v[14:15], v[14:15], v[20:21]
	s_waitcnt vmcnt(20)
	v_fma_f64 v[26:27], v[10:11], v[145:146], -v[26:27]
	v_mul_f64 v[20:21], v[2:3], v[149:150]
	v_fma_f64 v[24:25], v[12:13], v[145:146], v[24:25]
	ds_read_b128 v[10:13], v1 offset:1552
	v_add_f64 v[18:19], v[18:19], v[28:29]
	s_waitcnt vmcnt(19) lgkmcnt(1)
	v_mul_f64 v[28:29], v[8:9], v[151:152]
	v_add_f64 v[14:15], v[14:15], v[16:17]
	s_waitcnt vmcnt(17)
	v_fma_f64 v[22:23], v[2:3], v[155:156], -v[22:23]
	v_mul_f64 v[16:17], v[6:7], v[151:152]
	;; [unrolled: 9-line block ×4, first 2 shown]
	v_fma_f64 v[12:13], v[12:13], v[164:165], v[24:25]
	s_waitcnt vmcnt(7) lgkmcnt(0)
	v_mul_f64 v[24:25], v[8:9], v[166:167]
	v_add_f64 v[18:19], v[18:19], v[28:29]
	s_waitcnt vmcnt(6)
	v_fma_f64 v[1:2], v[2:3], v[161:162], -v[22:23]
	v_add_f64 v[14:15], v[14:15], v[16:17]
	v_mul_f64 v[16:17], v[6:7], v[166:167]
	v_fma_f64 v[3:4], v[4:5], v[161:162], v[20:21]
	s_waitcnt vmcnt(4)
	v_fma_f64 v[5:6], v[6:7], v[168:169], -v[24:25]
	v_add_f64 v[10:11], v[18:19], v[10:11]
	v_add_f64 v[12:13], v[14:15], v[12:13]
	v_fma_f64 v[7:8], v[8:9], v[168:169], v[16:17]
	v_add_f64 v[1:2], v[10:11], v[1:2]
	v_add_f64 v[3:4], v[12:13], v[3:4]
	;; [unrolled: 1-line block ×4, first 2 shown]
	s_waitcnt vmcnt(2)
	v_add_f64 v[1:2], v[172:173], -v[1:2]
	s_waitcnt vmcnt(0)
	v_add_f64 v[3:4], v[176:177], -v[3:4]
	buffer_store_dword v2, off, s[0:3], 0 offset:580
	buffer_store_dword v1, off, s[0:3], 0 offset:576
	buffer_store_dword v4, off, s[0:3], 0 offset:588
	buffer_store_dword v3, off, s[0:3], 0 offset:584
	v_cmpx_lt_u32_e32 34, v0
	s_cbranch_execz .LBB49_245
; %bb.244:
	v_mov_b32_e32 v4, s24
	v_mov_b32_e32 v5, 0
	s_clause 0x3
	buffer_load_dword v1, v4, s[0:3], 0 offen
	buffer_load_dword v2, v4, s[0:3], 0 offen offset:4
	buffer_load_dword v3, v4, s[0:3], 0 offen offset:8
	;; [unrolled: 1-line block ×3, first 2 shown]
	buffer_store_dword v5, off, s[0:3], 0 offset:560
	buffer_store_dword v5, off, s[0:3], 0 offset:564
	;; [unrolled: 1-line block ×4, first 2 shown]
	s_waitcnt vmcnt(0)
	ds_write_b128 v163, v[1:4]
.LBB49_245:
	s_or_b32 exec_lo, exec_lo, s4
	s_waitcnt lgkmcnt(0)
	s_waitcnt_vscnt null, 0x0
	s_barrier
	buffer_gl0_inv
	s_clause 0x37
	buffer_load_dword v10, off, s[0:3], 0 offset:584
	buffer_load_dword v11, off, s[0:3], 0 offset:588
	;; [unrolled: 1-line block ×56, first 2 shown]
	v_mov_b32_e32 v1, 0
	s_mov_b32 s4, exec_lo
	ds_read_b128 v[2:5], v1 offset:1360
	s_clause 0x2
	buffer_load_dword v169, off, s[0:3], 0 offset:812
	buffer_load_dword v173, off, s[0:3], 0 offset:788
	;; [unrolled: 1-line block ×3, first 2 shown]
	ds_read_b128 v[6:9], v1 offset:1376
	buffer_load_dword v171, off, s[0:3], 0 offset:804
	s_waitcnt vmcnt(58) lgkmcnt(1)
	v_mul_f64 v[174:175], v[4:5], v[10:11]
	v_mul_f64 v[176:177], v[2:3], v[10:11]
	ds_read_b128 v[10:13], v1 offset:1392
	s_waitcnt vmcnt(56) lgkmcnt(1)
	v_mul_f64 v[178:179], v[8:9], v[14:15]
	v_mul_f64 v[14:15], v[6:7], v[14:15]
	s_waitcnt vmcnt(54)
	v_fma_f64 v[174:175], v[2:3], v[16:17], -v[174:175]
	v_fma_f64 v[16:17], v[4:5], v[16:17], v[176:177]
	s_waitcnt vmcnt(52) lgkmcnt(0)
	v_mul_f64 v[176:177], v[10:11], v[18:19]
	v_mul_f64 v[18:19], v[12:13], v[18:19]
	s_waitcnt vmcnt(50)
	v_fma_f64 v[178:179], v[6:7], v[20:21], -v[178:179]
	ds_read_b128 v[2:5], v1 offset:1408
	v_fma_f64 v[14:15], v[8:9], v[20:21], v[14:15]
	s_clause 0x3
	buffer_load_dword v20, off, s[0:3], 0 offset:560
	buffer_load_dword v21, off, s[0:3], 0 offset:564
	;; [unrolled: 1-line block ×4, first 2 shown]
	ds_read_b128 v[6:9], v1 offset:1424
	v_add_f64 v[174:175], v[174:175], 0
	v_add_f64 v[16:17], v[16:17], 0
	s_waitcnt vmcnt(50) lgkmcnt(1)
	v_mul_f64 v[182:183], v[2:3], v[22:23]
	v_mul_f64 v[22:23], v[4:5], v[22:23]
	s_waitcnt vmcnt(48)
	v_fma_f64 v[18:19], v[10:11], v[28:29], -v[18:19]
	v_fma_f64 v[28:29], v[12:13], v[28:29], v[176:177]
	ds_read_b128 v[10:13], v1 offset:1440
	v_add_f64 v[174:175], v[174:175], v[178:179]
	v_add_f64 v[14:15], v[16:17], v[14:15]
	s_waitcnt vmcnt(47) lgkmcnt(1)
	v_mul_f64 v[16:17], v[6:7], v[24:25]
	v_mul_f64 v[24:25], v[8:9], v[24:25]
	s_waitcnt vmcnt(45)
	v_fma_f64 v[22:23], v[2:3], v[30:31], -v[22:23]
	v_fma_f64 v[30:31], v[4:5], v[30:31], v[182:183]
	;; [unrolled: 9-line block ×3, first 2 shown]
	ds_read_b128 v[6:9], v1 offset:1472
	s_waitcnt vmcnt(39) lgkmcnt(1)
	v_mul_f64 v[26:27], v[4:5], v[59:60]
	v_add_f64 v[18:19], v[18:19], v[22:23]
	v_add_f64 v[14:15], v[14:15], v[30:31]
	v_mul_f64 v[22:23], v[2:3], v[59:60]
	s_waitcnt vmcnt(37)
	v_fma_f64 v[30:31], v[10:11], v[63:64], -v[57:58]
	s_waitcnt vmcnt(32)
	v_fma_f64 v[26:27], v[2:3], v[61:62], -v[26:27]
	v_add_f64 v[18:19], v[18:19], v[24:25]
	v_fma_f64 v[24:25], v[12:13], v[63:64], v[28:29]
	v_add_f64 v[14:15], v[14:15], v[16:17]
	s_waitcnt lgkmcnt(0)
	v_mul_f64 v[28:29], v[8:9], v[65:66]
	ds_read_b128 v[10:13], v1 offset:1488
	v_mul_f64 v[16:17], v[6:7], v[65:66]
	v_fma_f64 v[22:23], v[4:5], v[61:62], v[22:23]
	ds_read_b128 v[2:5], v1 offset:1504
	v_add_f64 v[18:19], v[18:19], v[30:31]
	v_add_f64 v[14:15], v[14:15], v[24:25]
	s_waitcnt vmcnt(31) lgkmcnt(1)
	v_mul_f64 v[30:31], v[12:13], v[67:68]
	s_waitcnt vmcnt(29)
	v_fma_f64 v[28:29], v[6:7], v[147:148], -v[28:29]
	v_mul_f64 v[24:25], v[10:11], v[67:68]
	v_fma_f64 v[16:17], v[8:9], v[147:148], v[16:17]
	ds_read_b128 v[6:9], v1 offset:1520
	v_add_f64 v[18:19], v[18:19], v[26:27]
	s_waitcnt vmcnt(25) lgkmcnt(1)
	v_mul_f64 v[26:27], v[4:5], v[149:150]
	v_add_f64 v[14:15], v[14:15], v[22:23]
	s_waitcnt vmcnt(24)
	v_fma_f64 v[30:31], v[10:11], v[145:146], -v[30:31]
	v_mul_f64 v[22:23], v[2:3], v[149:150]
	v_fma_f64 v[24:25], v[12:13], v[145:146], v[24:25]
	ds_read_b128 v[10:13], v1 offset:1536
	v_add_f64 v[18:19], v[18:19], v[28:29]
	s_waitcnt vmcnt(23) lgkmcnt(1)
	v_mul_f64 v[28:29], v[8:9], v[151:152]
	v_add_f64 v[14:15], v[14:15], v[16:17]
	;; [unrolled: 9-line block ×5, first 2 shown]
	s_waitcnt vmcnt(8)
	v_fma_f64 v[2:3], v[2:3], v[161:162], -v[26:27]
	v_mul_f64 v[16:17], v[6:7], v[166:167]
	v_fma_f64 v[4:5], v[4:5], v[161:162], v[22:23]
	s_waitcnt vmcnt(7) lgkmcnt(0)
	v_mul_f64 v[22:23], v[10:11], v[168:169]
	v_add_f64 v[18:19], v[18:19], v[30:31]
	s_waitcnt vmcnt(5)
	v_fma_f64 v[6:7], v[6:7], v[172:173], -v[28:29]
	v_add_f64 v[14:15], v[14:15], v[24:25]
	v_mul_f64 v[24:25], v[12:13], v[168:169]
	v_fma_f64 v[8:9], v[8:9], v[172:173], v[16:17]
	v_add_f64 v[2:3], v[18:19], v[2:3]
	v_add_f64 v[4:5], v[14:15], v[4:5]
	s_waitcnt vmcnt(4)
	v_fma_f64 v[10:11], v[10:11], v[170:171], -v[24:25]
	v_add_f64 v[2:3], v[2:3], v[6:7]
	v_fma_f64 v[6:7], v[12:13], v[170:171], v[22:23]
	v_add_f64 v[4:5], v[4:5], v[8:9]
	v_add_f64 v[2:3], v[2:3], v[10:11]
	;; [unrolled: 1-line block ×3, first 2 shown]
	s_waitcnt vmcnt(2)
	v_add_f64 v[2:3], v[20:21], -v[2:3]
	s_waitcnt vmcnt(0)
	v_add_f64 v[4:5], v[180:181], -v[4:5]
	buffer_store_dword v3, off, s[0:3], 0 offset:564
	buffer_store_dword v2, off, s[0:3], 0 offset:560
	;; [unrolled: 1-line block ×4, first 2 shown]
	v_cmpx_lt_u32_e32 33, v0
	s_cbranch_execz .LBB49_247
; %bb.246:
	v_mov_b32_e32 v5, s19
	s_clause 0x3
	buffer_load_dword v2, v5, s[0:3], 0 offen
	buffer_load_dword v3, v5, s[0:3], 0 offen offset:4
	buffer_load_dword v4, v5, s[0:3], 0 offen offset:8
	;; [unrolled: 1-line block ×3, first 2 shown]
	buffer_store_dword v1, off, s[0:3], 0 offset:544
	buffer_store_dword v1, off, s[0:3], 0 offset:548
	;; [unrolled: 1-line block ×4, first 2 shown]
	s_waitcnt vmcnt(0)
	ds_write_b128 v163, v[2:5]
.LBB49_247:
	s_or_b32 exec_lo, exec_lo, s4
	s_waitcnt lgkmcnt(0)
	s_waitcnt_vscnt null, 0x0
	s_barrier
	buffer_gl0_inv
	s_clause 0x37
	buffer_load_dword v10, off, s[0:3], 0 offset:568
	buffer_load_dword v11, off, s[0:3], 0 offset:572
	;; [unrolled: 1-line block ×56, first 2 shown]
	ds_read_b128 v[2:5], v1 offset:1344
	s_clause 0x2
	buffer_load_dword v169, off, s[0:3], 0 offset:796
	buffer_load_dword v173, off, s[0:3], 0 offset:772
	;; [unrolled: 1-line block ×3, first 2 shown]
	ds_read_b128 v[6:9], v1 offset:1360
	s_clause 0x2
	buffer_load_dword v179, off, s[0:3], 0 offset:812
	buffer_load_dword v178, off, s[0:3], 0 offset:808
	;; [unrolled: 1-line block ×3, first 2 shown]
	s_mov_b32 s4, exec_lo
	s_waitcnt vmcnt(60) lgkmcnt(1)
	v_mul_f64 v[174:175], v[4:5], v[10:11]
	v_mul_f64 v[176:177], v[2:3], v[10:11]
	s_waitcnt vmcnt(58) lgkmcnt(0)
	v_mul_f64 v[180:181], v[8:9], v[14:15]
	ds_read_b128 v[10:13], v1 offset:1376
	v_mul_f64 v[14:15], v[6:7], v[14:15]
	s_waitcnt vmcnt(56)
	v_fma_f64 v[174:175], v[2:3], v[16:17], -v[174:175]
	v_fma_f64 v[16:17], v[4:5], v[16:17], v[176:177]
	s_clause 0x1
	buffer_load_dword v177, off, s[0:3], 0 offset:804
	buffer_load_dword v176, off, s[0:3], 0 offset:800
	s_waitcnt vmcnt(56) lgkmcnt(0)
	v_mul_f64 v[182:183], v[10:11], v[18:19]
	v_mul_f64 v[18:19], v[12:13], v[18:19]
	s_waitcnt vmcnt(54)
	v_fma_f64 v[180:181], v[6:7], v[20:21], -v[180:181]
	ds_read_b128 v[2:5], v1 offset:1392
	v_fma_f64 v[14:15], v[8:9], v[20:21], v[14:15]
	ds_read_b128 v[6:9], v1 offset:1408
	v_add_f64 v[174:175], v[174:175], 0
	v_add_f64 v[16:17], v[16:17], 0
	s_waitcnt vmcnt(50) lgkmcnt(1)
	v_mul_f64 v[20:21], v[2:3], v[22:23]
	v_mul_f64 v[22:23], v[4:5], v[22:23]
	s_waitcnt vmcnt(48)
	v_fma_f64 v[18:19], v[10:11], v[28:29], -v[18:19]
	v_fma_f64 v[28:29], v[12:13], v[28:29], v[182:183]
	s_waitcnt vmcnt(47) lgkmcnt(0)
	v_mul_f64 v[182:183], v[6:7], v[24:25]
	v_mul_f64 v[24:25], v[8:9], v[24:25]
	v_add_f64 v[174:175], v[174:175], v[180:181]
	v_add_f64 v[14:15], v[16:17], v[14:15]
	s_clause 0x3
	buffer_load_dword v16, off, s[0:3], 0 offset:544
	buffer_load_dword v17, off, s[0:3], 0 offset:548
	;; [unrolled: 1-line block ×4, first 2 shown]
	ds_read_b128 v[10:13], v1 offset:1424
	s_waitcnt vmcnt(49)
	v_fma_f64 v[20:21], v[4:5], v[30:31], v[20:21]
	v_fma_f64 v[22:23], v[2:3], v[30:31], -v[22:23]
	ds_read_b128 v[2:5], v1 offset:1440
	s_waitcnt vmcnt(44)
	v_fma_f64 v[24:25], v[6:7], v[26:27], -v[24:25]
	v_add_f64 v[18:19], v[174:175], v[18:19]
	v_add_f64 v[14:15], v[14:15], v[28:29]
	s_waitcnt lgkmcnt(1)
	v_mul_f64 v[30:31], v[12:13], v[57:58]
	v_mul_f64 v[28:29], v[10:11], v[57:58]
	v_add_f64 v[18:19], v[18:19], v[22:23]
	v_fma_f64 v[22:23], v[8:9], v[26:27], v[182:183]
	v_add_f64 v[14:15], v[14:15], v[20:21]
	s_waitcnt vmcnt(43) lgkmcnt(0)
	v_mul_f64 v[26:27], v[4:5], v[59:60]
	s_waitcnt vmcnt(41)
	v_fma_f64 v[30:31], v[10:11], v[63:64], -v[30:31]
	ds_read_b128 v[6:9], v1 offset:1456
	v_mul_f64 v[20:21], v[2:3], v[59:60]
	v_add_f64 v[18:19], v[18:19], v[24:25]
	v_fma_f64 v[24:25], v[12:13], v[63:64], v[28:29]
	v_add_f64 v[14:15], v[14:15], v[22:23]
	ds_read_b128 v[10:13], v1 offset:1472
	s_waitcnt vmcnt(37) lgkmcnt(1)
	v_mul_f64 v[28:29], v[8:9], v[65:66]
	s_waitcnt vmcnt(36)
	v_fma_f64 v[26:27], v[2:3], v[61:62], -v[26:27]
	v_mul_f64 v[22:23], v[6:7], v[65:66]
	v_fma_f64 v[20:21], v[4:5], v[61:62], v[20:21]
	ds_read_b128 v[2:5], v1 offset:1488
	v_add_f64 v[18:19], v[18:19], v[30:31]
	s_waitcnt vmcnt(35) lgkmcnt(1)
	v_mul_f64 v[30:31], v[12:13], v[67:68]
	v_add_f64 v[14:15], v[14:15], v[24:25]
	v_mul_f64 v[24:25], v[10:11], v[67:68]
	s_waitcnt vmcnt(33)
	v_fma_f64 v[28:29], v[6:7], v[147:148], -v[28:29]
	v_fma_f64 v[22:23], v[8:9], v[147:148], v[22:23]
	ds_read_b128 v[6:9], v1 offset:1504
	v_add_f64 v[18:19], v[18:19], v[26:27]
	s_waitcnt vmcnt(29) lgkmcnt(1)
	v_mul_f64 v[26:27], v[4:5], v[149:150]
	v_add_f64 v[14:15], v[14:15], v[20:21]
	s_waitcnt vmcnt(28)
	v_fma_f64 v[30:31], v[10:11], v[145:146], -v[30:31]
	v_mul_f64 v[20:21], v[2:3], v[149:150]
	v_fma_f64 v[24:25], v[12:13], v[145:146], v[24:25]
	ds_read_b128 v[10:13], v1 offset:1520
	v_add_f64 v[18:19], v[18:19], v[28:29]
	s_waitcnt vmcnt(27) lgkmcnt(1)
	v_mul_f64 v[28:29], v[8:9], v[151:152]
	v_add_f64 v[14:15], v[14:15], v[22:23]
	s_waitcnt vmcnt(25)
	v_fma_f64 v[26:27], v[2:3], v[155:156], -v[26:27]
	v_mul_f64 v[22:23], v[6:7], v[151:152]
	;; [unrolled: 9-line block ×6, first 2 shown]
	v_fma_f64 v[7:8], v[8:9], v[172:173], v[22:23]
	s_waitcnt vmcnt(7) lgkmcnt(0)
	v_mul_f64 v[22:23], v[3:4], v[178:179]
	v_add_f64 v[18:19], v[18:19], v[26:27]
	s_waitcnt vmcnt(6)
	v_fma_f64 v[9:10], v[10:11], v[170:171], -v[30:31]
	v_add_f64 v[14:15], v[14:15], v[20:21]
	v_mul_f64 v[20:21], v[1:2], v[178:179]
	v_fma_f64 v[11:12], v[12:13], v[170:171], v[24:25]
	v_add_f64 v[5:6], v[18:19], v[5:6]
	v_add_f64 v[7:8], v[14:15], v[7:8]
	s_waitcnt vmcnt(4)
	v_fma_f64 v[1:2], v[1:2], v[176:177], -v[22:23]
	v_fma_f64 v[3:4], v[3:4], v[176:177], v[20:21]
	v_add_f64 v[5:6], v[5:6], v[9:10]
	v_add_f64 v[7:8], v[7:8], v[11:12]
	;; [unrolled: 1-line block ×4, first 2 shown]
	s_waitcnt vmcnt(2)
	v_add_f64 v[1:2], v[16:17], -v[1:2]
	s_waitcnt vmcnt(0)
	v_add_f64 v[3:4], v[180:181], -v[3:4]
	buffer_store_dword v2, off, s[0:3], 0 offset:548
	buffer_store_dword v1, off, s[0:3], 0 offset:544
	;; [unrolled: 1-line block ×4, first 2 shown]
	v_cmpx_lt_u32_e32 32, v0
	s_cbranch_execz .LBB49_249
; %bb.248:
	v_mov_b32_e32 v4, s38
	v_mov_b32_e32 v5, 0
	s_clause 0x3
	buffer_load_dword v1, v4, s[0:3], 0 offen
	buffer_load_dword v2, v4, s[0:3], 0 offen offset:4
	buffer_load_dword v3, v4, s[0:3], 0 offen offset:8
	;; [unrolled: 1-line block ×3, first 2 shown]
	buffer_store_dword v5, off, s[0:3], 0 offset:528
	buffer_store_dword v5, off, s[0:3], 0 offset:532
	;; [unrolled: 1-line block ×4, first 2 shown]
	s_waitcnt vmcnt(0)
	ds_write_b128 v163, v[1:4]
.LBB49_249:
	s_or_b32 exec_lo, exec_lo, s4
	s_waitcnt lgkmcnt(0)
	s_waitcnt_vscnt null, 0x0
	s_barrier
	buffer_gl0_inv
	s_clause 0x37
	buffer_load_dword v10, off, s[0:3], 0 offset:552
	buffer_load_dword v11, off, s[0:3], 0 offset:556
	;; [unrolled: 1-line block ×56, first 2 shown]
	v_mov_b32_e32 v1, 0
	s_mov_b32 s4, exec_lo
	ds_read_b128 v[2:5], v1 offset:1328
	s_clause 0x2
	buffer_load_dword v169, off, s[0:3], 0 offset:780
	buffer_load_dword v173, off, s[0:3], 0 offset:756
	;; [unrolled: 1-line block ×3, first 2 shown]
	ds_read_b128 v[6:9], v1 offset:1344
	s_clause 0x4
	buffer_load_dword v179, off, s[0:3], 0 offset:796
	buffer_load_dword v180, off, s[0:3], 0 offset:808
	buffer_load_dword v182, off, s[0:3], 0 offset:800
	buffer_load_dword v178, off, s[0:3], 0 offset:792
	buffer_load_dword v171, off, s[0:3], 0 offset:772
	s_waitcnt vmcnt(62) lgkmcnt(1)
	v_mul_f64 v[174:175], v[4:5], v[10:11]
	v_mul_f64 v[176:177], v[2:3], v[10:11]
	s_waitcnt vmcnt(60) lgkmcnt(0)
	v_mul_f64 v[183:184], v[8:9], v[14:15]
	ds_read_b128 v[10:13], v1 offset:1360
	v_mul_f64 v[14:15], v[6:7], v[14:15]
	s_waitcnt vmcnt(58)
	v_fma_f64 v[174:175], v[2:3], v[16:17], -v[174:175]
	v_fma_f64 v[16:17], v[4:5], v[16:17], v[176:177]
	s_clause 0x2
	buffer_load_dword v181, off, s[0:3], 0 offset:812
	buffer_load_dword v177, off, s[0:3], 0 offset:788
	;; [unrolled: 1-line block ×3, first 2 shown]
	s_waitcnt vmcnt(59) lgkmcnt(0)
	v_mul_f64 v[185:186], v[10:11], v[18:19]
	v_mul_f64 v[18:19], v[12:13], v[18:19]
	s_waitcnt vmcnt(57)
	v_fma_f64 v[187:188], v[6:7], v[20:21], -v[183:184]
	ds_read_b128 v[2:5], v1 offset:1376
	v_fma_f64 v[14:15], v[8:9], v[20:21], v[14:15]
	buffer_load_dword v183, off, s[0:3], 0 offset:804
	ds_read_b128 v[6:9], v1 offset:1392
	v_add_f64 v[174:175], v[174:175], 0
	v_add_f64 v[16:17], v[16:17], 0
	s_waitcnt vmcnt(54) lgkmcnt(1)
	v_mul_f64 v[20:21], v[2:3], v[22:23]
	v_mul_f64 v[22:23], v[4:5], v[22:23]
	s_waitcnt vmcnt(52)
	v_fma_f64 v[18:19], v[10:11], v[28:29], -v[18:19]
	v_fma_f64 v[28:29], v[12:13], v[28:29], v[185:186]
	ds_read_b128 v[10:13], v1 offset:1408
	v_add_f64 v[174:175], v[174:175], v[187:188]
	v_add_f64 v[14:15], v[16:17], v[14:15]
	s_waitcnt vmcnt(51) lgkmcnt(1)
	v_mul_f64 v[16:17], v[6:7], v[24:25]
	v_mul_f64 v[24:25], v[8:9], v[24:25]
	s_waitcnt vmcnt(49)
	v_fma_f64 v[20:21], v[4:5], v[30:31], v[20:21]
	v_fma_f64 v[22:23], v[2:3], v[30:31], -v[22:23]
	v_add_f64 v[18:19], v[174:175], v[18:19]
	v_add_f64 v[14:15], v[14:15], v[28:29]
	s_clause 0x3
	buffer_load_dword v28, off, s[0:3], 0 offset:528
	buffer_load_dword v29, off, s[0:3], 0 offset:532
	;; [unrolled: 1-line block ×4, first 2 shown]
	s_waitcnt vmcnt(49) lgkmcnt(0)
	v_mul_f64 v[174:175], v[10:11], v[57:58]
	v_mul_f64 v[57:58], v[12:13], v[57:58]
	s_waitcnt vmcnt(48)
	v_fma_f64 v[24:25], v[6:7], v[26:27], -v[24:25]
	ds_read_b128 v[2:5], v1 offset:1424
	v_fma_f64 v[16:17], v[8:9], v[26:27], v[16:17]
	ds_read_b128 v[6:9], v1 offset:1440
	v_add_f64 v[18:19], v[18:19], v[22:23]
	v_add_f64 v[14:15], v[14:15], v[20:21]
	s_waitcnt vmcnt(47) lgkmcnt(1)
	v_mul_f64 v[22:23], v[4:5], v[59:60]
	s_waitcnt vmcnt(45)
	v_fma_f64 v[26:27], v[10:11], v[63:64], -v[57:58]
	v_mul_f64 v[20:21], v[2:3], v[59:60]
	s_waitcnt vmcnt(41) lgkmcnt(0)
	v_mul_f64 v[57:58], v[8:9], v[65:66]
	v_add_f64 v[18:19], v[18:19], v[24:25]
	v_fma_f64 v[24:25], v[12:13], v[63:64], v[174:175]
	v_add_f64 v[14:15], v[14:15], v[16:17]
	ds_read_b128 v[10:13], v1 offset:1456
	s_waitcnt vmcnt(40)
	v_fma_f64 v[22:23], v[2:3], v[61:62], -v[22:23]
	v_mul_f64 v[16:17], v[6:7], v[65:66]
	v_fma_f64 v[20:21], v[4:5], v[61:62], v[20:21]
	ds_read_b128 v[2:5], v1 offset:1472
	s_waitcnt vmcnt(37)
	v_fma_f64 v[57:58], v[6:7], v[147:148], -v[57:58]
	v_add_f64 v[18:19], v[18:19], v[26:27]
	s_waitcnt lgkmcnt(1)
	v_mul_f64 v[26:27], v[12:13], v[67:68]
	v_add_f64 v[14:15], v[14:15], v[24:25]
	v_mul_f64 v[24:25], v[10:11], v[67:68]
	v_fma_f64 v[16:17], v[8:9], v[147:148], v[16:17]
	ds_read_b128 v[6:9], v1 offset:1488
	v_add_f64 v[18:19], v[18:19], v[22:23]
	s_waitcnt vmcnt(33) lgkmcnt(1)
	v_mul_f64 v[22:23], v[4:5], v[149:150]
	v_add_f64 v[14:15], v[14:15], v[20:21]
	s_waitcnt vmcnt(32)
	v_fma_f64 v[26:27], v[10:11], v[145:146], -v[26:27]
	v_mul_f64 v[20:21], v[2:3], v[149:150]
	v_fma_f64 v[24:25], v[12:13], v[145:146], v[24:25]
	ds_read_b128 v[10:13], v1 offset:1504
	v_add_f64 v[18:19], v[18:19], v[57:58]
	s_waitcnt vmcnt(31) lgkmcnt(1)
	v_mul_f64 v[57:58], v[8:9], v[151:152]
	v_add_f64 v[14:15], v[14:15], v[16:17]
	s_waitcnt vmcnt(29)
	v_fma_f64 v[22:23], v[2:3], v[155:156], -v[22:23]
	;; [unrolled: 9-line block ×7, first 2 shown]
	v_mul_f64 v[20:21], v[2:3], v[178:179]
	v_fma_f64 v[12:13], v[12:13], v[170:171], v[24:25]
	v_add_f64 v[18:19], v[18:19], v[57:58]
	v_add_f64 v[14:15], v[14:15], v[16:17]
	s_waitcnt vmcnt(7) lgkmcnt(0)
	v_mul_f64 v[24:25], v[8:9], v[180:181]
	v_mul_f64 v[16:17], v[6:7], v[180:181]
	s_waitcnt vmcnt(5)
	v_fma_f64 v[2:3], v[2:3], v[176:177], -v[22:23]
	v_fma_f64 v[4:5], v[4:5], v[176:177], v[20:21]
	v_add_f64 v[10:11], v[18:19], v[10:11]
	v_add_f64 v[12:13], v[14:15], v[12:13]
	s_waitcnt vmcnt(4)
	v_fma_f64 v[6:7], v[6:7], v[182:183], -v[24:25]
	v_fma_f64 v[8:9], v[8:9], v[182:183], v[16:17]
	v_add_f64 v[2:3], v[10:11], v[2:3]
	v_add_f64 v[4:5], v[12:13], v[4:5]
	;; [unrolled: 1-line block ×4, first 2 shown]
	s_waitcnt vmcnt(2)
	v_add_f64 v[2:3], v[28:29], -v[2:3]
	s_waitcnt vmcnt(0)
	v_add_f64 v[4:5], v[30:31], -v[4:5]
	buffer_store_dword v3, off, s[0:3], 0 offset:532
	buffer_store_dword v2, off, s[0:3], 0 offset:528
	;; [unrolled: 1-line block ×4, first 2 shown]
	v_cmpx_lt_u32_e32 31, v0
	s_cbranch_execz .LBB49_251
; %bb.250:
	v_mov_b32_e32 v5, s34
	s_clause 0x3
	buffer_load_dword v2, v5, s[0:3], 0 offen
	buffer_load_dword v3, v5, s[0:3], 0 offen offset:4
	buffer_load_dword v4, v5, s[0:3], 0 offen offset:8
	;; [unrolled: 1-line block ×3, first 2 shown]
	buffer_store_dword v1, off, s[0:3], 0 offset:512
	buffer_store_dword v1, off, s[0:3], 0 offset:516
	;; [unrolled: 1-line block ×4, first 2 shown]
	s_waitcnt vmcnt(0)
	ds_write_b128 v163, v[2:5]
.LBB49_251:
	s_or_b32 exec_lo, exec_lo, s4
	s_waitcnt lgkmcnt(0)
	s_waitcnt_vscnt null, 0x0
	s_barrier
	buffer_gl0_inv
	s_clause 0x37
	buffer_load_dword v10, off, s[0:3], 0 offset:536
	buffer_load_dword v11, off, s[0:3], 0 offset:540
	buffer_load_dword v14, off, s[0:3], 0 offset:552
	buffer_load_dword v15, off, s[0:3], 0 offset:556
	buffer_load_dword v16, off, s[0:3], 0 offset:528
	buffer_load_dword v17, off, s[0:3], 0 offset:532
	buffer_load_dword v18, off, s[0:3], 0 offset:568
	buffer_load_dword v19, off, s[0:3], 0 offset:572
	buffer_load_dword v20, off, s[0:3], 0 offset:544
	buffer_load_dword v21, off, s[0:3], 0 offset:548
	buffer_load_dword v23, off, s[0:3], 0 offset:588
	buffer_load_dword v24, off, s[0:3], 0 offset:600
	buffer_load_dword v26, off, s[0:3], 0 offset:592
	buffer_load_dword v22, off, s[0:3], 0 offset:584
	buffer_load_dword v28, off, s[0:3], 0 offset:560
	buffer_load_dword v29, off, s[0:3], 0 offset:564
	buffer_load_dword v25, off, s[0:3], 0 offset:604
	buffer_load_dword v31, off, s[0:3], 0 offset:580
	buffer_load_dword v30, off, s[0:3], 0 offset:576
	buffer_load_dword v58, off, s[0:3], 0 offset:620
	buffer_load_dword v59, off, s[0:3], 0 offset:632
	buffer_load_dword v61, off, s[0:3], 0 offset:624
	buffer_load_dword v57, off, s[0:3], 0 offset:616
	buffer_load_dword v27, off, s[0:3], 0 offset:596
	buffer_load_dword v60, off, s[0:3], 0 offset:636
	buffer_load_dword v64, off, s[0:3], 0 offset:612
	buffer_load_dword v63, off, s[0:3], 0 offset:608
	buffer_load_dword v66, off, s[0:3], 0 offset:652
	buffer_load_dword v67, off, s[0:3], 0 offset:664
	buffer_load_dword v145, off, s[0:3], 0 offset:656
	buffer_load_dword v65, off, s[0:3], 0 offset:648
	buffer_load_dword v62, off, s[0:3], 0 offset:628
	buffer_load_dword v68, off, s[0:3], 0 offset:668
	buffer_load_dword v148, off, s[0:3], 0 offset:644
	buffer_load_dword v147, off, s[0:3], 0 offset:640
	buffer_load_dword v150, off, s[0:3], 0 offset:684
	buffer_load_dword v151, off, s[0:3], 0 offset:696
	buffer_load_dword v153, off, s[0:3], 0 offset:688
	buffer_load_dword v149, off, s[0:3], 0 offset:680
	buffer_load_dword v146, off, s[0:3], 0 offset:660
	buffer_load_dword v152, off, s[0:3], 0 offset:700
	buffer_load_dword v156, off, s[0:3], 0 offset:676
	buffer_load_dword v155, off, s[0:3], 0 offset:672
	buffer_load_dword v158, off, s[0:3], 0 offset:716
	buffer_load_dword v159, off, s[0:3], 0 offset:728
	buffer_load_dword v161, off, s[0:3], 0 offset:720
	buffer_load_dword v157, off, s[0:3], 0 offset:712
	buffer_load_dword v154, off, s[0:3], 0 offset:692
	buffer_load_dword v160, off, s[0:3], 0 offset:732
	buffer_load_dword v165, off, s[0:3], 0 offset:708
	buffer_load_dword v164, off, s[0:3], 0 offset:704
	buffer_load_dword v167, off, s[0:3], 0 offset:748
	buffer_load_dword v168, off, s[0:3], 0 offset:760
	buffer_load_dword v170, off, s[0:3], 0 offset:752
	buffer_load_dword v166, off, s[0:3], 0 offset:744
	buffer_load_dword v162, off, s[0:3], 0 offset:724
	ds_read_b128 v[2:5], v1 offset:1312
	s_clause 0x2
	buffer_load_dword v169, off, s[0:3], 0 offset:764
	buffer_load_dword v173, off, s[0:3], 0 offset:740
	;; [unrolled: 1-line block ×3, first 2 shown]
	ds_read_b128 v[6:9], v1 offset:1328
	s_clause 0x4
	buffer_load_dword v179, off, s[0:3], 0 offset:780
	buffer_load_dword v180, off, s[0:3], 0 offset:792
	;; [unrolled: 1-line block ×5, first 2 shown]
	s_mov_b32 s4, exec_lo
	s_waitcnt vmcnt(62) lgkmcnt(1)
	v_mul_f64 v[174:175], v[4:5], v[10:11]
	v_mul_f64 v[176:177], v[2:3], v[10:11]
	s_waitcnt vmcnt(60) lgkmcnt(0)
	v_mul_f64 v[183:184], v[8:9], v[14:15]
	ds_read_b128 v[10:13], v1 offset:1344
	v_mul_f64 v[14:15], v[6:7], v[14:15]
	s_waitcnt vmcnt(58)
	v_fma_f64 v[174:175], v[2:3], v[16:17], -v[174:175]
	v_fma_f64 v[16:17], v[4:5], v[16:17], v[176:177]
	s_clause 0x2
	buffer_load_dword v181, off, s[0:3], 0 offset:796
	buffer_load_dword v177, off, s[0:3], 0 offset:772
	;; [unrolled: 1-line block ×3, first 2 shown]
	s_waitcnt vmcnt(59) lgkmcnt(0)
	v_mul_f64 v[185:186], v[10:11], v[18:19]
	v_mul_f64 v[18:19], v[12:13], v[18:19]
	s_waitcnt vmcnt(57)
	v_fma_f64 v[187:188], v[6:7], v[20:21], -v[183:184]
	ds_read_b128 v[2:5], v1 offset:1360
	v_fma_f64 v[14:15], v[8:9], v[20:21], v[14:15]
	s_clause 0x2
	buffer_load_dword v21, off, s[0:3], 0 offset:812
	buffer_load_dword v20, off, s[0:3], 0 offset:808
	;; [unrolled: 1-line block ×3, first 2 shown]
	ds_read_b128 v[6:9], v1 offset:1376
	v_add_f64 v[174:175], v[174:175], 0
	v_add_f64 v[16:17], v[16:17], 0
	s_waitcnt vmcnt(56) lgkmcnt(1)
	v_mul_f64 v[189:190], v[2:3], v[22:23]
	v_mul_f64 v[22:23], v[4:5], v[22:23]
	s_waitcnt vmcnt(54)
	v_fma_f64 v[18:19], v[10:11], v[28:29], -v[18:19]
	v_fma_f64 v[28:29], v[12:13], v[28:29], v[185:186]
	s_waitcnt vmcnt(53) lgkmcnt(0)
	v_mul_f64 v[184:185], v[6:7], v[24:25]
	v_mul_f64 v[24:25], v[8:9], v[24:25]
	v_add_f64 v[174:175], v[174:175], v[187:188]
	v_add_f64 v[14:15], v[16:17], v[14:15]
	s_clause 0x1
	buffer_load_dword v17, off, s[0:3], 0 offset:804
	buffer_load_dword v16, off, s[0:3], 0 offset:800
	ds_read_b128 v[10:13], v1 offset:1392
	s_waitcnt vmcnt(53)
	v_fma_f64 v[22:23], v[2:3], v[30:31], -v[22:23]
	v_fma_f64 v[30:31], v[4:5], v[30:31], v[189:190]
	ds_read_b128 v[2:5], v1 offset:1408
	s_waitcnt vmcnt(48)
	v_fma_f64 v[24:25], v[6:7], v[26:27], -v[24:25]
	v_add_f64 v[18:19], v[174:175], v[18:19]
	v_add_f64 v[14:15], v[14:15], v[28:29]
	s_waitcnt lgkmcnt(1)
	v_mul_f64 v[28:29], v[10:11], v[57:58]
	v_mul_f64 v[57:58], v[12:13], v[57:58]
	s_waitcnt vmcnt(47) lgkmcnt(0)
	v_mul_f64 v[174:175], v[2:3], v[59:60]
	v_mul_f64 v[59:60], v[4:5], v[59:60]
	v_add_f64 v[18:19], v[18:19], v[22:23]
	v_fma_f64 v[22:23], v[8:9], v[26:27], v[184:185]
	v_add_f64 v[14:15], v[14:15], v[30:31]
	s_clause 0x3
	buffer_load_dword v26, off, s[0:3], 0 offset:512
	buffer_load_dword v27, off, s[0:3], 0 offset:516
	;; [unrolled: 1-line block ×4, first 2 shown]
	s_waitcnt vmcnt(49)
	v_fma_f64 v[57:58], v[10:11], v[63:64], -v[57:58]
	ds_read_b128 v[6:9], v1 offset:1424
	s_waitcnt vmcnt(44)
	v_fma_f64 v[59:60], v[2:3], v[61:62], -v[59:60]
	v_add_f64 v[18:19], v[18:19], v[24:25]
	v_fma_f64 v[24:25], v[12:13], v[63:64], v[28:29]
	v_add_f64 v[14:15], v[14:15], v[22:23]
	ds_read_b128 v[10:13], v1 offset:1440
	s_waitcnt lgkmcnt(1)
	v_mul_f64 v[28:29], v[8:9], v[65:66]
	v_mul_f64 v[22:23], v[6:7], v[65:66]
	v_add_f64 v[18:19], v[18:19], v[57:58]
	v_fma_f64 v[57:58], v[4:5], v[61:62], v[174:175]
	v_add_f64 v[14:15], v[14:15], v[24:25]
	s_waitcnt vmcnt(43) lgkmcnt(0)
	v_mul_f64 v[61:62], v[12:13], v[67:68]
	s_waitcnt vmcnt(41)
	v_fma_f64 v[28:29], v[6:7], v[147:148], -v[28:29]
	ds_read_b128 v[2:5], v1 offset:1456
	v_mul_f64 v[24:25], v[10:11], v[67:68]
	v_fma_f64 v[22:23], v[8:9], v[147:148], v[22:23]
	ds_read_b128 v[6:9], v1 offset:1472
	v_add_f64 v[18:19], v[18:19], v[59:60]
	v_add_f64 v[14:15], v[14:15], v[57:58]
	s_waitcnt vmcnt(37) lgkmcnt(1)
	v_mul_f64 v[59:60], v[4:5], v[149:150]
	s_waitcnt vmcnt(36)
	v_fma_f64 v[61:62], v[10:11], v[145:146], -v[61:62]
	v_mul_f64 v[57:58], v[2:3], v[149:150]
	v_fma_f64 v[24:25], v[12:13], v[145:146], v[24:25]
	ds_read_b128 v[10:13], v1 offset:1488
	v_add_f64 v[18:19], v[18:19], v[28:29]
	s_waitcnt vmcnt(35) lgkmcnt(1)
	v_mul_f64 v[28:29], v[8:9], v[151:152]
	v_add_f64 v[14:15], v[14:15], v[22:23]
	s_waitcnt vmcnt(33)
	v_fma_f64 v[59:60], v[2:3], v[155:156], -v[59:60]
	v_mul_f64 v[22:23], v[6:7], v[151:152]
	v_fma_f64 v[57:58], v[4:5], v[155:156], v[57:58]
	ds_read_b128 v[2:5], v1 offset:1504
	v_add_f64 v[18:19], v[18:19], v[61:62]
	s_waitcnt vmcnt(29) lgkmcnt(1)
	v_mul_f64 v[61:62], v[12:13], v[157:158]
	v_add_f64 v[14:15], v[14:15], v[24:25]
	;; [unrolled: 9-line block ×6, first 2 shown]
	s_waitcnt vmcnt(12)
	v_fma_f64 v[61:62], v[10:11], v[170:171], -v[61:62]
	v_mul_f64 v[57:58], v[2:3], v[178:179]
	v_fma_f64 v[24:25], v[12:13], v[170:171], v[24:25]
	ds_read_b128 v[10:13], v1 offset:1584
	v_add_f64 v[18:19], v[18:19], v[28:29]
	v_add_f64 v[14:15], v[14:15], v[22:23]
	s_waitcnt vmcnt(11) lgkmcnt(1)
	v_mul_f64 v[28:29], v[8:9], v[180:181]
	v_mul_f64 v[22:23], v[6:7], v[180:181]
	s_waitcnt vmcnt(9)
	v_fma_f64 v[1:2], v[2:3], v[176:177], -v[59:60]
	v_fma_f64 v[3:4], v[4:5], v[176:177], v[57:58]
	v_add_f64 v[18:19], v[18:19], v[61:62]
	v_add_f64 v[14:15], v[14:15], v[24:25]
	s_waitcnt vmcnt(7) lgkmcnt(0)
	v_mul_f64 v[24:25], v[10:11], v[20:21]
	v_mul_f64 v[20:21], v[12:13], v[20:21]
	s_waitcnt vmcnt(6)
	v_fma_f64 v[5:6], v[6:7], v[182:183], -v[28:29]
	v_fma_f64 v[7:8], v[8:9], v[182:183], v[22:23]
	v_add_f64 v[1:2], v[18:19], v[1:2]
	v_add_f64 v[3:4], v[14:15], v[3:4]
	s_waitcnt vmcnt(4)
	v_fma_f64 v[9:10], v[10:11], v[16:17], -v[20:21]
	v_add_f64 v[1:2], v[1:2], v[5:6]
	v_fma_f64 v[5:6], v[12:13], v[16:17], v[24:25]
	v_add_f64 v[3:4], v[3:4], v[7:8]
	v_add_f64 v[1:2], v[1:2], v[9:10]
	;; [unrolled: 1-line block ×3, first 2 shown]
	s_waitcnt vmcnt(2)
	v_add_f64 v[1:2], v[26:27], -v[1:2]
	s_waitcnt vmcnt(0)
	v_add_f64 v[3:4], v[30:31], -v[3:4]
	buffer_store_dword v2, off, s[0:3], 0 offset:516
	buffer_store_dword v1, off, s[0:3], 0 offset:512
	;; [unrolled: 1-line block ×4, first 2 shown]
	v_cmpx_lt_u32_e32 30, v0
	s_cbranch_execz .LBB49_253
; %bb.252:
	v_mov_b32_e32 v4, s35
	v_mov_b32_e32 v5, 0
	s_clause 0x3
	buffer_load_dword v1, v4, s[0:3], 0 offen
	buffer_load_dword v2, v4, s[0:3], 0 offen offset:4
	buffer_load_dword v3, v4, s[0:3], 0 offen offset:8
	;; [unrolled: 1-line block ×3, first 2 shown]
	buffer_store_dword v5, off, s[0:3], 0 offset:496
	buffer_store_dword v5, off, s[0:3], 0 offset:500
	;; [unrolled: 1-line block ×4, first 2 shown]
	s_waitcnt vmcnt(0)
	ds_write_b128 v163, v[1:4]
.LBB49_253:
	s_or_b32 exec_lo, exec_lo, s4
	s_waitcnt lgkmcnt(0)
	s_waitcnt_vscnt null, 0x0
	s_barrier
	buffer_gl0_inv
	s_clause 0x35
	buffer_load_dword v10, off, s[0:3], 0 offset:520
	buffer_load_dword v11, off, s[0:3], 0 offset:524
	;; [unrolled: 1-line block ×54, first 2 shown]
	v_mov_b32_e32 v1, 0
	s_mov_b32 s4, exec_lo
	ds_read_b128 v[2:5], v1 offset:1296
	s_clause 0x3
	buffer_load_dword v168, off, s[0:3], 0 offset:744
	buffer_load_dword v169, off, s[0:3], 0 offset:748
	buffer_load_dword v171, off, s[0:3], 0 offset:724
	buffer_load_dword v170, off, s[0:3], 0 offset:720
	ds_read_b128 v[6:9], v1 offset:1312
	s_clause 0x3
	buffer_load_dword v177, off, s[0:3], 0 offset:764
	buffer_load_dword v176, off, s[0:3], 0 offset:760
	;; [unrolled: 1-line block ×4, first 2 shown]
	s_waitcnt vmcnt(60) lgkmcnt(1)
	v_mul_f64 v[172:173], v[4:5], v[10:11]
	v_mul_f64 v[174:175], v[2:3], v[10:11]
	s_waitcnt vmcnt(58) lgkmcnt(0)
	v_mul_f64 v[180:181], v[8:9], v[14:15]
	ds_read_b128 v[10:13], v1 offset:1328
	v_mul_f64 v[14:15], v[6:7], v[14:15]
	s_waitcnt vmcnt(56)
	v_fma_f64 v[172:173], v[2:3], v[16:17], -v[172:173]
	v_fma_f64 v[16:17], v[4:5], v[16:17], v[174:175]
	s_clause 0x3
	buffer_load_dword v174, off, s[0:3], 0 offset:776
	buffer_load_dword v175, off, s[0:3], 0 offset:780
	;; [unrolled: 1-line block ×4, first 2 shown]
	s_waitcnt vmcnt(58) lgkmcnt(0)
	v_mul_f64 v[184:185], v[10:11], v[18:19]
	v_mul_f64 v[18:19], v[12:13], v[18:19]
	s_waitcnt vmcnt(56)
	v_fma_f64 v[180:181], v[6:7], v[20:21], -v[180:181]
	ds_read_b128 v[2:5], v1 offset:1344
	v_fma_f64 v[14:15], v[8:9], v[20:21], v[14:15]
	s_clause 0x3
	buffer_load_dword v21, off, s[0:3], 0 offset:796
	buffer_load_dword v20, off, s[0:3], 0 offset:792
	;; [unrolled: 1-line block ×4, first 2 shown]
	ds_read_b128 v[6:9], v1 offset:1360
	v_add_f64 v[172:173], v[172:173], 0
	v_add_f64 v[16:17], v[16:17], 0
	s_waitcnt vmcnt(58) lgkmcnt(1)
	v_mul_f64 v[188:189], v[2:3], v[22:23]
	v_mul_f64 v[22:23], v[4:5], v[22:23]
	s_waitcnt vmcnt(56)
	v_fma_f64 v[18:19], v[10:11], v[24:25], -v[18:19]
	v_fma_f64 v[24:25], v[12:13], v[24:25], v[184:185]
	s_waitcnt vmcnt(54) lgkmcnt(0)
	v_mul_f64 v[184:185], v[6:7], v[26:27]
	v_mul_f64 v[26:27], v[8:9], v[26:27]
	v_add_f64 v[172:173], v[172:173], v[180:181]
	v_add_f64 v[14:15], v[16:17], v[14:15]
	s_clause 0x3
	buffer_load_dword v16, off, s[0:3], 0 offset:808
	buffer_load_dword v17, off, s[0:3], 0 offset:812
	;; [unrolled: 1-line block ×4, first 2 shown]
	ds_read_b128 v[10:13], v1 offset:1376
	s_waitcnt vmcnt(56)
	v_fma_f64 v[22:23], v[2:3], v[28:29], -v[22:23]
	v_fma_f64 v[28:29], v[4:5], v[28:29], v[188:189]
	s_waitcnt vmcnt(52)
	v_fma_f64 v[26:27], v[6:7], v[57:58], -v[26:27]
	v_add_f64 v[18:19], v[172:173], v[18:19]
	v_add_f64 v[14:15], v[14:15], v[24:25]
	s_clause 0x1
	buffer_load_dword v24, off, s[0:3], 0 offset:800
	buffer_load_dword v25, off, s[0:3], 0 offset:804
	s_waitcnt lgkmcnt(0)
	v_mul_f64 v[172:173], v[10:11], v[30:31]
	v_mul_f64 v[30:31], v[12:13], v[30:31]
	ds_read_b128 v[2:5], v1 offset:1392
	v_add_f64 v[18:19], v[18:19], v[22:23]
	v_fma_f64 v[22:23], v[8:9], v[57:58], v[184:185]
	v_add_f64 v[14:15], v[14:15], v[28:29]
	ds_read_b128 v[6:9], v1 offset:1408
	s_waitcnt vmcnt(52) lgkmcnt(1)
	v_mul_f64 v[57:58], v[4:5], v[59:60]
	s_waitcnt vmcnt(50)
	v_fma_f64 v[30:31], v[10:11], v[61:62], -v[30:31]
	v_mul_f64 v[28:29], v[2:3], v[59:60]
	v_add_f64 v[18:19], v[18:19], v[26:27]
	v_fma_f64 v[26:27], v[12:13], v[61:62], v[172:173]
	v_add_f64 v[14:15], v[14:15], v[22:23]
	s_clause 0x3
	buffer_load_dword v22, off, s[0:3], 0 offset:496
	buffer_load_dword v23, off, s[0:3], 0 offset:500
	;; [unrolled: 1-line block ×4, first 2 shown]
	s_waitcnt vmcnt(52) lgkmcnt(0)
	v_mul_f64 v[61:62], v[6:7], v[63:64]
	v_mul_f64 v[63:64], v[8:9], v[63:64]
	s_waitcnt vmcnt(50)
	v_fma_f64 v[57:58], v[2:3], v[65:66], -v[57:58]
	ds_read_b128 v[10:13], v1 offset:1424
	v_fma_f64 v[28:29], v[4:5], v[65:66], v[28:29]
	ds_read_b128 v[2:5], v1 offset:1440
	v_add_f64 v[18:19], v[18:19], v[30:31]
	v_add_f64 v[14:15], v[14:15], v[26:27]
	s_waitcnt vmcnt(48) lgkmcnt(1)
	v_mul_f64 v[30:31], v[12:13], v[67:68]
	s_waitcnt vmcnt(46)
	v_fma_f64 v[63:64], v[6:7], v[145:146], -v[63:64]
	v_mul_f64 v[26:27], v[10:11], v[67:68]
	v_add_f64 v[18:19], v[18:19], v[57:58]
	v_fma_f64 v[57:58], v[8:9], v[145:146], v[61:62]
	v_add_f64 v[14:15], v[14:15], v[28:29]
	s_waitcnt vmcnt(44) lgkmcnt(0)
	v_mul_f64 v[61:62], v[4:5], v[147:148]
	ds_read_b128 v[6:9], v1 offset:1456
	s_waitcnt vmcnt(42)
	v_fma_f64 v[30:31], v[10:11], v[149:150], -v[30:31]
	v_mul_f64 v[28:29], v[2:3], v[147:148]
	v_fma_f64 v[26:27], v[12:13], v[149:150], v[26:27]
	ds_read_b128 v[10:13], v1 offset:1472
	v_add_f64 v[18:19], v[18:19], v[63:64]
	v_add_f64 v[14:15], v[14:15], v[57:58]
	s_waitcnt vmcnt(40) lgkmcnt(1)
	v_mul_f64 v[63:64], v[8:9], v[151:152]
	s_waitcnt vmcnt(38)
	v_fma_f64 v[61:62], v[2:3], v[153:154], -v[61:62]
	v_mul_f64 v[57:58], v[6:7], v[151:152]
	v_fma_f64 v[28:29], v[4:5], v[153:154], v[28:29]
	ds_read_b128 v[2:5], v1 offset:1488
	v_add_f64 v[18:19], v[18:19], v[30:31]
	s_waitcnt vmcnt(36) lgkmcnt(1)
	v_mul_f64 v[30:31], v[12:13], v[155:156]
	v_add_f64 v[14:15], v[14:15], v[26:27]
	s_waitcnt vmcnt(34)
	v_fma_f64 v[63:64], v[6:7], v[157:158], -v[63:64]
	v_mul_f64 v[26:27], v[10:11], v[155:156]
	v_fma_f64 v[57:58], v[8:9], v[157:158], v[57:58]
	ds_read_b128 v[6:9], v1 offset:1504
	v_add_f64 v[18:19], v[18:19], v[61:62]
	s_waitcnt vmcnt(32) lgkmcnt(1)
	v_mul_f64 v[61:62], v[4:5], v[159:160]
	v_add_f64 v[14:15], v[14:15], v[28:29]
	;; [unrolled: 9-line block ×5, first 2 shown]
	s_waitcnt vmcnt(18)
	v_fma_f64 v[30:31], v[10:11], v[178:179], -v[30:31]
	v_mul_f64 v[28:29], v[2:3], v[176:177]
	v_fma_f64 v[26:27], v[12:13], v[178:179], v[26:27]
	ds_read_b128 v[10:13], v1 offset:1568
	v_add_f64 v[18:19], v[18:19], v[63:64]
	v_add_f64 v[14:15], v[14:15], v[57:58]
	s_waitcnt vmcnt(16) lgkmcnt(1)
	v_mul_f64 v[63:64], v[8:9], v[174:175]
	v_mul_f64 v[57:58], v[6:7], v[174:175]
	s_waitcnt vmcnt(14)
	v_fma_f64 v[61:62], v[2:3], v[182:183], -v[61:62]
	v_fma_f64 v[28:29], v[4:5], v[182:183], v[28:29]
	ds_read_b128 v[2:5], v1 offset:1584
	v_add_f64 v[18:19], v[18:19], v[30:31]
	v_add_f64 v[14:15], v[14:15], v[26:27]
	s_waitcnt vmcnt(12) lgkmcnt(1)
	v_mul_f64 v[26:27], v[10:11], v[20:21]
	v_mul_f64 v[20:21], v[12:13], v[20:21]
	s_waitcnt vmcnt(10)
	v_fma_f64 v[6:7], v[6:7], v[186:187], -v[63:64]
	v_fma_f64 v[8:9], v[8:9], v[186:187], v[57:58]
	v_add_f64 v[18:19], v[18:19], v[61:62]
	v_add_f64 v[14:15], v[14:15], v[28:29]
	s_waitcnt vmcnt(8) lgkmcnt(0)
	v_mul_f64 v[28:29], v[2:3], v[16:17]
	v_mul_f64 v[16:17], v[4:5], v[16:17]
	s_waitcnt vmcnt(6)
	v_fma_f64 v[10:11], v[10:11], v[180:181], -v[20:21]
	v_fma_f64 v[12:13], v[12:13], v[180:181], v[26:27]
	v_add_f64 v[6:7], v[18:19], v[6:7]
	v_add_f64 v[8:9], v[14:15], v[8:9]
	s_waitcnt vmcnt(4)
	v_fma_f64 v[2:3], v[2:3], v[24:25], -v[16:17]
	v_fma_f64 v[4:5], v[4:5], v[24:25], v[28:29]
	v_add_f64 v[6:7], v[6:7], v[10:11]
	v_add_f64 v[8:9], v[8:9], v[12:13]
	;; [unrolled: 1-line block ×4, first 2 shown]
	s_waitcnt vmcnt(2)
	v_add_f64 v[2:3], v[22:23], -v[2:3]
	s_waitcnt vmcnt(0)
	v_add_f64 v[4:5], v[59:60], -v[4:5]
	buffer_store_dword v3, off, s[0:3], 0 offset:500
	buffer_store_dword v2, off, s[0:3], 0 offset:496
	;; [unrolled: 1-line block ×4, first 2 shown]
	v_cmpx_lt_u32_e32 29, v0
	s_cbranch_execz .LBB49_255
; %bb.254:
	v_mov_b32_e32 v5, s31
	s_clause 0x3
	buffer_load_dword v2, v5, s[0:3], 0 offen
	buffer_load_dword v3, v5, s[0:3], 0 offen offset:4
	buffer_load_dword v4, v5, s[0:3], 0 offen offset:8
	;; [unrolled: 1-line block ×3, first 2 shown]
	buffer_store_dword v1, off, s[0:3], 0 offset:480
	buffer_store_dword v1, off, s[0:3], 0 offset:484
	;; [unrolled: 1-line block ×4, first 2 shown]
	s_waitcnt vmcnt(0)
	ds_write_b128 v163, v[2:5]
.LBB49_255:
	s_or_b32 exec_lo, exec_lo, s4
	s_waitcnt lgkmcnt(0)
	s_waitcnt_vscnt null, 0x0
	s_barrier
	buffer_gl0_inv
	s_clause 0x35
	buffer_load_dword v10, off, s[0:3], 0 offset:504
	buffer_load_dword v11, off, s[0:3], 0 offset:508
	;; [unrolled: 1-line block ×54, first 2 shown]
	ds_read_b128 v[2:5], v1 offset:1280
	s_clause 0x3
	buffer_load_dword v168, off, s[0:3], 0 offset:728
	buffer_load_dword v169, off, s[0:3], 0 offset:732
	;; [unrolled: 1-line block ×4, first 2 shown]
	ds_read_b128 v[6:9], v1 offset:1296
	s_clause 0x3
	buffer_load_dword v177, off, s[0:3], 0 offset:748
	buffer_load_dword v176, off, s[0:3], 0 offset:744
	;; [unrolled: 1-line block ×4, first 2 shown]
	s_mov_b32 s4, exec_lo
	s_waitcnt vmcnt(60) lgkmcnt(1)
	v_mul_f64 v[172:173], v[4:5], v[10:11]
	v_mul_f64 v[174:175], v[2:3], v[10:11]
	s_waitcnt vmcnt(58) lgkmcnt(0)
	v_mul_f64 v[180:181], v[8:9], v[14:15]
	ds_read_b128 v[10:13], v1 offset:1312
	v_mul_f64 v[14:15], v[6:7], v[14:15]
	s_waitcnt vmcnt(56)
	v_fma_f64 v[172:173], v[2:3], v[16:17], -v[172:173]
	v_fma_f64 v[16:17], v[4:5], v[16:17], v[174:175]
	s_clause 0x3
	buffer_load_dword v174, off, s[0:3], 0 offset:760
	buffer_load_dword v175, off, s[0:3], 0 offset:764
	;; [unrolled: 1-line block ×4, first 2 shown]
	s_waitcnt vmcnt(58) lgkmcnt(0)
	v_mul_f64 v[184:185], v[10:11], v[18:19]
	v_mul_f64 v[18:19], v[12:13], v[18:19]
	s_waitcnt vmcnt(56)
	v_fma_f64 v[180:181], v[6:7], v[20:21], -v[180:181]
	ds_read_b128 v[2:5], v1 offset:1328
	v_fma_f64 v[14:15], v[8:9], v[20:21], v[14:15]
	s_clause 0x3
	buffer_load_dword v21, off, s[0:3], 0 offset:780
	buffer_load_dword v20, off, s[0:3], 0 offset:776
	buffer_load_dword v186, off, s[0:3], 0 offset:752
	buffer_load_dword v187, off, s[0:3], 0 offset:756
	ds_read_b128 v[6:9], v1 offset:1344
	v_add_f64 v[172:173], v[172:173], 0
	v_add_f64 v[16:17], v[16:17], 0
	s_waitcnt vmcnt(58) lgkmcnt(1)
	v_mul_f64 v[188:189], v[2:3], v[22:23]
	v_mul_f64 v[22:23], v[4:5], v[22:23]
	s_waitcnt vmcnt(56)
	v_fma_f64 v[18:19], v[10:11], v[24:25], -v[18:19]
	v_fma_f64 v[24:25], v[12:13], v[24:25], v[184:185]
	s_waitcnt vmcnt(54) lgkmcnt(0)
	v_mul_f64 v[184:185], v[6:7], v[26:27]
	v_mul_f64 v[26:27], v[8:9], v[26:27]
	v_add_f64 v[172:173], v[172:173], v[180:181]
	v_add_f64 v[14:15], v[16:17], v[14:15]
	s_clause 0x3
	buffer_load_dword v16, off, s[0:3], 0 offset:792
	buffer_load_dword v17, off, s[0:3], 0 offset:796
	;; [unrolled: 1-line block ×4, first 2 shown]
	ds_read_b128 v[10:13], v1 offset:1360
	s_waitcnt vmcnt(56)
	v_fma_f64 v[22:23], v[2:3], v[28:29], -v[22:23]
	v_fma_f64 v[28:29], v[4:5], v[28:29], v[188:189]
	s_waitcnt vmcnt(52)
	v_fma_f64 v[26:27], v[6:7], v[57:58], -v[26:27]
	v_add_f64 v[18:19], v[172:173], v[18:19]
	v_add_f64 v[14:15], v[14:15], v[24:25]
	s_clause 0x3
	buffer_load_dword v25, off, s[0:3], 0 offset:812
	buffer_load_dword v24, off, s[0:3], 0 offset:808
	;; [unrolled: 1-line block ×4, first 2 shown]
	s_waitcnt lgkmcnt(0)
	v_mul_f64 v[188:189], v[10:11], v[30:31]
	v_mul_f64 v[30:31], v[12:13], v[30:31]
	ds_read_b128 v[2:5], v1 offset:1376
	v_add_f64 v[18:19], v[18:19], v[22:23]
	v_fma_f64 v[22:23], v[8:9], v[57:58], v[184:185]
	v_add_f64 v[14:15], v[14:15], v[28:29]
	s_clause 0x1
	buffer_load_dword v29, off, s[0:3], 0 offset:804
	buffer_load_dword v28, off, s[0:3], 0 offset:800
	s_waitcnt vmcnt(56) lgkmcnt(0)
	v_mul_f64 v[57:58], v[2:3], v[59:60]
	v_mul_f64 v[59:60], v[4:5], v[59:60]
	s_waitcnt vmcnt(54)
	v_fma_f64 v[30:31], v[10:11], v[61:62], -v[30:31]
	ds_read_b128 v[6:9], v1 offset:1392
	v_add_f64 v[18:19], v[18:19], v[26:27]
	v_fma_f64 v[26:27], v[12:13], v[61:62], v[188:189]
	v_add_f64 v[14:15], v[14:15], v[22:23]
	ds_read_b128 v[10:13], v1 offset:1408
	s_waitcnt vmcnt(52) lgkmcnt(1)
	v_mul_f64 v[61:62], v[8:9], v[63:64]
	s_waitcnt vmcnt(50)
	v_fma_f64 v[59:60], v[2:3], v[65:66], -v[59:60]
	v_mul_f64 v[22:23], v[6:7], v[63:64]
	v_add_f64 v[18:19], v[18:19], v[30:31]
	v_fma_f64 v[30:31], v[4:5], v[65:66], v[57:58]
	v_add_f64 v[14:15], v[14:15], v[26:27]
	s_clause 0x3
	buffer_load_dword v26, off, s[0:3], 0 offset:480
	buffer_load_dword v27, off, s[0:3], 0 offset:484
	;; [unrolled: 1-line block ×4, first 2 shown]
	s_waitcnt vmcnt(52) lgkmcnt(0)
	v_mul_f64 v[65:66], v[12:13], v[67:68]
	s_waitcnt vmcnt(50)
	v_fma_f64 v[61:62], v[6:7], v[145:146], -v[61:62]
	ds_read_b128 v[2:5], v1 offset:1424
	v_mul_f64 v[63:64], v[10:11], v[67:68]
	v_fma_f64 v[22:23], v[8:9], v[145:146], v[22:23]
	ds_read_b128 v[6:9], v1 offset:1440
	v_add_f64 v[18:19], v[18:19], v[59:60]
	v_add_f64 v[14:15], v[14:15], v[30:31]
	s_waitcnt vmcnt(48) lgkmcnt(1)
	v_mul_f64 v[59:60], v[4:5], v[147:148]
	s_waitcnt vmcnt(46)
	v_fma_f64 v[65:66], v[10:11], v[149:150], -v[65:66]
	v_mul_f64 v[30:31], v[2:3], v[147:148]
	v_add_f64 v[18:19], v[18:19], v[61:62]
	v_fma_f64 v[61:62], v[12:13], v[149:150], v[63:64]
	v_add_f64 v[14:15], v[14:15], v[22:23]
	s_waitcnt vmcnt(44) lgkmcnt(0)
	v_mul_f64 v[63:64], v[8:9], v[151:152]
	s_waitcnt vmcnt(42)
	v_fma_f64 v[59:60], v[2:3], v[153:154], -v[59:60]
	ds_read_b128 v[10:13], v1 offset:1456
	v_mul_f64 v[22:23], v[6:7], v[151:152]
	v_fma_f64 v[30:31], v[4:5], v[153:154], v[30:31]
	ds_read_b128 v[2:5], v1 offset:1472
	v_add_f64 v[18:19], v[18:19], v[65:66]
	v_add_f64 v[14:15], v[14:15], v[61:62]
	s_waitcnt vmcnt(40) lgkmcnt(1)
	v_mul_f64 v[65:66], v[12:13], v[155:156]
	s_waitcnt vmcnt(38)
	v_fma_f64 v[63:64], v[6:7], v[157:158], -v[63:64]
	v_mul_f64 v[61:62], v[10:11], v[155:156]
	v_fma_f64 v[22:23], v[8:9], v[157:158], v[22:23]
	ds_read_b128 v[6:9], v1 offset:1488
	v_add_f64 v[18:19], v[18:19], v[59:60]
	s_waitcnt vmcnt(36) lgkmcnt(1)
	v_mul_f64 v[59:60], v[4:5], v[159:160]
	v_add_f64 v[14:15], v[14:15], v[30:31]
	s_waitcnt vmcnt(34)
	v_fma_f64 v[65:66], v[10:11], v[161:162], -v[65:66]
	v_mul_f64 v[30:31], v[2:3], v[159:160]
	v_fma_f64 v[61:62], v[12:13], v[161:162], v[61:62]
	ds_read_b128 v[10:13], v1 offset:1504
	v_add_f64 v[18:19], v[18:19], v[63:64]
	s_waitcnt vmcnt(32) lgkmcnt(1)
	v_mul_f64 v[63:64], v[8:9], v[164:165]
	v_add_f64 v[14:15], v[14:15], v[22:23]
	;; [unrolled: 9-line block ×4, first 2 shown]
	s_waitcnt vmcnt(22)
	v_fma_f64 v[65:66], v[10:11], v[178:179], -v[65:66]
	v_mul_f64 v[30:31], v[2:3], v[176:177]
	v_fma_f64 v[61:62], v[12:13], v[178:179], v[61:62]
	ds_read_b128 v[10:13], v1 offset:1552
	v_add_f64 v[18:19], v[18:19], v[63:64]
	v_add_f64 v[14:15], v[14:15], v[22:23]
	s_waitcnt vmcnt(20) lgkmcnt(1)
	v_mul_f64 v[63:64], v[8:9], v[174:175]
	v_mul_f64 v[22:23], v[6:7], v[174:175]
	s_waitcnt vmcnt(18)
	v_fma_f64 v[59:60], v[2:3], v[182:183], -v[59:60]
	v_fma_f64 v[30:31], v[4:5], v[182:183], v[30:31]
	ds_read_b128 v[2:5], v1 offset:1568
	v_add_f64 v[18:19], v[18:19], v[65:66]
	v_add_f64 v[14:15], v[14:15], v[61:62]
	s_waitcnt vmcnt(16) lgkmcnt(1)
	v_mul_f64 v[61:62], v[10:11], v[20:21]
	v_mul_f64 v[20:21], v[12:13], v[20:21]
	s_waitcnt vmcnt(14)
	v_fma_f64 v[63:64], v[6:7], v[186:187], -v[63:64]
	;; [unrolled: 9-line block ×3, first 2 shown]
	v_fma_f64 v[12:13], v[12:13], v[180:181], v[61:62]
	v_add_f64 v[18:19], v[18:19], v[63:64]
	v_add_f64 v[14:15], v[14:15], v[22:23]
	s_waitcnt vmcnt(8) lgkmcnt(0)
	v_mul_f64 v[22:23], v[8:9], v[24:25]
	v_mul_f64 v[20:21], v[6:7], v[24:25]
	s_waitcnt vmcnt(6)
	v_fma_f64 v[1:2], v[2:3], v[172:173], -v[16:17]
	v_fma_f64 v[3:4], v[4:5], v[172:173], v[30:31]
	v_add_f64 v[10:11], v[18:19], v[10:11]
	v_add_f64 v[12:13], v[14:15], v[12:13]
	s_waitcnt vmcnt(4)
	v_fma_f64 v[5:6], v[6:7], v[28:29], -v[22:23]
	v_fma_f64 v[7:8], v[8:9], v[28:29], v[20:21]
	v_add_f64 v[1:2], v[10:11], v[1:2]
	v_add_f64 v[3:4], v[12:13], v[3:4]
	;; [unrolled: 1-line block ×4, first 2 shown]
	s_waitcnt vmcnt(2)
	v_add_f64 v[1:2], v[26:27], -v[1:2]
	s_waitcnt vmcnt(0)
	v_add_f64 v[3:4], v[57:58], -v[3:4]
	buffer_store_dword v2, off, s[0:3], 0 offset:484
	buffer_store_dword v1, off, s[0:3], 0 offset:480
	;; [unrolled: 1-line block ×4, first 2 shown]
	v_cmpx_lt_u32_e32 28, v0
	s_cbranch_execz .LBB49_257
; %bb.256:
	v_mov_b32_e32 v4, s30
	v_mov_b32_e32 v5, 0
	s_clause 0x3
	buffer_load_dword v1, v4, s[0:3], 0 offen
	buffer_load_dword v2, v4, s[0:3], 0 offen offset:4
	buffer_load_dword v3, v4, s[0:3], 0 offen offset:8
	;; [unrolled: 1-line block ×3, first 2 shown]
	buffer_store_dword v5, off, s[0:3], 0 offset:464
	buffer_store_dword v5, off, s[0:3], 0 offset:468
	;; [unrolled: 1-line block ×4, first 2 shown]
	s_waitcnt vmcnt(0)
	ds_write_b128 v163, v[1:4]
.LBB49_257:
	s_or_b32 exec_lo, exec_lo, s4
	s_waitcnt lgkmcnt(0)
	s_waitcnt_vscnt null, 0x0
	s_barrier
	buffer_gl0_inv
	s_clause 0x35
	buffer_load_dword v10, off, s[0:3], 0 offset:488
	buffer_load_dword v11, off, s[0:3], 0 offset:492
	;; [unrolled: 1-line block ×54, first 2 shown]
	v_mov_b32_e32 v1, 0
	s_mov_b32 s4, exec_lo
	ds_read_b128 v[2:5], v1 offset:1264
	s_clause 0x3
	buffer_load_dword v168, off, s[0:3], 0 offset:712
	buffer_load_dword v169, off, s[0:3], 0 offset:716
	;; [unrolled: 1-line block ×4, first 2 shown]
	ds_read_b128 v[6:9], v1 offset:1280
	s_clause 0x3
	buffer_load_dword v177, off, s[0:3], 0 offset:732
	buffer_load_dword v176, off, s[0:3], 0 offset:728
	;; [unrolled: 1-line block ×4, first 2 shown]
	s_waitcnt vmcnt(60) lgkmcnt(1)
	v_mul_f64 v[172:173], v[4:5], v[10:11]
	v_mul_f64 v[174:175], v[2:3], v[10:11]
	s_waitcnt vmcnt(58) lgkmcnt(0)
	v_mul_f64 v[180:181], v[8:9], v[14:15]
	ds_read_b128 v[10:13], v1 offset:1296
	v_mul_f64 v[14:15], v[6:7], v[14:15]
	s_waitcnt vmcnt(56)
	v_fma_f64 v[172:173], v[2:3], v[16:17], -v[172:173]
	v_fma_f64 v[16:17], v[4:5], v[16:17], v[174:175]
	s_clause 0x3
	buffer_load_dword v174, off, s[0:3], 0 offset:744
	buffer_load_dword v175, off, s[0:3], 0 offset:748
	buffer_load_dword v183, off, s[0:3], 0 offset:724
	buffer_load_dword v182, off, s[0:3], 0 offset:720
	s_waitcnt vmcnt(58) lgkmcnt(0)
	v_mul_f64 v[184:185], v[10:11], v[18:19]
	v_mul_f64 v[18:19], v[12:13], v[18:19]
	s_waitcnt vmcnt(56)
	v_fma_f64 v[180:181], v[6:7], v[20:21], -v[180:181]
	ds_read_b128 v[2:5], v1 offset:1312
	v_fma_f64 v[14:15], v[8:9], v[20:21], v[14:15]
	s_clause 0x3
	buffer_load_dword v21, off, s[0:3], 0 offset:764
	buffer_load_dword v20, off, s[0:3], 0 offset:760
	;; [unrolled: 1-line block ×4, first 2 shown]
	ds_read_b128 v[6:9], v1 offset:1328
	v_add_f64 v[172:173], v[172:173], 0
	v_add_f64 v[16:17], v[16:17], 0
	s_waitcnt vmcnt(58) lgkmcnt(1)
	v_mul_f64 v[188:189], v[2:3], v[22:23]
	v_mul_f64 v[22:23], v[4:5], v[22:23]
	s_waitcnt vmcnt(56)
	v_fma_f64 v[18:19], v[10:11], v[24:25], -v[18:19]
	v_fma_f64 v[24:25], v[12:13], v[24:25], v[184:185]
	s_waitcnt vmcnt(54) lgkmcnt(0)
	v_mul_f64 v[184:185], v[6:7], v[26:27]
	v_mul_f64 v[26:27], v[8:9], v[26:27]
	v_add_f64 v[172:173], v[172:173], v[180:181]
	v_add_f64 v[14:15], v[16:17], v[14:15]
	s_clause 0x3
	buffer_load_dword v16, off, s[0:3], 0 offset:776
	buffer_load_dword v17, off, s[0:3], 0 offset:780
	;; [unrolled: 1-line block ×4, first 2 shown]
	ds_read_b128 v[10:13], v1 offset:1344
	s_waitcnt vmcnt(56)
	v_fma_f64 v[22:23], v[2:3], v[28:29], -v[22:23]
	v_fma_f64 v[28:29], v[4:5], v[28:29], v[188:189]
	s_waitcnt vmcnt(52)
	v_fma_f64 v[26:27], v[6:7], v[57:58], -v[26:27]
	v_add_f64 v[18:19], v[172:173], v[18:19]
	v_add_f64 v[14:15], v[14:15], v[24:25]
	s_clause 0x3
	buffer_load_dword v25, off, s[0:3], 0 offset:796
	buffer_load_dword v24, off, s[0:3], 0 offset:792
	;; [unrolled: 1-line block ×4, first 2 shown]
	s_waitcnt lgkmcnt(0)
	v_mul_f64 v[188:189], v[10:11], v[30:31]
	v_mul_f64 v[30:31], v[12:13], v[30:31]
	ds_read_b128 v[2:5], v1 offset:1360
	v_add_f64 v[18:19], v[18:19], v[22:23]
	v_fma_f64 v[22:23], v[8:9], v[57:58], v[184:185]
	v_add_f64 v[14:15], v[14:15], v[28:29]
	s_clause 0x3
	buffer_load_dword v28, off, s[0:3], 0 offset:808
	buffer_load_dword v29, off, s[0:3], 0 offset:812
	;; [unrolled: 1-line block ×4, first 2 shown]
	s_waitcnt vmcnt(58) lgkmcnt(0)
	v_mul_f64 v[184:185], v[2:3], v[59:60]
	v_mul_f64 v[59:60], v[4:5], v[59:60]
	s_waitcnt vmcnt(56)
	v_fma_f64 v[30:31], v[10:11], v[61:62], -v[30:31]
	ds_read_b128 v[6:9], v1 offset:1376
	v_add_f64 v[18:19], v[18:19], v[26:27]
	v_fma_f64 v[26:27], v[12:13], v[61:62], v[188:189]
	v_add_f64 v[14:15], v[14:15], v[22:23]
	s_clause 0x1
	buffer_load_dword v22, off, s[0:3], 0 offset:800
	buffer_load_dword v23, off, s[0:3], 0 offset:804
	ds_read_b128 v[10:13], v1 offset:1392
	s_waitcnt vmcnt(56) lgkmcnt(1)
	v_mul_f64 v[61:62], v[6:7], v[63:64]
	v_mul_f64 v[63:64], v[8:9], v[63:64]
	s_waitcnt vmcnt(54)
	v_fma_f64 v[59:60], v[2:3], v[65:66], -v[59:60]
	v_add_f64 v[18:19], v[18:19], v[30:31]
	v_fma_f64 v[30:31], v[4:5], v[65:66], v[184:185]
	v_add_f64 v[14:15], v[14:15], v[26:27]
	ds_read_b128 v[2:5], v1 offset:1408
	s_waitcnt vmcnt(52) lgkmcnt(1)
	v_mul_f64 v[65:66], v[12:13], v[67:68]
	v_mul_f64 v[26:27], v[10:11], v[67:68]
	s_waitcnt vmcnt(50)
	v_fma_f64 v[63:64], v[6:7], v[145:146], -v[63:64]
	v_add_f64 v[18:19], v[18:19], v[59:60]
	v_fma_f64 v[59:60], v[8:9], v[145:146], v[61:62]
	v_add_f64 v[14:15], v[14:15], v[30:31]
	s_clause 0x3
	buffer_load_dword v30, off, s[0:3], 0 offset:464
	buffer_load_dword v31, off, s[0:3], 0 offset:468
	;; [unrolled: 1-line block ×4, first 2 shown]
	s_waitcnt vmcnt(52) lgkmcnt(0)
	v_mul_f64 v[145:146], v[4:5], v[147:148]
	s_waitcnt vmcnt(50)
	v_fma_f64 v[65:66], v[10:11], v[149:150], -v[65:66]
	ds_read_b128 v[6:9], v1 offset:1424
	v_mul_f64 v[67:68], v[2:3], v[147:148]
	v_fma_f64 v[26:27], v[12:13], v[149:150], v[26:27]
	ds_read_b128 v[10:13], v1 offset:1440
	v_add_f64 v[18:19], v[18:19], v[63:64]
	v_add_f64 v[14:15], v[14:15], v[59:60]
	s_waitcnt vmcnt(48) lgkmcnt(1)
	v_mul_f64 v[63:64], v[8:9], v[151:152]
	s_waitcnt vmcnt(46)
	v_fma_f64 v[145:146], v[2:3], v[153:154], -v[145:146]
	v_mul_f64 v[59:60], v[6:7], v[151:152]
	v_add_f64 v[18:19], v[18:19], v[65:66]
	v_fma_f64 v[65:66], v[4:5], v[153:154], v[67:68]
	v_add_f64 v[14:15], v[14:15], v[26:27]
	s_waitcnt vmcnt(44) lgkmcnt(0)
	v_mul_f64 v[67:68], v[12:13], v[155:156]
	s_waitcnt vmcnt(42)
	v_fma_f64 v[63:64], v[6:7], v[157:158], -v[63:64]
	ds_read_b128 v[2:5], v1 offset:1456
	v_mul_f64 v[26:27], v[10:11], v[155:156]
	v_fma_f64 v[59:60], v[8:9], v[157:158], v[59:60]
	ds_read_b128 v[6:9], v1 offset:1472
	v_add_f64 v[18:19], v[18:19], v[145:146]
	v_add_f64 v[14:15], v[14:15], v[65:66]
	s_waitcnt vmcnt(40) lgkmcnt(1)
	v_mul_f64 v[145:146], v[4:5], v[159:160]
	s_waitcnt vmcnt(38)
	v_fma_f64 v[67:68], v[10:11], v[161:162], -v[67:68]
	v_mul_f64 v[65:66], v[2:3], v[159:160]
	v_fma_f64 v[26:27], v[12:13], v[161:162], v[26:27]
	ds_read_b128 v[10:13], v1 offset:1488
	v_add_f64 v[18:19], v[18:19], v[63:64]
	s_waitcnt vmcnt(36) lgkmcnt(1)
	v_mul_f64 v[63:64], v[8:9], v[164:165]
	v_add_f64 v[14:15], v[14:15], v[59:60]
	s_waitcnt vmcnt(34)
	v_fma_f64 v[145:146], v[2:3], v[166:167], -v[145:146]
	v_mul_f64 v[59:60], v[6:7], v[164:165]
	v_fma_f64 v[65:66], v[4:5], v[166:167], v[65:66]
	ds_read_b128 v[2:5], v1 offset:1504
	v_add_f64 v[18:19], v[18:19], v[67:68]
	s_waitcnt vmcnt(32) lgkmcnt(1)
	v_mul_f64 v[67:68], v[12:13], v[168:169]
	v_add_f64 v[14:15], v[14:15], v[26:27]
	;; [unrolled: 9-line block ×3, first 2 shown]
	s_waitcnt vmcnt(26)
	v_fma_f64 v[67:68], v[10:11], v[178:179], -v[67:68]
	v_mul_f64 v[65:66], v[2:3], v[176:177]
	v_fma_f64 v[26:27], v[12:13], v[178:179], v[26:27]
	ds_read_b128 v[10:13], v1 offset:1536
	v_add_f64 v[18:19], v[18:19], v[63:64]
	v_add_f64 v[14:15], v[14:15], v[59:60]
	s_waitcnt vmcnt(24) lgkmcnt(1)
	v_mul_f64 v[63:64], v[8:9], v[174:175]
	v_mul_f64 v[59:60], v[6:7], v[174:175]
	s_waitcnt vmcnt(22)
	v_fma_f64 v[145:146], v[2:3], v[182:183], -v[145:146]
	v_fma_f64 v[65:66], v[4:5], v[182:183], v[65:66]
	ds_read_b128 v[2:5], v1 offset:1552
	v_add_f64 v[18:19], v[18:19], v[67:68]
	v_add_f64 v[14:15], v[14:15], v[26:27]
	s_waitcnt vmcnt(20) lgkmcnt(1)
	v_mul_f64 v[26:27], v[10:11], v[20:21]
	v_mul_f64 v[20:21], v[12:13], v[20:21]
	s_waitcnt vmcnt(18)
	v_fma_f64 v[63:64], v[6:7], v[186:187], -v[63:64]
	;; [unrolled: 9-line block ×4, first 2 shown]
	v_fma_f64 v[4:5], v[4:5], v[172:173], v[65:66]
	v_add_f64 v[16:17], v[18:19], v[20:21]
	v_add_f64 v[14:15], v[14:15], v[26:27]
	s_waitcnt vmcnt(8) lgkmcnt(0)
	v_mul_f64 v[20:21], v[12:13], v[28:29]
	v_mul_f64 v[18:19], v[10:11], v[28:29]
	s_waitcnt vmcnt(6)
	v_fma_f64 v[6:7], v[6:7], v[57:58], -v[24:25]
	v_fma_f64 v[8:9], v[8:9], v[57:58], v[59:60]
	v_add_f64 v[2:3], v[16:17], v[2:3]
	v_add_f64 v[4:5], v[14:15], v[4:5]
	s_waitcnt vmcnt(4)
	v_fma_f64 v[10:11], v[10:11], v[22:23], -v[20:21]
	v_add_f64 v[2:3], v[2:3], v[6:7]
	v_fma_f64 v[6:7], v[12:13], v[22:23], v[18:19]
	v_add_f64 v[4:5], v[4:5], v[8:9]
	v_add_f64 v[2:3], v[2:3], v[10:11]
	;; [unrolled: 1-line block ×3, first 2 shown]
	s_waitcnt vmcnt(2)
	v_add_f64 v[2:3], v[30:31], -v[2:3]
	s_waitcnt vmcnt(0)
	v_add_f64 v[4:5], v[61:62], -v[4:5]
	buffer_store_dword v3, off, s[0:3], 0 offset:468
	buffer_store_dword v2, off, s[0:3], 0 offset:464
	;; [unrolled: 1-line block ×4, first 2 shown]
	v_cmpx_lt_u32_e32 27, v0
	s_cbranch_execz .LBB49_259
; %bb.258:
	v_mov_b32_e32 v5, s27
	s_clause 0x3
	buffer_load_dword v2, v5, s[0:3], 0 offen
	buffer_load_dword v3, v5, s[0:3], 0 offen offset:4
	buffer_load_dword v4, v5, s[0:3], 0 offen offset:8
	;; [unrolled: 1-line block ×3, first 2 shown]
	buffer_store_dword v1, off, s[0:3], 0 offset:448
	buffer_store_dword v1, off, s[0:3], 0 offset:452
	;; [unrolled: 1-line block ×4, first 2 shown]
	s_waitcnt vmcnt(0)
	ds_write_b128 v163, v[2:5]
.LBB49_259:
	s_or_b32 exec_lo, exec_lo, s4
	s_waitcnt lgkmcnt(0)
	s_waitcnt_vscnt null, 0x0
	s_barrier
	buffer_gl0_inv
	s_clause 0x35
	buffer_load_dword v10, off, s[0:3], 0 offset:472
	buffer_load_dword v11, off, s[0:3], 0 offset:476
	;; [unrolled: 1-line block ×54, first 2 shown]
	ds_read_b128 v[2:5], v1 offset:1248
	s_clause 0x3
	buffer_load_dword v168, off, s[0:3], 0 offset:696
	buffer_load_dword v169, off, s[0:3], 0 offset:700
	;; [unrolled: 1-line block ×4, first 2 shown]
	ds_read_b128 v[6:9], v1 offset:1264
	s_clause 0x3
	buffer_load_dword v177, off, s[0:3], 0 offset:716
	buffer_load_dword v176, off, s[0:3], 0 offset:712
	;; [unrolled: 1-line block ×4, first 2 shown]
	s_mov_b32 s4, exec_lo
	s_waitcnt vmcnt(60) lgkmcnt(1)
	v_mul_f64 v[172:173], v[4:5], v[10:11]
	v_mul_f64 v[174:175], v[2:3], v[10:11]
	s_waitcnt vmcnt(58) lgkmcnt(0)
	v_mul_f64 v[180:181], v[8:9], v[14:15]
	ds_read_b128 v[10:13], v1 offset:1280
	v_mul_f64 v[14:15], v[6:7], v[14:15]
	s_waitcnt vmcnt(56)
	v_fma_f64 v[172:173], v[2:3], v[16:17], -v[172:173]
	v_fma_f64 v[16:17], v[4:5], v[16:17], v[174:175]
	s_clause 0x3
	buffer_load_dword v174, off, s[0:3], 0 offset:728
	buffer_load_dword v175, off, s[0:3], 0 offset:732
	;; [unrolled: 1-line block ×4, first 2 shown]
	s_waitcnt vmcnt(58) lgkmcnt(0)
	v_mul_f64 v[184:185], v[10:11], v[18:19]
	v_mul_f64 v[18:19], v[12:13], v[18:19]
	s_waitcnt vmcnt(56)
	v_fma_f64 v[180:181], v[6:7], v[20:21], -v[180:181]
	ds_read_b128 v[2:5], v1 offset:1296
	v_fma_f64 v[14:15], v[8:9], v[20:21], v[14:15]
	s_clause 0x3
	buffer_load_dword v21, off, s[0:3], 0 offset:748
	buffer_load_dword v20, off, s[0:3], 0 offset:744
	;; [unrolled: 1-line block ×4, first 2 shown]
	ds_read_b128 v[6:9], v1 offset:1312
	v_add_f64 v[172:173], v[172:173], 0
	v_add_f64 v[16:17], v[16:17], 0
	s_waitcnt vmcnt(58) lgkmcnt(1)
	v_mul_f64 v[188:189], v[2:3], v[22:23]
	v_mul_f64 v[22:23], v[4:5], v[22:23]
	s_waitcnt vmcnt(56)
	v_fma_f64 v[18:19], v[10:11], v[24:25], -v[18:19]
	v_fma_f64 v[24:25], v[12:13], v[24:25], v[184:185]
	s_waitcnt vmcnt(54) lgkmcnt(0)
	v_mul_f64 v[184:185], v[6:7], v[26:27]
	v_mul_f64 v[26:27], v[8:9], v[26:27]
	v_add_f64 v[172:173], v[172:173], v[180:181]
	v_add_f64 v[14:15], v[16:17], v[14:15]
	s_clause 0x3
	buffer_load_dword v16, off, s[0:3], 0 offset:760
	buffer_load_dword v17, off, s[0:3], 0 offset:764
	;; [unrolled: 1-line block ×4, first 2 shown]
	ds_read_b128 v[10:13], v1 offset:1328
	s_waitcnt vmcnt(56)
	v_fma_f64 v[22:23], v[2:3], v[28:29], -v[22:23]
	v_fma_f64 v[28:29], v[4:5], v[28:29], v[188:189]
	s_waitcnt vmcnt(52)
	v_fma_f64 v[26:27], v[6:7], v[57:58], -v[26:27]
	v_add_f64 v[18:19], v[172:173], v[18:19]
	v_add_f64 v[14:15], v[14:15], v[24:25]
	s_clause 0x3
	buffer_load_dword v25, off, s[0:3], 0 offset:780
	buffer_load_dword v24, off, s[0:3], 0 offset:776
	;; [unrolled: 1-line block ×4, first 2 shown]
	s_waitcnt lgkmcnt(0)
	v_mul_f64 v[188:189], v[10:11], v[30:31]
	v_mul_f64 v[30:31], v[12:13], v[30:31]
	ds_read_b128 v[2:5], v1 offset:1344
	v_add_f64 v[18:19], v[18:19], v[22:23]
	v_fma_f64 v[22:23], v[8:9], v[57:58], v[184:185]
	v_add_f64 v[14:15], v[14:15], v[28:29]
	s_clause 0x3
	buffer_load_dword v28, off, s[0:3], 0 offset:792
	buffer_load_dword v29, off, s[0:3], 0 offset:796
	;; [unrolled: 1-line block ×4, first 2 shown]
	s_waitcnt vmcnt(58) lgkmcnt(0)
	v_mul_f64 v[184:185], v[2:3], v[59:60]
	v_mul_f64 v[59:60], v[4:5], v[59:60]
	s_waitcnt vmcnt(56)
	v_fma_f64 v[30:31], v[10:11], v[61:62], -v[30:31]
	ds_read_b128 v[6:9], v1 offset:1360
	v_add_f64 v[18:19], v[18:19], v[26:27]
	v_fma_f64 v[26:27], v[12:13], v[61:62], v[188:189]
	v_add_f64 v[14:15], v[14:15], v[22:23]
	s_clause 0x3
	buffer_load_dword v23, off, s[0:3], 0 offset:812
	buffer_load_dword v22, off, s[0:3], 0 offset:808
	;; [unrolled: 1-line block ×4, first 2 shown]
	ds_read_b128 v[10:13], v1 offset:1376
	s_waitcnt vmcnt(58) lgkmcnt(1)
	v_mul_f64 v[188:189], v[6:7], v[63:64]
	v_mul_f64 v[63:64], v[8:9], v[63:64]
	s_waitcnt vmcnt(56)
	v_fma_f64 v[59:60], v[2:3], v[65:66], -v[59:60]
	v_add_f64 v[18:19], v[18:19], v[30:31]
	v_fma_f64 v[30:31], v[4:5], v[65:66], v[184:185]
	v_add_f64 v[14:15], v[14:15], v[26:27]
	s_clause 0x1
	buffer_load_dword v27, off, s[0:3], 0 offset:804
	buffer_load_dword v26, off, s[0:3], 0 offset:800
	s_waitcnt vmcnt(56) lgkmcnt(0)
	v_mul_f64 v[65:66], v[10:11], v[67:68]
	v_mul_f64 v[67:68], v[12:13], v[67:68]
	s_waitcnt vmcnt(54)
	v_fma_f64 v[63:64], v[6:7], v[145:146], -v[63:64]
	ds_read_b128 v[2:5], v1 offset:1392
	v_add_f64 v[18:19], v[18:19], v[59:60]
	v_fma_f64 v[59:60], v[8:9], v[145:146], v[188:189]
	v_add_f64 v[14:15], v[14:15], v[30:31]
	ds_read_b128 v[6:9], v1 offset:1408
	s_waitcnt vmcnt(52) lgkmcnt(1)
	v_mul_f64 v[145:146], v[4:5], v[147:148]
	s_waitcnt vmcnt(50)
	v_fma_f64 v[67:68], v[10:11], v[149:150], -v[67:68]
	v_mul_f64 v[30:31], v[2:3], v[147:148]
	v_add_f64 v[18:19], v[18:19], v[63:64]
	v_fma_f64 v[63:64], v[12:13], v[149:150], v[65:66]
	v_add_f64 v[14:15], v[14:15], v[59:60]
	s_clause 0x3
	buffer_load_dword v59, off, s[0:3], 0 offset:448
	buffer_load_dword v60, off, s[0:3], 0 offset:452
	;; [unrolled: 1-line block ×4, first 2 shown]
	s_waitcnt vmcnt(52) lgkmcnt(0)
	v_mul_f64 v[149:150], v[8:9], v[151:152]
	s_waitcnt vmcnt(50)
	v_fma_f64 v[145:146], v[2:3], v[153:154], -v[145:146]
	ds_read_b128 v[10:13], v1 offset:1424
	v_mul_f64 v[147:148], v[6:7], v[151:152]
	v_fma_f64 v[30:31], v[4:5], v[153:154], v[30:31]
	ds_read_b128 v[2:5], v1 offset:1440
	v_add_f64 v[18:19], v[18:19], v[67:68]
	v_add_f64 v[14:15], v[14:15], v[63:64]
	s_waitcnt vmcnt(48) lgkmcnt(1)
	v_mul_f64 v[67:68], v[12:13], v[155:156]
	s_waitcnt vmcnt(46)
	v_fma_f64 v[149:150], v[6:7], v[157:158], -v[149:150]
	v_mul_f64 v[63:64], v[10:11], v[155:156]
	v_add_f64 v[18:19], v[18:19], v[145:146]
	v_fma_f64 v[145:146], v[8:9], v[157:158], v[147:148]
	v_add_f64 v[14:15], v[14:15], v[30:31]
	s_waitcnt vmcnt(44) lgkmcnt(0)
	v_mul_f64 v[147:148], v[4:5], v[159:160]
	s_waitcnt vmcnt(42)
	v_fma_f64 v[67:68], v[10:11], v[161:162], -v[67:68]
	ds_read_b128 v[6:9], v1 offset:1456
	v_mul_f64 v[30:31], v[2:3], v[159:160]
	v_fma_f64 v[63:64], v[12:13], v[161:162], v[63:64]
	ds_read_b128 v[10:13], v1 offset:1472
	v_add_f64 v[18:19], v[18:19], v[149:150]
	v_add_f64 v[14:15], v[14:15], v[145:146]
	s_waitcnt vmcnt(40) lgkmcnt(1)
	v_mul_f64 v[149:150], v[8:9], v[164:165]
	s_waitcnt vmcnt(38)
	v_fma_f64 v[147:148], v[2:3], v[166:167], -v[147:148]
	v_mul_f64 v[145:146], v[6:7], v[164:165]
	v_fma_f64 v[30:31], v[4:5], v[166:167], v[30:31]
	ds_read_b128 v[2:5], v1 offset:1488
	v_add_f64 v[18:19], v[18:19], v[67:68]
	s_waitcnt vmcnt(36) lgkmcnt(1)
	v_mul_f64 v[67:68], v[12:13], v[168:169]
	v_add_f64 v[14:15], v[14:15], v[63:64]
	s_waitcnt vmcnt(34)
	v_fma_f64 v[149:150], v[6:7], v[170:171], -v[149:150]
	v_mul_f64 v[63:64], v[10:11], v[168:169]
	v_fma_f64 v[145:146], v[8:9], v[170:171], v[145:146]
	ds_read_b128 v[6:9], v1 offset:1504
	v_add_f64 v[18:19], v[18:19], v[147:148]
	s_waitcnt vmcnt(32) lgkmcnt(1)
	v_mul_f64 v[147:148], v[4:5], v[176:177]
	v_add_f64 v[14:15], v[14:15], v[30:31]
	s_waitcnt vmcnt(30)
	v_fma_f64 v[67:68], v[10:11], v[178:179], -v[67:68]
	v_mul_f64 v[30:31], v[2:3], v[176:177]
	v_fma_f64 v[63:64], v[12:13], v[178:179], v[63:64]
	ds_read_b128 v[10:13], v1 offset:1520
	v_add_f64 v[18:19], v[18:19], v[149:150]
	v_add_f64 v[14:15], v[14:15], v[145:146]
	s_waitcnt vmcnt(28) lgkmcnt(1)
	v_mul_f64 v[149:150], v[8:9], v[174:175]
	v_mul_f64 v[145:146], v[6:7], v[174:175]
	s_waitcnt vmcnt(26)
	v_fma_f64 v[147:148], v[2:3], v[182:183], -v[147:148]
	v_fma_f64 v[30:31], v[4:5], v[182:183], v[30:31]
	ds_read_b128 v[2:5], v1 offset:1536
	v_add_f64 v[18:19], v[18:19], v[67:68]
	v_add_f64 v[14:15], v[14:15], v[63:64]
	s_waitcnt vmcnt(24) lgkmcnt(1)
	v_mul_f64 v[63:64], v[10:11], v[20:21]
	v_mul_f64 v[20:21], v[12:13], v[20:21]
	s_waitcnt vmcnt(22)
	v_fma_f64 v[67:68], v[6:7], v[186:187], -v[149:150]
	v_fma_f64 v[145:146], v[8:9], v[186:187], v[145:146]
	ds_read_b128 v[6:9], v1 offset:1552
	v_add_f64 v[18:19], v[18:19], v[147:148]
	v_add_f64 v[14:15], v[14:15], v[30:31]
	s_waitcnt vmcnt(20) lgkmcnt(1)
	v_mul_f64 v[30:31], v[2:3], v[16:17]
	v_mul_f64 v[16:17], v[4:5], v[16:17]
	s_waitcnt vmcnt(18)
	v_fma_f64 v[20:21], v[10:11], v[180:181], -v[20:21]
	v_fma_f64 v[63:64], v[12:13], v[180:181], v[63:64]
	ds_read_b128 v[10:13], v1 offset:1568
	v_add_f64 v[18:19], v[18:19], v[67:68]
	v_add_f64 v[14:15], v[14:15], v[145:146]
	s_waitcnt vmcnt(16) lgkmcnt(1)
	v_mul_f64 v[67:68], v[6:7], v[24:25]
	v_mul_f64 v[24:25], v[8:9], v[24:25]
	s_waitcnt vmcnt(14)
	v_fma_f64 v[16:17], v[2:3], v[172:173], -v[16:17]
	v_add_f64 v[18:19], v[18:19], v[20:21]
	v_fma_f64 v[20:21], v[4:5], v[172:173], v[30:31]
	v_add_f64 v[14:15], v[14:15], v[63:64]
	ds_read_b128 v[1:4], v1 offset:1584
	s_waitcnt vmcnt(12) lgkmcnt(1)
	v_mul_f64 v[30:31], v[10:11], v[28:29]
	v_mul_f64 v[28:29], v[12:13], v[28:29]
	s_waitcnt vmcnt(10)
	v_fma_f64 v[5:6], v[6:7], v[57:58], -v[24:25]
	v_fma_f64 v[7:8], v[8:9], v[57:58], v[67:68]
	v_add_f64 v[16:17], v[18:19], v[16:17]
	v_add_f64 v[14:15], v[14:15], v[20:21]
	s_waitcnt vmcnt(8) lgkmcnt(0)
	v_mul_f64 v[20:21], v[3:4], v[22:23]
	v_mul_f64 v[18:19], v[1:2], v[22:23]
	s_waitcnt vmcnt(6)
	v_fma_f64 v[9:10], v[10:11], v[61:62], -v[28:29]
	v_fma_f64 v[11:12], v[12:13], v[61:62], v[30:31]
	v_add_f64 v[5:6], v[16:17], v[5:6]
	v_add_f64 v[7:8], v[14:15], v[7:8]
	s_waitcnt vmcnt(4)
	v_fma_f64 v[1:2], v[1:2], v[26:27], -v[20:21]
	v_fma_f64 v[3:4], v[3:4], v[26:27], v[18:19]
	v_add_f64 v[5:6], v[5:6], v[9:10]
	v_add_f64 v[7:8], v[7:8], v[11:12]
	;; [unrolled: 1-line block ×4, first 2 shown]
	s_waitcnt vmcnt(2)
	v_add_f64 v[1:2], v[59:60], -v[1:2]
	s_waitcnt vmcnt(0)
	v_add_f64 v[3:4], v[65:66], -v[3:4]
	buffer_store_dword v2, off, s[0:3], 0 offset:452
	buffer_store_dword v1, off, s[0:3], 0 offset:448
	;; [unrolled: 1-line block ×4, first 2 shown]
	v_cmpx_lt_u32_e32 26, v0
	s_cbranch_execz .LBB49_261
; %bb.260:
	v_mov_b32_e32 v4, s41
	v_mov_b32_e32 v5, 0
	s_clause 0x3
	buffer_load_dword v1, v4, s[0:3], 0 offen
	buffer_load_dword v2, v4, s[0:3], 0 offen offset:4
	buffer_load_dword v3, v4, s[0:3], 0 offen offset:8
	;; [unrolled: 1-line block ×3, first 2 shown]
	buffer_store_dword v5, off, s[0:3], 0 offset:432
	buffer_store_dword v5, off, s[0:3], 0 offset:436
	;; [unrolled: 1-line block ×4, first 2 shown]
	s_waitcnt vmcnt(0)
	ds_write_b128 v163, v[1:4]
.LBB49_261:
	s_or_b32 exec_lo, exec_lo, s4
	s_waitcnt lgkmcnt(0)
	s_waitcnt_vscnt null, 0x0
	s_barrier
	buffer_gl0_inv
	s_clause 0x35
	buffer_load_dword v10, off, s[0:3], 0 offset:456
	buffer_load_dword v11, off, s[0:3], 0 offset:460
	;; [unrolled: 1-line block ×54, first 2 shown]
	v_mov_b32_e32 v1, 0
	s_mov_b32 s4, exec_lo
	ds_read_b128 v[2:5], v1 offset:1232
	s_clause 0x3
	buffer_load_dword v168, off, s[0:3], 0 offset:680
	buffer_load_dword v169, off, s[0:3], 0 offset:684
	;; [unrolled: 1-line block ×4, first 2 shown]
	ds_read_b128 v[6:9], v1 offset:1248
	s_clause 0x3
	buffer_load_dword v177, off, s[0:3], 0 offset:700
	buffer_load_dword v176, off, s[0:3], 0 offset:696
	;; [unrolled: 1-line block ×4, first 2 shown]
	s_waitcnt vmcnt(60) lgkmcnt(1)
	v_mul_f64 v[172:173], v[4:5], v[10:11]
	v_mul_f64 v[174:175], v[2:3], v[10:11]
	s_waitcnt vmcnt(58) lgkmcnt(0)
	v_mul_f64 v[180:181], v[8:9], v[14:15]
	ds_read_b128 v[10:13], v1 offset:1264
	v_mul_f64 v[14:15], v[6:7], v[14:15]
	s_waitcnt vmcnt(56)
	v_fma_f64 v[172:173], v[2:3], v[16:17], -v[172:173]
	v_fma_f64 v[16:17], v[4:5], v[16:17], v[174:175]
	s_clause 0x3
	buffer_load_dword v174, off, s[0:3], 0 offset:712
	buffer_load_dword v175, off, s[0:3], 0 offset:716
	;; [unrolled: 1-line block ×4, first 2 shown]
	s_waitcnt vmcnt(58) lgkmcnt(0)
	v_mul_f64 v[184:185], v[10:11], v[18:19]
	v_mul_f64 v[18:19], v[12:13], v[18:19]
	s_waitcnt vmcnt(56)
	v_fma_f64 v[180:181], v[6:7], v[20:21], -v[180:181]
	ds_read_b128 v[2:5], v1 offset:1280
	v_fma_f64 v[14:15], v[8:9], v[20:21], v[14:15]
	s_clause 0x3
	buffer_load_dword v21, off, s[0:3], 0 offset:732
	buffer_load_dword v20, off, s[0:3], 0 offset:728
	;; [unrolled: 1-line block ×4, first 2 shown]
	ds_read_b128 v[6:9], v1 offset:1296
	v_add_f64 v[172:173], v[172:173], 0
	v_add_f64 v[16:17], v[16:17], 0
	s_waitcnt vmcnt(58) lgkmcnt(1)
	v_mul_f64 v[188:189], v[2:3], v[22:23]
	v_mul_f64 v[22:23], v[4:5], v[22:23]
	s_waitcnt vmcnt(56)
	v_fma_f64 v[18:19], v[10:11], v[24:25], -v[18:19]
	v_fma_f64 v[24:25], v[12:13], v[24:25], v[184:185]
	s_waitcnt vmcnt(54) lgkmcnt(0)
	v_mul_f64 v[184:185], v[6:7], v[26:27]
	v_mul_f64 v[26:27], v[8:9], v[26:27]
	v_add_f64 v[172:173], v[172:173], v[180:181]
	v_add_f64 v[14:15], v[16:17], v[14:15]
	s_clause 0x3
	buffer_load_dword v16, off, s[0:3], 0 offset:744
	buffer_load_dword v17, off, s[0:3], 0 offset:748
	;; [unrolled: 1-line block ×4, first 2 shown]
	ds_read_b128 v[10:13], v1 offset:1312
	s_waitcnt vmcnt(56)
	v_fma_f64 v[22:23], v[2:3], v[28:29], -v[22:23]
	v_fma_f64 v[28:29], v[4:5], v[28:29], v[188:189]
	s_waitcnt vmcnt(52)
	v_fma_f64 v[26:27], v[6:7], v[57:58], -v[26:27]
	v_add_f64 v[18:19], v[172:173], v[18:19]
	v_add_f64 v[14:15], v[14:15], v[24:25]
	s_clause 0x3
	buffer_load_dword v25, off, s[0:3], 0 offset:764
	buffer_load_dword v24, off, s[0:3], 0 offset:760
	;; [unrolled: 1-line block ×4, first 2 shown]
	s_waitcnt lgkmcnt(0)
	v_mul_f64 v[188:189], v[10:11], v[30:31]
	v_mul_f64 v[30:31], v[12:13], v[30:31]
	ds_read_b128 v[2:5], v1 offset:1328
	v_add_f64 v[18:19], v[18:19], v[22:23]
	v_fma_f64 v[22:23], v[8:9], v[57:58], v[184:185]
	v_add_f64 v[14:15], v[14:15], v[28:29]
	s_clause 0x3
	buffer_load_dword v28, off, s[0:3], 0 offset:776
	buffer_load_dword v29, off, s[0:3], 0 offset:780
	;; [unrolled: 1-line block ×4, first 2 shown]
	s_waitcnt vmcnt(58) lgkmcnt(0)
	v_mul_f64 v[184:185], v[2:3], v[59:60]
	v_mul_f64 v[59:60], v[4:5], v[59:60]
	s_waitcnt vmcnt(56)
	v_fma_f64 v[30:31], v[10:11], v[61:62], -v[30:31]
	ds_read_b128 v[6:9], v1 offset:1344
	v_add_f64 v[18:19], v[18:19], v[26:27]
	v_fma_f64 v[26:27], v[12:13], v[61:62], v[188:189]
	v_add_f64 v[14:15], v[14:15], v[22:23]
	s_clause 0x3
	buffer_load_dword v23, off, s[0:3], 0 offset:796
	buffer_load_dword v22, off, s[0:3], 0 offset:792
	;; [unrolled: 1-line block ×4, first 2 shown]
	ds_read_b128 v[10:13], v1 offset:1360
	s_waitcnt vmcnt(58) lgkmcnt(1)
	v_mul_f64 v[188:189], v[6:7], v[63:64]
	v_mul_f64 v[63:64], v[8:9], v[63:64]
	s_waitcnt vmcnt(56)
	v_fma_f64 v[59:60], v[2:3], v[65:66], -v[59:60]
	v_add_f64 v[18:19], v[18:19], v[30:31]
	v_fma_f64 v[30:31], v[4:5], v[65:66], v[184:185]
	v_add_f64 v[14:15], v[14:15], v[26:27]
	s_clause 0x3
	buffer_load_dword v26, off, s[0:3], 0 offset:808
	buffer_load_dword v27, off, s[0:3], 0 offset:812
	;; [unrolled: 1-line block ×4, first 2 shown]
	s_waitcnt vmcnt(58) lgkmcnt(0)
	v_mul_f64 v[184:185], v[10:11], v[67:68]
	v_mul_f64 v[67:68], v[12:13], v[67:68]
	s_waitcnt vmcnt(56)
	v_fma_f64 v[63:64], v[6:7], v[145:146], -v[63:64]
	ds_read_b128 v[2:5], v1 offset:1376
	v_add_f64 v[18:19], v[18:19], v[59:60]
	v_fma_f64 v[59:60], v[8:9], v[145:146], v[188:189]
	v_add_f64 v[14:15], v[14:15], v[30:31]
	s_clause 0x1
	buffer_load_dword v30, off, s[0:3], 0 offset:800
	buffer_load_dword v31, off, s[0:3], 0 offset:804
	ds_read_b128 v[6:9], v1 offset:1392
	s_waitcnt vmcnt(56) lgkmcnt(1)
	v_mul_f64 v[145:146], v[2:3], v[147:148]
	v_mul_f64 v[147:148], v[4:5], v[147:148]
	s_waitcnt vmcnt(54)
	v_fma_f64 v[67:68], v[10:11], v[149:150], -v[67:68]
	v_add_f64 v[18:19], v[18:19], v[63:64]
	v_fma_f64 v[63:64], v[12:13], v[149:150], v[184:185]
	v_add_f64 v[14:15], v[14:15], v[59:60]
	ds_read_b128 v[10:13], v1 offset:1408
	s_waitcnt vmcnt(52) lgkmcnt(1)
	v_mul_f64 v[149:150], v[8:9], v[151:152]
	v_mul_f64 v[59:60], v[6:7], v[151:152]
	s_waitcnt vmcnt(50)
	v_fma_f64 v[147:148], v[2:3], v[153:154], -v[147:148]
	v_add_f64 v[18:19], v[18:19], v[67:68]
	v_fma_f64 v[67:68], v[4:5], v[153:154], v[145:146]
	v_add_f64 v[14:15], v[14:15], v[63:64]
	s_clause 0x3
	buffer_load_dword v63, off, s[0:3], 0 offset:432
	buffer_load_dword v64, off, s[0:3], 0 offset:436
	;; [unrolled: 1-line block ×4, first 2 shown]
	s_waitcnt vmcnt(52) lgkmcnt(0)
	v_mul_f64 v[153:154], v[12:13], v[155:156]
	s_waitcnt vmcnt(50)
	v_fma_f64 v[149:150], v[6:7], v[157:158], -v[149:150]
	ds_read_b128 v[2:5], v1 offset:1424
	v_mul_f64 v[151:152], v[10:11], v[155:156]
	v_fma_f64 v[59:60], v[8:9], v[157:158], v[59:60]
	ds_read_b128 v[6:9], v1 offset:1440
	v_add_f64 v[18:19], v[18:19], v[147:148]
	v_add_f64 v[14:15], v[14:15], v[67:68]
	s_waitcnt vmcnt(48) lgkmcnt(1)
	v_mul_f64 v[147:148], v[4:5], v[159:160]
	s_waitcnt vmcnt(46)
	v_fma_f64 v[153:154], v[10:11], v[161:162], -v[153:154]
	v_mul_f64 v[67:68], v[2:3], v[159:160]
	v_add_f64 v[18:19], v[18:19], v[149:150]
	v_fma_f64 v[149:150], v[12:13], v[161:162], v[151:152]
	v_add_f64 v[14:15], v[14:15], v[59:60]
	s_waitcnt vmcnt(44) lgkmcnt(0)
	v_mul_f64 v[151:152], v[8:9], v[164:165]
	s_waitcnt vmcnt(42)
	v_fma_f64 v[147:148], v[2:3], v[166:167], -v[147:148]
	ds_read_b128 v[10:13], v1 offset:1456
	v_mul_f64 v[59:60], v[6:7], v[164:165]
	v_fma_f64 v[67:68], v[4:5], v[166:167], v[67:68]
	ds_read_b128 v[2:5], v1 offset:1472
	v_add_f64 v[18:19], v[18:19], v[153:154]
	v_add_f64 v[14:15], v[14:15], v[149:150]
	s_waitcnt vmcnt(40) lgkmcnt(1)
	v_mul_f64 v[153:154], v[12:13], v[168:169]
	s_waitcnt vmcnt(38)
	v_fma_f64 v[151:152], v[6:7], v[170:171], -v[151:152]
	v_mul_f64 v[149:150], v[10:11], v[168:169]
	v_fma_f64 v[59:60], v[8:9], v[170:171], v[59:60]
	ds_read_b128 v[6:9], v1 offset:1488
	v_add_f64 v[18:19], v[18:19], v[147:148]
	s_waitcnt vmcnt(36) lgkmcnt(1)
	v_mul_f64 v[147:148], v[4:5], v[176:177]
	v_add_f64 v[14:15], v[14:15], v[67:68]
	s_waitcnt vmcnt(34)
	v_fma_f64 v[153:154], v[10:11], v[178:179], -v[153:154]
	v_mul_f64 v[67:68], v[2:3], v[176:177]
	v_fma_f64 v[149:150], v[12:13], v[178:179], v[149:150]
	ds_read_b128 v[10:13], v1 offset:1504
	v_add_f64 v[18:19], v[18:19], v[151:152]
	v_add_f64 v[14:15], v[14:15], v[59:60]
	s_waitcnt vmcnt(32) lgkmcnt(1)
	v_mul_f64 v[151:152], v[8:9], v[174:175]
	v_mul_f64 v[59:60], v[6:7], v[174:175]
	s_waitcnt vmcnt(30)
	v_fma_f64 v[147:148], v[2:3], v[182:183], -v[147:148]
	v_fma_f64 v[67:68], v[4:5], v[182:183], v[67:68]
	ds_read_b128 v[2:5], v1 offset:1520
	v_add_f64 v[18:19], v[18:19], v[153:154]
	v_add_f64 v[14:15], v[14:15], v[149:150]
	s_waitcnt vmcnt(28) lgkmcnt(1)
	v_mul_f64 v[149:150], v[10:11], v[20:21]
	v_mul_f64 v[20:21], v[12:13], v[20:21]
	s_waitcnt vmcnt(26)
	v_fma_f64 v[151:152], v[6:7], v[186:187], -v[151:152]
	;; [unrolled: 9-line block ×4, first 2 shown]
	v_add_f64 v[18:19], v[18:19], v[20:21]
	v_fma_f64 v[20:21], v[4:5], v[172:173], v[67:68]
	v_add_f64 v[14:15], v[14:15], v[147:148]
	ds_read_b128 v[2:5], v1 offset:1568
	s_waitcnt vmcnt(16) lgkmcnt(1)
	v_mul_f64 v[67:68], v[10:11], v[28:29]
	v_mul_f64 v[28:29], v[12:13], v[28:29]
	s_waitcnt vmcnt(14)
	v_fma_f64 v[24:25], v[6:7], v[57:58], -v[24:25]
	v_add_f64 v[16:17], v[18:19], v[16:17]
	v_fma_f64 v[18:19], v[8:9], v[57:58], v[59:60]
	v_add_f64 v[14:15], v[14:15], v[20:21]
	ds_read_b128 v[6:9], v1 offset:1584
	s_waitcnt vmcnt(12) lgkmcnt(1)
	v_mul_f64 v[20:21], v[2:3], v[22:23]
	v_mul_f64 v[22:23], v[4:5], v[22:23]
	s_waitcnt vmcnt(10)
	v_fma_f64 v[10:11], v[10:11], v[61:62], -v[28:29]
	v_fma_f64 v[12:13], v[12:13], v[61:62], v[67:68]
	v_add_f64 v[16:17], v[16:17], v[24:25]
	v_add_f64 v[14:15], v[14:15], v[18:19]
	s_waitcnt vmcnt(8) lgkmcnt(0)
	v_mul_f64 v[24:25], v[8:9], v[26:27]
	v_mul_f64 v[18:19], v[6:7], v[26:27]
	s_waitcnt vmcnt(6)
	v_fma_f64 v[2:3], v[2:3], v[65:66], -v[22:23]
	v_fma_f64 v[4:5], v[4:5], v[65:66], v[20:21]
	v_add_f64 v[10:11], v[16:17], v[10:11]
	v_add_f64 v[12:13], v[14:15], v[12:13]
	s_waitcnt vmcnt(4)
	v_fma_f64 v[6:7], v[6:7], v[30:31], -v[24:25]
	v_fma_f64 v[8:9], v[8:9], v[30:31], v[18:19]
	v_add_f64 v[2:3], v[10:11], v[2:3]
	v_add_f64 v[4:5], v[12:13], v[4:5]
	;; [unrolled: 1-line block ×4, first 2 shown]
	s_waitcnt vmcnt(2)
	v_add_f64 v[2:3], v[63:64], -v[2:3]
	s_waitcnt vmcnt(0)
	v_add_f64 v[4:5], v[145:146], -v[4:5]
	buffer_store_dword v3, off, s[0:3], 0 offset:436
	buffer_store_dword v2, off, s[0:3], 0 offset:432
	buffer_store_dword v5, off, s[0:3], 0 offset:444
	buffer_store_dword v4, off, s[0:3], 0 offset:440
	v_cmpx_lt_u32_e32 25, v0
	s_cbranch_execz .LBB49_263
; %bb.262:
	v_mov_b32_e32 v5, s40
	s_clause 0x3
	buffer_load_dword v2, v5, s[0:3], 0 offen
	buffer_load_dword v3, v5, s[0:3], 0 offen offset:4
	buffer_load_dword v4, v5, s[0:3], 0 offen offset:8
	buffer_load_dword v5, v5, s[0:3], 0 offen offset:12
	buffer_store_dword v1, off, s[0:3], 0 offset:416
	buffer_store_dword v1, off, s[0:3], 0 offset:420
	;; [unrolled: 1-line block ×4, first 2 shown]
	s_waitcnt vmcnt(0)
	ds_write_b128 v163, v[2:5]
.LBB49_263:
	s_or_b32 exec_lo, exec_lo, s4
	s_waitcnt lgkmcnt(0)
	s_waitcnt_vscnt null, 0x0
	s_barrier
	buffer_gl0_inv
	s_clause 0x35
	buffer_load_dword v10, off, s[0:3], 0 offset:440
	buffer_load_dword v11, off, s[0:3], 0 offset:444
	;; [unrolled: 1-line block ×54, first 2 shown]
	ds_read_b128 v[2:5], v1 offset:1216
	s_clause 0x3
	buffer_load_dword v168, off, s[0:3], 0 offset:664
	buffer_load_dword v169, off, s[0:3], 0 offset:668
	;; [unrolled: 1-line block ×4, first 2 shown]
	ds_read_b128 v[6:9], v1 offset:1232
	s_clause 0x3
	buffer_load_dword v177, off, s[0:3], 0 offset:684
	buffer_load_dword v176, off, s[0:3], 0 offset:680
	;; [unrolled: 1-line block ×4, first 2 shown]
	s_mov_b32 s4, exec_lo
	s_waitcnt vmcnt(60) lgkmcnt(1)
	v_mul_f64 v[172:173], v[4:5], v[10:11]
	v_mul_f64 v[174:175], v[2:3], v[10:11]
	s_waitcnt vmcnt(58) lgkmcnt(0)
	v_mul_f64 v[180:181], v[8:9], v[14:15]
	ds_read_b128 v[10:13], v1 offset:1248
	v_mul_f64 v[14:15], v[6:7], v[14:15]
	s_waitcnt vmcnt(56)
	v_fma_f64 v[172:173], v[2:3], v[16:17], -v[172:173]
	v_fma_f64 v[16:17], v[4:5], v[16:17], v[174:175]
	s_clause 0x3
	buffer_load_dword v174, off, s[0:3], 0 offset:696
	buffer_load_dword v175, off, s[0:3], 0 offset:700
	;; [unrolled: 1-line block ×4, first 2 shown]
	s_waitcnt vmcnt(58) lgkmcnt(0)
	v_mul_f64 v[184:185], v[10:11], v[18:19]
	v_mul_f64 v[18:19], v[12:13], v[18:19]
	s_waitcnt vmcnt(56)
	v_fma_f64 v[180:181], v[6:7], v[20:21], -v[180:181]
	ds_read_b128 v[2:5], v1 offset:1264
	v_fma_f64 v[14:15], v[8:9], v[20:21], v[14:15]
	s_clause 0x3
	buffer_load_dword v21, off, s[0:3], 0 offset:716
	buffer_load_dword v20, off, s[0:3], 0 offset:712
	buffer_load_dword v186, off, s[0:3], 0 offset:688
	buffer_load_dword v187, off, s[0:3], 0 offset:692
	ds_read_b128 v[6:9], v1 offset:1280
	v_add_f64 v[172:173], v[172:173], 0
	v_add_f64 v[16:17], v[16:17], 0
	s_waitcnt vmcnt(58) lgkmcnt(1)
	v_mul_f64 v[188:189], v[2:3], v[22:23]
	v_mul_f64 v[22:23], v[4:5], v[22:23]
	s_waitcnt vmcnt(56)
	v_fma_f64 v[18:19], v[10:11], v[24:25], -v[18:19]
	v_fma_f64 v[24:25], v[12:13], v[24:25], v[184:185]
	s_waitcnt vmcnt(54) lgkmcnt(0)
	v_mul_f64 v[184:185], v[6:7], v[26:27]
	v_mul_f64 v[26:27], v[8:9], v[26:27]
	v_add_f64 v[172:173], v[172:173], v[180:181]
	v_add_f64 v[14:15], v[16:17], v[14:15]
	s_clause 0x3
	buffer_load_dword v16, off, s[0:3], 0 offset:728
	buffer_load_dword v17, off, s[0:3], 0 offset:732
	;; [unrolled: 1-line block ×4, first 2 shown]
	ds_read_b128 v[10:13], v1 offset:1296
	s_waitcnt vmcnt(56)
	v_fma_f64 v[22:23], v[2:3], v[28:29], -v[22:23]
	v_fma_f64 v[28:29], v[4:5], v[28:29], v[188:189]
	s_waitcnt vmcnt(52)
	v_fma_f64 v[26:27], v[6:7], v[57:58], -v[26:27]
	v_add_f64 v[18:19], v[172:173], v[18:19]
	v_add_f64 v[14:15], v[14:15], v[24:25]
	s_clause 0x3
	buffer_load_dword v25, off, s[0:3], 0 offset:748
	buffer_load_dword v24, off, s[0:3], 0 offset:744
	;; [unrolled: 1-line block ×4, first 2 shown]
	s_waitcnt lgkmcnt(0)
	v_mul_f64 v[188:189], v[10:11], v[30:31]
	v_mul_f64 v[30:31], v[12:13], v[30:31]
	ds_read_b128 v[2:5], v1 offset:1312
	v_add_f64 v[18:19], v[18:19], v[22:23]
	v_fma_f64 v[22:23], v[8:9], v[57:58], v[184:185]
	v_add_f64 v[14:15], v[14:15], v[28:29]
	s_clause 0x3
	buffer_load_dword v28, off, s[0:3], 0 offset:760
	buffer_load_dword v29, off, s[0:3], 0 offset:764
	;; [unrolled: 1-line block ×4, first 2 shown]
	s_waitcnt vmcnt(58) lgkmcnt(0)
	v_mul_f64 v[184:185], v[2:3], v[59:60]
	v_mul_f64 v[59:60], v[4:5], v[59:60]
	s_waitcnt vmcnt(56)
	v_fma_f64 v[30:31], v[10:11], v[61:62], -v[30:31]
	ds_read_b128 v[6:9], v1 offset:1328
	v_add_f64 v[18:19], v[18:19], v[26:27]
	v_fma_f64 v[26:27], v[12:13], v[61:62], v[188:189]
	v_add_f64 v[14:15], v[14:15], v[22:23]
	s_clause 0x3
	buffer_load_dword v23, off, s[0:3], 0 offset:780
	buffer_load_dword v22, off, s[0:3], 0 offset:776
	;; [unrolled: 1-line block ×4, first 2 shown]
	ds_read_b128 v[10:13], v1 offset:1344
	s_waitcnt vmcnt(58) lgkmcnt(1)
	v_mul_f64 v[188:189], v[6:7], v[63:64]
	v_mul_f64 v[63:64], v[8:9], v[63:64]
	s_waitcnt vmcnt(56)
	v_fma_f64 v[59:60], v[2:3], v[65:66], -v[59:60]
	v_add_f64 v[18:19], v[18:19], v[30:31]
	v_fma_f64 v[30:31], v[4:5], v[65:66], v[184:185]
	v_add_f64 v[14:15], v[14:15], v[26:27]
	s_clause 0x3
	buffer_load_dword v26, off, s[0:3], 0 offset:792
	buffer_load_dword v27, off, s[0:3], 0 offset:796
	;; [unrolled: 1-line block ×4, first 2 shown]
	s_waitcnt vmcnt(58) lgkmcnt(0)
	v_mul_f64 v[184:185], v[10:11], v[67:68]
	v_mul_f64 v[67:68], v[12:13], v[67:68]
	s_waitcnt vmcnt(56)
	v_fma_f64 v[63:64], v[6:7], v[145:146], -v[63:64]
	ds_read_b128 v[2:5], v1 offset:1360
	v_add_f64 v[18:19], v[18:19], v[59:60]
	v_fma_f64 v[59:60], v[8:9], v[145:146], v[188:189]
	v_add_f64 v[14:15], v[14:15], v[30:31]
	s_clause 0x3
	buffer_load_dword v31, off, s[0:3], 0 offset:812
	buffer_load_dword v30, off, s[0:3], 0 offset:808
	;; [unrolled: 1-line block ×4, first 2 shown]
	ds_read_b128 v[6:9], v1 offset:1376
	s_waitcnt vmcnt(58) lgkmcnt(1)
	v_mul_f64 v[188:189], v[2:3], v[147:148]
	v_mul_f64 v[147:148], v[4:5], v[147:148]
	s_waitcnt vmcnt(56)
	v_fma_f64 v[67:68], v[10:11], v[149:150], -v[67:68]
	v_add_f64 v[18:19], v[18:19], v[63:64]
	v_fma_f64 v[63:64], v[12:13], v[149:150], v[184:185]
	v_add_f64 v[14:15], v[14:15], v[59:60]
	s_clause 0x1
	buffer_load_dword v60, off, s[0:3], 0 offset:804
	buffer_load_dword v59, off, s[0:3], 0 offset:800
	s_waitcnt vmcnt(56) lgkmcnt(0)
	v_mul_f64 v[149:150], v[6:7], v[151:152]
	v_mul_f64 v[151:152], v[8:9], v[151:152]
	s_waitcnt vmcnt(54)
	v_fma_f64 v[147:148], v[2:3], v[153:154], -v[147:148]
	ds_read_b128 v[10:13], v1 offset:1392
	v_add_f64 v[18:19], v[18:19], v[67:68]
	v_fma_f64 v[67:68], v[4:5], v[153:154], v[188:189]
	v_add_f64 v[14:15], v[14:15], v[63:64]
	ds_read_b128 v[2:5], v1 offset:1408
	s_waitcnt vmcnt(52) lgkmcnt(1)
	v_mul_f64 v[153:154], v[12:13], v[155:156]
	s_waitcnt vmcnt(50)
	v_fma_f64 v[151:152], v[6:7], v[157:158], -v[151:152]
	v_mul_f64 v[63:64], v[10:11], v[155:156]
	v_add_f64 v[18:19], v[18:19], v[147:148]
	v_fma_f64 v[147:148], v[8:9], v[157:158], v[149:150]
	v_add_f64 v[14:15], v[14:15], v[67:68]
	s_clause 0x3
	buffer_load_dword v67, off, s[0:3], 0 offset:416
	buffer_load_dword v68, off, s[0:3], 0 offset:420
	;; [unrolled: 1-line block ×4, first 2 shown]
	s_waitcnt vmcnt(52) lgkmcnt(0)
	v_mul_f64 v[157:158], v[4:5], v[159:160]
	s_waitcnt vmcnt(50)
	v_fma_f64 v[153:154], v[10:11], v[161:162], -v[153:154]
	ds_read_b128 v[6:9], v1 offset:1424
	v_mul_f64 v[155:156], v[2:3], v[159:160]
	v_fma_f64 v[63:64], v[12:13], v[161:162], v[63:64]
	ds_read_b128 v[10:13], v1 offset:1440
	v_add_f64 v[18:19], v[18:19], v[151:152]
	v_add_f64 v[14:15], v[14:15], v[147:148]
	s_waitcnt vmcnt(48) lgkmcnt(1)
	v_mul_f64 v[151:152], v[8:9], v[164:165]
	s_waitcnt vmcnt(46)
	v_fma_f64 v[157:158], v[2:3], v[166:167], -v[157:158]
	v_mul_f64 v[147:148], v[6:7], v[164:165]
	v_add_f64 v[18:19], v[18:19], v[153:154]
	v_fma_f64 v[153:154], v[4:5], v[166:167], v[155:156]
	v_add_f64 v[14:15], v[14:15], v[63:64]
	s_waitcnt vmcnt(44) lgkmcnt(0)
	v_mul_f64 v[155:156], v[12:13], v[168:169]
	s_waitcnt vmcnt(42)
	v_fma_f64 v[151:152], v[6:7], v[170:171], -v[151:152]
	ds_read_b128 v[2:5], v1 offset:1456
	v_mul_f64 v[63:64], v[10:11], v[168:169]
	v_fma_f64 v[147:148], v[8:9], v[170:171], v[147:148]
	ds_read_b128 v[6:9], v1 offset:1472
	v_add_f64 v[18:19], v[18:19], v[157:158]
	v_add_f64 v[14:15], v[14:15], v[153:154]
	s_waitcnt vmcnt(40) lgkmcnt(1)
	v_mul_f64 v[157:158], v[4:5], v[176:177]
	s_waitcnt vmcnt(38)
	v_fma_f64 v[155:156], v[10:11], v[178:179], -v[155:156]
	v_mul_f64 v[153:154], v[2:3], v[176:177]
	v_fma_f64 v[63:64], v[12:13], v[178:179], v[63:64]
	ds_read_b128 v[10:13], v1 offset:1488
	v_add_f64 v[18:19], v[18:19], v[151:152]
	v_add_f64 v[14:15], v[14:15], v[147:148]
	s_waitcnt vmcnt(36) lgkmcnt(1)
	v_mul_f64 v[151:152], v[8:9], v[174:175]
	v_mul_f64 v[147:148], v[6:7], v[174:175]
	s_waitcnt vmcnt(34)
	v_fma_f64 v[157:158], v[2:3], v[182:183], -v[157:158]
	v_fma_f64 v[153:154], v[4:5], v[182:183], v[153:154]
	ds_read_b128 v[2:5], v1 offset:1504
	v_add_f64 v[18:19], v[18:19], v[155:156]
	v_add_f64 v[14:15], v[14:15], v[63:64]
	s_waitcnt vmcnt(32) lgkmcnt(1)
	v_mul_f64 v[63:64], v[10:11], v[20:21]
	v_mul_f64 v[20:21], v[12:13], v[20:21]
	s_waitcnt vmcnt(30)
	v_fma_f64 v[151:152], v[6:7], v[186:187], -v[151:152]
	;; [unrolled: 9-line block ×4, first 2 shown]
	v_add_f64 v[18:19], v[18:19], v[20:21]
	v_fma_f64 v[20:21], v[4:5], v[172:173], v[153:154]
	v_add_f64 v[14:15], v[14:15], v[63:64]
	ds_read_b128 v[2:5], v1 offset:1552
	s_waitcnt vmcnt(20) lgkmcnt(1)
	v_mul_f64 v[63:64], v[10:11], v[28:29]
	v_mul_f64 v[28:29], v[12:13], v[28:29]
	s_waitcnt vmcnt(18)
	v_fma_f64 v[24:25], v[6:7], v[57:58], -v[24:25]
	v_add_f64 v[16:17], v[18:19], v[16:17]
	v_fma_f64 v[18:19], v[8:9], v[57:58], v[147:148]
	v_add_f64 v[14:15], v[14:15], v[20:21]
	ds_read_b128 v[6:9], v1 offset:1568
	s_waitcnt vmcnt(16) lgkmcnt(1)
	v_mul_f64 v[20:21], v[2:3], v[22:23]
	v_mul_f64 v[22:23], v[4:5], v[22:23]
	s_waitcnt vmcnt(14)
	v_fma_f64 v[28:29], v[10:11], v[61:62], -v[28:29]
	;; [unrolled: 9-line block ×3, first 2 shown]
	v_fma_f64 v[3:4], v[4:5], v[65:66], v[20:21]
	v_add_f64 v[16:17], v[16:17], v[28:29]
	v_add_f64 v[14:15], v[14:15], v[24:25]
	s_waitcnt vmcnt(8) lgkmcnt(0)
	v_mul_f64 v[22:23], v[12:13], v[30:31]
	v_mul_f64 v[20:21], v[10:11], v[30:31]
	s_waitcnt vmcnt(6)
	v_fma_f64 v[5:6], v[6:7], v[145:146], -v[26:27]
	v_fma_f64 v[7:8], v[8:9], v[145:146], v[18:19]
	v_add_f64 v[1:2], v[16:17], v[1:2]
	v_add_f64 v[3:4], v[14:15], v[3:4]
	s_waitcnt vmcnt(4)
	v_fma_f64 v[9:10], v[10:11], v[59:60], -v[22:23]
	v_add_f64 v[1:2], v[1:2], v[5:6]
	v_fma_f64 v[5:6], v[12:13], v[59:60], v[20:21]
	v_add_f64 v[3:4], v[3:4], v[7:8]
	v_add_f64 v[1:2], v[1:2], v[9:10]
	;; [unrolled: 1-line block ×3, first 2 shown]
	s_waitcnt vmcnt(2)
	v_add_f64 v[1:2], v[67:68], -v[1:2]
	s_waitcnt vmcnt(0)
	v_add_f64 v[3:4], v[149:150], -v[3:4]
	buffer_store_dword v2, off, s[0:3], 0 offset:420
	buffer_store_dword v1, off, s[0:3], 0 offset:416
	buffer_store_dword v4, off, s[0:3], 0 offset:428
	buffer_store_dword v3, off, s[0:3], 0 offset:424
	v_cmpx_lt_u32_e32 24, v0
	s_cbranch_execz .LBB49_265
; %bb.264:
	v_mov_b32_e32 v4, s39
	v_mov_b32_e32 v5, 0
	s_clause 0x3
	buffer_load_dword v1, v4, s[0:3], 0 offen
	buffer_load_dword v2, v4, s[0:3], 0 offen offset:4
	buffer_load_dword v3, v4, s[0:3], 0 offen offset:8
	;; [unrolled: 1-line block ×3, first 2 shown]
	buffer_store_dword v5, off, s[0:3], 0 offset:400
	buffer_store_dword v5, off, s[0:3], 0 offset:404
	;; [unrolled: 1-line block ×4, first 2 shown]
	s_waitcnt vmcnt(0)
	ds_write_b128 v163, v[1:4]
.LBB49_265:
	s_or_b32 exec_lo, exec_lo, s4
	s_waitcnt lgkmcnt(0)
	s_waitcnt_vscnt null, 0x0
	s_barrier
	buffer_gl0_inv
	s_clause 0x35
	buffer_load_dword v10, off, s[0:3], 0 offset:424
	buffer_load_dword v11, off, s[0:3], 0 offset:428
	;; [unrolled: 1-line block ×54, first 2 shown]
	v_mov_b32_e32 v1, 0
	s_mov_b32 s4, exec_lo
	ds_read_b128 v[2:5], v1 offset:1200
	s_clause 0x3
	buffer_load_dword v168, off, s[0:3], 0 offset:648
	buffer_load_dword v169, off, s[0:3], 0 offset:652
	;; [unrolled: 1-line block ×4, first 2 shown]
	ds_read_b128 v[6:9], v1 offset:1216
	s_clause 0x3
	buffer_load_dword v177, off, s[0:3], 0 offset:668
	buffer_load_dword v176, off, s[0:3], 0 offset:664
	buffer_load_dword v178, off, s[0:3], 0 offset:640
	buffer_load_dword v179, off, s[0:3], 0 offset:644
	s_waitcnt vmcnt(60) lgkmcnt(1)
	v_mul_f64 v[172:173], v[4:5], v[10:11]
	v_mul_f64 v[174:175], v[2:3], v[10:11]
	s_waitcnt vmcnt(58) lgkmcnt(0)
	v_mul_f64 v[180:181], v[8:9], v[14:15]
	ds_read_b128 v[10:13], v1 offset:1232
	v_mul_f64 v[14:15], v[6:7], v[14:15]
	s_waitcnt vmcnt(56)
	v_fma_f64 v[172:173], v[2:3], v[16:17], -v[172:173]
	v_fma_f64 v[16:17], v[4:5], v[16:17], v[174:175]
	s_clause 0x3
	buffer_load_dword v174, off, s[0:3], 0 offset:680
	buffer_load_dword v175, off, s[0:3], 0 offset:684
	;; [unrolled: 1-line block ×4, first 2 shown]
	s_waitcnt vmcnt(58) lgkmcnt(0)
	v_mul_f64 v[184:185], v[10:11], v[18:19]
	v_mul_f64 v[18:19], v[12:13], v[18:19]
	s_waitcnt vmcnt(56)
	v_fma_f64 v[180:181], v[6:7], v[20:21], -v[180:181]
	ds_read_b128 v[2:5], v1 offset:1248
	v_fma_f64 v[14:15], v[8:9], v[20:21], v[14:15]
	s_clause 0x3
	buffer_load_dword v21, off, s[0:3], 0 offset:700
	buffer_load_dword v20, off, s[0:3], 0 offset:696
	;; [unrolled: 1-line block ×4, first 2 shown]
	ds_read_b128 v[6:9], v1 offset:1264
	v_add_f64 v[172:173], v[172:173], 0
	v_add_f64 v[16:17], v[16:17], 0
	s_waitcnt vmcnt(58) lgkmcnt(1)
	v_mul_f64 v[188:189], v[2:3], v[22:23]
	v_mul_f64 v[22:23], v[4:5], v[22:23]
	s_waitcnt vmcnt(56)
	v_fma_f64 v[18:19], v[10:11], v[24:25], -v[18:19]
	v_fma_f64 v[24:25], v[12:13], v[24:25], v[184:185]
	s_waitcnt vmcnt(54) lgkmcnt(0)
	v_mul_f64 v[184:185], v[6:7], v[26:27]
	v_mul_f64 v[26:27], v[8:9], v[26:27]
	v_add_f64 v[172:173], v[172:173], v[180:181]
	v_add_f64 v[14:15], v[16:17], v[14:15]
	s_clause 0x3
	buffer_load_dword v16, off, s[0:3], 0 offset:712
	buffer_load_dword v17, off, s[0:3], 0 offset:716
	;; [unrolled: 1-line block ×4, first 2 shown]
	ds_read_b128 v[10:13], v1 offset:1280
	s_waitcnt vmcnt(56)
	v_fma_f64 v[22:23], v[2:3], v[28:29], -v[22:23]
	v_fma_f64 v[28:29], v[4:5], v[28:29], v[188:189]
	s_waitcnt vmcnt(52)
	v_fma_f64 v[26:27], v[6:7], v[57:58], -v[26:27]
	v_add_f64 v[18:19], v[172:173], v[18:19]
	v_add_f64 v[14:15], v[14:15], v[24:25]
	s_clause 0x3
	buffer_load_dword v25, off, s[0:3], 0 offset:732
	buffer_load_dword v24, off, s[0:3], 0 offset:728
	;; [unrolled: 1-line block ×4, first 2 shown]
	s_waitcnt lgkmcnt(0)
	v_mul_f64 v[188:189], v[10:11], v[30:31]
	v_mul_f64 v[30:31], v[12:13], v[30:31]
	ds_read_b128 v[2:5], v1 offset:1296
	v_add_f64 v[18:19], v[18:19], v[22:23]
	v_fma_f64 v[22:23], v[8:9], v[57:58], v[184:185]
	v_add_f64 v[14:15], v[14:15], v[28:29]
	s_clause 0x3
	buffer_load_dword v28, off, s[0:3], 0 offset:744
	buffer_load_dword v29, off, s[0:3], 0 offset:748
	;; [unrolled: 1-line block ×4, first 2 shown]
	s_waitcnt vmcnt(58) lgkmcnt(0)
	v_mul_f64 v[184:185], v[2:3], v[59:60]
	v_mul_f64 v[59:60], v[4:5], v[59:60]
	s_waitcnt vmcnt(56)
	v_fma_f64 v[30:31], v[10:11], v[61:62], -v[30:31]
	ds_read_b128 v[6:9], v1 offset:1312
	v_add_f64 v[18:19], v[18:19], v[26:27]
	v_fma_f64 v[26:27], v[12:13], v[61:62], v[188:189]
	v_add_f64 v[14:15], v[14:15], v[22:23]
	s_clause 0x3
	buffer_load_dword v23, off, s[0:3], 0 offset:764
	buffer_load_dword v22, off, s[0:3], 0 offset:760
	;; [unrolled: 1-line block ×4, first 2 shown]
	ds_read_b128 v[10:13], v1 offset:1328
	s_waitcnt vmcnt(58) lgkmcnt(1)
	v_mul_f64 v[188:189], v[6:7], v[63:64]
	v_mul_f64 v[63:64], v[8:9], v[63:64]
	s_waitcnt vmcnt(56)
	v_fma_f64 v[59:60], v[2:3], v[65:66], -v[59:60]
	v_add_f64 v[18:19], v[18:19], v[30:31]
	v_fma_f64 v[30:31], v[4:5], v[65:66], v[184:185]
	v_add_f64 v[14:15], v[14:15], v[26:27]
	s_clause 0x3
	buffer_load_dword v26, off, s[0:3], 0 offset:776
	buffer_load_dword v27, off, s[0:3], 0 offset:780
	;; [unrolled: 1-line block ×4, first 2 shown]
	s_waitcnt vmcnt(58) lgkmcnt(0)
	v_mul_f64 v[184:185], v[10:11], v[67:68]
	v_mul_f64 v[67:68], v[12:13], v[67:68]
	s_waitcnt vmcnt(56)
	v_fma_f64 v[63:64], v[6:7], v[145:146], -v[63:64]
	ds_read_b128 v[2:5], v1 offset:1344
	v_add_f64 v[18:19], v[18:19], v[59:60]
	v_fma_f64 v[59:60], v[8:9], v[145:146], v[188:189]
	v_add_f64 v[14:15], v[14:15], v[30:31]
	s_clause 0x3
	buffer_load_dword v31, off, s[0:3], 0 offset:796
	buffer_load_dword v30, off, s[0:3], 0 offset:792
	;; [unrolled: 1-line block ×4, first 2 shown]
	ds_read_b128 v[6:9], v1 offset:1360
	s_waitcnt vmcnt(58) lgkmcnt(1)
	v_mul_f64 v[188:189], v[2:3], v[147:148]
	v_mul_f64 v[147:148], v[4:5], v[147:148]
	s_waitcnt vmcnt(56)
	v_fma_f64 v[67:68], v[10:11], v[149:150], -v[67:68]
	v_add_f64 v[18:19], v[18:19], v[63:64]
	v_fma_f64 v[63:64], v[12:13], v[149:150], v[184:185]
	v_add_f64 v[14:15], v[14:15], v[59:60]
	s_clause 0x3
	buffer_load_dword v59, off, s[0:3], 0 offset:808
	buffer_load_dword v60, off, s[0:3], 0 offset:812
	buffer_load_dword v150, off, s[0:3], 0 offset:788
	buffer_load_dword v149, off, s[0:3], 0 offset:784
	s_waitcnt vmcnt(58) lgkmcnt(0)
	v_mul_f64 v[184:185], v[6:7], v[151:152]
	v_mul_f64 v[151:152], v[8:9], v[151:152]
	s_waitcnt vmcnt(56)
	v_fma_f64 v[147:148], v[2:3], v[153:154], -v[147:148]
	ds_read_b128 v[10:13], v1 offset:1376
	v_add_f64 v[18:19], v[18:19], v[67:68]
	v_fma_f64 v[67:68], v[4:5], v[153:154], v[188:189]
	v_add_f64 v[14:15], v[14:15], v[63:64]
	s_clause 0x1
	buffer_load_dword v63, off, s[0:3], 0 offset:800
	buffer_load_dword v64, off, s[0:3], 0 offset:804
	ds_read_b128 v[2:5], v1 offset:1392
	s_waitcnt vmcnt(56) lgkmcnt(1)
	v_mul_f64 v[153:154], v[10:11], v[155:156]
	v_mul_f64 v[155:156], v[12:13], v[155:156]
	s_waitcnt vmcnt(54)
	v_fma_f64 v[151:152], v[6:7], v[157:158], -v[151:152]
	v_add_f64 v[18:19], v[18:19], v[147:148]
	v_fma_f64 v[147:148], v[8:9], v[157:158], v[184:185]
	v_add_f64 v[14:15], v[14:15], v[67:68]
	ds_read_b128 v[6:9], v1 offset:1408
	s_waitcnt vmcnt(52) lgkmcnt(1)
	v_mul_f64 v[157:158], v[4:5], v[159:160]
	v_mul_f64 v[67:68], v[2:3], v[159:160]
	s_waitcnt vmcnt(50)
	v_fma_f64 v[155:156], v[10:11], v[161:162], -v[155:156]
	v_add_f64 v[18:19], v[18:19], v[151:152]
	v_fma_f64 v[151:152], v[12:13], v[161:162], v[153:154]
	v_add_f64 v[14:15], v[14:15], v[147:148]
	s_clause 0x3
	buffer_load_dword v147, off, s[0:3], 0 offset:400
	buffer_load_dword v148, off, s[0:3], 0 offset:404
	;; [unrolled: 1-line block ×4, first 2 shown]
	s_waitcnt vmcnt(52) lgkmcnt(0)
	v_mul_f64 v[161:162], v[8:9], v[164:165]
	s_waitcnt vmcnt(50)
	v_fma_f64 v[157:158], v[2:3], v[166:167], -v[157:158]
	ds_read_b128 v[10:13], v1 offset:1424
	v_mul_f64 v[159:160], v[6:7], v[164:165]
	v_fma_f64 v[67:68], v[4:5], v[166:167], v[67:68]
	ds_read_b128 v[2:5], v1 offset:1440
	v_add_f64 v[18:19], v[18:19], v[155:156]
	v_add_f64 v[14:15], v[14:15], v[151:152]
	s_waitcnt vmcnt(48) lgkmcnt(1)
	v_mul_f64 v[155:156], v[12:13], v[168:169]
	s_waitcnt vmcnt(46)
	v_fma_f64 v[161:162], v[6:7], v[170:171], -v[161:162]
	v_mul_f64 v[151:152], v[10:11], v[168:169]
	v_add_f64 v[18:19], v[18:19], v[157:158]
	v_fma_f64 v[157:158], v[8:9], v[170:171], v[159:160]
	v_add_f64 v[14:15], v[14:15], v[67:68]
	s_waitcnt vmcnt(44) lgkmcnt(0)
	v_mul_f64 v[159:160], v[4:5], v[176:177]
	s_waitcnt vmcnt(42)
	v_fma_f64 v[155:156], v[10:11], v[178:179], -v[155:156]
	ds_read_b128 v[6:9], v1 offset:1456
	v_mul_f64 v[67:68], v[2:3], v[176:177]
	v_fma_f64 v[151:152], v[12:13], v[178:179], v[151:152]
	ds_read_b128 v[10:13], v1 offset:1472
	v_add_f64 v[18:19], v[18:19], v[161:162]
	v_add_f64 v[14:15], v[14:15], v[157:158]
	s_waitcnt vmcnt(40) lgkmcnt(1)
	v_mul_f64 v[161:162], v[8:9], v[174:175]
	v_mul_f64 v[157:158], v[6:7], v[174:175]
	s_waitcnt vmcnt(38)
	v_fma_f64 v[159:160], v[2:3], v[182:183], -v[159:160]
	v_fma_f64 v[67:68], v[4:5], v[182:183], v[67:68]
	ds_read_b128 v[2:5], v1 offset:1488
	v_add_f64 v[18:19], v[18:19], v[155:156]
	v_add_f64 v[14:15], v[14:15], v[151:152]
	s_waitcnt vmcnt(36) lgkmcnt(1)
	v_mul_f64 v[151:152], v[10:11], v[20:21]
	v_mul_f64 v[20:21], v[12:13], v[20:21]
	s_waitcnt vmcnt(34)
	v_fma_f64 v[155:156], v[6:7], v[186:187], -v[161:162]
	;; [unrolled: 9-line block ×4, first 2 shown]
	v_add_f64 v[18:19], v[18:19], v[20:21]
	v_fma_f64 v[20:21], v[4:5], v[172:173], v[67:68]
	v_add_f64 v[14:15], v[14:15], v[151:152]
	ds_read_b128 v[2:5], v1 offset:1536
	s_waitcnt vmcnt(24) lgkmcnt(1)
	v_mul_f64 v[67:68], v[10:11], v[28:29]
	v_mul_f64 v[28:29], v[12:13], v[28:29]
	s_waitcnt vmcnt(22)
	v_fma_f64 v[24:25], v[6:7], v[57:58], -v[24:25]
	v_add_f64 v[16:17], v[18:19], v[16:17]
	v_fma_f64 v[18:19], v[8:9], v[57:58], v[155:156]
	v_add_f64 v[14:15], v[14:15], v[20:21]
	ds_read_b128 v[6:9], v1 offset:1552
	s_waitcnt vmcnt(20) lgkmcnt(1)
	v_mul_f64 v[20:21], v[2:3], v[22:23]
	v_mul_f64 v[22:23], v[4:5], v[22:23]
	s_waitcnt vmcnt(18)
	v_fma_f64 v[28:29], v[10:11], v[61:62], -v[28:29]
	v_add_f64 v[16:17], v[16:17], v[24:25]
	v_fma_f64 v[24:25], v[12:13], v[61:62], v[67:68]
	v_add_f64 v[14:15], v[14:15], v[18:19]
	ds_read_b128 v[10:13], v1 offset:1568
	s_waitcnt vmcnt(16) lgkmcnt(1)
	v_mul_f64 v[18:19], v[6:7], v[26:27]
	v_mul_f64 v[26:27], v[8:9], v[26:27]
	s_waitcnt vmcnt(14)
	v_fma_f64 v[22:23], v[2:3], v[65:66], -v[22:23]
	v_fma_f64 v[20:21], v[4:5], v[65:66], v[20:21]
	ds_read_b128 v[2:5], v1 offset:1584
	v_add_f64 v[16:17], v[16:17], v[28:29]
	v_add_f64 v[14:15], v[14:15], v[24:25]
	s_waitcnt vmcnt(12) lgkmcnt(1)
	v_mul_f64 v[28:29], v[12:13], v[30:31]
	v_mul_f64 v[24:25], v[10:11], v[30:31]
	s_waitcnt vmcnt(10)
	v_fma_f64 v[6:7], v[6:7], v[145:146], -v[26:27]
	v_fma_f64 v[8:9], v[8:9], v[145:146], v[18:19]
	v_add_f64 v[16:17], v[16:17], v[22:23]
	v_add_f64 v[14:15], v[14:15], v[20:21]
	s_waitcnt vmcnt(8) lgkmcnt(0)
	v_mul_f64 v[20:21], v[4:5], v[59:60]
	v_mul_f64 v[18:19], v[2:3], v[59:60]
	s_waitcnt vmcnt(6)
	v_fma_f64 v[10:11], v[10:11], v[149:150], -v[28:29]
	v_fma_f64 v[12:13], v[12:13], v[149:150], v[24:25]
	v_add_f64 v[6:7], v[16:17], v[6:7]
	v_add_f64 v[8:9], v[14:15], v[8:9]
	s_waitcnt vmcnt(4)
	v_fma_f64 v[2:3], v[2:3], v[63:64], -v[20:21]
	v_fma_f64 v[4:5], v[4:5], v[63:64], v[18:19]
	v_add_f64 v[6:7], v[6:7], v[10:11]
	v_add_f64 v[8:9], v[8:9], v[12:13]
	;; [unrolled: 1-line block ×4, first 2 shown]
	s_waitcnt vmcnt(2)
	v_add_f64 v[2:3], v[147:148], -v[2:3]
	s_waitcnt vmcnt(0)
	v_add_f64 v[4:5], v[153:154], -v[4:5]
	buffer_store_dword v3, off, s[0:3], 0 offset:404
	buffer_store_dword v2, off, s[0:3], 0 offset:400
	;; [unrolled: 1-line block ×4, first 2 shown]
	v_cmpx_lt_u32_e32 23, v0
	s_cbranch_execz .LBB49_267
; %bb.266:
	v_mov_b32_e32 v5, s37
	s_clause 0x3
	buffer_load_dword v2, v5, s[0:3], 0 offen
	buffer_load_dword v3, v5, s[0:3], 0 offen offset:4
	buffer_load_dword v4, v5, s[0:3], 0 offen offset:8
	;; [unrolled: 1-line block ×3, first 2 shown]
	buffer_store_dword v1, off, s[0:3], 0 offset:384
	buffer_store_dword v1, off, s[0:3], 0 offset:388
	buffer_store_dword v1, off, s[0:3], 0 offset:392
	buffer_store_dword v1, off, s[0:3], 0 offset:396
	s_waitcnt vmcnt(0)
	ds_write_b128 v163, v[2:5]
.LBB49_267:
	s_or_b32 exec_lo, exec_lo, s4
	s_waitcnt lgkmcnt(0)
	s_waitcnt_vscnt null, 0x0
	s_barrier
	buffer_gl0_inv
	s_clause 0x35
	buffer_load_dword v10, off, s[0:3], 0 offset:408
	buffer_load_dword v11, off, s[0:3], 0 offset:412
	buffer_load_dword v14, off, s[0:3], 0 offset:424
	buffer_load_dword v15, off, s[0:3], 0 offset:428
	buffer_load_dword v16, off, s[0:3], 0 offset:400
	buffer_load_dword v17, off, s[0:3], 0 offset:404
	buffer_load_dword v18, off, s[0:3], 0 offset:440
	buffer_load_dword v19, off, s[0:3], 0 offset:444
	buffer_load_dword v20, off, s[0:3], 0 offset:416
	buffer_load_dword v21, off, s[0:3], 0 offset:420
	buffer_load_dword v23, off, s[0:3], 0 offset:460
	buffer_load_dword v22, off, s[0:3], 0 offset:456
	buffer_load_dword v24, off, s[0:3], 0 offset:432
	buffer_load_dword v25, off, s[0:3], 0 offset:436
	buffer_load_dword v26, off, s[0:3], 0 offset:472
	buffer_load_dword v27, off, s[0:3], 0 offset:476
	buffer_load_dword v29, off, s[0:3], 0 offset:452
	buffer_load_dword v28, off, s[0:3], 0 offset:448
	buffer_load_dword v31, off, s[0:3], 0 offset:492
	buffer_load_dword v30, off, s[0:3], 0 offset:488
	buffer_load_dword v57, off, s[0:3], 0 offset:464
	buffer_load_dword v58, off, s[0:3], 0 offset:468
	buffer_load_dword v59, off, s[0:3], 0 offset:504
	buffer_load_dword v60, off, s[0:3], 0 offset:508
	buffer_load_dword v62, off, s[0:3], 0 offset:484
	buffer_load_dword v61, off, s[0:3], 0 offset:480
	buffer_load_dword v64, off, s[0:3], 0 offset:524
	buffer_load_dword v63, off, s[0:3], 0 offset:520
	buffer_load_dword v65, off, s[0:3], 0 offset:496
	buffer_load_dword v66, off, s[0:3], 0 offset:500
	buffer_load_dword v67, off, s[0:3], 0 offset:536
	buffer_load_dword v68, off, s[0:3], 0 offset:540
	buffer_load_dword v146, off, s[0:3], 0 offset:516
	buffer_load_dword v145, off, s[0:3], 0 offset:512
	buffer_load_dword v148, off, s[0:3], 0 offset:556
	buffer_load_dword v147, off, s[0:3], 0 offset:552
	buffer_load_dword v149, off, s[0:3], 0 offset:528
	buffer_load_dword v150, off, s[0:3], 0 offset:532
	buffer_load_dword v151, off, s[0:3], 0 offset:568
	buffer_load_dword v152, off, s[0:3], 0 offset:572
	buffer_load_dword v154, off, s[0:3], 0 offset:548
	buffer_load_dword v153, off, s[0:3], 0 offset:544
	buffer_load_dword v156, off, s[0:3], 0 offset:588
	buffer_load_dword v155, off, s[0:3], 0 offset:584
	buffer_load_dword v157, off, s[0:3], 0 offset:560
	buffer_load_dword v158, off, s[0:3], 0 offset:564
	buffer_load_dword v159, off, s[0:3], 0 offset:600
	buffer_load_dword v160, off, s[0:3], 0 offset:604
	buffer_load_dword v162, off, s[0:3], 0 offset:580
	buffer_load_dword v161, off, s[0:3], 0 offset:576
	buffer_load_dword v165, off, s[0:3], 0 offset:620
	buffer_load_dword v164, off, s[0:3], 0 offset:616
	buffer_load_dword v166, off, s[0:3], 0 offset:592
	buffer_load_dword v167, off, s[0:3], 0 offset:596
	ds_read_b128 v[2:5], v1 offset:1184
	s_clause 0x3
	buffer_load_dword v168, off, s[0:3], 0 offset:632
	buffer_load_dword v169, off, s[0:3], 0 offset:636
	;; [unrolled: 1-line block ×4, first 2 shown]
	ds_read_b128 v[6:9], v1 offset:1200
	s_clause 0x3
	buffer_load_dword v177, off, s[0:3], 0 offset:652
	buffer_load_dword v176, off, s[0:3], 0 offset:648
	;; [unrolled: 1-line block ×4, first 2 shown]
	s_mov_b32 s4, exec_lo
	s_waitcnt vmcnt(60) lgkmcnt(1)
	v_mul_f64 v[172:173], v[4:5], v[10:11]
	v_mul_f64 v[174:175], v[2:3], v[10:11]
	s_waitcnt vmcnt(58) lgkmcnt(0)
	v_mul_f64 v[180:181], v[8:9], v[14:15]
	ds_read_b128 v[10:13], v1 offset:1216
	v_mul_f64 v[14:15], v[6:7], v[14:15]
	s_waitcnt vmcnt(56)
	v_fma_f64 v[172:173], v[2:3], v[16:17], -v[172:173]
	v_fma_f64 v[16:17], v[4:5], v[16:17], v[174:175]
	s_clause 0x3
	buffer_load_dword v174, off, s[0:3], 0 offset:664
	buffer_load_dword v175, off, s[0:3], 0 offset:668
	;; [unrolled: 1-line block ×4, first 2 shown]
	s_waitcnt vmcnt(58) lgkmcnt(0)
	v_mul_f64 v[184:185], v[10:11], v[18:19]
	v_mul_f64 v[18:19], v[12:13], v[18:19]
	s_waitcnt vmcnt(56)
	v_fma_f64 v[180:181], v[6:7], v[20:21], -v[180:181]
	ds_read_b128 v[2:5], v1 offset:1232
	v_fma_f64 v[14:15], v[8:9], v[20:21], v[14:15]
	s_clause 0x3
	buffer_load_dword v21, off, s[0:3], 0 offset:684
	buffer_load_dword v20, off, s[0:3], 0 offset:680
	;; [unrolled: 1-line block ×4, first 2 shown]
	ds_read_b128 v[6:9], v1 offset:1248
	v_add_f64 v[172:173], v[172:173], 0
	v_add_f64 v[16:17], v[16:17], 0
	s_waitcnt vmcnt(58) lgkmcnt(1)
	v_mul_f64 v[188:189], v[2:3], v[22:23]
	v_mul_f64 v[22:23], v[4:5], v[22:23]
	s_waitcnt vmcnt(56)
	v_fma_f64 v[18:19], v[10:11], v[24:25], -v[18:19]
	v_fma_f64 v[24:25], v[12:13], v[24:25], v[184:185]
	s_waitcnt vmcnt(54) lgkmcnt(0)
	v_mul_f64 v[184:185], v[6:7], v[26:27]
	v_mul_f64 v[26:27], v[8:9], v[26:27]
	v_add_f64 v[172:173], v[172:173], v[180:181]
	v_add_f64 v[14:15], v[16:17], v[14:15]
	s_clause 0x3
	buffer_load_dword v16, off, s[0:3], 0 offset:696
	buffer_load_dword v17, off, s[0:3], 0 offset:700
	;; [unrolled: 1-line block ×4, first 2 shown]
	ds_read_b128 v[10:13], v1 offset:1264
	s_waitcnt vmcnt(56)
	v_fma_f64 v[22:23], v[2:3], v[28:29], -v[22:23]
	v_fma_f64 v[28:29], v[4:5], v[28:29], v[188:189]
	s_waitcnt vmcnt(52)
	v_fma_f64 v[26:27], v[6:7], v[57:58], -v[26:27]
	v_add_f64 v[18:19], v[172:173], v[18:19]
	v_add_f64 v[14:15], v[14:15], v[24:25]
	s_clause 0x3
	buffer_load_dword v25, off, s[0:3], 0 offset:716
	buffer_load_dword v24, off, s[0:3], 0 offset:712
	;; [unrolled: 1-line block ×4, first 2 shown]
	s_waitcnt lgkmcnt(0)
	v_mul_f64 v[188:189], v[10:11], v[30:31]
	v_mul_f64 v[30:31], v[12:13], v[30:31]
	ds_read_b128 v[2:5], v1 offset:1280
	v_add_f64 v[18:19], v[18:19], v[22:23]
	v_fma_f64 v[22:23], v[8:9], v[57:58], v[184:185]
	v_add_f64 v[14:15], v[14:15], v[28:29]
	s_clause 0x3
	buffer_load_dword v28, off, s[0:3], 0 offset:728
	buffer_load_dword v29, off, s[0:3], 0 offset:732
	buffer_load_dword v58, off, s[0:3], 0 offset:708
	buffer_load_dword v57, off, s[0:3], 0 offset:704
	s_waitcnt vmcnt(58) lgkmcnt(0)
	v_mul_f64 v[184:185], v[2:3], v[59:60]
	v_mul_f64 v[59:60], v[4:5], v[59:60]
	s_waitcnt vmcnt(56)
	v_fma_f64 v[30:31], v[10:11], v[61:62], -v[30:31]
	ds_read_b128 v[6:9], v1 offset:1296
	v_add_f64 v[18:19], v[18:19], v[26:27]
	v_fma_f64 v[26:27], v[12:13], v[61:62], v[188:189]
	v_add_f64 v[14:15], v[14:15], v[22:23]
	s_clause 0x3
	buffer_load_dword v23, off, s[0:3], 0 offset:748
	buffer_load_dword v22, off, s[0:3], 0 offset:744
	buffer_load_dword v61, off, s[0:3], 0 offset:720
	buffer_load_dword v62, off, s[0:3], 0 offset:724
	ds_read_b128 v[10:13], v1 offset:1312
	s_waitcnt vmcnt(58) lgkmcnt(1)
	v_mul_f64 v[188:189], v[6:7], v[63:64]
	v_mul_f64 v[63:64], v[8:9], v[63:64]
	s_waitcnt vmcnt(56)
	v_fma_f64 v[59:60], v[2:3], v[65:66], -v[59:60]
	v_add_f64 v[18:19], v[18:19], v[30:31]
	v_fma_f64 v[30:31], v[4:5], v[65:66], v[184:185]
	v_add_f64 v[14:15], v[14:15], v[26:27]
	s_clause 0x3
	buffer_load_dword v26, off, s[0:3], 0 offset:760
	buffer_load_dword v27, off, s[0:3], 0 offset:764
	buffer_load_dword v66, off, s[0:3], 0 offset:740
	buffer_load_dword v65, off, s[0:3], 0 offset:736
	s_waitcnt vmcnt(58) lgkmcnt(0)
	v_mul_f64 v[184:185], v[10:11], v[67:68]
	v_mul_f64 v[67:68], v[12:13], v[67:68]
	s_waitcnt vmcnt(56)
	v_fma_f64 v[63:64], v[6:7], v[145:146], -v[63:64]
	ds_read_b128 v[2:5], v1 offset:1328
	v_add_f64 v[18:19], v[18:19], v[59:60]
	v_fma_f64 v[59:60], v[8:9], v[145:146], v[188:189]
	v_add_f64 v[14:15], v[14:15], v[30:31]
	s_clause 0x3
	buffer_load_dword v31, off, s[0:3], 0 offset:780
	buffer_load_dword v30, off, s[0:3], 0 offset:776
	buffer_load_dword v145, off, s[0:3], 0 offset:752
	buffer_load_dword v146, off, s[0:3], 0 offset:756
	ds_read_b128 v[6:9], v1 offset:1344
	s_waitcnt vmcnt(58) lgkmcnt(1)
	v_mul_f64 v[188:189], v[2:3], v[147:148]
	v_mul_f64 v[147:148], v[4:5], v[147:148]
	s_waitcnt vmcnt(56)
	v_fma_f64 v[67:68], v[10:11], v[149:150], -v[67:68]
	;; [unrolled: 28-line block ×3, first 2 shown]
	v_add_f64 v[18:19], v[18:19], v[147:148]
	v_fma_f64 v[147:148], v[8:9], v[157:158], v[184:185]
	v_add_f64 v[14:15], v[14:15], v[67:68]
	s_clause 0x1
	buffer_load_dword v68, off, s[0:3], 0 offset:804
	buffer_load_dword v67, off, s[0:3], 0 offset:800
	s_waitcnt vmcnt(56) lgkmcnt(0)
	v_mul_f64 v[157:158], v[2:3], v[159:160]
	v_mul_f64 v[159:160], v[4:5], v[159:160]
	s_waitcnt vmcnt(54)
	v_fma_f64 v[155:156], v[10:11], v[161:162], -v[155:156]
	ds_read_b128 v[6:9], v1 offset:1392
	v_add_f64 v[18:19], v[18:19], v[151:152]
	v_fma_f64 v[151:152], v[12:13], v[161:162], v[188:189]
	v_add_f64 v[14:15], v[14:15], v[147:148]
	ds_read_b128 v[10:13], v1 offset:1408
	s_waitcnt vmcnt(52) lgkmcnt(1)
	v_mul_f64 v[161:162], v[8:9], v[164:165]
	s_waitcnt vmcnt(50)
	v_fma_f64 v[159:160], v[2:3], v[166:167], -v[159:160]
	v_mul_f64 v[147:148], v[6:7], v[164:165]
	v_add_f64 v[18:19], v[18:19], v[155:156]
	v_fma_f64 v[155:156], v[4:5], v[166:167], v[157:158]
	v_add_f64 v[14:15], v[14:15], v[151:152]
	s_clause 0x3
	buffer_load_dword v151, off, s[0:3], 0 offset:384
	buffer_load_dword v152, off, s[0:3], 0 offset:388
	;; [unrolled: 1-line block ×4, first 2 shown]
	s_waitcnt vmcnt(52) lgkmcnt(0)
	v_mul_f64 v[166:167], v[12:13], v[168:169]
	s_waitcnt vmcnt(50)
	v_fma_f64 v[161:162], v[6:7], v[170:171], -v[161:162]
	ds_read_b128 v[2:5], v1 offset:1424
	v_mul_f64 v[164:165], v[10:11], v[168:169]
	v_fma_f64 v[147:148], v[8:9], v[170:171], v[147:148]
	ds_read_b128 v[6:9], v1 offset:1440
	v_add_f64 v[18:19], v[18:19], v[159:160]
	v_add_f64 v[14:15], v[14:15], v[155:156]
	s_waitcnt vmcnt(48) lgkmcnt(1)
	v_mul_f64 v[159:160], v[4:5], v[176:177]
	s_waitcnt vmcnt(46)
	v_fma_f64 v[166:167], v[10:11], v[178:179], -v[166:167]
	v_mul_f64 v[155:156], v[2:3], v[176:177]
	v_add_f64 v[18:19], v[18:19], v[161:162]
	v_fma_f64 v[161:162], v[12:13], v[178:179], v[164:165]
	v_add_f64 v[14:15], v[14:15], v[147:148]
	ds_read_b128 v[10:13], v1 offset:1456
	s_waitcnt vmcnt(44) lgkmcnt(1)
	v_mul_f64 v[164:165], v[8:9], v[174:175]
	v_mul_f64 v[147:148], v[6:7], v[174:175]
	s_waitcnt vmcnt(42)
	v_fma_f64 v[159:160], v[2:3], v[182:183], -v[159:160]
	v_fma_f64 v[155:156], v[4:5], v[182:183], v[155:156]
	ds_read_b128 v[2:5], v1 offset:1472
	v_add_f64 v[18:19], v[18:19], v[166:167]
	v_add_f64 v[14:15], v[14:15], v[161:162]
	s_waitcnt vmcnt(40) lgkmcnt(1)
	v_mul_f64 v[161:162], v[10:11], v[20:21]
	v_mul_f64 v[20:21], v[12:13], v[20:21]
	s_waitcnt vmcnt(38)
	v_fma_f64 v[164:165], v[6:7], v[186:187], -v[164:165]
	v_fma_f64 v[147:148], v[8:9], v[186:187], v[147:148]
	ds_read_b128 v[6:9], v1 offset:1488
	v_add_f64 v[18:19], v[18:19], v[159:160]
	v_add_f64 v[14:15], v[14:15], v[155:156]
	;; [unrolled: 9-line block ×3, first 2 shown]
	s_waitcnt vmcnt(32) lgkmcnt(1)
	v_mul_f64 v[147:148], v[6:7], v[24:25]
	v_mul_f64 v[24:25], v[8:9], v[24:25]
	s_waitcnt vmcnt(30)
	v_fma_f64 v[16:17], v[2:3], v[172:173], -v[16:17]
	v_add_f64 v[18:19], v[18:19], v[20:21]
	v_fma_f64 v[20:21], v[4:5], v[172:173], v[155:156]
	v_add_f64 v[14:15], v[14:15], v[159:160]
	ds_read_b128 v[2:5], v1 offset:1520
	s_waitcnt vmcnt(28) lgkmcnt(1)
	v_mul_f64 v[155:156], v[10:11], v[28:29]
	v_mul_f64 v[28:29], v[12:13], v[28:29]
	s_waitcnt vmcnt(26)
	v_fma_f64 v[24:25], v[6:7], v[57:58], -v[24:25]
	v_add_f64 v[16:17], v[18:19], v[16:17]
	v_fma_f64 v[18:19], v[8:9], v[57:58], v[147:148]
	v_add_f64 v[14:15], v[14:15], v[20:21]
	ds_read_b128 v[6:9], v1 offset:1536
	;; [unrolled: 9-line block ×3, first 2 shown]
	s_waitcnt vmcnt(20) lgkmcnt(1)
	v_mul_f64 v[18:19], v[6:7], v[26:27]
	v_mul_f64 v[26:27], v[8:9], v[26:27]
	s_waitcnt vmcnt(18)
	v_fma_f64 v[22:23], v[2:3], v[65:66], -v[22:23]
	v_fma_f64 v[20:21], v[4:5], v[65:66], v[20:21]
	ds_read_b128 v[2:5], v1 offset:1568
	v_add_f64 v[16:17], v[16:17], v[28:29]
	v_add_f64 v[14:15], v[14:15], v[24:25]
	s_waitcnt vmcnt(16) lgkmcnt(1)
	v_mul_f64 v[28:29], v[12:13], v[30:31]
	v_mul_f64 v[24:25], v[10:11], v[30:31]
	s_waitcnt vmcnt(14)
	v_fma_f64 v[26:27], v[6:7], v[145:146], -v[26:27]
	v_fma_f64 v[18:19], v[8:9], v[145:146], v[18:19]
	ds_read_b128 v[6:9], v1 offset:1584
	v_add_f64 v[16:17], v[16:17], v[22:23]
	v_add_f64 v[14:15], v[14:15], v[20:21]
	s_waitcnt vmcnt(12) lgkmcnt(1)
	v_mul_f64 v[22:23], v[4:5], v[59:60]
	v_mul_f64 v[20:21], v[2:3], v[59:60]
	s_waitcnt vmcnt(10)
	v_fma_f64 v[10:11], v[10:11], v[149:150], -v[28:29]
	v_fma_f64 v[12:13], v[12:13], v[149:150], v[24:25]
	v_add_f64 v[16:17], v[16:17], v[26:27]
	v_add_f64 v[14:15], v[14:15], v[18:19]
	s_waitcnt vmcnt(8) lgkmcnt(0)
	v_mul_f64 v[24:25], v[8:9], v[63:64]
	v_mul_f64 v[18:19], v[6:7], v[63:64]
	s_waitcnt vmcnt(6)
	v_fma_f64 v[1:2], v[2:3], v[153:154], -v[22:23]
	v_fma_f64 v[3:4], v[4:5], v[153:154], v[20:21]
	v_add_f64 v[10:11], v[16:17], v[10:11]
	v_add_f64 v[12:13], v[14:15], v[12:13]
	s_waitcnt vmcnt(4)
	v_fma_f64 v[5:6], v[6:7], v[67:68], -v[24:25]
	v_fma_f64 v[7:8], v[8:9], v[67:68], v[18:19]
	v_add_f64 v[1:2], v[10:11], v[1:2]
	v_add_f64 v[3:4], v[12:13], v[3:4]
	;; [unrolled: 1-line block ×4, first 2 shown]
	s_waitcnt vmcnt(2)
	v_add_f64 v[1:2], v[151:152], -v[1:2]
	s_waitcnt vmcnt(0)
	v_add_f64 v[3:4], v[157:158], -v[3:4]
	buffer_store_dword v2, off, s[0:3], 0 offset:388
	buffer_store_dword v1, off, s[0:3], 0 offset:384
	;; [unrolled: 1-line block ×4, first 2 shown]
	v_cmpx_lt_u32_e32 22, v0
	s_cbranch_execz .LBB49_269
; %bb.268:
	v_mov_b32_e32 v4, s36
	v_mov_b32_e32 v5, 0
	s_clause 0x3
	buffer_load_dword v1, v4, s[0:3], 0 offen
	buffer_load_dword v2, v4, s[0:3], 0 offen offset:4
	buffer_load_dword v3, v4, s[0:3], 0 offen offset:8
	buffer_load_dword v4, v4, s[0:3], 0 offen offset:12
	buffer_store_dword v5, off, s[0:3], 0 offset:368
	buffer_store_dword v5, off, s[0:3], 0 offset:372
	;; [unrolled: 1-line block ×4, first 2 shown]
	s_waitcnt vmcnt(0)
	ds_write_b128 v163, v[1:4]
.LBB49_269:
	s_or_b32 exec_lo, exec_lo, s4
	s_waitcnt lgkmcnt(0)
	s_waitcnt_vscnt null, 0x0
	s_barrier
	buffer_gl0_inv
	s_clause 0x35
	buffer_load_dword v10, off, s[0:3], 0 offset:392
	buffer_load_dword v11, off, s[0:3], 0 offset:396
	;; [unrolled: 1-line block ×54, first 2 shown]
	v_mov_b32_e32 v1, 0
	s_mov_b32 s4, exec_lo
	ds_read_b128 v[2:5], v1 offset:1168
	s_clause 0x3
	buffer_load_dword v168, off, s[0:3], 0 offset:616
	buffer_load_dword v169, off, s[0:3], 0 offset:620
	;; [unrolled: 1-line block ×4, first 2 shown]
	ds_read_b128 v[6:9], v1 offset:1184
	s_clause 0x3
	buffer_load_dword v177, off, s[0:3], 0 offset:636
	buffer_load_dword v176, off, s[0:3], 0 offset:632
	;; [unrolled: 1-line block ×4, first 2 shown]
	s_waitcnt vmcnt(60) lgkmcnt(1)
	v_mul_f64 v[172:173], v[4:5], v[10:11]
	v_mul_f64 v[174:175], v[2:3], v[10:11]
	s_waitcnt vmcnt(58) lgkmcnt(0)
	v_mul_f64 v[180:181], v[8:9], v[14:15]
	ds_read_b128 v[10:13], v1 offset:1200
	v_mul_f64 v[14:15], v[6:7], v[14:15]
	s_waitcnt vmcnt(56)
	v_fma_f64 v[172:173], v[2:3], v[16:17], -v[172:173]
	v_fma_f64 v[16:17], v[4:5], v[16:17], v[174:175]
	s_clause 0x3
	buffer_load_dword v174, off, s[0:3], 0 offset:648
	buffer_load_dword v175, off, s[0:3], 0 offset:652
	;; [unrolled: 1-line block ×4, first 2 shown]
	s_waitcnt vmcnt(58) lgkmcnt(0)
	v_mul_f64 v[184:185], v[10:11], v[18:19]
	v_mul_f64 v[18:19], v[12:13], v[18:19]
	s_waitcnt vmcnt(56)
	v_fma_f64 v[180:181], v[6:7], v[20:21], -v[180:181]
	ds_read_b128 v[2:5], v1 offset:1216
	v_fma_f64 v[14:15], v[8:9], v[20:21], v[14:15]
	s_clause 0x3
	buffer_load_dword v21, off, s[0:3], 0 offset:668
	buffer_load_dword v20, off, s[0:3], 0 offset:664
	;; [unrolled: 1-line block ×4, first 2 shown]
	ds_read_b128 v[6:9], v1 offset:1232
	v_add_f64 v[172:173], v[172:173], 0
	v_add_f64 v[16:17], v[16:17], 0
	s_waitcnt vmcnt(58) lgkmcnt(1)
	v_mul_f64 v[188:189], v[2:3], v[22:23]
	v_mul_f64 v[22:23], v[4:5], v[22:23]
	s_waitcnt vmcnt(56)
	v_fma_f64 v[18:19], v[10:11], v[24:25], -v[18:19]
	v_fma_f64 v[24:25], v[12:13], v[24:25], v[184:185]
	s_waitcnt vmcnt(54) lgkmcnt(0)
	v_mul_f64 v[184:185], v[6:7], v[26:27]
	v_mul_f64 v[26:27], v[8:9], v[26:27]
	v_add_f64 v[172:173], v[172:173], v[180:181]
	v_add_f64 v[14:15], v[16:17], v[14:15]
	s_clause 0x3
	buffer_load_dword v16, off, s[0:3], 0 offset:680
	buffer_load_dword v17, off, s[0:3], 0 offset:684
	buffer_load_dword v181, off, s[0:3], 0 offset:660
	buffer_load_dword v180, off, s[0:3], 0 offset:656
	ds_read_b128 v[10:13], v1 offset:1248
	s_waitcnt vmcnt(56)
	v_fma_f64 v[22:23], v[2:3], v[28:29], -v[22:23]
	v_fma_f64 v[28:29], v[4:5], v[28:29], v[188:189]
	s_waitcnt vmcnt(52)
	v_fma_f64 v[26:27], v[6:7], v[57:58], -v[26:27]
	v_add_f64 v[18:19], v[172:173], v[18:19]
	v_add_f64 v[14:15], v[14:15], v[24:25]
	s_clause 0x3
	buffer_load_dword v25, off, s[0:3], 0 offset:700
	buffer_load_dword v24, off, s[0:3], 0 offset:696
	;; [unrolled: 1-line block ×4, first 2 shown]
	s_waitcnt lgkmcnt(0)
	v_mul_f64 v[188:189], v[10:11], v[30:31]
	v_mul_f64 v[30:31], v[12:13], v[30:31]
	ds_read_b128 v[2:5], v1 offset:1264
	v_add_f64 v[18:19], v[18:19], v[22:23]
	v_fma_f64 v[22:23], v[8:9], v[57:58], v[184:185]
	v_add_f64 v[14:15], v[14:15], v[28:29]
	s_clause 0x3
	buffer_load_dword v28, off, s[0:3], 0 offset:712
	buffer_load_dword v29, off, s[0:3], 0 offset:716
	buffer_load_dword v58, off, s[0:3], 0 offset:692
	buffer_load_dword v57, off, s[0:3], 0 offset:688
	s_waitcnt vmcnt(58) lgkmcnt(0)
	v_mul_f64 v[184:185], v[2:3], v[59:60]
	v_mul_f64 v[59:60], v[4:5], v[59:60]
	s_waitcnt vmcnt(56)
	v_fma_f64 v[30:31], v[10:11], v[61:62], -v[30:31]
	ds_read_b128 v[6:9], v1 offset:1280
	v_add_f64 v[18:19], v[18:19], v[26:27]
	v_fma_f64 v[26:27], v[12:13], v[61:62], v[188:189]
	v_add_f64 v[14:15], v[14:15], v[22:23]
	s_clause 0x3
	buffer_load_dword v23, off, s[0:3], 0 offset:732
	buffer_load_dword v22, off, s[0:3], 0 offset:728
	buffer_load_dword v61, off, s[0:3], 0 offset:704
	buffer_load_dword v62, off, s[0:3], 0 offset:708
	ds_read_b128 v[10:13], v1 offset:1296
	s_waitcnt vmcnt(58) lgkmcnt(1)
	v_mul_f64 v[188:189], v[6:7], v[63:64]
	v_mul_f64 v[63:64], v[8:9], v[63:64]
	s_waitcnt vmcnt(56)
	v_fma_f64 v[59:60], v[2:3], v[65:66], -v[59:60]
	v_add_f64 v[18:19], v[18:19], v[30:31]
	v_fma_f64 v[30:31], v[4:5], v[65:66], v[184:185]
	v_add_f64 v[14:15], v[14:15], v[26:27]
	s_clause 0x3
	buffer_load_dword v26, off, s[0:3], 0 offset:744
	buffer_load_dword v27, off, s[0:3], 0 offset:748
	buffer_load_dword v66, off, s[0:3], 0 offset:724
	buffer_load_dword v65, off, s[0:3], 0 offset:720
	s_waitcnt vmcnt(58) lgkmcnt(0)
	v_mul_f64 v[184:185], v[10:11], v[67:68]
	v_mul_f64 v[67:68], v[12:13], v[67:68]
	s_waitcnt vmcnt(56)
	v_fma_f64 v[63:64], v[6:7], v[145:146], -v[63:64]
	ds_read_b128 v[2:5], v1 offset:1312
	v_add_f64 v[18:19], v[18:19], v[59:60]
	v_fma_f64 v[59:60], v[8:9], v[145:146], v[188:189]
	v_add_f64 v[14:15], v[14:15], v[30:31]
	s_clause 0x3
	buffer_load_dword v31, off, s[0:3], 0 offset:764
	buffer_load_dword v30, off, s[0:3], 0 offset:760
	buffer_load_dword v145, off, s[0:3], 0 offset:736
	buffer_load_dword v146, off, s[0:3], 0 offset:740
	ds_read_b128 v[6:9], v1 offset:1328
	s_waitcnt vmcnt(58) lgkmcnt(1)
	v_mul_f64 v[188:189], v[2:3], v[147:148]
	v_mul_f64 v[147:148], v[4:5], v[147:148]
	s_waitcnt vmcnt(56)
	v_fma_f64 v[67:68], v[10:11], v[149:150], -v[67:68]
	;; [unrolled: 28-line block ×3, first 2 shown]
	v_add_f64 v[18:19], v[18:19], v[147:148]
	v_fma_f64 v[147:148], v[8:9], v[157:158], v[184:185]
	v_add_f64 v[14:15], v[14:15], v[67:68]
	s_clause 0x3
	buffer_load_dword v67, off, s[0:3], 0 offset:808
	buffer_load_dword v68, off, s[0:3], 0 offset:812
	;; [unrolled: 1-line block ×4, first 2 shown]
	s_waitcnt vmcnt(58) lgkmcnt(0)
	v_mul_f64 v[184:185], v[2:3], v[159:160]
	v_mul_f64 v[159:160], v[4:5], v[159:160]
	s_waitcnt vmcnt(56)
	v_fma_f64 v[155:156], v[10:11], v[161:162], -v[155:156]
	ds_read_b128 v[6:9], v1 offset:1376
	v_add_f64 v[18:19], v[18:19], v[151:152]
	v_fma_f64 v[151:152], v[12:13], v[161:162], v[188:189]
	v_add_f64 v[14:15], v[14:15], v[147:148]
	s_clause 0x1
	buffer_load_dword v147, off, s[0:3], 0 offset:800
	buffer_load_dword v148, off, s[0:3], 0 offset:804
	ds_read_b128 v[10:13], v1 offset:1392
	s_waitcnt vmcnt(56) lgkmcnt(1)
	v_mul_f64 v[161:162], v[6:7], v[164:165]
	v_mul_f64 v[164:165], v[8:9], v[164:165]
	s_waitcnt vmcnt(54)
	v_fma_f64 v[159:160], v[2:3], v[166:167], -v[159:160]
	v_add_f64 v[18:19], v[18:19], v[155:156]
	v_fma_f64 v[155:156], v[4:5], v[166:167], v[184:185]
	v_add_f64 v[14:15], v[14:15], v[151:152]
	ds_read_b128 v[2:5], v1 offset:1408
	s_waitcnt vmcnt(52) lgkmcnt(1)
	v_mul_f64 v[166:167], v[12:13], v[168:169]
	v_mul_f64 v[151:152], v[10:11], v[168:169]
	s_waitcnt vmcnt(50)
	v_fma_f64 v[164:165], v[6:7], v[170:171], -v[164:165]
	v_add_f64 v[18:19], v[18:19], v[159:160]
	v_fma_f64 v[159:160], v[8:9], v[170:171], v[161:162]
	v_add_f64 v[14:15], v[14:15], v[155:156]
	s_clause 0x3
	buffer_load_dword v155, off, s[0:3], 0 offset:368
	buffer_load_dword v156, off, s[0:3], 0 offset:372
	;; [unrolled: 1-line block ×4, first 2 shown]
	s_waitcnt vmcnt(52) lgkmcnt(0)
	v_mul_f64 v[170:171], v[4:5], v[176:177]
	s_waitcnt vmcnt(50)
	v_fma_f64 v[166:167], v[10:11], v[178:179], -v[166:167]
	ds_read_b128 v[6:9], v1 offset:1424
	v_mul_f64 v[168:169], v[2:3], v[176:177]
	v_fma_f64 v[151:152], v[12:13], v[178:179], v[151:152]
	ds_read_b128 v[10:13], v1 offset:1440
	v_add_f64 v[18:19], v[18:19], v[164:165]
	v_add_f64 v[14:15], v[14:15], v[159:160]
	s_waitcnt vmcnt(48) lgkmcnt(1)
	v_mul_f64 v[164:165], v[8:9], v[174:175]
	v_mul_f64 v[159:160], v[6:7], v[174:175]
	s_waitcnt vmcnt(46)
	v_fma_f64 v[170:171], v[2:3], v[182:183], -v[170:171]
	v_add_f64 v[18:19], v[18:19], v[166:167]
	v_fma_f64 v[166:167], v[4:5], v[182:183], v[168:169]
	v_add_f64 v[14:15], v[14:15], v[151:152]
	s_waitcnt vmcnt(44) lgkmcnt(0)
	v_mul_f64 v[151:152], v[10:11], v[20:21]
	v_mul_f64 v[20:21], v[12:13], v[20:21]
	ds_read_b128 v[2:5], v1 offset:1456
	s_waitcnt vmcnt(42)
	v_fma_f64 v[164:165], v[6:7], v[186:187], -v[164:165]
	v_fma_f64 v[159:160], v[8:9], v[186:187], v[159:160]
	ds_read_b128 v[6:9], v1 offset:1472
	v_add_f64 v[18:19], v[18:19], v[170:171]
	v_add_f64 v[14:15], v[14:15], v[166:167]
	s_waitcnt vmcnt(40) lgkmcnt(1)
	v_mul_f64 v[166:167], v[2:3], v[16:17]
	v_mul_f64 v[16:17], v[4:5], v[16:17]
	s_waitcnt vmcnt(38)
	v_fma_f64 v[20:21], v[10:11], v[180:181], -v[20:21]
	v_fma_f64 v[151:152], v[12:13], v[180:181], v[151:152]
	ds_read_b128 v[10:13], v1 offset:1488
	v_add_f64 v[18:19], v[18:19], v[164:165]
	v_add_f64 v[14:15], v[14:15], v[159:160]
	s_waitcnt vmcnt(36) lgkmcnt(1)
	v_mul_f64 v[159:160], v[6:7], v[24:25]
	v_mul_f64 v[24:25], v[8:9], v[24:25]
	s_waitcnt vmcnt(34)
	v_fma_f64 v[16:17], v[2:3], v[172:173], -v[16:17]
	v_add_f64 v[18:19], v[18:19], v[20:21]
	v_fma_f64 v[20:21], v[4:5], v[172:173], v[166:167]
	v_add_f64 v[14:15], v[14:15], v[151:152]
	ds_read_b128 v[2:5], v1 offset:1504
	s_waitcnt vmcnt(32) lgkmcnt(1)
	v_mul_f64 v[151:152], v[10:11], v[28:29]
	v_mul_f64 v[28:29], v[12:13], v[28:29]
	s_waitcnt vmcnt(30)
	v_fma_f64 v[24:25], v[6:7], v[57:58], -v[24:25]
	v_add_f64 v[16:17], v[18:19], v[16:17]
	v_fma_f64 v[18:19], v[8:9], v[57:58], v[159:160]
	v_add_f64 v[14:15], v[14:15], v[20:21]
	ds_read_b128 v[6:9], v1 offset:1520
	s_waitcnt vmcnt(28) lgkmcnt(1)
	v_mul_f64 v[20:21], v[2:3], v[22:23]
	v_mul_f64 v[22:23], v[4:5], v[22:23]
	s_waitcnt vmcnt(26)
	v_fma_f64 v[28:29], v[10:11], v[61:62], -v[28:29]
	v_add_f64 v[16:17], v[16:17], v[24:25]
	v_fma_f64 v[24:25], v[12:13], v[61:62], v[151:152]
	v_add_f64 v[14:15], v[14:15], v[18:19]
	ds_read_b128 v[10:13], v1 offset:1536
	s_waitcnt vmcnt(24) lgkmcnt(1)
	v_mul_f64 v[18:19], v[6:7], v[26:27]
	v_mul_f64 v[26:27], v[8:9], v[26:27]
	s_waitcnt vmcnt(22)
	v_fma_f64 v[22:23], v[2:3], v[65:66], -v[22:23]
	v_fma_f64 v[20:21], v[4:5], v[65:66], v[20:21]
	ds_read_b128 v[2:5], v1 offset:1552
	v_add_f64 v[16:17], v[16:17], v[28:29]
	v_add_f64 v[14:15], v[14:15], v[24:25]
	s_waitcnt vmcnt(20) lgkmcnt(1)
	v_mul_f64 v[28:29], v[12:13], v[30:31]
	v_mul_f64 v[24:25], v[10:11], v[30:31]
	s_waitcnt vmcnt(18)
	v_fma_f64 v[26:27], v[6:7], v[145:146], -v[26:27]
	v_fma_f64 v[18:19], v[8:9], v[145:146], v[18:19]
	ds_read_b128 v[6:9], v1 offset:1568
	v_add_f64 v[16:17], v[16:17], v[22:23]
	v_add_f64 v[14:15], v[14:15], v[20:21]
	;; [unrolled: 9-line block ×3, first 2 shown]
	s_waitcnt vmcnt(12) lgkmcnt(1)
	v_mul_f64 v[26:27], v[8:9], v[63:64]
	v_mul_f64 v[18:19], v[6:7], v[63:64]
	s_waitcnt vmcnt(10)
	v_fma_f64 v[2:3], v[2:3], v[153:154], -v[22:23]
	v_fma_f64 v[4:5], v[4:5], v[153:154], v[20:21]
	v_add_f64 v[16:17], v[16:17], v[28:29]
	v_add_f64 v[14:15], v[14:15], v[24:25]
	s_waitcnt vmcnt(8) lgkmcnt(0)
	v_mul_f64 v[22:23], v[12:13], v[67:68]
	v_mul_f64 v[20:21], v[10:11], v[67:68]
	s_waitcnt vmcnt(6)
	v_fma_f64 v[6:7], v[6:7], v[157:158], -v[26:27]
	v_fma_f64 v[8:9], v[8:9], v[157:158], v[18:19]
	v_add_f64 v[2:3], v[16:17], v[2:3]
	v_add_f64 v[4:5], v[14:15], v[4:5]
	s_waitcnt vmcnt(4)
	v_fma_f64 v[10:11], v[10:11], v[147:148], -v[22:23]
	v_add_f64 v[2:3], v[2:3], v[6:7]
	v_fma_f64 v[6:7], v[12:13], v[147:148], v[20:21]
	v_add_f64 v[4:5], v[4:5], v[8:9]
	v_add_f64 v[2:3], v[2:3], v[10:11]
	;; [unrolled: 1-line block ×3, first 2 shown]
	s_waitcnt vmcnt(2)
	v_add_f64 v[2:3], v[155:156], -v[2:3]
	s_waitcnt vmcnt(0)
	v_add_f64 v[4:5], v[161:162], -v[4:5]
	buffer_store_dword v3, off, s[0:3], 0 offset:372
	buffer_store_dword v2, off, s[0:3], 0 offset:368
	;; [unrolled: 1-line block ×4, first 2 shown]
	v_cmpx_lt_u32_e32 21, v0
	s_cbranch_execz .LBB49_271
; %bb.270:
	v_mov_b32_e32 v5, s33
	s_clause 0x3
	buffer_load_dword v2, v5, s[0:3], 0 offen
	buffer_load_dword v3, v5, s[0:3], 0 offen offset:4
	buffer_load_dword v4, v5, s[0:3], 0 offen offset:8
	;; [unrolled: 1-line block ×3, first 2 shown]
	buffer_store_dword v1, off, s[0:3], 0 offset:352
	buffer_store_dword v1, off, s[0:3], 0 offset:356
	;; [unrolled: 1-line block ×4, first 2 shown]
	s_waitcnt vmcnt(0)
	ds_write_b128 v163, v[2:5]
.LBB49_271:
	s_or_b32 exec_lo, exec_lo, s4
	s_waitcnt lgkmcnt(0)
	s_waitcnt_vscnt null, 0x0
	s_barrier
	buffer_gl0_inv
	s_clause 0x35
	buffer_load_dword v10, off, s[0:3], 0 offset:376
	buffer_load_dword v11, off, s[0:3], 0 offset:380
	buffer_load_dword v14, off, s[0:3], 0 offset:392
	buffer_load_dword v15, off, s[0:3], 0 offset:396
	buffer_load_dword v16, off, s[0:3], 0 offset:368
	buffer_load_dword v17, off, s[0:3], 0 offset:372
	buffer_load_dword v18, off, s[0:3], 0 offset:408
	buffer_load_dword v19, off, s[0:3], 0 offset:412
	buffer_load_dword v20, off, s[0:3], 0 offset:384
	buffer_load_dword v21, off, s[0:3], 0 offset:388
	buffer_load_dword v23, off, s[0:3], 0 offset:428
	buffer_load_dword v22, off, s[0:3], 0 offset:424
	buffer_load_dword v24, off, s[0:3], 0 offset:400
	buffer_load_dword v25, off, s[0:3], 0 offset:404
	buffer_load_dword v26, off, s[0:3], 0 offset:440
	buffer_load_dword v27, off, s[0:3], 0 offset:444
	buffer_load_dword v29, off, s[0:3], 0 offset:420
	buffer_load_dword v28, off, s[0:3], 0 offset:416
	buffer_load_dword v31, off, s[0:3], 0 offset:460
	buffer_load_dword v30, off, s[0:3], 0 offset:456
	buffer_load_dword v57, off, s[0:3], 0 offset:432
	buffer_load_dword v58, off, s[0:3], 0 offset:436
	buffer_load_dword v59, off, s[0:3], 0 offset:472
	buffer_load_dword v60, off, s[0:3], 0 offset:476
	buffer_load_dword v62, off, s[0:3], 0 offset:452
	buffer_load_dword v61, off, s[0:3], 0 offset:448
	buffer_load_dword v64, off, s[0:3], 0 offset:492
	buffer_load_dword v63, off, s[0:3], 0 offset:488
	buffer_load_dword v65, off, s[0:3], 0 offset:464
	buffer_load_dword v66, off, s[0:3], 0 offset:468
	buffer_load_dword v67, off, s[0:3], 0 offset:504
	buffer_load_dword v68, off, s[0:3], 0 offset:508
	buffer_load_dword v146, off, s[0:3], 0 offset:484
	buffer_load_dword v145, off, s[0:3], 0 offset:480
	buffer_load_dword v148, off, s[0:3], 0 offset:524
	buffer_load_dword v147, off, s[0:3], 0 offset:520
	buffer_load_dword v149, off, s[0:3], 0 offset:496
	buffer_load_dword v150, off, s[0:3], 0 offset:500
	buffer_load_dword v151, off, s[0:3], 0 offset:536
	buffer_load_dword v152, off, s[0:3], 0 offset:540
	buffer_load_dword v154, off, s[0:3], 0 offset:516
	buffer_load_dword v153, off, s[0:3], 0 offset:512
	buffer_load_dword v156, off, s[0:3], 0 offset:556
	buffer_load_dword v155, off, s[0:3], 0 offset:552
	buffer_load_dword v157, off, s[0:3], 0 offset:528
	buffer_load_dword v158, off, s[0:3], 0 offset:532
	buffer_load_dword v159, off, s[0:3], 0 offset:568
	buffer_load_dword v160, off, s[0:3], 0 offset:572
	buffer_load_dword v162, off, s[0:3], 0 offset:548
	buffer_load_dword v161, off, s[0:3], 0 offset:544
	buffer_load_dword v165, off, s[0:3], 0 offset:588
	buffer_load_dword v164, off, s[0:3], 0 offset:584
	buffer_load_dword v166, off, s[0:3], 0 offset:560
	buffer_load_dword v167, off, s[0:3], 0 offset:564
	ds_read_b128 v[2:5], v1 offset:1152
	s_clause 0x3
	buffer_load_dword v168, off, s[0:3], 0 offset:600
	buffer_load_dword v169, off, s[0:3], 0 offset:604
	;; [unrolled: 1-line block ×4, first 2 shown]
	ds_read_b128 v[6:9], v1 offset:1168
	s_clause 0x3
	buffer_load_dword v177, off, s[0:3], 0 offset:620
	buffer_load_dword v176, off, s[0:3], 0 offset:616
	;; [unrolled: 1-line block ×4, first 2 shown]
	s_mov_b32 s4, exec_lo
	s_waitcnt vmcnt(60) lgkmcnt(1)
	v_mul_f64 v[172:173], v[4:5], v[10:11]
	v_mul_f64 v[174:175], v[2:3], v[10:11]
	s_waitcnt vmcnt(58) lgkmcnt(0)
	v_mul_f64 v[180:181], v[8:9], v[14:15]
	ds_read_b128 v[10:13], v1 offset:1184
	v_mul_f64 v[14:15], v[6:7], v[14:15]
	s_waitcnt vmcnt(56)
	v_fma_f64 v[172:173], v[2:3], v[16:17], -v[172:173]
	v_fma_f64 v[16:17], v[4:5], v[16:17], v[174:175]
	s_clause 0x3
	buffer_load_dword v174, off, s[0:3], 0 offset:632
	buffer_load_dword v175, off, s[0:3], 0 offset:636
	;; [unrolled: 1-line block ×4, first 2 shown]
	s_waitcnt vmcnt(58) lgkmcnt(0)
	v_mul_f64 v[184:185], v[10:11], v[18:19]
	v_mul_f64 v[18:19], v[12:13], v[18:19]
	s_waitcnt vmcnt(56)
	v_fma_f64 v[180:181], v[6:7], v[20:21], -v[180:181]
	ds_read_b128 v[2:5], v1 offset:1200
	v_fma_f64 v[14:15], v[8:9], v[20:21], v[14:15]
	s_clause 0x3
	buffer_load_dword v21, off, s[0:3], 0 offset:652
	buffer_load_dword v20, off, s[0:3], 0 offset:648
	;; [unrolled: 1-line block ×4, first 2 shown]
	ds_read_b128 v[6:9], v1 offset:1216
	v_add_f64 v[172:173], v[172:173], 0
	v_add_f64 v[16:17], v[16:17], 0
	s_waitcnt vmcnt(58) lgkmcnt(1)
	v_mul_f64 v[188:189], v[2:3], v[22:23]
	v_mul_f64 v[22:23], v[4:5], v[22:23]
	s_waitcnt vmcnt(56)
	v_fma_f64 v[18:19], v[10:11], v[24:25], -v[18:19]
	v_fma_f64 v[24:25], v[12:13], v[24:25], v[184:185]
	s_waitcnt vmcnt(54) lgkmcnt(0)
	v_mul_f64 v[184:185], v[6:7], v[26:27]
	v_mul_f64 v[26:27], v[8:9], v[26:27]
	v_add_f64 v[172:173], v[172:173], v[180:181]
	v_add_f64 v[14:15], v[16:17], v[14:15]
	s_clause 0x3
	buffer_load_dword v16, off, s[0:3], 0 offset:664
	buffer_load_dword v17, off, s[0:3], 0 offset:668
	;; [unrolled: 1-line block ×4, first 2 shown]
	ds_read_b128 v[10:13], v1 offset:1232
	s_waitcnt vmcnt(56)
	v_fma_f64 v[22:23], v[2:3], v[28:29], -v[22:23]
	v_fma_f64 v[28:29], v[4:5], v[28:29], v[188:189]
	s_waitcnt vmcnt(52)
	v_fma_f64 v[26:27], v[6:7], v[57:58], -v[26:27]
	v_add_f64 v[18:19], v[172:173], v[18:19]
	v_add_f64 v[14:15], v[14:15], v[24:25]
	s_clause 0x3
	buffer_load_dword v25, off, s[0:3], 0 offset:684
	buffer_load_dword v24, off, s[0:3], 0 offset:680
	;; [unrolled: 1-line block ×4, first 2 shown]
	s_waitcnt lgkmcnt(0)
	v_mul_f64 v[188:189], v[10:11], v[30:31]
	v_mul_f64 v[30:31], v[12:13], v[30:31]
	ds_read_b128 v[2:5], v1 offset:1248
	v_add_f64 v[18:19], v[18:19], v[22:23]
	v_fma_f64 v[22:23], v[8:9], v[57:58], v[184:185]
	v_add_f64 v[14:15], v[14:15], v[28:29]
	s_clause 0x3
	buffer_load_dword v28, off, s[0:3], 0 offset:696
	buffer_load_dword v29, off, s[0:3], 0 offset:700
	buffer_load_dword v58, off, s[0:3], 0 offset:676
	buffer_load_dword v57, off, s[0:3], 0 offset:672
	s_waitcnt vmcnt(58) lgkmcnt(0)
	v_mul_f64 v[184:185], v[2:3], v[59:60]
	v_mul_f64 v[59:60], v[4:5], v[59:60]
	s_waitcnt vmcnt(56)
	v_fma_f64 v[30:31], v[10:11], v[61:62], -v[30:31]
	ds_read_b128 v[6:9], v1 offset:1264
	v_add_f64 v[18:19], v[18:19], v[26:27]
	v_fma_f64 v[26:27], v[12:13], v[61:62], v[188:189]
	v_add_f64 v[14:15], v[14:15], v[22:23]
	s_clause 0x3
	buffer_load_dword v23, off, s[0:3], 0 offset:716
	buffer_load_dword v22, off, s[0:3], 0 offset:712
	buffer_load_dword v61, off, s[0:3], 0 offset:688
	buffer_load_dword v62, off, s[0:3], 0 offset:692
	ds_read_b128 v[10:13], v1 offset:1280
	s_waitcnt vmcnt(58) lgkmcnt(1)
	v_mul_f64 v[188:189], v[6:7], v[63:64]
	v_mul_f64 v[63:64], v[8:9], v[63:64]
	s_waitcnt vmcnt(56)
	v_fma_f64 v[59:60], v[2:3], v[65:66], -v[59:60]
	v_add_f64 v[18:19], v[18:19], v[30:31]
	v_fma_f64 v[30:31], v[4:5], v[65:66], v[184:185]
	v_add_f64 v[14:15], v[14:15], v[26:27]
	s_clause 0x3
	buffer_load_dword v26, off, s[0:3], 0 offset:728
	buffer_load_dword v27, off, s[0:3], 0 offset:732
	buffer_load_dword v66, off, s[0:3], 0 offset:708
	buffer_load_dword v65, off, s[0:3], 0 offset:704
	s_waitcnt vmcnt(58) lgkmcnt(0)
	v_mul_f64 v[184:185], v[10:11], v[67:68]
	v_mul_f64 v[67:68], v[12:13], v[67:68]
	s_waitcnt vmcnt(56)
	v_fma_f64 v[63:64], v[6:7], v[145:146], -v[63:64]
	ds_read_b128 v[2:5], v1 offset:1296
	v_add_f64 v[18:19], v[18:19], v[59:60]
	v_fma_f64 v[59:60], v[8:9], v[145:146], v[188:189]
	v_add_f64 v[14:15], v[14:15], v[30:31]
	s_clause 0x3
	buffer_load_dword v31, off, s[0:3], 0 offset:748
	buffer_load_dword v30, off, s[0:3], 0 offset:744
	buffer_load_dword v145, off, s[0:3], 0 offset:720
	buffer_load_dword v146, off, s[0:3], 0 offset:724
	ds_read_b128 v[6:9], v1 offset:1312
	s_waitcnt vmcnt(58) lgkmcnt(1)
	v_mul_f64 v[188:189], v[2:3], v[147:148]
	v_mul_f64 v[147:148], v[4:5], v[147:148]
	s_waitcnt vmcnt(56)
	v_fma_f64 v[67:68], v[10:11], v[149:150], -v[67:68]
	;; [unrolled: 28-line block ×4, first 2 shown]
	v_add_f64 v[18:19], v[18:19], v[155:156]
	v_fma_f64 v[155:156], v[4:5], v[166:167], v[184:185]
	v_add_f64 v[14:15], v[14:15], v[151:152]
	s_clause 0x1
	buffer_load_dword v152, off, s[0:3], 0 offset:804
	buffer_load_dword v151, off, s[0:3], 0 offset:800
	s_waitcnt vmcnt(56) lgkmcnt(0)
	v_mul_f64 v[166:167], v[10:11], v[168:169]
	v_mul_f64 v[168:169], v[12:13], v[168:169]
	s_waitcnt vmcnt(54)
	v_fma_f64 v[164:165], v[6:7], v[170:171], -v[164:165]
	ds_read_b128 v[2:5], v1 offset:1392
	v_add_f64 v[18:19], v[18:19], v[159:160]
	v_fma_f64 v[159:160], v[8:9], v[170:171], v[188:189]
	v_add_f64 v[14:15], v[14:15], v[155:156]
	ds_read_b128 v[6:9], v1 offset:1408
	s_waitcnt vmcnt(52) lgkmcnt(1)
	v_mul_f64 v[170:171], v[4:5], v[176:177]
	s_waitcnt vmcnt(50)
	v_fma_f64 v[168:169], v[10:11], v[178:179], -v[168:169]
	v_mul_f64 v[155:156], v[2:3], v[176:177]
	v_add_f64 v[18:19], v[18:19], v[164:165]
	v_fma_f64 v[164:165], v[12:13], v[178:179], v[166:167]
	v_add_f64 v[14:15], v[14:15], v[159:160]
	s_clause 0x3
	buffer_load_dword v159, off, s[0:3], 0 offset:352
	buffer_load_dword v160, off, s[0:3], 0 offset:356
	;; [unrolled: 1-line block ×4, first 2 shown]
	ds_read_b128 v[10:13], v1 offset:1424
	s_waitcnt vmcnt(52) lgkmcnt(1)
	v_mul_f64 v[176:177], v[6:7], v[174:175]
	v_mul_f64 v[174:175], v[8:9], v[174:175]
	s_waitcnt vmcnt(50)
	v_fma_f64 v[170:171], v[2:3], v[182:183], -v[170:171]
	v_fma_f64 v[155:156], v[4:5], v[182:183], v[155:156]
	ds_read_b128 v[2:5], v1 offset:1440
	v_add_f64 v[18:19], v[18:19], v[168:169]
	v_add_f64 v[14:15], v[14:15], v[164:165]
	s_waitcnt vmcnt(48) lgkmcnt(1)
	v_mul_f64 v[164:165], v[10:11], v[20:21]
	v_mul_f64 v[20:21], v[12:13], v[20:21]
	s_waitcnt vmcnt(46)
	v_fma_f64 v[168:169], v[6:7], v[186:187], -v[174:175]
	v_add_f64 v[18:19], v[18:19], v[170:171]
	v_fma_f64 v[170:171], v[8:9], v[186:187], v[176:177]
	v_add_f64 v[14:15], v[14:15], v[155:156]
	ds_read_b128 v[6:9], v1 offset:1456
	s_waitcnt vmcnt(44) lgkmcnt(1)
	v_mul_f64 v[155:156], v[2:3], v[16:17]
	v_mul_f64 v[16:17], v[4:5], v[16:17]
	s_waitcnt vmcnt(42)
	v_fma_f64 v[20:21], v[10:11], v[180:181], -v[20:21]
	v_fma_f64 v[164:165], v[12:13], v[180:181], v[164:165]
	ds_read_b128 v[10:13], v1 offset:1472
	v_add_f64 v[18:19], v[18:19], v[168:169]
	v_add_f64 v[14:15], v[14:15], v[170:171]
	s_waitcnt vmcnt(40) lgkmcnt(1)
	v_mul_f64 v[168:169], v[6:7], v[24:25]
	v_mul_f64 v[24:25], v[8:9], v[24:25]
	s_waitcnt vmcnt(38)
	v_fma_f64 v[16:17], v[2:3], v[172:173], -v[16:17]
	v_add_f64 v[18:19], v[18:19], v[20:21]
	v_fma_f64 v[20:21], v[4:5], v[172:173], v[155:156]
	v_add_f64 v[14:15], v[14:15], v[164:165]
	ds_read_b128 v[2:5], v1 offset:1488
	s_waitcnt vmcnt(36) lgkmcnt(1)
	v_mul_f64 v[155:156], v[10:11], v[28:29]
	v_mul_f64 v[28:29], v[12:13], v[28:29]
	s_waitcnt vmcnt(34)
	v_fma_f64 v[24:25], v[6:7], v[57:58], -v[24:25]
	v_add_f64 v[16:17], v[18:19], v[16:17]
	v_fma_f64 v[18:19], v[8:9], v[57:58], v[168:169]
	v_add_f64 v[14:15], v[14:15], v[20:21]
	ds_read_b128 v[6:9], v1 offset:1504
	;; [unrolled: 9-line block ×3, first 2 shown]
	s_waitcnt vmcnt(28) lgkmcnt(1)
	v_mul_f64 v[18:19], v[6:7], v[26:27]
	v_mul_f64 v[26:27], v[8:9], v[26:27]
	s_waitcnt vmcnt(26)
	v_fma_f64 v[22:23], v[2:3], v[65:66], -v[22:23]
	v_fma_f64 v[20:21], v[4:5], v[65:66], v[20:21]
	ds_read_b128 v[2:5], v1 offset:1536
	v_add_f64 v[16:17], v[16:17], v[28:29]
	v_add_f64 v[14:15], v[14:15], v[24:25]
	s_waitcnt vmcnt(24) lgkmcnt(1)
	v_mul_f64 v[28:29], v[12:13], v[30:31]
	v_mul_f64 v[24:25], v[10:11], v[30:31]
	s_waitcnt vmcnt(22)
	v_fma_f64 v[26:27], v[6:7], v[145:146], -v[26:27]
	v_fma_f64 v[18:19], v[8:9], v[145:146], v[18:19]
	ds_read_b128 v[6:9], v1 offset:1552
	v_add_f64 v[16:17], v[16:17], v[22:23]
	v_add_f64 v[14:15], v[14:15], v[20:21]
	;; [unrolled: 9-line block ×4, first 2 shown]
	s_waitcnt vmcnt(12) lgkmcnt(1)
	v_mul_f64 v[28:29], v[12:13], v[67:68]
	v_mul_f64 v[24:25], v[10:11], v[67:68]
	s_waitcnt vmcnt(10)
	v_fma_f64 v[5:6], v[6:7], v[157:158], -v[26:27]
	v_fma_f64 v[7:8], v[8:9], v[157:158], v[18:19]
	v_add_f64 v[16:17], v[16:17], v[22:23]
	v_add_f64 v[14:15], v[14:15], v[20:21]
	s_waitcnt vmcnt(8) lgkmcnt(0)
	v_mul_f64 v[20:21], v[3:4], v[147:148]
	v_mul_f64 v[18:19], v[1:2], v[147:148]
	s_waitcnt vmcnt(6)
	v_fma_f64 v[9:10], v[10:11], v[161:162], -v[28:29]
	v_fma_f64 v[11:12], v[12:13], v[161:162], v[24:25]
	v_add_f64 v[5:6], v[16:17], v[5:6]
	v_add_f64 v[7:8], v[14:15], v[7:8]
	s_waitcnt vmcnt(4)
	v_fma_f64 v[1:2], v[1:2], v[151:152], -v[20:21]
	v_fma_f64 v[3:4], v[3:4], v[151:152], v[18:19]
	v_add_f64 v[5:6], v[5:6], v[9:10]
	v_add_f64 v[7:8], v[7:8], v[11:12]
	v_add_f64 v[1:2], v[5:6], v[1:2]
	v_add_f64 v[3:4], v[7:8], v[3:4]
	s_waitcnt vmcnt(2)
	v_add_f64 v[1:2], v[159:160], -v[1:2]
	s_waitcnt vmcnt(0)
	v_add_f64 v[3:4], v[166:167], -v[3:4]
	buffer_store_dword v2, off, s[0:3], 0 offset:356
	buffer_store_dword v1, off, s[0:3], 0 offset:352
	;; [unrolled: 1-line block ×4, first 2 shown]
	v_cmpx_lt_u32_e32 20, v0
	s_cbranch_execz .LBB49_273
; %bb.272:
	v_mov_b32_e32 v4, s42
	v_mov_b32_e32 v5, 0
	s_clause 0x3
	buffer_load_dword v1, v4, s[0:3], 0 offen
	buffer_load_dword v2, v4, s[0:3], 0 offen offset:4
	buffer_load_dword v3, v4, s[0:3], 0 offen offset:8
	;; [unrolled: 1-line block ×3, first 2 shown]
	buffer_store_dword v5, off, s[0:3], 0 offset:336
	buffer_store_dword v5, off, s[0:3], 0 offset:340
	;; [unrolled: 1-line block ×4, first 2 shown]
	s_waitcnt vmcnt(0)
	ds_write_b128 v163, v[1:4]
.LBB49_273:
	s_or_b32 exec_lo, exec_lo, s4
	s_waitcnt lgkmcnt(0)
	s_waitcnt_vscnt null, 0x0
	s_barrier
	buffer_gl0_inv
	s_clause 0x35
	buffer_load_dword v9, off, s[0:3], 0 offset:360
	buffer_load_dword v10, off, s[0:3], 0 offset:364
	;; [unrolled: 1-line block ×54, first 2 shown]
	v_mov_b32_e32 v13, 0
	s_mov_b32 s4, exec_lo
	ds_read_b128 v[14:17], v13 offset:1136
	s_clause 0x3
	buffer_load_dword v168, off, s[0:3], 0 offset:584
	buffer_load_dword v169, off, s[0:3], 0 offset:588
	;; [unrolled: 1-line block ×4, first 2 shown]
	ds_read_b128 v[18:21], v13 offset:1152
	s_clause 0x3
	buffer_load_dword v177, off, s[0:3], 0 offset:604
	buffer_load_dword v176, off, s[0:3], 0 offset:600
	;; [unrolled: 1-line block ×4, first 2 shown]
	s_waitcnt vmcnt(60) lgkmcnt(1)
	v_mul_f64 v[172:173], v[16:17], v[9:10]
	v_mul_f64 v[174:175], v[14:15], v[9:10]
	s_waitcnt vmcnt(58) lgkmcnt(0)
	v_mul_f64 v[180:181], v[20:21], v[5:6]
	ds_read_b128 v[9:12], v13 offset:1168
	s_waitcnt vmcnt(56)
	v_fma_f64 v[14:15], v[14:15], v[7:8], -v[172:173]
	v_mul_f64 v[172:173], v[18:19], v[5:6]
	v_fma_f64 v[16:17], v[16:17], v[7:8], v[174:175]
	s_clause 0x3
	buffer_load_dword v174, off, s[0:3], 0 offset:616
	buffer_load_dword v175, off, s[0:3], 0 offset:620
	;; [unrolled: 1-line block ×4, first 2 shown]
	s_waitcnt vmcnt(58) lgkmcnt(0)
	v_mul_f64 v[186:187], v[11:12], v[3:4]
	s_waitcnt vmcnt(56)
	v_fma_f64 v[18:19], v[18:19], v[1:2], -v[180:181]
	ds_read_b128 v[5:8], v13 offset:1184
	v_mul_f64 v[184:185], v[9:10], v[3:4]
	v_add_f64 v[14:15], v[14:15], 0
	v_fma_f64 v[20:21], v[20:21], v[1:2], v[172:173]
	v_add_f64 v[16:17], v[16:17], 0
	s_clause 0x3
	buffer_load_dword v173, off, s[0:3], 0 offset:636
	buffer_load_dword v172, off, s[0:3], 0 offset:632
	;; [unrolled: 1-line block ×4, first 2 shown]
	s_waitcnt vmcnt(58) lgkmcnt(0)
	v_mul_f64 v[188:189], v[5:6], v[22:23]
	v_mul_f64 v[22:23], v[7:8], v[22:23]
	s_waitcnt vmcnt(56)
	v_fma_f64 v[186:187], v[9:10], v[24:25], -v[186:187]
	ds_read_b128 v[1:4], v13 offset:1200
	v_add_f64 v[14:15], v[14:15], v[18:19]
	v_fma_f64 v[18:19], v[11:12], v[24:25], v[184:185]
	v_add_f64 v[16:17], v[16:17], v[20:21]
	s_clause 0x3
	buffer_load_dword v20, off, s[0:3], 0 offset:648
	buffer_load_dword v21, off, s[0:3], 0 offset:652
	buffer_load_dword v25, off, s[0:3], 0 offset:628
	buffer_load_dword v24, off, s[0:3], 0 offset:624
	ds_read_b128 v[9:12], v13 offset:1216
	s_waitcnt vmcnt(58) lgkmcnt(1)
	v_mul_f64 v[184:185], v[1:2], v[26:27]
	v_mul_f64 v[26:27], v[3:4], v[26:27]
	s_waitcnt vmcnt(56)
	v_fma_f64 v[22:23], v[5:6], v[28:29], -v[22:23]
	v_fma_f64 v[28:29], v[7:8], v[28:29], v[188:189]
	v_add_f64 v[14:15], v[14:15], v[186:187]
	v_add_f64 v[16:17], v[16:17], v[18:19]
	s_clause 0x3
	buffer_load_dword v19, off, s[0:3], 0 offset:668
	buffer_load_dword v18, off, s[0:3], 0 offset:664
	buffer_load_dword v186, off, s[0:3], 0 offset:640
	buffer_load_dword v187, off, s[0:3], 0 offset:644
	s_waitcnt vmcnt(58) lgkmcnt(0)
	v_mul_f64 v[188:189], v[9:10], v[30:31]
	v_mul_f64 v[30:31], v[11:12], v[30:31]
	s_waitcnt vmcnt(56)
	v_fma_f64 v[26:27], v[1:2], v[57:58], -v[26:27]
	ds_read_b128 v[5:8], v13 offset:1232
	v_add_f64 v[14:15], v[14:15], v[22:23]
	v_fma_f64 v[22:23], v[3:4], v[57:58], v[184:185]
	v_add_f64 v[16:17], v[16:17], v[28:29]
	s_clause 0x3
	buffer_load_dword v28, off, s[0:3], 0 offset:680
	buffer_load_dword v29, off, s[0:3], 0 offset:684
	buffer_load_dword v58, off, s[0:3], 0 offset:660
	buffer_load_dword v57, off, s[0:3], 0 offset:656
	ds_read_b128 v[1:4], v13 offset:1248
	s_waitcnt vmcnt(58) lgkmcnt(1)
	v_mul_f64 v[184:185], v[5:6], v[59:60]
	v_mul_f64 v[59:60], v[7:8], v[59:60]
	s_waitcnt vmcnt(56)
	v_fma_f64 v[30:31], v[9:10], v[61:62], -v[30:31]
	v_add_f64 v[14:15], v[14:15], v[26:27]
	v_fma_f64 v[26:27], v[11:12], v[61:62], v[188:189]
	v_add_f64 v[16:17], v[16:17], v[22:23]
	s_clause 0x3
	buffer_load_dword v23, off, s[0:3], 0 offset:700
	buffer_load_dword v22, off, s[0:3], 0 offset:696
	buffer_load_dword v61, off, s[0:3], 0 offset:672
	buffer_load_dword v62, off, s[0:3], 0 offset:676
	s_waitcnt vmcnt(58) lgkmcnt(0)
	v_mul_f64 v[188:189], v[1:2], v[63:64]
	v_mul_f64 v[63:64], v[3:4], v[63:64]
	s_waitcnt vmcnt(56)
	v_fma_f64 v[59:60], v[5:6], v[65:66], -v[59:60]
	ds_read_b128 v[9:12], v13 offset:1264
	v_add_f64 v[14:15], v[14:15], v[30:31]
	v_fma_f64 v[30:31], v[7:8], v[65:66], v[184:185]
	v_add_f64 v[16:17], v[16:17], v[26:27]
	s_clause 0x3
	buffer_load_dword v26, off, s[0:3], 0 offset:712
	buffer_load_dword v27, off, s[0:3], 0 offset:716
	buffer_load_dword v66, off, s[0:3], 0 offset:692
	buffer_load_dword v65, off, s[0:3], 0 offset:688
	ds_read_b128 v[5:8], v13 offset:1280
	s_waitcnt vmcnt(58) lgkmcnt(1)
	v_mul_f64 v[184:185], v[9:10], v[67:68]
	v_mul_f64 v[67:68], v[11:12], v[67:68]
	s_waitcnt vmcnt(56)
	v_fma_f64 v[63:64], v[1:2], v[145:146], -v[63:64]
	v_add_f64 v[14:15], v[14:15], v[59:60]
	v_fma_f64 v[59:60], v[3:4], v[145:146], v[188:189]
	;; [unrolled: 28-line block ×5, first 2 shown]
	v_add_f64 v[16:17], v[16:17], v[155:156]
	s_clause 0x1
	buffer_load_dword v155, off, s[0:3], 0 offset:800
	buffer_load_dword v156, off, s[0:3], 0 offset:804
	s_waitcnt vmcnt(56) lgkmcnt(0)
	v_mul_f64 v[170:171], v[5:6], v[176:177]
	v_mul_f64 v[176:177], v[7:8], v[176:177]
	s_waitcnt vmcnt(54)
	v_fma_f64 v[168:169], v[9:10], v[178:179], -v[168:169]
	ds_read_b128 v[1:4], v13 offset:1392
	v_add_f64 v[14:15], v[14:15], v[164:165]
	v_fma_f64 v[164:165], v[11:12], v[178:179], v[184:185]
	v_add_f64 v[16:17], v[16:17], v[159:160]
	ds_read_b128 v[9:12], v13 offset:1408
	s_waitcnt vmcnt(52) lgkmcnt(1)
	v_mul_f64 v[159:160], v[1:2], v[174:175]
	v_mul_f64 v[174:175], v[3:4], v[174:175]
	s_waitcnt vmcnt(50)
	v_fma_f64 v[176:177], v[5:6], v[182:183], -v[176:177]
	v_add_f64 v[14:15], v[14:15], v[168:169]
	v_fma_f64 v[168:169], v[7:8], v[182:183], v[170:171]
	v_add_f64 v[16:17], v[16:17], v[164:165]
	s_clause 0x3
	buffer_load_dword v164, off, s[0:3], 0 offset:336
	buffer_load_dword v165, off, s[0:3], 0 offset:340
	;; [unrolled: 1-line block ×4, first 2 shown]
	ds_read_b128 v[5:8], v13 offset:1424
	s_waitcnt vmcnt(52) lgkmcnt(1)
	v_mul_f64 v[178:179], v[9:10], v[172:173]
	v_mul_f64 v[172:173], v[11:12], v[172:173]
	s_waitcnt vmcnt(50)
	v_fma_f64 v[174:175], v[1:2], v[180:181], -v[174:175]
	v_fma_f64 v[159:160], v[3:4], v[180:181], v[159:160]
	ds_read_b128 v[1:4], v13 offset:1440
	v_add_f64 v[14:15], v[14:15], v[176:177]
	v_add_f64 v[16:17], v[16:17], v[168:169]
	s_waitcnt vmcnt(48) lgkmcnt(1)
	v_mul_f64 v[168:169], v[5:6], v[20:21]
	v_mul_f64 v[20:21], v[7:8], v[20:21]
	s_waitcnt vmcnt(46)
	v_fma_f64 v[172:173], v[9:10], v[24:25], -v[172:173]
	v_fma_f64 v[24:25], v[11:12], v[24:25], v[178:179]
	ds_read_b128 v[9:12], v13 offset:1456
	v_add_f64 v[14:15], v[14:15], v[174:175]
	v_add_f64 v[16:17], v[16:17], v[159:160]
	;; [unrolled: 9-line block ×3, first 2 shown]
	s_waitcnt vmcnt(40) lgkmcnt(1)
	v_mul_f64 v[24:25], v[9:10], v[28:29]
	v_mul_f64 v[28:29], v[11:12], v[28:29]
	s_waitcnt vmcnt(38)
	v_fma_f64 v[18:19], v[1:2], v[57:58], -v[18:19]
	v_add_f64 v[14:15], v[14:15], v[20:21]
	v_fma_f64 v[20:21], v[3:4], v[57:58], v[159:160]
	v_add_f64 v[16:17], v[16:17], v[168:169]
	ds_read_b128 v[1:4], v13 offset:1488
	s_waitcnt vmcnt(36) lgkmcnt(1)
	v_mul_f64 v[57:58], v[5:6], v[22:23]
	v_mul_f64 v[22:23], v[7:8], v[22:23]
	s_waitcnt vmcnt(34)
	v_fma_f64 v[28:29], v[9:10], v[61:62], -v[28:29]
	v_add_f64 v[14:15], v[14:15], v[18:19]
	v_fma_f64 v[18:19], v[11:12], v[61:62], v[24:25]
	v_add_f64 v[16:17], v[16:17], v[20:21]
	ds_read_b128 v[9:12], v13 offset:1504
	s_waitcnt vmcnt(32) lgkmcnt(1)
	v_mul_f64 v[24:25], v[3:4], v[26:27]
	v_mul_f64 v[20:21], v[1:2], v[26:27]
	s_waitcnt vmcnt(30)
	v_fma_f64 v[22:23], v[5:6], v[65:66], -v[22:23]
	v_fma_f64 v[26:27], v[7:8], v[65:66], v[57:58]
	ds_read_b128 v[5:8], v13 offset:1520
	v_add_f64 v[14:15], v[14:15], v[28:29]
	v_add_f64 v[16:17], v[16:17], v[18:19]
	s_waitcnt vmcnt(28) lgkmcnt(1)
	v_mul_f64 v[28:29], v[11:12], v[30:31]
	v_mul_f64 v[18:19], v[9:10], v[30:31]
	s_waitcnt vmcnt(26)
	v_fma_f64 v[24:25], v[1:2], v[145:146], -v[24:25]
	v_fma_f64 v[20:21], v[3:4], v[145:146], v[20:21]
	ds_read_b128 v[1:4], v13 offset:1536
	v_add_f64 v[14:15], v[14:15], v[22:23]
	v_add_f64 v[16:17], v[16:17], v[26:27]
	;; [unrolled: 9-line block ×5, first 2 shown]
	s_waitcnt vmcnt(12) lgkmcnt(1)
	v_mul_f64 v[26:27], v[7:8], v[147:148]
	v_mul_f64 v[22:23], v[5:6], v[147:148]
	s_waitcnt vmcnt(10)
	v_fma_f64 v[9:10], v[9:10], v[161:162], -v[28:29]
	v_fma_f64 v[11:12], v[11:12], v[161:162], v[18:19]
	v_add_f64 v[14:15], v[14:15], v[24:25]
	v_add_f64 v[16:17], v[16:17], v[20:21]
	s_waitcnt vmcnt(8) lgkmcnt(0)
	v_mul_f64 v[20:21], v[3:4], v[151:152]
	v_mul_f64 v[18:19], v[1:2], v[151:152]
	s_waitcnt vmcnt(6)
	v_fma_f64 v[5:6], v[5:6], v[166:167], -v[26:27]
	v_fma_f64 v[7:8], v[7:8], v[166:167], v[22:23]
	v_add_f64 v[9:10], v[14:15], v[9:10]
	v_add_f64 v[11:12], v[16:17], v[11:12]
	s_waitcnt vmcnt(4)
	v_fma_f64 v[1:2], v[1:2], v[155:156], -v[20:21]
	v_fma_f64 v[3:4], v[3:4], v[155:156], v[18:19]
	v_add_f64 v[5:6], v[9:10], v[5:6]
	v_add_f64 v[7:8], v[11:12], v[7:8]
	;; [unrolled: 1-line block ×4, first 2 shown]
	s_waitcnt vmcnt(2)
	v_add_f64 v[1:2], v[164:165], -v[1:2]
	s_waitcnt vmcnt(0)
	v_add_f64 v[3:4], v[170:171], -v[3:4]
	buffer_store_dword v2, off, s[0:3], 0 offset:340
	buffer_store_dword v1, off, s[0:3], 0 offset:336
	;; [unrolled: 1-line block ×4, first 2 shown]
	v_cmpx_lt_u32_e32 19, v0
	s_cbranch_execz .LBB49_275
; %bb.274:
	v_mov_b32_e32 v4, s43
	s_clause 0x3
	buffer_load_dword v1, v4, s[0:3], 0 offen
	buffer_load_dword v2, v4, s[0:3], 0 offen offset:4
	buffer_load_dword v3, v4, s[0:3], 0 offen offset:8
	;; [unrolled: 1-line block ×3, first 2 shown]
	buffer_store_dword v13, off, s[0:3], 0 offset:320
	buffer_store_dword v13, off, s[0:3], 0 offset:324
	;; [unrolled: 1-line block ×4, first 2 shown]
	s_waitcnt vmcnt(0)
	ds_write_b128 v163, v[1:4]
.LBB49_275:
	s_or_b32 exec_lo, exec_lo, s4
	s_waitcnt lgkmcnt(0)
	s_waitcnt_vscnt null, 0x0
	s_barrier
	buffer_gl0_inv
	s_clause 0x35
	buffer_load_dword v9, off, s[0:3], 0 offset:344
	buffer_load_dword v10, off, s[0:3], 0 offset:348
	;; [unrolled: 1-line block ×54, first 2 shown]
	ds_read_b128 v[14:17], v13 offset:1120
	s_clause 0x3
	buffer_load_dword v170, off, s[0:3], 0 offset:568
	buffer_load_dword v171, off, s[0:3], 0 offset:572
	;; [unrolled: 1-line block ×4, first 2 shown]
	ds_read_b128 v[18:21], v13 offset:1136
	s_clause 0x3
	buffer_load_dword v177, off, s[0:3], 0 offset:588
	buffer_load_dword v176, off, s[0:3], 0 offset:584
	;; [unrolled: 1-line block ×4, first 2 shown]
	ds_read_b128 v[22:25], v13 offset:1152
	s_mov_b32 s4, exec_lo
	s_waitcnt vmcnt(60) lgkmcnt(2)
	v_mul_f64 v[174:175], v[16:17], v[9:10]
	v_mul_f64 v[9:10], v[14:15], v[9:10]
	s_waitcnt vmcnt(58) lgkmcnt(1)
	v_mul_f64 v[180:181], v[20:21], v[5:6]
	s_waitcnt vmcnt(54) lgkmcnt(0)
	v_mul_f64 v[186:187], v[24:25], v[3:4]
	v_mul_f64 v[184:185], v[22:23], v[3:4]
	v_fma_f64 v[14:15], v[14:15], v[7:8], -v[174:175]
	v_mul_f64 v[174:175], v[18:19], v[5:6]
	v_fma_f64 v[9:10], v[16:17], v[7:8], v[9:10]
	s_clause 0x3
	buffer_load_dword v16, off, s[0:3], 0 offset:600
	buffer_load_dword v17, off, s[0:3], 0 offset:604
	;; [unrolled: 1-line block ×4, first 2 shown]
	s_waitcnt vmcnt(56)
	v_fma_f64 v[18:19], v[18:19], v[1:2], -v[180:181]
	ds_read_b128 v[5:8], v13 offset:1168
	s_waitcnt vmcnt(52)
	v_fma_f64 v[22:23], v[22:23], v[26:27], -v[186:187]
	v_add_f64 v[14:15], v[14:15], 0
	v_fma_f64 v[20:21], v[20:21], v[1:2], v[174:175]
	v_add_f64 v[9:10], v[9:10], 0
	s_clause 0x3
	buffer_load_dword v175, off, s[0:3], 0 offset:620
	buffer_load_dword v174, off, s[0:3], 0 offset:616
	;; [unrolled: 1-line block ×4, first 2 shown]
	s_waitcnt lgkmcnt(0)
	v_mul_f64 v[190:191], v[7:8], v[11:12]
	ds_read_b128 v[1:4], v13 offset:1184
	v_mul_f64 v[188:189], v[5:6], v[11:12]
	v_add_f64 v[14:15], v[14:15], v[18:19]
	v_fma_f64 v[18:19], v[24:25], v[26:27], v[184:185]
	v_add_f64 v[20:21], v[9:10], v[20:21]
	s_clause 0x3
	buffer_load_dword v24, off, s[0:3], 0 offset:632
	buffer_load_dword v25, off, s[0:3], 0 offset:636
	;; [unrolled: 1-line block ×4, first 2 shown]
	s_waitcnt vmcnt(58) lgkmcnt(0)
	v_mul_f64 v[184:185], v[1:2], v[28:29]
	v_mul_f64 v[28:29], v[3:4], v[28:29]
	s_waitcnt vmcnt(56)
	v_fma_f64 v[186:187], v[5:6], v[30:31], -v[190:191]
	ds_read_b128 v[9:12], v13 offset:1200
	v_add_f64 v[14:15], v[14:15], v[22:23]
	v_fma_f64 v[22:23], v[7:8], v[30:31], v[188:189]
	v_add_f64 v[18:19], v[20:21], v[18:19]
	s_clause 0x3
	buffer_load_dword v21, off, s[0:3], 0 offset:652
	buffer_load_dword v20, off, s[0:3], 0 offset:648
	;; [unrolled: 1-line block ×4, first 2 shown]
	ds_read_b128 v[5:8], v13 offset:1216
	s_waitcnt vmcnt(58) lgkmcnt(1)
	v_mul_f64 v[188:189], v[9:10], v[57:58]
	v_mul_f64 v[57:58], v[11:12], v[57:58]
	s_waitcnt vmcnt(56)
	v_fma_f64 v[28:29], v[1:2], v[59:60], -v[28:29]
	v_fma_f64 v[59:60], v[3:4], v[59:60], v[184:185]
	v_add_f64 v[14:15], v[14:15], v[186:187]
	v_add_f64 v[18:19], v[18:19], v[22:23]
	s_clause 0x3
	buffer_load_dword v22, off, s[0:3], 0 offset:664
	buffer_load_dword v23, off, s[0:3], 0 offset:668
	buffer_load_dword v185, off, s[0:3], 0 offset:644
	buffer_load_dword v184, off, s[0:3], 0 offset:640
	s_waitcnt vmcnt(58) lgkmcnt(0)
	v_mul_f64 v[186:187], v[5:6], v[61:62]
	v_mul_f64 v[61:62], v[7:8], v[61:62]
	s_waitcnt vmcnt(56)
	v_fma_f64 v[57:58], v[9:10], v[63:64], -v[57:58]
	ds_read_b128 v[1:4], v13 offset:1232
	v_add_f64 v[14:15], v[14:15], v[28:29]
	v_fma_f64 v[28:29], v[11:12], v[63:64], v[188:189]
	v_add_f64 v[18:19], v[18:19], v[59:60]
	s_clause 0x3
	buffer_load_dword v60, off, s[0:3], 0 offset:684
	buffer_load_dword v59, off, s[0:3], 0 offset:680
	buffer_load_dword v63, off, s[0:3], 0 offset:656
	buffer_load_dword v64, off, s[0:3], 0 offset:660
	ds_read_b128 v[9:12], v13 offset:1248
	s_waitcnt vmcnt(58) lgkmcnt(1)
	v_mul_f64 v[188:189], v[1:2], v[65:66]
	v_mul_f64 v[65:66], v[3:4], v[65:66]
	s_waitcnt vmcnt(56)
	v_fma_f64 v[61:62], v[5:6], v[67:68], -v[61:62]
	v_add_f64 v[14:15], v[14:15], v[57:58]
	v_fma_f64 v[57:58], v[7:8], v[67:68], v[186:187]
	v_add_f64 v[18:19], v[18:19], v[28:29]
	s_clause 0x3
	buffer_load_dword v28, off, s[0:3], 0 offset:696
	buffer_load_dword v29, off, s[0:3], 0 offset:700
	buffer_load_dword v68, off, s[0:3], 0 offset:676
	buffer_load_dword v67, off, s[0:3], 0 offset:672
	s_waitcnt vmcnt(58) lgkmcnt(0)
	v_mul_f64 v[186:187], v[9:10], v[145:146]
	v_mul_f64 v[145:146], v[11:12], v[145:146]
	s_waitcnt vmcnt(56)
	v_fma_f64 v[65:66], v[1:2], v[147:148], -v[65:66]
	ds_read_b128 v[5:8], v13 offset:1264
	v_add_f64 v[14:15], v[14:15], v[61:62]
	v_fma_f64 v[61:62], v[3:4], v[147:148], v[188:189]
	v_add_f64 v[18:19], v[18:19], v[57:58]
	s_clause 0x3
	buffer_load_dword v58, off, s[0:3], 0 offset:716
	buffer_load_dword v57, off, s[0:3], 0 offset:712
	buffer_load_dword v147, off, s[0:3], 0 offset:688
	buffer_load_dword v148, off, s[0:3], 0 offset:692
	ds_read_b128 v[1:4], v13 offset:1280
	s_waitcnt vmcnt(58) lgkmcnt(1)
	v_mul_f64 v[188:189], v[5:6], v[149:150]
	v_mul_f64 v[149:150], v[7:8], v[149:150]
	s_waitcnt vmcnt(56)
	v_fma_f64 v[145:146], v[9:10], v[151:152], -v[145:146]
	v_add_f64 v[14:15], v[14:15], v[65:66]
	v_fma_f64 v[65:66], v[11:12], v[151:152], v[186:187]
	;; [unrolled: 28-line block ×5, first 2 shown]
	v_add_f64 v[18:19], v[18:19], v[161:162]
	s_clause 0x1
	buffer_load_dword v162, off, s[0:3], 0 offset:804
	buffer_load_dword v161, off, s[0:3], 0 offset:800
	ds_read_b128 v[9:12], v13 offset:1392
	s_waitcnt vmcnt(56) lgkmcnt(1)
	v_mul_f64 v[178:179], v[1:2], v[16:17]
	v_mul_f64 v[16:17], v[3:4], v[16:17]
	s_waitcnt vmcnt(54)
	v_fma_f64 v[176:177], v[5:6], v[182:183], -v[176:177]
	v_add_f64 v[14:15], v[14:15], v[170:171]
	v_fma_f64 v[170:171], v[7:8], v[182:183], v[188:189]
	v_add_f64 v[18:19], v[18:19], v[166:167]
	ds_read_b128 v[5:8], v13 offset:1408
	s_waitcnt vmcnt(52) lgkmcnt(1)
	v_mul_f64 v[166:167], v[9:10], v[174:175]
	v_mul_f64 v[174:175], v[11:12], v[174:175]
	s_waitcnt vmcnt(50)
	v_fma_f64 v[16:17], v[1:2], v[180:181], -v[16:17]
	v_add_f64 v[14:15], v[14:15], v[176:177]
	v_fma_f64 v[176:177], v[3:4], v[180:181], v[178:179]
	v_add_f64 v[18:19], v[18:19], v[170:171]
	s_clause 0x3
	buffer_load_dword v170, off, s[0:3], 0 offset:320
	buffer_load_dword v171, off, s[0:3], 0 offset:324
	;; [unrolled: 1-line block ×4, first 2 shown]
	ds_read_b128 v[1:4], v13 offset:1424
	s_waitcnt vmcnt(52) lgkmcnt(1)
	v_mul_f64 v[180:181], v[5:6], v[24:25]
	v_mul_f64 v[24:25], v[7:8], v[24:25]
	s_waitcnt vmcnt(50)
	v_fma_f64 v[174:175], v[9:10], v[26:27], -v[174:175]
	v_add_f64 v[14:15], v[14:15], v[16:17]
	v_fma_f64 v[16:17], v[11:12], v[26:27], v[166:167]
	v_add_f64 v[18:19], v[18:19], v[176:177]
	ds_read_b128 v[9:12], v13 offset:1440
	s_waitcnt vmcnt(48) lgkmcnt(1)
	v_mul_f64 v[26:27], v[1:2], v[20:21]
	v_mul_f64 v[20:21], v[3:4], v[20:21]
	s_waitcnt vmcnt(46)
	v_fma_f64 v[24:25], v[5:6], v[30:31], -v[24:25]
	v_fma_f64 v[30:31], v[7:8], v[30:31], v[180:181]
	ds_read_b128 v[5:8], v13 offset:1456
	v_add_f64 v[14:15], v[14:15], v[174:175]
	v_add_f64 v[16:17], v[18:19], v[16:17]
	s_waitcnt vmcnt(44) lgkmcnt(1)
	v_mul_f64 v[18:19], v[9:10], v[22:23]
	v_mul_f64 v[22:23], v[11:12], v[22:23]
	s_waitcnt vmcnt(42)
	v_fma_f64 v[20:21], v[1:2], v[184:185], -v[20:21]
	v_add_f64 v[14:15], v[14:15], v[24:25]
	v_fma_f64 v[24:25], v[3:4], v[184:185], v[26:27]
	v_add_f64 v[16:17], v[16:17], v[30:31]
	ds_read_b128 v[1:4], v13 offset:1472
	s_waitcnt vmcnt(40) lgkmcnt(1)
	v_mul_f64 v[30:31], v[7:8], v[59:60]
	v_mul_f64 v[26:27], v[5:6], v[59:60]
	s_waitcnt vmcnt(38)
	v_fma_f64 v[22:23], v[9:10], v[63:64], -v[22:23]
	v_fma_f64 v[18:19], v[11:12], v[63:64], v[18:19]
	ds_read_b128 v[9:12], v13 offset:1488
	v_add_f64 v[14:15], v[14:15], v[20:21]
	v_add_f64 v[16:17], v[16:17], v[24:25]
	;; [unrolled: 18-line block ×3, first 2 shown]
	s_waitcnt vmcnt(28) lgkmcnt(1)
	v_mul_f64 v[28:29], v[7:8], v[61:62]
	v_mul_f64 v[22:23], v[5:6], v[61:62]
	s_waitcnt vmcnt(26)
	v_fma_f64 v[26:27], v[9:10], v[151:152], -v[26:27]
	v_fma_f64 v[18:19], v[11:12], v[151:152], v[18:19]
	ds_read_b128 v[9:12], v13 offset:1536
	v_add_f64 v[14:15], v[14:15], v[24:25]
	v_add_f64 v[16:17], v[16:17], v[20:21]
	s_waitcnt vmcnt(24) lgkmcnt(1)
	v_mul_f64 v[24:25], v[3:4], v[65:66]
	v_mul_f64 v[20:21], v[1:2], v[65:66]
	s_waitcnt vmcnt(22)
	v_fma_f64 v[28:29], v[5:6], v[155:156], -v[28:29]
	v_fma_f64 v[22:23], v[7:8], v[155:156], v[22:23]
	ds_read_b128 v[5:8], v13 offset:1552
	v_add_f64 v[14:15], v[14:15], v[26:27]
	v_add_f64 v[16:17], v[16:17], v[18:19]
	;; [unrolled: 9-line block ×4, first 2 shown]
	s_waitcnt vmcnt(12) lgkmcnt(1)
	v_mul_f64 v[24:25], v[3:4], v[153:154]
	v_mul_f64 v[20:21], v[1:2], v[153:154]
	s_waitcnt vmcnt(10)
	v_fma_f64 v[5:6], v[5:6], v[168:169], -v[28:29]
	v_fma_f64 v[7:8], v[7:8], v[168:169], v[22:23]
	v_add_f64 v[13:14], v[14:15], v[26:27]
	v_add_f64 v[15:16], v[16:17], v[18:19]
	s_waitcnt vmcnt(8) lgkmcnt(0)
	v_mul_f64 v[22:23], v[11:12], v[157:158]
	v_mul_f64 v[17:18], v[9:10], v[157:158]
	s_waitcnt vmcnt(6)
	v_fma_f64 v[1:2], v[1:2], v[172:173], -v[24:25]
	v_fma_f64 v[3:4], v[3:4], v[172:173], v[20:21]
	v_add_f64 v[5:6], v[13:14], v[5:6]
	v_add_f64 v[7:8], v[15:16], v[7:8]
	s_waitcnt vmcnt(4)
	v_fma_f64 v[9:10], v[9:10], v[161:162], -v[22:23]
	v_add_f64 v[1:2], v[5:6], v[1:2]
	v_fma_f64 v[5:6], v[11:12], v[161:162], v[17:18]
	v_add_f64 v[3:4], v[7:8], v[3:4]
	v_add_f64 v[1:2], v[1:2], v[9:10]
	;; [unrolled: 1-line block ×3, first 2 shown]
	s_waitcnt vmcnt(2)
	v_add_f64 v[1:2], v[170:171], -v[1:2]
	s_waitcnt vmcnt(0)
	v_add_f64 v[3:4], v[178:179], -v[3:4]
	buffer_store_dword v2, off, s[0:3], 0 offset:324
	buffer_store_dword v1, off, s[0:3], 0 offset:320
	;; [unrolled: 1-line block ×4, first 2 shown]
	v_cmpx_lt_u32_e32 18, v0
	s_cbranch_execz .LBB49_277
; %bb.276:
	v_mov_b32_e32 v4, s44
	v_mov_b32_e32 v5, 0
	s_clause 0x3
	buffer_load_dword v1, v4, s[0:3], 0 offen
	buffer_load_dword v2, v4, s[0:3], 0 offen offset:4
	buffer_load_dword v3, v4, s[0:3], 0 offen offset:8
	;; [unrolled: 1-line block ×3, first 2 shown]
	buffer_store_dword v5, off, s[0:3], 0 offset:304
	buffer_store_dword v5, off, s[0:3], 0 offset:308
	;; [unrolled: 1-line block ×4, first 2 shown]
	s_waitcnt vmcnt(0)
	ds_write_b128 v163, v[1:4]
.LBB49_277:
	s_or_b32 exec_lo, exec_lo, s4
	s_waitcnt lgkmcnt(0)
	s_waitcnt_vscnt null, 0x0
	s_barrier
	buffer_gl0_inv
	s_clause 0x35
	buffer_load_dword v9, off, s[0:3], 0 offset:328
	buffer_load_dword v10, off, s[0:3], 0 offset:332
	;; [unrolled: 1-line block ×54, first 2 shown]
	v_mov_b32_e32 v57, 0
	s_mov_b32 s4, exec_lo
	ds_read_b128 v[21:24], v57 offset:1104
	s_clause 0x3
	buffer_load_dword v170, off, s[0:3], 0 offset:552
	buffer_load_dword v171, off, s[0:3], 0 offset:556
	;; [unrolled: 1-line block ×4, first 2 shown]
	ds_read_b128 v[25:28], v57 offset:1120
	s_clause 0x3
	buffer_load_dword v177, off, s[0:3], 0 offset:572
	buffer_load_dword v176, off, s[0:3], 0 offset:568
	;; [unrolled: 1-line block ×4, first 2 shown]
	ds_read_b128 v[29:32], v57 offset:1136
	s_waitcnt vmcnt(60) lgkmcnt(2)
	v_mul_f64 v[174:175], v[23:24], v[9:10]
	v_mul_f64 v[9:10], v[21:22], v[9:10]
	s_waitcnt vmcnt(58) lgkmcnt(1)
	v_mul_f64 v[180:181], v[27:28], v[5:6]
	s_waitcnt vmcnt(54) lgkmcnt(0)
	v_mul_f64 v[186:187], v[31:32], v[3:4]
	v_mul_f64 v[184:185], v[29:30], v[3:4]
	v_fma_f64 v[21:22], v[21:22], v[7:8], -v[174:175]
	v_mul_f64 v[174:175], v[25:26], v[5:6]
	v_fma_f64 v[9:10], v[23:24], v[7:8], v[9:10]
	s_clause 0x3
	buffer_load_dword v23, off, s[0:3], 0 offset:584
	buffer_load_dword v24, off, s[0:3], 0 offset:588
	;; [unrolled: 1-line block ×4, first 2 shown]
	s_waitcnt vmcnt(56)
	v_fma_f64 v[25:26], v[25:26], v[1:2], -v[180:181]
	ds_read_b128 v[5:8], v57 offset:1152
	s_waitcnt vmcnt(52)
	v_fma_f64 v[29:30], v[29:30], v[19:20], -v[186:187]
	v_fma_f64 v[19:20], v[31:32], v[19:20], v[184:185]
	v_add_f64 v[21:22], v[21:22], 0
	v_fma_f64 v[27:28], v[27:28], v[1:2], v[174:175]
	v_add_f64 v[9:10], v[9:10], 0
	s_clause 0x3
	buffer_load_dword v175, off, s[0:3], 0 offset:604
	buffer_load_dword v174, off, s[0:3], 0 offset:600
	;; [unrolled: 1-line block ×4, first 2 shown]
	s_waitcnt lgkmcnt(0)
	v_mul_f64 v[190:191], v[7:8], v[11:12]
	ds_read_b128 v[1:4], v57 offset:1168
	v_mul_f64 v[188:189], v[5:6], v[11:12]
	v_add_f64 v[21:22], v[21:22], v[25:26]
	v_add_f64 v[25:26], v[9:10], v[27:28]
	s_clause 0x3
	buffer_load_dword v27, off, s[0:3], 0 offset:616
	buffer_load_dword v28, off, s[0:3], 0 offset:620
	;; [unrolled: 1-line block ×4, first 2 shown]
	s_waitcnt vmcnt(58) lgkmcnt(0)
	v_mul_f64 v[184:185], v[1:2], v[15:16]
	v_mul_f64 v[15:16], v[3:4], v[15:16]
	s_waitcnt vmcnt(56)
	v_fma_f64 v[186:187], v[5:6], v[13:14], -v[190:191]
	ds_read_b128 v[9:12], v57 offset:1184
	v_fma_f64 v[13:14], v[7:8], v[13:14], v[188:189]
	v_add_f64 v[21:22], v[21:22], v[29:30]
	v_add_f64 v[19:20], v[25:26], v[19:20]
	s_clause 0x3
	buffer_load_dword v26, off, s[0:3], 0 offset:636
	buffer_load_dword v25, off, s[0:3], 0 offset:632
	;; [unrolled: 1-line block ×4, first 2 shown]
	ds_read_b128 v[5:8], v57 offset:1200
	s_waitcnt vmcnt(58) lgkmcnt(1)
	v_mul_f64 v[188:189], v[9:10], v[17:18]
	v_mul_f64 v[17:18], v[11:12], v[17:18]
	s_waitcnt vmcnt(56)
	v_fma_f64 v[15:16], v[1:2], v[58:59], -v[15:16]
	v_fma_f64 v[58:59], v[3:4], v[58:59], v[184:185]
	v_add_f64 v[21:22], v[21:22], v[186:187]
	v_add_f64 v[13:14], v[19:20], v[13:14]
	s_clause 0x3
	buffer_load_dword v19, off, s[0:3], 0 offset:648
	buffer_load_dword v20, off, s[0:3], 0 offset:652
	buffer_load_dword v185, off, s[0:3], 0 offset:628
	buffer_load_dword v184, off, s[0:3], 0 offset:624
	s_waitcnt vmcnt(58) lgkmcnt(0)
	v_mul_f64 v[186:187], v[5:6], v[60:61]
	v_mul_f64 v[60:61], v[7:8], v[60:61]
	s_waitcnt vmcnt(56)
	v_fma_f64 v[17:18], v[9:10], v[62:63], -v[17:18]
	ds_read_b128 v[1:4], v57 offset:1216
	v_add_f64 v[15:16], v[21:22], v[15:16]
	v_fma_f64 v[21:22], v[11:12], v[62:63], v[188:189]
	v_add_f64 v[13:14], v[13:14], v[58:59]
	s_clause 0x3
	buffer_load_dword v59, off, s[0:3], 0 offset:668
	buffer_load_dword v58, off, s[0:3], 0 offset:664
	buffer_load_dword v62, off, s[0:3], 0 offset:640
	buffer_load_dword v63, off, s[0:3], 0 offset:644
	ds_read_b128 v[9:12], v57 offset:1232
	s_waitcnt vmcnt(58) lgkmcnt(1)
	v_mul_f64 v[188:189], v[1:2], v[64:65]
	v_mul_f64 v[64:65], v[3:4], v[64:65]
	s_waitcnt vmcnt(56)
	v_fma_f64 v[60:61], v[5:6], v[66:67], -v[60:61]
	v_add_f64 v[15:16], v[15:16], v[17:18]
	v_fma_f64 v[17:18], v[7:8], v[66:67], v[186:187]
	v_add_f64 v[13:14], v[13:14], v[21:22]
	s_clause 0x3
	buffer_load_dword v21, off, s[0:3], 0 offset:680
	buffer_load_dword v22, off, s[0:3], 0 offset:684
	buffer_load_dword v67, off, s[0:3], 0 offset:660
	buffer_load_dword v66, off, s[0:3], 0 offset:656
	s_waitcnt vmcnt(58) lgkmcnt(0)
	v_mul_f64 v[186:187], v[9:10], v[145:146]
	v_mul_f64 v[145:146], v[11:12], v[145:146]
	s_waitcnt vmcnt(56)
	v_fma_f64 v[64:65], v[1:2], v[147:148], -v[64:65]
	ds_read_b128 v[5:8], v57 offset:1248
	v_add_f64 v[15:16], v[15:16], v[60:61]
	v_fma_f64 v[60:61], v[3:4], v[147:148], v[188:189]
	v_add_f64 v[13:14], v[13:14], v[17:18]
	s_clause 0x3
	buffer_load_dword v18, off, s[0:3], 0 offset:700
	buffer_load_dword v17, off, s[0:3], 0 offset:696
	buffer_load_dword v147, off, s[0:3], 0 offset:672
	buffer_load_dword v148, off, s[0:3], 0 offset:676
	ds_read_b128 v[1:4], v57 offset:1264
	s_waitcnt vmcnt(58) lgkmcnt(1)
	v_mul_f64 v[188:189], v[5:6], v[149:150]
	v_mul_f64 v[149:150], v[7:8], v[149:150]
	s_waitcnt vmcnt(56)
	v_fma_f64 v[145:146], v[9:10], v[151:152], -v[145:146]
	v_add_f64 v[15:16], v[15:16], v[64:65]
	v_fma_f64 v[64:65], v[11:12], v[151:152], v[186:187]
	;; [unrolled: 28-line block ×5, first 2 shown]
	v_add_f64 v[13:14], v[13:14], v[161:162]
	s_clause 0x3
	buffer_load_dword v161, off, s[0:3], 0 offset:808
	buffer_load_dword v162, off, s[0:3], 0 offset:812
	;; [unrolled: 1-line block ×4, first 2 shown]
	ds_read_b128 v[9:12], v57 offset:1376
	s_waitcnt vmcnt(58) lgkmcnt(1)
	v_mul_f64 v[186:187], v[1:2], v[23:24]
	v_mul_f64 v[23:24], v[3:4], v[23:24]
	s_waitcnt vmcnt(56)
	v_fma_f64 v[176:177], v[5:6], v[182:183], -v[176:177]
	v_add_f64 v[15:16], v[15:16], v[170:171]
	v_fma_f64 v[170:171], v[7:8], v[182:183], v[188:189]
	v_add_f64 v[13:14], v[13:14], v[166:167]
	s_clause 0x1
	buffer_load_dword v166, off, s[0:3], 0 offset:800
	buffer_load_dword v167, off, s[0:3], 0 offset:804
	ds_read_b128 v[5:8], v57 offset:1392
	s_waitcnt vmcnt(56) lgkmcnt(1)
	v_mul_f64 v[182:183], v[9:10], v[174:175]
	v_mul_f64 v[174:175], v[11:12], v[174:175]
	s_waitcnt vmcnt(54)
	v_fma_f64 v[23:24], v[1:2], v[180:181], -v[23:24]
	v_add_f64 v[15:16], v[15:16], v[176:177]
	v_fma_f64 v[176:177], v[3:4], v[180:181], v[186:187]
	v_add_f64 v[13:14], v[13:14], v[170:171]
	ds_read_b128 v[1:4], v57 offset:1408
	s_waitcnt vmcnt(52) lgkmcnt(1)
	v_mul_f64 v[170:171], v[5:6], v[27:28]
	v_mul_f64 v[27:28], v[7:8], v[27:28]
	s_waitcnt vmcnt(50)
	v_fma_f64 v[174:175], v[9:10], v[31:32], -v[174:175]
	v_add_f64 v[15:16], v[15:16], v[23:24]
	v_fma_f64 v[23:24], v[11:12], v[31:32], v[182:183]
	v_add_f64 v[13:14], v[13:14], v[176:177]
	s_clause 0x3
	buffer_load_dword v31, off, s[0:3], 0 offset:304
	buffer_load_dword v32, off, s[0:3], 0 offset:308
	;; [unrolled: 1-line block ×4, first 2 shown]
	ds_read_b128 v[9:12], v57 offset:1424
	s_waitcnt vmcnt(52) lgkmcnt(1)
	v_mul_f64 v[180:181], v[1:2], v[25:26]
	v_mul_f64 v[25:26], v[3:4], v[25:26]
	s_waitcnt vmcnt(50)
	v_fma_f64 v[27:28], v[5:6], v[29:30], -v[27:28]
	v_fma_f64 v[29:30], v[7:8], v[29:30], v[170:171]
	ds_read_b128 v[5:8], v57 offset:1440
	v_add_f64 v[15:16], v[15:16], v[174:175]
	v_add_f64 v[13:14], v[13:14], v[23:24]
	s_waitcnt vmcnt(48) lgkmcnt(1)
	v_mul_f64 v[23:24], v[9:10], v[19:20]
	v_mul_f64 v[19:20], v[11:12], v[19:20]
	s_waitcnt vmcnt(46)
	v_fma_f64 v[25:26], v[1:2], v[184:185], -v[25:26]
	v_add_f64 v[15:16], v[15:16], v[27:28]
	v_fma_f64 v[27:28], v[3:4], v[184:185], v[180:181]
	v_add_f64 v[13:14], v[13:14], v[29:30]
	ds_read_b128 v[1:4], v57 offset:1456
	s_waitcnt vmcnt(44) lgkmcnt(1)
	v_mul_f64 v[29:30], v[5:6], v[58:59]
	v_mul_f64 v[58:59], v[7:8], v[58:59]
	s_waitcnt vmcnt(42)
	v_fma_f64 v[19:20], v[9:10], v[62:63], -v[19:20]
	v_fma_f64 v[23:24], v[11:12], v[62:63], v[23:24]
	ds_read_b128 v[9:12], v57 offset:1472
	v_add_f64 v[15:16], v[15:16], v[25:26]
	v_add_f64 v[13:14], v[13:14], v[27:28]
	s_waitcnt vmcnt(40) lgkmcnt(1)
	v_mul_f64 v[25:26], v[1:2], v[21:22]
	v_mul_f64 v[21:22], v[3:4], v[21:22]
	s_waitcnt vmcnt(38)
	v_fma_f64 v[27:28], v[5:6], v[66:67], -v[58:59]
	v_add_f64 v[15:16], v[15:16], v[19:20]
	v_fma_f64 v[19:20], v[7:8], v[66:67], v[29:30]
	v_add_f64 v[13:14], v[13:14], v[23:24]
	;; [unrolled: 18-line block ×3, first 2 shown]
	ds_read_b128 v[9:12], v57 offset:1520
	s_waitcnt vmcnt(28) lgkmcnt(1)
	v_mul_f64 v[25:26], v[3:4], v[64:65]
	v_mul_f64 v[23:24], v[1:2], v[64:65]
	s_waitcnt vmcnt(26)
	v_fma_f64 v[27:28], v[5:6], v[155:156], -v[27:28]
	v_add_f64 v[15:16], v[15:16], v[17:18]
	v_fma_f64 v[17:18], v[7:8], v[155:156], v[19:20]
	v_add_f64 v[13:14], v[13:14], v[21:22]
	ds_read_b128 v[5:8], v57 offset:1536
	s_waitcnt vmcnt(24) lgkmcnt(1)
	v_mul_f64 v[21:22], v[11:12], v[145:146]
	v_mul_f64 v[19:20], v[9:10], v[145:146]
	s_waitcnt vmcnt(22)
	v_fma_f64 v[25:26], v[1:2], v[159:160], -v[25:26]
	v_fma_f64 v[23:24], v[3:4], v[159:160], v[23:24]
	ds_read_b128 v[1:4], v57 offset:1552
	v_add_f64 v[15:16], v[15:16], v[27:28]
	v_add_f64 v[13:14], v[13:14], v[17:18]
	s_waitcnt vmcnt(20) lgkmcnt(1)
	v_mul_f64 v[27:28], v[7:8], v[149:150]
	v_mul_f64 v[17:18], v[5:6], v[149:150]
	s_waitcnt vmcnt(18)
	v_fma_f64 v[21:22], v[9:10], v[164:165], -v[21:22]
	v_fma_f64 v[19:20], v[11:12], v[164:165], v[19:20]
	ds_read_b128 v[9:12], v57 offset:1568
	v_add_f64 v[15:16], v[15:16], v[25:26]
	v_add_f64 v[13:14], v[13:14], v[23:24]
	;; [unrolled: 9-line block ×3, first 2 shown]
	s_waitcnt vmcnt(12) lgkmcnt(1)
	v_mul_f64 v[21:22], v[11:12], v[157:158]
	v_mul_f64 v[19:20], v[9:10], v[157:158]
	s_waitcnt vmcnt(10)
	v_fma_f64 v[1:2], v[1:2], v[172:173], -v[25:26]
	v_fma_f64 v[3:4], v[3:4], v[172:173], v[23:24]
	v_add_f64 v[15:16], v[15:16], v[27:28]
	v_add_f64 v[13:14], v[13:14], v[17:18]
	s_waitcnt vmcnt(8) lgkmcnt(0)
	v_mul_f64 v[23:24], v[7:8], v[161:162]
	v_mul_f64 v[17:18], v[5:6], v[161:162]
	s_waitcnt vmcnt(6)
	v_fma_f64 v[9:10], v[9:10], v[178:179], -v[21:22]
	v_fma_f64 v[11:12], v[11:12], v[178:179], v[19:20]
	v_add_f64 v[1:2], v[15:16], v[1:2]
	v_add_f64 v[3:4], v[13:14], v[3:4]
	s_waitcnt vmcnt(4)
	v_fma_f64 v[5:6], v[5:6], v[166:167], -v[23:24]
	v_fma_f64 v[7:8], v[7:8], v[166:167], v[17:18]
	v_add_f64 v[1:2], v[1:2], v[9:10]
	v_add_f64 v[3:4], v[3:4], v[11:12]
	;; [unrolled: 1-line block ×4, first 2 shown]
	s_waitcnt vmcnt(2)
	v_add_f64 v[1:2], v[31:32], -v[1:2]
	s_waitcnt vmcnt(0)
	v_add_f64 v[3:4], v[176:177], -v[3:4]
	buffer_store_dword v2, off, s[0:3], 0 offset:308
	buffer_store_dword v1, off, s[0:3], 0 offset:304
	;; [unrolled: 1-line block ×4, first 2 shown]
	v_cmpx_lt_u32_e32 17, v0
	s_cbranch_execz .LBB49_279
; %bb.278:
	v_mov_b32_e32 v4, s45
	s_clause 0x3
	buffer_load_dword v1, v4, s[0:3], 0 offen
	buffer_load_dword v2, v4, s[0:3], 0 offen offset:4
	buffer_load_dword v3, v4, s[0:3], 0 offen offset:8
	;; [unrolled: 1-line block ×3, first 2 shown]
	buffer_store_dword v57, off, s[0:3], 0 offset:288
	buffer_store_dword v57, off, s[0:3], 0 offset:292
	;; [unrolled: 1-line block ×4, first 2 shown]
	s_waitcnt vmcnt(0)
	ds_write_b128 v163, v[1:4]
.LBB49_279:
	s_or_b32 exec_lo, exec_lo, s4
	s_waitcnt lgkmcnt(0)
	s_waitcnt_vscnt null, 0x0
	s_barrier
	buffer_gl0_inv
	s_clause 0x35
	buffer_load_dword v9, off, s[0:3], 0 offset:312
	buffer_load_dword v10, off, s[0:3], 0 offset:316
	;; [unrolled: 1-line block ×54, first 2 shown]
	ds_read_b128 v[58:61], v57 offset:1088
	s_clause 0x3
	buffer_load_dword v170, off, s[0:3], 0 offset:536
	buffer_load_dword v171, off, s[0:3], 0 offset:540
	;; [unrolled: 1-line block ×4, first 2 shown]
	ds_read_b128 v[62:65], v57 offset:1104
	s_clause 0x3
	buffer_load_dword v177, off, s[0:3], 0 offset:556
	buffer_load_dword v176, off, s[0:3], 0 offset:552
	;; [unrolled: 1-line block ×4, first 2 shown]
	ds_read_b128 v[145:148], v57 offset:1120
	s_mov_b32 s4, exec_lo
	s_waitcnt vmcnt(60) lgkmcnt(2)
	v_mul_f64 v[174:175], v[60:61], v[9:10]
	v_mul_f64 v[9:10], v[58:59], v[9:10]
	s_waitcnt vmcnt(58) lgkmcnt(1)
	v_mul_f64 v[180:181], v[64:65], v[5:6]
	s_waitcnt vmcnt(54) lgkmcnt(0)
	v_mul_f64 v[186:187], v[147:148], v[3:4]
	v_mul_f64 v[184:185], v[145:146], v[3:4]
	v_fma_f64 v[58:59], v[58:59], v[7:8], -v[174:175]
	v_mul_f64 v[174:175], v[62:63], v[5:6]
	v_fma_f64 v[9:10], v[60:61], v[7:8], v[9:10]
	s_clause 0x3
	buffer_load_dword v60, off, s[0:3], 0 offset:568
	buffer_load_dword v61, off, s[0:3], 0 offset:572
	;; [unrolled: 1-line block ×4, first 2 shown]
	s_waitcnt vmcnt(56)
	v_fma_f64 v[62:63], v[62:63], v[1:2], -v[180:181]
	ds_read_b128 v[5:8], v57 offset:1136
	s_waitcnt vmcnt(52)
	v_fma_f64 v[145:146], v[145:146], v[19:20], -v[186:187]
	v_fma_f64 v[19:20], v[147:148], v[19:20], v[184:185]
	v_add_f64 v[58:59], v[58:59], 0
	v_fma_f64 v[64:65], v[64:65], v[1:2], v[174:175]
	v_add_f64 v[9:10], v[9:10], 0
	s_clause 0x3
	buffer_load_dword v175, off, s[0:3], 0 offset:588
	buffer_load_dword v174, off, s[0:3], 0 offset:584
	buffer_load_dword v180, off, s[0:3], 0 offset:560
	buffer_load_dword v181, off, s[0:3], 0 offset:564
	s_waitcnt lgkmcnt(0)
	v_mul_f64 v[190:191], v[7:8], v[11:12]
	ds_read_b128 v[1:4], v57 offset:1152
	v_mul_f64 v[188:189], v[5:6], v[11:12]
	v_add_f64 v[58:59], v[58:59], v[62:63]
	v_add_f64 v[62:63], v[9:10], v[64:65]
	s_clause 0x3
	buffer_load_dword v64, off, s[0:3], 0 offset:600
	buffer_load_dword v65, off, s[0:3], 0 offset:604
	;; [unrolled: 1-line block ×4, first 2 shown]
	s_waitcnt vmcnt(58) lgkmcnt(0)
	v_mul_f64 v[184:185], v[1:2], v[15:16]
	v_mul_f64 v[15:16], v[3:4], v[15:16]
	s_waitcnt vmcnt(56)
	v_fma_f64 v[186:187], v[5:6], v[13:14], -v[190:191]
	ds_read_b128 v[9:12], v57 offset:1168
	v_fma_f64 v[13:14], v[7:8], v[13:14], v[188:189]
	v_add_f64 v[58:59], v[58:59], v[145:146]
	v_add_f64 v[19:20], v[62:63], v[19:20]
	s_clause 0x3
	buffer_load_dword v63, off, s[0:3], 0 offset:620
	buffer_load_dword v62, off, s[0:3], 0 offset:616
	buffer_load_dword v145, off, s[0:3], 0 offset:592
	buffer_load_dword v146, off, s[0:3], 0 offset:596
	ds_read_b128 v[5:8], v57 offset:1184
	s_waitcnt vmcnt(58) lgkmcnt(1)
	v_mul_f64 v[188:189], v[9:10], v[17:18]
	v_mul_f64 v[17:18], v[11:12], v[17:18]
	s_waitcnt vmcnt(56)
	v_fma_f64 v[15:16], v[1:2], v[27:28], -v[15:16]
	v_fma_f64 v[27:28], v[3:4], v[27:28], v[184:185]
	v_add_f64 v[58:59], v[58:59], v[186:187]
	v_add_f64 v[13:14], v[19:20], v[13:14]
	s_clause 0x3
	buffer_load_dword v19, off, s[0:3], 0 offset:632
	buffer_load_dword v20, off, s[0:3], 0 offset:636
	;; [unrolled: 1-line block ×4, first 2 shown]
	s_waitcnt vmcnt(58) lgkmcnt(0)
	v_mul_f64 v[186:187], v[5:6], v[23:24]
	v_mul_f64 v[23:24], v[7:8], v[23:24]
	s_waitcnt vmcnt(56)
	v_fma_f64 v[17:18], v[9:10], v[21:22], -v[17:18]
	ds_read_b128 v[1:4], v57 offset:1200
	v_fma_f64 v[21:22], v[11:12], v[21:22], v[188:189]
	v_add_f64 v[15:16], v[58:59], v[15:16]
	v_add_f64 v[13:14], v[13:14], v[27:28]
	s_clause 0x3
	buffer_load_dword v28, off, s[0:3], 0 offset:652
	buffer_load_dword v27, off, s[0:3], 0 offset:648
	buffer_load_dword v58, off, s[0:3], 0 offset:624
	buffer_load_dword v59, off, s[0:3], 0 offset:628
	ds_read_b128 v[9:12], v57 offset:1216
	s_waitcnt vmcnt(58) lgkmcnt(1)
	v_mul_f64 v[188:189], v[1:2], v[25:26]
	v_mul_f64 v[25:26], v[3:4], v[25:26]
	s_waitcnt vmcnt(56)
	v_fma_f64 v[23:24], v[5:6], v[66:67], -v[23:24]
	v_add_f64 v[15:16], v[15:16], v[17:18]
	v_fma_f64 v[17:18], v[7:8], v[66:67], v[186:187]
	v_add_f64 v[13:14], v[13:14], v[21:22]
	s_clause 0x3
	buffer_load_dword v21, off, s[0:3], 0 offset:664
	buffer_load_dword v22, off, s[0:3], 0 offset:668
	buffer_load_dword v67, off, s[0:3], 0 offset:644
	buffer_load_dword v66, off, s[0:3], 0 offset:640
	s_waitcnt vmcnt(58) lgkmcnt(0)
	v_mul_f64 v[186:187], v[9:10], v[31:32]
	v_mul_f64 v[31:32], v[11:12], v[31:32]
	s_waitcnt vmcnt(56)
	v_fma_f64 v[25:26], v[1:2], v[29:30], -v[25:26]
	ds_read_b128 v[5:8], v57 offset:1232
	v_add_f64 v[15:16], v[15:16], v[23:24]
	v_fma_f64 v[23:24], v[3:4], v[29:30], v[188:189]
	v_add_f64 v[13:14], v[13:14], v[17:18]
	s_clause 0x3
	buffer_load_dword v18, off, s[0:3], 0 offset:684
	buffer_load_dword v17, off, s[0:3], 0 offset:680
	buffer_load_dword v29, off, s[0:3], 0 offset:656
	buffer_load_dword v30, off, s[0:3], 0 offset:660
	ds_read_b128 v[1:4], v57 offset:1248
	s_waitcnt vmcnt(58) lgkmcnt(1)
	v_mul_f64 v[188:189], v[5:6], v[149:150]
	v_mul_f64 v[149:150], v[7:8], v[149:150]
	s_waitcnt vmcnt(56)
	v_fma_f64 v[31:32], v[9:10], v[151:152], -v[31:32]
	v_add_f64 v[15:16], v[15:16], v[25:26]
	v_fma_f64 v[25:26], v[11:12], v[151:152], v[186:187]
	v_add_f64 v[13:14], v[13:14], v[23:24]
	s_clause 0x3
	buffer_load_dword v23, off, s[0:3], 0 offset:696
	buffer_load_dword v24, off, s[0:3], 0 offset:700
	buffer_load_dword v152, off, s[0:3], 0 offset:676
	buffer_load_dword v151, off, s[0:3], 0 offset:672
	s_waitcnt vmcnt(58) lgkmcnt(0)
	v_mul_f64 v[186:187], v[1:2], v[153:154]
	v_mul_f64 v[153:154], v[3:4], v[153:154]
	s_waitcnt vmcnt(56)
	v_fma_f64 v[149:150], v[5:6], v[155:156], -v[149:150]
	ds_read_b128 v[9:12], v57 offset:1264
	v_add_f64 v[15:16], v[15:16], v[31:32]
	v_fma_f64 v[31:32], v[7:8], v[155:156], v[188:189]
	;; [unrolled: 28-line block ×4, first 2 shown]
	v_add_f64 v[13:14], v[13:14], v[157:158]
	s_clause 0x3
	buffer_load_dword v158, off, s[0:3], 0 offset:780
	buffer_load_dword v157, off, s[0:3], 0 offset:776
	buffer_load_dword v172, off, s[0:3], 0 offset:752
	buffer_load_dword v173, off, s[0:3], 0 offset:756
	ds_read_b128 v[1:4], v57 offset:1344
	s_waitcnt vmcnt(58) lgkmcnt(1)
	v_mul_f64 v[188:189], v[5:6], v[176:177]
	v_mul_f64 v[176:177], v[7:8], v[176:177]
	s_waitcnt vmcnt(56)
	v_fma_f64 v[170:171], v[9:10], v[178:179], -v[170:171]
	v_add_f64 v[15:16], v[15:16], v[166:167]
	v_fma_f64 v[166:167], v[11:12], v[178:179], v[186:187]
	v_add_f64 v[13:14], v[13:14], v[161:162]
	s_clause 0x3
	buffer_load_dword v161, off, s[0:3], 0 offset:792
	buffer_load_dword v162, off, s[0:3], 0 offset:796
	buffer_load_dword v179, off, s[0:3], 0 offset:772
	buffer_load_dword v178, off, s[0:3], 0 offset:768
	ds_read_b128 v[9:12], v57 offset:1360
	s_waitcnt vmcnt(58) lgkmcnt(1)
	v_mul_f64 v[186:187], v[1:2], v[60:61]
	v_mul_f64 v[60:61], v[3:4], v[60:61]
	s_waitcnt vmcnt(56)
	v_fma_f64 v[176:177], v[5:6], v[182:183], -v[176:177]
	v_add_f64 v[15:16], v[15:16], v[170:171]
	v_fma_f64 v[170:171], v[7:8], v[182:183], v[188:189]
	;; [unrolled: 14-line block ×3, first 2 shown]
	v_add_f64 v[13:14], v[13:14], v[170:171]
	s_clause 0x1
	buffer_load_dword v171, off, s[0:3], 0 offset:804
	buffer_load_dword v170, off, s[0:3], 0 offset:800
	ds_read_b128 v[1:4], v57 offset:1392
	s_waitcnt vmcnt(56) lgkmcnt(1)
	v_mul_f64 v[180:181], v[5:6], v[64:65]
	v_mul_f64 v[64:65], v[7:8], v[64:65]
	s_waitcnt vmcnt(54)
	v_fma_f64 v[174:175], v[9:10], v[147:148], -v[174:175]
	v_add_f64 v[15:16], v[15:16], v[60:61]
	v_fma_f64 v[60:61], v[11:12], v[147:148], v[188:189]
	v_add_f64 v[13:14], v[13:14], v[176:177]
	ds_read_b128 v[9:12], v57 offset:1408
	s_waitcnt vmcnt(52) lgkmcnt(1)
	v_mul_f64 v[147:148], v[1:2], v[62:63]
	v_mul_f64 v[62:63], v[3:4], v[62:63]
	s_waitcnt vmcnt(50)
	v_fma_f64 v[64:65], v[5:6], v[145:146], -v[64:65]
	v_fma_f64 v[145:146], v[7:8], v[145:146], v[180:181]
	v_add_f64 v[15:16], v[15:16], v[174:175]
	v_add_f64 v[13:14], v[13:14], v[60:61]
	s_clause 0x3
	buffer_load_dword v60, off, s[0:3], 0 offset:288
	buffer_load_dword v61, off, s[0:3], 0 offset:292
	;; [unrolled: 1-line block ×4, first 2 shown]
	ds_read_b128 v[5:8], v57 offset:1424
	s_waitcnt vmcnt(52) lgkmcnt(1)
	v_mul_f64 v[176:177], v[9:10], v[19:20]
	v_mul_f64 v[19:20], v[11:12], v[19:20]
	s_waitcnt vmcnt(50)
	v_fma_f64 v[62:63], v[1:2], v[184:185], -v[62:63]
	v_add_f64 v[15:16], v[15:16], v[64:65]
	v_fma_f64 v[64:65], v[3:4], v[184:185], v[147:148]
	v_add_f64 v[13:14], v[13:14], v[145:146]
	ds_read_b128 v[1:4], v57 offset:1440
	s_waitcnt vmcnt(48) lgkmcnt(1)
	v_mul_f64 v[145:146], v[5:6], v[27:28]
	v_mul_f64 v[27:28], v[7:8], v[27:28]
	s_waitcnt vmcnt(46)
	v_fma_f64 v[19:20], v[9:10], v[58:59], -v[19:20]
	v_fma_f64 v[58:59], v[11:12], v[58:59], v[176:177]
	ds_read_b128 v[9:12], v57 offset:1456
	v_add_f64 v[15:16], v[15:16], v[62:63]
	v_add_f64 v[13:14], v[13:14], v[64:65]
	s_waitcnt vmcnt(44) lgkmcnt(1)
	v_mul_f64 v[62:63], v[1:2], v[21:22]
	v_mul_f64 v[21:22], v[3:4], v[21:22]
	s_waitcnt vmcnt(42)
	v_fma_f64 v[27:28], v[5:6], v[66:67], -v[27:28]
	v_add_f64 v[15:16], v[15:16], v[19:20]
	v_fma_f64 v[19:20], v[7:8], v[66:67], v[145:146]
	v_add_f64 v[13:14], v[13:14], v[58:59]
	ds_read_b128 v[5:8], v57 offset:1472
	s_waitcnt vmcnt(40) lgkmcnt(1)
	v_mul_f64 v[58:59], v[9:10], v[17:18]
	v_mul_f64 v[17:18], v[11:12], v[17:18]
	s_waitcnt vmcnt(38)
	v_fma_f64 v[21:22], v[1:2], v[29:30], -v[21:22]
	v_add_f64 v[15:16], v[15:16], v[27:28]
	v_fma_f64 v[27:28], v[3:4], v[29:30], v[62:63]
	v_add_f64 v[13:14], v[13:14], v[19:20]
	ds_read_b128 v[1:4], v57 offset:1488
	;; [unrolled: 9-line block ×5, first 2 shown]
	s_waitcnt vmcnt(24) lgkmcnt(1)
	v_mul_f64 v[27:28], v[7:8], v[149:150]
	v_mul_f64 v[17:18], v[5:6], v[149:150]
	s_waitcnt vmcnt(22)
	v_fma_f64 v[21:22], v[9:10], v[164:165], -v[21:22]
	v_fma_f64 v[19:20], v[11:12], v[164:165], v[19:20]
	ds_read_b128 v[9:12], v57 offset:1552
	v_add_f64 v[15:16], v[15:16], v[25:26]
	v_add_f64 v[13:14], v[13:14], v[23:24]
	s_waitcnt vmcnt(20) lgkmcnt(1)
	v_mul_f64 v[25:26], v[3:4], v[153:154]
	v_mul_f64 v[23:24], v[1:2], v[153:154]
	s_waitcnt vmcnt(18)
	v_fma_f64 v[27:28], v[5:6], v[168:169], -v[27:28]
	v_fma_f64 v[17:18], v[7:8], v[168:169], v[17:18]
	ds_read_b128 v[5:8], v57 offset:1568
	v_add_f64 v[15:16], v[15:16], v[21:22]
	v_add_f64 v[13:14], v[13:14], v[19:20]
	;; [unrolled: 9-line block ×3, first 2 shown]
	s_waitcnt vmcnt(12) lgkmcnt(1)
	v_mul_f64 v[27:28], v[7:8], v[161:162]
	v_mul_f64 v[17:18], v[5:6], v[161:162]
	s_waitcnt vmcnt(10)
	v_fma_f64 v[9:10], v[9:10], v[178:179], -v[21:22]
	v_fma_f64 v[11:12], v[11:12], v[178:179], v[19:20]
	v_add_f64 v[15:16], v[15:16], v[25:26]
	v_add_f64 v[13:14], v[13:14], v[23:24]
	s_waitcnt vmcnt(8) lgkmcnt(0)
	v_mul_f64 v[21:22], v[3:4], v[166:167]
	v_mul_f64 v[19:20], v[1:2], v[166:167]
	s_waitcnt vmcnt(6)
	v_fma_f64 v[5:6], v[5:6], v[182:183], -v[27:28]
	v_fma_f64 v[7:8], v[7:8], v[182:183], v[17:18]
	v_add_f64 v[9:10], v[15:16], v[9:10]
	v_add_f64 v[11:12], v[13:14], v[11:12]
	s_waitcnt vmcnt(4)
	v_fma_f64 v[1:2], v[1:2], v[170:171], -v[21:22]
	v_fma_f64 v[3:4], v[3:4], v[170:171], v[19:20]
	v_add_f64 v[5:6], v[9:10], v[5:6]
	v_add_f64 v[7:8], v[11:12], v[7:8]
	;; [unrolled: 1-line block ×4, first 2 shown]
	s_waitcnt vmcnt(2)
	v_add_f64 v[1:2], v[60:61], -v[1:2]
	s_waitcnt vmcnt(0)
	v_add_f64 v[3:4], v[174:175], -v[3:4]
	buffer_store_dword v2, off, s[0:3], 0 offset:292
	buffer_store_dword v1, off, s[0:3], 0 offset:288
	;; [unrolled: 1-line block ×4, first 2 shown]
	v_cmpx_lt_u32_e32 16, v0
	s_cbranch_execz .LBB49_281
; %bb.280:
	v_mov_b32_e32 v4, s46
	v_mov_b32_e32 v5, 0
	s_clause 0x3
	buffer_load_dword v1, v4, s[0:3], 0 offen
	buffer_load_dword v2, v4, s[0:3], 0 offen offset:4
	buffer_load_dword v3, v4, s[0:3], 0 offen offset:8
	;; [unrolled: 1-line block ×3, first 2 shown]
	buffer_store_dword v5, off, s[0:3], 0 offset:272
	buffer_store_dword v5, off, s[0:3], 0 offset:276
	;; [unrolled: 1-line block ×4, first 2 shown]
	s_waitcnt vmcnt(0)
	ds_write_b128 v163, v[1:4]
.LBB49_281:
	s_or_b32 exec_lo, exec_lo, s4
	s_waitcnt lgkmcnt(0)
	s_waitcnt_vscnt null, 0x0
	s_barrier
	buffer_gl0_inv
	s_clause 0x35
	buffer_load_dword v9, off, s[0:3], 0 offset:296
	buffer_load_dword v10, off, s[0:3], 0 offset:300
	;; [unrolled: 1-line block ×54, first 2 shown]
	v_mov_b32_e32 v153, 0
	s_mov_b32 s4, exec_lo
	ds_read_b128 v[145:148], v153 offset:1072
	s_clause 0x3
	buffer_load_dword v170, off, s[0:3], 0 offset:520
	buffer_load_dword v171, off, s[0:3], 0 offset:524
	;; [unrolled: 1-line block ×4, first 2 shown]
	ds_read_b128 v[149:152], v153 offset:1088
	s_clause 0x3
	buffer_load_dword v177, off, s[0:3], 0 offset:540
	buffer_load_dword v176, off, s[0:3], 0 offset:536
	buffer_load_dword v178, off, s[0:3], 0 offset:512
	buffer_load_dword v179, off, s[0:3], 0 offset:516
	ds_read_b128 v[154:157], v153 offset:1104
	s_waitcnt vmcnt(60) lgkmcnt(2)
	v_mul_f64 v[174:175], v[147:148], v[9:10]
	v_mul_f64 v[9:10], v[145:146], v[9:10]
	s_waitcnt vmcnt(58) lgkmcnt(1)
	v_mul_f64 v[180:181], v[151:152], v[5:6]
	s_waitcnt vmcnt(54) lgkmcnt(0)
	v_mul_f64 v[186:187], v[156:157], v[3:4]
	v_mul_f64 v[184:185], v[154:155], v[3:4]
	v_fma_f64 v[145:146], v[145:146], v[7:8], -v[174:175]
	v_mul_f64 v[174:175], v[149:150], v[5:6]
	v_fma_f64 v[9:10], v[147:148], v[7:8], v[9:10]
	s_clause 0x3
	buffer_load_dword v147, off, s[0:3], 0 offset:552
	buffer_load_dword v148, off, s[0:3], 0 offset:556
	;; [unrolled: 1-line block ×4, first 2 shown]
	s_waitcnt vmcnt(56)
	v_fma_f64 v[149:150], v[149:150], v[1:2], -v[180:181]
	ds_read_b128 v[5:8], v153 offset:1120
	s_waitcnt vmcnt(52)
	v_fma_f64 v[154:155], v[154:155], v[19:20], -v[186:187]
	v_fma_f64 v[19:20], v[156:157], v[19:20], v[184:185]
	v_add_f64 v[145:146], v[145:146], 0
	v_fma_f64 v[151:152], v[151:152], v[1:2], v[174:175]
	v_add_f64 v[9:10], v[9:10], 0
	s_clause 0x3
	buffer_load_dword v175, off, s[0:3], 0 offset:572
	buffer_load_dword v174, off, s[0:3], 0 offset:568
	;; [unrolled: 1-line block ×4, first 2 shown]
	s_waitcnt lgkmcnt(0)
	v_mul_f64 v[190:191], v[7:8], v[11:12]
	ds_read_b128 v[1:4], v153 offset:1136
	v_mul_f64 v[188:189], v[5:6], v[11:12]
	v_add_f64 v[145:146], v[145:146], v[149:150]
	v_add_f64 v[149:150], v[9:10], v[151:152]
	s_clause 0x3
	buffer_load_dword v151, off, s[0:3], 0 offset:584
	buffer_load_dword v152, off, s[0:3], 0 offset:588
	;; [unrolled: 1-line block ×4, first 2 shown]
	s_waitcnt vmcnt(58) lgkmcnt(0)
	v_mul_f64 v[184:185], v[1:2], v[15:16]
	v_mul_f64 v[15:16], v[3:4], v[15:16]
	s_waitcnt vmcnt(56)
	v_fma_f64 v[186:187], v[5:6], v[13:14], -v[190:191]
	ds_read_b128 v[9:12], v153 offset:1152
	v_fma_f64 v[13:14], v[7:8], v[13:14], v[188:189]
	v_add_f64 v[145:146], v[145:146], v[154:155]
	v_add_f64 v[19:20], v[149:150], v[19:20]
	s_clause 0x3
	buffer_load_dword v150, off, s[0:3], 0 offset:604
	buffer_load_dword v149, off, s[0:3], 0 offset:600
	;; [unrolled: 1-line block ×4, first 2 shown]
	ds_read_b128 v[5:8], v153 offset:1168
	s_waitcnt vmcnt(58) lgkmcnt(1)
	v_mul_f64 v[188:189], v[9:10], v[17:18]
	v_mul_f64 v[17:18], v[11:12], v[17:18]
	s_waitcnt vmcnt(56)
	v_fma_f64 v[15:16], v[1:2], v[27:28], -v[15:16]
	v_fma_f64 v[27:28], v[3:4], v[27:28], v[184:185]
	v_add_f64 v[145:146], v[145:146], v[186:187]
	v_add_f64 v[13:14], v[19:20], v[13:14]
	s_clause 0x3
	buffer_load_dword v19, off, s[0:3], 0 offset:616
	buffer_load_dword v20, off, s[0:3], 0 offset:620
	;; [unrolled: 1-line block ×4, first 2 shown]
	s_waitcnt vmcnt(58) lgkmcnt(0)
	v_mul_f64 v[186:187], v[5:6], v[23:24]
	v_mul_f64 v[23:24], v[7:8], v[23:24]
	s_waitcnt vmcnt(56)
	v_fma_f64 v[17:18], v[9:10], v[21:22], -v[17:18]
	ds_read_b128 v[1:4], v153 offset:1184
	v_fma_f64 v[21:22], v[11:12], v[21:22], v[188:189]
	v_add_f64 v[15:16], v[145:146], v[15:16]
	v_add_f64 v[13:14], v[13:14], v[27:28]
	s_clause 0x3
	buffer_load_dword v28, off, s[0:3], 0 offset:636
	buffer_load_dword v27, off, s[0:3], 0 offset:632
	buffer_load_dword v145, off, s[0:3], 0 offset:608
	buffer_load_dword v146, off, s[0:3], 0 offset:612
	ds_read_b128 v[9:12], v153 offset:1200
	s_waitcnt vmcnt(58) lgkmcnt(1)
	v_mul_f64 v[188:189], v[1:2], v[25:26]
	v_mul_f64 v[25:26], v[3:4], v[25:26]
	s_waitcnt vmcnt(56)
	v_fma_f64 v[23:24], v[5:6], v[59:60], -v[23:24]
	v_add_f64 v[15:16], v[15:16], v[17:18]
	v_fma_f64 v[17:18], v[7:8], v[59:60], v[186:187]
	v_add_f64 v[13:14], v[13:14], v[21:22]
	s_clause 0x3
	buffer_load_dword v21, off, s[0:3], 0 offset:648
	buffer_load_dword v22, off, s[0:3], 0 offset:652
	buffer_load_dword v60, off, s[0:3], 0 offset:628
	buffer_load_dword v59, off, s[0:3], 0 offset:624
	s_waitcnt vmcnt(58) lgkmcnt(0)
	v_mul_f64 v[186:187], v[9:10], v[31:32]
	v_mul_f64 v[31:32], v[11:12], v[31:32]
	s_waitcnt vmcnt(56)
	v_fma_f64 v[25:26], v[1:2], v[29:30], -v[25:26]
	ds_read_b128 v[5:8], v153 offset:1216
	v_add_f64 v[15:16], v[15:16], v[23:24]
	v_fma_f64 v[23:24], v[3:4], v[29:30], v[188:189]
	v_add_f64 v[13:14], v[13:14], v[17:18]
	s_clause 0x3
	buffer_load_dword v18, off, s[0:3], 0 offset:668
	buffer_load_dword v17, off, s[0:3], 0 offset:664
	buffer_load_dword v29, off, s[0:3], 0 offset:640
	buffer_load_dword v30, off, s[0:3], 0 offset:644
	ds_read_b128 v[1:4], v153 offset:1232
	s_waitcnt vmcnt(58) lgkmcnt(1)
	v_mul_f64 v[188:189], v[5:6], v[57:58]
	v_mul_f64 v[57:58], v[7:8], v[57:58]
	s_waitcnt vmcnt(56)
	v_fma_f64 v[31:32], v[9:10], v[67:68], -v[31:32]
	v_add_f64 v[15:16], v[15:16], v[25:26]
	v_fma_f64 v[25:26], v[11:12], v[67:68], v[186:187]
	v_add_f64 v[13:14], v[13:14], v[23:24]
	s_clause 0x3
	buffer_load_dword v23, off, s[0:3], 0 offset:680
	buffer_load_dword v24, off, s[0:3], 0 offset:684
	buffer_load_dword v68, off, s[0:3], 0 offset:660
	buffer_load_dword v67, off, s[0:3], 0 offset:656
	s_waitcnt vmcnt(58) lgkmcnt(0)
	v_mul_f64 v[186:187], v[1:2], v[63:64]
	v_mul_f64 v[63:64], v[3:4], v[63:64]
	s_waitcnt vmcnt(56)
	v_fma_f64 v[57:58], v[5:6], v[61:62], -v[57:58]
	ds_read_b128 v[9:12], v153 offset:1248
	v_add_f64 v[15:16], v[15:16], v[31:32]
	v_fma_f64 v[31:32], v[7:8], v[61:62], v[188:189]
	;; [unrolled: 28-line block ×4, first 2 shown]
	v_add_f64 v[13:14], v[13:14], v[65:66]
	s_clause 0x3
	buffer_load_dword v66, off, s[0:3], 0 offset:764
	buffer_load_dword v65, off, s[0:3], 0 offset:760
	buffer_load_dword v172, off, s[0:3], 0 offset:736
	buffer_load_dword v173, off, s[0:3], 0 offset:740
	ds_read_b128 v[1:4], v153 offset:1328
	s_waitcnt vmcnt(58) lgkmcnt(1)
	v_mul_f64 v[188:189], v[5:6], v[176:177]
	v_mul_f64 v[176:177], v[7:8], v[176:177]
	s_waitcnt vmcnt(56)
	v_fma_f64 v[170:171], v[9:10], v[178:179], -v[170:171]
	v_add_f64 v[15:16], v[15:16], v[166:167]
	v_fma_f64 v[166:167], v[11:12], v[178:179], v[186:187]
	v_add_f64 v[13:14], v[13:14], v[160:161]
	s_clause 0x3
	buffer_load_dword v160, off, s[0:3], 0 offset:776
	buffer_load_dword v161, off, s[0:3], 0 offset:780
	buffer_load_dword v179, off, s[0:3], 0 offset:756
	buffer_load_dword v178, off, s[0:3], 0 offset:752
	ds_read_b128 v[9:12], v153 offset:1344
	s_waitcnt vmcnt(58) lgkmcnt(1)
	v_mul_f64 v[186:187], v[1:2], v[147:148]
	v_mul_f64 v[147:148], v[3:4], v[147:148]
	s_waitcnt vmcnt(56)
	v_fma_f64 v[176:177], v[5:6], v[182:183], -v[176:177]
	v_add_f64 v[15:16], v[15:16], v[170:171]
	v_fma_f64 v[170:171], v[7:8], v[182:183], v[188:189]
	;; [unrolled: 14-line block ×4, first 2 shown]
	v_add_f64 v[13:14], v[13:14], v[176:177]
	s_clause 0x1
	buffer_load_dword v156, off, s[0:3], 0 offset:800
	buffer_load_dword v157, off, s[0:3], 0 offset:804
	ds_read_b128 v[9:12], v153 offset:1392
	s_waitcnt vmcnt(56) lgkmcnt(1)
	v_mul_f64 v[176:177], v[1:2], v[149:150]
	v_mul_f64 v[149:150], v[3:4], v[149:150]
	s_waitcnt vmcnt(54)
	v_fma_f64 v[151:152], v[5:6], v[154:155], -v[151:152]
	v_fma_f64 v[154:155], v[7:8], v[154:155], v[186:187]
	ds_read_b128 v[5:8], v153 offset:1408
	v_add_f64 v[15:16], v[15:16], v[174:175]
	v_add_f64 v[13:14], v[13:14], v[147:148]
	s_waitcnt vmcnt(52) lgkmcnt(1)
	v_mul_f64 v[147:148], v[9:10], v[19:20]
	v_mul_f64 v[19:20], v[11:12], v[19:20]
	s_waitcnt vmcnt(50)
	v_fma_f64 v[149:150], v[1:2], v[184:185], -v[149:150]
	v_add_f64 v[15:16], v[15:16], v[151:152]
	v_fma_f64 v[151:152], v[3:4], v[184:185], v[176:177]
	v_add_f64 v[13:14], v[13:14], v[154:155]
	s_clause 0x3
	buffer_load_dword v154, off, s[0:3], 0 offset:272
	buffer_load_dword v155, off, s[0:3], 0 offset:276
	;; [unrolled: 1-line block ×4, first 2 shown]
	ds_read_b128 v[1:4], v153 offset:1424
	s_waitcnt vmcnt(52) lgkmcnt(1)
	v_mul_f64 v[176:177], v[5:6], v[27:28]
	v_mul_f64 v[27:28], v[7:8], v[27:28]
	s_waitcnt vmcnt(50)
	v_fma_f64 v[19:20], v[9:10], v[145:146], -v[19:20]
	v_fma_f64 v[145:146], v[11:12], v[145:146], v[147:148]
	ds_read_b128 v[9:12], v153 offset:1440
	v_add_f64 v[15:16], v[15:16], v[149:150]
	v_add_f64 v[13:14], v[13:14], v[151:152]
	s_waitcnt vmcnt(48) lgkmcnt(1)
	v_mul_f64 v[147:148], v[1:2], v[21:22]
	v_mul_f64 v[21:22], v[3:4], v[21:22]
	s_waitcnt vmcnt(46)
	v_fma_f64 v[27:28], v[5:6], v[59:60], -v[27:28]
	v_add_f64 v[15:16], v[15:16], v[19:20]
	v_fma_f64 v[19:20], v[7:8], v[59:60], v[176:177]
	v_add_f64 v[13:14], v[13:14], v[145:146]
	ds_read_b128 v[5:8], v153 offset:1456
	s_waitcnt vmcnt(44) lgkmcnt(1)
	v_mul_f64 v[59:60], v[9:10], v[17:18]
	v_mul_f64 v[17:18], v[11:12], v[17:18]
	s_waitcnt vmcnt(42)
	v_fma_f64 v[21:22], v[1:2], v[29:30], -v[21:22]
	v_add_f64 v[15:16], v[15:16], v[27:28]
	v_fma_f64 v[27:28], v[3:4], v[29:30], v[147:148]
	v_add_f64 v[13:14], v[13:14], v[19:20]
	ds_read_b128 v[1:4], v153 offset:1472
	;; [unrolled: 9-line block ×5, first 2 shown]
	s_waitcnt vmcnt(28) lgkmcnt(1)
	v_mul_f64 v[27:28], v[7:8], v[57:58]
	v_mul_f64 v[17:18], v[5:6], v[57:58]
	s_waitcnt vmcnt(26)
	v_fma_f64 v[21:22], v[9:10], v[164:165], -v[21:22]
	v_fma_f64 v[19:20], v[11:12], v[164:165], v[19:20]
	ds_read_b128 v[9:12], v153 offset:1536
	v_add_f64 v[15:16], v[15:16], v[25:26]
	v_add_f64 v[13:14], v[13:14], v[23:24]
	s_waitcnt vmcnt(24) lgkmcnt(1)
	v_mul_f64 v[25:26], v[3:4], v[63:64]
	v_mul_f64 v[23:24], v[1:2], v[63:64]
	s_waitcnt vmcnt(22)
	v_fma_f64 v[27:28], v[5:6], v[168:169], -v[27:28]
	v_fma_f64 v[17:18], v[7:8], v[168:169], v[17:18]
	ds_read_b128 v[5:8], v153 offset:1552
	v_add_f64 v[15:16], v[15:16], v[21:22]
	v_add_f64 v[13:14], v[13:14], v[19:20]
	;; [unrolled: 9-line block ×4, first 2 shown]
	s_waitcnt vmcnt(12) lgkmcnt(1)
	v_mul_f64 v[25:26], v[3:4], v[166:167]
	v_mul_f64 v[23:24], v[1:2], v[166:167]
	s_waitcnt vmcnt(10)
	v_fma_f64 v[5:6], v[5:6], v[182:183], -v[27:28]
	v_fma_f64 v[7:8], v[7:8], v[182:183], v[17:18]
	v_add_f64 v[15:16], v[15:16], v[21:22]
	v_add_f64 v[13:14], v[13:14], v[19:20]
	s_waitcnt vmcnt(8) lgkmcnt(0)
	v_mul_f64 v[19:20], v[11:12], v[170:171]
	v_mul_f64 v[17:18], v[9:10], v[170:171]
	s_waitcnt vmcnt(6)
	v_fma_f64 v[1:2], v[1:2], v[180:181], -v[25:26]
	v_fma_f64 v[3:4], v[3:4], v[180:181], v[23:24]
	v_add_f64 v[5:6], v[15:16], v[5:6]
	v_add_f64 v[7:8], v[13:14], v[7:8]
	s_waitcnt vmcnt(4)
	v_fma_f64 v[9:10], v[9:10], v[156:157], -v[19:20]
	v_add_f64 v[1:2], v[5:6], v[1:2]
	v_fma_f64 v[5:6], v[11:12], v[156:157], v[17:18]
	v_add_f64 v[3:4], v[7:8], v[3:4]
	v_add_f64 v[1:2], v[1:2], v[9:10]
	;; [unrolled: 1-line block ×3, first 2 shown]
	s_waitcnt vmcnt(2)
	v_add_f64 v[1:2], v[154:155], -v[1:2]
	s_waitcnt vmcnt(0)
	v_add_f64 v[3:4], v[174:175], -v[3:4]
	buffer_store_dword v2, off, s[0:3], 0 offset:276
	buffer_store_dword v1, off, s[0:3], 0 offset:272
	;; [unrolled: 1-line block ×4, first 2 shown]
	v_cmpx_lt_u32_e32 15, v0
	s_cbranch_execz .LBB49_283
; %bb.282:
	v_mov_b32_e32 v4, s47
	s_clause 0x3
	buffer_load_dword v1, v4, s[0:3], 0 offen
	buffer_load_dword v2, v4, s[0:3], 0 offen offset:4
	buffer_load_dword v3, v4, s[0:3], 0 offen offset:8
	;; [unrolled: 1-line block ×3, first 2 shown]
	buffer_store_dword v153, off, s[0:3], 0 offset:256
	buffer_store_dword v153, off, s[0:3], 0 offset:260
	;; [unrolled: 1-line block ×4, first 2 shown]
	s_waitcnt vmcnt(0)
	ds_write_b128 v163, v[1:4]
.LBB49_283:
	s_or_b32 exec_lo, exec_lo, s4
	s_waitcnt lgkmcnt(0)
	s_waitcnt_vscnt null, 0x0
	s_barrier
	buffer_gl0_inv
	s_clause 0x35
	buffer_load_dword v9, off, s[0:3], 0 offset:280
	buffer_load_dword v10, off, s[0:3], 0 offset:284
	;; [unrolled: 1-line block ×54, first 2 shown]
	ds_read_b128 v[154:157], v153 offset:1056
	s_clause 0x3
	buffer_load_dword v170, off, s[0:3], 0 offset:504
	buffer_load_dword v171, off, s[0:3], 0 offset:508
	;; [unrolled: 1-line block ×4, first 2 shown]
	ds_read_b128 v[158:161], v153 offset:1072
	s_clause 0x3
	buffer_load_dword v177, off, s[0:3], 0 offset:524
	buffer_load_dword v176, off, s[0:3], 0 offset:520
	;; [unrolled: 1-line block ×4, first 2 shown]
	ds_read_b128 v[164:167], v153 offset:1088
	s_mov_b32 s4, exec_lo
	s_waitcnt vmcnt(60) lgkmcnt(2)
	v_mul_f64 v[174:175], v[156:157], v[9:10]
	v_mul_f64 v[9:10], v[154:155], v[9:10]
	s_waitcnt vmcnt(58) lgkmcnt(1)
	v_mul_f64 v[180:181], v[160:161], v[5:6]
	s_waitcnt vmcnt(54) lgkmcnt(0)
	v_mul_f64 v[186:187], v[166:167], v[3:4]
	v_mul_f64 v[184:185], v[164:165], v[3:4]
	v_fma_f64 v[154:155], v[154:155], v[7:8], -v[174:175]
	v_mul_f64 v[174:175], v[158:159], v[5:6]
	v_fma_f64 v[9:10], v[156:157], v[7:8], v[9:10]
	s_clause 0x3
	buffer_load_dword v156, off, s[0:3], 0 offset:536
	buffer_load_dword v157, off, s[0:3], 0 offset:540
	;; [unrolled: 1-line block ×4, first 2 shown]
	s_waitcnt vmcnt(56)
	v_fma_f64 v[158:159], v[158:159], v[1:2], -v[180:181]
	ds_read_b128 v[5:8], v153 offset:1104
	s_waitcnt vmcnt(52)
	v_fma_f64 v[164:165], v[164:165], v[19:20], -v[186:187]
	v_fma_f64 v[19:20], v[166:167], v[19:20], v[184:185]
	v_add_f64 v[154:155], v[154:155], 0
	v_fma_f64 v[160:161], v[160:161], v[1:2], v[174:175]
	v_add_f64 v[9:10], v[9:10], 0
	s_clause 0x3
	buffer_load_dword v175, off, s[0:3], 0 offset:556
	buffer_load_dword v174, off, s[0:3], 0 offset:552
	buffer_load_dword v180, off, s[0:3], 0 offset:528
	buffer_load_dword v181, off, s[0:3], 0 offset:532
	s_waitcnt lgkmcnt(0)
	v_mul_f64 v[190:191], v[7:8], v[11:12]
	ds_read_b128 v[1:4], v153 offset:1120
	v_mul_f64 v[188:189], v[5:6], v[11:12]
	v_add_f64 v[154:155], v[154:155], v[158:159]
	v_add_f64 v[158:159], v[9:10], v[160:161]
	s_clause 0x3
	buffer_load_dword v160, off, s[0:3], 0 offset:568
	buffer_load_dword v161, off, s[0:3], 0 offset:572
	;; [unrolled: 1-line block ×4, first 2 shown]
	s_waitcnt vmcnt(58) lgkmcnt(0)
	v_mul_f64 v[184:185], v[1:2], v[15:16]
	v_mul_f64 v[15:16], v[3:4], v[15:16]
	s_waitcnt vmcnt(56)
	v_fma_f64 v[186:187], v[5:6], v[13:14], -v[190:191]
	ds_read_b128 v[9:12], v153 offset:1136
	v_fma_f64 v[13:14], v[7:8], v[13:14], v[188:189]
	v_add_f64 v[154:155], v[154:155], v[164:165]
	v_add_f64 v[19:20], v[158:159], v[19:20]
	s_clause 0x3
	buffer_load_dword v159, off, s[0:3], 0 offset:588
	buffer_load_dword v158, off, s[0:3], 0 offset:584
	;; [unrolled: 1-line block ×4, first 2 shown]
	ds_read_b128 v[5:8], v153 offset:1152
	s_waitcnt vmcnt(58) lgkmcnt(1)
	v_mul_f64 v[188:189], v[9:10], v[17:18]
	v_mul_f64 v[17:18], v[11:12], v[17:18]
	s_waitcnt vmcnt(56)
	v_fma_f64 v[15:16], v[1:2], v[27:28], -v[15:16]
	v_fma_f64 v[27:28], v[3:4], v[27:28], v[184:185]
	v_add_f64 v[154:155], v[154:155], v[186:187]
	v_add_f64 v[13:14], v[19:20], v[13:14]
	s_clause 0x3
	buffer_load_dword v19, off, s[0:3], 0 offset:600
	buffer_load_dword v20, off, s[0:3], 0 offset:604
	;; [unrolled: 1-line block ×4, first 2 shown]
	s_waitcnt vmcnt(58) lgkmcnt(0)
	v_mul_f64 v[186:187], v[5:6], v[23:24]
	v_mul_f64 v[23:24], v[7:8], v[23:24]
	s_waitcnt vmcnt(56)
	v_fma_f64 v[17:18], v[9:10], v[21:22], -v[17:18]
	ds_read_b128 v[1:4], v153 offset:1168
	v_fma_f64 v[21:22], v[11:12], v[21:22], v[188:189]
	v_add_f64 v[15:16], v[154:155], v[15:16]
	v_add_f64 v[13:14], v[13:14], v[27:28]
	s_clause 0x3
	buffer_load_dword v28, off, s[0:3], 0 offset:620
	buffer_load_dword v27, off, s[0:3], 0 offset:616
	buffer_load_dword v154, off, s[0:3], 0 offset:592
	buffer_load_dword v155, off, s[0:3], 0 offset:596
	ds_read_b128 v[9:12], v153 offset:1184
	s_waitcnt vmcnt(58) lgkmcnt(1)
	v_mul_f64 v[188:189], v[1:2], v[25:26]
	v_mul_f64 v[25:26], v[3:4], v[25:26]
	s_waitcnt vmcnt(56)
	v_fma_f64 v[23:24], v[5:6], v[59:60], -v[23:24]
	v_add_f64 v[15:16], v[15:16], v[17:18]
	v_fma_f64 v[17:18], v[7:8], v[59:60], v[186:187]
	v_add_f64 v[13:14], v[13:14], v[21:22]
	s_clause 0x3
	buffer_load_dword v21, off, s[0:3], 0 offset:632
	buffer_load_dword v22, off, s[0:3], 0 offset:636
	buffer_load_dword v60, off, s[0:3], 0 offset:612
	buffer_load_dword v59, off, s[0:3], 0 offset:608
	s_waitcnt vmcnt(58) lgkmcnt(0)
	v_mul_f64 v[186:187], v[9:10], v[31:32]
	v_mul_f64 v[31:32], v[11:12], v[31:32]
	s_waitcnt vmcnt(56)
	v_fma_f64 v[25:26], v[1:2], v[29:30], -v[25:26]
	ds_read_b128 v[5:8], v153 offset:1200
	v_add_f64 v[15:16], v[15:16], v[23:24]
	v_fma_f64 v[23:24], v[3:4], v[29:30], v[188:189]
	v_add_f64 v[13:14], v[13:14], v[17:18]
	s_clause 0x3
	buffer_load_dword v18, off, s[0:3], 0 offset:652
	buffer_load_dword v17, off, s[0:3], 0 offset:648
	buffer_load_dword v29, off, s[0:3], 0 offset:624
	buffer_load_dword v30, off, s[0:3], 0 offset:628
	ds_read_b128 v[1:4], v153 offset:1216
	s_waitcnt vmcnt(58) lgkmcnt(1)
	v_mul_f64 v[188:189], v[5:6], v[57:58]
	v_mul_f64 v[57:58], v[7:8], v[57:58]
	s_waitcnt vmcnt(56)
	v_fma_f64 v[31:32], v[9:10], v[67:68], -v[31:32]
	v_add_f64 v[15:16], v[15:16], v[25:26]
	v_fma_f64 v[25:26], v[11:12], v[67:68], v[186:187]
	v_add_f64 v[13:14], v[13:14], v[23:24]
	s_clause 0x3
	buffer_load_dword v23, off, s[0:3], 0 offset:664
	buffer_load_dword v24, off, s[0:3], 0 offset:668
	buffer_load_dword v68, off, s[0:3], 0 offset:644
	buffer_load_dword v67, off, s[0:3], 0 offset:640
	s_waitcnt vmcnt(58) lgkmcnt(0)
	v_mul_f64 v[186:187], v[1:2], v[63:64]
	v_mul_f64 v[63:64], v[3:4], v[63:64]
	s_waitcnt vmcnt(56)
	v_fma_f64 v[57:58], v[5:6], v[61:62], -v[57:58]
	ds_read_b128 v[9:12], v153 offset:1232
	v_add_f64 v[15:16], v[15:16], v[31:32]
	v_fma_f64 v[31:32], v[7:8], v[61:62], v[188:189]
	;; [unrolled: 28-line block ×4, first 2 shown]
	v_add_f64 v[13:14], v[13:14], v[65:66]
	s_clause 0x3
	buffer_load_dword v66, off, s[0:3], 0 offset:748
	buffer_load_dword v65, off, s[0:3], 0 offset:744
	buffer_load_dword v172, off, s[0:3], 0 offset:720
	buffer_load_dword v173, off, s[0:3], 0 offset:724
	ds_read_b128 v[1:4], v153 offset:1312
	s_waitcnt vmcnt(58) lgkmcnt(1)
	v_mul_f64 v[188:189], v[5:6], v[176:177]
	v_mul_f64 v[176:177], v[7:8], v[176:177]
	s_waitcnt vmcnt(56)
	v_fma_f64 v[170:171], v[9:10], v[178:179], -v[170:171]
	v_add_f64 v[15:16], v[15:16], v[149:150]
	v_fma_f64 v[149:150], v[11:12], v[178:179], v[186:187]
	v_add_f64 v[13:14], v[13:14], v[147:148]
	s_clause 0x3
	buffer_load_dword v147, off, s[0:3], 0 offset:760
	buffer_load_dword v148, off, s[0:3], 0 offset:764
	buffer_load_dword v179, off, s[0:3], 0 offset:740
	buffer_load_dword v178, off, s[0:3], 0 offset:736
	ds_read_b128 v[9:12], v153 offset:1328
	s_waitcnt vmcnt(58) lgkmcnt(1)
	v_mul_f64 v[186:187], v[1:2], v[156:157]
	v_mul_f64 v[156:157], v[3:4], v[156:157]
	s_waitcnt vmcnt(56)
	v_fma_f64 v[176:177], v[5:6], v[182:183], -v[176:177]
	v_add_f64 v[15:16], v[15:16], v[170:171]
	v_fma_f64 v[170:171], v[7:8], v[182:183], v[188:189]
	;; [unrolled: 14-line block ×4, first 2 shown]
	v_add_f64 v[13:14], v[13:14], v[176:177]
	s_clause 0x3
	buffer_load_dword v167, off, s[0:3], 0 offset:812
	buffer_load_dword v166, off, s[0:3], 0 offset:808
	;; [unrolled: 1-line block ×4, first 2 shown]
	ds_read_b128 v[9:12], v153 offset:1376
	s_waitcnt vmcnt(58) lgkmcnt(1)
	v_mul_f64 v[188:189], v[1:2], v[158:159]
	v_mul_f64 v[158:159], v[3:4], v[158:159]
	s_waitcnt vmcnt(56)
	v_fma_f64 v[160:161], v[5:6], v[164:165], -v[160:161]
	v_fma_f64 v[164:165], v[7:8], v[164:165], v[186:187]
	v_add_f64 v[15:16], v[15:16], v[174:175]
	v_add_f64 v[13:14], v[13:14], v[156:157]
	s_clause 0x1
	buffer_load_dword v157, off, s[0:3], 0 offset:804
	buffer_load_dword v156, off, s[0:3], 0 offset:800
	ds_read_b128 v[5:8], v153 offset:1392
	s_waitcnt vmcnt(56) lgkmcnt(1)
	v_mul_f64 v[174:175], v[9:10], v[19:20]
	v_mul_f64 v[19:20], v[11:12], v[19:20]
	s_waitcnt vmcnt(54)
	v_fma_f64 v[158:159], v[1:2], v[184:185], -v[158:159]
	v_add_f64 v[15:16], v[15:16], v[160:161]
	v_fma_f64 v[160:161], v[3:4], v[184:185], v[188:189]
	v_add_f64 v[13:14], v[13:14], v[164:165]
	ds_read_b128 v[1:4], v153 offset:1408
	s_waitcnt vmcnt(52) lgkmcnt(1)
	v_mul_f64 v[164:165], v[5:6], v[27:28]
	v_mul_f64 v[27:28], v[7:8], v[27:28]
	s_waitcnt vmcnt(50)
	v_fma_f64 v[19:20], v[9:10], v[154:155], -v[19:20]
	v_fma_f64 v[154:155], v[11:12], v[154:155], v[174:175]
	v_add_f64 v[15:16], v[15:16], v[158:159]
	v_add_f64 v[13:14], v[13:14], v[160:161]
	s_clause 0x3
	buffer_load_dword v158, off, s[0:3], 0 offset:256
	buffer_load_dword v159, off, s[0:3], 0 offset:260
	;; [unrolled: 1-line block ×4, first 2 shown]
	ds_read_b128 v[9:12], v153 offset:1424
	s_waitcnt vmcnt(52) lgkmcnt(1)
	v_mul_f64 v[174:175], v[1:2], v[21:22]
	v_mul_f64 v[21:22], v[3:4], v[21:22]
	s_waitcnt vmcnt(50)
	v_fma_f64 v[27:28], v[5:6], v[59:60], -v[27:28]
	v_add_f64 v[15:16], v[15:16], v[19:20]
	v_fma_f64 v[19:20], v[7:8], v[59:60], v[164:165]
	v_add_f64 v[13:14], v[13:14], v[154:155]
	ds_read_b128 v[5:8], v153 offset:1440
	s_waitcnt vmcnt(48) lgkmcnt(1)
	v_mul_f64 v[59:60], v[9:10], v[17:18]
	v_mul_f64 v[17:18], v[11:12], v[17:18]
	s_waitcnt vmcnt(46)
	v_fma_f64 v[21:22], v[1:2], v[29:30], -v[21:22]
	v_add_f64 v[15:16], v[15:16], v[27:28]
	v_fma_f64 v[27:28], v[3:4], v[29:30], v[174:175]
	v_add_f64 v[13:14], v[13:14], v[19:20]
	;; [unrolled: 9-line block ×5, first 2 shown]
	ds_read_b128 v[1:4], v153 offset:1504
	s_waitcnt vmcnt(32) lgkmcnt(1)
	v_mul_f64 v[27:28], v[7:8], v[57:58]
	v_mul_f64 v[17:18], v[5:6], v[57:58]
	s_waitcnt vmcnt(30)
	v_fma_f64 v[21:22], v[9:10], v[145:146], -v[21:22]
	v_fma_f64 v[19:20], v[11:12], v[145:146], v[19:20]
	ds_read_b128 v[9:12], v153 offset:1520
	v_add_f64 v[15:16], v[15:16], v[25:26]
	v_add_f64 v[13:14], v[13:14], v[23:24]
	s_waitcnt vmcnt(28) lgkmcnt(1)
	v_mul_f64 v[25:26], v[3:4], v[63:64]
	v_mul_f64 v[23:24], v[1:2], v[63:64]
	s_waitcnt vmcnt(26)
	v_fma_f64 v[27:28], v[5:6], v[168:169], -v[27:28]
	v_fma_f64 v[17:18], v[7:8], v[168:169], v[17:18]
	ds_read_b128 v[5:8], v153 offset:1536
	v_add_f64 v[15:16], v[15:16], v[21:22]
	v_add_f64 v[13:14], v[13:14], v[19:20]
	;; [unrolled: 9-line block ×5, first 2 shown]
	s_waitcnt vmcnt(12) lgkmcnt(1)
	v_mul_f64 v[21:22], v[11:12], v[170:171]
	v_mul_f64 v[19:20], v[9:10], v[170:171]
	s_waitcnt vmcnt(10)
	v_fma_f64 v[1:2], v[1:2], v[180:181], -v[25:26]
	v_fma_f64 v[3:4], v[3:4], v[180:181], v[23:24]
	v_add_f64 v[15:16], v[15:16], v[27:28]
	v_add_f64 v[13:14], v[13:14], v[17:18]
	s_waitcnt vmcnt(8) lgkmcnt(0)
	v_mul_f64 v[23:24], v[7:8], v[166:167]
	v_mul_f64 v[17:18], v[5:6], v[166:167]
	s_waitcnt vmcnt(6)
	v_fma_f64 v[9:10], v[9:10], v[176:177], -v[21:22]
	v_fma_f64 v[11:12], v[11:12], v[176:177], v[19:20]
	v_add_f64 v[1:2], v[15:16], v[1:2]
	v_add_f64 v[3:4], v[13:14], v[3:4]
	s_waitcnt vmcnt(4)
	v_fma_f64 v[5:6], v[5:6], v[156:157], -v[23:24]
	v_fma_f64 v[7:8], v[7:8], v[156:157], v[17:18]
	v_add_f64 v[1:2], v[1:2], v[9:10]
	v_add_f64 v[3:4], v[3:4], v[11:12]
	;; [unrolled: 1-line block ×4, first 2 shown]
	s_waitcnt vmcnt(2)
	v_add_f64 v[1:2], v[158:159], -v[1:2]
	s_waitcnt vmcnt(0)
	v_add_f64 v[3:4], v[160:161], -v[3:4]
	buffer_store_dword v2, off, s[0:3], 0 offset:260
	buffer_store_dword v1, off, s[0:3], 0 offset:256
	;; [unrolled: 1-line block ×4, first 2 shown]
	v_cmpx_lt_u32_e32 14, v0
	s_cbranch_execz .LBB49_285
; %bb.284:
	v_mov_b32_e32 v4, s48
	v_mov_b32_e32 v5, 0
	s_clause 0x3
	buffer_load_dword v1, v4, s[0:3], 0 offen
	buffer_load_dword v2, v4, s[0:3], 0 offen offset:4
	buffer_load_dword v3, v4, s[0:3], 0 offen offset:8
	;; [unrolled: 1-line block ×3, first 2 shown]
	buffer_store_dword v5, off, s[0:3], 0 offset:240
	buffer_store_dword v5, off, s[0:3], 0 offset:244
	;; [unrolled: 1-line block ×4, first 2 shown]
	s_waitcnt vmcnt(0)
	ds_write_b128 v163, v[1:4]
.LBB49_285:
	s_or_b32 exec_lo, exec_lo, s4
	s_waitcnt lgkmcnt(0)
	s_waitcnt_vscnt null, 0x0
	s_barrier
	buffer_gl0_inv
	s_clause 0x35
	buffer_load_dword v9, off, s[0:3], 0 offset:264
	buffer_load_dword v10, off, s[0:3], 0 offset:268
	;; [unrolled: 1-line block ×54, first 2 shown]
	v_mov_b32_e32 v159, 0
	s_mov_b32 s4, exec_lo
	ds_read_b128 v[164:167], v159 offset:1040
	s_clause 0x3
	buffer_load_dword v155, off, s[0:3], 0 offset:488
	buffer_load_dword v156, off, s[0:3], 0 offset:492
	;; [unrolled: 1-line block ×4, first 2 shown]
	ds_read_b128 v[168:171], v159 offset:1056
	s_clause 0x3
	buffer_load_dword v177, off, s[0:3], 0 offset:508
	buffer_load_dword v176, off, s[0:3], 0 offset:504
	;; [unrolled: 1-line block ×4, first 2 shown]
	ds_read_b128 v[172:175], v159 offset:1072
	s_waitcnt vmcnt(60) lgkmcnt(2)
	v_mul_f64 v[160:161], v[166:167], v[9:10]
	v_mul_f64 v[9:10], v[164:165], v[9:10]
	s_waitcnt vmcnt(58) lgkmcnt(1)
	v_mul_f64 v[180:181], v[170:171], v[5:6]
	s_waitcnt vmcnt(54) lgkmcnt(0)
	v_mul_f64 v[186:187], v[174:175], v[3:4]
	v_mul_f64 v[184:185], v[172:173], v[3:4]
	v_fma_f64 v[160:161], v[164:165], v[7:8], -v[160:161]
	v_mul_f64 v[164:165], v[168:169], v[5:6]
	v_fma_f64 v[9:10], v[166:167], v[7:8], v[9:10]
	s_clause 0x3
	buffer_load_dword v166, off, s[0:3], 0 offset:520
	buffer_load_dword v167, off, s[0:3], 0 offset:524
	;; [unrolled: 1-line block ×4, first 2 shown]
	s_waitcnt vmcnt(56)
	v_fma_f64 v[168:169], v[168:169], v[1:2], -v[180:181]
	ds_read_b128 v[5:8], v159 offset:1088
	s_waitcnt vmcnt(52)
	v_fma_f64 v[172:173], v[172:173], v[19:20], -v[186:187]
	v_fma_f64 v[19:20], v[174:175], v[19:20], v[184:185]
	v_add_f64 v[160:161], v[160:161], 0
	v_fma_f64 v[164:165], v[170:171], v[1:2], v[164:165]
	v_add_f64 v[9:10], v[9:10], 0
	s_clause 0x3
	buffer_load_dword v171, off, s[0:3], 0 offset:540
	buffer_load_dword v170, off, s[0:3], 0 offset:536
	;; [unrolled: 1-line block ×4, first 2 shown]
	s_waitcnt lgkmcnt(0)
	v_mul_f64 v[190:191], v[7:8], v[11:12]
	ds_read_b128 v[1:4], v159 offset:1104
	v_mul_f64 v[188:189], v[5:6], v[11:12]
	v_add_f64 v[160:161], v[160:161], v[168:169]
	s_clause 0x3
	buffer_load_dword v168, off, s[0:3], 0 offset:552
	buffer_load_dword v169, off, s[0:3], 0 offset:556
	;; [unrolled: 1-line block ×4, first 2 shown]
	v_add_f64 v[164:165], v[9:10], v[164:165]
	s_waitcnt vmcnt(58) lgkmcnt(0)
	v_mul_f64 v[184:185], v[1:2], v[15:16]
	v_mul_f64 v[15:16], v[3:4], v[15:16]
	s_waitcnt vmcnt(56)
	v_fma_f64 v[186:187], v[5:6], v[13:14], -v[190:191]
	ds_read_b128 v[9:12], v159 offset:1120
	v_fma_f64 v[13:14], v[7:8], v[13:14], v[188:189]
	v_add_f64 v[160:161], v[160:161], v[172:173]
	v_add_f64 v[19:20], v[164:165], v[19:20]
	s_clause 0x3
	buffer_load_dword v165, off, s[0:3], 0 offset:572
	buffer_load_dword v164, off, s[0:3], 0 offset:568
	;; [unrolled: 1-line block ×4, first 2 shown]
	s_waitcnt vmcnt(58) lgkmcnt(0)
	v_mul_f64 v[188:189], v[9:10], v[17:18]
	v_mul_f64 v[17:18], v[11:12], v[17:18]
	s_waitcnt vmcnt(56)
	v_fma_f64 v[15:16], v[1:2], v[27:28], -v[15:16]
	ds_read_b128 v[5:8], v159 offset:1136
	v_fma_f64 v[27:28], v[3:4], v[27:28], v[184:185]
	v_add_f64 v[160:161], v[160:161], v[186:187]
	v_add_f64 v[13:14], v[19:20], v[13:14]
	s_clause 0x3
	buffer_load_dword v19, off, s[0:3], 0 offset:584
	buffer_load_dword v20, off, s[0:3], 0 offset:588
	;; [unrolled: 1-line block ×4, first 2 shown]
	ds_read_b128 v[1:4], v159 offset:1152
	s_waitcnt vmcnt(58) lgkmcnt(1)
	v_mul_f64 v[186:187], v[5:6], v[23:24]
	v_mul_f64 v[23:24], v[7:8], v[23:24]
	s_waitcnt vmcnt(56)
	v_fma_f64 v[17:18], v[9:10], v[21:22], -v[17:18]
	v_fma_f64 v[21:22], v[11:12], v[21:22], v[188:189]
	v_add_f64 v[15:16], v[160:161], v[15:16]
	v_add_f64 v[13:14], v[13:14], v[27:28]
	s_clause 0x3
	buffer_load_dword v28, off, s[0:3], 0 offset:604
	buffer_load_dword v27, off, s[0:3], 0 offset:600
	buffer_load_dword v160, off, s[0:3], 0 offset:576
	buffer_load_dword v161, off, s[0:3], 0 offset:580
	s_waitcnt vmcnt(58) lgkmcnt(0)
	v_mul_f64 v[188:189], v[1:2], v[25:26]
	v_mul_f64 v[25:26], v[3:4], v[25:26]
	s_waitcnt vmcnt(56)
	v_fma_f64 v[23:24], v[5:6], v[59:60], -v[23:24]
	ds_read_b128 v[9:12], v159 offset:1168
	v_add_f64 v[15:16], v[15:16], v[17:18]
	v_fma_f64 v[17:18], v[7:8], v[59:60], v[186:187]
	v_add_f64 v[13:14], v[13:14], v[21:22]
	s_clause 0x3
	buffer_load_dword v21, off, s[0:3], 0 offset:616
	buffer_load_dword v22, off, s[0:3], 0 offset:620
	buffer_load_dword v60, off, s[0:3], 0 offset:596
	buffer_load_dword v59, off, s[0:3], 0 offset:592
	ds_read_b128 v[5:8], v159 offset:1184
	s_waitcnt vmcnt(58) lgkmcnt(1)
	v_mul_f64 v[186:187], v[9:10], v[31:32]
	v_mul_f64 v[31:32], v[11:12], v[31:32]
	s_waitcnt vmcnt(56)
	v_fma_f64 v[25:26], v[1:2], v[29:30], -v[25:26]
	v_add_f64 v[15:16], v[15:16], v[23:24]
	v_fma_f64 v[23:24], v[3:4], v[29:30], v[188:189]
	v_add_f64 v[13:14], v[13:14], v[17:18]
	s_clause 0x3
	buffer_load_dword v18, off, s[0:3], 0 offset:636
	buffer_load_dword v17, off, s[0:3], 0 offset:632
	buffer_load_dword v29, off, s[0:3], 0 offset:608
	buffer_load_dword v30, off, s[0:3], 0 offset:612
	s_waitcnt vmcnt(58) lgkmcnt(0)
	v_mul_f64 v[188:189], v[5:6], v[57:58]
	v_mul_f64 v[57:58], v[7:8], v[57:58]
	s_waitcnt vmcnt(56)
	v_fma_f64 v[31:32], v[9:10], v[67:68], -v[31:32]
	ds_read_b128 v[1:4], v159 offset:1200
	v_add_f64 v[15:16], v[15:16], v[25:26]
	v_fma_f64 v[25:26], v[11:12], v[67:68], v[186:187]
	v_add_f64 v[13:14], v[13:14], v[23:24]
	s_clause 0x3
	buffer_load_dword v23, off, s[0:3], 0 offset:648
	buffer_load_dword v24, off, s[0:3], 0 offset:652
	buffer_load_dword v68, off, s[0:3], 0 offset:628
	buffer_load_dword v67, off, s[0:3], 0 offset:624
	ds_read_b128 v[9:12], v159 offset:1216
	s_waitcnt vmcnt(58) lgkmcnt(1)
	v_mul_f64 v[186:187], v[1:2], v[63:64]
	v_mul_f64 v[63:64], v[3:4], v[63:64]
	s_waitcnt vmcnt(56)
	v_fma_f64 v[57:58], v[5:6], v[61:62], -v[57:58]
	v_add_f64 v[15:16], v[15:16], v[31:32]
	v_fma_f64 v[31:32], v[7:8], v[61:62], v[188:189]
	;; [unrolled: 28-line block ×5, first 2 shown]
	v_add_f64 v[13:14], v[13:14], v[149:150]
	s_clause 0x3
	buffer_load_dword v150, off, s[0:3], 0 offset:764
	buffer_load_dword v149, off, s[0:3], 0 offset:760
	buffer_load_dword v182, off, s[0:3], 0 offset:736
	buffer_load_dword v183, off, s[0:3], 0 offset:740
	ds_read_b128 v[5:8], v159 offset:1328
	s_waitcnt vmcnt(58) lgkmcnt(1)
	v_mul_f64 v[188:189], v[9:10], v[170:171]
	v_mul_f64 v[170:171], v[11:12], v[170:171]
	s_waitcnt vmcnt(56)
	v_fma_f64 v[166:167], v[1:2], v[180:181], -v[166:167]
	v_add_f64 v[15:16], v[15:16], v[176:177]
	v_fma_f64 v[176:177], v[3:4], v[180:181], v[186:187]
	v_add_f64 v[13:14], v[13:14], v[155:156]
	s_clause 0x3
	buffer_load_dword v155, off, s[0:3], 0 offset:776
	buffer_load_dword v156, off, s[0:3], 0 offset:780
	buffer_load_dword v181, off, s[0:3], 0 offset:756
	buffer_load_dword v180, off, s[0:3], 0 offset:752
	ds_read_b128 v[1:4], v159 offset:1344
	s_waitcnt vmcnt(58) lgkmcnt(1)
	v_mul_f64 v[186:187], v[5:6], v[168:169]
	v_mul_f64 v[168:169], v[7:8], v[168:169]
	s_waitcnt vmcnt(56)
	v_fma_f64 v[170:171], v[9:10], v[174:175], -v[170:171]
	v_add_f64 v[15:16], v[15:16], v[166:167]
	v_fma_f64 v[166:167], v[11:12], v[174:175], v[188:189]
	;; [unrolled: 14-line block ×4, first 2 shown]
	v_add_f64 v[13:14], v[13:14], v[170:171]
	s_clause 0x1
	buffer_load_dword v170, off, s[0:3], 0 offset:800
	buffer_load_dword v171, off, s[0:3], 0 offset:804
	ds_read_b128 v[1:4], v159 offset:1392
	s_waitcnt vmcnt(56) lgkmcnt(1)
	v_mul_f64 v[184:185], v[5:6], v[27:28]
	v_mul_f64 v[27:28], v[7:8], v[27:28]
	s_waitcnt vmcnt(54)
	v_fma_f64 v[19:20], v[9:10], v[160:161], -v[19:20]
	v_fma_f64 v[160:161], v[11:12], v[160:161], v[186:187]
	ds_read_b128 v[9:12], v159 offset:1408
	v_add_f64 v[15:16], v[15:16], v[164:165]
	v_add_f64 v[13:14], v[13:14], v[168:169]
	s_waitcnt vmcnt(52) lgkmcnt(1)
	v_mul_f64 v[164:165], v[1:2], v[21:22]
	v_mul_f64 v[21:22], v[3:4], v[21:22]
	s_waitcnt vmcnt(50)
	v_fma_f64 v[27:28], v[5:6], v[59:60], -v[27:28]
	v_add_f64 v[15:16], v[15:16], v[19:20]
	v_fma_f64 v[19:20], v[7:8], v[59:60], v[184:185]
	v_add_f64 v[13:14], v[13:14], v[160:161]
	s_clause 0x3
	buffer_load_dword v59, off, s[0:3], 0 offset:240
	buffer_load_dword v60, off, s[0:3], 0 offset:244
	;; [unrolled: 1-line block ×4, first 2 shown]
	ds_read_b128 v[5:8], v159 offset:1424
	s_waitcnt vmcnt(52) lgkmcnt(1)
	v_mul_f64 v[168:169], v[9:10], v[17:18]
	v_mul_f64 v[17:18], v[11:12], v[17:18]
	s_waitcnt vmcnt(50)
	v_fma_f64 v[21:22], v[1:2], v[29:30], -v[21:22]
	v_add_f64 v[15:16], v[15:16], v[27:28]
	v_fma_f64 v[27:28], v[3:4], v[29:30], v[164:165]
	v_add_f64 v[13:14], v[13:14], v[19:20]
	ds_read_b128 v[1:4], v159 offset:1440
	s_waitcnt vmcnt(48) lgkmcnt(1)
	v_mul_f64 v[19:20], v[5:6], v[23:24]
	v_mul_f64 v[23:24], v[7:8], v[23:24]
	s_waitcnt vmcnt(46)
	v_fma_f64 v[17:18], v[9:10], v[67:68], -v[17:18]
	v_add_f64 v[15:16], v[15:16], v[21:22]
	v_fma_f64 v[21:22], v[11:12], v[67:68], v[168:169]
	v_add_f64 v[13:14], v[13:14], v[27:28]
	;; [unrolled: 9-line block ×4, first 2 shown]
	ds_read_b128 v[1:4], v159 offset:1488
	s_waitcnt vmcnt(36) lgkmcnt(1)
	v_mul_f64 v[27:28], v[7:8], v[57:58]
	v_mul_f64 v[17:18], v[5:6], v[57:58]
	s_waitcnt vmcnt(34)
	v_fma_f64 v[21:22], v[9:10], v[145:146], -v[21:22]
	v_fma_f64 v[19:20], v[11:12], v[145:146], v[19:20]
	ds_read_b128 v[9:12], v159 offset:1504
	v_add_f64 v[15:16], v[15:16], v[25:26]
	v_add_f64 v[13:14], v[13:14], v[23:24]
	s_waitcnt vmcnt(32) lgkmcnt(1)
	v_mul_f64 v[25:26], v[3:4], v[63:64]
	v_mul_f64 v[23:24], v[1:2], v[63:64]
	s_waitcnt vmcnt(30)
	v_fma_f64 v[27:28], v[5:6], v[157:158], -v[27:28]
	v_fma_f64 v[17:18], v[7:8], v[157:158], v[17:18]
	ds_read_b128 v[5:8], v159 offset:1520
	v_add_f64 v[15:16], v[15:16], v[21:22]
	v_add_f64 v[13:14], v[13:14], v[19:20]
	;; [unrolled: 9-line block ×6, first 2 shown]
	s_waitcnt vmcnt(12) lgkmcnt(1)
	v_mul_f64 v[27:28], v[7:8], v[174:175]
	v_mul_f64 v[17:18], v[5:6], v[174:175]
	s_waitcnt vmcnt(10)
	v_fma_f64 v[9:10], v[9:10], v[176:177], -v[21:22]
	v_fma_f64 v[11:12], v[11:12], v[176:177], v[19:20]
	v_add_f64 v[15:16], v[15:16], v[25:26]
	v_add_f64 v[13:14], v[13:14], v[23:24]
	s_waitcnt vmcnt(8) lgkmcnt(0)
	v_mul_f64 v[21:22], v[3:4], v[166:167]
	v_mul_f64 v[19:20], v[1:2], v[166:167]
	s_waitcnt vmcnt(6)
	v_fma_f64 v[5:6], v[5:6], v[172:173], -v[27:28]
	v_fma_f64 v[7:8], v[7:8], v[172:173], v[17:18]
	v_add_f64 v[9:10], v[15:16], v[9:10]
	v_add_f64 v[11:12], v[13:14], v[11:12]
	s_waitcnt vmcnt(4)
	v_fma_f64 v[1:2], v[1:2], v[170:171], -v[21:22]
	v_fma_f64 v[3:4], v[3:4], v[170:171], v[19:20]
	v_add_f64 v[5:6], v[9:10], v[5:6]
	v_add_f64 v[7:8], v[11:12], v[7:8]
	;; [unrolled: 1-line block ×4, first 2 shown]
	s_waitcnt vmcnt(2)
	v_add_f64 v[1:2], v[59:60], -v[1:2]
	s_waitcnt vmcnt(0)
	v_add_f64 v[3:4], v[160:161], -v[3:4]
	buffer_store_dword v2, off, s[0:3], 0 offset:244
	buffer_store_dword v1, off, s[0:3], 0 offset:240
	;; [unrolled: 1-line block ×4, first 2 shown]
	v_cmpx_lt_u32_e32 13, v0
	s_cbranch_execz .LBB49_287
; %bb.286:
	v_mov_b32_e32 v4, s49
	s_clause 0x3
	buffer_load_dword v1, v4, s[0:3], 0 offen
	buffer_load_dword v2, v4, s[0:3], 0 offen offset:4
	buffer_load_dword v3, v4, s[0:3], 0 offen offset:8
	;; [unrolled: 1-line block ×3, first 2 shown]
	buffer_store_dword v159, off, s[0:3], 0 offset:224
	buffer_store_dword v159, off, s[0:3], 0 offset:228
	;; [unrolled: 1-line block ×4, first 2 shown]
	s_waitcnt vmcnt(0)
	ds_write_b128 v163, v[1:4]
.LBB49_287:
	s_or_b32 exec_lo, exec_lo, s4
	s_waitcnt lgkmcnt(0)
	s_waitcnt_vscnt null, 0x0
	s_barrier
	buffer_gl0_inv
	s_clause 0x35
	buffer_load_dword v9, off, s[0:3], 0 offset:248
	buffer_load_dword v10, off, s[0:3], 0 offset:252
	;; [unrolled: 1-line block ×54, first 2 shown]
	ds_read_b128 v[164:167], v159 offset:1024
	s_clause 0x3
	buffer_load_dword v155, off, s[0:3], 0 offset:472
	buffer_load_dword v156, off, s[0:3], 0 offset:476
	;; [unrolled: 1-line block ×4, first 2 shown]
	ds_read_b128 v[168:171], v159 offset:1040
	s_clause 0x3
	buffer_load_dword v177, off, s[0:3], 0 offset:492
	buffer_load_dword v176, off, s[0:3], 0 offset:488
	buffer_load_dword v178, off, s[0:3], 0 offset:464
	buffer_load_dword v179, off, s[0:3], 0 offset:468
	ds_read_b128 v[172:175], v159 offset:1056
	s_mov_b32 s4, exec_lo
	s_waitcnt vmcnt(60) lgkmcnt(2)
	v_mul_f64 v[160:161], v[166:167], v[9:10]
	v_mul_f64 v[9:10], v[164:165], v[9:10]
	s_waitcnt vmcnt(58) lgkmcnt(1)
	v_mul_f64 v[180:181], v[170:171], v[5:6]
	s_waitcnt vmcnt(54) lgkmcnt(0)
	v_mul_f64 v[186:187], v[174:175], v[3:4]
	v_mul_f64 v[184:185], v[172:173], v[3:4]
	v_fma_f64 v[160:161], v[164:165], v[7:8], -v[160:161]
	v_mul_f64 v[164:165], v[168:169], v[5:6]
	v_fma_f64 v[9:10], v[166:167], v[7:8], v[9:10]
	s_clause 0x3
	buffer_load_dword v166, off, s[0:3], 0 offset:504
	buffer_load_dword v167, off, s[0:3], 0 offset:508
	;; [unrolled: 1-line block ×4, first 2 shown]
	s_waitcnt vmcnt(56)
	v_fma_f64 v[168:169], v[168:169], v[1:2], -v[180:181]
	ds_read_b128 v[5:8], v159 offset:1072
	s_waitcnt vmcnt(52)
	v_fma_f64 v[172:173], v[172:173], v[19:20], -v[186:187]
	v_fma_f64 v[19:20], v[174:175], v[19:20], v[184:185]
	v_add_f64 v[160:161], v[160:161], 0
	v_fma_f64 v[164:165], v[170:171], v[1:2], v[164:165]
	v_add_f64 v[9:10], v[9:10], 0
	s_clause 0x3
	buffer_load_dword v171, off, s[0:3], 0 offset:524
	buffer_load_dword v170, off, s[0:3], 0 offset:520
	;; [unrolled: 1-line block ×4, first 2 shown]
	s_waitcnt lgkmcnt(0)
	v_mul_f64 v[190:191], v[7:8], v[11:12]
	ds_read_b128 v[1:4], v159 offset:1088
	v_mul_f64 v[188:189], v[5:6], v[11:12]
	v_add_f64 v[160:161], v[160:161], v[168:169]
	s_clause 0x3
	buffer_load_dword v168, off, s[0:3], 0 offset:536
	buffer_load_dword v169, off, s[0:3], 0 offset:540
	;; [unrolled: 1-line block ×4, first 2 shown]
	v_add_f64 v[164:165], v[9:10], v[164:165]
	s_waitcnt vmcnt(58) lgkmcnt(0)
	v_mul_f64 v[184:185], v[1:2], v[15:16]
	v_mul_f64 v[15:16], v[3:4], v[15:16]
	s_waitcnt vmcnt(56)
	v_fma_f64 v[186:187], v[5:6], v[13:14], -v[190:191]
	ds_read_b128 v[9:12], v159 offset:1104
	v_fma_f64 v[13:14], v[7:8], v[13:14], v[188:189]
	v_add_f64 v[160:161], v[160:161], v[172:173]
	v_add_f64 v[19:20], v[164:165], v[19:20]
	s_clause 0x3
	buffer_load_dword v165, off, s[0:3], 0 offset:556
	buffer_load_dword v164, off, s[0:3], 0 offset:552
	;; [unrolled: 1-line block ×4, first 2 shown]
	s_waitcnt vmcnt(58) lgkmcnt(0)
	v_mul_f64 v[188:189], v[9:10], v[17:18]
	v_mul_f64 v[17:18], v[11:12], v[17:18]
	s_waitcnt vmcnt(56)
	v_fma_f64 v[15:16], v[1:2], v[27:28], -v[15:16]
	ds_read_b128 v[5:8], v159 offset:1120
	v_fma_f64 v[27:28], v[3:4], v[27:28], v[184:185]
	v_add_f64 v[160:161], v[160:161], v[186:187]
	v_add_f64 v[13:14], v[19:20], v[13:14]
	s_clause 0x3
	buffer_load_dword v19, off, s[0:3], 0 offset:568
	buffer_load_dword v20, off, s[0:3], 0 offset:572
	;; [unrolled: 1-line block ×4, first 2 shown]
	ds_read_b128 v[1:4], v159 offset:1136
	s_waitcnt vmcnt(58) lgkmcnt(1)
	v_mul_f64 v[186:187], v[5:6], v[23:24]
	v_mul_f64 v[23:24], v[7:8], v[23:24]
	s_waitcnt vmcnt(56)
	v_fma_f64 v[17:18], v[9:10], v[21:22], -v[17:18]
	v_fma_f64 v[21:22], v[11:12], v[21:22], v[188:189]
	v_add_f64 v[15:16], v[160:161], v[15:16]
	v_add_f64 v[13:14], v[13:14], v[27:28]
	s_clause 0x3
	buffer_load_dword v28, off, s[0:3], 0 offset:588
	buffer_load_dword v27, off, s[0:3], 0 offset:584
	buffer_load_dword v160, off, s[0:3], 0 offset:560
	buffer_load_dword v161, off, s[0:3], 0 offset:564
	s_waitcnt vmcnt(58) lgkmcnt(0)
	v_mul_f64 v[188:189], v[1:2], v[25:26]
	v_mul_f64 v[25:26], v[3:4], v[25:26]
	s_waitcnt vmcnt(56)
	v_fma_f64 v[23:24], v[5:6], v[59:60], -v[23:24]
	ds_read_b128 v[9:12], v159 offset:1152
	v_add_f64 v[15:16], v[15:16], v[17:18]
	v_fma_f64 v[17:18], v[7:8], v[59:60], v[186:187]
	v_add_f64 v[13:14], v[13:14], v[21:22]
	s_clause 0x3
	buffer_load_dword v21, off, s[0:3], 0 offset:600
	buffer_load_dword v22, off, s[0:3], 0 offset:604
	buffer_load_dword v60, off, s[0:3], 0 offset:580
	buffer_load_dword v59, off, s[0:3], 0 offset:576
	ds_read_b128 v[5:8], v159 offset:1168
	s_waitcnt vmcnt(58) lgkmcnt(1)
	v_mul_f64 v[186:187], v[9:10], v[31:32]
	v_mul_f64 v[31:32], v[11:12], v[31:32]
	s_waitcnt vmcnt(56)
	v_fma_f64 v[25:26], v[1:2], v[29:30], -v[25:26]
	v_add_f64 v[15:16], v[15:16], v[23:24]
	v_fma_f64 v[23:24], v[3:4], v[29:30], v[188:189]
	v_add_f64 v[13:14], v[13:14], v[17:18]
	s_clause 0x3
	buffer_load_dword v18, off, s[0:3], 0 offset:620
	buffer_load_dword v17, off, s[0:3], 0 offset:616
	buffer_load_dword v29, off, s[0:3], 0 offset:592
	buffer_load_dword v30, off, s[0:3], 0 offset:596
	s_waitcnt vmcnt(58) lgkmcnt(0)
	v_mul_f64 v[188:189], v[5:6], v[57:58]
	v_mul_f64 v[57:58], v[7:8], v[57:58]
	s_waitcnt vmcnt(56)
	v_fma_f64 v[31:32], v[9:10], v[67:68], -v[31:32]
	ds_read_b128 v[1:4], v159 offset:1184
	v_add_f64 v[15:16], v[15:16], v[25:26]
	v_fma_f64 v[25:26], v[11:12], v[67:68], v[186:187]
	v_add_f64 v[13:14], v[13:14], v[23:24]
	s_clause 0x3
	buffer_load_dword v23, off, s[0:3], 0 offset:632
	buffer_load_dword v24, off, s[0:3], 0 offset:636
	buffer_load_dword v68, off, s[0:3], 0 offset:612
	buffer_load_dword v67, off, s[0:3], 0 offset:608
	ds_read_b128 v[9:12], v159 offset:1200
	s_waitcnt vmcnt(58) lgkmcnt(1)
	v_mul_f64 v[186:187], v[1:2], v[63:64]
	v_mul_f64 v[63:64], v[3:4], v[63:64]
	s_waitcnt vmcnt(56)
	v_fma_f64 v[57:58], v[5:6], v[61:62], -v[57:58]
	v_add_f64 v[15:16], v[15:16], v[31:32]
	v_fma_f64 v[31:32], v[7:8], v[61:62], v[188:189]
	;; [unrolled: 28-line block ×5, first 2 shown]
	v_add_f64 v[13:14], v[13:14], v[149:150]
	s_clause 0x3
	buffer_load_dword v150, off, s[0:3], 0 offset:748
	buffer_load_dword v149, off, s[0:3], 0 offset:744
	buffer_load_dword v182, off, s[0:3], 0 offset:720
	buffer_load_dword v183, off, s[0:3], 0 offset:724
	ds_read_b128 v[5:8], v159 offset:1312
	s_waitcnt vmcnt(58) lgkmcnt(1)
	v_mul_f64 v[188:189], v[9:10], v[170:171]
	v_mul_f64 v[170:171], v[11:12], v[170:171]
	s_waitcnt vmcnt(56)
	v_fma_f64 v[166:167], v[1:2], v[180:181], -v[166:167]
	v_add_f64 v[15:16], v[15:16], v[176:177]
	v_fma_f64 v[176:177], v[3:4], v[180:181], v[186:187]
	v_add_f64 v[13:14], v[13:14], v[155:156]
	s_clause 0x3
	buffer_load_dword v155, off, s[0:3], 0 offset:760
	buffer_load_dword v156, off, s[0:3], 0 offset:764
	buffer_load_dword v181, off, s[0:3], 0 offset:740
	buffer_load_dword v180, off, s[0:3], 0 offset:736
	ds_read_b128 v[1:4], v159 offset:1328
	s_waitcnt vmcnt(58) lgkmcnt(1)
	v_mul_f64 v[186:187], v[5:6], v[168:169]
	v_mul_f64 v[168:169], v[7:8], v[168:169]
	s_waitcnt vmcnt(56)
	v_fma_f64 v[170:171], v[9:10], v[174:175], -v[170:171]
	v_add_f64 v[15:16], v[15:16], v[166:167]
	v_fma_f64 v[166:167], v[11:12], v[174:175], v[188:189]
	;; [unrolled: 14-line block ×4, first 2 shown]
	v_add_f64 v[13:14], v[13:14], v[170:171]
	s_clause 0x3
	buffer_load_dword v171, off, s[0:3], 0 offset:812
	buffer_load_dword v170, off, s[0:3], 0 offset:808
	;; [unrolled: 1-line block ×4, first 2 shown]
	ds_read_b128 v[1:4], v159 offset:1376
	s_waitcnt vmcnt(58) lgkmcnt(1)
	v_mul_f64 v[188:189], v[5:6], v[27:28]
	v_mul_f64 v[27:28], v[7:8], v[27:28]
	s_waitcnt vmcnt(56)
	v_fma_f64 v[19:20], v[9:10], v[160:161], -v[19:20]
	v_fma_f64 v[160:161], v[11:12], v[160:161], v[186:187]
	v_add_f64 v[15:16], v[15:16], v[164:165]
	s_clause 0x1
	buffer_load_dword v165, off, s[0:3], 0 offset:804
	buffer_load_dword v164, off, s[0:3], 0 offset:800
	v_add_f64 v[13:14], v[13:14], v[168:169]
	ds_read_b128 v[9:12], v159 offset:1392
	s_waitcnt vmcnt(56) lgkmcnt(1)
	v_mul_f64 v[168:169], v[1:2], v[21:22]
	v_mul_f64 v[21:22], v[3:4], v[21:22]
	s_waitcnt vmcnt(54)
	v_fma_f64 v[27:28], v[5:6], v[59:60], -v[27:28]
	v_add_f64 v[15:16], v[15:16], v[19:20]
	v_fma_f64 v[19:20], v[7:8], v[59:60], v[188:189]
	v_add_f64 v[13:14], v[13:14], v[160:161]
	ds_read_b128 v[5:8], v159 offset:1408
	s_waitcnt vmcnt(52) lgkmcnt(1)
	v_mul_f64 v[59:60], v[9:10], v[17:18]
	v_mul_f64 v[17:18], v[11:12], v[17:18]
	s_waitcnt vmcnt(50)
	v_fma_f64 v[21:22], v[1:2], v[29:30], -v[21:22]
	v_add_f64 v[15:16], v[15:16], v[27:28]
	v_fma_f64 v[27:28], v[3:4], v[29:30], v[168:169]
	v_add_f64 v[13:14], v[13:14], v[19:20]
	s_clause 0x3
	buffer_load_dword v19, off, s[0:3], 0 offset:224
	buffer_load_dword v20, off, s[0:3], 0 offset:228
	;; [unrolled: 1-line block ×4, first 2 shown]
	ds_read_b128 v[1:4], v159 offset:1424
	s_waitcnt vmcnt(52) lgkmcnt(1)
	v_mul_f64 v[160:161], v[5:6], v[23:24]
	v_mul_f64 v[23:24], v[7:8], v[23:24]
	s_waitcnt vmcnt(50)
	v_fma_f64 v[17:18], v[9:10], v[67:68], -v[17:18]
	v_add_f64 v[15:16], v[15:16], v[21:22]
	v_fma_f64 v[21:22], v[11:12], v[67:68], v[59:60]
	v_add_f64 v[13:14], v[13:14], v[27:28]
	ds_read_b128 v[9:12], v159 offset:1440
	s_waitcnt vmcnt(48) lgkmcnt(1)
	v_mul_f64 v[27:28], v[1:2], v[25:26]
	v_mul_f64 v[25:26], v[3:4], v[25:26]
	s_waitcnt vmcnt(46)
	v_fma_f64 v[23:24], v[5:6], v[61:62], -v[23:24]
	v_add_f64 v[15:16], v[15:16], v[17:18]
	v_fma_f64 v[17:18], v[7:8], v[61:62], v[160:161]
	v_add_f64 v[13:14], v[13:14], v[21:22]
	;; [unrolled: 9-line block ×3, first 2 shown]
	ds_read_b128 v[1:4], v159 offset:1472
	s_waitcnt vmcnt(40) lgkmcnt(1)
	v_mul_f64 v[27:28], v[7:8], v[57:58]
	v_mul_f64 v[17:18], v[5:6], v[57:58]
	s_waitcnt vmcnt(38)
	v_fma_f64 v[31:32], v[9:10], v[145:146], -v[31:32]
	v_fma_f64 v[21:22], v[11:12], v[145:146], v[21:22]
	ds_read_b128 v[9:12], v159 offset:1488
	v_add_f64 v[15:16], v[15:16], v[25:26]
	v_add_f64 v[13:14], v[13:14], v[23:24]
	s_waitcnt vmcnt(36) lgkmcnt(1)
	v_mul_f64 v[25:26], v[3:4], v[63:64]
	v_mul_f64 v[23:24], v[1:2], v[63:64]
	s_waitcnt vmcnt(34)
	v_fma_f64 v[27:28], v[5:6], v[157:158], -v[27:28]
	v_fma_f64 v[17:18], v[7:8], v[157:158], v[17:18]
	ds_read_b128 v[5:8], v159 offset:1504
	v_add_f64 v[15:16], v[15:16], v[31:32]
	v_add_f64 v[13:14], v[13:14], v[21:22]
	;; [unrolled: 9-line block ×7, first 2 shown]
	s_waitcnt vmcnt(12) lgkmcnt(1)
	v_mul_f64 v[25:26], v[3:4], v[166:167]
	v_mul_f64 v[23:24], v[1:2], v[166:167]
	s_waitcnt vmcnt(10)
	v_fma_f64 v[5:6], v[5:6], v[172:173], -v[27:28]
	v_fma_f64 v[7:8], v[7:8], v[172:173], v[17:18]
	v_add_f64 v[15:16], v[15:16], v[31:32]
	v_add_f64 v[13:14], v[13:14], v[21:22]
	s_waitcnt vmcnt(8) lgkmcnt(0)
	v_mul_f64 v[21:22], v[11:12], v[170:171]
	v_mul_f64 v[17:18], v[9:10], v[170:171]
	s_waitcnt vmcnt(6)
	v_fma_f64 v[1:2], v[1:2], v[184:185], -v[25:26]
	v_fma_f64 v[3:4], v[3:4], v[184:185], v[23:24]
	v_add_f64 v[5:6], v[15:16], v[5:6]
	v_add_f64 v[7:8], v[13:14], v[7:8]
	s_waitcnt vmcnt(4)
	v_fma_f64 v[9:10], v[9:10], v[164:165], -v[21:22]
	v_add_f64 v[1:2], v[5:6], v[1:2]
	v_fma_f64 v[5:6], v[11:12], v[164:165], v[17:18]
	v_add_f64 v[3:4], v[7:8], v[3:4]
	v_add_f64 v[1:2], v[1:2], v[9:10]
	;; [unrolled: 1-line block ×3, first 2 shown]
	s_waitcnt vmcnt(2)
	v_add_f64 v[1:2], v[19:20], -v[1:2]
	s_waitcnt vmcnt(0)
	v_add_f64 v[3:4], v[29:30], -v[3:4]
	buffer_store_dword v2, off, s[0:3], 0 offset:228
	buffer_store_dword v1, off, s[0:3], 0 offset:224
	;; [unrolled: 1-line block ×4, first 2 shown]
	v_cmpx_lt_u32_e32 12, v0
	s_cbranch_execz .LBB49_289
; %bb.288:
	v_mov_b32_e32 v4, s50
	v_mov_b32_e32 v5, 0
	s_clause 0x3
	buffer_load_dword v1, v4, s[0:3], 0 offen
	buffer_load_dword v2, v4, s[0:3], 0 offen offset:4
	buffer_load_dword v3, v4, s[0:3], 0 offen offset:8
	;; [unrolled: 1-line block ×3, first 2 shown]
	buffer_store_dword v5, off, s[0:3], 0 offset:208
	buffer_store_dword v5, off, s[0:3], 0 offset:212
	;; [unrolled: 1-line block ×4, first 2 shown]
	s_waitcnt vmcnt(0)
	ds_write_b128 v163, v[1:4]
.LBB49_289:
	s_or_b32 exec_lo, exec_lo, s4
	s_waitcnt lgkmcnt(0)
	s_waitcnt_vscnt null, 0x0
	s_barrier
	buffer_gl0_inv
	s_clause 0x35
	buffer_load_dword v9, off, s[0:3], 0 offset:232
	buffer_load_dword v10, off, s[0:3], 0 offset:236
	;; [unrolled: 1-line block ×54, first 2 shown]
	v_mov_b32_e32 v159, 0
	s_mov_b32 s4, exec_lo
	ds_read_b128 v[164:167], v159 offset:1008
	s_clause 0x3
	buffer_load_dword v155, off, s[0:3], 0 offset:456
	buffer_load_dword v156, off, s[0:3], 0 offset:460
	;; [unrolled: 1-line block ×4, first 2 shown]
	ds_read_b128 v[168:171], v159 offset:1024
	s_clause 0x3
	buffer_load_dword v177, off, s[0:3], 0 offset:476
	buffer_load_dword v176, off, s[0:3], 0 offset:472
	;; [unrolled: 1-line block ×4, first 2 shown]
	ds_read_b128 v[172:175], v159 offset:1040
	s_waitcnt vmcnt(60) lgkmcnt(2)
	v_mul_f64 v[160:161], v[166:167], v[9:10]
	v_mul_f64 v[9:10], v[164:165], v[9:10]
	s_waitcnt vmcnt(58) lgkmcnt(1)
	v_mul_f64 v[180:181], v[170:171], v[5:6]
	s_waitcnt vmcnt(54) lgkmcnt(0)
	v_mul_f64 v[186:187], v[174:175], v[3:4]
	v_mul_f64 v[184:185], v[172:173], v[3:4]
	v_fma_f64 v[160:161], v[164:165], v[7:8], -v[160:161]
	v_mul_f64 v[164:165], v[168:169], v[5:6]
	v_fma_f64 v[9:10], v[166:167], v[7:8], v[9:10]
	s_clause 0x3
	buffer_load_dword v166, off, s[0:3], 0 offset:488
	buffer_load_dword v167, off, s[0:3], 0 offset:492
	;; [unrolled: 1-line block ×4, first 2 shown]
	s_waitcnt vmcnt(56)
	v_fma_f64 v[168:169], v[168:169], v[1:2], -v[180:181]
	ds_read_b128 v[5:8], v159 offset:1056
	s_waitcnt vmcnt(52)
	v_fma_f64 v[172:173], v[172:173], v[19:20], -v[186:187]
	v_fma_f64 v[19:20], v[174:175], v[19:20], v[184:185]
	v_add_f64 v[160:161], v[160:161], 0
	v_fma_f64 v[164:165], v[170:171], v[1:2], v[164:165]
	v_add_f64 v[9:10], v[9:10], 0
	s_clause 0x3
	buffer_load_dword v171, off, s[0:3], 0 offset:508
	buffer_load_dword v170, off, s[0:3], 0 offset:504
	;; [unrolled: 1-line block ×4, first 2 shown]
	s_waitcnt lgkmcnt(0)
	v_mul_f64 v[190:191], v[7:8], v[11:12]
	ds_read_b128 v[1:4], v159 offset:1072
	v_mul_f64 v[188:189], v[5:6], v[11:12]
	v_add_f64 v[160:161], v[160:161], v[168:169]
	s_clause 0x3
	buffer_load_dword v168, off, s[0:3], 0 offset:520
	buffer_load_dword v169, off, s[0:3], 0 offset:524
	;; [unrolled: 1-line block ×4, first 2 shown]
	v_add_f64 v[164:165], v[9:10], v[164:165]
	s_waitcnt vmcnt(58) lgkmcnt(0)
	v_mul_f64 v[184:185], v[1:2], v[15:16]
	v_mul_f64 v[15:16], v[3:4], v[15:16]
	s_waitcnt vmcnt(56)
	v_fma_f64 v[186:187], v[5:6], v[13:14], -v[190:191]
	ds_read_b128 v[9:12], v159 offset:1088
	v_fma_f64 v[13:14], v[7:8], v[13:14], v[188:189]
	v_add_f64 v[160:161], v[160:161], v[172:173]
	v_add_f64 v[19:20], v[164:165], v[19:20]
	s_clause 0x3
	buffer_load_dword v165, off, s[0:3], 0 offset:540
	buffer_load_dword v164, off, s[0:3], 0 offset:536
	;; [unrolled: 1-line block ×4, first 2 shown]
	s_waitcnt vmcnt(58) lgkmcnt(0)
	v_mul_f64 v[188:189], v[9:10], v[17:18]
	v_mul_f64 v[17:18], v[11:12], v[17:18]
	s_waitcnt vmcnt(56)
	v_fma_f64 v[15:16], v[1:2], v[27:28], -v[15:16]
	ds_read_b128 v[5:8], v159 offset:1104
	v_fma_f64 v[27:28], v[3:4], v[27:28], v[184:185]
	v_add_f64 v[160:161], v[160:161], v[186:187]
	v_add_f64 v[13:14], v[19:20], v[13:14]
	s_clause 0x3
	buffer_load_dword v19, off, s[0:3], 0 offset:552
	buffer_load_dword v20, off, s[0:3], 0 offset:556
	;; [unrolled: 1-line block ×4, first 2 shown]
	ds_read_b128 v[1:4], v159 offset:1120
	s_waitcnt vmcnt(58) lgkmcnt(1)
	v_mul_f64 v[186:187], v[5:6], v[23:24]
	v_mul_f64 v[23:24], v[7:8], v[23:24]
	s_waitcnt vmcnt(56)
	v_fma_f64 v[17:18], v[9:10], v[21:22], -v[17:18]
	v_fma_f64 v[21:22], v[11:12], v[21:22], v[188:189]
	v_add_f64 v[15:16], v[160:161], v[15:16]
	v_add_f64 v[13:14], v[13:14], v[27:28]
	s_clause 0x3
	buffer_load_dword v28, off, s[0:3], 0 offset:572
	buffer_load_dword v27, off, s[0:3], 0 offset:568
	buffer_load_dword v160, off, s[0:3], 0 offset:544
	buffer_load_dword v161, off, s[0:3], 0 offset:548
	s_waitcnt vmcnt(58) lgkmcnt(0)
	v_mul_f64 v[188:189], v[1:2], v[25:26]
	v_mul_f64 v[25:26], v[3:4], v[25:26]
	s_waitcnt vmcnt(56)
	v_fma_f64 v[23:24], v[5:6], v[59:60], -v[23:24]
	ds_read_b128 v[9:12], v159 offset:1136
	v_add_f64 v[15:16], v[15:16], v[17:18]
	v_fma_f64 v[17:18], v[7:8], v[59:60], v[186:187]
	v_add_f64 v[13:14], v[13:14], v[21:22]
	s_clause 0x3
	buffer_load_dword v21, off, s[0:3], 0 offset:584
	buffer_load_dword v22, off, s[0:3], 0 offset:588
	buffer_load_dword v60, off, s[0:3], 0 offset:564
	buffer_load_dword v59, off, s[0:3], 0 offset:560
	ds_read_b128 v[5:8], v159 offset:1152
	s_waitcnt vmcnt(58) lgkmcnt(1)
	v_mul_f64 v[186:187], v[9:10], v[31:32]
	v_mul_f64 v[31:32], v[11:12], v[31:32]
	s_waitcnt vmcnt(56)
	v_fma_f64 v[25:26], v[1:2], v[29:30], -v[25:26]
	v_add_f64 v[15:16], v[15:16], v[23:24]
	v_fma_f64 v[23:24], v[3:4], v[29:30], v[188:189]
	v_add_f64 v[13:14], v[13:14], v[17:18]
	s_clause 0x3
	buffer_load_dword v18, off, s[0:3], 0 offset:604
	buffer_load_dword v17, off, s[0:3], 0 offset:600
	buffer_load_dword v29, off, s[0:3], 0 offset:576
	buffer_load_dword v30, off, s[0:3], 0 offset:580
	s_waitcnt vmcnt(58) lgkmcnt(0)
	v_mul_f64 v[188:189], v[5:6], v[57:58]
	v_mul_f64 v[57:58], v[7:8], v[57:58]
	s_waitcnt vmcnt(56)
	v_fma_f64 v[31:32], v[9:10], v[67:68], -v[31:32]
	ds_read_b128 v[1:4], v159 offset:1168
	v_add_f64 v[15:16], v[15:16], v[25:26]
	v_fma_f64 v[25:26], v[11:12], v[67:68], v[186:187]
	v_add_f64 v[13:14], v[13:14], v[23:24]
	s_clause 0x3
	buffer_load_dword v23, off, s[0:3], 0 offset:616
	buffer_load_dword v24, off, s[0:3], 0 offset:620
	buffer_load_dword v68, off, s[0:3], 0 offset:596
	buffer_load_dword v67, off, s[0:3], 0 offset:592
	ds_read_b128 v[9:12], v159 offset:1184
	s_waitcnt vmcnt(58) lgkmcnt(1)
	v_mul_f64 v[186:187], v[1:2], v[63:64]
	v_mul_f64 v[63:64], v[3:4], v[63:64]
	s_waitcnt vmcnt(56)
	v_fma_f64 v[57:58], v[5:6], v[61:62], -v[57:58]
	v_add_f64 v[15:16], v[15:16], v[31:32]
	v_fma_f64 v[31:32], v[7:8], v[61:62], v[188:189]
	;; [unrolled: 28-line block ×5, first 2 shown]
	v_add_f64 v[13:14], v[13:14], v[149:150]
	s_clause 0x3
	buffer_load_dword v150, off, s[0:3], 0 offset:732
	buffer_load_dword v149, off, s[0:3], 0 offset:728
	buffer_load_dword v182, off, s[0:3], 0 offset:704
	buffer_load_dword v183, off, s[0:3], 0 offset:708
	ds_read_b128 v[5:8], v159 offset:1296
	s_waitcnt vmcnt(58) lgkmcnt(1)
	v_mul_f64 v[188:189], v[9:10], v[170:171]
	v_mul_f64 v[170:171], v[11:12], v[170:171]
	s_waitcnt vmcnt(56)
	v_fma_f64 v[166:167], v[1:2], v[180:181], -v[166:167]
	v_add_f64 v[15:16], v[15:16], v[176:177]
	v_fma_f64 v[176:177], v[3:4], v[180:181], v[186:187]
	v_add_f64 v[13:14], v[13:14], v[155:156]
	s_clause 0x3
	buffer_load_dword v155, off, s[0:3], 0 offset:744
	buffer_load_dword v156, off, s[0:3], 0 offset:748
	buffer_load_dword v181, off, s[0:3], 0 offset:724
	buffer_load_dword v180, off, s[0:3], 0 offset:720
	ds_read_b128 v[1:4], v159 offset:1312
	s_waitcnt vmcnt(58) lgkmcnt(1)
	v_mul_f64 v[186:187], v[5:6], v[168:169]
	v_mul_f64 v[168:169], v[7:8], v[168:169]
	s_waitcnt vmcnt(56)
	v_fma_f64 v[170:171], v[9:10], v[174:175], -v[170:171]
	v_add_f64 v[15:16], v[15:16], v[166:167]
	v_fma_f64 v[166:167], v[11:12], v[174:175], v[188:189]
	;; [unrolled: 14-line block ×4, first 2 shown]
	v_add_f64 v[13:14], v[13:14], v[170:171]
	s_clause 0x3
	buffer_load_dword v171, off, s[0:3], 0 offset:796
	buffer_load_dword v170, off, s[0:3], 0 offset:792
	;; [unrolled: 1-line block ×4, first 2 shown]
	ds_read_b128 v[1:4], v159 offset:1360
	s_waitcnt vmcnt(58) lgkmcnt(1)
	v_mul_f64 v[188:189], v[5:6], v[27:28]
	v_mul_f64 v[27:28], v[7:8], v[27:28]
	s_waitcnt vmcnt(56)
	v_fma_f64 v[19:20], v[9:10], v[160:161], -v[19:20]
	v_fma_f64 v[160:161], v[11:12], v[160:161], v[186:187]
	v_add_f64 v[15:16], v[15:16], v[164:165]
	v_add_f64 v[13:14], v[13:14], v[168:169]
	s_clause 0x3
	buffer_load_dword v164, off, s[0:3], 0 offset:808
	buffer_load_dword v165, off, s[0:3], 0 offset:812
	;; [unrolled: 1-line block ×4, first 2 shown]
	ds_read_b128 v[9:12], v159 offset:1376
	s_waitcnt vmcnt(58) lgkmcnt(1)
	v_mul_f64 v[186:187], v[1:2], v[21:22]
	v_mul_f64 v[21:22], v[3:4], v[21:22]
	s_waitcnt vmcnt(56)
	v_fma_f64 v[27:28], v[5:6], v[59:60], -v[27:28]
	v_add_f64 v[15:16], v[15:16], v[19:20]
	v_fma_f64 v[19:20], v[7:8], v[59:60], v[188:189]
	v_add_f64 v[13:14], v[13:14], v[160:161]
	s_clause 0x1
	buffer_load_dword v59, off, s[0:3], 0 offset:800
	buffer_load_dword v60, off, s[0:3], 0 offset:804
	ds_read_b128 v[5:8], v159 offset:1392
	s_waitcnt vmcnt(56) lgkmcnt(1)
	v_mul_f64 v[160:161], v[9:10], v[17:18]
	v_mul_f64 v[17:18], v[11:12], v[17:18]
	s_waitcnt vmcnt(54)
	v_fma_f64 v[21:22], v[1:2], v[29:30], -v[21:22]
	v_add_f64 v[15:16], v[15:16], v[27:28]
	v_fma_f64 v[27:28], v[3:4], v[29:30], v[186:187]
	v_add_f64 v[13:14], v[13:14], v[19:20]
	ds_read_b128 v[1:4], v159 offset:1408
	s_waitcnt vmcnt(52) lgkmcnt(1)
	v_mul_f64 v[19:20], v[5:6], v[23:24]
	v_mul_f64 v[23:24], v[7:8], v[23:24]
	s_waitcnt vmcnt(50)
	v_fma_f64 v[17:18], v[9:10], v[67:68], -v[17:18]
	v_add_f64 v[15:16], v[15:16], v[21:22]
	v_fma_f64 v[21:22], v[11:12], v[67:68], v[160:161]
	v_add_f64 v[13:14], v[13:14], v[27:28]
	s_clause 0x3
	buffer_load_dword v27, off, s[0:3], 0 offset:208
	buffer_load_dword v28, off, s[0:3], 0 offset:212
	;; [unrolled: 1-line block ×4, first 2 shown]
	ds_read_b128 v[9:12], v159 offset:1424
	s_waitcnt vmcnt(52) lgkmcnt(1)
	v_mul_f64 v[67:68], v[1:2], v[25:26]
	v_mul_f64 v[25:26], v[3:4], v[25:26]
	s_waitcnt vmcnt(50)
	v_fma_f64 v[23:24], v[5:6], v[61:62], -v[23:24]
	v_add_f64 v[15:16], v[15:16], v[17:18]
	v_fma_f64 v[17:18], v[7:8], v[61:62], v[19:20]
	v_add_f64 v[13:14], v[13:14], v[21:22]
	ds_read_b128 v[5:8], v159 offset:1440
	s_waitcnt vmcnt(48) lgkmcnt(1)
	v_mul_f64 v[21:22], v[11:12], v[31:32]
	v_mul_f64 v[19:20], v[9:10], v[31:32]
	s_waitcnt vmcnt(46)
	v_fma_f64 v[25:26], v[1:2], v[151:152], -v[25:26]
	v_add_f64 v[15:16], v[15:16], v[23:24]
	v_fma_f64 v[23:24], v[3:4], v[151:152], v[67:68]
	v_add_f64 v[13:14], v[13:14], v[17:18]
	ds_read_b128 v[1:4], v159 offset:1456
	s_waitcnt vmcnt(44) lgkmcnt(1)
	v_mul_f64 v[31:32], v[7:8], v[57:58]
	v_mul_f64 v[17:18], v[5:6], v[57:58]
	s_waitcnt vmcnt(42)
	v_fma_f64 v[21:22], v[9:10], v[145:146], -v[21:22]
	v_fma_f64 v[19:20], v[11:12], v[145:146], v[19:20]
	ds_read_b128 v[9:12], v159 offset:1472
	v_add_f64 v[15:16], v[15:16], v[25:26]
	v_add_f64 v[13:14], v[13:14], v[23:24]
	s_waitcnt vmcnt(40) lgkmcnt(1)
	v_mul_f64 v[25:26], v[3:4], v[63:64]
	v_mul_f64 v[23:24], v[1:2], v[63:64]
	s_waitcnt vmcnt(38)
	v_fma_f64 v[31:32], v[5:6], v[157:158], -v[31:32]
	v_fma_f64 v[17:18], v[7:8], v[157:158], v[17:18]
	ds_read_b128 v[5:8], v159 offset:1488
	v_add_f64 v[15:16], v[15:16], v[21:22]
	v_add_f64 v[13:14], v[13:14], v[19:20]
	;; [unrolled: 9-line block ×8, first 2 shown]
	s_waitcnt vmcnt(12) lgkmcnt(1)
	v_mul_f64 v[21:22], v[11:12], v[170:171]
	v_mul_f64 v[19:20], v[9:10], v[170:171]
	s_waitcnt vmcnt(10)
	v_fma_f64 v[1:2], v[1:2], v[184:185], -v[25:26]
	v_fma_f64 v[3:4], v[3:4], v[184:185], v[23:24]
	v_add_f64 v[15:16], v[15:16], v[31:32]
	v_add_f64 v[13:14], v[13:14], v[17:18]
	s_waitcnt vmcnt(8) lgkmcnt(0)
	v_mul_f64 v[23:24], v[7:8], v[164:165]
	v_mul_f64 v[17:18], v[5:6], v[164:165]
	s_waitcnt vmcnt(6)
	v_fma_f64 v[9:10], v[9:10], v[168:169], -v[21:22]
	v_fma_f64 v[11:12], v[11:12], v[168:169], v[19:20]
	v_add_f64 v[1:2], v[15:16], v[1:2]
	v_add_f64 v[3:4], v[13:14], v[3:4]
	s_waitcnt vmcnt(4)
	v_fma_f64 v[5:6], v[5:6], v[59:60], -v[23:24]
	v_fma_f64 v[7:8], v[7:8], v[59:60], v[17:18]
	v_add_f64 v[1:2], v[1:2], v[9:10]
	v_add_f64 v[3:4], v[3:4], v[11:12]
	;; [unrolled: 1-line block ×4, first 2 shown]
	s_waitcnt vmcnt(2)
	v_add_f64 v[1:2], v[27:28], -v[1:2]
	s_waitcnt vmcnt(0)
	v_add_f64 v[3:4], v[29:30], -v[3:4]
	buffer_store_dword v2, off, s[0:3], 0 offset:212
	buffer_store_dword v1, off, s[0:3], 0 offset:208
	;; [unrolled: 1-line block ×4, first 2 shown]
	v_cmpx_lt_u32_e32 11, v0
	s_cbranch_execz .LBB49_291
; %bb.290:
	v_mov_b32_e32 v4, s51
	s_clause 0x3
	buffer_load_dword v1, v4, s[0:3], 0 offen
	buffer_load_dword v2, v4, s[0:3], 0 offen offset:4
	buffer_load_dword v3, v4, s[0:3], 0 offen offset:8
	buffer_load_dword v4, v4, s[0:3], 0 offen offset:12
	buffer_store_dword v159, off, s[0:3], 0 offset:192
	buffer_store_dword v159, off, s[0:3], 0 offset:196
	;; [unrolled: 1-line block ×4, first 2 shown]
	s_waitcnt vmcnt(0)
	ds_write_b128 v163, v[1:4]
.LBB49_291:
	s_or_b32 exec_lo, exec_lo, s4
	s_waitcnt lgkmcnt(0)
	s_waitcnt_vscnt null, 0x0
	s_barrier
	buffer_gl0_inv
	s_clause 0x35
	buffer_load_dword v9, off, s[0:3], 0 offset:216
	buffer_load_dword v10, off, s[0:3], 0 offset:220
	;; [unrolled: 1-line block ×54, first 2 shown]
	ds_read_b128 v[164:167], v159 offset:992
	s_clause 0x3
	buffer_load_dword v155, off, s[0:3], 0 offset:440
	buffer_load_dword v156, off, s[0:3], 0 offset:444
	;; [unrolled: 1-line block ×4, first 2 shown]
	ds_read_b128 v[168:171], v159 offset:1008
	s_clause 0x3
	buffer_load_dword v177, off, s[0:3], 0 offset:460
	buffer_load_dword v176, off, s[0:3], 0 offset:456
	buffer_load_dword v178, off, s[0:3], 0 offset:432
	buffer_load_dword v179, off, s[0:3], 0 offset:436
	ds_read_b128 v[172:175], v159 offset:1024
	s_mov_b32 s4, exec_lo
	s_waitcnt vmcnt(60) lgkmcnt(2)
	v_mul_f64 v[160:161], v[166:167], v[9:10]
	v_mul_f64 v[9:10], v[164:165], v[9:10]
	s_waitcnt vmcnt(58) lgkmcnt(1)
	v_mul_f64 v[180:181], v[170:171], v[5:6]
	s_waitcnt vmcnt(54) lgkmcnt(0)
	v_mul_f64 v[186:187], v[174:175], v[3:4]
	v_mul_f64 v[184:185], v[172:173], v[3:4]
	v_fma_f64 v[160:161], v[164:165], v[7:8], -v[160:161]
	v_mul_f64 v[164:165], v[168:169], v[5:6]
	v_fma_f64 v[9:10], v[166:167], v[7:8], v[9:10]
	s_clause 0x3
	buffer_load_dword v166, off, s[0:3], 0 offset:472
	buffer_load_dword v167, off, s[0:3], 0 offset:476
	;; [unrolled: 1-line block ×4, first 2 shown]
	s_waitcnt vmcnt(56)
	v_fma_f64 v[168:169], v[168:169], v[1:2], -v[180:181]
	ds_read_b128 v[5:8], v159 offset:1040
	s_waitcnt vmcnt(52)
	v_fma_f64 v[172:173], v[172:173], v[19:20], -v[186:187]
	v_fma_f64 v[19:20], v[174:175], v[19:20], v[184:185]
	v_add_f64 v[160:161], v[160:161], 0
	v_fma_f64 v[164:165], v[170:171], v[1:2], v[164:165]
	v_add_f64 v[9:10], v[9:10], 0
	s_clause 0x3
	buffer_load_dword v171, off, s[0:3], 0 offset:492
	buffer_load_dword v170, off, s[0:3], 0 offset:488
	;; [unrolled: 1-line block ×4, first 2 shown]
	s_waitcnt lgkmcnt(0)
	v_mul_f64 v[190:191], v[7:8], v[11:12]
	ds_read_b128 v[1:4], v159 offset:1056
	v_mul_f64 v[188:189], v[5:6], v[11:12]
	v_add_f64 v[160:161], v[160:161], v[168:169]
	s_clause 0x3
	buffer_load_dword v168, off, s[0:3], 0 offset:504
	buffer_load_dword v169, off, s[0:3], 0 offset:508
	;; [unrolled: 1-line block ×4, first 2 shown]
	v_add_f64 v[164:165], v[9:10], v[164:165]
	s_waitcnt vmcnt(58) lgkmcnt(0)
	v_mul_f64 v[184:185], v[1:2], v[15:16]
	v_mul_f64 v[15:16], v[3:4], v[15:16]
	s_waitcnt vmcnt(56)
	v_fma_f64 v[186:187], v[5:6], v[13:14], -v[190:191]
	ds_read_b128 v[9:12], v159 offset:1072
	v_fma_f64 v[13:14], v[7:8], v[13:14], v[188:189]
	v_add_f64 v[160:161], v[160:161], v[172:173]
	v_add_f64 v[19:20], v[164:165], v[19:20]
	s_clause 0x3
	buffer_load_dword v165, off, s[0:3], 0 offset:524
	buffer_load_dword v164, off, s[0:3], 0 offset:520
	;; [unrolled: 1-line block ×4, first 2 shown]
	s_waitcnt vmcnt(58) lgkmcnt(0)
	v_mul_f64 v[188:189], v[9:10], v[17:18]
	v_mul_f64 v[17:18], v[11:12], v[17:18]
	s_waitcnt vmcnt(56)
	v_fma_f64 v[15:16], v[1:2], v[27:28], -v[15:16]
	ds_read_b128 v[5:8], v159 offset:1088
	v_fma_f64 v[27:28], v[3:4], v[27:28], v[184:185]
	v_add_f64 v[160:161], v[160:161], v[186:187]
	v_add_f64 v[13:14], v[19:20], v[13:14]
	s_clause 0x3
	buffer_load_dword v19, off, s[0:3], 0 offset:536
	buffer_load_dword v20, off, s[0:3], 0 offset:540
	;; [unrolled: 1-line block ×4, first 2 shown]
	ds_read_b128 v[1:4], v159 offset:1104
	s_waitcnt vmcnt(58) lgkmcnt(1)
	v_mul_f64 v[186:187], v[5:6], v[23:24]
	v_mul_f64 v[23:24], v[7:8], v[23:24]
	s_waitcnt vmcnt(56)
	v_fma_f64 v[17:18], v[9:10], v[21:22], -v[17:18]
	v_fma_f64 v[21:22], v[11:12], v[21:22], v[188:189]
	v_add_f64 v[15:16], v[160:161], v[15:16]
	v_add_f64 v[13:14], v[13:14], v[27:28]
	s_clause 0x3
	buffer_load_dword v28, off, s[0:3], 0 offset:556
	buffer_load_dword v27, off, s[0:3], 0 offset:552
	buffer_load_dword v160, off, s[0:3], 0 offset:528
	buffer_load_dword v161, off, s[0:3], 0 offset:532
	s_waitcnt vmcnt(58) lgkmcnt(0)
	v_mul_f64 v[188:189], v[1:2], v[25:26]
	v_mul_f64 v[25:26], v[3:4], v[25:26]
	s_waitcnt vmcnt(56)
	v_fma_f64 v[23:24], v[5:6], v[59:60], -v[23:24]
	ds_read_b128 v[9:12], v159 offset:1120
	v_add_f64 v[15:16], v[15:16], v[17:18]
	v_fma_f64 v[17:18], v[7:8], v[59:60], v[186:187]
	v_add_f64 v[13:14], v[13:14], v[21:22]
	s_clause 0x3
	buffer_load_dword v21, off, s[0:3], 0 offset:568
	buffer_load_dword v22, off, s[0:3], 0 offset:572
	buffer_load_dword v60, off, s[0:3], 0 offset:548
	buffer_load_dword v59, off, s[0:3], 0 offset:544
	ds_read_b128 v[5:8], v159 offset:1136
	s_waitcnt vmcnt(58) lgkmcnt(1)
	v_mul_f64 v[186:187], v[9:10], v[31:32]
	v_mul_f64 v[31:32], v[11:12], v[31:32]
	s_waitcnt vmcnt(56)
	v_fma_f64 v[25:26], v[1:2], v[29:30], -v[25:26]
	v_add_f64 v[15:16], v[15:16], v[23:24]
	v_fma_f64 v[23:24], v[3:4], v[29:30], v[188:189]
	v_add_f64 v[13:14], v[13:14], v[17:18]
	s_clause 0x3
	buffer_load_dword v18, off, s[0:3], 0 offset:588
	buffer_load_dword v17, off, s[0:3], 0 offset:584
	buffer_load_dword v29, off, s[0:3], 0 offset:560
	buffer_load_dword v30, off, s[0:3], 0 offset:564
	s_waitcnt vmcnt(58) lgkmcnt(0)
	v_mul_f64 v[188:189], v[5:6], v[57:58]
	v_mul_f64 v[57:58], v[7:8], v[57:58]
	s_waitcnt vmcnt(56)
	v_fma_f64 v[31:32], v[9:10], v[67:68], -v[31:32]
	ds_read_b128 v[1:4], v159 offset:1152
	v_add_f64 v[15:16], v[15:16], v[25:26]
	v_fma_f64 v[25:26], v[11:12], v[67:68], v[186:187]
	v_add_f64 v[13:14], v[13:14], v[23:24]
	s_clause 0x3
	buffer_load_dword v23, off, s[0:3], 0 offset:600
	buffer_load_dword v24, off, s[0:3], 0 offset:604
	buffer_load_dword v68, off, s[0:3], 0 offset:580
	buffer_load_dword v67, off, s[0:3], 0 offset:576
	ds_read_b128 v[9:12], v159 offset:1168
	s_waitcnt vmcnt(58) lgkmcnt(1)
	v_mul_f64 v[186:187], v[1:2], v[63:64]
	v_mul_f64 v[63:64], v[3:4], v[63:64]
	s_waitcnt vmcnt(56)
	v_fma_f64 v[57:58], v[5:6], v[61:62], -v[57:58]
	v_add_f64 v[15:16], v[15:16], v[31:32]
	v_fma_f64 v[31:32], v[7:8], v[61:62], v[188:189]
	;; [unrolled: 28-line block ×5, first 2 shown]
	v_add_f64 v[13:14], v[13:14], v[149:150]
	s_clause 0x3
	buffer_load_dword v150, off, s[0:3], 0 offset:716
	buffer_load_dword v149, off, s[0:3], 0 offset:712
	buffer_load_dword v182, off, s[0:3], 0 offset:688
	buffer_load_dword v183, off, s[0:3], 0 offset:692
	ds_read_b128 v[5:8], v159 offset:1280
	s_waitcnt vmcnt(58) lgkmcnt(1)
	v_mul_f64 v[188:189], v[9:10], v[170:171]
	v_mul_f64 v[170:171], v[11:12], v[170:171]
	s_waitcnt vmcnt(56)
	v_fma_f64 v[166:167], v[1:2], v[180:181], -v[166:167]
	v_add_f64 v[15:16], v[15:16], v[176:177]
	v_fma_f64 v[176:177], v[3:4], v[180:181], v[186:187]
	v_add_f64 v[13:14], v[13:14], v[155:156]
	s_clause 0x3
	buffer_load_dword v155, off, s[0:3], 0 offset:728
	buffer_load_dword v156, off, s[0:3], 0 offset:732
	buffer_load_dword v181, off, s[0:3], 0 offset:708
	buffer_load_dword v180, off, s[0:3], 0 offset:704
	ds_read_b128 v[1:4], v159 offset:1296
	s_waitcnt vmcnt(58) lgkmcnt(1)
	v_mul_f64 v[186:187], v[5:6], v[168:169]
	v_mul_f64 v[168:169], v[7:8], v[168:169]
	s_waitcnt vmcnt(56)
	v_fma_f64 v[170:171], v[9:10], v[174:175], -v[170:171]
	v_add_f64 v[15:16], v[15:16], v[166:167]
	v_fma_f64 v[166:167], v[11:12], v[174:175], v[188:189]
	;; [unrolled: 14-line block ×4, first 2 shown]
	v_add_f64 v[13:14], v[13:14], v[170:171]
	s_clause 0x3
	buffer_load_dword v171, off, s[0:3], 0 offset:780
	buffer_load_dword v170, off, s[0:3], 0 offset:776
	;; [unrolled: 1-line block ×4, first 2 shown]
	ds_read_b128 v[1:4], v159 offset:1344
	s_waitcnt vmcnt(58) lgkmcnt(1)
	v_mul_f64 v[188:189], v[5:6], v[27:28]
	v_mul_f64 v[27:28], v[7:8], v[27:28]
	s_waitcnt vmcnt(56)
	v_fma_f64 v[19:20], v[9:10], v[160:161], -v[19:20]
	v_fma_f64 v[160:161], v[11:12], v[160:161], v[186:187]
	v_add_f64 v[15:16], v[15:16], v[164:165]
	v_add_f64 v[13:14], v[13:14], v[168:169]
	s_clause 0x3
	buffer_load_dword v164, off, s[0:3], 0 offset:792
	buffer_load_dword v165, off, s[0:3], 0 offset:796
	;; [unrolled: 1-line block ×4, first 2 shown]
	ds_read_b128 v[9:12], v159 offset:1360
	s_waitcnt vmcnt(58) lgkmcnt(1)
	v_mul_f64 v[186:187], v[1:2], v[21:22]
	v_mul_f64 v[21:22], v[3:4], v[21:22]
	s_waitcnt vmcnt(56)
	v_fma_f64 v[27:28], v[5:6], v[59:60], -v[27:28]
	v_add_f64 v[15:16], v[15:16], v[19:20]
	v_fma_f64 v[19:20], v[7:8], v[59:60], v[188:189]
	v_add_f64 v[13:14], v[13:14], v[160:161]
	s_clause 0x3
	buffer_load_dword v60, off, s[0:3], 0 offset:812
	buffer_load_dword v59, off, s[0:3], 0 offset:808
	;; [unrolled: 1-line block ×4, first 2 shown]
	ds_read_b128 v[5:8], v159 offset:1376
	s_waitcnt vmcnt(58) lgkmcnt(1)
	v_mul_f64 v[188:189], v[9:10], v[17:18]
	v_mul_f64 v[17:18], v[11:12], v[17:18]
	s_waitcnt vmcnt(56)
	v_fma_f64 v[21:22], v[1:2], v[29:30], -v[21:22]
	v_add_f64 v[15:16], v[15:16], v[27:28]
	v_fma_f64 v[27:28], v[3:4], v[29:30], v[186:187]
	v_add_f64 v[13:14], v[13:14], v[19:20]
	s_clause 0x1
	buffer_load_dword v20, off, s[0:3], 0 offset:804
	buffer_load_dword v19, off, s[0:3], 0 offset:800
	ds_read_b128 v[1:4], v159 offset:1392
	s_waitcnt vmcnt(56) lgkmcnt(1)
	v_mul_f64 v[29:30], v[5:6], v[23:24]
	v_mul_f64 v[23:24], v[7:8], v[23:24]
	s_waitcnt vmcnt(54)
	v_fma_f64 v[17:18], v[9:10], v[67:68], -v[17:18]
	v_add_f64 v[15:16], v[15:16], v[21:22]
	v_fma_f64 v[21:22], v[11:12], v[67:68], v[188:189]
	v_add_f64 v[13:14], v[13:14], v[27:28]
	ds_read_b128 v[9:12], v159 offset:1408
	s_waitcnt vmcnt(52) lgkmcnt(1)
	v_mul_f64 v[27:28], v[1:2], v[25:26]
	v_mul_f64 v[25:26], v[3:4], v[25:26]
	s_waitcnt vmcnt(50)
	v_fma_f64 v[23:24], v[5:6], v[61:62], -v[23:24]
	v_add_f64 v[15:16], v[15:16], v[17:18]
	v_fma_f64 v[17:18], v[7:8], v[61:62], v[29:30]
	v_add_f64 v[13:14], v[13:14], v[21:22]
	s_clause 0x3
	buffer_load_dword v21, off, s[0:3], 0 offset:192
	buffer_load_dword v22, off, s[0:3], 0 offset:196
	;; [unrolled: 1-line block ×4, first 2 shown]
	ds_read_b128 v[5:8], v159 offset:1424
	s_waitcnt vmcnt(52) lgkmcnt(1)
	v_mul_f64 v[61:62], v[9:10], v[31:32]
	v_mul_f64 v[31:32], v[11:12], v[31:32]
	s_waitcnt vmcnt(50)
	v_fma_f64 v[25:26], v[1:2], v[151:152], -v[25:26]
	v_add_f64 v[15:16], v[15:16], v[23:24]
	v_fma_f64 v[23:24], v[3:4], v[151:152], v[27:28]
	v_add_f64 v[13:14], v[13:14], v[17:18]
	ds_read_b128 v[1:4], v159 offset:1440
	s_waitcnt vmcnt(48) lgkmcnt(1)
	v_mul_f64 v[27:28], v[7:8], v[57:58]
	v_mul_f64 v[17:18], v[5:6], v[57:58]
	s_waitcnt vmcnt(46)
	v_fma_f64 v[31:32], v[9:10], v[145:146], -v[31:32]
	v_add_f64 v[15:16], v[15:16], v[25:26]
	v_fma_f64 v[25:26], v[11:12], v[145:146], v[61:62]
	v_add_f64 v[13:14], v[13:14], v[23:24]
	ds_read_b128 v[9:12], v159 offset:1456
	s_waitcnt vmcnt(44) lgkmcnt(1)
	v_mul_f64 v[57:58], v[3:4], v[63:64]
	v_mul_f64 v[23:24], v[1:2], v[63:64]
	s_waitcnt vmcnt(42)
	v_fma_f64 v[27:28], v[5:6], v[157:158], -v[27:28]
	v_fma_f64 v[17:18], v[7:8], v[157:158], v[17:18]
	ds_read_b128 v[5:8], v159 offset:1472
	v_add_f64 v[15:16], v[15:16], v[31:32]
	v_add_f64 v[13:14], v[13:14], v[25:26]
	s_waitcnt vmcnt(40) lgkmcnt(1)
	v_mul_f64 v[31:32], v[11:12], v[65:66]
	v_mul_f64 v[25:26], v[9:10], v[65:66]
	s_waitcnt vmcnt(38)
	v_fma_f64 v[57:58], v[1:2], v[153:154], -v[57:58]
	v_fma_f64 v[23:24], v[3:4], v[153:154], v[23:24]
	ds_read_b128 v[1:4], v159 offset:1488
	v_add_f64 v[15:16], v[15:16], v[27:28]
	v_add_f64 v[13:14], v[13:14], v[17:18]
	;; [unrolled: 9-line block ×8, first 2 shown]
	s_waitcnt vmcnt(12) lgkmcnt(1)
	v_mul_f64 v[27:28], v[7:8], v[164:165]
	v_mul_f64 v[17:18], v[5:6], v[164:165]
	s_waitcnt vmcnt(10)
	v_fma_f64 v[9:10], v[9:10], v[168:169], -v[31:32]
	v_fma_f64 v[11:12], v[11:12], v[168:169], v[25:26]
	v_add_f64 v[15:16], v[15:16], v[57:58]
	v_add_f64 v[13:14], v[13:14], v[23:24]
	s_waitcnt vmcnt(8) lgkmcnt(0)
	v_mul_f64 v[25:26], v[3:4], v[59:60]
	v_mul_f64 v[23:24], v[1:2], v[59:60]
	s_waitcnt vmcnt(6)
	v_fma_f64 v[5:6], v[5:6], v[160:161], -v[27:28]
	v_fma_f64 v[7:8], v[7:8], v[160:161], v[17:18]
	v_add_f64 v[9:10], v[15:16], v[9:10]
	v_add_f64 v[11:12], v[13:14], v[11:12]
	s_waitcnt vmcnt(4)
	v_fma_f64 v[1:2], v[1:2], v[19:20], -v[25:26]
	v_fma_f64 v[3:4], v[3:4], v[19:20], v[23:24]
	v_add_f64 v[5:6], v[9:10], v[5:6]
	v_add_f64 v[7:8], v[11:12], v[7:8]
	;; [unrolled: 1-line block ×4, first 2 shown]
	s_waitcnt vmcnt(2)
	v_add_f64 v[1:2], v[21:22], -v[1:2]
	s_waitcnt vmcnt(0)
	v_add_f64 v[3:4], v[29:30], -v[3:4]
	buffer_store_dword v2, off, s[0:3], 0 offset:196
	buffer_store_dword v1, off, s[0:3], 0 offset:192
	;; [unrolled: 1-line block ×4, first 2 shown]
	v_cmpx_lt_u32_e32 10, v0
	s_cbranch_execz .LBB49_293
; %bb.292:
	v_mov_b32_e32 v4, s52
	v_mov_b32_e32 v5, 0
	s_clause 0x3
	buffer_load_dword v1, v4, s[0:3], 0 offen
	buffer_load_dword v2, v4, s[0:3], 0 offen offset:4
	buffer_load_dword v3, v4, s[0:3], 0 offen offset:8
	buffer_load_dword v4, v4, s[0:3], 0 offen offset:12
	buffer_store_dword v5, off, s[0:3], 0 offset:176
	buffer_store_dword v5, off, s[0:3], 0 offset:180
	;; [unrolled: 1-line block ×4, first 2 shown]
	s_waitcnt vmcnt(0)
	ds_write_b128 v163, v[1:4]
.LBB49_293:
	s_or_b32 exec_lo, exec_lo, s4
	s_waitcnt lgkmcnt(0)
	s_waitcnt_vscnt null, 0x0
	s_barrier
	buffer_gl0_inv
	s_clause 0x35
	buffer_load_dword v9, off, s[0:3], 0 offset:200
	buffer_load_dword v10, off, s[0:3], 0 offset:204
	;; [unrolled: 1-line block ×54, first 2 shown]
	v_mov_b32_e32 v159, 0
	s_mov_b32 s4, exec_lo
	ds_read_b128 v[164:167], v159 offset:976
	s_clause 0x3
	buffer_load_dword v155, off, s[0:3], 0 offset:424
	buffer_load_dword v156, off, s[0:3], 0 offset:428
	buffer_load_dword v154, off, s[0:3], 0 offset:404
	buffer_load_dword v153, off, s[0:3], 0 offset:400
	ds_read_b128 v[168:171], v159 offset:992
	s_clause 0x3
	buffer_load_dword v177, off, s[0:3], 0 offset:444
	buffer_load_dword v176, off, s[0:3], 0 offset:440
	;; [unrolled: 1-line block ×4, first 2 shown]
	ds_read_b128 v[172:175], v159 offset:1008
	s_waitcnt vmcnt(60) lgkmcnt(2)
	v_mul_f64 v[160:161], v[166:167], v[9:10]
	v_mul_f64 v[9:10], v[164:165], v[9:10]
	s_waitcnt vmcnt(58) lgkmcnt(1)
	v_mul_f64 v[180:181], v[170:171], v[5:6]
	s_waitcnt vmcnt(54) lgkmcnt(0)
	v_mul_f64 v[186:187], v[174:175], v[3:4]
	v_mul_f64 v[184:185], v[172:173], v[3:4]
	v_fma_f64 v[160:161], v[164:165], v[7:8], -v[160:161]
	v_mul_f64 v[164:165], v[168:169], v[5:6]
	v_fma_f64 v[9:10], v[166:167], v[7:8], v[9:10]
	s_clause 0x3
	buffer_load_dword v166, off, s[0:3], 0 offset:456
	buffer_load_dword v167, off, s[0:3], 0 offset:460
	;; [unrolled: 1-line block ×4, first 2 shown]
	s_waitcnt vmcnt(56)
	v_fma_f64 v[168:169], v[168:169], v[1:2], -v[180:181]
	ds_read_b128 v[5:8], v159 offset:1024
	s_waitcnt vmcnt(52)
	v_fma_f64 v[172:173], v[172:173], v[19:20], -v[186:187]
	v_fma_f64 v[19:20], v[174:175], v[19:20], v[184:185]
	v_add_f64 v[160:161], v[160:161], 0
	v_fma_f64 v[164:165], v[170:171], v[1:2], v[164:165]
	v_add_f64 v[9:10], v[9:10], 0
	s_clause 0x3
	buffer_load_dword v171, off, s[0:3], 0 offset:476
	buffer_load_dword v170, off, s[0:3], 0 offset:472
	;; [unrolled: 1-line block ×4, first 2 shown]
	s_waitcnt lgkmcnt(0)
	v_mul_f64 v[190:191], v[7:8], v[11:12]
	ds_read_b128 v[1:4], v159 offset:1040
	v_mul_f64 v[188:189], v[5:6], v[11:12]
	v_add_f64 v[160:161], v[160:161], v[168:169]
	s_clause 0x3
	buffer_load_dword v168, off, s[0:3], 0 offset:488
	buffer_load_dword v169, off, s[0:3], 0 offset:492
	;; [unrolled: 1-line block ×4, first 2 shown]
	v_add_f64 v[164:165], v[9:10], v[164:165]
	s_waitcnt vmcnt(58) lgkmcnt(0)
	v_mul_f64 v[184:185], v[1:2], v[15:16]
	v_mul_f64 v[15:16], v[3:4], v[15:16]
	s_waitcnt vmcnt(56)
	v_fma_f64 v[186:187], v[5:6], v[13:14], -v[190:191]
	ds_read_b128 v[9:12], v159 offset:1056
	v_fma_f64 v[13:14], v[7:8], v[13:14], v[188:189]
	v_add_f64 v[160:161], v[160:161], v[172:173]
	v_add_f64 v[19:20], v[164:165], v[19:20]
	s_clause 0x3
	buffer_load_dword v165, off, s[0:3], 0 offset:508
	buffer_load_dword v164, off, s[0:3], 0 offset:504
	;; [unrolled: 1-line block ×4, first 2 shown]
	s_waitcnt vmcnt(58) lgkmcnt(0)
	v_mul_f64 v[188:189], v[9:10], v[17:18]
	v_mul_f64 v[17:18], v[11:12], v[17:18]
	s_waitcnt vmcnt(56)
	v_fma_f64 v[15:16], v[1:2], v[27:28], -v[15:16]
	ds_read_b128 v[5:8], v159 offset:1072
	v_fma_f64 v[27:28], v[3:4], v[27:28], v[184:185]
	v_add_f64 v[160:161], v[160:161], v[186:187]
	v_add_f64 v[13:14], v[19:20], v[13:14]
	s_clause 0x3
	buffer_load_dword v19, off, s[0:3], 0 offset:520
	buffer_load_dword v20, off, s[0:3], 0 offset:524
	;; [unrolled: 1-line block ×4, first 2 shown]
	ds_read_b128 v[1:4], v159 offset:1088
	s_waitcnt vmcnt(58) lgkmcnt(1)
	v_mul_f64 v[186:187], v[5:6], v[23:24]
	v_mul_f64 v[23:24], v[7:8], v[23:24]
	s_waitcnt vmcnt(56)
	v_fma_f64 v[17:18], v[9:10], v[21:22], -v[17:18]
	v_fma_f64 v[21:22], v[11:12], v[21:22], v[188:189]
	v_add_f64 v[15:16], v[160:161], v[15:16]
	v_add_f64 v[13:14], v[13:14], v[27:28]
	s_clause 0x3
	buffer_load_dword v28, off, s[0:3], 0 offset:540
	buffer_load_dword v27, off, s[0:3], 0 offset:536
	buffer_load_dword v160, off, s[0:3], 0 offset:512
	buffer_load_dword v161, off, s[0:3], 0 offset:516
	s_waitcnt vmcnt(58) lgkmcnt(0)
	v_mul_f64 v[188:189], v[1:2], v[25:26]
	v_mul_f64 v[25:26], v[3:4], v[25:26]
	s_waitcnt vmcnt(56)
	v_fma_f64 v[23:24], v[5:6], v[59:60], -v[23:24]
	ds_read_b128 v[9:12], v159 offset:1104
	v_add_f64 v[15:16], v[15:16], v[17:18]
	v_fma_f64 v[17:18], v[7:8], v[59:60], v[186:187]
	v_add_f64 v[13:14], v[13:14], v[21:22]
	s_clause 0x3
	buffer_load_dword v21, off, s[0:3], 0 offset:552
	buffer_load_dword v22, off, s[0:3], 0 offset:556
	buffer_load_dword v60, off, s[0:3], 0 offset:532
	buffer_load_dword v59, off, s[0:3], 0 offset:528
	ds_read_b128 v[5:8], v159 offset:1120
	s_waitcnt vmcnt(58) lgkmcnt(1)
	v_mul_f64 v[186:187], v[9:10], v[31:32]
	v_mul_f64 v[31:32], v[11:12], v[31:32]
	s_waitcnt vmcnt(56)
	v_fma_f64 v[25:26], v[1:2], v[29:30], -v[25:26]
	v_add_f64 v[15:16], v[15:16], v[23:24]
	v_fma_f64 v[23:24], v[3:4], v[29:30], v[188:189]
	v_add_f64 v[13:14], v[13:14], v[17:18]
	s_clause 0x3
	buffer_load_dword v18, off, s[0:3], 0 offset:572
	buffer_load_dword v17, off, s[0:3], 0 offset:568
	buffer_load_dword v29, off, s[0:3], 0 offset:544
	buffer_load_dword v30, off, s[0:3], 0 offset:548
	s_waitcnt vmcnt(58) lgkmcnt(0)
	v_mul_f64 v[188:189], v[5:6], v[57:58]
	v_mul_f64 v[57:58], v[7:8], v[57:58]
	s_waitcnt vmcnt(56)
	v_fma_f64 v[31:32], v[9:10], v[67:68], -v[31:32]
	ds_read_b128 v[1:4], v159 offset:1136
	v_add_f64 v[15:16], v[15:16], v[25:26]
	v_fma_f64 v[25:26], v[11:12], v[67:68], v[186:187]
	v_add_f64 v[13:14], v[13:14], v[23:24]
	s_clause 0x3
	buffer_load_dword v23, off, s[0:3], 0 offset:584
	buffer_load_dword v24, off, s[0:3], 0 offset:588
	buffer_load_dword v68, off, s[0:3], 0 offset:564
	buffer_load_dword v67, off, s[0:3], 0 offset:560
	ds_read_b128 v[9:12], v159 offset:1152
	s_waitcnt vmcnt(58) lgkmcnt(1)
	v_mul_f64 v[186:187], v[1:2], v[63:64]
	v_mul_f64 v[63:64], v[3:4], v[63:64]
	s_waitcnt vmcnt(56)
	v_fma_f64 v[57:58], v[5:6], v[61:62], -v[57:58]
	v_add_f64 v[15:16], v[15:16], v[31:32]
	v_fma_f64 v[31:32], v[7:8], v[61:62], v[188:189]
	;; [unrolled: 28-line block ×5, first 2 shown]
	v_add_f64 v[13:14], v[13:14], v[149:150]
	s_clause 0x3
	buffer_load_dword v150, off, s[0:3], 0 offset:700
	buffer_load_dword v149, off, s[0:3], 0 offset:696
	buffer_load_dword v182, off, s[0:3], 0 offset:672
	buffer_load_dword v183, off, s[0:3], 0 offset:676
	ds_read_b128 v[5:8], v159 offset:1264
	s_waitcnt vmcnt(58) lgkmcnt(1)
	v_mul_f64 v[188:189], v[9:10], v[170:171]
	v_mul_f64 v[170:171], v[11:12], v[170:171]
	s_waitcnt vmcnt(56)
	v_fma_f64 v[166:167], v[1:2], v[180:181], -v[166:167]
	v_add_f64 v[15:16], v[15:16], v[176:177]
	v_fma_f64 v[176:177], v[3:4], v[180:181], v[186:187]
	v_add_f64 v[13:14], v[13:14], v[155:156]
	s_clause 0x3
	buffer_load_dword v155, off, s[0:3], 0 offset:712
	buffer_load_dword v156, off, s[0:3], 0 offset:716
	buffer_load_dword v181, off, s[0:3], 0 offset:692
	buffer_load_dword v180, off, s[0:3], 0 offset:688
	ds_read_b128 v[1:4], v159 offset:1280
	s_waitcnt vmcnt(58) lgkmcnt(1)
	v_mul_f64 v[186:187], v[5:6], v[168:169]
	v_mul_f64 v[168:169], v[7:8], v[168:169]
	s_waitcnt vmcnt(56)
	v_fma_f64 v[170:171], v[9:10], v[174:175], -v[170:171]
	v_add_f64 v[15:16], v[15:16], v[166:167]
	v_fma_f64 v[166:167], v[11:12], v[174:175], v[188:189]
	v_add_f64 v[13:14], v[13:14], v[176:177]
	s_clause 0x3
	buffer_load_dword v175, off, s[0:3], 0 offset:732
	buffer_load_dword v174, off, s[0:3], 0 offset:728
	buffer_load_dword v176, off, s[0:3], 0 offset:704
	buffer_load_dword v177, off, s[0:3], 0 offset:708
	ds_read_b128 v[9:12], v159 offset:1296
	s_waitcnt vmcnt(58) lgkmcnt(1)
	v_mul_f64 v[188:189], v[1:2], v[164:165]
	v_mul_f64 v[164:165], v[3:4], v[164:165]
	s_waitcnt vmcnt(56)
	v_fma_f64 v[168:169], v[5:6], v[172:173], -v[168:169]
	v_add_f64 v[15:16], v[15:16], v[170:171]
	v_fma_f64 v[170:171], v[7:8], v[172:173], v[186:187]
	v_add_f64 v[13:14], v[13:14], v[166:167]
	s_clause 0x3
	buffer_load_dword v166, off, s[0:3], 0 offset:744
	buffer_load_dword v167, off, s[0:3], 0 offset:748
	buffer_load_dword v173, off, s[0:3], 0 offset:724
	buffer_load_dword v172, off, s[0:3], 0 offset:720
	ds_read_b128 v[5:8], v159 offset:1312
	s_waitcnt vmcnt(58) lgkmcnt(1)
	v_mul_f64 v[186:187], v[9:10], v[19:20]
	v_mul_f64 v[19:20], v[11:12], v[19:20]
	s_waitcnt vmcnt(56)
	v_fma_f64 v[164:165], v[1:2], v[184:185], -v[164:165]
	v_add_f64 v[15:16], v[15:16], v[168:169]
	v_fma_f64 v[168:169], v[3:4], v[184:185], v[188:189]
	v_add_f64 v[13:14], v[13:14], v[170:171]
	s_clause 0x3
	buffer_load_dword v171, off, s[0:3], 0 offset:764
	buffer_load_dword v170, off, s[0:3], 0 offset:760
	;; [unrolled: 1-line block ×4, first 2 shown]
	ds_read_b128 v[1:4], v159 offset:1328
	s_waitcnt vmcnt(58) lgkmcnt(1)
	v_mul_f64 v[188:189], v[5:6], v[27:28]
	v_mul_f64 v[27:28], v[7:8], v[27:28]
	s_waitcnt vmcnt(56)
	v_fma_f64 v[19:20], v[9:10], v[160:161], -v[19:20]
	v_fma_f64 v[160:161], v[11:12], v[160:161], v[186:187]
	v_add_f64 v[15:16], v[15:16], v[164:165]
	v_add_f64 v[13:14], v[13:14], v[168:169]
	s_clause 0x3
	buffer_load_dword v164, off, s[0:3], 0 offset:776
	buffer_load_dword v165, off, s[0:3], 0 offset:780
	buffer_load_dword v169, off, s[0:3], 0 offset:756
	buffer_load_dword v168, off, s[0:3], 0 offset:752
	ds_read_b128 v[9:12], v159 offset:1344
	s_waitcnt vmcnt(58) lgkmcnt(1)
	v_mul_f64 v[186:187], v[1:2], v[21:22]
	v_mul_f64 v[21:22], v[3:4], v[21:22]
	s_waitcnt vmcnt(56)
	v_fma_f64 v[27:28], v[5:6], v[59:60], -v[27:28]
	v_add_f64 v[15:16], v[15:16], v[19:20]
	v_fma_f64 v[19:20], v[7:8], v[59:60], v[188:189]
	v_add_f64 v[13:14], v[13:14], v[160:161]
	s_clause 0x3
	buffer_load_dword v60, off, s[0:3], 0 offset:796
	buffer_load_dword v59, off, s[0:3], 0 offset:792
	buffer_load_dword v160, off, s[0:3], 0 offset:768
	buffer_load_dword v161, off, s[0:3], 0 offset:772
	ds_read_b128 v[5:8], v159 offset:1360
	s_waitcnt vmcnt(58) lgkmcnt(1)
	v_mul_f64 v[188:189], v[9:10], v[17:18]
	v_mul_f64 v[17:18], v[11:12], v[17:18]
	s_waitcnt vmcnt(56)
	v_fma_f64 v[21:22], v[1:2], v[29:30], -v[21:22]
	v_add_f64 v[15:16], v[15:16], v[27:28]
	v_fma_f64 v[27:28], v[3:4], v[29:30], v[186:187]
	;; [unrolled: 14-line block ×3, first 2 shown]
	v_add_f64 v[13:14], v[13:14], v[27:28]
	s_clause 0x1
	buffer_load_dword v27, off, s[0:3], 0 offset:800
	buffer_load_dword v28, off, s[0:3], 0 offset:804
	ds_read_b128 v[9:12], v159 offset:1392
	s_waitcnt vmcnt(56) lgkmcnt(1)
	v_mul_f64 v[67:68], v[1:2], v[25:26]
	v_mul_f64 v[25:26], v[3:4], v[25:26]
	s_waitcnt vmcnt(54)
	v_fma_f64 v[23:24], v[5:6], v[61:62], -v[23:24]
	v_add_f64 v[15:16], v[15:16], v[17:18]
	v_fma_f64 v[17:18], v[7:8], v[61:62], v[186:187]
	v_add_f64 v[13:14], v[13:14], v[21:22]
	ds_read_b128 v[5:8], v159 offset:1408
	s_waitcnt vmcnt(52) lgkmcnt(1)
	v_mul_f64 v[21:22], v[9:10], v[31:32]
	v_mul_f64 v[31:32], v[11:12], v[31:32]
	s_waitcnt vmcnt(50)
	v_fma_f64 v[25:26], v[1:2], v[151:152], -v[25:26]
	v_add_f64 v[15:16], v[15:16], v[23:24]
	v_fma_f64 v[23:24], v[3:4], v[151:152], v[67:68]
	v_add_f64 v[13:14], v[13:14], v[17:18]
	s_clause 0x3
	buffer_load_dword v17, off, s[0:3], 0 offset:176
	buffer_load_dword v18, off, s[0:3], 0 offset:180
	;; [unrolled: 1-line block ×4, first 2 shown]
	ds_read_b128 v[1:4], v159 offset:1424
	s_waitcnt vmcnt(52) lgkmcnt(1)
	v_mul_f64 v[67:68], v[5:6], v[57:58]
	v_mul_f64 v[57:58], v[7:8], v[57:58]
	s_waitcnt vmcnt(50)
	v_fma_f64 v[31:32], v[9:10], v[145:146], -v[31:32]
	v_fma_f64 v[21:22], v[11:12], v[145:146], v[21:22]
	ds_read_b128 v[9:12], v159 offset:1440
	v_add_f64 v[15:16], v[15:16], v[25:26]
	v_add_f64 v[13:14], v[13:14], v[23:24]
	s_waitcnt vmcnt(48) lgkmcnt(1)
	v_mul_f64 v[25:26], v[3:4], v[63:64]
	v_mul_f64 v[23:24], v[1:2], v[63:64]
	s_waitcnt vmcnt(46)
	v_fma_f64 v[57:58], v[5:6], v[157:158], -v[57:58]
	v_add_f64 v[15:16], v[15:16], v[31:32]
	v_fma_f64 v[31:32], v[7:8], v[157:158], v[67:68]
	v_add_f64 v[13:14], v[13:14], v[21:22]
	ds_read_b128 v[5:8], v159 offset:1456
	s_waitcnt vmcnt(44) lgkmcnt(1)
	v_mul_f64 v[63:64], v[11:12], v[65:66]
	v_mul_f64 v[21:22], v[9:10], v[65:66]
	s_waitcnt vmcnt(42)
	v_fma_f64 v[25:26], v[1:2], v[153:154], -v[25:26]
	v_fma_f64 v[23:24], v[3:4], v[153:154], v[23:24]
	ds_read_b128 v[1:4], v159 offset:1472
	v_add_f64 v[15:16], v[15:16], v[57:58]
	v_add_f64 v[13:14], v[13:14], v[31:32]
	s_waitcnt vmcnt(40) lgkmcnt(1)
	v_mul_f64 v[57:58], v[7:8], v[147:148]
	v_mul_f64 v[31:32], v[5:6], v[147:148]
	s_waitcnt vmcnt(38)
	v_fma_f64 v[63:64], v[9:10], v[178:179], -v[63:64]
	v_fma_f64 v[21:22], v[11:12], v[178:179], v[21:22]
	ds_read_b128 v[9:12], v159 offset:1488
	v_add_f64 v[15:16], v[15:16], v[25:26]
	v_add_f64 v[13:14], v[13:14], v[23:24]
	;; [unrolled: 9-line block ×8, first 2 shown]
	s_waitcnt vmcnt(12) lgkmcnt(1)
	v_mul_f64 v[25:26], v[3:4], v[59:60]
	v_mul_f64 v[23:24], v[1:2], v[59:60]
	s_waitcnt vmcnt(10)
	v_fma_f64 v[5:6], v[5:6], v[160:161], -v[57:58]
	v_fma_f64 v[7:8], v[7:8], v[160:161], v[31:32]
	v_add_f64 v[15:16], v[15:16], v[63:64]
	v_add_f64 v[13:14], v[13:14], v[21:22]
	s_waitcnt vmcnt(8) lgkmcnt(0)
	v_mul_f64 v[21:22], v[9:10], v[19:20]
	v_mul_f64 v[19:20], v[11:12], v[19:20]
	s_waitcnt vmcnt(6)
	v_fma_f64 v[1:2], v[1:2], v[29:30], -v[25:26]
	v_fma_f64 v[3:4], v[3:4], v[29:30], v[23:24]
	v_add_f64 v[5:6], v[15:16], v[5:6]
	v_add_f64 v[7:8], v[13:14], v[7:8]
	s_waitcnt vmcnt(4)
	v_fma_f64 v[9:10], v[9:10], v[27:28], -v[19:20]
	v_add_f64 v[1:2], v[5:6], v[1:2]
	v_fma_f64 v[5:6], v[11:12], v[27:28], v[21:22]
	v_add_f64 v[3:4], v[7:8], v[3:4]
	v_add_f64 v[1:2], v[1:2], v[9:10]
	v_add_f64 v[3:4], v[3:4], v[5:6]
	s_waitcnt vmcnt(2)
	v_add_f64 v[1:2], v[17:18], -v[1:2]
	s_waitcnt vmcnt(0)
	v_add_f64 v[3:4], v[61:62], -v[3:4]
	buffer_store_dword v2, off, s[0:3], 0 offset:180
	buffer_store_dword v1, off, s[0:3], 0 offset:176
	buffer_store_dword v4, off, s[0:3], 0 offset:188
	buffer_store_dword v3, off, s[0:3], 0 offset:184
	v_cmpx_lt_u32_e32 9, v0
	s_cbranch_execz .LBB49_295
; %bb.294:
	v_mov_b32_e32 v4, s53
	s_clause 0x3
	buffer_load_dword v1, v4, s[0:3], 0 offen
	buffer_load_dword v2, v4, s[0:3], 0 offen offset:4
	buffer_load_dword v3, v4, s[0:3], 0 offen offset:8
	;; [unrolled: 1-line block ×3, first 2 shown]
	buffer_store_dword v159, off, s[0:3], 0 offset:160
	buffer_store_dword v159, off, s[0:3], 0 offset:164
	;; [unrolled: 1-line block ×4, first 2 shown]
	s_waitcnt vmcnt(0)
	ds_write_b128 v163, v[1:4]
.LBB49_295:
	s_or_b32 exec_lo, exec_lo, s4
	s_waitcnt lgkmcnt(0)
	s_waitcnt_vscnt null, 0x0
	s_barrier
	buffer_gl0_inv
	s_clause 0x35
	buffer_load_dword v9, off, s[0:3], 0 offset:184
	buffer_load_dword v10, off, s[0:3], 0 offset:188
	;; [unrolled: 1-line block ×54, first 2 shown]
	ds_read_b128 v[164:167], v159 offset:960
	s_clause 0x3
	buffer_load_dword v155, off, s[0:3], 0 offset:408
	buffer_load_dword v156, off, s[0:3], 0 offset:412
	;; [unrolled: 1-line block ×4, first 2 shown]
	ds_read_b128 v[168:171], v159 offset:976
	s_clause 0x3
	buffer_load_dword v177, off, s[0:3], 0 offset:428
	buffer_load_dword v176, off, s[0:3], 0 offset:424
	;; [unrolled: 1-line block ×4, first 2 shown]
	ds_read_b128 v[172:175], v159 offset:992
	s_mov_b32 s4, exec_lo
	s_waitcnt vmcnt(60) lgkmcnt(2)
	v_mul_f64 v[160:161], v[166:167], v[9:10]
	v_mul_f64 v[9:10], v[164:165], v[9:10]
	s_waitcnt vmcnt(58) lgkmcnt(1)
	v_mul_f64 v[180:181], v[170:171], v[5:6]
	s_waitcnt vmcnt(54) lgkmcnt(0)
	v_mul_f64 v[186:187], v[174:175], v[3:4]
	v_mul_f64 v[184:185], v[172:173], v[3:4]
	v_fma_f64 v[160:161], v[164:165], v[7:8], -v[160:161]
	v_mul_f64 v[164:165], v[168:169], v[5:6]
	v_fma_f64 v[9:10], v[166:167], v[7:8], v[9:10]
	s_clause 0x3
	buffer_load_dword v166, off, s[0:3], 0 offset:440
	buffer_load_dword v167, off, s[0:3], 0 offset:444
	;; [unrolled: 1-line block ×4, first 2 shown]
	s_waitcnt vmcnt(56)
	v_fma_f64 v[168:169], v[168:169], v[1:2], -v[180:181]
	ds_read_b128 v[5:8], v159 offset:1008
	s_waitcnt vmcnt(52)
	v_fma_f64 v[172:173], v[172:173], v[19:20], -v[186:187]
	v_fma_f64 v[19:20], v[174:175], v[19:20], v[184:185]
	v_add_f64 v[160:161], v[160:161], 0
	v_fma_f64 v[164:165], v[170:171], v[1:2], v[164:165]
	v_add_f64 v[9:10], v[9:10], 0
	s_clause 0x3
	buffer_load_dword v171, off, s[0:3], 0 offset:460
	buffer_load_dword v170, off, s[0:3], 0 offset:456
	;; [unrolled: 1-line block ×4, first 2 shown]
	s_waitcnt lgkmcnt(0)
	v_mul_f64 v[190:191], v[7:8], v[11:12]
	ds_read_b128 v[1:4], v159 offset:1024
	v_mul_f64 v[188:189], v[5:6], v[11:12]
	v_add_f64 v[160:161], v[160:161], v[168:169]
	s_clause 0x3
	buffer_load_dword v168, off, s[0:3], 0 offset:472
	buffer_load_dword v169, off, s[0:3], 0 offset:476
	buffer_load_dword v175, off, s[0:3], 0 offset:452
	buffer_load_dword v174, off, s[0:3], 0 offset:448
	v_add_f64 v[164:165], v[9:10], v[164:165]
	s_waitcnt vmcnt(58) lgkmcnt(0)
	v_mul_f64 v[184:185], v[1:2], v[15:16]
	v_mul_f64 v[15:16], v[3:4], v[15:16]
	s_waitcnt vmcnt(56)
	v_fma_f64 v[186:187], v[5:6], v[13:14], -v[190:191]
	ds_read_b128 v[9:12], v159 offset:1040
	v_fma_f64 v[13:14], v[7:8], v[13:14], v[188:189]
	v_add_f64 v[160:161], v[160:161], v[172:173]
	v_add_f64 v[19:20], v[164:165], v[19:20]
	s_clause 0x3
	buffer_load_dword v165, off, s[0:3], 0 offset:492
	buffer_load_dword v164, off, s[0:3], 0 offset:488
	;; [unrolled: 1-line block ×4, first 2 shown]
	s_waitcnt vmcnt(58) lgkmcnt(0)
	v_mul_f64 v[188:189], v[9:10], v[17:18]
	v_mul_f64 v[17:18], v[11:12], v[17:18]
	s_waitcnt vmcnt(56)
	v_fma_f64 v[15:16], v[1:2], v[27:28], -v[15:16]
	ds_read_b128 v[5:8], v159 offset:1056
	v_fma_f64 v[27:28], v[3:4], v[27:28], v[184:185]
	v_add_f64 v[160:161], v[160:161], v[186:187]
	v_add_f64 v[13:14], v[19:20], v[13:14]
	s_clause 0x3
	buffer_load_dword v19, off, s[0:3], 0 offset:504
	buffer_load_dword v20, off, s[0:3], 0 offset:508
	;; [unrolled: 1-line block ×4, first 2 shown]
	ds_read_b128 v[1:4], v159 offset:1072
	s_waitcnt vmcnt(58) lgkmcnt(1)
	v_mul_f64 v[186:187], v[5:6], v[23:24]
	v_mul_f64 v[23:24], v[7:8], v[23:24]
	s_waitcnt vmcnt(56)
	v_fma_f64 v[17:18], v[9:10], v[21:22], -v[17:18]
	v_fma_f64 v[21:22], v[11:12], v[21:22], v[188:189]
	v_add_f64 v[15:16], v[160:161], v[15:16]
	v_add_f64 v[13:14], v[13:14], v[27:28]
	s_clause 0x3
	buffer_load_dword v28, off, s[0:3], 0 offset:524
	buffer_load_dword v27, off, s[0:3], 0 offset:520
	buffer_load_dword v160, off, s[0:3], 0 offset:496
	buffer_load_dword v161, off, s[0:3], 0 offset:500
	s_waitcnt vmcnt(58) lgkmcnt(0)
	v_mul_f64 v[188:189], v[1:2], v[25:26]
	v_mul_f64 v[25:26], v[3:4], v[25:26]
	s_waitcnt vmcnt(56)
	v_fma_f64 v[23:24], v[5:6], v[59:60], -v[23:24]
	ds_read_b128 v[9:12], v159 offset:1088
	v_add_f64 v[15:16], v[15:16], v[17:18]
	v_fma_f64 v[17:18], v[7:8], v[59:60], v[186:187]
	v_add_f64 v[13:14], v[13:14], v[21:22]
	s_clause 0x3
	buffer_load_dword v21, off, s[0:3], 0 offset:536
	buffer_load_dword v22, off, s[0:3], 0 offset:540
	buffer_load_dword v60, off, s[0:3], 0 offset:516
	buffer_load_dword v59, off, s[0:3], 0 offset:512
	ds_read_b128 v[5:8], v159 offset:1104
	s_waitcnt vmcnt(58) lgkmcnt(1)
	v_mul_f64 v[186:187], v[9:10], v[31:32]
	v_mul_f64 v[31:32], v[11:12], v[31:32]
	s_waitcnt vmcnt(56)
	v_fma_f64 v[25:26], v[1:2], v[29:30], -v[25:26]
	v_add_f64 v[15:16], v[15:16], v[23:24]
	v_fma_f64 v[23:24], v[3:4], v[29:30], v[188:189]
	v_add_f64 v[13:14], v[13:14], v[17:18]
	s_clause 0x3
	buffer_load_dword v18, off, s[0:3], 0 offset:556
	buffer_load_dword v17, off, s[0:3], 0 offset:552
	buffer_load_dword v29, off, s[0:3], 0 offset:528
	buffer_load_dword v30, off, s[0:3], 0 offset:532
	s_waitcnt vmcnt(58) lgkmcnt(0)
	v_mul_f64 v[188:189], v[5:6], v[57:58]
	v_mul_f64 v[57:58], v[7:8], v[57:58]
	s_waitcnt vmcnt(56)
	v_fma_f64 v[31:32], v[9:10], v[67:68], -v[31:32]
	ds_read_b128 v[1:4], v159 offset:1120
	v_add_f64 v[15:16], v[15:16], v[25:26]
	v_fma_f64 v[25:26], v[11:12], v[67:68], v[186:187]
	v_add_f64 v[13:14], v[13:14], v[23:24]
	s_clause 0x3
	buffer_load_dword v23, off, s[0:3], 0 offset:568
	buffer_load_dword v24, off, s[0:3], 0 offset:572
	buffer_load_dword v68, off, s[0:3], 0 offset:548
	buffer_load_dword v67, off, s[0:3], 0 offset:544
	ds_read_b128 v[9:12], v159 offset:1136
	s_waitcnt vmcnt(58) lgkmcnt(1)
	v_mul_f64 v[186:187], v[1:2], v[63:64]
	v_mul_f64 v[63:64], v[3:4], v[63:64]
	s_waitcnt vmcnt(56)
	v_fma_f64 v[57:58], v[5:6], v[61:62], -v[57:58]
	v_add_f64 v[15:16], v[15:16], v[31:32]
	v_fma_f64 v[31:32], v[7:8], v[61:62], v[188:189]
	;; [unrolled: 28-line block ×5, first 2 shown]
	v_add_f64 v[13:14], v[13:14], v[149:150]
	s_clause 0x3
	buffer_load_dword v150, off, s[0:3], 0 offset:684
	buffer_load_dword v149, off, s[0:3], 0 offset:680
	buffer_load_dword v182, off, s[0:3], 0 offset:656
	buffer_load_dword v183, off, s[0:3], 0 offset:660
	ds_read_b128 v[5:8], v159 offset:1248
	s_waitcnt vmcnt(58) lgkmcnt(1)
	v_mul_f64 v[188:189], v[9:10], v[170:171]
	v_mul_f64 v[170:171], v[11:12], v[170:171]
	s_waitcnt vmcnt(56)
	v_fma_f64 v[166:167], v[1:2], v[180:181], -v[166:167]
	v_add_f64 v[15:16], v[15:16], v[176:177]
	v_fma_f64 v[176:177], v[3:4], v[180:181], v[186:187]
	v_add_f64 v[13:14], v[13:14], v[155:156]
	s_clause 0x3
	buffer_load_dword v155, off, s[0:3], 0 offset:696
	buffer_load_dword v156, off, s[0:3], 0 offset:700
	buffer_load_dword v181, off, s[0:3], 0 offset:676
	buffer_load_dword v180, off, s[0:3], 0 offset:672
	ds_read_b128 v[1:4], v159 offset:1264
	s_waitcnt vmcnt(58) lgkmcnt(1)
	v_mul_f64 v[186:187], v[5:6], v[168:169]
	v_mul_f64 v[168:169], v[7:8], v[168:169]
	s_waitcnt vmcnt(56)
	v_fma_f64 v[170:171], v[9:10], v[174:175], -v[170:171]
	v_add_f64 v[15:16], v[15:16], v[166:167]
	v_fma_f64 v[166:167], v[11:12], v[174:175], v[188:189]
	;; [unrolled: 14-line block ×4, first 2 shown]
	v_add_f64 v[13:14], v[13:14], v[170:171]
	s_clause 0x3
	buffer_load_dword v171, off, s[0:3], 0 offset:748
	buffer_load_dword v170, off, s[0:3], 0 offset:744
	;; [unrolled: 1-line block ×4, first 2 shown]
	ds_read_b128 v[1:4], v159 offset:1312
	s_waitcnt vmcnt(58) lgkmcnt(1)
	v_mul_f64 v[188:189], v[5:6], v[27:28]
	v_mul_f64 v[27:28], v[7:8], v[27:28]
	s_waitcnt vmcnt(56)
	v_fma_f64 v[19:20], v[9:10], v[160:161], -v[19:20]
	v_fma_f64 v[160:161], v[11:12], v[160:161], v[186:187]
	v_add_f64 v[15:16], v[15:16], v[164:165]
	v_add_f64 v[13:14], v[13:14], v[168:169]
	s_clause 0x3
	buffer_load_dword v164, off, s[0:3], 0 offset:760
	buffer_load_dword v165, off, s[0:3], 0 offset:764
	buffer_load_dword v169, off, s[0:3], 0 offset:740
	buffer_load_dword v168, off, s[0:3], 0 offset:736
	ds_read_b128 v[9:12], v159 offset:1328
	s_waitcnt vmcnt(58) lgkmcnt(1)
	v_mul_f64 v[186:187], v[1:2], v[21:22]
	v_mul_f64 v[21:22], v[3:4], v[21:22]
	s_waitcnt vmcnt(56)
	v_fma_f64 v[27:28], v[5:6], v[59:60], -v[27:28]
	v_add_f64 v[15:16], v[15:16], v[19:20]
	v_fma_f64 v[19:20], v[7:8], v[59:60], v[188:189]
	v_add_f64 v[13:14], v[13:14], v[160:161]
	s_clause 0x3
	buffer_load_dword v60, off, s[0:3], 0 offset:780
	buffer_load_dword v59, off, s[0:3], 0 offset:776
	buffer_load_dword v160, off, s[0:3], 0 offset:752
	buffer_load_dword v161, off, s[0:3], 0 offset:756
	ds_read_b128 v[5:8], v159 offset:1344
	s_waitcnt vmcnt(58) lgkmcnt(1)
	v_mul_f64 v[188:189], v[9:10], v[17:18]
	v_mul_f64 v[17:18], v[11:12], v[17:18]
	s_waitcnt vmcnt(56)
	v_fma_f64 v[21:22], v[1:2], v[29:30], -v[21:22]
	v_add_f64 v[15:16], v[15:16], v[27:28]
	v_fma_f64 v[27:28], v[3:4], v[29:30], v[186:187]
	v_add_f64 v[13:14], v[13:14], v[19:20]
	s_clause 0x3
	buffer_load_dword v19, off, s[0:3], 0 offset:792
	buffer_load_dword v20, off, s[0:3], 0 offset:796
	buffer_load_dword v30, off, s[0:3], 0 offset:772
	buffer_load_dword v29, off, s[0:3], 0 offset:768
	ds_read_b128 v[1:4], v159 offset:1360
	s_waitcnt vmcnt(58) lgkmcnt(1)
	v_mul_f64 v[186:187], v[5:6], v[23:24]
	v_mul_f64 v[23:24], v[7:8], v[23:24]
	s_waitcnt vmcnt(56)
	v_fma_f64 v[17:18], v[9:10], v[67:68], -v[17:18]
	v_add_f64 v[15:16], v[15:16], v[21:22]
	v_fma_f64 v[21:22], v[11:12], v[67:68], v[188:189]
	v_add_f64 v[13:14], v[13:14], v[27:28]
	s_clause 0x3
	buffer_load_dword v28, off, s[0:3], 0 offset:812
	buffer_load_dword v27, off, s[0:3], 0 offset:808
	buffer_load_dword v67, off, s[0:3], 0 offset:784
	buffer_load_dword v68, off, s[0:3], 0 offset:788
	ds_read_b128 v[9:12], v159 offset:1376
	s_waitcnt vmcnt(58) lgkmcnt(1)
	v_mul_f64 v[188:189], v[1:2], v[25:26]
	v_mul_f64 v[25:26], v[3:4], v[25:26]
	s_waitcnt vmcnt(56)
	v_fma_f64 v[23:24], v[5:6], v[61:62], -v[23:24]
	v_add_f64 v[15:16], v[15:16], v[17:18]
	v_fma_f64 v[17:18], v[7:8], v[61:62], v[186:187]
	v_add_f64 v[13:14], v[13:14], v[21:22]
	s_clause 0x1
	buffer_load_dword v22, off, s[0:3], 0 offset:804
	buffer_load_dword v21, off, s[0:3], 0 offset:800
	ds_read_b128 v[5:8], v159 offset:1392
	s_waitcnt vmcnt(56) lgkmcnt(1)
	v_mul_f64 v[61:62], v[9:10], v[31:32]
	v_mul_f64 v[31:32], v[11:12], v[31:32]
	s_waitcnt vmcnt(54)
	v_fma_f64 v[25:26], v[1:2], v[151:152], -v[25:26]
	v_add_f64 v[15:16], v[15:16], v[23:24]
	v_fma_f64 v[23:24], v[3:4], v[151:152], v[188:189]
	v_add_f64 v[13:14], v[13:14], v[17:18]
	ds_read_b128 v[1:4], v159 offset:1408
	s_waitcnt vmcnt(52) lgkmcnt(1)
	v_mul_f64 v[17:18], v[5:6], v[57:58]
	v_mul_f64 v[57:58], v[7:8], v[57:58]
	s_waitcnt vmcnt(50)
	v_fma_f64 v[31:32], v[9:10], v[145:146], -v[31:32]
	v_add_f64 v[15:16], v[15:16], v[25:26]
	v_fma_f64 v[25:26], v[11:12], v[145:146], v[61:62]
	v_add_f64 v[13:14], v[13:14], v[23:24]
	s_clause 0x3
	buffer_load_dword v23, off, s[0:3], 0 offset:160
	buffer_load_dword v24, off, s[0:3], 0 offset:164
	;; [unrolled: 1-line block ×4, first 2 shown]
	ds_read_b128 v[9:12], v159 offset:1424
	s_waitcnt vmcnt(52) lgkmcnt(1)
	v_mul_f64 v[145:146], v[1:2], v[63:64]
	v_mul_f64 v[63:64], v[3:4], v[63:64]
	s_waitcnt vmcnt(50)
	v_fma_f64 v[57:58], v[5:6], v[157:158], -v[57:58]
	v_fma_f64 v[17:18], v[7:8], v[157:158], v[17:18]
	ds_read_b128 v[5:8], v159 offset:1440
	v_add_f64 v[15:16], v[15:16], v[31:32]
	v_add_f64 v[13:14], v[13:14], v[25:26]
	s_waitcnt vmcnt(48) lgkmcnt(1)
	v_mul_f64 v[31:32], v[11:12], v[65:66]
	v_mul_f64 v[25:26], v[9:10], v[65:66]
	s_waitcnt vmcnt(46)
	v_fma_f64 v[63:64], v[1:2], v[153:154], -v[63:64]
	v_add_f64 v[15:16], v[15:16], v[57:58]
	v_fma_f64 v[57:58], v[3:4], v[153:154], v[145:146]
	v_add_f64 v[13:14], v[13:14], v[17:18]
	ds_read_b128 v[1:4], v159 offset:1456
	s_waitcnt vmcnt(44) lgkmcnt(1)
	v_mul_f64 v[65:66], v[7:8], v[147:148]
	v_mul_f64 v[17:18], v[5:6], v[147:148]
	s_waitcnt vmcnt(42)
	v_fma_f64 v[31:32], v[9:10], v[178:179], -v[31:32]
	v_fma_f64 v[25:26], v[11:12], v[178:179], v[25:26]
	ds_read_b128 v[9:12], v159 offset:1472
	v_add_f64 v[15:16], v[15:16], v[63:64]
	v_add_f64 v[13:14], v[13:14], v[57:58]
	s_waitcnt vmcnt(40) lgkmcnt(1)
	v_mul_f64 v[63:64], v[3:4], v[149:150]
	v_mul_f64 v[57:58], v[1:2], v[149:150]
	s_waitcnt vmcnt(38)
	v_fma_f64 v[65:66], v[5:6], v[182:183], -v[65:66]
	v_fma_f64 v[17:18], v[7:8], v[182:183], v[17:18]
	ds_read_b128 v[5:8], v159 offset:1488
	v_add_f64 v[15:16], v[15:16], v[31:32]
	v_add_f64 v[13:14], v[13:14], v[25:26]
	;; [unrolled: 9-line block ×8, first 2 shown]
	s_waitcnt vmcnt(12) lgkmcnt(1)
	v_mul_f64 v[25:26], v[9:10], v[19:20]
	v_mul_f64 v[19:20], v[11:12], v[19:20]
	s_waitcnt vmcnt(10)
	v_fma_f64 v[1:2], v[1:2], v[29:30], -v[59:60]
	v_fma_f64 v[3:4], v[3:4], v[29:30], v[57:58]
	v_add_f64 v[15:16], v[15:16], v[63:64]
	v_add_f64 v[13:14], v[13:14], v[17:18]
	s_waitcnt vmcnt(8) lgkmcnt(0)
	v_mul_f64 v[17:18], v[5:6], v[27:28]
	v_mul_f64 v[27:28], v[7:8], v[27:28]
	s_waitcnt vmcnt(6)
	v_fma_f64 v[9:10], v[9:10], v[67:68], -v[19:20]
	v_fma_f64 v[11:12], v[11:12], v[67:68], v[25:26]
	v_add_f64 v[1:2], v[15:16], v[1:2]
	v_add_f64 v[3:4], v[13:14], v[3:4]
	s_waitcnt vmcnt(4)
	v_fma_f64 v[5:6], v[5:6], v[21:22], -v[27:28]
	v_fma_f64 v[7:8], v[7:8], v[21:22], v[17:18]
	v_add_f64 v[1:2], v[1:2], v[9:10]
	v_add_f64 v[3:4], v[3:4], v[11:12]
	;; [unrolled: 1-line block ×4, first 2 shown]
	s_waitcnt vmcnt(2)
	v_add_f64 v[1:2], v[23:24], -v[1:2]
	s_waitcnt vmcnt(0)
	v_add_f64 v[3:4], v[61:62], -v[3:4]
	buffer_store_dword v2, off, s[0:3], 0 offset:164
	buffer_store_dword v1, off, s[0:3], 0 offset:160
	;; [unrolled: 1-line block ×4, first 2 shown]
	v_cmpx_lt_u32_e32 8, v0
	s_cbranch_execz .LBB49_297
; %bb.296:
	v_mov_b32_e32 v4, s54
	v_mov_b32_e32 v5, 0
	s_clause 0x3
	buffer_load_dword v1, v4, s[0:3], 0 offen
	buffer_load_dword v2, v4, s[0:3], 0 offen offset:4
	buffer_load_dword v3, v4, s[0:3], 0 offen offset:8
	;; [unrolled: 1-line block ×3, first 2 shown]
	buffer_store_dword v5, off, s[0:3], 0 offset:144
	buffer_store_dword v5, off, s[0:3], 0 offset:148
	;; [unrolled: 1-line block ×4, first 2 shown]
	s_waitcnt vmcnt(0)
	ds_write_b128 v163, v[1:4]
.LBB49_297:
	s_or_b32 exec_lo, exec_lo, s4
	s_waitcnt lgkmcnt(0)
	s_waitcnt_vscnt null, 0x0
	s_barrier
	buffer_gl0_inv
	s_clause 0x35
	buffer_load_dword v9, off, s[0:3], 0 offset:168
	buffer_load_dword v10, off, s[0:3], 0 offset:172
	buffer_load_dword v5, off, s[0:3], 0 offset:184
	buffer_load_dword v6, off, s[0:3], 0 offset:188
	buffer_load_dword v7, off, s[0:3], 0 offset:160
	buffer_load_dword v8, off, s[0:3], 0 offset:164
	buffer_load_dword v3, off, s[0:3], 0 offset:200
	buffer_load_dword v4, off, s[0:3], 0 offset:204
	buffer_load_dword v1, off, s[0:3], 0 offset:176
	buffer_load_dword v2, off, s[0:3], 0 offset:180
	buffer_load_dword v12, off, s[0:3], 0 offset:220
	buffer_load_dword v11, off, s[0:3], 0 offset:216
	buffer_load_dword v19, off, s[0:3], 0 offset:192
	buffer_load_dword v20, off, s[0:3], 0 offset:196
	buffer_load_dword v15, off, s[0:3], 0 offset:232
	buffer_load_dword v16, off, s[0:3], 0 offset:236
	buffer_load_dword v14, off, s[0:3], 0 offset:212
	buffer_load_dword v13, off, s[0:3], 0 offset:208
	buffer_load_dword v18, off, s[0:3], 0 offset:252
	buffer_load_dword v17, off, s[0:3], 0 offset:248
	buffer_load_dword v27, off, s[0:3], 0 offset:224
	buffer_load_dword v28, off, s[0:3], 0 offset:228
	buffer_load_dword v23, off, s[0:3], 0 offset:264
	buffer_load_dword v24, off, s[0:3], 0 offset:268
	buffer_load_dword v22, off, s[0:3], 0 offset:244
	buffer_load_dword v21, off, s[0:3], 0 offset:240
	buffer_load_dword v26, off, s[0:3], 0 offset:284
	buffer_load_dword v25, off, s[0:3], 0 offset:280
	buffer_load_dword v59, off, s[0:3], 0 offset:256
	buffer_load_dword v60, off, s[0:3], 0 offset:260
	buffer_load_dword v31, off, s[0:3], 0 offset:296
	buffer_load_dword v32, off, s[0:3], 0 offset:300
	buffer_load_dword v30, off, s[0:3], 0 offset:276
	buffer_load_dword v29, off, s[0:3], 0 offset:272
	buffer_load_dword v58, off, s[0:3], 0 offset:316
	buffer_load_dword v57, off, s[0:3], 0 offset:312
	buffer_load_dword v67, off, s[0:3], 0 offset:288
	buffer_load_dword v68, off, s[0:3], 0 offset:292
	buffer_load_dword v63, off, s[0:3], 0 offset:328
	buffer_load_dword v64, off, s[0:3], 0 offset:332
	buffer_load_dword v62, off, s[0:3], 0 offset:308
	buffer_load_dword v61, off, s[0:3], 0 offset:304
	buffer_load_dword v66, off, s[0:3], 0 offset:348
	buffer_load_dword v65, off, s[0:3], 0 offset:344
	buffer_load_dword v151, off, s[0:3], 0 offset:320
	buffer_load_dword v152, off, s[0:3], 0 offset:324
	buffer_load_dword v147, off, s[0:3], 0 offset:360
	buffer_load_dword v148, off, s[0:3], 0 offset:364
	buffer_load_dword v146, off, s[0:3], 0 offset:340
	buffer_load_dword v145, off, s[0:3], 0 offset:336
	buffer_load_dword v150, off, s[0:3], 0 offset:380
	buffer_load_dword v149, off, s[0:3], 0 offset:376
	buffer_load_dword v157, off, s[0:3], 0 offset:352
	buffer_load_dword v158, off, s[0:3], 0 offset:356
	v_mov_b32_e32 v159, 0
	s_mov_b32 s4, exec_lo
	ds_read_b128 v[164:167], v159 offset:944
	s_clause 0x3
	buffer_load_dword v155, off, s[0:3], 0 offset:392
	buffer_load_dword v156, off, s[0:3], 0 offset:396
	;; [unrolled: 1-line block ×4, first 2 shown]
	ds_read_b128 v[168:171], v159 offset:960
	s_clause 0x3
	buffer_load_dword v177, off, s[0:3], 0 offset:412
	buffer_load_dword v176, off, s[0:3], 0 offset:408
	;; [unrolled: 1-line block ×4, first 2 shown]
	ds_read_b128 v[172:175], v159 offset:976
	s_waitcnt vmcnt(60) lgkmcnt(2)
	v_mul_f64 v[160:161], v[166:167], v[9:10]
	v_mul_f64 v[9:10], v[164:165], v[9:10]
	s_waitcnt vmcnt(58) lgkmcnt(1)
	v_mul_f64 v[180:181], v[170:171], v[5:6]
	s_waitcnt vmcnt(54) lgkmcnt(0)
	v_mul_f64 v[186:187], v[174:175], v[3:4]
	v_mul_f64 v[184:185], v[172:173], v[3:4]
	v_fma_f64 v[160:161], v[164:165], v[7:8], -v[160:161]
	v_mul_f64 v[164:165], v[168:169], v[5:6]
	v_fma_f64 v[9:10], v[166:167], v[7:8], v[9:10]
	s_clause 0x3
	buffer_load_dword v166, off, s[0:3], 0 offset:424
	buffer_load_dword v167, off, s[0:3], 0 offset:428
	;; [unrolled: 1-line block ×4, first 2 shown]
	s_waitcnt vmcnt(56)
	v_fma_f64 v[168:169], v[168:169], v[1:2], -v[180:181]
	ds_read_b128 v[5:8], v159 offset:992
	s_waitcnt vmcnt(52)
	v_fma_f64 v[172:173], v[172:173], v[19:20], -v[186:187]
	v_fma_f64 v[19:20], v[174:175], v[19:20], v[184:185]
	v_add_f64 v[160:161], v[160:161], 0
	v_fma_f64 v[164:165], v[170:171], v[1:2], v[164:165]
	v_add_f64 v[9:10], v[9:10], 0
	s_clause 0x3
	buffer_load_dword v171, off, s[0:3], 0 offset:444
	buffer_load_dword v170, off, s[0:3], 0 offset:440
	;; [unrolled: 1-line block ×4, first 2 shown]
	s_waitcnt lgkmcnt(0)
	v_mul_f64 v[190:191], v[7:8], v[11:12]
	ds_read_b128 v[1:4], v159 offset:1008
	v_mul_f64 v[188:189], v[5:6], v[11:12]
	v_add_f64 v[160:161], v[160:161], v[168:169]
	s_clause 0x3
	buffer_load_dword v168, off, s[0:3], 0 offset:456
	buffer_load_dword v169, off, s[0:3], 0 offset:460
	;; [unrolled: 1-line block ×4, first 2 shown]
	v_add_f64 v[164:165], v[9:10], v[164:165]
	s_waitcnt vmcnt(58) lgkmcnt(0)
	v_mul_f64 v[184:185], v[1:2], v[15:16]
	v_mul_f64 v[15:16], v[3:4], v[15:16]
	s_waitcnt vmcnt(56)
	v_fma_f64 v[186:187], v[5:6], v[13:14], -v[190:191]
	ds_read_b128 v[9:12], v159 offset:1024
	v_fma_f64 v[13:14], v[7:8], v[13:14], v[188:189]
	v_add_f64 v[160:161], v[160:161], v[172:173]
	v_add_f64 v[19:20], v[164:165], v[19:20]
	s_clause 0x3
	buffer_load_dword v165, off, s[0:3], 0 offset:476
	buffer_load_dword v164, off, s[0:3], 0 offset:472
	;; [unrolled: 1-line block ×4, first 2 shown]
	s_waitcnt vmcnt(58) lgkmcnt(0)
	v_mul_f64 v[188:189], v[9:10], v[17:18]
	v_mul_f64 v[17:18], v[11:12], v[17:18]
	s_waitcnt vmcnt(56)
	v_fma_f64 v[15:16], v[1:2], v[27:28], -v[15:16]
	ds_read_b128 v[5:8], v159 offset:1040
	v_fma_f64 v[27:28], v[3:4], v[27:28], v[184:185]
	v_add_f64 v[160:161], v[160:161], v[186:187]
	v_add_f64 v[13:14], v[19:20], v[13:14]
	s_clause 0x3
	buffer_load_dword v19, off, s[0:3], 0 offset:488
	buffer_load_dword v20, off, s[0:3], 0 offset:492
	;; [unrolled: 1-line block ×4, first 2 shown]
	ds_read_b128 v[1:4], v159 offset:1056
	s_waitcnt vmcnt(58) lgkmcnt(1)
	v_mul_f64 v[186:187], v[5:6], v[23:24]
	v_mul_f64 v[23:24], v[7:8], v[23:24]
	s_waitcnt vmcnt(56)
	v_fma_f64 v[17:18], v[9:10], v[21:22], -v[17:18]
	v_fma_f64 v[21:22], v[11:12], v[21:22], v[188:189]
	v_add_f64 v[15:16], v[160:161], v[15:16]
	v_add_f64 v[13:14], v[13:14], v[27:28]
	s_clause 0x3
	buffer_load_dword v28, off, s[0:3], 0 offset:508
	buffer_load_dword v27, off, s[0:3], 0 offset:504
	buffer_load_dword v160, off, s[0:3], 0 offset:480
	buffer_load_dword v161, off, s[0:3], 0 offset:484
	s_waitcnt vmcnt(58) lgkmcnt(0)
	v_mul_f64 v[188:189], v[1:2], v[25:26]
	v_mul_f64 v[25:26], v[3:4], v[25:26]
	s_waitcnt vmcnt(56)
	v_fma_f64 v[23:24], v[5:6], v[59:60], -v[23:24]
	ds_read_b128 v[9:12], v159 offset:1072
	v_add_f64 v[15:16], v[15:16], v[17:18]
	v_fma_f64 v[17:18], v[7:8], v[59:60], v[186:187]
	v_add_f64 v[13:14], v[13:14], v[21:22]
	s_clause 0x3
	buffer_load_dword v21, off, s[0:3], 0 offset:520
	buffer_load_dword v22, off, s[0:3], 0 offset:524
	buffer_load_dword v60, off, s[0:3], 0 offset:500
	buffer_load_dword v59, off, s[0:3], 0 offset:496
	ds_read_b128 v[5:8], v159 offset:1088
	s_waitcnt vmcnt(58) lgkmcnt(1)
	v_mul_f64 v[186:187], v[9:10], v[31:32]
	v_mul_f64 v[31:32], v[11:12], v[31:32]
	s_waitcnt vmcnt(56)
	v_fma_f64 v[25:26], v[1:2], v[29:30], -v[25:26]
	v_add_f64 v[15:16], v[15:16], v[23:24]
	v_fma_f64 v[23:24], v[3:4], v[29:30], v[188:189]
	v_add_f64 v[13:14], v[13:14], v[17:18]
	s_clause 0x3
	buffer_load_dword v18, off, s[0:3], 0 offset:540
	buffer_load_dword v17, off, s[0:3], 0 offset:536
	buffer_load_dword v29, off, s[0:3], 0 offset:512
	buffer_load_dword v30, off, s[0:3], 0 offset:516
	s_waitcnt vmcnt(58) lgkmcnt(0)
	v_mul_f64 v[188:189], v[5:6], v[57:58]
	v_mul_f64 v[57:58], v[7:8], v[57:58]
	s_waitcnt vmcnt(56)
	v_fma_f64 v[31:32], v[9:10], v[67:68], -v[31:32]
	ds_read_b128 v[1:4], v159 offset:1104
	v_add_f64 v[15:16], v[15:16], v[25:26]
	v_fma_f64 v[25:26], v[11:12], v[67:68], v[186:187]
	v_add_f64 v[13:14], v[13:14], v[23:24]
	s_clause 0x3
	buffer_load_dword v23, off, s[0:3], 0 offset:552
	buffer_load_dword v24, off, s[0:3], 0 offset:556
	buffer_load_dword v68, off, s[0:3], 0 offset:532
	buffer_load_dword v67, off, s[0:3], 0 offset:528
	ds_read_b128 v[9:12], v159 offset:1120
	s_waitcnt vmcnt(58) lgkmcnt(1)
	v_mul_f64 v[186:187], v[1:2], v[63:64]
	v_mul_f64 v[63:64], v[3:4], v[63:64]
	s_waitcnt vmcnt(56)
	v_fma_f64 v[57:58], v[5:6], v[61:62], -v[57:58]
	v_add_f64 v[15:16], v[15:16], v[31:32]
	v_fma_f64 v[31:32], v[7:8], v[61:62], v[188:189]
	;; [unrolled: 28-line block ×5, first 2 shown]
	v_add_f64 v[13:14], v[13:14], v[149:150]
	s_clause 0x3
	buffer_load_dword v150, off, s[0:3], 0 offset:668
	buffer_load_dword v149, off, s[0:3], 0 offset:664
	buffer_load_dword v182, off, s[0:3], 0 offset:640
	buffer_load_dword v183, off, s[0:3], 0 offset:644
	ds_read_b128 v[5:8], v159 offset:1232
	s_waitcnt vmcnt(58) lgkmcnt(1)
	v_mul_f64 v[188:189], v[9:10], v[170:171]
	v_mul_f64 v[170:171], v[11:12], v[170:171]
	s_waitcnt vmcnt(56)
	v_fma_f64 v[166:167], v[1:2], v[180:181], -v[166:167]
	v_add_f64 v[15:16], v[15:16], v[176:177]
	v_fma_f64 v[176:177], v[3:4], v[180:181], v[186:187]
	v_add_f64 v[13:14], v[13:14], v[155:156]
	s_clause 0x3
	buffer_load_dword v155, off, s[0:3], 0 offset:680
	buffer_load_dword v156, off, s[0:3], 0 offset:684
	buffer_load_dword v181, off, s[0:3], 0 offset:660
	buffer_load_dword v180, off, s[0:3], 0 offset:656
	ds_read_b128 v[1:4], v159 offset:1248
	s_waitcnt vmcnt(58) lgkmcnt(1)
	v_mul_f64 v[186:187], v[5:6], v[168:169]
	v_mul_f64 v[168:169], v[7:8], v[168:169]
	s_waitcnt vmcnt(56)
	v_fma_f64 v[170:171], v[9:10], v[174:175], -v[170:171]
	v_add_f64 v[15:16], v[15:16], v[166:167]
	v_fma_f64 v[166:167], v[11:12], v[174:175], v[188:189]
	;; [unrolled: 14-line block ×4, first 2 shown]
	v_add_f64 v[13:14], v[13:14], v[170:171]
	s_clause 0x3
	buffer_load_dword v171, off, s[0:3], 0 offset:732
	buffer_load_dword v170, off, s[0:3], 0 offset:728
	;; [unrolled: 1-line block ×4, first 2 shown]
	ds_read_b128 v[1:4], v159 offset:1296
	s_waitcnt vmcnt(58) lgkmcnt(1)
	v_mul_f64 v[188:189], v[5:6], v[27:28]
	v_mul_f64 v[27:28], v[7:8], v[27:28]
	s_waitcnt vmcnt(56)
	v_fma_f64 v[19:20], v[9:10], v[160:161], -v[19:20]
	v_fma_f64 v[160:161], v[11:12], v[160:161], v[186:187]
	v_add_f64 v[15:16], v[15:16], v[164:165]
	v_add_f64 v[13:14], v[13:14], v[168:169]
	s_clause 0x3
	buffer_load_dword v164, off, s[0:3], 0 offset:744
	buffer_load_dword v165, off, s[0:3], 0 offset:748
	buffer_load_dword v169, off, s[0:3], 0 offset:724
	buffer_load_dword v168, off, s[0:3], 0 offset:720
	ds_read_b128 v[9:12], v159 offset:1312
	s_waitcnt vmcnt(58) lgkmcnt(1)
	v_mul_f64 v[186:187], v[1:2], v[21:22]
	v_mul_f64 v[21:22], v[3:4], v[21:22]
	s_waitcnt vmcnt(56)
	v_fma_f64 v[27:28], v[5:6], v[59:60], -v[27:28]
	v_add_f64 v[15:16], v[15:16], v[19:20]
	v_fma_f64 v[19:20], v[7:8], v[59:60], v[188:189]
	v_add_f64 v[13:14], v[13:14], v[160:161]
	s_clause 0x3
	buffer_load_dword v60, off, s[0:3], 0 offset:764
	buffer_load_dword v59, off, s[0:3], 0 offset:760
	buffer_load_dword v160, off, s[0:3], 0 offset:736
	buffer_load_dword v161, off, s[0:3], 0 offset:740
	ds_read_b128 v[5:8], v159 offset:1328
	s_waitcnt vmcnt(58) lgkmcnt(1)
	v_mul_f64 v[188:189], v[9:10], v[17:18]
	v_mul_f64 v[17:18], v[11:12], v[17:18]
	s_waitcnt vmcnt(56)
	v_fma_f64 v[21:22], v[1:2], v[29:30], -v[21:22]
	v_add_f64 v[15:16], v[15:16], v[27:28]
	v_fma_f64 v[27:28], v[3:4], v[29:30], v[186:187]
	;; [unrolled: 14-line block ×5, first 2 shown]
	v_add_f64 v[13:14], v[13:14], v[17:18]
	s_clause 0x1
	buffer_load_dword v17, off, s[0:3], 0 offset:800
	buffer_load_dword v18, off, s[0:3], 0 offset:804
	ds_read_b128 v[1:4], v159 offset:1392
	s_waitcnt vmcnt(56) lgkmcnt(1)
	v_mul_f64 v[151:152], v[5:6], v[57:58]
	v_mul_f64 v[57:58], v[7:8], v[57:58]
	s_waitcnt vmcnt(54)
	v_fma_f64 v[31:32], v[9:10], v[145:146], -v[31:32]
	v_add_f64 v[15:16], v[15:16], v[25:26]
	v_fma_f64 v[25:26], v[11:12], v[145:146], v[186:187]
	v_add_f64 v[13:14], v[13:14], v[23:24]
	ds_read_b128 v[9:12], v159 offset:1408
	s_waitcnt vmcnt(52) lgkmcnt(1)
	v_mul_f64 v[23:24], v[1:2], v[63:64]
	v_mul_f64 v[63:64], v[3:4], v[63:64]
	s_waitcnt vmcnt(50)
	v_fma_f64 v[57:58], v[5:6], v[157:158], -v[57:58]
	v_add_f64 v[15:16], v[15:16], v[31:32]
	v_fma_f64 v[31:32], v[7:8], v[157:158], v[151:152]
	v_add_f64 v[13:14], v[13:14], v[25:26]
	s_clause 0x3
	buffer_load_dword v25, off, s[0:3], 0 offset:144
	buffer_load_dword v26, off, s[0:3], 0 offset:148
	buffer_load_dword v145, off, s[0:3], 0 offset:152
	buffer_load_dword v146, off, s[0:3], 0 offset:156
	ds_read_b128 v[5:8], v159 offset:1424
	s_waitcnt vmcnt(52) lgkmcnt(1)
	v_mul_f64 v[151:152], v[9:10], v[65:66]
	v_mul_f64 v[65:66], v[11:12], v[65:66]
	s_waitcnt vmcnt(50)
	v_fma_f64 v[63:64], v[1:2], v[153:154], -v[63:64]
	v_fma_f64 v[23:24], v[3:4], v[153:154], v[23:24]
	ds_read_b128 v[1:4], v159 offset:1440
	v_add_f64 v[15:16], v[15:16], v[57:58]
	v_add_f64 v[13:14], v[13:14], v[31:32]
	s_waitcnt vmcnt(48) lgkmcnt(1)
	v_mul_f64 v[57:58], v[7:8], v[147:148]
	v_mul_f64 v[31:32], v[5:6], v[147:148]
	s_waitcnt vmcnt(46)
	v_fma_f64 v[65:66], v[9:10], v[178:179], -v[65:66]
	v_add_f64 v[15:16], v[15:16], v[63:64]
	v_fma_f64 v[63:64], v[11:12], v[178:179], v[151:152]
	v_add_f64 v[13:14], v[13:14], v[23:24]
	ds_read_b128 v[9:12], v159 offset:1456
	s_waitcnt vmcnt(44) lgkmcnt(1)
	v_mul_f64 v[147:148], v[3:4], v[149:150]
	v_mul_f64 v[23:24], v[1:2], v[149:150]
	s_waitcnt vmcnt(42)
	v_fma_f64 v[57:58], v[5:6], v[182:183], -v[57:58]
	v_fma_f64 v[31:32], v[7:8], v[182:183], v[31:32]
	ds_read_b128 v[5:8], v159 offset:1472
	v_add_f64 v[15:16], v[15:16], v[65:66]
	v_add_f64 v[13:14], v[13:14], v[63:64]
	s_waitcnt vmcnt(40) lgkmcnt(1)
	v_mul_f64 v[65:66], v[11:12], v[155:156]
	v_mul_f64 v[63:64], v[9:10], v[155:156]
	s_waitcnt vmcnt(38)
	v_fma_f64 v[147:148], v[1:2], v[180:181], -v[147:148]
	v_fma_f64 v[23:24], v[3:4], v[180:181], v[23:24]
	ds_read_b128 v[1:4], v159 offset:1488
	v_add_f64 v[15:16], v[15:16], v[57:58]
	v_add_f64 v[13:14], v[13:14], v[31:32]
	;; [unrolled: 9-line block ×8, first 2 shown]
	s_waitcnt vmcnt(12) lgkmcnt(1)
	v_mul_f64 v[29:30], v[5:6], v[27:28]
	v_mul_f64 v[27:28], v[7:8], v[27:28]
	s_waitcnt vmcnt(10)
	v_fma_f64 v[9:10], v[9:10], v[67:68], -v[19:20]
	v_fma_f64 v[11:12], v[11:12], v[67:68], v[63:64]
	v_add_f64 v[15:16], v[15:16], v[59:60]
	v_add_f64 v[13:14], v[13:14], v[23:24]
	s_waitcnt vmcnt(8) lgkmcnt(0)
	v_mul_f64 v[19:20], v[1:2], v[21:22]
	v_mul_f64 v[21:22], v[3:4], v[21:22]
	s_waitcnt vmcnt(6)
	v_fma_f64 v[5:6], v[5:6], v[61:62], -v[27:28]
	v_fma_f64 v[7:8], v[7:8], v[61:62], v[29:30]
	v_add_f64 v[9:10], v[15:16], v[9:10]
	v_add_f64 v[11:12], v[13:14], v[11:12]
	s_waitcnt vmcnt(4)
	v_fma_f64 v[1:2], v[1:2], v[17:18], -v[21:22]
	v_fma_f64 v[3:4], v[3:4], v[17:18], v[19:20]
	v_add_f64 v[5:6], v[9:10], v[5:6]
	v_add_f64 v[7:8], v[11:12], v[7:8]
	;; [unrolled: 1-line block ×4, first 2 shown]
	s_waitcnt vmcnt(2)
	v_add_f64 v[1:2], v[25:26], -v[1:2]
	s_waitcnt vmcnt(0)
	v_add_f64 v[3:4], v[145:146], -v[3:4]
	buffer_store_dword v2, off, s[0:3], 0 offset:148
	buffer_store_dword v1, off, s[0:3], 0 offset:144
	;; [unrolled: 1-line block ×4, first 2 shown]
	v_cmpx_lt_u32_e32 7, v0
	s_cbranch_execz .LBB49_299
; %bb.298:
	v_mov_b32_e32 v4, s55
	s_clause 0x3
	buffer_load_dword v1, v4, s[0:3], 0 offen
	buffer_load_dword v2, v4, s[0:3], 0 offen offset:4
	buffer_load_dword v3, v4, s[0:3], 0 offen offset:8
	buffer_load_dword v4, v4, s[0:3], 0 offen offset:12
	buffer_store_dword v159, off, s[0:3], 0 offset:128
	buffer_store_dword v159, off, s[0:3], 0 offset:132
	;; [unrolled: 1-line block ×4, first 2 shown]
	s_waitcnt vmcnt(0)
	ds_write_b128 v163, v[1:4]
.LBB49_299:
	s_or_b32 exec_lo, exec_lo, s4
	s_waitcnt lgkmcnt(0)
	s_waitcnt_vscnt null, 0x0
	s_barrier
	buffer_gl0_inv
	s_clause 0x35
	buffer_load_dword v9, off, s[0:3], 0 offset:152
	buffer_load_dword v10, off, s[0:3], 0 offset:156
	;; [unrolled: 1-line block ×54, first 2 shown]
	ds_read_b128 v[164:167], v159 offset:928
	s_clause 0x3
	buffer_load_dword v155, off, s[0:3], 0 offset:376
	buffer_load_dword v156, off, s[0:3], 0 offset:380
	;; [unrolled: 1-line block ×4, first 2 shown]
	ds_read_b128 v[168:171], v159 offset:944
	s_clause 0x3
	buffer_load_dword v177, off, s[0:3], 0 offset:396
	buffer_load_dword v176, off, s[0:3], 0 offset:392
	;; [unrolled: 1-line block ×4, first 2 shown]
	ds_read_b128 v[172:175], v159 offset:960
	s_mov_b32 s4, exec_lo
	s_waitcnt vmcnt(60) lgkmcnt(2)
	v_mul_f64 v[160:161], v[166:167], v[9:10]
	v_mul_f64 v[9:10], v[164:165], v[9:10]
	s_waitcnt vmcnt(58) lgkmcnt(1)
	v_mul_f64 v[180:181], v[170:171], v[5:6]
	s_waitcnt vmcnt(54) lgkmcnt(0)
	v_mul_f64 v[186:187], v[174:175], v[3:4]
	v_mul_f64 v[184:185], v[172:173], v[3:4]
	v_fma_f64 v[160:161], v[164:165], v[7:8], -v[160:161]
	v_mul_f64 v[164:165], v[168:169], v[5:6]
	v_fma_f64 v[9:10], v[166:167], v[7:8], v[9:10]
	s_clause 0x3
	buffer_load_dword v166, off, s[0:3], 0 offset:408
	buffer_load_dword v167, off, s[0:3], 0 offset:412
	;; [unrolled: 1-line block ×4, first 2 shown]
	s_waitcnt vmcnt(56)
	v_fma_f64 v[168:169], v[168:169], v[1:2], -v[180:181]
	ds_read_b128 v[5:8], v159 offset:976
	s_waitcnt vmcnt(52)
	v_fma_f64 v[172:173], v[172:173], v[19:20], -v[186:187]
	v_fma_f64 v[19:20], v[174:175], v[19:20], v[184:185]
	v_add_f64 v[160:161], v[160:161], 0
	v_fma_f64 v[164:165], v[170:171], v[1:2], v[164:165]
	v_add_f64 v[9:10], v[9:10], 0
	s_clause 0x3
	buffer_load_dword v171, off, s[0:3], 0 offset:428
	buffer_load_dword v170, off, s[0:3], 0 offset:424
	;; [unrolled: 1-line block ×4, first 2 shown]
	s_waitcnt lgkmcnt(0)
	v_mul_f64 v[190:191], v[7:8], v[11:12]
	ds_read_b128 v[1:4], v159 offset:992
	v_mul_f64 v[188:189], v[5:6], v[11:12]
	v_add_f64 v[160:161], v[160:161], v[168:169]
	s_clause 0x3
	buffer_load_dword v168, off, s[0:3], 0 offset:440
	buffer_load_dword v169, off, s[0:3], 0 offset:444
	;; [unrolled: 1-line block ×4, first 2 shown]
	v_add_f64 v[164:165], v[9:10], v[164:165]
	s_waitcnt vmcnt(58) lgkmcnt(0)
	v_mul_f64 v[184:185], v[1:2], v[15:16]
	v_mul_f64 v[15:16], v[3:4], v[15:16]
	s_waitcnt vmcnt(56)
	v_fma_f64 v[186:187], v[5:6], v[13:14], -v[190:191]
	ds_read_b128 v[9:12], v159 offset:1008
	v_fma_f64 v[13:14], v[7:8], v[13:14], v[188:189]
	v_add_f64 v[160:161], v[160:161], v[172:173]
	v_add_f64 v[19:20], v[164:165], v[19:20]
	s_clause 0x3
	buffer_load_dword v165, off, s[0:3], 0 offset:460
	buffer_load_dword v164, off, s[0:3], 0 offset:456
	;; [unrolled: 1-line block ×4, first 2 shown]
	s_waitcnt vmcnt(58) lgkmcnt(0)
	v_mul_f64 v[188:189], v[9:10], v[17:18]
	v_mul_f64 v[17:18], v[11:12], v[17:18]
	s_waitcnt vmcnt(56)
	v_fma_f64 v[15:16], v[1:2], v[27:28], -v[15:16]
	ds_read_b128 v[5:8], v159 offset:1024
	v_fma_f64 v[27:28], v[3:4], v[27:28], v[184:185]
	v_add_f64 v[160:161], v[160:161], v[186:187]
	v_add_f64 v[13:14], v[19:20], v[13:14]
	s_clause 0x3
	buffer_load_dword v19, off, s[0:3], 0 offset:472
	buffer_load_dword v20, off, s[0:3], 0 offset:476
	;; [unrolled: 1-line block ×4, first 2 shown]
	ds_read_b128 v[1:4], v159 offset:1040
	s_waitcnt vmcnt(58) lgkmcnt(1)
	v_mul_f64 v[186:187], v[5:6], v[23:24]
	v_mul_f64 v[23:24], v[7:8], v[23:24]
	s_waitcnt vmcnt(56)
	v_fma_f64 v[17:18], v[9:10], v[21:22], -v[17:18]
	v_fma_f64 v[21:22], v[11:12], v[21:22], v[188:189]
	v_add_f64 v[15:16], v[160:161], v[15:16]
	v_add_f64 v[13:14], v[13:14], v[27:28]
	s_clause 0x3
	buffer_load_dword v28, off, s[0:3], 0 offset:492
	buffer_load_dword v27, off, s[0:3], 0 offset:488
	buffer_load_dword v160, off, s[0:3], 0 offset:464
	buffer_load_dword v161, off, s[0:3], 0 offset:468
	s_waitcnt vmcnt(58) lgkmcnt(0)
	v_mul_f64 v[188:189], v[1:2], v[25:26]
	v_mul_f64 v[25:26], v[3:4], v[25:26]
	s_waitcnt vmcnt(56)
	v_fma_f64 v[23:24], v[5:6], v[59:60], -v[23:24]
	ds_read_b128 v[9:12], v159 offset:1056
	v_add_f64 v[15:16], v[15:16], v[17:18]
	v_fma_f64 v[17:18], v[7:8], v[59:60], v[186:187]
	v_add_f64 v[13:14], v[13:14], v[21:22]
	s_clause 0x3
	buffer_load_dword v21, off, s[0:3], 0 offset:504
	buffer_load_dword v22, off, s[0:3], 0 offset:508
	buffer_load_dword v60, off, s[0:3], 0 offset:484
	buffer_load_dword v59, off, s[0:3], 0 offset:480
	ds_read_b128 v[5:8], v159 offset:1072
	s_waitcnt vmcnt(58) lgkmcnt(1)
	v_mul_f64 v[186:187], v[9:10], v[31:32]
	v_mul_f64 v[31:32], v[11:12], v[31:32]
	s_waitcnt vmcnt(56)
	v_fma_f64 v[25:26], v[1:2], v[29:30], -v[25:26]
	v_add_f64 v[15:16], v[15:16], v[23:24]
	v_fma_f64 v[23:24], v[3:4], v[29:30], v[188:189]
	v_add_f64 v[13:14], v[13:14], v[17:18]
	s_clause 0x3
	buffer_load_dword v18, off, s[0:3], 0 offset:524
	buffer_load_dword v17, off, s[0:3], 0 offset:520
	buffer_load_dword v29, off, s[0:3], 0 offset:496
	buffer_load_dword v30, off, s[0:3], 0 offset:500
	s_waitcnt vmcnt(58) lgkmcnt(0)
	v_mul_f64 v[188:189], v[5:6], v[57:58]
	v_mul_f64 v[57:58], v[7:8], v[57:58]
	s_waitcnt vmcnt(56)
	v_fma_f64 v[31:32], v[9:10], v[67:68], -v[31:32]
	ds_read_b128 v[1:4], v159 offset:1088
	v_add_f64 v[15:16], v[15:16], v[25:26]
	v_fma_f64 v[25:26], v[11:12], v[67:68], v[186:187]
	v_add_f64 v[13:14], v[13:14], v[23:24]
	s_clause 0x3
	buffer_load_dword v23, off, s[0:3], 0 offset:536
	buffer_load_dword v24, off, s[0:3], 0 offset:540
	buffer_load_dword v68, off, s[0:3], 0 offset:516
	buffer_load_dword v67, off, s[0:3], 0 offset:512
	ds_read_b128 v[9:12], v159 offset:1104
	s_waitcnt vmcnt(58) lgkmcnt(1)
	v_mul_f64 v[186:187], v[1:2], v[63:64]
	v_mul_f64 v[63:64], v[3:4], v[63:64]
	s_waitcnt vmcnt(56)
	v_fma_f64 v[57:58], v[5:6], v[61:62], -v[57:58]
	v_add_f64 v[15:16], v[15:16], v[31:32]
	v_fma_f64 v[31:32], v[7:8], v[61:62], v[188:189]
	;; [unrolled: 28-line block ×5, first 2 shown]
	v_add_f64 v[13:14], v[13:14], v[149:150]
	s_clause 0x3
	buffer_load_dword v150, off, s[0:3], 0 offset:652
	buffer_load_dword v149, off, s[0:3], 0 offset:648
	buffer_load_dword v182, off, s[0:3], 0 offset:624
	buffer_load_dword v183, off, s[0:3], 0 offset:628
	ds_read_b128 v[5:8], v159 offset:1216
	s_waitcnt vmcnt(58) lgkmcnt(1)
	v_mul_f64 v[188:189], v[9:10], v[170:171]
	v_mul_f64 v[170:171], v[11:12], v[170:171]
	s_waitcnt vmcnt(56)
	v_fma_f64 v[166:167], v[1:2], v[180:181], -v[166:167]
	v_add_f64 v[15:16], v[15:16], v[176:177]
	v_fma_f64 v[176:177], v[3:4], v[180:181], v[186:187]
	v_add_f64 v[13:14], v[13:14], v[155:156]
	s_clause 0x3
	buffer_load_dword v155, off, s[0:3], 0 offset:664
	buffer_load_dword v156, off, s[0:3], 0 offset:668
	buffer_load_dword v181, off, s[0:3], 0 offset:644
	buffer_load_dword v180, off, s[0:3], 0 offset:640
	ds_read_b128 v[1:4], v159 offset:1232
	s_waitcnt vmcnt(58) lgkmcnt(1)
	v_mul_f64 v[186:187], v[5:6], v[168:169]
	v_mul_f64 v[168:169], v[7:8], v[168:169]
	s_waitcnt vmcnt(56)
	v_fma_f64 v[170:171], v[9:10], v[174:175], -v[170:171]
	v_add_f64 v[15:16], v[15:16], v[166:167]
	v_fma_f64 v[166:167], v[11:12], v[174:175], v[188:189]
	;; [unrolled: 14-line block ×4, first 2 shown]
	v_add_f64 v[13:14], v[13:14], v[170:171]
	s_clause 0x3
	buffer_load_dword v171, off, s[0:3], 0 offset:716
	buffer_load_dword v170, off, s[0:3], 0 offset:712
	;; [unrolled: 1-line block ×4, first 2 shown]
	ds_read_b128 v[1:4], v159 offset:1280
	s_waitcnt vmcnt(58) lgkmcnt(1)
	v_mul_f64 v[188:189], v[5:6], v[27:28]
	v_mul_f64 v[27:28], v[7:8], v[27:28]
	s_waitcnt vmcnt(56)
	v_fma_f64 v[19:20], v[9:10], v[160:161], -v[19:20]
	v_fma_f64 v[160:161], v[11:12], v[160:161], v[186:187]
	v_add_f64 v[15:16], v[15:16], v[164:165]
	v_add_f64 v[13:14], v[13:14], v[168:169]
	s_clause 0x3
	buffer_load_dword v164, off, s[0:3], 0 offset:728
	buffer_load_dword v165, off, s[0:3], 0 offset:732
	buffer_load_dword v169, off, s[0:3], 0 offset:708
	buffer_load_dword v168, off, s[0:3], 0 offset:704
	ds_read_b128 v[9:12], v159 offset:1296
	s_waitcnt vmcnt(58) lgkmcnt(1)
	v_mul_f64 v[186:187], v[1:2], v[21:22]
	v_mul_f64 v[21:22], v[3:4], v[21:22]
	s_waitcnt vmcnt(56)
	v_fma_f64 v[27:28], v[5:6], v[59:60], -v[27:28]
	v_add_f64 v[15:16], v[15:16], v[19:20]
	v_fma_f64 v[19:20], v[7:8], v[59:60], v[188:189]
	v_add_f64 v[13:14], v[13:14], v[160:161]
	s_clause 0x3
	buffer_load_dword v60, off, s[0:3], 0 offset:748
	buffer_load_dword v59, off, s[0:3], 0 offset:744
	buffer_load_dword v160, off, s[0:3], 0 offset:720
	buffer_load_dword v161, off, s[0:3], 0 offset:724
	ds_read_b128 v[5:8], v159 offset:1312
	s_waitcnt vmcnt(58) lgkmcnt(1)
	v_mul_f64 v[188:189], v[9:10], v[17:18]
	v_mul_f64 v[17:18], v[11:12], v[17:18]
	s_waitcnt vmcnt(56)
	v_fma_f64 v[21:22], v[1:2], v[29:30], -v[21:22]
	v_add_f64 v[15:16], v[15:16], v[27:28]
	v_fma_f64 v[27:28], v[3:4], v[29:30], v[186:187]
	;; [unrolled: 14-line block ×6, first 2 shown]
	v_add_f64 v[13:14], v[13:14], v[23:24]
	s_clause 0x1
	buffer_load_dword v24, off, s[0:3], 0 offset:804
	buffer_load_dword v23, off, s[0:3], 0 offset:800
	ds_read_b128 v[9:12], v159 offset:1392
	s_waitcnt vmcnt(56) lgkmcnt(1)
	v_mul_f64 v[145:146], v[1:2], v[63:64]
	v_mul_f64 v[63:64], v[3:4], v[63:64]
	s_waitcnt vmcnt(54)
	v_fma_f64 v[57:58], v[5:6], v[157:158], -v[57:58]
	v_add_f64 v[15:16], v[15:16], v[31:32]
	v_fma_f64 v[31:32], v[7:8], v[157:158], v[188:189]
	v_add_f64 v[13:14], v[13:14], v[25:26]
	ds_read_b128 v[5:8], v159 offset:1408
	s_waitcnt vmcnt(52) lgkmcnt(1)
	v_mul_f64 v[25:26], v[9:10], v[65:66]
	v_mul_f64 v[65:66], v[11:12], v[65:66]
	s_waitcnt vmcnt(50)
	v_fma_f64 v[63:64], v[1:2], v[153:154], -v[63:64]
	v_add_f64 v[15:16], v[15:16], v[57:58]
	v_fma_f64 v[57:58], v[3:4], v[153:154], v[145:146]
	v_add_f64 v[13:14], v[13:14], v[31:32]
	s_clause 0x3
	buffer_load_dword v31, off, s[0:3], 0 offset:128
	buffer_load_dword v32, off, s[0:3], 0 offset:132
	;; [unrolled: 1-line block ×4, first 2 shown]
	ds_read_b128 v[1:4], v159 offset:1424
	s_waitcnt vmcnt(52) lgkmcnt(1)
	v_mul_f64 v[153:154], v[5:6], v[147:148]
	v_mul_f64 v[147:148], v[7:8], v[147:148]
	s_waitcnt vmcnt(50)
	v_fma_f64 v[65:66], v[9:10], v[178:179], -v[65:66]
	v_fma_f64 v[25:26], v[11:12], v[178:179], v[25:26]
	ds_read_b128 v[9:12], v159 offset:1440
	v_add_f64 v[15:16], v[15:16], v[63:64]
	v_add_f64 v[13:14], v[13:14], v[57:58]
	s_waitcnt vmcnt(48) lgkmcnt(1)
	v_mul_f64 v[63:64], v[3:4], v[149:150]
	v_mul_f64 v[57:58], v[1:2], v[149:150]
	s_waitcnt vmcnt(46)
	v_fma_f64 v[147:148], v[5:6], v[182:183], -v[147:148]
	v_add_f64 v[15:16], v[15:16], v[65:66]
	v_fma_f64 v[65:66], v[7:8], v[182:183], v[153:154]
	v_add_f64 v[13:14], v[13:14], v[25:26]
	ds_read_b128 v[5:8], v159 offset:1456
	s_waitcnt vmcnt(44) lgkmcnt(1)
	v_mul_f64 v[149:150], v[11:12], v[155:156]
	v_mul_f64 v[25:26], v[9:10], v[155:156]
	s_waitcnt vmcnt(42)
	v_fma_f64 v[63:64], v[1:2], v[180:181], -v[63:64]
	v_fma_f64 v[57:58], v[3:4], v[180:181], v[57:58]
	ds_read_b128 v[1:4], v159 offset:1472
	v_add_f64 v[15:16], v[15:16], v[147:148]
	v_add_f64 v[13:14], v[13:14], v[65:66]
	s_waitcnt vmcnt(40) lgkmcnt(1)
	v_mul_f64 v[147:148], v[7:8], v[174:175]
	v_mul_f64 v[65:66], v[5:6], v[174:175]
	s_waitcnt vmcnt(38)
	v_fma_f64 v[149:150], v[9:10], v[176:177], -v[149:150]
	v_fma_f64 v[25:26], v[11:12], v[176:177], v[25:26]
	ds_read_b128 v[9:12], v159 offset:1488
	v_add_f64 v[15:16], v[15:16], v[63:64]
	v_add_f64 v[13:14], v[13:14], v[57:58]
	;; [unrolled: 9-line block ×8, first 2 shown]
	s_waitcnt vmcnt(12) lgkmcnt(1)
	v_mul_f64 v[29:30], v[1:2], v[21:22]
	v_mul_f64 v[21:22], v[3:4], v[21:22]
	s_waitcnt vmcnt(10)
	v_fma_f64 v[5:6], v[5:6], v[61:62], -v[27:28]
	v_fma_f64 v[7:8], v[7:8], v[61:62], v[57:58]
	v_add_f64 v[15:16], v[15:16], v[19:20]
	v_add_f64 v[13:14], v[13:14], v[25:26]
	s_waitcnt vmcnt(8) lgkmcnt(0)
	v_mul_f64 v[19:20], v[9:10], v[17:18]
	v_mul_f64 v[17:18], v[11:12], v[17:18]
	s_waitcnt vmcnt(6)
	v_fma_f64 v[1:2], v[1:2], v[151:152], -v[21:22]
	v_fma_f64 v[3:4], v[3:4], v[151:152], v[29:30]
	v_add_f64 v[5:6], v[15:16], v[5:6]
	v_add_f64 v[7:8], v[13:14], v[7:8]
	s_waitcnt vmcnt(4)
	v_fma_f64 v[9:10], v[9:10], v[23:24], -v[17:18]
	v_add_f64 v[1:2], v[5:6], v[1:2]
	v_fma_f64 v[5:6], v[11:12], v[23:24], v[19:20]
	v_add_f64 v[3:4], v[7:8], v[3:4]
	v_add_f64 v[1:2], v[1:2], v[9:10]
	;; [unrolled: 1-line block ×3, first 2 shown]
	s_waitcnt vmcnt(2)
	v_add_f64 v[1:2], v[31:32], -v[1:2]
	s_waitcnt vmcnt(0)
	v_add_f64 v[3:4], v[145:146], -v[3:4]
	buffer_store_dword v2, off, s[0:3], 0 offset:132
	buffer_store_dword v1, off, s[0:3], 0 offset:128
	;; [unrolled: 1-line block ×4, first 2 shown]
	v_cmpx_lt_u32_e32 6, v0
	s_cbranch_execz .LBB49_301
; %bb.300:
	v_mov_b32_e32 v4, s56
	v_mov_b32_e32 v5, 0
	s_clause 0x3
	buffer_load_dword v1, v4, s[0:3], 0 offen
	buffer_load_dword v2, v4, s[0:3], 0 offen offset:4
	buffer_load_dword v3, v4, s[0:3], 0 offen offset:8
	;; [unrolled: 1-line block ×3, first 2 shown]
	buffer_store_dword v5, off, s[0:3], 0 offset:112
	buffer_store_dword v5, off, s[0:3], 0 offset:116
	;; [unrolled: 1-line block ×4, first 2 shown]
	s_waitcnt vmcnt(0)
	ds_write_b128 v163, v[1:4]
.LBB49_301:
	s_or_b32 exec_lo, exec_lo, s4
	s_waitcnt lgkmcnt(0)
	s_waitcnt_vscnt null, 0x0
	s_barrier
	buffer_gl0_inv
	s_clause 0x35
	buffer_load_dword v9, off, s[0:3], 0 offset:136
	buffer_load_dword v10, off, s[0:3], 0 offset:140
	;; [unrolled: 1-line block ×54, first 2 shown]
	v_mov_b32_e32 v159, 0
	s_mov_b32 s4, exec_lo
	ds_read_b128 v[164:167], v159 offset:912
	s_clause 0x3
	buffer_load_dword v155, off, s[0:3], 0 offset:360
	buffer_load_dword v156, off, s[0:3], 0 offset:364
	;; [unrolled: 1-line block ×4, first 2 shown]
	ds_read_b128 v[168:171], v159 offset:928
	s_clause 0x3
	buffer_load_dword v177, off, s[0:3], 0 offset:380
	buffer_load_dword v176, off, s[0:3], 0 offset:376
	;; [unrolled: 1-line block ×4, first 2 shown]
	ds_read_b128 v[172:175], v159 offset:944
	s_waitcnt vmcnt(60) lgkmcnt(2)
	v_mul_f64 v[160:161], v[166:167], v[9:10]
	v_mul_f64 v[9:10], v[164:165], v[9:10]
	s_waitcnt vmcnt(58) lgkmcnt(1)
	v_mul_f64 v[180:181], v[170:171], v[5:6]
	s_waitcnt vmcnt(54) lgkmcnt(0)
	v_mul_f64 v[186:187], v[174:175], v[3:4]
	v_mul_f64 v[184:185], v[172:173], v[3:4]
	v_fma_f64 v[160:161], v[164:165], v[7:8], -v[160:161]
	v_mul_f64 v[164:165], v[168:169], v[5:6]
	v_fma_f64 v[9:10], v[166:167], v[7:8], v[9:10]
	s_clause 0x3
	buffer_load_dword v166, off, s[0:3], 0 offset:392
	buffer_load_dword v167, off, s[0:3], 0 offset:396
	;; [unrolled: 1-line block ×4, first 2 shown]
	s_waitcnt vmcnt(56)
	v_fma_f64 v[168:169], v[168:169], v[1:2], -v[180:181]
	ds_read_b128 v[5:8], v159 offset:960
	s_waitcnt vmcnt(52)
	v_fma_f64 v[172:173], v[172:173], v[19:20], -v[186:187]
	v_fma_f64 v[19:20], v[174:175], v[19:20], v[184:185]
	v_add_f64 v[160:161], v[160:161], 0
	v_fma_f64 v[164:165], v[170:171], v[1:2], v[164:165]
	v_add_f64 v[9:10], v[9:10], 0
	s_clause 0x3
	buffer_load_dword v171, off, s[0:3], 0 offset:412
	buffer_load_dword v170, off, s[0:3], 0 offset:408
	;; [unrolled: 1-line block ×4, first 2 shown]
	s_waitcnt lgkmcnt(0)
	v_mul_f64 v[190:191], v[7:8], v[11:12]
	ds_read_b128 v[1:4], v159 offset:976
	v_mul_f64 v[188:189], v[5:6], v[11:12]
	v_add_f64 v[160:161], v[160:161], v[168:169]
	s_clause 0x3
	buffer_load_dword v168, off, s[0:3], 0 offset:424
	buffer_load_dword v169, off, s[0:3], 0 offset:428
	;; [unrolled: 1-line block ×4, first 2 shown]
	v_add_f64 v[164:165], v[9:10], v[164:165]
	s_waitcnt vmcnt(58) lgkmcnt(0)
	v_mul_f64 v[184:185], v[1:2], v[15:16]
	v_mul_f64 v[15:16], v[3:4], v[15:16]
	s_waitcnt vmcnt(56)
	v_fma_f64 v[186:187], v[5:6], v[13:14], -v[190:191]
	ds_read_b128 v[9:12], v159 offset:992
	v_fma_f64 v[13:14], v[7:8], v[13:14], v[188:189]
	v_add_f64 v[160:161], v[160:161], v[172:173]
	v_add_f64 v[19:20], v[164:165], v[19:20]
	s_clause 0x3
	buffer_load_dword v165, off, s[0:3], 0 offset:444
	buffer_load_dword v164, off, s[0:3], 0 offset:440
	;; [unrolled: 1-line block ×4, first 2 shown]
	s_waitcnt vmcnt(58) lgkmcnt(0)
	v_mul_f64 v[188:189], v[9:10], v[17:18]
	v_mul_f64 v[17:18], v[11:12], v[17:18]
	s_waitcnt vmcnt(56)
	v_fma_f64 v[15:16], v[1:2], v[27:28], -v[15:16]
	ds_read_b128 v[5:8], v159 offset:1008
	v_fma_f64 v[27:28], v[3:4], v[27:28], v[184:185]
	v_add_f64 v[160:161], v[160:161], v[186:187]
	v_add_f64 v[13:14], v[19:20], v[13:14]
	s_clause 0x3
	buffer_load_dword v19, off, s[0:3], 0 offset:456
	buffer_load_dword v20, off, s[0:3], 0 offset:460
	;; [unrolled: 1-line block ×4, first 2 shown]
	ds_read_b128 v[1:4], v159 offset:1024
	s_waitcnt vmcnt(58) lgkmcnt(1)
	v_mul_f64 v[186:187], v[5:6], v[23:24]
	v_mul_f64 v[23:24], v[7:8], v[23:24]
	s_waitcnt vmcnt(56)
	v_fma_f64 v[17:18], v[9:10], v[21:22], -v[17:18]
	v_fma_f64 v[21:22], v[11:12], v[21:22], v[188:189]
	v_add_f64 v[15:16], v[160:161], v[15:16]
	v_add_f64 v[13:14], v[13:14], v[27:28]
	s_clause 0x3
	buffer_load_dword v28, off, s[0:3], 0 offset:476
	buffer_load_dword v27, off, s[0:3], 0 offset:472
	buffer_load_dword v160, off, s[0:3], 0 offset:448
	buffer_load_dword v161, off, s[0:3], 0 offset:452
	s_waitcnt vmcnt(58) lgkmcnt(0)
	v_mul_f64 v[188:189], v[1:2], v[25:26]
	v_mul_f64 v[25:26], v[3:4], v[25:26]
	s_waitcnt vmcnt(56)
	v_fma_f64 v[23:24], v[5:6], v[59:60], -v[23:24]
	ds_read_b128 v[9:12], v159 offset:1040
	v_add_f64 v[15:16], v[15:16], v[17:18]
	v_fma_f64 v[17:18], v[7:8], v[59:60], v[186:187]
	v_add_f64 v[13:14], v[13:14], v[21:22]
	s_clause 0x3
	buffer_load_dword v21, off, s[0:3], 0 offset:488
	buffer_load_dword v22, off, s[0:3], 0 offset:492
	buffer_load_dword v60, off, s[0:3], 0 offset:468
	buffer_load_dword v59, off, s[0:3], 0 offset:464
	ds_read_b128 v[5:8], v159 offset:1056
	s_waitcnt vmcnt(58) lgkmcnt(1)
	v_mul_f64 v[186:187], v[9:10], v[31:32]
	v_mul_f64 v[31:32], v[11:12], v[31:32]
	s_waitcnt vmcnt(56)
	v_fma_f64 v[25:26], v[1:2], v[29:30], -v[25:26]
	v_add_f64 v[15:16], v[15:16], v[23:24]
	v_fma_f64 v[23:24], v[3:4], v[29:30], v[188:189]
	v_add_f64 v[13:14], v[13:14], v[17:18]
	s_clause 0x3
	buffer_load_dword v18, off, s[0:3], 0 offset:508
	buffer_load_dword v17, off, s[0:3], 0 offset:504
	buffer_load_dword v29, off, s[0:3], 0 offset:480
	buffer_load_dword v30, off, s[0:3], 0 offset:484
	s_waitcnt vmcnt(58) lgkmcnt(0)
	v_mul_f64 v[188:189], v[5:6], v[57:58]
	v_mul_f64 v[57:58], v[7:8], v[57:58]
	s_waitcnt vmcnt(56)
	v_fma_f64 v[31:32], v[9:10], v[67:68], -v[31:32]
	ds_read_b128 v[1:4], v159 offset:1072
	v_add_f64 v[15:16], v[15:16], v[25:26]
	v_fma_f64 v[25:26], v[11:12], v[67:68], v[186:187]
	v_add_f64 v[13:14], v[13:14], v[23:24]
	s_clause 0x3
	buffer_load_dword v23, off, s[0:3], 0 offset:520
	buffer_load_dword v24, off, s[0:3], 0 offset:524
	buffer_load_dword v68, off, s[0:3], 0 offset:500
	buffer_load_dword v67, off, s[0:3], 0 offset:496
	ds_read_b128 v[9:12], v159 offset:1088
	s_waitcnt vmcnt(58) lgkmcnt(1)
	v_mul_f64 v[186:187], v[1:2], v[63:64]
	v_mul_f64 v[63:64], v[3:4], v[63:64]
	s_waitcnt vmcnt(56)
	v_fma_f64 v[57:58], v[5:6], v[61:62], -v[57:58]
	v_add_f64 v[15:16], v[15:16], v[31:32]
	v_fma_f64 v[31:32], v[7:8], v[61:62], v[188:189]
	;; [unrolled: 28-line block ×5, first 2 shown]
	v_add_f64 v[13:14], v[13:14], v[149:150]
	s_clause 0x3
	buffer_load_dword v150, off, s[0:3], 0 offset:636
	buffer_load_dword v149, off, s[0:3], 0 offset:632
	buffer_load_dword v182, off, s[0:3], 0 offset:608
	buffer_load_dword v183, off, s[0:3], 0 offset:612
	ds_read_b128 v[5:8], v159 offset:1200
	s_waitcnt vmcnt(58) lgkmcnt(1)
	v_mul_f64 v[188:189], v[9:10], v[170:171]
	v_mul_f64 v[170:171], v[11:12], v[170:171]
	s_waitcnt vmcnt(56)
	v_fma_f64 v[166:167], v[1:2], v[180:181], -v[166:167]
	v_add_f64 v[15:16], v[15:16], v[176:177]
	v_fma_f64 v[176:177], v[3:4], v[180:181], v[186:187]
	v_add_f64 v[13:14], v[13:14], v[155:156]
	s_clause 0x3
	buffer_load_dword v155, off, s[0:3], 0 offset:648
	buffer_load_dword v156, off, s[0:3], 0 offset:652
	buffer_load_dword v181, off, s[0:3], 0 offset:628
	buffer_load_dword v180, off, s[0:3], 0 offset:624
	ds_read_b128 v[1:4], v159 offset:1216
	s_waitcnt vmcnt(58) lgkmcnt(1)
	v_mul_f64 v[186:187], v[5:6], v[168:169]
	v_mul_f64 v[168:169], v[7:8], v[168:169]
	s_waitcnt vmcnt(56)
	v_fma_f64 v[170:171], v[9:10], v[174:175], -v[170:171]
	v_add_f64 v[15:16], v[15:16], v[166:167]
	v_fma_f64 v[166:167], v[11:12], v[174:175], v[188:189]
	;; [unrolled: 14-line block ×4, first 2 shown]
	v_add_f64 v[13:14], v[13:14], v[170:171]
	s_clause 0x3
	buffer_load_dword v171, off, s[0:3], 0 offset:700
	buffer_load_dword v170, off, s[0:3], 0 offset:696
	;; [unrolled: 1-line block ×4, first 2 shown]
	ds_read_b128 v[1:4], v159 offset:1264
	s_waitcnt vmcnt(58) lgkmcnt(1)
	v_mul_f64 v[188:189], v[5:6], v[27:28]
	v_mul_f64 v[27:28], v[7:8], v[27:28]
	s_waitcnt vmcnt(56)
	v_fma_f64 v[19:20], v[9:10], v[160:161], -v[19:20]
	v_fma_f64 v[160:161], v[11:12], v[160:161], v[186:187]
	v_add_f64 v[15:16], v[15:16], v[164:165]
	v_add_f64 v[13:14], v[13:14], v[168:169]
	s_clause 0x3
	buffer_load_dword v164, off, s[0:3], 0 offset:712
	buffer_load_dword v165, off, s[0:3], 0 offset:716
	buffer_load_dword v169, off, s[0:3], 0 offset:692
	buffer_load_dword v168, off, s[0:3], 0 offset:688
	ds_read_b128 v[9:12], v159 offset:1280
	s_waitcnt vmcnt(58) lgkmcnt(1)
	v_mul_f64 v[186:187], v[1:2], v[21:22]
	v_mul_f64 v[21:22], v[3:4], v[21:22]
	s_waitcnt vmcnt(56)
	v_fma_f64 v[27:28], v[5:6], v[59:60], -v[27:28]
	v_add_f64 v[15:16], v[15:16], v[19:20]
	v_fma_f64 v[19:20], v[7:8], v[59:60], v[188:189]
	v_add_f64 v[13:14], v[13:14], v[160:161]
	s_clause 0x3
	buffer_load_dword v60, off, s[0:3], 0 offset:732
	buffer_load_dword v59, off, s[0:3], 0 offset:728
	buffer_load_dword v160, off, s[0:3], 0 offset:704
	buffer_load_dword v161, off, s[0:3], 0 offset:708
	ds_read_b128 v[5:8], v159 offset:1296
	s_waitcnt vmcnt(58) lgkmcnt(1)
	v_mul_f64 v[188:189], v[9:10], v[17:18]
	v_mul_f64 v[17:18], v[11:12], v[17:18]
	s_waitcnt vmcnt(56)
	v_fma_f64 v[21:22], v[1:2], v[29:30], -v[21:22]
	v_add_f64 v[15:16], v[15:16], v[27:28]
	v_fma_f64 v[27:28], v[3:4], v[29:30], v[186:187]
	;; [unrolled: 14-line block ×7, first 2 shown]
	v_add_f64 v[13:14], v[13:14], v[25:26]
	s_clause 0x1
	buffer_load_dword v25, off, s[0:3], 0 offset:800
	buffer_load_dword v26, off, s[0:3], 0 offset:804
	ds_read_b128 v[5:8], v159 offset:1392
	s_waitcnt vmcnt(56) lgkmcnt(1)
	v_mul_f64 v[157:158], v[9:10], v[65:66]
	v_mul_f64 v[65:66], v[11:12], v[65:66]
	s_waitcnt vmcnt(54)
	v_fma_f64 v[63:64], v[1:2], v[153:154], -v[63:64]
	v_add_f64 v[15:16], v[15:16], v[57:58]
	v_fma_f64 v[57:58], v[3:4], v[153:154], v[186:187]
	v_add_f64 v[13:14], v[13:14], v[31:32]
	ds_read_b128 v[1:4], v159 offset:1408
	s_waitcnt vmcnt(52) lgkmcnt(1)
	v_mul_f64 v[31:32], v[5:6], v[147:148]
	v_mul_f64 v[147:148], v[7:8], v[147:148]
	s_waitcnt vmcnt(50)
	v_fma_f64 v[65:66], v[9:10], v[178:179], -v[65:66]
	v_add_f64 v[15:16], v[15:16], v[63:64]
	v_fma_f64 v[63:64], v[11:12], v[178:179], v[157:158]
	v_add_f64 v[13:14], v[13:14], v[57:58]
	s_clause 0x3
	buffer_load_dword v57, off, s[0:3], 0 offset:112
	buffer_load_dword v58, off, s[0:3], 0 offset:116
	buffer_load_dword v153, off, s[0:3], 0 offset:120
	buffer_load_dword v154, off, s[0:3], 0 offset:124
	ds_read_b128 v[9:12], v159 offset:1424
	s_waitcnt vmcnt(52) lgkmcnt(1)
	v_mul_f64 v[157:158], v[1:2], v[149:150]
	v_mul_f64 v[149:150], v[3:4], v[149:150]
	s_waitcnt vmcnt(50)
	v_fma_f64 v[147:148], v[5:6], v[182:183], -v[147:148]
	v_fma_f64 v[31:32], v[7:8], v[182:183], v[31:32]
	ds_read_b128 v[5:8], v159 offset:1440
	v_add_f64 v[15:16], v[15:16], v[65:66]
	v_add_f64 v[13:14], v[13:14], v[63:64]
	s_waitcnt vmcnt(48) lgkmcnt(1)
	v_mul_f64 v[65:66], v[11:12], v[155:156]
	v_mul_f64 v[63:64], v[9:10], v[155:156]
	s_waitcnt vmcnt(46)
	v_fma_f64 v[149:150], v[1:2], v[180:181], -v[149:150]
	v_add_f64 v[15:16], v[15:16], v[147:148]
	v_fma_f64 v[147:148], v[3:4], v[180:181], v[157:158]
	v_add_f64 v[13:14], v[13:14], v[31:32]
	ds_read_b128 v[1:4], v159 offset:1456
	s_waitcnt vmcnt(44) lgkmcnt(1)
	v_mul_f64 v[155:156], v[7:8], v[174:175]
	v_mul_f64 v[31:32], v[5:6], v[174:175]
	s_waitcnt vmcnt(42)
	v_fma_f64 v[65:66], v[9:10], v[176:177], -v[65:66]
	v_fma_f64 v[63:64], v[11:12], v[176:177], v[63:64]
	ds_read_b128 v[9:12], v159 offset:1472
	v_add_f64 v[15:16], v[15:16], v[149:150]
	v_add_f64 v[13:14], v[13:14], v[147:148]
	s_waitcnt vmcnt(40) lgkmcnt(1)
	v_mul_f64 v[149:150], v[3:4], v[166:167]
	v_mul_f64 v[147:148], v[1:2], v[166:167]
	s_waitcnt vmcnt(38)
	v_fma_f64 v[155:156], v[5:6], v[172:173], -v[155:156]
	v_fma_f64 v[31:32], v[7:8], v[172:173], v[31:32]
	ds_read_b128 v[5:8], v159 offset:1488
	v_add_f64 v[15:16], v[15:16], v[65:66]
	v_add_f64 v[13:14], v[13:14], v[63:64]
	;; [unrolled: 9-line block ×6, first 2 shown]
	s_waitcnt vmcnt(20) lgkmcnt(1)
	v_mul_f64 v[31:32], v[5:6], v[27:28]
	v_mul_f64 v[27:28], v[7:8], v[27:28]
	s_waitcnt vmcnt(18)
	v_fma_f64 v[19:20], v[9:10], v[67:68], -v[19:20]
	v_add_f64 v[15:16], v[15:16], v[59:60]
	v_fma_f64 v[59:60], v[11:12], v[67:68], v[63:64]
	v_add_f64 v[13:14], v[13:14], v[29:30]
	ds_read_b128 v[9:12], v159 offset:1568
	s_waitcnt vmcnt(16) lgkmcnt(1)
	v_mul_f64 v[29:30], v[1:2], v[21:22]
	v_mul_f64 v[21:22], v[3:4], v[21:22]
	s_waitcnt vmcnt(14)
	v_fma_f64 v[27:28], v[5:6], v[61:62], -v[27:28]
	v_add_f64 v[15:16], v[15:16], v[19:20]
	v_fma_f64 v[19:20], v[7:8], v[61:62], v[31:32]
	v_add_f64 v[13:14], v[13:14], v[59:60]
	ds_read_b128 v[5:8], v159 offset:1584
	s_waitcnt vmcnt(12) lgkmcnt(1)
	v_mul_f64 v[31:32], v[9:10], v[17:18]
	v_mul_f64 v[17:18], v[11:12], v[17:18]
	s_waitcnt vmcnt(10)
	v_fma_f64 v[1:2], v[1:2], v[151:152], -v[21:22]
	v_fma_f64 v[3:4], v[3:4], v[151:152], v[29:30]
	v_add_f64 v[15:16], v[15:16], v[27:28]
	v_add_f64 v[13:14], v[13:14], v[19:20]
	s_waitcnt vmcnt(8) lgkmcnt(0)
	v_mul_f64 v[21:22], v[7:8], v[23:24]
	v_mul_f64 v[19:20], v[5:6], v[23:24]
	s_waitcnt vmcnt(6)
	v_fma_f64 v[9:10], v[9:10], v[145:146], -v[17:18]
	v_fma_f64 v[11:12], v[11:12], v[145:146], v[31:32]
	v_add_f64 v[1:2], v[15:16], v[1:2]
	v_add_f64 v[3:4], v[13:14], v[3:4]
	s_waitcnt vmcnt(4)
	v_fma_f64 v[5:6], v[5:6], v[25:26], -v[21:22]
	v_fma_f64 v[7:8], v[7:8], v[25:26], v[19:20]
	v_add_f64 v[1:2], v[1:2], v[9:10]
	v_add_f64 v[3:4], v[3:4], v[11:12]
	;; [unrolled: 1-line block ×4, first 2 shown]
	s_waitcnt vmcnt(2)
	v_add_f64 v[1:2], v[57:58], -v[1:2]
	s_waitcnt vmcnt(0)
	v_add_f64 v[3:4], v[153:154], -v[3:4]
	buffer_store_dword v2, off, s[0:3], 0 offset:116
	buffer_store_dword v1, off, s[0:3], 0 offset:112
	;; [unrolled: 1-line block ×4, first 2 shown]
	v_cmpx_lt_u32_e32 5, v0
	s_cbranch_execz .LBB49_303
; %bb.302:
	v_mov_b32_e32 v4, s57
	s_clause 0x3
	buffer_load_dword v1, v4, s[0:3], 0 offen
	buffer_load_dword v2, v4, s[0:3], 0 offen offset:4
	buffer_load_dword v3, v4, s[0:3], 0 offen offset:8
	;; [unrolled: 1-line block ×3, first 2 shown]
	buffer_store_dword v159, off, s[0:3], 0 offset:96
	buffer_store_dword v159, off, s[0:3], 0 offset:100
	;; [unrolled: 1-line block ×4, first 2 shown]
	s_waitcnt vmcnt(0)
	ds_write_b128 v163, v[1:4]
.LBB49_303:
	s_or_b32 exec_lo, exec_lo, s4
	s_waitcnt lgkmcnt(0)
	s_waitcnt_vscnt null, 0x0
	s_barrier
	buffer_gl0_inv
	s_clause 0x35
	buffer_load_dword v9, off, s[0:3], 0 offset:120
	buffer_load_dword v10, off, s[0:3], 0 offset:124
	;; [unrolled: 1-line block ×54, first 2 shown]
	ds_read_b128 v[164:167], v159 offset:896
	s_clause 0x3
	buffer_load_dword v155, off, s[0:3], 0 offset:344
	buffer_load_dword v156, off, s[0:3], 0 offset:348
	;; [unrolled: 1-line block ×4, first 2 shown]
	ds_read_b128 v[168:171], v159 offset:912
	s_clause 0x3
	buffer_load_dword v177, off, s[0:3], 0 offset:364
	buffer_load_dword v176, off, s[0:3], 0 offset:360
	;; [unrolled: 1-line block ×4, first 2 shown]
	ds_read_b128 v[172:175], v159 offset:928
	s_mov_b32 s4, exec_lo
	s_waitcnt vmcnt(60) lgkmcnt(2)
	v_mul_f64 v[160:161], v[166:167], v[9:10]
	v_mul_f64 v[9:10], v[164:165], v[9:10]
	s_waitcnt vmcnt(58) lgkmcnt(1)
	v_mul_f64 v[180:181], v[170:171], v[5:6]
	s_waitcnt vmcnt(54) lgkmcnt(0)
	v_mul_f64 v[186:187], v[174:175], v[3:4]
	v_mul_f64 v[184:185], v[172:173], v[3:4]
	v_fma_f64 v[160:161], v[164:165], v[7:8], -v[160:161]
	v_mul_f64 v[164:165], v[168:169], v[5:6]
	v_fma_f64 v[9:10], v[166:167], v[7:8], v[9:10]
	s_clause 0x3
	buffer_load_dword v166, off, s[0:3], 0 offset:376
	buffer_load_dword v167, off, s[0:3], 0 offset:380
	;; [unrolled: 1-line block ×4, first 2 shown]
	s_waitcnt vmcnt(56)
	v_fma_f64 v[168:169], v[168:169], v[1:2], -v[180:181]
	ds_read_b128 v[5:8], v159 offset:944
	s_waitcnt vmcnt(52)
	v_fma_f64 v[172:173], v[172:173], v[19:20], -v[186:187]
	v_fma_f64 v[19:20], v[174:175], v[19:20], v[184:185]
	v_add_f64 v[160:161], v[160:161], 0
	v_fma_f64 v[164:165], v[170:171], v[1:2], v[164:165]
	v_add_f64 v[9:10], v[9:10], 0
	s_clause 0x3
	buffer_load_dword v171, off, s[0:3], 0 offset:396
	buffer_load_dword v170, off, s[0:3], 0 offset:392
	buffer_load_dword v180, off, s[0:3], 0 offset:368
	buffer_load_dword v181, off, s[0:3], 0 offset:372
	s_waitcnt lgkmcnt(0)
	v_mul_f64 v[190:191], v[7:8], v[11:12]
	ds_read_b128 v[1:4], v159 offset:960
	v_mul_f64 v[188:189], v[5:6], v[11:12]
	v_add_f64 v[160:161], v[160:161], v[168:169]
	s_clause 0x3
	buffer_load_dword v168, off, s[0:3], 0 offset:408
	buffer_load_dword v169, off, s[0:3], 0 offset:412
	;; [unrolled: 1-line block ×4, first 2 shown]
	v_add_f64 v[164:165], v[9:10], v[164:165]
	s_waitcnt vmcnt(58) lgkmcnt(0)
	v_mul_f64 v[184:185], v[1:2], v[15:16]
	v_mul_f64 v[15:16], v[3:4], v[15:16]
	s_waitcnt vmcnt(56)
	v_fma_f64 v[186:187], v[5:6], v[13:14], -v[190:191]
	ds_read_b128 v[9:12], v159 offset:976
	v_fma_f64 v[13:14], v[7:8], v[13:14], v[188:189]
	v_add_f64 v[160:161], v[160:161], v[172:173]
	v_add_f64 v[19:20], v[164:165], v[19:20]
	s_clause 0x3
	buffer_load_dword v165, off, s[0:3], 0 offset:428
	buffer_load_dword v164, off, s[0:3], 0 offset:424
	;; [unrolled: 1-line block ×4, first 2 shown]
	s_waitcnt vmcnt(58) lgkmcnt(0)
	v_mul_f64 v[188:189], v[9:10], v[17:18]
	v_mul_f64 v[17:18], v[11:12], v[17:18]
	s_waitcnt vmcnt(56)
	v_fma_f64 v[15:16], v[1:2], v[27:28], -v[15:16]
	ds_read_b128 v[5:8], v159 offset:992
	v_fma_f64 v[27:28], v[3:4], v[27:28], v[184:185]
	v_add_f64 v[160:161], v[160:161], v[186:187]
	v_add_f64 v[13:14], v[19:20], v[13:14]
	s_clause 0x3
	buffer_load_dword v19, off, s[0:3], 0 offset:440
	buffer_load_dword v20, off, s[0:3], 0 offset:444
	;; [unrolled: 1-line block ×4, first 2 shown]
	ds_read_b128 v[1:4], v159 offset:1008
	s_waitcnt vmcnt(58) lgkmcnt(1)
	v_mul_f64 v[186:187], v[5:6], v[23:24]
	v_mul_f64 v[23:24], v[7:8], v[23:24]
	s_waitcnt vmcnt(56)
	v_fma_f64 v[17:18], v[9:10], v[21:22], -v[17:18]
	v_fma_f64 v[21:22], v[11:12], v[21:22], v[188:189]
	v_add_f64 v[15:16], v[160:161], v[15:16]
	v_add_f64 v[13:14], v[13:14], v[27:28]
	s_clause 0x3
	buffer_load_dword v28, off, s[0:3], 0 offset:460
	buffer_load_dword v27, off, s[0:3], 0 offset:456
	buffer_load_dword v160, off, s[0:3], 0 offset:432
	buffer_load_dword v161, off, s[0:3], 0 offset:436
	s_waitcnt vmcnt(58) lgkmcnt(0)
	v_mul_f64 v[188:189], v[1:2], v[25:26]
	v_mul_f64 v[25:26], v[3:4], v[25:26]
	s_waitcnt vmcnt(56)
	v_fma_f64 v[23:24], v[5:6], v[59:60], -v[23:24]
	ds_read_b128 v[9:12], v159 offset:1024
	v_add_f64 v[15:16], v[15:16], v[17:18]
	v_fma_f64 v[17:18], v[7:8], v[59:60], v[186:187]
	v_add_f64 v[13:14], v[13:14], v[21:22]
	s_clause 0x3
	buffer_load_dword v21, off, s[0:3], 0 offset:472
	buffer_load_dword v22, off, s[0:3], 0 offset:476
	buffer_load_dword v60, off, s[0:3], 0 offset:452
	buffer_load_dword v59, off, s[0:3], 0 offset:448
	ds_read_b128 v[5:8], v159 offset:1040
	s_waitcnt vmcnt(58) lgkmcnt(1)
	v_mul_f64 v[186:187], v[9:10], v[31:32]
	v_mul_f64 v[31:32], v[11:12], v[31:32]
	s_waitcnt vmcnt(56)
	v_fma_f64 v[25:26], v[1:2], v[29:30], -v[25:26]
	v_add_f64 v[15:16], v[15:16], v[23:24]
	v_fma_f64 v[23:24], v[3:4], v[29:30], v[188:189]
	v_add_f64 v[13:14], v[13:14], v[17:18]
	s_clause 0x3
	buffer_load_dword v18, off, s[0:3], 0 offset:492
	buffer_load_dword v17, off, s[0:3], 0 offset:488
	buffer_load_dword v29, off, s[0:3], 0 offset:464
	buffer_load_dword v30, off, s[0:3], 0 offset:468
	s_waitcnt vmcnt(58) lgkmcnt(0)
	v_mul_f64 v[188:189], v[5:6], v[57:58]
	v_mul_f64 v[57:58], v[7:8], v[57:58]
	s_waitcnt vmcnt(56)
	v_fma_f64 v[31:32], v[9:10], v[67:68], -v[31:32]
	ds_read_b128 v[1:4], v159 offset:1056
	v_add_f64 v[15:16], v[15:16], v[25:26]
	v_fma_f64 v[25:26], v[11:12], v[67:68], v[186:187]
	v_add_f64 v[13:14], v[13:14], v[23:24]
	s_clause 0x3
	buffer_load_dword v23, off, s[0:3], 0 offset:504
	buffer_load_dword v24, off, s[0:3], 0 offset:508
	buffer_load_dword v68, off, s[0:3], 0 offset:484
	buffer_load_dword v67, off, s[0:3], 0 offset:480
	ds_read_b128 v[9:12], v159 offset:1072
	s_waitcnt vmcnt(58) lgkmcnt(1)
	v_mul_f64 v[186:187], v[1:2], v[63:64]
	v_mul_f64 v[63:64], v[3:4], v[63:64]
	s_waitcnt vmcnt(56)
	v_fma_f64 v[57:58], v[5:6], v[61:62], -v[57:58]
	v_add_f64 v[15:16], v[15:16], v[31:32]
	v_fma_f64 v[31:32], v[7:8], v[61:62], v[188:189]
	v_add_f64 v[13:14], v[13:14], v[25:26]
	s_clause 0x3
	buffer_load_dword v26, off, s[0:3], 0 offset:524
	buffer_load_dword v25, off, s[0:3], 0 offset:520
	buffer_load_dword v61, off, s[0:3], 0 offset:496
	buffer_load_dword v62, off, s[0:3], 0 offset:500
	s_waitcnt vmcnt(58) lgkmcnt(0)
	v_mul_f64 v[188:189], v[9:10], v[65:66]
	v_mul_f64 v[65:66], v[11:12], v[65:66]
	s_waitcnt vmcnt(56)
	v_fma_f64 v[63:64], v[1:2], v[151:152], -v[63:64]
	ds_read_b128 v[5:8], v159 offset:1088
	v_add_f64 v[15:16], v[15:16], v[57:58]
	v_fma_f64 v[57:58], v[3:4], v[151:152], v[186:187]
	v_add_f64 v[13:14], v[13:14], v[31:32]
	s_clause 0x3
	buffer_load_dword v31, off, s[0:3], 0 offset:536
	buffer_load_dword v32, off, s[0:3], 0 offset:540
	buffer_load_dword v152, off, s[0:3], 0 offset:516
	buffer_load_dword v151, off, s[0:3], 0 offset:512
	ds_read_b128 v[1:4], v159 offset:1104
	s_waitcnt vmcnt(58) lgkmcnt(1)
	v_mul_f64 v[186:187], v[5:6], v[147:148]
	v_mul_f64 v[147:148], v[7:8], v[147:148]
	s_waitcnt vmcnt(56)
	v_fma_f64 v[65:66], v[9:10], v[145:146], -v[65:66]
	v_add_f64 v[15:16], v[15:16], v[63:64]
	v_fma_f64 v[63:64], v[11:12], v[145:146], v[188:189]
	v_add_f64 v[13:14], v[13:14], v[57:58]
	s_clause 0x3
	buffer_load_dword v58, off, s[0:3], 0 offset:556
	buffer_load_dword v57, off, s[0:3], 0 offset:552
	buffer_load_dword v145, off, s[0:3], 0 offset:528
	buffer_load_dword v146, off, s[0:3], 0 offset:532
	s_waitcnt vmcnt(58) lgkmcnt(0)
	v_mul_f64 v[188:189], v[1:2], v[149:150]
	v_mul_f64 v[149:150], v[3:4], v[149:150]
	s_waitcnt vmcnt(56)
	v_fma_f64 v[147:148], v[5:6], v[157:158], -v[147:148]
	ds_read_b128 v[9:12], v159 offset:1120
	v_add_f64 v[15:16], v[15:16], v[65:66]
	v_fma_f64 v[65:66], v[7:8], v[157:158], v[186:187]
	v_add_f64 v[13:14], v[13:14], v[63:64]
	s_clause 0x3
	buffer_load_dword v63, off, s[0:3], 0 offset:568
	buffer_load_dword v64, off, s[0:3], 0 offset:572
	buffer_load_dword v158, off, s[0:3], 0 offset:548
	buffer_load_dword v157, off, s[0:3], 0 offset:544
	ds_read_b128 v[5:8], v159 offset:1136
	s_waitcnt vmcnt(58) lgkmcnt(1)
	v_mul_f64 v[186:187], v[9:10], v[155:156]
	v_mul_f64 v[155:156], v[11:12], v[155:156]
	s_waitcnt vmcnt(56)
	v_fma_f64 v[149:150], v[1:2], v[153:154], -v[149:150]
	v_add_f64 v[15:16], v[15:16], v[147:148]
	v_fma_f64 v[147:148], v[3:4], v[153:154], v[188:189]
	v_add_f64 v[13:14], v[13:14], v[65:66]
	s_clause 0x3
	buffer_load_dword v66, off, s[0:3], 0 offset:588
	buffer_load_dword v65, off, s[0:3], 0 offset:584
	buffer_load_dword v153, off, s[0:3], 0 offset:560
	buffer_load_dword v154, off, s[0:3], 0 offset:564
	s_waitcnt vmcnt(58) lgkmcnt(0)
	v_mul_f64 v[188:189], v[5:6], v[176:177]
	v_mul_f64 v[176:177], v[7:8], v[176:177]
	s_waitcnt vmcnt(56)
	v_fma_f64 v[155:156], v[9:10], v[178:179], -v[155:156]
	ds_read_b128 v[1:4], v159 offset:1152
	v_add_f64 v[15:16], v[15:16], v[149:150]
	v_fma_f64 v[149:150], v[11:12], v[178:179], v[186:187]
	v_add_f64 v[13:14], v[13:14], v[147:148]
	s_clause 0x3
	buffer_load_dword v147, off, s[0:3], 0 offset:600
	buffer_load_dword v148, off, s[0:3], 0 offset:604
	buffer_load_dword v179, off, s[0:3], 0 offset:580
	buffer_load_dword v178, off, s[0:3], 0 offset:576
	ds_read_b128 v[9:12], v159 offset:1168
	s_waitcnt vmcnt(58) lgkmcnt(1)
	v_mul_f64 v[186:187], v[1:2], v[166:167]
	v_mul_f64 v[166:167], v[3:4], v[166:167]
	s_waitcnt vmcnt(56)
	v_fma_f64 v[176:177], v[5:6], v[182:183], -v[176:177]
	v_add_f64 v[15:16], v[15:16], v[155:156]
	v_fma_f64 v[155:156], v[7:8], v[182:183], v[188:189]
	v_add_f64 v[13:14], v[13:14], v[149:150]
	s_clause 0x3
	buffer_load_dword v150, off, s[0:3], 0 offset:620
	buffer_load_dword v149, off, s[0:3], 0 offset:616
	buffer_load_dword v182, off, s[0:3], 0 offset:592
	buffer_load_dword v183, off, s[0:3], 0 offset:596
	ds_read_b128 v[5:8], v159 offset:1184
	s_waitcnt vmcnt(58) lgkmcnt(1)
	v_mul_f64 v[188:189], v[9:10], v[170:171]
	v_mul_f64 v[170:171], v[11:12], v[170:171]
	s_waitcnt vmcnt(56)
	v_fma_f64 v[166:167], v[1:2], v[180:181], -v[166:167]
	v_add_f64 v[15:16], v[15:16], v[176:177]
	v_fma_f64 v[176:177], v[3:4], v[180:181], v[186:187]
	v_add_f64 v[13:14], v[13:14], v[155:156]
	s_clause 0x3
	buffer_load_dword v155, off, s[0:3], 0 offset:632
	buffer_load_dword v156, off, s[0:3], 0 offset:636
	buffer_load_dword v181, off, s[0:3], 0 offset:612
	buffer_load_dword v180, off, s[0:3], 0 offset:608
	ds_read_b128 v[1:4], v159 offset:1200
	s_waitcnt vmcnt(58) lgkmcnt(1)
	v_mul_f64 v[186:187], v[5:6], v[168:169]
	v_mul_f64 v[168:169], v[7:8], v[168:169]
	s_waitcnt vmcnt(56)
	v_fma_f64 v[170:171], v[9:10], v[174:175], -v[170:171]
	v_add_f64 v[15:16], v[15:16], v[166:167]
	v_fma_f64 v[166:167], v[11:12], v[174:175], v[188:189]
	;; [unrolled: 14-line block ×4, first 2 shown]
	v_add_f64 v[13:14], v[13:14], v[170:171]
	s_clause 0x3
	buffer_load_dword v171, off, s[0:3], 0 offset:684
	buffer_load_dword v170, off, s[0:3], 0 offset:680
	;; [unrolled: 1-line block ×4, first 2 shown]
	ds_read_b128 v[1:4], v159 offset:1248
	s_waitcnt vmcnt(58) lgkmcnt(1)
	v_mul_f64 v[188:189], v[5:6], v[27:28]
	v_mul_f64 v[27:28], v[7:8], v[27:28]
	s_waitcnt vmcnt(56)
	v_fma_f64 v[19:20], v[9:10], v[160:161], -v[19:20]
	v_fma_f64 v[160:161], v[11:12], v[160:161], v[186:187]
	v_add_f64 v[15:16], v[15:16], v[164:165]
	v_add_f64 v[13:14], v[13:14], v[168:169]
	s_clause 0x3
	buffer_load_dword v164, off, s[0:3], 0 offset:696
	buffer_load_dword v165, off, s[0:3], 0 offset:700
	buffer_load_dword v169, off, s[0:3], 0 offset:676
	buffer_load_dword v168, off, s[0:3], 0 offset:672
	ds_read_b128 v[9:12], v159 offset:1264
	s_waitcnt vmcnt(58) lgkmcnt(1)
	v_mul_f64 v[186:187], v[1:2], v[21:22]
	v_mul_f64 v[21:22], v[3:4], v[21:22]
	s_waitcnt vmcnt(56)
	v_fma_f64 v[27:28], v[5:6], v[59:60], -v[27:28]
	v_add_f64 v[15:16], v[15:16], v[19:20]
	v_fma_f64 v[19:20], v[7:8], v[59:60], v[188:189]
	v_add_f64 v[13:14], v[13:14], v[160:161]
	s_clause 0x3
	buffer_load_dword v60, off, s[0:3], 0 offset:716
	buffer_load_dword v59, off, s[0:3], 0 offset:712
	buffer_load_dword v160, off, s[0:3], 0 offset:688
	buffer_load_dword v161, off, s[0:3], 0 offset:692
	ds_read_b128 v[5:8], v159 offset:1280
	s_waitcnt vmcnt(58) lgkmcnt(1)
	v_mul_f64 v[188:189], v[9:10], v[17:18]
	v_mul_f64 v[17:18], v[11:12], v[17:18]
	s_waitcnt vmcnt(56)
	v_fma_f64 v[21:22], v[1:2], v[29:30], -v[21:22]
	v_add_f64 v[15:16], v[15:16], v[27:28]
	v_fma_f64 v[27:28], v[3:4], v[29:30], v[186:187]
	v_add_f64 v[13:14], v[13:14], v[19:20]
	s_clause 0x3
	buffer_load_dword v19, off, s[0:3], 0 offset:728
	buffer_load_dword v20, off, s[0:3], 0 offset:732
	buffer_load_dword v30, off, s[0:3], 0 offset:708
	buffer_load_dword v29, off, s[0:3], 0 offset:704
	ds_read_b128 v[1:4], v159 offset:1296
	s_waitcnt vmcnt(58) lgkmcnt(1)
	v_mul_f64 v[186:187], v[5:6], v[23:24]
	v_mul_f64 v[23:24], v[7:8], v[23:24]
	s_waitcnt vmcnt(56)
	v_fma_f64 v[17:18], v[9:10], v[67:68], -v[17:18]
	v_add_f64 v[15:16], v[15:16], v[21:22]
	v_fma_f64 v[21:22], v[11:12], v[67:68], v[188:189]
	v_add_f64 v[13:14], v[13:14], v[27:28]
	s_clause 0x3
	buffer_load_dword v28, off, s[0:3], 0 offset:748
	buffer_load_dword v27, off, s[0:3], 0 offset:744
	buffer_load_dword v67, off, s[0:3], 0 offset:720
	buffer_load_dword v68, off, s[0:3], 0 offset:724
	ds_read_b128 v[9:12], v159 offset:1312
	s_waitcnt vmcnt(58) lgkmcnt(1)
	v_mul_f64 v[188:189], v[1:2], v[25:26]
	v_mul_f64 v[25:26], v[3:4], v[25:26]
	s_waitcnt vmcnt(56)
	v_fma_f64 v[23:24], v[5:6], v[61:62], -v[23:24]
	v_add_f64 v[15:16], v[15:16], v[17:18]
	v_fma_f64 v[17:18], v[7:8], v[61:62], v[186:187]
	v_add_f64 v[13:14], v[13:14], v[21:22]
	s_clause 0x3
	buffer_load_dword v21, off, s[0:3], 0 offset:760
	buffer_load_dword v22, off, s[0:3], 0 offset:764
	buffer_load_dword v62, off, s[0:3], 0 offset:740
	buffer_load_dword v61, off, s[0:3], 0 offset:736
	ds_read_b128 v[5:8], v159 offset:1328
	s_waitcnt vmcnt(58) lgkmcnt(1)
	v_mul_f64 v[186:187], v[9:10], v[31:32]
	v_mul_f64 v[31:32], v[11:12], v[31:32]
	s_waitcnt vmcnt(56)
	v_fma_f64 v[25:26], v[1:2], v[151:152], -v[25:26]
	v_add_f64 v[15:16], v[15:16], v[23:24]
	v_fma_f64 v[23:24], v[3:4], v[151:152], v[188:189]
	v_add_f64 v[13:14], v[13:14], v[17:18]
	s_clause 0x3
	buffer_load_dword v18, off, s[0:3], 0 offset:780
	buffer_load_dword v17, off, s[0:3], 0 offset:776
	buffer_load_dword v151, off, s[0:3], 0 offset:752
	buffer_load_dword v152, off, s[0:3], 0 offset:756
	ds_read_b128 v[1:4], v159 offset:1344
	s_waitcnt vmcnt(58) lgkmcnt(1)
	v_mul_f64 v[188:189], v[5:6], v[57:58]
	v_mul_f64 v[57:58], v[7:8], v[57:58]
	s_waitcnt vmcnt(56)
	v_fma_f64 v[31:32], v[9:10], v[145:146], -v[31:32]
	v_add_f64 v[15:16], v[15:16], v[25:26]
	v_fma_f64 v[25:26], v[11:12], v[145:146], v[186:187]
	v_add_f64 v[13:14], v[13:14], v[23:24]
	s_clause 0x3
	buffer_load_dword v23, off, s[0:3], 0 offset:792
	buffer_load_dword v24, off, s[0:3], 0 offset:796
	buffer_load_dword v146, off, s[0:3], 0 offset:772
	buffer_load_dword v145, off, s[0:3], 0 offset:768
	ds_read_b128 v[9:12], v159 offset:1360
	s_waitcnt vmcnt(58) lgkmcnt(1)
	v_mul_f64 v[186:187], v[1:2], v[63:64]
	v_mul_f64 v[63:64], v[3:4], v[63:64]
	s_waitcnt vmcnt(56)
	v_fma_f64 v[57:58], v[5:6], v[157:158], -v[57:58]
	v_add_f64 v[15:16], v[15:16], v[31:32]
	v_fma_f64 v[31:32], v[7:8], v[157:158], v[188:189]
	v_add_f64 v[13:14], v[13:14], v[25:26]
	s_clause 0x3
	buffer_load_dword v26, off, s[0:3], 0 offset:812
	buffer_load_dword v25, off, s[0:3], 0 offset:808
	buffer_load_dword v157, off, s[0:3], 0 offset:784
	buffer_load_dword v158, off, s[0:3], 0 offset:788
	ds_read_b128 v[5:8], v159 offset:1376
	s_waitcnt vmcnt(58) lgkmcnt(1)
	v_mul_f64 v[188:189], v[9:10], v[65:66]
	v_mul_f64 v[65:66], v[11:12], v[65:66]
	s_waitcnt vmcnt(56)
	v_fma_f64 v[63:64], v[1:2], v[153:154], -v[63:64]
	v_add_f64 v[15:16], v[15:16], v[57:58]
	v_fma_f64 v[57:58], v[3:4], v[153:154], v[186:187]
	v_add_f64 v[13:14], v[13:14], v[31:32]
	s_clause 0x1
	buffer_load_dword v32, off, s[0:3], 0 offset:804
	buffer_load_dword v31, off, s[0:3], 0 offset:800
	ds_read_b128 v[1:4], v159 offset:1392
	s_waitcnt vmcnt(56) lgkmcnt(1)
	v_mul_f64 v[153:154], v[5:6], v[147:148]
	v_mul_f64 v[147:148], v[7:8], v[147:148]
	s_waitcnt vmcnt(54)
	v_fma_f64 v[65:66], v[9:10], v[178:179], -v[65:66]
	v_add_f64 v[15:16], v[15:16], v[63:64]
	v_fma_f64 v[63:64], v[11:12], v[178:179], v[188:189]
	v_add_f64 v[13:14], v[13:14], v[57:58]
	ds_read_b128 v[9:12], v159 offset:1408
	s_waitcnt vmcnt(52) lgkmcnt(1)
	v_mul_f64 v[57:58], v[1:2], v[149:150]
	v_mul_f64 v[149:150], v[3:4], v[149:150]
	s_waitcnt vmcnt(50)
	v_fma_f64 v[147:148], v[5:6], v[182:183], -v[147:148]
	v_add_f64 v[15:16], v[15:16], v[65:66]
	v_fma_f64 v[65:66], v[7:8], v[182:183], v[153:154]
	v_add_f64 v[13:14], v[13:14], v[63:64]
	s_clause 0x3
	buffer_load_dword v63, off, s[0:3], 0 offset:96
	buffer_load_dword v64, off, s[0:3], 0 offset:100
	;; [unrolled: 1-line block ×4, first 2 shown]
	ds_read_b128 v[5:8], v159 offset:1424
	s_waitcnt vmcnt(52) lgkmcnt(1)
	v_mul_f64 v[178:179], v[9:10], v[155:156]
	v_mul_f64 v[155:156], v[11:12], v[155:156]
	s_waitcnt vmcnt(50)
	v_fma_f64 v[149:150], v[1:2], v[180:181], -v[149:150]
	v_fma_f64 v[57:58], v[3:4], v[180:181], v[57:58]
	ds_read_b128 v[1:4], v159 offset:1440
	v_add_f64 v[15:16], v[15:16], v[147:148]
	v_add_f64 v[13:14], v[13:14], v[65:66]
	s_waitcnt vmcnt(48) lgkmcnt(1)
	v_mul_f64 v[147:148], v[7:8], v[174:175]
	v_mul_f64 v[65:66], v[5:6], v[174:175]
	s_waitcnt vmcnt(46)
	v_fma_f64 v[155:156], v[9:10], v[176:177], -v[155:156]
	v_add_f64 v[15:16], v[15:16], v[149:150]
	v_fma_f64 v[149:150], v[11:12], v[176:177], v[178:179]
	v_add_f64 v[13:14], v[13:14], v[57:58]
	ds_read_b128 v[9:12], v159 offset:1456
	s_waitcnt vmcnt(44) lgkmcnt(1)
	v_mul_f64 v[57:58], v[1:2], v[166:167]
	v_mul_f64 v[166:167], v[3:4], v[166:167]
	s_waitcnt vmcnt(42)
	v_fma_f64 v[147:148], v[5:6], v[172:173], -v[147:148]
	v_fma_f64 v[65:66], v[7:8], v[172:173], v[65:66]
	ds_read_b128 v[5:8], v159 offset:1472
	v_add_f64 v[15:16], v[15:16], v[155:156]
	v_add_f64 v[13:14], v[13:14], v[149:150]
	s_waitcnt vmcnt(40) lgkmcnt(1)
	v_mul_f64 v[155:156], v[11:12], v[170:171]
	v_mul_f64 v[149:150], v[9:10], v[170:171]
	s_waitcnt vmcnt(38)
	v_fma_f64 v[166:167], v[1:2], v[184:185], -v[166:167]
	v_fma_f64 v[57:58], v[3:4], v[184:185], v[57:58]
	ds_read_b128 v[1:4], v159 offset:1488
	v_add_f64 v[15:16], v[15:16], v[147:148]
	v_add_f64 v[13:14], v[13:14], v[65:66]
	;; [unrolled: 9-line block ×5, first 2 shown]
	s_waitcnt vmcnt(24) lgkmcnt(1)
	v_mul_f64 v[57:58], v[5:6], v[27:28]
	v_mul_f64 v[27:28], v[7:8], v[27:28]
	s_waitcnt vmcnt(22)
	v_fma_f64 v[19:20], v[9:10], v[67:68], -v[19:20]
	v_add_f64 v[15:16], v[15:16], v[59:60]
	v_fma_f64 v[59:60], v[11:12], v[67:68], v[149:150]
	v_add_f64 v[13:14], v[13:14], v[29:30]
	ds_read_b128 v[9:12], v159 offset:1552
	s_waitcnt vmcnt(20) lgkmcnt(1)
	v_mul_f64 v[29:30], v[1:2], v[21:22]
	v_mul_f64 v[21:22], v[3:4], v[21:22]
	s_waitcnt vmcnt(18)
	v_fma_f64 v[27:28], v[5:6], v[61:62], -v[27:28]
	v_add_f64 v[15:16], v[15:16], v[19:20]
	v_fma_f64 v[19:20], v[7:8], v[61:62], v[57:58]
	v_add_f64 v[13:14], v[13:14], v[59:60]
	ds_read_b128 v[5:8], v159 offset:1568
	s_waitcnt vmcnt(16) lgkmcnt(1)
	v_mul_f64 v[57:58], v[9:10], v[17:18]
	v_mul_f64 v[17:18], v[11:12], v[17:18]
	s_waitcnt vmcnt(14)
	v_fma_f64 v[21:22], v[1:2], v[151:152], -v[21:22]
	v_add_f64 v[15:16], v[15:16], v[27:28]
	v_fma_f64 v[27:28], v[3:4], v[151:152], v[29:30]
	v_add_f64 v[13:14], v[13:14], v[19:20]
	ds_read_b128 v[1:4], v159 offset:1584
	s_waitcnt vmcnt(12) lgkmcnt(1)
	v_mul_f64 v[19:20], v[5:6], v[23:24]
	v_mul_f64 v[23:24], v[7:8], v[23:24]
	s_waitcnt vmcnt(10)
	v_fma_f64 v[9:10], v[9:10], v[145:146], -v[17:18]
	v_fma_f64 v[11:12], v[11:12], v[145:146], v[57:58]
	v_add_f64 v[15:16], v[15:16], v[21:22]
	v_add_f64 v[13:14], v[13:14], v[27:28]
	s_waitcnt vmcnt(8) lgkmcnt(0)
	v_mul_f64 v[21:22], v[3:4], v[25:26]
	v_mul_f64 v[17:18], v[1:2], v[25:26]
	s_waitcnt vmcnt(6)
	v_fma_f64 v[5:6], v[5:6], v[157:158], -v[23:24]
	v_fma_f64 v[7:8], v[7:8], v[157:158], v[19:20]
	v_add_f64 v[9:10], v[15:16], v[9:10]
	v_add_f64 v[11:12], v[13:14], v[11:12]
	s_waitcnt vmcnt(4)
	v_fma_f64 v[1:2], v[1:2], v[31:32], -v[21:22]
	v_fma_f64 v[3:4], v[3:4], v[31:32], v[17:18]
	v_add_f64 v[5:6], v[9:10], v[5:6]
	v_add_f64 v[7:8], v[11:12], v[7:8]
	;; [unrolled: 1-line block ×4, first 2 shown]
	s_waitcnt vmcnt(2)
	v_add_f64 v[1:2], v[63:64], -v[1:2]
	s_waitcnt vmcnt(0)
	v_add_f64 v[3:4], v[153:154], -v[3:4]
	buffer_store_dword v2, off, s[0:3], 0 offset:100
	buffer_store_dword v1, off, s[0:3], 0 offset:96
	;; [unrolled: 1-line block ×4, first 2 shown]
	v_cmpx_lt_u32_e32 4, v0
	s_cbranch_execz .LBB49_305
; %bb.304:
	v_mov_b32_e32 v4, s58
	v_mov_b32_e32 v5, 0
	s_clause 0x3
	buffer_load_dword v1, v4, s[0:3], 0 offen
	buffer_load_dword v2, v4, s[0:3], 0 offen offset:4
	buffer_load_dword v3, v4, s[0:3], 0 offen offset:8
	;; [unrolled: 1-line block ×3, first 2 shown]
	buffer_store_dword v5, off, s[0:3], 0 offset:80
	buffer_store_dword v5, off, s[0:3], 0 offset:84
	buffer_store_dword v5, off, s[0:3], 0 offset:88
	buffer_store_dword v5, off, s[0:3], 0 offset:92
	s_waitcnt vmcnt(0)
	ds_write_b128 v163, v[1:4]
.LBB49_305:
	s_or_b32 exec_lo, exec_lo, s4
	s_waitcnt lgkmcnt(0)
	s_waitcnt_vscnt null, 0x0
	s_barrier
	buffer_gl0_inv
	s_clause 0x35
	buffer_load_dword v9, off, s[0:3], 0 offset:104
	buffer_load_dword v10, off, s[0:3], 0 offset:108
	;; [unrolled: 1-line block ×54, first 2 shown]
	v_mov_b32_e32 v164, 0
	s_mov_b32 s4, exec_lo
	ds_read_b128 v[159:162], v164 offset:880
	s_clause 0x3
	buffer_load_dword v155, off, s[0:3], 0 offset:328
	buffer_load_dword v156, off, s[0:3], 0 offset:332
	;; [unrolled: 1-line block ×4, first 2 shown]
	ds_read_b128 v[165:168], v164 offset:896
	s_clause 0x3
	buffer_load_dword v176, off, s[0:3], 0 offset:348
	buffer_load_dword v175, off, s[0:3], 0 offset:344
	;; [unrolled: 1-line block ×4, first 2 shown]
	ds_read_b128 v[169:172], v164 offset:912
	s_waitcnt vmcnt(60) lgkmcnt(2)
	v_mul_f64 v[173:174], v[161:162], v[9:10]
	v_mul_f64 v[9:10], v[159:160], v[9:10]
	s_waitcnt vmcnt(58) lgkmcnt(1)
	v_mul_f64 v[179:180], v[167:168], v[5:6]
	s_waitcnt vmcnt(54) lgkmcnt(0)
	v_mul_f64 v[185:186], v[171:172], v[3:4]
	v_mul_f64 v[183:184], v[169:170], v[3:4]
	v_fma_f64 v[159:160], v[159:160], v[7:8], -v[173:174]
	v_mul_f64 v[173:174], v[165:166], v[5:6]
	v_fma_f64 v[9:10], v[161:162], v[7:8], v[9:10]
	s_clause 0x3
	buffer_load_dword v161, off, s[0:3], 0 offset:360
	buffer_load_dword v162, off, s[0:3], 0 offset:364
	;; [unrolled: 1-line block ×4, first 2 shown]
	s_waitcnt vmcnt(56)
	v_fma_f64 v[165:166], v[165:166], v[1:2], -v[179:180]
	ds_read_b128 v[5:8], v164 offset:928
	s_waitcnt vmcnt(52)
	v_fma_f64 v[169:170], v[169:170], v[19:20], -v[185:186]
	v_fma_f64 v[19:20], v[171:172], v[19:20], v[183:184]
	v_add_f64 v[159:160], v[159:160], 0
	v_fma_f64 v[167:168], v[167:168], v[1:2], v[173:174]
	v_add_f64 v[9:10], v[9:10], 0
	s_clause 0x3
	buffer_load_dword v174, off, s[0:3], 0 offset:380
	buffer_load_dword v173, off, s[0:3], 0 offset:376
	buffer_load_dword v179, off, s[0:3], 0 offset:352
	buffer_load_dword v180, off, s[0:3], 0 offset:356
	s_waitcnt lgkmcnt(0)
	v_mul_f64 v[189:190], v[7:8], v[11:12]
	ds_read_b128 v[1:4], v164 offset:944
	v_mul_f64 v[187:188], v[5:6], v[11:12]
	v_add_f64 v[159:160], v[159:160], v[165:166]
	v_add_f64 v[165:166], v[9:10], v[167:168]
	s_clause 0x3
	buffer_load_dword v167, off, s[0:3], 0 offset:392
	buffer_load_dword v168, off, s[0:3], 0 offset:396
	;; [unrolled: 1-line block ×4, first 2 shown]
	s_waitcnt vmcnt(58) lgkmcnt(0)
	v_mul_f64 v[183:184], v[1:2], v[15:16]
	v_mul_f64 v[15:16], v[3:4], v[15:16]
	s_waitcnt vmcnt(56)
	v_fma_f64 v[185:186], v[5:6], v[13:14], -v[189:190]
	ds_read_b128 v[9:12], v164 offset:960
	v_fma_f64 v[13:14], v[7:8], v[13:14], v[187:188]
	v_add_f64 v[159:160], v[159:160], v[169:170]
	v_add_f64 v[19:20], v[165:166], v[19:20]
	s_clause 0x3
	buffer_load_dword v166, off, s[0:3], 0 offset:412
	buffer_load_dword v165, off, s[0:3], 0 offset:408
	;; [unrolled: 1-line block ×4, first 2 shown]
	ds_read_b128 v[5:8], v164 offset:976
	s_waitcnt vmcnt(58) lgkmcnt(1)
	v_mul_f64 v[187:188], v[9:10], v[17:18]
	v_mul_f64 v[17:18], v[11:12], v[17:18]
	s_waitcnt vmcnt(56)
	v_fma_f64 v[15:16], v[1:2], v[27:28], -v[15:16]
	v_fma_f64 v[27:28], v[3:4], v[27:28], v[183:184]
	v_add_f64 v[159:160], v[159:160], v[185:186]
	v_add_f64 v[13:14], v[19:20], v[13:14]
	s_clause 0x3
	buffer_load_dword v19, off, s[0:3], 0 offset:424
	buffer_load_dword v20, off, s[0:3], 0 offset:428
	;; [unrolled: 1-line block ×4, first 2 shown]
	s_waitcnt vmcnt(58) lgkmcnt(0)
	v_mul_f64 v[185:186], v[5:6], v[23:24]
	v_mul_f64 v[23:24], v[7:8], v[23:24]
	s_waitcnt vmcnt(56)
	v_fma_f64 v[17:18], v[9:10], v[21:22], -v[17:18]
	ds_read_b128 v[1:4], v164 offset:992
	v_fma_f64 v[21:22], v[11:12], v[21:22], v[187:188]
	v_add_f64 v[15:16], v[159:160], v[15:16]
	v_add_f64 v[13:14], v[13:14], v[27:28]
	s_clause 0x3
	buffer_load_dword v28, off, s[0:3], 0 offset:444
	buffer_load_dword v27, off, s[0:3], 0 offset:440
	buffer_load_dword v159, off, s[0:3], 0 offset:416
	buffer_load_dword v160, off, s[0:3], 0 offset:420
	ds_read_b128 v[9:12], v164 offset:1008
	s_waitcnt vmcnt(58) lgkmcnt(1)
	v_mul_f64 v[187:188], v[1:2], v[25:26]
	v_mul_f64 v[25:26], v[3:4], v[25:26]
	s_waitcnt vmcnt(56)
	v_fma_f64 v[23:24], v[5:6], v[59:60], -v[23:24]
	v_add_f64 v[15:16], v[15:16], v[17:18]
	v_fma_f64 v[17:18], v[7:8], v[59:60], v[185:186]
	v_add_f64 v[13:14], v[13:14], v[21:22]
	s_clause 0x3
	buffer_load_dword v21, off, s[0:3], 0 offset:456
	buffer_load_dword v22, off, s[0:3], 0 offset:460
	buffer_load_dword v60, off, s[0:3], 0 offset:436
	buffer_load_dword v59, off, s[0:3], 0 offset:432
	s_waitcnt vmcnt(58) lgkmcnt(0)
	v_mul_f64 v[185:186], v[9:10], v[31:32]
	v_mul_f64 v[31:32], v[11:12], v[31:32]
	s_waitcnt vmcnt(56)
	v_fma_f64 v[25:26], v[1:2], v[29:30], -v[25:26]
	ds_read_b128 v[5:8], v164 offset:1024
	v_add_f64 v[15:16], v[15:16], v[23:24]
	v_fma_f64 v[23:24], v[3:4], v[29:30], v[187:188]
	v_add_f64 v[13:14], v[13:14], v[17:18]
	s_clause 0x3
	buffer_load_dword v18, off, s[0:3], 0 offset:476
	buffer_load_dword v17, off, s[0:3], 0 offset:472
	buffer_load_dword v29, off, s[0:3], 0 offset:448
	buffer_load_dword v30, off, s[0:3], 0 offset:452
	ds_read_b128 v[1:4], v164 offset:1040
	s_waitcnt vmcnt(58) lgkmcnt(1)
	v_mul_f64 v[187:188], v[5:6], v[57:58]
	v_mul_f64 v[57:58], v[7:8], v[57:58]
	s_waitcnt vmcnt(56)
	v_fma_f64 v[31:32], v[9:10], v[67:68], -v[31:32]
	v_add_f64 v[15:16], v[15:16], v[25:26]
	v_fma_f64 v[25:26], v[11:12], v[67:68], v[185:186]
	v_add_f64 v[13:14], v[13:14], v[23:24]
	s_clause 0x3
	buffer_load_dword v23, off, s[0:3], 0 offset:488
	buffer_load_dword v24, off, s[0:3], 0 offset:492
	buffer_load_dword v68, off, s[0:3], 0 offset:468
	buffer_load_dword v67, off, s[0:3], 0 offset:464
	s_waitcnt vmcnt(58) lgkmcnt(0)
	v_mul_f64 v[185:186], v[1:2], v[63:64]
	v_mul_f64 v[63:64], v[3:4], v[63:64]
	s_waitcnt vmcnt(56)
	v_fma_f64 v[57:58], v[5:6], v[61:62], -v[57:58]
	ds_read_b128 v[9:12], v164 offset:1056
	v_add_f64 v[15:16], v[15:16], v[31:32]
	v_fma_f64 v[31:32], v[7:8], v[61:62], v[187:188]
	;; [unrolled: 28-line block ×4, first 2 shown]
	v_add_f64 v[13:14], v[13:14], v[65:66]
	s_clause 0x3
	buffer_load_dword v66, off, s[0:3], 0 offset:572
	buffer_load_dword v65, off, s[0:3], 0 offset:568
	buffer_load_dword v153, off, s[0:3], 0 offset:544
	buffer_load_dword v154, off, s[0:3], 0 offset:548
	ds_read_b128 v[1:4], v164 offset:1136
	s_waitcnt vmcnt(58) lgkmcnt(1)
	v_mul_f64 v[187:188], v[5:6], v[175:176]
	v_mul_f64 v[175:176], v[7:8], v[175:176]
	s_waitcnt vmcnt(56)
	v_fma_f64 v[155:156], v[9:10], v[177:178], -v[155:156]
	v_add_f64 v[15:16], v[15:16], v[149:150]
	v_fma_f64 v[149:150], v[11:12], v[177:178], v[185:186]
	v_add_f64 v[13:14], v[13:14], v[147:148]
	s_clause 0x3
	buffer_load_dword v147, off, s[0:3], 0 offset:584
	buffer_load_dword v148, off, s[0:3], 0 offset:588
	buffer_load_dword v178, off, s[0:3], 0 offset:564
	buffer_load_dword v177, off, s[0:3], 0 offset:560
	ds_read_b128 v[9:12], v164 offset:1152
	s_waitcnt vmcnt(58) lgkmcnt(1)
	v_mul_f64 v[185:186], v[1:2], v[161:162]
	v_mul_f64 v[161:162], v[3:4], v[161:162]
	s_waitcnt vmcnt(56)
	v_fma_f64 v[175:176], v[5:6], v[181:182], -v[175:176]
	v_add_f64 v[15:16], v[15:16], v[155:156]
	v_fma_f64 v[155:156], v[7:8], v[181:182], v[187:188]
	v_add_f64 v[13:14], v[13:14], v[149:150]
	s_clause 0x3
	buffer_load_dword v150, off, s[0:3], 0 offset:604
	buffer_load_dword v149, off, s[0:3], 0 offset:600
	buffer_load_dword v181, off, s[0:3], 0 offset:576
	buffer_load_dword v182, off, s[0:3], 0 offset:580
	ds_read_b128 v[5:8], v164 offset:1168
	s_waitcnt vmcnt(58) lgkmcnt(1)
	v_mul_f64 v[187:188], v[9:10], v[173:174]
	v_mul_f64 v[173:174], v[11:12], v[173:174]
	s_waitcnt vmcnt(56)
	v_fma_f64 v[161:162], v[1:2], v[179:180], -v[161:162]
	v_add_f64 v[15:16], v[15:16], v[175:176]
	v_fma_f64 v[175:176], v[3:4], v[179:180], v[185:186]
	v_add_f64 v[13:14], v[13:14], v[155:156]
	s_clause 0x3
	buffer_load_dword v155, off, s[0:3], 0 offset:616
	buffer_load_dword v156, off, s[0:3], 0 offset:620
	buffer_load_dword v180, off, s[0:3], 0 offset:596
	buffer_load_dword v179, off, s[0:3], 0 offset:592
	ds_read_b128 v[1:4], v164 offset:1184
	s_waitcnt vmcnt(58) lgkmcnt(1)
	v_mul_f64 v[185:186], v[5:6], v[167:168]
	v_mul_f64 v[167:168], v[7:8], v[167:168]
	s_waitcnt vmcnt(56)
	v_fma_f64 v[173:174], v[9:10], v[171:172], -v[173:174]
	v_add_f64 v[15:16], v[15:16], v[161:162]
	v_fma_f64 v[161:162], v[11:12], v[171:172], v[187:188]
	v_add_f64 v[13:14], v[13:14], v[175:176]
	s_clause 0x3
	buffer_load_dword v172, off, s[0:3], 0 offset:636
	buffer_load_dword v171, off, s[0:3], 0 offset:632
	;; [unrolled: 1-line block ×4, first 2 shown]
	ds_read_b128 v[9:12], v164 offset:1200
	s_waitcnt vmcnt(58) lgkmcnt(1)
	v_mul_f64 v[187:188], v[1:2], v[165:166]
	v_mul_f64 v[165:166], v[3:4], v[165:166]
	s_waitcnt vmcnt(56)
	v_fma_f64 v[167:168], v[5:6], v[169:170], -v[167:168]
	v_fma_f64 v[169:170], v[7:8], v[169:170], v[185:186]
	v_add_f64 v[15:16], v[15:16], v[173:174]
	v_add_f64 v[13:14], v[13:14], v[161:162]
	s_clause 0x3
	buffer_load_dword v161, off, s[0:3], 0 offset:648
	buffer_load_dword v162, off, s[0:3], 0 offset:652
	;; [unrolled: 1-line block ×4, first 2 shown]
	ds_read_b128 v[5:8], v164 offset:1216
	s_waitcnt vmcnt(58) lgkmcnt(1)
	v_mul_f64 v[185:186], v[9:10], v[19:20]
	v_mul_f64 v[19:20], v[11:12], v[19:20]
	s_waitcnt vmcnt(56)
	v_fma_f64 v[165:166], v[1:2], v[183:184], -v[165:166]
	v_add_f64 v[15:16], v[15:16], v[167:168]
	v_fma_f64 v[167:168], v[3:4], v[183:184], v[187:188]
	v_add_f64 v[13:14], v[13:14], v[169:170]
	s_clause 0x3
	buffer_load_dword v170, off, s[0:3], 0 offset:668
	buffer_load_dword v169, off, s[0:3], 0 offset:664
	buffer_load_dword v183, off, s[0:3], 0 offset:640
	buffer_load_dword v184, off, s[0:3], 0 offset:644
	ds_read_b128 v[1:4], v164 offset:1232
	s_waitcnt vmcnt(58) lgkmcnt(1)
	v_mul_f64 v[187:188], v[5:6], v[27:28]
	v_mul_f64 v[27:28], v[7:8], v[27:28]
	s_waitcnt vmcnt(56)
	v_fma_f64 v[19:20], v[9:10], v[159:160], -v[19:20]
	v_fma_f64 v[159:160], v[11:12], v[159:160], v[185:186]
	v_add_f64 v[15:16], v[15:16], v[165:166]
	v_add_f64 v[13:14], v[13:14], v[167:168]
	s_clause 0x3
	buffer_load_dword v165, off, s[0:3], 0 offset:680
	buffer_load_dword v166, off, s[0:3], 0 offset:684
	buffer_load_dword v168, off, s[0:3], 0 offset:660
	buffer_load_dword v167, off, s[0:3], 0 offset:656
	ds_read_b128 v[9:12], v164 offset:1248
	s_waitcnt vmcnt(58) lgkmcnt(1)
	v_mul_f64 v[185:186], v[1:2], v[21:22]
	v_mul_f64 v[21:22], v[3:4], v[21:22]
	s_waitcnt vmcnt(56)
	v_fma_f64 v[27:28], v[5:6], v[59:60], -v[27:28]
	v_add_f64 v[15:16], v[15:16], v[19:20]
	v_fma_f64 v[19:20], v[7:8], v[59:60], v[187:188]
	v_add_f64 v[13:14], v[13:14], v[159:160]
	s_clause 0x3
	buffer_load_dword v60, off, s[0:3], 0 offset:700
	buffer_load_dword v59, off, s[0:3], 0 offset:696
	buffer_load_dword v159, off, s[0:3], 0 offset:672
	buffer_load_dword v160, off, s[0:3], 0 offset:676
	ds_read_b128 v[5:8], v164 offset:1264
	s_waitcnt vmcnt(58) lgkmcnt(1)
	v_mul_f64 v[187:188], v[9:10], v[17:18]
	v_mul_f64 v[17:18], v[11:12], v[17:18]
	s_waitcnt vmcnt(56)
	v_fma_f64 v[21:22], v[1:2], v[29:30], -v[21:22]
	v_add_f64 v[15:16], v[15:16], v[27:28]
	v_fma_f64 v[27:28], v[3:4], v[29:30], v[185:186]
	;; [unrolled: 14-line block ×9, first 2 shown]
	v_add_f64 v[13:14], v[13:14], v[57:58]
	s_clause 0x1
	buffer_load_dword v57, off, s[0:3], 0 offset:800
	buffer_load_dword v58, off, s[0:3], 0 offset:804
	ds_read_b128 v[9:12], v164 offset:1392
	s_waitcnt vmcnt(56) lgkmcnt(1)
	v_mul_f64 v[177:178], v[1:2], v[149:150]
	v_mul_f64 v[149:150], v[3:4], v[149:150]
	s_waitcnt vmcnt(54)
	v_fma_f64 v[147:148], v[5:6], v[181:182], -v[147:148]
	v_add_f64 v[15:16], v[15:16], v[65:66]
	v_fma_f64 v[65:66], v[7:8], v[181:182], v[185:186]
	v_add_f64 v[13:14], v[13:14], v[63:64]
	ds_read_b128 v[5:8], v164 offset:1408
	s_waitcnt vmcnt(52) lgkmcnt(1)
	v_mul_f64 v[63:64], v[9:10], v[155:156]
	v_mul_f64 v[155:156], v[11:12], v[155:156]
	s_waitcnt vmcnt(50)
	v_fma_f64 v[149:150], v[1:2], v[179:180], -v[149:150]
	v_add_f64 v[15:16], v[15:16], v[147:148]
	v_fma_f64 v[147:148], v[3:4], v[179:180], v[177:178]
	v_add_f64 v[13:14], v[13:14], v[65:66]
	s_clause 0x3
	buffer_load_dword v65, off, s[0:3], 0 offset:80
	buffer_load_dword v66, off, s[0:3], 0 offset:84
	;; [unrolled: 1-line block ×4, first 2 shown]
	ds_read_b128 v[1:4], v164 offset:1424
	s_waitcnt vmcnt(52) lgkmcnt(1)
	v_mul_f64 v[179:180], v[5:6], v[171:172]
	v_mul_f64 v[171:172], v[7:8], v[171:172]
	s_waitcnt vmcnt(50)
	v_fma_f64 v[155:156], v[9:10], v[175:176], -v[155:156]
	v_fma_f64 v[63:64], v[11:12], v[175:176], v[63:64]
	ds_read_b128 v[9:12], v164 offset:1440
	v_add_f64 v[15:16], v[15:16], v[149:150]
	v_add_f64 v[13:14], v[13:14], v[147:148]
	s_waitcnt vmcnt(48) lgkmcnt(1)
	v_mul_f64 v[147:148], v[1:2], v[161:162]
	v_mul_f64 v[149:150], v[3:4], v[161:162]
	s_waitcnt vmcnt(46)
	v_fma_f64 v[161:162], v[5:6], v[173:174], -v[171:172]
	v_add_f64 v[15:16], v[15:16], v[155:156]
	v_fma_f64 v[155:156], v[7:8], v[173:174], v[179:180]
	v_add_f64 v[13:14], v[13:14], v[63:64]
	ds_read_b128 v[5:8], v164 offset:1456
	s_waitcnt vmcnt(44) lgkmcnt(1)
	v_mul_f64 v[63:64], v[9:10], v[169:170]
	v_mul_f64 v[169:170], v[11:12], v[169:170]
	s_waitcnt vmcnt(42)
	v_fma_f64 v[149:150], v[1:2], v[183:184], -v[149:150]
	v_fma_f64 v[147:148], v[3:4], v[183:184], v[147:148]
	ds_read_b128 v[1:4], v164 offset:1472
	v_add_f64 v[15:16], v[15:16], v[161:162]
	v_add_f64 v[13:14], v[13:14], v[155:156]
	s_waitcnt vmcnt(40) lgkmcnt(1)
	v_mul_f64 v[155:156], v[5:6], v[165:166]
	v_mul_f64 v[161:162], v[7:8], v[165:166]
	s_waitcnt vmcnt(38)
	v_fma_f64 v[165:166], v[9:10], v[167:168], -v[169:170]
	v_fma_f64 v[63:64], v[11:12], v[167:168], v[63:64]
	ds_read_b128 v[9:12], v164 offset:1488
	v_add_f64 v[15:16], v[15:16], v[149:150]
	v_add_f64 v[13:14], v[13:14], v[147:148]
	;; [unrolled: 9-line block ×4, first 2 shown]
	s_waitcnt vmcnt(28) lgkmcnt(1)
	v_mul_f64 v[147:148], v[5:6], v[27:28]
	v_mul_f64 v[27:28], v[7:8], v[27:28]
	s_waitcnt vmcnt(26)
	v_fma_f64 v[19:20], v[9:10], v[67:68], -v[19:20]
	v_add_f64 v[15:16], v[15:16], v[59:60]
	v_fma_f64 v[59:60], v[11:12], v[67:68], v[63:64]
	v_add_f64 v[13:14], v[13:14], v[29:30]
	ds_read_b128 v[9:12], v164 offset:1536
	s_waitcnt vmcnt(24) lgkmcnt(1)
	v_mul_f64 v[29:30], v[1:2], v[21:22]
	v_mul_f64 v[21:22], v[3:4], v[21:22]
	s_waitcnt vmcnt(22)
	v_fma_f64 v[27:28], v[5:6], v[61:62], -v[27:28]
	v_add_f64 v[15:16], v[15:16], v[19:20]
	v_fma_f64 v[19:20], v[7:8], v[61:62], v[147:148]
	v_add_f64 v[13:14], v[13:14], v[59:60]
	ds_read_b128 v[5:8], v164 offset:1552
	;; [unrolled: 9-line block ×4, first 2 shown]
	s_waitcnt vmcnt(12) lgkmcnt(1)
	v_mul_f64 v[27:28], v[1:2], v[25:26]
	v_mul_f64 v[25:26], v[3:4], v[25:26]
	s_waitcnt vmcnt(10)
	v_fma_f64 v[5:6], v[5:6], v[157:158], -v[23:24]
	v_fma_f64 v[7:8], v[7:8], v[157:158], v[19:20]
	v_add_f64 v[15:16], v[15:16], v[17:18]
	v_add_f64 v[13:14], v[13:14], v[21:22]
	s_waitcnt vmcnt(8) lgkmcnt(0)
	v_mul_f64 v[19:20], v[11:12], v[31:32]
	v_mul_f64 v[17:18], v[9:10], v[31:32]
	s_waitcnt vmcnt(6)
	v_fma_f64 v[1:2], v[1:2], v[153:154], -v[25:26]
	v_fma_f64 v[3:4], v[3:4], v[153:154], v[27:28]
	v_add_f64 v[5:6], v[15:16], v[5:6]
	v_add_f64 v[7:8], v[13:14], v[7:8]
	s_waitcnt vmcnt(4)
	v_fma_f64 v[9:10], v[9:10], v[57:58], -v[19:20]
	v_add_f64 v[1:2], v[5:6], v[1:2]
	v_fma_f64 v[5:6], v[11:12], v[57:58], v[17:18]
	v_add_f64 v[3:4], v[7:8], v[3:4]
	v_add_f64 v[1:2], v[1:2], v[9:10]
	;; [unrolled: 1-line block ×3, first 2 shown]
	s_waitcnt vmcnt(2)
	v_add_f64 v[1:2], v[65:66], -v[1:2]
	s_waitcnt vmcnt(0)
	v_add_f64 v[3:4], v[177:178], -v[3:4]
	buffer_store_dword v2, off, s[0:3], 0 offset:84
	buffer_store_dword v1, off, s[0:3], 0 offset:80
	;; [unrolled: 1-line block ×4, first 2 shown]
	v_cmpx_lt_u32_e32 3, v0
	s_cbranch_execz .LBB49_307
; %bb.306:
	v_mov_b32_e32 v4, s59
	s_clause 0x3
	buffer_load_dword v1, v4, s[0:3], 0 offen
	buffer_load_dword v2, v4, s[0:3], 0 offen offset:4
	buffer_load_dword v3, v4, s[0:3], 0 offen offset:8
	;; [unrolled: 1-line block ×3, first 2 shown]
	buffer_store_dword v164, off, s[0:3], 0 offset:64
	buffer_store_dword v164, off, s[0:3], 0 offset:68
	;; [unrolled: 1-line block ×4, first 2 shown]
	s_waitcnt vmcnt(0)
	ds_write_b128 v163, v[1:4]
.LBB49_307:
	s_or_b32 exec_lo, exec_lo, s4
	s_waitcnt lgkmcnt(0)
	s_waitcnt_vscnt null, 0x0
	s_barrier
	buffer_gl0_inv
	s_clause 0x35
	buffer_load_dword v13, off, s[0:3], 0 offset:88
	buffer_load_dword v14, off, s[0:3], 0 offset:92
	;; [unrolled: 1-line block ×54, first 2 shown]
	ds_read_b128 v[1:4], v164 offset:864
	s_clause 0x3
	buffer_load_dword v159, off, s[0:3], 0 offset:312
	buffer_load_dword v160, off, s[0:3], 0 offset:316
	;; [unrolled: 1-line block ×4, first 2 shown]
	ds_read_b128 v[165:168], v164 offset:880
	s_clause 0x3
	buffer_load_dword v176, off, s[0:3], 0 offset:332
	buffer_load_dword v175, off, s[0:3], 0 offset:328
	;; [unrolled: 1-line block ×4, first 2 shown]
	ds_read_b128 v[169:172], v164 offset:896
	s_mov_b32 s4, exec_lo
	s_waitcnt vmcnt(60) lgkmcnt(2)
	v_mul_f64 v[173:174], v[3:4], v[13:14]
	v_mul_f64 v[13:14], v[1:2], v[13:14]
	s_waitcnt vmcnt(58) lgkmcnt(1)
	v_mul_f64 v[179:180], v[167:168], v[9:10]
	v_mul_f64 v[9:10], v[165:166], v[9:10]
	;; [unrolled: 3-line block ×3, first 2 shown]
	v_fma_f64 v[173:174], v[1:2], v[11:12], -v[173:174]
	v_fma_f64 v[11:12], v[3:4], v[11:12], v[13:14]
	s_clause 0x3
	buffer_load_dword v13, off, s[0:3], 0 offset:344
	buffer_load_dword v14, off, s[0:3], 0 offset:348
	;; [unrolled: 1-line block ×4, first 2 shown]
	s_waitcnt vmcnt(56)
	v_fma_f64 v[165:166], v[165:166], v[5:6], -v[179:180]
	ds_read_b128 v[1:4], v164 offset:912
	v_fma_f64 v[9:10], v[167:168], v[5:6], v[9:10]
	s_clause 0x3
	buffer_load_dword v168, off, s[0:3], 0 offset:364
	buffer_load_dword v167, off, s[0:3], 0 offset:360
	;; [unrolled: 1-line block ×4, first 2 shown]
	s_waitcnt vmcnt(56)
	v_fma_f64 v[169:170], v[169:170], v[23:24], -v[185:186]
	ds_read_b128 v[5:8], v164 offset:928
	v_fma_f64 v[23:24], v[171:172], v[23:24], v[183:184]
	v_add_f64 v[173:174], v[173:174], 0
	v_add_f64 v[11:12], v[11:12], 0
	s_waitcnt lgkmcnt(1)
	v_mul_f64 v[187:188], v[1:2], v[15:16]
	v_mul_f64 v[15:16], v[3:4], v[15:16]
	s_waitcnt vmcnt(54) lgkmcnt(0)
	v_mul_f64 v[185:186], v[5:6], v[19:20]
	v_mul_f64 v[19:20], v[7:8], v[19:20]
	v_add_f64 v[165:166], v[173:174], v[165:166]
	v_add_f64 v[171:172], v[11:12], v[9:10]
	s_clause 0x3
	buffer_load_dword v173, off, s[0:3], 0 offset:376
	buffer_load_dword v174, off, s[0:3], 0 offset:380
	;; [unrolled: 1-line block ×4, first 2 shown]
	s_waitcnt vmcnt(56)
	v_fma_f64 v[15:16], v[1:2], v[17:18], -v[15:16]
	ds_read_b128 v[9:12], v164 offset:944
	v_fma_f64 v[17:18], v[3:4], v[17:18], v[187:188]
	s_waitcnt vmcnt(52)
	v_fma_f64 v[19:20], v[5:6], v[31:32], -v[19:20]
	v_fma_f64 v[31:32], v[7:8], v[31:32], v[185:186]
	v_add_f64 v[165:166], v[165:166], v[169:170]
	v_add_f64 v[23:24], v[171:172], v[23:24]
	s_clause 0x3
	buffer_load_dword v170, off, s[0:3], 0 offset:396
	buffer_load_dword v169, off, s[0:3], 0 offset:392
	;; [unrolled: 1-line block ×4, first 2 shown]
	s_waitcnt lgkmcnt(0)
	v_mul_f64 v[187:188], v[9:10], v[21:22]
	v_mul_f64 v[21:22], v[11:12], v[21:22]
	ds_read_b128 v[1:4], v164 offset:960
	v_add_f64 v[15:16], v[165:166], v[15:16]
	v_add_f64 v[17:18], v[23:24], v[17:18]
	s_clause 0x3
	buffer_load_dword v23, off, s[0:3], 0 offset:408
	buffer_load_dword v24, off, s[0:3], 0 offset:412
	;; [unrolled: 1-line block ×4, first 2 shown]
	s_waitcnt vmcnt(58) lgkmcnt(0)
	v_mul_f64 v[185:186], v[1:2], v[27:28]
	v_mul_f64 v[27:28], v[3:4], v[27:28]
	s_waitcnt vmcnt(56)
	v_fma_f64 v[21:22], v[9:10], v[25:26], -v[21:22]
	ds_read_b128 v[5:8], v164 offset:976
	v_add_f64 v[15:16], v[15:16], v[19:20]
	v_fma_f64 v[19:20], v[11:12], v[25:26], v[187:188]
	v_add_f64 v[17:18], v[17:18], v[31:32]
	s_clause 0x3
	buffer_load_dword v26, off, s[0:3], 0 offset:428
	buffer_load_dword v25, off, s[0:3], 0 offset:424
	buffer_load_dword v31, off, s[0:3], 0 offset:400
	buffer_load_dword v32, off, s[0:3], 0 offset:404
	s_waitcnt vmcnt(58) lgkmcnt(0)
	v_mul_f64 v[187:188], v[5:6], v[29:30]
	v_mul_f64 v[29:30], v[7:8], v[29:30]
	s_waitcnt vmcnt(56)
	v_fma_f64 v[27:28], v[1:2], v[63:64], -v[27:28]
	ds_read_b128 v[9:12], v164 offset:992
	v_add_f64 v[15:16], v[15:16], v[21:22]
	v_fma_f64 v[21:22], v[3:4], v[63:64], v[185:186]
	v_add_f64 v[17:18], v[17:18], v[19:20]
	s_clause 0x3
	buffer_load_dword v19, off, s[0:3], 0 offset:440
	buffer_load_dword v20, off, s[0:3], 0 offset:444
	buffer_load_dword v64, off, s[0:3], 0 offset:420
	buffer_load_dword v63, off, s[0:3], 0 offset:416
	ds_read_b128 v[1:4], v164 offset:1008
	s_waitcnt vmcnt(58) lgkmcnt(1)
	v_mul_f64 v[185:186], v[9:10], v[59:60]
	v_mul_f64 v[59:60], v[11:12], v[59:60]
	s_waitcnt vmcnt(56)
	v_fma_f64 v[29:30], v[5:6], v[57:58], -v[29:30]
	v_add_f64 v[15:16], v[15:16], v[27:28]
	v_fma_f64 v[27:28], v[7:8], v[57:58], v[187:188]
	v_add_f64 v[17:18], v[17:18], v[21:22]
	s_clause 0x3
	buffer_load_dword v22, off, s[0:3], 0 offset:460
	buffer_load_dword v21, off, s[0:3], 0 offset:456
	buffer_load_dword v57, off, s[0:3], 0 offset:432
	buffer_load_dword v58, off, s[0:3], 0 offset:436
	s_waitcnt vmcnt(58) lgkmcnt(0)
	v_mul_f64 v[187:188], v[1:2], v[61:62]
	v_mul_f64 v[61:62], v[3:4], v[61:62]
	s_waitcnt vmcnt(56)
	v_fma_f64 v[59:60], v[9:10], v[147:148], -v[59:60]
	ds_read_b128 v[5:8], v164 offset:1024
	v_add_f64 v[15:16], v[15:16], v[29:30]
	v_fma_f64 v[29:30], v[11:12], v[147:148], v[185:186]
	v_add_f64 v[17:18], v[17:18], v[27:28]
	s_clause 0x3
	buffer_load_dword v27, off, s[0:3], 0 offset:472
	buffer_load_dword v28, off, s[0:3], 0 offset:476
	buffer_load_dword v148, off, s[0:3], 0 offset:452
	buffer_load_dword v147, off, s[0:3], 0 offset:448
	ds_read_b128 v[9:12], v164 offset:1040
	s_waitcnt vmcnt(58) lgkmcnt(1)
	v_mul_f64 v[185:186], v[5:6], v[67:68]
	v_mul_f64 v[67:68], v[7:8], v[67:68]
	s_waitcnt vmcnt(56)
	v_fma_f64 v[61:62], v[1:2], v[65:66], -v[61:62]
	;; [unrolled: 28-line block ×5, first 2 shown]
	v_add_f64 v[15:16], v[15:16], v[159:160]
	v_fma_f64 v[159:160], v[3:4], v[181:182], v[187:188]
	v_add_f64 v[17:18], v[17:18], v[153:154]
	s_clause 0x3
	buffer_load_dword v154, off, s[0:3], 0 offset:588
	buffer_load_dword v153, off, s[0:3], 0 offset:584
	;; [unrolled: 1-line block ×4, first 2 shown]
	s_waitcnt vmcnt(58) lgkmcnt(0)
	v_mul_f64 v[187:188], v[9:10], v[167:168]
	v_mul_f64 v[167:168], v[11:12], v[167:168]
	ds_read_b128 v[1:4], v164 offset:1152
	s_waitcnt vmcnt(56)
	v_fma_f64 v[13:14], v[5:6], v[179:180], -v[13:14]
	v_add_f64 v[15:16], v[15:16], v[175:176]
	v_fma_f64 v[175:176], v[7:8], v[179:180], v[185:186]
	v_add_f64 v[17:18], v[17:18], v[159:160]
	s_clause 0x3
	buffer_load_dword v159, off, s[0:3], 0 offset:600
	buffer_load_dword v160, off, s[0:3], 0 offset:604
	buffer_load_dword v180, off, s[0:3], 0 offset:580
	buffer_load_dword v179, off, s[0:3], 0 offset:576
	ds_read_b128 v[5:8], v164 offset:1168
	s_waitcnt vmcnt(58) lgkmcnt(1)
	v_mul_f64 v[185:186], v[1:2], v[173:174]
	v_mul_f64 v[173:174], v[3:4], v[173:174]
	s_waitcnt vmcnt(56)
	v_fma_f64 v[167:168], v[9:10], v[183:184], -v[167:168]
	v_add_f64 v[13:14], v[15:16], v[13:14]
	v_fma_f64 v[15:16], v[11:12], v[183:184], v[187:188]
	v_add_f64 v[17:18], v[17:18], v[175:176]
	s_clause 0x3
	buffer_load_dword v176, off, s[0:3], 0 offset:620
	buffer_load_dword v175, off, s[0:3], 0 offset:616
	buffer_load_dword v183, off, s[0:3], 0 offset:592
	buffer_load_dword v184, off, s[0:3], 0 offset:596
	ds_read_b128 v[9:12], v164 offset:1184
	s_waitcnt vmcnt(58) lgkmcnt(1)
	v_mul_f64 v[187:188], v[5:6], v[169:170]
	v_mul_f64 v[169:170], v[7:8], v[169:170]
	;; [unrolled: 14-line block ×3, first 2 shown]
	s_waitcnt vmcnt(56)
	v_fma_f64 v[169:170], v[5:6], v[165:166], -v[169:170]
	v_fma_f64 v[165:166], v[7:8], v[165:166], v[187:188]
	v_add_f64 v[13:14], v[13:14], v[173:174]
	v_add_f64 v[15:16], v[15:16], v[167:168]
	s_clause 0x3
	buffer_load_dword v168, off, s[0:3], 0 offset:652
	buffer_load_dword v167, off, s[0:3], 0 offset:648
	;; [unrolled: 1-line block ×4, first 2 shown]
	ds_read_b128 v[5:8], v164 offset:1216
	s_waitcnt vmcnt(58) lgkmcnt(1)
	v_mul_f64 v[187:188], v[1:2], v[25:26]
	v_mul_f64 v[25:26], v[3:4], v[25:26]
	s_waitcnt vmcnt(56)
	v_fma_f64 v[23:24], v[9:10], v[31:32], -v[23:24]
	v_fma_f64 v[31:32], v[11:12], v[31:32], v[185:186]
	v_add_f64 v[13:14], v[13:14], v[169:170]
	v_add_f64 v[15:16], v[15:16], v[165:166]
	s_clause 0x3
	buffer_load_dword v165, off, s[0:3], 0 offset:664
	buffer_load_dword v166, off, s[0:3], 0 offset:668
	buffer_load_dword v170, off, s[0:3], 0 offset:644
	buffer_load_dword v169, off, s[0:3], 0 offset:640
	ds_read_b128 v[9:12], v164 offset:1232
	s_waitcnt vmcnt(58) lgkmcnt(1)
	v_mul_f64 v[185:186], v[5:6], v[19:20]
	v_mul_f64 v[19:20], v[7:8], v[19:20]
	s_waitcnt vmcnt(56)
	v_fma_f64 v[25:26], v[1:2], v[63:64], -v[25:26]
	v_add_f64 v[13:14], v[13:14], v[23:24]
	v_fma_f64 v[23:24], v[3:4], v[63:64], v[187:188]
	v_add_f64 v[15:16], v[15:16], v[31:32]
	s_clause 0x3
	buffer_load_dword v32, off, s[0:3], 0 offset:684
	buffer_load_dword v31, off, s[0:3], 0 offset:680
	buffer_load_dword v63, off, s[0:3], 0 offset:656
	buffer_load_dword v64, off, s[0:3], 0 offset:660
	ds_read_b128 v[1:4], v164 offset:1248
	s_waitcnt vmcnt(58) lgkmcnt(1)
	v_mul_f64 v[187:188], v[9:10], v[21:22]
	v_mul_f64 v[21:22], v[11:12], v[21:22]
	s_waitcnt vmcnt(56)
	v_fma_f64 v[19:20], v[5:6], v[57:58], -v[19:20]
	v_add_f64 v[13:14], v[13:14], v[25:26]
	v_fma_f64 v[25:26], v[7:8], v[57:58], v[185:186]
	;; [unrolled: 14-line block ×10, first 2 shown]
	v_add_f64 v[15:16], v[15:16], v[67:68]
	s_clause 0x1
	buffer_load_dword v68, off, s[0:3], 0 offset:804
	buffer_load_dword v67, off, s[0:3], 0 offset:800
	ds_read_b128 v[1:4], v164 offset:1392
	s_waitcnt vmcnt(56) lgkmcnt(1)
	v_mul_f64 v[181:182], v[9:10], v[159:160]
	v_mul_f64 v[159:160], v[11:12], v[159:160]
	s_waitcnt vmcnt(54)
	v_fma_f64 v[153:154], v[5:6], v[179:180], -v[153:154]
	v_add_f64 v[13:14], v[13:14], v[151:152]
	v_fma_f64 v[151:152], v[7:8], v[179:180], v[187:188]
	v_add_f64 v[15:16], v[15:16], v[145:146]
	ds_read_b128 v[5:8], v164 offset:1408
	s_waitcnt vmcnt(52) lgkmcnt(1)
	v_mul_f64 v[145:146], v[1:2], v[175:176]
	v_mul_f64 v[175:176], v[3:4], v[175:176]
	s_waitcnt vmcnt(50)
	v_fma_f64 v[159:160], v[9:10], v[183:184], -v[159:160]
	v_add_f64 v[13:14], v[13:14], v[153:154]
	v_fma_f64 v[153:154], v[11:12], v[183:184], v[181:182]
	v_add_f64 v[15:16], v[15:16], v[151:152]
	s_clause 0x3
	buffer_load_dword v151, off, s[0:3], 0 offset:64
	buffer_load_dword v152, off, s[0:3], 0 offset:68
	;; [unrolled: 1-line block ×4, first 2 shown]
	ds_read_b128 v[9:12], v164 offset:1424
	s_waitcnt vmcnt(52) lgkmcnt(1)
	v_mul_f64 v[181:182], v[5:6], v[17:18]
	v_mul_f64 v[17:18], v[7:8], v[17:18]
	s_waitcnt vmcnt(50)
	v_fma_f64 v[175:176], v[1:2], v[171:172], -v[175:176]
	v_fma_f64 v[145:146], v[3:4], v[171:172], v[145:146]
	ds_read_b128 v[1:4], v164 offset:1440
	v_add_f64 v[13:14], v[13:14], v[159:160]
	v_add_f64 v[15:16], v[15:16], v[153:154]
	s_waitcnt vmcnt(48) lgkmcnt(1)
	v_mul_f64 v[159:160], v[11:12], v[167:168]
	v_mul_f64 v[153:154], v[9:10], v[167:168]
	s_waitcnt vmcnt(46)
	v_fma_f64 v[17:18], v[5:6], v[173:174], -v[17:18]
	v_fma_f64 v[167:168], v[7:8], v[173:174], v[181:182]
	ds_read_b128 v[5:8], v164 offset:1456
	v_add_f64 v[13:14], v[13:14], v[175:176]
	v_add_f64 v[15:16], v[15:16], v[145:146]
	s_waitcnt vmcnt(44) lgkmcnt(1)
	v_mul_f64 v[145:146], v[1:2], v[165:166]
	v_mul_f64 v[165:166], v[3:4], v[165:166]
	s_waitcnt vmcnt(42)
	v_fma_f64 v[159:160], v[9:10], v[169:170], -v[159:160]
	v_add_f64 v[13:14], v[13:14], v[17:18]
	v_fma_f64 v[17:18], v[11:12], v[169:170], v[153:154]
	v_add_f64 v[15:16], v[15:16], v[167:168]
	ds_read_b128 v[9:12], v164 offset:1472
	s_waitcnt vmcnt(40) lgkmcnt(1)
	v_mul_f64 v[153:154], v[5:6], v[31:32]
	v_mul_f64 v[31:32], v[7:8], v[31:32]
	s_waitcnt vmcnt(38)
	v_fma_f64 v[165:166], v[1:2], v[63:64], -v[165:166]
	v_fma_f64 v[63:64], v[3:4], v[63:64], v[145:146]
	ds_read_b128 v[1:4], v164 offset:1488
	v_add_f64 v[13:14], v[13:14], v[159:160]
	v_add_f64 v[15:16], v[15:16], v[17:18]
	s_waitcnt vmcnt(36) lgkmcnt(1)
	v_mul_f64 v[17:18], v[9:10], v[23:24]
	v_mul_f64 v[23:24], v[11:12], v[23:24]
	s_waitcnt vmcnt(34)
	v_fma_f64 v[31:32], v[5:6], v[57:58], -v[31:32]
	v_fma_f64 v[57:58], v[7:8], v[57:58], v[153:154]
	ds_read_b128 v[5:8], v164 offset:1504
	v_add_f64 v[13:14], v[13:14], v[165:166]
	v_add_f64 v[15:16], v[15:16], v[63:64]
	;; [unrolled: 9-line block ×3, first 2 shown]
	s_waitcnt vmcnt(28) lgkmcnt(1)
	v_mul_f64 v[31:32], v[5:6], v[19:20]
	v_mul_f64 v[19:20], v[7:8], v[19:20]
	s_waitcnt vmcnt(26)
	v_fma_f64 v[25:26], v[1:2], v[65:66], -v[25:26]
	v_add_f64 v[13:14], v[13:14], v[23:24]
	v_fma_f64 v[23:24], v[3:4], v[65:66], v[63:64]
	v_add_f64 v[15:16], v[15:16], v[17:18]
	ds_read_b128 v[1:4], v164 offset:1536
	s_waitcnt vmcnt(24) lgkmcnt(1)
	v_mul_f64 v[17:18], v[9:10], v[21:22]
	v_mul_f64 v[21:22], v[11:12], v[21:22]
	s_waitcnt vmcnt(22)
	v_fma_f64 v[19:20], v[5:6], v[155:156], -v[19:20]
	v_add_f64 v[13:14], v[13:14], v[25:26]
	v_fma_f64 v[25:26], v[7:8], v[155:156], v[31:32]
	v_add_f64 v[15:16], v[15:16], v[23:24]
	ds_read_b128 v[5:8], v164 offset:1552
	s_waitcnt vmcnt(20) lgkmcnt(1)
	v_mul_f64 v[23:24], v[1:2], v[27:28]
	v_mul_f64 v[27:28], v[3:4], v[27:28]
	s_waitcnt vmcnt(18)
	v_fma_f64 v[21:22], v[9:10], v[149:150], -v[21:22]
	v_fma_f64 v[17:18], v[11:12], v[149:150], v[17:18]
	ds_read_b128 v[9:12], v164 offset:1568
	v_add_f64 v[13:14], v[13:14], v[19:20]
	v_add_f64 v[15:16], v[15:16], v[25:26]
	s_waitcnt vmcnt(16) lgkmcnt(1)
	v_mul_f64 v[25:26], v[7:8], v[29:30]
	v_mul_f64 v[19:20], v[5:6], v[29:30]
	s_waitcnt vmcnt(14)
	v_fma_f64 v[27:28], v[1:2], v[161:162], -v[27:28]
	v_add_f64 v[13:14], v[13:14], v[21:22]
	v_fma_f64 v[21:22], v[3:4], v[161:162], v[23:24]
	v_add_f64 v[15:16], v[15:16], v[17:18]
	ds_read_b128 v[1:4], v164 offset:1584
	s_waitcnt vmcnt(12) lgkmcnt(1)
	v_mul_f64 v[23:24], v[11:12], v[59:60]
	v_mul_f64 v[17:18], v[9:10], v[59:60]
	s_waitcnt vmcnt(10)
	v_fma_f64 v[5:6], v[5:6], v[157:158], -v[25:26]
	v_fma_f64 v[7:8], v[7:8], v[157:158], v[19:20]
	v_add_f64 v[13:14], v[13:14], v[27:28]
	v_add_f64 v[15:16], v[15:16], v[21:22]
	s_waitcnt vmcnt(8) lgkmcnt(0)
	v_mul_f64 v[21:22], v[3:4], v[61:62]
	v_mul_f64 v[19:20], v[1:2], v[61:62]
	s_waitcnt vmcnt(6)
	v_fma_f64 v[9:10], v[9:10], v[177:178], -v[23:24]
	v_fma_f64 v[11:12], v[11:12], v[177:178], v[17:18]
	v_add_f64 v[5:6], v[13:14], v[5:6]
	v_add_f64 v[7:8], v[15:16], v[7:8]
	s_waitcnt vmcnt(4)
	v_fma_f64 v[1:2], v[1:2], v[67:68], -v[21:22]
	v_fma_f64 v[3:4], v[3:4], v[67:68], v[19:20]
	v_add_f64 v[5:6], v[5:6], v[9:10]
	v_add_f64 v[7:8], v[7:8], v[11:12]
	;; [unrolled: 1-line block ×4, first 2 shown]
	s_waitcnt vmcnt(2)
	v_add_f64 v[1:2], v[151:152], -v[1:2]
	s_waitcnt vmcnt(0)
	v_add_f64 v[3:4], v[179:180], -v[3:4]
	buffer_store_dword v2, off, s[0:3], 0 offset:68
	buffer_store_dword v1, off, s[0:3], 0 offset:64
	;; [unrolled: 1-line block ×4, first 2 shown]
	v_cmpx_lt_u32_e32 2, v0
	s_cbranch_execz .LBB49_309
; %bb.308:
	v_mov_b32_e32 v4, s60
	v_mov_b32_e32 v5, 0
	s_clause 0x3
	buffer_load_dword v1, v4, s[0:3], 0 offen
	buffer_load_dword v2, v4, s[0:3], 0 offen offset:4
	buffer_load_dword v3, v4, s[0:3], 0 offen offset:8
	;; [unrolled: 1-line block ×3, first 2 shown]
	buffer_store_dword v5, off, s[0:3], 0 offset:48
	buffer_store_dword v5, off, s[0:3], 0 offset:52
	;; [unrolled: 1-line block ×4, first 2 shown]
	s_waitcnt vmcnt(0)
	ds_write_b128 v163, v[1:4]
.LBB49_309:
	s_or_b32 exec_lo, exec_lo, s4
	s_waitcnt lgkmcnt(0)
	s_waitcnt_vscnt null, 0x0
	s_barrier
	buffer_gl0_inv
	s_clause 0x35
	buffer_load_dword v13, off, s[0:3], 0 offset:72
	buffer_load_dword v14, off, s[0:3], 0 offset:76
	;; [unrolled: 1-line block ×54, first 2 shown]
	v_mov_b32_e32 v164, 0
	s_mov_b32 s4, exec_lo
	ds_read_b128 v[1:4], v164 offset:848
	s_clause 0x3
	buffer_load_dword v159, off, s[0:3], 0 offset:296
	buffer_load_dword v160, off, s[0:3], 0 offset:300
	;; [unrolled: 1-line block ×4, first 2 shown]
	ds_read_b128 v[165:168], v164 offset:864
	s_clause 0x3
	buffer_load_dword v176, off, s[0:3], 0 offset:316
	buffer_load_dword v175, off, s[0:3], 0 offset:312
	;; [unrolled: 1-line block ×4, first 2 shown]
	ds_read_b128 v[169:172], v164 offset:880
	s_waitcnt vmcnt(60) lgkmcnt(2)
	v_mul_f64 v[173:174], v[3:4], v[13:14]
	v_mul_f64 v[13:14], v[1:2], v[13:14]
	s_waitcnt vmcnt(58) lgkmcnt(1)
	v_mul_f64 v[179:180], v[167:168], v[9:10]
	v_mul_f64 v[9:10], v[165:166], v[9:10]
	;; [unrolled: 3-line block ×3, first 2 shown]
	v_fma_f64 v[173:174], v[1:2], v[11:12], -v[173:174]
	v_fma_f64 v[11:12], v[3:4], v[11:12], v[13:14]
	s_clause 0x3
	buffer_load_dword v13, off, s[0:3], 0 offset:328
	buffer_load_dword v14, off, s[0:3], 0 offset:332
	;; [unrolled: 1-line block ×4, first 2 shown]
	s_waitcnt vmcnt(56)
	v_fma_f64 v[165:166], v[165:166], v[5:6], -v[179:180]
	ds_read_b128 v[1:4], v164 offset:896
	v_fma_f64 v[9:10], v[167:168], v[5:6], v[9:10]
	s_clause 0x3
	buffer_load_dword v168, off, s[0:3], 0 offset:348
	buffer_load_dword v167, off, s[0:3], 0 offset:344
	;; [unrolled: 1-line block ×4, first 2 shown]
	s_waitcnt vmcnt(56)
	v_fma_f64 v[169:170], v[169:170], v[23:24], -v[185:186]
	ds_read_b128 v[5:8], v164 offset:912
	v_fma_f64 v[23:24], v[171:172], v[23:24], v[183:184]
	v_add_f64 v[173:174], v[173:174], 0
	v_add_f64 v[11:12], v[11:12], 0
	s_waitcnt lgkmcnt(1)
	v_mul_f64 v[187:188], v[1:2], v[15:16]
	v_mul_f64 v[15:16], v[3:4], v[15:16]
	s_waitcnt vmcnt(54) lgkmcnt(0)
	v_mul_f64 v[185:186], v[5:6], v[19:20]
	v_mul_f64 v[19:20], v[7:8], v[19:20]
	v_add_f64 v[165:166], v[173:174], v[165:166]
	v_add_f64 v[171:172], v[11:12], v[9:10]
	s_clause 0x3
	buffer_load_dword v173, off, s[0:3], 0 offset:360
	buffer_load_dword v174, off, s[0:3], 0 offset:364
	;; [unrolled: 1-line block ×4, first 2 shown]
	s_waitcnt vmcnt(56)
	v_fma_f64 v[15:16], v[1:2], v[17:18], -v[15:16]
	ds_read_b128 v[9:12], v164 offset:928
	v_fma_f64 v[17:18], v[3:4], v[17:18], v[187:188]
	s_waitcnt vmcnt(52)
	v_fma_f64 v[19:20], v[5:6], v[31:32], -v[19:20]
	v_fma_f64 v[31:32], v[7:8], v[31:32], v[185:186]
	v_add_f64 v[165:166], v[165:166], v[169:170]
	v_add_f64 v[23:24], v[171:172], v[23:24]
	s_clause 0x3
	buffer_load_dword v170, off, s[0:3], 0 offset:380
	buffer_load_dword v169, off, s[0:3], 0 offset:376
	;; [unrolled: 1-line block ×4, first 2 shown]
	s_waitcnt lgkmcnt(0)
	v_mul_f64 v[187:188], v[9:10], v[21:22]
	v_mul_f64 v[21:22], v[11:12], v[21:22]
	ds_read_b128 v[1:4], v164 offset:944
	v_add_f64 v[15:16], v[165:166], v[15:16]
	v_add_f64 v[17:18], v[23:24], v[17:18]
	s_clause 0x3
	buffer_load_dword v23, off, s[0:3], 0 offset:392
	buffer_load_dword v24, off, s[0:3], 0 offset:396
	;; [unrolled: 1-line block ×4, first 2 shown]
	s_waitcnt vmcnt(58) lgkmcnt(0)
	v_mul_f64 v[185:186], v[1:2], v[27:28]
	v_mul_f64 v[27:28], v[3:4], v[27:28]
	s_waitcnt vmcnt(56)
	v_fma_f64 v[21:22], v[9:10], v[25:26], -v[21:22]
	ds_read_b128 v[5:8], v164 offset:960
	v_add_f64 v[15:16], v[15:16], v[19:20]
	v_fma_f64 v[19:20], v[11:12], v[25:26], v[187:188]
	v_add_f64 v[17:18], v[17:18], v[31:32]
	s_clause 0x3
	buffer_load_dword v26, off, s[0:3], 0 offset:412
	buffer_load_dword v25, off, s[0:3], 0 offset:408
	buffer_load_dword v31, off, s[0:3], 0 offset:384
	buffer_load_dword v32, off, s[0:3], 0 offset:388
	s_waitcnt vmcnt(58) lgkmcnt(0)
	v_mul_f64 v[187:188], v[5:6], v[29:30]
	v_mul_f64 v[29:30], v[7:8], v[29:30]
	s_waitcnt vmcnt(56)
	v_fma_f64 v[27:28], v[1:2], v[63:64], -v[27:28]
	ds_read_b128 v[9:12], v164 offset:976
	v_add_f64 v[15:16], v[15:16], v[21:22]
	v_fma_f64 v[21:22], v[3:4], v[63:64], v[185:186]
	v_add_f64 v[17:18], v[17:18], v[19:20]
	s_clause 0x3
	buffer_load_dword v19, off, s[0:3], 0 offset:424
	buffer_load_dword v20, off, s[0:3], 0 offset:428
	buffer_load_dword v64, off, s[0:3], 0 offset:404
	buffer_load_dword v63, off, s[0:3], 0 offset:400
	ds_read_b128 v[1:4], v164 offset:992
	s_waitcnt vmcnt(58) lgkmcnt(1)
	v_mul_f64 v[185:186], v[9:10], v[59:60]
	v_mul_f64 v[59:60], v[11:12], v[59:60]
	s_waitcnt vmcnt(56)
	v_fma_f64 v[29:30], v[5:6], v[57:58], -v[29:30]
	v_add_f64 v[15:16], v[15:16], v[27:28]
	v_fma_f64 v[27:28], v[7:8], v[57:58], v[187:188]
	v_add_f64 v[17:18], v[17:18], v[21:22]
	s_clause 0x3
	buffer_load_dword v22, off, s[0:3], 0 offset:444
	buffer_load_dword v21, off, s[0:3], 0 offset:440
	buffer_load_dword v57, off, s[0:3], 0 offset:416
	buffer_load_dword v58, off, s[0:3], 0 offset:420
	s_waitcnt vmcnt(58) lgkmcnt(0)
	v_mul_f64 v[187:188], v[1:2], v[61:62]
	v_mul_f64 v[61:62], v[3:4], v[61:62]
	s_waitcnt vmcnt(56)
	v_fma_f64 v[59:60], v[9:10], v[147:148], -v[59:60]
	ds_read_b128 v[5:8], v164 offset:1008
	v_add_f64 v[15:16], v[15:16], v[29:30]
	v_fma_f64 v[29:30], v[11:12], v[147:148], v[185:186]
	v_add_f64 v[17:18], v[17:18], v[27:28]
	s_clause 0x3
	buffer_load_dword v27, off, s[0:3], 0 offset:456
	buffer_load_dword v28, off, s[0:3], 0 offset:460
	buffer_load_dword v148, off, s[0:3], 0 offset:436
	buffer_load_dword v147, off, s[0:3], 0 offset:432
	ds_read_b128 v[9:12], v164 offset:1024
	s_waitcnt vmcnt(58) lgkmcnt(1)
	v_mul_f64 v[185:186], v[5:6], v[67:68]
	v_mul_f64 v[67:68], v[7:8], v[67:68]
	s_waitcnt vmcnt(56)
	v_fma_f64 v[61:62], v[1:2], v[65:66], -v[61:62]
	;; [unrolled: 28-line block ×5, first 2 shown]
	v_add_f64 v[15:16], v[15:16], v[159:160]
	v_fma_f64 v[159:160], v[3:4], v[181:182], v[187:188]
	v_add_f64 v[17:18], v[17:18], v[153:154]
	s_clause 0x3
	buffer_load_dword v154, off, s[0:3], 0 offset:572
	buffer_load_dword v153, off, s[0:3], 0 offset:568
	buffer_load_dword v181, off, s[0:3], 0 offset:544
	buffer_load_dword v182, off, s[0:3], 0 offset:548
	s_waitcnt vmcnt(58) lgkmcnt(0)
	v_mul_f64 v[187:188], v[9:10], v[167:168]
	v_mul_f64 v[167:168], v[11:12], v[167:168]
	ds_read_b128 v[1:4], v164 offset:1136
	s_waitcnt vmcnt(56)
	v_fma_f64 v[13:14], v[5:6], v[179:180], -v[13:14]
	v_add_f64 v[15:16], v[15:16], v[175:176]
	v_fma_f64 v[175:176], v[7:8], v[179:180], v[185:186]
	v_add_f64 v[17:18], v[17:18], v[159:160]
	s_clause 0x3
	buffer_load_dword v159, off, s[0:3], 0 offset:584
	buffer_load_dword v160, off, s[0:3], 0 offset:588
	buffer_load_dword v180, off, s[0:3], 0 offset:564
	buffer_load_dword v179, off, s[0:3], 0 offset:560
	ds_read_b128 v[5:8], v164 offset:1152
	s_waitcnt vmcnt(58) lgkmcnt(1)
	v_mul_f64 v[185:186], v[1:2], v[173:174]
	v_mul_f64 v[173:174], v[3:4], v[173:174]
	s_waitcnt vmcnt(56)
	v_fma_f64 v[167:168], v[9:10], v[183:184], -v[167:168]
	v_add_f64 v[13:14], v[15:16], v[13:14]
	v_fma_f64 v[15:16], v[11:12], v[183:184], v[187:188]
	v_add_f64 v[17:18], v[17:18], v[175:176]
	s_clause 0x3
	buffer_load_dword v176, off, s[0:3], 0 offset:604
	buffer_load_dword v175, off, s[0:3], 0 offset:600
	buffer_load_dword v183, off, s[0:3], 0 offset:576
	buffer_load_dword v184, off, s[0:3], 0 offset:580
	ds_read_b128 v[9:12], v164 offset:1168
	s_waitcnt vmcnt(58) lgkmcnt(1)
	v_mul_f64 v[187:188], v[5:6], v[169:170]
	v_mul_f64 v[169:170], v[7:8], v[169:170]
	;; [unrolled: 14-line block ×3, first 2 shown]
	s_waitcnt vmcnt(56)
	v_fma_f64 v[169:170], v[5:6], v[165:166], -v[169:170]
	v_fma_f64 v[165:166], v[7:8], v[165:166], v[187:188]
	v_add_f64 v[13:14], v[13:14], v[173:174]
	v_add_f64 v[15:16], v[15:16], v[167:168]
	s_clause 0x3
	buffer_load_dword v168, off, s[0:3], 0 offset:636
	buffer_load_dword v167, off, s[0:3], 0 offset:632
	;; [unrolled: 1-line block ×4, first 2 shown]
	ds_read_b128 v[5:8], v164 offset:1200
	s_waitcnt vmcnt(58) lgkmcnt(1)
	v_mul_f64 v[187:188], v[1:2], v[25:26]
	v_mul_f64 v[25:26], v[3:4], v[25:26]
	s_waitcnt vmcnt(56)
	v_fma_f64 v[23:24], v[9:10], v[31:32], -v[23:24]
	v_fma_f64 v[31:32], v[11:12], v[31:32], v[185:186]
	v_add_f64 v[13:14], v[13:14], v[169:170]
	v_add_f64 v[15:16], v[15:16], v[165:166]
	s_clause 0x3
	buffer_load_dword v165, off, s[0:3], 0 offset:648
	buffer_load_dword v166, off, s[0:3], 0 offset:652
	buffer_load_dword v170, off, s[0:3], 0 offset:628
	buffer_load_dword v169, off, s[0:3], 0 offset:624
	ds_read_b128 v[9:12], v164 offset:1216
	s_waitcnt vmcnt(58) lgkmcnt(1)
	v_mul_f64 v[185:186], v[5:6], v[19:20]
	v_mul_f64 v[19:20], v[7:8], v[19:20]
	s_waitcnt vmcnt(56)
	v_fma_f64 v[25:26], v[1:2], v[63:64], -v[25:26]
	v_add_f64 v[13:14], v[13:14], v[23:24]
	v_fma_f64 v[23:24], v[3:4], v[63:64], v[187:188]
	v_add_f64 v[15:16], v[15:16], v[31:32]
	s_clause 0x3
	buffer_load_dword v32, off, s[0:3], 0 offset:668
	buffer_load_dword v31, off, s[0:3], 0 offset:664
	buffer_load_dword v63, off, s[0:3], 0 offset:640
	buffer_load_dword v64, off, s[0:3], 0 offset:644
	ds_read_b128 v[1:4], v164 offset:1232
	s_waitcnt vmcnt(58) lgkmcnt(1)
	v_mul_f64 v[187:188], v[9:10], v[21:22]
	v_mul_f64 v[21:22], v[11:12], v[21:22]
	s_waitcnt vmcnt(56)
	v_fma_f64 v[19:20], v[5:6], v[57:58], -v[19:20]
	v_add_f64 v[13:14], v[13:14], v[25:26]
	v_fma_f64 v[25:26], v[7:8], v[57:58], v[185:186]
	v_add_f64 v[15:16], v[15:16], v[23:24]
	s_clause 0x3
	buffer_load_dword v23, off, s[0:3], 0 offset:680
	buffer_load_dword v24, off, s[0:3], 0 offset:684
	buffer_load_dword v58, off, s[0:3], 0 offset:660
	buffer_load_dword v57, off, s[0:3], 0 offset:656
	ds_read_b128 v[5:8], v164 offset:1248
	s_waitcnt vmcnt(58) lgkmcnt(1)
	v_mul_f64 v[185:186], v[1:2], v[27:28]
	v_mul_f64 v[27:28], v[3:4], v[27:28]
	s_waitcnt vmcnt(56)
	v_fma_f64 v[21:22], v[9:10], v[147:148], -v[21:22]
	v_add_f64 v[13:14], v[13:14], v[19:20]
	v_fma_f64 v[19:20], v[11:12], v[147:148], v[187:188]
	v_add_f64 v[15:16], v[15:16], v[25:26]
	s_clause 0x3
	buffer_load_dword v26, off, s[0:3], 0 offset:700
	buffer_load_dword v25, off, s[0:3], 0 offset:696
	buffer_load_dword v147, off, s[0:3], 0 offset:672
	buffer_load_dword v148, off, s[0:3], 0 offset:676
	ds_read_b128 v[9:12], v164 offset:1264
	s_waitcnt vmcnt(58) lgkmcnt(1)
	v_mul_f64 v[187:188], v[5:6], v[29:30]
	v_mul_f64 v[29:30], v[7:8], v[29:30]
	s_waitcnt vmcnt(56)
	v_fma_f64 v[27:28], v[1:2], v[65:66], -v[27:28]
	v_add_f64 v[13:14], v[13:14], v[21:22]
	v_fma_f64 v[21:22], v[3:4], v[65:66], v[185:186]
	v_add_f64 v[15:16], v[15:16], v[19:20]
	s_clause 0x3
	buffer_load_dword v19, off, s[0:3], 0 offset:712
	buffer_load_dword v20, off, s[0:3], 0 offset:716
	buffer_load_dword v66, off, s[0:3], 0 offset:692
	buffer_load_dword v65, off, s[0:3], 0 offset:688
	ds_read_b128 v[1:4], v164 offset:1280
	s_waitcnt vmcnt(58) lgkmcnt(1)
	v_mul_f64 v[185:186], v[9:10], v[59:60]
	v_mul_f64 v[59:60], v[11:12], v[59:60]
	s_waitcnt vmcnt(56)
	v_fma_f64 v[29:30], v[5:6], v[155:156], -v[29:30]
	v_add_f64 v[13:14], v[13:14], v[27:28]
	v_fma_f64 v[27:28], v[7:8], v[155:156], v[187:188]
	v_add_f64 v[15:16], v[15:16], v[21:22]
	s_clause 0x3
	buffer_load_dword v22, off, s[0:3], 0 offset:732
	buffer_load_dword v21, off, s[0:3], 0 offset:728
	buffer_load_dword v155, off, s[0:3], 0 offset:704
	buffer_load_dword v156, off, s[0:3], 0 offset:708
	ds_read_b128 v[5:8], v164 offset:1296
	s_waitcnt vmcnt(58) lgkmcnt(1)
	v_mul_f64 v[187:188], v[1:2], v[61:62]
	v_mul_f64 v[61:62], v[3:4], v[61:62]
	s_waitcnt vmcnt(56)
	v_fma_f64 v[59:60], v[9:10], v[149:150], -v[59:60]
	v_add_f64 v[13:14], v[13:14], v[29:30]
	v_fma_f64 v[29:30], v[11:12], v[149:150], v[185:186]
	v_add_f64 v[15:16], v[15:16], v[27:28]
	s_clause 0x3
	buffer_load_dword v27, off, s[0:3], 0 offset:744
	buffer_load_dword v28, off, s[0:3], 0 offset:748
	buffer_load_dword v150, off, s[0:3], 0 offset:724
	buffer_load_dword v149, off, s[0:3], 0 offset:720
	ds_read_b128 v[9:12], v164 offset:1312
	s_waitcnt vmcnt(58) lgkmcnt(1)
	v_mul_f64 v[185:186], v[5:6], v[67:68]
	v_mul_f64 v[67:68], v[7:8], v[67:68]
	s_waitcnt vmcnt(56)
	v_fma_f64 v[61:62], v[1:2], v[161:162], -v[61:62]
	v_add_f64 v[13:14], v[13:14], v[59:60]
	v_fma_f64 v[59:60], v[3:4], v[161:162], v[187:188]
	v_add_f64 v[15:16], v[15:16], v[29:30]
	s_clause 0x3
	buffer_load_dword v30, off, s[0:3], 0 offset:764
	buffer_load_dword v29, off, s[0:3], 0 offset:760
	buffer_load_dword v161, off, s[0:3], 0 offset:736
	buffer_load_dword v162, off, s[0:3], 0 offset:740
	ds_read_b128 v[1:4], v164 offset:1328
	s_waitcnt vmcnt(58) lgkmcnt(1)
	v_mul_f64 v[187:188], v[9:10], v[145:146]
	v_mul_f64 v[145:146], v[11:12], v[145:146]
	s_waitcnt vmcnt(56)
	v_fma_f64 v[67:68], v[5:6], v[157:158], -v[67:68]
	v_add_f64 v[13:14], v[13:14], v[61:62]
	v_fma_f64 v[61:62], v[7:8], v[157:158], v[185:186]
	v_add_f64 v[15:16], v[15:16], v[59:60]
	s_clause 0x3
	buffer_load_dword v59, off, s[0:3], 0 offset:776
	buffer_load_dword v60, off, s[0:3], 0 offset:780
	buffer_load_dword v158, off, s[0:3], 0 offset:756
	buffer_load_dword v157, off, s[0:3], 0 offset:752
	ds_read_b128 v[5:8], v164 offset:1344
	s_waitcnt vmcnt(58) lgkmcnt(1)
	v_mul_f64 v[185:186], v[1:2], v[151:152]
	v_mul_f64 v[151:152], v[3:4], v[151:152]
	s_waitcnt vmcnt(56)
	v_fma_f64 v[145:146], v[9:10], v[177:178], -v[145:146]
	v_add_f64 v[13:14], v[13:14], v[67:68]
	v_fma_f64 v[67:68], v[11:12], v[177:178], v[187:188]
	v_add_f64 v[15:16], v[15:16], v[61:62]
	s_clause 0x3
	buffer_load_dword v62, off, s[0:3], 0 offset:796
	buffer_load_dword v61, off, s[0:3], 0 offset:792
	buffer_load_dword v177, off, s[0:3], 0 offset:768
	buffer_load_dword v178, off, s[0:3], 0 offset:772
	ds_read_b128 v[9:12], v164 offset:1360
	s_waitcnt vmcnt(58) lgkmcnt(1)
	v_mul_f64 v[187:188], v[5:6], v[153:154]
	v_mul_f64 v[153:154], v[7:8], v[153:154]
	s_waitcnt vmcnt(56)
	v_fma_f64 v[151:152], v[1:2], v[181:182], -v[151:152]
	v_add_f64 v[13:14], v[13:14], v[145:146]
	v_fma_f64 v[145:146], v[3:4], v[181:182], v[185:186]
	v_add_f64 v[15:16], v[15:16], v[67:68]
	s_clause 0x3
	buffer_load_dword v67, off, s[0:3], 0 offset:808
	buffer_load_dword v68, off, s[0:3], 0 offset:812
	buffer_load_dword v182, off, s[0:3], 0 offset:788
	buffer_load_dword v181, off, s[0:3], 0 offset:784
	ds_read_b128 v[1:4], v164 offset:1376
	s_waitcnt vmcnt(58) lgkmcnt(1)
	v_mul_f64 v[185:186], v[9:10], v[159:160]
	v_mul_f64 v[159:160], v[11:12], v[159:160]
	s_waitcnt vmcnt(56)
	v_fma_f64 v[153:154], v[5:6], v[179:180], -v[153:154]
	v_add_f64 v[13:14], v[13:14], v[151:152]
	v_fma_f64 v[151:152], v[7:8], v[179:180], v[187:188]
	v_add_f64 v[15:16], v[15:16], v[145:146]
	s_clause 0x1
	buffer_load_dword v145, off, s[0:3], 0 offset:800
	buffer_load_dword v146, off, s[0:3], 0 offset:804
	ds_read_b128 v[5:8], v164 offset:1392
	s_waitcnt vmcnt(56) lgkmcnt(1)
	v_mul_f64 v[179:180], v[1:2], v[175:176]
	v_mul_f64 v[175:176], v[3:4], v[175:176]
	s_waitcnt vmcnt(54)
	v_fma_f64 v[159:160], v[9:10], v[183:184], -v[159:160]
	v_add_f64 v[13:14], v[13:14], v[153:154]
	v_fma_f64 v[153:154], v[11:12], v[183:184], v[185:186]
	v_add_f64 v[15:16], v[15:16], v[151:152]
	ds_read_b128 v[9:12], v164 offset:1408
	s_waitcnt vmcnt(52) lgkmcnt(1)
	v_mul_f64 v[151:152], v[5:6], v[17:18]
	v_mul_f64 v[17:18], v[7:8], v[17:18]
	s_waitcnt vmcnt(50)
	v_fma_f64 v[175:176], v[1:2], v[171:172], -v[175:176]
	v_add_f64 v[13:14], v[13:14], v[159:160]
	v_fma_f64 v[159:160], v[3:4], v[171:172], v[179:180]
	v_add_f64 v[15:16], v[15:16], v[153:154]
	s_clause 0x3
	buffer_load_dword v153, off, s[0:3], 0 offset:48
	buffer_load_dword v154, off, s[0:3], 0 offset:52
	;; [unrolled: 1-line block ×4, first 2 shown]
	ds_read_b128 v[1:4], v164 offset:1424
	s_waitcnt vmcnt(52) lgkmcnt(1)
	v_mul_f64 v[179:180], v[9:10], v[167:168]
	v_mul_f64 v[167:168], v[11:12], v[167:168]
	s_waitcnt vmcnt(50)
	v_fma_f64 v[17:18], v[5:6], v[173:174], -v[17:18]
	v_fma_f64 v[151:152], v[7:8], v[173:174], v[151:152]
	ds_read_b128 v[5:8], v164 offset:1440
	v_add_f64 v[13:14], v[13:14], v[175:176]
	v_add_f64 v[15:16], v[15:16], v[159:160]
	s_waitcnt vmcnt(48) lgkmcnt(1)
	v_mul_f64 v[159:160], v[1:2], v[165:166]
	v_mul_f64 v[165:166], v[3:4], v[165:166]
	s_waitcnt vmcnt(46)
	v_fma_f64 v[167:168], v[9:10], v[169:170], -v[167:168]
	v_add_f64 v[13:14], v[13:14], v[17:18]
	v_fma_f64 v[17:18], v[11:12], v[169:170], v[179:180]
	v_add_f64 v[15:16], v[15:16], v[151:152]
	ds_read_b128 v[9:12], v164 offset:1456
	s_waitcnt vmcnt(44) lgkmcnt(1)
	v_mul_f64 v[151:152], v[5:6], v[31:32]
	v_mul_f64 v[31:32], v[7:8], v[31:32]
	s_waitcnt vmcnt(42)
	v_fma_f64 v[165:166], v[1:2], v[63:64], -v[165:166]
	v_fma_f64 v[63:64], v[3:4], v[63:64], v[159:160]
	ds_read_b128 v[1:4], v164 offset:1472
	v_add_f64 v[13:14], v[13:14], v[167:168]
	v_add_f64 v[15:16], v[15:16], v[17:18]
	s_waitcnt vmcnt(40) lgkmcnt(1)
	v_mul_f64 v[17:18], v[9:10], v[23:24]
	v_mul_f64 v[23:24], v[11:12], v[23:24]
	s_waitcnt vmcnt(38)
	v_fma_f64 v[31:32], v[5:6], v[57:58], -v[31:32]
	v_fma_f64 v[57:58], v[7:8], v[57:58], v[151:152]
	ds_read_b128 v[5:8], v164 offset:1488
	v_add_f64 v[13:14], v[13:14], v[165:166]
	v_add_f64 v[15:16], v[15:16], v[63:64]
	;; [unrolled: 9-line block ×3, first 2 shown]
	s_waitcnt vmcnt(32) lgkmcnt(1)
	v_mul_f64 v[31:32], v[5:6], v[19:20]
	v_mul_f64 v[19:20], v[7:8], v[19:20]
	s_waitcnt vmcnt(30)
	v_fma_f64 v[25:26], v[1:2], v[65:66], -v[25:26]
	v_add_f64 v[13:14], v[13:14], v[23:24]
	v_fma_f64 v[23:24], v[3:4], v[65:66], v[63:64]
	v_add_f64 v[15:16], v[15:16], v[17:18]
	ds_read_b128 v[1:4], v164 offset:1520
	s_waitcnt vmcnt(28) lgkmcnt(1)
	v_mul_f64 v[17:18], v[9:10], v[21:22]
	v_mul_f64 v[21:22], v[11:12], v[21:22]
	s_waitcnt vmcnt(26)
	v_fma_f64 v[19:20], v[5:6], v[155:156], -v[19:20]
	v_add_f64 v[13:14], v[13:14], v[25:26]
	v_fma_f64 v[25:26], v[7:8], v[155:156], v[31:32]
	v_add_f64 v[15:16], v[15:16], v[23:24]
	ds_read_b128 v[5:8], v164 offset:1536
	s_waitcnt vmcnt(24) lgkmcnt(1)
	v_mul_f64 v[23:24], v[1:2], v[27:28]
	v_mul_f64 v[27:28], v[3:4], v[27:28]
	s_waitcnt vmcnt(22)
	v_fma_f64 v[21:22], v[9:10], v[149:150], -v[21:22]
	v_fma_f64 v[17:18], v[11:12], v[149:150], v[17:18]
	ds_read_b128 v[9:12], v164 offset:1552
	v_add_f64 v[13:14], v[13:14], v[19:20]
	v_add_f64 v[15:16], v[15:16], v[25:26]
	s_waitcnt vmcnt(20) lgkmcnt(1)
	v_mul_f64 v[25:26], v[7:8], v[29:30]
	v_mul_f64 v[19:20], v[5:6], v[29:30]
	s_waitcnt vmcnt(18)
	v_fma_f64 v[27:28], v[1:2], v[161:162], -v[27:28]
	v_add_f64 v[13:14], v[13:14], v[21:22]
	v_fma_f64 v[21:22], v[3:4], v[161:162], v[23:24]
	v_add_f64 v[15:16], v[15:16], v[17:18]
	ds_read_b128 v[1:4], v164 offset:1568
	s_waitcnt vmcnt(16) lgkmcnt(1)
	v_mul_f64 v[23:24], v[11:12], v[59:60]
	v_mul_f64 v[17:18], v[9:10], v[59:60]
	s_waitcnt vmcnt(14)
	v_fma_f64 v[25:26], v[5:6], v[157:158], -v[25:26]
	v_fma_f64 v[19:20], v[7:8], v[157:158], v[19:20]
	ds_read_b128 v[5:8], v164 offset:1584
	v_add_f64 v[13:14], v[13:14], v[27:28]
	v_add_f64 v[15:16], v[15:16], v[21:22]
	s_waitcnt vmcnt(12) lgkmcnt(1)
	v_mul_f64 v[27:28], v[3:4], v[61:62]
	v_mul_f64 v[21:22], v[1:2], v[61:62]
	s_waitcnt vmcnt(10)
	v_fma_f64 v[9:10], v[9:10], v[177:178], -v[23:24]
	v_fma_f64 v[11:12], v[11:12], v[177:178], v[17:18]
	v_add_f64 v[13:14], v[13:14], v[25:26]
	v_add_f64 v[15:16], v[15:16], v[19:20]
	s_waitcnt vmcnt(8) lgkmcnt(0)
	v_mul_f64 v[19:20], v[7:8], v[67:68]
	v_mul_f64 v[17:18], v[5:6], v[67:68]
	s_waitcnt vmcnt(6)
	v_fma_f64 v[1:2], v[1:2], v[181:182], -v[27:28]
	v_fma_f64 v[3:4], v[3:4], v[181:182], v[21:22]
	v_add_f64 v[9:10], v[13:14], v[9:10]
	v_add_f64 v[11:12], v[15:16], v[11:12]
	s_waitcnt vmcnt(4)
	v_fma_f64 v[5:6], v[5:6], v[145:146], -v[19:20]
	v_fma_f64 v[7:8], v[7:8], v[145:146], v[17:18]
	v_add_f64 v[1:2], v[9:10], v[1:2]
	v_add_f64 v[3:4], v[11:12], v[3:4]
	;; [unrolled: 1-line block ×4, first 2 shown]
	s_waitcnt vmcnt(2)
	v_add_f64 v[1:2], v[153:154], -v[1:2]
	s_waitcnt vmcnt(0)
	v_add_f64 v[3:4], v[171:172], -v[3:4]
	buffer_store_dword v2, off, s[0:3], 0 offset:52
	buffer_store_dword v1, off, s[0:3], 0 offset:48
	;; [unrolled: 1-line block ×4, first 2 shown]
	v_cmpx_lt_u32_e32 1, v0
	s_cbranch_execz .LBB49_311
; %bb.310:
	v_mov_b32_e32 v4, s61
	s_clause 0x3
	buffer_load_dword v1, v4, s[0:3], 0 offen
	buffer_load_dword v2, v4, s[0:3], 0 offen offset:4
	buffer_load_dword v3, v4, s[0:3], 0 offen offset:8
	;; [unrolled: 1-line block ×3, first 2 shown]
	buffer_store_dword v164, off, s[0:3], 0 offset:32
	buffer_store_dword v164, off, s[0:3], 0 offset:36
	;; [unrolled: 1-line block ×4, first 2 shown]
	s_waitcnt vmcnt(0)
	ds_write_b128 v163, v[1:4]
.LBB49_311:
	s_or_b32 exec_lo, exec_lo, s4
	s_waitcnt lgkmcnt(0)
	s_waitcnt_vscnt null, 0x0
	s_barrier
	buffer_gl0_inv
	s_clause 0x35
	buffer_load_dword v13, off, s[0:3], 0 offset:56
	buffer_load_dword v14, off, s[0:3], 0 offset:60
	;; [unrolled: 1-line block ×54, first 2 shown]
	ds_read_b128 v[1:4], v164 offset:832
	s_clause 0x3
	buffer_load_dword v159, off, s[0:3], 0 offset:280
	buffer_load_dword v160, off, s[0:3], 0 offset:284
	;; [unrolled: 1-line block ×4, first 2 shown]
	ds_read_b128 v[165:168], v164 offset:848
	s_clause 0x3
	buffer_load_dword v176, off, s[0:3], 0 offset:300
	buffer_load_dword v175, off, s[0:3], 0 offset:296
	;; [unrolled: 1-line block ×4, first 2 shown]
	ds_read_b128 v[169:172], v164 offset:864
	s_mov_b32 s4, exec_lo
	s_waitcnt vmcnt(60) lgkmcnt(2)
	v_mul_f64 v[173:174], v[3:4], v[13:14]
	v_mul_f64 v[13:14], v[1:2], v[13:14]
	s_waitcnt vmcnt(58) lgkmcnt(1)
	v_mul_f64 v[179:180], v[167:168], v[9:10]
	v_mul_f64 v[9:10], v[165:166], v[9:10]
	;; [unrolled: 3-line block ×3, first 2 shown]
	v_fma_f64 v[173:174], v[1:2], v[11:12], -v[173:174]
	v_fma_f64 v[11:12], v[3:4], v[11:12], v[13:14]
	s_clause 0x3
	buffer_load_dword v13, off, s[0:3], 0 offset:312
	buffer_load_dword v14, off, s[0:3], 0 offset:316
	;; [unrolled: 1-line block ×4, first 2 shown]
	s_waitcnt vmcnt(56)
	v_fma_f64 v[165:166], v[165:166], v[5:6], -v[179:180]
	ds_read_b128 v[1:4], v164 offset:880
	v_fma_f64 v[9:10], v[167:168], v[5:6], v[9:10]
	s_clause 0x3
	buffer_load_dword v168, off, s[0:3], 0 offset:332
	buffer_load_dword v167, off, s[0:3], 0 offset:328
	;; [unrolled: 1-line block ×4, first 2 shown]
	s_waitcnt vmcnt(56)
	v_fma_f64 v[169:170], v[169:170], v[23:24], -v[185:186]
	ds_read_b128 v[5:8], v164 offset:896
	v_fma_f64 v[23:24], v[171:172], v[23:24], v[183:184]
	v_add_f64 v[173:174], v[173:174], 0
	v_add_f64 v[11:12], v[11:12], 0
	s_waitcnt lgkmcnt(1)
	v_mul_f64 v[187:188], v[1:2], v[15:16]
	v_mul_f64 v[15:16], v[3:4], v[15:16]
	s_waitcnt vmcnt(54) lgkmcnt(0)
	v_mul_f64 v[185:186], v[5:6], v[19:20]
	v_mul_f64 v[19:20], v[7:8], v[19:20]
	v_add_f64 v[165:166], v[173:174], v[165:166]
	v_add_f64 v[171:172], v[11:12], v[9:10]
	s_clause 0x3
	buffer_load_dword v173, off, s[0:3], 0 offset:344
	buffer_load_dword v174, off, s[0:3], 0 offset:348
	;; [unrolled: 1-line block ×4, first 2 shown]
	s_waitcnt vmcnt(56)
	v_fma_f64 v[15:16], v[1:2], v[17:18], -v[15:16]
	ds_read_b128 v[9:12], v164 offset:912
	v_fma_f64 v[17:18], v[3:4], v[17:18], v[187:188]
	s_waitcnt vmcnt(52)
	v_fma_f64 v[19:20], v[5:6], v[31:32], -v[19:20]
	v_fma_f64 v[31:32], v[7:8], v[31:32], v[185:186]
	v_add_f64 v[165:166], v[165:166], v[169:170]
	v_add_f64 v[23:24], v[171:172], v[23:24]
	s_clause 0x3
	buffer_load_dword v170, off, s[0:3], 0 offset:364
	buffer_load_dword v169, off, s[0:3], 0 offset:360
	;; [unrolled: 1-line block ×4, first 2 shown]
	s_waitcnt lgkmcnt(0)
	v_mul_f64 v[187:188], v[9:10], v[21:22]
	v_mul_f64 v[21:22], v[11:12], v[21:22]
	ds_read_b128 v[1:4], v164 offset:928
	v_add_f64 v[15:16], v[165:166], v[15:16]
	v_add_f64 v[17:18], v[23:24], v[17:18]
	s_clause 0x3
	buffer_load_dword v23, off, s[0:3], 0 offset:376
	buffer_load_dword v24, off, s[0:3], 0 offset:380
	;; [unrolled: 1-line block ×4, first 2 shown]
	s_waitcnt vmcnt(58) lgkmcnt(0)
	v_mul_f64 v[185:186], v[1:2], v[27:28]
	v_mul_f64 v[27:28], v[3:4], v[27:28]
	s_waitcnt vmcnt(56)
	v_fma_f64 v[21:22], v[9:10], v[25:26], -v[21:22]
	ds_read_b128 v[5:8], v164 offset:944
	v_add_f64 v[15:16], v[15:16], v[19:20]
	v_fma_f64 v[19:20], v[11:12], v[25:26], v[187:188]
	v_add_f64 v[17:18], v[17:18], v[31:32]
	s_clause 0x3
	buffer_load_dword v26, off, s[0:3], 0 offset:396
	buffer_load_dword v25, off, s[0:3], 0 offset:392
	buffer_load_dword v31, off, s[0:3], 0 offset:368
	buffer_load_dword v32, off, s[0:3], 0 offset:372
	s_waitcnt vmcnt(58) lgkmcnt(0)
	v_mul_f64 v[187:188], v[5:6], v[29:30]
	v_mul_f64 v[29:30], v[7:8], v[29:30]
	s_waitcnt vmcnt(56)
	v_fma_f64 v[27:28], v[1:2], v[63:64], -v[27:28]
	ds_read_b128 v[9:12], v164 offset:960
	v_add_f64 v[15:16], v[15:16], v[21:22]
	v_fma_f64 v[21:22], v[3:4], v[63:64], v[185:186]
	v_add_f64 v[17:18], v[17:18], v[19:20]
	s_clause 0x3
	buffer_load_dword v19, off, s[0:3], 0 offset:408
	buffer_load_dword v20, off, s[0:3], 0 offset:412
	buffer_load_dword v64, off, s[0:3], 0 offset:388
	buffer_load_dword v63, off, s[0:3], 0 offset:384
	ds_read_b128 v[1:4], v164 offset:976
	s_waitcnt vmcnt(58) lgkmcnt(1)
	v_mul_f64 v[185:186], v[9:10], v[59:60]
	v_mul_f64 v[59:60], v[11:12], v[59:60]
	s_waitcnt vmcnt(56)
	v_fma_f64 v[29:30], v[5:6], v[57:58], -v[29:30]
	v_add_f64 v[15:16], v[15:16], v[27:28]
	v_fma_f64 v[27:28], v[7:8], v[57:58], v[187:188]
	v_add_f64 v[17:18], v[17:18], v[21:22]
	s_clause 0x3
	buffer_load_dword v22, off, s[0:3], 0 offset:428
	buffer_load_dword v21, off, s[0:3], 0 offset:424
	buffer_load_dword v57, off, s[0:3], 0 offset:400
	buffer_load_dword v58, off, s[0:3], 0 offset:404
	s_waitcnt vmcnt(58) lgkmcnt(0)
	v_mul_f64 v[187:188], v[1:2], v[61:62]
	v_mul_f64 v[61:62], v[3:4], v[61:62]
	s_waitcnt vmcnt(56)
	v_fma_f64 v[59:60], v[9:10], v[147:148], -v[59:60]
	ds_read_b128 v[5:8], v164 offset:992
	v_add_f64 v[15:16], v[15:16], v[29:30]
	v_fma_f64 v[29:30], v[11:12], v[147:148], v[185:186]
	v_add_f64 v[17:18], v[17:18], v[27:28]
	s_clause 0x3
	buffer_load_dword v27, off, s[0:3], 0 offset:440
	buffer_load_dword v28, off, s[0:3], 0 offset:444
	buffer_load_dword v148, off, s[0:3], 0 offset:420
	buffer_load_dword v147, off, s[0:3], 0 offset:416
	ds_read_b128 v[9:12], v164 offset:1008
	s_waitcnt vmcnt(58) lgkmcnt(1)
	v_mul_f64 v[185:186], v[5:6], v[67:68]
	v_mul_f64 v[67:68], v[7:8], v[67:68]
	s_waitcnt vmcnt(56)
	v_fma_f64 v[61:62], v[1:2], v[65:66], -v[61:62]
	;; [unrolled: 28-line block ×5, first 2 shown]
	v_add_f64 v[15:16], v[15:16], v[159:160]
	v_fma_f64 v[159:160], v[3:4], v[181:182], v[187:188]
	v_add_f64 v[17:18], v[17:18], v[153:154]
	s_clause 0x3
	buffer_load_dword v154, off, s[0:3], 0 offset:556
	buffer_load_dword v153, off, s[0:3], 0 offset:552
	;; [unrolled: 1-line block ×4, first 2 shown]
	s_waitcnt vmcnt(58) lgkmcnt(0)
	v_mul_f64 v[187:188], v[9:10], v[167:168]
	v_mul_f64 v[167:168], v[11:12], v[167:168]
	ds_read_b128 v[1:4], v164 offset:1120
	s_waitcnt vmcnt(56)
	v_fma_f64 v[13:14], v[5:6], v[179:180], -v[13:14]
	v_add_f64 v[15:16], v[15:16], v[175:176]
	v_fma_f64 v[175:176], v[7:8], v[179:180], v[185:186]
	v_add_f64 v[17:18], v[17:18], v[159:160]
	s_clause 0x3
	buffer_load_dword v159, off, s[0:3], 0 offset:568
	buffer_load_dword v160, off, s[0:3], 0 offset:572
	buffer_load_dword v180, off, s[0:3], 0 offset:548
	buffer_load_dword v179, off, s[0:3], 0 offset:544
	ds_read_b128 v[5:8], v164 offset:1136
	s_waitcnt vmcnt(58) lgkmcnt(1)
	v_mul_f64 v[185:186], v[1:2], v[173:174]
	v_mul_f64 v[173:174], v[3:4], v[173:174]
	s_waitcnt vmcnt(56)
	v_fma_f64 v[167:168], v[9:10], v[183:184], -v[167:168]
	v_add_f64 v[13:14], v[15:16], v[13:14]
	v_fma_f64 v[15:16], v[11:12], v[183:184], v[187:188]
	v_add_f64 v[17:18], v[17:18], v[175:176]
	s_clause 0x3
	buffer_load_dword v176, off, s[0:3], 0 offset:588
	buffer_load_dword v175, off, s[0:3], 0 offset:584
	buffer_load_dword v183, off, s[0:3], 0 offset:560
	buffer_load_dword v184, off, s[0:3], 0 offset:564
	ds_read_b128 v[9:12], v164 offset:1152
	s_waitcnt vmcnt(58) lgkmcnt(1)
	v_mul_f64 v[187:188], v[5:6], v[169:170]
	v_mul_f64 v[169:170], v[7:8], v[169:170]
	;; [unrolled: 14-line block ×3, first 2 shown]
	s_waitcnt vmcnt(56)
	v_fma_f64 v[169:170], v[5:6], v[165:166], -v[169:170]
	v_fma_f64 v[165:166], v[7:8], v[165:166], v[187:188]
	v_add_f64 v[13:14], v[13:14], v[173:174]
	v_add_f64 v[15:16], v[15:16], v[167:168]
	s_clause 0x3
	buffer_load_dword v168, off, s[0:3], 0 offset:620
	buffer_load_dword v167, off, s[0:3], 0 offset:616
	;; [unrolled: 1-line block ×4, first 2 shown]
	ds_read_b128 v[5:8], v164 offset:1184
	s_waitcnt vmcnt(58) lgkmcnt(1)
	v_mul_f64 v[187:188], v[1:2], v[25:26]
	v_mul_f64 v[25:26], v[3:4], v[25:26]
	s_waitcnt vmcnt(56)
	v_fma_f64 v[23:24], v[9:10], v[31:32], -v[23:24]
	v_fma_f64 v[31:32], v[11:12], v[31:32], v[185:186]
	v_add_f64 v[13:14], v[13:14], v[169:170]
	v_add_f64 v[15:16], v[15:16], v[165:166]
	s_clause 0x3
	buffer_load_dword v165, off, s[0:3], 0 offset:632
	buffer_load_dword v166, off, s[0:3], 0 offset:636
	buffer_load_dword v170, off, s[0:3], 0 offset:612
	buffer_load_dword v169, off, s[0:3], 0 offset:608
	ds_read_b128 v[9:12], v164 offset:1200
	s_waitcnt vmcnt(58) lgkmcnt(1)
	v_mul_f64 v[185:186], v[5:6], v[19:20]
	v_mul_f64 v[19:20], v[7:8], v[19:20]
	s_waitcnt vmcnt(56)
	v_fma_f64 v[25:26], v[1:2], v[63:64], -v[25:26]
	v_add_f64 v[13:14], v[13:14], v[23:24]
	v_fma_f64 v[23:24], v[3:4], v[63:64], v[187:188]
	v_add_f64 v[15:16], v[15:16], v[31:32]
	s_clause 0x3
	buffer_load_dword v32, off, s[0:3], 0 offset:652
	buffer_load_dword v31, off, s[0:3], 0 offset:648
	buffer_load_dword v63, off, s[0:3], 0 offset:624
	buffer_load_dword v64, off, s[0:3], 0 offset:628
	ds_read_b128 v[1:4], v164 offset:1216
	s_waitcnt vmcnt(58) lgkmcnt(1)
	v_mul_f64 v[187:188], v[9:10], v[21:22]
	v_mul_f64 v[21:22], v[11:12], v[21:22]
	s_waitcnt vmcnt(56)
	v_fma_f64 v[19:20], v[5:6], v[57:58], -v[19:20]
	v_add_f64 v[13:14], v[13:14], v[25:26]
	v_fma_f64 v[25:26], v[7:8], v[57:58], v[185:186]
	;; [unrolled: 14-line block ×12, first 2 shown]
	v_add_f64 v[15:16], v[15:16], v[151:152]
	s_clause 0x1
	buffer_load_dword v152, off, s[0:3], 0 offset:804
	buffer_load_dword v151, off, s[0:3], 0 offset:800
	ds_read_b128 v[9:12], v164 offset:1392
	s_waitcnt vmcnt(56) lgkmcnt(1)
	v_mul_f64 v[183:184], v[5:6], v[17:18]
	v_mul_f64 v[17:18], v[7:8], v[17:18]
	s_waitcnt vmcnt(54)
	v_fma_f64 v[175:176], v[1:2], v[171:172], -v[175:176]
	v_add_f64 v[13:14], v[13:14], v[159:160]
	v_fma_f64 v[159:160], v[3:4], v[171:172], v[187:188]
	v_add_f64 v[15:16], v[15:16], v[153:154]
	ds_read_b128 v[1:4], v164 offset:1408
	s_waitcnt vmcnt(52) lgkmcnt(1)
	v_mul_f64 v[153:154], v[9:10], v[167:168]
	v_mul_f64 v[167:168], v[11:12], v[167:168]
	s_waitcnt vmcnt(50)
	v_fma_f64 v[17:18], v[5:6], v[173:174], -v[17:18]
	v_fma_f64 v[171:172], v[7:8], v[173:174], v[183:184]
	v_add_f64 v[13:14], v[13:14], v[175:176]
	v_add_f64 v[15:16], v[15:16], v[159:160]
	s_clause 0x3
	buffer_load_dword v159, off, s[0:3], 0 offset:32
	buffer_load_dword v160, off, s[0:3], 0 offset:36
	;; [unrolled: 1-line block ×4, first 2 shown]
	ds_read_b128 v[5:8], v164 offset:1424
	s_waitcnt vmcnt(52) lgkmcnt(1)
	v_mul_f64 v[175:176], v[1:2], v[165:166]
	v_mul_f64 v[165:166], v[3:4], v[165:166]
	s_waitcnt vmcnt(50)
	v_fma_f64 v[167:168], v[9:10], v[169:170], -v[167:168]
	v_add_f64 v[13:14], v[13:14], v[17:18]
	v_fma_f64 v[17:18], v[11:12], v[169:170], v[153:154]
	v_add_f64 v[15:16], v[15:16], v[171:172]
	ds_read_b128 v[9:12], v164 offset:1440
	s_waitcnt vmcnt(48) lgkmcnt(1)
	v_mul_f64 v[153:154], v[5:6], v[31:32]
	v_mul_f64 v[31:32], v[7:8], v[31:32]
	s_waitcnt vmcnt(46)
	v_fma_f64 v[165:166], v[1:2], v[63:64], -v[165:166]
	v_fma_f64 v[63:64], v[3:4], v[63:64], v[175:176]
	ds_read_b128 v[1:4], v164 offset:1456
	v_add_f64 v[13:14], v[13:14], v[167:168]
	v_add_f64 v[15:16], v[15:16], v[17:18]
	s_waitcnt vmcnt(44) lgkmcnt(1)
	v_mul_f64 v[17:18], v[9:10], v[23:24]
	v_mul_f64 v[23:24], v[11:12], v[23:24]
	s_waitcnt vmcnt(42)
	v_fma_f64 v[31:32], v[5:6], v[57:58], -v[31:32]
	v_fma_f64 v[57:58], v[7:8], v[57:58], v[153:154]
	ds_read_b128 v[5:8], v164 offset:1472
	v_add_f64 v[13:14], v[13:14], v[165:166]
	v_add_f64 v[15:16], v[15:16], v[63:64]
	;; [unrolled: 9-line block ×3, first 2 shown]
	s_waitcnt vmcnt(36) lgkmcnt(1)
	v_mul_f64 v[31:32], v[5:6], v[19:20]
	v_mul_f64 v[19:20], v[7:8], v[19:20]
	s_waitcnt vmcnt(34)
	v_fma_f64 v[25:26], v[1:2], v[65:66], -v[25:26]
	v_add_f64 v[13:14], v[13:14], v[23:24]
	v_fma_f64 v[23:24], v[3:4], v[65:66], v[63:64]
	v_add_f64 v[15:16], v[15:16], v[17:18]
	ds_read_b128 v[1:4], v164 offset:1504
	s_waitcnt vmcnt(32) lgkmcnt(1)
	v_mul_f64 v[17:18], v[9:10], v[21:22]
	v_mul_f64 v[21:22], v[11:12], v[21:22]
	s_waitcnt vmcnt(30)
	v_fma_f64 v[19:20], v[5:6], v[155:156], -v[19:20]
	v_add_f64 v[13:14], v[13:14], v[25:26]
	v_fma_f64 v[25:26], v[7:8], v[155:156], v[31:32]
	v_add_f64 v[15:16], v[15:16], v[23:24]
	ds_read_b128 v[5:8], v164 offset:1520
	s_waitcnt vmcnt(28) lgkmcnt(1)
	v_mul_f64 v[23:24], v[1:2], v[27:28]
	v_mul_f64 v[27:28], v[3:4], v[27:28]
	s_waitcnt vmcnt(26)
	v_fma_f64 v[21:22], v[9:10], v[149:150], -v[21:22]
	v_fma_f64 v[17:18], v[11:12], v[149:150], v[17:18]
	ds_read_b128 v[9:12], v164 offset:1536
	v_add_f64 v[13:14], v[13:14], v[19:20]
	v_add_f64 v[15:16], v[15:16], v[25:26]
	s_waitcnt vmcnt(24) lgkmcnt(1)
	v_mul_f64 v[25:26], v[7:8], v[29:30]
	v_mul_f64 v[19:20], v[5:6], v[29:30]
	s_waitcnt vmcnt(22)
	v_fma_f64 v[27:28], v[1:2], v[161:162], -v[27:28]
	v_add_f64 v[13:14], v[13:14], v[21:22]
	v_fma_f64 v[21:22], v[3:4], v[161:162], v[23:24]
	v_add_f64 v[15:16], v[15:16], v[17:18]
	ds_read_b128 v[1:4], v164 offset:1552
	s_waitcnt vmcnt(20) lgkmcnt(1)
	v_mul_f64 v[23:24], v[11:12], v[59:60]
	v_mul_f64 v[17:18], v[9:10], v[59:60]
	s_waitcnt vmcnt(18)
	v_fma_f64 v[25:26], v[5:6], v[157:158], -v[25:26]
	v_fma_f64 v[19:20], v[7:8], v[157:158], v[19:20]
	ds_read_b128 v[5:8], v164 offset:1568
	v_add_f64 v[13:14], v[13:14], v[27:28]
	v_add_f64 v[15:16], v[15:16], v[21:22]
	s_waitcnt vmcnt(16) lgkmcnt(1)
	v_mul_f64 v[27:28], v[3:4], v[61:62]
	v_mul_f64 v[21:22], v[1:2], v[61:62]
	s_waitcnt vmcnt(14)
	v_fma_f64 v[23:24], v[9:10], v[177:178], -v[23:24]
	v_fma_f64 v[17:18], v[11:12], v[177:178], v[17:18]
	ds_read_b128 v[9:12], v164 offset:1584
	v_add_f64 v[13:14], v[13:14], v[25:26]
	v_add_f64 v[15:16], v[15:16], v[19:20]
	s_waitcnt vmcnt(12) lgkmcnt(1)
	v_mul_f64 v[25:26], v[7:8], v[67:68]
	v_mul_f64 v[19:20], v[5:6], v[67:68]
	s_waitcnt vmcnt(10)
	v_fma_f64 v[1:2], v[1:2], v[181:182], -v[27:28]
	v_fma_f64 v[3:4], v[3:4], v[181:182], v[21:22]
	v_add_f64 v[13:14], v[13:14], v[23:24]
	v_add_f64 v[15:16], v[15:16], v[17:18]
	s_waitcnt vmcnt(8) lgkmcnt(0)
	v_mul_f64 v[21:22], v[11:12], v[145:146]
	v_mul_f64 v[17:18], v[9:10], v[145:146]
	s_waitcnt vmcnt(6)
	v_fma_f64 v[5:6], v[5:6], v[179:180], -v[25:26]
	v_fma_f64 v[7:8], v[7:8], v[179:180], v[19:20]
	v_add_f64 v[1:2], v[13:14], v[1:2]
	v_add_f64 v[3:4], v[15:16], v[3:4]
	s_waitcnt vmcnt(4)
	v_fma_f64 v[9:10], v[9:10], v[151:152], -v[21:22]
	v_add_f64 v[1:2], v[1:2], v[5:6]
	v_fma_f64 v[5:6], v[11:12], v[151:152], v[17:18]
	v_add_f64 v[3:4], v[3:4], v[7:8]
	v_add_f64 v[1:2], v[1:2], v[9:10]
	;; [unrolled: 1-line block ×3, first 2 shown]
	s_waitcnt vmcnt(2)
	v_add_f64 v[1:2], v[159:160], -v[1:2]
	s_waitcnt vmcnt(0)
	v_add_f64 v[3:4], v[173:174], -v[3:4]
	buffer_store_dword v2, off, s[0:3], 0 offset:36
	buffer_store_dword v1, off, s[0:3], 0 offset:32
	;; [unrolled: 1-line block ×4, first 2 shown]
	v_cmpx_ne_u32_e32 0, v0
	s_cbranch_execz .LBB49_313
; %bb.312:
	s_clause 0x3
	buffer_load_dword v0, off, s[0:3], 0 offset:16
	buffer_load_dword v1, off, s[0:3], 0 offset:20
	;; [unrolled: 1-line block ×4, first 2 shown]
	v_mov_b32_e32 v4, 0
	buffer_store_dword v4, off, s[0:3], 0 offset:16
	buffer_store_dword v4, off, s[0:3], 0 offset:20
	;; [unrolled: 1-line block ×4, first 2 shown]
	s_waitcnt vmcnt(0)
	ds_write_b128 v163, v[0:3]
.LBB49_313:
	s_or_b32 exec_lo, exec_lo, s4
	s_waitcnt lgkmcnt(0)
	s_waitcnt_vscnt null, 0x0
	s_barrier
	buffer_gl0_inv
	s_clause 0x37
	buffer_load_dword v16, off, s[0:3], 0 offset:40
	buffer_load_dword v17, off, s[0:3], 0 offset:44
	;; [unrolled: 1-line block ×56, first 2 shown]
	v_mov_b32_e32 v32, 0
	s_and_b32 vcc_lo, exec_lo, s62
	ds_read_b128 v[4:7], v32 offset:816
	s_clause 0x2
	buffer_load_dword v166, off, s[0:3], 0 offset:268
	buffer_load_dword v168, off, s[0:3], 0 offset:244
	;; [unrolled: 1-line block ×3, first 2 shown]
	ds_read_b128 v[0:3], v32 offset:832
	s_clause 0x4
	buffer_load_dword v176, off, s[0:3], 0 offset:284
	buffer_load_dword v177, off, s[0:3], 0 offset:296
	;; [unrolled: 1-line block ×5, first 2 shown]
	ds_read_b128 v[169:172], v32 offset:848
	s_waitcnt vmcnt(62) lgkmcnt(2)
	v_mul_f64 v[173:174], v[6:7], v[16:17]
	v_mul_f64 v[16:17], v[4:5], v[16:17]
	s_waitcnt vmcnt(60) lgkmcnt(1)
	v_mul_f64 v[180:181], v[2:3], v[12:13]
	v_mul_f64 v[12:13], v[0:1], v[12:13]
	;; [unrolled: 3-line block ×3, first 2 shown]
	v_fma_f64 v[173:174], v[4:5], v[14:15], -v[173:174]
	v_fma_f64 v[14:15], v[6:7], v[14:15], v[16:17]
	s_clause 0x2
	buffer_load_dword v178, off, s[0:3], 0 offset:300
	buffer_load_dword v17, off, s[0:3], 0 offset:276
	;; [unrolled: 1-line block ×3, first 2 shown]
	s_waitcnt vmcnt(57)
	v_fma_f64 v[184:185], v[0:1], v[8:9], -v[180:181]
	ds_read_b128 v[4:7], v32 offset:864
	v_fma_f64 v[8:9], v[2:3], v[8:9], v[12:13]
	s_waitcnt vmcnt(51)
	v_fma_f64 v[169:170], v[169:170], v[57:58], -v[10:11]
	v_fma_f64 v[57:58], v[171:172], v[57:58], v[182:183]
	v_add_f64 v[173:174], v[173:174], 0
	v_add_f64 v[12:13], v[14:15], 0
	s_clause 0x4
	buffer_load_dword v15, off, s[0:3], 0 offset:316
	buffer_load_dword v181, off, s[0:3], 0 offset:328
	;; [unrolled: 1-line block ×5, first 2 shown]
	s_waitcnt lgkmcnt(0)
	v_mul_f64 v[187:188], v[4:5], v[20:21]
	v_mul_f64 v[20:21], v[6:7], v[20:21]
	ds_read_b128 v[0:3], v32 offset:880
	s_clause 0x2
	buffer_load_dword v182, off, s[0:3], 0 offset:332
	buffer_load_dword v172, off, s[0:3], 0 offset:308
	buffer_load_dword v171, off, s[0:3], 0 offset:304
	v_add_f64 v[173:174], v[173:174], v[184:185]
	v_add_f64 v[12:13], v[12:13], v[8:9]
	ds_read_b128 v[8:11], v32 offset:896
	s_waitcnt vmcnt(58) lgkmcnt(1)
	v_mul_f64 v[183:184], v[0:1], v[24:25]
	v_mul_f64 v[24:25], v[2:3], v[24:25]
	s_waitcnt vmcnt(56)
	v_fma_f64 v[20:21], v[4:5], v[26:27], -v[20:21]
	v_fma_f64 v[26:27], v[6:7], v[26:27], v[187:188]
	s_waitcnt vmcnt(52) lgkmcnt(0)
	v_mul_f64 v[189:190], v[8:9], v[28:29]
	v_add_f64 v[169:170], v[173:174], v[169:170]
	v_add_f64 v[12:13], v[12:13], v[57:58]
	s_clause 0x4
	buffer_load_dword v58, off, s[0:3], 0 offset:348
	buffer_load_dword v173, off, s[0:3], 0 offset:360
	;; [unrolled: 1-line block ×5, first 2 shown]
	v_mul_f64 v[28:29], v[10:11], v[28:29]
	s_waitcnt vmcnt(56)
	v_fma_f64 v[24:25], v[0:1], v[18:19], -v[24:25]
	ds_read_b128 v[4:7], v32 offset:912
	v_fma_f64 v[18:19], v[2:3], v[18:19], v[183:184]
	v_add_f64 v[20:21], v[169:170], v[20:21]
	v_add_f64 v[12:13], v[12:13], v[26:27]
	s_clause 0x2
	buffer_load_dword v174, off, s[0:3], 0 offset:364
	buffer_load_dword v27, off, s[0:3], 0 offset:340
	;; [unrolled: 1-line block ×3, first 2 shown]
	s_waitcnt vmcnt(58) lgkmcnt(0)
	v_mul_f64 v[169:170], v[4:5], v[59:60]
	v_mul_f64 v[59:60], v[6:7], v[59:60]
	s_waitcnt vmcnt(56)
	v_fma_f64 v[28:29], v[8:9], v[61:62], -v[28:29]
	ds_read_b128 v[0:3], v32 offset:928
	v_add_f64 v[20:21], v[20:21], v[24:25]
	v_fma_f64 v[24:25], v[10:11], v[61:62], v[189:190]
	v_add_f64 v[12:13], v[12:13], v[18:19]
	s_clause 0x4
	buffer_load_dword v19, off, s[0:3], 0 offset:380
	buffer_load_dword v61, off, s[0:3], 0 offset:392
	;; [unrolled: 1-line block ×5, first 2 shown]
	s_waitcnt vmcnt(57) lgkmcnt(0)
	v_mul_f64 v[184:185], v[0:1], v[63:64]
	v_mul_f64 v[63:64], v[2:3], v[63:64]
	s_waitcnt vmcnt(56)
	v_fma_f64 v[59:60], v[4:5], v[22:23], -v[59:60]
	ds_read_b128 v[8:11], v32 offset:944
	v_fma_f64 v[22:23], v[6:7], v[22:23], v[169:170]
	v_add_f64 v[20:21], v[20:21], v[28:29]
	v_add_f64 v[12:13], v[12:13], v[24:25]
	s_clause 0x2
	buffer_load_dword v62, off, s[0:3], 0 offset:396
	buffer_load_dword v25, off, s[0:3], 0 offset:372
	buffer_load_dword v24, off, s[0:3], 0 offset:368
	ds_read_b128 v[4:7], v32 offset:960
	s_waitcnt vmcnt(58) lgkmcnt(1)
	v_mul_f64 v[28:29], v[8:9], v[67:68]
	v_mul_f64 v[67:68], v[10:11], v[67:68]
	s_waitcnt vmcnt(56)
	v_fma_f64 v[63:64], v[0:1], v[145:146], -v[63:64]
	v_add_f64 v[20:21], v[20:21], v[59:60]
	v_fma_f64 v[59:60], v[2:3], v[145:146], v[184:185]
	v_add_f64 v[12:13], v[12:13], v[22:23]
	s_clause 0x4
	buffer_load_dword v23, off, s[0:3], 0 offset:412
	buffer_load_dword v145, off, s[0:3], 0 offset:424
	;; [unrolled: 1-line block ×5, first 2 shown]
	s_waitcnt vmcnt(57) lgkmcnt(0)
	v_mul_f64 v[190:191], v[4:5], v[147:148]
	v_mul_f64 v[147:148], v[6:7], v[147:148]
	s_waitcnt vmcnt(56)
	v_fma_f64 v[67:68], v[8:9], v[30:31], -v[67:68]
	ds_read_b128 v[0:3], v32 offset:976
	v_fma_f64 v[28:29], v[10:11], v[30:31], v[28:29]
	s_clause 0x2
	buffer_load_dword v146, off, s[0:3], 0 offset:428
	buffer_load_dword v31, off, s[0:3], 0 offset:404
	buffer_load_dword v30, off, s[0:3], 0 offset:400
	ds_read_b128 v[8:11], v32 offset:992
	v_add_f64 v[20:21], v[20:21], v[63:64]
	v_add_f64 v[12:13], v[12:13], v[59:60]
	s_waitcnt vmcnt(58) lgkmcnt(1)
	v_mul_f64 v[63:64], v[2:3], v[151:152]
	s_waitcnt vmcnt(56)
	v_fma_f64 v[147:148], v[4:5], v[153:154], -v[147:148]
	v_mul_f64 v[59:60], v[0:1], v[151:152]
	v_add_f64 v[20:21], v[20:21], v[67:68]
	v_fma_f64 v[67:68], v[6:7], v[153:154], v[190:191]
	v_add_f64 v[12:13], v[12:13], v[28:29]
	s_clause 0x4
	buffer_load_dword v29, off, s[0:3], 0 offset:444
	buffer_load_dword v151, off, s[0:3], 0 offset:456
	buffer_load_dword v153, off, s[0:3], 0 offset:448
	buffer_load_dword v28, off, s[0:3], 0 offset:440
	buffer_load_dword v170, off, s[0:3], 0 offset:420
	s_waitcnt vmcnt(57) lgkmcnt(0)
	v_mul_f64 v[190:191], v[8:9], v[155:156]
	v_mul_f64 v[154:155], v[10:11], v[155:156]
	s_waitcnt vmcnt(56)
	v_fma_f64 v[63:64], v[0:1], v[65:66], -v[63:64]
	ds_read_b128 v[4:7], v32 offset:1008
	v_fma_f64 v[59:60], v[2:3], v[65:66], v[59:60]
	s_clause 0x2
	buffer_load_dword v152, off, s[0:3], 0 offset:460
	buffer_load_dword v66, off, s[0:3], 0 offset:436
	;; [unrolled: 1-line block ×3, first 2 shown]
	ds_read_b128 v[0:3], v32 offset:1024
	v_add_f64 v[20:21], v[20:21], v[147:148]
	v_add_f64 v[12:13], v[12:13], v[67:68]
	s_waitcnt vmcnt(58) lgkmcnt(1)
	v_mul_f64 v[147:148], v[6:7], v[159:160]
	s_waitcnt vmcnt(56)
	v_fma_f64 v[155:156], v[8:9], v[161:162], -v[154:155]
	v_mul_f64 v[67:68], v[4:5], v[159:160]
	v_add_f64 v[20:21], v[20:21], v[63:64]
	v_fma_f64 v[63:64], v[10:11], v[161:162], v[190:191]
	v_add_f64 v[12:13], v[12:13], v[59:60]
	s_clause 0x4
	buffer_load_dword v60, off, s[0:3], 0 offset:476
	buffer_load_dword v159, off, s[0:3], 0 offset:488
	;; [unrolled: 1-line block ×5, first 2 shown]
	s_waitcnt vmcnt(57) lgkmcnt(0)
	v_mul_f64 v[190:191], v[0:1], v[163:164]
	v_mul_f64 v[162:163], v[2:3], v[163:164]
	s_waitcnt vmcnt(56)
	v_fma_f64 v[147:148], v[4:5], v[149:150], -v[147:148]
	ds_read_b128 v[8:11], v32 offset:1040
	v_fma_f64 v[67:68], v[6:7], v[149:150], v[67:68]
	v_add_f64 v[20:21], v[20:21], v[155:156]
	v_add_f64 v[12:13], v[12:13], v[63:64]
	s_clause 0x2
	buffer_load_dword v160, off, s[0:3], 0 offset:492
	buffer_load_dword v64, off, s[0:3], 0 offset:468
	;; [unrolled: 1-line block ×3, first 2 shown]
	ds_read_b128 v[4:7], v32 offset:1056
	s_waitcnt vmcnt(58) lgkmcnt(1)
	v_mul_f64 v[155:156], v[10:11], v[165:166]
	s_waitcnt vmcnt(56)
	v_fma_f64 v[163:164], v[0:1], v[167:168], -v[162:163]
	v_mul_f64 v[149:150], v[8:9], v[165:166]
	v_add_f64 v[20:21], v[20:21], v[147:148]
	v_fma_f64 v[147:148], v[2:3], v[167:168], v[190:191]
	v_add_f64 v[12:13], v[12:13], v[67:68]
	s_clause 0x4
	buffer_load_dword v68, off, s[0:3], 0 offset:508
	buffer_load_dword v165, off, s[0:3], 0 offset:520
	;; [unrolled: 1-line block ×5, first 2 shown]
	s_waitcnt vmcnt(57) lgkmcnt(0)
	v_mul_f64 v[190:191], v[4:5], v[175:176]
	v_mul_f64 v[175:176], v[6:7], v[175:176]
	s_waitcnt vmcnt(56)
	v_fma_f64 v[155:156], v[8:9], v[157:158], -v[155:156]
	ds_read_b128 v[0:3], v32 offset:1072
	v_fma_f64 v[149:150], v[10:11], v[157:158], v[149:150]
	v_add_f64 v[20:21], v[20:21], v[163:164]
	v_add_f64 v[12:13], v[12:13], v[147:148]
	s_clause 0x2
	buffer_load_dword v166, off, s[0:3], 0 offset:524
	buffer_load_dword v148, off, s[0:3], 0 offset:500
	;; [unrolled: 1-line block ×3, first 2 shown]
	ds_read_b128 v[8:11], v32 offset:1088
	s_waitcnt vmcnt(58) lgkmcnt(1)
	v_mul_f64 v[163:164], v[2:3], v[177:178]
	v_mul_f64 v[157:158], v[0:1], v[177:178]
	s_waitcnt vmcnt(56)
	v_fma_f64 v[175:176], v[4:5], v[16:17], -v[175:176]
	v_fma_f64 v[16:17], v[6:7], v[16:17], v[190:191]
	v_add_f64 v[20:21], v[20:21], v[155:156]
	v_add_f64 v[12:13], v[12:13], v[149:150]
	s_clause 0x4
	buffer_load_dword v150, off, s[0:3], 0 offset:540
	buffer_load_dword v155, off, s[0:3], 0 offset:552
	;; [unrolled: 1-line block ×5, first 2 shown]
	ds_read_b128 v[4:7], v32 offset:1104
	s_waitcnt vmcnt(57) lgkmcnt(1)
	v_mul_f64 v[190:191], v[8:9], v[14:15]
	v_mul_f64 v[14:15], v[10:11], v[14:15]
	s_waitcnt vmcnt(56)
	v_fma_f64 v[163:164], v[0:1], v[179:180], -v[163:164]
	v_fma_f64 v[157:158], v[2:3], v[179:180], v[157:158]
	v_add_f64 v[20:21], v[20:21], v[175:176]
	v_add_f64 v[12:13], v[12:13], v[16:17]
	s_clause 0x2
	buffer_load_dword v156, off, s[0:3], 0 offset:556
	buffer_load_dword v17, off, s[0:3], 0 offset:532
	;; [unrolled: 1-line block ×3, first 2 shown]
	s_waitcnt vmcnt(58) lgkmcnt(0)
	v_mul_f64 v[179:180], v[6:7], v[181:182]
	ds_read_b128 v[0:3], v32 offset:1120
	v_mul_f64 v[175:176], v[4:5], v[181:182]
	s_waitcnt vmcnt(56)
	v_fma_f64 v[14:15], v[8:9], v[171:172], -v[14:15]
	v_add_f64 v[20:21], v[20:21], v[163:164]
	v_fma_f64 v[163:164], v[10:11], v[171:172], v[190:191]
	v_add_f64 v[12:13], v[12:13], v[157:158]
	s_clause 0x4
	buffer_load_dword v158, off, s[0:3], 0 offset:572
	buffer_load_dword v171, off, s[0:3], 0 offset:584
	;; [unrolled: 1-line block ×5, first 2 shown]
	ds_read_b128 v[8:11], v32 offset:1136
	s_waitcnt vmcnt(57) lgkmcnt(1)
	v_mul_f64 v[190:191], v[0:1], v[57:58]
	v_mul_f64 v[57:58], v[2:3], v[57:58]
	s_waitcnt vmcnt(56)
	v_fma_f64 v[179:180], v[4:5], v[186:187], -v[179:180]
	v_add_f64 v[14:15], v[20:21], v[14:15]
	v_fma_f64 v[20:21], v[6:7], v[186:187], v[175:176]
	v_add_f64 v[12:13], v[12:13], v[163:164]
	s_clause 0x2
	buffer_load_dword v172, off, s[0:3], 0 offset:588
	buffer_load_dword v164, off, s[0:3], 0 offset:564
	;; [unrolled: 1-line block ×3, first 2 shown]
	ds_read_b128 v[4:7], v32 offset:1152
	s_waitcnt vmcnt(58) lgkmcnt(1)
	v_mul_f64 v[175:176], v[8:9], v[173:174]
	v_mul_f64 v[173:174], v[10:11], v[173:174]
	s_waitcnt vmcnt(56)
	v_fma_f64 v[57:58], v[0:1], v[26:27], -v[57:58]
	v_fma_f64 v[26:27], v[2:3], v[26:27], v[190:191]
	v_add_f64 v[14:15], v[14:15], v[179:180]
	v_add_f64 v[12:13], v[12:13], v[20:21]
	s_clause 0x4
	buffer_load_dword v21, off, s[0:3], 0 offset:604
	buffer_load_dword v179, off, s[0:3], 0 offset:616
	;; [unrolled: 1-line block ×5, first 2 shown]
	ds_read_b128 v[0:3], v32 offset:1168
	s_waitcnt vmcnt(57) lgkmcnt(1)
	v_mul_f64 v[186:187], v[4:5], v[18:19]
	v_mul_f64 v[18:19], v[6:7], v[18:19]
	s_waitcnt vmcnt(56)
	v_fma_f64 v[173:174], v[8:9], v[188:189], -v[173:174]
	v_add_f64 v[14:15], v[14:15], v[57:58]
	v_fma_f64 v[57:58], v[10:11], v[188:189], v[175:176]
	v_add_f64 v[12:13], v[12:13], v[26:27]
	s_clause 0x2
	buffer_load_dword v180, off, s[0:3], 0 offset:620
	buffer_load_dword v27, off, s[0:3], 0 offset:596
	;; [unrolled: 1-line block ×3, first 2 shown]
	ds_read_b128 v[8:11], v32 offset:1184
	s_waitcnt vmcnt(58) lgkmcnt(1)
	v_mul_f64 v[175:176], v[0:1], v[61:62]
	v_mul_f64 v[61:62], v[2:3], v[61:62]
	s_waitcnt vmcnt(56)
	v_fma_f64 v[18:19], v[4:5], v[24:25], -v[18:19]
	v_fma_f64 v[24:25], v[6:7], v[24:25], v[186:187]
	v_add_f64 v[14:15], v[14:15], v[173:174]
	v_add_f64 v[12:13], v[12:13], v[57:58]
	s_clause 0x4
	buffer_load_dword v58, off, s[0:3], 0 offset:636
	buffer_load_dword v173, off, s[0:3], 0 offset:648
	;; [unrolled: 1-line block ×5, first 2 shown]
	ds_read_b128 v[4:7], v32 offset:1200
	s_waitcnt vmcnt(57) lgkmcnt(1)
	v_mul_f64 v[188:189], v[8:9], v[22:23]
	v_mul_f64 v[22:23], v[10:11], v[22:23]
	s_waitcnt vmcnt(56)
	v_fma_f64 v[61:62], v[0:1], v[183:184], -v[61:62]
	v_add_f64 v[14:15], v[14:15], v[18:19]
	v_fma_f64 v[18:19], v[2:3], v[183:184], v[175:176]
	v_add_f64 v[12:13], v[12:13], v[24:25]
	s_clause 0x2
	buffer_load_dword v174, off, s[0:3], 0 offset:652
	buffer_load_dword v25, off, s[0:3], 0 offset:628
	;; [unrolled: 1-line block ×3, first 2 shown]
	s_waitcnt vmcnt(58) lgkmcnt(0)
	v_mul_f64 v[175:176], v[4:5], v[145:146]
	v_mul_f64 v[145:146], v[6:7], v[145:146]
	ds_read_b128 v[0:3], v32 offset:1216
	s_waitcnt vmcnt(56)
	v_fma_f64 v[22:23], v[8:9], v[30:31], -v[22:23]
	v_fma_f64 v[30:31], v[10:11], v[30:31], v[188:189]
	v_add_f64 v[14:15], v[14:15], v[61:62]
	v_add_f64 v[12:13], v[12:13], v[18:19]
	s_clause 0x4
	buffer_load_dword v19, off, s[0:3], 0 offset:668
	buffer_load_dword v61, off, s[0:3], 0 offset:680
	;; [unrolled: 1-line block ×5, first 2 shown]
	ds_read_b128 v[8:11], v32 offset:1232
	s_waitcnt vmcnt(57) lgkmcnt(1)
	v_mul_f64 v[189:190], v[0:1], v[28:29]
	v_mul_f64 v[28:29], v[2:3], v[28:29]
	s_waitcnt vmcnt(56)
	v_fma_f64 v[145:146], v[4:5], v[169:170], -v[145:146]
	v_add_f64 v[14:15], v[14:15], v[22:23]
	v_fma_f64 v[22:23], v[6:7], v[169:170], v[175:176]
	v_add_f64 v[12:13], v[12:13], v[30:31]
	s_clause 0x2
	buffer_load_dword v62, off, s[0:3], 0 offset:684
	buffer_load_dword v31, off, s[0:3], 0 offset:660
	;; [unrolled: 1-line block ×3, first 2 shown]
	s_waitcnt vmcnt(58) lgkmcnt(0)
	v_mul_f64 v[169:170], v[8:9], v[151:152]
	v_mul_f64 v[151:152], v[10:11], v[151:152]
	ds_read_b128 v[4:7], v32 offset:1248
	s_waitcnt vmcnt(56)
	v_fma_f64 v[28:29], v[0:1], v[65:66], -v[28:29]
	v_fma_f64 v[65:66], v[2:3], v[65:66], v[189:190]
	v_add_f64 v[14:15], v[14:15], v[145:146]
	v_add_f64 v[12:13], v[12:13], v[22:23]
	s_clause 0x4
	buffer_load_dword v23, off, s[0:3], 0 offset:700
	buffer_load_dword v145, off, s[0:3], 0 offset:712
	buffer_load_dword v175, off, s[0:3], 0 offset:704
	buffer_load_dword v22, off, s[0:3], 0 offset:696
	buffer_load_dword v184, off, s[0:3], 0 offset:676
	ds_read_b128 v[0:3], v32 offset:1264
	s_waitcnt vmcnt(57) lgkmcnt(1)
	v_mul_f64 v[189:190], v[4:5], v[59:60]
	v_mul_f64 v[59:60], v[6:7], v[59:60]
	s_waitcnt vmcnt(56)
	v_fma_f64 v[151:152], v[8:9], v[153:154], -v[151:152]
	v_add_f64 v[14:15], v[14:15], v[28:29]
	v_fma_f64 v[28:29], v[10:11], v[153:154], v[169:170]
	v_add_f64 v[12:13], v[12:13], v[65:66]
	s_clause 0x2
	buffer_load_dword v146, off, s[0:3], 0 offset:716
	buffer_load_dword v66, off, s[0:3], 0 offset:692
	buffer_load_dword v65, off, s[0:3], 0 offset:688
	ds_read_b128 v[8:11], v32 offset:1280
	s_waitcnt vmcnt(58) lgkmcnt(1)
	v_mul_f64 v[153:154], v[0:1], v[159:160]
	v_mul_f64 v[159:160], v[2:3], v[159:160]
	s_waitcnt vmcnt(56)
	v_fma_f64 v[59:60], v[4:5], v[63:64], -v[59:60]
	v_fma_f64 v[63:64], v[6:7], v[63:64], v[189:190]
	v_add_f64 v[14:15], v[14:15], v[151:152]
	v_add_f64 v[12:13], v[12:13], v[28:29]
	s_clause 0x4
	buffer_load_dword v29, off, s[0:3], 0 offset:732
	buffer_load_dword v151, off, s[0:3], 0 offset:744
	buffer_load_dword v169, off, s[0:3], 0 offset:736
	buffer_load_dword v28, off, s[0:3], 0 offset:728
	buffer_load_dword v176, off, s[0:3], 0 offset:708
	ds_read_b128 v[4:7], v32 offset:1296
	s_waitcnt vmcnt(57) lgkmcnt(1)
	v_mul_f64 v[189:190], v[8:9], v[67:68]
	v_mul_f64 v[67:68], v[10:11], v[67:68]
	s_waitcnt vmcnt(56)
	v_fma_f64 v[159:160], v[0:1], v[161:162], -v[159:160]
	v_add_f64 v[14:15], v[14:15], v[59:60]
	v_fma_f64 v[59:60], v[2:3], v[161:162], v[153:154]
	v_add_f64 v[12:13], v[12:13], v[63:64]
	s_clause 0x2
	buffer_load_dword v152, off, s[0:3], 0 offset:748
	buffer_load_dword v64, off, s[0:3], 0 offset:724
	buffer_load_dword v63, off, s[0:3], 0 offset:720
	ds_read_b128 v[0:3], v32 offset:1312
	s_waitcnt vmcnt(58) lgkmcnt(1)
	v_mul_f64 v[161:162], v[6:7], v[165:166]
	v_mul_f64 v[153:154], v[4:5], v[165:166]
	;; [unrolled: 28-line block ×3, first 2 shown]
	s_waitcnt vmcnt(56)
	v_fma_f64 v[149:150], v[0:1], v[16:17], -v[149:150]
	v_fma_f64 v[16:17], v[2:3], v[16:17], v[189:190]
	v_add_f64 v[14:15], v[14:15], v[161:162]
	v_add_f64 v[12:13], v[12:13], v[67:68]
	s_clause 0x4
	buffer_load_dword v68, off, s[0:3], 0 offset:796
	buffer_load_dword v161, off, s[0:3], 0 offset:808
	buffer_load_dword v167, off, s[0:3], 0 offset:800
	buffer_load_dword v67, off, s[0:3], 0 offset:792
	buffer_load_dword v166, off, s[0:3], 0 offset:772
	ds_read_b128 v[0:3], v32 offset:1360
	s_waitcnt vmcnt(57) lgkmcnt(1)
	v_mul_f64 v[189:190], v[4:5], v[157:158]
	v_mul_f64 v[157:158], v[6:7], v[157:158]
	s_waitcnt vmcnt(56)
	v_fma_f64 v[155:156], v[8:9], v[177:178], -v[155:156]
	v_add_f64 v[14:15], v[14:15], v[149:150]
	v_fma_f64 v[149:150], v[10:11], v[177:178], v[153:154]
	v_add_f64 v[12:13], v[12:13], v[16:17]
	s_clause 0x2
	buffer_load_dword v162, off, s[0:3], 0 offset:812
	buffer_load_dword v17, off, s[0:3], 0 offset:788
	;; [unrolled: 1-line block ×3, first 2 shown]
	ds_read_b128 v[8:11], v32 offset:1376
	buffer_load_dword v168, off, s[0:3], 0 offset:804
	s_waitcnt vmcnt(59) lgkmcnt(1)
	v_mul_f64 v[153:154], v[0:1], v[171:172]
	v_mul_f64 v[171:172], v[2:3], v[171:172]
	s_waitcnt vmcnt(57)
	v_fma_f64 v[157:158], v[4:5], v[163:164], -v[157:158]
	v_add_f64 v[14:15], v[14:15], v[155:156]
	v_fma_f64 v[155:156], v[6:7], v[163:164], v[189:190]
	v_add_f64 v[12:13], v[12:13], v[149:150]
	ds_read_b128 v[4:7], v32 offset:1392
	s_waitcnt vmcnt(53) lgkmcnt(1)
	v_mul_f64 v[149:150], v[8:9], v[20:21]
	v_mul_f64 v[20:21], v[10:11], v[20:21]
	s_waitcnt vmcnt(52)
	v_fma_f64 v[163:164], v[0:1], v[181:182], -v[171:172]
	v_fma_f64 v[153:154], v[2:3], v[181:182], v[153:154]
	ds_read_b128 v[0:3], v32 offset:1408
	v_add_f64 v[14:15], v[14:15], v[157:158]
	v_add_f64 v[12:13], v[12:13], v[155:156]
	s_waitcnt vmcnt(51) lgkmcnt(1)
	v_mul_f64 v[157:158], v[6:7], v[179:180]
	v_mul_f64 v[155:156], v[4:5], v[179:180]
	s_waitcnt vmcnt(49)
	v_fma_f64 v[20:21], v[8:9], v[26:27], -v[20:21]
	v_fma_f64 v[26:27], v[10:11], v[26:27], v[149:150]
	v_add_f64 v[14:15], v[14:15], v[163:164]
	v_add_f64 v[12:13], v[12:13], v[153:154]
	s_clause 0x3
	buffer_load_dword v149, off, s[0:3], 0 offset:16
	buffer_load_dword v150, off, s[0:3], 0 offset:20
	;; [unrolled: 1-line block ×4, first 2 shown]
	ds_read_b128 v[8:11], v32 offset:1424
	s_waitcnt vmcnt(49) lgkmcnt(1)
	v_mul_f64 v[163:164], v[0:1], v[57:58]
	v_mul_f64 v[57:58], v[2:3], v[57:58]
	s_waitcnt vmcnt(48)
	v_fma_f64 v[157:158], v[4:5], v[185:186], -v[157:158]
	v_add_f64 v[14:15], v[14:15], v[20:21]
	v_fma_f64 v[20:21], v[6:7], v[185:186], v[155:156]
	v_add_f64 v[12:13], v[12:13], v[26:27]
	ds_read_b128 v[4:7], v32 offset:1440
	s_waitcnt vmcnt(47) lgkmcnt(1)
	v_mul_f64 v[155:156], v[10:11], v[173:174]
	v_mul_f64 v[26:27], v[8:9], v[173:174]
	s_waitcnt vmcnt(45)
	v_fma_f64 v[57:58], v[0:1], v[24:25], -v[57:58]
	v_fma_f64 v[24:25], v[2:3], v[24:25], v[163:164]
	ds_read_b128 v[0:3], v32 offset:1456
	v_add_f64 v[14:15], v[14:15], v[157:158]
	v_add_f64 v[12:13], v[12:13], v[20:21]
	s_waitcnt vmcnt(41) lgkmcnt(1)
	v_mul_f64 v[20:21], v[4:5], v[18:19]
	v_mul_f64 v[18:19], v[6:7], v[18:19]
	s_waitcnt vmcnt(40)
	v_fma_f64 v[155:156], v[8:9], v[187:188], -v[155:156]
	v_fma_f64 v[26:27], v[10:11], v[187:188], v[26:27]
	ds_read_b128 v[8:11], v32 offset:1472
	v_add_f64 v[14:15], v[14:15], v[57:58]
	v_add_f64 v[12:13], v[12:13], v[24:25]
	s_waitcnt vmcnt(39) lgkmcnt(1)
	v_mul_f64 v[57:58], v[2:3], v[61:62]
	v_mul_f64 v[24:25], v[0:1], v[61:62]
	s_waitcnt vmcnt(37)
	v_fma_f64 v[18:19], v[4:5], v[30:31], -v[18:19]
	v_fma_f64 v[20:21], v[6:7], v[30:31], v[20:21]
	ds_read_b128 v[4:7], v32 offset:1488
	v_add_f64 v[14:15], v[14:15], v[155:156]
	v_add_f64 v[12:13], v[12:13], v[26:27]
	s_waitcnt vmcnt(33) lgkmcnt(1)
	v_mul_f64 v[26:27], v[8:9], v[22:23]
	v_mul_f64 v[22:23], v[10:11], v[22:23]
	s_waitcnt vmcnt(32)
	v_fma_f64 v[30:31], v[0:1], v[183:184], -v[57:58]
	v_add_f64 v[14:15], v[14:15], v[18:19]
	v_fma_f64 v[18:19], v[2:3], v[183:184], v[24:25]
	v_add_f64 v[12:13], v[12:13], v[20:21]
	ds_read_b128 v[0:3], v32 offset:1504
	s_waitcnt vmcnt(31) lgkmcnt(1)
	v_mul_f64 v[24:25], v[6:7], v[145:146]
	v_mul_f64 v[20:21], v[4:5], v[145:146]
	s_waitcnt vmcnt(29)
	v_fma_f64 v[22:23], v[8:9], v[65:66], -v[22:23]
	v_fma_f64 v[26:27], v[10:11], v[65:66], v[26:27]
	ds_read_b128 v[8:11], v32 offset:1520
	v_add_f64 v[14:15], v[14:15], v[30:31]
	v_add_f64 v[12:13], v[12:13], v[18:19]
	s_waitcnt vmcnt(25) lgkmcnt(1)
	v_mul_f64 v[18:19], v[0:1], v[28:29]
	v_mul_f64 v[28:29], v[2:3], v[28:29]
	s_waitcnt vmcnt(24)
	v_fma_f64 v[24:25], v[4:5], v[175:176], -v[24:25]
	v_fma_f64 v[20:21], v[6:7], v[175:176], v[20:21]
	ds_read_b128 v[4:7], v32 offset:1536
	v_add_f64 v[14:15], v[14:15], v[22:23]
	v_add_f64 v[12:13], v[12:13], v[26:27]
	;; [unrolled: 9-line block ×3, first 2 shown]
	s_waitcnt vmcnt(17) lgkmcnt(1)
	v_mul_f64 v[24:25], v[6:7], v[59:60]
	s_waitcnt vmcnt(16)
	v_fma_f64 v[26:27], v[8:9], v[169:170], -v[26:27]
	v_mul_f64 v[20:21], v[4:5], v[59:60]
	v_fma_f64 v[22:23], v[10:11], v[169:170], v[22:23]
	ds_read_b128 v[8:11], v32 offset:1568
	v_add_f64 v[14:15], v[14:15], v[28:29]
	v_add_f64 v[12:13], v[12:13], v[18:19]
	s_waitcnt vmcnt(15) lgkmcnt(1)
	v_mul_f64 v[28:29], v[2:3], v[159:160]
	v_mul_f64 v[18:19], v[0:1], v[159:160]
	s_waitcnt vmcnt(13)
	v_fma_f64 v[24:25], v[4:5], v[147:148], -v[24:25]
	v_fma_f64 v[20:21], v[6:7], v[147:148], v[20:21]
	ds_read_b128 v[4:7], v32 offset:1584
	v_add_f64 v[14:15], v[14:15], v[26:27]
	v_add_f64 v[12:13], v[12:13], v[22:23]
	s_waitcnt vmcnt(9) lgkmcnt(1)
	v_mul_f64 v[26:27], v[10:11], v[67:68]
	s_waitcnt vmcnt(8)
	v_fma_f64 v[0:1], v[0:1], v[165:166], -v[28:29]
	v_mul_f64 v[22:23], v[8:9], v[67:68]
	v_fma_f64 v[2:3], v[2:3], v[165:166], v[18:19]
	v_add_f64 v[14:15], v[14:15], v[24:25]
	v_add_f64 v[12:13], v[12:13], v[20:21]
	s_waitcnt vmcnt(7) lgkmcnt(0)
	v_mul_f64 v[20:21], v[6:7], v[161:162]
	v_mul_f64 v[18:19], v[4:5], v[161:162]
	s_waitcnt vmcnt(5)
	v_fma_f64 v[8:9], v[8:9], v[16:17], -v[26:27]
	v_fma_f64 v[10:11], v[10:11], v[16:17], v[22:23]
	v_add_f64 v[0:1], v[14:15], v[0:1]
	v_add_f64 v[2:3], v[12:13], v[2:3]
	s_waitcnt vmcnt(4)
	v_fma_f64 v[4:5], v[4:5], v[167:168], -v[20:21]
	v_fma_f64 v[6:7], v[6:7], v[167:168], v[18:19]
	v_add_f64 v[0:1], v[0:1], v[8:9]
	v_add_f64 v[2:3], v[2:3], v[10:11]
	;; [unrolled: 1-line block ×4, first 2 shown]
	s_waitcnt vmcnt(2)
	v_add_f64 v[0:1], v[149:150], -v[0:1]
	s_waitcnt vmcnt(0)
	v_add_f64 v[2:3], v[153:154], -v[2:3]
	buffer_store_dword v1, off, s[0:3], 0 offset:20
	buffer_store_dword v0, off, s[0:3], 0 offset:16
	;; [unrolled: 1-line block ×4, first 2 shown]
	s_cbranch_vccz .LBB49_412
; %bb.314:
	global_load_dword v0, v32, s[20:21] offset:192
	s_waitcnt vmcnt(0)
	v_add_nc_u32_e32 v0, -1, v0
	v_cmp_ne_u32_e32 vcc_lo, 48, v0
	s_cbranch_vccz .LBB49_316
; %bb.315:
	v_lshlrev_b32_e32 v0, 4, v0
	v_mov_b32_e32 v1, s15
	v_add_nc_u32_e32 v0, 16, v0
	s_clause 0x7
	buffer_load_dword v2, v0, s[0:3], 0 offen
	buffer_load_dword v3, v0, s[0:3], 0 offen offset:4
	buffer_load_dword v4, v0, s[0:3], 0 offen offset:8
	;; [unrolled: 1-line block ×6, first 2 shown]
	buffer_load_dword v9, v1, s[0:3], 0 offen
	s_waitcnt vmcnt(7)
	buffer_store_dword v2, v1, s[0:3], 0 offen
	s_waitcnt vmcnt(6)
	buffer_store_dword v3, v1, s[0:3], 0 offen offset:4
	s_waitcnt vmcnt(5)
	buffer_store_dword v4, v1, s[0:3], 0 offen offset:8
	s_waitcnt vmcnt(4)
	buffer_store_dword v5, v1, s[0:3], 0 offen offset:12
	s_waitcnt vmcnt(3)
	buffer_store_dword v6, v0, s[0:3], 0 offen offset:12
	s_waitcnt vmcnt(2)
	buffer_store_dword v7, v0, s[0:3], 0 offen offset:8
	s_waitcnt vmcnt(1)
	buffer_store_dword v8, v0, s[0:3], 0 offen offset:4
	s_waitcnt vmcnt(0)
	buffer_store_dword v9, v0, s[0:3], 0 offen
.LBB49_316:
	v_mov_b32_e32 v0, 0
	global_load_dword v1, v0, s[20:21] offset:188
	s_waitcnt vmcnt(0)
	v_add_nc_u32_e32 v1, -1, v1
	v_cmp_eq_u32_e32 vcc_lo, 47, v1
	s_cbranch_vccnz .LBB49_318
; %bb.317:
	v_lshlrev_b32_e32 v1, 4, v1
	v_mov_b32_e32 v2, s13
	v_add_nc_u32_e32 v1, 16, v1
	s_clause 0x7
	buffer_load_dword v3, v1, s[0:3], 0 offen
	buffer_load_dword v4, v1, s[0:3], 0 offen offset:4
	buffer_load_dword v5, v1, s[0:3], 0 offen offset:8
	;; [unrolled: 1-line block ×6, first 2 shown]
	buffer_load_dword v10, v2, s[0:3], 0 offen
	s_waitcnt vmcnt(7)
	buffer_store_dword v3, v2, s[0:3], 0 offen
	s_waitcnt vmcnt(6)
	buffer_store_dword v4, v2, s[0:3], 0 offen offset:4
	s_waitcnt vmcnt(5)
	buffer_store_dword v5, v2, s[0:3], 0 offen offset:8
	;; [unrolled: 2-line block ×6, first 2 shown]
	s_waitcnt vmcnt(0)
	buffer_store_dword v10, v1, s[0:3], 0 offen
.LBB49_318:
	global_load_dword v0, v0, s[20:21] offset:184
	s_waitcnt vmcnt(0)
	v_add_nc_u32_e32 v0, -1, v0
	v_cmp_eq_u32_e32 vcc_lo, 46, v0
	s_cbranch_vccnz .LBB49_320
; %bb.319:
	v_lshlrev_b32_e32 v0, 4, v0
	v_mov_b32_e32 v1, s12
	v_add_nc_u32_e32 v0, 16, v0
	s_clause 0x7
	buffer_load_dword v2, v0, s[0:3], 0 offen
	buffer_load_dword v3, v0, s[0:3], 0 offen offset:4
	buffer_load_dword v4, v0, s[0:3], 0 offen offset:8
	;; [unrolled: 1-line block ×6, first 2 shown]
	buffer_load_dword v9, v1, s[0:3], 0 offen
	s_waitcnt vmcnt(7)
	buffer_store_dword v2, v1, s[0:3], 0 offen
	s_waitcnt vmcnt(6)
	buffer_store_dword v3, v1, s[0:3], 0 offen offset:4
	s_waitcnt vmcnt(5)
	buffer_store_dword v4, v1, s[0:3], 0 offen offset:8
	;; [unrolled: 2-line block ×6, first 2 shown]
	s_waitcnt vmcnt(0)
	buffer_store_dword v9, v0, s[0:3], 0 offen
.LBB49_320:
	v_mov_b32_e32 v0, 0
	global_load_dword v1, v0, s[20:21] offset:180
	s_waitcnt vmcnt(0)
	v_add_nc_u32_e32 v1, -1, v1
	v_cmp_eq_u32_e32 vcc_lo, 45, v1
	s_cbranch_vccnz .LBB49_322
; %bb.321:
	v_lshlrev_b32_e32 v1, 4, v1
	v_mov_b32_e32 v2, s9
	v_add_nc_u32_e32 v1, 16, v1
	s_clause 0x7
	buffer_load_dword v3, v1, s[0:3], 0 offen
	buffer_load_dword v4, v1, s[0:3], 0 offen offset:4
	buffer_load_dword v5, v1, s[0:3], 0 offen offset:8
	;; [unrolled: 1-line block ×6, first 2 shown]
	buffer_load_dword v10, v2, s[0:3], 0 offen
	s_waitcnt vmcnt(7)
	buffer_store_dword v3, v2, s[0:3], 0 offen
	s_waitcnt vmcnt(6)
	buffer_store_dword v4, v2, s[0:3], 0 offen offset:4
	s_waitcnt vmcnt(5)
	buffer_store_dword v5, v2, s[0:3], 0 offen offset:8
	;; [unrolled: 2-line block ×6, first 2 shown]
	s_waitcnt vmcnt(0)
	buffer_store_dword v10, v1, s[0:3], 0 offen
.LBB49_322:
	global_load_dword v0, v0, s[20:21] offset:176
	s_waitcnt vmcnt(0)
	v_add_nc_u32_e32 v0, -1, v0
	v_cmp_eq_u32_e32 vcc_lo, 44, v0
	s_cbranch_vccnz .LBB49_324
; %bb.323:
	v_lshlrev_b32_e32 v0, 4, v0
	v_mov_b32_e32 v1, s23
	v_add_nc_u32_e32 v0, 16, v0
	s_clause 0x7
	buffer_load_dword v2, v0, s[0:3], 0 offen
	buffer_load_dword v3, v0, s[0:3], 0 offen offset:4
	buffer_load_dword v4, v0, s[0:3], 0 offen offset:8
	;; [unrolled: 1-line block ×6, first 2 shown]
	buffer_load_dword v9, v1, s[0:3], 0 offen
	s_waitcnt vmcnt(7)
	buffer_store_dword v2, v1, s[0:3], 0 offen
	s_waitcnt vmcnt(6)
	buffer_store_dword v3, v1, s[0:3], 0 offen offset:4
	s_waitcnt vmcnt(5)
	buffer_store_dword v4, v1, s[0:3], 0 offen offset:8
	;; [unrolled: 2-line block ×6, first 2 shown]
	s_waitcnt vmcnt(0)
	buffer_store_dword v9, v0, s[0:3], 0 offen
.LBB49_324:
	v_mov_b32_e32 v0, 0
	global_load_dword v1, v0, s[20:21] offset:172
	s_waitcnt vmcnt(0)
	v_add_nc_u32_e32 v1, -1, v1
	v_cmp_eq_u32_e32 vcc_lo, 43, v1
	s_cbranch_vccnz .LBB49_326
; %bb.325:
	v_lshlrev_b32_e32 v1, 4, v1
	v_mov_b32_e32 v2, s18
	v_add_nc_u32_e32 v1, 16, v1
	s_clause 0x7
	buffer_load_dword v3, v1, s[0:3], 0 offen
	buffer_load_dword v4, v1, s[0:3], 0 offen offset:4
	buffer_load_dword v5, v1, s[0:3], 0 offen offset:8
	;; [unrolled: 1-line block ×6, first 2 shown]
	buffer_load_dword v10, v2, s[0:3], 0 offen
	s_waitcnt vmcnt(7)
	buffer_store_dword v3, v2, s[0:3], 0 offen
	s_waitcnt vmcnt(6)
	buffer_store_dword v4, v2, s[0:3], 0 offen offset:4
	s_waitcnt vmcnt(5)
	buffer_store_dword v5, v2, s[0:3], 0 offen offset:8
	;; [unrolled: 2-line block ×6, first 2 shown]
	s_waitcnt vmcnt(0)
	buffer_store_dword v10, v1, s[0:3], 0 offen
.LBB49_326:
	global_load_dword v0, v0, s[20:21] offset:168
	s_waitcnt vmcnt(0)
	v_add_nc_u32_e32 v0, -1, v0
	v_cmp_eq_u32_e32 vcc_lo, 42, v0
	s_cbranch_vccnz .LBB49_328
; %bb.327:
	v_lshlrev_b32_e32 v0, 4, v0
	v_mov_b32_e32 v1, s22
	v_add_nc_u32_e32 v0, 16, v0
	s_clause 0x7
	buffer_load_dword v2, v0, s[0:3], 0 offen
	buffer_load_dword v3, v0, s[0:3], 0 offen offset:4
	buffer_load_dword v4, v0, s[0:3], 0 offen offset:8
	;; [unrolled: 1-line block ×6, first 2 shown]
	buffer_load_dword v9, v1, s[0:3], 0 offen
	s_waitcnt vmcnt(7)
	buffer_store_dword v2, v1, s[0:3], 0 offen
	s_waitcnt vmcnt(6)
	buffer_store_dword v3, v1, s[0:3], 0 offen offset:4
	s_waitcnt vmcnt(5)
	buffer_store_dword v4, v1, s[0:3], 0 offen offset:8
	;; [unrolled: 2-line block ×6, first 2 shown]
	s_waitcnt vmcnt(0)
	buffer_store_dword v9, v0, s[0:3], 0 offen
.LBB49_328:
	v_mov_b32_e32 v0, 0
	global_load_dword v1, v0, s[20:21] offset:164
	s_waitcnt vmcnt(0)
	v_add_nc_u32_e32 v1, -1, v1
	v_cmp_eq_u32_e32 vcc_lo, 41, v1
	s_cbranch_vccnz .LBB49_330
; %bb.329:
	v_lshlrev_b32_e32 v1, 4, v1
	v_mov_b32_e32 v2, s17
	v_add_nc_u32_e32 v1, 16, v1
	s_clause 0x7
	buffer_load_dword v3, v1, s[0:3], 0 offen
	buffer_load_dword v4, v1, s[0:3], 0 offen offset:4
	buffer_load_dword v5, v1, s[0:3], 0 offen offset:8
	;; [unrolled: 1-line block ×6, first 2 shown]
	buffer_load_dword v10, v2, s[0:3], 0 offen
	s_waitcnt vmcnt(7)
	buffer_store_dword v3, v2, s[0:3], 0 offen
	s_waitcnt vmcnt(6)
	buffer_store_dword v4, v2, s[0:3], 0 offen offset:4
	s_waitcnt vmcnt(5)
	buffer_store_dword v5, v2, s[0:3], 0 offen offset:8
	;; [unrolled: 2-line block ×6, first 2 shown]
	s_waitcnt vmcnt(0)
	buffer_store_dword v10, v1, s[0:3], 0 offen
.LBB49_330:
	global_load_dword v0, v0, s[20:21] offset:160
	s_waitcnt vmcnt(0)
	v_add_nc_u32_e32 v0, -1, v0
	v_cmp_eq_u32_e32 vcc_lo, 40, v0
	s_cbranch_vccnz .LBB49_332
; %bb.331:
	v_lshlrev_b32_e32 v0, 4, v0
	v_mov_b32_e32 v1, s16
	v_add_nc_u32_e32 v0, 16, v0
	s_clause 0x7
	buffer_load_dword v2, v0, s[0:3], 0 offen
	buffer_load_dword v3, v0, s[0:3], 0 offen offset:4
	buffer_load_dword v4, v0, s[0:3], 0 offen offset:8
	;; [unrolled: 1-line block ×6, first 2 shown]
	buffer_load_dword v9, v1, s[0:3], 0 offen
	s_waitcnt vmcnt(7)
	buffer_store_dword v2, v1, s[0:3], 0 offen
	s_waitcnt vmcnt(6)
	buffer_store_dword v3, v1, s[0:3], 0 offen offset:4
	s_waitcnt vmcnt(5)
	buffer_store_dword v4, v1, s[0:3], 0 offen offset:8
	s_waitcnt vmcnt(4)
	buffer_store_dword v5, v1, s[0:3], 0 offen offset:12
	s_waitcnt vmcnt(3)
	buffer_store_dword v6, v0, s[0:3], 0 offen offset:12
	s_waitcnt vmcnt(2)
	buffer_store_dword v7, v0, s[0:3], 0 offen offset:8
	s_waitcnt vmcnt(1)
	buffer_store_dword v8, v0, s[0:3], 0 offen offset:4
	s_waitcnt vmcnt(0)
	buffer_store_dword v9, v0, s[0:3], 0 offen
.LBB49_332:
	v_mov_b32_e32 v0, 0
	global_load_dword v1, v0, s[20:21] offset:156
	s_waitcnt vmcnt(0)
	v_add_nc_u32_e32 v1, -1, v1
	v_cmp_eq_u32_e32 vcc_lo, 39, v1
	s_cbranch_vccnz .LBB49_334
; %bb.333:
	v_lshlrev_b32_e32 v1, 4, v1
	v_mov_b32_e32 v2, s14
	v_add_nc_u32_e32 v1, 16, v1
	s_clause 0x7
	buffer_load_dword v3, v1, s[0:3], 0 offen
	buffer_load_dword v4, v1, s[0:3], 0 offen offset:4
	buffer_load_dword v5, v1, s[0:3], 0 offen offset:8
	;; [unrolled: 1-line block ×6, first 2 shown]
	buffer_load_dword v10, v2, s[0:3], 0 offen
	s_waitcnt vmcnt(7)
	buffer_store_dword v3, v2, s[0:3], 0 offen
	s_waitcnt vmcnt(6)
	buffer_store_dword v4, v2, s[0:3], 0 offen offset:4
	s_waitcnt vmcnt(5)
	buffer_store_dword v5, v2, s[0:3], 0 offen offset:8
	;; [unrolled: 2-line block ×6, first 2 shown]
	s_waitcnt vmcnt(0)
	buffer_store_dword v10, v1, s[0:3], 0 offen
.LBB49_334:
	global_load_dword v0, v0, s[20:21] offset:152
	s_waitcnt vmcnt(0)
	v_add_nc_u32_e32 v0, -1, v0
	v_cmp_eq_u32_e32 vcc_lo, 38, v0
	s_cbranch_vccnz .LBB49_336
; %bb.335:
	v_lshlrev_b32_e32 v0, 4, v0
	v_mov_b32_e32 v1, s29
	v_add_nc_u32_e32 v0, 16, v0
	s_clause 0x7
	buffer_load_dword v2, v0, s[0:3], 0 offen
	buffer_load_dword v3, v0, s[0:3], 0 offen offset:4
	buffer_load_dword v4, v0, s[0:3], 0 offen offset:8
	;; [unrolled: 1-line block ×6, first 2 shown]
	buffer_load_dword v9, v1, s[0:3], 0 offen
	s_waitcnt vmcnt(7)
	buffer_store_dword v2, v1, s[0:3], 0 offen
	s_waitcnt vmcnt(6)
	buffer_store_dword v3, v1, s[0:3], 0 offen offset:4
	s_waitcnt vmcnt(5)
	buffer_store_dword v4, v1, s[0:3], 0 offen offset:8
	s_waitcnt vmcnt(4)
	buffer_store_dword v5, v1, s[0:3], 0 offen offset:12
	s_waitcnt vmcnt(3)
	buffer_store_dword v6, v0, s[0:3], 0 offen offset:12
	s_waitcnt vmcnt(2)
	buffer_store_dword v7, v0, s[0:3], 0 offen offset:8
	s_waitcnt vmcnt(1)
	buffer_store_dword v8, v0, s[0:3], 0 offen offset:4
	s_waitcnt vmcnt(0)
	buffer_store_dword v9, v0, s[0:3], 0 offen
.LBB49_336:
	v_mov_b32_e32 v0, 0
	global_load_dword v1, v0, s[20:21] offset:148
	s_waitcnt vmcnt(0)
	v_add_nc_u32_e32 v1, -1, v1
	v_cmp_eq_u32_e32 vcc_lo, 37, v1
	s_cbranch_vccnz .LBB49_338
; %bb.337:
	v_lshlrev_b32_e32 v1, 4, v1
	v_mov_b32_e32 v2, s26
	v_add_nc_u32_e32 v1, 16, v1
	s_clause 0x7
	buffer_load_dword v3, v1, s[0:3], 0 offen
	buffer_load_dword v4, v1, s[0:3], 0 offen offset:4
	buffer_load_dword v5, v1, s[0:3], 0 offen offset:8
	;; [unrolled: 1-line block ×6, first 2 shown]
	buffer_load_dword v10, v2, s[0:3], 0 offen
	s_waitcnt vmcnt(7)
	buffer_store_dword v3, v2, s[0:3], 0 offen
	s_waitcnt vmcnt(6)
	buffer_store_dword v4, v2, s[0:3], 0 offen offset:4
	s_waitcnt vmcnt(5)
	buffer_store_dword v5, v2, s[0:3], 0 offen offset:8
	;; [unrolled: 2-line block ×6, first 2 shown]
	s_waitcnt vmcnt(0)
	buffer_store_dword v10, v1, s[0:3], 0 offen
.LBB49_338:
	global_load_dword v0, v0, s[20:21] offset:144
	s_waitcnt vmcnt(0)
	v_add_nc_u32_e32 v0, -1, v0
	v_cmp_eq_u32_e32 vcc_lo, 36, v0
	s_cbranch_vccnz .LBB49_340
; %bb.339:
	v_lshlrev_b32_e32 v0, 4, v0
	v_mov_b32_e32 v1, s28
	v_add_nc_u32_e32 v0, 16, v0
	s_clause 0x7
	buffer_load_dword v2, v0, s[0:3], 0 offen
	buffer_load_dword v3, v0, s[0:3], 0 offen offset:4
	buffer_load_dword v4, v0, s[0:3], 0 offen offset:8
	;; [unrolled: 1-line block ×6, first 2 shown]
	buffer_load_dword v9, v1, s[0:3], 0 offen
	s_waitcnt vmcnt(7)
	buffer_store_dword v2, v1, s[0:3], 0 offen
	s_waitcnt vmcnt(6)
	buffer_store_dword v3, v1, s[0:3], 0 offen offset:4
	s_waitcnt vmcnt(5)
	buffer_store_dword v4, v1, s[0:3], 0 offen offset:8
	s_waitcnt vmcnt(4)
	buffer_store_dword v5, v1, s[0:3], 0 offen offset:12
	s_waitcnt vmcnt(3)
	buffer_store_dword v6, v0, s[0:3], 0 offen offset:12
	s_waitcnt vmcnt(2)
	buffer_store_dword v7, v0, s[0:3], 0 offen offset:8
	s_waitcnt vmcnt(1)
	buffer_store_dword v8, v0, s[0:3], 0 offen offset:4
	s_waitcnt vmcnt(0)
	buffer_store_dword v9, v0, s[0:3], 0 offen
.LBB49_340:
	v_mov_b32_e32 v0, 0
	global_load_dword v1, v0, s[20:21] offset:140
	s_waitcnt vmcnt(0)
	v_add_nc_u32_e32 v1, -1, v1
	v_cmp_eq_u32_e32 vcc_lo, 35, v1
	s_cbranch_vccnz .LBB49_342
; %bb.341:
	v_lshlrev_b32_e32 v1, 4, v1
	v_mov_b32_e32 v2, s25
	v_add_nc_u32_e32 v1, 16, v1
	s_clause 0x7
	buffer_load_dword v3, v1, s[0:3], 0 offen
	buffer_load_dword v4, v1, s[0:3], 0 offen offset:4
	buffer_load_dword v5, v1, s[0:3], 0 offen offset:8
	;; [unrolled: 1-line block ×6, first 2 shown]
	buffer_load_dword v10, v2, s[0:3], 0 offen
	s_waitcnt vmcnt(7)
	buffer_store_dword v3, v2, s[0:3], 0 offen
	s_waitcnt vmcnt(6)
	buffer_store_dword v4, v2, s[0:3], 0 offen offset:4
	s_waitcnt vmcnt(5)
	buffer_store_dword v5, v2, s[0:3], 0 offen offset:8
	;; [unrolled: 2-line block ×6, first 2 shown]
	s_waitcnt vmcnt(0)
	buffer_store_dword v10, v1, s[0:3], 0 offen
.LBB49_342:
	global_load_dword v0, v0, s[20:21] offset:136
	s_waitcnt vmcnt(0)
	v_add_nc_u32_e32 v0, -1, v0
	v_cmp_eq_u32_e32 vcc_lo, 34, v0
	s_cbranch_vccnz .LBB49_344
; %bb.343:
	v_lshlrev_b32_e32 v0, 4, v0
	v_mov_b32_e32 v1, s24
	v_add_nc_u32_e32 v0, 16, v0
	s_clause 0x7
	buffer_load_dword v2, v0, s[0:3], 0 offen
	buffer_load_dword v3, v0, s[0:3], 0 offen offset:4
	buffer_load_dword v4, v0, s[0:3], 0 offen offset:8
	;; [unrolled: 1-line block ×6, first 2 shown]
	buffer_load_dword v9, v1, s[0:3], 0 offen
	s_waitcnt vmcnt(7)
	buffer_store_dword v2, v1, s[0:3], 0 offen
	s_waitcnt vmcnt(6)
	buffer_store_dword v3, v1, s[0:3], 0 offen offset:4
	s_waitcnt vmcnt(5)
	buffer_store_dword v4, v1, s[0:3], 0 offen offset:8
	;; [unrolled: 2-line block ×6, first 2 shown]
	s_waitcnt vmcnt(0)
	buffer_store_dword v9, v0, s[0:3], 0 offen
.LBB49_344:
	v_mov_b32_e32 v0, 0
	global_load_dword v1, v0, s[20:21] offset:132
	s_waitcnt vmcnt(0)
	v_add_nc_u32_e32 v1, -1, v1
	v_cmp_eq_u32_e32 vcc_lo, 33, v1
	s_cbranch_vccnz .LBB49_346
; %bb.345:
	v_lshlrev_b32_e32 v1, 4, v1
	v_mov_b32_e32 v2, s19
	v_add_nc_u32_e32 v1, 16, v1
	s_clause 0x7
	buffer_load_dword v3, v1, s[0:3], 0 offen
	buffer_load_dword v4, v1, s[0:3], 0 offen offset:4
	buffer_load_dword v5, v1, s[0:3], 0 offen offset:8
	buffer_load_dword v6, v1, s[0:3], 0 offen offset:12
	buffer_load_dword v7, v2, s[0:3], 0 offen offset:12
	buffer_load_dword v8, v2, s[0:3], 0 offen offset:8
	buffer_load_dword v9, v2, s[0:3], 0 offen offset:4
	buffer_load_dword v10, v2, s[0:3], 0 offen
	s_waitcnt vmcnt(7)
	buffer_store_dword v3, v2, s[0:3], 0 offen
	s_waitcnt vmcnt(6)
	buffer_store_dword v4, v2, s[0:3], 0 offen offset:4
	s_waitcnt vmcnt(5)
	buffer_store_dword v5, v2, s[0:3], 0 offen offset:8
	;; [unrolled: 2-line block ×6, first 2 shown]
	s_waitcnt vmcnt(0)
	buffer_store_dword v10, v1, s[0:3], 0 offen
.LBB49_346:
	global_load_dword v0, v0, s[20:21] offset:128
	s_waitcnt vmcnt(0)
	v_add_nc_u32_e32 v0, -1, v0
	v_cmp_eq_u32_e32 vcc_lo, 32, v0
	s_cbranch_vccnz .LBB49_348
; %bb.347:
	v_lshlrev_b32_e32 v0, 4, v0
	v_mov_b32_e32 v1, s38
	v_add_nc_u32_e32 v0, 16, v0
	s_clause 0x7
	buffer_load_dword v2, v0, s[0:3], 0 offen
	buffer_load_dword v3, v0, s[0:3], 0 offen offset:4
	buffer_load_dword v4, v0, s[0:3], 0 offen offset:8
	;; [unrolled: 1-line block ×6, first 2 shown]
	buffer_load_dword v9, v1, s[0:3], 0 offen
	s_waitcnt vmcnt(7)
	buffer_store_dword v2, v1, s[0:3], 0 offen
	s_waitcnt vmcnt(6)
	buffer_store_dword v3, v1, s[0:3], 0 offen offset:4
	s_waitcnt vmcnt(5)
	buffer_store_dword v4, v1, s[0:3], 0 offen offset:8
	s_waitcnt vmcnt(4)
	buffer_store_dword v5, v1, s[0:3], 0 offen offset:12
	s_waitcnt vmcnt(3)
	buffer_store_dword v6, v0, s[0:3], 0 offen offset:12
	s_waitcnt vmcnt(2)
	buffer_store_dword v7, v0, s[0:3], 0 offen offset:8
	s_waitcnt vmcnt(1)
	buffer_store_dword v8, v0, s[0:3], 0 offen offset:4
	s_waitcnt vmcnt(0)
	buffer_store_dword v9, v0, s[0:3], 0 offen
.LBB49_348:
	v_mov_b32_e32 v0, 0
	global_load_dword v1, v0, s[20:21] offset:124
	s_waitcnt vmcnt(0)
	v_add_nc_u32_e32 v1, -1, v1
	v_cmp_eq_u32_e32 vcc_lo, 31, v1
	s_cbranch_vccnz .LBB49_350
; %bb.349:
	v_lshlrev_b32_e32 v1, 4, v1
	v_mov_b32_e32 v2, s34
	v_add_nc_u32_e32 v1, 16, v1
	s_clause 0x7
	buffer_load_dword v3, v1, s[0:3], 0 offen
	buffer_load_dword v4, v1, s[0:3], 0 offen offset:4
	buffer_load_dword v5, v1, s[0:3], 0 offen offset:8
	;; [unrolled: 1-line block ×6, first 2 shown]
	buffer_load_dword v10, v2, s[0:3], 0 offen
	s_waitcnt vmcnt(7)
	buffer_store_dword v3, v2, s[0:3], 0 offen
	s_waitcnt vmcnt(6)
	buffer_store_dword v4, v2, s[0:3], 0 offen offset:4
	s_waitcnt vmcnt(5)
	buffer_store_dword v5, v2, s[0:3], 0 offen offset:8
	;; [unrolled: 2-line block ×6, first 2 shown]
	s_waitcnt vmcnt(0)
	buffer_store_dword v10, v1, s[0:3], 0 offen
.LBB49_350:
	global_load_dword v0, v0, s[20:21] offset:120
	s_waitcnt vmcnt(0)
	v_add_nc_u32_e32 v0, -1, v0
	v_cmp_eq_u32_e32 vcc_lo, 30, v0
	s_cbranch_vccnz .LBB49_352
; %bb.351:
	v_lshlrev_b32_e32 v0, 4, v0
	v_mov_b32_e32 v1, s35
	v_add_nc_u32_e32 v0, 16, v0
	s_clause 0x7
	buffer_load_dword v2, v0, s[0:3], 0 offen
	buffer_load_dword v3, v0, s[0:3], 0 offen offset:4
	buffer_load_dword v4, v0, s[0:3], 0 offen offset:8
	;; [unrolled: 1-line block ×6, first 2 shown]
	buffer_load_dword v9, v1, s[0:3], 0 offen
	s_waitcnt vmcnt(7)
	buffer_store_dword v2, v1, s[0:3], 0 offen
	s_waitcnt vmcnt(6)
	buffer_store_dword v3, v1, s[0:3], 0 offen offset:4
	s_waitcnt vmcnt(5)
	buffer_store_dword v4, v1, s[0:3], 0 offen offset:8
	;; [unrolled: 2-line block ×6, first 2 shown]
	s_waitcnt vmcnt(0)
	buffer_store_dword v9, v0, s[0:3], 0 offen
.LBB49_352:
	v_mov_b32_e32 v0, 0
	global_load_dword v1, v0, s[20:21] offset:116
	s_waitcnt vmcnt(0)
	v_add_nc_u32_e32 v1, -1, v1
	v_cmp_eq_u32_e32 vcc_lo, 29, v1
	s_cbranch_vccnz .LBB49_354
; %bb.353:
	v_lshlrev_b32_e32 v1, 4, v1
	v_mov_b32_e32 v2, s31
	v_add_nc_u32_e32 v1, 16, v1
	s_clause 0x7
	buffer_load_dword v3, v1, s[0:3], 0 offen
	buffer_load_dword v4, v1, s[0:3], 0 offen offset:4
	buffer_load_dword v5, v1, s[0:3], 0 offen offset:8
	;; [unrolled: 1-line block ×6, first 2 shown]
	buffer_load_dword v10, v2, s[0:3], 0 offen
	s_waitcnt vmcnt(7)
	buffer_store_dword v3, v2, s[0:3], 0 offen
	s_waitcnt vmcnt(6)
	buffer_store_dword v4, v2, s[0:3], 0 offen offset:4
	s_waitcnt vmcnt(5)
	buffer_store_dword v5, v2, s[0:3], 0 offen offset:8
	;; [unrolled: 2-line block ×6, first 2 shown]
	s_waitcnt vmcnt(0)
	buffer_store_dword v10, v1, s[0:3], 0 offen
.LBB49_354:
	global_load_dword v0, v0, s[20:21] offset:112
	s_waitcnt vmcnt(0)
	v_add_nc_u32_e32 v0, -1, v0
	v_cmp_eq_u32_e32 vcc_lo, 28, v0
	s_cbranch_vccnz .LBB49_356
; %bb.355:
	v_lshlrev_b32_e32 v0, 4, v0
	v_mov_b32_e32 v1, s30
	v_add_nc_u32_e32 v0, 16, v0
	s_clause 0x7
	buffer_load_dword v2, v0, s[0:3], 0 offen
	buffer_load_dword v3, v0, s[0:3], 0 offen offset:4
	buffer_load_dword v4, v0, s[0:3], 0 offen offset:8
	;; [unrolled: 1-line block ×6, first 2 shown]
	buffer_load_dword v9, v1, s[0:3], 0 offen
	s_waitcnt vmcnt(7)
	buffer_store_dword v2, v1, s[0:3], 0 offen
	s_waitcnt vmcnt(6)
	buffer_store_dword v3, v1, s[0:3], 0 offen offset:4
	s_waitcnt vmcnt(5)
	buffer_store_dword v4, v1, s[0:3], 0 offen offset:8
	;; [unrolled: 2-line block ×6, first 2 shown]
	s_waitcnt vmcnt(0)
	buffer_store_dword v9, v0, s[0:3], 0 offen
.LBB49_356:
	v_mov_b32_e32 v0, 0
	global_load_dword v1, v0, s[20:21] offset:108
	s_waitcnt vmcnt(0)
	v_add_nc_u32_e32 v1, -1, v1
	v_cmp_eq_u32_e32 vcc_lo, 27, v1
	s_cbranch_vccnz .LBB49_358
; %bb.357:
	v_lshlrev_b32_e32 v1, 4, v1
	v_mov_b32_e32 v2, s27
	v_add_nc_u32_e32 v1, 16, v1
	s_clause 0x7
	buffer_load_dword v3, v1, s[0:3], 0 offen
	buffer_load_dword v4, v1, s[0:3], 0 offen offset:4
	buffer_load_dword v5, v1, s[0:3], 0 offen offset:8
	buffer_load_dword v6, v1, s[0:3], 0 offen offset:12
	buffer_load_dword v7, v2, s[0:3], 0 offen offset:12
	buffer_load_dword v8, v2, s[0:3], 0 offen offset:8
	buffer_load_dword v9, v2, s[0:3], 0 offen offset:4
	buffer_load_dword v10, v2, s[0:3], 0 offen
	s_waitcnt vmcnt(7)
	buffer_store_dword v3, v2, s[0:3], 0 offen
	s_waitcnt vmcnt(6)
	buffer_store_dword v4, v2, s[0:3], 0 offen offset:4
	s_waitcnt vmcnt(5)
	buffer_store_dword v5, v2, s[0:3], 0 offen offset:8
	s_waitcnt vmcnt(4)
	buffer_store_dword v6, v2, s[0:3], 0 offen offset:12
	s_waitcnt vmcnt(3)
	buffer_store_dword v7, v1, s[0:3], 0 offen offset:12
	s_waitcnt vmcnt(2)
	buffer_store_dword v8, v1, s[0:3], 0 offen offset:8
	s_waitcnt vmcnt(1)
	buffer_store_dword v9, v1, s[0:3], 0 offen offset:4
	s_waitcnt vmcnt(0)
	buffer_store_dword v10, v1, s[0:3], 0 offen
.LBB49_358:
	global_load_dword v0, v0, s[20:21] offset:104
	s_waitcnt vmcnt(0)
	v_add_nc_u32_e32 v0, -1, v0
	v_cmp_eq_u32_e32 vcc_lo, 26, v0
	s_cbranch_vccnz .LBB49_360
; %bb.359:
	v_lshlrev_b32_e32 v0, 4, v0
	v_mov_b32_e32 v1, s41
	v_add_nc_u32_e32 v0, 16, v0
	s_clause 0x7
	buffer_load_dword v2, v0, s[0:3], 0 offen
	buffer_load_dword v3, v0, s[0:3], 0 offen offset:4
	buffer_load_dword v4, v0, s[0:3], 0 offen offset:8
	;; [unrolled: 1-line block ×6, first 2 shown]
	buffer_load_dword v9, v1, s[0:3], 0 offen
	s_waitcnt vmcnt(7)
	buffer_store_dword v2, v1, s[0:3], 0 offen
	s_waitcnt vmcnt(6)
	buffer_store_dword v3, v1, s[0:3], 0 offen offset:4
	s_waitcnt vmcnt(5)
	buffer_store_dword v4, v1, s[0:3], 0 offen offset:8
	;; [unrolled: 2-line block ×6, first 2 shown]
	s_waitcnt vmcnt(0)
	buffer_store_dword v9, v0, s[0:3], 0 offen
.LBB49_360:
	v_mov_b32_e32 v0, 0
	global_load_dword v1, v0, s[20:21] offset:100
	s_waitcnt vmcnt(0)
	v_add_nc_u32_e32 v1, -1, v1
	v_cmp_eq_u32_e32 vcc_lo, 25, v1
	s_cbranch_vccnz .LBB49_362
; %bb.361:
	v_lshlrev_b32_e32 v1, 4, v1
	v_mov_b32_e32 v2, s40
	v_add_nc_u32_e32 v1, 16, v1
	s_clause 0x7
	buffer_load_dword v3, v1, s[0:3], 0 offen
	buffer_load_dword v4, v1, s[0:3], 0 offen offset:4
	buffer_load_dword v5, v1, s[0:3], 0 offen offset:8
	;; [unrolled: 1-line block ×6, first 2 shown]
	buffer_load_dword v10, v2, s[0:3], 0 offen
	s_waitcnt vmcnt(7)
	buffer_store_dword v3, v2, s[0:3], 0 offen
	s_waitcnt vmcnt(6)
	buffer_store_dword v4, v2, s[0:3], 0 offen offset:4
	s_waitcnt vmcnt(5)
	buffer_store_dword v5, v2, s[0:3], 0 offen offset:8
	;; [unrolled: 2-line block ×6, first 2 shown]
	s_waitcnt vmcnt(0)
	buffer_store_dword v10, v1, s[0:3], 0 offen
.LBB49_362:
	global_load_dword v0, v0, s[20:21] offset:96
	s_waitcnt vmcnt(0)
	v_add_nc_u32_e32 v0, -1, v0
	v_cmp_eq_u32_e32 vcc_lo, 24, v0
	s_cbranch_vccnz .LBB49_364
; %bb.363:
	v_lshlrev_b32_e32 v0, 4, v0
	v_mov_b32_e32 v1, s39
	v_add_nc_u32_e32 v0, 16, v0
	s_clause 0x7
	buffer_load_dword v2, v0, s[0:3], 0 offen
	buffer_load_dword v3, v0, s[0:3], 0 offen offset:4
	buffer_load_dword v4, v0, s[0:3], 0 offen offset:8
	;; [unrolled: 1-line block ×6, first 2 shown]
	buffer_load_dword v9, v1, s[0:3], 0 offen
	s_waitcnt vmcnt(7)
	buffer_store_dword v2, v1, s[0:3], 0 offen
	s_waitcnt vmcnt(6)
	buffer_store_dword v3, v1, s[0:3], 0 offen offset:4
	s_waitcnt vmcnt(5)
	buffer_store_dword v4, v1, s[0:3], 0 offen offset:8
	;; [unrolled: 2-line block ×6, first 2 shown]
	s_waitcnt vmcnt(0)
	buffer_store_dword v9, v0, s[0:3], 0 offen
.LBB49_364:
	v_mov_b32_e32 v0, 0
	global_load_dword v1, v0, s[20:21] offset:92
	s_waitcnt vmcnt(0)
	v_add_nc_u32_e32 v1, -1, v1
	v_cmp_eq_u32_e32 vcc_lo, 23, v1
	s_cbranch_vccnz .LBB49_366
; %bb.365:
	v_lshlrev_b32_e32 v1, 4, v1
	v_mov_b32_e32 v2, s37
	v_add_nc_u32_e32 v1, 16, v1
	s_clause 0x7
	buffer_load_dword v3, v1, s[0:3], 0 offen
	buffer_load_dword v4, v1, s[0:3], 0 offen offset:4
	buffer_load_dword v5, v1, s[0:3], 0 offen offset:8
	;; [unrolled: 1-line block ×6, first 2 shown]
	buffer_load_dword v10, v2, s[0:3], 0 offen
	s_waitcnt vmcnt(7)
	buffer_store_dword v3, v2, s[0:3], 0 offen
	s_waitcnt vmcnt(6)
	buffer_store_dword v4, v2, s[0:3], 0 offen offset:4
	s_waitcnt vmcnt(5)
	buffer_store_dword v5, v2, s[0:3], 0 offen offset:8
	s_waitcnt vmcnt(4)
	buffer_store_dword v6, v2, s[0:3], 0 offen offset:12
	s_waitcnt vmcnt(3)
	buffer_store_dword v7, v1, s[0:3], 0 offen offset:12
	s_waitcnt vmcnt(2)
	buffer_store_dword v8, v1, s[0:3], 0 offen offset:8
	s_waitcnt vmcnt(1)
	buffer_store_dword v9, v1, s[0:3], 0 offen offset:4
	s_waitcnt vmcnt(0)
	buffer_store_dword v10, v1, s[0:3], 0 offen
.LBB49_366:
	global_load_dword v0, v0, s[20:21] offset:88
	s_waitcnt vmcnt(0)
	v_add_nc_u32_e32 v0, -1, v0
	v_cmp_eq_u32_e32 vcc_lo, 22, v0
	s_cbranch_vccnz .LBB49_368
; %bb.367:
	v_lshlrev_b32_e32 v0, 4, v0
	v_mov_b32_e32 v1, s36
	v_add_nc_u32_e32 v0, 16, v0
	s_clause 0x7
	buffer_load_dword v2, v0, s[0:3], 0 offen
	buffer_load_dword v3, v0, s[0:3], 0 offen offset:4
	buffer_load_dword v4, v0, s[0:3], 0 offen offset:8
	buffer_load_dword v5, v0, s[0:3], 0 offen offset:12
	buffer_load_dword v6, v1, s[0:3], 0 offen offset:12
	buffer_load_dword v7, v1, s[0:3], 0 offen offset:8
	buffer_load_dword v8, v1, s[0:3], 0 offen offset:4
	buffer_load_dword v9, v1, s[0:3], 0 offen
	s_waitcnt vmcnt(7)
	buffer_store_dword v2, v1, s[0:3], 0 offen
	s_waitcnt vmcnt(6)
	buffer_store_dword v3, v1, s[0:3], 0 offen offset:4
	s_waitcnt vmcnt(5)
	buffer_store_dword v4, v1, s[0:3], 0 offen offset:8
	;; [unrolled: 2-line block ×6, first 2 shown]
	s_waitcnt vmcnt(0)
	buffer_store_dword v9, v0, s[0:3], 0 offen
.LBB49_368:
	v_mov_b32_e32 v0, 0
	global_load_dword v1, v0, s[20:21] offset:84
	s_waitcnt vmcnt(0)
	v_add_nc_u32_e32 v1, -1, v1
	v_cmp_eq_u32_e32 vcc_lo, 21, v1
	s_cbranch_vccnz .LBB49_370
; %bb.369:
	v_lshlrev_b32_e32 v1, 4, v1
	v_mov_b32_e32 v2, s33
	v_add_nc_u32_e32 v1, 16, v1
	s_clause 0x7
	buffer_load_dword v3, v1, s[0:3], 0 offen
	buffer_load_dword v4, v1, s[0:3], 0 offen offset:4
	buffer_load_dword v5, v1, s[0:3], 0 offen offset:8
	;; [unrolled: 1-line block ×6, first 2 shown]
	buffer_load_dword v10, v2, s[0:3], 0 offen
	s_waitcnt vmcnt(7)
	buffer_store_dword v3, v2, s[0:3], 0 offen
	s_waitcnt vmcnt(6)
	buffer_store_dword v4, v2, s[0:3], 0 offen offset:4
	s_waitcnt vmcnt(5)
	buffer_store_dword v5, v2, s[0:3], 0 offen offset:8
	;; [unrolled: 2-line block ×6, first 2 shown]
	s_waitcnt vmcnt(0)
	buffer_store_dword v10, v1, s[0:3], 0 offen
.LBB49_370:
	global_load_dword v0, v0, s[20:21] offset:80
	s_waitcnt vmcnt(0)
	v_add_nc_u32_e32 v0, -1, v0
	v_cmp_eq_u32_e32 vcc_lo, 20, v0
	s_cbranch_vccnz .LBB49_372
; %bb.371:
	v_lshlrev_b32_e32 v0, 4, v0
	v_mov_b32_e32 v1, s42
	v_add_nc_u32_e32 v0, 16, v0
	s_clause 0x7
	buffer_load_dword v2, v0, s[0:3], 0 offen
	buffer_load_dword v3, v0, s[0:3], 0 offen offset:4
	buffer_load_dword v4, v0, s[0:3], 0 offen offset:8
	;; [unrolled: 1-line block ×6, first 2 shown]
	buffer_load_dword v9, v1, s[0:3], 0 offen
	s_waitcnt vmcnt(7)
	buffer_store_dword v2, v1, s[0:3], 0 offen
	s_waitcnt vmcnt(6)
	buffer_store_dword v3, v1, s[0:3], 0 offen offset:4
	s_waitcnt vmcnt(5)
	buffer_store_dword v4, v1, s[0:3], 0 offen offset:8
	;; [unrolled: 2-line block ×6, first 2 shown]
	s_waitcnt vmcnt(0)
	buffer_store_dword v9, v0, s[0:3], 0 offen
.LBB49_372:
	v_mov_b32_e32 v0, 0
	global_load_dword v1, v0, s[20:21] offset:76
	s_waitcnt vmcnt(0)
	v_add_nc_u32_e32 v1, -1, v1
	v_cmp_eq_u32_e32 vcc_lo, 19, v1
	s_cbranch_vccnz .LBB49_374
; %bb.373:
	v_lshlrev_b32_e32 v1, 4, v1
	v_mov_b32_e32 v2, s43
	v_add_nc_u32_e32 v1, 16, v1
	s_clause 0x7
	buffer_load_dword v3, v1, s[0:3], 0 offen
	buffer_load_dword v4, v1, s[0:3], 0 offen offset:4
	buffer_load_dword v5, v1, s[0:3], 0 offen offset:8
	;; [unrolled: 1-line block ×6, first 2 shown]
	buffer_load_dword v10, v2, s[0:3], 0 offen
	s_waitcnt vmcnt(7)
	buffer_store_dword v3, v2, s[0:3], 0 offen
	s_waitcnt vmcnt(6)
	buffer_store_dword v4, v2, s[0:3], 0 offen offset:4
	s_waitcnt vmcnt(5)
	buffer_store_dword v5, v2, s[0:3], 0 offen offset:8
	;; [unrolled: 2-line block ×6, first 2 shown]
	s_waitcnt vmcnt(0)
	buffer_store_dword v10, v1, s[0:3], 0 offen
.LBB49_374:
	global_load_dword v0, v0, s[20:21] offset:72
	s_waitcnt vmcnt(0)
	v_add_nc_u32_e32 v0, -1, v0
	v_cmp_eq_u32_e32 vcc_lo, 18, v0
	s_cbranch_vccnz .LBB49_376
; %bb.375:
	v_lshlrev_b32_e32 v0, 4, v0
	v_mov_b32_e32 v1, s44
	v_add_nc_u32_e32 v0, 16, v0
	s_clause 0x7
	buffer_load_dword v2, v0, s[0:3], 0 offen
	buffer_load_dword v3, v0, s[0:3], 0 offen offset:4
	buffer_load_dword v4, v0, s[0:3], 0 offen offset:8
	;; [unrolled: 1-line block ×6, first 2 shown]
	buffer_load_dword v9, v1, s[0:3], 0 offen
	s_waitcnt vmcnt(7)
	buffer_store_dword v2, v1, s[0:3], 0 offen
	s_waitcnt vmcnt(6)
	buffer_store_dword v3, v1, s[0:3], 0 offen offset:4
	s_waitcnt vmcnt(5)
	buffer_store_dword v4, v1, s[0:3], 0 offen offset:8
	;; [unrolled: 2-line block ×6, first 2 shown]
	s_waitcnt vmcnt(0)
	buffer_store_dword v9, v0, s[0:3], 0 offen
.LBB49_376:
	v_mov_b32_e32 v0, 0
	global_load_dword v1, v0, s[20:21] offset:68
	s_waitcnt vmcnt(0)
	v_add_nc_u32_e32 v1, -1, v1
	v_cmp_eq_u32_e32 vcc_lo, 17, v1
	s_cbranch_vccnz .LBB49_378
; %bb.377:
	v_lshlrev_b32_e32 v1, 4, v1
	v_mov_b32_e32 v2, s45
	v_add_nc_u32_e32 v1, 16, v1
	s_clause 0x7
	buffer_load_dword v3, v1, s[0:3], 0 offen
	buffer_load_dword v4, v1, s[0:3], 0 offen offset:4
	buffer_load_dword v5, v1, s[0:3], 0 offen offset:8
	;; [unrolled: 1-line block ×6, first 2 shown]
	buffer_load_dword v10, v2, s[0:3], 0 offen
	s_waitcnt vmcnt(7)
	buffer_store_dword v3, v2, s[0:3], 0 offen
	s_waitcnt vmcnt(6)
	buffer_store_dword v4, v2, s[0:3], 0 offen offset:4
	s_waitcnt vmcnt(5)
	buffer_store_dword v5, v2, s[0:3], 0 offen offset:8
	;; [unrolled: 2-line block ×6, first 2 shown]
	s_waitcnt vmcnt(0)
	buffer_store_dword v10, v1, s[0:3], 0 offen
.LBB49_378:
	global_load_dword v0, v0, s[20:21] offset:64
	s_waitcnt vmcnt(0)
	v_add_nc_u32_e32 v0, -1, v0
	v_cmp_eq_u32_e32 vcc_lo, 16, v0
	s_cbranch_vccnz .LBB49_380
; %bb.379:
	v_lshlrev_b32_e32 v0, 4, v0
	v_mov_b32_e32 v1, s46
	v_add_nc_u32_e32 v0, 16, v0
	s_clause 0x7
	buffer_load_dword v2, v0, s[0:3], 0 offen
	buffer_load_dword v3, v0, s[0:3], 0 offen offset:4
	buffer_load_dword v4, v0, s[0:3], 0 offen offset:8
	;; [unrolled: 1-line block ×6, first 2 shown]
	buffer_load_dword v9, v1, s[0:3], 0 offen
	s_waitcnt vmcnt(7)
	buffer_store_dword v2, v1, s[0:3], 0 offen
	s_waitcnt vmcnt(6)
	buffer_store_dword v3, v1, s[0:3], 0 offen offset:4
	s_waitcnt vmcnt(5)
	buffer_store_dword v4, v1, s[0:3], 0 offen offset:8
	;; [unrolled: 2-line block ×6, first 2 shown]
	s_waitcnt vmcnt(0)
	buffer_store_dword v9, v0, s[0:3], 0 offen
.LBB49_380:
	v_mov_b32_e32 v0, 0
	global_load_dword v1, v0, s[20:21] offset:60
	s_waitcnt vmcnt(0)
	v_add_nc_u32_e32 v1, -1, v1
	v_cmp_eq_u32_e32 vcc_lo, 15, v1
	s_cbranch_vccnz .LBB49_382
; %bb.381:
	v_lshlrev_b32_e32 v1, 4, v1
	v_mov_b32_e32 v2, s47
	v_add_nc_u32_e32 v1, 16, v1
	s_clause 0x7
	buffer_load_dword v3, v1, s[0:3], 0 offen
	buffer_load_dword v4, v1, s[0:3], 0 offen offset:4
	buffer_load_dword v5, v1, s[0:3], 0 offen offset:8
	;; [unrolled: 1-line block ×6, first 2 shown]
	buffer_load_dword v10, v2, s[0:3], 0 offen
	s_waitcnt vmcnt(7)
	buffer_store_dword v3, v2, s[0:3], 0 offen
	s_waitcnt vmcnt(6)
	buffer_store_dword v4, v2, s[0:3], 0 offen offset:4
	s_waitcnt vmcnt(5)
	buffer_store_dword v5, v2, s[0:3], 0 offen offset:8
	;; [unrolled: 2-line block ×6, first 2 shown]
	s_waitcnt vmcnt(0)
	buffer_store_dword v10, v1, s[0:3], 0 offen
.LBB49_382:
	global_load_dword v0, v0, s[20:21] offset:56
	s_waitcnt vmcnt(0)
	v_add_nc_u32_e32 v0, -1, v0
	v_cmp_eq_u32_e32 vcc_lo, 14, v0
	s_cbranch_vccnz .LBB49_384
; %bb.383:
	v_lshlrev_b32_e32 v0, 4, v0
	v_mov_b32_e32 v1, s48
	v_add_nc_u32_e32 v0, 16, v0
	s_clause 0x7
	buffer_load_dword v2, v0, s[0:3], 0 offen
	buffer_load_dword v3, v0, s[0:3], 0 offen offset:4
	buffer_load_dword v4, v0, s[0:3], 0 offen offset:8
	;; [unrolled: 1-line block ×6, first 2 shown]
	buffer_load_dword v9, v1, s[0:3], 0 offen
	s_waitcnt vmcnt(7)
	buffer_store_dword v2, v1, s[0:3], 0 offen
	s_waitcnt vmcnt(6)
	buffer_store_dword v3, v1, s[0:3], 0 offen offset:4
	s_waitcnt vmcnt(5)
	buffer_store_dword v4, v1, s[0:3], 0 offen offset:8
	;; [unrolled: 2-line block ×6, first 2 shown]
	s_waitcnt vmcnt(0)
	buffer_store_dword v9, v0, s[0:3], 0 offen
.LBB49_384:
	v_mov_b32_e32 v0, 0
	global_load_dword v1, v0, s[20:21] offset:52
	s_waitcnt vmcnt(0)
	v_add_nc_u32_e32 v1, -1, v1
	v_cmp_eq_u32_e32 vcc_lo, 13, v1
	s_cbranch_vccnz .LBB49_386
; %bb.385:
	v_lshlrev_b32_e32 v1, 4, v1
	v_mov_b32_e32 v2, s49
	v_add_nc_u32_e32 v1, 16, v1
	s_clause 0x7
	buffer_load_dword v3, v1, s[0:3], 0 offen
	buffer_load_dword v4, v1, s[0:3], 0 offen offset:4
	buffer_load_dword v5, v1, s[0:3], 0 offen offset:8
	;; [unrolled: 1-line block ×6, first 2 shown]
	buffer_load_dword v10, v2, s[0:3], 0 offen
	s_waitcnt vmcnt(7)
	buffer_store_dword v3, v2, s[0:3], 0 offen
	s_waitcnt vmcnt(6)
	buffer_store_dword v4, v2, s[0:3], 0 offen offset:4
	s_waitcnt vmcnt(5)
	buffer_store_dword v5, v2, s[0:3], 0 offen offset:8
	;; [unrolled: 2-line block ×6, first 2 shown]
	s_waitcnt vmcnt(0)
	buffer_store_dword v10, v1, s[0:3], 0 offen
.LBB49_386:
	global_load_dword v0, v0, s[20:21] offset:48
	s_waitcnt vmcnt(0)
	v_add_nc_u32_e32 v0, -1, v0
	v_cmp_eq_u32_e32 vcc_lo, 12, v0
	s_cbranch_vccnz .LBB49_388
; %bb.387:
	v_lshlrev_b32_e32 v0, 4, v0
	v_mov_b32_e32 v1, s50
	v_add_nc_u32_e32 v0, 16, v0
	s_clause 0x7
	buffer_load_dword v2, v0, s[0:3], 0 offen
	buffer_load_dword v3, v0, s[0:3], 0 offen offset:4
	buffer_load_dword v4, v0, s[0:3], 0 offen offset:8
	;; [unrolled: 1-line block ×6, first 2 shown]
	buffer_load_dword v9, v1, s[0:3], 0 offen
	s_waitcnt vmcnt(7)
	buffer_store_dword v2, v1, s[0:3], 0 offen
	s_waitcnt vmcnt(6)
	buffer_store_dword v3, v1, s[0:3], 0 offen offset:4
	s_waitcnt vmcnt(5)
	buffer_store_dword v4, v1, s[0:3], 0 offen offset:8
	;; [unrolled: 2-line block ×6, first 2 shown]
	s_waitcnt vmcnt(0)
	buffer_store_dword v9, v0, s[0:3], 0 offen
.LBB49_388:
	v_mov_b32_e32 v0, 0
	global_load_dword v1, v0, s[20:21] offset:44
	s_waitcnt vmcnt(0)
	v_add_nc_u32_e32 v1, -1, v1
	v_cmp_eq_u32_e32 vcc_lo, 11, v1
	s_cbranch_vccnz .LBB49_390
; %bb.389:
	v_lshlrev_b32_e32 v1, 4, v1
	v_mov_b32_e32 v2, s51
	v_add_nc_u32_e32 v1, 16, v1
	s_clause 0x7
	buffer_load_dword v3, v1, s[0:3], 0 offen
	buffer_load_dword v4, v1, s[0:3], 0 offen offset:4
	buffer_load_dword v5, v1, s[0:3], 0 offen offset:8
	;; [unrolled: 1-line block ×6, first 2 shown]
	buffer_load_dword v10, v2, s[0:3], 0 offen
	s_waitcnt vmcnt(7)
	buffer_store_dword v3, v2, s[0:3], 0 offen
	s_waitcnt vmcnt(6)
	buffer_store_dword v4, v2, s[0:3], 0 offen offset:4
	s_waitcnt vmcnt(5)
	buffer_store_dword v5, v2, s[0:3], 0 offen offset:8
	;; [unrolled: 2-line block ×6, first 2 shown]
	s_waitcnt vmcnt(0)
	buffer_store_dword v10, v1, s[0:3], 0 offen
.LBB49_390:
	global_load_dword v0, v0, s[20:21] offset:40
	s_waitcnt vmcnt(0)
	v_add_nc_u32_e32 v0, -1, v0
	v_cmp_eq_u32_e32 vcc_lo, 10, v0
	s_cbranch_vccnz .LBB49_392
; %bb.391:
	v_lshlrev_b32_e32 v0, 4, v0
	v_mov_b32_e32 v1, s52
	v_add_nc_u32_e32 v0, 16, v0
	s_clause 0x7
	buffer_load_dword v2, v0, s[0:3], 0 offen
	buffer_load_dword v3, v0, s[0:3], 0 offen offset:4
	buffer_load_dword v4, v0, s[0:3], 0 offen offset:8
	;; [unrolled: 1-line block ×6, first 2 shown]
	buffer_load_dword v9, v1, s[0:3], 0 offen
	s_waitcnt vmcnt(7)
	buffer_store_dword v2, v1, s[0:3], 0 offen
	s_waitcnt vmcnt(6)
	buffer_store_dword v3, v1, s[0:3], 0 offen offset:4
	s_waitcnt vmcnt(5)
	buffer_store_dword v4, v1, s[0:3], 0 offen offset:8
	;; [unrolled: 2-line block ×6, first 2 shown]
	s_waitcnt vmcnt(0)
	buffer_store_dword v9, v0, s[0:3], 0 offen
.LBB49_392:
	v_mov_b32_e32 v0, 0
	global_load_dword v1, v0, s[20:21] offset:36
	s_waitcnt vmcnt(0)
	v_add_nc_u32_e32 v1, -1, v1
	v_cmp_eq_u32_e32 vcc_lo, 9, v1
	s_cbranch_vccnz .LBB49_394
; %bb.393:
	v_lshlrev_b32_e32 v1, 4, v1
	v_mov_b32_e32 v2, s53
	v_add_nc_u32_e32 v1, 16, v1
	s_clause 0x7
	buffer_load_dword v3, v1, s[0:3], 0 offen
	buffer_load_dword v4, v1, s[0:3], 0 offen offset:4
	buffer_load_dword v5, v1, s[0:3], 0 offen offset:8
	;; [unrolled: 1-line block ×6, first 2 shown]
	buffer_load_dword v10, v2, s[0:3], 0 offen
	s_waitcnt vmcnt(7)
	buffer_store_dword v3, v2, s[0:3], 0 offen
	s_waitcnt vmcnt(6)
	buffer_store_dword v4, v2, s[0:3], 0 offen offset:4
	s_waitcnt vmcnt(5)
	buffer_store_dword v5, v2, s[0:3], 0 offen offset:8
	;; [unrolled: 2-line block ×6, first 2 shown]
	s_waitcnt vmcnt(0)
	buffer_store_dword v10, v1, s[0:3], 0 offen
.LBB49_394:
	global_load_dword v0, v0, s[20:21] offset:32
	s_waitcnt vmcnt(0)
	v_add_nc_u32_e32 v0, -1, v0
	v_cmp_eq_u32_e32 vcc_lo, 8, v0
	s_cbranch_vccnz .LBB49_396
; %bb.395:
	v_lshlrev_b32_e32 v0, 4, v0
	v_mov_b32_e32 v1, s54
	v_add_nc_u32_e32 v0, 16, v0
	s_clause 0x7
	buffer_load_dword v2, v0, s[0:3], 0 offen
	buffer_load_dword v3, v0, s[0:3], 0 offen offset:4
	buffer_load_dword v4, v0, s[0:3], 0 offen offset:8
	;; [unrolled: 1-line block ×6, first 2 shown]
	buffer_load_dword v9, v1, s[0:3], 0 offen
	s_waitcnt vmcnt(7)
	buffer_store_dword v2, v1, s[0:3], 0 offen
	s_waitcnt vmcnt(6)
	buffer_store_dword v3, v1, s[0:3], 0 offen offset:4
	s_waitcnt vmcnt(5)
	buffer_store_dword v4, v1, s[0:3], 0 offen offset:8
	;; [unrolled: 2-line block ×6, first 2 shown]
	s_waitcnt vmcnt(0)
	buffer_store_dword v9, v0, s[0:3], 0 offen
.LBB49_396:
	v_mov_b32_e32 v0, 0
	global_load_dword v1, v0, s[20:21] offset:28
	s_waitcnt vmcnt(0)
	v_add_nc_u32_e32 v1, -1, v1
	v_cmp_eq_u32_e32 vcc_lo, 7, v1
	s_cbranch_vccnz .LBB49_398
; %bb.397:
	v_lshlrev_b32_e32 v1, 4, v1
	v_mov_b32_e32 v2, s55
	v_add_nc_u32_e32 v1, 16, v1
	s_clause 0x7
	buffer_load_dword v3, v1, s[0:3], 0 offen
	buffer_load_dword v4, v1, s[0:3], 0 offen offset:4
	buffer_load_dword v5, v1, s[0:3], 0 offen offset:8
	;; [unrolled: 1-line block ×6, first 2 shown]
	buffer_load_dword v10, v2, s[0:3], 0 offen
	s_waitcnt vmcnt(7)
	buffer_store_dword v3, v2, s[0:3], 0 offen
	s_waitcnt vmcnt(6)
	buffer_store_dword v4, v2, s[0:3], 0 offen offset:4
	s_waitcnt vmcnt(5)
	buffer_store_dword v5, v2, s[0:3], 0 offen offset:8
	;; [unrolled: 2-line block ×6, first 2 shown]
	s_waitcnt vmcnt(0)
	buffer_store_dword v10, v1, s[0:3], 0 offen
.LBB49_398:
	global_load_dword v0, v0, s[20:21] offset:24
	s_waitcnt vmcnt(0)
	v_add_nc_u32_e32 v0, -1, v0
	v_cmp_eq_u32_e32 vcc_lo, 6, v0
	s_cbranch_vccnz .LBB49_400
; %bb.399:
	v_lshlrev_b32_e32 v0, 4, v0
	v_mov_b32_e32 v1, s56
	v_add_nc_u32_e32 v0, 16, v0
	s_clause 0x7
	buffer_load_dword v2, v0, s[0:3], 0 offen
	buffer_load_dword v3, v0, s[0:3], 0 offen offset:4
	buffer_load_dword v4, v0, s[0:3], 0 offen offset:8
	;; [unrolled: 1-line block ×6, first 2 shown]
	buffer_load_dword v9, v1, s[0:3], 0 offen
	s_waitcnt vmcnt(7)
	buffer_store_dword v2, v1, s[0:3], 0 offen
	s_waitcnt vmcnt(6)
	buffer_store_dword v3, v1, s[0:3], 0 offen offset:4
	s_waitcnt vmcnt(5)
	buffer_store_dword v4, v1, s[0:3], 0 offen offset:8
	;; [unrolled: 2-line block ×6, first 2 shown]
	s_waitcnt vmcnt(0)
	buffer_store_dword v9, v0, s[0:3], 0 offen
.LBB49_400:
	v_mov_b32_e32 v0, 0
	global_load_dword v1, v0, s[20:21] offset:20
	s_waitcnt vmcnt(0)
	v_add_nc_u32_e32 v1, -1, v1
	v_cmp_eq_u32_e32 vcc_lo, 5, v1
	s_cbranch_vccnz .LBB49_402
; %bb.401:
	v_lshlrev_b32_e32 v1, 4, v1
	v_mov_b32_e32 v2, s57
	v_add_nc_u32_e32 v1, 16, v1
	s_clause 0x7
	buffer_load_dword v3, v1, s[0:3], 0 offen
	buffer_load_dword v4, v1, s[0:3], 0 offen offset:4
	buffer_load_dword v5, v1, s[0:3], 0 offen offset:8
	;; [unrolled: 1-line block ×6, first 2 shown]
	buffer_load_dword v10, v2, s[0:3], 0 offen
	s_waitcnt vmcnt(7)
	buffer_store_dword v3, v2, s[0:3], 0 offen
	s_waitcnt vmcnt(6)
	buffer_store_dword v4, v2, s[0:3], 0 offen offset:4
	s_waitcnt vmcnt(5)
	buffer_store_dword v5, v2, s[0:3], 0 offen offset:8
	;; [unrolled: 2-line block ×6, first 2 shown]
	s_waitcnt vmcnt(0)
	buffer_store_dword v10, v1, s[0:3], 0 offen
.LBB49_402:
	global_load_dword v0, v0, s[20:21] offset:16
	s_waitcnt vmcnt(0)
	v_add_nc_u32_e32 v0, -1, v0
	v_cmp_eq_u32_e32 vcc_lo, 4, v0
	s_cbranch_vccnz .LBB49_404
; %bb.403:
	v_lshlrev_b32_e32 v0, 4, v0
	v_mov_b32_e32 v1, s58
	v_add_nc_u32_e32 v0, 16, v0
	s_clause 0x7
	buffer_load_dword v2, v0, s[0:3], 0 offen
	buffer_load_dword v3, v0, s[0:3], 0 offen offset:4
	buffer_load_dword v4, v0, s[0:3], 0 offen offset:8
	buffer_load_dword v5, v0, s[0:3], 0 offen offset:12
	buffer_load_dword v6, v1, s[0:3], 0 offen offset:12
	buffer_load_dword v7, v1, s[0:3], 0 offen offset:8
	buffer_load_dword v8, v1, s[0:3], 0 offen offset:4
	buffer_load_dword v9, v1, s[0:3], 0 offen
	s_waitcnt vmcnt(7)
	buffer_store_dword v2, v1, s[0:3], 0 offen
	s_waitcnt vmcnt(6)
	buffer_store_dword v3, v1, s[0:3], 0 offen offset:4
	s_waitcnt vmcnt(5)
	buffer_store_dword v4, v1, s[0:3], 0 offen offset:8
	;; [unrolled: 2-line block ×6, first 2 shown]
	s_waitcnt vmcnt(0)
	buffer_store_dword v9, v0, s[0:3], 0 offen
.LBB49_404:
	v_mov_b32_e32 v0, 0
	global_load_dword v1, v0, s[20:21] offset:12
	s_waitcnt vmcnt(0)
	v_add_nc_u32_e32 v1, -1, v1
	v_cmp_eq_u32_e32 vcc_lo, 3, v1
	s_cbranch_vccnz .LBB49_406
; %bb.405:
	v_lshlrev_b32_e32 v1, 4, v1
	v_mov_b32_e32 v2, s59
	v_add_nc_u32_e32 v1, 16, v1
	s_clause 0x7
	buffer_load_dword v3, v1, s[0:3], 0 offen
	buffer_load_dword v4, v1, s[0:3], 0 offen offset:4
	buffer_load_dword v5, v1, s[0:3], 0 offen offset:8
	;; [unrolled: 1-line block ×6, first 2 shown]
	buffer_load_dword v10, v2, s[0:3], 0 offen
	s_waitcnt vmcnt(7)
	buffer_store_dword v3, v2, s[0:3], 0 offen
	s_waitcnt vmcnt(6)
	buffer_store_dword v4, v2, s[0:3], 0 offen offset:4
	s_waitcnt vmcnt(5)
	buffer_store_dword v5, v2, s[0:3], 0 offen offset:8
	;; [unrolled: 2-line block ×6, first 2 shown]
	s_waitcnt vmcnt(0)
	buffer_store_dword v10, v1, s[0:3], 0 offen
.LBB49_406:
	global_load_dword v0, v0, s[20:21] offset:8
	s_waitcnt vmcnt(0)
	v_add_nc_u32_e32 v0, -1, v0
	v_cmp_eq_u32_e32 vcc_lo, 2, v0
	s_cbranch_vccnz .LBB49_408
; %bb.407:
	v_lshlrev_b32_e32 v0, 4, v0
	v_mov_b32_e32 v1, s60
	v_add_nc_u32_e32 v0, 16, v0
	s_clause 0x7
	buffer_load_dword v2, v0, s[0:3], 0 offen
	buffer_load_dword v3, v0, s[0:3], 0 offen offset:4
	buffer_load_dword v4, v0, s[0:3], 0 offen offset:8
	;; [unrolled: 1-line block ×6, first 2 shown]
	buffer_load_dword v9, v1, s[0:3], 0 offen
	s_waitcnt vmcnt(7)
	buffer_store_dword v2, v1, s[0:3], 0 offen
	s_waitcnt vmcnt(6)
	buffer_store_dword v3, v1, s[0:3], 0 offen offset:4
	s_waitcnt vmcnt(5)
	buffer_store_dword v4, v1, s[0:3], 0 offen offset:8
	;; [unrolled: 2-line block ×6, first 2 shown]
	s_waitcnt vmcnt(0)
	buffer_store_dword v9, v0, s[0:3], 0 offen
.LBB49_408:
	v_mov_b32_e32 v0, 0
	global_load_dword v1, v0, s[20:21] offset:4
	s_waitcnt vmcnt(0)
	v_add_nc_u32_e32 v1, -1, v1
	v_cmp_eq_u32_e32 vcc_lo, 1, v1
	s_cbranch_vccnz .LBB49_410
; %bb.409:
	v_lshlrev_b32_e32 v1, 4, v1
	v_mov_b32_e32 v2, s61
	v_add_nc_u32_e32 v1, 16, v1
	s_clause 0x7
	buffer_load_dword v3, v1, s[0:3], 0 offen
	buffer_load_dword v4, v1, s[0:3], 0 offen offset:4
	buffer_load_dword v5, v1, s[0:3], 0 offen offset:8
	;; [unrolled: 1-line block ×6, first 2 shown]
	buffer_load_dword v10, v2, s[0:3], 0 offen
	s_waitcnt vmcnt(7)
	buffer_store_dword v3, v2, s[0:3], 0 offen
	s_waitcnt vmcnt(6)
	buffer_store_dword v4, v2, s[0:3], 0 offen offset:4
	s_waitcnt vmcnt(5)
	buffer_store_dword v5, v2, s[0:3], 0 offen offset:8
	;; [unrolled: 2-line block ×6, first 2 shown]
	s_waitcnt vmcnt(0)
	buffer_store_dword v10, v1, s[0:3], 0 offen
.LBB49_410:
	global_load_dword v0, v0, s[20:21]
	s_waitcnt vmcnt(0)
	v_add_nc_u32_e32 v0, -1, v0
	v_cmp_eq_u32_e32 vcc_lo, 0, v0
	s_cbranch_vccnz .LBB49_412
; %bb.411:
	v_lshlrev_b32_e32 v0, 4, v0
	v_add_nc_u32_e32 v0, 16, v0
	s_clause 0x7
	buffer_load_dword v1, v0, s[0:3], 0 offen
	buffer_load_dword v2, v0, s[0:3], 0 offen offset:4
	buffer_load_dword v3, v0, s[0:3], 0 offen offset:8
	;; [unrolled: 1-line block ×3, first 2 shown]
	buffer_load_dword v5, off, s[0:3], 0 offset:28
	buffer_load_dword v6, off, s[0:3], 0 offset:24
	;; [unrolled: 1-line block ×4, first 2 shown]
	s_waitcnt vmcnt(7)
	buffer_store_dword v1, off, s[0:3], 0 offset:16
	s_waitcnt vmcnt(6)
	buffer_store_dword v2, off, s[0:3], 0 offset:20
	;; [unrolled: 2-line block ×4, first 2 shown]
	s_waitcnt vmcnt(3)
	buffer_store_dword v5, v0, s[0:3], 0 offen offset:12
	s_waitcnt vmcnt(2)
	buffer_store_dword v6, v0, s[0:3], 0 offen offset:8
	;; [unrolled: 2-line block ×3, first 2 shown]
	s_waitcnt vmcnt(0)
	buffer_store_dword v8, v0, s[0:3], 0 offen
.LBB49_412:
	v_mov_b32_e32 v0, s61
	v_mov_b32_e32 v1, s60
	s_clause 0x3
	buffer_load_dword v28, off, s[0:3], 0 offset:16
	buffer_load_dword v29, off, s[0:3], 0 offset:20
	;; [unrolled: 1-line block ×4, first 2 shown]
	v_mov_b32_e32 v3, s55
	v_mov_b32_e32 v32, s54
	s_clause 0x3
	buffer_load_dword v24, v0, s[0:3], 0 offen
	buffer_load_dword v25, v0, s[0:3], 0 offen offset:4
	buffer_load_dword v26, v0, s[0:3], 0 offen offset:8
	;; [unrolled: 1-line block ×3, first 2 shown]
	v_mov_b32_e32 v0, s59
	s_clause 0x3
	buffer_load_dword v20, v1, s[0:3], 0 offen
	buffer_load_dword v21, v1, s[0:3], 0 offen offset:4
	buffer_load_dword v22, v1, s[0:3], 0 offen offset:8
	;; [unrolled: 1-line block ×3, first 2 shown]
	v_mov_b32_e32 v1, s58
	v_mov_b32_e32 v177, s42
	s_clause 0x7
	buffer_load_dword v16, v0, s[0:3], 0 offen
	buffer_load_dword v17, v0, s[0:3], 0 offen offset:4
	buffer_load_dword v18, v0, s[0:3], 0 offen offset:8
	;; [unrolled: 1-line block ×3, first 2 shown]
	buffer_load_dword v12, v1, s[0:3], 0 offen
	buffer_load_dword v13, v1, s[0:3], 0 offen offset:4
	buffer_load_dword v14, v1, s[0:3], 0 offen offset:8
	;; [unrolled: 1-line block ×3, first 2 shown]
	v_mov_b32_e32 v0, s57
	v_mov_b32_e32 v179, s36
	;; [unrolled: 1-line block ×3, first 2 shown]
	s_clause 0x3
	buffer_load_dword v8, v0, s[0:3], 0 offen
	buffer_load_dword v9, v0, s[0:3], 0 offen offset:4
	buffer_load_dword v10, v0, s[0:3], 0 offen offset:8
	;; [unrolled: 1-line block ×3, first 2 shown]
	v_mov_b32_e32 v0, s56
	v_mov_b32_e32 v183, s41
	s_clause 0xb
	buffer_load_dword v4, v0, s[0:3], 0 offen
	buffer_load_dword v5, v0, s[0:3], 0 offen offset:4
	buffer_load_dword v6, v0, s[0:3], 0 offen offset:8
	buffer_load_dword v7, v0, s[0:3], 0 offen offset:12
	buffer_load_dword v0, v3, s[0:3], 0 offen
	buffer_load_dword v1, v3, s[0:3], 0 offen offset:4
	buffer_load_dword v2, v3, s[0:3], 0 offen offset:8
	buffer_load_dword v3, v3, s[0:3], 0 offen offset:12
	;; [unrolled: 4-line block ×3, first 2 shown]
	v_mov_b32_e32 v32, s53
	s_clause 0x3
	buffer_load_dword v61, v32, s[0:3], 0 offen
	buffer_load_dword v62, v32, s[0:3], 0 offen offset:4
	buffer_load_dword v63, v32, s[0:3], 0 offen offset:8
	buffer_load_dword v64, v32, s[0:3], 0 offen offset:12
	v_mov_b32_e32 v32, s52
	s_clause 0x3
	buffer_load_dword v65, v32, s[0:3], 0 offen
	buffer_load_dword v66, v32, s[0:3], 0 offen offset:4
	buffer_load_dword v67, v32, s[0:3], 0 offen offset:8
	buffer_load_dword v68, v32, s[0:3], 0 offen offset:12
	;; [unrolled: 6-line block ×10, first 2 shown]
	v_mov_b32_e32 v32, s43
	v_mov_b32_e32 v178, s33
	;; [unrolled: 1-line block ×27, first 2 shown]
	s_waitcnt vmcnt(62)
	global_store_dwordx4 v[73:74], v[28:31], off
	global_store_dwordx4 v[75:76], v[24:27], off
	;; [unrolled: 1-line block ×3, first 2 shown]
	s_waitcnt vmcnt(60)
	global_store_dwordx4 v[113:114], v[16:19], off
	s_clause 0x3
	buffer_load_dword v16, v32, s[0:3], 0 offen
	buffer_load_dword v17, v32, s[0:3], 0 offen offset:4
	buffer_load_dword v18, v32, s[0:3], 0 offen offset:8
	buffer_load_dword v19, v32, s[0:3], 0 offen offset:12
	s_waitcnt vmcnt(60)
	global_store_dwordx4 v[101:102], v[12:15], off
	s_clause 0x7
	buffer_load_dword v12, v177, s[0:3], 0 offen
	buffer_load_dword v13, v177, s[0:3], 0 offen offset:4
	buffer_load_dword v14, v177, s[0:3], 0 offen offset:8
	buffer_load_dword v15, v177, s[0:3], 0 offen offset:12
	buffer_load_dword v20, v178, s[0:3], 0 offen
	buffer_load_dword v21, v178, s[0:3], 0 offen offset:4
	buffer_load_dword v22, v178, s[0:3], 0 offen offset:8
	buffer_load_dword v23, v178, s[0:3], 0 offen offset:12
	s_waitcnt vmcnt(62)
	global_store_dwordx4 v[107:108], v[8:11], off
	s_clause 0x7
	buffer_load_dword v8, v179, s[0:3], 0 offen
	buffer_load_dword v9, v179, s[0:3], 0 offen offset:4
	buffer_load_dword v10, v179, s[0:3], 0 offen offset:8
	buffer_load_dword v11, v179, s[0:3], 0 offen offset:12
	;; [unrolled: 11-line block ×3, first 2 shown]
	buffer_load_dword v28, v182, s[0:3], 0 offen
	buffer_load_dword v29, v182, s[0:3], 0 offen offset:4
	buffer_load_dword v30, v182, s[0:3], 0 offen offset:8
	;; [unrolled: 1-line block ×3, first 2 shown]
	global_store_dwordx4 v[103:104], v[0:3], off
	s_clause 0x7
	buffer_load_dword v0, v183, s[0:3], 0 offen
	buffer_load_dword v1, v183, s[0:3], 0 offen offset:4
	buffer_load_dword v2, v183, s[0:3], 0 offen offset:8
	;; [unrolled: 1-line block ×3, first 2 shown]
	buffer_load_dword v73, v184, s[0:3], 0 offen
	buffer_load_dword v74, v184, s[0:3], 0 offen offset:4
	buffer_load_dword v75, v184, s[0:3], 0 offen offset:8
	;; [unrolled: 1-line block ×3, first 2 shown]
	s_waitcnt vmcnt(62)
	global_store_dwordx4 v[85:86], v[57:60], off
	s_clause 0x7
	buffer_load_dword v57, v185, s[0:3], 0 offen
	buffer_load_dword v58, v185, s[0:3], 0 offen offset:4
	buffer_load_dword v59, v185, s[0:3], 0 offen offset:8
	buffer_load_dword v60, v185, s[0:3], 0 offen offset:12
	buffer_load_dword v101, v186, s[0:3], 0 offen
	buffer_load_dword v102, v186, s[0:3], 0 offen offset:4
	buffer_load_dword v103, v186, s[0:3], 0 offen offset:8
	buffer_load_dword v104, v186, s[0:3], 0 offen offset:12
	global_store_dwordx4 v[87:88], v[61:64], off
	s_clause 0x7
	buffer_load_dword v61, v187, s[0:3], 0 offen
	buffer_load_dword v62, v187, s[0:3], 0 offen offset:4
	buffer_load_dword v63, v187, s[0:3], 0 offen offset:8
	buffer_load_dword v64, v187, s[0:3], 0 offen offset:12
	buffer_load_dword v85, v188, s[0:3], 0 offen
	buffer_load_dword v86, v188, s[0:3], 0 offen offset:4
	buffer_load_dword v87, v188, s[0:3], 0 offen offset:8
	buffer_load_dword v88, v188, s[0:3], 0 offen offset:12
	;; [unrolled: 10-line block ×4, first 2 shown]
	s_waitcnt vmcnt(62)
	global_store_dwordx4 v[91:92], v[149:152], off
	s_clause 0x7
	buffer_load_dword v89, v193, s[0:3], 0 offen
	buffer_load_dword v90, v193, s[0:3], 0 offen offset:4
	buffer_load_dword v91, v193, s[0:3], 0 offen offset:8
	buffer_load_dword v92, v193, s[0:3], 0 offen offset:12
	buffer_load_dword v149, v194, s[0:3], 0 offen
	buffer_load_dword v150, v194, s[0:3], 0 offen offset:4
	buffer_load_dword v151, v194, s[0:3], 0 offen offset:8
	buffer_load_dword v152, v194, s[0:3], 0 offen offset:12
	global_store_dwordx4 v[93:94], v[153:156], off
	s_clause 0x7
	buffer_load_dword v153, v195, s[0:3], 0 offen
	buffer_load_dword v154, v195, s[0:3], 0 offen offset:4
	buffer_load_dword v155, v195, s[0:3], 0 offen offset:8
	buffer_load_dword v156, v195, s[0:3], 0 offen offset:12
	buffer_load_dword v177, v196, s[0:3], 0 offen
	buffer_load_dword v178, v196, s[0:3], 0 offen offset:4
	buffer_load_dword v179, v196, s[0:3], 0 offen offset:8
	buffer_load_dword v180, v196, s[0:3], 0 offen offset:12
	;; [unrolled: 10-line block ×7, first 2 shown]
	global_store_dwordx4 v[83:84], v[16:19], off
	s_waitcnt vmcnt(62)
	global_store_dwordx4 v[105:106], v[12:15], off
	global_store_dwordx4 v[111:112], v[20:23], off
	;; [unrolled: 1-line block ×14, first 2 shown]
	s_waitcnt vmcnt(60)
	global_store_dwordx4 v[141:142], v[113:116], off
	s_waitcnt vmcnt(56)
	global_store_dwordx4 v[143:144], v[145:148], off
	;; [unrolled: 2-line block ×16, first 2 shown]
	s_endpgm
	.section	.rodata,"a",@progbits
	.p2align	6, 0x0
	.amdhsa_kernel _ZN9rocsolver6v33100L18getri_kernel_smallILi50E19rocblas_complex_numIdEPS3_EEvT1_iilPiilS6_bb
		.amdhsa_group_segment_fixed_size 1608
		.amdhsa_private_segment_fixed_size 832
		.amdhsa_kernarg_size 60
		.amdhsa_user_sgpr_count 6
		.amdhsa_user_sgpr_private_segment_buffer 1
		.amdhsa_user_sgpr_dispatch_ptr 0
		.amdhsa_user_sgpr_queue_ptr 0
		.amdhsa_user_sgpr_kernarg_segment_ptr 1
		.amdhsa_user_sgpr_dispatch_id 0
		.amdhsa_user_sgpr_flat_scratch_init 0
		.amdhsa_user_sgpr_private_segment_size 0
		.amdhsa_wavefront_size32 1
		.amdhsa_uses_dynamic_stack 0
		.amdhsa_system_sgpr_private_segment_wavefront_offset 1
		.amdhsa_system_sgpr_workgroup_id_x 1
		.amdhsa_system_sgpr_workgroup_id_y 0
		.amdhsa_system_sgpr_workgroup_id_z 0
		.amdhsa_system_sgpr_workgroup_info 0
		.amdhsa_system_vgpr_workitem_id 0
		.amdhsa_next_free_vgpr 207
		.amdhsa_next_free_sgpr 66
		.amdhsa_reserve_vcc 1
		.amdhsa_reserve_flat_scratch 0
		.amdhsa_float_round_mode_32 0
		.amdhsa_float_round_mode_16_64 0
		.amdhsa_float_denorm_mode_32 3
		.amdhsa_float_denorm_mode_16_64 3
		.amdhsa_dx10_clamp 1
		.amdhsa_ieee_mode 1
		.amdhsa_fp16_overflow 0
		.amdhsa_workgroup_processor_mode 1
		.amdhsa_memory_ordered 1
		.amdhsa_forward_progress 1
		.amdhsa_shared_vgpr_count 0
		.amdhsa_exception_fp_ieee_invalid_op 0
		.amdhsa_exception_fp_denorm_src 0
		.amdhsa_exception_fp_ieee_div_zero 0
		.amdhsa_exception_fp_ieee_overflow 0
		.amdhsa_exception_fp_ieee_underflow 0
		.amdhsa_exception_fp_ieee_inexact 0
		.amdhsa_exception_int_div_zero 0
	.end_amdhsa_kernel
	.section	.text._ZN9rocsolver6v33100L18getri_kernel_smallILi50E19rocblas_complex_numIdEPS3_EEvT1_iilPiilS6_bb,"axG",@progbits,_ZN9rocsolver6v33100L18getri_kernel_smallILi50E19rocblas_complex_numIdEPS3_EEvT1_iilPiilS6_bb,comdat
.Lfunc_end49:
	.size	_ZN9rocsolver6v33100L18getri_kernel_smallILi50E19rocblas_complex_numIdEPS3_EEvT1_iilPiilS6_bb, .Lfunc_end49-_ZN9rocsolver6v33100L18getri_kernel_smallILi50E19rocblas_complex_numIdEPS3_EEvT1_iilPiilS6_bb
                                        ; -- End function
	.set _ZN9rocsolver6v33100L18getri_kernel_smallILi50E19rocblas_complex_numIdEPS3_EEvT1_iilPiilS6_bb.num_vgpr, 207
	.set _ZN9rocsolver6v33100L18getri_kernel_smallILi50E19rocblas_complex_numIdEPS3_EEvT1_iilPiilS6_bb.num_agpr, 0
	.set _ZN9rocsolver6v33100L18getri_kernel_smallILi50E19rocblas_complex_numIdEPS3_EEvT1_iilPiilS6_bb.numbered_sgpr, 66
	.set _ZN9rocsolver6v33100L18getri_kernel_smallILi50E19rocblas_complex_numIdEPS3_EEvT1_iilPiilS6_bb.num_named_barrier, 0
	.set _ZN9rocsolver6v33100L18getri_kernel_smallILi50E19rocblas_complex_numIdEPS3_EEvT1_iilPiilS6_bb.private_seg_size, 832
	.set _ZN9rocsolver6v33100L18getri_kernel_smallILi50E19rocblas_complex_numIdEPS3_EEvT1_iilPiilS6_bb.uses_vcc, 1
	.set _ZN9rocsolver6v33100L18getri_kernel_smallILi50E19rocblas_complex_numIdEPS3_EEvT1_iilPiilS6_bb.uses_flat_scratch, 0
	.set _ZN9rocsolver6v33100L18getri_kernel_smallILi50E19rocblas_complex_numIdEPS3_EEvT1_iilPiilS6_bb.has_dyn_sized_stack, 0
	.set _ZN9rocsolver6v33100L18getri_kernel_smallILi50E19rocblas_complex_numIdEPS3_EEvT1_iilPiilS6_bb.has_recursion, 0
	.set _ZN9rocsolver6v33100L18getri_kernel_smallILi50E19rocblas_complex_numIdEPS3_EEvT1_iilPiilS6_bb.has_indirect_call, 0
	.section	.AMDGPU.csdata,"",@progbits
; Kernel info:
; codeLenInByte = 167332
; TotalNumSgprs: 68
; NumVgprs: 207
; ScratchSize: 832
; MemoryBound: 0
; FloatMode: 240
; IeeeMode: 1
; LDSByteSize: 1608 bytes/workgroup (compile time only)
; SGPRBlocks: 0
; VGPRBlocks: 25
; NumSGPRsForWavesPerEU: 68
; NumVGPRsForWavesPerEU: 207
; Occupancy: 4
; WaveLimiterHint : 1
; COMPUTE_PGM_RSRC2:SCRATCH_EN: 1
; COMPUTE_PGM_RSRC2:USER_SGPR: 6
; COMPUTE_PGM_RSRC2:TRAP_HANDLER: 0
; COMPUTE_PGM_RSRC2:TGID_X_EN: 1
; COMPUTE_PGM_RSRC2:TGID_Y_EN: 0
; COMPUTE_PGM_RSRC2:TGID_Z_EN: 0
; COMPUTE_PGM_RSRC2:TIDIG_COMP_CNT: 0
	.section	.text._ZN9rocsolver6v33100L18getri_kernel_smallILi51E19rocblas_complex_numIdEPS3_EEvT1_iilPiilS6_bb,"axG",@progbits,_ZN9rocsolver6v33100L18getri_kernel_smallILi51E19rocblas_complex_numIdEPS3_EEvT1_iilPiilS6_bb,comdat
	.globl	_ZN9rocsolver6v33100L18getri_kernel_smallILi51E19rocblas_complex_numIdEPS3_EEvT1_iilPiilS6_bb ; -- Begin function _ZN9rocsolver6v33100L18getri_kernel_smallILi51E19rocblas_complex_numIdEPS3_EEvT1_iilPiilS6_bb
	.p2align	8
	.type	_ZN9rocsolver6v33100L18getri_kernel_smallILi51E19rocblas_complex_numIdEPS3_EEvT1_iilPiilS6_bb,@function
_ZN9rocsolver6v33100L18getri_kernel_smallILi51E19rocblas_complex_numIdEPS3_EEvT1_iilPiilS6_bb: ; @_ZN9rocsolver6v33100L18getri_kernel_smallILi51E19rocblas_complex_numIdEPS3_EEvT1_iilPiilS6_bb
; %bb.0:
	s_add_u32 s0, s0, s7
	s_addc_u32 s1, s1, 0
	s_mov_b32 s7, exec_lo
	v_cmpx_gt_u32_e32 51, v0
	s_cbranch_execz .LBB50_218
; %bb.1:
	s_clause 0x2
	s_load_dword s7, s[4:5], 0x38
	s_load_dwordx4 s[16:19], s[4:5], 0x10
	s_load_dwordx4 s[8:11], s[4:5], 0x28
                                        ; implicit-def: $sgpr20_sgpr21
	s_waitcnt lgkmcnt(0)
	s_bitcmp1_b32 s7, 8
	s_cselect_b32 s63, -1, 0
	s_bfe_u32 s12, s7, 0x10008
	s_ashr_i32 s7, s6, 31
	s_cmp_eq_u32 s12, 0
	s_cbranch_scc1 .LBB50_3
; %bb.2:
	s_load_dword s12, s[4:5], 0x20
	s_mul_i32 s13, s8, s7
	s_mul_hi_u32 s14, s8, s6
	s_mul_i32 s9, s9, s6
	s_add_i32 s13, s14, s13
	s_mul_i32 s8, s8, s6
	s_add_i32 s9, s13, s9
	s_lshl_b64 s[8:9], s[8:9], 2
	s_waitcnt lgkmcnt(0)
	s_ashr_i32 s13, s12, 31
	s_add_u32 s14, s18, s8
	s_addc_u32 s15, s19, s9
	s_lshl_b64 s[8:9], s[12:13], 2
	s_add_u32 s20, s14, s8
	s_addc_u32 s21, s15, s9
.LBB50_3:
	s_clause 0x1
	s_load_dwordx4 s[12:15], s[4:5], 0x0
	s_load_dword s64, s[4:5], 0x38
	s_mul_i32 s4, s16, s7
	s_mul_hi_u32 s5, s16, s6
	s_mul_i32 s8, s17, s6
	s_add_i32 s5, s5, s4
	s_mul_i32 s4, s16, s6
	s_add_i32 s5, s5, s8
	v_lshlrev_b32_e32 v203, 4, v0
	s_lshl_b64 s[4:5], s[4:5], 4
	s_mov_b32 s62, 32
	s_mov_b32 s61, 48
	;; [unrolled: 1-line block ×3, first 2 shown]
	s_movk_i32 s59, 0x50
	s_waitcnt lgkmcnt(0)
	s_ashr_i32 s9, s14, 31
	s_mov_b32 s8, s14
	s_add_u32 s12, s12, s4
	s_addc_u32 s13, s13, s5
	s_lshl_b64 s[4:5], s[8:9], 4
	s_mov_b32 s8, s15
	s_add_u32 s4, s12, s4
	s_addc_u32 s5, s13, s5
	v_add_co_u32 v117, s12, s4, v203
	s_ashr_i32 s9, s15, 31
	v_add_co_ci_u32_e64 v118, null, s5, 0, s12
	s_lshl_b64 s[8:9], s[8:9], 4
	global_load_dwordx4 v[1:4], v203, s[4:5]
	v_add_co_u32 v13, vcc_lo, v117, s8
	v_add_co_ci_u32_e64 v14, null, s9, v118, vcc_lo
	buffer_store_dword v13, off, s[0:3], 0 offset:832 ; 4-byte Folded Spill
	buffer_store_dword v14, off, s[0:3], 0 offset:836 ; 4-byte Folded Spill
	v_add3_u32 v5, s15, s15, v0
	v_ashrrev_i32_e32 v6, 31, v5
	v_add_nc_u32_e32 v7, s15, v5
	v_lshlrev_b64 v[5:6], 4, v[5:6]
	v_add_nc_u32_e32 v9, s15, v7
	v_ashrrev_i32_e32 v8, 31, v7
	v_add_co_u32 v15, vcc_lo, s4, v5
	v_add_co_ci_u32_e64 v16, null, s5, v6, vcc_lo
	v_ashrrev_i32_e32 v10, 31, v9
	v_add_nc_u32_e32 v11, s15, v9
	v_lshlrev_b64 v[7:8], 4, v[7:8]
	v_lshlrev_b64 v[5:6], 4, v[9:10]
	v_ashrrev_i32_e32 v12, 31, v11
	v_add_nc_u32_e32 v9, s15, v11
	v_add_co_u32 v123, vcc_lo, s4, v7
	v_add_co_ci_u32_e64 v124, null, s5, v8, vcc_lo
	v_lshlrev_b64 v[7:8], 4, v[11:12]
	v_ashrrev_i32_e32 v10, 31, v9
	v_add_nc_u32_e32 v11, s15, v9
	v_add_co_u32 v125, vcc_lo, s4, v5
	v_add_co_ci_u32_e64 v126, null, s5, v6, vcc_lo
	;; [unrolled: 5-line block ×7, first 2 shown]
	v_lshlrev_b64 v[7:8], 4, v[11:12]
	v_add_nc_u32_e32 v11, s15, v9
	v_ashrrev_i32_e32 v10, 31, v9
	v_add_co_u32 v137, vcc_lo, s4, v5
	v_add_co_ci_u32_e64 v138, null, s5, v6, vcc_lo
	v_ashrrev_i32_e32 v12, 31, v11
	v_lshlrev_b64 v[5:6], 4, v[9:10]
	v_add_co_u32 v139, vcc_lo, s4, v7
	v_add_co_ci_u32_e64 v140, null, s5, v8, vcc_lo
	v_lshlrev_b64 v[7:8], 4, v[11:12]
	v_add_co_u32 v141, vcc_lo, s4, v5
	v_add_co_ci_u32_e64 v142, null, s5, v6, vcc_lo
	v_add_nc_u32_e32 v9, s15, v11
	v_add_co_u32 v143, vcc_lo, s4, v7
	v_add_co_ci_u32_e64 v144, null, s5, v8, vcc_lo
	v_add_nc_u32_e32 v11, s15, v9
	v_ashrrev_i32_e32 v10, 31, v9
	v_ashrrev_i32_e32 v12, 31, v11
	v_lshlrev_b64 v[9:10], 4, v[9:10]
	v_add_co_u32 v145, vcc_lo, s4, v9
	v_add_co_ci_u32_e64 v146, null, s5, v10, vcc_lo
	global_load_dwordx4 v[37:40], v[13:14], off
	buffer_store_dword v15, off, s[0:3], 0 offset:840 ; 4-byte Folded Spill
	buffer_store_dword v16, off, s[0:3], 0 offset:844 ; 4-byte Folded Spill
	s_clause 0x7
	global_load_dwordx4 v[49:52], v[125:126], off
	global_load_dwordx4 v[57:60], v[127:128], off
	global_load_dwordx4 v[65:68], v[129:130], off
	global_load_dwordx4 v[69:72], v[131:132], off
	global_load_dwordx4 v[73:76], v[133:134], off
	global_load_dwordx4 v[77:80], v[135:136], off
	global_load_dwordx4 v[81:84], v[137:138], off
	global_load_dwordx4 v[85:88], v[139:140], off
	v_add_nc_u32_e32 v13, s15, v11
	v_lshlrev_b64 v[11:12], 4, v[11:12]
	global_load_dwordx4 v[45:48], v[123:124], off
	v_ashrrev_i32_e32 v14, 31, v13
	v_add_co_u32 v147, vcc_lo, s4, v11
	v_add_co_ci_u32_e64 v148, null, s5, v12, vcc_lo
	s_clause 0x2
	global_load_dwordx4 v[41:44], v[15:16], off
	global_load_dwordx4 v[89:92], v[141:142], off
	;; [unrolled: 1-line block ×3, first 2 shown]
	v_add_nc_u32_e32 v15, s15, v13
	v_lshlrev_b64 v[13:14], 4, v[13:14]
	global_load_dwordx4 v[9:12], v[145:146], off
	v_add_nc_u32_e32 v17, s15, v15
	v_ashrrev_i32_e32 v16, 31, v15
	v_add_co_u32 v149, vcc_lo, s4, v13
	v_add_co_ci_u32_e64 v150, null, s5, v14, vcc_lo
	v_add_nc_u32_e32 v21, s15, v17
	v_ashrrev_i32_e32 v18, 31, v17
	v_lshlrev_b64 v[15:16], 4, v[15:16]
	v_add_nc_u32_e32 v25, s15, v21
	v_ashrrev_i32_e32 v22, 31, v21
	v_lshlrev_b64 v[23:24], 4, v[17:18]
	v_add_co_u32 v151, vcc_lo, s4, v15
	v_add_nc_u32_e32 v29, s15, v25
	v_ashrrev_i32_e32 v26, 31, v25
	v_lshlrev_b64 v[21:22], 4, v[21:22]
	v_add_co_ci_u32_e64 v152, null, s5, v16, vcc_lo
	v_add_nc_u32_e32 v33, s15, v29
	v_ashrrev_i32_e32 v30, 31, v29
	v_lshlrev_b64 v[31:32], 4, v[25:26]
	v_add_co_u32 v153, vcc_lo, s4, v23
	v_add_nc_u32_e32 v53, s15, v33
	v_ashrrev_i32_e32 v34, 31, v33
	v_lshlrev_b64 v[29:30], 4, v[29:30]
	v_add_co_ci_u32_e64 v154, null, s5, v24, vcc_lo
	v_add_nc_u32_e32 v61, s15, v53
	v_ashrrev_i32_e32 v54, 31, v53
	v_add_co_u32 v155, vcc_lo, s4, v21
	v_lshlrev_b64 v[55:56], 4, v[33:34]
	v_add_nc_u32_e32 v93, s15, v61
	v_ashrrev_i32_e32 v62, 31, v61
	v_add_co_ci_u32_e64 v156, null, s5, v22, vcc_lo
	v_add_co_u32 v157, vcc_lo, s4, v31
	v_add_nc_u32_e32 v97, s15, v93
	v_ashrrev_i32_e32 v94, 31, v93
	v_lshlrev_b64 v[53:54], 4, v[53:54]
	v_add_co_ci_u32_e64 v158, null, s5, v32, vcc_lo
	v_add_nc_u32_e32 v103, s15, v97
	v_ashrrev_i32_e32 v98, 31, v97
	v_add_co_u32 v159, vcc_lo, s4, v29
	v_lshlrev_b64 v[95:96], 4, v[61:62]
	v_add_nc_u32_e32 v107, s15, v103
	v_ashrrev_i32_e32 v104, 31, v103
	v_add_co_ci_u32_e64 v160, null, s5, v30, vcc_lo
	v_add_co_u32 v161, vcc_lo, s4, v55
	v_add_nc_u32_e32 v111, s15, v107
	v_lshlrev_b64 v[101:102], 4, v[93:94]
	v_ashrrev_i32_e32 v108, 31, v107
	v_add_co_ci_u32_e64 v162, null, s5, v56, vcc_lo
	v_add_nc_u32_e32 v115, s15, v111
	v_add_co_u32 v163, vcc_lo, s4, v53
	v_lshlrev_b64 v[105:106], 4, v[97:98]
	v_ashrrev_i32_e32 v112, 31, v111
	v_add_nc_u32_e32 v177, s15, v115
	v_add_co_ci_u32_e64 v164, null, s5, v54, vcc_lo
	v_add_co_u32 v165, vcc_lo, s4, v95
	v_lshlrev_b64 v[109:110], 4, v[103:104]
	v_ashrrev_i32_e32 v116, 31, v115
	v_add_nc_u32_e32 v181, s15, v177
	v_add_co_ci_u32_e64 v166, null, s5, v96, vcc_lo
	v_add_co_u32 v167, vcc_lo, s4, v101
	v_lshlrev_b64 v[113:114], 4, v[107:108]
	v_ashrrev_i32_e32 v178, 31, v177
	v_add_co_ci_u32_e64 v168, null, s5, v102, vcc_lo
	v_add_co_u32 v169, vcc_lo, s4, v105
	v_lshlrev_b64 v[175:176], 4, v[111:112]
	v_add_co_ci_u32_e64 v170, null, s5, v106, vcc_lo
	v_add_co_u32 v171, vcc_lo, s4, v109
	v_lshlrev_b64 v[179:180], 4, v[115:116]
	v_add_nc_u32_e32 v185, s15, v181
	v_add_co_ci_u32_e64 v172, null, s5, v110, vcc_lo
	v_add_co_u32 v173, vcc_lo, s4, v113
	v_lshlrev_b64 v[183:184], 4, v[177:178]
	v_add_co_ci_u32_e64 v174, null, s5, v114, vcc_lo
	v_add_co_u32 v175, vcc_lo, s4, v175
	v_ashrrev_i32_e32 v186, 31, v185
	v_add_nc_u32_e32 v187, s15, v185
	v_add_co_ci_u32_e64 v176, null, s5, v176, vcc_lo
	v_add_co_u32 v177, vcc_lo, s4, v179
	v_add_co_ci_u32_e64 v178, null, s5, v180, vcc_lo
	v_add_co_u32 v179, vcc_lo, s4, v183
	v_add_co_ci_u32_e64 v180, null, s5, v184, vcc_lo
	v_lshlrev_b64 v[183:184], 4, v[185:186]
	v_add_nc_u32_e32 v185, s15, v187
	v_ashrrev_i32_e32 v182, 31, v181
	v_ashrrev_i32_e32 v188, 31, v187
	s_clause 0x3
	global_load_dwordx4 v[13:16], v[147:148], off
	global_load_dwordx4 v[17:20], v[149:150], off
	global_load_dwordx4 v[21:24], v[151:152], off
	global_load_dwordx4 v[25:28], v[153:154], off
	v_add_nc_u32_e32 v189, s15, v185
	v_lshlrev_b64 v[181:182], 4, v[181:182]
	v_ashrrev_i32_e32 v186, 31, v185
	v_lshlrev_b64 v[187:188], 4, v[187:188]
	s_clause 0x1
	global_load_dwordx4 v[33:36], v[155:156], off
	global_load_dwordx4 v[29:32], v[157:158], off
	v_add_nc_u32_e32 v193, s15, v189
	v_ashrrev_i32_e32 v190, 31, v189
	v_add_co_u32 v181, vcc_lo, s4, v181
	v_lshlrev_b64 v[191:192], 4, v[185:186]
	v_add_co_ci_u32_e64 v182, null, s5, v182, vcc_lo
	v_add_co_u32 v183, vcc_lo, s4, v183
	v_ashrrev_i32_e32 v194, 31, v193
	v_add_nc_u32_e32 v195, s15, v193
	v_add_co_ci_u32_e64 v184, null, s5, v184, vcc_lo
	v_add_co_u32 v185, vcc_lo, s4, v187
	v_add_co_ci_u32_e64 v186, null, s5, v188, vcc_lo
	v_add_co_u32 v187, vcc_lo, s4, v191
	v_add_co_ci_u32_e64 v188, null, s5, v192, vcc_lo
	v_lshlrev_b64 v[191:192], 4, v[193:194]
	v_add_nc_u32_e32 v193, s15, v195
	v_ashrrev_i32_e32 v196, 31, v195
	v_lshlrev_b64 v[189:190], 4, v[189:190]
	s_clause 0x3
	global_load_dwordx4 v[61:64], v[159:160], off
	global_load_dwordx4 v[53:56], v[161:162], off
	;; [unrolled: 1-line block ×4, first 2 shown]
	v_add_nc_u32_e32 v197, s15, v193
	v_ashrrev_i32_e32 v194, 31, v193
	v_lshlrev_b64 v[195:196], 4, v[195:196]
	v_add_co_u32 v189, vcc_lo, s4, v189
	v_add_nc_u32_e32 v201, s15, v197
	v_ashrrev_i32_e32 v198, 31, v197
	v_lshlrev_b64 v[199:200], 4, v[193:194]
	v_add_co_ci_u32_e64 v190, null, s5, v190, vcc_lo
	v_add_nc_u32_e32 v244, s15, v201
	v_add_co_u32 v191, vcc_lo, s4, v191
	v_lshlrev_b64 v[197:198], 4, v[197:198]
	v_add_co_ci_u32_e64 v192, null, s5, v192, vcc_lo
	v_add_co_u32 v193, vcc_lo, s4, v195
	v_add_nc_u32_e32 v248, s15, v244
	v_add_co_ci_u32_e64 v194, null, s5, v196, vcc_lo
	v_add_co_u32 v195, vcc_lo, s4, v199
	v_add_co_ci_u32_e64 v196, null, s5, v200, vcc_lo
	v_add_co_u32 v197, vcc_lo, s4, v197
	v_ashrrev_i32_e32 v202, 31, v201
	v_ashrrev_i32_e32 v245, 31, v244
	v_add_nc_u32_e32 v119, s15, v248
	v_add_co_ci_u32_e64 v198, null, s5, v198, vcc_lo
	s_clause 0xd
	global_load_dwordx4 v[105:108], v[167:168], off
	global_load_dwordx4 v[101:104], v[169:170], off
	;; [unrolled: 1-line block ×14, first 2 shown]
	s_waitcnt vmcnt(38)
	buffer_store_dword v4, off, s[0:3], 0 offset:28
	buffer_store_dword v3, off, s[0:3], 0 offset:24
	;; [unrolled: 1-line block ×4, first 2 shown]
	v_lshlrev_b64 v[199:200], 4, v[201:202]
	v_lshlrev_b64 v[201:202], 4, v[244:245]
	s_clause 0x1
	global_load_dwordx4 v[1:4], v[195:196], off
	global_load_dwordx4 v[244:247], v[197:198], off
	s_waitcnt vmcnt(39)
	buffer_store_dword v40, off, s[0:3], 0 offset:44
	buffer_store_dword v39, off, s[0:3], 0 offset:40
	;; [unrolled: 1-line block ×4, first 2 shown]
	v_ashrrev_i32_e32 v249, 31, v248
	v_ashrrev_i32_e32 v120, 31, v119
	v_add_co_u32 v199, vcc_lo, s4, v199
	v_add_co_ci_u32_e64 v200, null, s5, v200, vcc_lo
	v_add_co_u32 v201, vcc_lo, s4, v201
	v_lshlrev_b64 v[121:122], 4, v[248:249]
	v_add_co_ci_u32_e64 v202, null, s5, v202, vcc_lo
	v_lshlrev_b64 v[39:40], 4, v[119:120]
	s_waitcnt vmcnt(29)
	buffer_store_dword v44, off, s[0:3], 0 offset:60
	buffer_store_dword v43, off, s[0:3], 0 offset:56
	;; [unrolled: 1-line block ×8, first 2 shown]
	v_add_nc_u32_e32 v41, s15, v119
	s_clause 0x1
	global_load_dwordx4 v[248:251], v[199:200], off
	global_load_dwordx4 v[252:255], v[201:202], off
	buffer_store_dword v52, off, s[0:3], 0 offset:92
	buffer_store_dword v51, off, s[0:3], 0 offset:88
	;; [unrolled: 1-line block ×32, first 2 shown]
	s_waitcnt vmcnt(30)
	buffer_store_dword v92, off, s[0:3], 0 offset:220
	buffer_store_dword v91, off, s[0:3], 0 offset:216
	;; [unrolled: 1-line block ×4, first 2 shown]
	s_waitcnt vmcnt(29)
	buffer_store_dword v8, off, s[0:3], 0 offset:236
	v_add_co_u32 v37, vcc_lo, s4, v121
	v_add_nc_u32_e32 v43, s15, v41
	v_ashrrev_i32_e32 v42, 31, v41
	v_add_co_ci_u32_e64 v38, null, s5, v122, vcc_lo
	v_add_co_u32 v39, vcc_lo, s4, v39
	v_add_nc_u32_e32 v45, s15, v43
	v_ashrrev_i32_e32 v44, 31, v43
	v_lshlrev_b64 v[41:42], 4, v[41:42]
	v_add_co_ci_u32_e64 v40, null, s5, v40, vcc_lo
	v_add_nc_u32_e32 v47, s15, v45
	v_ashrrev_i32_e32 v46, 31, v45
	v_lshlrev_b64 v[43:44], 4, v[43:44]
	v_add_co_u32 v41, vcc_lo, s4, v41
	v_ashrrev_i32_e32 v48, 31, v47
	v_add_nc_u32_e32 v50, s15, v47
	v_lshlrev_b64 v[45:46], 4, v[45:46]
	v_add_co_ci_u32_e64 v42, null, s5, v42, vcc_lo
	v_lshlrev_b64 v[48:49], 4, v[47:48]
	v_add_nc_u32_e32 v85, s15, v50
	v_add_co_u32 v43, vcc_lo, s4, v43
	v_ashrrev_i32_e32 v51, 31, v50
	v_add_co_ci_u32_e64 v44, null, s5, v44, vcc_lo
	v_add_co_u32 v45, vcc_lo, s4, v45
	v_ashrrev_i32_e32 v86, 31, v85
	v_add_co_ci_u32_e64 v46, null, s5, v46, vcc_lo
	v_add_co_u32 v47, vcc_lo, s4, v48
	v_add_co_ci_u32_e64 v48, null, s5, v49, vcc_lo
	v_lshlrev_b64 v[49:50], 4, v[50:51]
	v_lshlrev_b64 v[85:86], 4, v[85:86]
	s_clause 0x5
	global_load_dwordx4 v[57:60], v[37:38], off
	global_load_dwordx4 v[65:68], v[39:40], off
	;; [unrolled: 1-line block ×6, first 2 shown]
	v_add_co_u32 v51, vcc_lo, s4, v49
	v_add_co_ci_u32_e64 v52, null, s5, v50, vcc_lo
	v_add_co_u32 v49, vcc_lo, s4, v85
	v_add_co_ci_u32_e64 v50, null, s5, v86, vcc_lo
	global_load_dwordx4 v[85:88], v[51:52], off
	buffer_store_dword v7, off, s[0:3], 0 offset:232
	buffer_store_dword v6, off, s[0:3], 0 offset:228
	;; [unrolled: 1-line block ×3, first 2 shown]
	s_movk_i32 s4, 0x50
	global_load_dwordx4 v[5:8], v[49:50], off
	s_movk_i32 s5, 0x60
	s_add_i32 s58, s4, 16
	s_add_i32 s57, s5, 16
	s_movk_i32 s4, 0x70
	s_movk_i32 s5, 0x80
	s_add_i32 s56, s4, 16
	s_add_i32 s55, s5, 16
	s_movk_i32 s4, 0x90
	s_movk_i32 s5, 0xa0
	s_add_i32 s54, s4, 16
	s_add_i32 s53, s5, 16
	s_movk_i32 s4, 0xb0
	s_movk_i32 s5, 0xc0
	s_add_i32 s52, s4, 16
	s_add_i32 s51, s5, 16
	s_movk_i32 s4, 0xd0
	s_movk_i32 s5, 0xe0
	s_add_i32 s50, s4, 16
	s_add_i32 s49, s5, 16
	s_movk_i32 s4, 0xf0
	s_movk_i32 s5, 0x100
	s_add_i32 s48, s4, 16
	s_add_i32 s47, s5, 16
	s_movk_i32 s4, 0x110
	s_movk_i32 s5, 0x120
	s_add_i32 s46, s4, 16
	s_add_i32 s45, s5, 16
	s_movk_i32 s4, 0x130
	s_movk_i32 s5, 0x140
	s_add_i32 s44, s4, 16
	s_add_i32 s43, s5, 16
	s_movk_i32 s4, 0x150
	s_movk_i32 s5, 0x160
	s_add_i32 s42, s4, 16
	s_add_i32 s41, s5, 16
	s_movk_i32 s4, 0x170
	s_movk_i32 s5, 0x180
	s_add_i32 s40, s4, 16
	s_add_i32 s39, s5, 16
	s_movk_i32 s4, 0x190
	s_movk_i32 s5, 0x1a0
	s_add_i32 s38, s4, 16
	s_add_i32 s37, s5, 16
	s_movk_i32 s4, 0x1b0
	s_movk_i32 s5, 0x1c0
	s_add_i32 s36, s4, 16
	s_add_i32 s35, s5, 16
	s_movk_i32 s4, 0x1d0
	s_movk_i32 s5, 0x1e0
	s_add_i32 s34, s4, 16
	s_add_i32 s33, s5, 16
	s_movk_i32 s4, 0x1f0
	s_movk_i32 s5, 0x200
	s_add_i32 s31, s4, 16
	s_add_i32 s30, s5, 16
	s_movk_i32 s4, 0x210
	s_movk_i32 s5, 0x220
	s_add_i32 s29, s4, 16
	s_add_i32 s28, s5, 16
	s_movk_i32 s4, 0x230
	s_movk_i32 s5, 0x240
	s_add_i32 s27, s4, 16
	s_add_i32 s26, s5, 16
	s_movk_i32 s4, 0x250
	s_movk_i32 s5, 0x260
	s_add_i32 s25, s4, 16
	s_add_i32 s24, s5, 16
	s_movk_i32 s4, 0x270
	s_movk_i32 s5, 0x280
	s_add_i32 s23, s4, 16
	s_add_i32 s22, s5, 16
	s_movk_i32 s4, 0x290
	s_movk_i32 s5, 0x2a0
	s_add_i32 s19, s4, 16
	s_add_i32 s18, s5, 16
	s_movk_i32 s4, 0x2b0
	s_movk_i32 s5, 0x2c0
	s_add_i32 s17, s4, 16
	s_add_i32 s16, s5, 16
	s_movk_i32 s4, 0x2d0
	s_movk_i32 s5, 0x2e0
	s_add_i32 s15, s4, 16
	s_add_i32 s14, s5, 16
	s_movk_i32 s4, 0x2f0
	s_movk_i32 s5, 0x300
	s_add_i32 s13, s4, 16
	s_add_i32 s12, s5, 16
	s_movk_i32 s4, 0x310
	s_movk_i32 s5, 0x320
	s_add_i32 s9, s4, 16
	s_add_i32 s8, s5, 16
	s_bitcmp0_b32 s64, 0
	s_mov_b32 s5, -1
	s_waitcnt vmcnt(36)
	buffer_store_dword v12, off, s[0:3], 0 offset:252
	buffer_store_dword v11, off, s[0:3], 0 offset:248
	buffer_store_dword v10, off, s[0:3], 0 offset:244
	buffer_store_dword v9, off, s[0:3], 0 offset:240
	s_waitcnt vmcnt(35)
	buffer_store_dword v16, off, s[0:3], 0 offset:268
	buffer_store_dword v15, off, s[0:3], 0 offset:264
	buffer_store_dword v14, off, s[0:3], 0 offset:260
	buffer_store_dword v13, off, s[0:3], 0 offset:256
	;; [unrolled: 5-line block ×37, first 2 shown]
	s_cbranch_scc1 .LBB50_216
; %bb.4:
	v_cmp_eq_u32_e64 s4, 0, v0
	s_and_saveexec_b32 s5, s4
; %bb.5:
	v_mov_b32_e32 v1, 0
	ds_write_b32 v1, v1 offset:1632
; %bb.6:
	s_or_b32 exec_lo, exec_lo, s5
	v_lshl_add_u32 v11, v0, 4, 16
	s_waitcnt lgkmcnt(0)
	s_waitcnt_vscnt null, 0x0
	s_barrier
	buffer_gl0_inv
	s_clause 0x3
	buffer_load_dword v1, v11, s[0:3], 0 offen
	buffer_load_dword v2, v11, s[0:3], 0 offen offset:4
	buffer_load_dword v3, v11, s[0:3], 0 offen offset:8
	;; [unrolled: 1-line block ×3, first 2 shown]
	s_waitcnt vmcnt(2)
	v_cmp_eq_f64_e32 vcc_lo, 0, v[1:2]
	s_waitcnt vmcnt(0)
	v_cmp_eq_f64_e64 s5, 0, v[3:4]
	s_and_b32 s5, vcc_lo, s5
	s_and_saveexec_b32 s64, s5
	s_cbranch_execz .LBB50_10
; %bb.7:
	v_mov_b32_e32 v1, 0
	s_mov_b32 s65, 0
	ds_read_b32 v2, v1 offset:1632
	s_waitcnt lgkmcnt(0)
	v_readfirstlane_b32 s5, v2
	v_add_nc_u32_e32 v2, 1, v0
	s_cmp_eq_u32 s5, 0
	v_cmp_gt_i32_e32 vcc_lo, s5, v2
	s_cselect_b32 s66, -1, 0
	s_or_b32 s66, s66, vcc_lo
	s_and_b32 exec_lo, exec_lo, s66
	s_cbranch_execz .LBB50_10
; %bb.8:
	v_mov_b32_e32 v3, s5
.LBB50_9:                               ; =>This Inner Loop Header: Depth=1
	ds_cmpst_rtn_b32 v3, v1, v3, v2 offset:1632
	s_waitcnt lgkmcnt(0)
	v_cmp_ne_u32_e32 vcc_lo, 0, v3
	v_cmp_le_i32_e64 s5, v3, v2
	s_and_b32 s5, vcc_lo, s5
	s_and_b32 s5, exec_lo, s5
	s_or_b32 s65, s5, s65
	s_andn2_b32 exec_lo, exec_lo, s65
	s_cbranch_execnz .LBB50_9
.LBB50_10:
	s_or_b32 exec_lo, exec_lo, s64
	v_mov_b32_e32 v1, 0
	s_barrier
	buffer_gl0_inv
	ds_read_b32 v2, v1 offset:1632
	s_and_saveexec_b32 s5, s4
	s_cbranch_execz .LBB50_12
; %bb.11:
	s_lshl_b64 s[64:65], s[6:7], 2
	s_add_u32 s64, s10, s64
	s_addc_u32 s65, s11, s65
	s_waitcnt lgkmcnt(0)
	global_store_dword v1, v2, s[64:65]
.LBB50_12:
	s_or_b32 exec_lo, exec_lo, s5
	s_waitcnt lgkmcnt(0)
	v_cmp_ne_u32_e32 vcc_lo, 0, v2
	s_mov_b32 s5, 0
	s_cbranch_vccnz .LBB50_216
; %bb.13:
	s_clause 0x3
	buffer_load_dword v7, v11, s[0:3], 0 offen
	buffer_load_dword v8, v11, s[0:3], 0 offen offset:4
	buffer_load_dword v9, v11, s[0:3], 0 offen offset:8
	;; [unrolled: 1-line block ×3, first 2 shown]
                                        ; implicit-def: $vgpr5_vgpr6
                                        ; implicit-def: $vgpr3_vgpr4
	s_waitcnt vmcnt(0)
	v_cmp_ngt_f64_e64 s5, |v[7:8]|, |v[9:10]|
	s_and_saveexec_b32 s64, s5
	s_xor_b32 s5, exec_lo, s64
	s_cbranch_execz .LBB50_15
; %bb.14:
	v_div_scale_f64 v[1:2], null, v[9:10], v[9:10], v[7:8]
	v_div_scale_f64 v[12:13], vcc_lo, v[7:8], v[9:10], v[7:8]
	v_rcp_f64_e32 v[3:4], v[1:2]
	v_fma_f64 v[5:6], -v[1:2], v[3:4], 1.0
	v_fma_f64 v[3:4], v[3:4], v[5:6], v[3:4]
	v_fma_f64 v[5:6], -v[1:2], v[3:4], 1.0
	v_fma_f64 v[3:4], v[3:4], v[5:6], v[3:4]
	v_mul_f64 v[5:6], v[12:13], v[3:4]
	v_fma_f64 v[1:2], -v[1:2], v[5:6], v[12:13]
	v_div_fmas_f64 v[1:2], v[1:2], v[3:4], v[5:6]
	v_div_fixup_f64 v[1:2], v[1:2], v[9:10], v[7:8]
	v_fma_f64 v[3:4], v[7:8], v[1:2], v[9:10]
	v_div_scale_f64 v[5:6], null, v[3:4], v[3:4], 1.0
	v_div_scale_f64 v[12:13], vcc_lo, 1.0, v[3:4], 1.0
	v_rcp_f64_e32 v[7:8], v[5:6]
	v_fma_f64 v[9:10], -v[5:6], v[7:8], 1.0
	v_fma_f64 v[7:8], v[7:8], v[9:10], v[7:8]
	v_fma_f64 v[9:10], -v[5:6], v[7:8], 1.0
	v_fma_f64 v[7:8], v[7:8], v[9:10], v[7:8]
	v_mul_f64 v[9:10], v[12:13], v[7:8]
	v_fma_f64 v[5:6], -v[5:6], v[9:10], v[12:13]
	v_div_fmas_f64 v[5:6], v[5:6], v[7:8], v[9:10]
                                        ; implicit-def: $vgpr7_vgpr8
                                        ; implicit-def: $vgpr9_vgpr10
	v_div_fixup_f64 v[3:4], v[5:6], v[3:4], 1.0
	v_mul_f64 v[5:6], v[1:2], v[3:4]
	v_xor_b32_e32 v4, 0x80000000, v4
	v_xor_b32_e32 v2, 0x80000000, v6
	v_mov_b32_e32 v1, v5
.LBB50_15:
	s_andn2_saveexec_b32 s5, s5
	s_cbranch_execz .LBB50_17
; %bb.16:
	v_div_scale_f64 v[1:2], null, v[7:8], v[7:8], v[9:10]
	v_div_scale_f64 v[12:13], vcc_lo, v[9:10], v[7:8], v[9:10]
	v_rcp_f64_e32 v[3:4], v[1:2]
	v_fma_f64 v[5:6], -v[1:2], v[3:4], 1.0
	v_fma_f64 v[3:4], v[3:4], v[5:6], v[3:4]
	v_fma_f64 v[5:6], -v[1:2], v[3:4], 1.0
	v_fma_f64 v[3:4], v[3:4], v[5:6], v[3:4]
	v_mul_f64 v[5:6], v[12:13], v[3:4]
	v_fma_f64 v[1:2], -v[1:2], v[5:6], v[12:13]
	v_div_fmas_f64 v[1:2], v[1:2], v[3:4], v[5:6]
	v_div_fixup_f64 v[1:2], v[1:2], v[7:8], v[9:10]
	v_fma_f64 v[3:4], v[9:10], v[1:2], v[7:8]
	v_div_scale_f64 v[5:6], null, v[3:4], v[3:4], 1.0
	v_rcp_f64_e32 v[7:8], v[5:6]
	v_fma_f64 v[9:10], -v[5:6], v[7:8], 1.0
	v_fma_f64 v[7:8], v[7:8], v[9:10], v[7:8]
	v_fma_f64 v[9:10], -v[5:6], v[7:8], 1.0
	v_fma_f64 v[7:8], v[7:8], v[9:10], v[7:8]
	v_div_scale_f64 v[9:10], vcc_lo, 1.0, v[3:4], 1.0
	v_mul_f64 v[12:13], v[9:10], v[7:8]
	v_fma_f64 v[5:6], -v[5:6], v[12:13], v[9:10]
	v_div_fmas_f64 v[5:6], v[5:6], v[7:8], v[12:13]
	v_div_fixup_f64 v[5:6], v[5:6], v[3:4], 1.0
	v_mul_f64 v[3:4], v[1:2], -v[5:6]
	v_xor_b32_e32 v2, 0x80000000, v6
	v_mov_b32_e32 v1, v5
.LBB50_17:
	s_or_b32 exec_lo, exec_lo, s5
	v_mov_b32_e32 v10, s62
	buffer_store_dword v6, v11, s[0:3], 0 offen offset:4
	buffer_store_dword v5, v11, s[0:3], 0 offen
	buffer_store_dword v4, v11, s[0:3], 0 offen offset:12
	buffer_store_dword v3, v11, s[0:3], 0 offen offset:8
	v_xor_b32_e32 v4, 0x80000000, v4
	v_add_nc_u32_e32 v5, 0x330, v203
	s_clause 0x3
	buffer_load_dword v9, v10, s[0:3], 0 offen offset:12
	buffer_load_dword v8, v10, s[0:3], 0 offen offset:8
	;; [unrolled: 1-line block ×3, first 2 shown]
	buffer_load_dword v6, v10, s[0:3], 0 offen
	ds_write_b128 v203, v[1:4]
	s_waitcnt vmcnt(0)
	ds_write_b128 v203, v[6:9] offset:816
	s_waitcnt lgkmcnt(0)
	s_waitcnt_vscnt null, 0x0
	s_barrier
	buffer_gl0_inv
	s_and_saveexec_b32 s5, s4
	s_cbranch_execz .LBB50_19
; %bb.18:
	s_clause 0x3
	buffer_load_dword v12, v11, s[0:3], 0 offen offset:8
	buffer_load_dword v13, v11, s[0:3], 0 offen offset:12
	buffer_load_dword v14, v11, s[0:3], 0 offen
	buffer_load_dword v15, v11, s[0:3], 0 offen offset:4
	ds_read_b128 v[1:4], v5
	v_mov_b32_e32 v6, 0
	ds_read_b128 v[6:9], v6 offset:16
	s_waitcnt vmcnt(2) lgkmcnt(1)
	v_mul_f64 v[16:17], v[1:2], v[12:13]
	v_mul_f64 v[12:13], v[3:4], v[12:13]
	s_waitcnt vmcnt(0)
	v_fma_f64 v[3:4], v[3:4], v[14:15], v[16:17]
	v_fma_f64 v[1:2], v[1:2], v[14:15], -v[12:13]
	v_add_f64 v[3:4], v[3:4], 0
	v_add_f64 v[1:2], v[1:2], 0
	s_waitcnt lgkmcnt(0)
	v_mul_f64 v[12:13], v[3:4], v[8:9]
	v_mul_f64 v[8:9], v[1:2], v[8:9]
	v_fma_f64 v[1:2], v[1:2], v[6:7], -v[12:13]
	v_fma_f64 v[3:4], v[3:4], v[6:7], v[8:9]
	buffer_store_dword v1, off, s[0:3], 0 offset:32
	buffer_store_dword v2, off, s[0:3], 0 offset:36
	;; [unrolled: 1-line block ×4, first 2 shown]
.LBB50_19:
	s_or_b32 exec_lo, exec_lo, s5
	v_mov_b32_e32 v4, s61
	s_waitcnt_vscnt null, 0x0
	s_barrier
	buffer_gl0_inv
	s_mov_b32 s5, exec_lo
	s_clause 0x3
	buffer_load_dword v1, v4, s[0:3], 0 offen
	buffer_load_dword v2, v4, s[0:3], 0 offen offset:4
	buffer_load_dword v3, v4, s[0:3], 0 offen offset:8
	;; [unrolled: 1-line block ×3, first 2 shown]
	s_waitcnt vmcnt(0)
	ds_write_b128 v5, v[1:4]
	s_waitcnt lgkmcnt(0)
	s_barrier
	buffer_gl0_inv
	v_cmpx_gt_u32_e32 2, v0
	s_cbranch_execz .LBB50_23
; %bb.20:
	s_clause 0x3
	buffer_load_dword v6, v11, s[0:3], 0 offen offset:8
	buffer_load_dword v7, v11, s[0:3], 0 offen offset:12
	buffer_load_dword v8, v11, s[0:3], 0 offen
	buffer_load_dword v9, v11, s[0:3], 0 offen offset:4
	ds_read_b128 v[1:4], v5
	s_waitcnt vmcnt(2) lgkmcnt(0)
	v_mul_f64 v[10:11], v[3:4], v[6:7]
	v_mul_f64 v[6:7], v[1:2], v[6:7]
	s_waitcnt vmcnt(0)
	v_fma_f64 v[1:2], v[1:2], v[8:9], -v[10:11]
	v_fma_f64 v[3:4], v[3:4], v[8:9], v[6:7]
	v_add_f64 v[1:2], v[1:2], 0
	v_add_f64 v[3:4], v[3:4], 0
	s_and_saveexec_b32 s64, s4
	s_cbranch_execz .LBB50_22
; %bb.21:
	s_clause 0x3
	buffer_load_dword v10, off, s[0:3], 0 offset:40
	buffer_load_dword v11, off, s[0:3], 0 offset:44
	;; [unrolled: 1-line block ×4, first 2 shown]
	v_mov_b32_e32 v6, 0
	ds_read_b128 v[6:9], v6 offset:832
	s_waitcnt vmcnt(2) lgkmcnt(0)
	v_mul_f64 v[14:15], v[6:7], v[10:11]
	v_mul_f64 v[10:11], v[8:9], v[10:11]
	s_waitcnt vmcnt(0)
	v_fma_f64 v[8:9], v[8:9], v[12:13], v[14:15]
	v_fma_f64 v[6:7], v[6:7], v[12:13], -v[10:11]
	v_add_f64 v[3:4], v[3:4], v[8:9]
	v_add_f64 v[1:2], v[1:2], v[6:7]
.LBB50_22:
	s_or_b32 exec_lo, exec_lo, s64
	v_mov_b32_e32 v6, 0
	ds_read_b128 v[6:9], v6 offset:32
	s_waitcnt lgkmcnt(0)
	v_mul_f64 v[10:11], v[3:4], v[8:9]
	v_mul_f64 v[8:9], v[1:2], v[8:9]
	v_fma_f64 v[1:2], v[1:2], v[6:7], -v[10:11]
	v_fma_f64 v[3:4], v[3:4], v[6:7], v[8:9]
	buffer_store_dword v2, off, s[0:3], 0 offset:52
	buffer_store_dword v1, off, s[0:3], 0 offset:48
	;; [unrolled: 1-line block ×4, first 2 shown]
.LBB50_23:
	s_or_b32 exec_lo, exec_lo, s5
	v_mov_b32_e32 v4, s60
	s_waitcnt_vscnt null, 0x0
	s_barrier
	buffer_gl0_inv
	v_add_nc_u32_e32 v6, -1, v0
	s_clause 0x3
	buffer_load_dword v1, v4, s[0:3], 0 offen
	buffer_load_dword v2, v4, s[0:3], 0 offen offset:4
	buffer_load_dword v3, v4, s[0:3], 0 offen offset:8
	buffer_load_dword v4, v4, s[0:3], 0 offen offset:12
	s_mov_b32 s4, exec_lo
	s_waitcnt vmcnt(0)
	ds_write_b128 v5, v[1:4]
	s_waitcnt lgkmcnt(0)
	s_barrier
	buffer_gl0_inv
	v_cmpx_gt_u32_e32 3, v0
	s_cbranch_execz .LBB50_27
; %bb.24:
	v_mov_b32_e32 v1, 0
	v_mov_b32_e32 v3, 0
	v_add_nc_u32_e32 v7, -1, v0
	v_add_nc_u32_e32 v8, 0x330, v203
	v_mov_b32_e32 v2, 0
	v_mov_b32_e32 v4, 0
	v_add_nc_u32_e32 v9, 16, v203
	s_mov_b32 s5, 0
	.p2align	6
.LBB50_25:                              ; =>This Inner Loop Header: Depth=1
	s_clause 0x3
	buffer_load_dword v14, v9, s[0:3], 0 offen offset:8
	buffer_load_dword v15, v9, s[0:3], 0 offen offset:12
	buffer_load_dword v16, v9, s[0:3], 0 offen
	buffer_load_dword v17, v9, s[0:3], 0 offen offset:4
	ds_read_b128 v[10:13], v8
	v_add_nc_u32_e32 v7, 1, v7
	v_add_nc_u32_e32 v8, 16, v8
	;; [unrolled: 1-line block ×3, first 2 shown]
	v_cmp_lt_u32_e32 vcc_lo, 1, v7
	s_or_b32 s5, vcc_lo, s5
	s_waitcnt vmcnt(2) lgkmcnt(0)
	v_mul_f64 v[18:19], v[12:13], v[14:15]
	v_mul_f64 v[14:15], v[10:11], v[14:15]
	s_waitcnt vmcnt(0)
	v_fma_f64 v[10:11], v[10:11], v[16:17], -v[18:19]
	v_fma_f64 v[12:13], v[12:13], v[16:17], v[14:15]
	v_add_f64 v[3:4], v[3:4], v[10:11]
	v_add_f64 v[1:2], v[1:2], v[12:13]
	s_andn2_b32 exec_lo, exec_lo, s5
	s_cbranch_execnz .LBB50_25
; %bb.26:
	s_or_b32 exec_lo, exec_lo, s5
	v_mov_b32_e32 v7, 0
	ds_read_b128 v[7:10], v7 offset:48
	s_waitcnt lgkmcnt(0)
	v_mul_f64 v[11:12], v[1:2], v[9:10]
	v_mul_f64 v[9:10], v[3:4], v[9:10]
	v_fma_f64 v[3:4], v[3:4], v[7:8], -v[11:12]
	v_fma_f64 v[1:2], v[1:2], v[7:8], v[9:10]
	buffer_store_dword v4, off, s[0:3], 0 offset:68
	buffer_store_dword v3, off, s[0:3], 0 offset:64
	;; [unrolled: 1-line block ×4, first 2 shown]
.LBB50_27:
	s_or_b32 exec_lo, exec_lo, s4
	v_mov_b32_e32 v4, s59
	s_waitcnt_vscnt null, 0x0
	s_barrier
	buffer_gl0_inv
	s_mov_b32 s4, exec_lo
	s_clause 0x3
	buffer_load_dword v1, v4, s[0:3], 0 offen
	buffer_load_dword v2, v4, s[0:3], 0 offen offset:4
	buffer_load_dword v3, v4, s[0:3], 0 offen offset:8
	buffer_load_dword v4, v4, s[0:3], 0 offen offset:12
	s_waitcnt vmcnt(0)
	ds_write_b128 v5, v[1:4]
	s_waitcnt lgkmcnt(0)
	s_barrier
	buffer_gl0_inv
	v_cmpx_gt_u32_e32 4, v0
	s_cbranch_execz .LBB50_31
; %bb.28:
	v_mov_b32_e32 v1, 0
	v_mov_b32_e32 v3, 0
	v_add_nc_u32_e32 v7, -1, v0
	v_add_nc_u32_e32 v8, 0x330, v203
	v_mov_b32_e32 v2, 0
	v_mov_b32_e32 v4, 0
	v_add_nc_u32_e32 v9, 16, v203
	s_mov_b32 s5, 0
	.p2align	6
.LBB50_29:                              ; =>This Inner Loop Header: Depth=1
	s_clause 0x3
	buffer_load_dword v14, v9, s[0:3], 0 offen offset:8
	buffer_load_dword v15, v9, s[0:3], 0 offen offset:12
	buffer_load_dword v16, v9, s[0:3], 0 offen
	buffer_load_dword v17, v9, s[0:3], 0 offen offset:4
	ds_read_b128 v[10:13], v8
	v_add_nc_u32_e32 v7, 1, v7
	v_add_nc_u32_e32 v8, 16, v8
	;; [unrolled: 1-line block ×3, first 2 shown]
	v_cmp_lt_u32_e32 vcc_lo, 2, v7
	s_or_b32 s5, vcc_lo, s5
	s_waitcnt vmcnt(2) lgkmcnt(0)
	v_mul_f64 v[18:19], v[12:13], v[14:15]
	v_mul_f64 v[14:15], v[10:11], v[14:15]
	s_waitcnt vmcnt(0)
	v_fma_f64 v[10:11], v[10:11], v[16:17], -v[18:19]
	v_fma_f64 v[12:13], v[12:13], v[16:17], v[14:15]
	v_add_f64 v[3:4], v[3:4], v[10:11]
	v_add_f64 v[1:2], v[1:2], v[12:13]
	s_andn2_b32 exec_lo, exec_lo, s5
	s_cbranch_execnz .LBB50_29
; %bb.30:
	s_or_b32 exec_lo, exec_lo, s5
	v_mov_b32_e32 v7, 0
	ds_read_b128 v[7:10], v7 offset:64
	s_waitcnt lgkmcnt(0)
	v_mul_f64 v[11:12], v[1:2], v[9:10]
	v_mul_f64 v[9:10], v[3:4], v[9:10]
	v_fma_f64 v[3:4], v[3:4], v[7:8], -v[11:12]
	v_fma_f64 v[1:2], v[1:2], v[7:8], v[9:10]
	buffer_store_dword v4, off, s[0:3], 0 offset:84
	buffer_store_dword v3, off, s[0:3], 0 offset:80
	;; [unrolled: 1-line block ×4, first 2 shown]
.LBB50_31:
	s_or_b32 exec_lo, exec_lo, s4
	v_mov_b32_e32 v4, s58
	s_waitcnt_vscnt null, 0x0
	s_barrier
	buffer_gl0_inv
	s_mov_b32 s4, exec_lo
	s_clause 0x3
	buffer_load_dword v1, v4, s[0:3], 0 offen
	buffer_load_dword v2, v4, s[0:3], 0 offen offset:4
	buffer_load_dword v3, v4, s[0:3], 0 offen offset:8
	;; [unrolled: 1-line block ×3, first 2 shown]
	s_waitcnt vmcnt(0)
	ds_write_b128 v5, v[1:4]
	s_waitcnt lgkmcnt(0)
	s_barrier
	buffer_gl0_inv
	v_cmpx_gt_u32_e32 5, v0
	s_cbranch_execz .LBB50_35
; %bb.32:
	v_mov_b32_e32 v1, 0
	v_mov_b32_e32 v3, 0
	v_add_nc_u32_e32 v7, -1, v0
	v_add_nc_u32_e32 v8, 0x330, v203
	v_mov_b32_e32 v2, 0
	v_mov_b32_e32 v4, 0
	v_add_nc_u32_e32 v9, 16, v203
	s_mov_b32 s5, 0
	.p2align	6
.LBB50_33:                              ; =>This Inner Loop Header: Depth=1
	s_clause 0x3
	buffer_load_dword v14, v9, s[0:3], 0 offen offset:8
	buffer_load_dword v15, v9, s[0:3], 0 offen offset:12
	buffer_load_dword v16, v9, s[0:3], 0 offen
	buffer_load_dword v17, v9, s[0:3], 0 offen offset:4
	ds_read_b128 v[10:13], v8
	v_add_nc_u32_e32 v7, 1, v7
	v_add_nc_u32_e32 v8, 16, v8
	;; [unrolled: 1-line block ×3, first 2 shown]
	v_cmp_lt_u32_e32 vcc_lo, 3, v7
	s_or_b32 s5, vcc_lo, s5
	s_waitcnt vmcnt(2) lgkmcnt(0)
	v_mul_f64 v[18:19], v[12:13], v[14:15]
	v_mul_f64 v[14:15], v[10:11], v[14:15]
	s_waitcnt vmcnt(0)
	v_fma_f64 v[10:11], v[10:11], v[16:17], -v[18:19]
	v_fma_f64 v[12:13], v[12:13], v[16:17], v[14:15]
	v_add_f64 v[3:4], v[3:4], v[10:11]
	v_add_f64 v[1:2], v[1:2], v[12:13]
	s_andn2_b32 exec_lo, exec_lo, s5
	s_cbranch_execnz .LBB50_33
; %bb.34:
	s_or_b32 exec_lo, exec_lo, s5
	v_mov_b32_e32 v7, 0
	ds_read_b128 v[7:10], v7 offset:80
	s_waitcnt lgkmcnt(0)
	v_mul_f64 v[11:12], v[1:2], v[9:10]
	v_mul_f64 v[9:10], v[3:4], v[9:10]
	v_fma_f64 v[3:4], v[3:4], v[7:8], -v[11:12]
	v_fma_f64 v[1:2], v[1:2], v[7:8], v[9:10]
	buffer_store_dword v4, off, s[0:3], 0 offset:100
	buffer_store_dword v3, off, s[0:3], 0 offset:96
	;; [unrolled: 1-line block ×4, first 2 shown]
.LBB50_35:
	s_or_b32 exec_lo, exec_lo, s4
	v_mov_b32_e32 v4, s57
	s_waitcnt_vscnt null, 0x0
	s_barrier
	buffer_gl0_inv
	s_mov_b32 s4, exec_lo
	s_clause 0x3
	buffer_load_dword v1, v4, s[0:3], 0 offen
	buffer_load_dword v2, v4, s[0:3], 0 offen offset:4
	buffer_load_dword v3, v4, s[0:3], 0 offen offset:8
	;; [unrolled: 1-line block ×3, first 2 shown]
	s_waitcnt vmcnt(0)
	ds_write_b128 v5, v[1:4]
	s_waitcnt lgkmcnt(0)
	s_barrier
	buffer_gl0_inv
	v_cmpx_gt_u32_e32 6, v0
	s_cbranch_execz .LBB50_39
; %bb.36:
	v_mov_b32_e32 v1, 0
	v_mov_b32_e32 v3, 0
	v_add_nc_u32_e32 v7, -1, v0
	v_add_nc_u32_e32 v8, 0x330, v203
	v_mov_b32_e32 v2, 0
	v_mov_b32_e32 v4, 0
	v_add_nc_u32_e32 v9, 16, v203
	s_mov_b32 s5, 0
	.p2align	6
.LBB50_37:                              ; =>This Inner Loop Header: Depth=1
	s_clause 0x3
	buffer_load_dword v14, v9, s[0:3], 0 offen offset:8
	buffer_load_dword v15, v9, s[0:3], 0 offen offset:12
	buffer_load_dword v16, v9, s[0:3], 0 offen
	buffer_load_dword v17, v9, s[0:3], 0 offen offset:4
	ds_read_b128 v[10:13], v8
	v_add_nc_u32_e32 v7, 1, v7
	v_add_nc_u32_e32 v8, 16, v8
	v_add_nc_u32_e32 v9, 16, v9
	v_cmp_lt_u32_e32 vcc_lo, 4, v7
	s_or_b32 s5, vcc_lo, s5
	s_waitcnt vmcnt(2) lgkmcnt(0)
	v_mul_f64 v[18:19], v[12:13], v[14:15]
	v_mul_f64 v[14:15], v[10:11], v[14:15]
	s_waitcnt vmcnt(0)
	v_fma_f64 v[10:11], v[10:11], v[16:17], -v[18:19]
	v_fma_f64 v[12:13], v[12:13], v[16:17], v[14:15]
	v_add_f64 v[3:4], v[3:4], v[10:11]
	v_add_f64 v[1:2], v[1:2], v[12:13]
	s_andn2_b32 exec_lo, exec_lo, s5
	s_cbranch_execnz .LBB50_37
; %bb.38:
	s_or_b32 exec_lo, exec_lo, s5
	v_mov_b32_e32 v7, 0
	ds_read_b128 v[7:10], v7 offset:96
	s_waitcnt lgkmcnt(0)
	v_mul_f64 v[11:12], v[1:2], v[9:10]
	v_mul_f64 v[9:10], v[3:4], v[9:10]
	v_fma_f64 v[3:4], v[3:4], v[7:8], -v[11:12]
	v_fma_f64 v[1:2], v[1:2], v[7:8], v[9:10]
	buffer_store_dword v4, off, s[0:3], 0 offset:116
	buffer_store_dword v3, off, s[0:3], 0 offset:112
	;; [unrolled: 1-line block ×4, first 2 shown]
.LBB50_39:
	s_or_b32 exec_lo, exec_lo, s4
	v_mov_b32_e32 v4, s56
	s_waitcnt_vscnt null, 0x0
	s_barrier
	buffer_gl0_inv
	s_mov_b32 s4, exec_lo
	s_clause 0x3
	buffer_load_dword v1, v4, s[0:3], 0 offen
	buffer_load_dword v2, v4, s[0:3], 0 offen offset:4
	buffer_load_dword v3, v4, s[0:3], 0 offen offset:8
	;; [unrolled: 1-line block ×3, first 2 shown]
	s_waitcnt vmcnt(0)
	ds_write_b128 v5, v[1:4]
	s_waitcnt lgkmcnt(0)
	s_barrier
	buffer_gl0_inv
	v_cmpx_gt_u32_e32 7, v0
	s_cbranch_execz .LBB50_43
; %bb.40:
	v_mov_b32_e32 v1, 0
	v_mov_b32_e32 v3, 0
	v_add_nc_u32_e32 v7, -1, v0
	v_add_nc_u32_e32 v8, 0x330, v203
	v_mov_b32_e32 v2, 0
	v_mov_b32_e32 v4, 0
	v_add_nc_u32_e32 v9, 16, v203
	s_mov_b32 s5, 0
	.p2align	6
.LBB50_41:                              ; =>This Inner Loop Header: Depth=1
	s_clause 0x3
	buffer_load_dword v14, v9, s[0:3], 0 offen offset:8
	buffer_load_dword v15, v9, s[0:3], 0 offen offset:12
	buffer_load_dword v16, v9, s[0:3], 0 offen
	buffer_load_dword v17, v9, s[0:3], 0 offen offset:4
	ds_read_b128 v[10:13], v8
	v_add_nc_u32_e32 v7, 1, v7
	v_add_nc_u32_e32 v8, 16, v8
	;; [unrolled: 1-line block ×3, first 2 shown]
	v_cmp_lt_u32_e32 vcc_lo, 5, v7
	s_or_b32 s5, vcc_lo, s5
	s_waitcnt vmcnt(2) lgkmcnt(0)
	v_mul_f64 v[18:19], v[12:13], v[14:15]
	v_mul_f64 v[14:15], v[10:11], v[14:15]
	s_waitcnt vmcnt(0)
	v_fma_f64 v[10:11], v[10:11], v[16:17], -v[18:19]
	v_fma_f64 v[12:13], v[12:13], v[16:17], v[14:15]
	v_add_f64 v[3:4], v[3:4], v[10:11]
	v_add_f64 v[1:2], v[1:2], v[12:13]
	s_andn2_b32 exec_lo, exec_lo, s5
	s_cbranch_execnz .LBB50_41
; %bb.42:
	s_or_b32 exec_lo, exec_lo, s5
	v_mov_b32_e32 v7, 0
	ds_read_b128 v[7:10], v7 offset:112
	s_waitcnt lgkmcnt(0)
	v_mul_f64 v[11:12], v[1:2], v[9:10]
	v_mul_f64 v[9:10], v[3:4], v[9:10]
	v_fma_f64 v[3:4], v[3:4], v[7:8], -v[11:12]
	v_fma_f64 v[1:2], v[1:2], v[7:8], v[9:10]
	buffer_store_dword v4, off, s[0:3], 0 offset:132
	buffer_store_dword v3, off, s[0:3], 0 offset:128
	;; [unrolled: 1-line block ×4, first 2 shown]
.LBB50_43:
	s_or_b32 exec_lo, exec_lo, s4
	v_mov_b32_e32 v4, s55
	s_waitcnt_vscnt null, 0x0
	s_barrier
	buffer_gl0_inv
	s_mov_b32 s4, exec_lo
	s_clause 0x3
	buffer_load_dword v1, v4, s[0:3], 0 offen
	buffer_load_dword v2, v4, s[0:3], 0 offen offset:4
	buffer_load_dword v3, v4, s[0:3], 0 offen offset:8
	;; [unrolled: 1-line block ×3, first 2 shown]
	s_waitcnt vmcnt(0)
	ds_write_b128 v5, v[1:4]
	s_waitcnt lgkmcnt(0)
	s_barrier
	buffer_gl0_inv
	v_cmpx_gt_u32_e32 8, v0
	s_cbranch_execz .LBB50_47
; %bb.44:
	v_mov_b32_e32 v1, 0
	v_mov_b32_e32 v3, 0
	v_add_nc_u32_e32 v7, -1, v0
	v_add_nc_u32_e32 v8, 0x330, v203
	v_mov_b32_e32 v2, 0
	v_mov_b32_e32 v4, 0
	v_add_nc_u32_e32 v9, 16, v203
	s_mov_b32 s5, 0
	.p2align	6
.LBB50_45:                              ; =>This Inner Loop Header: Depth=1
	s_clause 0x3
	buffer_load_dword v14, v9, s[0:3], 0 offen offset:8
	buffer_load_dword v15, v9, s[0:3], 0 offen offset:12
	buffer_load_dword v16, v9, s[0:3], 0 offen
	buffer_load_dword v17, v9, s[0:3], 0 offen offset:4
	ds_read_b128 v[10:13], v8
	v_add_nc_u32_e32 v7, 1, v7
	v_add_nc_u32_e32 v8, 16, v8
	v_add_nc_u32_e32 v9, 16, v9
	v_cmp_lt_u32_e32 vcc_lo, 6, v7
	s_or_b32 s5, vcc_lo, s5
	s_waitcnt vmcnt(2) lgkmcnt(0)
	v_mul_f64 v[18:19], v[12:13], v[14:15]
	v_mul_f64 v[14:15], v[10:11], v[14:15]
	s_waitcnt vmcnt(0)
	v_fma_f64 v[10:11], v[10:11], v[16:17], -v[18:19]
	v_fma_f64 v[12:13], v[12:13], v[16:17], v[14:15]
	v_add_f64 v[3:4], v[3:4], v[10:11]
	v_add_f64 v[1:2], v[1:2], v[12:13]
	s_andn2_b32 exec_lo, exec_lo, s5
	s_cbranch_execnz .LBB50_45
; %bb.46:
	s_or_b32 exec_lo, exec_lo, s5
	v_mov_b32_e32 v7, 0
	ds_read_b128 v[7:10], v7 offset:128
	s_waitcnt lgkmcnt(0)
	v_mul_f64 v[11:12], v[1:2], v[9:10]
	v_mul_f64 v[9:10], v[3:4], v[9:10]
	v_fma_f64 v[3:4], v[3:4], v[7:8], -v[11:12]
	v_fma_f64 v[1:2], v[1:2], v[7:8], v[9:10]
	buffer_store_dword v4, off, s[0:3], 0 offset:148
	buffer_store_dword v3, off, s[0:3], 0 offset:144
	;; [unrolled: 1-line block ×4, first 2 shown]
.LBB50_47:
	s_or_b32 exec_lo, exec_lo, s4
	v_mov_b32_e32 v4, s54
	s_waitcnt_vscnt null, 0x0
	s_barrier
	buffer_gl0_inv
	s_mov_b32 s4, exec_lo
	s_clause 0x3
	buffer_load_dword v1, v4, s[0:3], 0 offen
	buffer_load_dword v2, v4, s[0:3], 0 offen offset:4
	buffer_load_dword v3, v4, s[0:3], 0 offen offset:8
	;; [unrolled: 1-line block ×3, first 2 shown]
	s_waitcnt vmcnt(0)
	ds_write_b128 v5, v[1:4]
	s_waitcnt lgkmcnt(0)
	s_barrier
	buffer_gl0_inv
	v_cmpx_gt_u32_e32 9, v0
	s_cbranch_execz .LBB50_51
; %bb.48:
	v_mov_b32_e32 v1, 0
	v_mov_b32_e32 v3, 0
	v_add_nc_u32_e32 v7, -1, v0
	v_add_nc_u32_e32 v8, 0x330, v203
	v_mov_b32_e32 v2, 0
	v_mov_b32_e32 v4, 0
	v_add_nc_u32_e32 v9, 16, v203
	s_mov_b32 s5, 0
	.p2align	6
.LBB50_49:                              ; =>This Inner Loop Header: Depth=1
	s_clause 0x3
	buffer_load_dword v14, v9, s[0:3], 0 offen offset:8
	buffer_load_dword v15, v9, s[0:3], 0 offen offset:12
	buffer_load_dword v16, v9, s[0:3], 0 offen
	buffer_load_dword v17, v9, s[0:3], 0 offen offset:4
	ds_read_b128 v[10:13], v8
	v_add_nc_u32_e32 v7, 1, v7
	v_add_nc_u32_e32 v8, 16, v8
	;; [unrolled: 1-line block ×3, first 2 shown]
	v_cmp_lt_u32_e32 vcc_lo, 7, v7
	s_or_b32 s5, vcc_lo, s5
	s_waitcnt vmcnt(2) lgkmcnt(0)
	v_mul_f64 v[18:19], v[12:13], v[14:15]
	v_mul_f64 v[14:15], v[10:11], v[14:15]
	s_waitcnt vmcnt(0)
	v_fma_f64 v[10:11], v[10:11], v[16:17], -v[18:19]
	v_fma_f64 v[12:13], v[12:13], v[16:17], v[14:15]
	v_add_f64 v[3:4], v[3:4], v[10:11]
	v_add_f64 v[1:2], v[1:2], v[12:13]
	s_andn2_b32 exec_lo, exec_lo, s5
	s_cbranch_execnz .LBB50_49
; %bb.50:
	s_or_b32 exec_lo, exec_lo, s5
	v_mov_b32_e32 v7, 0
	ds_read_b128 v[7:10], v7 offset:144
	s_waitcnt lgkmcnt(0)
	v_mul_f64 v[11:12], v[1:2], v[9:10]
	v_mul_f64 v[9:10], v[3:4], v[9:10]
	v_fma_f64 v[3:4], v[3:4], v[7:8], -v[11:12]
	v_fma_f64 v[1:2], v[1:2], v[7:8], v[9:10]
	buffer_store_dword v4, off, s[0:3], 0 offset:164
	buffer_store_dword v3, off, s[0:3], 0 offset:160
	;; [unrolled: 1-line block ×4, first 2 shown]
.LBB50_51:
	s_or_b32 exec_lo, exec_lo, s4
	v_mov_b32_e32 v4, s53
	s_waitcnt_vscnt null, 0x0
	s_barrier
	buffer_gl0_inv
	s_mov_b32 s4, exec_lo
	s_clause 0x3
	buffer_load_dword v1, v4, s[0:3], 0 offen
	buffer_load_dword v2, v4, s[0:3], 0 offen offset:4
	buffer_load_dword v3, v4, s[0:3], 0 offen offset:8
	;; [unrolled: 1-line block ×3, first 2 shown]
	s_waitcnt vmcnt(0)
	ds_write_b128 v5, v[1:4]
	s_waitcnt lgkmcnt(0)
	s_barrier
	buffer_gl0_inv
	v_cmpx_gt_u32_e32 10, v0
	s_cbranch_execz .LBB50_55
; %bb.52:
	v_mov_b32_e32 v1, 0
	v_mov_b32_e32 v3, 0
	v_add_nc_u32_e32 v7, -1, v0
	v_add_nc_u32_e32 v8, 0x330, v203
	v_mov_b32_e32 v2, 0
	v_mov_b32_e32 v4, 0
	v_add_nc_u32_e32 v9, 16, v203
	s_mov_b32 s5, 0
	.p2align	6
.LBB50_53:                              ; =>This Inner Loop Header: Depth=1
	s_clause 0x3
	buffer_load_dword v14, v9, s[0:3], 0 offen offset:8
	buffer_load_dword v15, v9, s[0:3], 0 offen offset:12
	buffer_load_dword v16, v9, s[0:3], 0 offen
	buffer_load_dword v17, v9, s[0:3], 0 offen offset:4
	ds_read_b128 v[10:13], v8
	v_add_nc_u32_e32 v7, 1, v7
	v_add_nc_u32_e32 v8, 16, v8
	;; [unrolled: 1-line block ×3, first 2 shown]
	v_cmp_lt_u32_e32 vcc_lo, 8, v7
	s_or_b32 s5, vcc_lo, s5
	s_waitcnt vmcnt(2) lgkmcnt(0)
	v_mul_f64 v[18:19], v[12:13], v[14:15]
	v_mul_f64 v[14:15], v[10:11], v[14:15]
	s_waitcnt vmcnt(0)
	v_fma_f64 v[10:11], v[10:11], v[16:17], -v[18:19]
	v_fma_f64 v[12:13], v[12:13], v[16:17], v[14:15]
	v_add_f64 v[3:4], v[3:4], v[10:11]
	v_add_f64 v[1:2], v[1:2], v[12:13]
	s_andn2_b32 exec_lo, exec_lo, s5
	s_cbranch_execnz .LBB50_53
; %bb.54:
	s_or_b32 exec_lo, exec_lo, s5
	v_mov_b32_e32 v7, 0
	ds_read_b128 v[7:10], v7 offset:160
	s_waitcnt lgkmcnt(0)
	v_mul_f64 v[11:12], v[1:2], v[9:10]
	v_mul_f64 v[9:10], v[3:4], v[9:10]
	v_fma_f64 v[3:4], v[3:4], v[7:8], -v[11:12]
	v_fma_f64 v[1:2], v[1:2], v[7:8], v[9:10]
	buffer_store_dword v4, off, s[0:3], 0 offset:180
	buffer_store_dword v3, off, s[0:3], 0 offset:176
	;; [unrolled: 1-line block ×4, first 2 shown]
.LBB50_55:
	s_or_b32 exec_lo, exec_lo, s4
	v_mov_b32_e32 v4, s52
	s_waitcnt_vscnt null, 0x0
	s_barrier
	buffer_gl0_inv
	s_mov_b32 s4, exec_lo
	s_clause 0x3
	buffer_load_dword v1, v4, s[0:3], 0 offen
	buffer_load_dword v2, v4, s[0:3], 0 offen offset:4
	buffer_load_dword v3, v4, s[0:3], 0 offen offset:8
	;; [unrolled: 1-line block ×3, first 2 shown]
	s_waitcnt vmcnt(0)
	ds_write_b128 v5, v[1:4]
	s_waitcnt lgkmcnt(0)
	s_barrier
	buffer_gl0_inv
	v_cmpx_gt_u32_e32 11, v0
	s_cbranch_execz .LBB50_59
; %bb.56:
	v_mov_b32_e32 v1, 0
	v_mov_b32_e32 v3, 0
	v_add_nc_u32_e32 v7, -1, v0
	v_add_nc_u32_e32 v8, 0x330, v203
	v_mov_b32_e32 v2, 0
	v_mov_b32_e32 v4, 0
	v_add_nc_u32_e32 v9, 16, v203
	s_mov_b32 s5, 0
	.p2align	6
.LBB50_57:                              ; =>This Inner Loop Header: Depth=1
	s_clause 0x3
	buffer_load_dword v14, v9, s[0:3], 0 offen offset:8
	buffer_load_dword v15, v9, s[0:3], 0 offen offset:12
	buffer_load_dword v16, v9, s[0:3], 0 offen
	buffer_load_dword v17, v9, s[0:3], 0 offen offset:4
	ds_read_b128 v[10:13], v8
	v_add_nc_u32_e32 v7, 1, v7
	v_add_nc_u32_e32 v8, 16, v8
	;; [unrolled: 1-line block ×3, first 2 shown]
	v_cmp_lt_u32_e32 vcc_lo, 9, v7
	s_or_b32 s5, vcc_lo, s5
	s_waitcnt vmcnt(2) lgkmcnt(0)
	v_mul_f64 v[18:19], v[12:13], v[14:15]
	v_mul_f64 v[14:15], v[10:11], v[14:15]
	s_waitcnt vmcnt(0)
	v_fma_f64 v[10:11], v[10:11], v[16:17], -v[18:19]
	v_fma_f64 v[12:13], v[12:13], v[16:17], v[14:15]
	v_add_f64 v[3:4], v[3:4], v[10:11]
	v_add_f64 v[1:2], v[1:2], v[12:13]
	s_andn2_b32 exec_lo, exec_lo, s5
	s_cbranch_execnz .LBB50_57
; %bb.58:
	s_or_b32 exec_lo, exec_lo, s5
	v_mov_b32_e32 v7, 0
	ds_read_b128 v[7:10], v7 offset:176
	s_waitcnt lgkmcnt(0)
	v_mul_f64 v[11:12], v[1:2], v[9:10]
	v_mul_f64 v[9:10], v[3:4], v[9:10]
	v_fma_f64 v[3:4], v[3:4], v[7:8], -v[11:12]
	v_fma_f64 v[1:2], v[1:2], v[7:8], v[9:10]
	buffer_store_dword v4, off, s[0:3], 0 offset:196
	buffer_store_dword v3, off, s[0:3], 0 offset:192
	;; [unrolled: 1-line block ×4, first 2 shown]
.LBB50_59:
	s_or_b32 exec_lo, exec_lo, s4
	v_mov_b32_e32 v4, s51
	s_waitcnt_vscnt null, 0x0
	s_barrier
	buffer_gl0_inv
	s_mov_b32 s4, exec_lo
	s_clause 0x3
	buffer_load_dword v1, v4, s[0:3], 0 offen
	buffer_load_dword v2, v4, s[0:3], 0 offen offset:4
	buffer_load_dword v3, v4, s[0:3], 0 offen offset:8
	;; [unrolled: 1-line block ×3, first 2 shown]
	s_waitcnt vmcnt(0)
	ds_write_b128 v5, v[1:4]
	s_waitcnt lgkmcnt(0)
	s_barrier
	buffer_gl0_inv
	v_cmpx_gt_u32_e32 12, v0
	s_cbranch_execz .LBB50_63
; %bb.60:
	v_mov_b32_e32 v1, 0
	v_mov_b32_e32 v3, 0
	v_add_nc_u32_e32 v7, -1, v0
	v_add_nc_u32_e32 v8, 0x330, v203
	v_mov_b32_e32 v2, 0
	v_mov_b32_e32 v4, 0
	v_add_nc_u32_e32 v9, 16, v203
	s_mov_b32 s5, 0
	.p2align	6
.LBB50_61:                              ; =>This Inner Loop Header: Depth=1
	s_clause 0x3
	buffer_load_dword v14, v9, s[0:3], 0 offen offset:8
	buffer_load_dword v15, v9, s[0:3], 0 offen offset:12
	buffer_load_dword v16, v9, s[0:3], 0 offen
	buffer_load_dword v17, v9, s[0:3], 0 offen offset:4
	ds_read_b128 v[10:13], v8
	v_add_nc_u32_e32 v7, 1, v7
	v_add_nc_u32_e32 v8, 16, v8
	;; [unrolled: 1-line block ×3, first 2 shown]
	v_cmp_lt_u32_e32 vcc_lo, 10, v7
	s_or_b32 s5, vcc_lo, s5
	s_waitcnt vmcnt(2) lgkmcnt(0)
	v_mul_f64 v[18:19], v[12:13], v[14:15]
	v_mul_f64 v[14:15], v[10:11], v[14:15]
	s_waitcnt vmcnt(0)
	v_fma_f64 v[10:11], v[10:11], v[16:17], -v[18:19]
	v_fma_f64 v[12:13], v[12:13], v[16:17], v[14:15]
	v_add_f64 v[3:4], v[3:4], v[10:11]
	v_add_f64 v[1:2], v[1:2], v[12:13]
	s_andn2_b32 exec_lo, exec_lo, s5
	s_cbranch_execnz .LBB50_61
; %bb.62:
	s_or_b32 exec_lo, exec_lo, s5
	v_mov_b32_e32 v7, 0
	ds_read_b128 v[7:10], v7 offset:192
	s_waitcnt lgkmcnt(0)
	v_mul_f64 v[11:12], v[1:2], v[9:10]
	v_mul_f64 v[9:10], v[3:4], v[9:10]
	v_fma_f64 v[3:4], v[3:4], v[7:8], -v[11:12]
	v_fma_f64 v[1:2], v[1:2], v[7:8], v[9:10]
	buffer_store_dword v4, off, s[0:3], 0 offset:212
	buffer_store_dword v3, off, s[0:3], 0 offset:208
	;; [unrolled: 1-line block ×4, first 2 shown]
.LBB50_63:
	s_or_b32 exec_lo, exec_lo, s4
	v_mov_b32_e32 v4, s50
	s_waitcnt_vscnt null, 0x0
	s_barrier
	buffer_gl0_inv
	s_mov_b32 s4, exec_lo
	s_clause 0x3
	buffer_load_dword v1, v4, s[0:3], 0 offen
	buffer_load_dword v2, v4, s[0:3], 0 offen offset:4
	buffer_load_dword v3, v4, s[0:3], 0 offen offset:8
	;; [unrolled: 1-line block ×3, first 2 shown]
	s_waitcnt vmcnt(0)
	ds_write_b128 v5, v[1:4]
	s_waitcnt lgkmcnt(0)
	s_barrier
	buffer_gl0_inv
	v_cmpx_gt_u32_e32 13, v0
	s_cbranch_execz .LBB50_67
; %bb.64:
	v_mov_b32_e32 v1, 0
	v_mov_b32_e32 v3, 0
	v_add_nc_u32_e32 v7, -1, v0
	v_add_nc_u32_e32 v8, 0x330, v203
	v_mov_b32_e32 v2, 0
	v_mov_b32_e32 v4, 0
	v_add_nc_u32_e32 v9, 16, v203
	s_mov_b32 s5, 0
	.p2align	6
.LBB50_65:                              ; =>This Inner Loop Header: Depth=1
	s_clause 0x3
	buffer_load_dword v14, v9, s[0:3], 0 offen offset:8
	buffer_load_dword v15, v9, s[0:3], 0 offen offset:12
	buffer_load_dword v16, v9, s[0:3], 0 offen
	buffer_load_dword v17, v9, s[0:3], 0 offen offset:4
	ds_read_b128 v[10:13], v8
	v_add_nc_u32_e32 v7, 1, v7
	v_add_nc_u32_e32 v8, 16, v8
	;; [unrolled: 1-line block ×3, first 2 shown]
	v_cmp_lt_u32_e32 vcc_lo, 11, v7
	s_or_b32 s5, vcc_lo, s5
	s_waitcnt vmcnt(2) lgkmcnt(0)
	v_mul_f64 v[18:19], v[12:13], v[14:15]
	v_mul_f64 v[14:15], v[10:11], v[14:15]
	s_waitcnt vmcnt(0)
	v_fma_f64 v[10:11], v[10:11], v[16:17], -v[18:19]
	v_fma_f64 v[12:13], v[12:13], v[16:17], v[14:15]
	v_add_f64 v[3:4], v[3:4], v[10:11]
	v_add_f64 v[1:2], v[1:2], v[12:13]
	s_andn2_b32 exec_lo, exec_lo, s5
	s_cbranch_execnz .LBB50_65
; %bb.66:
	s_or_b32 exec_lo, exec_lo, s5
	v_mov_b32_e32 v7, 0
	ds_read_b128 v[7:10], v7 offset:208
	s_waitcnt lgkmcnt(0)
	v_mul_f64 v[11:12], v[1:2], v[9:10]
	v_mul_f64 v[9:10], v[3:4], v[9:10]
	v_fma_f64 v[3:4], v[3:4], v[7:8], -v[11:12]
	v_fma_f64 v[1:2], v[1:2], v[7:8], v[9:10]
	buffer_store_dword v4, off, s[0:3], 0 offset:228
	buffer_store_dword v3, off, s[0:3], 0 offset:224
	;; [unrolled: 1-line block ×4, first 2 shown]
.LBB50_67:
	s_or_b32 exec_lo, exec_lo, s4
	v_mov_b32_e32 v4, s49
	s_waitcnt_vscnt null, 0x0
	s_barrier
	buffer_gl0_inv
	s_mov_b32 s4, exec_lo
	s_clause 0x3
	buffer_load_dword v1, v4, s[0:3], 0 offen
	buffer_load_dword v2, v4, s[0:3], 0 offen offset:4
	buffer_load_dword v3, v4, s[0:3], 0 offen offset:8
	;; [unrolled: 1-line block ×3, first 2 shown]
	s_waitcnt vmcnt(0)
	ds_write_b128 v5, v[1:4]
	s_waitcnt lgkmcnt(0)
	s_barrier
	buffer_gl0_inv
	v_cmpx_gt_u32_e32 14, v0
	s_cbranch_execz .LBB50_71
; %bb.68:
	v_mov_b32_e32 v1, 0
	v_mov_b32_e32 v3, 0
	v_add_nc_u32_e32 v7, -1, v0
	v_add_nc_u32_e32 v8, 0x330, v203
	v_mov_b32_e32 v2, 0
	v_mov_b32_e32 v4, 0
	v_add_nc_u32_e32 v9, 16, v203
	s_mov_b32 s5, 0
	.p2align	6
.LBB50_69:                              ; =>This Inner Loop Header: Depth=1
	s_clause 0x3
	buffer_load_dword v14, v9, s[0:3], 0 offen offset:8
	buffer_load_dword v15, v9, s[0:3], 0 offen offset:12
	buffer_load_dword v16, v9, s[0:3], 0 offen
	buffer_load_dword v17, v9, s[0:3], 0 offen offset:4
	ds_read_b128 v[10:13], v8
	v_add_nc_u32_e32 v7, 1, v7
	v_add_nc_u32_e32 v8, 16, v8
	;; [unrolled: 1-line block ×3, first 2 shown]
	v_cmp_lt_u32_e32 vcc_lo, 12, v7
	s_or_b32 s5, vcc_lo, s5
	s_waitcnt vmcnt(2) lgkmcnt(0)
	v_mul_f64 v[18:19], v[12:13], v[14:15]
	v_mul_f64 v[14:15], v[10:11], v[14:15]
	s_waitcnt vmcnt(0)
	v_fma_f64 v[10:11], v[10:11], v[16:17], -v[18:19]
	v_fma_f64 v[12:13], v[12:13], v[16:17], v[14:15]
	v_add_f64 v[3:4], v[3:4], v[10:11]
	v_add_f64 v[1:2], v[1:2], v[12:13]
	s_andn2_b32 exec_lo, exec_lo, s5
	s_cbranch_execnz .LBB50_69
; %bb.70:
	s_or_b32 exec_lo, exec_lo, s5
	v_mov_b32_e32 v7, 0
	ds_read_b128 v[7:10], v7 offset:224
	s_waitcnt lgkmcnt(0)
	v_mul_f64 v[11:12], v[1:2], v[9:10]
	v_mul_f64 v[9:10], v[3:4], v[9:10]
	v_fma_f64 v[3:4], v[3:4], v[7:8], -v[11:12]
	v_fma_f64 v[1:2], v[1:2], v[7:8], v[9:10]
	buffer_store_dword v4, off, s[0:3], 0 offset:244
	buffer_store_dword v3, off, s[0:3], 0 offset:240
	;; [unrolled: 1-line block ×4, first 2 shown]
.LBB50_71:
	s_or_b32 exec_lo, exec_lo, s4
	v_mov_b32_e32 v4, s48
	s_waitcnt_vscnt null, 0x0
	s_barrier
	buffer_gl0_inv
	s_mov_b32 s4, exec_lo
	s_clause 0x3
	buffer_load_dword v1, v4, s[0:3], 0 offen
	buffer_load_dword v2, v4, s[0:3], 0 offen offset:4
	buffer_load_dword v3, v4, s[0:3], 0 offen offset:8
	;; [unrolled: 1-line block ×3, first 2 shown]
	s_waitcnt vmcnt(0)
	ds_write_b128 v5, v[1:4]
	s_waitcnt lgkmcnt(0)
	s_barrier
	buffer_gl0_inv
	v_cmpx_gt_u32_e32 15, v0
	s_cbranch_execz .LBB50_75
; %bb.72:
	v_mov_b32_e32 v1, 0
	v_mov_b32_e32 v3, 0
	v_add_nc_u32_e32 v7, -1, v0
	v_add_nc_u32_e32 v8, 0x330, v203
	v_mov_b32_e32 v2, 0
	v_mov_b32_e32 v4, 0
	v_add_nc_u32_e32 v9, 16, v203
	s_mov_b32 s5, 0
	.p2align	6
.LBB50_73:                              ; =>This Inner Loop Header: Depth=1
	s_clause 0x3
	buffer_load_dword v14, v9, s[0:3], 0 offen offset:8
	buffer_load_dword v15, v9, s[0:3], 0 offen offset:12
	buffer_load_dword v16, v9, s[0:3], 0 offen
	buffer_load_dword v17, v9, s[0:3], 0 offen offset:4
	ds_read_b128 v[10:13], v8
	v_add_nc_u32_e32 v7, 1, v7
	v_add_nc_u32_e32 v8, 16, v8
	;; [unrolled: 1-line block ×3, first 2 shown]
	v_cmp_lt_u32_e32 vcc_lo, 13, v7
	s_or_b32 s5, vcc_lo, s5
	s_waitcnt vmcnt(2) lgkmcnt(0)
	v_mul_f64 v[18:19], v[12:13], v[14:15]
	v_mul_f64 v[14:15], v[10:11], v[14:15]
	s_waitcnt vmcnt(0)
	v_fma_f64 v[10:11], v[10:11], v[16:17], -v[18:19]
	v_fma_f64 v[12:13], v[12:13], v[16:17], v[14:15]
	v_add_f64 v[3:4], v[3:4], v[10:11]
	v_add_f64 v[1:2], v[1:2], v[12:13]
	s_andn2_b32 exec_lo, exec_lo, s5
	s_cbranch_execnz .LBB50_73
; %bb.74:
	s_or_b32 exec_lo, exec_lo, s5
	v_mov_b32_e32 v7, 0
	ds_read_b128 v[7:10], v7 offset:240
	s_waitcnt lgkmcnt(0)
	v_mul_f64 v[11:12], v[1:2], v[9:10]
	v_mul_f64 v[9:10], v[3:4], v[9:10]
	v_fma_f64 v[3:4], v[3:4], v[7:8], -v[11:12]
	v_fma_f64 v[1:2], v[1:2], v[7:8], v[9:10]
	buffer_store_dword v4, off, s[0:3], 0 offset:260
	buffer_store_dword v3, off, s[0:3], 0 offset:256
	;; [unrolled: 1-line block ×4, first 2 shown]
.LBB50_75:
	s_or_b32 exec_lo, exec_lo, s4
	v_mov_b32_e32 v4, s47
	s_waitcnt_vscnt null, 0x0
	s_barrier
	buffer_gl0_inv
	s_mov_b32 s4, exec_lo
	s_clause 0x3
	buffer_load_dword v1, v4, s[0:3], 0 offen
	buffer_load_dword v2, v4, s[0:3], 0 offen offset:4
	buffer_load_dword v3, v4, s[0:3], 0 offen offset:8
	;; [unrolled: 1-line block ×3, first 2 shown]
	s_waitcnt vmcnt(0)
	ds_write_b128 v5, v[1:4]
	s_waitcnt lgkmcnt(0)
	s_barrier
	buffer_gl0_inv
	v_cmpx_gt_u32_e32 16, v0
	s_cbranch_execz .LBB50_79
; %bb.76:
	v_mov_b32_e32 v1, 0
	v_mov_b32_e32 v3, 0
	v_add_nc_u32_e32 v7, -1, v0
	v_add_nc_u32_e32 v8, 0x330, v203
	v_mov_b32_e32 v2, 0
	v_mov_b32_e32 v4, 0
	v_add_nc_u32_e32 v9, 16, v203
	s_mov_b32 s5, 0
	.p2align	6
.LBB50_77:                              ; =>This Inner Loop Header: Depth=1
	s_clause 0x3
	buffer_load_dword v14, v9, s[0:3], 0 offen offset:8
	buffer_load_dword v15, v9, s[0:3], 0 offen offset:12
	buffer_load_dword v16, v9, s[0:3], 0 offen
	buffer_load_dword v17, v9, s[0:3], 0 offen offset:4
	ds_read_b128 v[10:13], v8
	v_add_nc_u32_e32 v7, 1, v7
	v_add_nc_u32_e32 v8, 16, v8
	;; [unrolled: 1-line block ×3, first 2 shown]
	v_cmp_lt_u32_e32 vcc_lo, 14, v7
	s_or_b32 s5, vcc_lo, s5
	s_waitcnt vmcnt(2) lgkmcnt(0)
	v_mul_f64 v[18:19], v[12:13], v[14:15]
	v_mul_f64 v[14:15], v[10:11], v[14:15]
	s_waitcnt vmcnt(0)
	v_fma_f64 v[10:11], v[10:11], v[16:17], -v[18:19]
	v_fma_f64 v[12:13], v[12:13], v[16:17], v[14:15]
	v_add_f64 v[3:4], v[3:4], v[10:11]
	v_add_f64 v[1:2], v[1:2], v[12:13]
	s_andn2_b32 exec_lo, exec_lo, s5
	s_cbranch_execnz .LBB50_77
; %bb.78:
	s_or_b32 exec_lo, exec_lo, s5
	v_mov_b32_e32 v7, 0
	ds_read_b128 v[7:10], v7 offset:256
	s_waitcnt lgkmcnt(0)
	v_mul_f64 v[11:12], v[1:2], v[9:10]
	v_mul_f64 v[9:10], v[3:4], v[9:10]
	v_fma_f64 v[3:4], v[3:4], v[7:8], -v[11:12]
	v_fma_f64 v[1:2], v[1:2], v[7:8], v[9:10]
	buffer_store_dword v4, off, s[0:3], 0 offset:276
	buffer_store_dword v3, off, s[0:3], 0 offset:272
	;; [unrolled: 1-line block ×4, first 2 shown]
.LBB50_79:
	s_or_b32 exec_lo, exec_lo, s4
	v_mov_b32_e32 v4, s46
	s_waitcnt_vscnt null, 0x0
	s_barrier
	buffer_gl0_inv
	s_mov_b32 s4, exec_lo
	s_clause 0x3
	buffer_load_dword v1, v4, s[0:3], 0 offen
	buffer_load_dword v2, v4, s[0:3], 0 offen offset:4
	buffer_load_dword v3, v4, s[0:3], 0 offen offset:8
	;; [unrolled: 1-line block ×3, first 2 shown]
	s_waitcnt vmcnt(0)
	ds_write_b128 v5, v[1:4]
	s_waitcnt lgkmcnt(0)
	s_barrier
	buffer_gl0_inv
	v_cmpx_gt_u32_e32 17, v0
	s_cbranch_execz .LBB50_83
; %bb.80:
	v_mov_b32_e32 v1, 0
	v_mov_b32_e32 v3, 0
	v_add_nc_u32_e32 v7, -1, v0
	v_add_nc_u32_e32 v8, 0x330, v203
	v_mov_b32_e32 v2, 0
	v_mov_b32_e32 v4, 0
	v_add_nc_u32_e32 v9, 16, v203
	s_mov_b32 s5, 0
	.p2align	6
.LBB50_81:                              ; =>This Inner Loop Header: Depth=1
	s_clause 0x3
	buffer_load_dword v14, v9, s[0:3], 0 offen offset:8
	buffer_load_dword v15, v9, s[0:3], 0 offen offset:12
	buffer_load_dword v16, v9, s[0:3], 0 offen
	buffer_load_dword v17, v9, s[0:3], 0 offen offset:4
	ds_read_b128 v[10:13], v8
	v_add_nc_u32_e32 v7, 1, v7
	v_add_nc_u32_e32 v8, 16, v8
	v_add_nc_u32_e32 v9, 16, v9
	v_cmp_lt_u32_e32 vcc_lo, 15, v7
	s_or_b32 s5, vcc_lo, s5
	s_waitcnt vmcnt(2) lgkmcnt(0)
	v_mul_f64 v[18:19], v[12:13], v[14:15]
	v_mul_f64 v[14:15], v[10:11], v[14:15]
	s_waitcnt vmcnt(0)
	v_fma_f64 v[10:11], v[10:11], v[16:17], -v[18:19]
	v_fma_f64 v[12:13], v[12:13], v[16:17], v[14:15]
	v_add_f64 v[3:4], v[3:4], v[10:11]
	v_add_f64 v[1:2], v[1:2], v[12:13]
	s_andn2_b32 exec_lo, exec_lo, s5
	s_cbranch_execnz .LBB50_81
; %bb.82:
	s_or_b32 exec_lo, exec_lo, s5
	v_mov_b32_e32 v7, 0
	ds_read_b128 v[7:10], v7 offset:272
	s_waitcnt lgkmcnt(0)
	v_mul_f64 v[11:12], v[1:2], v[9:10]
	v_mul_f64 v[9:10], v[3:4], v[9:10]
	v_fma_f64 v[3:4], v[3:4], v[7:8], -v[11:12]
	v_fma_f64 v[1:2], v[1:2], v[7:8], v[9:10]
	buffer_store_dword v4, off, s[0:3], 0 offset:292
	buffer_store_dword v3, off, s[0:3], 0 offset:288
	;; [unrolled: 1-line block ×4, first 2 shown]
.LBB50_83:
	s_or_b32 exec_lo, exec_lo, s4
	v_mov_b32_e32 v4, s45
	s_waitcnt_vscnt null, 0x0
	s_barrier
	buffer_gl0_inv
	s_mov_b32 s4, exec_lo
	s_clause 0x3
	buffer_load_dword v1, v4, s[0:3], 0 offen
	buffer_load_dword v2, v4, s[0:3], 0 offen offset:4
	buffer_load_dword v3, v4, s[0:3], 0 offen offset:8
	;; [unrolled: 1-line block ×3, first 2 shown]
	s_waitcnt vmcnt(0)
	ds_write_b128 v5, v[1:4]
	s_waitcnt lgkmcnt(0)
	s_barrier
	buffer_gl0_inv
	v_cmpx_gt_u32_e32 18, v0
	s_cbranch_execz .LBB50_87
; %bb.84:
	v_mov_b32_e32 v1, 0
	v_mov_b32_e32 v3, 0
	v_add_nc_u32_e32 v7, -1, v0
	v_add_nc_u32_e32 v8, 0x330, v203
	v_mov_b32_e32 v2, 0
	v_mov_b32_e32 v4, 0
	v_add_nc_u32_e32 v9, 16, v203
	s_mov_b32 s5, 0
	.p2align	6
.LBB50_85:                              ; =>This Inner Loop Header: Depth=1
	s_clause 0x3
	buffer_load_dword v14, v9, s[0:3], 0 offen offset:8
	buffer_load_dword v15, v9, s[0:3], 0 offen offset:12
	buffer_load_dword v16, v9, s[0:3], 0 offen
	buffer_load_dword v17, v9, s[0:3], 0 offen offset:4
	ds_read_b128 v[10:13], v8
	v_add_nc_u32_e32 v7, 1, v7
	v_add_nc_u32_e32 v8, 16, v8
	;; [unrolled: 1-line block ×3, first 2 shown]
	v_cmp_lt_u32_e32 vcc_lo, 16, v7
	s_or_b32 s5, vcc_lo, s5
	s_waitcnt vmcnt(2) lgkmcnt(0)
	v_mul_f64 v[18:19], v[12:13], v[14:15]
	v_mul_f64 v[14:15], v[10:11], v[14:15]
	s_waitcnt vmcnt(0)
	v_fma_f64 v[10:11], v[10:11], v[16:17], -v[18:19]
	v_fma_f64 v[12:13], v[12:13], v[16:17], v[14:15]
	v_add_f64 v[3:4], v[3:4], v[10:11]
	v_add_f64 v[1:2], v[1:2], v[12:13]
	s_andn2_b32 exec_lo, exec_lo, s5
	s_cbranch_execnz .LBB50_85
; %bb.86:
	s_or_b32 exec_lo, exec_lo, s5
	v_mov_b32_e32 v7, 0
	ds_read_b128 v[7:10], v7 offset:288
	s_waitcnt lgkmcnt(0)
	v_mul_f64 v[11:12], v[1:2], v[9:10]
	v_mul_f64 v[9:10], v[3:4], v[9:10]
	v_fma_f64 v[3:4], v[3:4], v[7:8], -v[11:12]
	v_fma_f64 v[1:2], v[1:2], v[7:8], v[9:10]
	buffer_store_dword v4, off, s[0:3], 0 offset:308
	buffer_store_dword v3, off, s[0:3], 0 offset:304
	;; [unrolled: 1-line block ×4, first 2 shown]
.LBB50_87:
	s_or_b32 exec_lo, exec_lo, s4
	v_mov_b32_e32 v4, s44
	s_waitcnt_vscnt null, 0x0
	s_barrier
	buffer_gl0_inv
	s_mov_b32 s4, exec_lo
	s_clause 0x3
	buffer_load_dword v1, v4, s[0:3], 0 offen
	buffer_load_dword v2, v4, s[0:3], 0 offen offset:4
	buffer_load_dword v3, v4, s[0:3], 0 offen offset:8
	;; [unrolled: 1-line block ×3, first 2 shown]
	s_waitcnt vmcnt(0)
	ds_write_b128 v5, v[1:4]
	s_waitcnt lgkmcnt(0)
	s_barrier
	buffer_gl0_inv
	v_cmpx_gt_u32_e32 19, v0
	s_cbranch_execz .LBB50_91
; %bb.88:
	v_mov_b32_e32 v1, 0
	v_mov_b32_e32 v3, 0
	v_add_nc_u32_e32 v7, -1, v0
	v_add_nc_u32_e32 v8, 0x330, v203
	v_mov_b32_e32 v2, 0
	v_mov_b32_e32 v4, 0
	v_add_nc_u32_e32 v9, 16, v203
	s_mov_b32 s5, 0
	.p2align	6
.LBB50_89:                              ; =>This Inner Loop Header: Depth=1
	s_clause 0x3
	buffer_load_dword v14, v9, s[0:3], 0 offen offset:8
	buffer_load_dword v15, v9, s[0:3], 0 offen offset:12
	buffer_load_dword v16, v9, s[0:3], 0 offen
	buffer_load_dword v17, v9, s[0:3], 0 offen offset:4
	ds_read_b128 v[10:13], v8
	v_add_nc_u32_e32 v7, 1, v7
	v_add_nc_u32_e32 v8, 16, v8
	;; [unrolled: 1-line block ×3, first 2 shown]
	v_cmp_lt_u32_e32 vcc_lo, 17, v7
	s_or_b32 s5, vcc_lo, s5
	s_waitcnt vmcnt(2) lgkmcnt(0)
	v_mul_f64 v[18:19], v[12:13], v[14:15]
	v_mul_f64 v[14:15], v[10:11], v[14:15]
	s_waitcnt vmcnt(0)
	v_fma_f64 v[10:11], v[10:11], v[16:17], -v[18:19]
	v_fma_f64 v[12:13], v[12:13], v[16:17], v[14:15]
	v_add_f64 v[3:4], v[3:4], v[10:11]
	v_add_f64 v[1:2], v[1:2], v[12:13]
	s_andn2_b32 exec_lo, exec_lo, s5
	s_cbranch_execnz .LBB50_89
; %bb.90:
	s_or_b32 exec_lo, exec_lo, s5
	v_mov_b32_e32 v7, 0
	ds_read_b128 v[7:10], v7 offset:304
	s_waitcnt lgkmcnt(0)
	v_mul_f64 v[11:12], v[1:2], v[9:10]
	v_mul_f64 v[9:10], v[3:4], v[9:10]
	v_fma_f64 v[3:4], v[3:4], v[7:8], -v[11:12]
	v_fma_f64 v[1:2], v[1:2], v[7:8], v[9:10]
	buffer_store_dword v4, off, s[0:3], 0 offset:324
	buffer_store_dword v3, off, s[0:3], 0 offset:320
	;; [unrolled: 1-line block ×4, first 2 shown]
.LBB50_91:
	s_or_b32 exec_lo, exec_lo, s4
	v_mov_b32_e32 v4, s43
	s_waitcnt_vscnt null, 0x0
	s_barrier
	buffer_gl0_inv
	s_mov_b32 s4, exec_lo
	s_clause 0x3
	buffer_load_dword v1, v4, s[0:3], 0 offen
	buffer_load_dword v2, v4, s[0:3], 0 offen offset:4
	buffer_load_dword v3, v4, s[0:3], 0 offen offset:8
	;; [unrolled: 1-line block ×3, first 2 shown]
	s_waitcnt vmcnt(0)
	ds_write_b128 v5, v[1:4]
	s_waitcnt lgkmcnt(0)
	s_barrier
	buffer_gl0_inv
	v_cmpx_gt_u32_e32 20, v0
	s_cbranch_execz .LBB50_95
; %bb.92:
	v_mov_b32_e32 v1, 0
	v_mov_b32_e32 v3, 0
	v_add_nc_u32_e32 v7, -1, v0
	v_add_nc_u32_e32 v8, 0x330, v203
	v_mov_b32_e32 v2, 0
	v_mov_b32_e32 v4, 0
	v_add_nc_u32_e32 v9, 16, v203
	s_mov_b32 s5, 0
	.p2align	6
.LBB50_93:                              ; =>This Inner Loop Header: Depth=1
	s_clause 0x3
	buffer_load_dword v14, v9, s[0:3], 0 offen offset:8
	buffer_load_dword v15, v9, s[0:3], 0 offen offset:12
	buffer_load_dword v16, v9, s[0:3], 0 offen
	buffer_load_dword v17, v9, s[0:3], 0 offen offset:4
	ds_read_b128 v[10:13], v8
	v_add_nc_u32_e32 v7, 1, v7
	v_add_nc_u32_e32 v8, 16, v8
	;; [unrolled: 1-line block ×3, first 2 shown]
	v_cmp_lt_u32_e32 vcc_lo, 18, v7
	s_or_b32 s5, vcc_lo, s5
	s_waitcnt vmcnt(2) lgkmcnt(0)
	v_mul_f64 v[18:19], v[12:13], v[14:15]
	v_mul_f64 v[14:15], v[10:11], v[14:15]
	s_waitcnt vmcnt(0)
	v_fma_f64 v[10:11], v[10:11], v[16:17], -v[18:19]
	v_fma_f64 v[12:13], v[12:13], v[16:17], v[14:15]
	v_add_f64 v[3:4], v[3:4], v[10:11]
	v_add_f64 v[1:2], v[1:2], v[12:13]
	s_andn2_b32 exec_lo, exec_lo, s5
	s_cbranch_execnz .LBB50_93
; %bb.94:
	s_or_b32 exec_lo, exec_lo, s5
	v_mov_b32_e32 v7, 0
	ds_read_b128 v[7:10], v7 offset:320
	s_waitcnt lgkmcnt(0)
	v_mul_f64 v[11:12], v[1:2], v[9:10]
	v_mul_f64 v[9:10], v[3:4], v[9:10]
	v_fma_f64 v[3:4], v[3:4], v[7:8], -v[11:12]
	v_fma_f64 v[1:2], v[1:2], v[7:8], v[9:10]
	buffer_store_dword v4, off, s[0:3], 0 offset:340
	buffer_store_dword v3, off, s[0:3], 0 offset:336
	;; [unrolled: 1-line block ×4, first 2 shown]
.LBB50_95:
	s_or_b32 exec_lo, exec_lo, s4
	v_mov_b32_e32 v4, s42
	s_waitcnt_vscnt null, 0x0
	s_barrier
	buffer_gl0_inv
	s_mov_b32 s4, exec_lo
	s_clause 0x3
	buffer_load_dword v1, v4, s[0:3], 0 offen
	buffer_load_dword v2, v4, s[0:3], 0 offen offset:4
	buffer_load_dword v3, v4, s[0:3], 0 offen offset:8
	buffer_load_dword v4, v4, s[0:3], 0 offen offset:12
	s_waitcnt vmcnt(0)
	ds_write_b128 v5, v[1:4]
	s_waitcnt lgkmcnt(0)
	s_barrier
	buffer_gl0_inv
	v_cmpx_gt_u32_e32 21, v0
	s_cbranch_execz .LBB50_99
; %bb.96:
	v_mov_b32_e32 v1, 0
	v_mov_b32_e32 v3, 0
	v_add_nc_u32_e32 v7, -1, v0
	v_add_nc_u32_e32 v8, 0x330, v203
	v_mov_b32_e32 v2, 0
	v_mov_b32_e32 v4, 0
	v_add_nc_u32_e32 v9, 16, v203
	s_mov_b32 s5, 0
	.p2align	6
.LBB50_97:                              ; =>This Inner Loop Header: Depth=1
	s_clause 0x3
	buffer_load_dword v14, v9, s[0:3], 0 offen offset:8
	buffer_load_dword v15, v9, s[0:3], 0 offen offset:12
	buffer_load_dword v16, v9, s[0:3], 0 offen
	buffer_load_dword v17, v9, s[0:3], 0 offen offset:4
	ds_read_b128 v[10:13], v8
	v_add_nc_u32_e32 v7, 1, v7
	v_add_nc_u32_e32 v8, 16, v8
	;; [unrolled: 1-line block ×3, first 2 shown]
	v_cmp_lt_u32_e32 vcc_lo, 19, v7
	s_or_b32 s5, vcc_lo, s5
	s_waitcnt vmcnt(2) lgkmcnt(0)
	v_mul_f64 v[18:19], v[12:13], v[14:15]
	v_mul_f64 v[14:15], v[10:11], v[14:15]
	s_waitcnt vmcnt(0)
	v_fma_f64 v[10:11], v[10:11], v[16:17], -v[18:19]
	v_fma_f64 v[12:13], v[12:13], v[16:17], v[14:15]
	v_add_f64 v[3:4], v[3:4], v[10:11]
	v_add_f64 v[1:2], v[1:2], v[12:13]
	s_andn2_b32 exec_lo, exec_lo, s5
	s_cbranch_execnz .LBB50_97
; %bb.98:
	s_or_b32 exec_lo, exec_lo, s5
	v_mov_b32_e32 v7, 0
	ds_read_b128 v[7:10], v7 offset:336
	s_waitcnt lgkmcnt(0)
	v_mul_f64 v[11:12], v[1:2], v[9:10]
	v_mul_f64 v[9:10], v[3:4], v[9:10]
	v_fma_f64 v[3:4], v[3:4], v[7:8], -v[11:12]
	v_fma_f64 v[1:2], v[1:2], v[7:8], v[9:10]
	buffer_store_dword v4, off, s[0:3], 0 offset:356
	buffer_store_dword v3, off, s[0:3], 0 offset:352
	;; [unrolled: 1-line block ×4, first 2 shown]
.LBB50_99:
	s_or_b32 exec_lo, exec_lo, s4
	v_mov_b32_e32 v4, s41
	s_waitcnt_vscnt null, 0x0
	s_barrier
	buffer_gl0_inv
	s_mov_b32 s4, exec_lo
	s_clause 0x3
	buffer_load_dword v1, v4, s[0:3], 0 offen
	buffer_load_dword v2, v4, s[0:3], 0 offen offset:4
	buffer_load_dword v3, v4, s[0:3], 0 offen offset:8
	;; [unrolled: 1-line block ×3, first 2 shown]
	s_waitcnt vmcnt(0)
	ds_write_b128 v5, v[1:4]
	s_waitcnt lgkmcnt(0)
	s_barrier
	buffer_gl0_inv
	v_cmpx_gt_u32_e32 22, v0
	s_cbranch_execz .LBB50_103
; %bb.100:
	v_mov_b32_e32 v1, 0
	v_mov_b32_e32 v3, 0
	v_add_nc_u32_e32 v7, -1, v0
	v_add_nc_u32_e32 v8, 0x330, v203
	v_mov_b32_e32 v2, 0
	v_mov_b32_e32 v4, 0
	v_add_nc_u32_e32 v9, 16, v203
	s_mov_b32 s5, 0
	.p2align	6
.LBB50_101:                             ; =>This Inner Loop Header: Depth=1
	s_clause 0x3
	buffer_load_dword v14, v9, s[0:3], 0 offen offset:8
	buffer_load_dword v15, v9, s[0:3], 0 offen offset:12
	buffer_load_dword v16, v9, s[0:3], 0 offen
	buffer_load_dword v17, v9, s[0:3], 0 offen offset:4
	ds_read_b128 v[10:13], v8
	v_add_nc_u32_e32 v7, 1, v7
	v_add_nc_u32_e32 v8, 16, v8
	;; [unrolled: 1-line block ×3, first 2 shown]
	v_cmp_lt_u32_e32 vcc_lo, 20, v7
	s_or_b32 s5, vcc_lo, s5
	s_waitcnt vmcnt(2) lgkmcnt(0)
	v_mul_f64 v[18:19], v[12:13], v[14:15]
	v_mul_f64 v[14:15], v[10:11], v[14:15]
	s_waitcnt vmcnt(0)
	v_fma_f64 v[10:11], v[10:11], v[16:17], -v[18:19]
	v_fma_f64 v[12:13], v[12:13], v[16:17], v[14:15]
	v_add_f64 v[3:4], v[3:4], v[10:11]
	v_add_f64 v[1:2], v[1:2], v[12:13]
	s_andn2_b32 exec_lo, exec_lo, s5
	s_cbranch_execnz .LBB50_101
; %bb.102:
	s_or_b32 exec_lo, exec_lo, s5
	v_mov_b32_e32 v7, 0
	ds_read_b128 v[7:10], v7 offset:352
	s_waitcnt lgkmcnt(0)
	v_mul_f64 v[11:12], v[1:2], v[9:10]
	v_mul_f64 v[9:10], v[3:4], v[9:10]
	v_fma_f64 v[3:4], v[3:4], v[7:8], -v[11:12]
	v_fma_f64 v[1:2], v[1:2], v[7:8], v[9:10]
	buffer_store_dword v4, off, s[0:3], 0 offset:372
	buffer_store_dword v3, off, s[0:3], 0 offset:368
	;; [unrolled: 1-line block ×4, first 2 shown]
.LBB50_103:
	s_or_b32 exec_lo, exec_lo, s4
	v_mov_b32_e32 v4, s40
	s_waitcnt_vscnt null, 0x0
	s_barrier
	buffer_gl0_inv
	s_mov_b32 s4, exec_lo
	s_clause 0x3
	buffer_load_dword v1, v4, s[0:3], 0 offen
	buffer_load_dword v2, v4, s[0:3], 0 offen offset:4
	buffer_load_dword v3, v4, s[0:3], 0 offen offset:8
	;; [unrolled: 1-line block ×3, first 2 shown]
	s_waitcnt vmcnt(0)
	ds_write_b128 v5, v[1:4]
	s_waitcnt lgkmcnt(0)
	s_barrier
	buffer_gl0_inv
	v_cmpx_gt_u32_e32 23, v0
	s_cbranch_execz .LBB50_107
; %bb.104:
	v_mov_b32_e32 v1, 0
	v_mov_b32_e32 v3, 0
	v_add_nc_u32_e32 v7, -1, v0
	v_add_nc_u32_e32 v8, 0x330, v203
	v_mov_b32_e32 v2, 0
	v_mov_b32_e32 v4, 0
	v_add_nc_u32_e32 v9, 16, v203
	s_mov_b32 s5, 0
	.p2align	6
.LBB50_105:                             ; =>This Inner Loop Header: Depth=1
	s_clause 0x3
	buffer_load_dword v14, v9, s[0:3], 0 offen offset:8
	buffer_load_dword v15, v9, s[0:3], 0 offen offset:12
	buffer_load_dword v16, v9, s[0:3], 0 offen
	buffer_load_dword v17, v9, s[0:3], 0 offen offset:4
	ds_read_b128 v[10:13], v8
	v_add_nc_u32_e32 v7, 1, v7
	v_add_nc_u32_e32 v8, 16, v8
	;; [unrolled: 1-line block ×3, first 2 shown]
	v_cmp_lt_u32_e32 vcc_lo, 21, v7
	s_or_b32 s5, vcc_lo, s5
	s_waitcnt vmcnt(2) lgkmcnt(0)
	v_mul_f64 v[18:19], v[12:13], v[14:15]
	v_mul_f64 v[14:15], v[10:11], v[14:15]
	s_waitcnt vmcnt(0)
	v_fma_f64 v[10:11], v[10:11], v[16:17], -v[18:19]
	v_fma_f64 v[12:13], v[12:13], v[16:17], v[14:15]
	v_add_f64 v[3:4], v[3:4], v[10:11]
	v_add_f64 v[1:2], v[1:2], v[12:13]
	s_andn2_b32 exec_lo, exec_lo, s5
	s_cbranch_execnz .LBB50_105
; %bb.106:
	s_or_b32 exec_lo, exec_lo, s5
	v_mov_b32_e32 v7, 0
	ds_read_b128 v[7:10], v7 offset:368
	s_waitcnt lgkmcnt(0)
	v_mul_f64 v[11:12], v[1:2], v[9:10]
	v_mul_f64 v[9:10], v[3:4], v[9:10]
	v_fma_f64 v[3:4], v[3:4], v[7:8], -v[11:12]
	v_fma_f64 v[1:2], v[1:2], v[7:8], v[9:10]
	buffer_store_dword v4, off, s[0:3], 0 offset:388
	buffer_store_dword v3, off, s[0:3], 0 offset:384
	;; [unrolled: 1-line block ×4, first 2 shown]
.LBB50_107:
	s_or_b32 exec_lo, exec_lo, s4
	v_mov_b32_e32 v4, s39
	s_waitcnt_vscnt null, 0x0
	s_barrier
	buffer_gl0_inv
	s_mov_b32 s4, exec_lo
	s_clause 0x3
	buffer_load_dword v1, v4, s[0:3], 0 offen
	buffer_load_dword v2, v4, s[0:3], 0 offen offset:4
	buffer_load_dword v3, v4, s[0:3], 0 offen offset:8
	;; [unrolled: 1-line block ×3, first 2 shown]
	s_waitcnt vmcnt(0)
	ds_write_b128 v5, v[1:4]
	s_waitcnt lgkmcnt(0)
	s_barrier
	buffer_gl0_inv
	v_cmpx_gt_u32_e32 24, v0
	s_cbranch_execz .LBB50_111
; %bb.108:
	v_mov_b32_e32 v1, 0
	v_mov_b32_e32 v3, 0
	v_add_nc_u32_e32 v7, -1, v0
	v_add_nc_u32_e32 v8, 0x330, v203
	v_mov_b32_e32 v2, 0
	v_mov_b32_e32 v4, 0
	v_add_nc_u32_e32 v9, 16, v203
	s_mov_b32 s5, 0
	.p2align	6
.LBB50_109:                             ; =>This Inner Loop Header: Depth=1
	s_clause 0x3
	buffer_load_dword v14, v9, s[0:3], 0 offen offset:8
	buffer_load_dword v15, v9, s[0:3], 0 offen offset:12
	buffer_load_dword v16, v9, s[0:3], 0 offen
	buffer_load_dword v17, v9, s[0:3], 0 offen offset:4
	ds_read_b128 v[10:13], v8
	v_add_nc_u32_e32 v7, 1, v7
	v_add_nc_u32_e32 v8, 16, v8
	;; [unrolled: 1-line block ×3, first 2 shown]
	v_cmp_lt_u32_e32 vcc_lo, 22, v7
	s_or_b32 s5, vcc_lo, s5
	s_waitcnt vmcnt(2) lgkmcnt(0)
	v_mul_f64 v[18:19], v[12:13], v[14:15]
	v_mul_f64 v[14:15], v[10:11], v[14:15]
	s_waitcnt vmcnt(0)
	v_fma_f64 v[10:11], v[10:11], v[16:17], -v[18:19]
	v_fma_f64 v[12:13], v[12:13], v[16:17], v[14:15]
	v_add_f64 v[3:4], v[3:4], v[10:11]
	v_add_f64 v[1:2], v[1:2], v[12:13]
	s_andn2_b32 exec_lo, exec_lo, s5
	s_cbranch_execnz .LBB50_109
; %bb.110:
	s_or_b32 exec_lo, exec_lo, s5
	v_mov_b32_e32 v7, 0
	ds_read_b128 v[7:10], v7 offset:384
	s_waitcnt lgkmcnt(0)
	v_mul_f64 v[11:12], v[1:2], v[9:10]
	v_mul_f64 v[9:10], v[3:4], v[9:10]
	v_fma_f64 v[3:4], v[3:4], v[7:8], -v[11:12]
	v_fma_f64 v[1:2], v[1:2], v[7:8], v[9:10]
	buffer_store_dword v4, off, s[0:3], 0 offset:404
	buffer_store_dword v3, off, s[0:3], 0 offset:400
	;; [unrolled: 1-line block ×4, first 2 shown]
.LBB50_111:
	s_or_b32 exec_lo, exec_lo, s4
	v_mov_b32_e32 v4, s38
	s_waitcnt_vscnt null, 0x0
	s_barrier
	buffer_gl0_inv
	s_mov_b32 s4, exec_lo
	s_clause 0x3
	buffer_load_dword v1, v4, s[0:3], 0 offen
	buffer_load_dword v2, v4, s[0:3], 0 offen offset:4
	buffer_load_dword v3, v4, s[0:3], 0 offen offset:8
	;; [unrolled: 1-line block ×3, first 2 shown]
	s_waitcnt vmcnt(0)
	ds_write_b128 v5, v[1:4]
	s_waitcnt lgkmcnt(0)
	s_barrier
	buffer_gl0_inv
	v_cmpx_gt_u32_e32 25, v0
	s_cbranch_execz .LBB50_115
; %bb.112:
	v_mov_b32_e32 v1, 0
	v_mov_b32_e32 v3, 0
	v_add_nc_u32_e32 v7, -1, v0
	v_add_nc_u32_e32 v8, 0x330, v203
	v_mov_b32_e32 v2, 0
	v_mov_b32_e32 v4, 0
	v_add_nc_u32_e32 v9, 16, v203
	s_mov_b32 s5, 0
	.p2align	6
.LBB50_113:                             ; =>This Inner Loop Header: Depth=1
	s_clause 0x3
	buffer_load_dword v14, v9, s[0:3], 0 offen offset:8
	buffer_load_dword v15, v9, s[0:3], 0 offen offset:12
	buffer_load_dword v16, v9, s[0:3], 0 offen
	buffer_load_dword v17, v9, s[0:3], 0 offen offset:4
	ds_read_b128 v[10:13], v8
	v_add_nc_u32_e32 v7, 1, v7
	v_add_nc_u32_e32 v8, 16, v8
	;; [unrolled: 1-line block ×3, first 2 shown]
	v_cmp_lt_u32_e32 vcc_lo, 23, v7
	s_or_b32 s5, vcc_lo, s5
	s_waitcnt vmcnt(2) lgkmcnt(0)
	v_mul_f64 v[18:19], v[12:13], v[14:15]
	v_mul_f64 v[14:15], v[10:11], v[14:15]
	s_waitcnt vmcnt(0)
	v_fma_f64 v[10:11], v[10:11], v[16:17], -v[18:19]
	v_fma_f64 v[12:13], v[12:13], v[16:17], v[14:15]
	v_add_f64 v[3:4], v[3:4], v[10:11]
	v_add_f64 v[1:2], v[1:2], v[12:13]
	s_andn2_b32 exec_lo, exec_lo, s5
	s_cbranch_execnz .LBB50_113
; %bb.114:
	s_or_b32 exec_lo, exec_lo, s5
	v_mov_b32_e32 v7, 0
	ds_read_b128 v[7:10], v7 offset:400
	s_waitcnt lgkmcnt(0)
	v_mul_f64 v[11:12], v[1:2], v[9:10]
	v_mul_f64 v[9:10], v[3:4], v[9:10]
	v_fma_f64 v[3:4], v[3:4], v[7:8], -v[11:12]
	v_fma_f64 v[1:2], v[1:2], v[7:8], v[9:10]
	buffer_store_dword v4, off, s[0:3], 0 offset:420
	buffer_store_dword v3, off, s[0:3], 0 offset:416
	;; [unrolled: 1-line block ×4, first 2 shown]
.LBB50_115:
	s_or_b32 exec_lo, exec_lo, s4
	v_mov_b32_e32 v4, s37
	s_waitcnt_vscnt null, 0x0
	s_barrier
	buffer_gl0_inv
	s_mov_b32 s4, exec_lo
	s_clause 0x3
	buffer_load_dword v1, v4, s[0:3], 0 offen
	buffer_load_dword v2, v4, s[0:3], 0 offen offset:4
	buffer_load_dword v3, v4, s[0:3], 0 offen offset:8
	;; [unrolled: 1-line block ×3, first 2 shown]
	s_waitcnt vmcnt(0)
	ds_write_b128 v5, v[1:4]
	s_waitcnt lgkmcnt(0)
	s_barrier
	buffer_gl0_inv
	v_cmpx_gt_u32_e32 26, v0
	s_cbranch_execz .LBB50_119
; %bb.116:
	v_mov_b32_e32 v1, 0
	v_mov_b32_e32 v3, 0
	v_add_nc_u32_e32 v7, -1, v0
	v_add_nc_u32_e32 v8, 0x330, v203
	v_mov_b32_e32 v2, 0
	v_mov_b32_e32 v4, 0
	v_add_nc_u32_e32 v9, 16, v203
	s_mov_b32 s5, 0
	.p2align	6
.LBB50_117:                             ; =>This Inner Loop Header: Depth=1
	s_clause 0x3
	buffer_load_dword v14, v9, s[0:3], 0 offen offset:8
	buffer_load_dword v15, v9, s[0:3], 0 offen offset:12
	buffer_load_dword v16, v9, s[0:3], 0 offen
	buffer_load_dword v17, v9, s[0:3], 0 offen offset:4
	ds_read_b128 v[10:13], v8
	v_add_nc_u32_e32 v7, 1, v7
	v_add_nc_u32_e32 v8, 16, v8
	;; [unrolled: 1-line block ×3, first 2 shown]
	v_cmp_lt_u32_e32 vcc_lo, 24, v7
	s_or_b32 s5, vcc_lo, s5
	s_waitcnt vmcnt(2) lgkmcnt(0)
	v_mul_f64 v[18:19], v[12:13], v[14:15]
	v_mul_f64 v[14:15], v[10:11], v[14:15]
	s_waitcnt vmcnt(0)
	v_fma_f64 v[10:11], v[10:11], v[16:17], -v[18:19]
	v_fma_f64 v[12:13], v[12:13], v[16:17], v[14:15]
	v_add_f64 v[3:4], v[3:4], v[10:11]
	v_add_f64 v[1:2], v[1:2], v[12:13]
	s_andn2_b32 exec_lo, exec_lo, s5
	s_cbranch_execnz .LBB50_117
; %bb.118:
	s_or_b32 exec_lo, exec_lo, s5
	v_mov_b32_e32 v7, 0
	ds_read_b128 v[7:10], v7 offset:416
	s_waitcnt lgkmcnt(0)
	v_mul_f64 v[11:12], v[1:2], v[9:10]
	v_mul_f64 v[9:10], v[3:4], v[9:10]
	v_fma_f64 v[3:4], v[3:4], v[7:8], -v[11:12]
	v_fma_f64 v[1:2], v[1:2], v[7:8], v[9:10]
	buffer_store_dword v4, off, s[0:3], 0 offset:436
	buffer_store_dword v3, off, s[0:3], 0 offset:432
	buffer_store_dword v2, off, s[0:3], 0 offset:444
	buffer_store_dword v1, off, s[0:3], 0 offset:440
.LBB50_119:
	s_or_b32 exec_lo, exec_lo, s4
	v_mov_b32_e32 v4, s36
	s_waitcnt_vscnt null, 0x0
	s_barrier
	buffer_gl0_inv
	s_mov_b32 s4, exec_lo
	s_clause 0x3
	buffer_load_dword v1, v4, s[0:3], 0 offen
	buffer_load_dword v2, v4, s[0:3], 0 offen offset:4
	buffer_load_dword v3, v4, s[0:3], 0 offen offset:8
	;; [unrolled: 1-line block ×3, first 2 shown]
	s_waitcnt vmcnt(0)
	ds_write_b128 v5, v[1:4]
	s_waitcnt lgkmcnt(0)
	s_barrier
	buffer_gl0_inv
	v_cmpx_gt_u32_e32 27, v0
	s_cbranch_execz .LBB50_123
; %bb.120:
	v_mov_b32_e32 v1, 0
	v_mov_b32_e32 v3, 0
	v_add_nc_u32_e32 v7, -1, v0
	v_add_nc_u32_e32 v8, 0x330, v203
	v_mov_b32_e32 v2, 0
	v_mov_b32_e32 v4, 0
	v_add_nc_u32_e32 v9, 16, v203
	s_mov_b32 s5, 0
	.p2align	6
.LBB50_121:                             ; =>This Inner Loop Header: Depth=1
	s_clause 0x3
	buffer_load_dword v14, v9, s[0:3], 0 offen offset:8
	buffer_load_dword v15, v9, s[0:3], 0 offen offset:12
	buffer_load_dword v16, v9, s[0:3], 0 offen
	buffer_load_dword v17, v9, s[0:3], 0 offen offset:4
	ds_read_b128 v[10:13], v8
	v_add_nc_u32_e32 v7, 1, v7
	v_add_nc_u32_e32 v8, 16, v8
	;; [unrolled: 1-line block ×3, first 2 shown]
	v_cmp_lt_u32_e32 vcc_lo, 25, v7
	s_or_b32 s5, vcc_lo, s5
	s_waitcnt vmcnt(2) lgkmcnt(0)
	v_mul_f64 v[18:19], v[12:13], v[14:15]
	v_mul_f64 v[14:15], v[10:11], v[14:15]
	s_waitcnt vmcnt(0)
	v_fma_f64 v[10:11], v[10:11], v[16:17], -v[18:19]
	v_fma_f64 v[12:13], v[12:13], v[16:17], v[14:15]
	v_add_f64 v[3:4], v[3:4], v[10:11]
	v_add_f64 v[1:2], v[1:2], v[12:13]
	s_andn2_b32 exec_lo, exec_lo, s5
	s_cbranch_execnz .LBB50_121
; %bb.122:
	s_or_b32 exec_lo, exec_lo, s5
	v_mov_b32_e32 v7, 0
	ds_read_b128 v[7:10], v7 offset:432
	s_waitcnt lgkmcnt(0)
	v_mul_f64 v[11:12], v[1:2], v[9:10]
	v_mul_f64 v[9:10], v[3:4], v[9:10]
	v_fma_f64 v[3:4], v[3:4], v[7:8], -v[11:12]
	v_fma_f64 v[1:2], v[1:2], v[7:8], v[9:10]
	buffer_store_dword v4, off, s[0:3], 0 offset:452
	buffer_store_dword v3, off, s[0:3], 0 offset:448
	;; [unrolled: 1-line block ×4, first 2 shown]
.LBB50_123:
	s_or_b32 exec_lo, exec_lo, s4
	v_mov_b32_e32 v4, s35
	s_waitcnt_vscnt null, 0x0
	s_barrier
	buffer_gl0_inv
	s_mov_b32 s4, exec_lo
	s_clause 0x3
	buffer_load_dword v1, v4, s[0:3], 0 offen
	buffer_load_dword v2, v4, s[0:3], 0 offen offset:4
	buffer_load_dword v3, v4, s[0:3], 0 offen offset:8
	;; [unrolled: 1-line block ×3, first 2 shown]
	s_waitcnt vmcnt(0)
	ds_write_b128 v5, v[1:4]
	s_waitcnt lgkmcnt(0)
	s_barrier
	buffer_gl0_inv
	v_cmpx_gt_u32_e32 28, v0
	s_cbranch_execz .LBB50_127
; %bb.124:
	v_mov_b32_e32 v1, 0
	v_mov_b32_e32 v3, 0
	v_add_nc_u32_e32 v7, -1, v0
	v_add_nc_u32_e32 v8, 0x330, v203
	v_mov_b32_e32 v2, 0
	v_mov_b32_e32 v4, 0
	v_add_nc_u32_e32 v9, 16, v203
	s_mov_b32 s5, 0
	.p2align	6
.LBB50_125:                             ; =>This Inner Loop Header: Depth=1
	s_clause 0x3
	buffer_load_dword v14, v9, s[0:3], 0 offen offset:8
	buffer_load_dword v15, v9, s[0:3], 0 offen offset:12
	buffer_load_dword v16, v9, s[0:3], 0 offen
	buffer_load_dword v17, v9, s[0:3], 0 offen offset:4
	ds_read_b128 v[10:13], v8
	v_add_nc_u32_e32 v7, 1, v7
	v_add_nc_u32_e32 v8, 16, v8
	v_add_nc_u32_e32 v9, 16, v9
	v_cmp_lt_u32_e32 vcc_lo, 26, v7
	s_or_b32 s5, vcc_lo, s5
	s_waitcnt vmcnt(2) lgkmcnt(0)
	v_mul_f64 v[18:19], v[12:13], v[14:15]
	v_mul_f64 v[14:15], v[10:11], v[14:15]
	s_waitcnt vmcnt(0)
	v_fma_f64 v[10:11], v[10:11], v[16:17], -v[18:19]
	v_fma_f64 v[12:13], v[12:13], v[16:17], v[14:15]
	v_add_f64 v[3:4], v[3:4], v[10:11]
	v_add_f64 v[1:2], v[1:2], v[12:13]
	s_andn2_b32 exec_lo, exec_lo, s5
	s_cbranch_execnz .LBB50_125
; %bb.126:
	s_or_b32 exec_lo, exec_lo, s5
	v_mov_b32_e32 v7, 0
	ds_read_b128 v[7:10], v7 offset:448
	s_waitcnt lgkmcnt(0)
	v_mul_f64 v[11:12], v[1:2], v[9:10]
	v_mul_f64 v[9:10], v[3:4], v[9:10]
	v_fma_f64 v[3:4], v[3:4], v[7:8], -v[11:12]
	v_fma_f64 v[1:2], v[1:2], v[7:8], v[9:10]
	buffer_store_dword v4, off, s[0:3], 0 offset:468
	buffer_store_dword v3, off, s[0:3], 0 offset:464
	;; [unrolled: 1-line block ×4, first 2 shown]
.LBB50_127:
	s_or_b32 exec_lo, exec_lo, s4
	v_mov_b32_e32 v4, s34
	s_waitcnt_vscnt null, 0x0
	s_barrier
	buffer_gl0_inv
	s_mov_b32 s4, exec_lo
	s_clause 0x3
	buffer_load_dword v1, v4, s[0:3], 0 offen
	buffer_load_dword v2, v4, s[0:3], 0 offen offset:4
	buffer_load_dword v3, v4, s[0:3], 0 offen offset:8
	;; [unrolled: 1-line block ×3, first 2 shown]
	s_waitcnt vmcnt(0)
	ds_write_b128 v5, v[1:4]
	s_waitcnt lgkmcnt(0)
	s_barrier
	buffer_gl0_inv
	v_cmpx_gt_u32_e32 29, v0
	s_cbranch_execz .LBB50_131
; %bb.128:
	v_mov_b32_e32 v1, 0
	v_mov_b32_e32 v3, 0
	v_add_nc_u32_e32 v7, -1, v0
	v_add_nc_u32_e32 v8, 0x330, v203
	v_mov_b32_e32 v2, 0
	v_mov_b32_e32 v4, 0
	v_add_nc_u32_e32 v9, 16, v203
	s_mov_b32 s5, 0
	.p2align	6
.LBB50_129:                             ; =>This Inner Loop Header: Depth=1
	s_clause 0x3
	buffer_load_dword v14, v9, s[0:3], 0 offen offset:8
	buffer_load_dword v15, v9, s[0:3], 0 offen offset:12
	buffer_load_dword v16, v9, s[0:3], 0 offen
	buffer_load_dword v17, v9, s[0:3], 0 offen offset:4
	ds_read_b128 v[10:13], v8
	v_add_nc_u32_e32 v7, 1, v7
	v_add_nc_u32_e32 v8, 16, v8
	v_add_nc_u32_e32 v9, 16, v9
	v_cmp_lt_u32_e32 vcc_lo, 27, v7
	s_or_b32 s5, vcc_lo, s5
	s_waitcnt vmcnt(2) lgkmcnt(0)
	v_mul_f64 v[18:19], v[12:13], v[14:15]
	v_mul_f64 v[14:15], v[10:11], v[14:15]
	s_waitcnt vmcnt(0)
	v_fma_f64 v[10:11], v[10:11], v[16:17], -v[18:19]
	v_fma_f64 v[12:13], v[12:13], v[16:17], v[14:15]
	v_add_f64 v[3:4], v[3:4], v[10:11]
	v_add_f64 v[1:2], v[1:2], v[12:13]
	s_andn2_b32 exec_lo, exec_lo, s5
	s_cbranch_execnz .LBB50_129
; %bb.130:
	s_or_b32 exec_lo, exec_lo, s5
	v_mov_b32_e32 v7, 0
	ds_read_b128 v[7:10], v7 offset:464
	s_waitcnt lgkmcnt(0)
	v_mul_f64 v[11:12], v[1:2], v[9:10]
	v_mul_f64 v[9:10], v[3:4], v[9:10]
	v_fma_f64 v[3:4], v[3:4], v[7:8], -v[11:12]
	v_fma_f64 v[1:2], v[1:2], v[7:8], v[9:10]
	buffer_store_dword v4, off, s[0:3], 0 offset:484
	buffer_store_dword v3, off, s[0:3], 0 offset:480
	;; [unrolled: 1-line block ×4, first 2 shown]
.LBB50_131:
	s_or_b32 exec_lo, exec_lo, s4
	v_mov_b32_e32 v4, s33
	s_waitcnt_vscnt null, 0x0
	s_barrier
	buffer_gl0_inv
	s_mov_b32 s4, exec_lo
	s_clause 0x3
	buffer_load_dword v1, v4, s[0:3], 0 offen
	buffer_load_dword v2, v4, s[0:3], 0 offen offset:4
	buffer_load_dword v3, v4, s[0:3], 0 offen offset:8
	;; [unrolled: 1-line block ×3, first 2 shown]
	s_waitcnt vmcnt(0)
	ds_write_b128 v5, v[1:4]
	s_waitcnt lgkmcnt(0)
	s_barrier
	buffer_gl0_inv
	v_cmpx_gt_u32_e32 30, v0
	s_cbranch_execz .LBB50_135
; %bb.132:
	v_mov_b32_e32 v1, 0
	v_mov_b32_e32 v3, 0
	v_add_nc_u32_e32 v7, -1, v0
	v_add_nc_u32_e32 v8, 0x330, v203
	v_mov_b32_e32 v2, 0
	v_mov_b32_e32 v4, 0
	v_add_nc_u32_e32 v9, 16, v203
	s_mov_b32 s5, 0
	.p2align	6
.LBB50_133:                             ; =>This Inner Loop Header: Depth=1
	s_clause 0x3
	buffer_load_dword v14, v9, s[0:3], 0 offen offset:8
	buffer_load_dword v15, v9, s[0:3], 0 offen offset:12
	buffer_load_dword v16, v9, s[0:3], 0 offen
	buffer_load_dword v17, v9, s[0:3], 0 offen offset:4
	ds_read_b128 v[10:13], v8
	v_add_nc_u32_e32 v7, 1, v7
	v_add_nc_u32_e32 v8, 16, v8
	v_add_nc_u32_e32 v9, 16, v9
	v_cmp_lt_u32_e32 vcc_lo, 28, v7
	s_or_b32 s5, vcc_lo, s5
	s_waitcnt vmcnt(2) lgkmcnt(0)
	v_mul_f64 v[18:19], v[12:13], v[14:15]
	v_mul_f64 v[14:15], v[10:11], v[14:15]
	s_waitcnt vmcnt(0)
	v_fma_f64 v[10:11], v[10:11], v[16:17], -v[18:19]
	v_fma_f64 v[12:13], v[12:13], v[16:17], v[14:15]
	v_add_f64 v[3:4], v[3:4], v[10:11]
	v_add_f64 v[1:2], v[1:2], v[12:13]
	s_andn2_b32 exec_lo, exec_lo, s5
	s_cbranch_execnz .LBB50_133
; %bb.134:
	s_or_b32 exec_lo, exec_lo, s5
	v_mov_b32_e32 v7, 0
	ds_read_b128 v[7:10], v7 offset:480
	s_waitcnt lgkmcnt(0)
	v_mul_f64 v[11:12], v[1:2], v[9:10]
	v_mul_f64 v[9:10], v[3:4], v[9:10]
	v_fma_f64 v[3:4], v[3:4], v[7:8], -v[11:12]
	v_fma_f64 v[1:2], v[1:2], v[7:8], v[9:10]
	buffer_store_dword v4, off, s[0:3], 0 offset:500
	buffer_store_dword v3, off, s[0:3], 0 offset:496
	;; [unrolled: 1-line block ×4, first 2 shown]
.LBB50_135:
	s_or_b32 exec_lo, exec_lo, s4
	v_mov_b32_e32 v4, s31
	s_waitcnt_vscnt null, 0x0
	s_barrier
	buffer_gl0_inv
	s_mov_b32 s4, exec_lo
	s_clause 0x3
	buffer_load_dword v1, v4, s[0:3], 0 offen
	buffer_load_dword v2, v4, s[0:3], 0 offen offset:4
	buffer_load_dword v3, v4, s[0:3], 0 offen offset:8
	;; [unrolled: 1-line block ×3, first 2 shown]
	s_waitcnt vmcnt(0)
	ds_write_b128 v5, v[1:4]
	s_waitcnt lgkmcnt(0)
	s_barrier
	buffer_gl0_inv
	v_cmpx_gt_u32_e32 31, v0
	s_cbranch_execz .LBB50_139
; %bb.136:
	v_mov_b32_e32 v1, 0
	v_mov_b32_e32 v3, 0
	v_add_nc_u32_e32 v7, -1, v0
	v_add_nc_u32_e32 v8, 0x330, v203
	v_mov_b32_e32 v2, 0
	v_mov_b32_e32 v4, 0
	v_add_nc_u32_e32 v9, 16, v203
	s_mov_b32 s5, 0
	.p2align	6
.LBB50_137:                             ; =>This Inner Loop Header: Depth=1
	s_clause 0x3
	buffer_load_dword v14, v9, s[0:3], 0 offen offset:8
	buffer_load_dword v15, v9, s[0:3], 0 offen offset:12
	buffer_load_dword v16, v9, s[0:3], 0 offen
	buffer_load_dword v17, v9, s[0:3], 0 offen offset:4
	ds_read_b128 v[10:13], v8
	v_add_nc_u32_e32 v7, 1, v7
	v_add_nc_u32_e32 v8, 16, v8
	;; [unrolled: 1-line block ×3, first 2 shown]
	v_cmp_lt_u32_e32 vcc_lo, 29, v7
	s_or_b32 s5, vcc_lo, s5
	s_waitcnt vmcnt(2) lgkmcnt(0)
	v_mul_f64 v[18:19], v[12:13], v[14:15]
	v_mul_f64 v[14:15], v[10:11], v[14:15]
	s_waitcnt vmcnt(0)
	v_fma_f64 v[10:11], v[10:11], v[16:17], -v[18:19]
	v_fma_f64 v[12:13], v[12:13], v[16:17], v[14:15]
	v_add_f64 v[3:4], v[3:4], v[10:11]
	v_add_f64 v[1:2], v[1:2], v[12:13]
	s_andn2_b32 exec_lo, exec_lo, s5
	s_cbranch_execnz .LBB50_137
; %bb.138:
	s_or_b32 exec_lo, exec_lo, s5
	v_mov_b32_e32 v7, 0
	ds_read_b128 v[7:10], v7 offset:496
	s_waitcnt lgkmcnt(0)
	v_mul_f64 v[11:12], v[1:2], v[9:10]
	v_mul_f64 v[9:10], v[3:4], v[9:10]
	v_fma_f64 v[3:4], v[3:4], v[7:8], -v[11:12]
	v_fma_f64 v[1:2], v[1:2], v[7:8], v[9:10]
	buffer_store_dword v4, off, s[0:3], 0 offset:516
	buffer_store_dword v3, off, s[0:3], 0 offset:512
	;; [unrolled: 1-line block ×4, first 2 shown]
.LBB50_139:
	s_or_b32 exec_lo, exec_lo, s4
	v_mov_b32_e32 v4, s30
	s_waitcnt_vscnt null, 0x0
	s_barrier
	buffer_gl0_inv
	s_mov_b32 s4, exec_lo
	s_clause 0x3
	buffer_load_dword v1, v4, s[0:3], 0 offen
	buffer_load_dword v2, v4, s[0:3], 0 offen offset:4
	buffer_load_dword v3, v4, s[0:3], 0 offen offset:8
	;; [unrolled: 1-line block ×3, first 2 shown]
	s_waitcnt vmcnt(0)
	ds_write_b128 v5, v[1:4]
	s_waitcnt lgkmcnt(0)
	s_barrier
	buffer_gl0_inv
	v_cmpx_gt_u32_e32 32, v0
	s_cbranch_execz .LBB50_143
; %bb.140:
	v_mov_b32_e32 v1, 0
	v_mov_b32_e32 v3, 0
	v_add_nc_u32_e32 v7, -1, v0
	v_add_nc_u32_e32 v8, 0x330, v203
	v_mov_b32_e32 v2, 0
	v_mov_b32_e32 v4, 0
	v_add_nc_u32_e32 v9, 16, v203
	s_mov_b32 s5, 0
	.p2align	6
.LBB50_141:                             ; =>This Inner Loop Header: Depth=1
	s_clause 0x3
	buffer_load_dword v14, v9, s[0:3], 0 offen offset:8
	buffer_load_dword v15, v9, s[0:3], 0 offen offset:12
	buffer_load_dword v16, v9, s[0:3], 0 offen
	buffer_load_dword v17, v9, s[0:3], 0 offen offset:4
	ds_read_b128 v[10:13], v8
	v_add_nc_u32_e32 v7, 1, v7
	v_add_nc_u32_e32 v8, 16, v8
	;; [unrolled: 1-line block ×3, first 2 shown]
	v_cmp_lt_u32_e32 vcc_lo, 30, v7
	s_or_b32 s5, vcc_lo, s5
	s_waitcnt vmcnt(2) lgkmcnt(0)
	v_mul_f64 v[18:19], v[12:13], v[14:15]
	v_mul_f64 v[14:15], v[10:11], v[14:15]
	s_waitcnt vmcnt(0)
	v_fma_f64 v[10:11], v[10:11], v[16:17], -v[18:19]
	v_fma_f64 v[12:13], v[12:13], v[16:17], v[14:15]
	v_add_f64 v[3:4], v[3:4], v[10:11]
	v_add_f64 v[1:2], v[1:2], v[12:13]
	s_andn2_b32 exec_lo, exec_lo, s5
	s_cbranch_execnz .LBB50_141
; %bb.142:
	s_or_b32 exec_lo, exec_lo, s5
	v_mov_b32_e32 v7, 0
	ds_read_b128 v[7:10], v7 offset:512
	s_waitcnt lgkmcnt(0)
	v_mul_f64 v[11:12], v[1:2], v[9:10]
	v_mul_f64 v[9:10], v[3:4], v[9:10]
	v_fma_f64 v[3:4], v[3:4], v[7:8], -v[11:12]
	v_fma_f64 v[1:2], v[1:2], v[7:8], v[9:10]
	buffer_store_dword v4, off, s[0:3], 0 offset:532
	buffer_store_dword v3, off, s[0:3], 0 offset:528
	buffer_store_dword v2, off, s[0:3], 0 offset:540
	buffer_store_dword v1, off, s[0:3], 0 offset:536
.LBB50_143:
	s_or_b32 exec_lo, exec_lo, s4
	v_mov_b32_e32 v4, s29
	s_waitcnt_vscnt null, 0x0
	s_barrier
	buffer_gl0_inv
	s_mov_b32 s4, exec_lo
	s_clause 0x3
	buffer_load_dword v1, v4, s[0:3], 0 offen
	buffer_load_dword v2, v4, s[0:3], 0 offen offset:4
	buffer_load_dword v3, v4, s[0:3], 0 offen offset:8
	;; [unrolled: 1-line block ×3, first 2 shown]
	s_waitcnt vmcnt(0)
	ds_write_b128 v5, v[1:4]
	s_waitcnt lgkmcnt(0)
	s_barrier
	buffer_gl0_inv
	v_cmpx_gt_u32_e32 33, v0
	s_cbranch_execz .LBB50_147
; %bb.144:
	v_mov_b32_e32 v1, 0
	v_mov_b32_e32 v3, 0
	v_add_nc_u32_e32 v7, -1, v0
	v_add_nc_u32_e32 v8, 0x330, v203
	v_mov_b32_e32 v2, 0
	v_mov_b32_e32 v4, 0
	v_add_nc_u32_e32 v9, 16, v203
	s_mov_b32 s5, 0
	.p2align	6
.LBB50_145:                             ; =>This Inner Loop Header: Depth=1
	s_clause 0x3
	buffer_load_dword v14, v9, s[0:3], 0 offen offset:8
	buffer_load_dword v15, v9, s[0:3], 0 offen offset:12
	buffer_load_dword v16, v9, s[0:3], 0 offen
	buffer_load_dword v17, v9, s[0:3], 0 offen offset:4
	ds_read_b128 v[10:13], v8
	v_add_nc_u32_e32 v7, 1, v7
	v_add_nc_u32_e32 v8, 16, v8
	;; [unrolled: 1-line block ×3, first 2 shown]
	v_cmp_lt_u32_e32 vcc_lo, 31, v7
	s_or_b32 s5, vcc_lo, s5
	s_waitcnt vmcnt(2) lgkmcnt(0)
	v_mul_f64 v[18:19], v[12:13], v[14:15]
	v_mul_f64 v[14:15], v[10:11], v[14:15]
	s_waitcnt vmcnt(0)
	v_fma_f64 v[10:11], v[10:11], v[16:17], -v[18:19]
	v_fma_f64 v[12:13], v[12:13], v[16:17], v[14:15]
	v_add_f64 v[3:4], v[3:4], v[10:11]
	v_add_f64 v[1:2], v[1:2], v[12:13]
	s_andn2_b32 exec_lo, exec_lo, s5
	s_cbranch_execnz .LBB50_145
; %bb.146:
	s_or_b32 exec_lo, exec_lo, s5
	v_mov_b32_e32 v7, 0
	ds_read_b128 v[7:10], v7 offset:528
	s_waitcnt lgkmcnt(0)
	v_mul_f64 v[11:12], v[1:2], v[9:10]
	v_mul_f64 v[9:10], v[3:4], v[9:10]
	v_fma_f64 v[3:4], v[3:4], v[7:8], -v[11:12]
	v_fma_f64 v[1:2], v[1:2], v[7:8], v[9:10]
	buffer_store_dword v4, off, s[0:3], 0 offset:548
	buffer_store_dword v3, off, s[0:3], 0 offset:544
	;; [unrolled: 1-line block ×4, first 2 shown]
.LBB50_147:
	s_or_b32 exec_lo, exec_lo, s4
	v_mov_b32_e32 v4, s28
	s_waitcnt_vscnt null, 0x0
	s_barrier
	buffer_gl0_inv
	s_mov_b32 s4, exec_lo
	s_clause 0x3
	buffer_load_dword v1, v4, s[0:3], 0 offen
	buffer_load_dword v2, v4, s[0:3], 0 offen offset:4
	buffer_load_dword v3, v4, s[0:3], 0 offen offset:8
	;; [unrolled: 1-line block ×3, first 2 shown]
	s_waitcnt vmcnt(0)
	ds_write_b128 v5, v[1:4]
	s_waitcnt lgkmcnt(0)
	s_barrier
	buffer_gl0_inv
	v_cmpx_gt_u32_e32 34, v0
	s_cbranch_execz .LBB50_151
; %bb.148:
	v_mov_b32_e32 v1, 0
	v_mov_b32_e32 v3, 0
	v_add_nc_u32_e32 v7, -1, v0
	v_add_nc_u32_e32 v8, 0x330, v203
	v_mov_b32_e32 v2, 0
	v_mov_b32_e32 v4, 0
	v_add_nc_u32_e32 v9, 16, v203
	s_mov_b32 s5, 0
	.p2align	6
.LBB50_149:                             ; =>This Inner Loop Header: Depth=1
	s_clause 0x3
	buffer_load_dword v14, v9, s[0:3], 0 offen offset:8
	buffer_load_dword v15, v9, s[0:3], 0 offen offset:12
	buffer_load_dword v16, v9, s[0:3], 0 offen
	buffer_load_dword v17, v9, s[0:3], 0 offen offset:4
	ds_read_b128 v[10:13], v8
	v_add_nc_u32_e32 v7, 1, v7
	v_add_nc_u32_e32 v8, 16, v8
	;; [unrolled: 1-line block ×3, first 2 shown]
	v_cmp_lt_u32_e32 vcc_lo, 32, v7
	s_or_b32 s5, vcc_lo, s5
	s_waitcnt vmcnt(2) lgkmcnt(0)
	v_mul_f64 v[18:19], v[12:13], v[14:15]
	v_mul_f64 v[14:15], v[10:11], v[14:15]
	s_waitcnt vmcnt(0)
	v_fma_f64 v[10:11], v[10:11], v[16:17], -v[18:19]
	v_fma_f64 v[12:13], v[12:13], v[16:17], v[14:15]
	v_add_f64 v[3:4], v[3:4], v[10:11]
	v_add_f64 v[1:2], v[1:2], v[12:13]
	s_andn2_b32 exec_lo, exec_lo, s5
	s_cbranch_execnz .LBB50_149
; %bb.150:
	s_or_b32 exec_lo, exec_lo, s5
	v_mov_b32_e32 v7, 0
	ds_read_b128 v[7:10], v7 offset:544
	s_waitcnt lgkmcnt(0)
	v_mul_f64 v[11:12], v[1:2], v[9:10]
	v_mul_f64 v[9:10], v[3:4], v[9:10]
	v_fma_f64 v[3:4], v[3:4], v[7:8], -v[11:12]
	v_fma_f64 v[1:2], v[1:2], v[7:8], v[9:10]
	buffer_store_dword v4, off, s[0:3], 0 offset:564
	buffer_store_dword v3, off, s[0:3], 0 offset:560
	;; [unrolled: 1-line block ×4, first 2 shown]
.LBB50_151:
	s_or_b32 exec_lo, exec_lo, s4
	v_mov_b32_e32 v4, s27
	s_waitcnt_vscnt null, 0x0
	s_barrier
	buffer_gl0_inv
	s_mov_b32 s4, exec_lo
	s_clause 0x3
	buffer_load_dword v1, v4, s[0:3], 0 offen
	buffer_load_dword v2, v4, s[0:3], 0 offen offset:4
	buffer_load_dword v3, v4, s[0:3], 0 offen offset:8
	;; [unrolled: 1-line block ×3, first 2 shown]
	s_waitcnt vmcnt(0)
	ds_write_b128 v5, v[1:4]
	s_waitcnt lgkmcnt(0)
	s_barrier
	buffer_gl0_inv
	v_cmpx_gt_u32_e32 35, v0
	s_cbranch_execz .LBB50_155
; %bb.152:
	v_mov_b32_e32 v1, 0
	v_mov_b32_e32 v3, 0
	v_add_nc_u32_e32 v7, -1, v0
	v_add_nc_u32_e32 v8, 0x330, v203
	v_mov_b32_e32 v2, 0
	v_mov_b32_e32 v4, 0
	v_add_nc_u32_e32 v9, 16, v203
	s_mov_b32 s5, 0
	.p2align	6
.LBB50_153:                             ; =>This Inner Loop Header: Depth=1
	s_clause 0x3
	buffer_load_dword v14, v9, s[0:3], 0 offen offset:8
	buffer_load_dword v15, v9, s[0:3], 0 offen offset:12
	buffer_load_dword v16, v9, s[0:3], 0 offen
	buffer_load_dword v17, v9, s[0:3], 0 offen offset:4
	ds_read_b128 v[10:13], v8
	v_add_nc_u32_e32 v7, 1, v7
	v_add_nc_u32_e32 v8, 16, v8
	;; [unrolled: 1-line block ×3, first 2 shown]
	v_cmp_lt_u32_e32 vcc_lo, 33, v7
	s_or_b32 s5, vcc_lo, s5
	s_waitcnt vmcnt(2) lgkmcnt(0)
	v_mul_f64 v[18:19], v[12:13], v[14:15]
	v_mul_f64 v[14:15], v[10:11], v[14:15]
	s_waitcnt vmcnt(0)
	v_fma_f64 v[10:11], v[10:11], v[16:17], -v[18:19]
	v_fma_f64 v[12:13], v[12:13], v[16:17], v[14:15]
	v_add_f64 v[3:4], v[3:4], v[10:11]
	v_add_f64 v[1:2], v[1:2], v[12:13]
	s_andn2_b32 exec_lo, exec_lo, s5
	s_cbranch_execnz .LBB50_153
; %bb.154:
	s_or_b32 exec_lo, exec_lo, s5
	v_mov_b32_e32 v7, 0
	ds_read_b128 v[7:10], v7 offset:560
	s_waitcnt lgkmcnt(0)
	v_mul_f64 v[11:12], v[1:2], v[9:10]
	v_mul_f64 v[9:10], v[3:4], v[9:10]
	v_fma_f64 v[3:4], v[3:4], v[7:8], -v[11:12]
	v_fma_f64 v[1:2], v[1:2], v[7:8], v[9:10]
	buffer_store_dword v4, off, s[0:3], 0 offset:580
	buffer_store_dword v3, off, s[0:3], 0 offset:576
	;; [unrolled: 1-line block ×4, first 2 shown]
.LBB50_155:
	s_or_b32 exec_lo, exec_lo, s4
	v_mov_b32_e32 v4, s26
	s_waitcnt_vscnt null, 0x0
	s_barrier
	buffer_gl0_inv
	s_mov_b32 s4, exec_lo
	s_clause 0x3
	buffer_load_dword v1, v4, s[0:3], 0 offen
	buffer_load_dword v2, v4, s[0:3], 0 offen offset:4
	buffer_load_dword v3, v4, s[0:3], 0 offen offset:8
	;; [unrolled: 1-line block ×3, first 2 shown]
	s_waitcnt vmcnt(0)
	ds_write_b128 v5, v[1:4]
	s_waitcnt lgkmcnt(0)
	s_barrier
	buffer_gl0_inv
	v_cmpx_gt_u32_e32 36, v0
	s_cbranch_execz .LBB50_159
; %bb.156:
	v_mov_b32_e32 v1, 0
	v_mov_b32_e32 v3, 0
	v_add_nc_u32_e32 v7, -1, v0
	v_add_nc_u32_e32 v8, 0x330, v203
	v_mov_b32_e32 v2, 0
	v_mov_b32_e32 v4, 0
	v_add_nc_u32_e32 v9, 16, v203
	s_mov_b32 s5, 0
	.p2align	6
.LBB50_157:                             ; =>This Inner Loop Header: Depth=1
	s_clause 0x3
	buffer_load_dword v14, v9, s[0:3], 0 offen offset:8
	buffer_load_dword v15, v9, s[0:3], 0 offen offset:12
	buffer_load_dword v16, v9, s[0:3], 0 offen
	buffer_load_dword v17, v9, s[0:3], 0 offen offset:4
	ds_read_b128 v[10:13], v8
	v_add_nc_u32_e32 v7, 1, v7
	v_add_nc_u32_e32 v8, 16, v8
	;; [unrolled: 1-line block ×3, first 2 shown]
	v_cmp_lt_u32_e32 vcc_lo, 34, v7
	s_or_b32 s5, vcc_lo, s5
	s_waitcnt vmcnt(2) lgkmcnt(0)
	v_mul_f64 v[18:19], v[12:13], v[14:15]
	v_mul_f64 v[14:15], v[10:11], v[14:15]
	s_waitcnt vmcnt(0)
	v_fma_f64 v[10:11], v[10:11], v[16:17], -v[18:19]
	v_fma_f64 v[12:13], v[12:13], v[16:17], v[14:15]
	v_add_f64 v[3:4], v[3:4], v[10:11]
	v_add_f64 v[1:2], v[1:2], v[12:13]
	s_andn2_b32 exec_lo, exec_lo, s5
	s_cbranch_execnz .LBB50_157
; %bb.158:
	s_or_b32 exec_lo, exec_lo, s5
	v_mov_b32_e32 v7, 0
	ds_read_b128 v[7:10], v7 offset:576
	s_waitcnt lgkmcnt(0)
	v_mul_f64 v[11:12], v[1:2], v[9:10]
	v_mul_f64 v[9:10], v[3:4], v[9:10]
	v_fma_f64 v[3:4], v[3:4], v[7:8], -v[11:12]
	v_fma_f64 v[1:2], v[1:2], v[7:8], v[9:10]
	buffer_store_dword v4, off, s[0:3], 0 offset:596
	buffer_store_dword v3, off, s[0:3], 0 offset:592
	buffer_store_dword v2, off, s[0:3], 0 offset:604
	buffer_store_dword v1, off, s[0:3], 0 offset:600
.LBB50_159:
	s_or_b32 exec_lo, exec_lo, s4
	v_mov_b32_e32 v4, s25
	s_waitcnt_vscnt null, 0x0
	s_barrier
	buffer_gl0_inv
	s_mov_b32 s4, exec_lo
	s_clause 0x3
	buffer_load_dword v1, v4, s[0:3], 0 offen
	buffer_load_dword v2, v4, s[0:3], 0 offen offset:4
	buffer_load_dword v3, v4, s[0:3], 0 offen offset:8
	;; [unrolled: 1-line block ×3, first 2 shown]
	s_waitcnt vmcnt(0)
	ds_write_b128 v5, v[1:4]
	s_waitcnt lgkmcnt(0)
	s_barrier
	buffer_gl0_inv
	v_cmpx_gt_u32_e32 37, v0
	s_cbranch_execz .LBB50_163
; %bb.160:
	v_mov_b32_e32 v1, 0
	v_mov_b32_e32 v3, 0
	v_add_nc_u32_e32 v7, -1, v0
	v_add_nc_u32_e32 v8, 0x330, v203
	v_mov_b32_e32 v2, 0
	v_mov_b32_e32 v4, 0
	v_add_nc_u32_e32 v9, 16, v203
	s_mov_b32 s5, 0
	.p2align	6
.LBB50_161:                             ; =>This Inner Loop Header: Depth=1
	s_clause 0x3
	buffer_load_dword v14, v9, s[0:3], 0 offen offset:8
	buffer_load_dword v15, v9, s[0:3], 0 offen offset:12
	buffer_load_dword v16, v9, s[0:3], 0 offen
	buffer_load_dword v17, v9, s[0:3], 0 offen offset:4
	ds_read_b128 v[10:13], v8
	v_add_nc_u32_e32 v7, 1, v7
	v_add_nc_u32_e32 v8, 16, v8
	;; [unrolled: 1-line block ×3, first 2 shown]
	v_cmp_lt_u32_e32 vcc_lo, 35, v7
	s_or_b32 s5, vcc_lo, s5
	s_waitcnt vmcnt(2) lgkmcnt(0)
	v_mul_f64 v[18:19], v[12:13], v[14:15]
	v_mul_f64 v[14:15], v[10:11], v[14:15]
	s_waitcnt vmcnt(0)
	v_fma_f64 v[10:11], v[10:11], v[16:17], -v[18:19]
	v_fma_f64 v[12:13], v[12:13], v[16:17], v[14:15]
	v_add_f64 v[3:4], v[3:4], v[10:11]
	v_add_f64 v[1:2], v[1:2], v[12:13]
	s_andn2_b32 exec_lo, exec_lo, s5
	s_cbranch_execnz .LBB50_161
; %bb.162:
	s_or_b32 exec_lo, exec_lo, s5
	v_mov_b32_e32 v7, 0
	ds_read_b128 v[7:10], v7 offset:592
	s_waitcnt lgkmcnt(0)
	v_mul_f64 v[11:12], v[1:2], v[9:10]
	v_mul_f64 v[9:10], v[3:4], v[9:10]
	v_fma_f64 v[3:4], v[3:4], v[7:8], -v[11:12]
	v_fma_f64 v[1:2], v[1:2], v[7:8], v[9:10]
	buffer_store_dword v4, off, s[0:3], 0 offset:612
	buffer_store_dword v3, off, s[0:3], 0 offset:608
	;; [unrolled: 1-line block ×4, first 2 shown]
.LBB50_163:
	s_or_b32 exec_lo, exec_lo, s4
	v_mov_b32_e32 v4, s24
	s_waitcnt_vscnt null, 0x0
	s_barrier
	buffer_gl0_inv
	s_mov_b32 s4, exec_lo
	s_clause 0x3
	buffer_load_dword v1, v4, s[0:3], 0 offen
	buffer_load_dword v2, v4, s[0:3], 0 offen offset:4
	buffer_load_dword v3, v4, s[0:3], 0 offen offset:8
	;; [unrolled: 1-line block ×3, first 2 shown]
	s_waitcnt vmcnt(0)
	ds_write_b128 v5, v[1:4]
	s_waitcnt lgkmcnt(0)
	s_barrier
	buffer_gl0_inv
	v_cmpx_gt_u32_e32 38, v0
	s_cbranch_execz .LBB50_167
; %bb.164:
	v_mov_b32_e32 v1, 0
	v_mov_b32_e32 v3, 0
	v_add_nc_u32_e32 v7, -1, v0
	v_add_nc_u32_e32 v8, 0x330, v203
	v_mov_b32_e32 v2, 0
	v_mov_b32_e32 v4, 0
	v_add_nc_u32_e32 v9, 16, v203
	s_mov_b32 s5, 0
	.p2align	6
.LBB50_165:                             ; =>This Inner Loop Header: Depth=1
	s_clause 0x3
	buffer_load_dword v14, v9, s[0:3], 0 offen offset:8
	buffer_load_dword v15, v9, s[0:3], 0 offen offset:12
	buffer_load_dword v16, v9, s[0:3], 0 offen
	buffer_load_dword v17, v9, s[0:3], 0 offen offset:4
	ds_read_b128 v[10:13], v8
	v_add_nc_u32_e32 v7, 1, v7
	v_add_nc_u32_e32 v8, 16, v8
	v_add_nc_u32_e32 v9, 16, v9
	v_cmp_lt_u32_e32 vcc_lo, 36, v7
	s_or_b32 s5, vcc_lo, s5
	s_waitcnt vmcnt(2) lgkmcnt(0)
	v_mul_f64 v[18:19], v[12:13], v[14:15]
	v_mul_f64 v[14:15], v[10:11], v[14:15]
	s_waitcnt vmcnt(0)
	v_fma_f64 v[10:11], v[10:11], v[16:17], -v[18:19]
	v_fma_f64 v[12:13], v[12:13], v[16:17], v[14:15]
	v_add_f64 v[3:4], v[3:4], v[10:11]
	v_add_f64 v[1:2], v[1:2], v[12:13]
	s_andn2_b32 exec_lo, exec_lo, s5
	s_cbranch_execnz .LBB50_165
; %bb.166:
	s_or_b32 exec_lo, exec_lo, s5
	v_mov_b32_e32 v7, 0
	ds_read_b128 v[7:10], v7 offset:608
	s_waitcnt lgkmcnt(0)
	v_mul_f64 v[11:12], v[1:2], v[9:10]
	v_mul_f64 v[9:10], v[3:4], v[9:10]
	v_fma_f64 v[3:4], v[3:4], v[7:8], -v[11:12]
	v_fma_f64 v[1:2], v[1:2], v[7:8], v[9:10]
	buffer_store_dword v4, off, s[0:3], 0 offset:628
	buffer_store_dword v3, off, s[0:3], 0 offset:624
	;; [unrolled: 1-line block ×4, first 2 shown]
.LBB50_167:
	s_or_b32 exec_lo, exec_lo, s4
	v_mov_b32_e32 v4, s23
	s_waitcnt_vscnt null, 0x0
	s_barrier
	buffer_gl0_inv
	s_mov_b32 s4, exec_lo
	s_clause 0x3
	buffer_load_dword v1, v4, s[0:3], 0 offen
	buffer_load_dword v2, v4, s[0:3], 0 offen offset:4
	buffer_load_dword v3, v4, s[0:3], 0 offen offset:8
	;; [unrolled: 1-line block ×3, first 2 shown]
	s_waitcnt vmcnt(0)
	ds_write_b128 v5, v[1:4]
	s_waitcnt lgkmcnt(0)
	s_barrier
	buffer_gl0_inv
	v_cmpx_gt_u32_e32 39, v0
	s_cbranch_execz .LBB50_171
; %bb.168:
	v_mov_b32_e32 v1, 0
	v_mov_b32_e32 v3, 0
	v_add_nc_u32_e32 v7, -1, v0
	v_add_nc_u32_e32 v8, 0x330, v203
	v_mov_b32_e32 v2, 0
	v_mov_b32_e32 v4, 0
	v_add_nc_u32_e32 v9, 16, v203
	s_mov_b32 s5, 0
	.p2align	6
.LBB50_169:                             ; =>This Inner Loop Header: Depth=1
	s_clause 0x3
	buffer_load_dword v14, v9, s[0:3], 0 offen offset:8
	buffer_load_dword v15, v9, s[0:3], 0 offen offset:12
	buffer_load_dword v16, v9, s[0:3], 0 offen
	buffer_load_dword v17, v9, s[0:3], 0 offen offset:4
	ds_read_b128 v[10:13], v8
	v_add_nc_u32_e32 v7, 1, v7
	v_add_nc_u32_e32 v8, 16, v8
	;; [unrolled: 1-line block ×3, first 2 shown]
	v_cmp_lt_u32_e32 vcc_lo, 37, v7
	s_or_b32 s5, vcc_lo, s5
	s_waitcnt vmcnt(2) lgkmcnt(0)
	v_mul_f64 v[18:19], v[12:13], v[14:15]
	v_mul_f64 v[14:15], v[10:11], v[14:15]
	s_waitcnt vmcnt(0)
	v_fma_f64 v[10:11], v[10:11], v[16:17], -v[18:19]
	v_fma_f64 v[12:13], v[12:13], v[16:17], v[14:15]
	v_add_f64 v[3:4], v[3:4], v[10:11]
	v_add_f64 v[1:2], v[1:2], v[12:13]
	s_andn2_b32 exec_lo, exec_lo, s5
	s_cbranch_execnz .LBB50_169
; %bb.170:
	s_or_b32 exec_lo, exec_lo, s5
	v_mov_b32_e32 v7, 0
	ds_read_b128 v[7:10], v7 offset:624
	s_waitcnt lgkmcnt(0)
	v_mul_f64 v[11:12], v[1:2], v[9:10]
	v_mul_f64 v[9:10], v[3:4], v[9:10]
	v_fma_f64 v[3:4], v[3:4], v[7:8], -v[11:12]
	v_fma_f64 v[1:2], v[1:2], v[7:8], v[9:10]
	buffer_store_dword v4, off, s[0:3], 0 offset:644
	buffer_store_dword v3, off, s[0:3], 0 offset:640
	;; [unrolled: 1-line block ×4, first 2 shown]
.LBB50_171:
	s_or_b32 exec_lo, exec_lo, s4
	v_mov_b32_e32 v4, s22
	s_waitcnt_vscnt null, 0x0
	s_barrier
	buffer_gl0_inv
	s_mov_b32 s4, exec_lo
	s_clause 0x3
	buffer_load_dword v1, v4, s[0:3], 0 offen
	buffer_load_dword v2, v4, s[0:3], 0 offen offset:4
	buffer_load_dword v3, v4, s[0:3], 0 offen offset:8
	;; [unrolled: 1-line block ×3, first 2 shown]
	s_waitcnt vmcnt(0)
	ds_write_b128 v5, v[1:4]
	s_waitcnt lgkmcnt(0)
	s_barrier
	buffer_gl0_inv
	v_cmpx_gt_u32_e32 40, v0
	s_cbranch_execz .LBB50_175
; %bb.172:
	v_mov_b32_e32 v1, 0
	v_mov_b32_e32 v3, 0
	v_add_nc_u32_e32 v7, -1, v0
	v_add_nc_u32_e32 v8, 0x330, v203
	v_mov_b32_e32 v2, 0
	v_mov_b32_e32 v4, 0
	v_add_nc_u32_e32 v9, 16, v203
	s_mov_b32 s5, 0
	.p2align	6
.LBB50_173:                             ; =>This Inner Loop Header: Depth=1
	s_clause 0x3
	buffer_load_dword v14, v9, s[0:3], 0 offen offset:8
	buffer_load_dword v15, v9, s[0:3], 0 offen offset:12
	buffer_load_dword v16, v9, s[0:3], 0 offen
	buffer_load_dword v17, v9, s[0:3], 0 offen offset:4
	ds_read_b128 v[10:13], v8
	v_add_nc_u32_e32 v7, 1, v7
	v_add_nc_u32_e32 v8, 16, v8
	;; [unrolled: 1-line block ×3, first 2 shown]
	v_cmp_lt_u32_e32 vcc_lo, 38, v7
	s_or_b32 s5, vcc_lo, s5
	s_waitcnt vmcnt(2) lgkmcnt(0)
	v_mul_f64 v[18:19], v[12:13], v[14:15]
	v_mul_f64 v[14:15], v[10:11], v[14:15]
	s_waitcnt vmcnt(0)
	v_fma_f64 v[10:11], v[10:11], v[16:17], -v[18:19]
	v_fma_f64 v[12:13], v[12:13], v[16:17], v[14:15]
	v_add_f64 v[3:4], v[3:4], v[10:11]
	v_add_f64 v[1:2], v[1:2], v[12:13]
	s_andn2_b32 exec_lo, exec_lo, s5
	s_cbranch_execnz .LBB50_173
; %bb.174:
	s_or_b32 exec_lo, exec_lo, s5
	v_mov_b32_e32 v7, 0
	ds_read_b128 v[7:10], v7 offset:640
	s_waitcnt lgkmcnt(0)
	v_mul_f64 v[11:12], v[1:2], v[9:10]
	v_mul_f64 v[9:10], v[3:4], v[9:10]
	v_fma_f64 v[3:4], v[3:4], v[7:8], -v[11:12]
	v_fma_f64 v[1:2], v[1:2], v[7:8], v[9:10]
	buffer_store_dword v4, off, s[0:3], 0 offset:660
	buffer_store_dword v3, off, s[0:3], 0 offset:656
	;; [unrolled: 1-line block ×4, first 2 shown]
.LBB50_175:
	s_or_b32 exec_lo, exec_lo, s4
	v_mov_b32_e32 v4, s19
	s_waitcnt_vscnt null, 0x0
	s_barrier
	buffer_gl0_inv
	s_mov_b32 s4, exec_lo
	s_clause 0x3
	buffer_load_dword v1, v4, s[0:3], 0 offen
	buffer_load_dword v2, v4, s[0:3], 0 offen offset:4
	buffer_load_dword v3, v4, s[0:3], 0 offen offset:8
	;; [unrolled: 1-line block ×3, first 2 shown]
	s_waitcnt vmcnt(0)
	ds_write_b128 v5, v[1:4]
	s_waitcnt lgkmcnt(0)
	s_barrier
	buffer_gl0_inv
	v_cmpx_gt_u32_e32 41, v0
	s_cbranch_execz .LBB50_179
; %bb.176:
	v_mov_b32_e32 v1, 0
	v_mov_b32_e32 v3, 0
	v_add_nc_u32_e32 v7, -1, v0
	v_add_nc_u32_e32 v8, 0x330, v203
	v_mov_b32_e32 v2, 0
	v_mov_b32_e32 v4, 0
	v_add_nc_u32_e32 v9, 16, v203
	s_mov_b32 s5, 0
	.p2align	6
.LBB50_177:                             ; =>This Inner Loop Header: Depth=1
	s_clause 0x3
	buffer_load_dword v14, v9, s[0:3], 0 offen offset:8
	buffer_load_dword v15, v9, s[0:3], 0 offen offset:12
	buffer_load_dword v16, v9, s[0:3], 0 offen
	buffer_load_dword v17, v9, s[0:3], 0 offen offset:4
	ds_read_b128 v[10:13], v8
	v_add_nc_u32_e32 v7, 1, v7
	v_add_nc_u32_e32 v8, 16, v8
	;; [unrolled: 1-line block ×3, first 2 shown]
	v_cmp_lt_u32_e32 vcc_lo, 39, v7
	s_or_b32 s5, vcc_lo, s5
	s_waitcnt vmcnt(2) lgkmcnt(0)
	v_mul_f64 v[18:19], v[12:13], v[14:15]
	v_mul_f64 v[14:15], v[10:11], v[14:15]
	s_waitcnt vmcnt(0)
	v_fma_f64 v[10:11], v[10:11], v[16:17], -v[18:19]
	v_fma_f64 v[12:13], v[12:13], v[16:17], v[14:15]
	v_add_f64 v[3:4], v[3:4], v[10:11]
	v_add_f64 v[1:2], v[1:2], v[12:13]
	s_andn2_b32 exec_lo, exec_lo, s5
	s_cbranch_execnz .LBB50_177
; %bb.178:
	s_or_b32 exec_lo, exec_lo, s5
	v_mov_b32_e32 v7, 0
	ds_read_b128 v[7:10], v7 offset:656
	s_waitcnt lgkmcnt(0)
	v_mul_f64 v[11:12], v[1:2], v[9:10]
	v_mul_f64 v[9:10], v[3:4], v[9:10]
	v_fma_f64 v[3:4], v[3:4], v[7:8], -v[11:12]
	v_fma_f64 v[1:2], v[1:2], v[7:8], v[9:10]
	buffer_store_dword v4, off, s[0:3], 0 offset:676
	buffer_store_dword v3, off, s[0:3], 0 offset:672
	;; [unrolled: 1-line block ×4, first 2 shown]
.LBB50_179:
	s_or_b32 exec_lo, exec_lo, s4
	v_mov_b32_e32 v4, s18
	s_waitcnt_vscnt null, 0x0
	s_barrier
	buffer_gl0_inv
	s_mov_b32 s4, exec_lo
	s_clause 0x3
	buffer_load_dword v1, v4, s[0:3], 0 offen
	buffer_load_dword v2, v4, s[0:3], 0 offen offset:4
	buffer_load_dword v3, v4, s[0:3], 0 offen offset:8
	buffer_load_dword v4, v4, s[0:3], 0 offen offset:12
	s_waitcnt vmcnt(0)
	ds_write_b128 v5, v[1:4]
	s_waitcnt lgkmcnt(0)
	s_barrier
	buffer_gl0_inv
	v_cmpx_gt_u32_e32 42, v0
	s_cbranch_execz .LBB50_183
; %bb.180:
	v_mov_b32_e32 v1, 0
	v_mov_b32_e32 v3, 0
	v_add_nc_u32_e32 v7, -1, v0
	v_add_nc_u32_e32 v8, 0x330, v203
	v_mov_b32_e32 v2, 0
	v_mov_b32_e32 v4, 0
	v_add_nc_u32_e32 v9, 16, v203
	s_mov_b32 s5, 0
	.p2align	6
.LBB50_181:                             ; =>This Inner Loop Header: Depth=1
	s_clause 0x3
	buffer_load_dword v14, v9, s[0:3], 0 offen offset:8
	buffer_load_dword v15, v9, s[0:3], 0 offen offset:12
	buffer_load_dword v16, v9, s[0:3], 0 offen
	buffer_load_dword v17, v9, s[0:3], 0 offen offset:4
	ds_read_b128 v[10:13], v8
	v_add_nc_u32_e32 v7, 1, v7
	v_add_nc_u32_e32 v8, 16, v8
	;; [unrolled: 1-line block ×3, first 2 shown]
	v_cmp_lt_u32_e32 vcc_lo, 40, v7
	s_or_b32 s5, vcc_lo, s5
	s_waitcnt vmcnt(2) lgkmcnt(0)
	v_mul_f64 v[18:19], v[12:13], v[14:15]
	v_mul_f64 v[14:15], v[10:11], v[14:15]
	s_waitcnt vmcnt(0)
	v_fma_f64 v[10:11], v[10:11], v[16:17], -v[18:19]
	v_fma_f64 v[12:13], v[12:13], v[16:17], v[14:15]
	v_add_f64 v[3:4], v[3:4], v[10:11]
	v_add_f64 v[1:2], v[1:2], v[12:13]
	s_andn2_b32 exec_lo, exec_lo, s5
	s_cbranch_execnz .LBB50_181
; %bb.182:
	s_or_b32 exec_lo, exec_lo, s5
	v_mov_b32_e32 v7, 0
	ds_read_b128 v[7:10], v7 offset:672
	s_waitcnt lgkmcnt(0)
	v_mul_f64 v[11:12], v[1:2], v[9:10]
	v_mul_f64 v[9:10], v[3:4], v[9:10]
	v_fma_f64 v[3:4], v[3:4], v[7:8], -v[11:12]
	v_fma_f64 v[1:2], v[1:2], v[7:8], v[9:10]
	buffer_store_dword v4, off, s[0:3], 0 offset:692
	buffer_store_dword v3, off, s[0:3], 0 offset:688
	;; [unrolled: 1-line block ×4, first 2 shown]
.LBB50_183:
	s_or_b32 exec_lo, exec_lo, s4
	v_mov_b32_e32 v4, s17
	s_waitcnt_vscnt null, 0x0
	s_barrier
	buffer_gl0_inv
	s_mov_b32 s4, exec_lo
	s_clause 0x3
	buffer_load_dword v1, v4, s[0:3], 0 offen
	buffer_load_dword v2, v4, s[0:3], 0 offen offset:4
	buffer_load_dword v3, v4, s[0:3], 0 offen offset:8
	;; [unrolled: 1-line block ×3, first 2 shown]
	s_waitcnt vmcnt(0)
	ds_write_b128 v5, v[1:4]
	s_waitcnt lgkmcnt(0)
	s_barrier
	buffer_gl0_inv
	v_cmpx_gt_u32_e32 43, v0
	s_cbranch_execz .LBB50_187
; %bb.184:
	v_mov_b32_e32 v1, 0
	v_mov_b32_e32 v3, 0
	v_add_nc_u32_e32 v7, -1, v0
	v_add_nc_u32_e32 v8, 0x330, v203
	v_mov_b32_e32 v2, 0
	v_mov_b32_e32 v4, 0
	v_add_nc_u32_e32 v9, 16, v203
	s_mov_b32 s5, 0
	.p2align	6
.LBB50_185:                             ; =>This Inner Loop Header: Depth=1
	s_clause 0x3
	buffer_load_dword v14, v9, s[0:3], 0 offen offset:8
	buffer_load_dword v15, v9, s[0:3], 0 offen offset:12
	buffer_load_dword v16, v9, s[0:3], 0 offen
	buffer_load_dword v17, v9, s[0:3], 0 offen offset:4
	ds_read_b128 v[10:13], v8
	v_add_nc_u32_e32 v7, 1, v7
	v_add_nc_u32_e32 v8, 16, v8
	;; [unrolled: 1-line block ×3, first 2 shown]
	v_cmp_lt_u32_e32 vcc_lo, 41, v7
	s_or_b32 s5, vcc_lo, s5
	s_waitcnt vmcnt(2) lgkmcnt(0)
	v_mul_f64 v[18:19], v[12:13], v[14:15]
	v_mul_f64 v[14:15], v[10:11], v[14:15]
	s_waitcnt vmcnt(0)
	v_fma_f64 v[10:11], v[10:11], v[16:17], -v[18:19]
	v_fma_f64 v[12:13], v[12:13], v[16:17], v[14:15]
	v_add_f64 v[3:4], v[3:4], v[10:11]
	v_add_f64 v[1:2], v[1:2], v[12:13]
	s_andn2_b32 exec_lo, exec_lo, s5
	s_cbranch_execnz .LBB50_185
; %bb.186:
	s_or_b32 exec_lo, exec_lo, s5
	v_mov_b32_e32 v7, 0
	ds_read_b128 v[7:10], v7 offset:688
	s_waitcnt lgkmcnt(0)
	v_mul_f64 v[11:12], v[1:2], v[9:10]
	v_mul_f64 v[9:10], v[3:4], v[9:10]
	v_fma_f64 v[3:4], v[3:4], v[7:8], -v[11:12]
	v_fma_f64 v[1:2], v[1:2], v[7:8], v[9:10]
	buffer_store_dword v4, off, s[0:3], 0 offset:708
	buffer_store_dword v3, off, s[0:3], 0 offset:704
	;; [unrolled: 1-line block ×4, first 2 shown]
.LBB50_187:
	s_or_b32 exec_lo, exec_lo, s4
	v_mov_b32_e32 v4, s16
	s_waitcnt_vscnt null, 0x0
	s_barrier
	buffer_gl0_inv
	s_mov_b32 s4, exec_lo
	s_clause 0x3
	buffer_load_dword v1, v4, s[0:3], 0 offen
	buffer_load_dword v2, v4, s[0:3], 0 offen offset:4
	buffer_load_dword v3, v4, s[0:3], 0 offen offset:8
	;; [unrolled: 1-line block ×3, first 2 shown]
	s_waitcnt vmcnt(0)
	ds_write_b128 v5, v[1:4]
	s_waitcnt lgkmcnt(0)
	s_barrier
	buffer_gl0_inv
	v_cmpx_gt_u32_e32 44, v0
	s_cbranch_execz .LBB50_191
; %bb.188:
	v_mov_b32_e32 v1, 0
	v_mov_b32_e32 v3, 0
	v_add_nc_u32_e32 v7, -1, v0
	v_add_nc_u32_e32 v8, 0x330, v203
	v_mov_b32_e32 v2, 0
	v_mov_b32_e32 v4, 0
	v_add_nc_u32_e32 v9, 16, v203
	s_mov_b32 s5, 0
	.p2align	6
.LBB50_189:                             ; =>This Inner Loop Header: Depth=1
	s_clause 0x3
	buffer_load_dword v14, v9, s[0:3], 0 offen offset:8
	buffer_load_dword v15, v9, s[0:3], 0 offen offset:12
	buffer_load_dword v16, v9, s[0:3], 0 offen
	buffer_load_dword v17, v9, s[0:3], 0 offen offset:4
	ds_read_b128 v[10:13], v8
	v_add_nc_u32_e32 v7, 1, v7
	v_add_nc_u32_e32 v8, 16, v8
	;; [unrolled: 1-line block ×3, first 2 shown]
	v_cmp_lt_u32_e32 vcc_lo, 42, v7
	s_or_b32 s5, vcc_lo, s5
	s_waitcnt vmcnt(2) lgkmcnt(0)
	v_mul_f64 v[18:19], v[12:13], v[14:15]
	v_mul_f64 v[14:15], v[10:11], v[14:15]
	s_waitcnt vmcnt(0)
	v_fma_f64 v[10:11], v[10:11], v[16:17], -v[18:19]
	v_fma_f64 v[12:13], v[12:13], v[16:17], v[14:15]
	v_add_f64 v[3:4], v[3:4], v[10:11]
	v_add_f64 v[1:2], v[1:2], v[12:13]
	s_andn2_b32 exec_lo, exec_lo, s5
	s_cbranch_execnz .LBB50_189
; %bb.190:
	s_or_b32 exec_lo, exec_lo, s5
	v_mov_b32_e32 v7, 0
	ds_read_b128 v[7:10], v7 offset:704
	s_waitcnt lgkmcnt(0)
	v_mul_f64 v[11:12], v[1:2], v[9:10]
	v_mul_f64 v[9:10], v[3:4], v[9:10]
	v_fma_f64 v[3:4], v[3:4], v[7:8], -v[11:12]
	v_fma_f64 v[1:2], v[1:2], v[7:8], v[9:10]
	buffer_store_dword v4, off, s[0:3], 0 offset:724
	buffer_store_dword v3, off, s[0:3], 0 offset:720
	;; [unrolled: 1-line block ×4, first 2 shown]
.LBB50_191:
	s_or_b32 exec_lo, exec_lo, s4
	v_mov_b32_e32 v4, s15
	s_waitcnt_vscnt null, 0x0
	s_barrier
	buffer_gl0_inv
	s_mov_b32 s4, exec_lo
	s_clause 0x3
	buffer_load_dword v1, v4, s[0:3], 0 offen
	buffer_load_dword v2, v4, s[0:3], 0 offen offset:4
	buffer_load_dword v3, v4, s[0:3], 0 offen offset:8
	;; [unrolled: 1-line block ×3, first 2 shown]
	s_waitcnt vmcnt(0)
	ds_write_b128 v5, v[1:4]
	s_waitcnt lgkmcnt(0)
	s_barrier
	buffer_gl0_inv
	v_cmpx_gt_u32_e32 45, v0
	s_cbranch_execz .LBB50_195
; %bb.192:
	v_mov_b32_e32 v1, 0
	v_mov_b32_e32 v3, 0
	v_add_nc_u32_e32 v7, -1, v0
	v_add_nc_u32_e32 v8, 0x330, v203
	v_mov_b32_e32 v2, 0
	v_mov_b32_e32 v4, 0
	v_add_nc_u32_e32 v9, 16, v203
	s_mov_b32 s5, 0
	.p2align	6
.LBB50_193:                             ; =>This Inner Loop Header: Depth=1
	s_clause 0x3
	buffer_load_dword v14, v9, s[0:3], 0 offen offset:8
	buffer_load_dword v15, v9, s[0:3], 0 offen offset:12
	buffer_load_dword v16, v9, s[0:3], 0 offen
	buffer_load_dword v17, v9, s[0:3], 0 offen offset:4
	ds_read_b128 v[10:13], v8
	v_add_nc_u32_e32 v7, 1, v7
	v_add_nc_u32_e32 v8, 16, v8
	;; [unrolled: 1-line block ×3, first 2 shown]
	v_cmp_lt_u32_e32 vcc_lo, 43, v7
	s_or_b32 s5, vcc_lo, s5
	s_waitcnt vmcnt(2) lgkmcnt(0)
	v_mul_f64 v[18:19], v[12:13], v[14:15]
	v_mul_f64 v[14:15], v[10:11], v[14:15]
	s_waitcnt vmcnt(0)
	v_fma_f64 v[10:11], v[10:11], v[16:17], -v[18:19]
	v_fma_f64 v[12:13], v[12:13], v[16:17], v[14:15]
	v_add_f64 v[3:4], v[3:4], v[10:11]
	v_add_f64 v[1:2], v[1:2], v[12:13]
	s_andn2_b32 exec_lo, exec_lo, s5
	s_cbranch_execnz .LBB50_193
; %bb.194:
	s_or_b32 exec_lo, exec_lo, s5
	v_mov_b32_e32 v7, 0
	ds_read_b128 v[7:10], v7 offset:720
	s_waitcnt lgkmcnt(0)
	v_mul_f64 v[11:12], v[1:2], v[9:10]
	v_mul_f64 v[9:10], v[3:4], v[9:10]
	v_fma_f64 v[3:4], v[3:4], v[7:8], -v[11:12]
	v_fma_f64 v[1:2], v[1:2], v[7:8], v[9:10]
	buffer_store_dword v4, off, s[0:3], 0 offset:740
	buffer_store_dword v3, off, s[0:3], 0 offset:736
	;; [unrolled: 1-line block ×4, first 2 shown]
.LBB50_195:
	s_or_b32 exec_lo, exec_lo, s4
	v_mov_b32_e32 v4, s14
	s_waitcnt_vscnt null, 0x0
	s_barrier
	buffer_gl0_inv
	s_mov_b32 s4, exec_lo
	s_clause 0x3
	buffer_load_dword v1, v4, s[0:3], 0 offen
	buffer_load_dword v2, v4, s[0:3], 0 offen offset:4
	buffer_load_dword v3, v4, s[0:3], 0 offen offset:8
	;; [unrolled: 1-line block ×3, first 2 shown]
	s_waitcnt vmcnt(0)
	ds_write_b128 v5, v[1:4]
	s_waitcnt lgkmcnt(0)
	s_barrier
	buffer_gl0_inv
	v_cmpx_gt_u32_e32 46, v0
	s_cbranch_execz .LBB50_199
; %bb.196:
	v_mov_b32_e32 v1, 0
	v_mov_b32_e32 v3, 0
	v_add_nc_u32_e32 v7, -1, v0
	v_add_nc_u32_e32 v8, 0x330, v203
	v_mov_b32_e32 v2, 0
	v_mov_b32_e32 v4, 0
	v_add_nc_u32_e32 v9, 16, v203
	s_mov_b32 s5, 0
	.p2align	6
.LBB50_197:                             ; =>This Inner Loop Header: Depth=1
	s_clause 0x3
	buffer_load_dword v14, v9, s[0:3], 0 offen offset:8
	buffer_load_dword v15, v9, s[0:3], 0 offen offset:12
	buffer_load_dword v16, v9, s[0:3], 0 offen
	buffer_load_dword v17, v9, s[0:3], 0 offen offset:4
	ds_read_b128 v[10:13], v8
	v_add_nc_u32_e32 v7, 1, v7
	v_add_nc_u32_e32 v8, 16, v8
	;; [unrolled: 1-line block ×3, first 2 shown]
	v_cmp_lt_u32_e32 vcc_lo, 44, v7
	s_or_b32 s5, vcc_lo, s5
	s_waitcnt vmcnt(2) lgkmcnt(0)
	v_mul_f64 v[18:19], v[12:13], v[14:15]
	v_mul_f64 v[14:15], v[10:11], v[14:15]
	s_waitcnt vmcnt(0)
	v_fma_f64 v[10:11], v[10:11], v[16:17], -v[18:19]
	v_fma_f64 v[12:13], v[12:13], v[16:17], v[14:15]
	v_add_f64 v[3:4], v[3:4], v[10:11]
	v_add_f64 v[1:2], v[1:2], v[12:13]
	s_andn2_b32 exec_lo, exec_lo, s5
	s_cbranch_execnz .LBB50_197
; %bb.198:
	s_or_b32 exec_lo, exec_lo, s5
	v_mov_b32_e32 v7, 0
	ds_read_b128 v[7:10], v7 offset:736
	s_waitcnt lgkmcnt(0)
	v_mul_f64 v[11:12], v[1:2], v[9:10]
	v_mul_f64 v[9:10], v[3:4], v[9:10]
	v_fma_f64 v[3:4], v[3:4], v[7:8], -v[11:12]
	v_fma_f64 v[1:2], v[1:2], v[7:8], v[9:10]
	buffer_store_dword v4, off, s[0:3], 0 offset:756
	buffer_store_dword v3, off, s[0:3], 0 offset:752
	;; [unrolled: 1-line block ×4, first 2 shown]
.LBB50_199:
	s_or_b32 exec_lo, exec_lo, s4
	v_mov_b32_e32 v4, s13
	s_waitcnt_vscnt null, 0x0
	s_barrier
	buffer_gl0_inv
	s_mov_b32 s4, exec_lo
	s_clause 0x3
	buffer_load_dword v1, v4, s[0:3], 0 offen
	buffer_load_dword v2, v4, s[0:3], 0 offen offset:4
	buffer_load_dword v3, v4, s[0:3], 0 offen offset:8
	;; [unrolled: 1-line block ×3, first 2 shown]
	s_waitcnt vmcnt(0)
	ds_write_b128 v5, v[1:4]
	s_waitcnt lgkmcnt(0)
	s_barrier
	buffer_gl0_inv
	v_cmpx_gt_u32_e32 47, v0
	s_cbranch_execz .LBB50_203
; %bb.200:
	v_mov_b32_e32 v1, 0
	v_mov_b32_e32 v3, 0
	v_add_nc_u32_e32 v7, -1, v0
	v_add_nc_u32_e32 v8, 0x330, v203
	v_mov_b32_e32 v2, 0
	v_mov_b32_e32 v4, 0
	v_add_nc_u32_e32 v9, 16, v203
	s_mov_b32 s5, 0
	.p2align	6
.LBB50_201:                             ; =>This Inner Loop Header: Depth=1
	s_clause 0x3
	buffer_load_dword v14, v9, s[0:3], 0 offen offset:8
	buffer_load_dword v15, v9, s[0:3], 0 offen offset:12
	buffer_load_dword v16, v9, s[0:3], 0 offen
	buffer_load_dword v17, v9, s[0:3], 0 offen offset:4
	ds_read_b128 v[10:13], v8
	v_add_nc_u32_e32 v7, 1, v7
	v_add_nc_u32_e32 v8, 16, v8
	;; [unrolled: 1-line block ×3, first 2 shown]
	v_cmp_lt_u32_e32 vcc_lo, 45, v7
	s_or_b32 s5, vcc_lo, s5
	s_waitcnt vmcnt(2) lgkmcnt(0)
	v_mul_f64 v[18:19], v[12:13], v[14:15]
	v_mul_f64 v[14:15], v[10:11], v[14:15]
	s_waitcnt vmcnt(0)
	v_fma_f64 v[10:11], v[10:11], v[16:17], -v[18:19]
	v_fma_f64 v[12:13], v[12:13], v[16:17], v[14:15]
	v_add_f64 v[3:4], v[3:4], v[10:11]
	v_add_f64 v[1:2], v[1:2], v[12:13]
	s_andn2_b32 exec_lo, exec_lo, s5
	s_cbranch_execnz .LBB50_201
; %bb.202:
	s_or_b32 exec_lo, exec_lo, s5
	v_mov_b32_e32 v7, 0
	ds_read_b128 v[7:10], v7 offset:752
	s_waitcnt lgkmcnt(0)
	v_mul_f64 v[11:12], v[1:2], v[9:10]
	v_mul_f64 v[9:10], v[3:4], v[9:10]
	v_fma_f64 v[3:4], v[3:4], v[7:8], -v[11:12]
	v_fma_f64 v[1:2], v[1:2], v[7:8], v[9:10]
	buffer_store_dword v4, off, s[0:3], 0 offset:772
	buffer_store_dword v3, off, s[0:3], 0 offset:768
	;; [unrolled: 1-line block ×4, first 2 shown]
.LBB50_203:
	s_or_b32 exec_lo, exec_lo, s4
	v_mov_b32_e32 v4, s12
	s_waitcnt_vscnt null, 0x0
	s_barrier
	buffer_gl0_inv
	s_mov_b32 s4, exec_lo
	s_clause 0x3
	buffer_load_dword v1, v4, s[0:3], 0 offen
	buffer_load_dword v2, v4, s[0:3], 0 offen offset:4
	buffer_load_dword v3, v4, s[0:3], 0 offen offset:8
	;; [unrolled: 1-line block ×3, first 2 shown]
	s_waitcnt vmcnt(0)
	ds_write_b128 v5, v[1:4]
	s_waitcnt lgkmcnt(0)
	s_barrier
	buffer_gl0_inv
	v_cmpx_gt_u32_e32 48, v0
	s_cbranch_execz .LBB50_207
; %bb.204:
	v_mov_b32_e32 v1, 0
	v_mov_b32_e32 v3, 0
	v_add_nc_u32_e32 v7, -1, v0
	v_add_nc_u32_e32 v8, 0x330, v203
	v_mov_b32_e32 v2, 0
	v_mov_b32_e32 v4, 0
	v_add_nc_u32_e32 v9, 16, v203
	s_mov_b32 s5, 0
	.p2align	6
.LBB50_205:                             ; =>This Inner Loop Header: Depth=1
	s_clause 0x3
	buffer_load_dword v14, v9, s[0:3], 0 offen offset:8
	buffer_load_dword v15, v9, s[0:3], 0 offen offset:12
	buffer_load_dword v16, v9, s[0:3], 0 offen
	buffer_load_dword v17, v9, s[0:3], 0 offen offset:4
	ds_read_b128 v[10:13], v8
	v_add_nc_u32_e32 v7, 1, v7
	v_add_nc_u32_e32 v8, 16, v8
	;; [unrolled: 1-line block ×3, first 2 shown]
	v_cmp_lt_u32_e32 vcc_lo, 46, v7
	s_or_b32 s5, vcc_lo, s5
	s_waitcnt vmcnt(2) lgkmcnt(0)
	v_mul_f64 v[18:19], v[12:13], v[14:15]
	v_mul_f64 v[14:15], v[10:11], v[14:15]
	s_waitcnt vmcnt(0)
	v_fma_f64 v[10:11], v[10:11], v[16:17], -v[18:19]
	v_fma_f64 v[12:13], v[12:13], v[16:17], v[14:15]
	v_add_f64 v[3:4], v[3:4], v[10:11]
	v_add_f64 v[1:2], v[1:2], v[12:13]
	s_andn2_b32 exec_lo, exec_lo, s5
	s_cbranch_execnz .LBB50_205
; %bb.206:
	s_or_b32 exec_lo, exec_lo, s5
	v_mov_b32_e32 v7, 0
	ds_read_b128 v[7:10], v7 offset:768
	s_waitcnt lgkmcnt(0)
	v_mul_f64 v[11:12], v[1:2], v[9:10]
	v_mul_f64 v[9:10], v[3:4], v[9:10]
	v_fma_f64 v[3:4], v[3:4], v[7:8], -v[11:12]
	v_fma_f64 v[1:2], v[1:2], v[7:8], v[9:10]
	buffer_store_dword v4, off, s[0:3], 0 offset:788
	buffer_store_dword v3, off, s[0:3], 0 offset:784
	buffer_store_dword v2, off, s[0:3], 0 offset:796
	buffer_store_dword v1, off, s[0:3], 0 offset:792
.LBB50_207:
	s_or_b32 exec_lo, exec_lo, s4
	v_mov_b32_e32 v4, s9
	s_waitcnt_vscnt null, 0x0
	s_barrier
	buffer_gl0_inv
	s_mov_b32 s4, exec_lo
	s_clause 0x3
	buffer_load_dword v1, v4, s[0:3], 0 offen
	buffer_load_dword v2, v4, s[0:3], 0 offen offset:4
	buffer_load_dword v3, v4, s[0:3], 0 offen offset:8
	;; [unrolled: 1-line block ×3, first 2 shown]
	s_waitcnt vmcnt(0)
	ds_write_b128 v5, v[1:4]
	s_waitcnt lgkmcnt(0)
	s_barrier
	buffer_gl0_inv
	v_cmpx_gt_u32_e32 49, v0
	s_cbranch_execz .LBB50_211
; %bb.208:
	v_mov_b32_e32 v1, 0
	v_mov_b32_e32 v3, 0
	v_add_nc_u32_e32 v7, -1, v0
	v_add_nc_u32_e32 v8, 0x330, v203
	v_mov_b32_e32 v2, 0
	v_mov_b32_e32 v4, 0
	v_add_nc_u32_e32 v9, 16, v203
	s_mov_b32 s5, 0
	.p2align	6
.LBB50_209:                             ; =>This Inner Loop Header: Depth=1
	s_clause 0x3
	buffer_load_dword v14, v9, s[0:3], 0 offen offset:8
	buffer_load_dword v15, v9, s[0:3], 0 offen offset:12
	buffer_load_dword v16, v9, s[0:3], 0 offen
	buffer_load_dword v17, v9, s[0:3], 0 offen offset:4
	ds_read_b128 v[10:13], v8
	v_add_nc_u32_e32 v7, 1, v7
	v_add_nc_u32_e32 v8, 16, v8
	;; [unrolled: 1-line block ×3, first 2 shown]
	v_cmp_lt_u32_e32 vcc_lo, 47, v7
	s_or_b32 s5, vcc_lo, s5
	s_waitcnt vmcnt(2) lgkmcnt(0)
	v_mul_f64 v[18:19], v[12:13], v[14:15]
	v_mul_f64 v[14:15], v[10:11], v[14:15]
	s_waitcnt vmcnt(0)
	v_fma_f64 v[10:11], v[10:11], v[16:17], -v[18:19]
	v_fma_f64 v[12:13], v[12:13], v[16:17], v[14:15]
	v_add_f64 v[3:4], v[3:4], v[10:11]
	v_add_f64 v[1:2], v[1:2], v[12:13]
	s_andn2_b32 exec_lo, exec_lo, s5
	s_cbranch_execnz .LBB50_209
; %bb.210:
	s_or_b32 exec_lo, exec_lo, s5
	v_mov_b32_e32 v7, 0
	ds_read_b128 v[7:10], v7 offset:784
	s_waitcnt lgkmcnt(0)
	v_mul_f64 v[11:12], v[1:2], v[9:10]
	v_mul_f64 v[9:10], v[3:4], v[9:10]
	v_fma_f64 v[3:4], v[3:4], v[7:8], -v[11:12]
	v_fma_f64 v[1:2], v[1:2], v[7:8], v[9:10]
	buffer_store_dword v4, off, s[0:3], 0 offset:804
	buffer_store_dword v3, off, s[0:3], 0 offset:800
	;; [unrolled: 1-line block ×4, first 2 shown]
.LBB50_211:
	s_or_b32 exec_lo, exec_lo, s4
	v_mov_b32_e32 v4, s8
	s_waitcnt_vscnt null, 0x0
	s_barrier
	buffer_gl0_inv
	s_mov_b32 s4, exec_lo
	s_clause 0x3
	buffer_load_dword v1, v4, s[0:3], 0 offen
	buffer_load_dword v2, v4, s[0:3], 0 offen offset:4
	buffer_load_dword v3, v4, s[0:3], 0 offen offset:8
	;; [unrolled: 1-line block ×3, first 2 shown]
	s_waitcnt vmcnt(0)
	ds_write_b128 v5, v[1:4]
	s_waitcnt lgkmcnt(0)
	s_barrier
	buffer_gl0_inv
	v_cmpx_ne_u32_e32 50, v0
	s_cbranch_execz .LBB50_215
; %bb.212:
	v_mov_b32_e32 v1, 0
	v_mov_b32_e32 v3, 0
	;; [unrolled: 1-line block ×4, first 2 shown]
	v_add_nc_u32_e32 v7, 16, v203
	s_mov_b32 s5, 0
	.p2align	6
.LBB50_213:                             ; =>This Inner Loop Header: Depth=1
	s_clause 0x3
	buffer_load_dword v12, v7, s[0:3], 0 offen offset:8
	buffer_load_dword v13, v7, s[0:3], 0 offen offset:12
	buffer_load_dword v14, v7, s[0:3], 0 offen
	buffer_load_dword v15, v7, s[0:3], 0 offen offset:4
	ds_read_b128 v[8:11], v5
	v_add_nc_u32_e32 v6, 1, v6
	v_add_nc_u32_e32 v5, 16, v5
	;; [unrolled: 1-line block ×3, first 2 shown]
	v_cmp_lt_u32_e32 vcc_lo, 48, v6
	s_or_b32 s5, vcc_lo, s5
	s_waitcnt vmcnt(2) lgkmcnt(0)
	v_mul_f64 v[16:17], v[10:11], v[12:13]
	v_mul_f64 v[12:13], v[8:9], v[12:13]
	s_waitcnt vmcnt(0)
	v_fma_f64 v[8:9], v[8:9], v[14:15], -v[16:17]
	v_fma_f64 v[10:11], v[10:11], v[14:15], v[12:13]
	v_add_f64 v[3:4], v[3:4], v[8:9]
	v_add_f64 v[1:2], v[1:2], v[10:11]
	s_andn2_b32 exec_lo, exec_lo, s5
	s_cbranch_execnz .LBB50_213
; %bb.214:
	s_or_b32 exec_lo, exec_lo, s5
	v_mov_b32_e32 v5, 0
	ds_read_b128 v[5:8], v5 offset:800
	s_waitcnt lgkmcnt(0)
	v_mul_f64 v[9:10], v[1:2], v[7:8]
	v_mul_f64 v[7:8], v[3:4], v[7:8]
	v_fma_f64 v[3:4], v[3:4], v[5:6], -v[9:10]
	v_fma_f64 v[1:2], v[1:2], v[5:6], v[7:8]
	buffer_store_dword v4, off, s[0:3], 0 offset:820
	buffer_store_dword v3, off, s[0:3], 0 offset:816
	;; [unrolled: 1-line block ×4, first 2 shown]
.LBB50_215:
	s_or_b32 exec_lo, exec_lo, s4
	s_mov_b32 s5, -1
	s_waitcnt_vscnt null, 0x0
	s_barrier
	buffer_gl0_inv
.LBB50_216:
	s_and_b32 vcc_lo, exec_lo, s5
	s_cbranch_vccz .LBB50_218
; %bb.217:
	s_lshl_b64 s[4:5], s[6:7], 2
	v_mov_b32_e32 v1, 0
	s_add_u32 s4, s10, s4
	s_addc_u32 s5, s11, s5
	global_load_dword v1, v1, s[4:5]
	s_waitcnt vmcnt(0)
	v_cmp_ne_u32_e32 vcc_lo, 0, v1
	s_cbranch_vccz .LBB50_219
.LBB50_218:
	s_endpgm
.LBB50_219:
	v_lshl_add_u32 v85, v0, 4, 0x330
	s_mov_b32 s4, exec_lo
	v_cmpx_eq_u32_e32 50, v0
	s_cbranch_execz .LBB50_221
; %bb.220:
	v_mov_b32_e32 v4, s9
	v_mov_b32_e32 v5, 0
	s_clause 0x3
	buffer_load_dword v1, v4, s[0:3], 0 offen
	buffer_load_dword v2, v4, s[0:3], 0 offen offset:4
	buffer_load_dword v3, v4, s[0:3], 0 offen offset:8
	;; [unrolled: 1-line block ×3, first 2 shown]
	buffer_store_dword v5, off, s[0:3], 0 offset:800
	buffer_store_dword v5, off, s[0:3], 0 offset:804
	;; [unrolled: 1-line block ×4, first 2 shown]
	s_waitcnt vmcnt(0)
	ds_write_b128 v85, v[1:4]
.LBB50_221:
	s_or_b32 exec_lo, exec_lo, s4
	s_waitcnt lgkmcnt(0)
	s_waitcnt_vscnt null, 0x0
	s_barrier
	buffer_gl0_inv
	s_clause 0x7
	buffer_load_dword v6, off, s[0:3], 0 offset:824
	buffer_load_dword v7, off, s[0:3], 0 offset:828
	;; [unrolled: 1-line block ×8, first 2 shown]
	v_mov_b32_e32 v1, 0
	s_mov_b32 s4, exec_lo
	ds_read_b128 v[2:5], v1 offset:1616
	s_waitcnt vmcnt(6) lgkmcnt(0)
	v_mul_f64 v[14:15], v[4:5], v[6:7]
	v_mul_f64 v[6:7], v[2:3], v[6:7]
	s_waitcnt vmcnt(4)
	v_fma_f64 v[2:3], v[2:3], v[8:9], -v[14:15]
	v_fma_f64 v[4:5], v[4:5], v[8:9], v[6:7]
	v_add_f64 v[2:3], v[2:3], 0
	v_add_f64 v[4:5], v[4:5], 0
	s_waitcnt vmcnt(2)
	v_add_f64 v[2:3], v[10:11], -v[2:3]
	s_waitcnt vmcnt(0)
	v_add_f64 v[4:5], v[12:13], -v[4:5]
	buffer_store_dword v2, off, s[0:3], 0 offset:800
	buffer_store_dword v3, off, s[0:3], 0 offset:804
	;; [unrolled: 1-line block ×4, first 2 shown]
	v_cmpx_lt_u32_e32 48, v0
	s_cbranch_execz .LBB50_223
; %bb.222:
	v_mov_b32_e32 v5, s12
	s_clause 0x3
	buffer_load_dword v2, v5, s[0:3], 0 offen
	buffer_load_dword v3, v5, s[0:3], 0 offen offset:4
	buffer_load_dword v4, v5, s[0:3], 0 offen offset:8
	buffer_load_dword v5, v5, s[0:3], 0 offen offset:12
	buffer_store_dword v1, off, s[0:3], 0 offset:784
	buffer_store_dword v1, off, s[0:3], 0 offset:788
	;; [unrolled: 1-line block ×4, first 2 shown]
	s_waitcnt vmcnt(0)
	ds_write_b128 v85, v[2:5]
.LBB50_223:
	s_or_b32 exec_lo, exec_lo, s4
	s_waitcnt lgkmcnt(0)
	s_waitcnt_vscnt null, 0x0
	s_barrier
	buffer_gl0_inv
	s_clause 0xb
	buffer_load_dword v10, off, s[0:3], 0 offset:808
	buffer_load_dword v11, off, s[0:3], 0 offset:812
	;; [unrolled: 1-line block ×12, first 2 shown]
	ds_read_b128 v[2:5], v1 offset:1600
	ds_read_b128 v[6:9], v1 offset:1616
	s_mov_b32 s4, exec_lo
	s_waitcnt vmcnt(10) lgkmcnt(1)
	v_mul_f64 v[22:23], v[4:5], v[10:11]
	v_mul_f64 v[10:11], v[2:3], v[10:11]
	s_waitcnt vmcnt(8) lgkmcnt(0)
	v_mul_f64 v[24:25], v[8:9], v[12:13]
	v_mul_f64 v[12:13], v[6:7], v[12:13]
	s_waitcnt vmcnt(6)
	v_fma_f64 v[1:2], v[2:3], v[14:15], -v[22:23]
	v_fma_f64 v[3:4], v[4:5], v[14:15], v[10:11]
	s_waitcnt vmcnt(4)
	v_fma_f64 v[5:6], v[6:7], v[16:17], -v[24:25]
	v_fma_f64 v[7:8], v[8:9], v[16:17], v[12:13]
	v_add_f64 v[1:2], v[1:2], 0
	v_add_f64 v[3:4], v[3:4], 0
	;; [unrolled: 1-line block ×4, first 2 shown]
	s_waitcnt vmcnt(2)
	v_add_f64 v[1:2], v[18:19], -v[1:2]
	s_waitcnt vmcnt(0)
	v_add_f64 v[3:4], v[20:21], -v[3:4]
	buffer_store_dword v1, off, s[0:3], 0 offset:784
	buffer_store_dword v2, off, s[0:3], 0 offset:788
	;; [unrolled: 1-line block ×4, first 2 shown]
	v_cmpx_lt_u32_e32 47, v0
	s_cbranch_execz .LBB50_225
; %bb.224:
	v_mov_b32_e32 v4, s13
	v_mov_b32_e32 v5, 0
	s_clause 0x3
	buffer_load_dword v1, v4, s[0:3], 0 offen
	buffer_load_dword v2, v4, s[0:3], 0 offen offset:4
	buffer_load_dword v3, v4, s[0:3], 0 offen offset:8
	;; [unrolled: 1-line block ×3, first 2 shown]
	buffer_store_dword v5, off, s[0:3], 0 offset:768
	buffer_store_dword v5, off, s[0:3], 0 offset:772
	;; [unrolled: 1-line block ×4, first 2 shown]
	s_waitcnt vmcnt(0)
	ds_write_b128 v85, v[1:4]
.LBB50_225:
	s_or_b32 exec_lo, exec_lo, s4
	s_waitcnt lgkmcnt(0)
	s_waitcnt_vscnt null, 0x0
	s_barrier
	buffer_gl0_inv
	s_clause 0xf
	buffer_load_dword v10, off, s[0:3], 0 offset:792
	buffer_load_dword v11, off, s[0:3], 0 offset:796
	;; [unrolled: 1-line block ×16, first 2 shown]
	v_mov_b32_e32 v1, 0
	ds_read_b128 v[2:5], v1 offset:1584
	ds_read_b128 v[6:9], v1 offset:1600
	s_mov_b32 s4, exec_lo
	s_waitcnt vmcnt(14) lgkmcnt(1)
	v_mul_f64 v[28:29], v[4:5], v[10:11]
	v_mul_f64 v[30:31], v[2:3], v[10:11]
	s_waitcnt vmcnt(12) lgkmcnt(0)
	v_mul_f64 v[32:33], v[8:9], v[14:15]
	ds_read_b128 v[10:13], v1 offset:1616
	v_mul_f64 v[14:15], v[6:7], v[14:15]
	s_waitcnt vmcnt(10)
	v_fma_f64 v[2:3], v[2:3], v[16:17], -v[28:29]
	v_fma_f64 v[4:5], v[4:5], v[16:17], v[30:31]
	s_waitcnt vmcnt(8) lgkmcnt(0)
	v_mul_f64 v[16:17], v[10:11], v[18:19]
	v_mul_f64 v[18:19], v[12:13], v[18:19]
	s_waitcnt vmcnt(6)
	v_fma_f64 v[6:7], v[6:7], v[20:21], -v[32:33]
	v_fma_f64 v[8:9], v[8:9], v[20:21], v[14:15]
	v_add_f64 v[2:3], v[2:3], 0
	v_add_f64 v[4:5], v[4:5], 0
	s_waitcnt vmcnt(4)
	v_fma_f64 v[10:11], v[10:11], v[22:23], -v[18:19]
	v_add_f64 v[2:3], v[2:3], v[6:7]
	v_fma_f64 v[6:7], v[12:13], v[22:23], v[16:17]
	v_add_f64 v[4:5], v[4:5], v[8:9]
	v_add_f64 v[2:3], v[2:3], v[10:11]
	;; [unrolled: 1-line block ×3, first 2 shown]
	s_waitcnt vmcnt(2)
	v_add_f64 v[2:3], v[24:25], -v[2:3]
	s_waitcnt vmcnt(0)
	v_add_f64 v[4:5], v[26:27], -v[4:5]
	buffer_store_dword v2, off, s[0:3], 0 offset:768
	buffer_store_dword v3, off, s[0:3], 0 offset:772
	;; [unrolled: 1-line block ×4, first 2 shown]
	v_cmpx_lt_u32_e32 46, v0
	s_cbranch_execz .LBB50_227
; %bb.226:
	v_mov_b32_e32 v5, s14
	s_clause 0x3
	buffer_load_dword v2, v5, s[0:3], 0 offen
	buffer_load_dword v3, v5, s[0:3], 0 offen offset:4
	buffer_load_dword v4, v5, s[0:3], 0 offen offset:8
	;; [unrolled: 1-line block ×3, first 2 shown]
	buffer_store_dword v1, off, s[0:3], 0 offset:752
	buffer_store_dword v1, off, s[0:3], 0 offset:756
	;; [unrolled: 1-line block ×4, first 2 shown]
	s_waitcnt vmcnt(0)
	ds_write_b128 v85, v[2:5]
.LBB50_227:
	s_or_b32 exec_lo, exec_lo, s4
	s_waitcnt lgkmcnt(0)
	s_waitcnt_vscnt null, 0x0
	s_barrier
	buffer_gl0_inv
	s_clause 0x13
	buffer_load_dword v10, off, s[0:3], 0 offset:776
	buffer_load_dword v11, off, s[0:3], 0 offset:780
	;; [unrolled: 1-line block ×20, first 2 shown]
	ds_read_b128 v[2:5], v1 offset:1568
	ds_read_b128 v[6:9], v1 offset:1584
	s_mov_b32 s4, exec_lo
	s_waitcnt vmcnt(18) lgkmcnt(1)
	v_mul_f64 v[32:33], v[4:5], v[10:11]
	v_mul_f64 v[34:35], v[2:3], v[10:11]
	s_waitcnt vmcnt(16) lgkmcnt(0)
	v_mul_f64 v[53:54], v[8:9], v[14:15]
	ds_read_b128 v[10:13], v1 offset:1600
	v_mul_f64 v[14:15], v[6:7], v[14:15]
	s_waitcnt vmcnt(14)
	v_fma_f64 v[32:33], v[2:3], v[16:17], -v[32:33]
	v_fma_f64 v[16:17], v[4:5], v[16:17], v[34:35]
	s_waitcnt vmcnt(12) lgkmcnt(0)
	v_mul_f64 v[34:35], v[10:11], v[18:19]
	v_mul_f64 v[18:19], v[12:13], v[18:19]
	s_waitcnt vmcnt(10)
	v_fma_f64 v[5:6], v[6:7], v[20:21], -v[53:54]
	ds_read_b128 v[1:4], v1 offset:1616
	v_fma_f64 v[7:8], v[8:9], v[20:21], v[14:15]
	v_add_f64 v[32:33], v[32:33], 0
	v_add_f64 v[14:15], v[16:17], 0
	s_waitcnt vmcnt(8) lgkmcnt(0)
	v_mul_f64 v[20:21], v[3:4], v[22:23]
	s_waitcnt vmcnt(6)
	v_fma_f64 v[9:10], v[10:11], v[24:25], -v[18:19]
	v_mul_f64 v[16:17], v[1:2], v[22:23]
	v_fma_f64 v[11:12], v[12:13], v[24:25], v[34:35]
	v_add_f64 v[5:6], v[32:33], v[5:6]
	v_add_f64 v[7:8], v[14:15], v[7:8]
	s_waitcnt vmcnt(4)
	v_fma_f64 v[1:2], v[1:2], v[26:27], -v[20:21]
	v_fma_f64 v[3:4], v[3:4], v[26:27], v[16:17]
	v_add_f64 v[5:6], v[5:6], v[9:10]
	v_add_f64 v[7:8], v[7:8], v[11:12]
	;; [unrolled: 1-line block ×4, first 2 shown]
	s_waitcnt vmcnt(2)
	v_add_f64 v[1:2], v[28:29], -v[1:2]
	s_waitcnt vmcnt(0)
	v_add_f64 v[3:4], v[30:31], -v[3:4]
	buffer_store_dword v1, off, s[0:3], 0 offset:752
	buffer_store_dword v2, off, s[0:3], 0 offset:756
	;; [unrolled: 1-line block ×4, first 2 shown]
	v_cmpx_lt_u32_e32 45, v0
	s_cbranch_execz .LBB50_229
; %bb.228:
	v_mov_b32_e32 v4, s15
	v_mov_b32_e32 v5, 0
	s_clause 0x3
	buffer_load_dword v1, v4, s[0:3], 0 offen
	buffer_load_dword v2, v4, s[0:3], 0 offen offset:4
	buffer_load_dword v3, v4, s[0:3], 0 offen offset:8
	;; [unrolled: 1-line block ×3, first 2 shown]
	buffer_store_dword v5, off, s[0:3], 0 offset:736
	buffer_store_dword v5, off, s[0:3], 0 offset:740
	;; [unrolled: 1-line block ×4, first 2 shown]
	s_waitcnt vmcnt(0)
	ds_write_b128 v85, v[1:4]
.LBB50_229:
	s_or_b32 exec_lo, exec_lo, s4
	s_waitcnt lgkmcnt(0)
	s_waitcnt_vscnt null, 0x0
	s_barrier
	buffer_gl0_inv
	s_clause 0x17
	buffer_load_dword v10, off, s[0:3], 0 offset:760
	buffer_load_dword v11, off, s[0:3], 0 offset:764
	;; [unrolled: 1-line block ×24, first 2 shown]
	v_mov_b32_e32 v1, 0
	ds_read_b128 v[2:5], v1 offset:1552
	ds_read_b128 v[6:9], v1 offset:1568
	s_mov_b32 s4, exec_lo
	s_waitcnt vmcnt(22) lgkmcnt(1)
	v_mul_f64 v[53:54], v[4:5], v[10:11]
	v_mul_f64 v[55:56], v[2:3], v[10:11]
	s_waitcnt vmcnt(20) lgkmcnt(0)
	v_mul_f64 v[57:58], v[8:9], v[14:15]
	ds_read_b128 v[10:13], v1 offset:1584
	v_mul_f64 v[14:15], v[6:7], v[14:15]
	s_waitcnt vmcnt(18)
	v_fma_f64 v[53:54], v[2:3], v[16:17], -v[53:54]
	v_fma_f64 v[16:17], v[4:5], v[16:17], v[55:56]
	ds_read_b128 v[2:5], v1 offset:1600
	s_waitcnt vmcnt(16) lgkmcnt(1)
	v_mul_f64 v[55:56], v[10:11], v[18:19]
	v_mul_f64 v[18:19], v[12:13], v[18:19]
	s_waitcnt vmcnt(14)
	v_fma_f64 v[57:58], v[6:7], v[20:21], -v[57:58]
	v_fma_f64 v[14:15], v[8:9], v[20:21], v[14:15]
	ds_read_b128 v[6:9], v1 offset:1616
	s_waitcnt vmcnt(10) lgkmcnt(1)
	v_mul_f64 v[20:21], v[2:3], v[22:23]
	v_add_f64 v[53:54], v[53:54], 0
	v_add_f64 v[16:17], v[16:17], 0
	v_mul_f64 v[22:23], v[4:5], v[22:23]
	s_waitcnt vmcnt(8)
	v_fma_f64 v[10:11], v[10:11], v[28:29], -v[18:19]
	v_fma_f64 v[12:13], v[12:13], v[28:29], v[55:56]
	s_waitcnt vmcnt(5)
	v_fma_f64 v[4:5], v[4:5], v[30:31], v[20:21]
	v_add_f64 v[18:19], v[53:54], v[57:58]
	v_add_f64 v[14:15], v[16:17], v[14:15]
	s_waitcnt lgkmcnt(0)
	v_mul_f64 v[16:17], v[6:7], v[24:25]
	v_mul_f64 v[24:25], v[8:9], v[24:25]
	v_fma_f64 v[2:3], v[2:3], v[30:31], -v[22:23]
	v_add_f64 v[10:11], v[18:19], v[10:11]
	v_add_f64 v[12:13], v[14:15], v[12:13]
	s_waitcnt vmcnt(4)
	v_fma_f64 v[8:9], v[8:9], v[26:27], v[16:17]
	v_fma_f64 v[6:7], v[6:7], v[26:27], -v[24:25]
	v_add_f64 v[2:3], v[10:11], v[2:3]
	v_add_f64 v[4:5], v[12:13], v[4:5]
	;; [unrolled: 1-line block ×4, first 2 shown]
	s_waitcnt vmcnt(2)
	v_add_f64 v[2:3], v[32:33], -v[2:3]
	s_waitcnt vmcnt(0)
	v_add_f64 v[4:5], v[34:35], -v[4:5]
	buffer_store_dword v3, off, s[0:3], 0 offset:740
	buffer_store_dword v2, off, s[0:3], 0 offset:736
	buffer_store_dword v5, off, s[0:3], 0 offset:748
	buffer_store_dword v4, off, s[0:3], 0 offset:744
	v_cmpx_lt_u32_e32 44, v0
	s_cbranch_execz .LBB50_231
; %bb.230:
	v_mov_b32_e32 v5, s16
	s_clause 0x3
	buffer_load_dword v2, v5, s[0:3], 0 offen
	buffer_load_dword v3, v5, s[0:3], 0 offen offset:4
	buffer_load_dword v4, v5, s[0:3], 0 offen offset:8
	buffer_load_dword v5, v5, s[0:3], 0 offen offset:12
	buffer_store_dword v1, off, s[0:3], 0 offset:720
	buffer_store_dword v1, off, s[0:3], 0 offset:724
	;; [unrolled: 1-line block ×4, first 2 shown]
	s_waitcnt vmcnt(0)
	ds_write_b128 v85, v[2:5]
.LBB50_231:
	s_or_b32 exec_lo, exec_lo, s4
	s_waitcnt lgkmcnt(0)
	s_waitcnt_vscnt null, 0x0
	s_barrier
	buffer_gl0_inv
	s_clause 0x1b
	buffer_load_dword v10, off, s[0:3], 0 offset:744
	buffer_load_dword v11, off, s[0:3], 0 offset:748
	;; [unrolled: 1-line block ×28, first 2 shown]
	ds_read_b128 v[2:5], v1 offset:1536
	ds_read_b128 v[6:9], v1 offset:1552
	s_mov_b32 s4, exec_lo
	s_waitcnt vmcnt(26) lgkmcnt(1)
	v_mul_f64 v[57:58], v[4:5], v[10:11]
	v_mul_f64 v[59:60], v[2:3], v[10:11]
	s_waitcnt vmcnt(24) lgkmcnt(0)
	v_mul_f64 v[61:62], v[8:9], v[14:15]
	ds_read_b128 v[10:13], v1 offset:1568
	v_mul_f64 v[14:15], v[6:7], v[14:15]
	s_waitcnt vmcnt(22)
	v_fma_f64 v[57:58], v[2:3], v[16:17], -v[57:58]
	v_fma_f64 v[16:17], v[4:5], v[16:17], v[59:60]
	ds_read_b128 v[2:5], v1 offset:1584
	s_waitcnt vmcnt(20) lgkmcnt(1)
	v_mul_f64 v[59:60], v[10:11], v[18:19]
	v_mul_f64 v[18:19], v[12:13], v[18:19]
	s_waitcnt vmcnt(18)
	v_fma_f64 v[61:62], v[6:7], v[20:21], -v[61:62]
	v_fma_f64 v[14:15], v[8:9], v[20:21], v[14:15]
	ds_read_b128 v[6:9], v1 offset:1600
	s_waitcnt vmcnt(14) lgkmcnt(1)
	v_mul_f64 v[20:21], v[2:3], v[22:23]
	v_add_f64 v[57:58], v[57:58], 0
	v_add_f64 v[16:17], v[16:17], 0
	v_mul_f64 v[22:23], v[4:5], v[22:23]
	s_waitcnt vmcnt(12)
	v_fma_f64 v[18:19], v[10:11], v[28:29], -v[18:19]
	v_fma_f64 v[28:29], v[12:13], v[28:29], v[59:60]
	ds_read_b128 v[10:13], v1 offset:1616
	v_add_f64 v[57:58], v[57:58], v[61:62]
	v_add_f64 v[14:15], v[16:17], v[14:15]
	s_waitcnt vmcnt(11) lgkmcnt(1)
	v_mul_f64 v[16:17], v[6:7], v[24:25]
	v_mul_f64 v[24:25], v[8:9], v[24:25]
	s_waitcnt vmcnt(9)
	v_fma_f64 v[1:2], v[2:3], v[30:31], -v[22:23]
	v_fma_f64 v[3:4], v[4:5], v[30:31], v[20:21]
	s_waitcnt vmcnt(7) lgkmcnt(0)
	v_mul_f64 v[22:23], v[12:13], v[32:33]
	v_mul_f64 v[20:21], v[10:11], v[32:33]
	v_add_f64 v[18:19], v[57:58], v[18:19]
	v_add_f64 v[14:15], v[14:15], v[28:29]
	s_waitcnt vmcnt(6)
	v_fma_f64 v[5:6], v[6:7], v[26:27], -v[24:25]
	v_fma_f64 v[7:8], v[8:9], v[26:27], v[16:17]
	s_waitcnt vmcnt(4)
	v_fma_f64 v[9:10], v[10:11], v[34:35], -v[22:23]
	v_add_f64 v[1:2], v[18:19], v[1:2]
	v_add_f64 v[3:4], v[14:15], v[3:4]
	;; [unrolled: 1-line block ×3, first 2 shown]
	v_fma_f64 v[5:6], v[12:13], v[34:35], v[20:21]
	v_add_f64 v[3:4], v[3:4], v[7:8]
	v_add_f64 v[1:2], v[1:2], v[9:10]
	;; [unrolled: 1-line block ×3, first 2 shown]
	s_waitcnt vmcnt(2)
	v_add_f64 v[1:2], v[53:54], -v[1:2]
	s_waitcnt vmcnt(0)
	v_add_f64 v[3:4], v[55:56], -v[3:4]
	buffer_store_dword v2, off, s[0:3], 0 offset:724
	buffer_store_dword v1, off, s[0:3], 0 offset:720
	;; [unrolled: 1-line block ×4, first 2 shown]
	v_cmpx_lt_u32_e32 43, v0
	s_cbranch_execz .LBB50_233
; %bb.232:
	v_mov_b32_e32 v4, s17
	v_mov_b32_e32 v5, 0
	s_clause 0x3
	buffer_load_dword v1, v4, s[0:3], 0 offen
	buffer_load_dword v2, v4, s[0:3], 0 offen offset:4
	buffer_load_dword v3, v4, s[0:3], 0 offen offset:8
	;; [unrolled: 1-line block ×3, first 2 shown]
	buffer_store_dword v5, off, s[0:3], 0 offset:704
	buffer_store_dword v5, off, s[0:3], 0 offset:708
	;; [unrolled: 1-line block ×4, first 2 shown]
	s_waitcnt vmcnt(0)
	ds_write_b128 v85, v[1:4]
.LBB50_233:
	s_or_b32 exec_lo, exec_lo, s4
	s_waitcnt lgkmcnt(0)
	s_waitcnt_vscnt null, 0x0
	s_barrier
	buffer_gl0_inv
	s_clause 0x1f
	buffer_load_dword v10, off, s[0:3], 0 offset:728
	buffer_load_dword v11, off, s[0:3], 0 offset:732
	;; [unrolled: 1-line block ×32, first 2 shown]
	v_mov_b32_e32 v1, 0
	ds_read_b128 v[2:5], v1 offset:1520
	ds_read_b128 v[6:9], v1 offset:1536
	s_mov_b32 s4, exec_lo
	s_waitcnt vmcnt(30) lgkmcnt(1)
	v_mul_f64 v[61:62], v[4:5], v[10:11]
	v_mul_f64 v[63:64], v[2:3], v[10:11]
	s_waitcnt vmcnt(28) lgkmcnt(0)
	v_mul_f64 v[65:66], v[8:9], v[14:15]
	ds_read_b128 v[10:13], v1 offset:1552
	v_mul_f64 v[14:15], v[6:7], v[14:15]
	s_waitcnt vmcnt(26)
	v_fma_f64 v[61:62], v[2:3], v[16:17], -v[61:62]
	v_fma_f64 v[16:17], v[4:5], v[16:17], v[63:64]
	ds_read_b128 v[2:5], v1 offset:1568
	s_waitcnt vmcnt(24) lgkmcnt(1)
	v_mul_f64 v[63:64], v[10:11], v[18:19]
	v_mul_f64 v[18:19], v[12:13], v[18:19]
	s_waitcnt vmcnt(22)
	v_fma_f64 v[65:66], v[6:7], v[20:21], -v[65:66]
	v_fma_f64 v[14:15], v[8:9], v[20:21], v[14:15]
	ds_read_b128 v[6:9], v1 offset:1584
	s_waitcnt vmcnt(18) lgkmcnt(1)
	v_mul_f64 v[20:21], v[2:3], v[22:23]
	v_add_f64 v[61:62], v[61:62], 0
	v_add_f64 v[16:17], v[16:17], 0
	v_mul_f64 v[22:23], v[4:5], v[22:23]
	s_waitcnt vmcnt(16)
	v_fma_f64 v[18:19], v[10:11], v[28:29], -v[18:19]
	v_fma_f64 v[28:29], v[12:13], v[28:29], v[63:64]
	ds_read_b128 v[10:13], v1 offset:1600
	s_waitcnt vmcnt(13)
	v_fma_f64 v[20:21], v[4:5], v[30:31], v[20:21]
	v_add_f64 v[61:62], v[61:62], v[65:66]
	v_add_f64 v[14:15], v[16:17], v[14:15]
	s_waitcnt lgkmcnt(1)
	v_mul_f64 v[16:17], v[6:7], v[24:25]
	v_mul_f64 v[24:25], v[8:9], v[24:25]
	v_fma_f64 v[22:23], v[2:3], v[30:31], -v[22:23]
	s_waitcnt vmcnt(9) lgkmcnt(0)
	v_mul_f64 v[30:31], v[12:13], v[32:33]
	ds_read_b128 v[2:5], v1 offset:1616
	v_add_f64 v[18:19], v[61:62], v[18:19]
	v_add_f64 v[14:15], v[14:15], v[28:29]
	v_mul_f64 v[28:29], v[10:11], v[32:33]
	s_waitcnt vmcnt(8)
	v_fma_f64 v[6:7], v[6:7], v[26:27], -v[24:25]
	v_fma_f64 v[8:9], v[8:9], v[26:27], v[16:17]
	s_waitcnt vmcnt(5)
	v_fma_f64 v[10:11], v[10:11], v[55:56], -v[30:31]
	s_waitcnt lgkmcnt(0)
	v_mul_f64 v[16:17], v[2:3], v[34:35]
	v_add_f64 v[18:19], v[18:19], v[22:23]
	v_add_f64 v[14:15], v[14:15], v[20:21]
	v_mul_f64 v[20:21], v[4:5], v[34:35]
	v_fma_f64 v[12:13], v[12:13], v[55:56], v[28:29]
	s_waitcnt vmcnt(4)
	v_fma_f64 v[4:5], v[4:5], v[53:54], v[16:17]
	v_add_f64 v[6:7], v[18:19], v[6:7]
	v_add_f64 v[8:9], v[14:15], v[8:9]
	v_fma_f64 v[2:3], v[2:3], v[53:54], -v[20:21]
	v_add_f64 v[6:7], v[6:7], v[10:11]
	v_add_f64 v[8:9], v[8:9], v[12:13]
	;; [unrolled: 1-line block ×4, first 2 shown]
	s_waitcnt vmcnt(2)
	v_add_f64 v[2:3], v[57:58], -v[2:3]
	s_waitcnt vmcnt(0)
	v_add_f64 v[4:5], v[59:60], -v[4:5]
	buffer_store_dword v3, off, s[0:3], 0 offset:708
	buffer_store_dword v2, off, s[0:3], 0 offset:704
	;; [unrolled: 1-line block ×4, first 2 shown]
	v_cmpx_lt_u32_e32 42, v0
	s_cbranch_execz .LBB50_235
; %bb.234:
	v_mov_b32_e32 v5, s18
	s_clause 0x3
	buffer_load_dword v2, v5, s[0:3], 0 offen
	buffer_load_dword v3, v5, s[0:3], 0 offen offset:4
	buffer_load_dword v4, v5, s[0:3], 0 offen offset:8
	;; [unrolled: 1-line block ×3, first 2 shown]
	buffer_store_dword v1, off, s[0:3], 0 offset:688
	buffer_store_dword v1, off, s[0:3], 0 offset:692
	;; [unrolled: 1-line block ×4, first 2 shown]
	s_waitcnt vmcnt(0)
	ds_write_b128 v85, v[2:5]
.LBB50_235:
	s_or_b32 exec_lo, exec_lo, s4
	s_waitcnt lgkmcnt(0)
	s_waitcnt_vscnt null, 0x0
	s_barrier
	buffer_gl0_inv
	s_clause 0x23
	buffer_load_dword v10, off, s[0:3], 0 offset:712
	buffer_load_dword v11, off, s[0:3], 0 offset:716
	;; [unrolled: 1-line block ×36, first 2 shown]
	ds_read_b128 v[2:5], v1 offset:1504
	ds_read_b128 v[6:9], v1 offset:1520
	s_mov_b32 s4, exec_lo
	s_waitcnt vmcnt(34) lgkmcnt(1)
	v_mul_f64 v[65:66], v[4:5], v[10:11]
	v_mul_f64 v[67:68], v[2:3], v[10:11]
	s_waitcnt vmcnt(32) lgkmcnt(0)
	v_mul_f64 v[69:70], v[8:9], v[14:15]
	ds_read_b128 v[10:13], v1 offset:1536
	v_mul_f64 v[14:15], v[6:7], v[14:15]
	s_waitcnt vmcnt(30)
	v_fma_f64 v[65:66], v[2:3], v[16:17], -v[65:66]
	v_fma_f64 v[16:17], v[4:5], v[16:17], v[67:68]
	ds_read_b128 v[2:5], v1 offset:1552
	s_waitcnt vmcnt(28) lgkmcnt(1)
	v_mul_f64 v[67:68], v[10:11], v[18:19]
	v_mul_f64 v[18:19], v[12:13], v[18:19]
	s_waitcnt vmcnt(26)
	v_fma_f64 v[69:70], v[6:7], v[20:21], -v[69:70]
	v_fma_f64 v[14:15], v[8:9], v[20:21], v[14:15]
	ds_read_b128 v[6:9], v1 offset:1568
	s_waitcnt vmcnt(22) lgkmcnt(1)
	v_mul_f64 v[20:21], v[2:3], v[22:23]
	v_add_f64 v[65:66], v[65:66], 0
	v_add_f64 v[16:17], v[16:17], 0
	v_mul_f64 v[22:23], v[4:5], v[22:23]
	s_waitcnt vmcnt(20)
	v_fma_f64 v[18:19], v[10:11], v[28:29], -v[18:19]
	v_fma_f64 v[28:29], v[12:13], v[28:29], v[67:68]
	ds_read_b128 v[10:13], v1 offset:1584
	s_waitcnt vmcnt(17)
	v_fma_f64 v[20:21], v[4:5], v[30:31], v[20:21]
	v_add_f64 v[65:66], v[65:66], v[69:70]
	v_add_f64 v[14:15], v[16:17], v[14:15]
	s_waitcnt lgkmcnt(1)
	v_mul_f64 v[16:17], v[6:7], v[24:25]
	v_mul_f64 v[24:25], v[8:9], v[24:25]
	v_fma_f64 v[22:23], v[2:3], v[30:31], -v[22:23]
	s_waitcnt vmcnt(13) lgkmcnt(0)
	v_mul_f64 v[30:31], v[12:13], v[32:33]
	ds_read_b128 v[2:5], v1 offset:1600
	v_add_f64 v[18:19], v[65:66], v[18:19]
	v_add_f64 v[14:15], v[14:15], v[28:29]
	v_mul_f64 v[28:29], v[10:11], v[32:33]
	s_waitcnt vmcnt(12)
	v_fma_f64 v[24:25], v[6:7], v[26:27], -v[24:25]
	v_fma_f64 v[16:17], v[8:9], v[26:27], v[16:17]
	ds_read_b128 v[6:9], v1 offset:1616
	s_waitcnt vmcnt(9)
	v_fma_f64 v[10:11], v[10:11], v[55:56], -v[30:31]
	v_add_f64 v[18:19], v[18:19], v[22:23]
	v_add_f64 v[14:15], v[14:15], v[20:21]
	s_waitcnt lgkmcnt(1)
	v_mul_f64 v[22:23], v[4:5], v[34:35]
	v_mul_f64 v[20:21], v[2:3], v[34:35]
	v_fma_f64 v[12:13], v[12:13], v[55:56], v[28:29]
	v_add_f64 v[18:19], v[18:19], v[24:25]
	v_add_f64 v[14:15], v[14:15], v[16:17]
	s_waitcnt vmcnt(7) lgkmcnt(0)
	v_mul_f64 v[24:25], v[8:9], v[57:58]
	s_waitcnt vmcnt(6)
	v_fma_f64 v[1:2], v[2:3], v[53:54], -v[22:23]
	v_mul_f64 v[16:17], v[6:7], v[57:58]
	v_fma_f64 v[3:4], v[4:5], v[53:54], v[20:21]
	v_add_f64 v[10:11], v[18:19], v[10:11]
	v_add_f64 v[12:13], v[14:15], v[12:13]
	s_waitcnt vmcnt(4)
	v_fma_f64 v[5:6], v[6:7], v[59:60], -v[24:25]
	v_fma_f64 v[7:8], v[8:9], v[59:60], v[16:17]
	v_add_f64 v[1:2], v[10:11], v[1:2]
	v_add_f64 v[3:4], v[12:13], v[3:4]
	;; [unrolled: 1-line block ×4, first 2 shown]
	s_waitcnt vmcnt(2)
	v_add_f64 v[1:2], v[61:62], -v[1:2]
	s_waitcnt vmcnt(0)
	v_add_f64 v[3:4], v[63:64], -v[3:4]
	buffer_store_dword v2, off, s[0:3], 0 offset:692
	buffer_store_dword v1, off, s[0:3], 0 offset:688
	;; [unrolled: 1-line block ×4, first 2 shown]
	v_cmpx_lt_u32_e32 41, v0
	s_cbranch_execz .LBB50_237
; %bb.236:
	v_mov_b32_e32 v4, s19
	v_mov_b32_e32 v5, 0
	s_clause 0x3
	buffer_load_dword v1, v4, s[0:3], 0 offen
	buffer_load_dword v2, v4, s[0:3], 0 offen offset:4
	buffer_load_dword v3, v4, s[0:3], 0 offen offset:8
	;; [unrolled: 1-line block ×3, first 2 shown]
	buffer_store_dword v5, off, s[0:3], 0 offset:672
	buffer_store_dword v5, off, s[0:3], 0 offset:676
	;; [unrolled: 1-line block ×4, first 2 shown]
	s_waitcnt vmcnt(0)
	ds_write_b128 v85, v[1:4]
.LBB50_237:
	s_or_b32 exec_lo, exec_lo, s4
	s_waitcnt lgkmcnt(0)
	s_waitcnt_vscnt null, 0x0
	s_barrier
	buffer_gl0_inv
	s_clause 0x27
	buffer_load_dword v10, off, s[0:3], 0 offset:696
	buffer_load_dword v11, off, s[0:3], 0 offset:700
	;; [unrolled: 1-line block ×40, first 2 shown]
	v_mov_b32_e32 v1, 0
	ds_read_b128 v[2:5], v1 offset:1488
	ds_read_b128 v[6:9], v1 offset:1504
	s_mov_b32 s4, exec_lo
	s_waitcnt vmcnt(38) lgkmcnt(1)
	v_mul_f64 v[69:70], v[4:5], v[10:11]
	v_mul_f64 v[71:72], v[2:3], v[10:11]
	s_waitcnt vmcnt(36) lgkmcnt(0)
	v_mul_f64 v[73:74], v[8:9], v[14:15]
	ds_read_b128 v[10:13], v1 offset:1520
	v_mul_f64 v[14:15], v[6:7], v[14:15]
	s_waitcnt vmcnt(34)
	v_fma_f64 v[69:70], v[2:3], v[16:17], -v[69:70]
	v_fma_f64 v[16:17], v[4:5], v[16:17], v[71:72]
	ds_read_b128 v[2:5], v1 offset:1536
	s_waitcnt vmcnt(32) lgkmcnt(1)
	v_mul_f64 v[71:72], v[10:11], v[18:19]
	v_mul_f64 v[18:19], v[12:13], v[18:19]
	s_waitcnt vmcnt(30)
	v_fma_f64 v[73:74], v[6:7], v[20:21], -v[73:74]
	v_fma_f64 v[14:15], v[8:9], v[20:21], v[14:15]
	ds_read_b128 v[6:9], v1 offset:1552
	s_waitcnt vmcnt(26) lgkmcnt(1)
	v_mul_f64 v[20:21], v[2:3], v[22:23]
	v_add_f64 v[69:70], v[69:70], 0
	v_add_f64 v[16:17], v[16:17], 0
	v_mul_f64 v[22:23], v[4:5], v[22:23]
	s_waitcnt vmcnt(24)
	v_fma_f64 v[18:19], v[10:11], v[28:29], -v[18:19]
	v_fma_f64 v[28:29], v[12:13], v[28:29], v[71:72]
	ds_read_b128 v[10:13], v1 offset:1568
	s_waitcnt vmcnt(21)
	v_fma_f64 v[20:21], v[4:5], v[30:31], v[20:21]
	v_add_f64 v[69:70], v[69:70], v[73:74]
	v_add_f64 v[14:15], v[16:17], v[14:15]
	s_waitcnt lgkmcnt(1)
	v_mul_f64 v[16:17], v[6:7], v[24:25]
	v_mul_f64 v[24:25], v[8:9], v[24:25]
	v_fma_f64 v[22:23], v[2:3], v[30:31], -v[22:23]
	s_waitcnt vmcnt(17) lgkmcnt(0)
	v_mul_f64 v[30:31], v[12:13], v[32:33]
	ds_read_b128 v[2:5], v1 offset:1584
	v_add_f64 v[18:19], v[69:70], v[18:19]
	v_add_f64 v[14:15], v[14:15], v[28:29]
	v_mul_f64 v[28:29], v[10:11], v[32:33]
	s_waitcnt vmcnt(16)
	v_fma_f64 v[24:25], v[6:7], v[26:27], -v[24:25]
	v_fma_f64 v[16:17], v[8:9], v[26:27], v[16:17]
	ds_read_b128 v[6:9], v1 offset:1600
	s_waitcnt vmcnt(13)
	v_fma_f64 v[26:27], v[10:11], v[55:56], -v[30:31]
	v_add_f64 v[18:19], v[18:19], v[22:23]
	v_add_f64 v[14:15], v[14:15], v[20:21]
	s_waitcnt lgkmcnt(1)
	v_mul_f64 v[22:23], v[4:5], v[34:35]
	v_mul_f64 v[20:21], v[2:3], v[34:35]
	v_add_f64 v[18:19], v[18:19], v[24:25]
	v_fma_f64 v[24:25], v[12:13], v[55:56], v[28:29]
	v_add_f64 v[14:15], v[14:15], v[16:17]
	s_waitcnt vmcnt(9) lgkmcnt(0)
	v_mul_f64 v[28:29], v[8:9], v[57:58]
	s_waitcnt vmcnt(8)
	v_fma_f64 v[2:3], v[2:3], v[53:54], -v[22:23]
	ds_read_b128 v[10:13], v1 offset:1616
	v_mul_f64 v[16:17], v[6:7], v[57:58]
	v_fma_f64 v[4:5], v[4:5], v[53:54], v[20:21]
	v_add_f64 v[18:19], v[18:19], v[26:27]
	v_add_f64 v[14:15], v[14:15], v[24:25]
	s_waitcnt vmcnt(7) lgkmcnt(0)
	v_mul_f64 v[22:23], v[12:13], v[59:60]
	s_waitcnt vmcnt(5)
	v_fma_f64 v[6:7], v[6:7], v[63:64], -v[28:29]
	v_mul_f64 v[20:21], v[10:11], v[59:60]
	v_fma_f64 v[8:9], v[8:9], v[63:64], v[16:17]
	v_add_f64 v[2:3], v[18:19], v[2:3]
	v_add_f64 v[4:5], v[14:15], v[4:5]
	s_waitcnt vmcnt(4)
	v_fma_f64 v[10:11], v[10:11], v[61:62], -v[22:23]
	v_add_f64 v[2:3], v[2:3], v[6:7]
	v_fma_f64 v[6:7], v[12:13], v[61:62], v[20:21]
	v_add_f64 v[4:5], v[4:5], v[8:9]
	v_add_f64 v[2:3], v[2:3], v[10:11]
	v_add_f64 v[4:5], v[4:5], v[6:7]
	s_waitcnt vmcnt(2)
	v_add_f64 v[2:3], v[65:66], -v[2:3]
	s_waitcnt vmcnt(0)
	v_add_f64 v[4:5], v[67:68], -v[4:5]
	buffer_store_dword v3, off, s[0:3], 0 offset:676
	buffer_store_dword v2, off, s[0:3], 0 offset:672
	;; [unrolled: 1-line block ×4, first 2 shown]
	v_cmpx_lt_u32_e32 40, v0
	s_cbranch_execz .LBB50_239
; %bb.238:
	v_mov_b32_e32 v5, s22
	s_clause 0x3
	buffer_load_dword v2, v5, s[0:3], 0 offen
	buffer_load_dword v3, v5, s[0:3], 0 offen offset:4
	buffer_load_dword v4, v5, s[0:3], 0 offen offset:8
	;; [unrolled: 1-line block ×3, first 2 shown]
	buffer_store_dword v1, off, s[0:3], 0 offset:656
	buffer_store_dword v1, off, s[0:3], 0 offset:660
	;; [unrolled: 1-line block ×4, first 2 shown]
	s_waitcnt vmcnt(0)
	ds_write_b128 v85, v[2:5]
.LBB50_239:
	s_or_b32 exec_lo, exec_lo, s4
	s_waitcnt lgkmcnt(0)
	s_waitcnt_vscnt null, 0x0
	s_barrier
	buffer_gl0_inv
	s_clause 0x2b
	buffer_load_dword v10, off, s[0:3], 0 offset:680
	buffer_load_dword v11, off, s[0:3], 0 offset:684
	;; [unrolled: 1-line block ×44, first 2 shown]
	ds_read_b128 v[2:5], v1 offset:1472
	ds_read_b128 v[6:9], v1 offset:1488
	s_mov_b32 s4, exec_lo
	s_waitcnt vmcnt(42) lgkmcnt(1)
	v_mul_f64 v[73:74], v[4:5], v[10:11]
	v_mul_f64 v[75:76], v[2:3], v[10:11]
	s_waitcnt vmcnt(40) lgkmcnt(0)
	v_mul_f64 v[77:78], v[8:9], v[14:15]
	ds_read_b128 v[10:13], v1 offset:1504
	v_mul_f64 v[14:15], v[6:7], v[14:15]
	s_waitcnt vmcnt(38)
	v_fma_f64 v[73:74], v[2:3], v[16:17], -v[73:74]
	v_fma_f64 v[16:17], v[4:5], v[16:17], v[75:76]
	ds_read_b128 v[2:5], v1 offset:1520
	s_waitcnt vmcnt(36) lgkmcnt(1)
	v_mul_f64 v[75:76], v[10:11], v[18:19]
	v_mul_f64 v[18:19], v[12:13], v[18:19]
	s_waitcnt vmcnt(34)
	v_fma_f64 v[77:78], v[6:7], v[20:21], -v[77:78]
	v_fma_f64 v[14:15], v[8:9], v[20:21], v[14:15]
	ds_read_b128 v[6:9], v1 offset:1536
	s_waitcnt vmcnt(30) lgkmcnt(1)
	v_mul_f64 v[20:21], v[2:3], v[22:23]
	v_add_f64 v[73:74], v[73:74], 0
	v_add_f64 v[16:17], v[16:17], 0
	v_mul_f64 v[22:23], v[4:5], v[22:23]
	s_waitcnt vmcnt(28)
	v_fma_f64 v[18:19], v[10:11], v[28:29], -v[18:19]
	v_fma_f64 v[28:29], v[12:13], v[28:29], v[75:76]
	ds_read_b128 v[10:13], v1 offset:1552
	s_waitcnt vmcnt(25)
	v_fma_f64 v[20:21], v[4:5], v[30:31], v[20:21]
	v_add_f64 v[73:74], v[73:74], v[77:78]
	v_add_f64 v[14:15], v[16:17], v[14:15]
	s_waitcnt lgkmcnt(1)
	v_mul_f64 v[16:17], v[6:7], v[24:25]
	v_mul_f64 v[24:25], v[8:9], v[24:25]
	v_fma_f64 v[22:23], v[2:3], v[30:31], -v[22:23]
	s_waitcnt vmcnt(21) lgkmcnt(0)
	v_mul_f64 v[30:31], v[12:13], v[32:33]
	ds_read_b128 v[2:5], v1 offset:1568
	v_add_f64 v[18:19], v[73:74], v[18:19]
	v_add_f64 v[14:15], v[14:15], v[28:29]
	v_mul_f64 v[28:29], v[10:11], v[32:33]
	s_waitcnt vmcnt(20)
	v_fma_f64 v[24:25], v[6:7], v[26:27], -v[24:25]
	v_fma_f64 v[16:17], v[8:9], v[26:27], v[16:17]
	ds_read_b128 v[6:9], v1 offset:1584
	s_waitcnt vmcnt(17)
	v_fma_f64 v[26:27], v[10:11], v[55:56], -v[30:31]
	v_add_f64 v[18:19], v[18:19], v[22:23]
	v_add_f64 v[14:15], v[14:15], v[20:21]
	s_waitcnt lgkmcnt(1)
	v_mul_f64 v[22:23], v[4:5], v[34:35]
	v_mul_f64 v[20:21], v[2:3], v[34:35]
	v_add_f64 v[18:19], v[18:19], v[24:25]
	v_fma_f64 v[24:25], v[12:13], v[55:56], v[28:29]
	v_add_f64 v[14:15], v[14:15], v[16:17]
	s_waitcnt vmcnt(13) lgkmcnt(0)
	v_mul_f64 v[28:29], v[8:9], v[57:58]
	s_waitcnt vmcnt(12)
	v_fma_f64 v[22:23], v[2:3], v[53:54], -v[22:23]
	ds_read_b128 v[10:13], v1 offset:1600
	v_mul_f64 v[16:17], v[6:7], v[57:58]
	v_fma_f64 v[20:21], v[4:5], v[53:54], v[20:21]
	ds_read_b128 v[1:4], v1 offset:1616
	v_add_f64 v[18:19], v[18:19], v[26:27]
	v_add_f64 v[14:15], v[14:15], v[24:25]
	s_waitcnt vmcnt(11) lgkmcnt(1)
	v_mul_f64 v[26:27], v[12:13], v[59:60]
	s_waitcnt vmcnt(9)
	v_fma_f64 v[5:6], v[6:7], v[63:64], -v[28:29]
	v_mul_f64 v[24:25], v[10:11], v[59:60]
	v_fma_f64 v[7:8], v[8:9], v[63:64], v[16:17]
	s_waitcnt vmcnt(7) lgkmcnt(0)
	v_mul_f64 v[16:17], v[1:2], v[65:66]
	v_add_f64 v[18:19], v[18:19], v[22:23]
	v_add_f64 v[14:15], v[14:15], v[20:21]
	v_mul_f64 v[20:21], v[3:4], v[65:66]
	s_waitcnt vmcnt(6)
	v_fma_f64 v[9:10], v[10:11], v[61:62], -v[26:27]
	v_fma_f64 v[11:12], v[12:13], v[61:62], v[24:25]
	s_waitcnt vmcnt(4)
	v_fma_f64 v[3:4], v[3:4], v[67:68], v[16:17]
	v_add_f64 v[5:6], v[18:19], v[5:6]
	v_add_f64 v[7:8], v[14:15], v[7:8]
	v_fma_f64 v[1:2], v[1:2], v[67:68], -v[20:21]
	v_add_f64 v[5:6], v[5:6], v[9:10]
	v_add_f64 v[7:8], v[7:8], v[11:12]
	;; [unrolled: 1-line block ×4, first 2 shown]
	s_waitcnt vmcnt(2)
	v_add_f64 v[1:2], v[69:70], -v[1:2]
	s_waitcnt vmcnt(0)
	v_add_f64 v[3:4], v[71:72], -v[3:4]
	buffer_store_dword v2, off, s[0:3], 0 offset:660
	buffer_store_dword v1, off, s[0:3], 0 offset:656
	;; [unrolled: 1-line block ×4, first 2 shown]
	v_cmpx_lt_u32_e32 39, v0
	s_cbranch_execz .LBB50_241
; %bb.240:
	v_mov_b32_e32 v4, s23
	v_mov_b32_e32 v5, 0
	s_clause 0x3
	buffer_load_dword v1, v4, s[0:3], 0 offen
	buffer_load_dword v2, v4, s[0:3], 0 offen offset:4
	buffer_load_dword v3, v4, s[0:3], 0 offen offset:8
	;; [unrolled: 1-line block ×3, first 2 shown]
	buffer_store_dword v5, off, s[0:3], 0 offset:640
	buffer_store_dword v5, off, s[0:3], 0 offset:644
	;; [unrolled: 1-line block ×4, first 2 shown]
	s_waitcnt vmcnt(0)
	ds_write_b128 v85, v[1:4]
.LBB50_241:
	s_or_b32 exec_lo, exec_lo, s4
	s_waitcnt lgkmcnt(0)
	s_waitcnt_vscnt null, 0x0
	s_barrier
	buffer_gl0_inv
	s_clause 0x2f
	buffer_load_dword v10, off, s[0:3], 0 offset:664
	buffer_load_dword v11, off, s[0:3], 0 offset:668
	;; [unrolled: 1-line block ×48, first 2 shown]
	v_mov_b32_e32 v1, 0
	ds_read_b128 v[2:5], v1 offset:1456
	ds_read_b128 v[6:9], v1 offset:1472
	s_mov_b32 s4, exec_lo
	s_waitcnt vmcnt(46) lgkmcnt(1)
	v_mul_f64 v[77:78], v[4:5], v[10:11]
	v_mul_f64 v[79:80], v[2:3], v[10:11]
	s_waitcnt vmcnt(44) lgkmcnt(0)
	v_mul_f64 v[81:82], v[8:9], v[14:15]
	ds_read_b128 v[10:13], v1 offset:1488
	v_mul_f64 v[14:15], v[6:7], v[14:15]
	s_waitcnt vmcnt(42)
	v_fma_f64 v[77:78], v[2:3], v[16:17], -v[77:78]
	v_fma_f64 v[16:17], v[4:5], v[16:17], v[79:80]
	ds_read_b128 v[2:5], v1 offset:1504
	s_waitcnt vmcnt(40) lgkmcnt(1)
	v_mul_f64 v[79:80], v[10:11], v[18:19]
	v_mul_f64 v[18:19], v[12:13], v[18:19]
	s_waitcnt vmcnt(38)
	v_fma_f64 v[81:82], v[6:7], v[20:21], -v[81:82]
	v_fma_f64 v[14:15], v[8:9], v[20:21], v[14:15]
	ds_read_b128 v[6:9], v1 offset:1520
	s_waitcnt vmcnt(34) lgkmcnt(1)
	v_mul_f64 v[20:21], v[2:3], v[22:23]
	v_add_f64 v[77:78], v[77:78], 0
	v_add_f64 v[16:17], v[16:17], 0
	v_mul_f64 v[22:23], v[4:5], v[22:23]
	s_waitcnt vmcnt(32)
	v_fma_f64 v[18:19], v[10:11], v[28:29], -v[18:19]
	v_fma_f64 v[28:29], v[12:13], v[28:29], v[79:80]
	ds_read_b128 v[10:13], v1 offset:1536
	s_waitcnt vmcnt(29)
	v_fma_f64 v[20:21], v[4:5], v[30:31], v[20:21]
	v_add_f64 v[77:78], v[77:78], v[81:82]
	v_add_f64 v[14:15], v[16:17], v[14:15]
	s_waitcnt lgkmcnt(1)
	v_mul_f64 v[16:17], v[6:7], v[24:25]
	v_mul_f64 v[24:25], v[8:9], v[24:25]
	v_fma_f64 v[22:23], v[2:3], v[30:31], -v[22:23]
	s_waitcnt vmcnt(25) lgkmcnt(0)
	v_mul_f64 v[30:31], v[12:13], v[32:33]
	ds_read_b128 v[2:5], v1 offset:1552
	v_add_f64 v[18:19], v[77:78], v[18:19]
	v_add_f64 v[14:15], v[14:15], v[28:29]
	v_mul_f64 v[28:29], v[10:11], v[32:33]
	s_waitcnt vmcnt(24)
	v_fma_f64 v[24:25], v[6:7], v[26:27], -v[24:25]
	v_fma_f64 v[16:17], v[8:9], v[26:27], v[16:17]
	ds_read_b128 v[6:9], v1 offset:1568
	s_waitcnt vmcnt(21)
	v_fma_f64 v[26:27], v[10:11], v[55:56], -v[30:31]
	v_add_f64 v[18:19], v[18:19], v[22:23]
	v_add_f64 v[14:15], v[14:15], v[20:21]
	s_waitcnt lgkmcnt(1)
	v_mul_f64 v[22:23], v[4:5], v[34:35]
	v_mul_f64 v[20:21], v[2:3], v[34:35]
	v_add_f64 v[18:19], v[18:19], v[24:25]
	v_fma_f64 v[24:25], v[12:13], v[55:56], v[28:29]
	v_add_f64 v[14:15], v[14:15], v[16:17]
	s_waitcnt vmcnt(17) lgkmcnt(0)
	v_mul_f64 v[28:29], v[8:9], v[57:58]
	s_waitcnt vmcnt(16)
	v_fma_f64 v[22:23], v[2:3], v[53:54], -v[22:23]
	ds_read_b128 v[10:13], v1 offset:1584
	v_mul_f64 v[16:17], v[6:7], v[57:58]
	v_fma_f64 v[20:21], v[4:5], v[53:54], v[20:21]
	ds_read_b128 v[2:5], v1 offset:1600
	v_add_f64 v[18:19], v[18:19], v[26:27]
	v_add_f64 v[14:15], v[14:15], v[24:25]
	s_waitcnt vmcnt(15) lgkmcnt(1)
	v_mul_f64 v[26:27], v[12:13], v[59:60]
	s_waitcnt vmcnt(13)
	v_fma_f64 v[28:29], v[6:7], v[63:64], -v[28:29]
	v_mul_f64 v[24:25], v[10:11], v[59:60]
	v_fma_f64 v[16:17], v[8:9], v[63:64], v[16:17]
	ds_read_b128 v[6:9], v1 offset:1616
	v_add_f64 v[18:19], v[18:19], v[22:23]
	s_waitcnt vmcnt(9) lgkmcnt(1)
	v_mul_f64 v[22:23], v[4:5], v[65:66]
	v_add_f64 v[14:15], v[14:15], v[20:21]
	s_waitcnt vmcnt(8)
	v_fma_f64 v[10:11], v[10:11], v[61:62], -v[26:27]
	v_mul_f64 v[20:21], v[2:3], v[65:66]
	v_fma_f64 v[12:13], v[12:13], v[61:62], v[24:25]
	s_waitcnt vmcnt(7) lgkmcnt(0)
	v_mul_f64 v[24:25], v[8:9], v[67:68]
	v_add_f64 v[18:19], v[18:19], v[28:29]
	s_waitcnt vmcnt(5)
	v_fma_f64 v[2:3], v[2:3], v[71:72], -v[22:23]
	v_add_f64 v[14:15], v[14:15], v[16:17]
	v_mul_f64 v[16:17], v[6:7], v[67:68]
	v_fma_f64 v[4:5], v[4:5], v[71:72], v[20:21]
	s_waitcnt vmcnt(4)
	v_fma_f64 v[6:7], v[6:7], v[69:70], -v[24:25]
	v_add_f64 v[10:11], v[18:19], v[10:11]
	v_add_f64 v[12:13], v[14:15], v[12:13]
	v_fma_f64 v[8:9], v[8:9], v[69:70], v[16:17]
	v_add_f64 v[2:3], v[10:11], v[2:3]
	v_add_f64 v[4:5], v[12:13], v[4:5]
	;; [unrolled: 1-line block ×4, first 2 shown]
	s_waitcnt vmcnt(2)
	v_add_f64 v[2:3], v[73:74], -v[2:3]
	s_waitcnt vmcnt(0)
	v_add_f64 v[4:5], v[75:76], -v[4:5]
	buffer_store_dword v3, off, s[0:3], 0 offset:644
	buffer_store_dword v2, off, s[0:3], 0 offset:640
	;; [unrolled: 1-line block ×4, first 2 shown]
	v_cmpx_lt_u32_e32 38, v0
	s_cbranch_execz .LBB50_243
; %bb.242:
	v_mov_b32_e32 v5, s24
	s_clause 0x3
	buffer_load_dword v2, v5, s[0:3], 0 offen
	buffer_load_dword v3, v5, s[0:3], 0 offen offset:4
	buffer_load_dword v4, v5, s[0:3], 0 offen offset:8
	;; [unrolled: 1-line block ×3, first 2 shown]
	buffer_store_dword v1, off, s[0:3], 0 offset:624
	buffer_store_dword v1, off, s[0:3], 0 offset:628
	;; [unrolled: 1-line block ×4, first 2 shown]
	s_waitcnt vmcnt(0)
	ds_write_b128 v85, v[2:5]
.LBB50_243:
	s_or_b32 exec_lo, exec_lo, s4
	s_waitcnt lgkmcnt(0)
	s_waitcnt_vscnt null, 0x0
	s_barrier
	buffer_gl0_inv
	s_clause 0x2f
	buffer_load_dword v10, off, s[0:3], 0 offset:648
	buffer_load_dword v11, off, s[0:3], 0 offset:652
	;; [unrolled: 1-line block ×48, first 2 shown]
	ds_read_b128 v[2:5], v1 offset:1440
	s_clause 0x3
	buffer_load_dword v77, off, s[0:3], 0 offset:624
	buffer_load_dword v78, off, s[0:3], 0 offset:628
	buffer_load_dword v79, off, s[0:3], 0 offset:632
	buffer_load_dword v80, off, s[0:3], 0 offset:636
	ds_read_b128 v[6:9], v1 offset:1456
	s_mov_b32 s4, exec_lo
	s_waitcnt vmcnt(50) lgkmcnt(1)
	v_mul_f64 v[81:82], v[4:5], v[10:11]
	v_mul_f64 v[83:84], v[2:3], v[10:11]
	ds_read_b128 v[10:13], v1 offset:1472
	s_waitcnt vmcnt(48) lgkmcnt(1)
	v_mul_f64 v[86:87], v[8:9], v[14:15]
	v_mul_f64 v[14:15], v[6:7], v[14:15]
	s_waitcnt vmcnt(46)
	v_fma_f64 v[81:82], v[2:3], v[16:17], -v[81:82]
	v_fma_f64 v[16:17], v[4:5], v[16:17], v[83:84]
	s_waitcnt vmcnt(44) lgkmcnt(0)
	v_mul_f64 v[83:84], v[10:11], v[18:19]
	v_mul_f64 v[18:19], v[12:13], v[18:19]
	s_waitcnt vmcnt(42)
	v_fma_f64 v[86:87], v[6:7], v[20:21], -v[86:87]
	ds_read_b128 v[2:5], v1 offset:1488
	v_fma_f64 v[14:15], v[8:9], v[20:21], v[14:15]
	ds_read_b128 v[6:9], v1 offset:1504
	v_add_f64 v[81:82], v[81:82], 0
	v_add_f64 v[16:17], v[16:17], 0
	s_waitcnt vmcnt(38) lgkmcnt(1)
	v_mul_f64 v[20:21], v[2:3], v[22:23]
	v_mul_f64 v[22:23], v[4:5], v[22:23]
	s_waitcnt vmcnt(36)
	v_fma_f64 v[18:19], v[10:11], v[28:29], -v[18:19]
	v_fma_f64 v[28:29], v[12:13], v[28:29], v[83:84]
	ds_read_b128 v[10:13], v1 offset:1520
	v_add_f64 v[81:82], v[81:82], v[86:87]
	v_add_f64 v[14:15], v[16:17], v[14:15]
	s_waitcnt vmcnt(35) lgkmcnt(1)
	v_mul_f64 v[16:17], v[6:7], v[24:25]
	v_mul_f64 v[24:25], v[8:9], v[24:25]
	s_waitcnt vmcnt(33)
	v_fma_f64 v[22:23], v[2:3], v[30:31], -v[22:23]
	v_fma_f64 v[20:21], v[4:5], v[30:31], v[20:21]
	ds_read_b128 v[2:5], v1 offset:1536
	s_waitcnt vmcnt(29) lgkmcnt(1)
	v_mul_f64 v[30:31], v[12:13], v[32:33]
	v_add_f64 v[18:19], v[81:82], v[18:19]
	v_add_f64 v[14:15], v[14:15], v[28:29]
	v_mul_f64 v[28:29], v[10:11], v[32:33]
	s_waitcnt vmcnt(28)
	v_fma_f64 v[24:25], v[6:7], v[26:27], -v[24:25]
	v_fma_f64 v[16:17], v[8:9], v[26:27], v[16:17]
	ds_read_b128 v[6:9], v1 offset:1552
	s_waitcnt vmcnt(25)
	v_fma_f64 v[26:27], v[10:11], v[55:56], -v[30:31]
	v_add_f64 v[18:19], v[18:19], v[22:23]
	v_add_f64 v[14:15], v[14:15], v[20:21]
	s_waitcnt lgkmcnt(1)
	v_mul_f64 v[22:23], v[4:5], v[34:35]
	v_mul_f64 v[20:21], v[2:3], v[34:35]
	v_add_f64 v[18:19], v[18:19], v[24:25]
	v_fma_f64 v[24:25], v[12:13], v[55:56], v[28:29]
	v_add_f64 v[14:15], v[14:15], v[16:17]
	ds_read_b128 v[10:13], v1 offset:1568
	s_waitcnt vmcnt(21) lgkmcnt(1)
	v_mul_f64 v[28:29], v[8:9], v[57:58]
	s_waitcnt vmcnt(20)
	v_fma_f64 v[22:23], v[2:3], v[53:54], -v[22:23]
	v_mul_f64 v[16:17], v[6:7], v[57:58]
	v_fma_f64 v[20:21], v[4:5], v[53:54], v[20:21]
	ds_read_b128 v[2:5], v1 offset:1584
	v_add_f64 v[18:19], v[18:19], v[26:27]
	s_waitcnt vmcnt(19) lgkmcnt(1)
	v_mul_f64 v[26:27], v[12:13], v[59:60]
	v_add_f64 v[14:15], v[14:15], v[24:25]
	v_mul_f64 v[24:25], v[10:11], v[59:60]
	s_waitcnt vmcnt(17)
	v_fma_f64 v[28:29], v[6:7], v[63:64], -v[28:29]
	v_fma_f64 v[16:17], v[8:9], v[63:64], v[16:17]
	ds_read_b128 v[6:9], v1 offset:1600
	v_add_f64 v[18:19], v[18:19], v[22:23]
	s_waitcnt vmcnt(13) lgkmcnt(1)
	v_mul_f64 v[22:23], v[4:5], v[65:66]
	v_add_f64 v[14:15], v[14:15], v[20:21]
	s_waitcnt vmcnt(12)
	v_fma_f64 v[26:27], v[10:11], v[61:62], -v[26:27]
	v_mul_f64 v[20:21], v[2:3], v[65:66]
	v_fma_f64 v[24:25], v[12:13], v[61:62], v[24:25]
	ds_read_b128 v[10:13], v1 offset:1616
	v_add_f64 v[18:19], v[18:19], v[28:29]
	s_waitcnt vmcnt(11) lgkmcnt(1)
	v_mul_f64 v[28:29], v[8:9], v[67:68]
	v_add_f64 v[14:15], v[14:15], v[16:17]
	s_waitcnt vmcnt(9)
	v_fma_f64 v[1:2], v[2:3], v[71:72], -v[22:23]
	v_mul_f64 v[16:17], v[6:7], v[67:68]
	v_fma_f64 v[3:4], v[4:5], v[71:72], v[20:21]
	s_waitcnt vmcnt(7) lgkmcnt(0)
	v_mul_f64 v[22:23], v[12:13], v[73:74]
	v_mul_f64 v[20:21], v[10:11], v[73:74]
	v_add_f64 v[18:19], v[18:19], v[26:27]
	s_waitcnt vmcnt(6)
	v_fma_f64 v[5:6], v[6:7], v[69:70], -v[28:29]
	v_add_f64 v[14:15], v[14:15], v[24:25]
	v_fma_f64 v[7:8], v[8:9], v[69:70], v[16:17]
	s_waitcnt vmcnt(4)
	v_fma_f64 v[9:10], v[10:11], v[75:76], -v[22:23]
	v_add_f64 v[1:2], v[18:19], v[1:2]
	v_add_f64 v[3:4], v[14:15], v[3:4]
	;; [unrolled: 1-line block ×3, first 2 shown]
	v_fma_f64 v[5:6], v[12:13], v[75:76], v[20:21]
	v_add_f64 v[3:4], v[3:4], v[7:8]
	v_add_f64 v[1:2], v[1:2], v[9:10]
	;; [unrolled: 1-line block ×3, first 2 shown]
	s_waitcnt vmcnt(2)
	v_add_f64 v[1:2], v[77:78], -v[1:2]
	s_waitcnt vmcnt(0)
	v_add_f64 v[3:4], v[79:80], -v[3:4]
	buffer_store_dword v2, off, s[0:3], 0 offset:628
	buffer_store_dword v1, off, s[0:3], 0 offset:624
	;; [unrolled: 1-line block ×4, first 2 shown]
	v_cmpx_lt_u32_e32 37, v0
	s_cbranch_execz .LBB50_245
; %bb.244:
	v_mov_b32_e32 v4, s25
	v_mov_b32_e32 v5, 0
	s_clause 0x3
	buffer_load_dword v1, v4, s[0:3], 0 offen
	buffer_load_dword v2, v4, s[0:3], 0 offen offset:4
	buffer_load_dword v3, v4, s[0:3], 0 offen offset:8
	;; [unrolled: 1-line block ×3, first 2 shown]
	buffer_store_dword v5, off, s[0:3], 0 offset:608
	buffer_store_dword v5, off, s[0:3], 0 offset:612
	;; [unrolled: 1-line block ×4, first 2 shown]
	s_waitcnt vmcnt(0)
	ds_write_b128 v85, v[1:4]
.LBB50_245:
	s_or_b32 exec_lo, exec_lo, s4
	s_waitcnt lgkmcnt(0)
	s_waitcnt_vscnt null, 0x0
	s_barrier
	buffer_gl0_inv
	s_clause 0x33
	buffer_load_dword v10, off, s[0:3], 0 offset:632
	buffer_load_dword v11, off, s[0:3], 0 offset:636
	;; [unrolled: 1-line block ×52, first 2 shown]
	v_mov_b32_e32 v1, 0
	ds_read_b128 v[2:5], v1 offset:1424
	ds_read_b128 v[6:9], v1 offset:1440
	s_clause 0x3
	buffer_load_dword v86, off, s[0:3], 0 offset:608
	buffer_load_dword v87, off, s[0:3], 0 offset:612
	;; [unrolled: 1-line block ×4, first 2 shown]
	s_mov_b32 s4, exec_lo
	s_waitcnt vmcnt(54) lgkmcnt(1)
	v_mul_f64 v[81:82], v[4:5], v[10:11]
	v_mul_f64 v[83:84], v[2:3], v[10:11]
	s_waitcnt vmcnt(52) lgkmcnt(0)
	v_mul_f64 v[90:91], v[8:9], v[14:15]
	ds_read_b128 v[10:13], v1 offset:1456
	v_mul_f64 v[14:15], v[6:7], v[14:15]
	s_waitcnt vmcnt(50)
	v_fma_f64 v[81:82], v[2:3], v[16:17], -v[81:82]
	v_fma_f64 v[16:17], v[4:5], v[16:17], v[83:84]
	ds_read_b128 v[2:5], v1 offset:1472
	s_waitcnt vmcnt(48) lgkmcnt(1)
	v_mul_f64 v[83:84], v[10:11], v[18:19]
	v_mul_f64 v[18:19], v[12:13], v[18:19]
	s_waitcnt vmcnt(46)
	v_fma_f64 v[90:91], v[6:7], v[20:21], -v[90:91]
	v_fma_f64 v[14:15], v[8:9], v[20:21], v[14:15]
	ds_read_b128 v[6:9], v1 offset:1488
	s_waitcnt vmcnt(42) lgkmcnt(1)
	v_mul_f64 v[20:21], v[2:3], v[22:23]
	v_add_f64 v[81:82], v[81:82], 0
	v_add_f64 v[16:17], v[16:17], 0
	v_mul_f64 v[22:23], v[4:5], v[22:23]
	s_waitcnt vmcnt(40)
	v_fma_f64 v[18:19], v[10:11], v[28:29], -v[18:19]
	v_fma_f64 v[28:29], v[12:13], v[28:29], v[83:84]
	ds_read_b128 v[10:13], v1 offset:1504
	s_waitcnt vmcnt(37)
	v_fma_f64 v[20:21], v[4:5], v[30:31], v[20:21]
	v_add_f64 v[81:82], v[81:82], v[90:91]
	v_add_f64 v[14:15], v[16:17], v[14:15]
	s_waitcnt lgkmcnt(1)
	v_mul_f64 v[16:17], v[6:7], v[24:25]
	v_mul_f64 v[24:25], v[8:9], v[24:25]
	v_fma_f64 v[22:23], v[2:3], v[30:31], -v[22:23]
	s_waitcnt vmcnt(33) lgkmcnt(0)
	v_mul_f64 v[30:31], v[12:13], v[32:33]
	ds_read_b128 v[2:5], v1 offset:1520
	v_add_f64 v[18:19], v[81:82], v[18:19]
	v_add_f64 v[14:15], v[14:15], v[28:29]
	v_mul_f64 v[28:29], v[10:11], v[32:33]
	s_waitcnt vmcnt(32)
	v_fma_f64 v[24:25], v[6:7], v[26:27], -v[24:25]
	v_fma_f64 v[16:17], v[8:9], v[26:27], v[16:17]
	ds_read_b128 v[6:9], v1 offset:1536
	s_waitcnt vmcnt(29)
	v_fma_f64 v[26:27], v[10:11], v[55:56], -v[30:31]
	v_add_f64 v[18:19], v[18:19], v[22:23]
	v_add_f64 v[14:15], v[14:15], v[20:21]
	s_waitcnt lgkmcnt(1)
	v_mul_f64 v[22:23], v[4:5], v[34:35]
	v_mul_f64 v[20:21], v[2:3], v[34:35]
	v_add_f64 v[18:19], v[18:19], v[24:25]
	v_fma_f64 v[24:25], v[12:13], v[55:56], v[28:29]
	v_add_f64 v[14:15], v[14:15], v[16:17]
	s_waitcnt vmcnt(25) lgkmcnt(0)
	v_mul_f64 v[28:29], v[8:9], v[57:58]
	s_waitcnt vmcnt(24)
	v_fma_f64 v[22:23], v[2:3], v[53:54], -v[22:23]
	ds_read_b128 v[10:13], v1 offset:1552
	v_mul_f64 v[16:17], v[6:7], v[57:58]
	v_fma_f64 v[20:21], v[4:5], v[53:54], v[20:21]
	ds_read_b128 v[2:5], v1 offset:1568
	v_add_f64 v[18:19], v[18:19], v[26:27]
	v_add_f64 v[14:15], v[14:15], v[24:25]
	s_waitcnt vmcnt(23) lgkmcnt(1)
	v_mul_f64 v[26:27], v[12:13], v[59:60]
	s_waitcnt vmcnt(21)
	v_fma_f64 v[28:29], v[6:7], v[63:64], -v[28:29]
	v_mul_f64 v[24:25], v[10:11], v[59:60]
	v_fma_f64 v[16:17], v[8:9], v[63:64], v[16:17]
	ds_read_b128 v[6:9], v1 offset:1584
	v_add_f64 v[18:19], v[18:19], v[22:23]
	s_waitcnt vmcnt(17) lgkmcnt(1)
	v_mul_f64 v[22:23], v[4:5], v[65:66]
	v_add_f64 v[14:15], v[14:15], v[20:21]
	s_waitcnt vmcnt(16)
	v_fma_f64 v[26:27], v[10:11], v[61:62], -v[26:27]
	v_mul_f64 v[20:21], v[2:3], v[65:66]
	v_fma_f64 v[24:25], v[12:13], v[61:62], v[24:25]
	ds_read_b128 v[10:13], v1 offset:1600
	v_add_f64 v[18:19], v[18:19], v[28:29]
	s_waitcnt vmcnt(15) lgkmcnt(1)
	v_mul_f64 v[28:29], v[8:9], v[67:68]
	v_add_f64 v[14:15], v[14:15], v[16:17]
	;; [unrolled: 9-line block ×3, first 2 shown]
	s_waitcnt vmcnt(8)
	v_fma_f64 v[6:7], v[6:7], v[69:70], -v[28:29]
	v_mul_f64 v[24:25], v[10:11], v[73:74]
	v_fma_f64 v[8:9], v[8:9], v[69:70], v[16:17]
	s_waitcnt vmcnt(7) lgkmcnt(0)
	v_mul_f64 v[16:17], v[2:3], v[75:76]
	v_add_f64 v[18:19], v[18:19], v[22:23]
	s_waitcnt vmcnt(5)
	v_fma_f64 v[10:11], v[10:11], v[79:80], -v[26:27]
	v_add_f64 v[14:15], v[14:15], v[20:21]
	v_mul_f64 v[20:21], v[4:5], v[75:76]
	v_fma_f64 v[12:13], v[12:13], v[79:80], v[24:25]
	s_waitcnt vmcnt(4)
	v_fma_f64 v[4:5], v[4:5], v[77:78], v[16:17]
	v_add_f64 v[6:7], v[18:19], v[6:7]
	v_add_f64 v[8:9], v[14:15], v[8:9]
	v_fma_f64 v[2:3], v[2:3], v[77:78], -v[20:21]
	v_add_f64 v[6:7], v[6:7], v[10:11]
	v_add_f64 v[8:9], v[8:9], v[12:13]
	;; [unrolled: 1-line block ×4, first 2 shown]
	s_waitcnt vmcnt(2)
	v_add_f64 v[2:3], v[86:87], -v[2:3]
	s_waitcnt vmcnt(0)
	v_add_f64 v[4:5], v[88:89], -v[4:5]
	buffer_store_dword v3, off, s[0:3], 0 offset:612
	buffer_store_dword v2, off, s[0:3], 0 offset:608
	;; [unrolled: 1-line block ×4, first 2 shown]
	v_cmpx_lt_u32_e32 36, v0
	s_cbranch_execz .LBB50_247
; %bb.246:
	v_mov_b32_e32 v5, s26
	s_clause 0x3
	buffer_load_dword v2, v5, s[0:3], 0 offen
	buffer_load_dword v3, v5, s[0:3], 0 offen offset:4
	buffer_load_dword v4, v5, s[0:3], 0 offen offset:8
	;; [unrolled: 1-line block ×3, first 2 shown]
	buffer_store_dword v1, off, s[0:3], 0 offset:592
	buffer_store_dword v1, off, s[0:3], 0 offset:596
	;; [unrolled: 1-line block ×4, first 2 shown]
	s_waitcnt vmcnt(0)
	ds_write_b128 v85, v[2:5]
.LBB50_247:
	s_or_b32 exec_lo, exec_lo, s4
	s_waitcnt lgkmcnt(0)
	s_waitcnt_vscnt null, 0x0
	s_barrier
	buffer_gl0_inv
	s_clause 0x35
	buffer_load_dword v10, off, s[0:3], 0 offset:616
	buffer_load_dword v11, off, s[0:3], 0 offset:620
	;; [unrolled: 1-line block ×54, first 2 shown]
	ds_read_b128 v[2:5], v1 offset:1408
	s_clause 0x1
	buffer_load_dword v84, off, s[0:3], 0 offset:820
	buffer_load_dword v83, off, s[0:3], 0 offset:816
	ds_read_b128 v[6:9], v1 offset:1424
	s_mov_b32 s4, exec_lo
	s_waitcnt vmcnt(54) lgkmcnt(1)
	v_mul_f64 v[86:87], v[4:5], v[10:11]
	v_mul_f64 v[88:89], v[2:3], v[10:11]
	ds_read_b128 v[10:13], v1 offset:1440
	s_waitcnt vmcnt(52) lgkmcnt(1)
	v_mul_f64 v[90:91], v[8:9], v[14:15]
	v_mul_f64 v[14:15], v[6:7], v[14:15]
	s_waitcnt vmcnt(48) lgkmcnt(0)
	v_mul_f64 v[94:95], v[10:11], v[18:19]
	v_fma_f64 v[86:87], v[2:3], v[16:17], -v[86:87]
	v_fma_f64 v[16:17], v[4:5], v[16:17], v[88:89]
	s_clause 0x3
	buffer_load_dword v88, off, s[0:3], 0 offset:592
	buffer_load_dword v89, off, s[0:3], 0 offset:596
	;; [unrolled: 1-line block ×4, first 2 shown]
	v_mul_f64 v[18:19], v[12:13], v[18:19]
	s_waitcnt vmcnt(50)
	v_fma_f64 v[90:91], v[6:7], v[20:21], -v[90:91]
	ds_read_b128 v[2:5], v1 offset:1456
	v_fma_f64 v[14:15], v[8:9], v[20:21], v[14:15]
	ds_read_b128 v[6:9], v1 offset:1472
	v_add_f64 v[86:87], v[86:87], 0
	v_add_f64 v[16:17], v[16:17], 0
	s_waitcnt vmcnt(46) lgkmcnt(1)
	v_mul_f64 v[20:21], v[2:3], v[22:23]
	v_mul_f64 v[22:23], v[4:5], v[22:23]
	s_waitcnt vmcnt(44)
	v_fma_f64 v[18:19], v[10:11], v[28:29], -v[18:19]
	v_fma_f64 v[28:29], v[12:13], v[28:29], v[94:95]
	ds_read_b128 v[10:13], v1 offset:1488
	v_add_f64 v[86:87], v[86:87], v[90:91]
	v_add_f64 v[14:15], v[16:17], v[14:15]
	s_waitcnt vmcnt(43) lgkmcnt(1)
	v_mul_f64 v[16:17], v[6:7], v[24:25]
	v_mul_f64 v[24:25], v[8:9], v[24:25]
	s_waitcnt vmcnt(41)
	v_fma_f64 v[22:23], v[2:3], v[30:31], -v[22:23]
	v_fma_f64 v[20:21], v[4:5], v[30:31], v[20:21]
	ds_read_b128 v[2:5], v1 offset:1504
	s_waitcnt vmcnt(37) lgkmcnt(1)
	v_mul_f64 v[30:31], v[12:13], v[32:33]
	v_add_f64 v[18:19], v[86:87], v[18:19]
	v_add_f64 v[14:15], v[14:15], v[28:29]
	v_mul_f64 v[28:29], v[10:11], v[32:33]
	s_waitcnt vmcnt(36)
	v_fma_f64 v[24:25], v[6:7], v[26:27], -v[24:25]
	v_fma_f64 v[16:17], v[8:9], v[26:27], v[16:17]
	ds_read_b128 v[6:9], v1 offset:1520
	s_waitcnt vmcnt(33)
	v_fma_f64 v[26:27], v[10:11], v[55:56], -v[30:31]
	v_add_f64 v[18:19], v[18:19], v[22:23]
	v_add_f64 v[14:15], v[14:15], v[20:21]
	s_waitcnt lgkmcnt(1)
	v_mul_f64 v[22:23], v[4:5], v[34:35]
	v_mul_f64 v[20:21], v[2:3], v[34:35]
	v_add_f64 v[18:19], v[18:19], v[24:25]
	v_fma_f64 v[24:25], v[12:13], v[55:56], v[28:29]
	v_add_f64 v[14:15], v[14:15], v[16:17]
	ds_read_b128 v[10:13], v1 offset:1536
	s_waitcnt vmcnt(29) lgkmcnt(1)
	v_mul_f64 v[28:29], v[8:9], v[57:58]
	s_waitcnt vmcnt(28)
	v_fma_f64 v[22:23], v[2:3], v[53:54], -v[22:23]
	v_mul_f64 v[16:17], v[6:7], v[57:58]
	v_fma_f64 v[20:21], v[4:5], v[53:54], v[20:21]
	ds_read_b128 v[2:5], v1 offset:1552
	v_add_f64 v[18:19], v[18:19], v[26:27]
	s_waitcnt vmcnt(27) lgkmcnt(1)
	v_mul_f64 v[26:27], v[12:13], v[59:60]
	v_add_f64 v[14:15], v[14:15], v[24:25]
	v_mul_f64 v[24:25], v[10:11], v[59:60]
	s_waitcnt vmcnt(25)
	v_fma_f64 v[28:29], v[6:7], v[63:64], -v[28:29]
	v_fma_f64 v[16:17], v[8:9], v[63:64], v[16:17]
	ds_read_b128 v[6:9], v1 offset:1568
	v_add_f64 v[18:19], v[18:19], v[22:23]
	s_waitcnt vmcnt(21) lgkmcnt(1)
	v_mul_f64 v[22:23], v[4:5], v[65:66]
	v_add_f64 v[14:15], v[14:15], v[20:21]
	s_waitcnt vmcnt(20)
	v_fma_f64 v[26:27], v[10:11], v[61:62], -v[26:27]
	v_mul_f64 v[20:21], v[2:3], v[65:66]
	v_fma_f64 v[24:25], v[12:13], v[61:62], v[24:25]
	ds_read_b128 v[10:13], v1 offset:1584
	v_add_f64 v[18:19], v[18:19], v[28:29]
	s_waitcnt vmcnt(19) lgkmcnt(1)
	v_mul_f64 v[28:29], v[8:9], v[67:68]
	v_add_f64 v[14:15], v[14:15], v[16:17]
	s_waitcnt vmcnt(17)
	v_fma_f64 v[22:23], v[2:3], v[71:72], -v[22:23]
	v_mul_f64 v[16:17], v[6:7], v[67:68]
	;; [unrolled: 9-line block ×4, first 2 shown]
	v_fma_f64 v[12:13], v[12:13], v[79:80], v[24:25]
	s_waitcnt vmcnt(7) lgkmcnt(0)
	v_mul_f64 v[24:25], v[8:9], v[81:82]
	v_add_f64 v[18:19], v[18:19], v[28:29]
	s_waitcnt vmcnt(6)
	v_fma_f64 v[1:2], v[2:3], v[77:78], -v[22:23]
	v_add_f64 v[14:15], v[14:15], v[16:17]
	v_mul_f64 v[16:17], v[6:7], v[81:82]
	v_fma_f64 v[3:4], v[4:5], v[77:78], v[20:21]
	s_waitcnt vmcnt(4)
	v_fma_f64 v[5:6], v[6:7], v[83:84], -v[24:25]
	v_add_f64 v[10:11], v[18:19], v[10:11]
	v_add_f64 v[12:13], v[14:15], v[12:13]
	v_fma_f64 v[7:8], v[8:9], v[83:84], v[16:17]
	v_add_f64 v[1:2], v[10:11], v[1:2]
	v_add_f64 v[3:4], v[12:13], v[3:4]
	;; [unrolled: 1-line block ×4, first 2 shown]
	s_waitcnt vmcnt(2)
	v_add_f64 v[1:2], v[88:89], -v[1:2]
	s_waitcnt vmcnt(0)
	v_add_f64 v[3:4], v[92:93], -v[3:4]
	buffer_store_dword v2, off, s[0:3], 0 offset:596
	buffer_store_dword v1, off, s[0:3], 0 offset:592
	;; [unrolled: 1-line block ×4, first 2 shown]
	v_cmpx_lt_u32_e32 35, v0
	s_cbranch_execz .LBB50_249
; %bb.248:
	v_mov_b32_e32 v4, s27
	v_mov_b32_e32 v5, 0
	s_clause 0x3
	buffer_load_dword v1, v4, s[0:3], 0 offen
	buffer_load_dword v2, v4, s[0:3], 0 offen offset:4
	buffer_load_dword v3, v4, s[0:3], 0 offen offset:8
	;; [unrolled: 1-line block ×3, first 2 shown]
	buffer_store_dword v5, off, s[0:3], 0 offset:576
	buffer_store_dword v5, off, s[0:3], 0 offset:580
	buffer_store_dword v5, off, s[0:3], 0 offset:584
	buffer_store_dword v5, off, s[0:3], 0 offset:588
	s_waitcnt vmcnt(0)
	ds_write_b128 v85, v[1:4]
.LBB50_249:
	s_or_b32 exec_lo, exec_lo, s4
	s_waitcnt lgkmcnt(0)
	s_waitcnt_vscnt null, 0x0
	s_barrier
	buffer_gl0_inv
	s_clause 0x37
	buffer_load_dword v10, off, s[0:3], 0 offset:600
	buffer_load_dword v11, off, s[0:3], 0 offset:604
	buffer_load_dword v14, off, s[0:3], 0 offset:616
	buffer_load_dword v15, off, s[0:3], 0 offset:620
	buffer_load_dword v16, off, s[0:3], 0 offset:592
	buffer_load_dword v17, off, s[0:3], 0 offset:596
	buffer_load_dword v18, off, s[0:3], 0 offset:632
	buffer_load_dword v19, off, s[0:3], 0 offset:636
	buffer_load_dword v20, off, s[0:3], 0 offset:608
	buffer_load_dword v21, off, s[0:3], 0 offset:612
	buffer_load_dword v23, off, s[0:3], 0 offset:652
	buffer_load_dword v24, off, s[0:3], 0 offset:664
	buffer_load_dword v26, off, s[0:3], 0 offset:656
	buffer_load_dword v22, off, s[0:3], 0 offset:648
	buffer_load_dword v28, off, s[0:3], 0 offset:624
	buffer_load_dword v29, off, s[0:3], 0 offset:628
	buffer_load_dword v25, off, s[0:3], 0 offset:668
	buffer_load_dword v31, off, s[0:3], 0 offset:644
	buffer_load_dword v30, off, s[0:3], 0 offset:640
	buffer_load_dword v33, off, s[0:3], 0 offset:684
	buffer_load_dword v34, off, s[0:3], 0 offset:696
	buffer_load_dword v53, off, s[0:3], 0 offset:688
	buffer_load_dword v32, off, s[0:3], 0 offset:680
	buffer_load_dword v27, off, s[0:3], 0 offset:660
	buffer_load_dword v35, off, s[0:3], 0 offset:700
	buffer_load_dword v56, off, s[0:3], 0 offset:676
	buffer_load_dword v55, off, s[0:3], 0 offset:672
	buffer_load_dword v58, off, s[0:3], 0 offset:716
	buffer_load_dword v59, off, s[0:3], 0 offset:728
	buffer_load_dword v61, off, s[0:3], 0 offset:720
	buffer_load_dword v57, off, s[0:3], 0 offset:712
	buffer_load_dword v54, off, s[0:3], 0 offset:692
	buffer_load_dword v60, off, s[0:3], 0 offset:732
	buffer_load_dword v64, off, s[0:3], 0 offset:708
	buffer_load_dword v63, off, s[0:3], 0 offset:704
	buffer_load_dword v66, off, s[0:3], 0 offset:748
	buffer_load_dword v67, off, s[0:3], 0 offset:760
	buffer_load_dword v69, off, s[0:3], 0 offset:752
	buffer_load_dword v65, off, s[0:3], 0 offset:744
	buffer_load_dword v62, off, s[0:3], 0 offset:724
	buffer_load_dword v68, off, s[0:3], 0 offset:764
	buffer_load_dword v72, off, s[0:3], 0 offset:740
	buffer_load_dword v71, off, s[0:3], 0 offset:736
	buffer_load_dword v74, off, s[0:3], 0 offset:780
	buffer_load_dword v75, off, s[0:3], 0 offset:792
	buffer_load_dword v77, off, s[0:3], 0 offset:784
	buffer_load_dword v73, off, s[0:3], 0 offset:776
	buffer_load_dword v70, off, s[0:3], 0 offset:756
	buffer_load_dword v76, off, s[0:3], 0 offset:796
	buffer_load_dword v80, off, s[0:3], 0 offset:772
	buffer_load_dword v79, off, s[0:3], 0 offset:768
	buffer_load_dword v82, off, s[0:3], 0 offset:812
	buffer_load_dword v83, off, s[0:3], 0 offset:824
	buffer_load_dword v86, off, s[0:3], 0 offset:816
	buffer_load_dword v81, off, s[0:3], 0 offset:808
	buffer_load_dword v78, off, s[0:3], 0 offset:788
	v_mov_b32_e32 v1, 0
	s_mov_b32 s4, exec_lo
	ds_read_b128 v[2:5], v1 offset:1392
	s_clause 0x2
	buffer_load_dword v84, off, s[0:3], 0 offset:828
	buffer_load_dword v89, off, s[0:3], 0 offset:804
	;; [unrolled: 1-line block ×3, first 2 shown]
	ds_read_b128 v[6:9], v1 offset:1408
	buffer_load_dword v87, off, s[0:3], 0 offset:820
	s_waitcnt vmcnt(58) lgkmcnt(1)
	v_mul_f64 v[90:91], v[4:5], v[10:11]
	v_mul_f64 v[92:93], v[2:3], v[10:11]
	ds_read_b128 v[10:13], v1 offset:1424
	s_waitcnt vmcnt(56) lgkmcnt(1)
	v_mul_f64 v[94:95], v[8:9], v[14:15]
	v_mul_f64 v[14:15], v[6:7], v[14:15]
	s_waitcnt vmcnt(54)
	v_fma_f64 v[90:91], v[2:3], v[16:17], -v[90:91]
	v_fma_f64 v[16:17], v[4:5], v[16:17], v[92:93]
	s_waitcnt vmcnt(52) lgkmcnt(0)
	v_mul_f64 v[92:93], v[10:11], v[18:19]
	v_mul_f64 v[18:19], v[12:13], v[18:19]
	s_waitcnt vmcnt(50)
	v_fma_f64 v[94:95], v[6:7], v[20:21], -v[94:95]
	ds_read_b128 v[2:5], v1 offset:1440
	v_fma_f64 v[14:15], v[8:9], v[20:21], v[14:15]
	s_clause 0x3
	buffer_load_dword v20, off, s[0:3], 0 offset:576
	buffer_load_dword v21, off, s[0:3], 0 offset:580
	;; [unrolled: 1-line block ×4, first 2 shown]
	ds_read_b128 v[6:9], v1 offset:1456
	v_add_f64 v[90:91], v[90:91], 0
	v_add_f64 v[16:17], v[16:17], 0
	s_waitcnt vmcnt(50) lgkmcnt(1)
	v_mul_f64 v[98:99], v[2:3], v[22:23]
	v_mul_f64 v[22:23], v[4:5], v[22:23]
	s_waitcnt vmcnt(48)
	v_fma_f64 v[18:19], v[10:11], v[28:29], -v[18:19]
	v_fma_f64 v[28:29], v[12:13], v[28:29], v[92:93]
	ds_read_b128 v[10:13], v1 offset:1472
	v_add_f64 v[90:91], v[90:91], v[94:95]
	v_add_f64 v[14:15], v[16:17], v[14:15]
	s_waitcnt vmcnt(47) lgkmcnt(1)
	v_mul_f64 v[16:17], v[6:7], v[24:25]
	v_mul_f64 v[24:25], v[8:9], v[24:25]
	s_waitcnt vmcnt(45)
	v_fma_f64 v[22:23], v[2:3], v[30:31], -v[22:23]
	v_fma_f64 v[30:31], v[4:5], v[30:31], v[98:99]
	;; [unrolled: 9-line block ×3, first 2 shown]
	ds_read_b128 v[6:9], v1 offset:1504
	s_waitcnt vmcnt(39) lgkmcnt(1)
	v_mul_f64 v[26:27], v[4:5], v[34:35]
	v_add_f64 v[18:19], v[18:19], v[22:23]
	v_add_f64 v[14:15], v[14:15], v[30:31]
	v_mul_f64 v[22:23], v[2:3], v[34:35]
	s_waitcnt vmcnt(37)
	v_fma_f64 v[30:31], v[10:11], v[55:56], -v[32:33]
	s_waitcnt vmcnt(32)
	v_fma_f64 v[26:27], v[2:3], v[53:54], -v[26:27]
	v_add_f64 v[18:19], v[18:19], v[24:25]
	v_fma_f64 v[24:25], v[12:13], v[55:56], v[28:29]
	v_add_f64 v[14:15], v[14:15], v[16:17]
	s_waitcnt lgkmcnt(0)
	v_mul_f64 v[28:29], v[8:9], v[57:58]
	ds_read_b128 v[10:13], v1 offset:1520
	v_mul_f64 v[16:17], v[6:7], v[57:58]
	v_fma_f64 v[22:23], v[4:5], v[53:54], v[22:23]
	ds_read_b128 v[2:5], v1 offset:1536
	v_add_f64 v[18:19], v[18:19], v[30:31]
	v_add_f64 v[14:15], v[14:15], v[24:25]
	s_waitcnt vmcnt(31) lgkmcnt(1)
	v_mul_f64 v[30:31], v[12:13], v[59:60]
	s_waitcnt vmcnt(29)
	v_fma_f64 v[28:29], v[6:7], v[63:64], -v[28:29]
	v_mul_f64 v[24:25], v[10:11], v[59:60]
	v_fma_f64 v[16:17], v[8:9], v[63:64], v[16:17]
	ds_read_b128 v[6:9], v1 offset:1552
	v_add_f64 v[18:19], v[18:19], v[26:27]
	s_waitcnt vmcnt(25) lgkmcnt(1)
	v_mul_f64 v[26:27], v[4:5], v[65:66]
	v_add_f64 v[14:15], v[14:15], v[22:23]
	s_waitcnt vmcnt(24)
	v_fma_f64 v[30:31], v[10:11], v[61:62], -v[30:31]
	v_mul_f64 v[22:23], v[2:3], v[65:66]
	v_fma_f64 v[24:25], v[12:13], v[61:62], v[24:25]
	ds_read_b128 v[10:13], v1 offset:1568
	v_add_f64 v[18:19], v[18:19], v[28:29]
	s_waitcnt vmcnt(23) lgkmcnt(1)
	v_mul_f64 v[28:29], v[8:9], v[67:68]
	v_add_f64 v[14:15], v[14:15], v[16:17]
	;; [unrolled: 9-line block ×5, first 2 shown]
	s_waitcnt vmcnt(8)
	v_fma_f64 v[2:3], v[2:3], v[77:78], -v[26:27]
	v_mul_f64 v[16:17], v[6:7], v[81:82]
	v_fma_f64 v[4:5], v[4:5], v[77:78], v[22:23]
	s_waitcnt vmcnt(7) lgkmcnt(0)
	v_mul_f64 v[22:23], v[10:11], v[83:84]
	v_add_f64 v[18:19], v[18:19], v[30:31]
	s_waitcnt vmcnt(5)
	v_fma_f64 v[6:7], v[6:7], v[88:89], -v[28:29]
	v_add_f64 v[14:15], v[14:15], v[24:25]
	v_mul_f64 v[24:25], v[12:13], v[83:84]
	v_fma_f64 v[8:9], v[8:9], v[88:89], v[16:17]
	v_add_f64 v[2:3], v[18:19], v[2:3]
	v_add_f64 v[4:5], v[14:15], v[4:5]
	s_waitcnt vmcnt(4)
	v_fma_f64 v[10:11], v[10:11], v[86:87], -v[24:25]
	v_add_f64 v[2:3], v[2:3], v[6:7]
	v_fma_f64 v[6:7], v[12:13], v[86:87], v[22:23]
	v_add_f64 v[4:5], v[4:5], v[8:9]
	v_add_f64 v[2:3], v[2:3], v[10:11]
	v_add_f64 v[4:5], v[4:5], v[6:7]
	s_waitcnt vmcnt(2)
	v_add_f64 v[2:3], v[20:21], -v[2:3]
	s_waitcnt vmcnt(0)
	v_add_f64 v[4:5], v[96:97], -v[4:5]
	buffer_store_dword v3, off, s[0:3], 0 offset:580
	buffer_store_dword v2, off, s[0:3], 0 offset:576
	;; [unrolled: 1-line block ×4, first 2 shown]
	v_cmpx_lt_u32_e32 34, v0
	s_cbranch_execz .LBB50_251
; %bb.250:
	v_mov_b32_e32 v5, s28
	s_clause 0x3
	buffer_load_dword v2, v5, s[0:3], 0 offen
	buffer_load_dword v3, v5, s[0:3], 0 offen offset:4
	buffer_load_dword v4, v5, s[0:3], 0 offen offset:8
	;; [unrolled: 1-line block ×3, first 2 shown]
	buffer_store_dword v1, off, s[0:3], 0 offset:560
	buffer_store_dword v1, off, s[0:3], 0 offset:564
	;; [unrolled: 1-line block ×4, first 2 shown]
	s_waitcnt vmcnt(0)
	ds_write_b128 v85, v[2:5]
.LBB50_251:
	s_or_b32 exec_lo, exec_lo, s4
	s_waitcnt lgkmcnt(0)
	s_waitcnt_vscnt null, 0x0
	s_barrier
	buffer_gl0_inv
	s_clause 0x37
	buffer_load_dword v10, off, s[0:3], 0 offset:584
	buffer_load_dword v11, off, s[0:3], 0 offset:588
	buffer_load_dword v14, off, s[0:3], 0 offset:600
	buffer_load_dword v15, off, s[0:3], 0 offset:604
	buffer_load_dword v16, off, s[0:3], 0 offset:576
	buffer_load_dword v17, off, s[0:3], 0 offset:580
	buffer_load_dword v18, off, s[0:3], 0 offset:616
	buffer_load_dword v19, off, s[0:3], 0 offset:620
	buffer_load_dword v20, off, s[0:3], 0 offset:592
	buffer_load_dword v21, off, s[0:3], 0 offset:596
	buffer_load_dword v23, off, s[0:3], 0 offset:636
	buffer_load_dword v24, off, s[0:3], 0 offset:648
	buffer_load_dword v26, off, s[0:3], 0 offset:640
	buffer_load_dword v22, off, s[0:3], 0 offset:632
	buffer_load_dword v28, off, s[0:3], 0 offset:608
	buffer_load_dword v29, off, s[0:3], 0 offset:612
	buffer_load_dword v25, off, s[0:3], 0 offset:652
	buffer_load_dword v31, off, s[0:3], 0 offset:628
	buffer_load_dword v30, off, s[0:3], 0 offset:624
	buffer_load_dword v33, off, s[0:3], 0 offset:668
	buffer_load_dword v34, off, s[0:3], 0 offset:680
	buffer_load_dword v53, off, s[0:3], 0 offset:672
	buffer_load_dword v32, off, s[0:3], 0 offset:664
	buffer_load_dword v27, off, s[0:3], 0 offset:644
	buffer_load_dword v35, off, s[0:3], 0 offset:684
	buffer_load_dword v56, off, s[0:3], 0 offset:660
	buffer_load_dword v55, off, s[0:3], 0 offset:656
	buffer_load_dword v58, off, s[0:3], 0 offset:700
	buffer_load_dword v59, off, s[0:3], 0 offset:712
	buffer_load_dword v61, off, s[0:3], 0 offset:704
	buffer_load_dword v57, off, s[0:3], 0 offset:696
	buffer_load_dword v54, off, s[0:3], 0 offset:676
	buffer_load_dword v60, off, s[0:3], 0 offset:716
	buffer_load_dword v64, off, s[0:3], 0 offset:692
	buffer_load_dword v63, off, s[0:3], 0 offset:688
	buffer_load_dword v66, off, s[0:3], 0 offset:732
	buffer_load_dword v67, off, s[0:3], 0 offset:744
	buffer_load_dword v69, off, s[0:3], 0 offset:736
	buffer_load_dword v65, off, s[0:3], 0 offset:728
	buffer_load_dword v62, off, s[0:3], 0 offset:708
	buffer_load_dword v68, off, s[0:3], 0 offset:748
	buffer_load_dword v72, off, s[0:3], 0 offset:724
	buffer_load_dword v71, off, s[0:3], 0 offset:720
	buffer_load_dword v74, off, s[0:3], 0 offset:764
	buffer_load_dword v75, off, s[0:3], 0 offset:776
	buffer_load_dword v77, off, s[0:3], 0 offset:768
	buffer_load_dword v73, off, s[0:3], 0 offset:760
	buffer_load_dword v70, off, s[0:3], 0 offset:740
	buffer_load_dword v76, off, s[0:3], 0 offset:780
	buffer_load_dword v80, off, s[0:3], 0 offset:756
	buffer_load_dword v79, off, s[0:3], 0 offset:752
	buffer_load_dword v82, off, s[0:3], 0 offset:796
	buffer_load_dword v83, off, s[0:3], 0 offset:808
	buffer_load_dword v86, off, s[0:3], 0 offset:800
	buffer_load_dword v81, off, s[0:3], 0 offset:792
	buffer_load_dword v78, off, s[0:3], 0 offset:772
	ds_read_b128 v[2:5], v1 offset:1376
	s_clause 0x2
	buffer_load_dword v84, off, s[0:3], 0 offset:812
	buffer_load_dword v89, off, s[0:3], 0 offset:788
	;; [unrolled: 1-line block ×3, first 2 shown]
	ds_read_b128 v[6:9], v1 offset:1392
	s_clause 0x2
	buffer_load_dword v95, off, s[0:3], 0 offset:828
	buffer_load_dword v94, off, s[0:3], 0 offset:824
	;; [unrolled: 1-line block ×3, first 2 shown]
	s_mov_b32 s4, exec_lo
	s_waitcnt vmcnt(60) lgkmcnt(1)
	v_mul_f64 v[90:91], v[4:5], v[10:11]
	v_mul_f64 v[92:93], v[2:3], v[10:11]
	s_waitcnt vmcnt(58) lgkmcnt(0)
	v_mul_f64 v[96:97], v[8:9], v[14:15]
	ds_read_b128 v[10:13], v1 offset:1408
	v_mul_f64 v[14:15], v[6:7], v[14:15]
	s_waitcnt vmcnt(56)
	v_fma_f64 v[90:91], v[2:3], v[16:17], -v[90:91]
	v_fma_f64 v[16:17], v[4:5], v[16:17], v[92:93]
	s_clause 0x1
	buffer_load_dword v93, off, s[0:3], 0 offset:820
	buffer_load_dword v92, off, s[0:3], 0 offset:816
	s_waitcnt vmcnt(56) lgkmcnt(0)
	v_mul_f64 v[98:99], v[10:11], v[18:19]
	v_mul_f64 v[18:19], v[12:13], v[18:19]
	s_waitcnt vmcnt(54)
	v_fma_f64 v[96:97], v[6:7], v[20:21], -v[96:97]
	ds_read_b128 v[2:5], v1 offset:1424
	v_fma_f64 v[14:15], v[8:9], v[20:21], v[14:15]
	ds_read_b128 v[6:9], v1 offset:1440
	v_add_f64 v[90:91], v[90:91], 0
	v_add_f64 v[16:17], v[16:17], 0
	s_waitcnt vmcnt(50) lgkmcnt(1)
	v_mul_f64 v[20:21], v[2:3], v[22:23]
	v_mul_f64 v[22:23], v[4:5], v[22:23]
	s_waitcnt vmcnt(48)
	v_fma_f64 v[18:19], v[10:11], v[28:29], -v[18:19]
	v_fma_f64 v[28:29], v[12:13], v[28:29], v[98:99]
	s_waitcnt vmcnt(47) lgkmcnt(0)
	v_mul_f64 v[98:99], v[6:7], v[24:25]
	v_mul_f64 v[24:25], v[8:9], v[24:25]
	v_add_f64 v[90:91], v[90:91], v[96:97]
	v_add_f64 v[14:15], v[16:17], v[14:15]
	s_clause 0x3
	buffer_load_dword v16, off, s[0:3], 0 offset:560
	buffer_load_dword v17, off, s[0:3], 0 offset:564
	;; [unrolled: 1-line block ×4, first 2 shown]
	ds_read_b128 v[10:13], v1 offset:1456
	s_waitcnt vmcnt(49)
	v_fma_f64 v[20:21], v[4:5], v[30:31], v[20:21]
	v_fma_f64 v[22:23], v[2:3], v[30:31], -v[22:23]
	ds_read_b128 v[2:5], v1 offset:1472
	s_waitcnt vmcnt(44)
	v_fma_f64 v[24:25], v[6:7], v[26:27], -v[24:25]
	v_add_f64 v[18:19], v[90:91], v[18:19]
	v_add_f64 v[14:15], v[14:15], v[28:29]
	s_waitcnt lgkmcnt(1)
	v_mul_f64 v[30:31], v[12:13], v[32:33]
	v_mul_f64 v[28:29], v[10:11], v[32:33]
	v_add_f64 v[18:19], v[18:19], v[22:23]
	v_fma_f64 v[22:23], v[8:9], v[26:27], v[98:99]
	v_add_f64 v[14:15], v[14:15], v[20:21]
	s_waitcnt vmcnt(43) lgkmcnt(0)
	v_mul_f64 v[26:27], v[4:5], v[34:35]
	s_waitcnt vmcnt(41)
	v_fma_f64 v[30:31], v[10:11], v[55:56], -v[30:31]
	ds_read_b128 v[6:9], v1 offset:1488
	v_mul_f64 v[20:21], v[2:3], v[34:35]
	v_add_f64 v[18:19], v[18:19], v[24:25]
	v_fma_f64 v[24:25], v[12:13], v[55:56], v[28:29]
	v_add_f64 v[14:15], v[14:15], v[22:23]
	ds_read_b128 v[10:13], v1 offset:1504
	s_waitcnt vmcnt(37) lgkmcnt(1)
	v_mul_f64 v[28:29], v[8:9], v[57:58]
	s_waitcnt vmcnt(36)
	v_fma_f64 v[26:27], v[2:3], v[53:54], -v[26:27]
	v_mul_f64 v[22:23], v[6:7], v[57:58]
	v_fma_f64 v[20:21], v[4:5], v[53:54], v[20:21]
	ds_read_b128 v[2:5], v1 offset:1520
	v_add_f64 v[18:19], v[18:19], v[30:31]
	s_waitcnt vmcnt(35) lgkmcnt(1)
	v_mul_f64 v[30:31], v[12:13], v[59:60]
	v_add_f64 v[14:15], v[14:15], v[24:25]
	v_mul_f64 v[24:25], v[10:11], v[59:60]
	s_waitcnt vmcnt(33)
	v_fma_f64 v[28:29], v[6:7], v[63:64], -v[28:29]
	v_fma_f64 v[22:23], v[8:9], v[63:64], v[22:23]
	ds_read_b128 v[6:9], v1 offset:1536
	v_add_f64 v[18:19], v[18:19], v[26:27]
	s_waitcnt vmcnt(29) lgkmcnt(1)
	v_mul_f64 v[26:27], v[4:5], v[65:66]
	v_add_f64 v[14:15], v[14:15], v[20:21]
	s_waitcnt vmcnt(28)
	v_fma_f64 v[30:31], v[10:11], v[61:62], -v[30:31]
	v_mul_f64 v[20:21], v[2:3], v[65:66]
	v_fma_f64 v[24:25], v[12:13], v[61:62], v[24:25]
	ds_read_b128 v[10:13], v1 offset:1552
	v_add_f64 v[18:19], v[18:19], v[28:29]
	s_waitcnt vmcnt(27) lgkmcnt(1)
	v_mul_f64 v[28:29], v[8:9], v[67:68]
	v_add_f64 v[14:15], v[14:15], v[22:23]
	s_waitcnt vmcnt(25)
	v_fma_f64 v[26:27], v[2:3], v[71:72], -v[26:27]
	v_mul_f64 v[22:23], v[6:7], v[67:68]
	;; [unrolled: 9-line block ×6, first 2 shown]
	v_fma_f64 v[7:8], v[8:9], v[88:89], v[22:23]
	s_waitcnt vmcnt(7) lgkmcnt(0)
	v_mul_f64 v[22:23], v[3:4], v[94:95]
	v_add_f64 v[18:19], v[18:19], v[26:27]
	s_waitcnt vmcnt(6)
	v_fma_f64 v[9:10], v[10:11], v[86:87], -v[30:31]
	v_add_f64 v[14:15], v[14:15], v[20:21]
	v_mul_f64 v[20:21], v[1:2], v[94:95]
	v_fma_f64 v[11:12], v[12:13], v[86:87], v[24:25]
	v_add_f64 v[5:6], v[18:19], v[5:6]
	v_add_f64 v[7:8], v[14:15], v[7:8]
	s_waitcnt vmcnt(4)
	v_fma_f64 v[1:2], v[1:2], v[92:93], -v[22:23]
	v_fma_f64 v[3:4], v[3:4], v[92:93], v[20:21]
	v_add_f64 v[5:6], v[5:6], v[9:10]
	v_add_f64 v[7:8], v[7:8], v[11:12]
	;; [unrolled: 1-line block ×4, first 2 shown]
	s_waitcnt vmcnt(2)
	v_add_f64 v[1:2], v[16:17], -v[1:2]
	s_waitcnt vmcnt(0)
	v_add_f64 v[3:4], v[96:97], -v[3:4]
	buffer_store_dword v2, off, s[0:3], 0 offset:564
	buffer_store_dword v1, off, s[0:3], 0 offset:560
	;; [unrolled: 1-line block ×4, first 2 shown]
	v_cmpx_lt_u32_e32 33, v0
	s_cbranch_execz .LBB50_253
; %bb.252:
	v_mov_b32_e32 v4, s29
	v_mov_b32_e32 v5, 0
	s_clause 0x3
	buffer_load_dword v1, v4, s[0:3], 0 offen
	buffer_load_dword v2, v4, s[0:3], 0 offen offset:4
	buffer_load_dword v3, v4, s[0:3], 0 offen offset:8
	;; [unrolled: 1-line block ×3, first 2 shown]
	buffer_store_dword v5, off, s[0:3], 0 offset:544
	buffer_store_dword v5, off, s[0:3], 0 offset:548
	;; [unrolled: 1-line block ×4, first 2 shown]
	s_waitcnt vmcnt(0)
	ds_write_b128 v85, v[1:4]
.LBB50_253:
	s_or_b32 exec_lo, exec_lo, s4
	s_waitcnt lgkmcnt(0)
	s_waitcnt_vscnt null, 0x0
	s_barrier
	buffer_gl0_inv
	s_clause 0x37
	buffer_load_dword v10, off, s[0:3], 0 offset:568
	buffer_load_dword v11, off, s[0:3], 0 offset:572
	;; [unrolled: 1-line block ×56, first 2 shown]
	v_mov_b32_e32 v1, 0
	s_mov_b32 s4, exec_lo
	ds_read_b128 v[2:5], v1 offset:1360
	s_clause 0x2
	buffer_load_dword v84, off, s[0:3], 0 offset:796
	buffer_load_dword v89, off, s[0:3], 0 offset:772
	;; [unrolled: 1-line block ×3, first 2 shown]
	ds_read_b128 v[6:9], v1 offset:1376
	s_clause 0x4
	buffer_load_dword v95, off, s[0:3], 0 offset:812
	buffer_load_dword v96, off, s[0:3], 0 offset:824
	;; [unrolled: 1-line block ×5, first 2 shown]
	s_waitcnt vmcnt(62) lgkmcnt(1)
	v_mul_f64 v[90:91], v[4:5], v[10:11]
	v_mul_f64 v[92:93], v[2:3], v[10:11]
	s_waitcnt vmcnt(60) lgkmcnt(0)
	v_mul_f64 v[99:100], v[8:9], v[14:15]
	ds_read_b128 v[10:13], v1 offset:1392
	v_mul_f64 v[14:15], v[6:7], v[14:15]
	s_waitcnt vmcnt(58)
	v_fma_f64 v[90:91], v[2:3], v[16:17], -v[90:91]
	v_fma_f64 v[16:17], v[4:5], v[16:17], v[92:93]
	s_clause 0x2
	buffer_load_dword v97, off, s[0:3], 0 offset:828
	buffer_load_dword v93, off, s[0:3], 0 offset:804
	buffer_load_dword v92, off, s[0:3], 0 offset:800
	s_waitcnt vmcnt(59) lgkmcnt(0)
	v_mul_f64 v[101:102], v[10:11], v[18:19]
	v_mul_f64 v[18:19], v[12:13], v[18:19]
	s_waitcnt vmcnt(57)
	v_fma_f64 v[103:104], v[6:7], v[20:21], -v[99:100]
	ds_read_b128 v[2:5], v1 offset:1408
	v_fma_f64 v[14:15], v[8:9], v[20:21], v[14:15]
	buffer_load_dword v99, off, s[0:3], 0 offset:820
	ds_read_b128 v[6:9], v1 offset:1424
	v_add_f64 v[90:91], v[90:91], 0
	v_add_f64 v[16:17], v[16:17], 0
	s_waitcnt vmcnt(54) lgkmcnt(1)
	v_mul_f64 v[20:21], v[2:3], v[22:23]
	v_mul_f64 v[22:23], v[4:5], v[22:23]
	s_waitcnt vmcnt(52)
	v_fma_f64 v[18:19], v[10:11], v[28:29], -v[18:19]
	v_fma_f64 v[28:29], v[12:13], v[28:29], v[101:102]
	ds_read_b128 v[10:13], v1 offset:1440
	v_add_f64 v[90:91], v[90:91], v[103:104]
	v_add_f64 v[14:15], v[16:17], v[14:15]
	s_waitcnt vmcnt(51) lgkmcnt(1)
	v_mul_f64 v[16:17], v[6:7], v[24:25]
	v_mul_f64 v[24:25], v[8:9], v[24:25]
	s_waitcnt vmcnt(49)
	v_fma_f64 v[20:21], v[4:5], v[30:31], v[20:21]
	v_fma_f64 v[22:23], v[2:3], v[30:31], -v[22:23]
	v_add_f64 v[18:19], v[90:91], v[18:19]
	v_add_f64 v[14:15], v[14:15], v[28:29]
	s_clause 0x3
	buffer_load_dword v28, off, s[0:3], 0 offset:544
	buffer_load_dword v29, off, s[0:3], 0 offset:548
	buffer_load_dword v30, off, s[0:3], 0 offset:552
	buffer_load_dword v31, off, s[0:3], 0 offset:556
	s_waitcnt vmcnt(49) lgkmcnt(0)
	v_mul_f64 v[90:91], v[10:11], v[32:33]
	v_mul_f64 v[32:33], v[12:13], v[32:33]
	s_waitcnt vmcnt(48)
	v_fma_f64 v[24:25], v[6:7], v[26:27], -v[24:25]
	ds_read_b128 v[2:5], v1 offset:1456
	v_fma_f64 v[16:17], v[8:9], v[26:27], v[16:17]
	ds_read_b128 v[6:9], v1 offset:1472
	v_add_f64 v[18:19], v[18:19], v[22:23]
	v_add_f64 v[14:15], v[14:15], v[20:21]
	s_waitcnt vmcnt(47) lgkmcnt(1)
	v_mul_f64 v[22:23], v[4:5], v[34:35]
	s_waitcnt vmcnt(45)
	v_fma_f64 v[26:27], v[10:11], v[55:56], -v[32:33]
	v_mul_f64 v[20:21], v[2:3], v[34:35]
	s_waitcnt vmcnt(41) lgkmcnt(0)
	v_mul_f64 v[32:33], v[8:9], v[57:58]
	v_add_f64 v[18:19], v[18:19], v[24:25]
	v_fma_f64 v[24:25], v[12:13], v[55:56], v[90:91]
	v_add_f64 v[14:15], v[14:15], v[16:17]
	ds_read_b128 v[10:13], v1 offset:1488
	s_waitcnt vmcnt(40)
	v_fma_f64 v[22:23], v[2:3], v[53:54], -v[22:23]
	v_mul_f64 v[16:17], v[6:7], v[57:58]
	v_fma_f64 v[20:21], v[4:5], v[53:54], v[20:21]
	ds_read_b128 v[2:5], v1 offset:1504
	s_waitcnt vmcnt(37)
	v_fma_f64 v[32:33], v[6:7], v[63:64], -v[32:33]
	v_add_f64 v[18:19], v[18:19], v[26:27]
	s_waitcnt lgkmcnt(1)
	v_mul_f64 v[26:27], v[12:13], v[59:60]
	v_add_f64 v[14:15], v[14:15], v[24:25]
	v_mul_f64 v[24:25], v[10:11], v[59:60]
	v_fma_f64 v[16:17], v[8:9], v[63:64], v[16:17]
	ds_read_b128 v[6:9], v1 offset:1520
	v_add_f64 v[18:19], v[18:19], v[22:23]
	s_waitcnt vmcnt(33) lgkmcnt(1)
	v_mul_f64 v[22:23], v[4:5], v[65:66]
	v_add_f64 v[14:15], v[14:15], v[20:21]
	s_waitcnt vmcnt(32)
	v_fma_f64 v[26:27], v[10:11], v[61:62], -v[26:27]
	v_mul_f64 v[20:21], v[2:3], v[65:66]
	v_fma_f64 v[24:25], v[12:13], v[61:62], v[24:25]
	ds_read_b128 v[10:13], v1 offset:1536
	v_add_f64 v[18:19], v[18:19], v[32:33]
	s_waitcnt vmcnt(31) lgkmcnt(1)
	v_mul_f64 v[32:33], v[8:9], v[67:68]
	v_add_f64 v[14:15], v[14:15], v[16:17]
	s_waitcnt vmcnt(29)
	v_fma_f64 v[22:23], v[2:3], v[71:72], -v[22:23]
	;; [unrolled: 9-line block ×7, first 2 shown]
	v_mul_f64 v[20:21], v[2:3], v[94:95]
	v_fma_f64 v[12:13], v[12:13], v[86:87], v[24:25]
	v_add_f64 v[18:19], v[18:19], v[32:33]
	v_add_f64 v[14:15], v[14:15], v[16:17]
	s_waitcnt vmcnt(7) lgkmcnt(0)
	v_mul_f64 v[24:25], v[8:9], v[96:97]
	v_mul_f64 v[16:17], v[6:7], v[96:97]
	s_waitcnt vmcnt(5)
	v_fma_f64 v[2:3], v[2:3], v[92:93], -v[22:23]
	v_fma_f64 v[4:5], v[4:5], v[92:93], v[20:21]
	v_add_f64 v[10:11], v[18:19], v[10:11]
	v_add_f64 v[12:13], v[14:15], v[12:13]
	s_waitcnt vmcnt(4)
	v_fma_f64 v[6:7], v[6:7], v[98:99], -v[24:25]
	v_fma_f64 v[8:9], v[8:9], v[98:99], v[16:17]
	v_add_f64 v[2:3], v[10:11], v[2:3]
	v_add_f64 v[4:5], v[12:13], v[4:5]
	;; [unrolled: 1-line block ×4, first 2 shown]
	s_waitcnt vmcnt(2)
	v_add_f64 v[2:3], v[28:29], -v[2:3]
	s_waitcnt vmcnt(0)
	v_add_f64 v[4:5], v[30:31], -v[4:5]
	buffer_store_dword v3, off, s[0:3], 0 offset:548
	buffer_store_dword v2, off, s[0:3], 0 offset:544
	;; [unrolled: 1-line block ×4, first 2 shown]
	v_cmpx_lt_u32_e32 32, v0
	s_cbranch_execz .LBB50_255
; %bb.254:
	v_mov_b32_e32 v5, s30
	s_clause 0x3
	buffer_load_dword v2, v5, s[0:3], 0 offen
	buffer_load_dword v3, v5, s[0:3], 0 offen offset:4
	buffer_load_dword v4, v5, s[0:3], 0 offen offset:8
	;; [unrolled: 1-line block ×3, first 2 shown]
	buffer_store_dword v1, off, s[0:3], 0 offset:528
	buffer_store_dword v1, off, s[0:3], 0 offset:532
	;; [unrolled: 1-line block ×4, first 2 shown]
	s_waitcnt vmcnt(0)
	ds_write_b128 v85, v[2:5]
.LBB50_255:
	s_or_b32 exec_lo, exec_lo, s4
	s_waitcnt lgkmcnt(0)
	s_waitcnt_vscnt null, 0x0
	s_barrier
	buffer_gl0_inv
	s_clause 0x35
	buffer_load_dword v10, off, s[0:3], 0 offset:552
	buffer_load_dword v11, off, s[0:3], 0 offset:556
	;; [unrolled: 1-line block ×54, first 2 shown]
	ds_read_b128 v[2:5], v1 offset:1344
	s_clause 0x3
	buffer_load_dword v83, off, s[0:3], 0 offset:776
	buffer_load_dword v84, off, s[0:3], 0 offset:780
	buffer_load_dword v87, off, s[0:3], 0 offset:756
	buffer_load_dword v86, off, s[0:3], 0 offset:752
	ds_read_b128 v[6:9], v1 offset:1360
	s_clause 0x3
	buffer_load_dword v93, off, s[0:3], 0 offset:796
	buffer_load_dword v92, off, s[0:3], 0 offset:792
	;; [unrolled: 1-line block ×4, first 2 shown]
	s_mov_b32 s4, exec_lo
	s_waitcnt vmcnt(60) lgkmcnt(1)
	v_mul_f64 v[88:89], v[4:5], v[10:11]
	v_mul_f64 v[90:91], v[2:3], v[10:11]
	s_waitcnt vmcnt(58) lgkmcnt(0)
	v_mul_f64 v[96:97], v[8:9], v[14:15]
	ds_read_b128 v[10:13], v1 offset:1376
	v_mul_f64 v[14:15], v[6:7], v[14:15]
	s_waitcnt vmcnt(56)
	v_fma_f64 v[88:89], v[2:3], v[16:17], -v[88:89]
	v_fma_f64 v[16:17], v[4:5], v[16:17], v[90:91]
	s_clause 0x3
	buffer_load_dword v90, off, s[0:3], 0 offset:808
	buffer_load_dword v91, off, s[0:3], 0 offset:812
	;; [unrolled: 1-line block ×4, first 2 shown]
	s_waitcnt vmcnt(58) lgkmcnt(0)
	v_mul_f64 v[100:101], v[10:11], v[18:19]
	v_mul_f64 v[18:19], v[12:13], v[18:19]
	s_waitcnt vmcnt(56)
	v_fma_f64 v[96:97], v[6:7], v[20:21], -v[96:97]
	ds_read_b128 v[2:5], v1 offset:1392
	v_fma_f64 v[14:15], v[8:9], v[20:21], v[14:15]
	s_clause 0x3
	buffer_load_dword v21, off, s[0:3], 0 offset:828
	buffer_load_dword v20, off, s[0:3], 0 offset:824
	;; [unrolled: 1-line block ×4, first 2 shown]
	ds_read_b128 v[6:9], v1 offset:1408
	v_add_f64 v[88:89], v[88:89], 0
	v_add_f64 v[16:17], v[16:17], 0
	s_waitcnt vmcnt(58) lgkmcnt(1)
	v_mul_f64 v[104:105], v[2:3], v[22:23]
	v_mul_f64 v[22:23], v[4:5], v[22:23]
	s_waitcnt vmcnt(56)
	v_fma_f64 v[18:19], v[10:11], v[24:25], -v[18:19]
	v_fma_f64 v[24:25], v[12:13], v[24:25], v[100:101]
	v_add_f64 v[88:89], v[88:89], v[96:97]
	v_add_f64 v[14:15], v[16:17], v[14:15]
	s_clause 0x1
	buffer_load_dword v17, off, s[0:3], 0 offset:820
	buffer_load_dword v16, off, s[0:3], 0 offset:816
	s_waitcnt vmcnt(56) lgkmcnt(0)
	v_mul_f64 v[96:97], v[6:7], v[26:27]
	v_mul_f64 v[26:27], v[8:9], v[26:27]
	s_waitcnt vmcnt(54)
	v_fma_f64 v[22:23], v[2:3], v[28:29], -v[22:23]
	ds_read_b128 v[10:13], v1 offset:1424
	v_fma_f64 v[28:29], v[4:5], v[28:29], v[104:105]
	ds_read_b128 v[2:5], v1 offset:1440
	v_add_f64 v[18:19], v[88:89], v[18:19]
	v_add_f64 v[14:15], v[14:15], v[24:25]
	s_waitcnt vmcnt(52) lgkmcnt(1)
	v_mul_f64 v[24:25], v[10:11], v[30:31]
	v_mul_f64 v[30:31], v[12:13], v[30:31]
	s_waitcnt vmcnt(50)
	v_fma_f64 v[26:27], v[6:7], v[32:33], -v[26:27]
	s_waitcnt vmcnt(48) lgkmcnt(0)
	v_mul_f64 v[88:89], v[2:3], v[34:35]
	v_mul_f64 v[34:35], v[4:5], v[34:35]
	v_add_f64 v[18:19], v[18:19], v[22:23]
	v_fma_f64 v[22:23], v[8:9], v[32:33], v[96:97]
	v_add_f64 v[14:15], v[14:15], v[28:29]
	s_clause 0x3
	buffer_load_dword v28, off, s[0:3], 0 offset:528
	buffer_load_dword v29, off, s[0:3], 0 offset:532
	;; [unrolled: 1-line block ×4, first 2 shown]
	ds_read_b128 v[6:9], v1 offset:1456
	s_waitcnt vmcnt(50)
	v_fma_f64 v[30:31], v[10:11], v[53:54], -v[30:31]
	v_fma_f64 v[24:25], v[12:13], v[53:54], v[24:25]
	ds_read_b128 v[10:13], v1 offset:1472
	s_waitcnt vmcnt(46)
	v_fma_f64 v[34:35], v[2:3], v[57:58], -v[34:35]
	v_add_f64 v[18:19], v[18:19], v[26:27]
	v_add_f64 v[14:15], v[14:15], v[22:23]
	s_waitcnt lgkmcnt(1)
	v_mul_f64 v[26:27], v[8:9], v[55:56]
	v_mul_f64 v[22:23], v[6:7], v[55:56]
	s_waitcnt vmcnt(44) lgkmcnt(0)
	v_mul_f64 v[53:54], v[12:13], v[59:60]
	v_add_f64 v[18:19], v[18:19], v[30:31]
	v_fma_f64 v[30:31], v[4:5], v[57:58], v[88:89]
	v_add_f64 v[14:15], v[14:15], v[24:25]
	s_waitcnt vmcnt(42)
	v_fma_f64 v[26:27], v[6:7], v[61:62], -v[26:27]
	ds_read_b128 v[2:5], v1 offset:1488
	v_mul_f64 v[24:25], v[10:11], v[59:60]
	v_fma_f64 v[22:23], v[8:9], v[61:62], v[22:23]
	ds_read_b128 v[6:9], v1 offset:1504
	s_waitcnt vmcnt(38)
	v_fma_f64 v[53:54], v[10:11], v[65:66], -v[53:54]
	v_add_f64 v[18:19], v[18:19], v[34:35]
	v_add_f64 v[14:15], v[14:15], v[30:31]
	s_waitcnt lgkmcnt(1)
	v_mul_f64 v[34:35], v[4:5], v[63:64]
	v_mul_f64 v[30:31], v[2:3], v[63:64]
	v_fma_f64 v[24:25], v[12:13], v[65:66], v[24:25]
	ds_read_b128 v[10:13], v1 offset:1520
	v_add_f64 v[18:19], v[18:19], v[26:27]
	s_waitcnt vmcnt(36) lgkmcnt(1)
	v_mul_f64 v[26:27], v[8:9], v[67:68]
	v_add_f64 v[14:15], v[14:15], v[22:23]
	s_waitcnt vmcnt(34)
	v_fma_f64 v[34:35], v[2:3], v[69:70], -v[34:35]
	v_mul_f64 v[22:23], v[6:7], v[67:68]
	v_fma_f64 v[30:31], v[4:5], v[69:70], v[30:31]
	ds_read_b128 v[2:5], v1 offset:1536
	v_add_f64 v[18:19], v[18:19], v[53:54]
	s_waitcnt vmcnt(32) lgkmcnt(1)
	v_mul_f64 v[53:54], v[12:13], v[71:72]
	v_add_f64 v[14:15], v[14:15], v[24:25]
	s_waitcnt vmcnt(30)
	v_fma_f64 v[26:27], v[6:7], v[73:74], -v[26:27]
	;; [unrolled: 9-line block ×6, first 2 shown]
	v_mul_f64 v[30:31], v[2:3], v[92:93]
	v_fma_f64 v[24:25], v[12:13], v[94:95], v[24:25]
	ds_read_b128 v[10:13], v1 offset:1616
	v_add_f64 v[18:19], v[18:19], v[26:27]
	v_add_f64 v[14:15], v[14:15], v[22:23]
	s_waitcnt vmcnt(12) lgkmcnt(1)
	v_mul_f64 v[26:27], v[8:9], v[90:91]
	v_mul_f64 v[22:23], v[6:7], v[90:91]
	s_waitcnt vmcnt(10)
	v_fma_f64 v[1:2], v[2:3], v[98:99], -v[34:35]
	v_fma_f64 v[3:4], v[4:5], v[98:99], v[30:31]
	v_add_f64 v[18:19], v[18:19], v[53:54]
	v_add_f64 v[14:15], v[14:15], v[24:25]
	s_waitcnt vmcnt(8) lgkmcnt(0)
	v_mul_f64 v[24:25], v[10:11], v[20:21]
	v_mul_f64 v[20:21], v[12:13], v[20:21]
	s_waitcnt vmcnt(6)
	v_fma_f64 v[5:6], v[6:7], v[102:103], -v[26:27]
	v_fma_f64 v[7:8], v[8:9], v[102:103], v[22:23]
	v_add_f64 v[1:2], v[18:19], v[1:2]
	v_add_f64 v[3:4], v[14:15], v[3:4]
	s_waitcnt vmcnt(4)
	v_fma_f64 v[9:10], v[10:11], v[16:17], -v[20:21]
	v_add_f64 v[1:2], v[1:2], v[5:6]
	v_fma_f64 v[5:6], v[12:13], v[16:17], v[24:25]
	v_add_f64 v[3:4], v[3:4], v[7:8]
	v_add_f64 v[1:2], v[1:2], v[9:10]
	v_add_f64 v[3:4], v[3:4], v[5:6]
	s_waitcnt vmcnt(2)
	v_add_f64 v[1:2], v[28:29], -v[1:2]
	s_waitcnt vmcnt(0)
	v_add_f64 v[3:4], v[32:33], -v[3:4]
	buffer_store_dword v2, off, s[0:3], 0 offset:532
	buffer_store_dword v1, off, s[0:3], 0 offset:528
	buffer_store_dword v4, off, s[0:3], 0 offset:540
	buffer_store_dword v3, off, s[0:3], 0 offset:536
	v_cmpx_lt_u32_e32 31, v0
	s_cbranch_execz .LBB50_257
; %bb.256:
	v_mov_b32_e32 v4, s31
	v_mov_b32_e32 v5, 0
	s_clause 0x3
	buffer_load_dword v1, v4, s[0:3], 0 offen
	buffer_load_dword v2, v4, s[0:3], 0 offen offset:4
	buffer_load_dword v3, v4, s[0:3], 0 offen offset:8
	;; [unrolled: 1-line block ×3, first 2 shown]
	buffer_store_dword v5, off, s[0:3], 0 offset:512
	buffer_store_dword v5, off, s[0:3], 0 offset:516
	;; [unrolled: 1-line block ×4, first 2 shown]
	s_waitcnt vmcnt(0)
	ds_write_b128 v85, v[1:4]
.LBB50_257:
	s_or_b32 exec_lo, exec_lo, s4
	s_waitcnt lgkmcnt(0)
	s_waitcnt_vscnt null, 0x0
	s_barrier
	buffer_gl0_inv
	s_clause 0x37
	buffer_load_dword v10, off, s[0:3], 0 offset:536
	buffer_load_dword v11, off, s[0:3], 0 offset:540
	;; [unrolled: 1-line block ×56, first 2 shown]
	v_mov_b32_e32 v1, 0
	s_mov_b32 s4, exec_lo
	ds_read_b128 v[2:5], v1 offset:1328
	s_clause 0x2
	buffer_load_dword v84, off, s[0:3], 0 offset:764
	buffer_load_dword v89, off, s[0:3], 0 offset:740
	;; [unrolled: 1-line block ×3, first 2 shown]
	ds_read_b128 v[6:9], v1 offset:1344
	s_clause 0x4
	buffer_load_dword v95, off, s[0:3], 0 offset:780
	buffer_load_dword v96, off, s[0:3], 0 offset:792
	;; [unrolled: 1-line block ×5, first 2 shown]
	s_waitcnt vmcnt(62) lgkmcnt(1)
	v_mul_f64 v[90:91], v[4:5], v[10:11]
	v_mul_f64 v[92:93], v[2:3], v[10:11]
	s_waitcnt vmcnt(60) lgkmcnt(0)
	v_mul_f64 v[99:100], v[8:9], v[14:15]
	ds_read_b128 v[10:13], v1 offset:1360
	v_mul_f64 v[14:15], v[6:7], v[14:15]
	s_waitcnt vmcnt(58)
	v_fma_f64 v[90:91], v[2:3], v[16:17], -v[90:91]
	v_fma_f64 v[16:17], v[4:5], v[16:17], v[92:93]
	s_clause 0x2
	buffer_load_dword v97, off, s[0:3], 0 offset:796
	buffer_load_dword v93, off, s[0:3], 0 offset:772
	buffer_load_dword v92, off, s[0:3], 0 offset:768
	s_waitcnt vmcnt(59) lgkmcnt(0)
	v_mul_f64 v[101:102], v[10:11], v[18:19]
	v_mul_f64 v[18:19], v[12:13], v[18:19]
	s_waitcnt vmcnt(57)
	v_fma_f64 v[103:104], v[6:7], v[20:21], -v[99:100]
	ds_read_b128 v[2:5], v1 offset:1376
	v_fma_f64 v[14:15], v[8:9], v[20:21], v[14:15]
	s_clause 0x4
	buffer_load_dword v21, off, s[0:3], 0 offset:812
	buffer_load_dword v100, off, s[0:3], 0 offset:824
	;; [unrolled: 1-line block ×5, first 2 shown]
	ds_read_b128 v[6:9], v1 offset:1392
	v_add_f64 v[90:91], v[90:91], 0
	v_add_f64 v[16:17], v[16:17], 0
	s_waitcnt vmcnt(58) lgkmcnt(1)
	v_mul_f64 v[106:107], v[2:3], v[22:23]
	v_mul_f64 v[22:23], v[4:5], v[22:23]
	s_waitcnt vmcnt(56)
	v_fma_f64 v[18:19], v[10:11], v[28:29], -v[18:19]
	v_fma_f64 v[28:29], v[12:13], v[28:29], v[101:102]
	v_add_f64 v[90:91], v[90:91], v[103:104]
	v_add_f64 v[14:15], v[16:17], v[14:15]
	s_clause 0x2
	buffer_load_dword v101, off, s[0:3], 0 offset:828
	buffer_load_dword v17, off, s[0:3], 0 offset:804
	;; [unrolled: 1-line block ×3, first 2 shown]
	s_waitcnt vmcnt(58) lgkmcnt(0)
	v_mul_f64 v[102:103], v[6:7], v[24:25]
	v_mul_f64 v[24:25], v[8:9], v[24:25]
	s_waitcnt vmcnt(56)
	v_fma_f64 v[22:23], v[2:3], v[30:31], -v[22:23]
	ds_read_b128 v[10:13], v1 offset:1408
	v_fma_f64 v[30:31], v[4:5], v[30:31], v[106:107]
	buffer_load_dword v106, off, s[0:3], 0 offset:820
	ds_read_b128 v[2:5], v1 offset:1424
	v_add_f64 v[18:19], v[90:91], v[18:19]
	v_add_f64 v[14:15], v[14:15], v[28:29]
	s_waitcnt vmcnt(53) lgkmcnt(1)
	v_mul_f64 v[28:29], v[10:11], v[32:33]
	v_mul_f64 v[32:33], v[12:13], v[32:33]
	s_waitcnt vmcnt(52)
	v_fma_f64 v[24:25], v[6:7], v[26:27], -v[24:25]
	v_add_f64 v[18:19], v[18:19], v[22:23]
	v_fma_f64 v[22:23], v[8:9], v[26:27], v[102:103]
	v_add_f64 v[14:15], v[14:15], v[30:31]
	s_waitcnt vmcnt(51) lgkmcnt(0)
	v_mul_f64 v[30:31], v[4:5], v[34:35]
	ds_read_b128 v[6:9], v1 offset:1440
	s_waitcnt vmcnt(49)
	v_fma_f64 v[32:33], v[10:11], v[55:56], -v[32:33]
	v_mul_f64 v[26:27], v[2:3], v[34:35]
	v_add_f64 v[18:19], v[18:19], v[24:25]
	v_fma_f64 v[24:25], v[12:13], v[55:56], v[28:29]
	v_add_f64 v[14:15], v[14:15], v[22:23]
	s_clause 0x3
	buffer_load_dword v22, off, s[0:3], 0 offset:512
	buffer_load_dword v23, off, s[0:3], 0 offset:516
	;; [unrolled: 1-line block ×4, first 2 shown]
	s_waitcnt vmcnt(49) lgkmcnt(0)
	v_mul_f64 v[55:56], v[8:9], v[57:58]
	s_waitcnt vmcnt(48)
	v_fma_f64 v[30:31], v[2:3], v[53:54], -v[30:31]
	ds_read_b128 v[10:13], v1 offset:1456
	v_mul_f64 v[34:35], v[6:7], v[57:58]
	v_fma_f64 v[26:27], v[4:5], v[53:54], v[26:27]
	ds_read_b128 v[2:5], v1 offset:1472
	v_add_f64 v[18:19], v[18:19], v[32:33]
	v_add_f64 v[14:15], v[14:15], v[24:25]
	s_waitcnt vmcnt(47) lgkmcnt(1)
	v_mul_f64 v[32:33], v[12:13], v[59:60]
	s_waitcnt vmcnt(45)
	v_fma_f64 v[53:54], v[6:7], v[63:64], -v[55:56]
	v_mul_f64 v[24:25], v[10:11], v[59:60]
	v_add_f64 v[18:19], v[18:19], v[30:31]
	v_fma_f64 v[30:31], v[8:9], v[63:64], v[34:35]
	v_add_f64 v[14:15], v[14:15], v[26:27]
	s_waitcnt vmcnt(41) lgkmcnt(0)
	v_mul_f64 v[34:35], v[4:5], v[65:66]
	s_waitcnt vmcnt(40)
	v_fma_f64 v[32:33], v[10:11], v[61:62], -v[32:33]
	ds_read_b128 v[6:9], v1 offset:1488
	v_mul_f64 v[26:27], v[2:3], v[65:66]
	v_fma_f64 v[24:25], v[12:13], v[61:62], v[24:25]
	ds_read_b128 v[10:13], v1 offset:1504
	v_add_f64 v[18:19], v[18:19], v[53:54]
	v_add_f64 v[14:15], v[14:15], v[30:31]
	s_waitcnt vmcnt(39) lgkmcnt(1)
	v_mul_f64 v[53:54], v[8:9], v[67:68]
	s_waitcnt vmcnt(37)
	v_fma_f64 v[34:35], v[2:3], v[71:72], -v[34:35]
	v_mul_f64 v[30:31], v[6:7], v[67:68]
	v_fma_f64 v[26:27], v[4:5], v[71:72], v[26:27]
	ds_read_b128 v[2:5], v1 offset:1520
	v_add_f64 v[18:19], v[18:19], v[32:33]
	s_waitcnt vmcnt(33) lgkmcnt(1)
	v_mul_f64 v[32:33], v[12:13], v[73:74]
	v_add_f64 v[14:15], v[14:15], v[24:25]
	s_waitcnt vmcnt(32)
	v_fma_f64 v[53:54], v[6:7], v[69:70], -v[53:54]
	v_mul_f64 v[24:25], v[10:11], v[73:74]
	v_fma_f64 v[30:31], v[8:9], v[69:70], v[30:31]
	ds_read_b128 v[6:9], v1 offset:1536
	v_add_f64 v[18:19], v[18:19], v[34:35]
	s_waitcnt vmcnt(31) lgkmcnt(1)
	v_mul_f64 v[34:35], v[4:5], v[75:76]
	v_add_f64 v[14:15], v[14:15], v[26:27]
	;; [unrolled: 9-line block ×5, first 2 shown]
	s_waitcnt vmcnt(16)
	v_fma_f64 v[32:33], v[10:11], v[86:87], -v[32:33]
	v_mul_f64 v[26:27], v[2:3], v[94:95]
	v_fma_f64 v[24:25], v[12:13], v[86:87], v[24:25]
	ds_read_b128 v[10:13], v1 offset:1600
	v_add_f64 v[18:19], v[18:19], v[53:54]
	v_add_f64 v[14:15], v[14:15], v[30:31]
	s_waitcnt vmcnt(15) lgkmcnt(1)
	v_mul_f64 v[53:54], v[8:9], v[96:97]
	v_mul_f64 v[30:31], v[6:7], v[96:97]
	s_waitcnt vmcnt(13)
	v_fma_f64 v[34:35], v[2:3], v[92:93], -v[34:35]
	v_fma_f64 v[26:27], v[4:5], v[92:93], v[26:27]
	ds_read_b128 v[2:5], v1 offset:1616
	v_add_f64 v[18:19], v[18:19], v[32:33]
	v_add_f64 v[14:15], v[14:15], v[24:25]
	s_waitcnt vmcnt(9) lgkmcnt(1)
	v_mul_f64 v[24:25], v[10:11], v[20:21]
	v_mul_f64 v[20:21], v[12:13], v[20:21]
	s_waitcnt vmcnt(8)
	v_fma_f64 v[6:7], v[6:7], v[98:99], -v[53:54]
	v_fma_f64 v[8:9], v[8:9], v[98:99], v[30:31]
	v_add_f64 v[18:19], v[18:19], v[34:35]
	v_add_f64 v[14:15], v[14:15], v[26:27]
	s_waitcnt vmcnt(7) lgkmcnt(0)
	v_mul_f64 v[30:31], v[4:5], v[100:101]
	v_mul_f64 v[26:27], v[2:3], v[100:101]
	s_waitcnt vmcnt(5)
	v_fma_f64 v[10:11], v[10:11], v[16:17], -v[20:21]
	v_fma_f64 v[12:13], v[12:13], v[16:17], v[24:25]
	v_add_f64 v[6:7], v[18:19], v[6:7]
	v_add_f64 v[8:9], v[14:15], v[8:9]
	s_waitcnt vmcnt(4)
	v_fma_f64 v[2:3], v[2:3], v[105:106], -v[30:31]
	v_fma_f64 v[4:5], v[4:5], v[105:106], v[26:27]
	v_add_f64 v[6:7], v[6:7], v[10:11]
	v_add_f64 v[8:9], v[8:9], v[12:13]
	;; [unrolled: 1-line block ×4, first 2 shown]
	s_waitcnt vmcnt(2)
	v_add_f64 v[2:3], v[22:23], -v[2:3]
	s_waitcnt vmcnt(0)
	v_add_f64 v[4:5], v[28:29], -v[4:5]
	buffer_store_dword v3, off, s[0:3], 0 offset:516
	buffer_store_dword v2, off, s[0:3], 0 offset:512
	;; [unrolled: 1-line block ×4, first 2 shown]
	v_cmpx_lt_u32_e32 30, v0
	s_cbranch_execz .LBB50_259
; %bb.258:
	v_mov_b32_e32 v5, s33
	s_clause 0x3
	buffer_load_dword v2, v5, s[0:3], 0 offen
	buffer_load_dword v3, v5, s[0:3], 0 offen offset:4
	buffer_load_dword v4, v5, s[0:3], 0 offen offset:8
	;; [unrolled: 1-line block ×3, first 2 shown]
	buffer_store_dword v1, off, s[0:3], 0 offset:496
	buffer_store_dword v1, off, s[0:3], 0 offset:500
	;; [unrolled: 1-line block ×4, first 2 shown]
	s_waitcnt vmcnt(0)
	ds_write_b128 v85, v[2:5]
.LBB50_259:
	s_or_b32 exec_lo, exec_lo, s4
	s_waitcnt lgkmcnt(0)
	s_waitcnt_vscnt null, 0x0
	s_barrier
	buffer_gl0_inv
	s_clause 0x37
	buffer_load_dword v10, off, s[0:3], 0 offset:520
	buffer_load_dword v11, off, s[0:3], 0 offset:524
	;; [unrolled: 1-line block ×56, first 2 shown]
	ds_read_b128 v[2:5], v1 offset:1312
	s_clause 0x2
	buffer_load_dword v84, off, s[0:3], 0 offset:748
	buffer_load_dword v89, off, s[0:3], 0 offset:724
	;; [unrolled: 1-line block ×3, first 2 shown]
	ds_read_b128 v[6:9], v1 offset:1328
	s_clause 0x4
	buffer_load_dword v95, off, s[0:3], 0 offset:764
	buffer_load_dword v96, off, s[0:3], 0 offset:776
	;; [unrolled: 1-line block ×5, first 2 shown]
	s_mov_b32 s4, exec_lo
	s_waitcnt vmcnt(62) lgkmcnt(1)
	v_mul_f64 v[90:91], v[4:5], v[10:11]
	v_mul_f64 v[92:93], v[2:3], v[10:11]
	s_waitcnt vmcnt(60) lgkmcnt(0)
	v_mul_f64 v[99:100], v[8:9], v[14:15]
	ds_read_b128 v[10:13], v1 offset:1344
	v_mul_f64 v[14:15], v[6:7], v[14:15]
	s_waitcnt vmcnt(58)
	v_fma_f64 v[90:91], v[2:3], v[16:17], -v[90:91]
	v_fma_f64 v[16:17], v[4:5], v[16:17], v[92:93]
	s_clause 0x2
	buffer_load_dword v97, off, s[0:3], 0 offset:780
	buffer_load_dword v93, off, s[0:3], 0 offset:756
	;; [unrolled: 1-line block ×3, first 2 shown]
	s_waitcnt vmcnt(59) lgkmcnt(0)
	v_mul_f64 v[101:102], v[10:11], v[18:19]
	v_mul_f64 v[18:19], v[12:13], v[18:19]
	s_waitcnt vmcnt(57)
	v_fma_f64 v[103:104], v[6:7], v[20:21], -v[99:100]
	ds_read_b128 v[2:5], v1 offset:1360
	v_fma_f64 v[14:15], v[8:9], v[20:21], v[14:15]
	s_clause 0x4
	buffer_load_dword v21, off, s[0:3], 0 offset:796
	buffer_load_dword v100, off, s[0:3], 0 offset:808
	;; [unrolled: 1-line block ×5, first 2 shown]
	ds_read_b128 v[6:9], v1 offset:1376
	v_add_f64 v[90:91], v[90:91], 0
	v_add_f64 v[16:17], v[16:17], 0
	s_waitcnt vmcnt(58) lgkmcnt(1)
	v_mul_f64 v[106:107], v[2:3], v[22:23]
	v_mul_f64 v[22:23], v[4:5], v[22:23]
	s_waitcnt vmcnt(56)
	v_fma_f64 v[18:19], v[10:11], v[28:29], -v[18:19]
	v_fma_f64 v[28:29], v[12:13], v[28:29], v[101:102]
	v_add_f64 v[90:91], v[90:91], v[103:104]
	v_add_f64 v[14:15], v[16:17], v[14:15]
	s_clause 0x2
	buffer_load_dword v101, off, s[0:3], 0 offset:812
	buffer_load_dword v17, off, s[0:3], 0 offset:788
	;; [unrolled: 1-line block ×3, first 2 shown]
	s_waitcnt vmcnt(58) lgkmcnt(0)
	v_mul_f64 v[102:103], v[6:7], v[24:25]
	v_mul_f64 v[24:25], v[8:9], v[24:25]
	s_waitcnt vmcnt(56)
	v_fma_f64 v[22:23], v[2:3], v[30:31], -v[22:23]
	ds_read_b128 v[10:13], v1 offset:1392
	v_fma_f64 v[30:31], v[4:5], v[30:31], v[106:107]
	v_add_f64 v[18:19], v[90:91], v[18:19]
	v_add_f64 v[14:15], v[14:15], v[28:29]
	s_clause 0x2
	buffer_load_dword v29, off, s[0:3], 0 offset:828
	buffer_load_dword v28, off, s[0:3], 0 offset:824
	;; [unrolled: 1-line block ×3, first 2 shown]
	ds_read_b128 v[2:5], v1 offset:1408
	s_waitcnt vmcnt(55) lgkmcnt(1)
	v_mul_f64 v[90:91], v[10:11], v[32:33]
	v_mul_f64 v[32:33], v[12:13], v[32:33]
	s_waitcnt vmcnt(54)
	v_fma_f64 v[24:25], v[6:7], v[26:27], -v[24:25]
	v_add_f64 v[18:19], v[18:19], v[22:23]
	v_fma_f64 v[22:23], v[8:9], v[26:27], v[102:103]
	v_add_f64 v[14:15], v[14:15], v[30:31]
	s_clause 0x1
	buffer_load_dword v27, off, s[0:3], 0 offset:820
	buffer_load_dword v26, off, s[0:3], 0 offset:816
	s_waitcnt vmcnt(55) lgkmcnt(0)
	v_mul_f64 v[30:31], v[2:3], v[34:35]
	v_mul_f64 v[34:35], v[4:5], v[34:35]
	s_waitcnt vmcnt(53)
	v_fma_f64 v[32:33], v[10:11], v[55:56], -v[32:33]
	ds_read_b128 v[6:9], v1 offset:1424
	v_add_f64 v[18:19], v[18:19], v[24:25]
	v_fma_f64 v[24:25], v[12:13], v[55:56], v[90:91]
	v_add_f64 v[14:15], v[14:15], v[22:23]
	ds_read_b128 v[10:13], v1 offset:1440
	s_waitcnt vmcnt(48)
	v_fma_f64 v[30:31], v[4:5], v[53:54], v[30:31]
	s_waitcnt lgkmcnt(1)
	v_mul_f64 v[55:56], v[8:9], v[57:58]
	v_fma_f64 v[34:35], v[2:3], v[53:54], -v[34:35]
	v_mul_f64 v[22:23], v[6:7], v[57:58]
	v_add_f64 v[18:19], v[18:19], v[32:33]
	s_waitcnt vmcnt(47) lgkmcnt(0)
	v_mul_f64 v[57:58], v[12:13], v[59:60]
	v_add_f64 v[14:15], v[14:15], v[24:25]
	s_clause 0x3
	buffer_load_dword v24, off, s[0:3], 0 offset:496
	buffer_load_dword v25, off, s[0:3], 0 offset:500
	;; [unrolled: 1-line block ×4, first 2 shown]
	ds_read_b128 v[2:5], v1 offset:1456
	s_waitcnt vmcnt(49)
	v_fma_f64 v[55:56], v[6:7], v[63:64], -v[55:56]
	v_mul_f64 v[53:54], v[10:11], v[59:60]
	v_fma_f64 v[22:23], v[8:9], v[63:64], v[22:23]
	ds_read_b128 v[6:9], v1 offset:1472
	v_add_f64 v[18:19], v[18:19], v[34:35]
	s_waitcnt vmcnt(44)
	v_fma_f64 v[57:58], v[10:11], v[61:62], -v[57:58]
	v_add_f64 v[14:15], v[14:15], v[30:31]
	s_waitcnt lgkmcnt(1)
	v_mul_f64 v[34:35], v[4:5], v[65:66]
	v_mul_f64 v[30:31], v[2:3], v[65:66]
	v_fma_f64 v[53:54], v[12:13], v[61:62], v[53:54]
	ds_read_b128 v[10:13], v1 offset:1488
	v_add_f64 v[18:19], v[18:19], v[55:56]
	s_waitcnt vmcnt(43) lgkmcnt(1)
	v_mul_f64 v[55:56], v[8:9], v[67:68]
	v_add_f64 v[14:15], v[14:15], v[22:23]
	s_waitcnt vmcnt(41)
	v_fma_f64 v[34:35], v[2:3], v[71:72], -v[34:35]
	v_mul_f64 v[22:23], v[6:7], v[67:68]
	v_fma_f64 v[30:31], v[4:5], v[71:72], v[30:31]
	ds_read_b128 v[2:5], v1 offset:1504
	v_add_f64 v[18:19], v[18:19], v[57:58]
	s_waitcnt vmcnt(37) lgkmcnt(1)
	v_mul_f64 v[57:58], v[12:13], v[73:74]
	v_add_f64 v[14:15], v[14:15], v[53:54]
	s_waitcnt vmcnt(36)
	v_fma_f64 v[55:56], v[6:7], v[69:70], -v[55:56]
	;; [unrolled: 9-line block ×6, first 2 shown]
	v_mul_f64 v[30:31], v[2:3], v[94:95]
	v_fma_f64 v[53:54], v[12:13], v[86:87], v[53:54]
	ds_read_b128 v[10:13], v1 offset:1584
	v_add_f64 v[18:19], v[18:19], v[55:56]
	v_add_f64 v[14:15], v[14:15], v[22:23]
	s_waitcnt vmcnt(19) lgkmcnt(1)
	v_mul_f64 v[55:56], v[8:9], v[96:97]
	v_mul_f64 v[22:23], v[6:7], v[96:97]
	s_waitcnt vmcnt(17)
	v_fma_f64 v[34:35], v[2:3], v[92:93], -v[34:35]
	v_fma_f64 v[30:31], v[4:5], v[92:93], v[30:31]
	ds_read_b128 v[2:5], v1 offset:1600
	v_add_f64 v[18:19], v[18:19], v[57:58]
	v_add_f64 v[14:15], v[14:15], v[53:54]
	s_waitcnt vmcnt(13) lgkmcnt(1)
	v_mul_f64 v[53:54], v[10:11], v[20:21]
	v_mul_f64 v[20:21], v[12:13], v[20:21]
	s_waitcnt vmcnt(12)
	v_fma_f64 v[55:56], v[6:7], v[98:99], -v[55:56]
	v_fma_f64 v[22:23], v[8:9], v[98:99], v[22:23]
	ds_read_b128 v[6:9], v1 offset:1616
	v_add_f64 v[18:19], v[18:19], v[34:35]
	v_add_f64 v[14:15], v[14:15], v[30:31]
	s_waitcnt vmcnt(11) lgkmcnt(1)
	v_mul_f64 v[34:35], v[4:5], v[100:101]
	v_mul_f64 v[30:31], v[2:3], v[100:101]
	s_waitcnt vmcnt(9)
	v_fma_f64 v[10:11], v[10:11], v[16:17], -v[20:21]
	v_fma_f64 v[12:13], v[12:13], v[16:17], v[53:54]
	v_add_f64 v[18:19], v[18:19], v[55:56]
	v_add_f64 v[14:15], v[14:15], v[22:23]
	s_waitcnt vmcnt(7) lgkmcnt(0)
	v_mul_f64 v[20:21], v[8:9], v[28:29]
	s_waitcnt vmcnt(6)
	v_fma_f64 v[1:2], v[2:3], v[105:106], -v[34:35]
	v_mul_f64 v[16:17], v[6:7], v[28:29]
	v_fma_f64 v[3:4], v[4:5], v[105:106], v[30:31]
	v_add_f64 v[10:11], v[18:19], v[10:11]
	v_add_f64 v[12:13], v[14:15], v[12:13]
	s_waitcnt vmcnt(4)
	v_fma_f64 v[5:6], v[6:7], v[26:27], -v[20:21]
	v_fma_f64 v[7:8], v[8:9], v[26:27], v[16:17]
	v_add_f64 v[1:2], v[10:11], v[1:2]
	v_add_f64 v[3:4], v[12:13], v[3:4]
	;; [unrolled: 1-line block ×4, first 2 shown]
	s_waitcnt vmcnt(2)
	v_add_f64 v[1:2], v[24:25], -v[1:2]
	s_waitcnt vmcnt(0)
	v_add_f64 v[3:4], v[32:33], -v[3:4]
	buffer_store_dword v2, off, s[0:3], 0 offset:500
	buffer_store_dword v1, off, s[0:3], 0 offset:496
	;; [unrolled: 1-line block ×4, first 2 shown]
	v_cmpx_lt_u32_e32 29, v0
	s_cbranch_execz .LBB50_261
; %bb.260:
	v_mov_b32_e32 v4, s34
	v_mov_b32_e32 v5, 0
	s_clause 0x3
	buffer_load_dword v1, v4, s[0:3], 0 offen
	buffer_load_dword v2, v4, s[0:3], 0 offen offset:4
	buffer_load_dword v3, v4, s[0:3], 0 offen offset:8
	;; [unrolled: 1-line block ×3, first 2 shown]
	buffer_store_dword v5, off, s[0:3], 0 offset:480
	buffer_store_dword v5, off, s[0:3], 0 offset:484
	;; [unrolled: 1-line block ×4, first 2 shown]
	s_waitcnt vmcnt(0)
	ds_write_b128 v85, v[1:4]
.LBB50_261:
	s_or_b32 exec_lo, exec_lo, s4
	s_waitcnt lgkmcnt(0)
	s_waitcnt_vscnt null, 0x0
	s_barrier
	buffer_gl0_inv
	s_clause 0x37
	buffer_load_dword v10, off, s[0:3], 0 offset:504
	buffer_load_dword v11, off, s[0:3], 0 offset:508
	;; [unrolled: 1-line block ×56, first 2 shown]
	v_mov_b32_e32 v1, 0
	s_mov_b32 s4, exec_lo
	ds_read_b128 v[2:5], v1 offset:1296
	s_clause 0x2
	buffer_load_dword v84, off, s[0:3], 0 offset:732
	buffer_load_dword v89, off, s[0:3], 0 offset:708
	;; [unrolled: 1-line block ×3, first 2 shown]
	ds_read_b128 v[6:9], v1 offset:1312
	s_clause 0x4
	buffer_load_dword v95, off, s[0:3], 0 offset:748
	buffer_load_dword v96, off, s[0:3], 0 offset:760
	;; [unrolled: 1-line block ×5, first 2 shown]
	s_waitcnt vmcnt(62) lgkmcnt(1)
	v_mul_f64 v[90:91], v[4:5], v[10:11]
	v_mul_f64 v[92:93], v[2:3], v[10:11]
	s_waitcnt vmcnt(60) lgkmcnt(0)
	v_mul_f64 v[99:100], v[8:9], v[14:15]
	ds_read_b128 v[10:13], v1 offset:1328
	v_mul_f64 v[14:15], v[6:7], v[14:15]
	s_waitcnt vmcnt(58)
	v_fma_f64 v[90:91], v[2:3], v[16:17], -v[90:91]
	v_fma_f64 v[16:17], v[4:5], v[16:17], v[92:93]
	s_clause 0x2
	buffer_load_dword v97, off, s[0:3], 0 offset:764
	buffer_load_dword v93, off, s[0:3], 0 offset:740
	;; [unrolled: 1-line block ×3, first 2 shown]
	s_waitcnt vmcnt(59) lgkmcnt(0)
	v_mul_f64 v[101:102], v[10:11], v[18:19]
	v_mul_f64 v[18:19], v[12:13], v[18:19]
	s_waitcnt vmcnt(57)
	v_fma_f64 v[103:104], v[6:7], v[20:21], -v[99:100]
	ds_read_b128 v[2:5], v1 offset:1344
	v_fma_f64 v[14:15], v[8:9], v[20:21], v[14:15]
	s_clause 0x4
	buffer_load_dword v21, off, s[0:3], 0 offset:780
	buffer_load_dword v100, off, s[0:3], 0 offset:792
	;; [unrolled: 1-line block ×5, first 2 shown]
	ds_read_b128 v[6:9], v1 offset:1360
	v_add_f64 v[90:91], v[90:91], 0
	v_add_f64 v[16:17], v[16:17], 0
	s_waitcnt vmcnt(58) lgkmcnt(1)
	v_mul_f64 v[106:107], v[2:3], v[22:23]
	v_mul_f64 v[22:23], v[4:5], v[22:23]
	s_waitcnt vmcnt(56)
	v_fma_f64 v[18:19], v[10:11], v[28:29], -v[18:19]
	v_fma_f64 v[28:29], v[12:13], v[28:29], v[101:102]
	v_add_f64 v[90:91], v[90:91], v[103:104]
	v_add_f64 v[14:15], v[16:17], v[14:15]
	s_clause 0x2
	buffer_load_dword v101, off, s[0:3], 0 offset:796
	buffer_load_dword v17, off, s[0:3], 0 offset:772
	;; [unrolled: 1-line block ×3, first 2 shown]
	s_waitcnt vmcnt(58) lgkmcnt(0)
	v_mul_f64 v[102:103], v[6:7], v[24:25]
	v_mul_f64 v[24:25], v[8:9], v[24:25]
	s_waitcnt vmcnt(56)
	v_fma_f64 v[22:23], v[2:3], v[30:31], -v[22:23]
	ds_read_b128 v[10:13], v1 offset:1376
	v_fma_f64 v[30:31], v[4:5], v[30:31], v[106:107]
	v_add_f64 v[18:19], v[90:91], v[18:19]
	v_add_f64 v[14:15], v[14:15], v[28:29]
	s_clause 0x4
	buffer_load_dword v29, off, s[0:3], 0 offset:812
	buffer_load_dword v90, off, s[0:3], 0 offset:824
	;; [unrolled: 1-line block ×5, first 2 shown]
	ds_read_b128 v[2:5], v1 offset:1392
	s_waitcnt vmcnt(57) lgkmcnt(1)
	v_mul_f64 v[108:109], v[10:11], v[32:33]
	v_mul_f64 v[32:33], v[12:13], v[32:33]
	s_waitcnt vmcnt(56)
	v_fma_f64 v[24:25], v[6:7], v[26:27], -v[24:25]
	v_add_f64 v[18:19], v[18:19], v[22:23]
	v_fma_f64 v[22:23], v[8:9], v[26:27], v[102:103]
	v_add_f64 v[14:15], v[14:15], v[30:31]
	s_clause 0x2
	buffer_load_dword v91, off, s[0:3], 0 offset:828
	buffer_load_dword v27, off, s[0:3], 0 offset:804
	;; [unrolled: 1-line block ×3, first 2 shown]
	s_waitcnt vmcnt(58) lgkmcnt(0)
	v_mul_f64 v[30:31], v[2:3], v[34:35]
	v_mul_f64 v[34:35], v[4:5], v[34:35]
	s_waitcnt vmcnt(56)
	v_fma_f64 v[32:33], v[10:11], v[55:56], -v[32:33]
	ds_read_b128 v[6:9], v1 offset:1408
	v_add_f64 v[18:19], v[18:19], v[24:25]
	v_fma_f64 v[24:25], v[12:13], v[55:56], v[108:109]
	v_add_f64 v[14:15], v[14:15], v[22:23]
	buffer_load_dword v108, off, s[0:3], 0 offset:820
	ds_read_b128 v[10:13], v1 offset:1424
	s_waitcnt vmcnt(53) lgkmcnt(1)
	v_mul_f64 v[55:56], v[8:9], v[57:58]
	s_waitcnt vmcnt(52)
	v_fma_f64 v[34:35], v[2:3], v[53:54], -v[34:35]
	v_mul_f64 v[22:23], v[6:7], v[57:58]
	v_fma_f64 v[30:31], v[4:5], v[53:54], v[30:31]
	ds_read_b128 v[2:5], v1 offset:1440
	v_add_f64 v[18:19], v[18:19], v[32:33]
	v_add_f64 v[14:15], v[14:15], v[24:25]
	s_waitcnt vmcnt(51) lgkmcnt(1)
	v_mul_f64 v[32:33], v[12:13], v[59:60]
	v_mul_f64 v[24:25], v[10:11], v[59:60]
	s_waitcnt vmcnt(49)
	v_fma_f64 v[53:54], v[6:7], v[63:64], -v[55:56]
	v_fma_f64 v[22:23], v[8:9], v[63:64], v[22:23]
	s_waitcnt vmcnt(45) lgkmcnt(0)
	v_mul_f64 v[57:58], v[4:5], v[65:66]
	v_mul_f64 v[55:56], v[2:3], v[65:66]
	v_add_f64 v[18:19], v[18:19], v[34:35]
	v_add_f64 v[14:15], v[14:15], v[30:31]
	s_clause 0x3
	buffer_load_dword v30, off, s[0:3], 0 offset:480
	buffer_load_dword v31, off, s[0:3], 0 offset:484
	;; [unrolled: 1-line block ×4, first 2 shown]
	s_waitcnt vmcnt(48)
	v_fma_f64 v[32:33], v[10:11], v[61:62], -v[32:33]
	ds_read_b128 v[6:9], v1 offset:1456
	v_fma_f64 v[24:25], v[12:13], v[61:62], v[24:25]
	ds_read_b128 v[10:13], v1 offset:1472
	s_waitcnt vmcnt(45)
	v_fma_f64 v[57:58], v[2:3], v[71:72], -v[57:58]
	v_add_f64 v[18:19], v[18:19], v[53:54]
	v_add_f64 v[14:15], v[14:15], v[22:23]
	s_waitcnt lgkmcnt(1)
	v_mul_f64 v[53:54], v[8:9], v[67:68]
	v_mul_f64 v[22:23], v[6:7], v[67:68]
	v_add_f64 v[18:19], v[18:19], v[32:33]
	v_fma_f64 v[32:33], v[4:5], v[71:72], v[55:56]
	v_add_f64 v[14:15], v[14:15], v[24:25]
	s_waitcnt vmcnt(41) lgkmcnt(0)
	v_mul_f64 v[55:56], v[12:13], v[73:74]
	s_waitcnt vmcnt(40)
	v_fma_f64 v[53:54], v[6:7], v[69:70], -v[53:54]
	ds_read_b128 v[2:5], v1 offset:1488
	v_mul_f64 v[24:25], v[10:11], v[73:74]
	v_fma_f64 v[22:23], v[8:9], v[69:70], v[22:23]
	ds_read_b128 v[6:9], v1 offset:1504
	v_add_f64 v[18:19], v[18:19], v[57:58]
	v_add_f64 v[14:15], v[14:15], v[32:33]
	s_waitcnt vmcnt(39) lgkmcnt(1)
	v_mul_f64 v[57:58], v[4:5], v[75:76]
	s_waitcnt vmcnt(37)
	v_fma_f64 v[55:56], v[10:11], v[79:80], -v[55:56]
	v_mul_f64 v[32:33], v[2:3], v[75:76]
	v_fma_f64 v[24:25], v[12:13], v[79:80], v[24:25]
	ds_read_b128 v[10:13], v1 offset:1520
	v_add_f64 v[18:19], v[18:19], v[53:54]
	s_waitcnt vmcnt(33) lgkmcnt(1)
	v_mul_f64 v[53:54], v[8:9], v[81:82]
	v_add_f64 v[14:15], v[14:15], v[22:23]
	s_waitcnt vmcnt(32)
	v_fma_f64 v[57:58], v[2:3], v[77:78], -v[57:58]
	v_mul_f64 v[22:23], v[6:7], v[81:82]
	v_fma_f64 v[32:33], v[4:5], v[77:78], v[32:33]
	ds_read_b128 v[2:5], v1 offset:1536
	v_add_f64 v[18:19], v[18:19], v[55:56]
	s_waitcnt vmcnt(31) lgkmcnt(1)
	v_mul_f64 v[55:56], v[12:13], v[83:84]
	v_add_f64 v[14:15], v[14:15], v[24:25]
	s_waitcnt vmcnt(29)
	v_fma_f64 v[53:54], v[6:7], v[88:89], -v[53:54]
	v_mul_f64 v[24:25], v[10:11], v[83:84]
	v_fma_f64 v[22:23], v[8:9], v[88:89], v[22:23]
	ds_read_b128 v[6:9], v1 offset:1552
	v_add_f64 v[18:19], v[18:19], v[57:58]
	s_waitcnt vmcnt(25) lgkmcnt(1)
	v_mul_f64 v[57:58], v[4:5], v[94:95]
	v_add_f64 v[14:15], v[14:15], v[32:33]
	s_waitcnt vmcnt(24)
	v_fma_f64 v[55:56], v[10:11], v[86:87], -v[55:56]
	v_mul_f64 v[32:33], v[2:3], v[94:95]
	v_fma_f64 v[24:25], v[12:13], v[86:87], v[24:25]
	ds_read_b128 v[10:13], v1 offset:1568
	v_add_f64 v[18:19], v[18:19], v[53:54]
	v_add_f64 v[14:15], v[14:15], v[22:23]
	s_waitcnt vmcnt(23) lgkmcnt(1)
	v_mul_f64 v[53:54], v[8:9], v[96:97]
	v_mul_f64 v[22:23], v[6:7], v[96:97]
	s_waitcnt vmcnt(21)
	v_fma_f64 v[57:58], v[2:3], v[92:93], -v[57:58]
	v_fma_f64 v[32:33], v[4:5], v[92:93], v[32:33]
	ds_read_b128 v[2:5], v1 offset:1584
	v_add_f64 v[18:19], v[18:19], v[55:56]
	v_add_f64 v[14:15], v[14:15], v[24:25]
	s_waitcnt vmcnt(17) lgkmcnt(1)
	v_mul_f64 v[24:25], v[10:11], v[20:21]
	v_mul_f64 v[20:21], v[12:13], v[20:21]
	s_waitcnt vmcnt(16)
	v_fma_f64 v[53:54], v[6:7], v[98:99], -v[53:54]
	;; [unrolled: 9-line block ×3, first 2 shown]
	v_fma_f64 v[16:17], v[12:13], v[16:17], v[24:25]
	ds_read_b128 v[10:13], v1 offset:1616
	v_add_f64 v[18:19], v[18:19], v[53:54]
	v_add_f64 v[14:15], v[14:15], v[22:23]
	s_waitcnt vmcnt(9) lgkmcnt(1)
	v_mul_f64 v[24:25], v[8:9], v[28:29]
	s_waitcnt vmcnt(8)
	v_fma_f64 v[2:3], v[2:3], v[105:106], -v[55:56]
	v_mul_f64 v[22:23], v[6:7], v[28:29]
	v_fma_f64 v[4:5], v[4:5], v[105:106], v[32:33]
	v_add_f64 v[18:19], v[18:19], v[20:21]
	v_add_f64 v[14:15], v[14:15], v[16:17]
	s_waitcnt vmcnt(7) lgkmcnt(0)
	v_mul_f64 v[20:21], v[12:13], v[90:91]
	v_mul_f64 v[16:17], v[10:11], v[90:91]
	s_waitcnt vmcnt(5)
	v_fma_f64 v[6:7], v[6:7], v[26:27], -v[24:25]
	v_fma_f64 v[8:9], v[8:9], v[26:27], v[22:23]
	v_add_f64 v[2:3], v[18:19], v[2:3]
	v_add_f64 v[4:5], v[14:15], v[4:5]
	s_waitcnt vmcnt(4)
	v_fma_f64 v[10:11], v[10:11], v[107:108], -v[20:21]
	v_add_f64 v[2:3], v[2:3], v[6:7]
	v_fma_f64 v[6:7], v[12:13], v[107:108], v[16:17]
	v_add_f64 v[4:5], v[4:5], v[8:9]
	v_add_f64 v[2:3], v[2:3], v[10:11]
	;; [unrolled: 1-line block ×3, first 2 shown]
	s_waitcnt vmcnt(2)
	v_add_f64 v[2:3], v[30:31], -v[2:3]
	s_waitcnt vmcnt(0)
	v_add_f64 v[4:5], v[34:35], -v[4:5]
	buffer_store_dword v3, off, s[0:3], 0 offset:484
	buffer_store_dword v2, off, s[0:3], 0 offset:480
	;; [unrolled: 1-line block ×4, first 2 shown]
	v_cmpx_lt_u32_e32 28, v0
	s_cbranch_execz .LBB50_263
; %bb.262:
	v_mov_b32_e32 v5, s35
	s_clause 0x3
	buffer_load_dword v2, v5, s[0:3], 0 offen
	buffer_load_dword v3, v5, s[0:3], 0 offen offset:4
	buffer_load_dword v4, v5, s[0:3], 0 offen offset:8
	;; [unrolled: 1-line block ×3, first 2 shown]
	buffer_store_dword v1, off, s[0:3], 0 offset:464
	buffer_store_dword v1, off, s[0:3], 0 offset:468
	;; [unrolled: 1-line block ×4, first 2 shown]
	s_waitcnt vmcnt(0)
	ds_write_b128 v85, v[2:5]
.LBB50_263:
	s_or_b32 exec_lo, exec_lo, s4
	s_waitcnt lgkmcnt(0)
	s_waitcnt_vscnt null, 0x0
	s_barrier
	buffer_gl0_inv
	s_clause 0x37
	buffer_load_dword v10, off, s[0:3], 0 offset:488
	buffer_load_dword v11, off, s[0:3], 0 offset:492
	;; [unrolled: 1-line block ×56, first 2 shown]
	ds_read_b128 v[2:5], v1 offset:1280
	s_clause 0x2
	buffer_load_dword v84, off, s[0:3], 0 offset:716
	buffer_load_dword v89, off, s[0:3], 0 offset:692
	;; [unrolled: 1-line block ×3, first 2 shown]
	ds_read_b128 v[6:9], v1 offset:1296
	s_clause 0x4
	buffer_load_dword v95, off, s[0:3], 0 offset:732
	buffer_load_dword v96, off, s[0:3], 0 offset:744
	;; [unrolled: 1-line block ×5, first 2 shown]
	s_mov_b32 s4, exec_lo
	s_waitcnt vmcnt(62) lgkmcnt(1)
	v_mul_f64 v[90:91], v[4:5], v[10:11]
	v_mul_f64 v[92:93], v[2:3], v[10:11]
	s_waitcnt vmcnt(60) lgkmcnt(0)
	v_mul_f64 v[99:100], v[8:9], v[14:15]
	ds_read_b128 v[10:13], v1 offset:1312
	v_mul_f64 v[14:15], v[6:7], v[14:15]
	s_waitcnt vmcnt(58)
	v_fma_f64 v[90:91], v[2:3], v[16:17], -v[90:91]
	v_fma_f64 v[16:17], v[4:5], v[16:17], v[92:93]
	s_clause 0x2
	buffer_load_dword v97, off, s[0:3], 0 offset:748
	buffer_load_dword v93, off, s[0:3], 0 offset:724
	;; [unrolled: 1-line block ×3, first 2 shown]
	s_waitcnt vmcnt(59) lgkmcnt(0)
	v_mul_f64 v[101:102], v[10:11], v[18:19]
	v_mul_f64 v[18:19], v[12:13], v[18:19]
	s_waitcnt vmcnt(57)
	v_fma_f64 v[103:104], v[6:7], v[20:21], -v[99:100]
	ds_read_b128 v[2:5], v1 offset:1328
	v_fma_f64 v[14:15], v[8:9], v[20:21], v[14:15]
	s_clause 0x4
	buffer_load_dword v21, off, s[0:3], 0 offset:764
	buffer_load_dword v100, off, s[0:3], 0 offset:776
	;; [unrolled: 1-line block ×5, first 2 shown]
	ds_read_b128 v[6:9], v1 offset:1344
	v_add_f64 v[90:91], v[90:91], 0
	v_add_f64 v[16:17], v[16:17], 0
	s_waitcnt vmcnt(58) lgkmcnt(1)
	v_mul_f64 v[106:107], v[2:3], v[22:23]
	v_mul_f64 v[22:23], v[4:5], v[22:23]
	s_waitcnt vmcnt(56)
	v_fma_f64 v[18:19], v[10:11], v[28:29], -v[18:19]
	v_fma_f64 v[28:29], v[12:13], v[28:29], v[101:102]
	v_add_f64 v[90:91], v[90:91], v[103:104]
	v_add_f64 v[14:15], v[16:17], v[14:15]
	s_clause 0x2
	buffer_load_dword v101, off, s[0:3], 0 offset:780
	buffer_load_dword v17, off, s[0:3], 0 offset:756
	;; [unrolled: 1-line block ×3, first 2 shown]
	s_waitcnt vmcnt(58) lgkmcnt(0)
	v_mul_f64 v[102:103], v[6:7], v[24:25]
	v_mul_f64 v[24:25], v[8:9], v[24:25]
	s_waitcnt vmcnt(56)
	v_fma_f64 v[22:23], v[2:3], v[30:31], -v[22:23]
	ds_read_b128 v[10:13], v1 offset:1360
	v_fma_f64 v[30:31], v[4:5], v[30:31], v[106:107]
	v_add_f64 v[18:19], v[90:91], v[18:19]
	v_add_f64 v[14:15], v[14:15], v[28:29]
	s_clause 0x4
	buffer_load_dword v29, off, s[0:3], 0 offset:796
	buffer_load_dword v90, off, s[0:3], 0 offset:808
	;; [unrolled: 1-line block ×5, first 2 shown]
	ds_read_b128 v[2:5], v1 offset:1376
	s_waitcnt vmcnt(57) lgkmcnt(1)
	v_mul_f64 v[108:109], v[10:11], v[32:33]
	v_mul_f64 v[32:33], v[12:13], v[32:33]
	s_waitcnt vmcnt(56)
	v_fma_f64 v[24:25], v[6:7], v[26:27], -v[24:25]
	v_add_f64 v[18:19], v[18:19], v[22:23]
	v_fma_f64 v[22:23], v[8:9], v[26:27], v[102:103]
	v_add_f64 v[14:15], v[14:15], v[30:31]
	s_clause 0x2
	buffer_load_dword v91, off, s[0:3], 0 offset:812
	buffer_load_dword v27, off, s[0:3], 0 offset:788
	;; [unrolled: 1-line block ×3, first 2 shown]
	s_waitcnt vmcnt(58) lgkmcnt(0)
	v_mul_f64 v[30:31], v[2:3], v[34:35]
	v_mul_f64 v[34:35], v[4:5], v[34:35]
	s_waitcnt vmcnt(56)
	v_fma_f64 v[32:33], v[10:11], v[55:56], -v[32:33]
	ds_read_b128 v[6:9], v1 offset:1392
	v_add_f64 v[18:19], v[18:19], v[24:25]
	v_fma_f64 v[24:25], v[12:13], v[55:56], v[108:109]
	v_add_f64 v[14:15], v[14:15], v[22:23]
	s_clause 0x2
	buffer_load_dword v23, off, s[0:3], 0 offset:828
	buffer_load_dword v22, off, s[0:3], 0 offset:824
	;; [unrolled: 1-line block ×3, first 2 shown]
	ds_read_b128 v[10:13], v1 offset:1408
	s_waitcnt vmcnt(55) lgkmcnt(1)
	v_mul_f64 v[55:56], v[6:7], v[57:58]
	v_mul_f64 v[57:58], v[8:9], v[57:58]
	s_waitcnt vmcnt(54)
	v_fma_f64 v[34:35], v[2:3], v[53:54], -v[34:35]
	v_fma_f64 v[30:31], v[4:5], v[53:54], v[30:31]
	v_add_f64 v[18:19], v[18:19], v[32:33]
	v_add_f64 v[14:15], v[14:15], v[24:25]
	s_clause 0x1
	buffer_load_dword v25, off, s[0:3], 0 offset:820
	buffer_load_dword v24, off, s[0:3], 0 offset:816
	s_waitcnt vmcnt(55) lgkmcnt(0)
	v_mul_f64 v[53:54], v[12:13], v[59:60]
	ds_read_b128 v[2:5], v1 offset:1424
	s_waitcnt vmcnt(53)
	v_fma_f64 v[57:58], v[6:7], v[63:64], -v[57:58]
	v_mul_f64 v[32:33], v[10:11], v[59:60]
	v_add_f64 v[18:19], v[18:19], v[34:35]
	v_fma_f64 v[34:35], v[8:9], v[63:64], v[55:56]
	v_add_f64 v[14:15], v[14:15], v[30:31]
	ds_read_b128 v[6:9], v1 offset:1440
	s_waitcnt vmcnt(49) lgkmcnt(1)
	v_mul_f64 v[55:56], v[4:5], v[65:66]
	s_waitcnt vmcnt(48)
	v_fma_f64 v[53:54], v[10:11], v[61:62], -v[53:54]
	v_mul_f64 v[30:31], v[2:3], v[65:66]
	v_fma_f64 v[32:33], v[12:13], v[61:62], v[32:33]
	v_add_f64 v[18:19], v[18:19], v[57:58]
	s_waitcnt vmcnt(47) lgkmcnt(0)
	v_mul_f64 v[61:62], v[8:9], v[67:68]
	v_add_f64 v[14:15], v[14:15], v[34:35]
	s_clause 0x3
	buffer_load_dword v34, off, s[0:3], 0 offset:464
	buffer_load_dword v35, off, s[0:3], 0 offset:468
	;; [unrolled: 1-line block ×4, first 2 shown]
	s_waitcnt vmcnt(49)
	v_fma_f64 v[55:56], v[2:3], v[71:72], -v[55:56]
	ds_read_b128 v[10:13], v1 offset:1456
	v_mul_f64 v[59:60], v[6:7], v[67:68]
	v_fma_f64 v[30:31], v[4:5], v[71:72], v[30:31]
	ds_read_b128 v[2:5], v1 offset:1472
	v_add_f64 v[18:19], v[18:19], v[53:54]
	s_waitcnt vmcnt(44)
	v_fma_f64 v[61:62], v[6:7], v[69:70], -v[61:62]
	v_add_f64 v[14:15], v[14:15], v[32:33]
	s_waitcnt lgkmcnt(1)
	v_mul_f64 v[53:54], v[12:13], v[73:74]
	v_mul_f64 v[32:33], v[10:11], v[73:74]
	v_add_f64 v[18:19], v[18:19], v[55:56]
	v_fma_f64 v[55:56], v[8:9], v[69:70], v[59:60]
	v_add_f64 v[14:15], v[14:15], v[30:31]
	s_waitcnt vmcnt(43) lgkmcnt(0)
	v_mul_f64 v[59:60], v[4:5], v[75:76]
	s_waitcnt vmcnt(41)
	v_fma_f64 v[53:54], v[10:11], v[79:80], -v[53:54]
	ds_read_b128 v[6:9], v1 offset:1488
	v_mul_f64 v[30:31], v[2:3], v[75:76]
	v_fma_f64 v[32:33], v[12:13], v[79:80], v[32:33]
	ds_read_b128 v[10:13], v1 offset:1504
	v_add_f64 v[18:19], v[18:19], v[61:62]
	v_add_f64 v[14:15], v[14:15], v[55:56]
	s_waitcnt vmcnt(37) lgkmcnt(1)
	v_mul_f64 v[61:62], v[8:9], v[81:82]
	s_waitcnt vmcnt(36)
	v_fma_f64 v[59:60], v[2:3], v[77:78], -v[59:60]
	v_mul_f64 v[55:56], v[6:7], v[81:82]
	v_fma_f64 v[30:31], v[4:5], v[77:78], v[30:31]
	ds_read_b128 v[2:5], v1 offset:1520
	v_add_f64 v[18:19], v[18:19], v[53:54]
	s_waitcnt vmcnt(35) lgkmcnt(1)
	v_mul_f64 v[53:54], v[12:13], v[83:84]
	v_add_f64 v[14:15], v[14:15], v[32:33]
	s_waitcnt vmcnt(33)
	v_fma_f64 v[61:62], v[6:7], v[88:89], -v[61:62]
	v_mul_f64 v[32:33], v[10:11], v[83:84]
	v_fma_f64 v[55:56], v[8:9], v[88:89], v[55:56]
	ds_read_b128 v[6:9], v1 offset:1536
	v_add_f64 v[18:19], v[18:19], v[59:60]
	s_waitcnt vmcnt(29) lgkmcnt(1)
	v_mul_f64 v[59:60], v[4:5], v[94:95]
	v_add_f64 v[14:15], v[14:15], v[30:31]
	s_waitcnt vmcnt(28)
	v_fma_f64 v[53:54], v[10:11], v[86:87], -v[53:54]
	v_mul_f64 v[30:31], v[2:3], v[94:95]
	v_fma_f64 v[32:33], v[12:13], v[86:87], v[32:33]
	ds_read_b128 v[10:13], v1 offset:1552
	v_add_f64 v[18:19], v[18:19], v[61:62]
	v_add_f64 v[14:15], v[14:15], v[55:56]
	s_waitcnt vmcnt(27) lgkmcnt(1)
	v_mul_f64 v[61:62], v[8:9], v[96:97]
	v_mul_f64 v[55:56], v[6:7], v[96:97]
	s_waitcnt vmcnt(25)
	v_fma_f64 v[59:60], v[2:3], v[92:93], -v[59:60]
	v_fma_f64 v[30:31], v[4:5], v[92:93], v[30:31]
	ds_read_b128 v[2:5], v1 offset:1568
	v_add_f64 v[18:19], v[18:19], v[53:54]
	v_add_f64 v[14:15], v[14:15], v[32:33]
	s_waitcnt vmcnt(21) lgkmcnt(1)
	v_mul_f64 v[32:33], v[10:11], v[20:21]
	v_mul_f64 v[20:21], v[12:13], v[20:21]
	s_waitcnt vmcnt(20)
	v_fma_f64 v[53:54], v[6:7], v[98:99], -v[61:62]
	;; [unrolled: 9-line block ×4, first 2 shown]
	v_add_f64 v[18:19], v[18:19], v[20:21]
	v_fma_f64 v[20:21], v[4:5], v[105:106], v[30:31]
	v_add_f64 v[14:15], v[14:15], v[16:17]
	ds_read_b128 v[1:4], v1 offset:1616
	s_waitcnt vmcnt(11) lgkmcnt(1)
	v_mul_f64 v[30:31], v[12:13], v[90:91]
	v_mul_f64 v[16:17], v[10:11], v[90:91]
	s_waitcnt vmcnt(9)
	v_fma_f64 v[5:6], v[6:7], v[26:27], -v[28:29]
	v_fma_f64 v[7:8], v[8:9], v[26:27], v[32:33]
	v_add_f64 v[18:19], v[18:19], v[53:54]
	v_add_f64 v[14:15], v[14:15], v[20:21]
	s_waitcnt vmcnt(7) lgkmcnt(0)
	v_mul_f64 v[20:21], v[1:2], v[22:23]
	v_mul_f64 v[22:23], v[3:4], v[22:23]
	s_waitcnt vmcnt(6)
	v_fma_f64 v[9:10], v[10:11], v[107:108], -v[30:31]
	v_fma_f64 v[11:12], v[12:13], v[107:108], v[16:17]
	v_add_f64 v[5:6], v[18:19], v[5:6]
	v_add_f64 v[7:8], v[14:15], v[7:8]
	s_waitcnt vmcnt(4)
	v_fma_f64 v[1:2], v[1:2], v[24:25], -v[22:23]
	v_fma_f64 v[3:4], v[3:4], v[24:25], v[20:21]
	v_add_f64 v[5:6], v[5:6], v[9:10]
	v_add_f64 v[7:8], v[7:8], v[11:12]
	;; [unrolled: 1-line block ×4, first 2 shown]
	s_waitcnt vmcnt(2)
	v_add_f64 v[1:2], v[34:35], -v[1:2]
	s_waitcnt vmcnt(0)
	v_add_f64 v[3:4], v[57:58], -v[3:4]
	buffer_store_dword v2, off, s[0:3], 0 offset:468
	buffer_store_dword v1, off, s[0:3], 0 offset:464
	;; [unrolled: 1-line block ×4, first 2 shown]
	v_cmpx_lt_u32_e32 27, v0
	s_cbranch_execz .LBB50_265
; %bb.264:
	v_mov_b32_e32 v4, s36
	v_mov_b32_e32 v5, 0
	s_clause 0x3
	buffer_load_dword v1, v4, s[0:3], 0 offen
	buffer_load_dword v2, v4, s[0:3], 0 offen offset:4
	buffer_load_dword v3, v4, s[0:3], 0 offen offset:8
	;; [unrolled: 1-line block ×3, first 2 shown]
	buffer_store_dword v5, off, s[0:3], 0 offset:448
	buffer_store_dword v5, off, s[0:3], 0 offset:452
	;; [unrolled: 1-line block ×4, first 2 shown]
	s_waitcnt vmcnt(0)
	ds_write_b128 v85, v[1:4]
.LBB50_265:
	s_or_b32 exec_lo, exec_lo, s4
	s_waitcnt lgkmcnt(0)
	s_waitcnt_vscnt null, 0x0
	s_barrier
	buffer_gl0_inv
	s_clause 0x37
	buffer_load_dword v10, off, s[0:3], 0 offset:472
	buffer_load_dword v11, off, s[0:3], 0 offset:476
	;; [unrolled: 1-line block ×56, first 2 shown]
	v_mov_b32_e32 v1, 0
	s_mov_b32 s4, exec_lo
	ds_read_b128 v[2:5], v1 offset:1264
	s_clause 0x2
	buffer_load_dword v84, off, s[0:3], 0 offset:700
	buffer_load_dword v89, off, s[0:3], 0 offset:676
	buffer_load_dword v88, off, s[0:3], 0 offset:672
	ds_read_b128 v[6:9], v1 offset:1280
	s_clause 0x4
	buffer_load_dword v95, off, s[0:3], 0 offset:716
	buffer_load_dword v96, off, s[0:3], 0 offset:728
	;; [unrolled: 1-line block ×5, first 2 shown]
	s_waitcnt vmcnt(62) lgkmcnt(1)
	v_mul_f64 v[90:91], v[4:5], v[10:11]
	v_mul_f64 v[92:93], v[2:3], v[10:11]
	s_waitcnt vmcnt(60) lgkmcnt(0)
	v_mul_f64 v[99:100], v[8:9], v[14:15]
	ds_read_b128 v[10:13], v1 offset:1296
	v_mul_f64 v[14:15], v[6:7], v[14:15]
	s_waitcnt vmcnt(58)
	v_fma_f64 v[90:91], v[2:3], v[16:17], -v[90:91]
	v_fma_f64 v[16:17], v[4:5], v[16:17], v[92:93]
	s_clause 0x2
	buffer_load_dword v97, off, s[0:3], 0 offset:732
	buffer_load_dword v93, off, s[0:3], 0 offset:708
	;; [unrolled: 1-line block ×3, first 2 shown]
	s_waitcnt vmcnt(59) lgkmcnt(0)
	v_mul_f64 v[101:102], v[10:11], v[18:19]
	v_mul_f64 v[18:19], v[12:13], v[18:19]
	s_waitcnt vmcnt(57)
	v_fma_f64 v[103:104], v[6:7], v[20:21], -v[99:100]
	ds_read_b128 v[2:5], v1 offset:1312
	v_fma_f64 v[14:15], v[8:9], v[20:21], v[14:15]
	s_clause 0x4
	buffer_load_dword v21, off, s[0:3], 0 offset:748
	buffer_load_dword v100, off, s[0:3], 0 offset:760
	;; [unrolled: 1-line block ×5, first 2 shown]
	ds_read_b128 v[6:9], v1 offset:1328
	v_add_f64 v[90:91], v[90:91], 0
	v_add_f64 v[16:17], v[16:17], 0
	s_waitcnt vmcnt(58) lgkmcnt(1)
	v_mul_f64 v[106:107], v[2:3], v[22:23]
	v_mul_f64 v[22:23], v[4:5], v[22:23]
	s_waitcnt vmcnt(56)
	v_fma_f64 v[18:19], v[10:11], v[28:29], -v[18:19]
	v_fma_f64 v[28:29], v[12:13], v[28:29], v[101:102]
	v_add_f64 v[90:91], v[90:91], v[103:104]
	v_add_f64 v[14:15], v[16:17], v[14:15]
	s_clause 0x2
	buffer_load_dword v101, off, s[0:3], 0 offset:764
	buffer_load_dword v17, off, s[0:3], 0 offset:740
	;; [unrolled: 1-line block ×3, first 2 shown]
	s_waitcnt vmcnt(58) lgkmcnt(0)
	v_mul_f64 v[102:103], v[6:7], v[24:25]
	v_mul_f64 v[24:25], v[8:9], v[24:25]
	s_waitcnt vmcnt(56)
	v_fma_f64 v[22:23], v[2:3], v[30:31], -v[22:23]
	ds_read_b128 v[10:13], v1 offset:1344
	v_fma_f64 v[30:31], v[4:5], v[30:31], v[106:107]
	v_add_f64 v[18:19], v[90:91], v[18:19]
	v_add_f64 v[14:15], v[14:15], v[28:29]
	s_clause 0x4
	buffer_load_dword v29, off, s[0:3], 0 offset:780
	buffer_load_dword v90, off, s[0:3], 0 offset:792
	;; [unrolled: 1-line block ×5, first 2 shown]
	ds_read_b128 v[2:5], v1 offset:1360
	s_waitcnt vmcnt(57) lgkmcnt(1)
	v_mul_f64 v[108:109], v[10:11], v[32:33]
	v_mul_f64 v[32:33], v[12:13], v[32:33]
	s_waitcnt vmcnt(56)
	v_fma_f64 v[24:25], v[6:7], v[26:27], -v[24:25]
	v_add_f64 v[18:19], v[18:19], v[22:23]
	v_fma_f64 v[22:23], v[8:9], v[26:27], v[102:103]
	v_add_f64 v[14:15], v[14:15], v[30:31]
	s_clause 0x2
	buffer_load_dword v91, off, s[0:3], 0 offset:796
	buffer_load_dword v27, off, s[0:3], 0 offset:772
	;; [unrolled: 1-line block ×3, first 2 shown]
	s_waitcnt vmcnt(58) lgkmcnt(0)
	v_mul_f64 v[30:31], v[2:3], v[34:35]
	v_mul_f64 v[34:35], v[4:5], v[34:35]
	s_waitcnt vmcnt(56)
	v_fma_f64 v[32:33], v[10:11], v[55:56], -v[32:33]
	ds_read_b128 v[6:9], v1 offset:1376
	v_add_f64 v[18:19], v[18:19], v[24:25]
	v_fma_f64 v[24:25], v[12:13], v[55:56], v[108:109]
	v_add_f64 v[14:15], v[14:15], v[22:23]
	s_clause 0x4
	buffer_load_dword v23, off, s[0:3], 0 offset:812
	buffer_load_dword v55, off, s[0:3], 0 offset:824
	;; [unrolled: 1-line block ×5, first 2 shown]
	ds_read_b128 v[10:13], v1 offset:1392
	s_waitcnt vmcnt(57) lgkmcnt(1)
	v_mul_f64 v[103:104], v[6:7], v[57:58]
	v_mul_f64 v[57:58], v[8:9], v[57:58]
	s_waitcnt vmcnt(56)
	v_fma_f64 v[34:35], v[2:3], v[53:54], -v[34:35]
	v_fma_f64 v[30:31], v[4:5], v[53:54], v[30:31]
	v_add_f64 v[18:19], v[18:19], v[32:33]
	v_add_f64 v[14:15], v[14:15], v[24:25]
	s_clause 0x2
	buffer_load_dword v56, off, s[0:3], 0 offset:828
	buffer_load_dword v25, off, s[0:3], 0 offset:804
	;; [unrolled: 1-line block ×3, first 2 shown]
	s_waitcnt vmcnt(58) lgkmcnt(0)
	v_mul_f64 v[53:54], v[12:13], v[59:60]
	ds_read_b128 v[2:5], v1 offset:1408
	s_waitcnt vmcnt(56)
	v_fma_f64 v[57:58], v[6:7], v[63:64], -v[57:58]
	v_mul_f64 v[32:33], v[10:11], v[59:60]
	v_add_f64 v[18:19], v[18:19], v[34:35]
	v_fma_f64 v[34:35], v[8:9], v[63:64], v[103:104]
	v_add_f64 v[14:15], v[14:15], v[30:31]
	buffer_load_dword v103, off, s[0:3], 0 offset:820
	ds_read_b128 v[6:9], v1 offset:1424
	s_waitcnt vmcnt(53) lgkmcnt(1)
	v_mul_f64 v[59:60], v[4:5], v[65:66]
	s_waitcnt vmcnt(52)
	v_fma_f64 v[53:54], v[10:11], v[61:62], -v[53:54]
	v_mul_f64 v[30:31], v[2:3], v[65:66]
	v_fma_f64 v[32:33], v[12:13], v[61:62], v[32:33]
	ds_read_b128 v[10:13], v1 offset:1440
	v_add_f64 v[18:19], v[18:19], v[57:58]
	v_add_f64 v[14:15], v[14:15], v[34:35]
	s_waitcnt vmcnt(51) lgkmcnt(1)
	v_mul_f64 v[57:58], v[8:9], v[67:68]
	v_mul_f64 v[34:35], v[6:7], v[67:68]
	s_waitcnt vmcnt(49)
	v_fma_f64 v[59:60], v[2:3], v[71:72], -v[59:60]
	v_fma_f64 v[30:31], v[4:5], v[71:72], v[30:31]
	s_waitcnt vmcnt(45) lgkmcnt(0)
	v_mul_f64 v[63:64], v[12:13], v[73:74]
	v_mul_f64 v[61:62], v[10:11], v[73:74]
	v_add_f64 v[18:19], v[18:19], v[53:54]
	v_add_f64 v[14:15], v[14:15], v[32:33]
	s_clause 0x3
	buffer_load_dword v32, off, s[0:3], 0 offset:448
	buffer_load_dword v33, off, s[0:3], 0 offset:452
	;; [unrolled: 1-line block ×4, first 2 shown]
	s_waitcnt vmcnt(48)
	v_fma_f64 v[57:58], v[6:7], v[69:70], -v[57:58]
	ds_read_b128 v[2:5], v1 offset:1456
	v_fma_f64 v[34:35], v[8:9], v[69:70], v[34:35]
	ds_read_b128 v[6:9], v1 offset:1472
	s_waitcnt vmcnt(45)
	v_fma_f64 v[63:64], v[10:11], v[79:80], -v[63:64]
	v_add_f64 v[18:19], v[18:19], v[59:60]
	v_add_f64 v[14:15], v[14:15], v[30:31]
	s_waitcnt lgkmcnt(1)
	v_mul_f64 v[59:60], v[4:5], v[75:76]
	v_mul_f64 v[30:31], v[2:3], v[75:76]
	v_add_f64 v[18:19], v[18:19], v[57:58]
	v_fma_f64 v[57:58], v[12:13], v[79:80], v[61:62]
	v_add_f64 v[14:15], v[14:15], v[34:35]
	s_waitcnt vmcnt(41) lgkmcnt(0)
	v_mul_f64 v[61:62], v[8:9], v[81:82]
	s_waitcnt vmcnt(40)
	v_fma_f64 v[59:60], v[2:3], v[77:78], -v[59:60]
	ds_read_b128 v[10:13], v1 offset:1488
	v_mul_f64 v[34:35], v[6:7], v[81:82]
	v_fma_f64 v[30:31], v[4:5], v[77:78], v[30:31]
	ds_read_b128 v[2:5], v1 offset:1504
	v_add_f64 v[18:19], v[18:19], v[63:64]
	v_add_f64 v[14:15], v[14:15], v[57:58]
	s_waitcnt vmcnt(39) lgkmcnt(1)
	v_mul_f64 v[63:64], v[12:13], v[83:84]
	s_waitcnt vmcnt(37)
	v_fma_f64 v[61:62], v[6:7], v[88:89], -v[61:62]
	v_mul_f64 v[57:58], v[10:11], v[83:84]
	v_fma_f64 v[34:35], v[8:9], v[88:89], v[34:35]
	ds_read_b128 v[6:9], v1 offset:1520
	v_add_f64 v[18:19], v[18:19], v[59:60]
	s_waitcnt vmcnt(33) lgkmcnt(1)
	v_mul_f64 v[59:60], v[4:5], v[94:95]
	v_add_f64 v[14:15], v[14:15], v[30:31]
	s_waitcnt vmcnt(32)
	v_fma_f64 v[63:64], v[10:11], v[86:87], -v[63:64]
	v_mul_f64 v[30:31], v[2:3], v[94:95]
	v_fma_f64 v[57:58], v[12:13], v[86:87], v[57:58]
	ds_read_b128 v[10:13], v1 offset:1536
	v_add_f64 v[18:19], v[18:19], v[61:62]
	v_add_f64 v[14:15], v[14:15], v[34:35]
	s_waitcnt vmcnt(31) lgkmcnt(1)
	v_mul_f64 v[61:62], v[8:9], v[96:97]
	v_mul_f64 v[34:35], v[6:7], v[96:97]
	s_waitcnt vmcnt(29)
	v_fma_f64 v[59:60], v[2:3], v[92:93], -v[59:60]
	v_fma_f64 v[30:31], v[4:5], v[92:93], v[30:31]
	ds_read_b128 v[2:5], v1 offset:1552
	v_add_f64 v[18:19], v[18:19], v[63:64]
	v_add_f64 v[14:15], v[14:15], v[57:58]
	s_waitcnt vmcnt(25) lgkmcnt(1)
	v_mul_f64 v[57:58], v[10:11], v[20:21]
	v_mul_f64 v[20:21], v[12:13], v[20:21]
	s_waitcnt vmcnt(24)
	v_fma_f64 v[61:62], v[6:7], v[98:99], -v[61:62]
	;; [unrolled: 9-line block ×4, first 2 shown]
	v_add_f64 v[18:19], v[18:19], v[20:21]
	v_fma_f64 v[20:21], v[4:5], v[105:106], v[30:31]
	v_add_f64 v[14:15], v[14:15], v[16:17]
	ds_read_b128 v[2:5], v1 offset:1600
	s_waitcnt vmcnt(15) lgkmcnt(1)
	v_mul_f64 v[30:31], v[12:13], v[90:91]
	v_mul_f64 v[16:17], v[10:11], v[90:91]
	s_waitcnt vmcnt(13)
	v_fma_f64 v[28:29], v[6:7], v[26:27], -v[28:29]
	v_fma_f64 v[26:27], v[8:9], v[26:27], v[34:35]
	ds_read_b128 v[6:9], v1 offset:1616
	v_add_f64 v[18:19], v[18:19], v[57:58]
	v_add_f64 v[14:15], v[14:15], v[20:21]
	s_waitcnt vmcnt(9) lgkmcnt(1)
	v_mul_f64 v[20:21], v[2:3], v[22:23]
	v_mul_f64 v[22:23], v[4:5], v[22:23]
	s_waitcnt vmcnt(8)
	v_fma_f64 v[10:11], v[10:11], v[107:108], -v[30:31]
	v_fma_f64 v[12:13], v[12:13], v[107:108], v[16:17]
	v_add_f64 v[18:19], v[18:19], v[28:29]
	v_add_f64 v[14:15], v[14:15], v[26:27]
	s_waitcnt vmcnt(7) lgkmcnt(0)
	v_mul_f64 v[26:27], v[8:9], v[55:56]
	v_mul_f64 v[16:17], v[6:7], v[55:56]
	s_waitcnt vmcnt(5)
	v_fma_f64 v[2:3], v[2:3], v[24:25], -v[22:23]
	v_fma_f64 v[4:5], v[4:5], v[24:25], v[20:21]
	v_add_f64 v[10:11], v[18:19], v[10:11]
	v_add_f64 v[12:13], v[14:15], v[12:13]
	s_waitcnt vmcnt(4)
	v_fma_f64 v[6:7], v[6:7], v[102:103], -v[26:27]
	v_fma_f64 v[8:9], v[8:9], v[102:103], v[16:17]
	v_add_f64 v[2:3], v[10:11], v[2:3]
	v_add_f64 v[4:5], v[12:13], v[4:5]
	;; [unrolled: 1-line block ×4, first 2 shown]
	s_waitcnt vmcnt(2)
	v_add_f64 v[2:3], v[32:33], -v[2:3]
	s_waitcnt vmcnt(0)
	v_add_f64 v[4:5], v[53:54], -v[4:5]
	buffer_store_dword v3, off, s[0:3], 0 offset:452
	buffer_store_dword v2, off, s[0:3], 0 offset:448
	;; [unrolled: 1-line block ×4, first 2 shown]
	v_cmpx_lt_u32_e32 26, v0
	s_cbranch_execz .LBB50_267
; %bb.266:
	v_mov_b32_e32 v5, s37
	s_clause 0x3
	buffer_load_dword v2, v5, s[0:3], 0 offen
	buffer_load_dword v3, v5, s[0:3], 0 offen offset:4
	buffer_load_dword v4, v5, s[0:3], 0 offen offset:8
	;; [unrolled: 1-line block ×3, first 2 shown]
	buffer_store_dword v1, off, s[0:3], 0 offset:432
	buffer_store_dword v1, off, s[0:3], 0 offset:436
	;; [unrolled: 1-line block ×4, first 2 shown]
	s_waitcnt vmcnt(0)
	ds_write_b128 v85, v[2:5]
.LBB50_267:
	s_or_b32 exec_lo, exec_lo, s4
	s_waitcnt lgkmcnt(0)
	s_waitcnt_vscnt null, 0x0
	s_barrier
	buffer_gl0_inv
	s_clause 0x37
	buffer_load_dword v10, off, s[0:3], 0 offset:456
	buffer_load_dword v11, off, s[0:3], 0 offset:460
	;; [unrolled: 1-line block ×56, first 2 shown]
	ds_read_b128 v[2:5], v1 offset:1248
	s_clause 0x2
	buffer_load_dword v84, off, s[0:3], 0 offset:684
	buffer_load_dword v89, off, s[0:3], 0 offset:660
	;; [unrolled: 1-line block ×3, first 2 shown]
	ds_read_b128 v[6:9], v1 offset:1264
	s_clause 0x4
	buffer_load_dword v95, off, s[0:3], 0 offset:700
	buffer_load_dword v96, off, s[0:3], 0 offset:712
	;; [unrolled: 1-line block ×5, first 2 shown]
	s_mov_b32 s4, exec_lo
	s_waitcnt vmcnt(62) lgkmcnt(1)
	v_mul_f64 v[90:91], v[4:5], v[10:11]
	v_mul_f64 v[92:93], v[2:3], v[10:11]
	s_waitcnt vmcnt(60) lgkmcnt(0)
	v_mul_f64 v[99:100], v[8:9], v[14:15]
	ds_read_b128 v[10:13], v1 offset:1280
	v_mul_f64 v[14:15], v[6:7], v[14:15]
	s_waitcnt vmcnt(58)
	v_fma_f64 v[90:91], v[2:3], v[16:17], -v[90:91]
	v_fma_f64 v[16:17], v[4:5], v[16:17], v[92:93]
	s_clause 0x2
	buffer_load_dword v97, off, s[0:3], 0 offset:716
	buffer_load_dword v93, off, s[0:3], 0 offset:692
	;; [unrolled: 1-line block ×3, first 2 shown]
	s_waitcnt vmcnt(59) lgkmcnt(0)
	v_mul_f64 v[101:102], v[10:11], v[18:19]
	v_mul_f64 v[18:19], v[12:13], v[18:19]
	s_waitcnt vmcnt(57)
	v_fma_f64 v[103:104], v[6:7], v[20:21], -v[99:100]
	ds_read_b128 v[2:5], v1 offset:1296
	v_fma_f64 v[14:15], v[8:9], v[20:21], v[14:15]
	s_clause 0x4
	buffer_load_dword v21, off, s[0:3], 0 offset:732
	buffer_load_dword v100, off, s[0:3], 0 offset:744
	;; [unrolled: 1-line block ×5, first 2 shown]
	ds_read_b128 v[6:9], v1 offset:1312
	v_add_f64 v[90:91], v[90:91], 0
	v_add_f64 v[16:17], v[16:17], 0
	s_waitcnt vmcnt(58) lgkmcnt(1)
	v_mul_f64 v[106:107], v[2:3], v[22:23]
	v_mul_f64 v[22:23], v[4:5], v[22:23]
	s_waitcnt vmcnt(56)
	v_fma_f64 v[18:19], v[10:11], v[28:29], -v[18:19]
	v_fma_f64 v[28:29], v[12:13], v[28:29], v[101:102]
	v_add_f64 v[90:91], v[90:91], v[103:104]
	v_add_f64 v[14:15], v[16:17], v[14:15]
	s_clause 0x2
	buffer_load_dword v101, off, s[0:3], 0 offset:748
	buffer_load_dword v17, off, s[0:3], 0 offset:724
	;; [unrolled: 1-line block ×3, first 2 shown]
	s_waitcnt vmcnt(58) lgkmcnt(0)
	v_mul_f64 v[102:103], v[6:7], v[24:25]
	v_mul_f64 v[24:25], v[8:9], v[24:25]
	s_waitcnt vmcnt(56)
	v_fma_f64 v[22:23], v[2:3], v[30:31], -v[22:23]
	ds_read_b128 v[10:13], v1 offset:1328
	v_fma_f64 v[30:31], v[4:5], v[30:31], v[106:107]
	v_add_f64 v[18:19], v[90:91], v[18:19]
	v_add_f64 v[14:15], v[14:15], v[28:29]
	s_clause 0x4
	buffer_load_dword v29, off, s[0:3], 0 offset:764
	buffer_load_dword v90, off, s[0:3], 0 offset:776
	;; [unrolled: 1-line block ×5, first 2 shown]
	ds_read_b128 v[2:5], v1 offset:1344
	s_waitcnt vmcnt(57) lgkmcnt(1)
	v_mul_f64 v[108:109], v[10:11], v[32:33]
	v_mul_f64 v[32:33], v[12:13], v[32:33]
	s_waitcnt vmcnt(56)
	v_fma_f64 v[24:25], v[6:7], v[26:27], -v[24:25]
	v_add_f64 v[18:19], v[18:19], v[22:23]
	v_fma_f64 v[22:23], v[8:9], v[26:27], v[102:103]
	v_add_f64 v[14:15], v[14:15], v[30:31]
	s_clause 0x2
	buffer_load_dword v91, off, s[0:3], 0 offset:780
	buffer_load_dword v27, off, s[0:3], 0 offset:756
	;; [unrolled: 1-line block ×3, first 2 shown]
	s_waitcnt vmcnt(58) lgkmcnt(0)
	v_mul_f64 v[30:31], v[2:3], v[34:35]
	v_mul_f64 v[34:35], v[4:5], v[34:35]
	s_waitcnt vmcnt(56)
	v_fma_f64 v[32:33], v[10:11], v[55:56], -v[32:33]
	ds_read_b128 v[6:9], v1 offset:1360
	v_add_f64 v[18:19], v[18:19], v[24:25]
	v_fma_f64 v[24:25], v[12:13], v[55:56], v[108:109]
	v_add_f64 v[14:15], v[14:15], v[22:23]
	s_clause 0x4
	buffer_load_dword v23, off, s[0:3], 0 offset:796
	buffer_load_dword v55, off, s[0:3], 0 offset:808
	buffer_load_dword v102, off, s[0:3], 0 offset:800
	buffer_load_dword v22, off, s[0:3], 0 offset:792
	buffer_load_dword v108, off, s[0:3], 0 offset:772
	ds_read_b128 v[10:13], v1 offset:1376
	s_waitcnt vmcnt(57) lgkmcnt(1)
	v_mul_f64 v[103:104], v[6:7], v[57:58]
	v_mul_f64 v[57:58], v[8:9], v[57:58]
	s_waitcnt vmcnt(56)
	v_fma_f64 v[34:35], v[2:3], v[53:54], -v[34:35]
	v_fma_f64 v[30:31], v[4:5], v[53:54], v[30:31]
	v_add_f64 v[18:19], v[18:19], v[32:33]
	v_add_f64 v[14:15], v[14:15], v[24:25]
	s_clause 0x2
	buffer_load_dword v56, off, s[0:3], 0 offset:812
	buffer_load_dword v25, off, s[0:3], 0 offset:788
	;; [unrolled: 1-line block ×3, first 2 shown]
	s_waitcnt vmcnt(58) lgkmcnt(0)
	v_mul_f64 v[53:54], v[12:13], v[59:60]
	ds_read_b128 v[2:5], v1 offset:1392
	s_waitcnt vmcnt(56)
	v_fma_f64 v[57:58], v[6:7], v[63:64], -v[57:58]
	v_mul_f64 v[32:33], v[10:11], v[59:60]
	v_add_f64 v[18:19], v[18:19], v[34:35]
	v_fma_f64 v[34:35], v[8:9], v[63:64], v[103:104]
	v_add_f64 v[14:15], v[14:15], v[30:31]
	s_clause 0x2
	buffer_load_dword v31, off, s[0:3], 0 offset:828
	buffer_load_dword v30, off, s[0:3], 0 offset:824
	;; [unrolled: 1-line block ×3, first 2 shown]
	s_waitcnt vmcnt(55) lgkmcnt(0)
	v_mul_f64 v[63:64], v[4:5], v[65:66]
	s_waitcnt vmcnt(54)
	v_fma_f64 v[53:54], v[10:11], v[61:62], -v[53:54]
	ds_read_b128 v[6:9], v1 offset:1408
	v_mul_f64 v[59:60], v[2:3], v[65:66]
	v_fma_f64 v[32:33], v[12:13], v[61:62], v[32:33]
	v_add_f64 v[18:19], v[18:19], v[57:58]
	v_add_f64 v[14:15], v[14:15], v[34:35]
	s_clause 0x1
	buffer_load_dword v35, off, s[0:3], 0 offset:820
	buffer_load_dword v34, off, s[0:3], 0 offset:816
	s_waitcnt vmcnt(55) lgkmcnt(0)
	v_mul_f64 v[61:62], v[8:9], v[67:68]
	s_waitcnt vmcnt(53)
	v_fma_f64 v[63:64], v[2:3], v[71:72], -v[63:64]
	ds_read_b128 v[10:13], v1 offset:1424
	v_mul_f64 v[57:58], v[6:7], v[67:68]
	v_add_f64 v[18:19], v[18:19], v[53:54]
	v_fma_f64 v[53:54], v[4:5], v[71:72], v[59:60]
	v_add_f64 v[14:15], v[14:15], v[32:33]
	ds_read_b128 v[2:5], v1 offset:1440
	s_waitcnt vmcnt(49) lgkmcnt(1)
	v_mul_f64 v[59:60], v[12:13], v[73:74]
	s_waitcnt vmcnt(48)
	v_fma_f64 v[61:62], v[6:7], v[69:70], -v[61:62]
	v_mul_f64 v[32:33], v[10:11], v[73:74]
	v_fma_f64 v[57:58], v[8:9], v[69:70], v[57:58]
	v_add_f64 v[18:19], v[18:19], v[63:64]
	s_waitcnt vmcnt(47) lgkmcnt(0)
	v_mul_f64 v[67:68], v[4:5], v[75:76]
	v_add_f64 v[14:15], v[14:15], v[53:54]
	s_clause 0x3
	buffer_load_dword v53, off, s[0:3], 0 offset:432
	buffer_load_dword v54, off, s[0:3], 0 offset:436
	;; [unrolled: 1-line block ×4, first 2 shown]
	s_waitcnt vmcnt(49)
	v_fma_f64 v[59:60], v[10:11], v[79:80], -v[59:60]
	ds_read_b128 v[6:9], v1 offset:1456
	v_mul_f64 v[65:66], v[2:3], v[75:76]
	v_fma_f64 v[32:33], v[12:13], v[79:80], v[32:33]
	ds_read_b128 v[10:13], v1 offset:1472
	v_add_f64 v[18:19], v[18:19], v[61:62]
	s_waitcnt vmcnt(44)
	v_fma_f64 v[67:68], v[2:3], v[77:78], -v[67:68]
	v_add_f64 v[14:15], v[14:15], v[57:58]
	s_waitcnt lgkmcnt(1)
	v_mul_f64 v[61:62], v[8:9], v[81:82]
	v_mul_f64 v[57:58], v[6:7], v[81:82]
	v_add_f64 v[18:19], v[18:19], v[59:60]
	v_fma_f64 v[59:60], v[4:5], v[77:78], v[65:66]
	v_add_f64 v[14:15], v[14:15], v[32:33]
	s_waitcnt vmcnt(43) lgkmcnt(0)
	v_mul_f64 v[65:66], v[12:13], v[83:84]
	s_waitcnt vmcnt(41)
	v_fma_f64 v[61:62], v[6:7], v[88:89], -v[61:62]
	ds_read_b128 v[2:5], v1 offset:1488
	v_mul_f64 v[32:33], v[10:11], v[83:84]
	v_fma_f64 v[57:58], v[8:9], v[88:89], v[57:58]
	ds_read_b128 v[6:9], v1 offset:1504
	v_add_f64 v[18:19], v[18:19], v[67:68]
	v_add_f64 v[14:15], v[14:15], v[59:60]
	s_waitcnt vmcnt(37) lgkmcnt(1)
	v_mul_f64 v[67:68], v[4:5], v[94:95]
	s_waitcnt vmcnt(36)
	v_fma_f64 v[65:66], v[10:11], v[86:87], -v[65:66]
	v_mul_f64 v[59:60], v[2:3], v[94:95]
	v_fma_f64 v[32:33], v[12:13], v[86:87], v[32:33]
	ds_read_b128 v[10:13], v1 offset:1520
	v_add_f64 v[18:19], v[18:19], v[61:62]
	v_add_f64 v[14:15], v[14:15], v[57:58]
	s_waitcnt vmcnt(35) lgkmcnt(1)
	v_mul_f64 v[61:62], v[8:9], v[96:97]
	v_mul_f64 v[57:58], v[6:7], v[96:97]
	s_waitcnt vmcnt(33)
	v_fma_f64 v[67:68], v[2:3], v[92:93], -v[67:68]
	v_fma_f64 v[59:60], v[4:5], v[92:93], v[59:60]
	ds_read_b128 v[2:5], v1 offset:1536
	v_add_f64 v[18:19], v[18:19], v[65:66]
	v_add_f64 v[14:15], v[14:15], v[32:33]
	s_waitcnt vmcnt(29) lgkmcnt(1)
	v_mul_f64 v[32:33], v[10:11], v[20:21]
	v_mul_f64 v[20:21], v[12:13], v[20:21]
	s_waitcnt vmcnt(28)
	v_fma_f64 v[61:62], v[6:7], v[98:99], -v[61:62]
	;; [unrolled: 9-line block ×4, first 2 shown]
	v_add_f64 v[18:19], v[18:19], v[20:21]
	v_fma_f64 v[20:21], v[4:5], v[105:106], v[59:60]
	v_add_f64 v[14:15], v[14:15], v[16:17]
	ds_read_b128 v[2:5], v1 offset:1584
	s_waitcnt vmcnt(19) lgkmcnt(1)
	v_mul_f64 v[59:60], v[12:13], v[90:91]
	v_mul_f64 v[16:17], v[10:11], v[90:91]
	s_waitcnt vmcnt(17)
	v_fma_f64 v[28:29], v[6:7], v[26:27], -v[28:29]
	v_fma_f64 v[26:27], v[8:9], v[26:27], v[32:33]
	ds_read_b128 v[6:9], v1 offset:1600
	v_add_f64 v[18:19], v[18:19], v[57:58]
	v_add_f64 v[14:15], v[14:15], v[20:21]
	s_waitcnt vmcnt(13) lgkmcnt(1)
	v_mul_f64 v[20:21], v[2:3], v[22:23]
	v_mul_f64 v[22:23], v[4:5], v[22:23]
	s_waitcnt vmcnt(12)
	v_fma_f64 v[32:33], v[10:11], v[107:108], -v[59:60]
	v_fma_f64 v[16:17], v[12:13], v[107:108], v[16:17]
	ds_read_b128 v[10:13], v1 offset:1616
	v_add_f64 v[18:19], v[18:19], v[28:29]
	v_add_f64 v[14:15], v[14:15], v[26:27]
	s_waitcnt vmcnt(11) lgkmcnt(1)
	v_mul_f64 v[28:29], v[8:9], v[55:56]
	v_mul_f64 v[26:27], v[6:7], v[55:56]
	s_waitcnt vmcnt(9)
	v_fma_f64 v[1:2], v[2:3], v[24:25], -v[22:23]
	v_fma_f64 v[3:4], v[4:5], v[24:25], v[20:21]
	v_add_f64 v[18:19], v[18:19], v[32:33]
	v_add_f64 v[14:15], v[14:15], v[16:17]
	s_waitcnt vmcnt(7) lgkmcnt(0)
	v_mul_f64 v[20:21], v[12:13], v[30:31]
	s_waitcnt vmcnt(6)
	v_fma_f64 v[5:6], v[6:7], v[102:103], -v[28:29]
	v_mul_f64 v[16:17], v[10:11], v[30:31]
	v_fma_f64 v[7:8], v[8:9], v[102:103], v[26:27]
	v_add_f64 v[1:2], v[18:19], v[1:2]
	v_add_f64 v[3:4], v[14:15], v[3:4]
	s_waitcnt vmcnt(4)
	v_fma_f64 v[9:10], v[10:11], v[34:35], -v[20:21]
	v_add_f64 v[1:2], v[1:2], v[5:6]
	v_fma_f64 v[5:6], v[12:13], v[34:35], v[16:17]
	v_add_f64 v[3:4], v[3:4], v[7:8]
	v_add_f64 v[1:2], v[1:2], v[9:10]
	;; [unrolled: 1-line block ×3, first 2 shown]
	s_waitcnt vmcnt(2)
	v_add_f64 v[1:2], v[53:54], -v[1:2]
	s_waitcnt vmcnt(0)
	v_add_f64 v[3:4], v[63:64], -v[3:4]
	buffer_store_dword v2, off, s[0:3], 0 offset:436
	buffer_store_dword v1, off, s[0:3], 0 offset:432
	;; [unrolled: 1-line block ×4, first 2 shown]
	v_cmpx_lt_u32_e32 25, v0
	s_cbranch_execz .LBB50_269
; %bb.268:
	v_mov_b32_e32 v4, s38
	v_mov_b32_e32 v5, 0
	s_clause 0x3
	buffer_load_dword v1, v4, s[0:3], 0 offen
	buffer_load_dword v2, v4, s[0:3], 0 offen offset:4
	buffer_load_dword v3, v4, s[0:3], 0 offen offset:8
	;; [unrolled: 1-line block ×3, first 2 shown]
	buffer_store_dword v5, off, s[0:3], 0 offset:416
	buffer_store_dword v5, off, s[0:3], 0 offset:420
	;; [unrolled: 1-line block ×4, first 2 shown]
	s_waitcnt vmcnt(0)
	ds_write_b128 v85, v[1:4]
.LBB50_269:
	s_or_b32 exec_lo, exec_lo, s4
	s_waitcnt lgkmcnt(0)
	s_waitcnt_vscnt null, 0x0
	s_barrier
	buffer_gl0_inv
	s_clause 0x37
	buffer_load_dword v10, off, s[0:3], 0 offset:440
	buffer_load_dword v11, off, s[0:3], 0 offset:444
	;; [unrolled: 1-line block ×56, first 2 shown]
	v_mov_b32_e32 v1, 0
	s_mov_b32 s4, exec_lo
	ds_read_b128 v[2:5], v1 offset:1232
	s_clause 0x2
	buffer_load_dword v84, off, s[0:3], 0 offset:668
	buffer_load_dword v89, off, s[0:3], 0 offset:644
	buffer_load_dword v88, off, s[0:3], 0 offset:640
	ds_read_b128 v[6:9], v1 offset:1248
	s_clause 0x4
	buffer_load_dword v95, off, s[0:3], 0 offset:684
	buffer_load_dword v96, off, s[0:3], 0 offset:696
	;; [unrolled: 1-line block ×5, first 2 shown]
	s_waitcnt vmcnt(62) lgkmcnt(1)
	v_mul_f64 v[90:91], v[4:5], v[10:11]
	v_mul_f64 v[92:93], v[2:3], v[10:11]
	s_waitcnt vmcnt(60) lgkmcnt(0)
	v_mul_f64 v[99:100], v[8:9], v[14:15]
	ds_read_b128 v[10:13], v1 offset:1264
	v_mul_f64 v[14:15], v[6:7], v[14:15]
	s_waitcnt vmcnt(58)
	v_fma_f64 v[90:91], v[2:3], v[16:17], -v[90:91]
	v_fma_f64 v[16:17], v[4:5], v[16:17], v[92:93]
	s_clause 0x2
	buffer_load_dword v97, off, s[0:3], 0 offset:700
	buffer_load_dword v93, off, s[0:3], 0 offset:676
	;; [unrolled: 1-line block ×3, first 2 shown]
	s_waitcnt vmcnt(59) lgkmcnt(0)
	v_mul_f64 v[101:102], v[10:11], v[18:19]
	v_mul_f64 v[18:19], v[12:13], v[18:19]
	s_waitcnt vmcnt(57)
	v_fma_f64 v[103:104], v[6:7], v[20:21], -v[99:100]
	ds_read_b128 v[2:5], v1 offset:1280
	v_fma_f64 v[14:15], v[8:9], v[20:21], v[14:15]
	s_clause 0x4
	buffer_load_dword v21, off, s[0:3], 0 offset:716
	buffer_load_dword v100, off, s[0:3], 0 offset:728
	;; [unrolled: 1-line block ×5, first 2 shown]
	ds_read_b128 v[6:9], v1 offset:1296
	v_add_f64 v[90:91], v[90:91], 0
	v_add_f64 v[16:17], v[16:17], 0
	s_waitcnt vmcnt(58) lgkmcnt(1)
	v_mul_f64 v[106:107], v[2:3], v[22:23]
	v_mul_f64 v[22:23], v[4:5], v[22:23]
	s_waitcnt vmcnt(56)
	v_fma_f64 v[18:19], v[10:11], v[28:29], -v[18:19]
	v_fma_f64 v[28:29], v[12:13], v[28:29], v[101:102]
	v_add_f64 v[90:91], v[90:91], v[103:104]
	v_add_f64 v[14:15], v[16:17], v[14:15]
	s_clause 0x2
	buffer_load_dword v101, off, s[0:3], 0 offset:732
	buffer_load_dword v17, off, s[0:3], 0 offset:708
	buffer_load_dword v16, off, s[0:3], 0 offset:704
	s_waitcnt vmcnt(58) lgkmcnt(0)
	v_mul_f64 v[102:103], v[6:7], v[24:25]
	v_mul_f64 v[24:25], v[8:9], v[24:25]
	s_waitcnt vmcnt(56)
	v_fma_f64 v[22:23], v[2:3], v[30:31], -v[22:23]
	ds_read_b128 v[10:13], v1 offset:1312
	v_fma_f64 v[30:31], v[4:5], v[30:31], v[106:107]
	v_add_f64 v[18:19], v[90:91], v[18:19]
	v_add_f64 v[14:15], v[14:15], v[28:29]
	s_clause 0x4
	buffer_load_dword v29, off, s[0:3], 0 offset:748
	buffer_load_dword v90, off, s[0:3], 0 offset:760
	;; [unrolled: 1-line block ×5, first 2 shown]
	ds_read_b128 v[2:5], v1 offset:1328
	s_waitcnt vmcnt(57) lgkmcnt(1)
	v_mul_f64 v[108:109], v[10:11], v[32:33]
	v_mul_f64 v[32:33], v[12:13], v[32:33]
	s_waitcnt vmcnt(56)
	v_fma_f64 v[24:25], v[6:7], v[26:27], -v[24:25]
	v_add_f64 v[18:19], v[18:19], v[22:23]
	v_fma_f64 v[22:23], v[8:9], v[26:27], v[102:103]
	v_add_f64 v[14:15], v[14:15], v[30:31]
	s_clause 0x2
	buffer_load_dword v91, off, s[0:3], 0 offset:764
	buffer_load_dword v27, off, s[0:3], 0 offset:740
	;; [unrolled: 1-line block ×3, first 2 shown]
	s_waitcnt vmcnt(58) lgkmcnt(0)
	v_mul_f64 v[30:31], v[2:3], v[34:35]
	v_mul_f64 v[34:35], v[4:5], v[34:35]
	s_waitcnt vmcnt(56)
	v_fma_f64 v[32:33], v[10:11], v[55:56], -v[32:33]
	ds_read_b128 v[6:9], v1 offset:1344
	v_add_f64 v[18:19], v[18:19], v[24:25]
	v_fma_f64 v[24:25], v[12:13], v[55:56], v[108:109]
	v_add_f64 v[14:15], v[14:15], v[22:23]
	s_clause 0x4
	buffer_load_dword v23, off, s[0:3], 0 offset:780
	buffer_load_dword v55, off, s[0:3], 0 offset:792
	;; [unrolled: 1-line block ×5, first 2 shown]
	ds_read_b128 v[10:13], v1 offset:1360
	s_waitcnt vmcnt(57) lgkmcnt(1)
	v_mul_f64 v[103:104], v[6:7], v[57:58]
	v_mul_f64 v[57:58], v[8:9], v[57:58]
	s_waitcnt vmcnt(56)
	v_fma_f64 v[34:35], v[2:3], v[53:54], -v[34:35]
	v_fma_f64 v[30:31], v[4:5], v[53:54], v[30:31]
	v_add_f64 v[18:19], v[18:19], v[32:33]
	v_add_f64 v[14:15], v[14:15], v[24:25]
	s_clause 0x2
	buffer_load_dword v56, off, s[0:3], 0 offset:796
	buffer_load_dword v25, off, s[0:3], 0 offset:772
	;; [unrolled: 1-line block ×3, first 2 shown]
	s_waitcnt vmcnt(58) lgkmcnt(0)
	v_mul_f64 v[53:54], v[12:13], v[59:60]
	ds_read_b128 v[2:5], v1 offset:1376
	s_waitcnt vmcnt(56)
	v_fma_f64 v[57:58], v[6:7], v[63:64], -v[57:58]
	v_mul_f64 v[32:33], v[10:11], v[59:60]
	v_add_f64 v[18:19], v[18:19], v[34:35]
	v_fma_f64 v[34:35], v[8:9], v[63:64], v[103:104]
	v_add_f64 v[14:15], v[14:15], v[30:31]
	s_clause 0x4
	buffer_load_dword v31, off, s[0:3], 0 offset:812
	buffer_load_dword v59, off, s[0:3], 0 offset:824
	buffer_load_dword v63, off, s[0:3], 0 offset:816
	buffer_load_dword v30, off, s[0:3], 0 offset:808
	buffer_load_dword v103, off, s[0:3], 0 offset:788
	s_waitcnt vmcnt(57) lgkmcnt(0)
	v_mul_f64 v[109:110], v[2:3], v[65:66]
	v_mul_f64 v[64:65], v[4:5], v[65:66]
	s_waitcnt vmcnt(56)
	v_fma_f64 v[53:54], v[10:11], v[61:62], -v[53:54]
	ds_read_b128 v[6:9], v1 offset:1392
	v_fma_f64 v[32:33], v[12:13], v[61:62], v[32:33]
	v_add_f64 v[18:19], v[18:19], v[57:58]
	v_add_f64 v[14:15], v[14:15], v[34:35]
	s_clause 0x2
	buffer_load_dword v60, off, s[0:3], 0 offset:828
	buffer_load_dword v35, off, s[0:3], 0 offset:804
	buffer_load_dword v34, off, s[0:3], 0 offset:800
	ds_read_b128 v[10:13], v1 offset:1408
	s_waitcnt vmcnt(58) lgkmcnt(1)
	v_mul_f64 v[61:62], v[8:9], v[67:68]
	s_waitcnt vmcnt(56)
	v_fma_f64 v[65:66], v[2:3], v[71:72], -v[64:65]
	v_mul_f64 v[57:58], v[6:7], v[67:68]
	buffer_load_dword v64, off, s[0:3], 0 offset:820
	v_add_f64 v[18:19], v[18:19], v[53:54]
	v_fma_f64 v[53:54], v[4:5], v[71:72], v[109:110]
	v_add_f64 v[14:15], v[14:15], v[32:33]
	ds_read_b128 v[2:5], v1 offset:1424
	s_waitcnt vmcnt(53) lgkmcnt(1)
	v_mul_f64 v[67:68], v[12:13], v[73:74]
	s_waitcnt vmcnt(52)
	v_fma_f64 v[61:62], v[6:7], v[69:70], -v[61:62]
	v_mul_f64 v[32:33], v[10:11], v[73:74]
	v_fma_f64 v[57:58], v[8:9], v[69:70], v[57:58]
	ds_read_b128 v[6:9], v1 offset:1440
	v_add_f64 v[18:19], v[18:19], v[65:66]
	s_waitcnt vmcnt(51) lgkmcnt(1)
	v_mul_f64 v[65:66], v[4:5], v[75:76]
	v_add_f64 v[14:15], v[14:15], v[53:54]
	v_mul_f64 v[53:54], v[2:3], v[75:76]
	s_waitcnt vmcnt(49)
	v_fma_f64 v[67:68], v[10:11], v[79:80], -v[67:68]
	v_fma_f64 v[32:33], v[12:13], v[79:80], v[32:33]
	s_waitcnt vmcnt(45) lgkmcnt(0)
	v_mul_f64 v[71:72], v[8:9], v[81:82]
	v_mul_f64 v[69:70], v[6:7], v[81:82]
	v_add_f64 v[18:19], v[18:19], v[61:62]
	s_waitcnt vmcnt(44)
	v_fma_f64 v[65:66], v[2:3], v[77:78], -v[65:66]
	v_add_f64 v[14:15], v[14:15], v[57:58]
	s_clause 0x3
	buffer_load_dword v57, off, s[0:3], 0 offset:416
	buffer_load_dword v58, off, s[0:3], 0 offset:420
	;; [unrolled: 1-line block ×4, first 2 shown]
	ds_read_b128 v[10:13], v1 offset:1456
	v_fma_f64 v[53:54], v[4:5], v[77:78], v[53:54]
	ds_read_b128 v[2:5], v1 offset:1472
	s_waitcnt vmcnt(45)
	v_fma_f64 v[71:72], v[6:7], v[88:89], -v[71:72]
	v_add_f64 v[18:19], v[18:19], v[67:68]
	v_add_f64 v[14:15], v[14:15], v[32:33]
	s_waitcnt lgkmcnt(1)
	v_mul_f64 v[67:68], v[12:13], v[83:84]
	v_mul_f64 v[32:33], v[10:11], v[83:84]
	v_add_f64 v[18:19], v[18:19], v[65:66]
	v_fma_f64 v[65:66], v[8:9], v[88:89], v[69:70]
	v_add_f64 v[14:15], v[14:15], v[53:54]
	s_waitcnt vmcnt(41) lgkmcnt(0)
	v_mul_f64 v[69:70], v[4:5], v[94:95]
	s_waitcnt vmcnt(40)
	v_fma_f64 v[67:68], v[10:11], v[86:87], -v[67:68]
	ds_read_b128 v[6:9], v1 offset:1488
	v_mul_f64 v[53:54], v[2:3], v[94:95]
	v_fma_f64 v[32:33], v[12:13], v[86:87], v[32:33]
	ds_read_b128 v[10:13], v1 offset:1504
	v_add_f64 v[18:19], v[18:19], v[71:72]
	v_add_f64 v[14:15], v[14:15], v[65:66]
	s_waitcnt vmcnt(39) lgkmcnt(1)
	v_mul_f64 v[71:72], v[8:9], v[96:97]
	v_mul_f64 v[65:66], v[6:7], v[96:97]
	s_waitcnt vmcnt(37)
	v_fma_f64 v[69:70], v[2:3], v[92:93], -v[69:70]
	v_fma_f64 v[53:54], v[4:5], v[92:93], v[53:54]
	ds_read_b128 v[2:5], v1 offset:1520
	v_add_f64 v[18:19], v[18:19], v[67:68]
	v_add_f64 v[14:15], v[14:15], v[32:33]
	s_waitcnt vmcnt(33) lgkmcnt(1)
	v_mul_f64 v[32:33], v[10:11], v[20:21]
	v_mul_f64 v[20:21], v[12:13], v[20:21]
	s_waitcnt vmcnt(32)
	v_fma_f64 v[67:68], v[6:7], v[98:99], -v[71:72]
	;; [unrolled: 9-line block ×4, first 2 shown]
	v_add_f64 v[18:19], v[18:19], v[20:21]
	v_fma_f64 v[20:21], v[4:5], v[105:106], v[53:54]
	v_add_f64 v[14:15], v[14:15], v[16:17]
	ds_read_b128 v[2:5], v1 offset:1568
	s_waitcnt vmcnt(23) lgkmcnt(1)
	v_mul_f64 v[53:54], v[12:13], v[90:91]
	v_mul_f64 v[16:17], v[10:11], v[90:91]
	s_waitcnt vmcnt(21)
	v_fma_f64 v[28:29], v[6:7], v[26:27], -v[28:29]
	v_fma_f64 v[26:27], v[8:9], v[26:27], v[32:33]
	ds_read_b128 v[6:9], v1 offset:1584
	v_add_f64 v[18:19], v[18:19], v[65:66]
	v_add_f64 v[14:15], v[14:15], v[20:21]
	s_waitcnt vmcnt(17) lgkmcnt(1)
	v_mul_f64 v[20:21], v[2:3], v[22:23]
	v_mul_f64 v[22:23], v[4:5], v[22:23]
	s_waitcnt vmcnt(16)
	v_fma_f64 v[32:33], v[10:11], v[107:108], -v[53:54]
	v_fma_f64 v[16:17], v[12:13], v[107:108], v[16:17]
	ds_read_b128 v[10:13], v1 offset:1600
	v_add_f64 v[18:19], v[18:19], v[28:29]
	v_add_f64 v[14:15], v[14:15], v[26:27]
	;; [unrolled: 9-line block ×3, first 2 shown]
	s_waitcnt vmcnt(9) lgkmcnt(1)
	v_mul_f64 v[24:25], v[12:13], v[30:31]
	s_waitcnt vmcnt(8)
	v_fma_f64 v[6:7], v[6:7], v[102:103], -v[28:29]
	v_mul_f64 v[16:17], v[10:11], v[30:31]
	v_fma_f64 v[8:9], v[8:9], v[102:103], v[26:27]
	v_add_f64 v[18:19], v[18:19], v[22:23]
	v_add_f64 v[14:15], v[14:15], v[20:21]
	s_waitcnt vmcnt(7) lgkmcnt(0)
	v_mul_f64 v[22:23], v[4:5], v[59:60]
	v_mul_f64 v[20:21], v[2:3], v[59:60]
	s_waitcnt vmcnt(5)
	v_fma_f64 v[10:11], v[10:11], v[34:35], -v[24:25]
	v_fma_f64 v[12:13], v[12:13], v[34:35], v[16:17]
	v_add_f64 v[6:7], v[18:19], v[6:7]
	v_add_f64 v[8:9], v[14:15], v[8:9]
	s_waitcnt vmcnt(4)
	v_fma_f64 v[2:3], v[2:3], v[63:64], -v[22:23]
	v_fma_f64 v[4:5], v[4:5], v[63:64], v[20:21]
	v_add_f64 v[6:7], v[6:7], v[10:11]
	v_add_f64 v[8:9], v[8:9], v[12:13]
	;; [unrolled: 1-line block ×4, first 2 shown]
	s_waitcnt vmcnt(2)
	v_add_f64 v[2:3], v[57:58], -v[2:3]
	s_waitcnt vmcnt(0)
	v_add_f64 v[4:5], v[61:62], -v[4:5]
	buffer_store_dword v3, off, s[0:3], 0 offset:420
	buffer_store_dword v2, off, s[0:3], 0 offset:416
	;; [unrolled: 1-line block ×4, first 2 shown]
	v_cmpx_lt_u32_e32 24, v0
	s_cbranch_execz .LBB50_271
; %bb.270:
	v_mov_b32_e32 v5, s39
	s_clause 0x3
	buffer_load_dword v2, v5, s[0:3], 0 offen
	buffer_load_dword v3, v5, s[0:3], 0 offen offset:4
	buffer_load_dword v4, v5, s[0:3], 0 offen offset:8
	;; [unrolled: 1-line block ×3, first 2 shown]
	buffer_store_dword v1, off, s[0:3], 0 offset:400
	buffer_store_dword v1, off, s[0:3], 0 offset:404
	buffer_store_dword v1, off, s[0:3], 0 offset:408
	buffer_store_dword v1, off, s[0:3], 0 offset:412
	s_waitcnt vmcnt(0)
	ds_write_b128 v85, v[2:5]
.LBB50_271:
	s_or_b32 exec_lo, exec_lo, s4
	s_waitcnt lgkmcnt(0)
	s_waitcnt_vscnt null, 0x0
	s_barrier
	buffer_gl0_inv
	s_clause 0x37
	buffer_load_dword v10, off, s[0:3], 0 offset:424
	buffer_load_dword v11, off, s[0:3], 0 offset:428
	;; [unrolled: 1-line block ×56, first 2 shown]
	ds_read_b128 v[2:5], v1 offset:1216
	s_clause 0x2
	buffer_load_dword v84, off, s[0:3], 0 offset:652
	buffer_load_dword v89, off, s[0:3], 0 offset:628
	;; [unrolled: 1-line block ×3, first 2 shown]
	ds_read_b128 v[6:9], v1 offset:1232
	s_clause 0x4
	buffer_load_dword v95, off, s[0:3], 0 offset:668
	buffer_load_dword v96, off, s[0:3], 0 offset:680
	;; [unrolled: 1-line block ×5, first 2 shown]
	s_mov_b32 s4, exec_lo
	s_waitcnt vmcnt(62) lgkmcnt(1)
	v_mul_f64 v[90:91], v[4:5], v[10:11]
	v_mul_f64 v[92:93], v[2:3], v[10:11]
	s_waitcnt vmcnt(60) lgkmcnt(0)
	v_mul_f64 v[99:100], v[8:9], v[14:15]
	ds_read_b128 v[10:13], v1 offset:1248
	v_mul_f64 v[14:15], v[6:7], v[14:15]
	s_waitcnt vmcnt(58)
	v_fma_f64 v[90:91], v[2:3], v[16:17], -v[90:91]
	v_fma_f64 v[16:17], v[4:5], v[16:17], v[92:93]
	s_clause 0x2
	buffer_load_dword v97, off, s[0:3], 0 offset:684
	buffer_load_dword v93, off, s[0:3], 0 offset:660
	;; [unrolled: 1-line block ×3, first 2 shown]
	s_waitcnt vmcnt(59) lgkmcnt(0)
	v_mul_f64 v[101:102], v[10:11], v[18:19]
	v_mul_f64 v[18:19], v[12:13], v[18:19]
	s_waitcnt vmcnt(57)
	v_fma_f64 v[103:104], v[6:7], v[20:21], -v[99:100]
	ds_read_b128 v[2:5], v1 offset:1264
	v_fma_f64 v[14:15], v[8:9], v[20:21], v[14:15]
	s_clause 0x4
	buffer_load_dword v21, off, s[0:3], 0 offset:700
	buffer_load_dword v100, off, s[0:3], 0 offset:712
	;; [unrolled: 1-line block ×5, first 2 shown]
	ds_read_b128 v[6:9], v1 offset:1280
	v_add_f64 v[90:91], v[90:91], 0
	v_add_f64 v[16:17], v[16:17], 0
	s_waitcnt vmcnt(58) lgkmcnt(1)
	v_mul_f64 v[106:107], v[2:3], v[22:23]
	v_mul_f64 v[22:23], v[4:5], v[22:23]
	s_waitcnt vmcnt(56)
	v_fma_f64 v[18:19], v[10:11], v[28:29], -v[18:19]
	v_fma_f64 v[28:29], v[12:13], v[28:29], v[101:102]
	v_add_f64 v[90:91], v[90:91], v[103:104]
	v_add_f64 v[14:15], v[16:17], v[14:15]
	s_clause 0x2
	buffer_load_dword v101, off, s[0:3], 0 offset:716
	buffer_load_dword v17, off, s[0:3], 0 offset:692
	;; [unrolled: 1-line block ×3, first 2 shown]
	s_waitcnt vmcnt(58) lgkmcnt(0)
	v_mul_f64 v[102:103], v[6:7], v[24:25]
	v_mul_f64 v[24:25], v[8:9], v[24:25]
	s_waitcnt vmcnt(56)
	v_fma_f64 v[22:23], v[2:3], v[30:31], -v[22:23]
	ds_read_b128 v[10:13], v1 offset:1296
	v_fma_f64 v[30:31], v[4:5], v[30:31], v[106:107]
	v_add_f64 v[18:19], v[90:91], v[18:19]
	v_add_f64 v[14:15], v[14:15], v[28:29]
	s_clause 0x4
	buffer_load_dword v29, off, s[0:3], 0 offset:732
	buffer_load_dword v90, off, s[0:3], 0 offset:744
	buffer_load_dword v107, off, s[0:3], 0 offset:736
	buffer_load_dword v28, off, s[0:3], 0 offset:728
	buffer_load_dword v106, off, s[0:3], 0 offset:708
	ds_read_b128 v[2:5], v1 offset:1312
	s_waitcnt vmcnt(57) lgkmcnt(1)
	v_mul_f64 v[108:109], v[10:11], v[32:33]
	v_mul_f64 v[32:33], v[12:13], v[32:33]
	s_waitcnt vmcnt(56)
	v_fma_f64 v[24:25], v[6:7], v[26:27], -v[24:25]
	v_add_f64 v[18:19], v[18:19], v[22:23]
	v_fma_f64 v[22:23], v[8:9], v[26:27], v[102:103]
	v_add_f64 v[14:15], v[14:15], v[30:31]
	s_clause 0x2
	buffer_load_dword v91, off, s[0:3], 0 offset:748
	buffer_load_dword v27, off, s[0:3], 0 offset:724
	;; [unrolled: 1-line block ×3, first 2 shown]
	s_waitcnt vmcnt(58) lgkmcnt(0)
	v_mul_f64 v[30:31], v[2:3], v[34:35]
	v_mul_f64 v[34:35], v[4:5], v[34:35]
	s_waitcnt vmcnt(56)
	v_fma_f64 v[32:33], v[10:11], v[55:56], -v[32:33]
	ds_read_b128 v[6:9], v1 offset:1328
	v_add_f64 v[18:19], v[18:19], v[24:25]
	v_fma_f64 v[24:25], v[12:13], v[55:56], v[108:109]
	v_add_f64 v[14:15], v[14:15], v[22:23]
	s_clause 0x4
	buffer_load_dword v23, off, s[0:3], 0 offset:764
	buffer_load_dword v55, off, s[0:3], 0 offset:776
	;; [unrolled: 1-line block ×5, first 2 shown]
	ds_read_b128 v[10:13], v1 offset:1344
	s_waitcnt vmcnt(57) lgkmcnt(1)
	v_mul_f64 v[103:104], v[6:7], v[57:58]
	v_mul_f64 v[57:58], v[8:9], v[57:58]
	s_waitcnt vmcnt(56)
	v_fma_f64 v[34:35], v[2:3], v[53:54], -v[34:35]
	v_fma_f64 v[30:31], v[4:5], v[53:54], v[30:31]
	v_add_f64 v[18:19], v[18:19], v[32:33]
	v_add_f64 v[14:15], v[14:15], v[24:25]
	s_clause 0x2
	buffer_load_dword v56, off, s[0:3], 0 offset:780
	buffer_load_dword v25, off, s[0:3], 0 offset:756
	;; [unrolled: 1-line block ×3, first 2 shown]
	s_waitcnt vmcnt(58) lgkmcnt(0)
	v_mul_f64 v[53:54], v[12:13], v[59:60]
	ds_read_b128 v[2:5], v1 offset:1360
	s_waitcnt vmcnt(56)
	v_fma_f64 v[57:58], v[6:7], v[63:64], -v[57:58]
	v_mul_f64 v[32:33], v[10:11], v[59:60]
	v_add_f64 v[18:19], v[18:19], v[34:35]
	v_fma_f64 v[34:35], v[8:9], v[63:64], v[103:104]
	v_add_f64 v[14:15], v[14:15], v[30:31]
	s_clause 0x4
	buffer_load_dword v31, off, s[0:3], 0 offset:796
	buffer_load_dword v59, off, s[0:3], 0 offset:808
	;; [unrolled: 1-line block ×5, first 2 shown]
	s_waitcnt vmcnt(57) lgkmcnt(0)
	v_mul_f64 v[109:110], v[2:3], v[65:66]
	v_mul_f64 v[64:65], v[4:5], v[65:66]
	s_waitcnt vmcnt(56)
	v_fma_f64 v[53:54], v[10:11], v[61:62], -v[53:54]
	ds_read_b128 v[6:9], v1 offset:1376
	v_fma_f64 v[32:33], v[12:13], v[61:62], v[32:33]
	v_add_f64 v[18:19], v[18:19], v[57:58]
	v_add_f64 v[14:15], v[14:15], v[34:35]
	s_clause 0x2
	buffer_load_dword v60, off, s[0:3], 0 offset:812
	buffer_load_dword v35, off, s[0:3], 0 offset:788
	;; [unrolled: 1-line block ×3, first 2 shown]
	ds_read_b128 v[10:13], v1 offset:1392
	s_waitcnt vmcnt(58) lgkmcnt(1)
	v_mul_f64 v[61:62], v[8:9], v[67:68]
	s_waitcnt vmcnt(56)
	v_fma_f64 v[65:66], v[2:3], v[71:72], -v[64:65]
	v_mul_f64 v[57:58], v[6:7], v[67:68]
	v_add_f64 v[18:19], v[18:19], v[53:54]
	v_fma_f64 v[53:54], v[4:5], v[71:72], v[109:110]
	v_add_f64 v[14:15], v[14:15], v[32:33]
	s_clause 0x2
	buffer_load_dword v33, off, s[0:3], 0 offset:828
	buffer_load_dword v32, off, s[0:3], 0 offset:824
	;; [unrolled: 1-line block ×3, first 2 shown]
	s_waitcnt vmcnt(55) lgkmcnt(0)
	v_mul_f64 v[71:72], v[12:13], v[73:74]
	s_waitcnt vmcnt(54)
	v_fma_f64 v[61:62], v[6:7], v[69:70], -v[61:62]
	ds_read_b128 v[2:5], v1 offset:1408
	v_mul_f64 v[67:68], v[10:11], v[73:74]
	v_fma_f64 v[57:58], v[8:9], v[69:70], v[57:58]
	v_add_f64 v[18:19], v[18:19], v[65:66]
	v_add_f64 v[14:15], v[14:15], v[53:54]
	s_clause 0x1
	buffer_load_dword v54, off, s[0:3], 0 offset:820
	buffer_load_dword v53, off, s[0:3], 0 offset:816
	s_waitcnt vmcnt(55) lgkmcnt(0)
	v_mul_f64 v[69:70], v[4:5], v[75:76]
	s_waitcnt vmcnt(53)
	v_fma_f64 v[71:72], v[10:11], v[79:80], -v[71:72]
	ds_read_b128 v[6:9], v1 offset:1424
	v_mul_f64 v[65:66], v[2:3], v[75:76]
	v_add_f64 v[18:19], v[18:19], v[61:62]
	v_fma_f64 v[61:62], v[12:13], v[79:80], v[67:68]
	v_add_f64 v[14:15], v[14:15], v[57:58]
	ds_read_b128 v[10:13], v1 offset:1440
	s_waitcnt vmcnt(49) lgkmcnt(1)
	v_mul_f64 v[67:68], v[8:9], v[81:82]
	s_waitcnt vmcnt(48)
	v_fma_f64 v[69:70], v[2:3], v[77:78], -v[69:70]
	v_mul_f64 v[57:58], v[6:7], v[81:82]
	v_fma_f64 v[65:66], v[4:5], v[77:78], v[65:66]
	v_add_f64 v[18:19], v[18:19], v[71:72]
	s_waitcnt vmcnt(47) lgkmcnt(0)
	v_mul_f64 v[75:76], v[12:13], v[83:84]
	v_add_f64 v[14:15], v[14:15], v[61:62]
	s_clause 0x3
	buffer_load_dword v61, off, s[0:3], 0 offset:400
	buffer_load_dword v62, off, s[0:3], 0 offset:404
	buffer_load_dword v71, off, s[0:3], 0 offset:408
	buffer_load_dword v72, off, s[0:3], 0 offset:412
	s_waitcnt vmcnt(49)
	v_fma_f64 v[67:68], v[6:7], v[88:89], -v[67:68]
	ds_read_b128 v[2:5], v1 offset:1456
	v_mul_f64 v[73:74], v[10:11], v[83:84]
	v_fma_f64 v[57:58], v[8:9], v[88:89], v[57:58]
	ds_read_b128 v[6:9], v1 offset:1472
	v_add_f64 v[18:19], v[18:19], v[69:70]
	s_waitcnt vmcnt(44)
	v_fma_f64 v[75:76], v[10:11], v[86:87], -v[75:76]
	v_add_f64 v[14:15], v[14:15], v[65:66]
	s_waitcnt lgkmcnt(1)
	v_mul_f64 v[69:70], v[4:5], v[94:95]
	v_mul_f64 v[65:66], v[2:3], v[94:95]
	v_add_f64 v[18:19], v[18:19], v[67:68]
	v_fma_f64 v[67:68], v[12:13], v[86:87], v[73:74]
	v_add_f64 v[14:15], v[14:15], v[57:58]
	ds_read_b128 v[10:13], v1 offset:1488
	s_waitcnt vmcnt(43) lgkmcnt(1)
	v_mul_f64 v[73:74], v[8:9], v[96:97]
	v_mul_f64 v[57:58], v[6:7], v[96:97]
	s_waitcnt vmcnt(41)
	v_fma_f64 v[69:70], v[2:3], v[92:93], -v[69:70]
	v_fma_f64 v[65:66], v[4:5], v[92:93], v[65:66]
	ds_read_b128 v[2:5], v1 offset:1504
	v_add_f64 v[18:19], v[18:19], v[75:76]
	v_add_f64 v[14:15], v[14:15], v[67:68]
	s_waitcnt vmcnt(37) lgkmcnt(1)
	v_mul_f64 v[67:68], v[10:11], v[20:21]
	v_mul_f64 v[20:21], v[12:13], v[20:21]
	s_waitcnt vmcnt(36)
	v_fma_f64 v[73:74], v[6:7], v[98:99], -v[73:74]
	v_fma_f64 v[57:58], v[8:9], v[98:99], v[57:58]
	ds_read_b128 v[6:9], v1 offset:1520
	v_add_f64 v[18:19], v[18:19], v[69:70]
	v_add_f64 v[14:15], v[14:15], v[65:66]
	;; [unrolled: 9-line block ×3, first 2 shown]
	s_waitcnt vmcnt(29) lgkmcnt(1)
	v_mul_f64 v[57:58], v[6:7], v[28:29]
	v_mul_f64 v[28:29], v[8:9], v[28:29]
	s_waitcnt vmcnt(28)
	v_fma_f64 v[67:68], v[2:3], v[105:106], -v[69:70]
	v_add_f64 v[18:19], v[18:19], v[20:21]
	v_fma_f64 v[20:21], v[4:5], v[105:106], v[65:66]
	v_add_f64 v[14:15], v[14:15], v[16:17]
	ds_read_b128 v[2:5], v1 offset:1552
	s_waitcnt vmcnt(27) lgkmcnt(1)
	v_mul_f64 v[65:66], v[12:13], v[90:91]
	v_mul_f64 v[16:17], v[10:11], v[90:91]
	s_waitcnt vmcnt(25)
	v_fma_f64 v[28:29], v[6:7], v[26:27], -v[28:29]
	v_fma_f64 v[26:27], v[8:9], v[26:27], v[57:58]
	ds_read_b128 v[6:9], v1 offset:1568
	v_add_f64 v[18:19], v[18:19], v[67:68]
	v_add_f64 v[14:15], v[14:15], v[20:21]
	s_waitcnt vmcnt(21) lgkmcnt(1)
	v_mul_f64 v[20:21], v[2:3], v[22:23]
	v_mul_f64 v[22:23], v[4:5], v[22:23]
	s_waitcnt vmcnt(20)
	v_fma_f64 v[57:58], v[10:11], v[107:108], -v[65:66]
	v_fma_f64 v[16:17], v[12:13], v[107:108], v[16:17]
	ds_read_b128 v[10:13], v1 offset:1584
	v_add_f64 v[18:19], v[18:19], v[28:29]
	v_add_f64 v[14:15], v[14:15], v[26:27]
	;; [unrolled: 9-line block ×3, first 2 shown]
	s_waitcnt vmcnt(13) lgkmcnt(1)
	v_mul_f64 v[24:25], v[12:13], v[30:31]
	s_waitcnt vmcnt(12)
	v_fma_f64 v[28:29], v[6:7], v[102:103], -v[28:29]
	v_mul_f64 v[16:17], v[10:11], v[30:31]
	v_add_f64 v[18:19], v[18:19], v[22:23]
	v_fma_f64 v[22:23], v[8:9], v[102:103], v[26:27]
	v_add_f64 v[14:15], v[14:15], v[20:21]
	ds_read_b128 v[6:9], v1 offset:1616
	s_waitcnt vmcnt(11) lgkmcnt(1)
	v_mul_f64 v[26:27], v[4:5], v[59:60]
	v_mul_f64 v[20:21], v[2:3], v[59:60]
	s_waitcnt vmcnt(9)
	v_fma_f64 v[10:11], v[10:11], v[34:35], -v[24:25]
	v_fma_f64 v[12:13], v[12:13], v[34:35], v[16:17]
	v_add_f64 v[18:19], v[18:19], v[28:29]
	v_add_f64 v[14:15], v[14:15], v[22:23]
	s_waitcnt vmcnt(7) lgkmcnt(0)
	v_mul_f64 v[22:23], v[8:9], v[32:33]
	s_waitcnt vmcnt(6)
	v_fma_f64 v[1:2], v[2:3], v[63:64], -v[26:27]
	v_mul_f64 v[16:17], v[6:7], v[32:33]
	v_fma_f64 v[3:4], v[4:5], v[63:64], v[20:21]
	v_add_f64 v[10:11], v[18:19], v[10:11]
	v_add_f64 v[12:13], v[14:15], v[12:13]
	s_waitcnt vmcnt(4)
	v_fma_f64 v[5:6], v[6:7], v[53:54], -v[22:23]
	v_fma_f64 v[7:8], v[8:9], v[53:54], v[16:17]
	v_add_f64 v[1:2], v[10:11], v[1:2]
	v_add_f64 v[3:4], v[12:13], v[3:4]
	;; [unrolled: 1-line block ×4, first 2 shown]
	s_waitcnt vmcnt(2)
	v_add_f64 v[1:2], v[61:62], -v[1:2]
	s_waitcnt vmcnt(0)
	v_add_f64 v[3:4], v[71:72], -v[3:4]
	buffer_store_dword v2, off, s[0:3], 0 offset:404
	buffer_store_dword v1, off, s[0:3], 0 offset:400
	;; [unrolled: 1-line block ×4, first 2 shown]
	v_cmpx_lt_u32_e32 23, v0
	s_cbranch_execz .LBB50_273
; %bb.272:
	v_mov_b32_e32 v4, s40
	v_mov_b32_e32 v5, 0
	s_clause 0x3
	buffer_load_dword v1, v4, s[0:3], 0 offen
	buffer_load_dword v2, v4, s[0:3], 0 offen offset:4
	buffer_load_dword v3, v4, s[0:3], 0 offen offset:8
	;; [unrolled: 1-line block ×3, first 2 shown]
	buffer_store_dword v5, off, s[0:3], 0 offset:384
	buffer_store_dword v5, off, s[0:3], 0 offset:388
	;; [unrolled: 1-line block ×4, first 2 shown]
	s_waitcnt vmcnt(0)
	ds_write_b128 v85, v[1:4]
.LBB50_273:
	s_or_b32 exec_lo, exec_lo, s4
	s_waitcnt lgkmcnt(0)
	s_waitcnt_vscnt null, 0x0
	s_barrier
	buffer_gl0_inv
	s_clause 0x37
	buffer_load_dword v10, off, s[0:3], 0 offset:408
	buffer_load_dword v11, off, s[0:3], 0 offset:412
	;; [unrolled: 1-line block ×56, first 2 shown]
	v_mov_b32_e32 v1, 0
	s_mov_b32 s4, exec_lo
	ds_read_b128 v[2:5], v1 offset:1200
	s_clause 0x2
	buffer_load_dword v84, off, s[0:3], 0 offset:636
	buffer_load_dword v89, off, s[0:3], 0 offset:612
	buffer_load_dword v88, off, s[0:3], 0 offset:608
	ds_read_b128 v[6:9], v1 offset:1216
	s_clause 0x4
	buffer_load_dword v95, off, s[0:3], 0 offset:652
	buffer_load_dword v96, off, s[0:3], 0 offset:664
	;; [unrolled: 1-line block ×5, first 2 shown]
	s_waitcnt vmcnt(62) lgkmcnt(1)
	v_mul_f64 v[90:91], v[4:5], v[10:11]
	v_mul_f64 v[92:93], v[2:3], v[10:11]
	s_waitcnt vmcnt(60) lgkmcnt(0)
	v_mul_f64 v[99:100], v[8:9], v[14:15]
	ds_read_b128 v[10:13], v1 offset:1232
	v_mul_f64 v[14:15], v[6:7], v[14:15]
	s_waitcnt vmcnt(58)
	v_fma_f64 v[90:91], v[2:3], v[16:17], -v[90:91]
	v_fma_f64 v[16:17], v[4:5], v[16:17], v[92:93]
	s_clause 0x2
	buffer_load_dword v97, off, s[0:3], 0 offset:668
	buffer_load_dword v93, off, s[0:3], 0 offset:644
	;; [unrolled: 1-line block ×3, first 2 shown]
	s_waitcnt vmcnt(59) lgkmcnt(0)
	v_mul_f64 v[101:102], v[10:11], v[18:19]
	v_mul_f64 v[18:19], v[12:13], v[18:19]
	s_waitcnt vmcnt(57)
	v_fma_f64 v[103:104], v[6:7], v[20:21], -v[99:100]
	ds_read_b128 v[2:5], v1 offset:1248
	v_fma_f64 v[14:15], v[8:9], v[20:21], v[14:15]
	s_clause 0x4
	buffer_load_dword v21, off, s[0:3], 0 offset:684
	buffer_load_dword v100, off, s[0:3], 0 offset:696
	;; [unrolled: 1-line block ×5, first 2 shown]
	ds_read_b128 v[6:9], v1 offset:1264
	v_add_f64 v[90:91], v[90:91], 0
	v_add_f64 v[16:17], v[16:17], 0
	s_waitcnt vmcnt(58) lgkmcnt(1)
	v_mul_f64 v[106:107], v[2:3], v[22:23]
	v_mul_f64 v[22:23], v[4:5], v[22:23]
	s_waitcnt vmcnt(56)
	v_fma_f64 v[18:19], v[10:11], v[28:29], -v[18:19]
	v_fma_f64 v[28:29], v[12:13], v[28:29], v[101:102]
	v_add_f64 v[90:91], v[90:91], v[103:104]
	v_add_f64 v[14:15], v[16:17], v[14:15]
	s_clause 0x2
	buffer_load_dword v101, off, s[0:3], 0 offset:700
	buffer_load_dword v17, off, s[0:3], 0 offset:676
	;; [unrolled: 1-line block ×3, first 2 shown]
	s_waitcnt vmcnt(58) lgkmcnt(0)
	v_mul_f64 v[102:103], v[6:7], v[24:25]
	v_mul_f64 v[24:25], v[8:9], v[24:25]
	s_waitcnt vmcnt(56)
	v_fma_f64 v[22:23], v[2:3], v[30:31], -v[22:23]
	ds_read_b128 v[10:13], v1 offset:1280
	v_fma_f64 v[30:31], v[4:5], v[30:31], v[106:107]
	v_add_f64 v[18:19], v[90:91], v[18:19]
	v_add_f64 v[14:15], v[14:15], v[28:29]
	s_clause 0x4
	buffer_load_dword v29, off, s[0:3], 0 offset:716
	buffer_load_dword v90, off, s[0:3], 0 offset:728
	;; [unrolled: 1-line block ×5, first 2 shown]
	ds_read_b128 v[2:5], v1 offset:1296
	s_waitcnt vmcnt(57) lgkmcnt(1)
	v_mul_f64 v[108:109], v[10:11], v[32:33]
	v_mul_f64 v[32:33], v[12:13], v[32:33]
	s_waitcnt vmcnt(56)
	v_fma_f64 v[24:25], v[6:7], v[26:27], -v[24:25]
	v_add_f64 v[18:19], v[18:19], v[22:23]
	v_fma_f64 v[22:23], v[8:9], v[26:27], v[102:103]
	v_add_f64 v[14:15], v[14:15], v[30:31]
	s_clause 0x2
	buffer_load_dword v91, off, s[0:3], 0 offset:732
	buffer_load_dword v27, off, s[0:3], 0 offset:708
	;; [unrolled: 1-line block ×3, first 2 shown]
	s_waitcnt vmcnt(58) lgkmcnt(0)
	v_mul_f64 v[30:31], v[2:3], v[34:35]
	v_mul_f64 v[34:35], v[4:5], v[34:35]
	s_waitcnt vmcnt(56)
	v_fma_f64 v[32:33], v[10:11], v[55:56], -v[32:33]
	ds_read_b128 v[6:9], v1 offset:1312
	v_add_f64 v[18:19], v[18:19], v[24:25]
	v_fma_f64 v[24:25], v[12:13], v[55:56], v[108:109]
	v_add_f64 v[14:15], v[14:15], v[22:23]
	s_clause 0x4
	buffer_load_dword v23, off, s[0:3], 0 offset:748
	buffer_load_dword v55, off, s[0:3], 0 offset:760
	;; [unrolled: 1-line block ×5, first 2 shown]
	ds_read_b128 v[10:13], v1 offset:1328
	s_waitcnt vmcnt(57) lgkmcnt(1)
	v_mul_f64 v[103:104], v[6:7], v[57:58]
	v_mul_f64 v[57:58], v[8:9], v[57:58]
	s_waitcnt vmcnt(56)
	v_fma_f64 v[34:35], v[2:3], v[53:54], -v[34:35]
	v_fma_f64 v[30:31], v[4:5], v[53:54], v[30:31]
	v_add_f64 v[18:19], v[18:19], v[32:33]
	v_add_f64 v[14:15], v[14:15], v[24:25]
	s_clause 0x2
	buffer_load_dword v56, off, s[0:3], 0 offset:764
	buffer_load_dword v25, off, s[0:3], 0 offset:740
	;; [unrolled: 1-line block ×3, first 2 shown]
	s_waitcnt vmcnt(58) lgkmcnt(0)
	v_mul_f64 v[53:54], v[12:13], v[59:60]
	ds_read_b128 v[2:5], v1 offset:1344
	s_waitcnt vmcnt(56)
	v_fma_f64 v[57:58], v[6:7], v[63:64], -v[57:58]
	v_mul_f64 v[32:33], v[10:11], v[59:60]
	v_add_f64 v[18:19], v[18:19], v[34:35]
	v_fma_f64 v[34:35], v[8:9], v[63:64], v[103:104]
	v_add_f64 v[14:15], v[14:15], v[30:31]
	s_clause 0x4
	buffer_load_dword v31, off, s[0:3], 0 offset:780
	buffer_load_dword v59, off, s[0:3], 0 offset:792
	;; [unrolled: 1-line block ×5, first 2 shown]
	s_waitcnt vmcnt(57) lgkmcnt(0)
	v_mul_f64 v[109:110], v[2:3], v[65:66]
	v_mul_f64 v[64:65], v[4:5], v[65:66]
	s_waitcnt vmcnt(56)
	v_fma_f64 v[53:54], v[10:11], v[61:62], -v[53:54]
	ds_read_b128 v[6:9], v1 offset:1360
	v_fma_f64 v[32:33], v[12:13], v[61:62], v[32:33]
	v_add_f64 v[18:19], v[18:19], v[57:58]
	v_add_f64 v[14:15], v[14:15], v[34:35]
	s_clause 0x2
	buffer_load_dword v60, off, s[0:3], 0 offset:796
	buffer_load_dword v35, off, s[0:3], 0 offset:772
	;; [unrolled: 1-line block ×3, first 2 shown]
	ds_read_b128 v[10:13], v1 offset:1376
	s_waitcnt vmcnt(58) lgkmcnt(1)
	v_mul_f64 v[61:62], v[8:9], v[67:68]
	s_waitcnt vmcnt(56)
	v_fma_f64 v[65:66], v[2:3], v[71:72], -v[64:65]
	v_mul_f64 v[57:58], v[6:7], v[67:68]
	v_add_f64 v[18:19], v[18:19], v[53:54]
	v_fma_f64 v[53:54], v[4:5], v[71:72], v[109:110]
	v_add_f64 v[14:15], v[14:15], v[32:33]
	s_clause 0x4
	buffer_load_dword v33, off, s[0:3], 0 offset:812
	buffer_load_dword v67, off, s[0:3], 0 offset:824
	buffer_load_dword v71, off, s[0:3], 0 offset:816
	buffer_load_dword v32, off, s[0:3], 0 offset:808
	buffer_load_dword v64, off, s[0:3], 0 offset:788
	s_waitcnt vmcnt(57) lgkmcnt(0)
	v_mul_f64 v[109:110], v[10:11], v[73:74]
	v_mul_f64 v[72:73], v[12:13], v[73:74]
	s_waitcnt vmcnt(56)
	v_fma_f64 v[61:62], v[6:7], v[69:70], -v[61:62]
	ds_read_b128 v[2:5], v1 offset:1392
	v_fma_f64 v[57:58], v[8:9], v[69:70], v[57:58]
	v_add_f64 v[18:19], v[18:19], v[65:66]
	v_add_f64 v[14:15], v[14:15], v[53:54]
	s_clause 0x2
	buffer_load_dword v68, off, s[0:3], 0 offset:828
	buffer_load_dword v54, off, s[0:3], 0 offset:804
	buffer_load_dword v53, off, s[0:3], 0 offset:800
	ds_read_b128 v[6:9], v1 offset:1408
	s_waitcnt vmcnt(58) lgkmcnt(1)
	v_mul_f64 v[69:70], v[4:5], v[75:76]
	s_waitcnt vmcnt(56)
	v_fma_f64 v[73:74], v[10:11], v[79:80], -v[72:73]
	v_mul_f64 v[65:66], v[2:3], v[75:76]
	buffer_load_dword v72, off, s[0:3], 0 offset:820
	v_add_f64 v[18:19], v[18:19], v[61:62]
	v_fma_f64 v[61:62], v[12:13], v[79:80], v[109:110]
	v_add_f64 v[14:15], v[14:15], v[57:58]
	ds_read_b128 v[10:13], v1 offset:1424
	s_waitcnt vmcnt(53) lgkmcnt(1)
	v_mul_f64 v[75:76], v[8:9], v[81:82]
	s_waitcnt vmcnt(52)
	v_fma_f64 v[69:70], v[2:3], v[77:78], -v[69:70]
	v_mul_f64 v[57:58], v[6:7], v[81:82]
	v_fma_f64 v[65:66], v[4:5], v[77:78], v[65:66]
	ds_read_b128 v[2:5], v1 offset:1440
	v_add_f64 v[18:19], v[18:19], v[73:74]
	s_waitcnt vmcnt(51) lgkmcnt(1)
	v_mul_f64 v[73:74], v[12:13], v[83:84]
	v_add_f64 v[14:15], v[14:15], v[61:62]
	v_mul_f64 v[61:62], v[10:11], v[83:84]
	s_waitcnt vmcnt(49)
	v_fma_f64 v[75:76], v[6:7], v[88:89], -v[75:76]
	v_fma_f64 v[57:58], v[8:9], v[88:89], v[57:58]
	s_waitcnt vmcnt(45) lgkmcnt(0)
	v_mul_f64 v[79:80], v[4:5], v[94:95]
	v_mul_f64 v[77:78], v[2:3], v[94:95]
	v_add_f64 v[18:19], v[18:19], v[69:70]
	s_waitcnt vmcnt(44)
	v_fma_f64 v[73:74], v[10:11], v[86:87], -v[73:74]
	v_add_f64 v[14:15], v[14:15], v[65:66]
	s_clause 0x3
	buffer_load_dword v65, off, s[0:3], 0 offset:384
	buffer_load_dword v66, off, s[0:3], 0 offset:388
	buffer_load_dword v69, off, s[0:3], 0 offset:392
	buffer_load_dword v70, off, s[0:3], 0 offset:396
	ds_read_b128 v[6:9], v1 offset:1456
	v_fma_f64 v[61:62], v[12:13], v[86:87], v[61:62]
	ds_read_b128 v[10:13], v1 offset:1472
	v_add_f64 v[18:19], v[18:19], v[75:76]
	v_add_f64 v[14:15], v[14:15], v[57:58]
	s_waitcnt vmcnt(47) lgkmcnt(1)
	v_mul_f64 v[75:76], v[8:9], v[96:97]
	v_mul_f64 v[57:58], v[6:7], v[96:97]
	s_waitcnt vmcnt(45)
	v_fma_f64 v[79:80], v[2:3], v[92:93], -v[79:80]
	v_add_f64 v[18:19], v[18:19], v[73:74]
	v_fma_f64 v[73:74], v[4:5], v[92:93], v[77:78]
	v_add_f64 v[14:15], v[14:15], v[61:62]
	s_waitcnt vmcnt(41) lgkmcnt(0)
	v_mul_f64 v[61:62], v[10:11], v[20:21]
	v_mul_f64 v[20:21], v[12:13], v[20:21]
	ds_read_b128 v[2:5], v1 offset:1488
	s_waitcnt vmcnt(40)
	v_fma_f64 v[75:76], v[6:7], v[98:99], -v[75:76]
	v_fma_f64 v[57:58], v[8:9], v[98:99], v[57:58]
	ds_read_b128 v[6:9], v1 offset:1504
	v_add_f64 v[18:19], v[18:19], v[79:80]
	v_add_f64 v[14:15], v[14:15], v[73:74]
	s_waitcnt vmcnt(39) lgkmcnt(1)
	v_mul_f64 v[77:78], v[4:5], v[100:101]
	v_mul_f64 v[73:74], v[2:3], v[100:101]
	s_waitcnt vmcnt(37)
	v_fma_f64 v[20:21], v[10:11], v[16:17], -v[20:21]
	v_fma_f64 v[16:17], v[12:13], v[16:17], v[61:62]
	ds_read_b128 v[10:13], v1 offset:1520
	v_add_f64 v[18:19], v[18:19], v[75:76]
	v_add_f64 v[14:15], v[14:15], v[57:58]
	s_waitcnt vmcnt(33) lgkmcnt(1)
	v_mul_f64 v[57:58], v[6:7], v[28:29]
	v_mul_f64 v[28:29], v[8:9], v[28:29]
	s_waitcnt vmcnt(32)
	v_fma_f64 v[61:62], v[2:3], v[105:106], -v[77:78]
	v_add_f64 v[18:19], v[18:19], v[20:21]
	v_fma_f64 v[20:21], v[4:5], v[105:106], v[73:74]
	v_add_f64 v[14:15], v[14:15], v[16:17]
	ds_read_b128 v[2:5], v1 offset:1536
	s_waitcnt vmcnt(31) lgkmcnt(1)
	v_mul_f64 v[73:74], v[12:13], v[90:91]
	v_mul_f64 v[16:17], v[10:11], v[90:91]
	s_waitcnt vmcnt(29)
	v_fma_f64 v[28:29], v[6:7], v[26:27], -v[28:29]
	v_fma_f64 v[26:27], v[8:9], v[26:27], v[57:58]
	ds_read_b128 v[6:9], v1 offset:1552
	v_add_f64 v[18:19], v[18:19], v[61:62]
	v_add_f64 v[14:15], v[14:15], v[20:21]
	s_waitcnt vmcnt(25) lgkmcnt(1)
	v_mul_f64 v[20:21], v[2:3], v[22:23]
	v_mul_f64 v[22:23], v[4:5], v[22:23]
	s_waitcnt vmcnt(24)
	v_fma_f64 v[57:58], v[10:11], v[107:108], -v[73:74]
	v_fma_f64 v[16:17], v[12:13], v[107:108], v[16:17]
	ds_read_b128 v[10:13], v1 offset:1568
	v_add_f64 v[18:19], v[18:19], v[28:29]
	v_add_f64 v[14:15], v[14:15], v[26:27]
	;; [unrolled: 9-line block ×3, first 2 shown]
	s_waitcnt vmcnt(17) lgkmcnt(1)
	v_mul_f64 v[24:25], v[12:13], v[30:31]
	s_waitcnt vmcnt(16)
	v_fma_f64 v[28:29], v[6:7], v[102:103], -v[28:29]
	v_mul_f64 v[16:17], v[10:11], v[30:31]
	v_add_f64 v[18:19], v[18:19], v[22:23]
	v_fma_f64 v[22:23], v[8:9], v[102:103], v[26:27]
	v_add_f64 v[14:15], v[14:15], v[20:21]
	ds_read_b128 v[6:9], v1 offset:1600
	s_waitcnt vmcnt(15) lgkmcnt(1)
	v_mul_f64 v[26:27], v[4:5], v[59:60]
	v_mul_f64 v[20:21], v[2:3], v[59:60]
	s_waitcnt vmcnt(13)
	v_fma_f64 v[24:25], v[10:11], v[34:35], -v[24:25]
	v_fma_f64 v[16:17], v[12:13], v[34:35], v[16:17]
	ds_read_b128 v[10:13], v1 offset:1616
	v_add_f64 v[18:19], v[18:19], v[28:29]
	v_add_f64 v[14:15], v[14:15], v[22:23]
	s_waitcnt vmcnt(9) lgkmcnt(1)
	v_mul_f64 v[28:29], v[8:9], v[32:33]
	s_waitcnt vmcnt(8)
	v_fma_f64 v[2:3], v[2:3], v[63:64], -v[26:27]
	v_mul_f64 v[22:23], v[6:7], v[32:33]
	v_fma_f64 v[4:5], v[4:5], v[63:64], v[20:21]
	v_add_f64 v[18:19], v[18:19], v[24:25]
	v_add_f64 v[14:15], v[14:15], v[16:17]
	s_waitcnt vmcnt(7) lgkmcnt(0)
	v_mul_f64 v[20:21], v[12:13], v[67:68]
	v_mul_f64 v[16:17], v[10:11], v[67:68]
	s_waitcnt vmcnt(5)
	v_fma_f64 v[6:7], v[6:7], v[53:54], -v[28:29]
	v_fma_f64 v[8:9], v[8:9], v[53:54], v[22:23]
	v_add_f64 v[2:3], v[18:19], v[2:3]
	v_add_f64 v[4:5], v[14:15], v[4:5]
	s_waitcnt vmcnt(4)
	v_fma_f64 v[10:11], v[10:11], v[71:72], -v[20:21]
	v_add_f64 v[2:3], v[2:3], v[6:7]
	v_fma_f64 v[6:7], v[12:13], v[71:72], v[16:17]
	v_add_f64 v[4:5], v[4:5], v[8:9]
	v_add_f64 v[2:3], v[2:3], v[10:11]
	;; [unrolled: 1-line block ×3, first 2 shown]
	s_waitcnt vmcnt(2)
	v_add_f64 v[2:3], v[65:66], -v[2:3]
	s_waitcnt vmcnt(0)
	v_add_f64 v[4:5], v[69:70], -v[4:5]
	buffer_store_dword v3, off, s[0:3], 0 offset:388
	buffer_store_dword v2, off, s[0:3], 0 offset:384
	;; [unrolled: 1-line block ×4, first 2 shown]
	v_cmpx_lt_u32_e32 22, v0
	s_cbranch_execz .LBB50_275
; %bb.274:
	v_mov_b32_e32 v5, s41
	s_clause 0x3
	buffer_load_dword v2, v5, s[0:3], 0 offen
	buffer_load_dword v3, v5, s[0:3], 0 offen offset:4
	buffer_load_dword v4, v5, s[0:3], 0 offen offset:8
	;; [unrolled: 1-line block ×3, first 2 shown]
	buffer_store_dword v1, off, s[0:3], 0 offset:368
	buffer_store_dword v1, off, s[0:3], 0 offset:372
	;; [unrolled: 1-line block ×4, first 2 shown]
	s_waitcnt vmcnt(0)
	ds_write_b128 v85, v[2:5]
.LBB50_275:
	s_or_b32 exec_lo, exec_lo, s4
	s_waitcnt lgkmcnt(0)
	s_waitcnt_vscnt null, 0x0
	s_barrier
	buffer_gl0_inv
	s_clause 0x37
	buffer_load_dword v10, off, s[0:3], 0 offset:392
	buffer_load_dword v11, off, s[0:3], 0 offset:396
	;; [unrolled: 1-line block ×56, first 2 shown]
	ds_read_b128 v[2:5], v1 offset:1184
	s_clause 0x2
	buffer_load_dword v84, off, s[0:3], 0 offset:620
	buffer_load_dword v89, off, s[0:3], 0 offset:596
	;; [unrolled: 1-line block ×3, first 2 shown]
	ds_read_b128 v[6:9], v1 offset:1200
	s_clause 0x4
	buffer_load_dword v95, off, s[0:3], 0 offset:636
	buffer_load_dword v96, off, s[0:3], 0 offset:648
	;; [unrolled: 1-line block ×5, first 2 shown]
	s_mov_b32 s4, exec_lo
	s_waitcnt vmcnt(62) lgkmcnt(1)
	v_mul_f64 v[90:91], v[4:5], v[10:11]
	v_mul_f64 v[92:93], v[2:3], v[10:11]
	s_waitcnt vmcnt(60) lgkmcnt(0)
	v_mul_f64 v[99:100], v[8:9], v[14:15]
	ds_read_b128 v[10:13], v1 offset:1216
	v_mul_f64 v[14:15], v[6:7], v[14:15]
	s_waitcnt vmcnt(58)
	v_fma_f64 v[90:91], v[2:3], v[16:17], -v[90:91]
	v_fma_f64 v[16:17], v[4:5], v[16:17], v[92:93]
	s_clause 0x2
	buffer_load_dword v97, off, s[0:3], 0 offset:652
	buffer_load_dword v93, off, s[0:3], 0 offset:628
	;; [unrolled: 1-line block ×3, first 2 shown]
	s_waitcnt vmcnt(59) lgkmcnt(0)
	v_mul_f64 v[101:102], v[10:11], v[18:19]
	v_mul_f64 v[18:19], v[12:13], v[18:19]
	s_waitcnt vmcnt(57)
	v_fma_f64 v[103:104], v[6:7], v[20:21], -v[99:100]
	ds_read_b128 v[2:5], v1 offset:1232
	v_fma_f64 v[14:15], v[8:9], v[20:21], v[14:15]
	s_clause 0x4
	buffer_load_dword v21, off, s[0:3], 0 offset:668
	buffer_load_dword v100, off, s[0:3], 0 offset:680
	;; [unrolled: 1-line block ×5, first 2 shown]
	ds_read_b128 v[6:9], v1 offset:1248
	v_add_f64 v[90:91], v[90:91], 0
	v_add_f64 v[16:17], v[16:17], 0
	s_waitcnt vmcnt(58) lgkmcnt(1)
	v_mul_f64 v[106:107], v[2:3], v[22:23]
	v_mul_f64 v[22:23], v[4:5], v[22:23]
	s_waitcnt vmcnt(56)
	v_fma_f64 v[18:19], v[10:11], v[28:29], -v[18:19]
	v_fma_f64 v[28:29], v[12:13], v[28:29], v[101:102]
	v_add_f64 v[90:91], v[90:91], v[103:104]
	v_add_f64 v[14:15], v[16:17], v[14:15]
	s_clause 0x2
	buffer_load_dword v101, off, s[0:3], 0 offset:684
	buffer_load_dword v17, off, s[0:3], 0 offset:660
	;; [unrolled: 1-line block ×3, first 2 shown]
	s_waitcnt vmcnt(58) lgkmcnt(0)
	v_mul_f64 v[102:103], v[6:7], v[24:25]
	v_mul_f64 v[24:25], v[8:9], v[24:25]
	s_waitcnt vmcnt(56)
	v_fma_f64 v[22:23], v[2:3], v[30:31], -v[22:23]
	ds_read_b128 v[10:13], v1 offset:1264
	v_fma_f64 v[30:31], v[4:5], v[30:31], v[106:107]
	v_add_f64 v[18:19], v[90:91], v[18:19]
	v_add_f64 v[14:15], v[14:15], v[28:29]
	s_clause 0x4
	buffer_load_dword v29, off, s[0:3], 0 offset:700
	buffer_load_dword v90, off, s[0:3], 0 offset:712
	;; [unrolled: 1-line block ×5, first 2 shown]
	ds_read_b128 v[2:5], v1 offset:1280
	s_waitcnt vmcnt(57) lgkmcnt(1)
	v_mul_f64 v[108:109], v[10:11], v[32:33]
	v_mul_f64 v[32:33], v[12:13], v[32:33]
	s_waitcnt vmcnt(56)
	v_fma_f64 v[24:25], v[6:7], v[26:27], -v[24:25]
	v_add_f64 v[18:19], v[18:19], v[22:23]
	v_fma_f64 v[22:23], v[8:9], v[26:27], v[102:103]
	v_add_f64 v[14:15], v[14:15], v[30:31]
	s_clause 0x2
	buffer_load_dword v91, off, s[0:3], 0 offset:716
	buffer_load_dword v27, off, s[0:3], 0 offset:692
	;; [unrolled: 1-line block ×3, first 2 shown]
	s_waitcnt vmcnt(58) lgkmcnt(0)
	v_mul_f64 v[30:31], v[2:3], v[34:35]
	v_mul_f64 v[34:35], v[4:5], v[34:35]
	s_waitcnt vmcnt(56)
	v_fma_f64 v[32:33], v[10:11], v[55:56], -v[32:33]
	ds_read_b128 v[6:9], v1 offset:1296
	v_add_f64 v[18:19], v[18:19], v[24:25]
	v_fma_f64 v[24:25], v[12:13], v[55:56], v[108:109]
	v_add_f64 v[14:15], v[14:15], v[22:23]
	s_clause 0x4
	buffer_load_dword v23, off, s[0:3], 0 offset:732
	buffer_load_dword v55, off, s[0:3], 0 offset:744
	buffer_load_dword v102, off, s[0:3], 0 offset:736
	buffer_load_dword v22, off, s[0:3], 0 offset:728
	buffer_load_dword v108, off, s[0:3], 0 offset:708
	ds_read_b128 v[10:13], v1 offset:1312
	s_waitcnt vmcnt(57) lgkmcnt(1)
	v_mul_f64 v[103:104], v[6:7], v[57:58]
	v_mul_f64 v[57:58], v[8:9], v[57:58]
	s_waitcnt vmcnt(56)
	v_fma_f64 v[34:35], v[2:3], v[53:54], -v[34:35]
	v_fma_f64 v[30:31], v[4:5], v[53:54], v[30:31]
	v_add_f64 v[18:19], v[18:19], v[32:33]
	v_add_f64 v[14:15], v[14:15], v[24:25]
	s_clause 0x2
	buffer_load_dword v56, off, s[0:3], 0 offset:748
	buffer_load_dword v25, off, s[0:3], 0 offset:724
	;; [unrolled: 1-line block ×3, first 2 shown]
	s_waitcnt vmcnt(58) lgkmcnt(0)
	v_mul_f64 v[53:54], v[12:13], v[59:60]
	ds_read_b128 v[2:5], v1 offset:1328
	s_waitcnt vmcnt(56)
	v_fma_f64 v[57:58], v[6:7], v[63:64], -v[57:58]
	v_mul_f64 v[32:33], v[10:11], v[59:60]
	v_add_f64 v[18:19], v[18:19], v[34:35]
	v_fma_f64 v[34:35], v[8:9], v[63:64], v[103:104]
	v_add_f64 v[14:15], v[14:15], v[30:31]
	s_clause 0x4
	buffer_load_dword v31, off, s[0:3], 0 offset:764
	buffer_load_dword v59, off, s[0:3], 0 offset:776
	;; [unrolled: 1-line block ×5, first 2 shown]
	s_waitcnt vmcnt(57) lgkmcnt(0)
	v_mul_f64 v[109:110], v[2:3], v[65:66]
	v_mul_f64 v[64:65], v[4:5], v[65:66]
	s_waitcnt vmcnt(56)
	v_fma_f64 v[53:54], v[10:11], v[61:62], -v[53:54]
	ds_read_b128 v[6:9], v1 offset:1344
	v_fma_f64 v[32:33], v[12:13], v[61:62], v[32:33]
	v_add_f64 v[18:19], v[18:19], v[57:58]
	v_add_f64 v[14:15], v[14:15], v[34:35]
	s_clause 0x2
	buffer_load_dword v60, off, s[0:3], 0 offset:780
	buffer_load_dword v35, off, s[0:3], 0 offset:756
	;; [unrolled: 1-line block ×3, first 2 shown]
	ds_read_b128 v[10:13], v1 offset:1360
	s_waitcnt vmcnt(58) lgkmcnt(1)
	v_mul_f64 v[61:62], v[8:9], v[67:68]
	s_waitcnt vmcnt(56)
	v_fma_f64 v[65:66], v[2:3], v[71:72], -v[64:65]
	v_mul_f64 v[57:58], v[6:7], v[67:68]
	v_add_f64 v[18:19], v[18:19], v[53:54]
	v_fma_f64 v[53:54], v[4:5], v[71:72], v[109:110]
	v_add_f64 v[14:15], v[14:15], v[32:33]
	s_clause 0x4
	buffer_load_dword v33, off, s[0:3], 0 offset:796
	buffer_load_dword v67, off, s[0:3], 0 offset:808
	;; [unrolled: 1-line block ×5, first 2 shown]
	s_waitcnt vmcnt(57) lgkmcnt(0)
	v_mul_f64 v[109:110], v[10:11], v[73:74]
	v_mul_f64 v[72:73], v[12:13], v[73:74]
	s_waitcnt vmcnt(56)
	v_fma_f64 v[61:62], v[6:7], v[69:70], -v[61:62]
	ds_read_b128 v[2:5], v1 offset:1376
	v_fma_f64 v[57:58], v[8:9], v[69:70], v[57:58]
	v_add_f64 v[18:19], v[18:19], v[65:66]
	v_add_f64 v[14:15], v[14:15], v[53:54]
	s_clause 0x2
	buffer_load_dword v68, off, s[0:3], 0 offset:812
	buffer_load_dword v54, off, s[0:3], 0 offset:788
	;; [unrolled: 1-line block ×3, first 2 shown]
	ds_read_b128 v[6:9], v1 offset:1392
	s_waitcnt vmcnt(58) lgkmcnt(1)
	v_mul_f64 v[69:70], v[4:5], v[75:76]
	s_waitcnt vmcnt(56)
	v_fma_f64 v[73:74], v[10:11], v[79:80], -v[72:73]
	v_mul_f64 v[65:66], v[2:3], v[75:76]
	v_add_f64 v[18:19], v[18:19], v[61:62]
	v_fma_f64 v[61:62], v[12:13], v[79:80], v[109:110]
	v_add_f64 v[14:15], v[14:15], v[57:58]
	s_clause 0x2
	buffer_load_dword v58, off, s[0:3], 0 offset:828
	buffer_load_dword v57, off, s[0:3], 0 offset:824
	;; [unrolled: 1-line block ×3, first 2 shown]
	s_waitcnt vmcnt(55) lgkmcnt(0)
	v_mul_f64 v[79:80], v[8:9], v[81:82]
	s_waitcnt vmcnt(54)
	v_fma_f64 v[69:70], v[2:3], v[77:78], -v[69:70]
	ds_read_b128 v[10:13], v1 offset:1408
	v_mul_f64 v[75:76], v[6:7], v[81:82]
	v_fma_f64 v[65:66], v[4:5], v[77:78], v[65:66]
	v_add_f64 v[18:19], v[18:19], v[73:74]
	v_add_f64 v[14:15], v[14:15], v[61:62]
	s_clause 0x1
	buffer_load_dword v62, off, s[0:3], 0 offset:820
	buffer_load_dword v61, off, s[0:3], 0 offset:816
	s_waitcnt vmcnt(55) lgkmcnt(0)
	v_mul_f64 v[77:78], v[12:13], v[83:84]
	s_waitcnt vmcnt(53)
	v_fma_f64 v[79:80], v[6:7], v[88:89], -v[79:80]
	ds_read_b128 v[2:5], v1 offset:1424
	v_mul_f64 v[73:74], v[10:11], v[83:84]
	v_add_f64 v[18:19], v[18:19], v[69:70]
	v_fma_f64 v[69:70], v[8:9], v[88:89], v[75:76]
	v_add_f64 v[14:15], v[14:15], v[65:66]
	ds_read_b128 v[6:9], v1 offset:1440
	s_waitcnt vmcnt(49) lgkmcnt(1)
	v_mul_f64 v[75:76], v[4:5], v[94:95]
	s_waitcnt vmcnt(48)
	v_fma_f64 v[77:78], v[10:11], v[86:87], -v[77:78]
	v_mul_f64 v[65:66], v[2:3], v[94:95]
	v_fma_f64 v[73:74], v[12:13], v[86:87], v[73:74]
	v_add_f64 v[18:19], v[18:19], v[79:80]
	v_add_f64 v[14:15], v[14:15], v[69:70]
	s_clause 0x3
	buffer_load_dword v69, off, s[0:3], 0 offset:368
	buffer_load_dword v70, off, s[0:3], 0 offset:372
	;; [unrolled: 1-line block ×4, first 2 shown]
	ds_read_b128 v[10:13], v1 offset:1456
	s_waitcnt vmcnt(51) lgkmcnt(1)
	v_mul_f64 v[83:84], v[8:9], v[96:97]
	v_mul_f64 v[81:82], v[6:7], v[96:97]
	s_waitcnt vmcnt(49)
	v_fma_f64 v[75:76], v[2:3], v[92:93], -v[75:76]
	v_fma_f64 v[65:66], v[4:5], v[92:93], v[65:66]
	ds_read_b128 v[2:5], v1 offset:1472
	v_add_f64 v[18:19], v[18:19], v[77:78]
	v_add_f64 v[14:15], v[14:15], v[73:74]
	s_waitcnt vmcnt(45) lgkmcnt(1)
	v_mul_f64 v[73:74], v[10:11], v[20:21]
	v_mul_f64 v[20:21], v[12:13], v[20:21]
	s_waitcnt vmcnt(44)
	v_fma_f64 v[77:78], v[6:7], v[98:99], -v[83:84]
	v_add_f64 v[18:19], v[18:19], v[75:76]
	v_fma_f64 v[75:76], v[8:9], v[98:99], v[81:82]
	v_add_f64 v[14:15], v[14:15], v[65:66]
	ds_read_b128 v[6:9], v1 offset:1488
	s_waitcnt vmcnt(43) lgkmcnt(1)
	v_mul_f64 v[81:82], v[4:5], v[100:101]
	v_mul_f64 v[65:66], v[2:3], v[100:101]
	s_waitcnt vmcnt(41)
	v_fma_f64 v[20:21], v[10:11], v[16:17], -v[20:21]
	v_fma_f64 v[16:17], v[12:13], v[16:17], v[73:74]
	ds_read_b128 v[10:13], v1 offset:1504
	v_add_f64 v[18:19], v[18:19], v[77:78]
	v_add_f64 v[14:15], v[14:15], v[75:76]
	s_waitcnt vmcnt(37) lgkmcnt(1)
	v_mul_f64 v[73:74], v[6:7], v[28:29]
	v_mul_f64 v[28:29], v[8:9], v[28:29]
	s_waitcnt vmcnt(36)
	v_fma_f64 v[75:76], v[2:3], v[105:106], -v[81:82]
	v_add_f64 v[18:19], v[18:19], v[20:21]
	v_fma_f64 v[20:21], v[4:5], v[105:106], v[65:66]
	v_add_f64 v[14:15], v[14:15], v[16:17]
	ds_read_b128 v[2:5], v1 offset:1520
	s_waitcnt vmcnt(35) lgkmcnt(1)
	v_mul_f64 v[65:66], v[12:13], v[90:91]
	v_mul_f64 v[16:17], v[10:11], v[90:91]
	s_waitcnt vmcnt(33)
	v_fma_f64 v[28:29], v[6:7], v[26:27], -v[28:29]
	v_fma_f64 v[26:27], v[8:9], v[26:27], v[73:74]
	ds_read_b128 v[6:9], v1 offset:1536
	v_add_f64 v[18:19], v[18:19], v[75:76]
	v_add_f64 v[14:15], v[14:15], v[20:21]
	s_waitcnt vmcnt(29) lgkmcnt(1)
	v_mul_f64 v[20:21], v[2:3], v[22:23]
	v_mul_f64 v[22:23], v[4:5], v[22:23]
	s_waitcnt vmcnt(28)
	v_fma_f64 v[65:66], v[10:11], v[107:108], -v[65:66]
	v_fma_f64 v[16:17], v[12:13], v[107:108], v[16:17]
	ds_read_b128 v[10:13], v1 offset:1552
	v_add_f64 v[18:19], v[18:19], v[28:29]
	v_add_f64 v[14:15], v[14:15], v[26:27]
	s_waitcnt vmcnt(27) lgkmcnt(1)
	v_mul_f64 v[28:29], v[8:9], v[55:56]
	v_mul_f64 v[26:27], v[6:7], v[55:56]
	s_waitcnt vmcnt(25)
	v_fma_f64 v[22:23], v[2:3], v[24:25], -v[22:23]
	v_fma_f64 v[20:21], v[4:5], v[24:25], v[20:21]
	ds_read_b128 v[2:5], v1 offset:1568
	v_add_f64 v[18:19], v[18:19], v[65:66]
	v_add_f64 v[14:15], v[14:15], v[16:17]
	s_waitcnt vmcnt(21) lgkmcnt(1)
	v_mul_f64 v[24:25], v[12:13], v[30:31]
	s_waitcnt vmcnt(20)
	v_fma_f64 v[28:29], v[6:7], v[102:103], -v[28:29]
	v_mul_f64 v[16:17], v[10:11], v[30:31]
	v_add_f64 v[18:19], v[18:19], v[22:23]
	v_fma_f64 v[22:23], v[8:9], v[102:103], v[26:27]
	v_add_f64 v[14:15], v[14:15], v[20:21]
	ds_read_b128 v[6:9], v1 offset:1584
	s_waitcnt vmcnt(19) lgkmcnt(1)
	v_mul_f64 v[26:27], v[4:5], v[59:60]
	v_mul_f64 v[20:21], v[2:3], v[59:60]
	s_waitcnt vmcnt(17)
	v_fma_f64 v[24:25], v[10:11], v[34:35], -v[24:25]
	v_fma_f64 v[16:17], v[12:13], v[34:35], v[16:17]
	ds_read_b128 v[10:13], v1 offset:1600
	v_add_f64 v[18:19], v[18:19], v[28:29]
	v_add_f64 v[14:15], v[14:15], v[22:23]
	s_waitcnt vmcnt(13) lgkmcnt(1)
	v_mul_f64 v[28:29], v[8:9], v[32:33]
	s_waitcnt vmcnt(12)
	v_fma_f64 v[26:27], v[2:3], v[63:64], -v[26:27]
	v_mul_f64 v[22:23], v[6:7], v[32:33]
	v_fma_f64 v[20:21], v[4:5], v[63:64], v[20:21]
	ds_read_b128 v[1:4], v1 offset:1616
	v_add_f64 v[18:19], v[18:19], v[24:25]
	v_add_f64 v[14:15], v[14:15], v[16:17]
	s_waitcnt vmcnt(11) lgkmcnt(1)
	v_mul_f64 v[24:25], v[12:13], v[67:68]
	v_mul_f64 v[16:17], v[10:11], v[67:68]
	s_waitcnt vmcnt(9)
	v_fma_f64 v[5:6], v[6:7], v[53:54], -v[28:29]
	v_fma_f64 v[7:8], v[8:9], v[53:54], v[22:23]
	v_add_f64 v[18:19], v[18:19], v[26:27]
	v_add_f64 v[14:15], v[14:15], v[20:21]
	s_waitcnt vmcnt(7) lgkmcnt(0)
	v_mul_f64 v[22:23], v[3:4], v[57:58]
	s_waitcnt vmcnt(6)
	v_fma_f64 v[9:10], v[10:11], v[71:72], -v[24:25]
	v_mul_f64 v[20:21], v[1:2], v[57:58]
	v_fma_f64 v[11:12], v[12:13], v[71:72], v[16:17]
	v_add_f64 v[5:6], v[18:19], v[5:6]
	v_add_f64 v[7:8], v[14:15], v[7:8]
	s_waitcnt vmcnt(4)
	v_fma_f64 v[1:2], v[1:2], v[61:62], -v[22:23]
	v_fma_f64 v[3:4], v[3:4], v[61:62], v[20:21]
	v_add_f64 v[5:6], v[5:6], v[9:10]
	v_add_f64 v[7:8], v[7:8], v[11:12]
	;; [unrolled: 1-line block ×4, first 2 shown]
	s_waitcnt vmcnt(2)
	v_add_f64 v[1:2], v[69:70], -v[1:2]
	s_waitcnt vmcnt(0)
	v_add_f64 v[3:4], v[79:80], -v[3:4]
	buffer_store_dword v2, off, s[0:3], 0 offset:372
	buffer_store_dword v1, off, s[0:3], 0 offset:368
	;; [unrolled: 1-line block ×4, first 2 shown]
	v_cmpx_lt_u32_e32 21, v0
	s_cbranch_execz .LBB50_277
; %bb.276:
	v_mov_b32_e32 v4, s42
	v_mov_b32_e32 v5, 0
	s_clause 0x3
	buffer_load_dword v1, v4, s[0:3], 0 offen
	buffer_load_dword v2, v4, s[0:3], 0 offen offset:4
	buffer_load_dword v3, v4, s[0:3], 0 offen offset:8
	;; [unrolled: 1-line block ×3, first 2 shown]
	buffer_store_dword v5, off, s[0:3], 0 offset:352
	buffer_store_dword v5, off, s[0:3], 0 offset:356
	;; [unrolled: 1-line block ×4, first 2 shown]
	s_waitcnt vmcnt(0)
	ds_write_b128 v85, v[1:4]
.LBB50_277:
	s_or_b32 exec_lo, exec_lo, s4
	s_waitcnt lgkmcnt(0)
	s_waitcnt_vscnt null, 0x0
	s_barrier
	buffer_gl0_inv
	s_clause 0x37
	buffer_load_dword v9, off, s[0:3], 0 offset:376
	buffer_load_dword v10, off, s[0:3], 0 offset:380
	;; [unrolled: 1-line block ×56, first 2 shown]
	v_mov_b32_e32 v11, 0
	s_mov_b32 s4, exec_lo
	ds_read_b128 v[5:8], v11 offset:1168
	s_clause 0x2
	buffer_load_dword v87, off, s[0:3], 0 offset:604
	buffer_load_dword v91, off, s[0:3], 0 offset:580
	;; [unrolled: 1-line block ×3, first 2 shown]
	ds_read_b128 v[12:15], v11 offset:1184
	s_clause 0x4
	buffer_load_dword v95, off, s[0:3], 0 offset:620
	buffer_load_dword v96, off, s[0:3], 0 offset:632
	;; [unrolled: 1-line block ×5, first 2 shown]
	ds_read_b128 v[16:19], v11 offset:1200
	s_waitcnt vmcnt(62) lgkmcnt(2)
	v_mul_f64 v[92:93], v[7:8], v[9:10]
	v_mul_f64 v[9:10], v[5:6], v[9:10]
	s_waitcnt vmcnt(60) lgkmcnt(1)
	v_mul_f64 v[99:100], v[14:15], v[20:21]
	v_mul_f64 v[20:21], v[12:13], v[20:21]
	;; [unrolled: 3-line block ×3, first 2 shown]
	v_fma_f64 v[92:93], v[5:6], v[22:23], -v[92:93]
	v_fma_f64 v[9:10], v[7:8], v[22:23], v[9:10]
	s_clause 0x2
	buffer_load_dword v97, off, s[0:3], 0 offset:636
	buffer_load_dword v23, off, s[0:3], 0 offset:612
	;; [unrolled: 1-line block ×3, first 2 shown]
	s_waitcnt vmcnt(57)
	v_fma_f64 v[12:13], v[12:13], v[1:2], -v[99:100]
	ds_read_b128 v[5:8], v11 offset:1216
	v_fma_f64 v[14:15], v[14:15], v[1:2], v[20:21]
	s_clause 0x4
	buffer_load_dword v21, off, s[0:3], 0 offset:652
	buffer_load_dword v100, off, s[0:3], 0 offset:664
	;; [unrolled: 1-line block ×5, first 2 shown]
	s_waitcnt vmcnt(56)
	v_fma_f64 v[16:17], v[16:17], v[30:31], -v[103:104]
	ds_read_b128 v[1:4], v11 offset:1232
	v_fma_f64 v[18:19], v[18:19], v[30:31], v[101:102]
	s_clause 0x2
	buffer_load_dword v101, off, s[0:3], 0 offset:668
	buffer_load_dword v31, off, s[0:3], 0 offset:644
	;; [unrolled: 1-line block ×3, first 2 shown]
	v_add_f64 v[92:93], v[92:93], 0
	v_add_f64 v[9:10], v[9:10], 0
	s_waitcnt lgkmcnt(1)
	v_mul_f64 v[106:107], v[5:6], v[24:25]
	v_mul_f64 v[24:25], v[7:8], v[24:25]
	s_waitcnt vmcnt(58) lgkmcnt(0)
	v_mul_f64 v[102:103], v[1:2], v[26:27]
	v_mul_f64 v[26:27], v[3:4], v[26:27]
	v_add_f64 v[92:93], v[92:93], v[12:13]
	v_add_f64 v[9:10], v[9:10], v[14:15]
	ds_read_b128 v[12:15], v11 offset:1248
	s_waitcnt vmcnt(56)
	v_fma_f64 v[24:25], v[5:6], v[32:33], -v[24:25]
	v_fma_f64 v[32:33], v[7:8], v[32:33], v[106:107]
	s_waitcnt vmcnt(51)
	v_fma_f64 v[26:27], v[1:2], v[28:29], -v[26:27]
	s_waitcnt lgkmcnt(0)
	v_mul_f64 v[108:109], v[12:13], v[34:35]
	v_add_f64 v[16:17], v[92:93], v[16:17]
	v_add_f64 v[9:10], v[9:10], v[18:19]
	s_clause 0x4
	buffer_load_dword v19, off, s[0:3], 0 offset:684
	buffer_load_dword v92, off, s[0:3], 0 offset:696
	;; [unrolled: 1-line block ×5, first 2 shown]
	v_mul_f64 v[34:35], v[14:15], v[34:35]
	ds_read_b128 v[5:8], v11 offset:1264
	v_add_f64 v[16:17], v[16:17], v[24:25]
	v_fma_f64 v[24:25], v[3:4], v[28:29], v[102:103]
	v_add_f64 v[9:10], v[9:10], v[32:33]
	s_clause 0x2
	buffer_load_dword v93, off, s[0:3], 0 offset:700
	buffer_load_dword v29, off, s[0:3], 0 offset:676
	;; [unrolled: 1-line block ×3, first 2 shown]
	s_waitcnt vmcnt(58) lgkmcnt(0)
	v_mul_f64 v[32:33], v[5:6], v[53:54]
	v_mul_f64 v[53:54], v[7:8], v[53:54]
	s_waitcnt vmcnt(56)
	v_fma_f64 v[34:35], v[12:13], v[57:58], -v[34:35]
	ds_read_b128 v[1:4], v11 offset:1280
	v_add_f64 v[16:17], v[16:17], v[26:27]
	v_fma_f64 v[26:27], v[14:15], v[57:58], v[108:109]
	v_add_f64 v[9:10], v[9:10], v[24:25]
	s_clause 0x4
	buffer_load_dword v25, off, s[0:3], 0 offset:716
	buffer_load_dword v57, off, s[0:3], 0 offset:728
	;; [unrolled: 1-line block ×5, first 2 shown]
	ds_read_b128 v[12:15], v11 offset:1296
	s_waitcnt vmcnt(57) lgkmcnt(1)
	v_mul_f64 v[103:104], v[1:2], v[59:60]
	v_mul_f64 v[59:60], v[3:4], v[59:60]
	s_waitcnt vmcnt(56)
	v_fma_f64 v[53:54], v[5:6], v[55:56], -v[53:54]
	v_fma_f64 v[32:33], v[7:8], v[55:56], v[32:33]
	v_add_f64 v[16:17], v[16:17], v[34:35]
	v_add_f64 v[9:10], v[9:10], v[26:27]
	s_clause 0x2
	buffer_load_dword v58, off, s[0:3], 0 offset:732
	buffer_load_dword v27, off, s[0:3], 0 offset:708
	;; [unrolled: 1-line block ×3, first 2 shown]
	s_waitcnt vmcnt(58) lgkmcnt(0)
	v_mul_f64 v[55:56], v[14:15], v[61:62]
	ds_read_b128 v[5:8], v11 offset:1312
	s_waitcnt vmcnt(56)
	v_fma_f64 v[59:60], v[1:2], v[65:66], -v[59:60]
	v_mul_f64 v[34:35], v[12:13], v[61:62]
	v_add_f64 v[16:17], v[16:17], v[53:54]
	v_fma_f64 v[53:54], v[3:4], v[65:66], v[103:104]
	v_add_f64 v[9:10], v[9:10], v[32:33]
	s_clause 0x4
	buffer_load_dword v33, off, s[0:3], 0 offset:748
	buffer_load_dword v61, off, s[0:3], 0 offset:760
	buffer_load_dword v65, off, s[0:3], 0 offset:752
	buffer_load_dword v32, off, s[0:3], 0 offset:744
	buffer_load_dword v103, off, s[0:3], 0 offset:724
	s_waitcnt vmcnt(57) lgkmcnt(0)
	v_mul_f64 v[109:110], v[5:6], v[67:68]
	v_mul_f64 v[66:67], v[7:8], v[67:68]
	s_waitcnt vmcnt(56)
	v_fma_f64 v[55:56], v[12:13], v[63:64], -v[55:56]
	ds_read_b128 v[1:4], v11 offset:1328
	v_fma_f64 v[34:35], v[14:15], v[63:64], v[34:35]
	v_add_f64 v[16:17], v[16:17], v[59:60]
	v_add_f64 v[9:10], v[9:10], v[53:54]
	s_clause 0x2
	buffer_load_dword v62, off, s[0:3], 0 offset:764
	buffer_load_dword v54, off, s[0:3], 0 offset:740
	buffer_load_dword v53, off, s[0:3], 0 offset:736
	ds_read_b128 v[12:15], v11 offset:1344
	s_waitcnt vmcnt(58) lgkmcnt(1)
	v_mul_f64 v[63:64], v[3:4], v[69:70]
	s_waitcnt vmcnt(56)
	v_fma_f64 v[67:68], v[5:6], v[73:74], -v[66:67]
	v_mul_f64 v[59:60], v[1:2], v[69:70]
	v_add_f64 v[16:17], v[16:17], v[55:56]
	v_fma_f64 v[55:56], v[7:8], v[73:74], v[109:110]
	v_add_f64 v[9:10], v[9:10], v[34:35]
	s_clause 0x4
	buffer_load_dword v35, off, s[0:3], 0 offset:780
	buffer_load_dword v69, off, s[0:3], 0 offset:792
	buffer_load_dword v73, off, s[0:3], 0 offset:784
	buffer_load_dword v34, off, s[0:3], 0 offset:776
	buffer_load_dword v66, off, s[0:3], 0 offset:756
	s_waitcnt vmcnt(57) lgkmcnt(0)
	v_mul_f64 v[109:110], v[12:13], v[75:76]
	v_mul_f64 v[74:75], v[14:15], v[75:76]
	s_waitcnt vmcnt(56)
	v_fma_f64 v[63:64], v[1:2], v[71:72], -v[63:64]
	ds_read_b128 v[5:8], v11 offset:1360
	v_fma_f64 v[59:60], v[3:4], v[71:72], v[59:60]
	v_add_f64 v[16:17], v[16:17], v[67:68]
	v_add_f64 v[9:10], v[9:10], v[55:56]
	s_clause 0x2
	buffer_load_dword v70, off, s[0:3], 0 offset:796
	buffer_load_dword v56, off, s[0:3], 0 offset:772
	buffer_load_dword v55, off, s[0:3], 0 offset:768
	ds_read_b128 v[1:4], v11 offset:1376
	s_waitcnt vmcnt(58) lgkmcnt(1)
	v_mul_f64 v[71:72], v[7:8], v[77:78]
	s_waitcnt vmcnt(56)
	v_fma_f64 v[75:76], v[12:13], v[81:82], -v[74:75]
	v_mul_f64 v[67:68], v[5:6], v[77:78]
	v_add_f64 v[16:17], v[16:17], v[63:64]
	v_fma_f64 v[63:64], v[14:15], v[81:82], v[109:110]
	v_add_f64 v[9:10], v[9:10], v[59:60]
	s_clause 0x4
	buffer_load_dword v60, off, s[0:3], 0 offset:812
	buffer_load_dword v77, off, s[0:3], 0 offset:824
	buffer_load_dword v81, off, s[0:3], 0 offset:816
	buffer_load_dword v59, off, s[0:3], 0 offset:808
	buffer_load_dword v74, off, s[0:3], 0 offset:788
	s_waitcnt vmcnt(57) lgkmcnt(0)
	v_mul_f64 v[109:110], v[1:2], v[83:84]
	v_mul_f64 v[82:83], v[3:4], v[83:84]
	s_waitcnt vmcnt(56)
	v_fma_f64 v[71:72], v[5:6], v[79:80], -v[71:72]
	ds_read_b128 v[12:15], v11 offset:1392
	v_fma_f64 v[67:68], v[7:8], v[79:80], v[67:68]
	v_add_f64 v[16:17], v[16:17], v[75:76]
	v_add_f64 v[9:10], v[9:10], v[63:64]
	s_clause 0x2
	buffer_load_dword v78, off, s[0:3], 0 offset:828
	buffer_load_dword v64, off, s[0:3], 0 offset:804
	buffer_load_dword v63, off, s[0:3], 0 offset:800
	ds_read_b128 v[5:8], v11 offset:1408
	s_waitcnt vmcnt(58) lgkmcnt(1)
	v_mul_f64 v[79:80], v[14:15], v[86:87]
	s_waitcnt vmcnt(56)
	v_fma_f64 v[83:84], v[1:2], v[90:91], -v[82:83]
	v_mul_f64 v[75:76], v[12:13], v[86:87]
	buffer_load_dword v82, off, s[0:3], 0 offset:820
	v_add_f64 v[16:17], v[16:17], v[71:72]
	v_fma_f64 v[71:72], v[3:4], v[90:91], v[109:110]
	v_add_f64 v[9:10], v[9:10], v[67:68]
	ds_read_b128 v[1:4], v11 offset:1424
	s_waitcnt vmcnt(53) lgkmcnt(1)
	v_mul_f64 v[86:87], v[7:8], v[94:95]
	s_waitcnt vmcnt(52)
	v_fma_f64 v[79:80], v[12:13], v[88:89], -v[79:80]
	v_mul_f64 v[67:68], v[5:6], v[94:95]
	v_fma_f64 v[75:76], v[14:15], v[88:89], v[75:76]
	ds_read_b128 v[12:15], v11 offset:1440
	v_add_f64 v[16:17], v[16:17], v[83:84]
	v_add_f64 v[9:10], v[9:10], v[71:72]
	s_waitcnt vmcnt(51) lgkmcnt(1)
	v_mul_f64 v[83:84], v[3:4], v[96:97]
	v_mul_f64 v[71:72], v[1:2], v[96:97]
	s_waitcnt vmcnt(49)
	v_fma_f64 v[86:87], v[5:6], v[22:23], -v[86:87]
	v_fma_f64 v[22:23], v[7:8], v[22:23], v[67:68]
	v_add_f64 v[16:17], v[16:17], v[79:80]
	s_waitcnt vmcnt(45) lgkmcnt(0)
	v_mul_f64 v[79:80], v[12:13], v[20:21]
	v_add_f64 v[9:10], v[9:10], v[75:76]
	s_clause 0x3
	buffer_load_dword v67, off, s[0:3], 0 offset:352
	buffer_load_dword v68, off, s[0:3], 0 offset:356
	;; [unrolled: 1-line block ×4, first 2 shown]
	v_mul_f64 v[20:21], v[14:15], v[20:21]
	ds_read_b128 v[5:8], v11 offset:1456
	s_waitcnt vmcnt(48)
	v_fma_f64 v[83:84], v[1:2], v[98:99], -v[83:84]
	v_fma_f64 v[71:72], v[3:4], v[98:99], v[71:72]
	ds_read_b128 v[1:4], v11 offset:1472
	v_add_f64 v[16:17], v[16:17], v[86:87]
	v_add_f64 v[9:10], v[9:10], v[22:23]
	s_waitcnt vmcnt(47) lgkmcnt(1)
	v_mul_f64 v[86:87], v[7:8], v[100:101]
	s_waitcnt vmcnt(45)
	v_fma_f64 v[20:21], v[12:13], v[30:31], -v[20:21]
	v_mul_f64 v[22:23], v[5:6], v[100:101]
	v_fma_f64 v[30:31], v[14:15], v[30:31], v[79:80]
	ds_read_b128 v[12:15], v11 offset:1488
	v_add_f64 v[16:17], v[16:17], v[83:84]
	v_add_f64 v[9:10], v[9:10], v[71:72]
	s_waitcnt vmcnt(41) lgkmcnt(1)
	v_mul_f64 v[71:72], v[1:2], v[18:19]
	v_mul_f64 v[18:19], v[3:4], v[18:19]
	s_waitcnt vmcnt(40)
	v_fma_f64 v[79:80], v[5:6], v[105:106], -v[86:87]
	v_add_f64 v[16:17], v[16:17], v[20:21]
	v_fma_f64 v[20:21], v[7:8], v[105:106], v[22:23]
	v_add_f64 v[9:10], v[9:10], v[30:31]
	ds_read_b128 v[5:8], v11 offset:1504
	s_waitcnt vmcnt(39) lgkmcnt(1)
	v_mul_f64 v[30:31], v[14:15], v[92:93]
	v_mul_f64 v[22:23], v[12:13], v[92:93]
	s_waitcnt vmcnt(37)
	v_fma_f64 v[18:19], v[1:2], v[28:29], -v[18:19]
	v_fma_f64 v[28:29], v[3:4], v[28:29], v[71:72]
	ds_read_b128 v[1:4], v11 offset:1520
	v_add_f64 v[16:17], v[16:17], v[79:80]
	v_add_f64 v[9:10], v[9:10], v[20:21]
	s_waitcnt vmcnt(33) lgkmcnt(1)
	v_mul_f64 v[20:21], v[5:6], v[24:25]
	v_mul_f64 v[24:25], v[7:8], v[24:25]
	s_waitcnt vmcnt(32)
	v_fma_f64 v[30:31], v[12:13], v[107:108], -v[30:31]
	v_add_f64 v[16:17], v[16:17], v[18:19]
	v_fma_f64 v[18:19], v[14:15], v[107:108], v[22:23]
	v_add_f64 v[9:10], v[9:10], v[28:29]
	ds_read_b128 v[12:15], v11 offset:1536
	s_waitcnt vmcnt(31) lgkmcnt(1)
	v_mul_f64 v[28:29], v[3:4], v[57:58]
	v_mul_f64 v[22:23], v[1:2], v[57:58]
	s_waitcnt vmcnt(29)
	v_fma_f64 v[24:25], v[5:6], v[26:27], -v[24:25]
	v_fma_f64 v[20:21], v[7:8], v[26:27], v[20:21]
	ds_read_b128 v[5:8], v11 offset:1552
	v_add_f64 v[16:17], v[16:17], v[30:31]
	v_add_f64 v[9:10], v[9:10], v[18:19]
	s_waitcnt vmcnt(25) lgkmcnt(1)
	v_mul_f64 v[26:27], v[14:15], v[32:33]
	s_waitcnt vmcnt(24)
	v_fma_f64 v[28:29], v[1:2], v[102:103], -v[28:29]
	v_mul_f64 v[18:19], v[12:13], v[32:33]
	v_fma_f64 v[22:23], v[3:4], v[102:103], v[22:23]
	ds_read_b128 v[1:4], v11 offset:1568
	v_add_f64 v[16:17], v[16:17], v[24:25]
	v_add_f64 v[9:10], v[9:10], v[20:21]
	s_waitcnt vmcnt(23) lgkmcnt(1)
	v_mul_f64 v[24:25], v[7:8], v[61:62]
	v_mul_f64 v[20:21], v[5:6], v[61:62]
	s_waitcnt vmcnt(21)
	v_fma_f64 v[26:27], v[12:13], v[53:54], -v[26:27]
	v_fma_f64 v[18:19], v[14:15], v[53:54], v[18:19]
	ds_read_b128 v[12:15], v11 offset:1584
	v_add_f64 v[16:17], v[16:17], v[28:29]
	v_add_f64 v[9:10], v[9:10], v[22:23]
	s_waitcnt vmcnt(17) lgkmcnt(1)
	v_mul_f64 v[28:29], v[3:4], v[34:35]
	s_waitcnt vmcnt(16)
	v_fma_f64 v[24:25], v[5:6], v[65:66], -v[24:25]
	v_mul_f64 v[22:23], v[1:2], v[34:35]
	v_fma_f64 v[20:21], v[7:8], v[65:66], v[20:21]
	ds_read_b128 v[5:8], v11 offset:1600
	v_add_f64 v[16:17], v[16:17], v[26:27]
	v_add_f64 v[9:10], v[9:10], v[18:19]
	s_waitcnt vmcnt(15) lgkmcnt(1)
	v_mul_f64 v[26:27], v[14:15], v[69:70]
	v_mul_f64 v[18:19], v[12:13], v[69:70]
	s_waitcnt vmcnt(13)
	v_fma_f64 v[28:29], v[1:2], v[55:56], -v[28:29]
	v_fma_f64 v[22:23], v[3:4], v[55:56], v[22:23]
	ds_read_b128 v[1:4], v11 offset:1616
	v_add_f64 v[16:17], v[16:17], v[24:25]
	v_add_f64 v[9:10], v[9:10], v[20:21]
	s_waitcnt vmcnt(9) lgkmcnt(1)
	v_mul_f64 v[24:25], v[7:8], v[59:60]
	s_waitcnt vmcnt(8)
	v_fma_f64 v[12:13], v[12:13], v[73:74], -v[26:27]
	v_mul_f64 v[20:21], v[5:6], v[59:60]
	v_fma_f64 v[14:15], v[14:15], v[73:74], v[18:19]
	v_add_f64 v[16:17], v[16:17], v[28:29]
	v_add_f64 v[9:10], v[9:10], v[22:23]
	s_waitcnt vmcnt(7) lgkmcnt(0)
	v_mul_f64 v[22:23], v[3:4], v[77:78]
	v_mul_f64 v[18:19], v[1:2], v[77:78]
	s_waitcnt vmcnt(5)
	v_fma_f64 v[5:6], v[5:6], v[63:64], -v[24:25]
	v_fma_f64 v[7:8], v[7:8], v[63:64], v[20:21]
	v_add_f64 v[12:13], v[16:17], v[12:13]
	v_add_f64 v[9:10], v[9:10], v[14:15]
	s_waitcnt vmcnt(4)
	v_fma_f64 v[1:2], v[1:2], v[81:82], -v[22:23]
	v_fma_f64 v[3:4], v[3:4], v[81:82], v[18:19]
	v_add_f64 v[5:6], v[12:13], v[5:6]
	v_add_f64 v[7:8], v[9:10], v[7:8]
	;; [unrolled: 1-line block ×4, first 2 shown]
	s_waitcnt vmcnt(2)
	v_add_f64 v[1:2], v[67:68], -v[1:2]
	s_waitcnt vmcnt(0)
	v_add_f64 v[3:4], v[75:76], -v[3:4]
	buffer_store_dword v2, off, s[0:3], 0 offset:356
	buffer_store_dword v1, off, s[0:3], 0 offset:352
	;; [unrolled: 1-line block ×4, first 2 shown]
	v_cmpx_lt_u32_e32 20, v0
	s_cbranch_execz .LBB50_279
; %bb.278:
	v_mov_b32_e32 v4, s43
	s_clause 0x3
	buffer_load_dword v1, v4, s[0:3], 0 offen
	buffer_load_dword v2, v4, s[0:3], 0 offen offset:4
	buffer_load_dword v3, v4, s[0:3], 0 offen offset:8
	;; [unrolled: 1-line block ×3, first 2 shown]
	buffer_store_dword v11, off, s[0:3], 0 offset:336
	buffer_store_dword v11, off, s[0:3], 0 offset:340
	;; [unrolled: 1-line block ×4, first 2 shown]
	s_waitcnt vmcnt(0)
	ds_write_b128 v85, v[1:4]
.LBB50_279:
	s_or_b32 exec_lo, exec_lo, s4
	s_waitcnt lgkmcnt(0)
	s_waitcnt_vscnt null, 0x0
	s_barrier
	buffer_gl0_inv
	s_clause 0x37
	buffer_load_dword v9, off, s[0:3], 0 offset:360
	buffer_load_dword v10, off, s[0:3], 0 offset:364
	;; [unrolled: 1-line block ×56, first 2 shown]
	ds_read_b128 v[12:15], v11 offset:1152
	s_clause 0x2
	buffer_load_dword v87, off, s[0:3], 0 offset:588
	buffer_load_dword v91, off, s[0:3], 0 offset:564
	;; [unrolled: 1-line block ×3, first 2 shown]
	ds_read_b128 v[16:19], v11 offset:1168
	s_clause 0x4
	buffer_load_dword v95, off, s[0:3], 0 offset:604
	buffer_load_dword v96, off, s[0:3], 0 offset:616
	;; [unrolled: 1-line block ×5, first 2 shown]
	ds_read_b128 v[20:23], v11 offset:1184
	s_clause 0x2
	buffer_load_dword v97, off, s[0:3], 0 offset:620
	buffer_load_dword v102, off, s[0:3], 0 offset:596
	buffer_load_dword v101, off, s[0:3], 0 offset:592
	s_mov_b32 s4, exec_lo
	s_waitcnt vmcnt(62) lgkmcnt(2)
	v_mul_f64 v[92:93], v[14:15], v[9:10]
	v_mul_f64 v[9:10], v[12:13], v[9:10]
	s_waitcnt lgkmcnt(1)
	v_mul_f64 v[99:100], v[18:19], v[5:6]
	s_waitcnt vmcnt(59) lgkmcnt(0)
	v_mul_f64 v[103:104], v[22:23], v[3:4]
	v_fma_f64 v[12:13], v[12:13], v[7:8], -v[92:93]
	v_mul_f64 v[92:93], v[16:17], v[5:6]
	v_fma_f64 v[9:10], v[14:15], v[7:8], v[9:10]
	s_waitcnt vmcnt(57)
	v_fma_f64 v[16:17], v[16:17], v[1:2], -v[99:100]
	ds_read_b128 v[5:8], v11 offset:1200
	v_mul_f64 v[14:15], v[20:21], v[3:4]
	s_waitcnt vmcnt(51)
	v_fma_f64 v[20:21], v[20:21], v[30:31], -v[103:104]
	v_add_f64 v[12:13], v[12:13], 0
	v_fma_f64 v[18:19], v[18:19], v[1:2], v[92:93]
	v_add_f64 v[9:10], v[9:10], 0
	s_clause 0x4
	buffer_load_dword v93, off, s[0:3], 0 offset:636
	buffer_load_dword v105, off, s[0:3], 0 offset:648
	;; [unrolled: 1-line block ×5, first 2 shown]
	s_waitcnt lgkmcnt(0)
	v_mul_f64 v[108:109], v[5:6], v[24:25]
	v_mul_f64 v[24:25], v[7:8], v[24:25]
	ds_read_b128 v[1:4], v11 offset:1216
	v_fma_f64 v[22:23], v[22:23], v[30:31], v[14:15]
	v_add_f64 v[16:17], v[12:13], v[16:17]
	v_add_f64 v[9:10], v[9:10], v[18:19]
	s_clause 0x2
	buffer_load_dword v106, off, s[0:3], 0 offset:652
	buffer_load_dword v19, off, s[0:3], 0 offset:628
	;; [unrolled: 1-line block ×3, first 2 shown]
	s_waitcnt vmcnt(58) lgkmcnt(0)
	v_mul_f64 v[30:31], v[1:2], v[26:27]
	v_mul_f64 v[26:27], v[3:4], v[26:27]
	s_waitcnt vmcnt(56)
	v_fma_f64 v[24:25], v[5:6], v[32:33], -v[24:25]
	ds_read_b128 v[12:15], v11 offset:1232
	v_add_f64 v[16:17], v[16:17], v[20:21]
	v_fma_f64 v[20:21], v[7:8], v[32:33], v[108:109]
	v_add_f64 v[9:10], v[9:10], v[22:23]
	s_clause 0x4
	buffer_load_dword v23, off, s[0:3], 0 offset:668
	buffer_load_dword v32, off, s[0:3], 0 offset:680
	;; [unrolled: 1-line block ×5, first 2 shown]
	ds_read_b128 v[5:8], v11 offset:1248
	s_waitcnt vmcnt(57) lgkmcnt(1)
	v_mul_f64 v[109:110], v[12:13], v[34:35]
	v_mul_f64 v[34:35], v[14:15], v[34:35]
	s_waitcnt vmcnt(56)
	v_fma_f64 v[26:27], v[1:2], v[28:29], -v[26:27]
	v_add_f64 v[16:17], v[16:17], v[24:25]
	v_fma_f64 v[24:25], v[3:4], v[28:29], v[30:31]
	v_add_f64 v[9:10], v[9:10], v[20:21]
	s_clause 0x2
	buffer_load_dword v33, off, s[0:3], 0 offset:684
	buffer_load_dword v21, off, s[0:3], 0 offset:660
	;; [unrolled: 1-line block ×3, first 2 shown]
	s_waitcnt vmcnt(58) lgkmcnt(0)
	v_mul_f64 v[30:31], v[7:8], v[53:54]
	ds_read_b128 v[1:4], v11 offset:1264
	s_waitcnt vmcnt(56)
	v_fma_f64 v[34:35], v[12:13], v[57:58], -v[34:35]
	v_mul_f64 v[28:29], v[5:6], v[53:54]
	v_add_f64 v[16:17], v[16:17], v[26:27]
	v_fma_f64 v[26:27], v[14:15], v[57:58], v[109:110]
	v_add_f64 v[9:10], v[9:10], v[24:25]
	s_clause 0x4
	buffer_load_dword v25, off, s[0:3], 0 offset:700
	buffer_load_dword v53, off, s[0:3], 0 offset:712
	buffer_load_dword v57, off, s[0:3], 0 offset:704
	buffer_load_dword v24, off, s[0:3], 0 offset:696
	buffer_load_dword v104, off, s[0:3], 0 offset:676
	s_waitcnt vmcnt(57) lgkmcnt(0)
	v_mul_f64 v[109:110], v[1:2], v[59:60]
	v_mul_f64 v[58:59], v[3:4], v[59:60]
	s_waitcnt vmcnt(56)
	v_fma_f64 v[30:31], v[5:6], v[55:56], -v[30:31]
	ds_read_b128 v[12:15], v11 offset:1280
	v_fma_f64 v[28:29], v[7:8], v[55:56], v[28:29]
	v_add_f64 v[16:17], v[16:17], v[34:35]
	v_add_f64 v[9:10], v[9:10], v[26:27]
	s_clause 0x2
	buffer_load_dword v54, off, s[0:3], 0 offset:716
	buffer_load_dword v27, off, s[0:3], 0 offset:692
	buffer_load_dword v26, off, s[0:3], 0 offset:688
	ds_read_b128 v[5:8], v11 offset:1296
	s_waitcnt vmcnt(58) lgkmcnt(1)
	v_mul_f64 v[55:56], v[14:15], v[61:62]
	s_waitcnt vmcnt(56)
	v_fma_f64 v[59:60], v[1:2], v[65:66], -v[58:59]
	v_mul_f64 v[34:35], v[12:13], v[61:62]
	v_add_f64 v[16:17], v[16:17], v[30:31]
	v_fma_f64 v[30:31], v[3:4], v[65:66], v[109:110]
	v_add_f64 v[9:10], v[9:10], v[28:29]
	s_clause 0x4
	buffer_load_dword v29, off, s[0:3], 0 offset:732
	buffer_load_dword v61, off, s[0:3], 0 offset:744
	buffer_load_dword v65, off, s[0:3], 0 offset:736
	buffer_load_dword v28, off, s[0:3], 0 offset:728
	buffer_load_dword v58, off, s[0:3], 0 offset:708
	s_waitcnt vmcnt(57) lgkmcnt(0)
	v_mul_f64 v[109:110], v[5:6], v[67:68]
	v_mul_f64 v[66:67], v[7:8], v[67:68]
	s_waitcnt vmcnt(56)
	v_fma_f64 v[55:56], v[12:13], v[63:64], -v[55:56]
	ds_read_b128 v[1:4], v11 offset:1312
	v_fma_f64 v[34:35], v[14:15], v[63:64], v[34:35]
	v_add_f64 v[16:17], v[16:17], v[59:60]
	v_add_f64 v[9:10], v[9:10], v[30:31]
	s_clause 0x2
	buffer_load_dword v62, off, s[0:3], 0 offset:748
	buffer_load_dword v31, off, s[0:3], 0 offset:724
	buffer_load_dword v30, off, s[0:3], 0 offset:720
	ds_read_b128 v[12:15], v11 offset:1328
	s_waitcnt vmcnt(58) lgkmcnt(1)
	v_mul_f64 v[63:64], v[3:4], v[69:70]
	;; [unrolled: 28-line block ×4, first 2 shown]
	s_waitcnt vmcnt(56)
	v_fma_f64 v[83:84], v[1:2], v[90:91], -v[82:83]
	v_mul_f64 v[75:76], v[12:13], v[86:87]
	v_add_f64 v[16:17], v[16:17], v[71:72]
	v_fma_f64 v[71:72], v[3:4], v[90:91], v[109:110]
	v_add_f64 v[9:10], v[9:10], v[67:68]
	s_clause 0x2
	buffer_load_dword v68, off, s[0:3], 0 offset:828
	buffer_load_dword v67, off, s[0:3], 0 offset:824
	;; [unrolled: 1-line block ×3, first 2 shown]
	s_waitcnt vmcnt(55) lgkmcnt(0)
	v_mul_f64 v[90:91], v[7:8], v[94:95]
	s_waitcnt vmcnt(54)
	v_fma_f64 v[79:80], v[12:13], v[88:89], -v[79:80]
	ds_read_b128 v[1:4], v11 offset:1408
	v_mul_f64 v[86:87], v[5:6], v[94:95]
	v_fma_f64 v[75:76], v[14:15], v[88:89], v[75:76]
	v_add_f64 v[16:17], v[16:17], v[83:84]
	v_add_f64 v[9:10], v[9:10], v[71:72]
	s_clause 0x1
	buffer_load_dword v72, off, s[0:3], 0 offset:820
	buffer_load_dword v71, off, s[0:3], 0 offset:816
	s_waitcnt vmcnt(55) lgkmcnt(0)
	v_mul_f64 v[88:89], v[3:4], v[96:97]
	s_waitcnt vmcnt(53)
	v_fma_f64 v[90:91], v[5:6], v[101:102], -v[90:91]
	ds_read_b128 v[12:15], v11 offset:1424
	v_mul_f64 v[83:84], v[1:2], v[96:97]
	v_add_f64 v[16:17], v[16:17], v[79:80]
	v_fma_f64 v[79:80], v[7:8], v[101:102], v[86:87]
	v_add_f64 v[9:10], v[9:10], v[75:76]
	ds_read_b128 v[5:8], v11 offset:1440
	s_waitcnt vmcnt(49) lgkmcnt(1)
	v_mul_f64 v[86:87], v[14:15], v[92:93]
	s_waitcnt vmcnt(48)
	v_fma_f64 v[88:89], v[1:2], v[98:99], -v[88:89]
	v_mul_f64 v[75:76], v[12:13], v[92:93]
	v_fma_f64 v[83:84], v[3:4], v[98:99], v[83:84]
	v_add_f64 v[16:17], v[16:17], v[90:91]
	v_add_f64 v[9:10], v[9:10], v[79:80]
	s_clause 0x3
	buffer_load_dword v79, off, s[0:3], 0 offset:336
	buffer_load_dword v80, off, s[0:3], 0 offset:340
	;; [unrolled: 1-line block ×4, first 2 shown]
	ds_read_b128 v[1:4], v11 offset:1456
	s_waitcnt vmcnt(51) lgkmcnt(1)
	v_mul_f64 v[94:95], v[7:8], v[105:106]
	v_mul_f64 v[92:93], v[5:6], v[105:106]
	s_waitcnt vmcnt(49)
	v_fma_f64 v[86:87], v[12:13], v[18:19], -v[86:87]
	v_fma_f64 v[18:19], v[14:15], v[18:19], v[75:76]
	ds_read_b128 v[12:15], v11 offset:1472
	v_add_f64 v[16:17], v[16:17], v[88:89]
	v_add_f64 v[9:10], v[9:10], v[83:84]
	s_waitcnt vmcnt(45) lgkmcnt(1)
	v_mul_f64 v[75:76], v[1:2], v[22:23]
	v_mul_f64 v[22:23], v[3:4], v[22:23]
	s_waitcnt vmcnt(44)
	v_fma_f64 v[83:84], v[5:6], v[107:108], -v[94:95]
	v_add_f64 v[16:17], v[16:17], v[86:87]
	v_fma_f64 v[86:87], v[7:8], v[107:108], v[92:93]
	v_add_f64 v[9:10], v[9:10], v[18:19]
	ds_read_b128 v[5:8], v11 offset:1488
	s_waitcnt vmcnt(43) lgkmcnt(1)
	v_mul_f64 v[18:19], v[12:13], v[32:33]
	v_mul_f64 v[32:33], v[14:15], v[32:33]
	s_waitcnt vmcnt(41)
	v_fma_f64 v[22:23], v[1:2], v[20:21], -v[22:23]
	v_fma_f64 v[20:21], v[3:4], v[20:21], v[75:76]
	ds_read_b128 v[1:4], v11 offset:1504
	v_add_f64 v[16:17], v[16:17], v[83:84]
	v_add_f64 v[9:10], v[9:10], v[86:87]
	s_waitcnt vmcnt(37) lgkmcnt(1)
	v_mul_f64 v[75:76], v[5:6], v[24:25]
	v_mul_f64 v[24:25], v[7:8], v[24:25]
	s_waitcnt vmcnt(36)
	v_fma_f64 v[32:33], v[12:13], v[103:104], -v[32:33]
	v_fma_f64 v[18:19], v[14:15], v[103:104], v[18:19]
	ds_read_b128 v[12:15], v11 offset:1520
	v_add_f64 v[16:17], v[16:17], v[22:23]
	v_add_f64 v[9:10], v[9:10], v[20:21]
	;; [unrolled: 9-line block ×5, first 2 shown]
	s_waitcnt vmcnt(21) lgkmcnt(1)
	v_mul_f64 v[22:23], v[3:4], v[34:35]
	s_waitcnt vmcnt(20)
	v_fma_f64 v[26:27], v[5:6], v[65:66], -v[26:27]
	v_mul_f64 v[20:21], v[1:2], v[34:35]
	v_fma_f64 v[24:25], v[7:8], v[65:66], v[24:25]
	ds_read_b128 v[5:8], v11 offset:1584
	v_add_f64 v[16:17], v[16:17], v[28:29]
	v_add_f64 v[9:10], v[9:10], v[18:19]
	s_waitcnt vmcnt(19) lgkmcnt(1)
	v_mul_f64 v[28:29], v[14:15], v[69:70]
	v_mul_f64 v[18:19], v[12:13], v[69:70]
	s_waitcnt vmcnt(17)
	v_fma_f64 v[22:23], v[1:2], v[55:56], -v[22:23]
	v_fma_f64 v[20:21], v[3:4], v[55:56], v[20:21]
	ds_read_b128 v[1:4], v11 offset:1600
	v_add_f64 v[16:17], v[16:17], v[26:27]
	v_add_f64 v[9:10], v[9:10], v[24:25]
	s_waitcnt vmcnt(13) lgkmcnt(1)
	v_mul_f64 v[26:27], v[7:8], v[59:60]
	s_waitcnt vmcnt(12)
	v_fma_f64 v[28:29], v[12:13], v[73:74], -v[28:29]
	v_mul_f64 v[24:25], v[5:6], v[59:60]
	v_fma_f64 v[13:14], v[14:15], v[73:74], v[18:19]
	v_add_f64 v[16:17], v[16:17], v[22:23]
	v_add_f64 v[18:19], v[9:10], v[20:21]
	ds_read_b128 v[9:12], v11 offset:1616
	s_waitcnt vmcnt(11) lgkmcnt(1)
	v_mul_f64 v[22:23], v[3:4], v[77:78]
	v_mul_f64 v[20:21], v[1:2], v[77:78]
	s_waitcnt vmcnt(9)
	v_fma_f64 v[5:6], v[5:6], v[63:64], -v[26:27]
	v_fma_f64 v[7:8], v[7:8], v[63:64], v[24:25]
	v_add_f64 v[15:16], v[16:17], v[28:29]
	v_add_f64 v[13:14], v[18:19], v[13:14]
	s_waitcnt vmcnt(7) lgkmcnt(0)
	v_mul_f64 v[24:25], v[11:12], v[67:68]
	s_waitcnt vmcnt(6)
	v_fma_f64 v[1:2], v[1:2], v[81:82], -v[22:23]
	v_mul_f64 v[17:18], v[9:10], v[67:68]
	v_fma_f64 v[3:4], v[3:4], v[81:82], v[20:21]
	v_add_f64 v[5:6], v[15:16], v[5:6]
	v_add_f64 v[7:8], v[13:14], v[7:8]
	s_waitcnt vmcnt(4)
	v_fma_f64 v[9:10], v[9:10], v[71:72], -v[24:25]
	v_add_f64 v[1:2], v[5:6], v[1:2]
	v_fma_f64 v[5:6], v[11:12], v[71:72], v[17:18]
	v_add_f64 v[3:4], v[7:8], v[3:4]
	v_add_f64 v[1:2], v[1:2], v[9:10]
	;; [unrolled: 1-line block ×3, first 2 shown]
	s_waitcnt vmcnt(2)
	v_add_f64 v[1:2], v[79:80], -v[1:2]
	s_waitcnt vmcnt(0)
	v_add_f64 v[3:4], v[90:91], -v[3:4]
	buffer_store_dword v2, off, s[0:3], 0 offset:340
	buffer_store_dword v1, off, s[0:3], 0 offset:336
	;; [unrolled: 1-line block ×4, first 2 shown]
	v_cmpx_lt_u32_e32 19, v0
	s_cbranch_execz .LBB50_281
; %bb.280:
	v_mov_b32_e32 v4, s44
	v_mov_b32_e32 v5, 0
	s_clause 0x3
	buffer_load_dword v1, v4, s[0:3], 0 offen
	buffer_load_dword v2, v4, s[0:3], 0 offen offset:4
	buffer_load_dword v3, v4, s[0:3], 0 offen offset:8
	;; [unrolled: 1-line block ×3, first 2 shown]
	buffer_store_dword v5, off, s[0:3], 0 offset:320
	buffer_store_dword v5, off, s[0:3], 0 offset:324
	;; [unrolled: 1-line block ×4, first 2 shown]
	s_waitcnt vmcnt(0)
	ds_write_b128 v85, v[1:4]
.LBB50_281:
	s_or_b32 exec_lo, exec_lo, s4
	s_waitcnt lgkmcnt(0)
	s_waitcnt_vscnt null, 0x0
	s_barrier
	buffer_gl0_inv
	s_clause 0x37
	buffer_load_dword v9, off, s[0:3], 0 offset:344
	buffer_load_dword v10, off, s[0:3], 0 offset:348
	;; [unrolled: 1-line block ×56, first 2 shown]
	v_mov_b32_e32 v29, 0
	s_mov_b32 s4, exec_lo
	ds_read_b128 v[17:20], v29 offset:1136
	s_clause 0x2
	buffer_load_dword v87, off, s[0:3], 0 offset:572
	buffer_load_dword v91, off, s[0:3], 0 offset:548
	buffer_load_dword v90, off, s[0:3], 0 offset:544
	ds_read_b128 v[21:24], v29 offset:1152
	s_clause 0x4
	buffer_load_dword v95, off, s[0:3], 0 offset:588
	buffer_load_dword v96, off, s[0:3], 0 offset:600
	;; [unrolled: 1-line block ×5, first 2 shown]
	ds_read_b128 v[25:28], v29 offset:1168
	s_clause 0x2
	buffer_load_dword v97, off, s[0:3], 0 offset:604
	buffer_load_dword v102, off, s[0:3], 0 offset:580
	;; [unrolled: 1-line block ×3, first 2 shown]
	s_waitcnt vmcnt(62) lgkmcnt(2)
	v_mul_f64 v[92:93], v[19:20], v[9:10]
	v_mul_f64 v[9:10], v[17:18], v[9:10]
	s_waitcnt lgkmcnt(1)
	v_mul_f64 v[99:100], v[23:24], v[5:6]
	s_waitcnt vmcnt(59) lgkmcnt(0)
	v_mul_f64 v[103:104], v[27:28], v[3:4]
	v_fma_f64 v[17:18], v[17:18], v[7:8], -v[92:93]
	v_mul_f64 v[92:93], v[21:22], v[5:6]
	v_fma_f64 v[9:10], v[19:20], v[7:8], v[9:10]
	s_waitcnt vmcnt(57)
	v_fma_f64 v[21:22], v[21:22], v[1:2], -v[99:100]
	ds_read_b128 v[5:8], v29 offset:1184
	v_mul_f64 v[19:20], v[25:26], v[3:4]
	s_waitcnt vmcnt(51)
	v_fma_f64 v[25:26], v[25:26], v[32:33], -v[103:104]
	v_add_f64 v[17:18], v[17:18], 0
	v_fma_f64 v[23:24], v[23:24], v[1:2], v[92:93]
	v_add_f64 v[9:10], v[9:10], 0
	s_clause 0x4
	buffer_load_dword v93, off, s[0:3], 0 offset:620
	buffer_load_dword v105, off, s[0:3], 0 offset:632
	;; [unrolled: 1-line block ×5, first 2 shown]
	s_waitcnt lgkmcnt(0)
	v_mul_f64 v[108:109], v[5:6], v[13:14]
	v_mul_f64 v[13:14], v[7:8], v[13:14]
	ds_read_b128 v[1:4], v29 offset:1200
	v_fma_f64 v[27:28], v[27:28], v[32:33], v[19:20]
	v_add_f64 v[21:22], v[17:18], v[21:22]
	v_add_f64 v[9:10], v[9:10], v[23:24]
	s_clause 0x2
	buffer_load_dword v106, off, s[0:3], 0 offset:636
	buffer_load_dword v24, off, s[0:3], 0 offset:612
	buffer_load_dword v23, off, s[0:3], 0 offset:608
	s_waitcnt vmcnt(58) lgkmcnt(0)
	v_mul_f64 v[32:33], v[1:2], v[30:31]
	v_mul_f64 v[30:31], v[3:4], v[30:31]
	s_waitcnt vmcnt(56)
	v_fma_f64 v[13:14], v[5:6], v[34:35], -v[13:14]
	ds_read_b128 v[17:20], v29 offset:1216
	v_add_f64 v[21:22], v[21:22], v[25:26]
	v_fma_f64 v[25:26], v[7:8], v[34:35], v[108:109]
	v_add_f64 v[9:10], v[9:10], v[27:28]
	s_clause 0x4
	buffer_load_dword v28, off, s[0:3], 0 offset:652
	buffer_load_dword v34, off, s[0:3], 0 offset:664
	buffer_load_dword v103, off, s[0:3], 0 offset:656
	buffer_load_dword v27, off, s[0:3], 0 offset:648
	buffer_load_dword v108, off, s[0:3], 0 offset:628
	ds_read_b128 v[5:8], v29 offset:1232
	s_waitcnt vmcnt(57) lgkmcnt(1)
	v_mul_f64 v[109:110], v[17:18], v[53:54]
	v_mul_f64 v[53:54], v[19:20], v[53:54]
	s_waitcnt vmcnt(56)
	v_fma_f64 v[30:31], v[1:2], v[11:12], -v[30:31]
	v_fma_f64 v[11:12], v[3:4], v[11:12], v[32:33]
	v_add_f64 v[13:14], v[21:22], v[13:14]
	s_clause 0x2
	buffer_load_dword v35, off, s[0:3], 0 offset:668
	buffer_load_dword v22, off, s[0:3], 0 offset:644
	;; [unrolled: 1-line block ×3, first 2 shown]
	v_add_f64 v[9:10], v[9:10], v[25:26]
	s_waitcnt vmcnt(58) lgkmcnt(0)
	v_mul_f64 v[32:33], v[7:8], v[55:56]
	ds_read_b128 v[1:4], v29 offset:1248
	v_mul_f64 v[25:26], v[5:6], v[55:56]
	s_waitcnt vmcnt(56)
	v_fma_f64 v[17:18], v[17:18], v[57:58], -v[53:54]
	v_fma_f64 v[19:20], v[19:20], v[57:58], v[109:110]
	s_clause 0x4
	buffer_load_dword v54, off, s[0:3], 0 offset:684
	buffer_load_dword v55, off, s[0:3], 0 offset:696
	;; [unrolled: 1-line block ×5, first 2 shown]
	v_add_f64 v[13:14], v[13:14], v[30:31]
	v_add_f64 v[30:31], v[9:10], v[11:12]
	s_waitcnt vmcnt(57) lgkmcnt(0)
	v_mul_f64 v[109:110], v[1:2], v[59:60]
	v_mul_f64 v[58:59], v[3:4], v[59:60]
	s_waitcnt vmcnt(56)
	v_fma_f64 v[32:33], v[5:6], v[15:16], -v[32:33]
	ds_read_b128 v[9:12], v29 offset:1264
	v_fma_f64 v[15:16], v[7:8], v[15:16], v[25:26]
	v_add_f64 v[13:14], v[13:14], v[17:18]
	v_add_f64 v[17:18], v[30:31], v[19:20]
	s_clause 0x2
	buffer_load_dword v56, off, s[0:3], 0 offset:700
	buffer_load_dword v20, off, s[0:3], 0 offset:676
	buffer_load_dword v19, off, s[0:3], 0 offset:672
	s_waitcnt vmcnt(58) lgkmcnt(0)
	v_mul_f64 v[30:31], v[11:12], v[61:62]
	s_waitcnt vmcnt(56)
	v_fma_f64 v[59:60], v[1:2], v[65:66], -v[58:59]
	ds_read_b128 v[5:8], v29 offset:1280
	v_mul_f64 v[25:26], v[9:10], v[61:62]
	v_add_f64 v[13:14], v[13:14], v[32:33]
	v_fma_f64 v[32:33], v[3:4], v[65:66], v[109:110]
	v_add_f64 v[15:16], v[17:18], v[15:16]
	s_clause 0x4
	buffer_load_dword v18, off, s[0:3], 0 offset:716
	buffer_load_dword v61, off, s[0:3], 0 offset:728
	buffer_load_dword v65, off, s[0:3], 0 offset:720
	buffer_load_dword v17, off, s[0:3], 0 offset:712
	buffer_load_dword v58, off, s[0:3], 0 offset:692
	s_waitcnt vmcnt(57) lgkmcnt(0)
	v_mul_f64 v[109:110], v[5:6], v[67:68]
	v_mul_f64 v[66:67], v[7:8], v[67:68]
	s_waitcnt vmcnt(56)
	v_fma_f64 v[30:31], v[9:10], v[63:64], -v[30:31]
	ds_read_b128 v[1:4], v29 offset:1296
	v_fma_f64 v[25:26], v[11:12], v[63:64], v[25:26]
	v_add_f64 v[13:14], v[13:14], v[59:60]
	v_add_f64 v[15:16], v[15:16], v[32:33]
	s_clause 0x2
	buffer_load_dword v62, off, s[0:3], 0 offset:732
	buffer_load_dword v33, off, s[0:3], 0 offset:708
	buffer_load_dword v32, off, s[0:3], 0 offset:704
	ds_read_b128 v[9:12], v29 offset:1312
	s_waitcnt vmcnt(58) lgkmcnt(1)
	v_mul_f64 v[63:64], v[3:4], v[69:70]
	s_waitcnt vmcnt(56)
	v_fma_f64 v[67:68], v[5:6], v[73:74], -v[66:67]
	v_mul_f64 v[59:60], v[1:2], v[69:70]
	v_add_f64 v[13:14], v[13:14], v[30:31]
	v_fma_f64 v[30:31], v[7:8], v[73:74], v[109:110]
	v_add_f64 v[15:16], v[15:16], v[25:26]
	s_clause 0x4
	buffer_load_dword v26, off, s[0:3], 0 offset:748
	buffer_load_dword v69, off, s[0:3], 0 offset:760
	buffer_load_dword v73, off, s[0:3], 0 offset:752
	buffer_load_dword v25, off, s[0:3], 0 offset:744
	buffer_load_dword v66, off, s[0:3], 0 offset:724
	s_waitcnt vmcnt(57) lgkmcnt(0)
	v_mul_f64 v[109:110], v[9:10], v[75:76]
	v_mul_f64 v[74:75], v[11:12], v[75:76]
	s_waitcnt vmcnt(56)
	v_fma_f64 v[63:64], v[1:2], v[71:72], -v[63:64]
	ds_read_b128 v[5:8], v29 offset:1328
	v_fma_f64 v[59:60], v[3:4], v[71:72], v[59:60]
	v_add_f64 v[13:14], v[13:14], v[67:68]
	v_add_f64 v[15:16], v[15:16], v[30:31]
	s_clause 0x2
	buffer_load_dword v70, off, s[0:3], 0 offset:764
	buffer_load_dword v31, off, s[0:3], 0 offset:740
	buffer_load_dword v30, off, s[0:3], 0 offset:736
	ds_read_b128 v[1:4], v29 offset:1344
	s_waitcnt vmcnt(58) lgkmcnt(1)
	v_mul_f64 v[71:72], v[7:8], v[77:78]
	s_waitcnt vmcnt(56)
	v_fma_f64 v[75:76], v[9:10], v[81:82], -v[74:75]
	;; [unrolled: 28-line block ×4, first 2 shown]
	v_mul_f64 v[83:84], v[1:2], v[96:97]
	buffer_load_dword v91, off, s[0:3], 0 offset:820
	v_add_f64 v[13:14], v[13:14], v[79:80]
	v_fma_f64 v[79:80], v[7:8], v[101:102], v[109:110]
	v_add_f64 v[15:16], v[15:16], v[75:76]
	ds_read_b128 v[5:8], v29 offset:1424
	s_waitcnt vmcnt(53) lgkmcnt(1)
	v_mul_f64 v[75:76], v[9:10], v[92:93]
	v_mul_f64 v[92:93], v[11:12], v[92:93]
	s_waitcnt vmcnt(52)
	v_fma_f64 v[88:89], v[1:2], v[98:99], -v[88:89]
	v_fma_f64 v[83:84], v[3:4], v[98:99], v[83:84]
	ds_read_b128 v[1:4], v29 offset:1440
	v_add_f64 v[13:14], v[13:14], v[94:95]
	v_add_f64 v[15:16], v[15:16], v[79:80]
	s_waitcnt vmcnt(51) lgkmcnt(1)
	v_mul_f64 v[94:95], v[7:8], v[105:106]
	v_mul_f64 v[79:80], v[5:6], v[105:106]
	s_waitcnt vmcnt(49)
	v_fma_f64 v[92:93], v[9:10], v[23:24], -v[92:93]
	v_fma_f64 v[23:24], v[11:12], v[23:24], v[75:76]
	v_add_f64 v[13:14], v[13:14], v[88:89]
	v_add_f64 v[15:16], v[15:16], v[83:84]
	s_clause 0x3
	buffer_load_dword v75, off, s[0:3], 0 offset:320
	buffer_load_dword v76, off, s[0:3], 0 offset:324
	;; [unrolled: 1-line block ×4, first 2 shown]
	ds_read_b128 v[9:12], v29 offset:1456
	s_waitcnt vmcnt(49) lgkmcnt(1)
	v_mul_f64 v[88:89], v[1:2], v[27:28]
	v_mul_f64 v[27:28], v[3:4], v[27:28]
	s_waitcnt vmcnt(48)
	v_fma_f64 v[94:95], v[5:6], v[107:108], -v[94:95]
	v_fma_f64 v[79:80], v[7:8], v[107:108], v[79:80]
	ds_read_b128 v[5:8], v29 offset:1472
	v_add_f64 v[13:14], v[13:14], v[92:93]
	v_add_f64 v[15:16], v[15:16], v[23:24]
	s_waitcnt vmcnt(47) lgkmcnt(1)
	v_mul_f64 v[23:24], v[9:10], v[34:35]
	v_mul_f64 v[34:35], v[11:12], v[34:35]
	s_waitcnt vmcnt(45)
	v_fma_f64 v[27:28], v[1:2], v[21:22], -v[27:28]
	v_fma_f64 v[21:22], v[3:4], v[21:22], v[88:89]
	ds_read_b128 v[1:4], v29 offset:1488
	v_add_f64 v[13:14], v[13:14], v[94:95]
	v_add_f64 v[15:16], v[15:16], v[79:80]
	s_waitcnt vmcnt(41) lgkmcnt(1)
	v_mul_f64 v[79:80], v[5:6], v[53:54]
	v_mul_f64 v[53:54], v[7:8], v[53:54]
	s_waitcnt vmcnt(40)
	v_fma_f64 v[23:24], v[11:12], v[103:104], v[23:24]
	v_fma_f64 v[34:35], v[9:10], v[103:104], -v[34:35]
	ds_read_b128 v[9:12], v29 offset:1504
	v_add_f64 v[13:14], v[13:14], v[27:28]
	v_add_f64 v[15:16], v[15:16], v[21:22]
	s_waitcnt vmcnt(39) lgkmcnt(1)
	v_mul_f64 v[27:28], v[3:4], v[55:56]
	v_mul_f64 v[21:22], v[1:2], v[55:56]
	s_waitcnt vmcnt(37)
	v_fma_f64 v[53:54], v[5:6], v[19:20], -v[53:54]
	v_fma_f64 v[19:20], v[7:8], v[19:20], v[79:80]
	ds_read_b128 v[5:8], v29 offset:1520
	v_add_f64 v[13:14], v[13:14], v[34:35]
	v_add_f64 v[15:16], v[15:16], v[23:24]
	s_waitcnt vmcnt(33) lgkmcnt(1)
	v_mul_f64 v[23:24], v[9:10], v[17:18]
	v_mul_f64 v[17:18], v[11:12], v[17:18]
	s_waitcnt vmcnt(32)
	v_fma_f64 v[27:28], v[1:2], v[57:58], -v[27:28]
	v_fma_f64 v[21:22], v[3:4], v[57:58], v[21:22]
	;; [unrolled: 9-line block ×3, first 2 shown]
	ds_read_b128 v[9:12], v29 offset:1552
	v_add_f64 v[13:14], v[13:14], v[27:28]
	v_add_f64 v[15:16], v[15:16], v[21:22]
	s_waitcnt vmcnt(25) lgkmcnt(1)
	v_mul_f64 v[21:22], v[1:2], v[25:26]
	v_mul_f64 v[25:26], v[3:4], v[25:26]
	s_waitcnt vmcnt(24)
	v_fma_f64 v[27:28], v[5:6], v[65:66], -v[34:35]
	v_add_f64 v[13:14], v[13:14], v[17:18]
	v_fma_f64 v[17:18], v[7:8], v[65:66], v[19:20]
	v_add_f64 v[15:16], v[15:16], v[23:24]
	ds_read_b128 v[5:8], v29 offset:1568
	s_waitcnt vmcnt(23) lgkmcnt(1)
	v_mul_f64 v[23:24], v[11:12], v[69:70]
	v_mul_f64 v[19:20], v[9:10], v[69:70]
	s_waitcnt vmcnt(21)
	v_fma_f64 v[25:26], v[1:2], v[30:31], -v[25:26]
	v_fma_f64 v[21:22], v[3:4], v[30:31], v[21:22]
	ds_read_b128 v[1:4], v29 offset:1584
	v_add_f64 v[13:14], v[13:14], v[27:28]
	v_add_f64 v[15:16], v[15:16], v[17:18]
	s_waitcnt vmcnt(17) lgkmcnt(1)
	v_mul_f64 v[27:28], v[7:8], v[59:60]
	s_waitcnt vmcnt(16)
	v_fma_f64 v[23:24], v[9:10], v[73:74], -v[23:24]
	v_mul_f64 v[17:18], v[5:6], v[59:60]
	v_fma_f64 v[19:20], v[11:12], v[73:74], v[19:20]
	ds_read_b128 v[9:12], v29 offset:1600
	v_add_f64 v[13:14], v[13:14], v[25:26]
	v_add_f64 v[15:16], v[15:16], v[21:22]
	s_waitcnt vmcnt(15) lgkmcnt(1)
	v_mul_f64 v[25:26], v[3:4], v[77:78]
	v_mul_f64 v[21:22], v[1:2], v[77:78]
	s_waitcnt vmcnt(13)
	v_fma_f64 v[27:28], v[5:6], v[63:64], -v[27:28]
	v_fma_f64 v[17:18], v[7:8], v[63:64], v[17:18]
	ds_read_b128 v[5:8], v29 offset:1616
	v_add_f64 v[13:14], v[13:14], v[23:24]
	v_add_f64 v[15:16], v[15:16], v[19:20]
	s_waitcnt vmcnt(9) lgkmcnt(1)
	v_mul_f64 v[23:24], v[11:12], v[67:68]
	s_waitcnt vmcnt(8)
	v_fma_f64 v[1:2], v[1:2], v[81:82], -v[25:26]
	v_mul_f64 v[19:20], v[9:10], v[67:68]
	v_fma_f64 v[3:4], v[3:4], v[81:82], v[21:22]
	v_add_f64 v[13:14], v[13:14], v[27:28]
	v_add_f64 v[15:16], v[15:16], v[17:18]
	s_waitcnt vmcnt(7) lgkmcnt(0)
	v_mul_f64 v[21:22], v[7:8], v[86:87]
	v_mul_f64 v[17:18], v[5:6], v[86:87]
	s_waitcnt vmcnt(5)
	v_fma_f64 v[9:10], v[9:10], v[71:72], -v[23:24]
	v_fma_f64 v[11:12], v[11:12], v[71:72], v[19:20]
	v_add_f64 v[1:2], v[13:14], v[1:2]
	v_add_f64 v[3:4], v[15:16], v[3:4]
	s_waitcnt vmcnt(4)
	v_fma_f64 v[5:6], v[5:6], v[90:91], -v[21:22]
	v_fma_f64 v[7:8], v[7:8], v[90:91], v[17:18]
	v_add_f64 v[1:2], v[1:2], v[9:10]
	v_add_f64 v[3:4], v[3:4], v[11:12]
	v_add_f64 v[1:2], v[1:2], v[5:6]
	v_add_f64 v[3:4], v[3:4], v[7:8]
	s_waitcnt vmcnt(2)
	v_add_f64 v[1:2], v[75:76], -v[1:2]
	s_waitcnt vmcnt(0)
	v_add_f64 v[3:4], v[83:84], -v[3:4]
	buffer_store_dword v2, off, s[0:3], 0 offset:324
	buffer_store_dword v1, off, s[0:3], 0 offset:320
	;; [unrolled: 1-line block ×4, first 2 shown]
	v_cmpx_lt_u32_e32 18, v0
	s_cbranch_execz .LBB50_283
; %bb.282:
	v_mov_b32_e32 v4, s45
	s_clause 0x3
	buffer_load_dword v1, v4, s[0:3], 0 offen
	buffer_load_dword v2, v4, s[0:3], 0 offen offset:4
	buffer_load_dword v3, v4, s[0:3], 0 offen offset:8
	buffer_load_dword v4, v4, s[0:3], 0 offen offset:12
	buffer_store_dword v29, off, s[0:3], 0 offset:304
	buffer_store_dword v29, off, s[0:3], 0 offset:308
	;; [unrolled: 1-line block ×4, first 2 shown]
	s_waitcnt vmcnt(0)
	ds_write_b128 v85, v[1:4]
.LBB50_283:
	s_or_b32 exec_lo, exec_lo, s4
	s_waitcnt lgkmcnt(0)
	s_waitcnt_vscnt null, 0x0
	s_barrier
	buffer_gl0_inv
	s_clause 0x37
	buffer_load_dword v9, off, s[0:3], 0 offset:328
	buffer_load_dword v10, off, s[0:3], 0 offset:332
	;; [unrolled: 1-line block ×56, first 2 shown]
	ds_read_b128 v[30:33], v29 offset:1120
	s_clause 0x2
	buffer_load_dword v87, off, s[0:3], 0 offset:556
	buffer_load_dword v91, off, s[0:3], 0 offset:532
	buffer_load_dword v90, off, s[0:3], 0 offset:528
	ds_read_b128 v[53:56], v29 offset:1136
	s_clause 0x4
	buffer_load_dword v95, off, s[0:3], 0 offset:572
	buffer_load_dword v96, off, s[0:3], 0 offset:584
	buffer_load_dword v98, off, s[0:3], 0 offset:576
	buffer_load_dword v94, off, s[0:3], 0 offset:568
	buffer_load_dword v89, off, s[0:3], 0 offset:548
	ds_read_b128 v[57:60], v29 offset:1152
	s_clause 0x2
	buffer_load_dword v97, off, s[0:3], 0 offset:588
	buffer_load_dword v102, off, s[0:3], 0 offset:564
	;; [unrolled: 1-line block ×3, first 2 shown]
	s_mov_b32 s4, exec_lo
	s_waitcnt vmcnt(62) lgkmcnt(2)
	v_mul_f64 v[92:93], v[32:33], v[9:10]
	v_mul_f64 v[9:10], v[30:31], v[9:10]
	s_waitcnt lgkmcnt(1)
	v_mul_f64 v[99:100], v[55:56], v[5:6]
	s_waitcnt vmcnt(59) lgkmcnt(0)
	v_mul_f64 v[103:104], v[59:60], v[3:4]
	v_fma_f64 v[30:31], v[30:31], v[7:8], -v[92:93]
	v_mul_f64 v[92:93], v[53:54], v[5:6]
	v_fma_f64 v[9:10], v[32:33], v[7:8], v[9:10]
	s_waitcnt vmcnt(57)
	v_fma_f64 v[53:54], v[53:54], v[1:2], -v[99:100]
	ds_read_b128 v[5:8], v29 offset:1168
	v_mul_f64 v[32:33], v[57:58], v[3:4]
	s_waitcnt vmcnt(51)
	v_fma_f64 v[57:58], v[57:58], v[25:26], -v[103:104]
	v_add_f64 v[30:31], v[30:31], 0
	v_fma_f64 v[55:56], v[55:56], v[1:2], v[92:93]
	v_add_f64 v[9:10], v[9:10], 0
	s_clause 0x4
	buffer_load_dword v93, off, s[0:3], 0 offset:604
	buffer_load_dword v105, off, s[0:3], 0 offset:616
	;; [unrolled: 1-line block ×5, first 2 shown]
	s_waitcnt lgkmcnt(0)
	v_mul_f64 v[108:109], v[5:6], v[13:14]
	v_mul_f64 v[13:14], v[7:8], v[13:14]
	ds_read_b128 v[1:4], v29 offset:1184
	v_fma_f64 v[25:26], v[59:60], v[25:26], v[32:33]
	v_add_f64 v[53:54], v[30:31], v[53:54]
	v_add_f64 v[9:10], v[9:10], v[55:56]
	s_clause 0x2
	buffer_load_dword v106, off, s[0:3], 0 offset:620
	buffer_load_dword v56, off, s[0:3], 0 offset:596
	;; [unrolled: 1-line block ×3, first 2 shown]
	s_waitcnt vmcnt(58) lgkmcnt(0)
	v_mul_f64 v[59:60], v[1:2], v[17:18]
	v_mul_f64 v[17:18], v[3:4], v[17:18]
	s_waitcnt vmcnt(56)
	v_fma_f64 v[13:14], v[5:6], v[19:20], -v[13:14]
	ds_read_b128 v[30:33], v29 offset:1200
	v_fma_f64 v[19:20], v[7:8], v[19:20], v[108:109]
	v_add_f64 v[53:54], v[53:54], v[57:58]
	v_add_f64 v[9:10], v[9:10], v[25:26]
	s_clause 0x4
	buffer_load_dword v26, off, s[0:3], 0 offset:636
	buffer_load_dword v57, off, s[0:3], 0 offset:648
	buffer_load_dword v103, off, s[0:3], 0 offset:640
	buffer_load_dword v25, off, s[0:3], 0 offset:632
	buffer_load_dword v108, off, s[0:3], 0 offset:612
	ds_read_b128 v[5:8], v29 offset:1216
	s_waitcnt vmcnt(57) lgkmcnt(1)
	v_mul_f64 v[109:110], v[30:31], v[21:22]
	v_mul_f64 v[21:22], v[32:33], v[21:22]
	s_waitcnt vmcnt(56)
	v_fma_f64 v[17:18], v[1:2], v[11:12], -v[17:18]
	v_fma_f64 v[11:12], v[3:4], v[11:12], v[59:60]
	v_add_f64 v[13:14], v[53:54], v[13:14]
	v_add_f64 v[9:10], v[9:10], v[19:20]
	s_clause 0x2
	buffer_load_dword v58, off, s[0:3], 0 offset:652
	buffer_load_dword v20, off, s[0:3], 0 offset:628
	;; [unrolled: 1-line block ×3, first 2 shown]
	s_waitcnt vmcnt(58) lgkmcnt(0)
	v_mul_f64 v[53:54], v[5:6], v[27:28]
	v_mul_f64 v[27:28], v[7:8], v[27:28]
	s_waitcnt vmcnt(56)
	v_fma_f64 v[21:22], v[30:31], v[34:35], -v[21:22]
	ds_read_b128 v[1:4], v29 offset:1232
	v_add_f64 v[13:14], v[13:14], v[17:18]
	v_fma_f64 v[17:18], v[32:33], v[34:35], v[109:110]
	v_add_f64 v[30:31], v[9:10], v[11:12]
	s_clause 0x4
	buffer_load_dword v33, off, s[0:3], 0 offset:668
	buffer_load_dword v34, off, s[0:3], 0 offset:680
	;; [unrolled: 1-line block ×5, first 2 shown]
	ds_read_b128 v[9:12], v29 offset:1248
	s_waitcnt vmcnt(57) lgkmcnt(1)
	v_mul_f64 v[109:110], v[1:2], v[61:62]
	v_mul_f64 v[60:61], v[3:4], v[61:62]
	s_waitcnt vmcnt(56)
	v_fma_f64 v[27:28], v[5:6], v[15:16], -v[27:28]
	v_fma_f64 v[15:16], v[7:8], v[15:16], v[53:54]
	v_add_f64 v[13:14], v[13:14], v[21:22]
	s_clause 0x2
	buffer_load_dword v35, off, s[0:3], 0 offset:684
	buffer_load_dword v22, off, s[0:3], 0 offset:660
	;; [unrolled: 1-line block ×3, first 2 shown]
	v_add_f64 v[17:18], v[30:31], v[17:18]
	s_waitcnt vmcnt(58) lgkmcnt(0)
	v_mul_f64 v[53:54], v[11:12], v[63:64]
	ds_read_b128 v[5:8], v29 offset:1264
	v_mul_f64 v[30:31], v[9:10], v[63:64]
	s_waitcnt vmcnt(56)
	v_fma_f64 v[61:62], v[1:2], v[65:66], -v[60:61]
	v_add_f64 v[13:14], v[13:14], v[27:28]
	v_fma_f64 v[27:28], v[3:4], v[65:66], v[109:110]
	v_add_f64 v[15:16], v[17:18], v[15:16]
	s_clause 0x4
	buffer_load_dword v18, off, s[0:3], 0 offset:700
	buffer_load_dword v63, off, s[0:3], 0 offset:712
	buffer_load_dword v65, off, s[0:3], 0 offset:704
	buffer_load_dword v17, off, s[0:3], 0 offset:696
	buffer_load_dword v60, off, s[0:3], 0 offset:676
	s_waitcnt vmcnt(57) lgkmcnt(0)
	v_mul_f64 v[109:110], v[5:6], v[67:68]
	v_mul_f64 v[66:67], v[7:8], v[67:68]
	s_waitcnt vmcnt(56)
	v_fma_f64 v[53:54], v[9:10], v[23:24], -v[53:54]
	ds_read_b128 v[1:4], v29 offset:1280
	v_fma_f64 v[23:24], v[11:12], v[23:24], v[30:31]
	v_add_f64 v[13:14], v[13:14], v[61:62]
	v_add_f64 v[15:16], v[15:16], v[27:28]
	s_clause 0x2
	buffer_load_dword v64, off, s[0:3], 0 offset:716
	buffer_load_dword v28, off, s[0:3], 0 offset:692
	buffer_load_dword v27, off, s[0:3], 0 offset:688
	ds_read_b128 v[9:12], v29 offset:1296
	s_waitcnt vmcnt(58) lgkmcnt(1)
	v_mul_f64 v[61:62], v[3:4], v[69:70]
	s_waitcnt vmcnt(56)
	v_fma_f64 v[67:68], v[5:6], v[73:74], -v[66:67]
	v_mul_f64 v[30:31], v[1:2], v[69:70]
	v_add_f64 v[13:14], v[13:14], v[53:54]
	v_fma_f64 v[53:54], v[7:8], v[73:74], v[109:110]
	v_add_f64 v[15:16], v[15:16], v[23:24]
	s_clause 0x4
	buffer_load_dword v24, off, s[0:3], 0 offset:732
	buffer_load_dword v69, off, s[0:3], 0 offset:744
	buffer_load_dword v73, off, s[0:3], 0 offset:736
	buffer_load_dword v23, off, s[0:3], 0 offset:728
	buffer_load_dword v66, off, s[0:3], 0 offset:708
	s_waitcnt vmcnt(57) lgkmcnt(0)
	v_mul_f64 v[109:110], v[9:10], v[75:76]
	v_mul_f64 v[74:75], v[11:12], v[75:76]
	s_waitcnt vmcnt(56)
	v_fma_f64 v[61:62], v[1:2], v[71:72], -v[61:62]
	ds_read_b128 v[5:8], v29 offset:1312
	v_fma_f64 v[30:31], v[3:4], v[71:72], v[30:31]
	v_add_f64 v[13:14], v[13:14], v[67:68]
	v_add_f64 v[15:16], v[15:16], v[53:54]
	s_clause 0x2
	buffer_load_dword v70, off, s[0:3], 0 offset:748
	buffer_load_dword v54, off, s[0:3], 0 offset:724
	buffer_load_dword v53, off, s[0:3], 0 offset:720
	ds_read_b128 v[1:4], v29 offset:1328
	s_waitcnt vmcnt(58) lgkmcnt(1)
	v_mul_f64 v[71:72], v[7:8], v[77:78]
	s_waitcnt vmcnt(56)
	v_fma_f64 v[75:76], v[9:10], v[81:82], -v[74:75]
	v_mul_f64 v[67:68], v[5:6], v[77:78]
	;; [unrolled: 28-line block ×4, first 2 shown]
	v_add_f64 v[13:14], v[13:14], v[79:80]
	v_fma_f64 v[79:80], v[7:8], v[101:102], v[109:110]
	v_add_f64 v[15:16], v[15:16], v[75:76]
	s_clause 0x2
	buffer_load_dword v76, off, s[0:3], 0 offset:828
	buffer_load_dword v75, off, s[0:3], 0 offset:824
	;; [unrolled: 1-line block ×3, first 2 shown]
	ds_read_b128 v[5:8], v29 offset:1408
	s_waitcnt vmcnt(55) lgkmcnt(1)
	v_mul_f64 v[96:97], v[9:10], v[92:93]
	v_mul_f64 v[92:93], v[11:12], v[92:93]
	s_waitcnt vmcnt(54)
	v_fma_f64 v[88:89], v[1:2], v[98:99], -v[88:89]
	v_fma_f64 v[83:84], v[3:4], v[98:99], v[83:84]
	v_add_f64 v[13:14], v[13:14], v[94:95]
	v_add_f64 v[15:16], v[15:16], v[79:80]
	s_clause 0x1
	buffer_load_dword v80, off, s[0:3], 0 offset:820
	buffer_load_dword v79, off, s[0:3], 0 offset:816
	ds_read_b128 v[1:4], v29 offset:1424
	s_waitcnt vmcnt(55) lgkmcnt(1)
	v_mul_f64 v[98:99], v[7:8], v[105:106]
	v_mul_f64 v[94:95], v[5:6], v[105:106]
	s_waitcnt vmcnt(53)
	v_fma_f64 v[92:93], v[9:10], v[55:56], -v[92:93]
	v_fma_f64 v[55:56], v[11:12], v[55:56], v[96:97]
	ds_read_b128 v[9:12], v29 offset:1440
	v_add_f64 v[13:14], v[13:14], v[88:89]
	v_add_f64 v[15:16], v[15:16], v[83:84]
	s_waitcnt vmcnt(49) lgkmcnt(1)
	v_mul_f64 v[83:84], v[1:2], v[25:26]
	v_mul_f64 v[25:26], v[3:4], v[25:26]
	s_waitcnt vmcnt(48)
	v_fma_f64 v[88:89], v[5:6], v[107:108], -v[98:99]
	v_add_f64 v[13:14], v[13:14], v[92:93]
	v_fma_f64 v[92:93], v[7:8], v[107:108], v[94:95]
	v_add_f64 v[15:16], v[15:16], v[55:56]
	s_clause 0x3
	buffer_load_dword v55, off, s[0:3], 0 offset:304
	buffer_load_dword v56, off, s[0:3], 0 offset:308
	;; [unrolled: 1-line block ×4, first 2 shown]
	ds_read_b128 v[5:8], v29 offset:1456
	s_waitcnt vmcnt(51) lgkmcnt(1)
	v_mul_f64 v[96:97], v[9:10], v[57:58]
	v_mul_f64 v[57:58], v[11:12], v[57:58]
	s_waitcnt vmcnt(49)
	v_fma_f64 v[25:26], v[1:2], v[19:20], -v[25:26]
	v_fma_f64 v[19:20], v[3:4], v[19:20], v[83:84]
	ds_read_b128 v[1:4], v29 offset:1472
	v_add_f64 v[13:14], v[13:14], v[88:89]
	v_add_f64 v[15:16], v[15:16], v[92:93]
	s_waitcnt vmcnt(45) lgkmcnt(1)
	v_mul_f64 v[83:84], v[5:6], v[32:33]
	v_mul_f64 v[32:33], v[7:8], v[32:33]
	s_waitcnt vmcnt(44)
	v_fma_f64 v[57:58], v[9:10], v[103:104], -v[57:58]
	v_add_f64 v[13:14], v[13:14], v[25:26]
	v_fma_f64 v[25:26], v[11:12], v[103:104], v[96:97]
	v_add_f64 v[15:16], v[15:16], v[19:20]
	ds_read_b128 v[9:12], v29 offset:1488
	s_waitcnt vmcnt(43) lgkmcnt(1)
	v_mul_f64 v[19:20], v[1:2], v[34:35]
	v_mul_f64 v[34:35], v[3:4], v[34:35]
	s_waitcnt vmcnt(41)
	v_fma_f64 v[32:33], v[5:6], v[21:22], -v[32:33]
	v_fma_f64 v[21:22], v[7:8], v[21:22], v[83:84]
	ds_read_b128 v[5:8], v29 offset:1504
	v_add_f64 v[13:14], v[13:14], v[57:58]
	v_add_f64 v[15:16], v[15:16], v[25:26]
	s_waitcnt vmcnt(37) lgkmcnt(1)
	v_mul_f64 v[25:26], v[9:10], v[17:18]
	v_mul_f64 v[17:18], v[11:12], v[17:18]
	s_waitcnt vmcnt(36)
	v_fma_f64 v[34:35], v[1:2], v[59:60], -v[34:35]
	v_fma_f64 v[19:20], v[3:4], v[59:60], v[19:20]
	ds_read_b128 v[1:4], v29 offset:1520
	v_add_f64 v[13:14], v[13:14], v[32:33]
	v_add_f64 v[15:16], v[15:16], v[21:22]
	;; [unrolled: 9-line block ×3, first 2 shown]
	s_waitcnt vmcnt(29) lgkmcnt(1)
	v_mul_f64 v[19:20], v[1:2], v[23:24]
	v_mul_f64 v[23:24], v[3:4], v[23:24]
	s_waitcnt vmcnt(28)
	v_fma_f64 v[27:28], v[5:6], v[65:66], -v[32:33]
	v_add_f64 v[13:14], v[13:14], v[17:18]
	v_fma_f64 v[17:18], v[7:8], v[65:66], v[21:22]
	v_add_f64 v[15:16], v[15:16], v[25:26]
	ds_read_b128 v[5:8], v29 offset:1552
	s_waitcnt vmcnt(27) lgkmcnt(1)
	v_mul_f64 v[25:26], v[11:12], v[69:70]
	v_mul_f64 v[21:22], v[9:10], v[69:70]
	s_waitcnt vmcnt(25)
	v_fma_f64 v[23:24], v[1:2], v[53:54], -v[23:24]
	v_fma_f64 v[19:20], v[3:4], v[53:54], v[19:20]
	ds_read_b128 v[1:4], v29 offset:1568
	v_add_f64 v[13:14], v[13:14], v[27:28]
	v_add_f64 v[15:16], v[15:16], v[17:18]
	s_waitcnt vmcnt(21) lgkmcnt(1)
	v_mul_f64 v[27:28], v[7:8], v[30:31]
	s_waitcnt vmcnt(20)
	v_fma_f64 v[25:26], v[9:10], v[73:74], -v[25:26]
	v_mul_f64 v[17:18], v[5:6], v[30:31]
	v_fma_f64 v[21:22], v[11:12], v[73:74], v[21:22]
	ds_read_b128 v[9:12], v29 offset:1584
	v_add_f64 v[13:14], v[13:14], v[23:24]
	v_add_f64 v[15:16], v[15:16], v[19:20]
	s_waitcnt vmcnt(19) lgkmcnt(1)
	v_mul_f64 v[23:24], v[3:4], v[77:78]
	v_mul_f64 v[19:20], v[1:2], v[77:78]
	s_waitcnt vmcnt(17)
	v_fma_f64 v[27:28], v[5:6], v[61:62], -v[27:28]
	v_fma_f64 v[17:18], v[7:8], v[61:62], v[17:18]
	ds_read_b128 v[5:8], v29 offset:1600
	v_add_f64 v[13:14], v[13:14], v[25:26]
	v_add_f64 v[15:16], v[15:16], v[21:22]
	s_waitcnt vmcnt(13) lgkmcnt(1)
	v_mul_f64 v[25:26], v[11:12], v[67:68]
	s_waitcnt vmcnt(12)
	v_fma_f64 v[23:24], v[1:2], v[81:82], -v[23:24]
	v_mul_f64 v[21:22], v[9:10], v[67:68]
	v_fma_f64 v[19:20], v[3:4], v[81:82], v[19:20]
	ds_read_b128 v[1:4], v29 offset:1616
	v_add_f64 v[13:14], v[13:14], v[27:28]
	v_add_f64 v[15:16], v[15:16], v[17:18]
	s_waitcnt vmcnt(11) lgkmcnt(1)
	v_mul_f64 v[27:28], v[7:8], v[86:87]
	v_mul_f64 v[17:18], v[5:6], v[86:87]
	s_waitcnt vmcnt(9)
	v_fma_f64 v[9:10], v[9:10], v[71:72], -v[25:26]
	v_fma_f64 v[11:12], v[11:12], v[71:72], v[21:22]
	v_add_f64 v[13:14], v[13:14], v[23:24]
	v_add_f64 v[15:16], v[15:16], v[19:20]
	s_waitcnt vmcnt(7) lgkmcnt(0)
	v_mul_f64 v[21:22], v[3:4], v[75:76]
	s_waitcnt vmcnt(6)
	v_fma_f64 v[5:6], v[5:6], v[90:91], -v[27:28]
	v_mul_f64 v[19:20], v[1:2], v[75:76]
	v_fma_f64 v[7:8], v[7:8], v[90:91], v[17:18]
	v_add_f64 v[9:10], v[13:14], v[9:10]
	v_add_f64 v[11:12], v[15:16], v[11:12]
	s_waitcnt vmcnt(4)
	v_fma_f64 v[1:2], v[1:2], v[79:80], -v[21:22]
	v_fma_f64 v[3:4], v[3:4], v[79:80], v[19:20]
	v_add_f64 v[5:6], v[9:10], v[5:6]
	v_add_f64 v[7:8], v[11:12], v[7:8]
	;; [unrolled: 1-line block ×4, first 2 shown]
	s_waitcnt vmcnt(2)
	v_add_f64 v[1:2], v[55:56], -v[1:2]
	s_waitcnt vmcnt(0)
	v_add_f64 v[3:4], v[94:95], -v[3:4]
	buffer_store_dword v2, off, s[0:3], 0 offset:308
	buffer_store_dword v1, off, s[0:3], 0 offset:304
	;; [unrolled: 1-line block ×4, first 2 shown]
	v_cmpx_lt_u32_e32 17, v0
	s_cbranch_execz .LBB50_285
; %bb.284:
	v_mov_b32_e32 v4, s46
	v_mov_b32_e32 v5, 0
	s_clause 0x3
	buffer_load_dword v1, v4, s[0:3], 0 offen
	buffer_load_dword v2, v4, s[0:3], 0 offen offset:4
	buffer_load_dword v3, v4, s[0:3], 0 offen offset:8
	;; [unrolled: 1-line block ×3, first 2 shown]
	buffer_store_dword v5, off, s[0:3], 0 offset:288
	buffer_store_dword v5, off, s[0:3], 0 offset:292
	;; [unrolled: 1-line block ×4, first 2 shown]
	s_waitcnt vmcnt(0)
	ds_write_b128 v85, v[1:4]
.LBB50_285:
	s_or_b32 exec_lo, exec_lo, s4
	s_waitcnt lgkmcnt(0)
	s_waitcnt_vscnt null, 0x0
	s_barrier
	buffer_gl0_inv
	s_clause 0x37
	buffer_load_dword v9, off, s[0:3], 0 offset:312
	buffer_load_dword v10, off, s[0:3], 0 offset:316
	;; [unrolled: 1-line block ×56, first 2 shown]
	v_mov_b32_e32 v67, 0
	s_mov_b32 s4, exec_lo
	ds_read_b128 v[55:58], v67 offset:1104
	s_clause 0x2
	buffer_load_dword v87, off, s[0:3], 0 offset:540
	buffer_load_dword v91, off, s[0:3], 0 offset:516
	;; [unrolled: 1-line block ×3, first 2 shown]
	ds_read_b128 v[59:62], v67 offset:1120
	s_clause 0x4
	buffer_load_dword v95, off, s[0:3], 0 offset:556
	buffer_load_dword v96, off, s[0:3], 0 offset:568
	buffer_load_dword v98, off, s[0:3], 0 offset:560
	buffer_load_dword v94, off, s[0:3], 0 offset:552
	buffer_load_dword v89, off, s[0:3], 0 offset:532
	ds_read_b128 v[63:66], v67 offset:1136
	s_clause 0x2
	buffer_load_dword v97, off, s[0:3], 0 offset:572
	buffer_load_dword v102, off, s[0:3], 0 offset:548
	;; [unrolled: 1-line block ×3, first 2 shown]
	s_waitcnt vmcnt(62) lgkmcnt(2)
	v_mul_f64 v[92:93], v[57:58], v[9:10]
	v_mul_f64 v[9:10], v[55:56], v[9:10]
	s_waitcnt lgkmcnt(1)
	v_mul_f64 v[99:100], v[61:62], v[5:6]
	s_waitcnt vmcnt(59) lgkmcnt(0)
	v_mul_f64 v[103:104], v[65:66], v[3:4]
	v_fma_f64 v[55:56], v[55:56], v[7:8], -v[92:93]
	v_mul_f64 v[92:93], v[59:60], v[5:6]
	v_fma_f64 v[9:10], v[57:58], v[7:8], v[9:10]
	s_waitcnt vmcnt(57)
	v_fma_f64 v[59:60], v[59:60], v[1:2], -v[99:100]
	ds_read_b128 v[5:8], v67 offset:1152
	v_mul_f64 v[57:58], v[63:64], v[3:4]
	s_waitcnt vmcnt(51)
	v_fma_f64 v[63:64], v[63:64], v[25:26], -v[103:104]
	v_add_f64 v[55:56], v[55:56], 0
	v_fma_f64 v[61:62], v[61:62], v[1:2], v[92:93]
	v_add_f64 v[9:10], v[9:10], 0
	s_clause 0x4
	buffer_load_dword v93, off, s[0:3], 0 offset:588
	buffer_load_dword v105, off, s[0:3], 0 offset:600
	;; [unrolled: 1-line block ×5, first 2 shown]
	s_waitcnt lgkmcnt(0)
	v_mul_f64 v[108:109], v[5:6], v[13:14]
	v_mul_f64 v[13:14], v[7:8], v[13:14]
	ds_read_b128 v[1:4], v67 offset:1168
	v_fma_f64 v[25:26], v[65:66], v[25:26], v[57:58]
	v_add_f64 v[59:60], v[55:56], v[59:60]
	v_add_f64 v[9:10], v[9:10], v[61:62]
	s_clause 0x2
	buffer_load_dword v106, off, s[0:3], 0 offset:604
	buffer_load_dword v62, off, s[0:3], 0 offset:580
	buffer_load_dword v61, off, s[0:3], 0 offset:576
	s_waitcnt vmcnt(58) lgkmcnt(0)
	v_mul_f64 v[65:66], v[1:2], v[17:18]
	v_mul_f64 v[17:18], v[3:4], v[17:18]
	s_waitcnt vmcnt(56)
	v_fma_f64 v[13:14], v[5:6], v[19:20], -v[13:14]
	ds_read_b128 v[55:58], v67 offset:1184
	v_fma_f64 v[19:20], v[7:8], v[19:20], v[108:109]
	v_add_f64 v[59:60], v[59:60], v[63:64]
	v_add_f64 v[9:10], v[9:10], v[25:26]
	s_clause 0x4
	buffer_load_dword v26, off, s[0:3], 0 offset:620
	buffer_load_dword v63, off, s[0:3], 0 offset:632
	;; [unrolled: 1-line block ×5, first 2 shown]
	ds_read_b128 v[5:8], v67 offset:1200
	s_waitcnt vmcnt(57) lgkmcnt(1)
	v_mul_f64 v[109:110], v[55:56], v[21:22]
	v_mul_f64 v[21:22], v[57:58], v[21:22]
	s_waitcnt vmcnt(56)
	v_fma_f64 v[17:18], v[1:2], v[11:12], -v[17:18]
	v_fma_f64 v[11:12], v[3:4], v[11:12], v[65:66]
	v_add_f64 v[13:14], v[59:60], v[13:14]
	v_add_f64 v[9:10], v[9:10], v[19:20]
	s_clause 0x2
	buffer_load_dword v64, off, s[0:3], 0 offset:636
	buffer_load_dword v20, off, s[0:3], 0 offset:612
	;; [unrolled: 1-line block ×3, first 2 shown]
	s_waitcnt vmcnt(58) lgkmcnt(0)
	v_mul_f64 v[59:60], v[5:6], v[27:28]
	v_mul_f64 v[27:28], v[7:8], v[27:28]
	s_waitcnt vmcnt(56)
	v_fma_f64 v[21:22], v[55:56], v[29:30], -v[21:22]
	ds_read_b128 v[1:4], v67 offset:1216
	v_add_f64 v[13:14], v[13:14], v[17:18]
	v_fma_f64 v[17:18], v[57:58], v[29:30], v[109:110]
	v_add_f64 v[29:30], v[9:10], v[11:12]
	s_clause 0x4
	buffer_load_dword v56, off, s[0:3], 0 offset:652
	buffer_load_dword v57, off, s[0:3], 0 offset:664
	;; [unrolled: 1-line block ×5, first 2 shown]
	ds_read_b128 v[9:12], v67 offset:1232
	s_waitcnt vmcnt(57) lgkmcnt(1)
	v_mul_f64 v[109:110], v[1:2], v[31:32]
	v_mul_f64 v[31:32], v[3:4], v[31:32]
	s_waitcnt vmcnt(56)
	v_fma_f64 v[27:28], v[5:6], v[15:16], -v[27:28]
	v_fma_f64 v[15:16], v[7:8], v[15:16], v[59:60]
	v_add_f64 v[13:14], v[13:14], v[21:22]
	s_clause 0x2
	buffer_load_dword v58, off, s[0:3], 0 offset:668
	buffer_load_dword v22, off, s[0:3], 0 offset:644
	;; [unrolled: 1-line block ×3, first 2 shown]
	v_add_f64 v[17:18], v[29:30], v[17:18]
	s_waitcnt vmcnt(58) lgkmcnt(0)
	v_mul_f64 v[29:30], v[9:10], v[35:36]
	v_mul_f64 v[35:36], v[11:12], v[35:36]
	ds_read_b128 v[5:8], v67 offset:1248
	s_waitcnt vmcnt(56)
	v_fma_f64 v[31:32], v[1:2], v[53:54], -v[31:32]
	v_add_f64 v[13:14], v[13:14], v[27:28]
	v_fma_f64 v[27:28], v[3:4], v[53:54], v[109:110]
	v_add_f64 v[15:16], v[17:18], v[15:16]
	s_clause 0x4
	buffer_load_dword v18, off, s[0:3], 0 offset:684
	buffer_load_dword v53, off, s[0:3], 0 offset:696
	;; [unrolled: 1-line block ×5, first 2 shown]
	s_waitcnt vmcnt(57) lgkmcnt(0)
	v_mul_f64 v[109:110], v[5:6], v[68:69]
	v_mul_f64 v[68:69], v[7:8], v[68:69]
	s_waitcnt vmcnt(56)
	v_fma_f64 v[35:36], v[9:10], v[23:24], -v[35:36]
	ds_read_b128 v[1:4], v67 offset:1264
	v_fma_f64 v[23:24], v[11:12], v[23:24], v[29:30]
	v_add_f64 v[13:14], v[13:14], v[31:32]
	v_add_f64 v[15:16], v[15:16], v[27:28]
	s_clause 0x2
	buffer_load_dword v54, off, s[0:3], 0 offset:700
	buffer_load_dword v28, off, s[0:3], 0 offset:676
	;; [unrolled: 1-line block ×3, first 2 shown]
	ds_read_b128 v[9:12], v67 offset:1280
	s_waitcnt vmcnt(58) lgkmcnt(1)
	v_mul_f64 v[31:32], v[3:4], v[70:71]
	s_waitcnt vmcnt(56)
	v_fma_f64 v[68:69], v[5:6], v[72:73], -v[68:69]
	v_mul_f64 v[29:30], v[1:2], v[70:71]
	v_add_f64 v[13:14], v[13:14], v[35:36]
	v_fma_f64 v[35:36], v[7:8], v[72:73], v[109:110]
	v_add_f64 v[15:16], v[15:16], v[23:24]
	s_clause 0x4
	buffer_load_dword v24, off, s[0:3], 0 offset:716
	buffer_load_dword v70, off, s[0:3], 0 offset:728
	;; [unrolled: 1-line block ×5, first 2 shown]
	s_waitcnt vmcnt(57) lgkmcnt(0)
	v_mul_f64 v[109:110], v[9:10], v[74:75]
	v_mul_f64 v[73:74], v[11:12], v[74:75]
	s_waitcnt vmcnt(56)
	v_fma_f64 v[31:32], v[1:2], v[33:34], -v[31:32]
	ds_read_b128 v[5:8], v67 offset:1296
	v_fma_f64 v[29:30], v[3:4], v[33:34], v[29:30]
	s_clause 0x2
	buffer_load_dword v71, off, s[0:3], 0 offset:732
	buffer_load_dword v34, off, s[0:3], 0 offset:708
	;; [unrolled: 1-line block ×3, first 2 shown]
	ds_read_b128 v[1:4], v67 offset:1312
	v_add_f64 v[13:14], v[13:14], v[68:69]
	v_add_f64 v[15:16], v[15:16], v[35:36]
	s_waitcnt vmcnt(58) lgkmcnt(1)
	v_mul_f64 v[68:69], v[7:8], v[76:77]
	s_waitcnt vmcnt(56)
	v_fma_f64 v[74:75], v[9:10], v[80:81], -v[73:74]
	v_mul_f64 v[35:36], v[5:6], v[76:77]
	v_add_f64 v[13:14], v[13:14], v[31:32]
	v_fma_f64 v[31:32], v[11:12], v[80:81], v[109:110]
	v_add_f64 v[15:16], v[15:16], v[29:30]
	s_clause 0x4
	buffer_load_dword v30, off, s[0:3], 0 offset:748
	buffer_load_dword v76, off, s[0:3], 0 offset:760
	;; [unrolled: 1-line block ×5, first 2 shown]
	s_waitcnt vmcnt(57) lgkmcnt(0)
	v_mul_f64 v[109:110], v[1:2], v[82:83]
	v_mul_f64 v[81:82], v[3:4], v[82:83]
	s_waitcnt vmcnt(56)
	v_fma_f64 v[68:69], v[5:6], v[78:79], -v[68:69]
	ds_read_b128 v[9:12], v67 offset:1328
	v_fma_f64 v[35:36], v[7:8], v[78:79], v[35:36]
	v_add_f64 v[13:14], v[13:14], v[74:75]
	v_add_f64 v[15:16], v[15:16], v[31:32]
	s_clause 0x2
	buffer_load_dword v77, off, s[0:3], 0 offset:764
	buffer_load_dword v32, off, s[0:3], 0 offset:740
	;; [unrolled: 1-line block ×3, first 2 shown]
	ds_read_b128 v[5:8], v67 offset:1344
	s_waitcnt vmcnt(58) lgkmcnt(1)
	v_mul_f64 v[78:79], v[11:12], v[86:87]
	s_waitcnt vmcnt(56)
	v_fma_f64 v[82:83], v[1:2], v[90:91], -v[81:82]
	v_mul_f64 v[74:75], v[9:10], v[86:87]
	v_add_f64 v[13:14], v[13:14], v[68:69]
	v_fma_f64 v[68:69], v[3:4], v[90:91], v[109:110]
	v_add_f64 v[15:16], v[15:16], v[35:36]
	s_clause 0x4
	buffer_load_dword v36, off, s[0:3], 0 offset:780
	buffer_load_dword v86, off, s[0:3], 0 offset:792
	;; [unrolled: 1-line block ×5, first 2 shown]
	s_waitcnt vmcnt(57) lgkmcnt(0)
	v_mul_f64 v[109:110], v[5:6], v[94:95]
	v_mul_f64 v[94:95], v[7:8], v[94:95]
	s_waitcnt vmcnt(56)
	v_fma_f64 v[78:79], v[9:10], v[88:89], -v[78:79]
	ds_read_b128 v[1:4], v67 offset:1360
	v_fma_f64 v[74:75], v[11:12], v[88:89], v[74:75]
	v_add_f64 v[13:14], v[13:14], v[82:83]
	v_add_f64 v[15:16], v[15:16], v[68:69]
	s_clause 0x2
	buffer_load_dword v87, off, s[0:3], 0 offset:796
	buffer_load_dword v69, off, s[0:3], 0 offset:772
	;; [unrolled: 1-line block ×3, first 2 shown]
	ds_read_b128 v[9:12], v67 offset:1376
	s_waitcnt vmcnt(58) lgkmcnt(1)
	v_mul_f64 v[88:89], v[3:4], v[96:97]
	s_waitcnt vmcnt(56)
	v_fma_f64 v[94:95], v[5:6], v[101:102], -v[94:95]
	v_mul_f64 v[82:83], v[1:2], v[96:97]
	v_add_f64 v[13:14], v[13:14], v[78:79]
	v_fma_f64 v[78:79], v[7:8], v[101:102], v[109:110]
	v_add_f64 v[15:16], v[15:16], v[74:75]
	s_clause 0x4
	buffer_load_dword v75, off, s[0:3], 0 offset:812
	buffer_load_dword v96, off, s[0:3], 0 offset:824
	;; [unrolled: 1-line block ×5, first 2 shown]
	ds_read_b128 v[5:8], v67 offset:1392
	s_waitcnt vmcnt(57) lgkmcnt(1)
	v_mul_f64 v[101:102], v[9:10], v[92:93]
	v_mul_f64 v[92:93], v[11:12], v[92:93]
	s_waitcnt vmcnt(56)
	v_fma_f64 v[88:89], v[1:2], v[98:99], -v[88:89]
	v_fma_f64 v[82:83], v[3:4], v[98:99], v[82:83]
	v_add_f64 v[13:14], v[13:14], v[94:95]
	v_add_f64 v[15:16], v[15:16], v[78:79]
	s_clause 0x2
	buffer_load_dword v97, off, s[0:3], 0 offset:828
	buffer_load_dword v79, off, s[0:3], 0 offset:804
	;; [unrolled: 1-line block ×3, first 2 shown]
	ds_read_b128 v[1:4], v67 offset:1408
	s_waitcnt vmcnt(58) lgkmcnt(1)
	v_mul_f64 v[98:99], v[7:8], v[105:106]
	v_mul_f64 v[94:95], v[5:6], v[105:106]
	s_waitcnt vmcnt(56)
	v_fma_f64 v[92:93], v[9:10], v[61:62], -v[92:93]
	v_fma_f64 v[61:62], v[11:12], v[61:62], v[101:102]
	buffer_load_dword v101, off, s[0:3], 0 offset:820
	ds_read_b128 v[9:12], v67 offset:1424
	v_add_f64 v[13:14], v[13:14], v[88:89]
	v_add_f64 v[15:16], v[15:16], v[82:83]
	s_waitcnt vmcnt(53) lgkmcnt(1)
	v_mul_f64 v[82:83], v[1:2], v[25:26]
	v_mul_f64 v[25:26], v[3:4], v[25:26]
	s_waitcnt vmcnt(52)
	v_fma_f64 v[88:89], v[5:6], v[107:108], -v[98:99]
	v_add_f64 v[13:14], v[13:14], v[92:93]
	v_fma_f64 v[92:93], v[7:8], v[107:108], v[94:95]
	v_add_f64 v[15:16], v[15:16], v[61:62]
	ds_read_b128 v[5:8], v67 offset:1440
	s_waitcnt vmcnt(51) lgkmcnt(1)
	v_mul_f64 v[61:62], v[9:10], v[63:64]
	v_mul_f64 v[63:64], v[11:12], v[63:64]
	s_waitcnt vmcnt(49)
	v_fma_f64 v[25:26], v[1:2], v[19:20], -v[25:26]
	v_fma_f64 v[19:20], v[3:4], v[19:20], v[82:83]
	v_add_f64 v[13:14], v[13:14], v[88:89]
	s_clause 0x3
	buffer_load_dword v82, off, s[0:3], 0 offset:288
	buffer_load_dword v83, off, s[0:3], 0 offset:292
	;; [unrolled: 1-line block ×4, first 2 shown]
	v_add_f64 v[15:16], v[15:16], v[92:93]
	ds_read_b128 v[1:4], v67 offset:1456
	s_waitcnt vmcnt(49) lgkmcnt(1)
	v_mul_f64 v[92:93], v[5:6], v[55:56]
	v_mul_f64 v[55:56], v[7:8], v[55:56]
	s_waitcnt vmcnt(48)
	v_fma_f64 v[63:64], v[9:10], v[103:104], -v[63:64]
	v_add_f64 v[13:14], v[13:14], v[25:26]
	v_fma_f64 v[25:26], v[11:12], v[103:104], v[61:62]
	v_add_f64 v[15:16], v[15:16], v[19:20]
	ds_read_b128 v[9:12], v67 offset:1472
	s_waitcnt vmcnt(47) lgkmcnt(1)
	v_mul_f64 v[19:20], v[1:2], v[57:58]
	v_mul_f64 v[57:58], v[3:4], v[57:58]
	s_waitcnt vmcnt(45)
	v_fma_f64 v[55:56], v[5:6], v[21:22], -v[55:56]
	v_fma_f64 v[21:22], v[7:8], v[21:22], v[92:93]
	ds_read_b128 v[5:8], v67 offset:1488
	v_add_f64 v[13:14], v[13:14], v[63:64]
	v_add_f64 v[15:16], v[15:16], v[25:26]
	s_waitcnt vmcnt(41) lgkmcnt(1)
	v_mul_f64 v[25:26], v[9:10], v[17:18]
	v_mul_f64 v[17:18], v[11:12], v[17:18]
	s_waitcnt vmcnt(40)
	v_fma_f64 v[57:58], v[1:2], v[65:66], -v[57:58]
	v_fma_f64 v[19:20], v[3:4], v[65:66], v[19:20]
	ds_read_b128 v[1:4], v67 offset:1504
	v_add_f64 v[13:14], v[13:14], v[55:56]
	v_add_f64 v[15:16], v[15:16], v[21:22]
	;; [unrolled: 9-line block ×3, first 2 shown]
	s_waitcnt vmcnt(33) lgkmcnt(1)
	v_mul_f64 v[19:20], v[1:2], v[23:24]
	v_mul_f64 v[23:24], v[3:4], v[23:24]
	s_waitcnt vmcnt(32)
	v_fma_f64 v[27:28], v[5:6], v[59:60], -v[53:54]
	v_add_f64 v[13:14], v[13:14], v[17:18]
	v_fma_f64 v[17:18], v[7:8], v[59:60], v[21:22]
	v_add_f64 v[15:16], v[15:16], v[25:26]
	ds_read_b128 v[5:8], v67 offset:1536
	s_waitcnt vmcnt(31) lgkmcnt(1)
	v_mul_f64 v[25:26], v[11:12], v[70:71]
	v_mul_f64 v[21:22], v[9:10], v[70:71]
	s_waitcnt vmcnt(29)
	v_fma_f64 v[19:20], v[3:4], v[33:34], v[19:20]
	v_fma_f64 v[23:24], v[1:2], v[33:34], -v[23:24]
	ds_read_b128 v[1:4], v67 offset:1552
	v_add_f64 v[13:14], v[13:14], v[27:28]
	v_add_f64 v[15:16], v[15:16], v[17:18]
	s_waitcnt vmcnt(25) lgkmcnt(1)
	v_mul_f64 v[27:28], v[7:8], v[29:30]
	s_waitcnt vmcnt(24)
	v_fma_f64 v[25:26], v[9:10], v[72:73], -v[25:26]
	v_mul_f64 v[17:18], v[5:6], v[29:30]
	v_fma_f64 v[21:22], v[11:12], v[72:73], v[21:22]
	ds_read_b128 v[9:12], v67 offset:1568
	v_add_f64 v[13:14], v[13:14], v[23:24]
	v_add_f64 v[15:16], v[15:16], v[19:20]
	s_waitcnt vmcnt(23) lgkmcnt(1)
	v_mul_f64 v[23:24], v[3:4], v[76:77]
	v_mul_f64 v[19:20], v[1:2], v[76:77]
	s_waitcnt vmcnt(21)
	v_fma_f64 v[27:28], v[5:6], v[31:32], -v[27:28]
	v_fma_f64 v[17:18], v[7:8], v[31:32], v[17:18]
	ds_read_b128 v[5:8], v67 offset:1584
	v_add_f64 v[13:14], v[13:14], v[25:26]
	v_add_f64 v[15:16], v[15:16], v[21:22]
	s_waitcnt vmcnt(17) lgkmcnt(1)
	v_mul_f64 v[25:26], v[11:12], v[35:36]
	s_waitcnt vmcnt(16)
	v_fma_f64 v[23:24], v[1:2], v[80:81], -v[23:24]
	v_mul_f64 v[21:22], v[9:10], v[35:36]
	v_fma_f64 v[19:20], v[3:4], v[80:81], v[19:20]
	ds_read_b128 v[1:4], v67 offset:1600
	v_add_f64 v[13:14], v[13:14], v[27:28]
	v_add_f64 v[15:16], v[15:16], v[17:18]
	s_waitcnt vmcnt(15) lgkmcnt(1)
	v_mul_f64 v[27:28], v[7:8], v[86:87]
	v_mul_f64 v[17:18], v[5:6], v[86:87]
	s_waitcnt vmcnt(13)
	v_fma_f64 v[25:26], v[9:10], v[68:69], -v[25:26]
	v_fma_f64 v[21:22], v[11:12], v[68:69], v[21:22]
	ds_read_b128 v[9:12], v67 offset:1616
	v_add_f64 v[13:14], v[13:14], v[23:24]
	v_add_f64 v[15:16], v[15:16], v[19:20]
	s_waitcnt vmcnt(9) lgkmcnt(1)
	v_mul_f64 v[23:24], v[3:4], v[74:75]
	s_waitcnt vmcnt(8)
	v_fma_f64 v[5:6], v[5:6], v[90:91], -v[27:28]
	v_mul_f64 v[19:20], v[1:2], v[74:75]
	v_fma_f64 v[7:8], v[7:8], v[90:91], v[17:18]
	v_add_f64 v[13:14], v[13:14], v[25:26]
	v_add_f64 v[15:16], v[15:16], v[21:22]
	s_waitcnt vmcnt(7) lgkmcnt(0)
	v_mul_f64 v[21:22], v[11:12], v[96:97]
	v_mul_f64 v[17:18], v[9:10], v[96:97]
	s_waitcnt vmcnt(5)
	v_fma_f64 v[1:2], v[1:2], v[78:79], -v[23:24]
	v_fma_f64 v[3:4], v[3:4], v[78:79], v[19:20]
	v_add_f64 v[5:6], v[13:14], v[5:6]
	v_add_f64 v[7:8], v[15:16], v[7:8]
	s_waitcnt vmcnt(4)
	v_fma_f64 v[9:10], v[9:10], v[100:101], -v[21:22]
	v_add_f64 v[1:2], v[5:6], v[1:2]
	v_fma_f64 v[5:6], v[11:12], v[100:101], v[17:18]
	v_add_f64 v[3:4], v[7:8], v[3:4]
	v_add_f64 v[1:2], v[1:2], v[9:10]
	;; [unrolled: 1-line block ×3, first 2 shown]
	s_waitcnt vmcnt(2)
	v_add_f64 v[1:2], v[82:83], -v[1:2]
	s_waitcnt vmcnt(0)
	v_add_f64 v[3:4], v[88:89], -v[3:4]
	buffer_store_dword v2, off, s[0:3], 0 offset:292
	buffer_store_dword v1, off, s[0:3], 0 offset:288
	;; [unrolled: 1-line block ×4, first 2 shown]
	v_cmpx_lt_u32_e32 16, v0
	s_cbranch_execz .LBB50_287
; %bb.286:
	v_mov_b32_e32 v4, s47
	s_clause 0x3
	buffer_load_dword v1, v4, s[0:3], 0 offen
	buffer_load_dword v2, v4, s[0:3], 0 offen offset:4
	buffer_load_dword v3, v4, s[0:3], 0 offen offset:8
	;; [unrolled: 1-line block ×3, first 2 shown]
	buffer_store_dword v67, off, s[0:3], 0 offset:272
	buffer_store_dword v67, off, s[0:3], 0 offset:276
	;; [unrolled: 1-line block ×4, first 2 shown]
	s_waitcnt vmcnt(0)
	ds_write_b128 v85, v[1:4]
.LBB50_287:
	s_or_b32 exec_lo, exec_lo, s4
	s_waitcnt lgkmcnt(0)
	s_waitcnt_vscnt null, 0x0
	s_barrier
	buffer_gl0_inv
	s_clause 0x37
	buffer_load_dword v9, off, s[0:3], 0 offset:296
	buffer_load_dword v10, off, s[0:3], 0 offset:300
	;; [unrolled: 1-line block ×56, first 2 shown]
	ds_read_b128 v[68:71], v67 offset:1088
	s_clause 0x2
	buffer_load_dword v89, off, s[0:3], 0 offset:524
	buffer_load_dword v91, off, s[0:3], 0 offset:500
	;; [unrolled: 1-line block ×3, first 2 shown]
	ds_read_b128 v[72:75], v67 offset:1104
	s_clause 0x4
	buffer_load_dword v95, off, s[0:3], 0 offset:540
	buffer_load_dword v96, off, s[0:3], 0 offset:552
	;; [unrolled: 1-line block ×5, first 2 shown]
	ds_read_b128 v[76:79], v67 offset:1120
	s_clause 0x2
	buffer_load_dword v97, off, s[0:3], 0 offset:556
	buffer_load_dword v102, off, s[0:3], 0 offset:532
	;; [unrolled: 1-line block ×3, first 2 shown]
	s_mov_b32 s4, exec_lo
	s_waitcnt vmcnt(62) lgkmcnt(2)
	v_mul_f64 v[92:93], v[70:71], v[9:10]
	v_mul_f64 v[9:10], v[68:69], v[9:10]
	s_waitcnt lgkmcnt(1)
	v_mul_f64 v[99:100], v[74:75], v[5:6]
	s_waitcnt vmcnt(59) lgkmcnt(0)
	v_mul_f64 v[103:104], v[78:79], v[3:4]
	v_fma_f64 v[68:69], v[68:69], v[7:8], -v[92:93]
	v_mul_f64 v[92:93], v[72:73], v[5:6]
	v_fma_f64 v[9:10], v[70:71], v[7:8], v[9:10]
	s_waitcnt vmcnt(57)
	v_fma_f64 v[72:73], v[72:73], v[1:2], -v[99:100]
	ds_read_b128 v[5:8], v67 offset:1136
	v_mul_f64 v[70:71], v[76:77], v[3:4]
	s_waitcnt vmcnt(51)
	v_fma_f64 v[76:77], v[76:77], v[25:26], -v[103:104]
	v_add_f64 v[68:69], v[68:69], 0
	v_fma_f64 v[74:75], v[74:75], v[1:2], v[92:93]
	v_add_f64 v[9:10], v[9:10], 0
	s_clause 0x4
	buffer_load_dword v93, off, s[0:3], 0 offset:572
	buffer_load_dword v105, off, s[0:3], 0 offset:584
	;; [unrolled: 1-line block ×5, first 2 shown]
	s_waitcnt lgkmcnt(0)
	v_mul_f64 v[108:109], v[5:6], v[13:14]
	v_mul_f64 v[13:14], v[7:8], v[13:14]
	ds_read_b128 v[1:4], v67 offset:1152
	v_fma_f64 v[25:26], v[78:79], v[25:26], v[70:71]
	v_add_f64 v[72:73], v[68:69], v[72:73]
	v_add_f64 v[9:10], v[9:10], v[74:75]
	s_clause 0x2
	buffer_load_dword v106, off, s[0:3], 0 offset:588
	buffer_load_dword v75, off, s[0:3], 0 offset:564
	;; [unrolled: 1-line block ×3, first 2 shown]
	s_waitcnt vmcnt(58) lgkmcnt(0)
	v_mul_f64 v[78:79], v[1:2], v[17:18]
	v_mul_f64 v[17:18], v[3:4], v[17:18]
	s_waitcnt vmcnt(56)
	v_fma_f64 v[13:14], v[5:6], v[19:20], -v[13:14]
	ds_read_b128 v[68:71], v67 offset:1168
	v_fma_f64 v[19:20], v[7:8], v[19:20], v[108:109]
	v_add_f64 v[72:73], v[72:73], v[76:77]
	v_add_f64 v[9:10], v[9:10], v[25:26]
	s_clause 0x4
	buffer_load_dword v26, off, s[0:3], 0 offset:604
	buffer_load_dword v76, off, s[0:3], 0 offset:616
	;; [unrolled: 1-line block ×5, first 2 shown]
	ds_read_b128 v[5:8], v67 offset:1184
	s_waitcnt vmcnt(57) lgkmcnt(1)
	v_mul_f64 v[109:110], v[68:69], v[21:22]
	v_mul_f64 v[21:22], v[70:71], v[21:22]
	s_waitcnt vmcnt(56)
	v_fma_f64 v[17:18], v[1:2], v[11:12], -v[17:18]
	v_fma_f64 v[11:12], v[3:4], v[11:12], v[78:79]
	v_add_f64 v[13:14], v[72:73], v[13:14]
	v_add_f64 v[9:10], v[9:10], v[19:20]
	s_clause 0x2
	buffer_load_dword v77, off, s[0:3], 0 offset:620
	buffer_load_dword v20, off, s[0:3], 0 offset:596
	;; [unrolled: 1-line block ×3, first 2 shown]
	s_waitcnt vmcnt(58) lgkmcnt(0)
	v_mul_f64 v[72:73], v[5:6], v[27:28]
	v_mul_f64 v[27:28], v[7:8], v[27:28]
	s_waitcnt vmcnt(56)
	v_fma_f64 v[21:22], v[68:69], v[29:30], -v[21:22]
	ds_read_b128 v[1:4], v67 offset:1200
	v_add_f64 v[13:14], v[13:14], v[17:18]
	v_fma_f64 v[17:18], v[70:71], v[29:30], v[109:110]
	v_add_f64 v[29:30], v[9:10], v[11:12]
	s_clause 0x4
	buffer_load_dword v69, off, s[0:3], 0 offset:636
	buffer_load_dword v70, off, s[0:3], 0 offset:648
	;; [unrolled: 1-line block ×5, first 2 shown]
	ds_read_b128 v[9:12], v67 offset:1216
	s_waitcnt vmcnt(57) lgkmcnt(1)
	v_mul_f64 v[109:110], v[1:2], v[31:32]
	v_mul_f64 v[31:32], v[3:4], v[31:32]
	s_waitcnt vmcnt(56)
	v_fma_f64 v[27:28], v[5:6], v[15:16], -v[27:28]
	v_fma_f64 v[15:16], v[7:8], v[15:16], v[72:73]
	v_add_f64 v[13:14], v[13:14], v[21:22]
	s_clause 0x2
	buffer_load_dword v71, off, s[0:3], 0 offset:652
	buffer_load_dword v22, off, s[0:3], 0 offset:628
	;; [unrolled: 1-line block ×3, first 2 shown]
	v_add_f64 v[17:18], v[29:30], v[17:18]
	s_waitcnt vmcnt(58) lgkmcnt(0)
	v_mul_f64 v[29:30], v[9:10], v[35:36]
	v_mul_f64 v[35:36], v[11:12], v[35:36]
	ds_read_b128 v[5:8], v67 offset:1232
	s_waitcnt vmcnt(56)
	v_fma_f64 v[31:32], v[1:2], v[53:54], -v[31:32]
	v_add_f64 v[13:14], v[13:14], v[27:28]
	v_fma_f64 v[27:28], v[3:4], v[53:54], v[109:110]
	v_add_f64 v[15:16], v[17:18], v[15:16]
	s_clause 0x4
	buffer_load_dword v18, off, s[0:3], 0 offset:668
	buffer_load_dword v53, off, s[0:3], 0 offset:680
	;; [unrolled: 1-line block ×5, first 2 shown]
	s_waitcnt vmcnt(57) lgkmcnt(0)
	v_mul_f64 v[109:110], v[5:6], v[55:56]
	v_mul_f64 v[55:56], v[7:8], v[55:56]
	s_waitcnt vmcnt(56)
	v_fma_f64 v[35:36], v[9:10], v[23:24], -v[35:36]
	ds_read_b128 v[1:4], v67 offset:1248
	v_fma_f64 v[23:24], v[11:12], v[23:24], v[29:30]
	v_add_f64 v[13:14], v[13:14], v[31:32]
	v_add_f64 v[15:16], v[15:16], v[27:28]
	s_clause 0x2
	buffer_load_dword v54, off, s[0:3], 0 offset:684
	buffer_load_dword v28, off, s[0:3], 0 offset:660
	;; [unrolled: 1-line block ×3, first 2 shown]
	ds_read_b128 v[9:12], v67 offset:1264
	s_waitcnt vmcnt(58) lgkmcnt(1)
	v_mul_f64 v[31:32], v[3:4], v[59:60]
	s_waitcnt vmcnt(56)
	v_fma_f64 v[55:56], v[5:6], v[61:62], -v[55:56]
	v_mul_f64 v[29:30], v[1:2], v[59:60]
	v_add_f64 v[13:14], v[13:14], v[35:36]
	v_fma_f64 v[35:36], v[7:8], v[61:62], v[109:110]
	v_add_f64 v[15:16], v[15:16], v[23:24]
	s_clause 0x4
	buffer_load_dword v24, off, s[0:3], 0 offset:700
	buffer_load_dword v59, off, s[0:3], 0 offset:712
	;; [unrolled: 1-line block ×5, first 2 shown]
	s_waitcnt vmcnt(57) lgkmcnt(0)
	v_mul_f64 v[109:110], v[9:10], v[63:64]
	v_mul_f64 v[62:63], v[11:12], v[63:64]
	s_waitcnt vmcnt(56)
	v_fma_f64 v[31:32], v[1:2], v[33:34], -v[31:32]
	ds_read_b128 v[5:8], v67 offset:1280
	v_fma_f64 v[29:30], v[3:4], v[33:34], v[29:30]
	s_clause 0x2
	buffer_load_dword v60, off, s[0:3], 0 offset:716
	buffer_load_dword v34, off, s[0:3], 0 offset:692
	;; [unrolled: 1-line block ×3, first 2 shown]
	ds_read_b128 v[1:4], v67 offset:1296
	v_add_f64 v[13:14], v[13:14], v[55:56]
	v_add_f64 v[15:16], v[15:16], v[35:36]
	s_waitcnt vmcnt(58) lgkmcnt(1)
	v_mul_f64 v[55:56], v[7:8], v[80:81]
	s_waitcnt vmcnt(56)
	v_fma_f64 v[63:64], v[9:10], v[82:83], -v[62:63]
	v_mul_f64 v[35:36], v[5:6], v[80:81]
	v_add_f64 v[13:14], v[13:14], v[31:32]
	v_fma_f64 v[31:32], v[11:12], v[82:83], v[109:110]
	v_add_f64 v[15:16], v[15:16], v[29:30]
	s_clause 0x4
	buffer_load_dword v30, off, s[0:3], 0 offset:732
	buffer_load_dword v80, off, s[0:3], 0 offset:744
	;; [unrolled: 1-line block ×5, first 2 shown]
	s_waitcnt vmcnt(57) lgkmcnt(0)
	v_mul_f64 v[83:84], v[1:2], v[86:87]
	v_mul_f64 v[86:87], v[3:4], v[86:87]
	s_waitcnt vmcnt(56)
	v_fma_f64 v[55:56], v[5:6], v[57:58], -v[55:56]
	ds_read_b128 v[9:12], v67 offset:1312
	v_fma_f64 v[35:36], v[7:8], v[57:58], v[35:36]
	v_add_f64 v[13:14], v[13:14], v[63:64]
	v_add_f64 v[15:16], v[15:16], v[31:32]
	s_clause 0x2
	buffer_load_dword v81, off, s[0:3], 0 offset:748
	buffer_load_dword v32, off, s[0:3], 0 offset:724
	buffer_load_dword v31, off, s[0:3], 0 offset:720
	ds_read_b128 v[5:8], v67 offset:1328
	s_waitcnt vmcnt(58) lgkmcnt(1)
	v_mul_f64 v[63:64], v[11:12], v[88:89]
	s_waitcnt vmcnt(56)
	v_fma_f64 v[86:87], v[1:2], v[90:91], -v[86:87]
	v_mul_f64 v[57:58], v[9:10], v[88:89]
	v_add_f64 v[13:14], v[13:14], v[55:56]
	v_fma_f64 v[55:56], v[3:4], v[90:91], v[83:84]
	v_add_f64 v[15:16], v[15:16], v[35:36]
	s_clause 0x4
	buffer_load_dword v36, off, s[0:3], 0 offset:764
	buffer_load_dword v88, off, s[0:3], 0 offset:776
	;; [unrolled: 1-line block ×5, first 2 shown]
	s_waitcnt vmcnt(57) lgkmcnt(0)
	v_mul_f64 v[109:110], v[5:6], v[94:95]
	v_mul_f64 v[94:95], v[7:8], v[94:95]
	s_waitcnt vmcnt(56)
	v_fma_f64 v[63:64], v[9:10], v[65:66], -v[63:64]
	ds_read_b128 v[1:4], v67 offset:1344
	v_fma_f64 v[57:58], v[11:12], v[65:66], v[57:58]
	v_add_f64 v[13:14], v[13:14], v[86:87]
	v_add_f64 v[15:16], v[15:16], v[55:56]
	s_clause 0x2
	buffer_load_dword v89, off, s[0:3], 0 offset:780
	buffer_load_dword v56, off, s[0:3], 0 offset:756
	;; [unrolled: 1-line block ×3, first 2 shown]
	ds_read_b128 v[9:12], v67 offset:1360
	s_waitcnt vmcnt(58) lgkmcnt(1)
	v_mul_f64 v[86:87], v[3:4], v[96:97]
	s_waitcnt vmcnt(56)
	v_fma_f64 v[94:95], v[5:6], v[101:102], -v[94:95]
	v_mul_f64 v[65:66], v[1:2], v[96:97]
	v_add_f64 v[13:14], v[13:14], v[63:64]
	v_fma_f64 v[63:64], v[7:8], v[101:102], v[109:110]
	v_add_f64 v[15:16], v[15:16], v[57:58]
	s_clause 0x4
	buffer_load_dword v58, off, s[0:3], 0 offset:796
	buffer_load_dword v96, off, s[0:3], 0 offset:808
	;; [unrolled: 1-line block ×5, first 2 shown]
	ds_read_b128 v[5:8], v67 offset:1376
	s_waitcnt vmcnt(57) lgkmcnt(1)
	v_mul_f64 v[101:102], v[9:10], v[92:93]
	v_mul_f64 v[92:93], v[11:12], v[92:93]
	s_waitcnt vmcnt(56)
	v_fma_f64 v[86:87], v[1:2], v[98:99], -v[86:87]
	v_fma_f64 v[65:66], v[3:4], v[98:99], v[65:66]
	v_add_f64 v[13:14], v[13:14], v[94:95]
	v_add_f64 v[15:16], v[15:16], v[63:64]
	s_clause 0x2
	buffer_load_dword v97, off, s[0:3], 0 offset:812
	buffer_load_dword v64, off, s[0:3], 0 offset:788
	buffer_load_dword v63, off, s[0:3], 0 offset:784
	ds_read_b128 v[1:4], v67 offset:1392
	s_waitcnt vmcnt(58) lgkmcnt(1)
	v_mul_f64 v[98:99], v[7:8], v[105:106]
	v_mul_f64 v[94:95], v[5:6], v[105:106]
	s_waitcnt vmcnt(56)
	v_fma_f64 v[92:93], v[9:10], v[74:75], -v[92:93]
	v_fma_f64 v[74:75], v[11:12], v[74:75], v[101:102]
	v_add_f64 v[13:14], v[13:14], v[86:87]
	v_add_f64 v[15:16], v[15:16], v[65:66]
	s_clause 0x2
	buffer_load_dword v66, off, s[0:3], 0 offset:828
	buffer_load_dword v65, off, s[0:3], 0 offset:824
	;; [unrolled: 1-line block ×3, first 2 shown]
	ds_read_b128 v[9:12], v67 offset:1408
	s_waitcnt vmcnt(55) lgkmcnt(1)
	v_mul_f64 v[86:87], v[1:2], v[25:26]
	v_mul_f64 v[25:26], v[3:4], v[25:26]
	s_waitcnt vmcnt(54)
	v_fma_f64 v[98:99], v[5:6], v[107:108], -v[98:99]
	v_add_f64 v[13:14], v[13:14], v[92:93]
	v_fma_f64 v[92:93], v[7:8], v[107:108], v[94:95]
	v_add_f64 v[15:16], v[15:16], v[74:75]
	s_clause 0x1
	buffer_load_dword v75, off, s[0:3], 0 offset:820
	buffer_load_dword v74, off, s[0:3], 0 offset:816
	ds_read_b128 v[5:8], v67 offset:1424
	s_waitcnt vmcnt(55) lgkmcnt(1)
	v_mul_f64 v[94:95], v[9:10], v[76:77]
	v_mul_f64 v[76:77], v[11:12], v[76:77]
	s_waitcnt vmcnt(53)
	v_fma_f64 v[25:26], v[1:2], v[19:20], -v[25:26]
	v_fma_f64 v[19:20], v[3:4], v[19:20], v[86:87]
	ds_read_b128 v[1:4], v67 offset:1440
	v_add_f64 v[13:14], v[13:14], v[98:99]
	v_add_f64 v[15:16], v[15:16], v[92:93]
	s_waitcnt vmcnt(49) lgkmcnt(1)
	v_mul_f64 v[86:87], v[5:6], v[68:69]
	v_mul_f64 v[68:69], v[7:8], v[68:69]
	s_waitcnt vmcnt(48)
	v_fma_f64 v[76:77], v[9:10], v[103:104], -v[76:77]
	v_add_f64 v[13:14], v[13:14], v[25:26]
	v_fma_f64 v[25:26], v[11:12], v[103:104], v[94:95]
	v_add_f64 v[15:16], v[15:16], v[19:20]
	s_clause 0x3
	buffer_load_dword v19, off, s[0:3], 0 offset:272
	buffer_load_dword v20, off, s[0:3], 0 offset:276
	;; [unrolled: 1-line block ×4, first 2 shown]
	ds_read_b128 v[9:12], v67 offset:1456
	s_waitcnt vmcnt(51) lgkmcnt(1)
	v_mul_f64 v[94:95], v[1:2], v[70:71]
	v_mul_f64 v[70:71], v[3:4], v[70:71]
	s_waitcnt vmcnt(49)
	v_fma_f64 v[68:69], v[5:6], v[21:22], -v[68:69]
	v_fma_f64 v[21:22], v[7:8], v[21:22], v[86:87]
	ds_read_b128 v[5:8], v67 offset:1472
	v_add_f64 v[13:14], v[13:14], v[76:77]
	v_add_f64 v[15:16], v[15:16], v[25:26]
	s_waitcnt vmcnt(45) lgkmcnt(1)
	v_mul_f64 v[25:26], v[9:10], v[17:18]
	v_mul_f64 v[17:18], v[11:12], v[17:18]
	s_waitcnt vmcnt(44)
	v_fma_f64 v[70:71], v[1:2], v[78:79], -v[70:71]
	v_add_f64 v[13:14], v[13:14], v[68:69]
	v_fma_f64 v[68:69], v[3:4], v[78:79], v[94:95]
	v_add_f64 v[15:16], v[15:16], v[21:22]
	ds_read_b128 v[1:4], v67 offset:1488
	s_waitcnt vmcnt(43) lgkmcnt(1)
	v_mul_f64 v[21:22], v[5:6], v[53:54]
	v_mul_f64 v[53:54], v[7:8], v[53:54]
	s_waitcnt vmcnt(41)
	v_fma_f64 v[17:18], v[9:10], v[27:28], -v[17:18]
	v_fma_f64 v[25:26], v[11:12], v[27:28], v[25:26]
	ds_read_b128 v[9:12], v67 offset:1504
	v_add_f64 v[13:14], v[13:14], v[70:71]
	v_add_f64 v[15:16], v[15:16], v[68:69]
	s_waitcnt vmcnt(37) lgkmcnt(1)
	v_mul_f64 v[27:28], v[1:2], v[23:24]
	v_mul_f64 v[23:24], v[3:4], v[23:24]
	s_waitcnt vmcnt(36)
	v_fma_f64 v[53:54], v[5:6], v[72:73], -v[53:54]
	v_add_f64 v[13:14], v[13:14], v[17:18]
	v_fma_f64 v[17:18], v[7:8], v[72:73], v[21:22]
	v_add_f64 v[15:16], v[15:16], v[25:26]
	s_waitcnt vmcnt(35) lgkmcnt(0)
	v_mul_f64 v[25:26], v[11:12], v[59:60]
	ds_read_b128 v[5:8], v67 offset:1520
	v_mul_f64 v[21:22], v[9:10], v[59:60]
	s_waitcnt vmcnt(33)
	v_fma_f64 v[27:28], v[3:4], v[33:34], v[27:28]
	v_fma_f64 v[23:24], v[1:2], v[33:34], -v[23:24]
	ds_read_b128 v[1:4], v67 offset:1536
	v_add_f64 v[13:14], v[13:14], v[53:54]
	v_add_f64 v[15:16], v[15:16], v[17:18]
	s_waitcnt vmcnt(29) lgkmcnt(1)
	v_mul_f64 v[17:18], v[5:6], v[29:30]
	v_mul_f64 v[29:30], v[7:8], v[29:30]
	s_waitcnt vmcnt(28)
	v_fma_f64 v[25:26], v[9:10], v[61:62], -v[25:26]
	v_fma_f64 v[21:22], v[11:12], v[61:62], v[21:22]
	ds_read_b128 v[9:12], v67 offset:1552
	v_add_f64 v[13:14], v[13:14], v[23:24]
	v_add_f64 v[15:16], v[15:16], v[27:28]
	s_waitcnt vmcnt(27) lgkmcnt(1)
	v_mul_f64 v[27:28], v[3:4], v[80:81]
	v_mul_f64 v[23:24], v[1:2], v[80:81]
	s_waitcnt vmcnt(25)
	v_fma_f64 v[29:30], v[5:6], v[31:32], -v[29:30]
	v_fma_f64 v[17:18], v[7:8], v[31:32], v[17:18]
	ds_read_b128 v[5:8], v67 offset:1568
	v_add_f64 v[13:14], v[13:14], v[25:26]
	v_add_f64 v[15:16], v[15:16], v[21:22]
	s_waitcnt vmcnt(21) lgkmcnt(1)
	v_mul_f64 v[25:26], v[11:12], v[35:36]
	s_waitcnt vmcnt(20)
	v_fma_f64 v[27:28], v[1:2], v[82:83], -v[27:28]
	v_mul_f64 v[21:22], v[9:10], v[35:36]
	v_fma_f64 v[23:24], v[3:4], v[82:83], v[23:24]
	ds_read_b128 v[1:4], v67 offset:1584
	v_add_f64 v[13:14], v[13:14], v[29:30]
	v_add_f64 v[15:16], v[15:16], v[17:18]
	s_waitcnt vmcnt(19) lgkmcnt(1)
	v_mul_f64 v[29:30], v[7:8], v[88:89]
	v_mul_f64 v[17:18], v[5:6], v[88:89]
	s_waitcnt vmcnt(17)
	v_fma_f64 v[25:26], v[9:10], v[55:56], -v[25:26]
	v_fma_f64 v[21:22], v[11:12], v[55:56], v[21:22]
	ds_read_b128 v[9:12], v67 offset:1600
	v_add_f64 v[13:14], v[13:14], v[27:28]
	v_add_f64 v[15:16], v[15:16], v[23:24]
	s_waitcnt vmcnt(13) lgkmcnt(1)
	v_mul_f64 v[27:28], v[3:4], v[57:58]
	s_waitcnt vmcnt(12)
	v_fma_f64 v[29:30], v[5:6], v[90:91], -v[29:30]
	v_mul_f64 v[23:24], v[1:2], v[57:58]
	v_fma_f64 v[17:18], v[7:8], v[90:91], v[17:18]
	ds_read_b128 v[5:8], v67 offset:1616
	v_add_f64 v[13:14], v[13:14], v[25:26]
	v_add_f64 v[15:16], v[15:16], v[21:22]
	s_waitcnt vmcnt(11) lgkmcnt(1)
	v_mul_f64 v[25:26], v[11:12], v[96:97]
	v_mul_f64 v[21:22], v[9:10], v[96:97]
	s_waitcnt vmcnt(9)
	v_fma_f64 v[1:2], v[1:2], v[63:64], -v[27:28]
	v_fma_f64 v[3:4], v[3:4], v[63:64], v[23:24]
	v_add_f64 v[13:14], v[13:14], v[29:30]
	v_add_f64 v[15:16], v[15:16], v[17:18]
	s_waitcnt vmcnt(7) lgkmcnt(0)
	v_mul_f64 v[23:24], v[7:8], v[65:66]
	s_waitcnt vmcnt(6)
	v_fma_f64 v[9:10], v[9:10], v[100:101], -v[25:26]
	v_mul_f64 v[17:18], v[5:6], v[65:66]
	v_fma_f64 v[11:12], v[11:12], v[100:101], v[21:22]
	v_add_f64 v[1:2], v[13:14], v[1:2]
	v_add_f64 v[3:4], v[15:16], v[3:4]
	s_waitcnt vmcnt(4)
	v_fma_f64 v[5:6], v[5:6], v[74:75], -v[23:24]
	v_fma_f64 v[7:8], v[7:8], v[74:75], v[17:18]
	v_add_f64 v[1:2], v[1:2], v[9:10]
	v_add_f64 v[3:4], v[3:4], v[11:12]
	;; [unrolled: 1-line block ×4, first 2 shown]
	s_waitcnt vmcnt(2)
	v_add_f64 v[1:2], v[19:20], -v[1:2]
	s_waitcnt vmcnt(0)
	v_add_f64 v[3:4], v[92:93], -v[3:4]
	buffer_store_dword v2, off, s[0:3], 0 offset:276
	buffer_store_dword v1, off, s[0:3], 0 offset:272
	;; [unrolled: 1-line block ×4, first 2 shown]
	v_cmpx_lt_u32_e32 15, v0
	s_cbranch_execz .LBB50_289
; %bb.288:
	v_mov_b32_e32 v4, s48
	v_mov_b32_e32 v5, 0
	s_clause 0x3
	buffer_load_dword v1, v4, s[0:3], 0 offen
	buffer_load_dword v2, v4, s[0:3], 0 offen offset:4
	buffer_load_dword v3, v4, s[0:3], 0 offen offset:8
	;; [unrolled: 1-line block ×3, first 2 shown]
	buffer_store_dword v5, off, s[0:3], 0 offset:256
	buffer_store_dword v5, off, s[0:3], 0 offset:260
	buffer_store_dword v5, off, s[0:3], 0 offset:264
	buffer_store_dword v5, off, s[0:3], 0 offset:268
	s_waitcnt vmcnt(0)
	ds_write_b128 v85, v[1:4]
.LBB50_289:
	s_or_b32 exec_lo, exec_lo, s4
	s_waitcnt lgkmcnt(0)
	s_waitcnt_vscnt null, 0x0
	s_barrier
	buffer_gl0_inv
	s_clause 0x37
	buffer_load_dword v9, off, s[0:3], 0 offset:280
	buffer_load_dword v10, off, s[0:3], 0 offset:284
	;; [unrolled: 1-line block ×56, first 2 shown]
	v_mov_b32_e32 v77, 0
	s_mov_b32 s4, exec_lo
	ds_read_b128 v[78:81], v77 offset:1072
	s_clause 0x2
	buffer_load_dword v74, off, s[0:3], 0 offset:508
	buffer_load_dword v76, off, s[0:3], 0 offset:484
	;; [unrolled: 1-line block ×3, first 2 shown]
	ds_read_b128 v[86:89], v77 offset:1088
	s_clause 0x4
	buffer_load_dword v95, off, s[0:3], 0 offset:524
	buffer_load_dword v96, off, s[0:3], 0 offset:536
	;; [unrolled: 1-line block ×5, first 2 shown]
	ds_read_b128 v[90:93], v77 offset:1104
	s_clause 0x2
	buffer_load_dword v97, off, s[0:3], 0 offset:540
	buffer_load_dword v102, off, s[0:3], 0 offset:516
	;; [unrolled: 1-line block ×3, first 2 shown]
	s_waitcnt vmcnt(62) lgkmcnt(2)
	v_mul_f64 v[82:83], v[80:81], v[9:10]
	v_mul_f64 v[9:10], v[78:79], v[9:10]
	s_waitcnt lgkmcnt(1)
	v_mul_f64 v[99:100], v[88:89], v[5:6]
	s_waitcnt vmcnt(59) lgkmcnt(0)
	v_mul_f64 v[103:104], v[92:93], v[3:4]
	v_fma_f64 v[78:79], v[78:79], v[7:8], -v[82:83]
	v_mul_f64 v[82:83], v[86:87], v[5:6]
	v_fma_f64 v[9:10], v[80:81], v[7:8], v[9:10]
	s_waitcnt vmcnt(57)
	v_fma_f64 v[86:87], v[86:87], v[1:2], -v[99:100]
	ds_read_b128 v[5:8], v77 offset:1120
	v_mul_f64 v[80:81], v[90:91], v[3:4]
	s_waitcnt vmcnt(51)
	v_fma_f64 v[90:91], v[90:91], v[25:26], -v[103:104]
	v_add_f64 v[78:79], v[78:79], 0
	v_fma_f64 v[82:83], v[88:89], v[1:2], v[82:83]
	v_add_f64 v[9:10], v[9:10], 0
	s_clause 0x4
	buffer_load_dword v89, off, s[0:3], 0 offset:556
	buffer_load_dword v105, off, s[0:3], 0 offset:568
	;; [unrolled: 1-line block ×5, first 2 shown]
	s_waitcnt lgkmcnt(0)
	v_mul_f64 v[108:109], v[5:6], v[13:14]
	v_mul_f64 v[13:14], v[7:8], v[13:14]
	ds_read_b128 v[1:4], v77 offset:1136
	v_fma_f64 v[25:26], v[92:93], v[25:26], v[80:81]
	v_add_f64 v[86:87], v[78:79], v[86:87]
	v_add_f64 v[9:10], v[9:10], v[82:83]
	s_clause 0x2
	buffer_load_dword v106, off, s[0:3], 0 offset:572
	buffer_load_dword v83, off, s[0:3], 0 offset:548
	;; [unrolled: 1-line block ×3, first 2 shown]
	s_waitcnt vmcnt(58) lgkmcnt(0)
	v_mul_f64 v[92:93], v[1:2], v[17:18]
	v_mul_f64 v[17:18], v[3:4], v[17:18]
	s_waitcnt vmcnt(56)
	v_fma_f64 v[13:14], v[5:6], v[19:20], -v[13:14]
	ds_read_b128 v[78:81], v77 offset:1152
	v_fma_f64 v[19:20], v[7:8], v[19:20], v[108:109]
	v_add_f64 v[86:87], v[86:87], v[90:91]
	v_add_f64 v[9:10], v[9:10], v[25:26]
	s_clause 0x4
	buffer_load_dword v26, off, s[0:3], 0 offset:588
	buffer_load_dword v90, off, s[0:3], 0 offset:600
	;; [unrolled: 1-line block ×5, first 2 shown]
	ds_read_b128 v[5:8], v77 offset:1168
	s_waitcnt vmcnt(57) lgkmcnt(1)
	v_mul_f64 v[109:110], v[78:79], v[21:22]
	v_mul_f64 v[21:22], v[80:81], v[21:22]
	s_waitcnt vmcnt(56)
	v_fma_f64 v[17:18], v[1:2], v[11:12], -v[17:18]
	v_fma_f64 v[11:12], v[3:4], v[11:12], v[92:93]
	v_add_f64 v[13:14], v[86:87], v[13:14]
	v_add_f64 v[9:10], v[9:10], v[19:20]
	s_clause 0x2
	buffer_load_dword v91, off, s[0:3], 0 offset:604
	buffer_load_dword v20, off, s[0:3], 0 offset:580
	;; [unrolled: 1-line block ×3, first 2 shown]
	s_waitcnt vmcnt(58) lgkmcnt(0)
	v_mul_f64 v[86:87], v[5:6], v[27:28]
	v_mul_f64 v[27:28], v[7:8], v[27:28]
	s_waitcnt vmcnt(56)
	v_fma_f64 v[21:22], v[78:79], v[29:30], -v[21:22]
	ds_read_b128 v[1:4], v77 offset:1184
	v_add_f64 v[13:14], v[13:14], v[17:18]
	v_fma_f64 v[17:18], v[80:81], v[29:30], v[109:110]
	v_add_f64 v[29:30], v[9:10], v[11:12]
	s_clause 0x4
	buffer_load_dword v79, off, s[0:3], 0 offset:620
	buffer_load_dword v80, off, s[0:3], 0 offset:632
	;; [unrolled: 1-line block ×5, first 2 shown]
	ds_read_b128 v[9:12], v77 offset:1200
	s_waitcnt vmcnt(57) lgkmcnt(1)
	v_mul_f64 v[109:110], v[1:2], v[31:32]
	v_mul_f64 v[31:32], v[3:4], v[31:32]
	s_waitcnt vmcnt(56)
	v_fma_f64 v[27:28], v[5:6], v[15:16], -v[27:28]
	v_fma_f64 v[15:16], v[7:8], v[15:16], v[86:87]
	v_add_f64 v[13:14], v[13:14], v[21:22]
	s_clause 0x2
	buffer_load_dword v81, off, s[0:3], 0 offset:636
	buffer_load_dword v22, off, s[0:3], 0 offset:612
	;; [unrolled: 1-line block ×3, first 2 shown]
	v_add_f64 v[17:18], v[29:30], v[17:18]
	s_waitcnt vmcnt(58) lgkmcnt(0)
	v_mul_f64 v[29:30], v[9:10], v[35:36]
	v_mul_f64 v[35:36], v[11:12], v[35:36]
	ds_read_b128 v[5:8], v77 offset:1216
	s_waitcnt vmcnt(56)
	v_fma_f64 v[31:32], v[1:2], v[53:54], -v[31:32]
	v_add_f64 v[13:14], v[13:14], v[27:28]
	v_fma_f64 v[27:28], v[3:4], v[53:54], v[109:110]
	v_add_f64 v[15:16], v[17:18], v[15:16]
	s_clause 0x4
	buffer_load_dword v18, off, s[0:3], 0 offset:652
	buffer_load_dword v53, off, s[0:3], 0 offset:664
	;; [unrolled: 1-line block ×5, first 2 shown]
	s_waitcnt vmcnt(57) lgkmcnt(0)
	v_mul_f64 v[109:110], v[5:6], v[55:56]
	v_mul_f64 v[55:56], v[7:8], v[55:56]
	s_waitcnt vmcnt(56)
	v_fma_f64 v[35:36], v[9:10], v[23:24], -v[35:36]
	ds_read_b128 v[1:4], v77 offset:1232
	v_fma_f64 v[23:24], v[11:12], v[23:24], v[29:30]
	v_add_f64 v[13:14], v[13:14], v[31:32]
	v_add_f64 v[15:16], v[15:16], v[27:28]
	s_clause 0x2
	buffer_load_dword v54, off, s[0:3], 0 offset:668
	buffer_load_dword v28, off, s[0:3], 0 offset:644
	;; [unrolled: 1-line block ×3, first 2 shown]
	ds_read_b128 v[9:12], v77 offset:1248
	s_waitcnt vmcnt(58) lgkmcnt(1)
	v_mul_f64 v[31:32], v[3:4], v[59:60]
	s_waitcnt vmcnt(56)
	v_fma_f64 v[55:56], v[5:6], v[61:62], -v[55:56]
	v_mul_f64 v[29:30], v[1:2], v[59:60]
	v_add_f64 v[13:14], v[13:14], v[35:36]
	v_fma_f64 v[35:36], v[7:8], v[61:62], v[109:110]
	v_add_f64 v[15:16], v[15:16], v[23:24]
	s_clause 0x4
	buffer_load_dword v24, off, s[0:3], 0 offset:684
	buffer_load_dword v59, off, s[0:3], 0 offset:696
	;; [unrolled: 1-line block ×5, first 2 shown]
	s_waitcnt vmcnt(57) lgkmcnt(0)
	v_mul_f64 v[109:110], v[9:10], v[63:64]
	v_mul_f64 v[62:63], v[11:12], v[63:64]
	s_waitcnt vmcnt(56)
	v_fma_f64 v[31:32], v[1:2], v[33:34], -v[31:32]
	ds_read_b128 v[5:8], v77 offset:1264
	v_fma_f64 v[29:30], v[3:4], v[33:34], v[29:30]
	s_clause 0x2
	buffer_load_dword v60, off, s[0:3], 0 offset:700
	buffer_load_dword v34, off, s[0:3], 0 offset:676
	buffer_load_dword v33, off, s[0:3], 0 offset:672
	ds_read_b128 v[1:4], v77 offset:1280
	v_add_f64 v[13:14], v[13:14], v[55:56]
	v_add_f64 v[15:16], v[15:16], v[35:36]
	s_waitcnt vmcnt(58) lgkmcnt(1)
	v_mul_f64 v[55:56], v[7:8], v[67:68]
	s_waitcnt vmcnt(56)
	v_fma_f64 v[63:64], v[9:10], v[69:70], -v[62:63]
	v_mul_f64 v[35:36], v[5:6], v[67:68]
	v_add_f64 v[13:14], v[13:14], v[31:32]
	v_fma_f64 v[31:32], v[11:12], v[69:70], v[109:110]
	v_add_f64 v[15:16], v[15:16], v[29:30]
	s_clause 0x4
	buffer_load_dword v30, off, s[0:3], 0 offset:716
	buffer_load_dword v67, off, s[0:3], 0 offset:728
	;; [unrolled: 1-line block ×5, first 2 shown]
	s_waitcnt vmcnt(57) lgkmcnt(0)
	v_mul_f64 v[109:110], v[1:2], v[71:72]
	v_mul_f64 v[70:71], v[3:4], v[71:72]
	s_waitcnt vmcnt(56)
	v_fma_f64 v[55:56], v[5:6], v[57:58], -v[55:56]
	ds_read_b128 v[9:12], v77 offset:1296
	v_fma_f64 v[35:36], v[7:8], v[57:58], v[35:36]
	v_add_f64 v[13:14], v[13:14], v[63:64]
	v_add_f64 v[15:16], v[15:16], v[31:32]
	s_clause 0x2
	buffer_load_dword v68, off, s[0:3], 0 offset:732
	buffer_load_dword v32, off, s[0:3], 0 offset:708
	;; [unrolled: 1-line block ×3, first 2 shown]
	ds_read_b128 v[5:8], v77 offset:1312
	s_waitcnt vmcnt(58) lgkmcnt(1)
	v_mul_f64 v[63:64], v[11:12], v[73:74]
	s_waitcnt vmcnt(56)
	v_fma_f64 v[71:72], v[1:2], v[75:76], -v[70:71]
	v_mul_f64 v[57:58], v[9:10], v[73:74]
	v_add_f64 v[13:14], v[13:14], v[55:56]
	v_fma_f64 v[55:56], v[3:4], v[75:76], v[109:110]
	v_add_f64 v[15:16], v[15:16], v[35:36]
	s_clause 0x4
	buffer_load_dword v36, off, s[0:3], 0 offset:748
	buffer_load_dword v73, off, s[0:3], 0 offset:760
	;; [unrolled: 1-line block ×5, first 2 shown]
	s_waitcnt vmcnt(57) lgkmcnt(0)
	v_mul_f64 v[109:110], v[5:6], v[94:95]
	v_mul_f64 v[94:95], v[7:8], v[94:95]
	s_waitcnt vmcnt(56)
	v_fma_f64 v[63:64], v[9:10], v[65:66], -v[63:64]
	ds_read_b128 v[1:4], v77 offset:1328
	v_fma_f64 v[57:58], v[11:12], v[65:66], v[57:58]
	v_add_f64 v[13:14], v[13:14], v[71:72]
	v_add_f64 v[15:16], v[15:16], v[55:56]
	s_clause 0x2
	buffer_load_dword v74, off, s[0:3], 0 offset:764
	buffer_load_dword v56, off, s[0:3], 0 offset:740
	;; [unrolled: 1-line block ×3, first 2 shown]
	ds_read_b128 v[9:12], v77 offset:1344
	s_waitcnt vmcnt(58) lgkmcnt(1)
	v_mul_f64 v[71:72], v[3:4], v[96:97]
	s_waitcnt vmcnt(56)
	v_fma_f64 v[94:95], v[5:6], v[101:102], -v[94:95]
	v_mul_f64 v[65:66], v[1:2], v[96:97]
	v_add_f64 v[13:14], v[13:14], v[63:64]
	v_fma_f64 v[63:64], v[7:8], v[101:102], v[109:110]
	v_add_f64 v[15:16], v[15:16], v[57:58]
	s_clause 0x4
	buffer_load_dword v58, off, s[0:3], 0 offset:780
	buffer_load_dword v96, off, s[0:3], 0 offset:792
	buffer_load_dword v100, off, s[0:3], 0 offset:784
	buffer_load_dword v57, off, s[0:3], 0 offset:776
	buffer_load_dword v76, off, s[0:3], 0 offset:756
	ds_read_b128 v[5:8], v77 offset:1360
	s_waitcnt vmcnt(57) lgkmcnt(1)
	v_mul_f64 v[101:102], v[9:10], v[88:89]
	v_mul_f64 v[88:89], v[11:12], v[88:89]
	s_waitcnt vmcnt(56)
	v_fma_f64 v[71:72], v[1:2], v[98:99], -v[71:72]
	v_fma_f64 v[65:66], v[3:4], v[98:99], v[65:66]
	v_add_f64 v[13:14], v[13:14], v[94:95]
	v_add_f64 v[15:16], v[15:16], v[63:64]
	s_clause 0x2
	buffer_load_dword v97, off, s[0:3], 0 offset:796
	buffer_load_dword v64, off, s[0:3], 0 offset:772
	;; [unrolled: 1-line block ×3, first 2 shown]
	ds_read_b128 v[1:4], v77 offset:1376
	s_waitcnt vmcnt(58) lgkmcnt(1)
	v_mul_f64 v[98:99], v[7:8], v[105:106]
	v_mul_f64 v[94:95], v[5:6], v[105:106]
	s_waitcnt vmcnt(56)
	v_fma_f64 v[88:89], v[9:10], v[82:83], -v[88:89]
	v_add_f64 v[13:14], v[13:14], v[71:72]
	v_fma_f64 v[71:72], v[11:12], v[82:83], v[101:102]
	v_add_f64 v[15:16], v[15:16], v[65:66]
	s_clause 0x4
	buffer_load_dword v66, off, s[0:3], 0 offset:812
	buffer_load_dword v82, off, s[0:3], 0 offset:824
	;; [unrolled: 1-line block ×5, first 2 shown]
	ds_read_b128 v[9:12], v77 offset:1392
	s_waitcnt vmcnt(57) lgkmcnt(1)
	v_mul_f64 v[109:110], v[1:2], v[25:26]
	v_mul_f64 v[25:26], v[3:4], v[25:26]
	s_waitcnt vmcnt(56)
	v_fma_f64 v[98:99], v[5:6], v[107:108], -v[98:99]
	v_add_f64 v[13:14], v[13:14], v[88:89]
	v_fma_f64 v[88:89], v[7:8], v[107:108], v[94:95]
	v_add_f64 v[15:16], v[15:16], v[71:72]
	s_clause 0x2
	buffer_load_dword v83, off, s[0:3], 0 offset:828
	buffer_load_dword v72, off, s[0:3], 0 offset:804
	;; [unrolled: 1-line block ×3, first 2 shown]
	ds_read_b128 v[5:8], v77 offset:1408
	buffer_load_dword v106, off, s[0:3], 0 offset:820
	s_waitcnt vmcnt(59) lgkmcnt(1)
	v_mul_f64 v[94:95], v[9:10], v[90:91]
	v_mul_f64 v[90:91], v[11:12], v[90:91]
	s_waitcnt vmcnt(57)
	v_fma_f64 v[25:26], v[1:2], v[19:20], -v[25:26]
	v_fma_f64 v[19:20], v[3:4], v[19:20], v[109:110]
	ds_read_b128 v[1:4], v77 offset:1424
	v_add_f64 v[13:14], v[13:14], v[98:99]
	v_add_f64 v[15:16], v[15:16], v[88:89]
	s_waitcnt vmcnt(53) lgkmcnt(1)
	v_mul_f64 v[88:89], v[5:6], v[78:79]
	v_mul_f64 v[78:79], v[7:8], v[78:79]
	s_waitcnt vmcnt(52)
	v_fma_f64 v[90:91], v[9:10], v[103:104], -v[90:91]
	v_add_f64 v[13:14], v[13:14], v[25:26]
	v_fma_f64 v[25:26], v[11:12], v[103:104], v[94:95]
	v_add_f64 v[15:16], v[15:16], v[19:20]
	ds_read_b128 v[9:12], v77 offset:1440
	s_waitcnt vmcnt(51) lgkmcnt(1)
	v_mul_f64 v[19:20], v[1:2], v[80:81]
	v_mul_f64 v[80:81], v[3:4], v[80:81]
	s_waitcnt vmcnt(49)
	v_fma_f64 v[78:79], v[5:6], v[21:22], -v[78:79]
	v_fma_f64 v[21:22], v[7:8], v[21:22], v[88:89]
	v_add_f64 v[13:14], v[13:14], v[90:91]
	v_add_f64 v[15:16], v[15:16], v[25:26]
	s_clause 0x3
	buffer_load_dword v25, off, s[0:3], 0 offset:256
	buffer_load_dword v26, off, s[0:3], 0 offset:260
	;; [unrolled: 1-line block ×4, first 2 shown]
	ds_read_b128 v[5:8], v77 offset:1456
	s_waitcnt vmcnt(49) lgkmcnt(1)
	v_mul_f64 v[90:91], v[9:10], v[17:18]
	v_mul_f64 v[17:18], v[11:12], v[17:18]
	s_waitcnt vmcnt(48)
	v_fma_f64 v[80:81], v[1:2], v[92:93], -v[80:81]
	v_fma_f64 v[19:20], v[3:4], v[92:93], v[19:20]
	ds_read_b128 v[1:4], v77 offset:1472
	v_add_f64 v[13:14], v[13:14], v[78:79]
	v_add_f64 v[15:16], v[15:16], v[21:22]
	s_waitcnt vmcnt(47) lgkmcnt(1)
	v_mul_f64 v[21:22], v[5:6], v[53:54]
	v_mul_f64 v[53:54], v[7:8], v[53:54]
	s_waitcnt vmcnt(45)
	v_fma_f64 v[17:18], v[9:10], v[27:28], -v[17:18]
	v_fma_f64 v[27:28], v[11:12], v[27:28], v[90:91]
	ds_read_b128 v[9:12], v77 offset:1488
	v_add_f64 v[13:14], v[13:14], v[80:81]
	v_add_f64 v[15:16], v[15:16], v[19:20]
	s_waitcnt vmcnt(41) lgkmcnt(1)
	v_mul_f64 v[19:20], v[1:2], v[23:24]
	v_mul_f64 v[23:24], v[3:4], v[23:24]
	s_waitcnt vmcnt(40)
	v_fma_f64 v[53:54], v[5:6], v[86:87], -v[53:54]
	v_add_f64 v[13:14], v[13:14], v[17:18]
	v_fma_f64 v[17:18], v[7:8], v[86:87], v[21:22]
	v_add_f64 v[15:16], v[15:16], v[27:28]
	ds_read_b128 v[5:8], v77 offset:1504
	s_waitcnt vmcnt(39) lgkmcnt(1)
	v_mul_f64 v[27:28], v[11:12], v[59:60]
	v_mul_f64 v[21:22], v[9:10], v[59:60]
	s_waitcnt vmcnt(37)
	v_fma_f64 v[19:20], v[3:4], v[33:34], v[19:20]
	v_fma_f64 v[23:24], v[1:2], v[33:34], -v[23:24]
	ds_read_b128 v[1:4], v77 offset:1520
	v_add_f64 v[13:14], v[13:14], v[53:54]
	v_add_f64 v[15:16], v[15:16], v[17:18]
	s_waitcnt vmcnt(33) lgkmcnt(1)
	v_mul_f64 v[17:18], v[5:6], v[29:30]
	v_mul_f64 v[29:30], v[7:8], v[29:30]
	s_waitcnt vmcnt(32)
	v_fma_f64 v[27:28], v[9:10], v[61:62], -v[27:28]
	v_fma_f64 v[21:22], v[11:12], v[61:62], v[21:22]
	ds_read_b128 v[9:12], v77 offset:1536
	v_add_f64 v[13:14], v[13:14], v[23:24]
	v_add_f64 v[15:16], v[15:16], v[19:20]
	s_waitcnt vmcnt(31) lgkmcnt(1)
	v_mul_f64 v[23:24], v[3:4], v[67:68]
	v_mul_f64 v[19:20], v[1:2], v[67:68]
	s_waitcnt vmcnt(29)
	v_fma_f64 v[29:30], v[5:6], v[31:32], -v[29:30]
	v_fma_f64 v[17:18], v[7:8], v[31:32], v[17:18]
	ds_read_b128 v[5:8], v77 offset:1552
	v_add_f64 v[13:14], v[13:14], v[27:28]
	v_add_f64 v[15:16], v[15:16], v[21:22]
	s_waitcnt vmcnt(25) lgkmcnt(1)
	v_mul_f64 v[27:28], v[11:12], v[35:36]
	s_waitcnt vmcnt(24)
	v_fma_f64 v[23:24], v[1:2], v[69:70], -v[23:24]
	v_mul_f64 v[21:22], v[9:10], v[35:36]
	v_fma_f64 v[19:20], v[3:4], v[69:70], v[19:20]
	ds_read_b128 v[1:4], v77 offset:1568
	v_add_f64 v[13:14], v[13:14], v[29:30]
	v_add_f64 v[15:16], v[15:16], v[17:18]
	s_waitcnt vmcnt(23) lgkmcnt(1)
	v_mul_f64 v[29:30], v[7:8], v[73:74]
	v_mul_f64 v[17:18], v[5:6], v[73:74]
	s_waitcnt vmcnt(21)
	v_fma_f64 v[27:28], v[9:10], v[55:56], -v[27:28]
	v_fma_f64 v[21:22], v[11:12], v[55:56], v[21:22]
	ds_read_b128 v[9:12], v77 offset:1584
	v_add_f64 v[13:14], v[13:14], v[23:24]
	v_add_f64 v[15:16], v[15:16], v[19:20]
	s_waitcnt vmcnt(17) lgkmcnt(1)
	v_mul_f64 v[23:24], v[3:4], v[57:58]
	s_waitcnt vmcnt(16)
	v_fma_f64 v[29:30], v[5:6], v[75:76], -v[29:30]
	v_mul_f64 v[19:20], v[1:2], v[57:58]
	;; [unrolled: 18-line block ×3, first 2 shown]
	v_fma_f64 v[11:12], v[11:12], v[100:101], v[21:22]
	v_add_f64 v[13:14], v[13:14], v[23:24]
	v_add_f64 v[15:16], v[15:16], v[19:20]
	s_waitcnt vmcnt(7) lgkmcnt(0)
	v_mul_f64 v[21:22], v[3:4], v[82:83]
	v_mul_f64 v[19:20], v[1:2], v[82:83]
	s_waitcnt vmcnt(5)
	v_fma_f64 v[5:6], v[5:6], v[71:72], -v[29:30]
	v_fma_f64 v[7:8], v[7:8], v[71:72], v[17:18]
	v_add_f64 v[9:10], v[13:14], v[9:10]
	v_add_f64 v[11:12], v[15:16], v[11:12]
	s_waitcnt vmcnt(4)
	v_fma_f64 v[1:2], v[1:2], v[105:106], -v[21:22]
	v_fma_f64 v[3:4], v[3:4], v[105:106], v[19:20]
	v_add_f64 v[5:6], v[9:10], v[5:6]
	v_add_f64 v[7:8], v[11:12], v[7:8]
	;; [unrolled: 1-line block ×4, first 2 shown]
	s_waitcnt vmcnt(2)
	v_add_f64 v[1:2], v[25:26], -v[1:2]
	s_waitcnt vmcnt(0)
	v_add_f64 v[3:4], v[88:89], -v[3:4]
	buffer_store_dword v2, off, s[0:3], 0 offset:260
	buffer_store_dword v1, off, s[0:3], 0 offset:256
	;; [unrolled: 1-line block ×4, first 2 shown]
	v_cmpx_lt_u32_e32 14, v0
	s_cbranch_execz .LBB50_291
; %bb.290:
	v_mov_b32_e32 v4, s49
	s_clause 0x3
	buffer_load_dword v1, v4, s[0:3], 0 offen
	buffer_load_dword v2, v4, s[0:3], 0 offen offset:4
	buffer_load_dword v3, v4, s[0:3], 0 offen offset:8
	buffer_load_dword v4, v4, s[0:3], 0 offen offset:12
	buffer_store_dword v77, off, s[0:3], 0 offset:240
	buffer_store_dword v77, off, s[0:3], 0 offset:244
	;; [unrolled: 1-line block ×4, first 2 shown]
	s_waitcnt vmcnt(0)
	ds_write_b128 v85, v[1:4]
.LBB50_291:
	s_or_b32 exec_lo, exec_lo, s4
	s_waitcnt lgkmcnt(0)
	s_waitcnt_vscnt null, 0x0
	s_barrier
	buffer_gl0_inv
	s_clause 0x37
	buffer_load_dword v9, off, s[0:3], 0 offset:264
	buffer_load_dword v10, off, s[0:3], 0 offset:268
	;; [unrolled: 1-line block ×56, first 2 shown]
	ds_read_b128 v[78:81], v77 offset:1056
	s_clause 0x2
	buffer_load_dword v74, off, s[0:3], 0 offset:492
	buffer_load_dword v76, off, s[0:3], 0 offset:468
	;; [unrolled: 1-line block ×3, first 2 shown]
	ds_read_b128 v[86:89], v77 offset:1072
	s_clause 0x4
	buffer_load_dword v95, off, s[0:3], 0 offset:508
	buffer_load_dword v96, off, s[0:3], 0 offset:520
	;; [unrolled: 1-line block ×5, first 2 shown]
	ds_read_b128 v[90:93], v77 offset:1088
	s_clause 0x2
	buffer_load_dword v97, off, s[0:3], 0 offset:524
	buffer_load_dword v102, off, s[0:3], 0 offset:500
	;; [unrolled: 1-line block ×3, first 2 shown]
	s_mov_b32 s4, exec_lo
	s_waitcnt vmcnt(62) lgkmcnt(2)
	v_mul_f64 v[82:83], v[80:81], v[9:10]
	v_mul_f64 v[9:10], v[78:79], v[9:10]
	s_waitcnt lgkmcnt(1)
	v_mul_f64 v[99:100], v[88:89], v[5:6]
	s_waitcnt vmcnt(59) lgkmcnt(0)
	v_mul_f64 v[103:104], v[92:93], v[3:4]
	v_fma_f64 v[78:79], v[78:79], v[7:8], -v[82:83]
	v_mul_f64 v[82:83], v[86:87], v[5:6]
	v_fma_f64 v[9:10], v[80:81], v[7:8], v[9:10]
	s_waitcnt vmcnt(57)
	v_fma_f64 v[86:87], v[86:87], v[1:2], -v[99:100]
	ds_read_b128 v[5:8], v77 offset:1104
	v_mul_f64 v[80:81], v[90:91], v[3:4]
	s_waitcnt vmcnt(51)
	v_fma_f64 v[90:91], v[90:91], v[25:26], -v[103:104]
	v_add_f64 v[78:79], v[78:79], 0
	v_fma_f64 v[82:83], v[88:89], v[1:2], v[82:83]
	v_add_f64 v[9:10], v[9:10], 0
	s_clause 0x4
	buffer_load_dword v89, off, s[0:3], 0 offset:540
	buffer_load_dword v105, off, s[0:3], 0 offset:552
	;; [unrolled: 1-line block ×5, first 2 shown]
	s_waitcnt lgkmcnt(0)
	v_mul_f64 v[108:109], v[5:6], v[13:14]
	v_mul_f64 v[13:14], v[7:8], v[13:14]
	ds_read_b128 v[1:4], v77 offset:1120
	v_fma_f64 v[25:26], v[92:93], v[25:26], v[80:81]
	v_add_f64 v[86:87], v[78:79], v[86:87]
	v_add_f64 v[9:10], v[9:10], v[82:83]
	s_clause 0x2
	buffer_load_dword v106, off, s[0:3], 0 offset:556
	buffer_load_dword v83, off, s[0:3], 0 offset:532
	;; [unrolled: 1-line block ×3, first 2 shown]
	s_waitcnt vmcnt(58) lgkmcnt(0)
	v_mul_f64 v[92:93], v[1:2], v[17:18]
	v_mul_f64 v[17:18], v[3:4], v[17:18]
	s_waitcnt vmcnt(56)
	v_fma_f64 v[13:14], v[5:6], v[19:20], -v[13:14]
	ds_read_b128 v[78:81], v77 offset:1136
	v_fma_f64 v[19:20], v[7:8], v[19:20], v[108:109]
	v_add_f64 v[86:87], v[86:87], v[90:91]
	v_add_f64 v[9:10], v[9:10], v[25:26]
	s_clause 0x4
	buffer_load_dword v26, off, s[0:3], 0 offset:572
	buffer_load_dword v90, off, s[0:3], 0 offset:584
	;; [unrolled: 1-line block ×5, first 2 shown]
	ds_read_b128 v[5:8], v77 offset:1152
	s_waitcnt vmcnt(57) lgkmcnt(1)
	v_mul_f64 v[109:110], v[78:79], v[21:22]
	v_mul_f64 v[21:22], v[80:81], v[21:22]
	s_waitcnt vmcnt(56)
	v_fma_f64 v[17:18], v[1:2], v[11:12], -v[17:18]
	v_fma_f64 v[11:12], v[3:4], v[11:12], v[92:93]
	v_add_f64 v[13:14], v[86:87], v[13:14]
	v_add_f64 v[9:10], v[9:10], v[19:20]
	s_clause 0x2
	buffer_load_dword v91, off, s[0:3], 0 offset:588
	buffer_load_dword v20, off, s[0:3], 0 offset:564
	buffer_load_dword v19, off, s[0:3], 0 offset:560
	s_waitcnt vmcnt(58) lgkmcnt(0)
	v_mul_f64 v[86:87], v[5:6], v[27:28]
	v_mul_f64 v[27:28], v[7:8], v[27:28]
	s_waitcnt vmcnt(56)
	v_fma_f64 v[21:22], v[78:79], v[29:30], -v[21:22]
	ds_read_b128 v[1:4], v77 offset:1168
	v_add_f64 v[13:14], v[13:14], v[17:18]
	v_fma_f64 v[17:18], v[80:81], v[29:30], v[109:110]
	v_add_f64 v[29:30], v[9:10], v[11:12]
	s_clause 0x4
	buffer_load_dword v79, off, s[0:3], 0 offset:604
	buffer_load_dword v80, off, s[0:3], 0 offset:616
	;; [unrolled: 1-line block ×5, first 2 shown]
	ds_read_b128 v[9:12], v77 offset:1184
	s_waitcnt vmcnt(57) lgkmcnt(1)
	v_mul_f64 v[109:110], v[1:2], v[31:32]
	v_mul_f64 v[31:32], v[3:4], v[31:32]
	s_waitcnt vmcnt(56)
	v_fma_f64 v[27:28], v[5:6], v[15:16], -v[27:28]
	v_fma_f64 v[15:16], v[7:8], v[15:16], v[86:87]
	v_add_f64 v[13:14], v[13:14], v[21:22]
	s_clause 0x2
	buffer_load_dword v81, off, s[0:3], 0 offset:620
	buffer_load_dword v22, off, s[0:3], 0 offset:596
	;; [unrolled: 1-line block ×3, first 2 shown]
	v_add_f64 v[17:18], v[29:30], v[17:18]
	s_waitcnt vmcnt(58) lgkmcnt(0)
	v_mul_f64 v[29:30], v[9:10], v[35:36]
	v_mul_f64 v[35:36], v[11:12], v[35:36]
	ds_read_b128 v[5:8], v77 offset:1200
	s_waitcnt vmcnt(56)
	v_fma_f64 v[31:32], v[1:2], v[53:54], -v[31:32]
	v_add_f64 v[13:14], v[13:14], v[27:28]
	v_fma_f64 v[27:28], v[3:4], v[53:54], v[109:110]
	v_add_f64 v[15:16], v[17:18], v[15:16]
	s_clause 0x4
	buffer_load_dword v18, off, s[0:3], 0 offset:636
	buffer_load_dword v53, off, s[0:3], 0 offset:648
	buffer_load_dword v86, off, s[0:3], 0 offset:640
	buffer_load_dword v17, off, s[0:3], 0 offset:632
	buffer_load_dword v93, off, s[0:3], 0 offset:612
	s_waitcnt vmcnt(57) lgkmcnt(0)
	v_mul_f64 v[109:110], v[5:6], v[55:56]
	v_mul_f64 v[55:56], v[7:8], v[55:56]
	s_waitcnt vmcnt(56)
	v_fma_f64 v[35:36], v[9:10], v[23:24], -v[35:36]
	ds_read_b128 v[1:4], v77 offset:1216
	v_fma_f64 v[23:24], v[11:12], v[23:24], v[29:30]
	v_add_f64 v[13:14], v[13:14], v[31:32]
	v_add_f64 v[15:16], v[15:16], v[27:28]
	s_clause 0x2
	buffer_load_dword v54, off, s[0:3], 0 offset:652
	buffer_load_dword v28, off, s[0:3], 0 offset:628
	buffer_load_dword v27, off, s[0:3], 0 offset:624
	ds_read_b128 v[9:12], v77 offset:1232
	s_waitcnt vmcnt(58) lgkmcnt(1)
	v_mul_f64 v[31:32], v[3:4], v[59:60]
	s_waitcnt vmcnt(56)
	v_fma_f64 v[55:56], v[5:6], v[61:62], -v[55:56]
	v_mul_f64 v[29:30], v[1:2], v[59:60]
	v_add_f64 v[13:14], v[13:14], v[35:36]
	v_fma_f64 v[35:36], v[7:8], v[61:62], v[109:110]
	v_add_f64 v[15:16], v[15:16], v[23:24]
	s_clause 0x4
	buffer_load_dword v24, off, s[0:3], 0 offset:668
	buffer_load_dword v59, off, s[0:3], 0 offset:680
	;; [unrolled: 1-line block ×5, first 2 shown]
	s_waitcnt vmcnt(57) lgkmcnt(0)
	v_mul_f64 v[109:110], v[9:10], v[63:64]
	v_mul_f64 v[62:63], v[11:12], v[63:64]
	s_waitcnt vmcnt(56)
	v_fma_f64 v[31:32], v[1:2], v[33:34], -v[31:32]
	ds_read_b128 v[5:8], v77 offset:1248
	v_fma_f64 v[29:30], v[3:4], v[33:34], v[29:30]
	s_clause 0x2
	buffer_load_dword v60, off, s[0:3], 0 offset:684
	buffer_load_dword v34, off, s[0:3], 0 offset:660
	;; [unrolled: 1-line block ×3, first 2 shown]
	ds_read_b128 v[1:4], v77 offset:1264
	v_add_f64 v[13:14], v[13:14], v[55:56]
	v_add_f64 v[15:16], v[15:16], v[35:36]
	s_waitcnt vmcnt(58) lgkmcnt(1)
	v_mul_f64 v[55:56], v[7:8], v[67:68]
	s_waitcnt vmcnt(56)
	v_fma_f64 v[63:64], v[9:10], v[69:70], -v[62:63]
	v_mul_f64 v[35:36], v[5:6], v[67:68]
	v_add_f64 v[13:14], v[13:14], v[31:32]
	v_fma_f64 v[31:32], v[11:12], v[69:70], v[109:110]
	v_add_f64 v[15:16], v[15:16], v[29:30]
	s_clause 0x4
	buffer_load_dword v30, off, s[0:3], 0 offset:700
	buffer_load_dword v67, off, s[0:3], 0 offset:712
	;; [unrolled: 1-line block ×5, first 2 shown]
	s_waitcnt vmcnt(57) lgkmcnt(0)
	v_mul_f64 v[109:110], v[1:2], v[71:72]
	v_mul_f64 v[70:71], v[3:4], v[71:72]
	s_waitcnt vmcnt(56)
	v_fma_f64 v[55:56], v[5:6], v[57:58], -v[55:56]
	ds_read_b128 v[9:12], v77 offset:1280
	v_fma_f64 v[35:36], v[7:8], v[57:58], v[35:36]
	v_add_f64 v[13:14], v[13:14], v[63:64]
	v_add_f64 v[15:16], v[15:16], v[31:32]
	s_clause 0x2
	buffer_load_dword v68, off, s[0:3], 0 offset:716
	buffer_load_dword v32, off, s[0:3], 0 offset:692
	;; [unrolled: 1-line block ×3, first 2 shown]
	ds_read_b128 v[5:8], v77 offset:1296
	s_waitcnt vmcnt(58) lgkmcnt(1)
	v_mul_f64 v[63:64], v[11:12], v[73:74]
	s_waitcnt vmcnt(56)
	v_fma_f64 v[71:72], v[1:2], v[75:76], -v[70:71]
	v_mul_f64 v[57:58], v[9:10], v[73:74]
	v_add_f64 v[13:14], v[13:14], v[55:56]
	v_fma_f64 v[55:56], v[3:4], v[75:76], v[109:110]
	v_add_f64 v[15:16], v[15:16], v[35:36]
	s_clause 0x4
	buffer_load_dword v36, off, s[0:3], 0 offset:732
	buffer_load_dword v73, off, s[0:3], 0 offset:744
	;; [unrolled: 1-line block ×5, first 2 shown]
	s_waitcnt vmcnt(57) lgkmcnt(0)
	v_mul_f64 v[109:110], v[5:6], v[94:95]
	v_mul_f64 v[94:95], v[7:8], v[94:95]
	s_waitcnt vmcnt(56)
	v_fma_f64 v[63:64], v[9:10], v[65:66], -v[63:64]
	ds_read_b128 v[1:4], v77 offset:1312
	v_fma_f64 v[57:58], v[11:12], v[65:66], v[57:58]
	v_add_f64 v[13:14], v[13:14], v[71:72]
	v_add_f64 v[15:16], v[15:16], v[55:56]
	s_clause 0x2
	buffer_load_dword v74, off, s[0:3], 0 offset:748
	buffer_load_dword v56, off, s[0:3], 0 offset:724
	;; [unrolled: 1-line block ×3, first 2 shown]
	ds_read_b128 v[9:12], v77 offset:1328
	s_waitcnt vmcnt(58) lgkmcnt(1)
	v_mul_f64 v[71:72], v[3:4], v[96:97]
	s_waitcnt vmcnt(56)
	v_fma_f64 v[94:95], v[5:6], v[101:102], -v[94:95]
	v_mul_f64 v[65:66], v[1:2], v[96:97]
	v_add_f64 v[13:14], v[13:14], v[63:64]
	v_fma_f64 v[63:64], v[7:8], v[101:102], v[109:110]
	v_add_f64 v[15:16], v[15:16], v[57:58]
	s_clause 0x4
	buffer_load_dword v58, off, s[0:3], 0 offset:764
	buffer_load_dword v96, off, s[0:3], 0 offset:776
	;; [unrolled: 1-line block ×5, first 2 shown]
	ds_read_b128 v[5:8], v77 offset:1344
	s_waitcnt vmcnt(57) lgkmcnt(1)
	v_mul_f64 v[101:102], v[9:10], v[88:89]
	v_mul_f64 v[88:89], v[11:12], v[88:89]
	s_waitcnt vmcnt(56)
	v_fma_f64 v[71:72], v[1:2], v[98:99], -v[71:72]
	v_fma_f64 v[65:66], v[3:4], v[98:99], v[65:66]
	v_add_f64 v[13:14], v[13:14], v[94:95]
	v_add_f64 v[15:16], v[15:16], v[63:64]
	s_clause 0x2
	buffer_load_dword v97, off, s[0:3], 0 offset:780
	buffer_load_dword v64, off, s[0:3], 0 offset:756
	;; [unrolled: 1-line block ×3, first 2 shown]
	ds_read_b128 v[1:4], v77 offset:1360
	s_waitcnt vmcnt(58) lgkmcnt(1)
	v_mul_f64 v[98:99], v[7:8], v[105:106]
	v_mul_f64 v[94:95], v[5:6], v[105:106]
	s_waitcnt vmcnt(56)
	v_fma_f64 v[88:89], v[9:10], v[82:83], -v[88:89]
	v_add_f64 v[13:14], v[13:14], v[71:72]
	v_fma_f64 v[71:72], v[11:12], v[82:83], v[101:102]
	v_add_f64 v[15:16], v[15:16], v[65:66]
	s_clause 0x4
	buffer_load_dword v66, off, s[0:3], 0 offset:796
	buffer_load_dword v82, off, s[0:3], 0 offset:808
	;; [unrolled: 1-line block ×5, first 2 shown]
	ds_read_b128 v[9:12], v77 offset:1376
	s_waitcnt vmcnt(57) lgkmcnt(1)
	v_mul_f64 v[109:110], v[1:2], v[25:26]
	v_mul_f64 v[25:26], v[3:4], v[25:26]
	s_waitcnt vmcnt(56)
	v_fma_f64 v[98:99], v[5:6], v[107:108], -v[98:99]
	v_add_f64 v[13:14], v[13:14], v[88:89]
	v_fma_f64 v[88:89], v[7:8], v[107:108], v[94:95]
	v_add_f64 v[15:16], v[15:16], v[71:72]
	s_clause 0x2
	buffer_load_dword v83, off, s[0:3], 0 offset:812
	buffer_load_dword v72, off, s[0:3], 0 offset:788
	;; [unrolled: 1-line block ×3, first 2 shown]
	ds_read_b128 v[5:8], v77 offset:1392
	s_waitcnt vmcnt(58) lgkmcnt(1)
	v_mul_f64 v[94:95], v[9:10], v[90:91]
	v_mul_f64 v[90:91], v[11:12], v[90:91]
	s_waitcnt vmcnt(56)
	v_fma_f64 v[25:26], v[1:2], v[19:20], -v[25:26]
	v_fma_f64 v[19:20], v[3:4], v[19:20], v[109:110]
	v_add_f64 v[13:14], v[13:14], v[98:99]
	v_add_f64 v[15:16], v[15:16], v[88:89]
	s_clause 0x2
	buffer_load_dword v89, off, s[0:3], 0 offset:828
	buffer_load_dword v88, off, s[0:3], 0 offset:824
	;; [unrolled: 1-line block ×3, first 2 shown]
	ds_read_b128 v[1:4], v77 offset:1408
	s_waitcnt vmcnt(55) lgkmcnt(1)
	v_mul_f64 v[98:99], v[5:6], v[78:79]
	v_mul_f64 v[78:79], v[7:8], v[78:79]
	s_waitcnt vmcnt(54)
	v_fma_f64 v[90:91], v[9:10], v[103:104], -v[90:91]
	v_add_f64 v[13:14], v[13:14], v[25:26]
	v_fma_f64 v[25:26], v[11:12], v[103:104], v[94:95]
	v_add_f64 v[15:16], v[15:16], v[19:20]
	s_clause 0x1
	buffer_load_dword v20, off, s[0:3], 0 offset:820
	buffer_load_dword v19, off, s[0:3], 0 offset:816
	ds_read_b128 v[9:12], v77 offset:1424
	s_waitcnt vmcnt(55) lgkmcnt(1)
	v_mul_f64 v[94:95], v[1:2], v[80:81]
	v_mul_f64 v[80:81], v[3:4], v[80:81]
	s_waitcnt vmcnt(53)
	v_fma_f64 v[78:79], v[5:6], v[21:22], -v[78:79]
	v_fma_f64 v[21:22], v[7:8], v[21:22], v[98:99]
	ds_read_b128 v[5:8], v77 offset:1440
	v_add_f64 v[13:14], v[13:14], v[90:91]
	v_add_f64 v[15:16], v[15:16], v[25:26]
	s_waitcnt vmcnt(49) lgkmcnt(1)
	v_mul_f64 v[25:26], v[9:10], v[17:18]
	v_mul_f64 v[17:18], v[11:12], v[17:18]
	s_waitcnt vmcnt(48)
	v_fma_f64 v[80:81], v[1:2], v[92:93], -v[80:81]
	v_add_f64 v[13:14], v[13:14], v[78:79]
	v_fma_f64 v[78:79], v[3:4], v[92:93], v[94:95]
	v_add_f64 v[15:16], v[15:16], v[21:22]
	s_clause 0x3
	buffer_load_dword v21, off, s[0:3], 0 offset:240
	buffer_load_dword v22, off, s[0:3], 0 offset:244
	;; [unrolled: 1-line block ×4, first 2 shown]
	ds_read_b128 v[1:4], v77 offset:1456
	s_waitcnt vmcnt(51) lgkmcnt(1)
	v_mul_f64 v[92:93], v[5:6], v[53:54]
	v_mul_f64 v[53:54], v[7:8], v[53:54]
	s_waitcnt vmcnt(49)
	v_fma_f64 v[17:18], v[9:10], v[27:28], -v[17:18]
	v_fma_f64 v[25:26], v[11:12], v[27:28], v[25:26]
	ds_read_b128 v[9:12], v77 offset:1472
	v_add_f64 v[13:14], v[13:14], v[80:81]
	v_add_f64 v[15:16], v[15:16], v[78:79]
	s_waitcnt vmcnt(45) lgkmcnt(1)
	v_mul_f64 v[27:28], v[1:2], v[23:24]
	v_mul_f64 v[23:24], v[3:4], v[23:24]
	s_waitcnt vmcnt(44)
	v_fma_f64 v[53:54], v[5:6], v[86:87], -v[53:54]
	v_add_f64 v[13:14], v[13:14], v[17:18]
	v_fma_f64 v[17:18], v[7:8], v[86:87], v[92:93]
	v_add_f64 v[15:16], v[15:16], v[25:26]
	s_waitcnt vmcnt(43) lgkmcnt(0)
	v_mul_f64 v[25:26], v[9:10], v[59:60]
	v_mul_f64 v[59:60], v[11:12], v[59:60]
	ds_read_b128 v[5:8], v77 offset:1488
	s_waitcnt vmcnt(41)
	v_fma_f64 v[27:28], v[3:4], v[33:34], v[27:28]
	v_fma_f64 v[23:24], v[1:2], v[33:34], -v[23:24]
	ds_read_b128 v[1:4], v77 offset:1504
	v_add_f64 v[13:14], v[13:14], v[53:54]
	v_add_f64 v[15:16], v[15:16], v[17:18]
	s_waitcnt vmcnt(37) lgkmcnt(1)
	v_mul_f64 v[17:18], v[5:6], v[29:30]
	v_mul_f64 v[29:30], v[7:8], v[29:30]
	s_waitcnt vmcnt(36)
	v_fma_f64 v[33:34], v[9:10], v[61:62], -v[59:60]
	v_add_f64 v[13:14], v[13:14], v[23:24]
	v_fma_f64 v[23:24], v[11:12], v[61:62], v[25:26]
	v_add_f64 v[15:16], v[15:16], v[27:28]
	ds_read_b128 v[9:12], v77 offset:1520
	s_waitcnt vmcnt(35) lgkmcnt(1)
	v_mul_f64 v[27:28], v[3:4], v[67:68]
	v_mul_f64 v[25:26], v[1:2], v[67:68]
	s_waitcnt vmcnt(33)
	v_fma_f64 v[29:30], v[5:6], v[31:32], -v[29:30]
	v_fma_f64 v[17:18], v[7:8], v[31:32], v[17:18]
	ds_read_b128 v[5:8], v77 offset:1536
	v_add_f64 v[13:14], v[13:14], v[33:34]
	v_add_f64 v[15:16], v[15:16], v[23:24]
	s_waitcnt vmcnt(29) lgkmcnt(1)
	v_mul_f64 v[31:32], v[11:12], v[35:36]
	s_waitcnt vmcnt(28)
	v_fma_f64 v[27:28], v[1:2], v[69:70], -v[27:28]
	v_mul_f64 v[23:24], v[9:10], v[35:36]
	v_fma_f64 v[25:26], v[3:4], v[69:70], v[25:26]
	ds_read_b128 v[1:4], v77 offset:1552
	v_add_f64 v[13:14], v[13:14], v[29:30]
	v_add_f64 v[15:16], v[15:16], v[17:18]
	s_waitcnt vmcnt(27) lgkmcnt(1)
	v_mul_f64 v[29:30], v[7:8], v[73:74]
	v_mul_f64 v[17:18], v[5:6], v[73:74]
	s_waitcnt vmcnt(25)
	v_fma_f64 v[31:32], v[9:10], v[55:56], -v[31:32]
	v_fma_f64 v[23:24], v[11:12], v[55:56], v[23:24]
	ds_read_b128 v[9:12], v77 offset:1568
	v_add_f64 v[13:14], v[13:14], v[27:28]
	v_add_f64 v[15:16], v[15:16], v[25:26]
	s_waitcnt vmcnt(21) lgkmcnt(1)
	v_mul_f64 v[27:28], v[3:4], v[57:58]
	s_waitcnt vmcnt(20)
	v_fma_f64 v[29:30], v[5:6], v[75:76], -v[29:30]
	v_mul_f64 v[25:26], v[1:2], v[57:58]
	v_fma_f64 v[17:18], v[7:8], v[75:76], v[17:18]
	ds_read_b128 v[5:8], v77 offset:1584
	v_add_f64 v[13:14], v[13:14], v[31:32]
	v_add_f64 v[15:16], v[15:16], v[23:24]
	;; [unrolled: 18-line block ×3, first 2 shown]
	s_waitcnt vmcnt(11) lgkmcnt(1)
	v_mul_f64 v[27:28], v[3:4], v[82:83]
	v_mul_f64 v[25:26], v[1:2], v[82:83]
	s_waitcnt vmcnt(9)
	v_fma_f64 v[5:6], v[5:6], v[71:72], -v[29:30]
	v_fma_f64 v[7:8], v[7:8], v[71:72], v[17:18]
	v_add_f64 v[13:14], v[13:14], v[31:32]
	v_add_f64 v[15:16], v[15:16], v[23:24]
	s_waitcnt vmcnt(7) lgkmcnt(0)
	v_mul_f64 v[23:24], v[11:12], v[88:89]
	s_waitcnt vmcnt(6)
	v_fma_f64 v[1:2], v[1:2], v[105:106], -v[27:28]
	v_mul_f64 v[17:18], v[9:10], v[88:89]
	v_fma_f64 v[3:4], v[3:4], v[105:106], v[25:26]
	v_add_f64 v[5:6], v[13:14], v[5:6]
	v_add_f64 v[7:8], v[15:16], v[7:8]
	s_waitcnt vmcnt(4)
	v_fma_f64 v[9:10], v[9:10], v[19:20], -v[23:24]
	v_add_f64 v[1:2], v[5:6], v[1:2]
	v_fma_f64 v[5:6], v[11:12], v[19:20], v[17:18]
	v_add_f64 v[3:4], v[7:8], v[3:4]
	v_add_f64 v[1:2], v[1:2], v[9:10]
	;; [unrolled: 1-line block ×3, first 2 shown]
	s_waitcnt vmcnt(2)
	v_add_f64 v[1:2], v[21:22], -v[1:2]
	s_waitcnt vmcnt(0)
	v_add_f64 v[3:4], v[90:91], -v[3:4]
	buffer_store_dword v2, off, s[0:3], 0 offset:244
	buffer_store_dword v1, off, s[0:3], 0 offset:240
	buffer_store_dword v4, off, s[0:3], 0 offset:252
	buffer_store_dword v3, off, s[0:3], 0 offset:248
	v_cmpx_lt_u32_e32 13, v0
	s_cbranch_execz .LBB50_293
; %bb.292:
	v_mov_b32_e32 v4, s50
	v_mov_b32_e32 v5, 0
	s_clause 0x3
	buffer_load_dword v1, v4, s[0:3], 0 offen
	buffer_load_dword v2, v4, s[0:3], 0 offen offset:4
	buffer_load_dword v3, v4, s[0:3], 0 offen offset:8
	;; [unrolled: 1-line block ×3, first 2 shown]
	buffer_store_dword v5, off, s[0:3], 0 offset:224
	buffer_store_dword v5, off, s[0:3], 0 offset:228
	;; [unrolled: 1-line block ×4, first 2 shown]
	s_waitcnt vmcnt(0)
	ds_write_b128 v85, v[1:4]
.LBB50_293:
	s_or_b32 exec_lo, exec_lo, s4
	s_waitcnt lgkmcnt(0)
	s_waitcnt_vscnt null, 0x0
	s_barrier
	buffer_gl0_inv
	s_clause 0x37
	buffer_load_dword v9, off, s[0:3], 0 offset:248
	buffer_load_dword v10, off, s[0:3], 0 offset:252
	;; [unrolled: 1-line block ×56, first 2 shown]
	v_mov_b32_e32 v77, 0
	s_mov_b32 s4, exec_lo
	ds_read_b128 v[78:81], v77 offset:1040
	s_clause 0x2
	buffer_load_dword v74, off, s[0:3], 0 offset:476
	buffer_load_dword v76, off, s[0:3], 0 offset:452
	buffer_load_dword v75, off, s[0:3], 0 offset:448
	ds_read_b128 v[86:89], v77 offset:1056
	s_clause 0x4
	buffer_load_dword v95, off, s[0:3], 0 offset:492
	buffer_load_dword v96, off, s[0:3], 0 offset:504
	;; [unrolled: 1-line block ×5, first 2 shown]
	ds_read_b128 v[90:93], v77 offset:1072
	s_clause 0x2
	buffer_load_dword v97, off, s[0:3], 0 offset:508
	buffer_load_dword v102, off, s[0:3], 0 offset:484
	;; [unrolled: 1-line block ×3, first 2 shown]
	s_waitcnt vmcnt(62) lgkmcnt(2)
	v_mul_f64 v[82:83], v[80:81], v[9:10]
	v_mul_f64 v[9:10], v[78:79], v[9:10]
	s_waitcnt lgkmcnt(1)
	v_mul_f64 v[99:100], v[88:89], v[5:6]
	s_waitcnt vmcnt(59) lgkmcnt(0)
	v_mul_f64 v[103:104], v[92:93], v[3:4]
	v_fma_f64 v[78:79], v[78:79], v[7:8], -v[82:83]
	v_mul_f64 v[82:83], v[86:87], v[5:6]
	v_fma_f64 v[9:10], v[80:81], v[7:8], v[9:10]
	s_waitcnt vmcnt(57)
	v_fma_f64 v[86:87], v[86:87], v[1:2], -v[99:100]
	ds_read_b128 v[5:8], v77 offset:1088
	v_mul_f64 v[80:81], v[90:91], v[3:4]
	s_waitcnt vmcnt(51)
	v_fma_f64 v[90:91], v[90:91], v[25:26], -v[103:104]
	v_add_f64 v[78:79], v[78:79], 0
	v_fma_f64 v[82:83], v[88:89], v[1:2], v[82:83]
	v_add_f64 v[9:10], v[9:10], 0
	s_clause 0x4
	buffer_load_dword v89, off, s[0:3], 0 offset:524
	buffer_load_dword v105, off, s[0:3], 0 offset:536
	;; [unrolled: 1-line block ×5, first 2 shown]
	s_waitcnt lgkmcnt(0)
	v_mul_f64 v[108:109], v[5:6], v[13:14]
	v_mul_f64 v[13:14], v[7:8], v[13:14]
	ds_read_b128 v[1:4], v77 offset:1104
	v_fma_f64 v[25:26], v[92:93], v[25:26], v[80:81]
	v_add_f64 v[86:87], v[78:79], v[86:87]
	v_add_f64 v[9:10], v[9:10], v[82:83]
	s_clause 0x2
	buffer_load_dword v106, off, s[0:3], 0 offset:540
	buffer_load_dword v83, off, s[0:3], 0 offset:516
	;; [unrolled: 1-line block ×3, first 2 shown]
	s_waitcnt vmcnt(58) lgkmcnt(0)
	v_mul_f64 v[92:93], v[1:2], v[17:18]
	v_mul_f64 v[17:18], v[3:4], v[17:18]
	s_waitcnt vmcnt(56)
	v_fma_f64 v[13:14], v[5:6], v[19:20], -v[13:14]
	ds_read_b128 v[78:81], v77 offset:1120
	v_fma_f64 v[19:20], v[7:8], v[19:20], v[108:109]
	v_add_f64 v[86:87], v[86:87], v[90:91]
	v_add_f64 v[9:10], v[9:10], v[25:26]
	s_clause 0x4
	buffer_load_dword v26, off, s[0:3], 0 offset:556
	buffer_load_dword v90, off, s[0:3], 0 offset:568
	;; [unrolled: 1-line block ×5, first 2 shown]
	ds_read_b128 v[5:8], v77 offset:1136
	s_waitcnt vmcnt(57) lgkmcnt(1)
	v_mul_f64 v[109:110], v[78:79], v[21:22]
	v_mul_f64 v[21:22], v[80:81], v[21:22]
	s_waitcnt vmcnt(56)
	v_fma_f64 v[17:18], v[1:2], v[11:12], -v[17:18]
	v_fma_f64 v[11:12], v[3:4], v[11:12], v[92:93]
	v_add_f64 v[13:14], v[86:87], v[13:14]
	v_add_f64 v[9:10], v[9:10], v[19:20]
	s_clause 0x2
	buffer_load_dword v91, off, s[0:3], 0 offset:572
	buffer_load_dword v20, off, s[0:3], 0 offset:548
	buffer_load_dword v19, off, s[0:3], 0 offset:544
	s_waitcnt vmcnt(58) lgkmcnt(0)
	v_mul_f64 v[86:87], v[5:6], v[27:28]
	v_mul_f64 v[27:28], v[7:8], v[27:28]
	s_waitcnt vmcnt(56)
	v_fma_f64 v[21:22], v[78:79], v[29:30], -v[21:22]
	ds_read_b128 v[1:4], v77 offset:1152
	v_add_f64 v[13:14], v[13:14], v[17:18]
	v_fma_f64 v[17:18], v[80:81], v[29:30], v[109:110]
	v_add_f64 v[29:30], v[9:10], v[11:12]
	s_clause 0x4
	buffer_load_dword v79, off, s[0:3], 0 offset:588
	buffer_load_dword v80, off, s[0:3], 0 offset:600
	;; [unrolled: 1-line block ×5, first 2 shown]
	ds_read_b128 v[9:12], v77 offset:1168
	s_waitcnt vmcnt(57) lgkmcnt(1)
	v_mul_f64 v[109:110], v[1:2], v[31:32]
	v_mul_f64 v[31:32], v[3:4], v[31:32]
	s_waitcnt vmcnt(56)
	v_fma_f64 v[27:28], v[5:6], v[15:16], -v[27:28]
	v_fma_f64 v[15:16], v[7:8], v[15:16], v[86:87]
	v_add_f64 v[13:14], v[13:14], v[21:22]
	s_clause 0x2
	buffer_load_dword v81, off, s[0:3], 0 offset:604
	buffer_load_dword v22, off, s[0:3], 0 offset:580
	;; [unrolled: 1-line block ×3, first 2 shown]
	v_add_f64 v[17:18], v[29:30], v[17:18]
	s_waitcnt vmcnt(58) lgkmcnt(0)
	v_mul_f64 v[29:30], v[9:10], v[35:36]
	v_mul_f64 v[35:36], v[11:12], v[35:36]
	ds_read_b128 v[5:8], v77 offset:1184
	s_waitcnt vmcnt(56)
	v_fma_f64 v[31:32], v[1:2], v[53:54], -v[31:32]
	v_add_f64 v[13:14], v[13:14], v[27:28]
	v_fma_f64 v[27:28], v[3:4], v[53:54], v[109:110]
	v_add_f64 v[15:16], v[17:18], v[15:16]
	s_clause 0x4
	buffer_load_dword v18, off, s[0:3], 0 offset:620
	buffer_load_dword v53, off, s[0:3], 0 offset:632
	;; [unrolled: 1-line block ×5, first 2 shown]
	s_waitcnt vmcnt(57) lgkmcnt(0)
	v_mul_f64 v[109:110], v[5:6], v[55:56]
	v_mul_f64 v[55:56], v[7:8], v[55:56]
	s_waitcnt vmcnt(56)
	v_fma_f64 v[35:36], v[9:10], v[23:24], -v[35:36]
	ds_read_b128 v[1:4], v77 offset:1200
	v_fma_f64 v[23:24], v[11:12], v[23:24], v[29:30]
	v_add_f64 v[13:14], v[13:14], v[31:32]
	v_add_f64 v[15:16], v[15:16], v[27:28]
	s_clause 0x2
	buffer_load_dword v54, off, s[0:3], 0 offset:636
	buffer_load_dword v28, off, s[0:3], 0 offset:612
	;; [unrolled: 1-line block ×3, first 2 shown]
	ds_read_b128 v[9:12], v77 offset:1216
	s_waitcnt vmcnt(58) lgkmcnt(1)
	v_mul_f64 v[31:32], v[3:4], v[59:60]
	s_waitcnt vmcnt(56)
	v_fma_f64 v[55:56], v[5:6], v[61:62], -v[55:56]
	v_mul_f64 v[29:30], v[1:2], v[59:60]
	v_add_f64 v[13:14], v[13:14], v[35:36]
	v_fma_f64 v[35:36], v[7:8], v[61:62], v[109:110]
	v_add_f64 v[15:16], v[15:16], v[23:24]
	s_clause 0x4
	buffer_load_dword v24, off, s[0:3], 0 offset:652
	buffer_load_dword v59, off, s[0:3], 0 offset:664
	;; [unrolled: 1-line block ×5, first 2 shown]
	s_waitcnt vmcnt(57) lgkmcnt(0)
	v_mul_f64 v[109:110], v[9:10], v[63:64]
	v_mul_f64 v[62:63], v[11:12], v[63:64]
	s_waitcnt vmcnt(56)
	v_fma_f64 v[31:32], v[1:2], v[33:34], -v[31:32]
	ds_read_b128 v[5:8], v77 offset:1232
	v_fma_f64 v[29:30], v[3:4], v[33:34], v[29:30]
	s_clause 0x2
	buffer_load_dword v60, off, s[0:3], 0 offset:668
	buffer_load_dword v34, off, s[0:3], 0 offset:644
	;; [unrolled: 1-line block ×3, first 2 shown]
	ds_read_b128 v[1:4], v77 offset:1248
	v_add_f64 v[13:14], v[13:14], v[55:56]
	v_add_f64 v[15:16], v[15:16], v[35:36]
	s_waitcnt vmcnt(58) lgkmcnt(1)
	v_mul_f64 v[55:56], v[7:8], v[67:68]
	s_waitcnt vmcnt(56)
	v_fma_f64 v[63:64], v[9:10], v[69:70], -v[62:63]
	v_mul_f64 v[35:36], v[5:6], v[67:68]
	v_add_f64 v[13:14], v[13:14], v[31:32]
	v_fma_f64 v[31:32], v[11:12], v[69:70], v[109:110]
	v_add_f64 v[15:16], v[15:16], v[29:30]
	s_clause 0x4
	buffer_load_dword v30, off, s[0:3], 0 offset:684
	buffer_load_dword v67, off, s[0:3], 0 offset:696
	;; [unrolled: 1-line block ×5, first 2 shown]
	s_waitcnt vmcnt(57) lgkmcnt(0)
	v_mul_f64 v[109:110], v[1:2], v[71:72]
	v_mul_f64 v[70:71], v[3:4], v[71:72]
	s_waitcnt vmcnt(56)
	v_fma_f64 v[55:56], v[5:6], v[57:58], -v[55:56]
	ds_read_b128 v[9:12], v77 offset:1264
	v_fma_f64 v[35:36], v[7:8], v[57:58], v[35:36]
	v_add_f64 v[13:14], v[13:14], v[63:64]
	v_add_f64 v[15:16], v[15:16], v[31:32]
	s_clause 0x2
	buffer_load_dword v68, off, s[0:3], 0 offset:700
	buffer_load_dword v32, off, s[0:3], 0 offset:676
	;; [unrolled: 1-line block ×3, first 2 shown]
	ds_read_b128 v[5:8], v77 offset:1280
	s_waitcnt vmcnt(58) lgkmcnt(1)
	v_mul_f64 v[63:64], v[11:12], v[73:74]
	s_waitcnt vmcnt(56)
	v_fma_f64 v[71:72], v[1:2], v[75:76], -v[70:71]
	v_mul_f64 v[57:58], v[9:10], v[73:74]
	v_add_f64 v[13:14], v[13:14], v[55:56]
	v_fma_f64 v[55:56], v[3:4], v[75:76], v[109:110]
	v_add_f64 v[15:16], v[15:16], v[35:36]
	s_clause 0x4
	buffer_load_dword v36, off, s[0:3], 0 offset:716
	buffer_load_dword v73, off, s[0:3], 0 offset:728
	;; [unrolled: 1-line block ×5, first 2 shown]
	s_waitcnt vmcnt(57) lgkmcnt(0)
	v_mul_f64 v[109:110], v[5:6], v[94:95]
	v_mul_f64 v[94:95], v[7:8], v[94:95]
	s_waitcnt vmcnt(56)
	v_fma_f64 v[63:64], v[9:10], v[65:66], -v[63:64]
	ds_read_b128 v[1:4], v77 offset:1296
	v_fma_f64 v[57:58], v[11:12], v[65:66], v[57:58]
	v_add_f64 v[13:14], v[13:14], v[71:72]
	v_add_f64 v[15:16], v[15:16], v[55:56]
	s_clause 0x2
	buffer_load_dword v74, off, s[0:3], 0 offset:732
	buffer_load_dword v56, off, s[0:3], 0 offset:708
	;; [unrolled: 1-line block ×3, first 2 shown]
	ds_read_b128 v[9:12], v77 offset:1312
	s_waitcnt vmcnt(58) lgkmcnt(1)
	v_mul_f64 v[71:72], v[3:4], v[96:97]
	s_waitcnt vmcnt(56)
	v_fma_f64 v[94:95], v[5:6], v[101:102], -v[94:95]
	v_mul_f64 v[65:66], v[1:2], v[96:97]
	v_add_f64 v[13:14], v[13:14], v[63:64]
	v_fma_f64 v[63:64], v[7:8], v[101:102], v[109:110]
	v_add_f64 v[15:16], v[15:16], v[57:58]
	s_clause 0x4
	buffer_load_dword v58, off, s[0:3], 0 offset:748
	buffer_load_dword v96, off, s[0:3], 0 offset:760
	;; [unrolled: 1-line block ×5, first 2 shown]
	ds_read_b128 v[5:8], v77 offset:1328
	s_waitcnt vmcnt(57) lgkmcnt(1)
	v_mul_f64 v[101:102], v[9:10], v[88:89]
	v_mul_f64 v[88:89], v[11:12], v[88:89]
	s_waitcnt vmcnt(56)
	v_fma_f64 v[71:72], v[1:2], v[98:99], -v[71:72]
	v_fma_f64 v[65:66], v[3:4], v[98:99], v[65:66]
	v_add_f64 v[13:14], v[13:14], v[94:95]
	v_add_f64 v[15:16], v[15:16], v[63:64]
	s_clause 0x2
	buffer_load_dword v97, off, s[0:3], 0 offset:764
	buffer_load_dword v64, off, s[0:3], 0 offset:740
	;; [unrolled: 1-line block ×3, first 2 shown]
	ds_read_b128 v[1:4], v77 offset:1344
	s_waitcnt vmcnt(58) lgkmcnt(1)
	v_mul_f64 v[98:99], v[7:8], v[105:106]
	v_mul_f64 v[94:95], v[5:6], v[105:106]
	s_waitcnt vmcnt(56)
	v_fma_f64 v[88:89], v[9:10], v[82:83], -v[88:89]
	v_add_f64 v[13:14], v[13:14], v[71:72]
	v_fma_f64 v[71:72], v[11:12], v[82:83], v[101:102]
	v_add_f64 v[15:16], v[15:16], v[65:66]
	s_clause 0x4
	buffer_load_dword v66, off, s[0:3], 0 offset:780
	buffer_load_dword v82, off, s[0:3], 0 offset:792
	;; [unrolled: 1-line block ×5, first 2 shown]
	ds_read_b128 v[9:12], v77 offset:1360
	s_waitcnt vmcnt(57) lgkmcnt(1)
	v_mul_f64 v[109:110], v[1:2], v[25:26]
	v_mul_f64 v[25:26], v[3:4], v[25:26]
	s_waitcnt vmcnt(56)
	v_fma_f64 v[98:99], v[5:6], v[107:108], -v[98:99]
	v_add_f64 v[13:14], v[13:14], v[88:89]
	v_fma_f64 v[88:89], v[7:8], v[107:108], v[94:95]
	v_add_f64 v[15:16], v[15:16], v[71:72]
	s_clause 0x2
	buffer_load_dword v83, off, s[0:3], 0 offset:796
	buffer_load_dword v72, off, s[0:3], 0 offset:772
	;; [unrolled: 1-line block ×3, first 2 shown]
	ds_read_b128 v[5:8], v77 offset:1376
	s_waitcnt vmcnt(58) lgkmcnt(1)
	v_mul_f64 v[94:95], v[9:10], v[90:91]
	v_mul_f64 v[90:91], v[11:12], v[90:91]
	s_waitcnt vmcnt(56)
	v_fma_f64 v[25:26], v[1:2], v[19:20], -v[25:26]
	v_fma_f64 v[19:20], v[3:4], v[19:20], v[109:110]
	v_add_f64 v[13:14], v[13:14], v[98:99]
	v_add_f64 v[15:16], v[15:16], v[88:89]
	s_clause 0x4
	buffer_load_dword v89, off, s[0:3], 0 offset:812
	buffer_load_dword v98, off, s[0:3], 0 offset:824
	;; [unrolled: 1-line block ×5, first 2 shown]
	ds_read_b128 v[1:4], v77 offset:1392
	s_waitcnt vmcnt(57) lgkmcnt(1)
	v_mul_f64 v[107:108], v[5:6], v[78:79]
	v_mul_f64 v[78:79], v[7:8], v[78:79]
	s_waitcnt vmcnt(56)
	v_fma_f64 v[90:91], v[9:10], v[103:104], -v[90:91]
	v_add_f64 v[13:14], v[13:14], v[25:26]
	v_fma_f64 v[25:26], v[11:12], v[103:104], v[94:95]
	v_add_f64 v[15:16], v[15:16], v[19:20]
	s_clause 0x2
	buffer_load_dword v99, off, s[0:3], 0 offset:828
	buffer_load_dword v20, off, s[0:3], 0 offset:804
	;; [unrolled: 1-line block ×3, first 2 shown]
	ds_read_b128 v[9:12], v77 offset:1408
	buffer_load_dword v103, off, s[0:3], 0 offset:820
	s_waitcnt vmcnt(59) lgkmcnt(1)
	v_mul_f64 v[94:95], v[1:2], v[80:81]
	v_mul_f64 v[80:81], v[3:4], v[80:81]
	s_waitcnt vmcnt(57)
	v_fma_f64 v[78:79], v[5:6], v[21:22], -v[78:79]
	v_fma_f64 v[21:22], v[7:8], v[21:22], v[107:108]
	ds_read_b128 v[5:8], v77 offset:1424
	v_add_f64 v[13:14], v[13:14], v[90:91]
	v_add_f64 v[15:16], v[15:16], v[25:26]
	s_waitcnt vmcnt(53) lgkmcnt(1)
	v_mul_f64 v[25:26], v[9:10], v[17:18]
	v_mul_f64 v[17:18], v[11:12], v[17:18]
	s_waitcnt vmcnt(52)
	v_fma_f64 v[80:81], v[1:2], v[92:93], -v[80:81]
	v_add_f64 v[13:14], v[13:14], v[78:79]
	v_fma_f64 v[78:79], v[3:4], v[92:93], v[94:95]
	v_add_f64 v[15:16], v[15:16], v[21:22]
	ds_read_b128 v[1:4], v77 offset:1440
	s_waitcnt vmcnt(51) lgkmcnt(1)
	v_mul_f64 v[21:22], v[5:6], v[53:54]
	v_mul_f64 v[53:54], v[7:8], v[53:54]
	s_waitcnt vmcnt(49)
	v_fma_f64 v[17:18], v[9:10], v[27:28], -v[17:18]
	v_fma_f64 v[25:26], v[11:12], v[27:28], v[25:26]
	v_add_f64 v[13:14], v[13:14], v[80:81]
	v_add_f64 v[15:16], v[15:16], v[78:79]
	s_clause 0x3
	buffer_load_dword v27, off, s[0:3], 0 offset:224
	buffer_load_dword v28, off, s[0:3], 0 offset:228
	;; [unrolled: 1-line block ×4, first 2 shown]
	ds_read_b128 v[9:12], v77 offset:1456
	s_waitcnt vmcnt(49) lgkmcnt(1)
	v_mul_f64 v[80:81], v[1:2], v[23:24]
	v_mul_f64 v[23:24], v[3:4], v[23:24]
	s_waitcnt vmcnt(48)
	v_fma_f64 v[53:54], v[5:6], v[86:87], -v[53:54]
	v_add_f64 v[13:14], v[13:14], v[17:18]
	v_fma_f64 v[17:18], v[7:8], v[86:87], v[21:22]
	v_add_f64 v[15:16], v[15:16], v[25:26]
	ds_read_b128 v[5:8], v77 offset:1472
	s_waitcnt vmcnt(47) lgkmcnt(1)
	v_mul_f64 v[25:26], v[11:12], v[59:60]
	v_mul_f64 v[21:22], v[9:10], v[59:60]
	s_waitcnt vmcnt(45)
	v_fma_f64 v[23:24], v[1:2], v[33:34], -v[23:24]
	v_fma_f64 v[33:34], v[3:4], v[33:34], v[80:81]
	ds_read_b128 v[1:4], v77 offset:1488
	v_add_f64 v[13:14], v[13:14], v[53:54]
	v_add_f64 v[15:16], v[15:16], v[17:18]
	s_waitcnt vmcnt(41) lgkmcnt(1)
	v_mul_f64 v[17:18], v[5:6], v[29:30]
	v_mul_f64 v[29:30], v[7:8], v[29:30]
	s_waitcnt vmcnt(40)
	v_fma_f64 v[25:26], v[9:10], v[61:62], -v[25:26]
	v_fma_f64 v[21:22], v[11:12], v[61:62], v[21:22]
	ds_read_b128 v[9:12], v77 offset:1504
	v_add_f64 v[13:14], v[13:14], v[23:24]
	v_add_f64 v[15:16], v[15:16], v[33:34]
	;; [unrolled: 9-line block ×3, first 2 shown]
	s_waitcnt vmcnt(33) lgkmcnt(1)
	v_mul_f64 v[25:26], v[11:12], v[35:36]
	s_waitcnt vmcnt(32)
	v_fma_f64 v[31:32], v[1:2], v[69:70], -v[33:34]
	v_mul_f64 v[21:22], v[9:10], v[35:36]
	v_fma_f64 v[23:24], v[3:4], v[69:70], v[23:24]
	ds_read_b128 v[1:4], v77 offset:1536
	v_add_f64 v[13:14], v[13:14], v[29:30]
	v_add_f64 v[15:16], v[15:16], v[17:18]
	s_waitcnt vmcnt(31) lgkmcnt(1)
	v_mul_f64 v[29:30], v[7:8], v[73:74]
	v_mul_f64 v[17:18], v[5:6], v[73:74]
	s_waitcnt vmcnt(29)
	v_fma_f64 v[25:26], v[9:10], v[55:56], -v[25:26]
	v_fma_f64 v[21:22], v[11:12], v[55:56], v[21:22]
	ds_read_b128 v[9:12], v77 offset:1552
	v_add_f64 v[13:14], v[13:14], v[31:32]
	v_add_f64 v[15:16], v[15:16], v[23:24]
	s_waitcnt vmcnt(25) lgkmcnt(1)
	v_mul_f64 v[31:32], v[3:4], v[57:58]
	s_waitcnt vmcnt(24)
	v_fma_f64 v[29:30], v[5:6], v[75:76], -v[29:30]
	v_mul_f64 v[23:24], v[1:2], v[57:58]
	v_fma_f64 v[17:18], v[7:8], v[75:76], v[17:18]
	ds_read_b128 v[5:8], v77 offset:1568
	v_add_f64 v[13:14], v[13:14], v[25:26]
	v_add_f64 v[15:16], v[15:16], v[21:22]
	s_waitcnt vmcnt(23) lgkmcnt(1)
	v_mul_f64 v[25:26], v[11:12], v[96:97]
	v_mul_f64 v[21:22], v[9:10], v[96:97]
	s_waitcnt vmcnt(21)
	v_fma_f64 v[31:32], v[1:2], v[63:64], -v[31:32]
	v_fma_f64 v[23:24], v[3:4], v[63:64], v[23:24]
	ds_read_b128 v[1:4], v77 offset:1584
	v_add_f64 v[13:14], v[13:14], v[29:30]
	v_add_f64 v[15:16], v[15:16], v[17:18]
	;; [unrolled: 18-line block ×3, first 2 shown]
	s_waitcnt vmcnt(9) lgkmcnt(1)
	v_mul_f64 v[25:26], v[11:12], v[88:89]
	s_waitcnt vmcnt(8)
	v_fma_f64 v[1:2], v[1:2], v[105:106], -v[31:32]
	v_mul_f64 v[21:22], v[9:10], v[88:89]
	v_fma_f64 v[3:4], v[3:4], v[105:106], v[23:24]
	v_add_f64 v[13:14], v[13:14], v[29:30]
	v_add_f64 v[15:16], v[15:16], v[17:18]
	s_waitcnt vmcnt(7) lgkmcnt(0)
	v_mul_f64 v[23:24], v[7:8], v[98:99]
	v_mul_f64 v[17:18], v[5:6], v[98:99]
	s_waitcnt vmcnt(5)
	v_fma_f64 v[9:10], v[9:10], v[19:20], -v[25:26]
	v_fma_f64 v[11:12], v[11:12], v[19:20], v[21:22]
	v_add_f64 v[1:2], v[13:14], v[1:2]
	v_add_f64 v[3:4], v[15:16], v[3:4]
	s_waitcnt vmcnt(4)
	v_fma_f64 v[5:6], v[5:6], v[102:103], -v[23:24]
	v_fma_f64 v[7:8], v[7:8], v[102:103], v[17:18]
	v_add_f64 v[1:2], v[1:2], v[9:10]
	v_add_f64 v[3:4], v[3:4], v[11:12]
	v_add_f64 v[1:2], v[1:2], v[5:6]
	v_add_f64 v[3:4], v[3:4], v[7:8]
	s_waitcnt vmcnt(2)
	v_add_f64 v[1:2], v[27:28], -v[1:2]
	s_waitcnt vmcnt(0)
	v_add_f64 v[3:4], v[78:79], -v[3:4]
	buffer_store_dword v2, off, s[0:3], 0 offset:228
	buffer_store_dword v1, off, s[0:3], 0 offset:224
	;; [unrolled: 1-line block ×4, first 2 shown]
	v_cmpx_lt_u32_e32 12, v0
	s_cbranch_execz .LBB50_295
; %bb.294:
	v_mov_b32_e32 v4, s51
	s_clause 0x3
	buffer_load_dword v1, v4, s[0:3], 0 offen
	buffer_load_dword v2, v4, s[0:3], 0 offen offset:4
	buffer_load_dword v3, v4, s[0:3], 0 offen offset:8
	;; [unrolled: 1-line block ×3, first 2 shown]
	buffer_store_dword v77, off, s[0:3], 0 offset:208
	buffer_store_dword v77, off, s[0:3], 0 offset:212
	buffer_store_dword v77, off, s[0:3], 0 offset:216
	buffer_store_dword v77, off, s[0:3], 0 offset:220
	s_waitcnt vmcnt(0)
	ds_write_b128 v85, v[1:4]
.LBB50_295:
	s_or_b32 exec_lo, exec_lo, s4
	s_waitcnt lgkmcnt(0)
	s_waitcnt_vscnt null, 0x0
	s_barrier
	buffer_gl0_inv
	s_clause 0x37
	buffer_load_dword v9, off, s[0:3], 0 offset:232
	buffer_load_dword v10, off, s[0:3], 0 offset:236
	;; [unrolled: 1-line block ×56, first 2 shown]
	ds_read_b128 v[78:81], v77 offset:1024
	s_clause 0x2
	buffer_load_dword v74, off, s[0:3], 0 offset:460
	buffer_load_dword v76, off, s[0:3], 0 offset:436
	;; [unrolled: 1-line block ×3, first 2 shown]
	ds_read_b128 v[86:89], v77 offset:1040
	s_clause 0x4
	buffer_load_dword v95, off, s[0:3], 0 offset:476
	buffer_load_dword v96, off, s[0:3], 0 offset:488
	;; [unrolled: 1-line block ×5, first 2 shown]
	ds_read_b128 v[90:93], v77 offset:1056
	s_clause 0x2
	buffer_load_dword v97, off, s[0:3], 0 offset:492
	buffer_load_dword v102, off, s[0:3], 0 offset:468
	;; [unrolled: 1-line block ×3, first 2 shown]
	s_mov_b32 s4, exec_lo
	s_waitcnt vmcnt(62) lgkmcnt(2)
	v_mul_f64 v[82:83], v[80:81], v[9:10]
	v_mul_f64 v[9:10], v[78:79], v[9:10]
	s_waitcnt lgkmcnt(1)
	v_mul_f64 v[99:100], v[88:89], v[5:6]
	s_waitcnt vmcnt(59) lgkmcnt(0)
	v_mul_f64 v[103:104], v[92:93], v[3:4]
	v_fma_f64 v[78:79], v[78:79], v[7:8], -v[82:83]
	v_mul_f64 v[82:83], v[86:87], v[5:6]
	v_fma_f64 v[9:10], v[80:81], v[7:8], v[9:10]
	s_waitcnt vmcnt(57)
	v_fma_f64 v[86:87], v[86:87], v[1:2], -v[99:100]
	ds_read_b128 v[5:8], v77 offset:1072
	v_mul_f64 v[80:81], v[90:91], v[3:4]
	s_waitcnt vmcnt(51)
	v_fma_f64 v[90:91], v[90:91], v[25:26], -v[103:104]
	v_add_f64 v[78:79], v[78:79], 0
	v_fma_f64 v[82:83], v[88:89], v[1:2], v[82:83]
	v_add_f64 v[9:10], v[9:10], 0
	s_clause 0x4
	buffer_load_dword v89, off, s[0:3], 0 offset:508
	buffer_load_dword v105, off, s[0:3], 0 offset:520
	buffer_load_dword v107, off, s[0:3], 0 offset:512
	buffer_load_dword v88, off, s[0:3], 0 offset:504
	buffer_load_dword v99, off, s[0:3], 0 offset:484
	s_waitcnt lgkmcnt(0)
	v_mul_f64 v[108:109], v[5:6], v[13:14]
	v_mul_f64 v[13:14], v[7:8], v[13:14]
	ds_read_b128 v[1:4], v77 offset:1088
	v_fma_f64 v[25:26], v[92:93], v[25:26], v[80:81]
	v_add_f64 v[86:87], v[78:79], v[86:87]
	v_add_f64 v[9:10], v[9:10], v[82:83]
	s_clause 0x2
	buffer_load_dword v106, off, s[0:3], 0 offset:524
	buffer_load_dword v83, off, s[0:3], 0 offset:500
	;; [unrolled: 1-line block ×3, first 2 shown]
	s_waitcnt vmcnt(58) lgkmcnt(0)
	v_mul_f64 v[92:93], v[1:2], v[17:18]
	v_mul_f64 v[17:18], v[3:4], v[17:18]
	s_waitcnt vmcnt(56)
	v_fma_f64 v[13:14], v[5:6], v[19:20], -v[13:14]
	ds_read_b128 v[78:81], v77 offset:1104
	v_fma_f64 v[19:20], v[7:8], v[19:20], v[108:109]
	v_add_f64 v[86:87], v[86:87], v[90:91]
	v_add_f64 v[9:10], v[9:10], v[25:26]
	s_clause 0x4
	buffer_load_dword v26, off, s[0:3], 0 offset:540
	buffer_load_dword v90, off, s[0:3], 0 offset:552
	;; [unrolled: 1-line block ×5, first 2 shown]
	ds_read_b128 v[5:8], v77 offset:1120
	s_waitcnt vmcnt(57) lgkmcnt(1)
	v_mul_f64 v[109:110], v[78:79], v[21:22]
	v_mul_f64 v[21:22], v[80:81], v[21:22]
	s_waitcnt vmcnt(56)
	v_fma_f64 v[17:18], v[1:2], v[11:12], -v[17:18]
	v_fma_f64 v[11:12], v[3:4], v[11:12], v[92:93]
	v_add_f64 v[13:14], v[86:87], v[13:14]
	v_add_f64 v[9:10], v[9:10], v[19:20]
	s_clause 0x2
	buffer_load_dword v91, off, s[0:3], 0 offset:556
	buffer_load_dword v20, off, s[0:3], 0 offset:532
	;; [unrolled: 1-line block ×3, first 2 shown]
	s_waitcnt vmcnt(58) lgkmcnt(0)
	v_mul_f64 v[86:87], v[5:6], v[27:28]
	v_mul_f64 v[27:28], v[7:8], v[27:28]
	s_waitcnt vmcnt(56)
	v_fma_f64 v[21:22], v[78:79], v[29:30], -v[21:22]
	ds_read_b128 v[1:4], v77 offset:1136
	v_add_f64 v[13:14], v[13:14], v[17:18]
	v_fma_f64 v[17:18], v[80:81], v[29:30], v[109:110]
	v_add_f64 v[29:30], v[9:10], v[11:12]
	s_clause 0x4
	buffer_load_dword v79, off, s[0:3], 0 offset:572
	buffer_load_dword v80, off, s[0:3], 0 offset:584
	;; [unrolled: 1-line block ×5, first 2 shown]
	ds_read_b128 v[9:12], v77 offset:1152
	s_waitcnt vmcnt(57) lgkmcnt(1)
	v_mul_f64 v[109:110], v[1:2], v[31:32]
	v_mul_f64 v[31:32], v[3:4], v[31:32]
	s_waitcnt vmcnt(56)
	v_fma_f64 v[27:28], v[5:6], v[15:16], -v[27:28]
	v_fma_f64 v[15:16], v[7:8], v[15:16], v[86:87]
	v_add_f64 v[13:14], v[13:14], v[21:22]
	s_clause 0x2
	buffer_load_dword v81, off, s[0:3], 0 offset:588
	buffer_load_dword v22, off, s[0:3], 0 offset:564
	;; [unrolled: 1-line block ×3, first 2 shown]
	v_add_f64 v[17:18], v[29:30], v[17:18]
	s_waitcnt vmcnt(58) lgkmcnt(0)
	v_mul_f64 v[29:30], v[9:10], v[35:36]
	v_mul_f64 v[35:36], v[11:12], v[35:36]
	ds_read_b128 v[5:8], v77 offset:1168
	s_waitcnt vmcnt(56)
	v_fma_f64 v[31:32], v[1:2], v[53:54], -v[31:32]
	v_add_f64 v[13:14], v[13:14], v[27:28]
	v_fma_f64 v[27:28], v[3:4], v[53:54], v[109:110]
	v_add_f64 v[15:16], v[17:18], v[15:16]
	s_clause 0x4
	buffer_load_dword v18, off, s[0:3], 0 offset:604
	buffer_load_dword v53, off, s[0:3], 0 offset:616
	;; [unrolled: 1-line block ×5, first 2 shown]
	s_waitcnt vmcnt(57) lgkmcnt(0)
	v_mul_f64 v[109:110], v[5:6], v[55:56]
	v_mul_f64 v[55:56], v[7:8], v[55:56]
	s_waitcnt vmcnt(56)
	v_fma_f64 v[35:36], v[9:10], v[23:24], -v[35:36]
	ds_read_b128 v[1:4], v77 offset:1184
	v_fma_f64 v[23:24], v[11:12], v[23:24], v[29:30]
	v_add_f64 v[13:14], v[13:14], v[31:32]
	v_add_f64 v[15:16], v[15:16], v[27:28]
	s_clause 0x2
	buffer_load_dword v54, off, s[0:3], 0 offset:620
	buffer_load_dword v28, off, s[0:3], 0 offset:596
	;; [unrolled: 1-line block ×3, first 2 shown]
	ds_read_b128 v[9:12], v77 offset:1200
	s_waitcnt vmcnt(58) lgkmcnt(1)
	v_mul_f64 v[31:32], v[3:4], v[59:60]
	s_waitcnt vmcnt(56)
	v_fma_f64 v[55:56], v[5:6], v[61:62], -v[55:56]
	v_mul_f64 v[29:30], v[1:2], v[59:60]
	v_add_f64 v[13:14], v[13:14], v[35:36]
	v_fma_f64 v[35:36], v[7:8], v[61:62], v[109:110]
	v_add_f64 v[15:16], v[15:16], v[23:24]
	s_clause 0x4
	buffer_load_dword v24, off, s[0:3], 0 offset:636
	buffer_load_dword v59, off, s[0:3], 0 offset:648
	;; [unrolled: 1-line block ×5, first 2 shown]
	s_waitcnt vmcnt(57) lgkmcnt(0)
	v_mul_f64 v[109:110], v[9:10], v[63:64]
	v_mul_f64 v[62:63], v[11:12], v[63:64]
	s_waitcnt vmcnt(56)
	v_fma_f64 v[31:32], v[1:2], v[33:34], -v[31:32]
	ds_read_b128 v[5:8], v77 offset:1216
	v_fma_f64 v[29:30], v[3:4], v[33:34], v[29:30]
	s_clause 0x2
	buffer_load_dword v60, off, s[0:3], 0 offset:652
	buffer_load_dword v34, off, s[0:3], 0 offset:628
	buffer_load_dword v33, off, s[0:3], 0 offset:624
	ds_read_b128 v[1:4], v77 offset:1232
	v_add_f64 v[13:14], v[13:14], v[55:56]
	v_add_f64 v[15:16], v[15:16], v[35:36]
	s_waitcnt vmcnt(58) lgkmcnt(1)
	v_mul_f64 v[55:56], v[7:8], v[67:68]
	s_waitcnt vmcnt(56)
	v_fma_f64 v[63:64], v[9:10], v[69:70], -v[62:63]
	v_mul_f64 v[35:36], v[5:6], v[67:68]
	v_add_f64 v[13:14], v[13:14], v[31:32]
	v_fma_f64 v[31:32], v[11:12], v[69:70], v[109:110]
	v_add_f64 v[15:16], v[15:16], v[29:30]
	s_clause 0x4
	buffer_load_dword v30, off, s[0:3], 0 offset:668
	buffer_load_dword v67, off, s[0:3], 0 offset:680
	;; [unrolled: 1-line block ×5, first 2 shown]
	s_waitcnt vmcnt(57) lgkmcnt(0)
	v_mul_f64 v[109:110], v[1:2], v[71:72]
	v_mul_f64 v[70:71], v[3:4], v[71:72]
	s_waitcnt vmcnt(56)
	v_fma_f64 v[55:56], v[5:6], v[57:58], -v[55:56]
	ds_read_b128 v[9:12], v77 offset:1248
	v_fma_f64 v[35:36], v[7:8], v[57:58], v[35:36]
	v_add_f64 v[13:14], v[13:14], v[63:64]
	v_add_f64 v[15:16], v[15:16], v[31:32]
	s_clause 0x2
	buffer_load_dword v68, off, s[0:3], 0 offset:684
	buffer_load_dword v32, off, s[0:3], 0 offset:660
	buffer_load_dword v31, off, s[0:3], 0 offset:656
	ds_read_b128 v[5:8], v77 offset:1264
	s_waitcnt vmcnt(58) lgkmcnt(1)
	v_mul_f64 v[63:64], v[11:12], v[73:74]
	s_waitcnt vmcnt(56)
	v_fma_f64 v[71:72], v[1:2], v[75:76], -v[70:71]
	v_mul_f64 v[57:58], v[9:10], v[73:74]
	v_add_f64 v[13:14], v[13:14], v[55:56]
	v_fma_f64 v[55:56], v[3:4], v[75:76], v[109:110]
	v_add_f64 v[15:16], v[15:16], v[35:36]
	s_clause 0x4
	buffer_load_dword v36, off, s[0:3], 0 offset:700
	buffer_load_dword v73, off, s[0:3], 0 offset:712
	;; [unrolled: 1-line block ×5, first 2 shown]
	s_waitcnt vmcnt(57) lgkmcnt(0)
	v_mul_f64 v[109:110], v[5:6], v[94:95]
	v_mul_f64 v[94:95], v[7:8], v[94:95]
	s_waitcnt vmcnt(56)
	v_fma_f64 v[63:64], v[9:10], v[65:66], -v[63:64]
	ds_read_b128 v[1:4], v77 offset:1280
	v_fma_f64 v[57:58], v[11:12], v[65:66], v[57:58]
	v_add_f64 v[13:14], v[13:14], v[71:72]
	v_add_f64 v[15:16], v[15:16], v[55:56]
	s_clause 0x2
	buffer_load_dword v74, off, s[0:3], 0 offset:716
	buffer_load_dword v56, off, s[0:3], 0 offset:692
	;; [unrolled: 1-line block ×3, first 2 shown]
	ds_read_b128 v[9:12], v77 offset:1296
	s_waitcnt vmcnt(58) lgkmcnt(1)
	v_mul_f64 v[71:72], v[3:4], v[96:97]
	s_waitcnt vmcnt(56)
	v_fma_f64 v[94:95], v[5:6], v[101:102], -v[94:95]
	v_mul_f64 v[65:66], v[1:2], v[96:97]
	v_add_f64 v[13:14], v[13:14], v[63:64]
	v_fma_f64 v[63:64], v[7:8], v[101:102], v[109:110]
	v_add_f64 v[15:16], v[15:16], v[57:58]
	s_clause 0x4
	buffer_load_dword v58, off, s[0:3], 0 offset:732
	buffer_load_dword v96, off, s[0:3], 0 offset:744
	;; [unrolled: 1-line block ×5, first 2 shown]
	ds_read_b128 v[5:8], v77 offset:1312
	s_waitcnt vmcnt(57) lgkmcnt(1)
	v_mul_f64 v[101:102], v[9:10], v[88:89]
	v_mul_f64 v[88:89], v[11:12], v[88:89]
	s_waitcnt vmcnt(56)
	v_fma_f64 v[71:72], v[1:2], v[98:99], -v[71:72]
	v_fma_f64 v[65:66], v[3:4], v[98:99], v[65:66]
	v_add_f64 v[13:14], v[13:14], v[94:95]
	v_add_f64 v[15:16], v[15:16], v[63:64]
	s_clause 0x2
	buffer_load_dword v97, off, s[0:3], 0 offset:748
	buffer_load_dword v64, off, s[0:3], 0 offset:724
	;; [unrolled: 1-line block ×3, first 2 shown]
	ds_read_b128 v[1:4], v77 offset:1328
	s_waitcnt vmcnt(58) lgkmcnt(1)
	v_mul_f64 v[98:99], v[7:8], v[105:106]
	v_mul_f64 v[94:95], v[5:6], v[105:106]
	s_waitcnt vmcnt(56)
	v_fma_f64 v[88:89], v[9:10], v[82:83], -v[88:89]
	v_add_f64 v[13:14], v[13:14], v[71:72]
	v_fma_f64 v[71:72], v[11:12], v[82:83], v[101:102]
	v_add_f64 v[15:16], v[15:16], v[65:66]
	s_clause 0x4
	buffer_load_dword v66, off, s[0:3], 0 offset:764
	buffer_load_dword v82, off, s[0:3], 0 offset:776
	;; [unrolled: 1-line block ×5, first 2 shown]
	ds_read_b128 v[9:12], v77 offset:1344
	s_waitcnt vmcnt(57) lgkmcnt(1)
	v_mul_f64 v[109:110], v[1:2], v[25:26]
	v_mul_f64 v[25:26], v[3:4], v[25:26]
	s_waitcnt vmcnt(56)
	v_fma_f64 v[98:99], v[5:6], v[107:108], -v[98:99]
	v_add_f64 v[13:14], v[13:14], v[88:89]
	v_fma_f64 v[88:89], v[7:8], v[107:108], v[94:95]
	v_add_f64 v[15:16], v[15:16], v[71:72]
	s_clause 0x2
	buffer_load_dword v83, off, s[0:3], 0 offset:780
	buffer_load_dword v72, off, s[0:3], 0 offset:756
	;; [unrolled: 1-line block ×3, first 2 shown]
	ds_read_b128 v[5:8], v77 offset:1360
	s_waitcnt vmcnt(58) lgkmcnt(1)
	v_mul_f64 v[94:95], v[9:10], v[90:91]
	v_mul_f64 v[90:91], v[11:12], v[90:91]
	s_waitcnt vmcnt(56)
	v_fma_f64 v[25:26], v[1:2], v[19:20], -v[25:26]
	v_fma_f64 v[19:20], v[3:4], v[19:20], v[109:110]
	v_add_f64 v[13:14], v[13:14], v[98:99]
	v_add_f64 v[15:16], v[15:16], v[88:89]
	s_clause 0x4
	buffer_load_dword v89, off, s[0:3], 0 offset:796
	buffer_load_dword v98, off, s[0:3], 0 offset:808
	;; [unrolled: 1-line block ×5, first 2 shown]
	ds_read_b128 v[1:4], v77 offset:1376
	s_waitcnt vmcnt(57) lgkmcnt(1)
	v_mul_f64 v[107:108], v[5:6], v[78:79]
	v_mul_f64 v[78:79], v[7:8], v[78:79]
	s_waitcnt vmcnt(56)
	v_fma_f64 v[90:91], v[9:10], v[103:104], -v[90:91]
	v_add_f64 v[13:14], v[13:14], v[25:26]
	v_fma_f64 v[25:26], v[11:12], v[103:104], v[94:95]
	v_add_f64 v[15:16], v[15:16], v[19:20]
	s_clause 0x2
	buffer_load_dword v99, off, s[0:3], 0 offset:812
	buffer_load_dword v20, off, s[0:3], 0 offset:788
	;; [unrolled: 1-line block ×3, first 2 shown]
	ds_read_b128 v[9:12], v77 offset:1392
	s_waitcnt vmcnt(58) lgkmcnt(1)
	v_mul_f64 v[94:95], v[1:2], v[80:81]
	v_mul_f64 v[80:81], v[3:4], v[80:81]
	s_waitcnt vmcnt(56)
	v_fma_f64 v[78:79], v[5:6], v[21:22], -v[78:79]
	v_fma_f64 v[21:22], v[7:8], v[21:22], v[107:108]
	v_add_f64 v[13:14], v[13:14], v[90:91]
	v_add_f64 v[15:16], v[15:16], v[25:26]
	s_clause 0x2
	buffer_load_dword v26, off, s[0:3], 0 offset:828
	buffer_load_dword v25, off, s[0:3], 0 offset:824
	;; [unrolled: 1-line block ×3, first 2 shown]
	ds_read_b128 v[5:8], v77 offset:1408
	s_waitcnt vmcnt(55) lgkmcnt(1)
	v_mul_f64 v[90:91], v[9:10], v[17:18]
	v_mul_f64 v[17:18], v[11:12], v[17:18]
	s_waitcnt vmcnt(54)
	v_fma_f64 v[80:81], v[1:2], v[92:93], -v[80:81]
	v_add_f64 v[13:14], v[13:14], v[78:79]
	v_fma_f64 v[78:79], v[3:4], v[92:93], v[94:95]
	v_add_f64 v[15:16], v[15:16], v[21:22]
	s_clause 0x1
	buffer_load_dword v22, off, s[0:3], 0 offset:820
	buffer_load_dword v21, off, s[0:3], 0 offset:816
	ds_read_b128 v[1:4], v77 offset:1424
	s_waitcnt vmcnt(55) lgkmcnt(1)
	v_mul_f64 v[92:93], v[5:6], v[53:54]
	v_mul_f64 v[53:54], v[7:8], v[53:54]
	s_waitcnt vmcnt(53)
	v_fma_f64 v[17:18], v[9:10], v[27:28], -v[17:18]
	v_fma_f64 v[27:28], v[11:12], v[27:28], v[90:91]
	ds_read_b128 v[9:12], v77 offset:1440
	v_add_f64 v[13:14], v[13:14], v[80:81]
	v_add_f64 v[15:16], v[15:16], v[78:79]
	s_waitcnt vmcnt(49) lgkmcnt(1)
	v_mul_f64 v[78:79], v[1:2], v[23:24]
	v_mul_f64 v[23:24], v[3:4], v[23:24]
	s_waitcnt vmcnt(48)
	v_fma_f64 v[53:54], v[5:6], v[86:87], -v[53:54]
	v_add_f64 v[13:14], v[13:14], v[17:18]
	v_fma_f64 v[17:18], v[7:8], v[86:87], v[92:93]
	v_add_f64 v[15:16], v[15:16], v[27:28]
	s_clause 0x3
	buffer_load_dword v27, off, s[0:3], 0 offset:208
	buffer_load_dword v28, off, s[0:3], 0 offset:212
	;; [unrolled: 1-line block ×4, first 2 shown]
	s_waitcnt vmcnt(51) lgkmcnt(0)
	v_mul_f64 v[86:87], v[9:10], v[59:60]
	v_mul_f64 v[59:60], v[11:12], v[59:60]
	ds_read_b128 v[5:8], v77 offset:1456
	s_waitcnt vmcnt(49)
	v_fma_f64 v[23:24], v[1:2], v[33:34], -v[23:24]
	v_fma_f64 v[33:34], v[3:4], v[33:34], v[78:79]
	ds_read_b128 v[1:4], v77 offset:1472
	v_add_f64 v[13:14], v[13:14], v[53:54]
	v_add_f64 v[15:16], v[15:16], v[17:18]
	s_waitcnt vmcnt(45) lgkmcnt(1)
	v_mul_f64 v[17:18], v[5:6], v[29:30]
	v_mul_f64 v[29:30], v[7:8], v[29:30]
	s_waitcnt vmcnt(44)
	v_fma_f64 v[53:54], v[9:10], v[61:62], -v[59:60]
	v_add_f64 v[13:14], v[13:14], v[23:24]
	v_fma_f64 v[23:24], v[11:12], v[61:62], v[86:87]
	v_add_f64 v[15:16], v[15:16], v[33:34]
	ds_read_b128 v[9:12], v77 offset:1488
	s_waitcnt vmcnt(43) lgkmcnt(1)
	v_mul_f64 v[59:60], v[3:4], v[67:68]
	v_mul_f64 v[33:34], v[1:2], v[67:68]
	s_waitcnt vmcnt(41)
	v_fma_f64 v[29:30], v[5:6], v[31:32], -v[29:30]
	v_fma_f64 v[17:18], v[7:8], v[31:32], v[17:18]
	ds_read_b128 v[5:8], v77 offset:1504
	v_add_f64 v[13:14], v[13:14], v[53:54]
	v_add_f64 v[15:16], v[15:16], v[23:24]
	s_waitcnt vmcnt(37) lgkmcnt(1)
	v_mul_f64 v[23:24], v[9:10], v[35:36]
	v_mul_f64 v[31:32], v[11:12], v[35:36]
	s_waitcnt vmcnt(36)
	v_fma_f64 v[35:36], v[1:2], v[69:70], -v[59:60]
	v_add_f64 v[13:14], v[13:14], v[29:30]
	v_fma_f64 v[29:30], v[3:4], v[69:70], v[33:34]
	v_add_f64 v[15:16], v[15:16], v[17:18]
	ds_read_b128 v[1:4], v77 offset:1520
	s_waitcnt vmcnt(35) lgkmcnt(1)
	v_mul_f64 v[33:34], v[7:8], v[73:74]
	v_mul_f64 v[17:18], v[5:6], v[73:74]
	s_waitcnt vmcnt(33)
	v_fma_f64 v[31:32], v[9:10], v[55:56], -v[31:32]
	v_fma_f64 v[23:24], v[11:12], v[55:56], v[23:24]
	ds_read_b128 v[9:12], v77 offset:1536
	v_add_f64 v[13:14], v[13:14], v[35:36]
	v_add_f64 v[15:16], v[15:16], v[29:30]
	s_waitcnt vmcnt(29) lgkmcnt(1)
	v_mul_f64 v[35:36], v[3:4], v[57:58]
	s_waitcnt vmcnt(28)
	v_fma_f64 v[33:34], v[5:6], v[75:76], -v[33:34]
	v_mul_f64 v[29:30], v[1:2], v[57:58]
	v_fma_f64 v[17:18], v[7:8], v[75:76], v[17:18]
	ds_read_b128 v[5:8], v77 offset:1552
	v_add_f64 v[13:14], v[13:14], v[31:32]
	v_add_f64 v[15:16], v[15:16], v[23:24]
	s_waitcnt vmcnt(27) lgkmcnt(1)
	v_mul_f64 v[31:32], v[11:12], v[96:97]
	v_mul_f64 v[23:24], v[9:10], v[96:97]
	s_waitcnt vmcnt(25)
	v_fma_f64 v[35:36], v[1:2], v[63:64], -v[35:36]
	v_fma_f64 v[29:30], v[3:4], v[63:64], v[29:30]
	ds_read_b128 v[1:4], v77 offset:1568
	v_add_f64 v[13:14], v[13:14], v[33:34]
	v_add_f64 v[15:16], v[15:16], v[17:18]
	s_waitcnt vmcnt(21) lgkmcnt(1)
	v_mul_f64 v[33:34], v[7:8], v[65:66]
	s_waitcnt vmcnt(20)
	v_fma_f64 v[31:32], v[9:10], v[100:101], -v[31:32]
	v_mul_f64 v[17:18], v[5:6], v[65:66]
	v_fma_f64 v[23:24], v[11:12], v[100:101], v[23:24]
	ds_read_b128 v[9:12], v77 offset:1584
	v_add_f64 v[13:14], v[13:14], v[35:36]
	v_add_f64 v[15:16], v[15:16], v[29:30]
	;; [unrolled: 18-line block ×3, first 2 shown]
	s_waitcnt vmcnt(11) lgkmcnt(1)
	v_mul_f64 v[33:34], v[7:8], v[98:99]
	v_mul_f64 v[17:18], v[5:6], v[98:99]
	s_waitcnt vmcnt(9)
	v_fma_f64 v[9:10], v[9:10], v[19:20], -v[31:32]
	v_fma_f64 v[11:12], v[11:12], v[19:20], v[23:24]
	v_add_f64 v[13:14], v[13:14], v[35:36]
	v_add_f64 v[15:16], v[15:16], v[29:30]
	s_waitcnt vmcnt(7) lgkmcnt(0)
	v_mul_f64 v[23:24], v[3:4], v[25:26]
	s_waitcnt vmcnt(6)
	v_fma_f64 v[5:6], v[5:6], v[102:103], -v[33:34]
	v_mul_f64 v[19:20], v[1:2], v[25:26]
	v_fma_f64 v[7:8], v[7:8], v[102:103], v[17:18]
	v_add_f64 v[9:10], v[13:14], v[9:10]
	v_add_f64 v[11:12], v[15:16], v[11:12]
	s_waitcnt vmcnt(4)
	v_fma_f64 v[1:2], v[1:2], v[21:22], -v[23:24]
	v_fma_f64 v[3:4], v[3:4], v[21:22], v[19:20]
	v_add_f64 v[5:6], v[9:10], v[5:6]
	v_add_f64 v[7:8], v[11:12], v[7:8]
	;; [unrolled: 1-line block ×4, first 2 shown]
	s_waitcnt vmcnt(2)
	v_add_f64 v[1:2], v[27:28], -v[1:2]
	s_waitcnt vmcnt(0)
	v_add_f64 v[3:4], v[80:81], -v[3:4]
	buffer_store_dword v2, off, s[0:3], 0 offset:212
	buffer_store_dword v1, off, s[0:3], 0 offset:208
	;; [unrolled: 1-line block ×4, first 2 shown]
	v_cmpx_lt_u32_e32 11, v0
	s_cbranch_execz .LBB50_297
; %bb.296:
	v_mov_b32_e32 v4, s52
	v_mov_b32_e32 v5, 0
	s_clause 0x3
	buffer_load_dword v1, v4, s[0:3], 0 offen
	buffer_load_dword v2, v4, s[0:3], 0 offen offset:4
	buffer_load_dword v3, v4, s[0:3], 0 offen offset:8
	;; [unrolled: 1-line block ×3, first 2 shown]
	buffer_store_dword v5, off, s[0:3], 0 offset:192
	buffer_store_dword v5, off, s[0:3], 0 offset:196
	;; [unrolled: 1-line block ×4, first 2 shown]
	s_waitcnt vmcnt(0)
	ds_write_b128 v85, v[1:4]
.LBB50_297:
	s_or_b32 exec_lo, exec_lo, s4
	s_waitcnt lgkmcnt(0)
	s_waitcnt_vscnt null, 0x0
	s_barrier
	buffer_gl0_inv
	s_clause 0x37
	buffer_load_dword v9, off, s[0:3], 0 offset:216
	buffer_load_dword v10, off, s[0:3], 0 offset:220
	;; [unrolled: 1-line block ×56, first 2 shown]
	v_mov_b32_e32 v77, 0
	s_mov_b32 s4, exec_lo
	ds_read_b128 v[78:81], v77 offset:1008
	s_clause 0x2
	buffer_load_dword v74, off, s[0:3], 0 offset:444
	buffer_load_dword v76, off, s[0:3], 0 offset:420
	;; [unrolled: 1-line block ×3, first 2 shown]
	ds_read_b128 v[86:89], v77 offset:1024
	s_clause 0x4
	buffer_load_dword v95, off, s[0:3], 0 offset:460
	buffer_load_dword v96, off, s[0:3], 0 offset:472
	;; [unrolled: 1-line block ×5, first 2 shown]
	ds_read_b128 v[90:93], v77 offset:1040
	s_clause 0x2
	buffer_load_dword v97, off, s[0:3], 0 offset:476
	buffer_load_dword v102, off, s[0:3], 0 offset:452
	;; [unrolled: 1-line block ×3, first 2 shown]
	s_waitcnt vmcnt(62) lgkmcnt(2)
	v_mul_f64 v[82:83], v[80:81], v[9:10]
	v_mul_f64 v[9:10], v[78:79], v[9:10]
	s_waitcnt lgkmcnt(1)
	v_mul_f64 v[99:100], v[88:89], v[5:6]
	s_waitcnt vmcnt(59) lgkmcnt(0)
	v_mul_f64 v[103:104], v[92:93], v[3:4]
	v_fma_f64 v[78:79], v[78:79], v[7:8], -v[82:83]
	v_mul_f64 v[82:83], v[86:87], v[5:6]
	v_fma_f64 v[9:10], v[80:81], v[7:8], v[9:10]
	s_waitcnt vmcnt(57)
	v_fma_f64 v[86:87], v[86:87], v[1:2], -v[99:100]
	ds_read_b128 v[5:8], v77 offset:1056
	v_mul_f64 v[80:81], v[90:91], v[3:4]
	s_waitcnt vmcnt(51)
	v_fma_f64 v[90:91], v[90:91], v[25:26], -v[103:104]
	v_add_f64 v[78:79], v[78:79], 0
	v_fma_f64 v[82:83], v[88:89], v[1:2], v[82:83]
	v_add_f64 v[9:10], v[9:10], 0
	s_clause 0x4
	buffer_load_dword v89, off, s[0:3], 0 offset:492
	buffer_load_dword v105, off, s[0:3], 0 offset:504
	;; [unrolled: 1-line block ×5, first 2 shown]
	s_waitcnt lgkmcnt(0)
	v_mul_f64 v[108:109], v[5:6], v[13:14]
	v_mul_f64 v[13:14], v[7:8], v[13:14]
	ds_read_b128 v[1:4], v77 offset:1072
	v_fma_f64 v[25:26], v[92:93], v[25:26], v[80:81]
	v_add_f64 v[86:87], v[78:79], v[86:87]
	v_add_f64 v[9:10], v[9:10], v[82:83]
	s_clause 0x2
	buffer_load_dword v106, off, s[0:3], 0 offset:508
	buffer_load_dword v83, off, s[0:3], 0 offset:484
	;; [unrolled: 1-line block ×3, first 2 shown]
	s_waitcnt vmcnt(58) lgkmcnt(0)
	v_mul_f64 v[92:93], v[1:2], v[17:18]
	v_mul_f64 v[17:18], v[3:4], v[17:18]
	s_waitcnt vmcnt(56)
	v_fma_f64 v[13:14], v[5:6], v[19:20], -v[13:14]
	ds_read_b128 v[78:81], v77 offset:1088
	v_fma_f64 v[19:20], v[7:8], v[19:20], v[108:109]
	v_add_f64 v[86:87], v[86:87], v[90:91]
	v_add_f64 v[9:10], v[9:10], v[25:26]
	s_clause 0x4
	buffer_load_dword v26, off, s[0:3], 0 offset:524
	buffer_load_dword v90, off, s[0:3], 0 offset:536
	buffer_load_dword v103, off, s[0:3], 0 offset:528
	buffer_load_dword v25, off, s[0:3], 0 offset:520
	buffer_load_dword v108, off, s[0:3], 0 offset:500
	ds_read_b128 v[5:8], v77 offset:1104
	s_waitcnt vmcnt(57) lgkmcnt(1)
	v_mul_f64 v[109:110], v[78:79], v[21:22]
	v_mul_f64 v[21:22], v[80:81], v[21:22]
	s_waitcnt vmcnt(56)
	v_fma_f64 v[17:18], v[1:2], v[11:12], -v[17:18]
	v_fma_f64 v[11:12], v[3:4], v[11:12], v[92:93]
	v_add_f64 v[13:14], v[86:87], v[13:14]
	v_add_f64 v[9:10], v[9:10], v[19:20]
	s_clause 0x2
	buffer_load_dword v91, off, s[0:3], 0 offset:540
	buffer_load_dword v20, off, s[0:3], 0 offset:516
	;; [unrolled: 1-line block ×3, first 2 shown]
	s_waitcnt vmcnt(58) lgkmcnt(0)
	v_mul_f64 v[86:87], v[5:6], v[27:28]
	v_mul_f64 v[27:28], v[7:8], v[27:28]
	s_waitcnt vmcnt(56)
	v_fma_f64 v[21:22], v[78:79], v[29:30], -v[21:22]
	ds_read_b128 v[1:4], v77 offset:1120
	v_add_f64 v[13:14], v[13:14], v[17:18]
	v_fma_f64 v[17:18], v[80:81], v[29:30], v[109:110]
	v_add_f64 v[29:30], v[9:10], v[11:12]
	s_clause 0x4
	buffer_load_dword v79, off, s[0:3], 0 offset:556
	buffer_load_dword v80, off, s[0:3], 0 offset:568
	;; [unrolled: 1-line block ×5, first 2 shown]
	ds_read_b128 v[9:12], v77 offset:1136
	s_waitcnt vmcnt(57) lgkmcnt(1)
	v_mul_f64 v[109:110], v[1:2], v[31:32]
	v_mul_f64 v[31:32], v[3:4], v[31:32]
	s_waitcnt vmcnt(56)
	v_fma_f64 v[27:28], v[5:6], v[15:16], -v[27:28]
	v_fma_f64 v[15:16], v[7:8], v[15:16], v[86:87]
	v_add_f64 v[13:14], v[13:14], v[21:22]
	s_clause 0x2
	buffer_load_dword v81, off, s[0:3], 0 offset:572
	buffer_load_dword v22, off, s[0:3], 0 offset:548
	buffer_load_dword v21, off, s[0:3], 0 offset:544
	v_add_f64 v[17:18], v[29:30], v[17:18]
	s_waitcnt vmcnt(58) lgkmcnt(0)
	v_mul_f64 v[29:30], v[9:10], v[35:36]
	v_mul_f64 v[35:36], v[11:12], v[35:36]
	ds_read_b128 v[5:8], v77 offset:1152
	s_waitcnt vmcnt(56)
	v_fma_f64 v[31:32], v[1:2], v[53:54], -v[31:32]
	v_add_f64 v[13:14], v[13:14], v[27:28]
	v_fma_f64 v[27:28], v[3:4], v[53:54], v[109:110]
	v_add_f64 v[15:16], v[17:18], v[15:16]
	s_clause 0x4
	buffer_load_dword v18, off, s[0:3], 0 offset:588
	buffer_load_dword v53, off, s[0:3], 0 offset:600
	;; [unrolled: 1-line block ×5, first 2 shown]
	s_waitcnt vmcnt(57) lgkmcnt(0)
	v_mul_f64 v[109:110], v[5:6], v[55:56]
	v_mul_f64 v[55:56], v[7:8], v[55:56]
	s_waitcnt vmcnt(56)
	v_fma_f64 v[35:36], v[9:10], v[23:24], -v[35:36]
	ds_read_b128 v[1:4], v77 offset:1168
	v_fma_f64 v[23:24], v[11:12], v[23:24], v[29:30]
	v_add_f64 v[13:14], v[13:14], v[31:32]
	v_add_f64 v[15:16], v[15:16], v[27:28]
	s_clause 0x2
	buffer_load_dword v54, off, s[0:3], 0 offset:604
	buffer_load_dword v28, off, s[0:3], 0 offset:580
	;; [unrolled: 1-line block ×3, first 2 shown]
	ds_read_b128 v[9:12], v77 offset:1184
	s_waitcnt vmcnt(58) lgkmcnt(1)
	v_mul_f64 v[31:32], v[3:4], v[59:60]
	s_waitcnt vmcnt(56)
	v_fma_f64 v[55:56], v[5:6], v[61:62], -v[55:56]
	v_mul_f64 v[29:30], v[1:2], v[59:60]
	v_add_f64 v[13:14], v[13:14], v[35:36]
	v_fma_f64 v[35:36], v[7:8], v[61:62], v[109:110]
	v_add_f64 v[15:16], v[15:16], v[23:24]
	s_clause 0x4
	buffer_load_dword v24, off, s[0:3], 0 offset:620
	buffer_load_dword v59, off, s[0:3], 0 offset:632
	;; [unrolled: 1-line block ×5, first 2 shown]
	s_waitcnt vmcnt(57) lgkmcnt(0)
	v_mul_f64 v[109:110], v[9:10], v[63:64]
	v_mul_f64 v[62:63], v[11:12], v[63:64]
	s_waitcnt vmcnt(56)
	v_fma_f64 v[31:32], v[1:2], v[33:34], -v[31:32]
	ds_read_b128 v[5:8], v77 offset:1200
	v_fma_f64 v[29:30], v[3:4], v[33:34], v[29:30]
	s_clause 0x2
	buffer_load_dword v60, off, s[0:3], 0 offset:636
	buffer_load_dword v34, off, s[0:3], 0 offset:612
	;; [unrolled: 1-line block ×3, first 2 shown]
	ds_read_b128 v[1:4], v77 offset:1216
	v_add_f64 v[13:14], v[13:14], v[55:56]
	v_add_f64 v[15:16], v[15:16], v[35:36]
	s_waitcnt vmcnt(58) lgkmcnt(1)
	v_mul_f64 v[55:56], v[7:8], v[67:68]
	s_waitcnt vmcnt(56)
	v_fma_f64 v[63:64], v[9:10], v[69:70], -v[62:63]
	v_mul_f64 v[35:36], v[5:6], v[67:68]
	v_add_f64 v[13:14], v[13:14], v[31:32]
	v_fma_f64 v[31:32], v[11:12], v[69:70], v[109:110]
	v_add_f64 v[15:16], v[15:16], v[29:30]
	s_clause 0x4
	buffer_load_dword v30, off, s[0:3], 0 offset:652
	buffer_load_dword v67, off, s[0:3], 0 offset:664
	;; [unrolled: 1-line block ×5, first 2 shown]
	s_waitcnt vmcnt(57) lgkmcnt(0)
	v_mul_f64 v[109:110], v[1:2], v[71:72]
	v_mul_f64 v[70:71], v[3:4], v[71:72]
	s_waitcnt vmcnt(56)
	v_fma_f64 v[55:56], v[5:6], v[57:58], -v[55:56]
	ds_read_b128 v[9:12], v77 offset:1232
	v_fma_f64 v[35:36], v[7:8], v[57:58], v[35:36]
	v_add_f64 v[13:14], v[13:14], v[63:64]
	v_add_f64 v[15:16], v[15:16], v[31:32]
	s_clause 0x2
	buffer_load_dword v68, off, s[0:3], 0 offset:668
	buffer_load_dword v32, off, s[0:3], 0 offset:644
	;; [unrolled: 1-line block ×3, first 2 shown]
	ds_read_b128 v[5:8], v77 offset:1248
	s_waitcnt vmcnt(58) lgkmcnt(1)
	v_mul_f64 v[63:64], v[11:12], v[73:74]
	s_waitcnt vmcnt(56)
	v_fma_f64 v[71:72], v[1:2], v[75:76], -v[70:71]
	v_mul_f64 v[57:58], v[9:10], v[73:74]
	v_add_f64 v[13:14], v[13:14], v[55:56]
	v_fma_f64 v[55:56], v[3:4], v[75:76], v[109:110]
	v_add_f64 v[15:16], v[15:16], v[35:36]
	s_clause 0x4
	buffer_load_dword v36, off, s[0:3], 0 offset:684
	buffer_load_dword v73, off, s[0:3], 0 offset:696
	;; [unrolled: 1-line block ×5, first 2 shown]
	s_waitcnt vmcnt(57) lgkmcnt(0)
	v_mul_f64 v[109:110], v[5:6], v[94:95]
	v_mul_f64 v[94:95], v[7:8], v[94:95]
	s_waitcnt vmcnt(56)
	v_fma_f64 v[63:64], v[9:10], v[65:66], -v[63:64]
	ds_read_b128 v[1:4], v77 offset:1264
	v_fma_f64 v[57:58], v[11:12], v[65:66], v[57:58]
	v_add_f64 v[13:14], v[13:14], v[71:72]
	v_add_f64 v[15:16], v[15:16], v[55:56]
	s_clause 0x2
	buffer_load_dword v74, off, s[0:3], 0 offset:700
	buffer_load_dword v56, off, s[0:3], 0 offset:676
	;; [unrolled: 1-line block ×3, first 2 shown]
	ds_read_b128 v[9:12], v77 offset:1280
	s_waitcnt vmcnt(58) lgkmcnt(1)
	v_mul_f64 v[71:72], v[3:4], v[96:97]
	s_waitcnt vmcnt(56)
	v_fma_f64 v[94:95], v[5:6], v[101:102], -v[94:95]
	v_mul_f64 v[65:66], v[1:2], v[96:97]
	v_add_f64 v[13:14], v[13:14], v[63:64]
	v_fma_f64 v[63:64], v[7:8], v[101:102], v[109:110]
	v_add_f64 v[15:16], v[15:16], v[57:58]
	s_clause 0x4
	buffer_load_dword v58, off, s[0:3], 0 offset:716
	buffer_load_dword v96, off, s[0:3], 0 offset:728
	;; [unrolled: 1-line block ×5, first 2 shown]
	ds_read_b128 v[5:8], v77 offset:1296
	s_waitcnt vmcnt(57) lgkmcnt(1)
	v_mul_f64 v[101:102], v[9:10], v[88:89]
	v_mul_f64 v[88:89], v[11:12], v[88:89]
	s_waitcnt vmcnt(56)
	v_fma_f64 v[71:72], v[1:2], v[98:99], -v[71:72]
	v_fma_f64 v[65:66], v[3:4], v[98:99], v[65:66]
	v_add_f64 v[13:14], v[13:14], v[94:95]
	v_add_f64 v[15:16], v[15:16], v[63:64]
	s_clause 0x2
	buffer_load_dword v97, off, s[0:3], 0 offset:732
	buffer_load_dword v64, off, s[0:3], 0 offset:708
	buffer_load_dword v63, off, s[0:3], 0 offset:704
	ds_read_b128 v[1:4], v77 offset:1312
	s_waitcnt vmcnt(58) lgkmcnt(1)
	v_mul_f64 v[98:99], v[7:8], v[105:106]
	v_mul_f64 v[94:95], v[5:6], v[105:106]
	s_waitcnt vmcnt(56)
	v_fma_f64 v[88:89], v[9:10], v[82:83], -v[88:89]
	v_add_f64 v[13:14], v[13:14], v[71:72]
	v_fma_f64 v[71:72], v[11:12], v[82:83], v[101:102]
	v_add_f64 v[15:16], v[15:16], v[65:66]
	s_clause 0x4
	buffer_load_dword v66, off, s[0:3], 0 offset:748
	buffer_load_dword v82, off, s[0:3], 0 offset:760
	;; [unrolled: 1-line block ×5, first 2 shown]
	ds_read_b128 v[9:12], v77 offset:1328
	s_waitcnt vmcnt(57) lgkmcnt(1)
	v_mul_f64 v[109:110], v[1:2], v[25:26]
	v_mul_f64 v[25:26], v[3:4], v[25:26]
	s_waitcnt vmcnt(56)
	v_fma_f64 v[98:99], v[5:6], v[107:108], -v[98:99]
	v_add_f64 v[13:14], v[13:14], v[88:89]
	v_fma_f64 v[88:89], v[7:8], v[107:108], v[94:95]
	v_add_f64 v[15:16], v[15:16], v[71:72]
	s_clause 0x2
	buffer_load_dword v83, off, s[0:3], 0 offset:764
	buffer_load_dword v72, off, s[0:3], 0 offset:740
	;; [unrolled: 1-line block ×3, first 2 shown]
	ds_read_b128 v[5:8], v77 offset:1344
	s_waitcnt vmcnt(58) lgkmcnt(1)
	v_mul_f64 v[94:95], v[9:10], v[90:91]
	v_mul_f64 v[90:91], v[11:12], v[90:91]
	s_waitcnt vmcnt(56)
	v_fma_f64 v[25:26], v[1:2], v[19:20], -v[25:26]
	v_fma_f64 v[19:20], v[3:4], v[19:20], v[109:110]
	v_add_f64 v[13:14], v[13:14], v[98:99]
	v_add_f64 v[15:16], v[15:16], v[88:89]
	s_clause 0x4
	buffer_load_dword v89, off, s[0:3], 0 offset:780
	buffer_load_dword v98, off, s[0:3], 0 offset:792
	;; [unrolled: 1-line block ×5, first 2 shown]
	ds_read_b128 v[1:4], v77 offset:1360
	s_waitcnt vmcnt(57) lgkmcnt(1)
	v_mul_f64 v[107:108], v[5:6], v[78:79]
	v_mul_f64 v[78:79], v[7:8], v[78:79]
	s_waitcnt vmcnt(56)
	v_fma_f64 v[90:91], v[9:10], v[103:104], -v[90:91]
	v_add_f64 v[13:14], v[13:14], v[25:26]
	v_fma_f64 v[25:26], v[11:12], v[103:104], v[94:95]
	v_add_f64 v[15:16], v[15:16], v[19:20]
	s_clause 0x2
	buffer_load_dword v99, off, s[0:3], 0 offset:796
	buffer_load_dword v20, off, s[0:3], 0 offset:772
	;; [unrolled: 1-line block ×3, first 2 shown]
	ds_read_b128 v[9:12], v77 offset:1376
	s_waitcnt vmcnt(58) lgkmcnt(1)
	v_mul_f64 v[94:95], v[1:2], v[80:81]
	v_mul_f64 v[80:81], v[3:4], v[80:81]
	s_waitcnt vmcnt(56)
	v_fma_f64 v[78:79], v[5:6], v[21:22], -v[78:79]
	v_fma_f64 v[21:22], v[7:8], v[21:22], v[107:108]
	v_add_f64 v[13:14], v[13:14], v[90:91]
	v_add_f64 v[15:16], v[15:16], v[25:26]
	s_clause 0x4
	buffer_load_dword v26, off, s[0:3], 0 offset:812
	buffer_load_dword v90, off, s[0:3], 0 offset:824
	;; [unrolled: 1-line block ×5, first 2 shown]
	ds_read_b128 v[5:8], v77 offset:1392
	s_waitcnt vmcnt(57) lgkmcnt(1)
	v_mul_f64 v[108:109], v[9:10], v[17:18]
	v_mul_f64 v[17:18], v[11:12], v[17:18]
	s_waitcnt vmcnt(56)
	v_fma_f64 v[80:81], v[1:2], v[92:93], -v[80:81]
	v_add_f64 v[13:14], v[13:14], v[78:79]
	v_fma_f64 v[78:79], v[3:4], v[92:93], v[94:95]
	v_add_f64 v[15:16], v[15:16], v[21:22]
	s_clause 0x2
	buffer_load_dword v91, off, s[0:3], 0 offset:828
	buffer_load_dword v22, off, s[0:3], 0 offset:804
	buffer_load_dword v21, off, s[0:3], 0 offset:800
	ds_read_b128 v[1:4], v77 offset:1408
	s_waitcnt vmcnt(58) lgkmcnt(1)
	v_mul_f64 v[92:93], v[5:6], v[53:54]
	v_mul_f64 v[53:54], v[7:8], v[53:54]
	s_waitcnt vmcnt(56)
	v_fma_f64 v[17:18], v[9:10], v[27:28], -v[17:18]
	v_fma_f64 v[27:28], v[11:12], v[27:28], v[108:109]
	buffer_load_dword v108, off, s[0:3], 0 offset:820
	ds_read_b128 v[9:12], v77 offset:1424
	v_add_f64 v[13:14], v[13:14], v[80:81]
	v_add_f64 v[15:16], v[15:16], v[78:79]
	s_waitcnt vmcnt(53) lgkmcnt(1)
	v_mul_f64 v[78:79], v[1:2], v[23:24]
	v_mul_f64 v[23:24], v[3:4], v[23:24]
	s_waitcnt vmcnt(52)
	v_fma_f64 v[53:54], v[5:6], v[86:87], -v[53:54]
	v_add_f64 v[13:14], v[13:14], v[17:18]
	v_fma_f64 v[17:18], v[7:8], v[86:87], v[92:93]
	v_add_f64 v[15:16], v[15:16], v[27:28]
	s_waitcnt vmcnt(51) lgkmcnt(0)
	v_mul_f64 v[27:28], v[9:10], v[59:60]
	v_mul_f64 v[59:60], v[11:12], v[59:60]
	ds_read_b128 v[5:8], v77 offset:1440
	s_waitcnt vmcnt(49)
	v_fma_f64 v[23:24], v[1:2], v[33:34], -v[23:24]
	v_fma_f64 v[33:34], v[3:4], v[33:34], v[78:79]
	v_add_f64 v[13:14], v[13:14], v[53:54]
	v_add_f64 v[15:16], v[15:16], v[17:18]
	s_clause 0x3
	buffer_load_dword v17, off, s[0:3], 0 offset:192
	buffer_load_dword v18, off, s[0:3], 0 offset:196
	;; [unrolled: 1-line block ×4, first 2 shown]
	ds_read_b128 v[1:4], v77 offset:1456
	s_waitcnt vmcnt(49) lgkmcnt(1)
	v_mul_f64 v[78:79], v[5:6], v[29:30]
	v_mul_f64 v[29:30], v[7:8], v[29:30]
	s_waitcnt vmcnt(48)
	v_fma_f64 v[59:60], v[9:10], v[61:62], -v[59:60]
	v_add_f64 v[13:14], v[13:14], v[23:24]
	v_fma_f64 v[23:24], v[11:12], v[61:62], v[27:28]
	v_add_f64 v[15:16], v[15:16], v[33:34]
	ds_read_b128 v[9:12], v77 offset:1472
	s_waitcnt vmcnt(47) lgkmcnt(1)
	v_mul_f64 v[33:34], v[3:4], v[67:68]
	v_mul_f64 v[27:28], v[1:2], v[67:68]
	s_waitcnt vmcnt(45)
	v_fma_f64 v[29:30], v[5:6], v[31:32], -v[29:30]
	v_fma_f64 v[31:32], v[7:8], v[31:32], v[78:79]
	ds_read_b128 v[5:8], v77 offset:1488
	v_add_f64 v[13:14], v[13:14], v[59:60]
	v_add_f64 v[15:16], v[15:16], v[23:24]
	s_waitcnt vmcnt(41) lgkmcnt(1)
	v_mul_f64 v[23:24], v[9:10], v[35:36]
	v_mul_f64 v[35:36], v[11:12], v[35:36]
	s_waitcnt vmcnt(40)
	v_fma_f64 v[33:34], v[1:2], v[69:70], -v[33:34]
	v_fma_f64 v[27:28], v[3:4], v[69:70], v[27:28]
	ds_read_b128 v[1:4], v77 offset:1504
	v_add_f64 v[13:14], v[13:14], v[29:30]
	v_add_f64 v[15:16], v[15:16], v[31:32]
	;; [unrolled: 9-line block ×3, first 2 shown]
	s_waitcnt vmcnt(33) lgkmcnt(1)
	v_mul_f64 v[33:34], v[3:4], v[57:58]
	s_waitcnt vmcnt(32)
	v_fma_f64 v[31:32], v[5:6], v[75:76], -v[31:32]
	v_mul_f64 v[27:28], v[1:2], v[57:58]
	v_fma_f64 v[29:30], v[7:8], v[75:76], v[29:30]
	ds_read_b128 v[5:8], v77 offset:1536
	v_add_f64 v[13:14], v[13:14], v[35:36]
	v_add_f64 v[15:16], v[15:16], v[23:24]
	s_waitcnt vmcnt(31) lgkmcnt(1)
	v_mul_f64 v[35:36], v[11:12], v[96:97]
	v_mul_f64 v[23:24], v[9:10], v[96:97]
	s_waitcnt vmcnt(29)
	v_fma_f64 v[33:34], v[1:2], v[63:64], -v[33:34]
	v_fma_f64 v[27:28], v[3:4], v[63:64], v[27:28]
	ds_read_b128 v[1:4], v77 offset:1552
	v_add_f64 v[13:14], v[13:14], v[31:32]
	v_add_f64 v[15:16], v[15:16], v[29:30]
	s_waitcnt vmcnt(25) lgkmcnt(1)
	v_mul_f64 v[31:32], v[7:8], v[65:66]
	s_waitcnt vmcnt(24)
	v_fma_f64 v[35:36], v[9:10], v[100:101], -v[35:36]
	v_mul_f64 v[29:30], v[5:6], v[65:66]
	v_fma_f64 v[23:24], v[11:12], v[100:101], v[23:24]
	ds_read_b128 v[9:12], v77 offset:1568
	v_add_f64 v[13:14], v[13:14], v[33:34]
	v_add_f64 v[15:16], v[15:16], v[27:28]
	s_waitcnt vmcnt(23) lgkmcnt(1)
	v_mul_f64 v[33:34], v[3:4], v[82:83]
	v_mul_f64 v[27:28], v[1:2], v[82:83]
	s_waitcnt vmcnt(21)
	v_fma_f64 v[31:32], v[5:6], v[71:72], -v[31:32]
	v_fma_f64 v[29:30], v[7:8], v[71:72], v[29:30]
	ds_read_b128 v[5:8], v77 offset:1584
	v_add_f64 v[13:14], v[13:14], v[35:36]
	v_add_f64 v[15:16], v[15:16], v[23:24]
	;; [unrolled: 18-line block ×3, first 2 shown]
	s_waitcnt vmcnt(9) lgkmcnt(1)
	v_mul_f64 v[23:24], v[1:2], v[25:26]
	v_mul_f64 v[25:26], v[3:4], v[25:26]
	s_waitcnt vmcnt(8)
	v_fma_f64 v[5:6], v[5:6], v[102:103], -v[31:32]
	v_fma_f64 v[7:8], v[7:8], v[102:103], v[29:30]
	v_add_f64 v[13:14], v[13:14], v[35:36]
	v_add_f64 v[15:16], v[15:16], v[19:20]
	s_waitcnt vmcnt(7) lgkmcnt(0)
	v_mul_f64 v[27:28], v[11:12], v[90:91]
	v_mul_f64 v[19:20], v[9:10], v[90:91]
	s_waitcnt vmcnt(5)
	v_fma_f64 v[1:2], v[1:2], v[21:22], -v[25:26]
	v_fma_f64 v[3:4], v[3:4], v[21:22], v[23:24]
	v_add_f64 v[5:6], v[13:14], v[5:6]
	v_add_f64 v[7:8], v[15:16], v[7:8]
	s_waitcnt vmcnt(4)
	v_fma_f64 v[9:10], v[9:10], v[107:108], -v[27:28]
	v_add_f64 v[1:2], v[5:6], v[1:2]
	v_fma_f64 v[5:6], v[11:12], v[107:108], v[19:20]
	v_add_f64 v[3:4], v[7:8], v[3:4]
	v_add_f64 v[1:2], v[1:2], v[9:10]
	;; [unrolled: 1-line block ×3, first 2 shown]
	s_waitcnt vmcnt(2)
	v_add_f64 v[1:2], v[17:18], -v[1:2]
	s_waitcnt vmcnt(0)
	v_add_f64 v[3:4], v[53:54], -v[3:4]
	buffer_store_dword v2, off, s[0:3], 0 offset:196
	buffer_store_dword v1, off, s[0:3], 0 offset:192
	buffer_store_dword v4, off, s[0:3], 0 offset:204
	buffer_store_dword v3, off, s[0:3], 0 offset:200
	v_cmpx_lt_u32_e32 10, v0
	s_cbranch_execz .LBB50_299
; %bb.298:
	v_mov_b32_e32 v4, s53
	s_clause 0x3
	buffer_load_dword v1, v4, s[0:3], 0 offen
	buffer_load_dword v2, v4, s[0:3], 0 offen offset:4
	buffer_load_dword v3, v4, s[0:3], 0 offen offset:8
	;; [unrolled: 1-line block ×3, first 2 shown]
	buffer_store_dword v77, off, s[0:3], 0 offset:176
	buffer_store_dword v77, off, s[0:3], 0 offset:180
	;; [unrolled: 1-line block ×4, first 2 shown]
	s_waitcnt vmcnt(0)
	ds_write_b128 v85, v[1:4]
.LBB50_299:
	s_or_b32 exec_lo, exec_lo, s4
	s_waitcnt lgkmcnt(0)
	s_waitcnt_vscnt null, 0x0
	s_barrier
	buffer_gl0_inv
	s_clause 0x37
	buffer_load_dword v9, off, s[0:3], 0 offset:200
	buffer_load_dword v10, off, s[0:3], 0 offset:204
	;; [unrolled: 1-line block ×56, first 2 shown]
	ds_read_b128 v[78:81], v77 offset:992
	s_clause 0x2
	buffer_load_dword v74, off, s[0:3], 0 offset:428
	buffer_load_dword v76, off, s[0:3], 0 offset:404
	;; [unrolled: 1-line block ×3, first 2 shown]
	ds_read_b128 v[86:89], v77 offset:1008
	s_clause 0x4
	buffer_load_dword v95, off, s[0:3], 0 offset:444
	buffer_load_dword v96, off, s[0:3], 0 offset:456
	;; [unrolled: 1-line block ×5, first 2 shown]
	ds_read_b128 v[90:93], v77 offset:1024
	s_clause 0x2
	buffer_load_dword v97, off, s[0:3], 0 offset:460
	buffer_load_dword v102, off, s[0:3], 0 offset:436
	;; [unrolled: 1-line block ×3, first 2 shown]
	s_mov_b32 s4, exec_lo
	s_waitcnt vmcnt(62) lgkmcnt(2)
	v_mul_f64 v[82:83], v[80:81], v[9:10]
	v_mul_f64 v[9:10], v[78:79], v[9:10]
	s_waitcnt lgkmcnt(1)
	v_mul_f64 v[99:100], v[88:89], v[5:6]
	s_waitcnt vmcnt(59) lgkmcnt(0)
	v_mul_f64 v[103:104], v[92:93], v[3:4]
	v_fma_f64 v[78:79], v[78:79], v[7:8], -v[82:83]
	v_mul_f64 v[82:83], v[86:87], v[5:6]
	v_fma_f64 v[9:10], v[80:81], v[7:8], v[9:10]
	s_waitcnt vmcnt(57)
	v_fma_f64 v[86:87], v[86:87], v[1:2], -v[99:100]
	ds_read_b128 v[5:8], v77 offset:1040
	v_mul_f64 v[80:81], v[90:91], v[3:4]
	s_waitcnt vmcnt(51)
	v_fma_f64 v[90:91], v[90:91], v[25:26], -v[103:104]
	v_add_f64 v[78:79], v[78:79], 0
	v_fma_f64 v[82:83], v[88:89], v[1:2], v[82:83]
	v_add_f64 v[9:10], v[9:10], 0
	s_clause 0x4
	buffer_load_dword v89, off, s[0:3], 0 offset:476
	buffer_load_dword v105, off, s[0:3], 0 offset:488
	;; [unrolled: 1-line block ×5, first 2 shown]
	s_waitcnt lgkmcnt(0)
	v_mul_f64 v[108:109], v[5:6], v[13:14]
	v_mul_f64 v[13:14], v[7:8], v[13:14]
	ds_read_b128 v[1:4], v77 offset:1056
	v_fma_f64 v[25:26], v[92:93], v[25:26], v[80:81]
	v_add_f64 v[86:87], v[78:79], v[86:87]
	v_add_f64 v[9:10], v[9:10], v[82:83]
	s_clause 0x2
	buffer_load_dword v106, off, s[0:3], 0 offset:492
	buffer_load_dword v83, off, s[0:3], 0 offset:468
	;; [unrolled: 1-line block ×3, first 2 shown]
	s_waitcnt vmcnt(58) lgkmcnt(0)
	v_mul_f64 v[92:93], v[1:2], v[17:18]
	v_mul_f64 v[17:18], v[3:4], v[17:18]
	s_waitcnt vmcnt(56)
	v_fma_f64 v[13:14], v[5:6], v[19:20], -v[13:14]
	ds_read_b128 v[78:81], v77 offset:1072
	v_fma_f64 v[19:20], v[7:8], v[19:20], v[108:109]
	v_add_f64 v[86:87], v[86:87], v[90:91]
	v_add_f64 v[9:10], v[9:10], v[25:26]
	s_clause 0x4
	buffer_load_dword v26, off, s[0:3], 0 offset:508
	buffer_load_dword v90, off, s[0:3], 0 offset:520
	;; [unrolled: 1-line block ×5, first 2 shown]
	ds_read_b128 v[5:8], v77 offset:1088
	s_waitcnt vmcnt(57) lgkmcnt(1)
	v_mul_f64 v[109:110], v[78:79], v[21:22]
	v_mul_f64 v[21:22], v[80:81], v[21:22]
	s_waitcnt vmcnt(56)
	v_fma_f64 v[17:18], v[1:2], v[11:12], -v[17:18]
	v_fma_f64 v[11:12], v[3:4], v[11:12], v[92:93]
	v_add_f64 v[13:14], v[86:87], v[13:14]
	v_add_f64 v[9:10], v[9:10], v[19:20]
	s_clause 0x2
	buffer_load_dword v91, off, s[0:3], 0 offset:524
	buffer_load_dword v20, off, s[0:3], 0 offset:500
	buffer_load_dword v19, off, s[0:3], 0 offset:496
	s_waitcnt vmcnt(58) lgkmcnt(0)
	v_mul_f64 v[86:87], v[5:6], v[27:28]
	v_mul_f64 v[27:28], v[7:8], v[27:28]
	s_waitcnt vmcnt(56)
	v_fma_f64 v[21:22], v[78:79], v[29:30], -v[21:22]
	ds_read_b128 v[1:4], v77 offset:1104
	v_add_f64 v[13:14], v[13:14], v[17:18]
	v_fma_f64 v[17:18], v[80:81], v[29:30], v[109:110]
	v_add_f64 v[29:30], v[9:10], v[11:12]
	s_clause 0x4
	buffer_load_dword v79, off, s[0:3], 0 offset:540
	buffer_load_dword v80, off, s[0:3], 0 offset:552
	;; [unrolled: 1-line block ×5, first 2 shown]
	ds_read_b128 v[9:12], v77 offset:1120
	s_waitcnt vmcnt(57) lgkmcnt(1)
	v_mul_f64 v[109:110], v[1:2], v[31:32]
	v_mul_f64 v[31:32], v[3:4], v[31:32]
	s_waitcnt vmcnt(56)
	v_fma_f64 v[27:28], v[5:6], v[15:16], -v[27:28]
	v_fma_f64 v[15:16], v[7:8], v[15:16], v[86:87]
	v_add_f64 v[13:14], v[13:14], v[21:22]
	s_clause 0x2
	buffer_load_dword v81, off, s[0:3], 0 offset:556
	buffer_load_dword v22, off, s[0:3], 0 offset:532
	;; [unrolled: 1-line block ×3, first 2 shown]
	v_add_f64 v[17:18], v[29:30], v[17:18]
	s_waitcnt vmcnt(58) lgkmcnt(0)
	v_mul_f64 v[29:30], v[9:10], v[35:36]
	v_mul_f64 v[35:36], v[11:12], v[35:36]
	ds_read_b128 v[5:8], v77 offset:1136
	s_waitcnt vmcnt(56)
	v_fma_f64 v[31:32], v[1:2], v[53:54], -v[31:32]
	v_add_f64 v[13:14], v[13:14], v[27:28]
	v_fma_f64 v[27:28], v[3:4], v[53:54], v[109:110]
	v_add_f64 v[15:16], v[17:18], v[15:16]
	s_clause 0x4
	buffer_load_dword v18, off, s[0:3], 0 offset:572
	buffer_load_dword v53, off, s[0:3], 0 offset:584
	;; [unrolled: 1-line block ×5, first 2 shown]
	s_waitcnt vmcnt(57) lgkmcnt(0)
	v_mul_f64 v[109:110], v[5:6], v[55:56]
	v_mul_f64 v[55:56], v[7:8], v[55:56]
	s_waitcnt vmcnt(56)
	v_fma_f64 v[35:36], v[9:10], v[23:24], -v[35:36]
	ds_read_b128 v[1:4], v77 offset:1152
	v_fma_f64 v[23:24], v[11:12], v[23:24], v[29:30]
	v_add_f64 v[13:14], v[13:14], v[31:32]
	v_add_f64 v[15:16], v[15:16], v[27:28]
	s_clause 0x2
	buffer_load_dword v54, off, s[0:3], 0 offset:588
	buffer_load_dword v28, off, s[0:3], 0 offset:564
	;; [unrolled: 1-line block ×3, first 2 shown]
	ds_read_b128 v[9:12], v77 offset:1168
	s_waitcnt vmcnt(58) lgkmcnt(1)
	v_mul_f64 v[31:32], v[3:4], v[59:60]
	s_waitcnt vmcnt(56)
	v_fma_f64 v[55:56], v[5:6], v[61:62], -v[55:56]
	v_mul_f64 v[29:30], v[1:2], v[59:60]
	v_add_f64 v[13:14], v[13:14], v[35:36]
	v_fma_f64 v[35:36], v[7:8], v[61:62], v[109:110]
	v_add_f64 v[15:16], v[15:16], v[23:24]
	s_clause 0x4
	buffer_load_dword v24, off, s[0:3], 0 offset:604
	buffer_load_dword v59, off, s[0:3], 0 offset:616
	;; [unrolled: 1-line block ×5, first 2 shown]
	s_waitcnt vmcnt(57) lgkmcnt(0)
	v_mul_f64 v[109:110], v[9:10], v[63:64]
	v_mul_f64 v[62:63], v[11:12], v[63:64]
	s_waitcnt vmcnt(56)
	v_fma_f64 v[31:32], v[1:2], v[33:34], -v[31:32]
	ds_read_b128 v[5:8], v77 offset:1184
	v_fma_f64 v[29:30], v[3:4], v[33:34], v[29:30]
	s_clause 0x2
	buffer_load_dword v60, off, s[0:3], 0 offset:620
	buffer_load_dword v34, off, s[0:3], 0 offset:596
	;; [unrolled: 1-line block ×3, first 2 shown]
	ds_read_b128 v[1:4], v77 offset:1200
	v_add_f64 v[13:14], v[13:14], v[55:56]
	v_add_f64 v[15:16], v[15:16], v[35:36]
	s_waitcnt vmcnt(58) lgkmcnt(1)
	v_mul_f64 v[55:56], v[7:8], v[67:68]
	s_waitcnt vmcnt(56)
	v_fma_f64 v[63:64], v[9:10], v[69:70], -v[62:63]
	v_mul_f64 v[35:36], v[5:6], v[67:68]
	v_add_f64 v[13:14], v[13:14], v[31:32]
	v_fma_f64 v[31:32], v[11:12], v[69:70], v[109:110]
	v_add_f64 v[15:16], v[15:16], v[29:30]
	s_clause 0x4
	buffer_load_dword v30, off, s[0:3], 0 offset:636
	buffer_load_dword v67, off, s[0:3], 0 offset:648
	;; [unrolled: 1-line block ×5, first 2 shown]
	s_waitcnt vmcnt(57) lgkmcnt(0)
	v_mul_f64 v[109:110], v[1:2], v[71:72]
	v_mul_f64 v[70:71], v[3:4], v[71:72]
	s_waitcnt vmcnt(56)
	v_fma_f64 v[55:56], v[5:6], v[57:58], -v[55:56]
	ds_read_b128 v[9:12], v77 offset:1216
	v_fma_f64 v[35:36], v[7:8], v[57:58], v[35:36]
	v_add_f64 v[13:14], v[13:14], v[63:64]
	v_add_f64 v[15:16], v[15:16], v[31:32]
	s_clause 0x2
	buffer_load_dword v68, off, s[0:3], 0 offset:652
	buffer_load_dword v32, off, s[0:3], 0 offset:628
	;; [unrolled: 1-line block ×3, first 2 shown]
	ds_read_b128 v[5:8], v77 offset:1232
	s_waitcnt vmcnt(58) lgkmcnt(1)
	v_mul_f64 v[63:64], v[11:12], v[73:74]
	s_waitcnt vmcnt(56)
	v_fma_f64 v[71:72], v[1:2], v[75:76], -v[70:71]
	v_mul_f64 v[57:58], v[9:10], v[73:74]
	v_add_f64 v[13:14], v[13:14], v[55:56]
	v_fma_f64 v[55:56], v[3:4], v[75:76], v[109:110]
	v_add_f64 v[15:16], v[15:16], v[35:36]
	s_clause 0x4
	buffer_load_dword v36, off, s[0:3], 0 offset:668
	buffer_load_dword v73, off, s[0:3], 0 offset:680
	;; [unrolled: 1-line block ×5, first 2 shown]
	s_waitcnt vmcnt(57) lgkmcnt(0)
	v_mul_f64 v[109:110], v[5:6], v[94:95]
	v_mul_f64 v[94:95], v[7:8], v[94:95]
	s_waitcnt vmcnt(56)
	v_fma_f64 v[63:64], v[9:10], v[65:66], -v[63:64]
	ds_read_b128 v[1:4], v77 offset:1248
	v_fma_f64 v[57:58], v[11:12], v[65:66], v[57:58]
	v_add_f64 v[13:14], v[13:14], v[71:72]
	v_add_f64 v[15:16], v[15:16], v[55:56]
	s_clause 0x2
	buffer_load_dword v74, off, s[0:3], 0 offset:684
	buffer_load_dword v56, off, s[0:3], 0 offset:660
	;; [unrolled: 1-line block ×3, first 2 shown]
	ds_read_b128 v[9:12], v77 offset:1264
	s_waitcnt vmcnt(58) lgkmcnt(1)
	v_mul_f64 v[71:72], v[3:4], v[96:97]
	s_waitcnt vmcnt(56)
	v_fma_f64 v[94:95], v[5:6], v[101:102], -v[94:95]
	v_mul_f64 v[65:66], v[1:2], v[96:97]
	v_add_f64 v[13:14], v[13:14], v[63:64]
	v_fma_f64 v[63:64], v[7:8], v[101:102], v[109:110]
	v_add_f64 v[15:16], v[15:16], v[57:58]
	s_clause 0x4
	buffer_load_dword v58, off, s[0:3], 0 offset:700
	buffer_load_dword v96, off, s[0:3], 0 offset:712
	;; [unrolled: 1-line block ×5, first 2 shown]
	ds_read_b128 v[5:8], v77 offset:1280
	s_waitcnt vmcnt(57) lgkmcnt(1)
	v_mul_f64 v[101:102], v[9:10], v[88:89]
	v_mul_f64 v[88:89], v[11:12], v[88:89]
	s_waitcnt vmcnt(56)
	v_fma_f64 v[71:72], v[1:2], v[98:99], -v[71:72]
	v_fma_f64 v[65:66], v[3:4], v[98:99], v[65:66]
	v_add_f64 v[13:14], v[13:14], v[94:95]
	v_add_f64 v[15:16], v[15:16], v[63:64]
	s_clause 0x2
	buffer_load_dword v97, off, s[0:3], 0 offset:716
	buffer_load_dword v64, off, s[0:3], 0 offset:692
	;; [unrolled: 1-line block ×3, first 2 shown]
	ds_read_b128 v[1:4], v77 offset:1296
	s_waitcnt vmcnt(58) lgkmcnt(1)
	v_mul_f64 v[98:99], v[7:8], v[105:106]
	v_mul_f64 v[94:95], v[5:6], v[105:106]
	s_waitcnt vmcnt(56)
	v_fma_f64 v[88:89], v[9:10], v[82:83], -v[88:89]
	v_add_f64 v[13:14], v[13:14], v[71:72]
	v_fma_f64 v[71:72], v[11:12], v[82:83], v[101:102]
	v_add_f64 v[15:16], v[15:16], v[65:66]
	s_clause 0x4
	buffer_load_dword v66, off, s[0:3], 0 offset:732
	buffer_load_dword v82, off, s[0:3], 0 offset:744
	buffer_load_dword v105, off, s[0:3], 0 offset:736
	buffer_load_dword v65, off, s[0:3], 0 offset:728
	buffer_load_dword v101, off, s[0:3], 0 offset:708
	ds_read_b128 v[9:12], v77 offset:1312
	s_waitcnt vmcnt(57) lgkmcnt(1)
	v_mul_f64 v[109:110], v[1:2], v[25:26]
	v_mul_f64 v[25:26], v[3:4], v[25:26]
	s_waitcnt vmcnt(56)
	v_fma_f64 v[98:99], v[5:6], v[107:108], -v[98:99]
	v_add_f64 v[13:14], v[13:14], v[88:89]
	v_fma_f64 v[88:89], v[7:8], v[107:108], v[94:95]
	v_add_f64 v[15:16], v[15:16], v[71:72]
	s_clause 0x2
	buffer_load_dword v83, off, s[0:3], 0 offset:748
	buffer_load_dword v72, off, s[0:3], 0 offset:724
	buffer_load_dword v71, off, s[0:3], 0 offset:720
	ds_read_b128 v[5:8], v77 offset:1328
	s_waitcnt vmcnt(58) lgkmcnt(1)
	v_mul_f64 v[94:95], v[9:10], v[90:91]
	v_mul_f64 v[90:91], v[11:12], v[90:91]
	s_waitcnt vmcnt(56)
	v_fma_f64 v[25:26], v[1:2], v[19:20], -v[25:26]
	v_fma_f64 v[19:20], v[3:4], v[19:20], v[109:110]
	v_add_f64 v[13:14], v[13:14], v[98:99]
	v_add_f64 v[15:16], v[15:16], v[88:89]
	s_clause 0x4
	buffer_load_dword v89, off, s[0:3], 0 offset:764
	buffer_load_dword v98, off, s[0:3], 0 offset:776
	buffer_load_dword v102, off, s[0:3], 0 offset:768
	buffer_load_dword v88, off, s[0:3], 0 offset:760
	buffer_load_dword v106, off, s[0:3], 0 offset:740
	ds_read_b128 v[1:4], v77 offset:1344
	s_waitcnt vmcnt(57) lgkmcnt(1)
	v_mul_f64 v[107:108], v[5:6], v[78:79]
	v_mul_f64 v[78:79], v[7:8], v[78:79]
	s_waitcnt vmcnt(56)
	v_fma_f64 v[90:91], v[9:10], v[103:104], -v[90:91]
	v_add_f64 v[13:14], v[13:14], v[25:26]
	v_fma_f64 v[25:26], v[11:12], v[103:104], v[94:95]
	v_add_f64 v[15:16], v[15:16], v[19:20]
	s_clause 0x2
	buffer_load_dword v99, off, s[0:3], 0 offset:780
	buffer_load_dword v20, off, s[0:3], 0 offset:756
	buffer_load_dword v19, off, s[0:3], 0 offset:752
	ds_read_b128 v[9:12], v77 offset:1360
	s_waitcnt vmcnt(58) lgkmcnt(1)
	v_mul_f64 v[94:95], v[1:2], v[80:81]
	v_mul_f64 v[80:81], v[3:4], v[80:81]
	s_waitcnt vmcnt(56)
	v_fma_f64 v[78:79], v[5:6], v[21:22], -v[78:79]
	v_fma_f64 v[21:22], v[7:8], v[21:22], v[107:108]
	v_add_f64 v[13:14], v[13:14], v[90:91]
	;; [unrolled: 28-line block ×3, first 2 shown]
	v_add_f64 v[15:16], v[15:16], v[78:79]
	s_clause 0x2
	buffer_load_dword v79, off, s[0:3], 0 offset:828
	buffer_load_dword v78, off, s[0:3], 0 offset:824
	;; [unrolled: 1-line block ×3, first 2 shown]
	ds_read_b128 v[9:12], v77 offset:1408
	s_waitcnt vmcnt(55) lgkmcnt(1)
	v_mul_f64 v[80:81], v[1:2], v[23:24]
	v_mul_f64 v[23:24], v[3:4], v[23:24]
	s_waitcnt vmcnt(54)
	v_fma_f64 v[53:54], v[5:6], v[86:87], -v[53:54]
	v_add_f64 v[13:14], v[13:14], v[17:18]
	v_fma_f64 v[17:18], v[7:8], v[86:87], v[92:93]
	v_add_f64 v[15:16], v[15:16], v[27:28]
	s_clause 0x1
	buffer_load_dword v28, off, s[0:3], 0 offset:820
	buffer_load_dword v27, off, s[0:3], 0 offset:816
	s_waitcnt vmcnt(55) lgkmcnt(0)
	v_mul_f64 v[86:87], v[9:10], v[59:60]
	v_mul_f64 v[59:60], v[11:12], v[59:60]
	ds_read_b128 v[5:8], v77 offset:1424
	s_waitcnt vmcnt(53)
	v_fma_f64 v[23:24], v[1:2], v[33:34], -v[23:24]
	v_fma_f64 v[33:34], v[3:4], v[33:34], v[80:81]
	ds_read_b128 v[1:4], v77 offset:1440
	v_add_f64 v[13:14], v[13:14], v[53:54]
	v_add_f64 v[15:16], v[15:16], v[17:18]
	s_waitcnt vmcnt(49) lgkmcnt(1)
	v_mul_f64 v[17:18], v[5:6], v[29:30]
	v_mul_f64 v[29:30], v[7:8], v[29:30]
	s_waitcnt vmcnt(48)
	v_fma_f64 v[53:54], v[9:10], v[61:62], -v[59:60]
	v_add_f64 v[13:14], v[13:14], v[23:24]
	v_fma_f64 v[23:24], v[11:12], v[61:62], v[86:87]
	v_add_f64 v[15:16], v[15:16], v[33:34]
	s_clause 0x3
	buffer_load_dword v33, off, s[0:3], 0 offset:176
	buffer_load_dword v34, off, s[0:3], 0 offset:180
	;; [unrolled: 1-line block ×4, first 2 shown]
	ds_read_b128 v[9:12], v77 offset:1456
	s_waitcnt vmcnt(51) lgkmcnt(1)
	v_mul_f64 v[61:62], v[1:2], v[67:68]
	v_mul_f64 v[67:68], v[3:4], v[67:68]
	s_waitcnt vmcnt(49)
	v_fma_f64 v[29:30], v[5:6], v[31:32], -v[29:30]
	v_fma_f64 v[17:18], v[7:8], v[31:32], v[17:18]
	ds_read_b128 v[5:8], v77 offset:1472
	v_add_f64 v[13:14], v[13:14], v[53:54]
	v_add_f64 v[15:16], v[15:16], v[23:24]
	s_waitcnt vmcnt(45) lgkmcnt(1)
	v_mul_f64 v[23:24], v[9:10], v[35:36]
	v_mul_f64 v[31:32], v[11:12], v[35:36]
	s_waitcnt vmcnt(44)
	v_fma_f64 v[35:36], v[1:2], v[69:70], -v[67:68]
	v_add_f64 v[13:14], v[13:14], v[29:30]
	v_fma_f64 v[29:30], v[3:4], v[69:70], v[61:62]
	v_add_f64 v[15:16], v[15:16], v[17:18]
	ds_read_b128 v[1:4], v77 offset:1488
	s_waitcnt vmcnt(43) lgkmcnt(1)
	v_mul_f64 v[53:54], v[7:8], v[73:74]
	v_mul_f64 v[17:18], v[5:6], v[73:74]
	s_waitcnt vmcnt(41)
	v_fma_f64 v[31:32], v[9:10], v[55:56], -v[31:32]
	v_fma_f64 v[23:24], v[11:12], v[55:56], v[23:24]
	ds_read_b128 v[9:12], v77 offset:1504
	v_add_f64 v[13:14], v[13:14], v[35:36]
	v_add_f64 v[15:16], v[15:16], v[29:30]
	s_waitcnt vmcnt(37) lgkmcnt(1)
	v_mul_f64 v[35:36], v[3:4], v[57:58]
	s_waitcnt vmcnt(36)
	v_fma_f64 v[53:54], v[5:6], v[75:76], -v[53:54]
	v_mul_f64 v[29:30], v[1:2], v[57:58]
	v_fma_f64 v[17:18], v[7:8], v[75:76], v[17:18]
	ds_read_b128 v[5:8], v77 offset:1520
	v_add_f64 v[13:14], v[13:14], v[31:32]
	v_add_f64 v[15:16], v[15:16], v[23:24]
	s_waitcnt vmcnt(35) lgkmcnt(1)
	v_mul_f64 v[31:32], v[11:12], v[96:97]
	v_mul_f64 v[23:24], v[9:10], v[96:97]
	s_waitcnt vmcnt(33)
	v_fma_f64 v[35:36], v[1:2], v[63:64], -v[35:36]
	v_fma_f64 v[29:30], v[3:4], v[63:64], v[29:30]
	ds_read_b128 v[1:4], v77 offset:1536
	v_add_f64 v[13:14], v[13:14], v[53:54]
	v_add_f64 v[15:16], v[15:16], v[17:18]
	s_waitcnt vmcnt(29) lgkmcnt(1)
	v_mul_f64 v[53:54], v[7:8], v[65:66]
	s_waitcnt vmcnt(28)
	v_fma_f64 v[31:32], v[9:10], v[100:101], -v[31:32]
	v_mul_f64 v[17:18], v[5:6], v[65:66]
	v_fma_f64 v[23:24], v[11:12], v[100:101], v[23:24]
	ds_read_b128 v[9:12], v77 offset:1552
	v_add_f64 v[13:14], v[13:14], v[35:36]
	v_add_f64 v[15:16], v[15:16], v[29:30]
	;; [unrolled: 18-line block ×3, first 2 shown]
	s_waitcnt vmcnt(19) lgkmcnt(1)
	v_mul_f64 v[53:54], v[7:8], v[98:99]
	v_mul_f64 v[17:18], v[5:6], v[98:99]
	s_waitcnt vmcnt(17)
	v_fma_f64 v[31:32], v[9:10], v[19:20], -v[31:32]
	v_fma_f64 v[19:20], v[11:12], v[19:20], v[23:24]
	ds_read_b128 v[9:12], v77 offset:1600
	v_add_f64 v[13:14], v[13:14], v[35:36]
	v_add_f64 v[15:16], v[15:16], v[29:30]
	s_waitcnt vmcnt(13) lgkmcnt(1)
	v_mul_f64 v[23:24], v[1:2], v[25:26]
	v_mul_f64 v[25:26], v[3:4], v[25:26]
	s_waitcnt vmcnt(12)
	v_fma_f64 v[29:30], v[5:6], v[102:103], -v[53:54]
	v_fma_f64 v[17:18], v[7:8], v[102:103], v[17:18]
	ds_read_b128 v[5:8], v77 offset:1616
	v_add_f64 v[13:14], v[13:14], v[31:32]
	v_add_f64 v[15:16], v[15:16], v[19:20]
	s_waitcnt vmcnt(11) lgkmcnt(1)
	v_mul_f64 v[31:32], v[11:12], v[90:91]
	v_mul_f64 v[19:20], v[9:10], v[90:91]
	s_waitcnt vmcnt(9)
	v_fma_f64 v[1:2], v[1:2], v[21:22], -v[25:26]
	v_fma_f64 v[3:4], v[3:4], v[21:22], v[23:24]
	v_add_f64 v[13:14], v[13:14], v[29:30]
	v_add_f64 v[15:16], v[15:16], v[17:18]
	s_waitcnt vmcnt(7) lgkmcnt(0)
	v_mul_f64 v[21:22], v[7:8], v[78:79]
	s_waitcnt vmcnt(6)
	v_fma_f64 v[9:10], v[9:10], v[107:108], -v[31:32]
	v_mul_f64 v[17:18], v[5:6], v[78:79]
	v_fma_f64 v[11:12], v[11:12], v[107:108], v[19:20]
	v_add_f64 v[1:2], v[13:14], v[1:2]
	v_add_f64 v[3:4], v[15:16], v[3:4]
	s_waitcnt vmcnt(4)
	v_fma_f64 v[5:6], v[5:6], v[27:28], -v[21:22]
	v_fma_f64 v[7:8], v[7:8], v[27:28], v[17:18]
	v_add_f64 v[1:2], v[1:2], v[9:10]
	v_add_f64 v[3:4], v[3:4], v[11:12]
	;; [unrolled: 1-line block ×4, first 2 shown]
	s_waitcnt vmcnt(2)
	v_add_f64 v[1:2], v[33:34], -v[1:2]
	s_waitcnt vmcnt(0)
	v_add_f64 v[3:4], v[59:60], -v[3:4]
	buffer_store_dword v2, off, s[0:3], 0 offset:180
	buffer_store_dword v1, off, s[0:3], 0 offset:176
	;; [unrolled: 1-line block ×4, first 2 shown]
	v_cmpx_lt_u32_e32 9, v0
	s_cbranch_execz .LBB50_301
; %bb.300:
	v_mov_b32_e32 v4, s54
	v_mov_b32_e32 v5, 0
	s_clause 0x3
	buffer_load_dword v1, v4, s[0:3], 0 offen
	buffer_load_dword v2, v4, s[0:3], 0 offen offset:4
	buffer_load_dword v3, v4, s[0:3], 0 offen offset:8
	;; [unrolled: 1-line block ×3, first 2 shown]
	buffer_store_dword v5, off, s[0:3], 0 offset:160
	buffer_store_dword v5, off, s[0:3], 0 offset:164
	buffer_store_dword v5, off, s[0:3], 0 offset:168
	buffer_store_dword v5, off, s[0:3], 0 offset:172
	s_waitcnt vmcnt(0)
	ds_write_b128 v85, v[1:4]
.LBB50_301:
	s_or_b32 exec_lo, exec_lo, s4
	s_waitcnt lgkmcnt(0)
	s_waitcnt_vscnt null, 0x0
	s_barrier
	buffer_gl0_inv
	s_clause 0x37
	buffer_load_dword v9, off, s[0:3], 0 offset:184
	buffer_load_dword v10, off, s[0:3], 0 offset:188
	buffer_load_dword v5, off, s[0:3], 0 offset:200
	buffer_load_dword v6, off, s[0:3], 0 offset:204
	buffer_load_dword v7, off, s[0:3], 0 offset:176
	buffer_load_dword v8, off, s[0:3], 0 offset:180
	buffer_load_dword v3, off, s[0:3], 0 offset:216
	buffer_load_dword v4, off, s[0:3], 0 offset:220
	buffer_load_dword v1, off, s[0:3], 0 offset:192
	buffer_load_dword v2, off, s[0:3], 0 offset:196
	buffer_load_dword v14, off, s[0:3], 0 offset:236
	buffer_load_dword v17, off, s[0:3], 0 offset:248
	buffer_load_dword v11, off, s[0:3], 0 offset:240
	buffer_load_dword v13, off, s[0:3], 0 offset:232
	buffer_load_dword v25, off, s[0:3], 0 offset:208
	buffer_load_dword v26, off, s[0:3], 0 offset:212
	buffer_load_dword v18, off, s[0:3], 0 offset:252
	buffer_load_dword v20, off, s[0:3], 0 offset:228
	buffer_load_dword v19, off, s[0:3], 0 offset:224
	buffer_load_dword v22, off, s[0:3], 0 offset:268
	buffer_load_dword v27, off, s[0:3], 0 offset:280
	buffer_load_dword v15, off, s[0:3], 0 offset:272
	buffer_load_dword v21, off, s[0:3], 0 offset:264
	buffer_load_dword v12, off, s[0:3], 0 offset:244
	buffer_load_dword v28, off, s[0:3], 0 offset:284
	buffer_load_dword v30, off, s[0:3], 0 offset:260
	buffer_load_dword v29, off, s[0:3], 0 offset:256
	buffer_load_dword v32, off, s[0:3], 0 offset:300
	buffer_load_dword v35, off, s[0:3], 0 offset:312
	buffer_load_dword v23, off, s[0:3], 0 offset:304
	buffer_load_dword v31, off, s[0:3], 0 offset:296
	buffer_load_dword v16, off, s[0:3], 0 offset:276
	buffer_load_dword v36, off, s[0:3], 0 offset:316
	buffer_load_dword v54, off, s[0:3], 0 offset:292
	buffer_load_dword v53, off, s[0:3], 0 offset:288
	buffer_load_dword v56, off, s[0:3], 0 offset:332
	buffer_load_dword v59, off, s[0:3], 0 offset:344
	buffer_load_dword v33, off, s[0:3], 0 offset:336
	buffer_load_dword v55, off, s[0:3], 0 offset:328
	buffer_load_dword v24, off, s[0:3], 0 offset:308
	buffer_load_dword v60, off, s[0:3], 0 offset:348
	buffer_load_dword v62, off, s[0:3], 0 offset:324
	buffer_load_dword v61, off, s[0:3], 0 offset:320
	buffer_load_dword v64, off, s[0:3], 0 offset:364
	buffer_load_dword v67, off, s[0:3], 0 offset:376
	buffer_load_dword v57, off, s[0:3], 0 offset:368
	buffer_load_dword v63, off, s[0:3], 0 offset:360
	buffer_load_dword v34, off, s[0:3], 0 offset:340
	buffer_load_dword v68, off, s[0:3], 0 offset:380
	buffer_load_dword v70, off, s[0:3], 0 offset:356
	buffer_load_dword v69, off, s[0:3], 0 offset:352
	buffer_load_dword v72, off, s[0:3], 0 offset:396
	buffer_load_dword v73, off, s[0:3], 0 offset:408
	buffer_load_dword v65, off, s[0:3], 0 offset:400
	buffer_load_dword v71, off, s[0:3], 0 offset:392
	buffer_load_dword v58, off, s[0:3], 0 offset:372
	v_mov_b32_e32 v77, 0
	s_mov_b32 s4, exec_lo
	ds_read_b128 v[78:81], v77 offset:976
	s_clause 0x2
	buffer_load_dword v74, off, s[0:3], 0 offset:412
	buffer_load_dword v76, off, s[0:3], 0 offset:388
	;; [unrolled: 1-line block ×3, first 2 shown]
	ds_read_b128 v[86:89], v77 offset:992
	s_clause 0x4
	buffer_load_dword v95, off, s[0:3], 0 offset:428
	buffer_load_dword v96, off, s[0:3], 0 offset:440
	;; [unrolled: 1-line block ×5, first 2 shown]
	ds_read_b128 v[90:93], v77 offset:1008
	s_clause 0x2
	buffer_load_dword v97, off, s[0:3], 0 offset:444
	buffer_load_dword v102, off, s[0:3], 0 offset:420
	;; [unrolled: 1-line block ×3, first 2 shown]
	s_waitcnt vmcnt(62) lgkmcnt(2)
	v_mul_f64 v[82:83], v[80:81], v[9:10]
	v_mul_f64 v[9:10], v[78:79], v[9:10]
	s_waitcnt lgkmcnt(1)
	v_mul_f64 v[99:100], v[88:89], v[5:6]
	s_waitcnt vmcnt(59) lgkmcnt(0)
	v_mul_f64 v[103:104], v[92:93], v[3:4]
	v_fma_f64 v[78:79], v[78:79], v[7:8], -v[82:83]
	v_mul_f64 v[82:83], v[86:87], v[5:6]
	v_fma_f64 v[9:10], v[80:81], v[7:8], v[9:10]
	s_waitcnt vmcnt(57)
	v_fma_f64 v[86:87], v[86:87], v[1:2], -v[99:100]
	ds_read_b128 v[5:8], v77 offset:1024
	v_mul_f64 v[80:81], v[90:91], v[3:4]
	s_waitcnt vmcnt(51)
	v_fma_f64 v[90:91], v[90:91], v[25:26], -v[103:104]
	v_add_f64 v[78:79], v[78:79], 0
	v_fma_f64 v[82:83], v[88:89], v[1:2], v[82:83]
	v_add_f64 v[9:10], v[9:10], 0
	s_clause 0x4
	buffer_load_dword v89, off, s[0:3], 0 offset:460
	buffer_load_dword v105, off, s[0:3], 0 offset:472
	;; [unrolled: 1-line block ×5, first 2 shown]
	s_waitcnt lgkmcnt(0)
	v_mul_f64 v[108:109], v[5:6], v[13:14]
	v_mul_f64 v[13:14], v[7:8], v[13:14]
	ds_read_b128 v[1:4], v77 offset:1040
	v_fma_f64 v[25:26], v[92:93], v[25:26], v[80:81]
	v_add_f64 v[86:87], v[78:79], v[86:87]
	v_add_f64 v[9:10], v[9:10], v[82:83]
	s_clause 0x2
	buffer_load_dword v106, off, s[0:3], 0 offset:476
	buffer_load_dword v83, off, s[0:3], 0 offset:452
	;; [unrolled: 1-line block ×3, first 2 shown]
	s_waitcnt vmcnt(58) lgkmcnt(0)
	v_mul_f64 v[92:93], v[1:2], v[17:18]
	v_mul_f64 v[17:18], v[3:4], v[17:18]
	s_waitcnt vmcnt(56)
	v_fma_f64 v[13:14], v[5:6], v[19:20], -v[13:14]
	ds_read_b128 v[78:81], v77 offset:1056
	v_fma_f64 v[19:20], v[7:8], v[19:20], v[108:109]
	v_add_f64 v[86:87], v[86:87], v[90:91]
	v_add_f64 v[9:10], v[9:10], v[25:26]
	s_clause 0x4
	buffer_load_dword v26, off, s[0:3], 0 offset:492
	buffer_load_dword v90, off, s[0:3], 0 offset:504
	;; [unrolled: 1-line block ×5, first 2 shown]
	ds_read_b128 v[5:8], v77 offset:1072
	s_waitcnt vmcnt(57) lgkmcnt(1)
	v_mul_f64 v[109:110], v[78:79], v[21:22]
	v_mul_f64 v[21:22], v[80:81], v[21:22]
	s_waitcnt vmcnt(56)
	v_fma_f64 v[17:18], v[1:2], v[11:12], -v[17:18]
	v_fma_f64 v[11:12], v[3:4], v[11:12], v[92:93]
	v_add_f64 v[13:14], v[86:87], v[13:14]
	v_add_f64 v[9:10], v[9:10], v[19:20]
	s_clause 0x2
	buffer_load_dword v91, off, s[0:3], 0 offset:508
	buffer_load_dword v20, off, s[0:3], 0 offset:484
	;; [unrolled: 1-line block ×3, first 2 shown]
	s_waitcnt vmcnt(58) lgkmcnt(0)
	v_mul_f64 v[86:87], v[5:6], v[27:28]
	v_mul_f64 v[27:28], v[7:8], v[27:28]
	s_waitcnt vmcnt(56)
	v_fma_f64 v[21:22], v[78:79], v[29:30], -v[21:22]
	ds_read_b128 v[1:4], v77 offset:1088
	v_add_f64 v[13:14], v[13:14], v[17:18]
	v_fma_f64 v[17:18], v[80:81], v[29:30], v[109:110]
	v_add_f64 v[29:30], v[9:10], v[11:12]
	s_clause 0x4
	buffer_load_dword v79, off, s[0:3], 0 offset:524
	buffer_load_dword v80, off, s[0:3], 0 offset:536
	;; [unrolled: 1-line block ×5, first 2 shown]
	ds_read_b128 v[9:12], v77 offset:1104
	s_waitcnt vmcnt(57) lgkmcnt(1)
	v_mul_f64 v[109:110], v[1:2], v[31:32]
	v_mul_f64 v[31:32], v[3:4], v[31:32]
	s_waitcnt vmcnt(56)
	v_fma_f64 v[27:28], v[5:6], v[15:16], -v[27:28]
	v_fma_f64 v[15:16], v[7:8], v[15:16], v[86:87]
	v_add_f64 v[13:14], v[13:14], v[21:22]
	s_clause 0x2
	buffer_load_dword v81, off, s[0:3], 0 offset:540
	buffer_load_dword v22, off, s[0:3], 0 offset:516
	;; [unrolled: 1-line block ×3, first 2 shown]
	v_add_f64 v[17:18], v[29:30], v[17:18]
	s_waitcnt vmcnt(58) lgkmcnt(0)
	v_mul_f64 v[29:30], v[9:10], v[35:36]
	v_mul_f64 v[35:36], v[11:12], v[35:36]
	ds_read_b128 v[5:8], v77 offset:1120
	s_waitcnt vmcnt(56)
	v_fma_f64 v[31:32], v[1:2], v[53:54], -v[31:32]
	v_add_f64 v[13:14], v[13:14], v[27:28]
	v_fma_f64 v[27:28], v[3:4], v[53:54], v[109:110]
	v_add_f64 v[15:16], v[17:18], v[15:16]
	s_clause 0x4
	buffer_load_dword v18, off, s[0:3], 0 offset:556
	buffer_load_dword v53, off, s[0:3], 0 offset:568
	;; [unrolled: 1-line block ×5, first 2 shown]
	s_waitcnt vmcnt(57) lgkmcnt(0)
	v_mul_f64 v[109:110], v[5:6], v[55:56]
	v_mul_f64 v[55:56], v[7:8], v[55:56]
	s_waitcnt vmcnt(56)
	v_fma_f64 v[35:36], v[9:10], v[23:24], -v[35:36]
	ds_read_b128 v[1:4], v77 offset:1136
	v_fma_f64 v[23:24], v[11:12], v[23:24], v[29:30]
	v_add_f64 v[13:14], v[13:14], v[31:32]
	v_add_f64 v[15:16], v[15:16], v[27:28]
	s_clause 0x2
	buffer_load_dword v54, off, s[0:3], 0 offset:572
	buffer_load_dword v28, off, s[0:3], 0 offset:548
	;; [unrolled: 1-line block ×3, first 2 shown]
	ds_read_b128 v[9:12], v77 offset:1152
	s_waitcnt vmcnt(58) lgkmcnt(1)
	v_mul_f64 v[31:32], v[3:4], v[59:60]
	s_waitcnt vmcnt(56)
	v_fma_f64 v[55:56], v[5:6], v[61:62], -v[55:56]
	v_mul_f64 v[29:30], v[1:2], v[59:60]
	v_add_f64 v[13:14], v[13:14], v[35:36]
	v_fma_f64 v[35:36], v[7:8], v[61:62], v[109:110]
	v_add_f64 v[15:16], v[15:16], v[23:24]
	s_clause 0x4
	buffer_load_dword v24, off, s[0:3], 0 offset:588
	buffer_load_dword v59, off, s[0:3], 0 offset:600
	;; [unrolled: 1-line block ×5, first 2 shown]
	s_waitcnt vmcnt(57) lgkmcnt(0)
	v_mul_f64 v[109:110], v[9:10], v[63:64]
	v_mul_f64 v[62:63], v[11:12], v[63:64]
	s_waitcnt vmcnt(56)
	v_fma_f64 v[31:32], v[1:2], v[33:34], -v[31:32]
	ds_read_b128 v[5:8], v77 offset:1168
	v_fma_f64 v[29:30], v[3:4], v[33:34], v[29:30]
	s_clause 0x2
	buffer_load_dword v60, off, s[0:3], 0 offset:604
	buffer_load_dword v34, off, s[0:3], 0 offset:580
	;; [unrolled: 1-line block ×3, first 2 shown]
	ds_read_b128 v[1:4], v77 offset:1184
	v_add_f64 v[13:14], v[13:14], v[55:56]
	v_add_f64 v[15:16], v[15:16], v[35:36]
	s_waitcnt vmcnt(58) lgkmcnt(1)
	v_mul_f64 v[55:56], v[7:8], v[67:68]
	s_waitcnt vmcnt(56)
	v_fma_f64 v[63:64], v[9:10], v[69:70], -v[62:63]
	v_mul_f64 v[35:36], v[5:6], v[67:68]
	v_add_f64 v[13:14], v[13:14], v[31:32]
	v_fma_f64 v[31:32], v[11:12], v[69:70], v[109:110]
	v_add_f64 v[15:16], v[15:16], v[29:30]
	s_clause 0x4
	buffer_load_dword v30, off, s[0:3], 0 offset:620
	buffer_load_dword v67, off, s[0:3], 0 offset:632
	;; [unrolled: 1-line block ×5, first 2 shown]
	s_waitcnt vmcnt(57) lgkmcnt(0)
	v_mul_f64 v[109:110], v[1:2], v[71:72]
	v_mul_f64 v[70:71], v[3:4], v[71:72]
	s_waitcnt vmcnt(56)
	v_fma_f64 v[55:56], v[5:6], v[57:58], -v[55:56]
	ds_read_b128 v[9:12], v77 offset:1200
	v_fma_f64 v[35:36], v[7:8], v[57:58], v[35:36]
	v_add_f64 v[13:14], v[13:14], v[63:64]
	v_add_f64 v[15:16], v[15:16], v[31:32]
	s_clause 0x2
	buffer_load_dword v68, off, s[0:3], 0 offset:636
	buffer_load_dword v32, off, s[0:3], 0 offset:612
	buffer_load_dword v31, off, s[0:3], 0 offset:608
	ds_read_b128 v[5:8], v77 offset:1216
	s_waitcnt vmcnt(58) lgkmcnt(1)
	v_mul_f64 v[63:64], v[11:12], v[73:74]
	s_waitcnt vmcnt(56)
	v_fma_f64 v[71:72], v[1:2], v[75:76], -v[70:71]
	v_mul_f64 v[57:58], v[9:10], v[73:74]
	v_add_f64 v[13:14], v[13:14], v[55:56]
	v_fma_f64 v[55:56], v[3:4], v[75:76], v[109:110]
	v_add_f64 v[15:16], v[15:16], v[35:36]
	s_clause 0x4
	buffer_load_dword v36, off, s[0:3], 0 offset:652
	buffer_load_dword v73, off, s[0:3], 0 offset:664
	;; [unrolled: 1-line block ×5, first 2 shown]
	s_waitcnt vmcnt(57) lgkmcnt(0)
	v_mul_f64 v[109:110], v[5:6], v[94:95]
	v_mul_f64 v[94:95], v[7:8], v[94:95]
	s_waitcnt vmcnt(56)
	v_fma_f64 v[63:64], v[9:10], v[65:66], -v[63:64]
	ds_read_b128 v[1:4], v77 offset:1232
	v_fma_f64 v[57:58], v[11:12], v[65:66], v[57:58]
	v_add_f64 v[13:14], v[13:14], v[71:72]
	v_add_f64 v[15:16], v[15:16], v[55:56]
	s_clause 0x2
	buffer_load_dword v74, off, s[0:3], 0 offset:668
	buffer_load_dword v56, off, s[0:3], 0 offset:644
	buffer_load_dword v55, off, s[0:3], 0 offset:640
	ds_read_b128 v[9:12], v77 offset:1248
	s_waitcnt vmcnt(58) lgkmcnt(1)
	v_mul_f64 v[71:72], v[3:4], v[96:97]
	s_waitcnt vmcnt(56)
	v_fma_f64 v[94:95], v[5:6], v[101:102], -v[94:95]
	v_mul_f64 v[65:66], v[1:2], v[96:97]
	v_add_f64 v[13:14], v[13:14], v[63:64]
	v_fma_f64 v[63:64], v[7:8], v[101:102], v[109:110]
	v_add_f64 v[15:16], v[15:16], v[57:58]
	s_clause 0x4
	buffer_load_dword v58, off, s[0:3], 0 offset:684
	buffer_load_dword v96, off, s[0:3], 0 offset:696
	;; [unrolled: 1-line block ×5, first 2 shown]
	ds_read_b128 v[5:8], v77 offset:1264
	s_waitcnt vmcnt(57) lgkmcnt(1)
	v_mul_f64 v[101:102], v[9:10], v[88:89]
	v_mul_f64 v[88:89], v[11:12], v[88:89]
	s_waitcnt vmcnt(56)
	v_fma_f64 v[71:72], v[1:2], v[98:99], -v[71:72]
	v_fma_f64 v[65:66], v[3:4], v[98:99], v[65:66]
	v_add_f64 v[13:14], v[13:14], v[94:95]
	v_add_f64 v[15:16], v[15:16], v[63:64]
	s_clause 0x2
	buffer_load_dword v97, off, s[0:3], 0 offset:700
	buffer_load_dword v64, off, s[0:3], 0 offset:676
	;; [unrolled: 1-line block ×3, first 2 shown]
	ds_read_b128 v[1:4], v77 offset:1280
	s_waitcnt vmcnt(58) lgkmcnt(1)
	v_mul_f64 v[98:99], v[7:8], v[105:106]
	v_mul_f64 v[94:95], v[5:6], v[105:106]
	s_waitcnt vmcnt(56)
	v_fma_f64 v[88:89], v[9:10], v[82:83], -v[88:89]
	v_add_f64 v[13:14], v[13:14], v[71:72]
	v_fma_f64 v[71:72], v[11:12], v[82:83], v[101:102]
	v_add_f64 v[15:16], v[15:16], v[65:66]
	s_clause 0x4
	buffer_load_dword v66, off, s[0:3], 0 offset:716
	buffer_load_dword v82, off, s[0:3], 0 offset:728
	buffer_load_dword v105, off, s[0:3], 0 offset:720
	buffer_load_dword v65, off, s[0:3], 0 offset:712
	buffer_load_dword v101, off, s[0:3], 0 offset:692
	ds_read_b128 v[9:12], v77 offset:1296
	s_waitcnt vmcnt(57) lgkmcnt(1)
	v_mul_f64 v[109:110], v[1:2], v[25:26]
	v_mul_f64 v[25:26], v[3:4], v[25:26]
	s_waitcnt vmcnt(56)
	v_fma_f64 v[98:99], v[5:6], v[107:108], -v[98:99]
	v_add_f64 v[13:14], v[13:14], v[88:89]
	v_fma_f64 v[88:89], v[7:8], v[107:108], v[94:95]
	v_add_f64 v[15:16], v[15:16], v[71:72]
	s_clause 0x2
	buffer_load_dword v83, off, s[0:3], 0 offset:732
	buffer_load_dword v72, off, s[0:3], 0 offset:708
	buffer_load_dword v71, off, s[0:3], 0 offset:704
	ds_read_b128 v[5:8], v77 offset:1312
	s_waitcnt vmcnt(58) lgkmcnt(1)
	v_mul_f64 v[94:95], v[9:10], v[90:91]
	v_mul_f64 v[90:91], v[11:12], v[90:91]
	s_waitcnt vmcnt(56)
	v_fma_f64 v[25:26], v[1:2], v[19:20], -v[25:26]
	v_fma_f64 v[19:20], v[3:4], v[19:20], v[109:110]
	v_add_f64 v[13:14], v[13:14], v[98:99]
	v_add_f64 v[15:16], v[15:16], v[88:89]
	s_clause 0x4
	buffer_load_dword v89, off, s[0:3], 0 offset:748
	buffer_load_dword v98, off, s[0:3], 0 offset:760
	buffer_load_dword v102, off, s[0:3], 0 offset:752
	buffer_load_dword v88, off, s[0:3], 0 offset:744
	buffer_load_dword v106, off, s[0:3], 0 offset:724
	ds_read_b128 v[1:4], v77 offset:1328
	s_waitcnt vmcnt(57) lgkmcnt(1)
	v_mul_f64 v[107:108], v[5:6], v[78:79]
	v_mul_f64 v[78:79], v[7:8], v[78:79]
	s_waitcnt vmcnt(56)
	v_fma_f64 v[90:91], v[9:10], v[103:104], -v[90:91]
	v_add_f64 v[13:14], v[13:14], v[25:26]
	v_fma_f64 v[25:26], v[11:12], v[103:104], v[94:95]
	v_add_f64 v[15:16], v[15:16], v[19:20]
	s_clause 0x2
	buffer_load_dword v99, off, s[0:3], 0 offset:764
	buffer_load_dword v20, off, s[0:3], 0 offset:740
	buffer_load_dword v19, off, s[0:3], 0 offset:736
	ds_read_b128 v[9:12], v77 offset:1344
	s_waitcnt vmcnt(58) lgkmcnt(1)
	v_mul_f64 v[94:95], v[1:2], v[80:81]
	v_mul_f64 v[80:81], v[3:4], v[80:81]
	s_waitcnt vmcnt(56)
	v_fma_f64 v[78:79], v[5:6], v[21:22], -v[78:79]
	v_fma_f64 v[21:22], v[7:8], v[21:22], v[107:108]
	v_add_f64 v[13:14], v[13:14], v[90:91]
	;; [unrolled: 28-line block ×3, first 2 shown]
	v_add_f64 v[15:16], v[15:16], v[78:79]
	s_clause 0x4
	buffer_load_dword v79, off, s[0:3], 0 offset:812
	buffer_load_dword v80, off, s[0:3], 0 offset:824
	;; [unrolled: 1-line block ×5, first 2 shown]
	ds_read_b128 v[9:12], v77 offset:1392
	s_waitcnt vmcnt(57) lgkmcnt(1)
	v_mul_f64 v[109:110], v[1:2], v[23:24]
	v_mul_f64 v[23:24], v[3:4], v[23:24]
	s_waitcnt vmcnt(56)
	v_fma_f64 v[53:54], v[5:6], v[86:87], -v[53:54]
	v_add_f64 v[13:14], v[13:14], v[17:18]
	v_fma_f64 v[17:18], v[7:8], v[86:87], v[92:93]
	v_add_f64 v[15:16], v[15:16], v[27:28]
	s_clause 0x2
	buffer_load_dword v81, off, s[0:3], 0 offset:828
	buffer_load_dword v28, off, s[0:3], 0 offset:804
	;; [unrolled: 1-line block ×3, first 2 shown]
	s_waitcnt vmcnt(58) lgkmcnt(0)
	v_mul_f64 v[86:87], v[9:10], v[59:60]
	v_mul_f64 v[59:60], v[11:12], v[59:60]
	ds_read_b128 v[5:8], v77 offset:1408
	buffer_load_dword v95, off, s[0:3], 0 offset:820
	s_waitcnt vmcnt(57)
	v_fma_f64 v[23:24], v[1:2], v[33:34], -v[23:24]
	v_fma_f64 v[33:34], v[3:4], v[33:34], v[109:110]
	ds_read_b128 v[1:4], v77 offset:1424
	v_add_f64 v[13:14], v[13:14], v[53:54]
	v_add_f64 v[15:16], v[15:16], v[17:18]
	s_waitcnt vmcnt(53) lgkmcnt(1)
	v_mul_f64 v[17:18], v[5:6], v[29:30]
	v_mul_f64 v[29:30], v[7:8], v[29:30]
	s_waitcnt vmcnt(52)
	v_fma_f64 v[53:54], v[9:10], v[61:62], -v[59:60]
	v_add_f64 v[13:14], v[13:14], v[23:24]
	v_fma_f64 v[23:24], v[11:12], v[61:62], v[86:87]
	v_add_f64 v[15:16], v[15:16], v[33:34]
	ds_read_b128 v[9:12], v77 offset:1440
	s_waitcnt vmcnt(51) lgkmcnt(1)
	v_mul_f64 v[59:60], v[3:4], v[67:68]
	v_mul_f64 v[33:34], v[1:2], v[67:68]
	s_waitcnt vmcnt(49)
	v_fma_f64 v[29:30], v[5:6], v[31:32], -v[29:30]
	v_fma_f64 v[17:18], v[7:8], v[31:32], v[17:18]
	v_add_f64 v[13:14], v[13:14], v[53:54]
	v_add_f64 v[15:16], v[15:16], v[23:24]
	s_clause 0x3
	buffer_load_dword v23, off, s[0:3], 0 offset:160
	buffer_load_dword v24, off, s[0:3], 0 offset:164
	buffer_load_dword v31, off, s[0:3], 0 offset:168
	buffer_load_dword v32, off, s[0:3], 0 offset:172
	ds_read_b128 v[5:8], v77 offset:1456
	s_waitcnt vmcnt(49) lgkmcnt(1)
	v_mul_f64 v[53:54], v[9:10], v[35:36]
	v_mul_f64 v[35:36], v[11:12], v[35:36]
	s_waitcnt vmcnt(48)
	v_fma_f64 v[59:60], v[1:2], v[69:70], -v[59:60]
	v_add_f64 v[13:14], v[13:14], v[29:30]
	v_fma_f64 v[29:30], v[3:4], v[69:70], v[33:34]
	v_add_f64 v[15:16], v[15:16], v[17:18]
	ds_read_b128 v[1:4], v77 offset:1472
	s_waitcnt vmcnt(47) lgkmcnt(1)
	v_mul_f64 v[33:34], v[7:8], v[73:74]
	v_mul_f64 v[17:18], v[5:6], v[73:74]
	s_waitcnt vmcnt(45)
	v_fma_f64 v[35:36], v[9:10], v[55:56], -v[35:36]
	v_fma_f64 v[53:54], v[11:12], v[55:56], v[53:54]
	ds_read_b128 v[9:12], v77 offset:1488
	v_add_f64 v[13:14], v[13:14], v[59:60]
	v_add_f64 v[15:16], v[15:16], v[29:30]
	s_waitcnt vmcnt(41) lgkmcnt(1)
	v_mul_f64 v[55:56], v[3:4], v[57:58]
	s_waitcnt vmcnt(40)
	v_fma_f64 v[33:34], v[5:6], v[75:76], -v[33:34]
	v_mul_f64 v[29:30], v[1:2], v[57:58]
	v_fma_f64 v[17:18], v[7:8], v[75:76], v[17:18]
	ds_read_b128 v[5:8], v77 offset:1504
	v_add_f64 v[13:14], v[13:14], v[35:36]
	v_add_f64 v[15:16], v[15:16], v[53:54]
	s_waitcnt vmcnt(39) lgkmcnt(1)
	v_mul_f64 v[53:54], v[11:12], v[96:97]
	v_mul_f64 v[35:36], v[9:10], v[96:97]
	s_waitcnt vmcnt(37)
	v_fma_f64 v[55:56], v[1:2], v[63:64], -v[55:56]
	v_fma_f64 v[29:30], v[3:4], v[63:64], v[29:30]
	ds_read_b128 v[1:4], v77 offset:1520
	v_add_f64 v[13:14], v[13:14], v[33:34]
	v_add_f64 v[15:16], v[15:16], v[17:18]
	s_waitcnt vmcnt(33) lgkmcnt(1)
	v_mul_f64 v[33:34], v[7:8], v[65:66]
	s_waitcnt vmcnt(32)
	v_fma_f64 v[53:54], v[9:10], v[100:101], -v[53:54]
	v_mul_f64 v[17:18], v[5:6], v[65:66]
	v_fma_f64 v[35:36], v[11:12], v[100:101], v[35:36]
	ds_read_b128 v[9:12], v77 offset:1536
	v_add_f64 v[13:14], v[13:14], v[55:56]
	v_add_f64 v[15:16], v[15:16], v[29:30]
	;; [unrolled: 18-line block ×3, first 2 shown]
	s_waitcnt vmcnt(23) lgkmcnt(1)
	v_mul_f64 v[33:34], v[7:8], v[98:99]
	v_mul_f64 v[17:18], v[5:6], v[98:99]
	s_waitcnt vmcnt(21)
	v_fma_f64 v[53:54], v[9:10], v[19:20], -v[53:54]
	v_fma_f64 v[19:20], v[11:12], v[19:20], v[35:36]
	ds_read_b128 v[9:12], v77 offset:1584
	v_add_f64 v[13:14], v[13:14], v[55:56]
	v_add_f64 v[15:16], v[15:16], v[29:30]
	s_waitcnt vmcnt(17) lgkmcnt(1)
	v_mul_f64 v[29:30], v[1:2], v[25:26]
	v_mul_f64 v[25:26], v[3:4], v[25:26]
	s_waitcnt vmcnt(16)
	v_fma_f64 v[33:34], v[5:6], v[102:103], -v[33:34]
	v_fma_f64 v[17:18], v[7:8], v[102:103], v[17:18]
	ds_read_b128 v[5:8], v77 offset:1600
	v_add_f64 v[13:14], v[13:14], v[53:54]
	v_add_f64 v[15:16], v[15:16], v[19:20]
	;; [unrolled: 9-line block ×3, first 2 shown]
	s_waitcnt vmcnt(9) lgkmcnt(1)
	v_mul_f64 v[29:30], v[7:8], v[78:79]
	s_waitcnt vmcnt(8)
	v_fma_f64 v[9:10], v[9:10], v[107:108], -v[35:36]
	v_mul_f64 v[17:18], v[5:6], v[78:79]
	v_fma_f64 v[11:12], v[11:12], v[107:108], v[19:20]
	v_add_f64 v[13:14], v[13:14], v[25:26]
	v_add_f64 v[15:16], v[15:16], v[21:22]
	s_waitcnt vmcnt(7) lgkmcnt(0)
	v_mul_f64 v[21:22], v[3:4], v[80:81]
	v_mul_f64 v[19:20], v[1:2], v[80:81]
	s_waitcnt vmcnt(5)
	v_fma_f64 v[5:6], v[5:6], v[27:28], -v[29:30]
	v_fma_f64 v[7:8], v[7:8], v[27:28], v[17:18]
	v_add_f64 v[9:10], v[13:14], v[9:10]
	v_add_f64 v[11:12], v[15:16], v[11:12]
	s_waitcnt vmcnt(4)
	v_fma_f64 v[1:2], v[1:2], v[94:95], -v[21:22]
	v_fma_f64 v[3:4], v[3:4], v[94:95], v[19:20]
	v_add_f64 v[5:6], v[9:10], v[5:6]
	v_add_f64 v[7:8], v[11:12], v[7:8]
	;; [unrolled: 1-line block ×4, first 2 shown]
	s_waitcnt vmcnt(2)
	v_add_f64 v[1:2], v[23:24], -v[1:2]
	s_waitcnt vmcnt(0)
	v_add_f64 v[3:4], v[31:32], -v[3:4]
	buffer_store_dword v2, off, s[0:3], 0 offset:164
	buffer_store_dword v1, off, s[0:3], 0 offset:160
	buffer_store_dword v4, off, s[0:3], 0 offset:172
	buffer_store_dword v3, off, s[0:3], 0 offset:168
	v_cmpx_lt_u32_e32 8, v0
	s_cbranch_execz .LBB50_303
; %bb.302:
	v_mov_b32_e32 v4, s55
	s_clause 0x3
	buffer_load_dword v1, v4, s[0:3], 0 offen
	buffer_load_dword v2, v4, s[0:3], 0 offen offset:4
	buffer_load_dword v3, v4, s[0:3], 0 offen offset:8
	;; [unrolled: 1-line block ×3, first 2 shown]
	buffer_store_dword v77, off, s[0:3], 0 offset:144
	buffer_store_dword v77, off, s[0:3], 0 offset:148
	;; [unrolled: 1-line block ×4, first 2 shown]
	s_waitcnt vmcnt(0)
	ds_write_b128 v85, v[1:4]
.LBB50_303:
	s_or_b32 exec_lo, exec_lo, s4
	s_waitcnt lgkmcnt(0)
	s_waitcnt_vscnt null, 0x0
	s_barrier
	buffer_gl0_inv
	s_clause 0x37
	buffer_load_dword v9, off, s[0:3], 0 offset:168
	buffer_load_dword v10, off, s[0:3], 0 offset:172
	buffer_load_dword v5, off, s[0:3], 0 offset:184
	buffer_load_dword v6, off, s[0:3], 0 offset:188
	buffer_load_dword v7, off, s[0:3], 0 offset:160
	buffer_load_dword v8, off, s[0:3], 0 offset:164
	buffer_load_dword v3, off, s[0:3], 0 offset:200
	buffer_load_dword v4, off, s[0:3], 0 offset:204
	buffer_load_dword v1, off, s[0:3], 0 offset:176
	buffer_load_dword v2, off, s[0:3], 0 offset:180
	buffer_load_dword v14, off, s[0:3], 0 offset:220
	buffer_load_dword v17, off, s[0:3], 0 offset:232
	buffer_load_dword v11, off, s[0:3], 0 offset:224
	buffer_load_dword v13, off, s[0:3], 0 offset:216
	buffer_load_dword v25, off, s[0:3], 0 offset:192
	buffer_load_dword v26, off, s[0:3], 0 offset:196
	buffer_load_dword v18, off, s[0:3], 0 offset:236
	buffer_load_dword v20, off, s[0:3], 0 offset:212
	buffer_load_dword v19, off, s[0:3], 0 offset:208
	buffer_load_dword v22, off, s[0:3], 0 offset:252
	buffer_load_dword v27, off, s[0:3], 0 offset:264
	buffer_load_dword v15, off, s[0:3], 0 offset:256
	buffer_load_dword v21, off, s[0:3], 0 offset:248
	buffer_load_dword v12, off, s[0:3], 0 offset:228
	buffer_load_dword v28, off, s[0:3], 0 offset:268
	buffer_load_dword v30, off, s[0:3], 0 offset:244
	buffer_load_dword v29, off, s[0:3], 0 offset:240
	buffer_load_dword v32, off, s[0:3], 0 offset:284
	buffer_load_dword v35, off, s[0:3], 0 offset:296
	buffer_load_dword v23, off, s[0:3], 0 offset:288
	buffer_load_dword v31, off, s[0:3], 0 offset:280
	buffer_load_dword v16, off, s[0:3], 0 offset:260
	buffer_load_dword v36, off, s[0:3], 0 offset:300
	buffer_load_dword v54, off, s[0:3], 0 offset:276
	buffer_load_dword v53, off, s[0:3], 0 offset:272
	buffer_load_dword v56, off, s[0:3], 0 offset:316
	buffer_load_dword v59, off, s[0:3], 0 offset:328
	buffer_load_dword v33, off, s[0:3], 0 offset:320
	buffer_load_dword v55, off, s[0:3], 0 offset:312
	buffer_load_dword v24, off, s[0:3], 0 offset:292
	buffer_load_dword v60, off, s[0:3], 0 offset:332
	buffer_load_dword v62, off, s[0:3], 0 offset:308
	buffer_load_dword v61, off, s[0:3], 0 offset:304
	buffer_load_dword v64, off, s[0:3], 0 offset:348
	buffer_load_dword v67, off, s[0:3], 0 offset:360
	buffer_load_dword v57, off, s[0:3], 0 offset:352
	buffer_load_dword v63, off, s[0:3], 0 offset:344
	buffer_load_dword v34, off, s[0:3], 0 offset:324
	buffer_load_dword v68, off, s[0:3], 0 offset:364
	buffer_load_dword v70, off, s[0:3], 0 offset:340
	buffer_load_dword v69, off, s[0:3], 0 offset:336
	buffer_load_dword v72, off, s[0:3], 0 offset:380
	buffer_load_dword v73, off, s[0:3], 0 offset:392
	buffer_load_dword v65, off, s[0:3], 0 offset:384
	buffer_load_dword v71, off, s[0:3], 0 offset:376
	buffer_load_dword v58, off, s[0:3], 0 offset:356
	ds_read_b128 v[78:81], v77 offset:960
	s_clause 0x2
	buffer_load_dword v74, off, s[0:3], 0 offset:396
	buffer_load_dword v76, off, s[0:3], 0 offset:372
	;; [unrolled: 1-line block ×3, first 2 shown]
	ds_read_b128 v[86:89], v77 offset:976
	s_clause 0x4
	buffer_load_dword v95, off, s[0:3], 0 offset:412
	buffer_load_dword v96, off, s[0:3], 0 offset:424
	;; [unrolled: 1-line block ×5, first 2 shown]
	ds_read_b128 v[90:93], v77 offset:992
	s_clause 0x2
	buffer_load_dword v97, off, s[0:3], 0 offset:428
	buffer_load_dword v102, off, s[0:3], 0 offset:404
	;; [unrolled: 1-line block ×3, first 2 shown]
	s_mov_b32 s4, exec_lo
	s_waitcnt vmcnt(62) lgkmcnt(2)
	v_mul_f64 v[82:83], v[80:81], v[9:10]
	v_mul_f64 v[9:10], v[78:79], v[9:10]
	s_waitcnt lgkmcnt(1)
	v_mul_f64 v[99:100], v[88:89], v[5:6]
	s_waitcnt vmcnt(59) lgkmcnt(0)
	v_mul_f64 v[103:104], v[92:93], v[3:4]
	v_fma_f64 v[78:79], v[78:79], v[7:8], -v[82:83]
	v_mul_f64 v[82:83], v[86:87], v[5:6]
	v_fma_f64 v[9:10], v[80:81], v[7:8], v[9:10]
	s_waitcnt vmcnt(57)
	v_fma_f64 v[86:87], v[86:87], v[1:2], -v[99:100]
	ds_read_b128 v[5:8], v77 offset:1008
	v_mul_f64 v[80:81], v[90:91], v[3:4]
	s_waitcnt vmcnt(51)
	v_fma_f64 v[90:91], v[90:91], v[25:26], -v[103:104]
	v_add_f64 v[78:79], v[78:79], 0
	v_fma_f64 v[82:83], v[88:89], v[1:2], v[82:83]
	v_add_f64 v[9:10], v[9:10], 0
	s_clause 0x4
	buffer_load_dword v89, off, s[0:3], 0 offset:444
	buffer_load_dword v105, off, s[0:3], 0 offset:456
	;; [unrolled: 1-line block ×5, first 2 shown]
	s_waitcnt lgkmcnt(0)
	v_mul_f64 v[108:109], v[5:6], v[13:14]
	v_mul_f64 v[13:14], v[7:8], v[13:14]
	ds_read_b128 v[1:4], v77 offset:1024
	v_fma_f64 v[25:26], v[92:93], v[25:26], v[80:81]
	v_add_f64 v[86:87], v[78:79], v[86:87]
	v_add_f64 v[9:10], v[9:10], v[82:83]
	s_clause 0x2
	buffer_load_dword v106, off, s[0:3], 0 offset:460
	buffer_load_dword v83, off, s[0:3], 0 offset:436
	;; [unrolled: 1-line block ×3, first 2 shown]
	s_waitcnt vmcnt(58) lgkmcnt(0)
	v_mul_f64 v[92:93], v[1:2], v[17:18]
	v_mul_f64 v[17:18], v[3:4], v[17:18]
	s_waitcnt vmcnt(56)
	v_fma_f64 v[13:14], v[5:6], v[19:20], -v[13:14]
	ds_read_b128 v[78:81], v77 offset:1040
	v_fma_f64 v[19:20], v[7:8], v[19:20], v[108:109]
	v_add_f64 v[86:87], v[86:87], v[90:91]
	v_add_f64 v[9:10], v[9:10], v[25:26]
	s_clause 0x4
	buffer_load_dword v26, off, s[0:3], 0 offset:476
	buffer_load_dword v90, off, s[0:3], 0 offset:488
	;; [unrolled: 1-line block ×5, first 2 shown]
	ds_read_b128 v[5:8], v77 offset:1056
	s_waitcnt vmcnt(57) lgkmcnt(1)
	v_mul_f64 v[109:110], v[78:79], v[21:22]
	v_mul_f64 v[21:22], v[80:81], v[21:22]
	s_waitcnt vmcnt(56)
	v_fma_f64 v[17:18], v[1:2], v[11:12], -v[17:18]
	v_fma_f64 v[11:12], v[3:4], v[11:12], v[92:93]
	v_add_f64 v[13:14], v[86:87], v[13:14]
	v_add_f64 v[9:10], v[9:10], v[19:20]
	s_clause 0x2
	buffer_load_dword v91, off, s[0:3], 0 offset:492
	buffer_load_dword v20, off, s[0:3], 0 offset:468
	;; [unrolled: 1-line block ×3, first 2 shown]
	s_waitcnt vmcnt(58) lgkmcnt(0)
	v_mul_f64 v[86:87], v[5:6], v[27:28]
	v_mul_f64 v[27:28], v[7:8], v[27:28]
	s_waitcnt vmcnt(56)
	v_fma_f64 v[21:22], v[78:79], v[29:30], -v[21:22]
	ds_read_b128 v[1:4], v77 offset:1072
	v_add_f64 v[13:14], v[13:14], v[17:18]
	v_fma_f64 v[17:18], v[80:81], v[29:30], v[109:110]
	v_add_f64 v[29:30], v[9:10], v[11:12]
	s_clause 0x4
	buffer_load_dword v79, off, s[0:3], 0 offset:508
	buffer_load_dword v80, off, s[0:3], 0 offset:520
	;; [unrolled: 1-line block ×5, first 2 shown]
	ds_read_b128 v[9:12], v77 offset:1088
	s_waitcnt vmcnt(57) lgkmcnt(1)
	v_mul_f64 v[109:110], v[1:2], v[31:32]
	v_mul_f64 v[31:32], v[3:4], v[31:32]
	s_waitcnt vmcnt(56)
	v_fma_f64 v[27:28], v[5:6], v[15:16], -v[27:28]
	v_fma_f64 v[15:16], v[7:8], v[15:16], v[86:87]
	v_add_f64 v[13:14], v[13:14], v[21:22]
	s_clause 0x2
	buffer_load_dword v81, off, s[0:3], 0 offset:524
	buffer_load_dword v22, off, s[0:3], 0 offset:500
	;; [unrolled: 1-line block ×3, first 2 shown]
	v_add_f64 v[17:18], v[29:30], v[17:18]
	s_waitcnt vmcnt(58) lgkmcnt(0)
	v_mul_f64 v[29:30], v[9:10], v[35:36]
	v_mul_f64 v[35:36], v[11:12], v[35:36]
	ds_read_b128 v[5:8], v77 offset:1104
	s_waitcnt vmcnt(56)
	v_fma_f64 v[31:32], v[1:2], v[53:54], -v[31:32]
	v_add_f64 v[13:14], v[13:14], v[27:28]
	v_fma_f64 v[27:28], v[3:4], v[53:54], v[109:110]
	v_add_f64 v[15:16], v[17:18], v[15:16]
	s_clause 0x4
	buffer_load_dword v18, off, s[0:3], 0 offset:540
	buffer_load_dword v53, off, s[0:3], 0 offset:552
	;; [unrolled: 1-line block ×5, first 2 shown]
	s_waitcnt vmcnt(57) lgkmcnt(0)
	v_mul_f64 v[109:110], v[5:6], v[55:56]
	v_mul_f64 v[55:56], v[7:8], v[55:56]
	s_waitcnt vmcnt(56)
	v_fma_f64 v[35:36], v[9:10], v[23:24], -v[35:36]
	ds_read_b128 v[1:4], v77 offset:1120
	v_fma_f64 v[23:24], v[11:12], v[23:24], v[29:30]
	v_add_f64 v[13:14], v[13:14], v[31:32]
	v_add_f64 v[15:16], v[15:16], v[27:28]
	s_clause 0x2
	buffer_load_dword v54, off, s[0:3], 0 offset:556
	buffer_load_dword v28, off, s[0:3], 0 offset:532
	;; [unrolled: 1-line block ×3, first 2 shown]
	ds_read_b128 v[9:12], v77 offset:1136
	s_waitcnt vmcnt(58) lgkmcnt(1)
	v_mul_f64 v[31:32], v[3:4], v[59:60]
	s_waitcnt vmcnt(56)
	v_fma_f64 v[55:56], v[5:6], v[61:62], -v[55:56]
	v_mul_f64 v[29:30], v[1:2], v[59:60]
	v_add_f64 v[13:14], v[13:14], v[35:36]
	v_fma_f64 v[35:36], v[7:8], v[61:62], v[109:110]
	v_add_f64 v[15:16], v[15:16], v[23:24]
	s_clause 0x4
	buffer_load_dword v24, off, s[0:3], 0 offset:572
	buffer_load_dword v59, off, s[0:3], 0 offset:584
	;; [unrolled: 1-line block ×5, first 2 shown]
	s_waitcnt vmcnt(57) lgkmcnt(0)
	v_mul_f64 v[109:110], v[9:10], v[63:64]
	v_mul_f64 v[62:63], v[11:12], v[63:64]
	s_waitcnt vmcnt(56)
	v_fma_f64 v[31:32], v[1:2], v[33:34], -v[31:32]
	ds_read_b128 v[5:8], v77 offset:1152
	v_fma_f64 v[29:30], v[3:4], v[33:34], v[29:30]
	s_clause 0x2
	buffer_load_dword v60, off, s[0:3], 0 offset:588
	buffer_load_dword v34, off, s[0:3], 0 offset:564
	;; [unrolled: 1-line block ×3, first 2 shown]
	ds_read_b128 v[1:4], v77 offset:1168
	v_add_f64 v[13:14], v[13:14], v[55:56]
	v_add_f64 v[15:16], v[15:16], v[35:36]
	s_waitcnt vmcnt(58) lgkmcnt(1)
	v_mul_f64 v[55:56], v[7:8], v[67:68]
	s_waitcnt vmcnt(56)
	v_fma_f64 v[63:64], v[9:10], v[69:70], -v[62:63]
	v_mul_f64 v[35:36], v[5:6], v[67:68]
	v_add_f64 v[13:14], v[13:14], v[31:32]
	v_fma_f64 v[31:32], v[11:12], v[69:70], v[109:110]
	v_add_f64 v[15:16], v[15:16], v[29:30]
	s_clause 0x4
	buffer_load_dword v30, off, s[0:3], 0 offset:604
	buffer_load_dword v67, off, s[0:3], 0 offset:616
	;; [unrolled: 1-line block ×5, first 2 shown]
	s_waitcnt vmcnt(57) lgkmcnt(0)
	v_mul_f64 v[109:110], v[1:2], v[71:72]
	v_mul_f64 v[70:71], v[3:4], v[71:72]
	s_waitcnt vmcnt(56)
	v_fma_f64 v[55:56], v[5:6], v[57:58], -v[55:56]
	ds_read_b128 v[9:12], v77 offset:1184
	v_fma_f64 v[35:36], v[7:8], v[57:58], v[35:36]
	v_add_f64 v[13:14], v[13:14], v[63:64]
	v_add_f64 v[15:16], v[15:16], v[31:32]
	s_clause 0x2
	buffer_load_dword v68, off, s[0:3], 0 offset:620
	buffer_load_dword v32, off, s[0:3], 0 offset:596
	buffer_load_dword v31, off, s[0:3], 0 offset:592
	ds_read_b128 v[5:8], v77 offset:1200
	s_waitcnt vmcnt(58) lgkmcnt(1)
	v_mul_f64 v[63:64], v[11:12], v[73:74]
	s_waitcnt vmcnt(56)
	v_fma_f64 v[71:72], v[1:2], v[75:76], -v[70:71]
	v_mul_f64 v[57:58], v[9:10], v[73:74]
	v_add_f64 v[13:14], v[13:14], v[55:56]
	v_fma_f64 v[55:56], v[3:4], v[75:76], v[109:110]
	v_add_f64 v[15:16], v[15:16], v[35:36]
	s_clause 0x4
	buffer_load_dword v36, off, s[0:3], 0 offset:636
	buffer_load_dword v73, off, s[0:3], 0 offset:648
	;; [unrolled: 1-line block ×5, first 2 shown]
	s_waitcnt vmcnt(57) lgkmcnt(0)
	v_mul_f64 v[109:110], v[5:6], v[94:95]
	v_mul_f64 v[94:95], v[7:8], v[94:95]
	s_waitcnt vmcnt(56)
	v_fma_f64 v[63:64], v[9:10], v[65:66], -v[63:64]
	ds_read_b128 v[1:4], v77 offset:1216
	v_fma_f64 v[57:58], v[11:12], v[65:66], v[57:58]
	v_add_f64 v[13:14], v[13:14], v[71:72]
	v_add_f64 v[15:16], v[15:16], v[55:56]
	s_clause 0x2
	buffer_load_dword v74, off, s[0:3], 0 offset:652
	buffer_load_dword v56, off, s[0:3], 0 offset:628
	;; [unrolled: 1-line block ×3, first 2 shown]
	ds_read_b128 v[9:12], v77 offset:1232
	s_waitcnt vmcnt(58) lgkmcnt(1)
	v_mul_f64 v[71:72], v[3:4], v[96:97]
	s_waitcnt vmcnt(56)
	v_fma_f64 v[94:95], v[5:6], v[101:102], -v[94:95]
	v_mul_f64 v[65:66], v[1:2], v[96:97]
	v_add_f64 v[13:14], v[13:14], v[63:64]
	v_fma_f64 v[63:64], v[7:8], v[101:102], v[109:110]
	v_add_f64 v[15:16], v[15:16], v[57:58]
	s_clause 0x4
	buffer_load_dword v58, off, s[0:3], 0 offset:668
	buffer_load_dword v96, off, s[0:3], 0 offset:680
	;; [unrolled: 1-line block ×5, first 2 shown]
	ds_read_b128 v[5:8], v77 offset:1248
	s_waitcnt vmcnt(57) lgkmcnt(1)
	v_mul_f64 v[101:102], v[9:10], v[88:89]
	v_mul_f64 v[88:89], v[11:12], v[88:89]
	s_waitcnt vmcnt(56)
	v_fma_f64 v[71:72], v[1:2], v[98:99], -v[71:72]
	v_fma_f64 v[65:66], v[3:4], v[98:99], v[65:66]
	v_add_f64 v[13:14], v[13:14], v[94:95]
	v_add_f64 v[15:16], v[15:16], v[63:64]
	s_clause 0x2
	buffer_load_dword v97, off, s[0:3], 0 offset:684
	buffer_load_dword v64, off, s[0:3], 0 offset:660
	;; [unrolled: 1-line block ×3, first 2 shown]
	ds_read_b128 v[1:4], v77 offset:1264
	s_waitcnt vmcnt(58) lgkmcnt(1)
	v_mul_f64 v[98:99], v[7:8], v[105:106]
	v_mul_f64 v[94:95], v[5:6], v[105:106]
	s_waitcnt vmcnt(56)
	v_fma_f64 v[88:89], v[9:10], v[82:83], -v[88:89]
	v_add_f64 v[13:14], v[13:14], v[71:72]
	v_fma_f64 v[71:72], v[11:12], v[82:83], v[101:102]
	v_add_f64 v[15:16], v[15:16], v[65:66]
	s_clause 0x4
	buffer_load_dword v66, off, s[0:3], 0 offset:700
	buffer_load_dword v82, off, s[0:3], 0 offset:712
	buffer_load_dword v105, off, s[0:3], 0 offset:704
	buffer_load_dword v65, off, s[0:3], 0 offset:696
	buffer_load_dword v101, off, s[0:3], 0 offset:676
	ds_read_b128 v[9:12], v77 offset:1280
	s_waitcnt vmcnt(57) lgkmcnt(1)
	v_mul_f64 v[109:110], v[1:2], v[25:26]
	v_mul_f64 v[25:26], v[3:4], v[25:26]
	s_waitcnt vmcnt(56)
	v_fma_f64 v[98:99], v[5:6], v[107:108], -v[98:99]
	v_add_f64 v[13:14], v[13:14], v[88:89]
	v_fma_f64 v[88:89], v[7:8], v[107:108], v[94:95]
	v_add_f64 v[15:16], v[15:16], v[71:72]
	s_clause 0x2
	buffer_load_dword v83, off, s[0:3], 0 offset:716
	buffer_load_dword v72, off, s[0:3], 0 offset:692
	buffer_load_dword v71, off, s[0:3], 0 offset:688
	ds_read_b128 v[5:8], v77 offset:1296
	s_waitcnt vmcnt(58) lgkmcnt(1)
	v_mul_f64 v[94:95], v[9:10], v[90:91]
	v_mul_f64 v[90:91], v[11:12], v[90:91]
	s_waitcnt vmcnt(56)
	v_fma_f64 v[25:26], v[1:2], v[19:20], -v[25:26]
	v_fma_f64 v[19:20], v[3:4], v[19:20], v[109:110]
	v_add_f64 v[13:14], v[13:14], v[98:99]
	v_add_f64 v[15:16], v[15:16], v[88:89]
	s_clause 0x4
	buffer_load_dword v89, off, s[0:3], 0 offset:732
	buffer_load_dword v98, off, s[0:3], 0 offset:744
	buffer_load_dword v102, off, s[0:3], 0 offset:736
	buffer_load_dword v88, off, s[0:3], 0 offset:728
	buffer_load_dword v106, off, s[0:3], 0 offset:708
	ds_read_b128 v[1:4], v77 offset:1312
	s_waitcnt vmcnt(57) lgkmcnt(1)
	v_mul_f64 v[107:108], v[5:6], v[78:79]
	v_mul_f64 v[78:79], v[7:8], v[78:79]
	s_waitcnt vmcnt(56)
	v_fma_f64 v[90:91], v[9:10], v[103:104], -v[90:91]
	v_add_f64 v[13:14], v[13:14], v[25:26]
	v_fma_f64 v[25:26], v[11:12], v[103:104], v[94:95]
	v_add_f64 v[15:16], v[15:16], v[19:20]
	s_clause 0x2
	buffer_load_dword v99, off, s[0:3], 0 offset:748
	buffer_load_dword v20, off, s[0:3], 0 offset:724
	buffer_load_dword v19, off, s[0:3], 0 offset:720
	ds_read_b128 v[9:12], v77 offset:1328
	s_waitcnt vmcnt(58) lgkmcnt(1)
	v_mul_f64 v[94:95], v[1:2], v[80:81]
	v_mul_f64 v[80:81], v[3:4], v[80:81]
	s_waitcnt vmcnt(56)
	v_fma_f64 v[78:79], v[5:6], v[21:22], -v[78:79]
	v_fma_f64 v[21:22], v[7:8], v[21:22], v[107:108]
	v_add_f64 v[13:14], v[13:14], v[90:91]
	;; [unrolled: 28-line block ×3, first 2 shown]
	v_add_f64 v[15:16], v[15:16], v[78:79]
	s_clause 0x4
	buffer_load_dword v79, off, s[0:3], 0 offset:796
	buffer_load_dword v80, off, s[0:3], 0 offset:808
	;; [unrolled: 1-line block ×5, first 2 shown]
	ds_read_b128 v[9:12], v77 offset:1376
	s_waitcnt vmcnt(57) lgkmcnt(1)
	v_mul_f64 v[109:110], v[1:2], v[23:24]
	v_mul_f64 v[23:24], v[3:4], v[23:24]
	s_waitcnt vmcnt(56)
	v_fma_f64 v[53:54], v[5:6], v[86:87], -v[53:54]
	v_add_f64 v[13:14], v[13:14], v[17:18]
	v_fma_f64 v[17:18], v[7:8], v[86:87], v[92:93]
	v_add_f64 v[15:16], v[15:16], v[27:28]
	s_clause 0x2
	buffer_load_dword v81, off, s[0:3], 0 offset:812
	buffer_load_dword v28, off, s[0:3], 0 offset:788
	;; [unrolled: 1-line block ×3, first 2 shown]
	s_waitcnt vmcnt(58) lgkmcnt(0)
	v_mul_f64 v[86:87], v[9:10], v[59:60]
	v_mul_f64 v[59:60], v[11:12], v[59:60]
	ds_read_b128 v[5:8], v77 offset:1392
	s_waitcnt vmcnt(56)
	v_fma_f64 v[23:24], v[1:2], v[33:34], -v[23:24]
	v_fma_f64 v[33:34], v[3:4], v[33:34], v[109:110]
	v_add_f64 v[13:14], v[13:14], v[53:54]
	v_add_f64 v[15:16], v[15:16], v[17:18]
	s_clause 0x2
	buffer_load_dword v18, off, s[0:3], 0 offset:828
	buffer_load_dword v17, off, s[0:3], 0 offset:824
	;; [unrolled: 1-line block ×3, first 2 shown]
	ds_read_b128 v[1:4], v77 offset:1408
	s_waitcnt vmcnt(55) lgkmcnt(1)
	v_mul_f64 v[53:54], v[5:6], v[29:30]
	v_mul_f64 v[29:30], v[7:8], v[29:30]
	s_waitcnt vmcnt(54)
	v_fma_f64 v[59:60], v[9:10], v[61:62], -v[59:60]
	v_add_f64 v[13:14], v[13:14], v[23:24]
	v_fma_f64 v[23:24], v[11:12], v[61:62], v[86:87]
	v_add_f64 v[15:16], v[15:16], v[33:34]
	s_clause 0x1
	buffer_load_dword v34, off, s[0:3], 0 offset:820
	buffer_load_dword v33, off, s[0:3], 0 offset:816
	ds_read_b128 v[9:12], v77 offset:1424
	s_waitcnt vmcnt(55) lgkmcnt(1)
	v_mul_f64 v[61:62], v[1:2], v[67:68]
	v_mul_f64 v[67:68], v[3:4], v[67:68]
	s_waitcnt vmcnt(53)
	v_fma_f64 v[29:30], v[5:6], v[31:32], -v[29:30]
	v_fma_f64 v[31:32], v[7:8], v[31:32], v[53:54]
	ds_read_b128 v[5:8], v77 offset:1440
	v_add_f64 v[13:14], v[13:14], v[59:60]
	v_add_f64 v[15:16], v[15:16], v[23:24]
	s_waitcnt vmcnt(49) lgkmcnt(1)
	v_mul_f64 v[23:24], v[9:10], v[35:36]
	v_mul_f64 v[35:36], v[11:12], v[35:36]
	s_waitcnt vmcnt(48)
	v_fma_f64 v[53:54], v[1:2], v[69:70], -v[67:68]
	v_add_f64 v[13:14], v[13:14], v[29:30]
	v_fma_f64 v[29:30], v[3:4], v[69:70], v[61:62]
	v_add_f64 v[15:16], v[15:16], v[31:32]
	s_clause 0x3
	buffer_load_dword v31, off, s[0:3], 0 offset:144
	buffer_load_dword v32, off, s[0:3], 0 offset:148
	buffer_load_dword v59, off, s[0:3], 0 offset:152
	buffer_load_dword v60, off, s[0:3], 0 offset:156
	ds_read_b128 v[1:4], v77 offset:1456
	s_waitcnt vmcnt(51) lgkmcnt(1)
	v_mul_f64 v[67:68], v[7:8], v[73:74]
	v_mul_f64 v[61:62], v[5:6], v[73:74]
	s_waitcnt vmcnt(49)
	v_fma_f64 v[35:36], v[9:10], v[55:56], -v[35:36]
	v_fma_f64 v[23:24], v[11:12], v[55:56], v[23:24]
	ds_read_b128 v[9:12], v77 offset:1472
	v_add_f64 v[13:14], v[13:14], v[53:54]
	v_add_f64 v[15:16], v[15:16], v[29:30]
	s_waitcnt vmcnt(45) lgkmcnt(1)
	v_mul_f64 v[53:54], v[3:4], v[57:58]
	s_waitcnt vmcnt(44)
	v_fma_f64 v[55:56], v[5:6], v[75:76], -v[67:68]
	v_mul_f64 v[29:30], v[1:2], v[57:58]
	v_add_f64 v[13:14], v[13:14], v[35:36]
	v_fma_f64 v[35:36], v[7:8], v[75:76], v[61:62]
	v_add_f64 v[15:16], v[15:16], v[23:24]
	ds_read_b128 v[5:8], v77 offset:1488
	s_waitcnt vmcnt(43) lgkmcnt(1)
	v_mul_f64 v[57:58], v[11:12], v[96:97]
	v_mul_f64 v[23:24], v[9:10], v[96:97]
	s_waitcnt vmcnt(41)
	v_fma_f64 v[53:54], v[1:2], v[63:64], -v[53:54]
	v_fma_f64 v[29:30], v[3:4], v[63:64], v[29:30]
	ds_read_b128 v[1:4], v77 offset:1504
	v_add_f64 v[13:14], v[13:14], v[55:56]
	v_add_f64 v[15:16], v[15:16], v[35:36]
	s_waitcnt vmcnt(37) lgkmcnt(1)
	v_mul_f64 v[55:56], v[7:8], v[65:66]
	s_waitcnt vmcnt(36)
	v_fma_f64 v[57:58], v[9:10], v[100:101], -v[57:58]
	v_mul_f64 v[35:36], v[5:6], v[65:66]
	v_fma_f64 v[23:24], v[11:12], v[100:101], v[23:24]
	ds_read_b128 v[9:12], v77 offset:1520
	v_add_f64 v[13:14], v[13:14], v[53:54]
	v_add_f64 v[15:16], v[15:16], v[29:30]
	s_waitcnt vmcnt(35) lgkmcnt(1)
	v_mul_f64 v[53:54], v[3:4], v[82:83]
	v_mul_f64 v[29:30], v[1:2], v[82:83]
	s_waitcnt vmcnt(33)
	v_fma_f64 v[55:56], v[5:6], v[71:72], -v[55:56]
	v_fma_f64 v[35:36], v[7:8], v[71:72], v[35:36]
	ds_read_b128 v[5:8], v77 offset:1536
	v_add_f64 v[13:14], v[13:14], v[57:58]
	v_add_f64 v[15:16], v[15:16], v[23:24]
	s_waitcnt vmcnt(29) lgkmcnt(1)
	v_mul_f64 v[57:58], v[11:12], v[88:89]
	s_waitcnt vmcnt(28)
	v_fma_f64 v[53:54], v[1:2], v[105:106], -v[53:54]
	v_mul_f64 v[23:24], v[9:10], v[88:89]
	v_fma_f64 v[29:30], v[3:4], v[105:106], v[29:30]
	ds_read_b128 v[1:4], v77 offset:1552
	v_add_f64 v[13:14], v[13:14], v[55:56]
	v_add_f64 v[15:16], v[15:16], v[35:36]
	s_waitcnt vmcnt(27) lgkmcnt(1)
	v_mul_f64 v[55:56], v[7:8], v[98:99]
	v_mul_f64 v[35:36], v[5:6], v[98:99]
	s_waitcnt vmcnt(25)
	v_fma_f64 v[57:58], v[9:10], v[19:20], -v[57:58]
	v_fma_f64 v[19:20], v[11:12], v[19:20], v[23:24]
	ds_read_b128 v[9:12], v77 offset:1568
	v_add_f64 v[13:14], v[13:14], v[53:54]
	v_add_f64 v[15:16], v[15:16], v[29:30]
	s_waitcnt vmcnt(21) lgkmcnt(1)
	v_mul_f64 v[23:24], v[1:2], v[25:26]
	v_mul_f64 v[25:26], v[3:4], v[25:26]
	s_waitcnt vmcnt(20)
	v_fma_f64 v[29:30], v[5:6], v[102:103], -v[55:56]
	v_fma_f64 v[35:36], v[7:8], v[102:103], v[35:36]
	ds_read_b128 v[5:8], v77 offset:1584
	v_add_f64 v[13:14], v[13:14], v[57:58]
	v_add_f64 v[15:16], v[15:16], v[19:20]
	s_waitcnt vmcnt(19) lgkmcnt(1)
	v_mul_f64 v[53:54], v[11:12], v[90:91]
	v_mul_f64 v[19:20], v[9:10], v[90:91]
	s_waitcnt vmcnt(17)
	v_fma_f64 v[25:26], v[1:2], v[21:22], -v[25:26]
	v_fma_f64 v[21:22], v[3:4], v[21:22], v[23:24]
	ds_read_b128 v[1:4], v77 offset:1600
	v_add_f64 v[13:14], v[13:14], v[29:30]
	v_add_f64 v[15:16], v[15:16], v[35:36]
	s_waitcnt vmcnt(13) lgkmcnt(1)
	v_mul_f64 v[29:30], v[7:8], v[78:79]
	s_waitcnt vmcnt(12)
	v_fma_f64 v[35:36], v[9:10], v[107:108], -v[53:54]
	v_mul_f64 v[23:24], v[5:6], v[78:79]
	v_fma_f64 v[19:20], v[11:12], v[107:108], v[19:20]
	ds_read_b128 v[9:12], v77 offset:1616
	v_add_f64 v[13:14], v[13:14], v[25:26]
	v_add_f64 v[15:16], v[15:16], v[21:22]
	s_waitcnt vmcnt(11) lgkmcnt(1)
	v_mul_f64 v[25:26], v[3:4], v[80:81]
	v_mul_f64 v[21:22], v[1:2], v[80:81]
	s_waitcnt vmcnt(9)
	v_fma_f64 v[5:6], v[5:6], v[27:28], -v[29:30]
	v_fma_f64 v[7:8], v[7:8], v[27:28], v[23:24]
	v_add_f64 v[13:14], v[13:14], v[35:36]
	v_add_f64 v[15:16], v[15:16], v[19:20]
	s_waitcnt vmcnt(7) lgkmcnt(0)
	v_mul_f64 v[19:20], v[9:10], v[17:18]
	v_mul_f64 v[17:18], v[11:12], v[17:18]
	s_waitcnt vmcnt(6)
	v_fma_f64 v[1:2], v[1:2], v[94:95], -v[25:26]
	v_fma_f64 v[3:4], v[3:4], v[94:95], v[21:22]
	v_add_f64 v[5:6], v[13:14], v[5:6]
	v_add_f64 v[7:8], v[15:16], v[7:8]
	s_waitcnt vmcnt(4)
	v_fma_f64 v[9:10], v[9:10], v[33:34], -v[17:18]
	v_add_f64 v[1:2], v[5:6], v[1:2]
	v_fma_f64 v[5:6], v[11:12], v[33:34], v[19:20]
	v_add_f64 v[3:4], v[7:8], v[3:4]
	v_add_f64 v[1:2], v[1:2], v[9:10]
	;; [unrolled: 1-line block ×3, first 2 shown]
	s_waitcnt vmcnt(2)
	v_add_f64 v[1:2], v[31:32], -v[1:2]
	s_waitcnt vmcnt(0)
	v_add_f64 v[3:4], v[59:60], -v[3:4]
	buffer_store_dword v2, off, s[0:3], 0 offset:148
	buffer_store_dword v1, off, s[0:3], 0 offset:144
	buffer_store_dword v4, off, s[0:3], 0 offset:156
	buffer_store_dword v3, off, s[0:3], 0 offset:152
	v_cmpx_lt_u32_e32 7, v0
	s_cbranch_execz .LBB50_305
; %bb.304:
	v_mov_b32_e32 v4, s56
	v_mov_b32_e32 v5, 0
	s_clause 0x3
	buffer_load_dword v1, v4, s[0:3], 0 offen
	buffer_load_dword v2, v4, s[0:3], 0 offen offset:4
	buffer_load_dword v3, v4, s[0:3], 0 offen offset:8
	;; [unrolled: 1-line block ×3, first 2 shown]
	buffer_store_dword v5, off, s[0:3], 0 offset:128
	buffer_store_dword v5, off, s[0:3], 0 offset:132
	buffer_store_dword v5, off, s[0:3], 0 offset:136
	buffer_store_dword v5, off, s[0:3], 0 offset:140
	s_waitcnt vmcnt(0)
	ds_write_b128 v85, v[1:4]
.LBB50_305:
	s_or_b32 exec_lo, exec_lo, s4
	s_waitcnt lgkmcnt(0)
	s_waitcnt_vscnt null, 0x0
	s_barrier
	buffer_gl0_inv
	s_clause 0x37
	buffer_load_dword v9, off, s[0:3], 0 offset:152
	buffer_load_dword v10, off, s[0:3], 0 offset:156
	;; [unrolled: 1-line block ×56, first 2 shown]
	v_mov_b32_e32 v77, 0
	s_mov_b32 s4, exec_lo
	ds_read_b128 v[78:81], v77 offset:944
	s_clause 0x2
	buffer_load_dword v74, off, s[0:3], 0 offset:380
	buffer_load_dword v76, off, s[0:3], 0 offset:356
	;; [unrolled: 1-line block ×3, first 2 shown]
	ds_read_b128 v[86:89], v77 offset:960
	s_clause 0x4
	buffer_load_dword v95, off, s[0:3], 0 offset:396
	buffer_load_dword v96, off, s[0:3], 0 offset:408
	;; [unrolled: 1-line block ×5, first 2 shown]
	ds_read_b128 v[90:93], v77 offset:976
	s_clause 0x2
	buffer_load_dword v97, off, s[0:3], 0 offset:412
	buffer_load_dword v102, off, s[0:3], 0 offset:388
	;; [unrolled: 1-line block ×3, first 2 shown]
	s_waitcnt vmcnt(62) lgkmcnt(2)
	v_mul_f64 v[82:83], v[80:81], v[9:10]
	v_mul_f64 v[9:10], v[78:79], v[9:10]
	s_waitcnt lgkmcnt(1)
	v_mul_f64 v[99:100], v[88:89], v[5:6]
	s_waitcnt vmcnt(59) lgkmcnt(0)
	v_mul_f64 v[103:104], v[92:93], v[3:4]
	v_fma_f64 v[78:79], v[78:79], v[7:8], -v[82:83]
	v_mul_f64 v[82:83], v[86:87], v[5:6]
	v_fma_f64 v[9:10], v[80:81], v[7:8], v[9:10]
	s_waitcnt vmcnt(57)
	v_fma_f64 v[86:87], v[86:87], v[1:2], -v[99:100]
	ds_read_b128 v[5:8], v77 offset:992
	v_mul_f64 v[80:81], v[90:91], v[3:4]
	s_waitcnt vmcnt(51)
	v_fma_f64 v[90:91], v[90:91], v[25:26], -v[103:104]
	v_add_f64 v[78:79], v[78:79], 0
	v_fma_f64 v[82:83], v[88:89], v[1:2], v[82:83]
	v_add_f64 v[9:10], v[9:10], 0
	s_clause 0x4
	buffer_load_dword v89, off, s[0:3], 0 offset:428
	buffer_load_dword v105, off, s[0:3], 0 offset:440
	;; [unrolled: 1-line block ×5, first 2 shown]
	s_waitcnt lgkmcnt(0)
	v_mul_f64 v[108:109], v[5:6], v[13:14]
	v_mul_f64 v[13:14], v[7:8], v[13:14]
	ds_read_b128 v[1:4], v77 offset:1008
	v_fma_f64 v[25:26], v[92:93], v[25:26], v[80:81]
	v_add_f64 v[86:87], v[78:79], v[86:87]
	v_add_f64 v[9:10], v[9:10], v[82:83]
	s_clause 0x2
	buffer_load_dword v106, off, s[0:3], 0 offset:444
	buffer_load_dword v83, off, s[0:3], 0 offset:420
	buffer_load_dword v82, off, s[0:3], 0 offset:416
	s_waitcnt vmcnt(58) lgkmcnt(0)
	v_mul_f64 v[92:93], v[1:2], v[17:18]
	v_mul_f64 v[17:18], v[3:4], v[17:18]
	s_waitcnt vmcnt(56)
	v_fma_f64 v[13:14], v[5:6], v[19:20], -v[13:14]
	ds_read_b128 v[78:81], v77 offset:1024
	v_fma_f64 v[19:20], v[7:8], v[19:20], v[108:109]
	v_add_f64 v[86:87], v[86:87], v[90:91]
	v_add_f64 v[9:10], v[9:10], v[25:26]
	s_clause 0x4
	buffer_load_dword v26, off, s[0:3], 0 offset:460
	buffer_load_dword v90, off, s[0:3], 0 offset:472
	;; [unrolled: 1-line block ×5, first 2 shown]
	ds_read_b128 v[5:8], v77 offset:1040
	s_waitcnt vmcnt(57) lgkmcnt(1)
	v_mul_f64 v[109:110], v[78:79], v[21:22]
	v_mul_f64 v[21:22], v[80:81], v[21:22]
	s_waitcnt vmcnt(56)
	v_fma_f64 v[17:18], v[1:2], v[11:12], -v[17:18]
	v_fma_f64 v[11:12], v[3:4], v[11:12], v[92:93]
	v_add_f64 v[13:14], v[86:87], v[13:14]
	v_add_f64 v[9:10], v[9:10], v[19:20]
	s_clause 0x2
	buffer_load_dword v91, off, s[0:3], 0 offset:476
	buffer_load_dword v20, off, s[0:3], 0 offset:452
	;; [unrolled: 1-line block ×3, first 2 shown]
	s_waitcnt vmcnt(58) lgkmcnt(0)
	v_mul_f64 v[86:87], v[5:6], v[27:28]
	v_mul_f64 v[27:28], v[7:8], v[27:28]
	s_waitcnt vmcnt(56)
	v_fma_f64 v[21:22], v[78:79], v[29:30], -v[21:22]
	ds_read_b128 v[1:4], v77 offset:1056
	v_add_f64 v[13:14], v[13:14], v[17:18]
	v_fma_f64 v[17:18], v[80:81], v[29:30], v[109:110]
	v_add_f64 v[29:30], v[9:10], v[11:12]
	s_clause 0x4
	buffer_load_dword v79, off, s[0:3], 0 offset:492
	buffer_load_dword v80, off, s[0:3], 0 offset:504
	buffer_load_dword v92, off, s[0:3], 0 offset:496
	buffer_load_dword v78, off, s[0:3], 0 offset:488
	buffer_load_dword v104, off, s[0:3], 0 offset:468
	ds_read_b128 v[9:12], v77 offset:1072
	s_waitcnt vmcnt(57) lgkmcnt(1)
	v_mul_f64 v[109:110], v[1:2], v[31:32]
	v_mul_f64 v[31:32], v[3:4], v[31:32]
	s_waitcnt vmcnt(56)
	v_fma_f64 v[27:28], v[5:6], v[15:16], -v[27:28]
	v_fma_f64 v[15:16], v[7:8], v[15:16], v[86:87]
	v_add_f64 v[13:14], v[13:14], v[21:22]
	s_clause 0x2
	buffer_load_dword v81, off, s[0:3], 0 offset:508
	buffer_load_dword v22, off, s[0:3], 0 offset:484
	;; [unrolled: 1-line block ×3, first 2 shown]
	v_add_f64 v[17:18], v[29:30], v[17:18]
	s_waitcnt vmcnt(58) lgkmcnt(0)
	v_mul_f64 v[29:30], v[9:10], v[35:36]
	v_mul_f64 v[35:36], v[11:12], v[35:36]
	ds_read_b128 v[5:8], v77 offset:1088
	s_waitcnt vmcnt(56)
	v_fma_f64 v[31:32], v[1:2], v[53:54], -v[31:32]
	v_add_f64 v[13:14], v[13:14], v[27:28]
	v_fma_f64 v[27:28], v[3:4], v[53:54], v[109:110]
	v_add_f64 v[15:16], v[17:18], v[15:16]
	s_clause 0x4
	buffer_load_dword v18, off, s[0:3], 0 offset:524
	buffer_load_dword v53, off, s[0:3], 0 offset:536
	;; [unrolled: 1-line block ×5, first 2 shown]
	s_waitcnt vmcnt(57) lgkmcnt(0)
	v_mul_f64 v[109:110], v[5:6], v[55:56]
	v_mul_f64 v[55:56], v[7:8], v[55:56]
	s_waitcnt vmcnt(56)
	v_fma_f64 v[35:36], v[9:10], v[23:24], -v[35:36]
	ds_read_b128 v[1:4], v77 offset:1104
	v_fma_f64 v[23:24], v[11:12], v[23:24], v[29:30]
	v_add_f64 v[13:14], v[13:14], v[31:32]
	v_add_f64 v[15:16], v[15:16], v[27:28]
	s_clause 0x2
	buffer_load_dword v54, off, s[0:3], 0 offset:540
	buffer_load_dword v28, off, s[0:3], 0 offset:516
	;; [unrolled: 1-line block ×3, first 2 shown]
	ds_read_b128 v[9:12], v77 offset:1120
	s_waitcnt vmcnt(58) lgkmcnt(1)
	v_mul_f64 v[31:32], v[3:4], v[59:60]
	s_waitcnt vmcnt(56)
	v_fma_f64 v[55:56], v[5:6], v[61:62], -v[55:56]
	v_mul_f64 v[29:30], v[1:2], v[59:60]
	v_add_f64 v[13:14], v[13:14], v[35:36]
	v_fma_f64 v[35:36], v[7:8], v[61:62], v[109:110]
	v_add_f64 v[15:16], v[15:16], v[23:24]
	s_clause 0x4
	buffer_load_dword v24, off, s[0:3], 0 offset:556
	buffer_load_dword v59, off, s[0:3], 0 offset:568
	;; [unrolled: 1-line block ×5, first 2 shown]
	s_waitcnt vmcnt(57) lgkmcnt(0)
	v_mul_f64 v[109:110], v[9:10], v[63:64]
	v_mul_f64 v[62:63], v[11:12], v[63:64]
	s_waitcnt vmcnt(56)
	v_fma_f64 v[31:32], v[1:2], v[33:34], -v[31:32]
	ds_read_b128 v[5:8], v77 offset:1136
	v_fma_f64 v[29:30], v[3:4], v[33:34], v[29:30]
	s_clause 0x2
	buffer_load_dword v60, off, s[0:3], 0 offset:572
	buffer_load_dword v34, off, s[0:3], 0 offset:548
	;; [unrolled: 1-line block ×3, first 2 shown]
	ds_read_b128 v[1:4], v77 offset:1152
	v_add_f64 v[13:14], v[13:14], v[55:56]
	v_add_f64 v[15:16], v[15:16], v[35:36]
	s_waitcnt vmcnt(58) lgkmcnt(1)
	v_mul_f64 v[55:56], v[7:8], v[67:68]
	s_waitcnt vmcnt(56)
	v_fma_f64 v[63:64], v[9:10], v[69:70], -v[62:63]
	v_mul_f64 v[35:36], v[5:6], v[67:68]
	v_add_f64 v[13:14], v[13:14], v[31:32]
	v_fma_f64 v[31:32], v[11:12], v[69:70], v[109:110]
	v_add_f64 v[15:16], v[15:16], v[29:30]
	s_clause 0x4
	buffer_load_dword v30, off, s[0:3], 0 offset:588
	buffer_load_dword v67, off, s[0:3], 0 offset:600
	;; [unrolled: 1-line block ×5, first 2 shown]
	s_waitcnt vmcnt(57) lgkmcnt(0)
	v_mul_f64 v[109:110], v[1:2], v[71:72]
	v_mul_f64 v[70:71], v[3:4], v[71:72]
	s_waitcnt vmcnt(56)
	v_fma_f64 v[55:56], v[5:6], v[57:58], -v[55:56]
	ds_read_b128 v[9:12], v77 offset:1168
	v_fma_f64 v[35:36], v[7:8], v[57:58], v[35:36]
	v_add_f64 v[13:14], v[13:14], v[63:64]
	v_add_f64 v[15:16], v[15:16], v[31:32]
	s_clause 0x2
	buffer_load_dword v68, off, s[0:3], 0 offset:604
	buffer_load_dword v32, off, s[0:3], 0 offset:580
	buffer_load_dword v31, off, s[0:3], 0 offset:576
	ds_read_b128 v[5:8], v77 offset:1184
	s_waitcnt vmcnt(58) lgkmcnt(1)
	v_mul_f64 v[63:64], v[11:12], v[73:74]
	s_waitcnt vmcnt(56)
	v_fma_f64 v[71:72], v[1:2], v[75:76], -v[70:71]
	v_mul_f64 v[57:58], v[9:10], v[73:74]
	v_add_f64 v[13:14], v[13:14], v[55:56]
	v_fma_f64 v[55:56], v[3:4], v[75:76], v[109:110]
	v_add_f64 v[15:16], v[15:16], v[35:36]
	s_clause 0x4
	buffer_load_dword v36, off, s[0:3], 0 offset:620
	buffer_load_dword v73, off, s[0:3], 0 offset:632
	;; [unrolled: 1-line block ×5, first 2 shown]
	s_waitcnt vmcnt(57) lgkmcnt(0)
	v_mul_f64 v[109:110], v[5:6], v[94:95]
	v_mul_f64 v[94:95], v[7:8], v[94:95]
	s_waitcnt vmcnt(56)
	v_fma_f64 v[63:64], v[9:10], v[65:66], -v[63:64]
	ds_read_b128 v[1:4], v77 offset:1200
	v_fma_f64 v[57:58], v[11:12], v[65:66], v[57:58]
	v_add_f64 v[13:14], v[13:14], v[71:72]
	v_add_f64 v[15:16], v[15:16], v[55:56]
	s_clause 0x2
	buffer_load_dword v74, off, s[0:3], 0 offset:636
	buffer_load_dword v56, off, s[0:3], 0 offset:612
	;; [unrolled: 1-line block ×3, first 2 shown]
	ds_read_b128 v[9:12], v77 offset:1216
	s_waitcnt vmcnt(58) lgkmcnt(1)
	v_mul_f64 v[71:72], v[3:4], v[96:97]
	s_waitcnt vmcnt(56)
	v_fma_f64 v[94:95], v[5:6], v[101:102], -v[94:95]
	v_mul_f64 v[65:66], v[1:2], v[96:97]
	v_add_f64 v[13:14], v[13:14], v[63:64]
	v_fma_f64 v[63:64], v[7:8], v[101:102], v[109:110]
	v_add_f64 v[15:16], v[15:16], v[57:58]
	s_clause 0x4
	buffer_load_dword v58, off, s[0:3], 0 offset:652
	buffer_load_dword v96, off, s[0:3], 0 offset:664
	;; [unrolled: 1-line block ×5, first 2 shown]
	ds_read_b128 v[5:8], v77 offset:1232
	s_waitcnt vmcnt(57) lgkmcnt(1)
	v_mul_f64 v[101:102], v[9:10], v[88:89]
	v_mul_f64 v[88:89], v[11:12], v[88:89]
	s_waitcnt vmcnt(56)
	v_fma_f64 v[71:72], v[1:2], v[98:99], -v[71:72]
	v_fma_f64 v[65:66], v[3:4], v[98:99], v[65:66]
	v_add_f64 v[13:14], v[13:14], v[94:95]
	v_add_f64 v[15:16], v[15:16], v[63:64]
	s_clause 0x2
	buffer_load_dword v97, off, s[0:3], 0 offset:668
	buffer_load_dword v64, off, s[0:3], 0 offset:644
	buffer_load_dword v63, off, s[0:3], 0 offset:640
	ds_read_b128 v[1:4], v77 offset:1248
	s_waitcnt vmcnt(58) lgkmcnt(1)
	v_mul_f64 v[98:99], v[7:8], v[105:106]
	v_mul_f64 v[94:95], v[5:6], v[105:106]
	s_waitcnt vmcnt(56)
	v_fma_f64 v[88:89], v[9:10], v[82:83], -v[88:89]
	v_add_f64 v[13:14], v[13:14], v[71:72]
	v_fma_f64 v[71:72], v[11:12], v[82:83], v[101:102]
	v_add_f64 v[15:16], v[15:16], v[65:66]
	s_clause 0x4
	buffer_load_dword v66, off, s[0:3], 0 offset:684
	buffer_load_dword v82, off, s[0:3], 0 offset:696
	buffer_load_dword v105, off, s[0:3], 0 offset:688
	buffer_load_dword v65, off, s[0:3], 0 offset:680
	buffer_load_dword v101, off, s[0:3], 0 offset:660
	ds_read_b128 v[9:12], v77 offset:1264
	s_waitcnt vmcnt(57) lgkmcnt(1)
	v_mul_f64 v[109:110], v[1:2], v[25:26]
	v_mul_f64 v[25:26], v[3:4], v[25:26]
	s_waitcnt vmcnt(56)
	v_fma_f64 v[98:99], v[5:6], v[107:108], -v[98:99]
	v_add_f64 v[13:14], v[13:14], v[88:89]
	v_fma_f64 v[88:89], v[7:8], v[107:108], v[94:95]
	v_add_f64 v[15:16], v[15:16], v[71:72]
	s_clause 0x2
	buffer_load_dword v83, off, s[0:3], 0 offset:700
	buffer_load_dword v72, off, s[0:3], 0 offset:676
	buffer_load_dword v71, off, s[0:3], 0 offset:672
	ds_read_b128 v[5:8], v77 offset:1280
	s_waitcnt vmcnt(58) lgkmcnt(1)
	v_mul_f64 v[94:95], v[9:10], v[90:91]
	v_mul_f64 v[90:91], v[11:12], v[90:91]
	s_waitcnt vmcnt(56)
	v_fma_f64 v[25:26], v[1:2], v[19:20], -v[25:26]
	v_fma_f64 v[19:20], v[3:4], v[19:20], v[109:110]
	v_add_f64 v[13:14], v[13:14], v[98:99]
	v_add_f64 v[15:16], v[15:16], v[88:89]
	s_clause 0x4
	buffer_load_dword v89, off, s[0:3], 0 offset:716
	buffer_load_dword v98, off, s[0:3], 0 offset:728
	buffer_load_dword v102, off, s[0:3], 0 offset:720
	buffer_load_dword v88, off, s[0:3], 0 offset:712
	buffer_load_dword v106, off, s[0:3], 0 offset:692
	ds_read_b128 v[1:4], v77 offset:1296
	s_waitcnt vmcnt(57) lgkmcnt(1)
	v_mul_f64 v[107:108], v[5:6], v[78:79]
	v_mul_f64 v[78:79], v[7:8], v[78:79]
	s_waitcnt vmcnt(56)
	v_fma_f64 v[90:91], v[9:10], v[103:104], -v[90:91]
	v_add_f64 v[13:14], v[13:14], v[25:26]
	v_fma_f64 v[25:26], v[11:12], v[103:104], v[94:95]
	v_add_f64 v[15:16], v[15:16], v[19:20]
	s_clause 0x2
	buffer_load_dword v99, off, s[0:3], 0 offset:732
	buffer_load_dword v20, off, s[0:3], 0 offset:708
	buffer_load_dword v19, off, s[0:3], 0 offset:704
	ds_read_b128 v[9:12], v77 offset:1312
	s_waitcnt vmcnt(58) lgkmcnt(1)
	v_mul_f64 v[94:95], v[1:2], v[80:81]
	v_mul_f64 v[80:81], v[3:4], v[80:81]
	s_waitcnt vmcnt(56)
	v_fma_f64 v[78:79], v[5:6], v[21:22], -v[78:79]
	v_fma_f64 v[21:22], v[7:8], v[21:22], v[107:108]
	v_add_f64 v[13:14], v[13:14], v[90:91]
	;; [unrolled: 28-line block ×3, first 2 shown]
	v_add_f64 v[15:16], v[15:16], v[78:79]
	s_clause 0x4
	buffer_load_dword v79, off, s[0:3], 0 offset:780
	buffer_load_dword v80, off, s[0:3], 0 offset:792
	;; [unrolled: 1-line block ×5, first 2 shown]
	ds_read_b128 v[9:12], v77 offset:1360
	s_waitcnt vmcnt(57) lgkmcnt(1)
	v_mul_f64 v[109:110], v[1:2], v[23:24]
	v_mul_f64 v[23:24], v[3:4], v[23:24]
	s_waitcnt vmcnt(56)
	v_fma_f64 v[53:54], v[5:6], v[86:87], -v[53:54]
	v_add_f64 v[13:14], v[13:14], v[17:18]
	v_fma_f64 v[17:18], v[7:8], v[86:87], v[92:93]
	v_add_f64 v[15:16], v[15:16], v[27:28]
	s_clause 0x2
	buffer_load_dword v81, off, s[0:3], 0 offset:796
	buffer_load_dword v28, off, s[0:3], 0 offset:772
	buffer_load_dword v27, off, s[0:3], 0 offset:768
	s_waitcnt vmcnt(58) lgkmcnt(0)
	v_mul_f64 v[86:87], v[9:10], v[59:60]
	v_mul_f64 v[59:60], v[11:12], v[59:60]
	ds_read_b128 v[5:8], v77 offset:1376
	s_waitcnt vmcnt(56)
	v_fma_f64 v[23:24], v[1:2], v[33:34], -v[23:24]
	v_fma_f64 v[33:34], v[3:4], v[33:34], v[109:110]
	v_add_f64 v[13:14], v[13:14], v[53:54]
	v_add_f64 v[15:16], v[15:16], v[17:18]
	s_clause 0x4
	buffer_load_dword v18, off, s[0:3], 0 offset:812
	buffer_load_dword v53, off, s[0:3], 0 offset:824
	;; [unrolled: 1-line block ×5, first 2 shown]
	ds_read_b128 v[1:4], v77 offset:1392
	s_waitcnt vmcnt(57) lgkmcnt(1)
	v_mul_f64 v[109:110], v[5:6], v[29:30]
	v_mul_f64 v[29:30], v[7:8], v[29:30]
	s_waitcnt vmcnt(56)
	v_fma_f64 v[59:60], v[9:10], v[61:62], -v[59:60]
	v_add_f64 v[13:14], v[13:14], v[23:24]
	v_fma_f64 v[23:24], v[11:12], v[61:62], v[86:87]
	v_add_f64 v[15:16], v[15:16], v[33:34]
	s_clause 0x2
	buffer_load_dword v54, off, s[0:3], 0 offset:828
	buffer_load_dword v34, off, s[0:3], 0 offset:804
	;; [unrolled: 1-line block ×3, first 2 shown]
	ds_read_b128 v[9:12], v77 offset:1408
	buffer_load_dword v93, off, s[0:3], 0 offset:820
	s_waitcnt vmcnt(59) lgkmcnt(1)
	v_mul_f64 v[61:62], v[1:2], v[67:68]
	v_mul_f64 v[67:68], v[3:4], v[67:68]
	s_waitcnt vmcnt(57)
	v_fma_f64 v[29:30], v[5:6], v[31:32], -v[29:30]
	v_fma_f64 v[31:32], v[7:8], v[31:32], v[109:110]
	ds_read_b128 v[5:8], v77 offset:1424
	v_add_f64 v[13:14], v[13:14], v[59:60]
	v_add_f64 v[15:16], v[15:16], v[23:24]
	s_waitcnt vmcnt(53) lgkmcnt(1)
	v_mul_f64 v[23:24], v[9:10], v[35:36]
	v_mul_f64 v[35:36], v[11:12], v[35:36]
	s_waitcnt vmcnt(52)
	v_fma_f64 v[59:60], v[1:2], v[69:70], -v[67:68]
	v_add_f64 v[13:14], v[13:14], v[29:30]
	v_fma_f64 v[29:30], v[3:4], v[69:70], v[61:62]
	v_add_f64 v[15:16], v[15:16], v[31:32]
	ds_read_b128 v[1:4], v77 offset:1440
	s_waitcnt vmcnt(51) lgkmcnt(1)
	v_mul_f64 v[61:62], v[7:8], v[73:74]
	v_mul_f64 v[31:32], v[5:6], v[73:74]
	s_waitcnt vmcnt(49)
	v_fma_f64 v[35:36], v[9:10], v[55:56], -v[35:36]
	v_fma_f64 v[23:24], v[11:12], v[55:56], v[23:24]
	v_add_f64 v[13:14], v[13:14], v[59:60]
	v_add_f64 v[15:16], v[15:16], v[29:30]
	s_clause 0x3
	buffer_load_dword v29, off, s[0:3], 0 offset:128
	buffer_load_dword v30, off, s[0:3], 0 offset:132
	;; [unrolled: 1-line block ×4, first 2 shown]
	ds_read_b128 v[9:12], v77 offset:1456
	s_waitcnt vmcnt(49) lgkmcnt(1)
	v_mul_f64 v[59:60], v[1:2], v[57:58]
	v_mul_f64 v[57:58], v[3:4], v[57:58]
	s_waitcnt vmcnt(48)
	v_fma_f64 v[61:62], v[5:6], v[75:76], -v[61:62]
	v_fma_f64 v[31:32], v[7:8], v[75:76], v[31:32]
	ds_read_b128 v[5:8], v77 offset:1472
	v_add_f64 v[13:14], v[13:14], v[35:36]
	v_add_f64 v[15:16], v[15:16], v[23:24]
	s_waitcnt vmcnt(47) lgkmcnt(1)
	v_mul_f64 v[35:36], v[11:12], v[96:97]
	v_mul_f64 v[23:24], v[9:10], v[96:97]
	s_waitcnt vmcnt(45)
	v_fma_f64 v[57:58], v[1:2], v[63:64], -v[57:58]
	v_fma_f64 v[59:60], v[3:4], v[63:64], v[59:60]
	ds_read_b128 v[1:4], v77 offset:1488
	v_add_f64 v[13:14], v[13:14], v[61:62]
	v_add_f64 v[15:16], v[15:16], v[31:32]
	s_waitcnt vmcnt(41) lgkmcnt(1)
	v_mul_f64 v[61:62], v[7:8], v[65:66]
	s_waitcnt vmcnt(40)
	v_fma_f64 v[35:36], v[9:10], v[100:101], -v[35:36]
	v_mul_f64 v[31:32], v[5:6], v[65:66]
	v_fma_f64 v[23:24], v[11:12], v[100:101], v[23:24]
	ds_read_b128 v[9:12], v77 offset:1504
	v_add_f64 v[13:14], v[13:14], v[57:58]
	v_add_f64 v[15:16], v[15:16], v[59:60]
	s_waitcnt vmcnt(39) lgkmcnt(1)
	v_mul_f64 v[59:60], v[3:4], v[82:83]
	v_mul_f64 v[57:58], v[1:2], v[82:83]
	s_waitcnt vmcnt(37)
	v_fma_f64 v[61:62], v[5:6], v[71:72], -v[61:62]
	v_fma_f64 v[31:32], v[7:8], v[71:72], v[31:32]
	ds_read_b128 v[5:8], v77 offset:1520
	v_add_f64 v[13:14], v[13:14], v[35:36]
	v_add_f64 v[15:16], v[15:16], v[23:24]
	s_waitcnt vmcnt(33) lgkmcnt(1)
	v_mul_f64 v[35:36], v[11:12], v[88:89]
	s_waitcnt vmcnt(32)
	v_fma_f64 v[59:60], v[1:2], v[105:106], -v[59:60]
	v_mul_f64 v[23:24], v[9:10], v[88:89]
	v_fma_f64 v[57:58], v[3:4], v[105:106], v[57:58]
	ds_read_b128 v[1:4], v77 offset:1536
	v_add_f64 v[13:14], v[13:14], v[61:62]
	v_add_f64 v[15:16], v[15:16], v[31:32]
	s_waitcnt vmcnt(31) lgkmcnt(1)
	v_mul_f64 v[61:62], v[7:8], v[98:99]
	v_mul_f64 v[31:32], v[5:6], v[98:99]
	s_waitcnt vmcnt(29)
	v_fma_f64 v[35:36], v[9:10], v[19:20], -v[35:36]
	v_fma_f64 v[19:20], v[11:12], v[19:20], v[23:24]
	ds_read_b128 v[9:12], v77 offset:1552
	v_add_f64 v[13:14], v[13:14], v[59:60]
	v_add_f64 v[15:16], v[15:16], v[57:58]
	s_waitcnt vmcnt(25) lgkmcnt(1)
	v_mul_f64 v[23:24], v[1:2], v[25:26]
	v_mul_f64 v[25:26], v[3:4], v[25:26]
	s_waitcnt vmcnt(24)
	v_fma_f64 v[57:58], v[5:6], v[102:103], -v[61:62]
	;; [unrolled: 9-line block ×3, first 2 shown]
	v_fma_f64 v[21:22], v[3:4], v[21:22], v[23:24]
	ds_read_b128 v[1:4], v77 offset:1584
	v_add_f64 v[13:14], v[13:14], v[57:58]
	v_add_f64 v[15:16], v[15:16], v[31:32]
	s_waitcnt vmcnt(17) lgkmcnt(1)
	v_mul_f64 v[31:32], v[7:8], v[78:79]
	s_waitcnt vmcnt(16)
	v_fma_f64 v[35:36], v[9:10], v[107:108], -v[35:36]
	v_mul_f64 v[23:24], v[5:6], v[78:79]
	v_fma_f64 v[19:20], v[11:12], v[107:108], v[19:20]
	ds_read_b128 v[9:12], v77 offset:1600
	v_add_f64 v[13:14], v[13:14], v[25:26]
	v_add_f64 v[15:16], v[15:16], v[21:22]
	s_waitcnt vmcnt(15) lgkmcnt(1)
	v_mul_f64 v[25:26], v[3:4], v[80:81]
	v_mul_f64 v[21:22], v[1:2], v[80:81]
	s_waitcnt vmcnt(13)
	v_fma_f64 v[31:32], v[5:6], v[27:28], -v[31:32]
	v_fma_f64 v[23:24], v[7:8], v[27:28], v[23:24]
	ds_read_b128 v[5:8], v77 offset:1616
	v_add_f64 v[13:14], v[13:14], v[35:36]
	v_add_f64 v[15:16], v[15:16], v[19:20]
	s_waitcnt vmcnt(9) lgkmcnt(1)
	v_mul_f64 v[19:20], v[9:10], v[17:18]
	v_mul_f64 v[17:18], v[11:12], v[17:18]
	s_waitcnt vmcnt(8)
	v_fma_f64 v[1:2], v[1:2], v[94:95], -v[25:26]
	v_fma_f64 v[3:4], v[3:4], v[94:95], v[21:22]
	v_add_f64 v[13:14], v[13:14], v[31:32]
	v_add_f64 v[15:16], v[15:16], v[23:24]
	s_waitcnt vmcnt(7) lgkmcnt(0)
	v_mul_f64 v[23:24], v[7:8], v[53:54]
	v_mul_f64 v[21:22], v[5:6], v[53:54]
	s_waitcnt vmcnt(5)
	v_fma_f64 v[9:10], v[9:10], v[33:34], -v[17:18]
	v_fma_f64 v[11:12], v[11:12], v[33:34], v[19:20]
	v_add_f64 v[1:2], v[13:14], v[1:2]
	v_add_f64 v[3:4], v[15:16], v[3:4]
	s_waitcnt vmcnt(4)
	v_fma_f64 v[5:6], v[5:6], v[92:93], -v[23:24]
	v_fma_f64 v[7:8], v[7:8], v[92:93], v[21:22]
	v_add_f64 v[1:2], v[1:2], v[9:10]
	v_add_f64 v[3:4], v[3:4], v[11:12]
	;; [unrolled: 1-line block ×4, first 2 shown]
	s_waitcnt vmcnt(2)
	v_add_f64 v[1:2], v[29:30], -v[1:2]
	s_waitcnt vmcnt(0)
	v_add_f64 v[3:4], v[55:56], -v[3:4]
	buffer_store_dword v2, off, s[0:3], 0 offset:132
	buffer_store_dword v1, off, s[0:3], 0 offset:128
	;; [unrolled: 1-line block ×4, first 2 shown]
	v_cmpx_lt_u32_e32 6, v0
	s_cbranch_execz .LBB50_307
; %bb.306:
	v_mov_b32_e32 v4, s57
	s_clause 0x3
	buffer_load_dword v1, v4, s[0:3], 0 offen
	buffer_load_dword v2, v4, s[0:3], 0 offen offset:4
	buffer_load_dword v3, v4, s[0:3], 0 offen offset:8
	;; [unrolled: 1-line block ×3, first 2 shown]
	buffer_store_dword v77, off, s[0:3], 0 offset:112
	buffer_store_dword v77, off, s[0:3], 0 offset:116
	;; [unrolled: 1-line block ×4, first 2 shown]
	s_waitcnt vmcnt(0)
	ds_write_b128 v85, v[1:4]
.LBB50_307:
	s_or_b32 exec_lo, exec_lo, s4
	s_waitcnt lgkmcnt(0)
	s_waitcnt_vscnt null, 0x0
	s_barrier
	buffer_gl0_inv
	s_clause 0x37
	buffer_load_dword v9, off, s[0:3], 0 offset:136
	buffer_load_dword v10, off, s[0:3], 0 offset:140
	;; [unrolled: 1-line block ×56, first 2 shown]
	ds_read_b128 v[78:81], v77 offset:928
	s_clause 0x2
	buffer_load_dword v74, off, s[0:3], 0 offset:364
	buffer_load_dword v76, off, s[0:3], 0 offset:340
	;; [unrolled: 1-line block ×3, first 2 shown]
	ds_read_b128 v[86:89], v77 offset:944
	s_clause 0x4
	buffer_load_dword v95, off, s[0:3], 0 offset:380
	buffer_load_dword v96, off, s[0:3], 0 offset:392
	;; [unrolled: 1-line block ×5, first 2 shown]
	ds_read_b128 v[90:93], v77 offset:960
	s_clause 0x2
	buffer_load_dword v97, off, s[0:3], 0 offset:396
	buffer_load_dword v102, off, s[0:3], 0 offset:372
	buffer_load_dword v101, off, s[0:3], 0 offset:368
	s_mov_b32 s4, exec_lo
	s_waitcnt vmcnt(62) lgkmcnt(2)
	v_mul_f64 v[82:83], v[80:81], v[9:10]
	v_mul_f64 v[9:10], v[78:79], v[9:10]
	s_waitcnt lgkmcnt(1)
	v_mul_f64 v[99:100], v[88:89], v[5:6]
	s_waitcnt vmcnt(59) lgkmcnt(0)
	v_mul_f64 v[103:104], v[92:93], v[3:4]
	v_fma_f64 v[78:79], v[78:79], v[7:8], -v[82:83]
	v_mul_f64 v[82:83], v[86:87], v[5:6]
	v_fma_f64 v[9:10], v[80:81], v[7:8], v[9:10]
	s_waitcnt vmcnt(57)
	v_fma_f64 v[86:87], v[86:87], v[1:2], -v[99:100]
	ds_read_b128 v[5:8], v77 offset:976
	v_mul_f64 v[80:81], v[90:91], v[3:4]
	s_waitcnt vmcnt(51)
	v_fma_f64 v[90:91], v[90:91], v[25:26], -v[103:104]
	v_add_f64 v[78:79], v[78:79], 0
	v_fma_f64 v[82:83], v[88:89], v[1:2], v[82:83]
	v_add_f64 v[9:10], v[9:10], 0
	s_clause 0x4
	buffer_load_dword v89, off, s[0:3], 0 offset:412
	buffer_load_dword v105, off, s[0:3], 0 offset:424
	;; [unrolled: 1-line block ×5, first 2 shown]
	s_waitcnt lgkmcnt(0)
	v_mul_f64 v[108:109], v[5:6], v[13:14]
	v_mul_f64 v[13:14], v[7:8], v[13:14]
	ds_read_b128 v[1:4], v77 offset:992
	v_fma_f64 v[25:26], v[92:93], v[25:26], v[80:81]
	v_add_f64 v[86:87], v[78:79], v[86:87]
	v_add_f64 v[9:10], v[9:10], v[82:83]
	s_clause 0x2
	buffer_load_dword v106, off, s[0:3], 0 offset:428
	buffer_load_dword v83, off, s[0:3], 0 offset:404
	;; [unrolled: 1-line block ×3, first 2 shown]
	s_waitcnt vmcnt(58) lgkmcnt(0)
	v_mul_f64 v[92:93], v[1:2], v[17:18]
	v_mul_f64 v[17:18], v[3:4], v[17:18]
	s_waitcnt vmcnt(56)
	v_fma_f64 v[13:14], v[5:6], v[19:20], -v[13:14]
	ds_read_b128 v[78:81], v77 offset:1008
	v_fma_f64 v[19:20], v[7:8], v[19:20], v[108:109]
	v_add_f64 v[86:87], v[86:87], v[90:91]
	v_add_f64 v[9:10], v[9:10], v[25:26]
	s_clause 0x4
	buffer_load_dword v26, off, s[0:3], 0 offset:444
	buffer_load_dword v90, off, s[0:3], 0 offset:456
	buffer_load_dword v103, off, s[0:3], 0 offset:448
	buffer_load_dword v25, off, s[0:3], 0 offset:440
	buffer_load_dword v108, off, s[0:3], 0 offset:420
	ds_read_b128 v[5:8], v77 offset:1024
	s_waitcnt vmcnt(57) lgkmcnt(1)
	v_mul_f64 v[109:110], v[78:79], v[21:22]
	v_mul_f64 v[21:22], v[80:81], v[21:22]
	s_waitcnt vmcnt(56)
	v_fma_f64 v[17:18], v[1:2], v[11:12], -v[17:18]
	v_fma_f64 v[11:12], v[3:4], v[11:12], v[92:93]
	v_add_f64 v[13:14], v[86:87], v[13:14]
	v_add_f64 v[9:10], v[9:10], v[19:20]
	s_clause 0x2
	buffer_load_dword v91, off, s[0:3], 0 offset:460
	buffer_load_dword v20, off, s[0:3], 0 offset:436
	buffer_load_dword v19, off, s[0:3], 0 offset:432
	s_waitcnt vmcnt(58) lgkmcnt(0)
	v_mul_f64 v[86:87], v[5:6], v[27:28]
	v_mul_f64 v[27:28], v[7:8], v[27:28]
	s_waitcnt vmcnt(56)
	v_fma_f64 v[21:22], v[78:79], v[29:30], -v[21:22]
	ds_read_b128 v[1:4], v77 offset:1040
	v_add_f64 v[13:14], v[13:14], v[17:18]
	v_fma_f64 v[17:18], v[80:81], v[29:30], v[109:110]
	v_add_f64 v[29:30], v[9:10], v[11:12]
	s_clause 0x4
	buffer_load_dword v79, off, s[0:3], 0 offset:476
	buffer_load_dword v80, off, s[0:3], 0 offset:488
	;; [unrolled: 1-line block ×5, first 2 shown]
	ds_read_b128 v[9:12], v77 offset:1056
	s_waitcnt vmcnt(57) lgkmcnt(1)
	v_mul_f64 v[109:110], v[1:2], v[31:32]
	v_mul_f64 v[31:32], v[3:4], v[31:32]
	s_waitcnt vmcnt(56)
	v_fma_f64 v[27:28], v[5:6], v[15:16], -v[27:28]
	v_fma_f64 v[15:16], v[7:8], v[15:16], v[86:87]
	v_add_f64 v[13:14], v[13:14], v[21:22]
	s_clause 0x2
	buffer_load_dword v81, off, s[0:3], 0 offset:492
	buffer_load_dword v22, off, s[0:3], 0 offset:468
	;; [unrolled: 1-line block ×3, first 2 shown]
	v_add_f64 v[17:18], v[29:30], v[17:18]
	s_waitcnt vmcnt(58) lgkmcnt(0)
	v_mul_f64 v[29:30], v[9:10], v[35:36]
	v_mul_f64 v[35:36], v[11:12], v[35:36]
	ds_read_b128 v[5:8], v77 offset:1072
	s_waitcnt vmcnt(56)
	v_fma_f64 v[31:32], v[1:2], v[53:54], -v[31:32]
	v_add_f64 v[13:14], v[13:14], v[27:28]
	v_fma_f64 v[27:28], v[3:4], v[53:54], v[109:110]
	v_add_f64 v[15:16], v[17:18], v[15:16]
	s_clause 0x4
	buffer_load_dword v18, off, s[0:3], 0 offset:508
	buffer_load_dword v53, off, s[0:3], 0 offset:520
	;; [unrolled: 1-line block ×5, first 2 shown]
	s_waitcnt vmcnt(57) lgkmcnt(0)
	v_mul_f64 v[109:110], v[5:6], v[55:56]
	v_mul_f64 v[55:56], v[7:8], v[55:56]
	s_waitcnt vmcnt(56)
	v_fma_f64 v[35:36], v[9:10], v[23:24], -v[35:36]
	ds_read_b128 v[1:4], v77 offset:1088
	v_fma_f64 v[23:24], v[11:12], v[23:24], v[29:30]
	v_add_f64 v[13:14], v[13:14], v[31:32]
	v_add_f64 v[15:16], v[15:16], v[27:28]
	s_clause 0x2
	buffer_load_dword v54, off, s[0:3], 0 offset:524
	buffer_load_dword v28, off, s[0:3], 0 offset:500
	;; [unrolled: 1-line block ×3, first 2 shown]
	ds_read_b128 v[9:12], v77 offset:1104
	s_waitcnt vmcnt(58) lgkmcnt(1)
	v_mul_f64 v[31:32], v[3:4], v[59:60]
	s_waitcnt vmcnt(56)
	v_fma_f64 v[55:56], v[5:6], v[61:62], -v[55:56]
	v_mul_f64 v[29:30], v[1:2], v[59:60]
	v_add_f64 v[13:14], v[13:14], v[35:36]
	v_fma_f64 v[35:36], v[7:8], v[61:62], v[109:110]
	v_add_f64 v[15:16], v[15:16], v[23:24]
	s_clause 0x4
	buffer_load_dword v24, off, s[0:3], 0 offset:540
	buffer_load_dword v59, off, s[0:3], 0 offset:552
	;; [unrolled: 1-line block ×5, first 2 shown]
	s_waitcnt vmcnt(57) lgkmcnt(0)
	v_mul_f64 v[109:110], v[9:10], v[63:64]
	v_mul_f64 v[62:63], v[11:12], v[63:64]
	s_waitcnt vmcnt(56)
	v_fma_f64 v[31:32], v[1:2], v[33:34], -v[31:32]
	ds_read_b128 v[5:8], v77 offset:1120
	v_fma_f64 v[29:30], v[3:4], v[33:34], v[29:30]
	s_clause 0x2
	buffer_load_dword v60, off, s[0:3], 0 offset:556
	buffer_load_dword v34, off, s[0:3], 0 offset:532
	;; [unrolled: 1-line block ×3, first 2 shown]
	ds_read_b128 v[1:4], v77 offset:1136
	v_add_f64 v[13:14], v[13:14], v[55:56]
	v_add_f64 v[15:16], v[15:16], v[35:36]
	s_waitcnt vmcnt(58) lgkmcnt(1)
	v_mul_f64 v[55:56], v[7:8], v[67:68]
	s_waitcnt vmcnt(56)
	v_fma_f64 v[63:64], v[9:10], v[69:70], -v[62:63]
	v_mul_f64 v[35:36], v[5:6], v[67:68]
	v_add_f64 v[13:14], v[13:14], v[31:32]
	v_fma_f64 v[31:32], v[11:12], v[69:70], v[109:110]
	v_add_f64 v[15:16], v[15:16], v[29:30]
	s_clause 0x4
	buffer_load_dword v30, off, s[0:3], 0 offset:572
	buffer_load_dword v67, off, s[0:3], 0 offset:584
	;; [unrolled: 1-line block ×5, first 2 shown]
	s_waitcnt vmcnt(57) lgkmcnt(0)
	v_mul_f64 v[109:110], v[1:2], v[71:72]
	v_mul_f64 v[70:71], v[3:4], v[71:72]
	s_waitcnt vmcnt(56)
	v_fma_f64 v[55:56], v[5:6], v[57:58], -v[55:56]
	ds_read_b128 v[9:12], v77 offset:1152
	v_fma_f64 v[35:36], v[7:8], v[57:58], v[35:36]
	v_add_f64 v[13:14], v[13:14], v[63:64]
	v_add_f64 v[15:16], v[15:16], v[31:32]
	s_clause 0x2
	buffer_load_dword v68, off, s[0:3], 0 offset:588
	buffer_load_dword v32, off, s[0:3], 0 offset:564
	buffer_load_dword v31, off, s[0:3], 0 offset:560
	ds_read_b128 v[5:8], v77 offset:1168
	s_waitcnt vmcnt(58) lgkmcnt(1)
	v_mul_f64 v[63:64], v[11:12], v[73:74]
	s_waitcnt vmcnt(56)
	v_fma_f64 v[71:72], v[1:2], v[75:76], -v[70:71]
	v_mul_f64 v[57:58], v[9:10], v[73:74]
	v_add_f64 v[13:14], v[13:14], v[55:56]
	v_fma_f64 v[55:56], v[3:4], v[75:76], v[109:110]
	v_add_f64 v[15:16], v[15:16], v[35:36]
	s_clause 0x4
	buffer_load_dword v36, off, s[0:3], 0 offset:604
	buffer_load_dword v73, off, s[0:3], 0 offset:616
	;; [unrolled: 1-line block ×5, first 2 shown]
	s_waitcnt vmcnt(57) lgkmcnt(0)
	v_mul_f64 v[109:110], v[5:6], v[94:95]
	v_mul_f64 v[94:95], v[7:8], v[94:95]
	s_waitcnt vmcnt(56)
	v_fma_f64 v[63:64], v[9:10], v[65:66], -v[63:64]
	ds_read_b128 v[1:4], v77 offset:1184
	v_fma_f64 v[57:58], v[11:12], v[65:66], v[57:58]
	v_add_f64 v[13:14], v[13:14], v[71:72]
	v_add_f64 v[15:16], v[15:16], v[55:56]
	s_clause 0x2
	buffer_load_dword v74, off, s[0:3], 0 offset:620
	buffer_load_dword v56, off, s[0:3], 0 offset:596
	;; [unrolled: 1-line block ×3, first 2 shown]
	ds_read_b128 v[9:12], v77 offset:1200
	s_waitcnt vmcnt(58) lgkmcnt(1)
	v_mul_f64 v[71:72], v[3:4], v[96:97]
	s_waitcnt vmcnt(56)
	v_fma_f64 v[94:95], v[5:6], v[101:102], -v[94:95]
	v_mul_f64 v[65:66], v[1:2], v[96:97]
	v_add_f64 v[13:14], v[13:14], v[63:64]
	v_fma_f64 v[63:64], v[7:8], v[101:102], v[109:110]
	v_add_f64 v[15:16], v[15:16], v[57:58]
	s_clause 0x4
	buffer_load_dword v58, off, s[0:3], 0 offset:636
	buffer_load_dword v96, off, s[0:3], 0 offset:648
	;; [unrolled: 1-line block ×5, first 2 shown]
	ds_read_b128 v[5:8], v77 offset:1216
	s_waitcnt vmcnt(57) lgkmcnt(1)
	v_mul_f64 v[101:102], v[9:10], v[88:89]
	v_mul_f64 v[88:89], v[11:12], v[88:89]
	s_waitcnt vmcnt(56)
	v_fma_f64 v[71:72], v[1:2], v[98:99], -v[71:72]
	v_fma_f64 v[65:66], v[3:4], v[98:99], v[65:66]
	v_add_f64 v[13:14], v[13:14], v[94:95]
	v_add_f64 v[15:16], v[15:16], v[63:64]
	s_clause 0x2
	buffer_load_dword v97, off, s[0:3], 0 offset:652
	buffer_load_dword v64, off, s[0:3], 0 offset:628
	;; [unrolled: 1-line block ×3, first 2 shown]
	ds_read_b128 v[1:4], v77 offset:1232
	s_waitcnt vmcnt(58) lgkmcnt(1)
	v_mul_f64 v[98:99], v[7:8], v[105:106]
	v_mul_f64 v[94:95], v[5:6], v[105:106]
	s_waitcnt vmcnt(56)
	v_fma_f64 v[88:89], v[9:10], v[82:83], -v[88:89]
	v_add_f64 v[13:14], v[13:14], v[71:72]
	v_fma_f64 v[71:72], v[11:12], v[82:83], v[101:102]
	v_add_f64 v[15:16], v[15:16], v[65:66]
	s_clause 0x4
	buffer_load_dword v66, off, s[0:3], 0 offset:668
	buffer_load_dword v82, off, s[0:3], 0 offset:680
	buffer_load_dword v105, off, s[0:3], 0 offset:672
	buffer_load_dword v65, off, s[0:3], 0 offset:664
	buffer_load_dword v101, off, s[0:3], 0 offset:644
	ds_read_b128 v[9:12], v77 offset:1248
	s_waitcnt vmcnt(57) lgkmcnt(1)
	v_mul_f64 v[109:110], v[1:2], v[25:26]
	v_mul_f64 v[25:26], v[3:4], v[25:26]
	s_waitcnt vmcnt(56)
	v_fma_f64 v[98:99], v[5:6], v[107:108], -v[98:99]
	v_add_f64 v[13:14], v[13:14], v[88:89]
	v_fma_f64 v[88:89], v[7:8], v[107:108], v[94:95]
	v_add_f64 v[15:16], v[15:16], v[71:72]
	s_clause 0x2
	buffer_load_dword v83, off, s[0:3], 0 offset:684
	buffer_load_dword v72, off, s[0:3], 0 offset:660
	buffer_load_dword v71, off, s[0:3], 0 offset:656
	ds_read_b128 v[5:8], v77 offset:1264
	s_waitcnt vmcnt(58) lgkmcnt(1)
	v_mul_f64 v[94:95], v[9:10], v[90:91]
	v_mul_f64 v[90:91], v[11:12], v[90:91]
	s_waitcnt vmcnt(56)
	v_fma_f64 v[25:26], v[1:2], v[19:20], -v[25:26]
	v_fma_f64 v[19:20], v[3:4], v[19:20], v[109:110]
	v_add_f64 v[13:14], v[13:14], v[98:99]
	v_add_f64 v[15:16], v[15:16], v[88:89]
	s_clause 0x4
	buffer_load_dword v89, off, s[0:3], 0 offset:700
	buffer_load_dword v98, off, s[0:3], 0 offset:712
	buffer_load_dword v102, off, s[0:3], 0 offset:704
	buffer_load_dword v88, off, s[0:3], 0 offset:696
	buffer_load_dword v106, off, s[0:3], 0 offset:676
	ds_read_b128 v[1:4], v77 offset:1280
	s_waitcnt vmcnt(57) lgkmcnt(1)
	v_mul_f64 v[107:108], v[5:6], v[78:79]
	v_mul_f64 v[78:79], v[7:8], v[78:79]
	s_waitcnt vmcnt(56)
	v_fma_f64 v[90:91], v[9:10], v[103:104], -v[90:91]
	v_add_f64 v[13:14], v[13:14], v[25:26]
	v_fma_f64 v[25:26], v[11:12], v[103:104], v[94:95]
	v_add_f64 v[15:16], v[15:16], v[19:20]
	s_clause 0x2
	buffer_load_dword v99, off, s[0:3], 0 offset:716
	buffer_load_dword v20, off, s[0:3], 0 offset:692
	buffer_load_dword v19, off, s[0:3], 0 offset:688
	ds_read_b128 v[9:12], v77 offset:1296
	s_waitcnt vmcnt(58) lgkmcnt(1)
	v_mul_f64 v[94:95], v[1:2], v[80:81]
	v_mul_f64 v[80:81], v[3:4], v[80:81]
	s_waitcnt vmcnt(56)
	v_fma_f64 v[78:79], v[5:6], v[21:22], -v[78:79]
	v_fma_f64 v[21:22], v[7:8], v[21:22], v[107:108]
	v_add_f64 v[13:14], v[13:14], v[90:91]
	;; [unrolled: 28-line block ×3, first 2 shown]
	v_add_f64 v[15:16], v[15:16], v[78:79]
	s_clause 0x4
	buffer_load_dword v79, off, s[0:3], 0 offset:764
	buffer_load_dword v80, off, s[0:3], 0 offset:776
	;; [unrolled: 1-line block ×5, first 2 shown]
	ds_read_b128 v[9:12], v77 offset:1344
	s_waitcnt vmcnt(57) lgkmcnt(1)
	v_mul_f64 v[109:110], v[1:2], v[23:24]
	v_mul_f64 v[23:24], v[3:4], v[23:24]
	s_waitcnt vmcnt(56)
	v_fma_f64 v[53:54], v[5:6], v[86:87], -v[53:54]
	v_add_f64 v[13:14], v[13:14], v[17:18]
	v_fma_f64 v[17:18], v[7:8], v[86:87], v[92:93]
	v_add_f64 v[15:16], v[15:16], v[27:28]
	s_clause 0x2
	buffer_load_dword v81, off, s[0:3], 0 offset:780
	buffer_load_dword v28, off, s[0:3], 0 offset:756
	;; [unrolled: 1-line block ×3, first 2 shown]
	s_waitcnt vmcnt(58) lgkmcnt(0)
	v_mul_f64 v[86:87], v[9:10], v[59:60]
	v_mul_f64 v[59:60], v[11:12], v[59:60]
	ds_read_b128 v[5:8], v77 offset:1360
	s_waitcnt vmcnt(56)
	v_fma_f64 v[23:24], v[1:2], v[33:34], -v[23:24]
	v_fma_f64 v[33:34], v[3:4], v[33:34], v[109:110]
	v_add_f64 v[13:14], v[13:14], v[53:54]
	v_add_f64 v[15:16], v[15:16], v[17:18]
	s_clause 0x4
	buffer_load_dword v18, off, s[0:3], 0 offset:796
	buffer_load_dword v53, off, s[0:3], 0 offset:808
	;; [unrolled: 1-line block ×5, first 2 shown]
	ds_read_b128 v[1:4], v77 offset:1376
	s_waitcnt vmcnt(57) lgkmcnt(1)
	v_mul_f64 v[109:110], v[5:6], v[29:30]
	v_mul_f64 v[29:30], v[7:8], v[29:30]
	s_waitcnt vmcnt(56)
	v_fma_f64 v[59:60], v[9:10], v[61:62], -v[59:60]
	v_add_f64 v[13:14], v[13:14], v[23:24]
	v_fma_f64 v[23:24], v[11:12], v[61:62], v[86:87]
	v_add_f64 v[15:16], v[15:16], v[33:34]
	s_clause 0x2
	buffer_load_dword v54, off, s[0:3], 0 offset:812
	buffer_load_dword v34, off, s[0:3], 0 offset:788
	;; [unrolled: 1-line block ×3, first 2 shown]
	ds_read_b128 v[9:12], v77 offset:1392
	s_waitcnt vmcnt(58) lgkmcnt(1)
	v_mul_f64 v[61:62], v[1:2], v[67:68]
	v_mul_f64 v[67:68], v[3:4], v[67:68]
	s_waitcnt vmcnt(56)
	v_fma_f64 v[29:30], v[5:6], v[31:32], -v[29:30]
	v_fma_f64 v[31:32], v[7:8], v[31:32], v[109:110]
	v_add_f64 v[13:14], v[13:14], v[59:60]
	v_add_f64 v[15:16], v[15:16], v[23:24]
	s_clause 0x2
	buffer_load_dword v24, off, s[0:3], 0 offset:828
	buffer_load_dword v23, off, s[0:3], 0 offset:824
	;; [unrolled: 1-line block ×3, first 2 shown]
	ds_read_b128 v[5:8], v77 offset:1408
	s_waitcnt vmcnt(55) lgkmcnt(1)
	v_mul_f64 v[59:60], v[9:10], v[35:36]
	v_mul_f64 v[35:36], v[11:12], v[35:36]
	s_waitcnt vmcnt(54)
	v_fma_f64 v[67:68], v[1:2], v[69:70], -v[67:68]
	v_add_f64 v[13:14], v[13:14], v[29:30]
	v_fma_f64 v[29:30], v[3:4], v[69:70], v[61:62]
	v_add_f64 v[15:16], v[15:16], v[31:32]
	s_clause 0x1
	buffer_load_dword v32, off, s[0:3], 0 offset:820
	buffer_load_dword v31, off, s[0:3], 0 offset:816
	ds_read_b128 v[1:4], v77 offset:1424
	s_waitcnt vmcnt(55) lgkmcnt(1)
	v_mul_f64 v[69:70], v[7:8], v[73:74]
	v_mul_f64 v[61:62], v[5:6], v[73:74]
	s_waitcnt vmcnt(53)
	v_fma_f64 v[35:36], v[9:10], v[55:56], -v[35:36]
	v_fma_f64 v[55:56], v[11:12], v[55:56], v[59:60]
	ds_read_b128 v[9:12], v77 offset:1440
	v_add_f64 v[13:14], v[13:14], v[67:68]
	v_add_f64 v[15:16], v[15:16], v[29:30]
	s_waitcnt vmcnt(49) lgkmcnt(1)
	v_mul_f64 v[29:30], v[1:2], v[57:58]
	v_mul_f64 v[57:58], v[3:4], v[57:58]
	s_waitcnt vmcnt(48)
	v_fma_f64 v[59:60], v[5:6], v[75:76], -v[69:70]
	v_add_f64 v[13:14], v[13:14], v[35:36]
	v_fma_f64 v[35:36], v[7:8], v[75:76], v[61:62]
	v_add_f64 v[15:16], v[15:16], v[55:56]
	s_clause 0x3
	buffer_load_dword v55, off, s[0:3], 0 offset:112
	buffer_load_dword v56, off, s[0:3], 0 offset:116
	;; [unrolled: 1-line block ×4, first 2 shown]
	ds_read_b128 v[5:8], v77 offset:1456
	s_waitcnt vmcnt(51) lgkmcnt(1)
	v_mul_f64 v[69:70], v[11:12], v[96:97]
	v_mul_f64 v[67:68], v[9:10], v[96:97]
	s_waitcnt vmcnt(49)
	v_fma_f64 v[57:58], v[1:2], v[63:64], -v[57:58]
	v_fma_f64 v[29:30], v[3:4], v[63:64], v[29:30]
	ds_read_b128 v[1:4], v77 offset:1472
	v_add_f64 v[13:14], v[13:14], v[59:60]
	v_add_f64 v[15:16], v[15:16], v[35:36]
	s_waitcnt vmcnt(45) lgkmcnt(1)
	v_mul_f64 v[59:60], v[7:8], v[65:66]
	s_waitcnt vmcnt(44)
	v_fma_f64 v[63:64], v[9:10], v[100:101], -v[69:70]
	v_mul_f64 v[35:36], v[5:6], v[65:66]
	v_add_f64 v[13:14], v[13:14], v[57:58]
	v_fma_f64 v[57:58], v[11:12], v[100:101], v[67:68]
	v_add_f64 v[15:16], v[15:16], v[29:30]
	ds_read_b128 v[9:12], v77 offset:1488
	s_waitcnt vmcnt(43) lgkmcnt(1)
	v_mul_f64 v[65:66], v[3:4], v[82:83]
	v_mul_f64 v[29:30], v[1:2], v[82:83]
	s_waitcnt vmcnt(41)
	v_fma_f64 v[59:60], v[5:6], v[71:72], -v[59:60]
	v_fma_f64 v[35:36], v[7:8], v[71:72], v[35:36]
	ds_read_b128 v[5:8], v77 offset:1504
	v_add_f64 v[13:14], v[13:14], v[63:64]
	v_add_f64 v[15:16], v[15:16], v[57:58]
	s_waitcnt vmcnt(37) lgkmcnt(1)
	v_mul_f64 v[63:64], v[11:12], v[88:89]
	s_waitcnt vmcnt(36)
	v_fma_f64 v[65:66], v[1:2], v[105:106], -v[65:66]
	v_mul_f64 v[57:58], v[9:10], v[88:89]
	v_fma_f64 v[29:30], v[3:4], v[105:106], v[29:30]
	ds_read_b128 v[1:4], v77 offset:1520
	v_add_f64 v[13:14], v[13:14], v[59:60]
	v_add_f64 v[15:16], v[15:16], v[35:36]
	s_waitcnt vmcnt(35) lgkmcnt(1)
	v_mul_f64 v[59:60], v[7:8], v[98:99]
	v_mul_f64 v[35:36], v[5:6], v[98:99]
	s_waitcnt vmcnt(33)
	v_fma_f64 v[63:64], v[9:10], v[19:20], -v[63:64]
	v_fma_f64 v[19:20], v[11:12], v[19:20], v[57:58]
	ds_read_b128 v[9:12], v77 offset:1536
	v_add_f64 v[13:14], v[13:14], v[65:66]
	v_add_f64 v[15:16], v[15:16], v[29:30]
	s_waitcnt vmcnt(29) lgkmcnt(1)
	v_mul_f64 v[29:30], v[1:2], v[25:26]
	v_mul_f64 v[25:26], v[3:4], v[25:26]
	s_waitcnt vmcnt(28)
	v_fma_f64 v[57:58], v[5:6], v[102:103], -v[59:60]
	;; [unrolled: 9-line block ×3, first 2 shown]
	v_fma_f64 v[21:22], v[3:4], v[21:22], v[29:30]
	ds_read_b128 v[1:4], v77 offset:1568
	v_add_f64 v[13:14], v[13:14], v[57:58]
	v_add_f64 v[15:16], v[15:16], v[35:36]
	s_waitcnt vmcnt(21) lgkmcnt(1)
	v_mul_f64 v[35:36], v[7:8], v[78:79]
	s_waitcnt vmcnt(20)
	v_fma_f64 v[57:58], v[9:10], v[107:108], -v[59:60]
	v_mul_f64 v[29:30], v[5:6], v[78:79]
	v_fma_f64 v[19:20], v[11:12], v[107:108], v[19:20]
	ds_read_b128 v[9:12], v77 offset:1584
	v_add_f64 v[13:14], v[13:14], v[25:26]
	v_add_f64 v[15:16], v[15:16], v[21:22]
	s_waitcnt vmcnt(19) lgkmcnt(1)
	v_mul_f64 v[25:26], v[3:4], v[80:81]
	v_mul_f64 v[21:22], v[1:2], v[80:81]
	s_waitcnt vmcnt(17)
	v_fma_f64 v[35:36], v[5:6], v[27:28], -v[35:36]
	v_fma_f64 v[27:28], v[7:8], v[27:28], v[29:30]
	ds_read_b128 v[5:8], v77 offset:1600
	v_add_f64 v[13:14], v[13:14], v[57:58]
	v_add_f64 v[15:16], v[15:16], v[19:20]
	s_waitcnt vmcnt(13) lgkmcnt(1)
	v_mul_f64 v[19:20], v[9:10], v[17:18]
	v_mul_f64 v[17:18], v[11:12], v[17:18]
	s_waitcnt vmcnt(12)
	v_fma_f64 v[25:26], v[1:2], v[94:95], -v[25:26]
	;; [unrolled: 9-line block ×3, first 2 shown]
	v_fma_f64 v[11:12], v[11:12], v[33:34], v[19:20]
	v_add_f64 v[13:14], v[13:14], v[25:26]
	v_add_f64 v[15:16], v[15:16], v[21:22]
	s_waitcnt vmcnt(7) lgkmcnt(0)
	v_mul_f64 v[19:20], v[3:4], v[23:24]
	s_waitcnt vmcnt(6)
	v_fma_f64 v[5:6], v[5:6], v[92:93], -v[29:30]
	v_mul_f64 v[17:18], v[1:2], v[23:24]
	v_fma_f64 v[7:8], v[7:8], v[92:93], v[27:28]
	v_add_f64 v[9:10], v[13:14], v[9:10]
	v_add_f64 v[11:12], v[15:16], v[11:12]
	s_waitcnt vmcnt(4)
	v_fma_f64 v[1:2], v[1:2], v[31:32], -v[19:20]
	v_fma_f64 v[3:4], v[3:4], v[31:32], v[17:18]
	v_add_f64 v[5:6], v[9:10], v[5:6]
	v_add_f64 v[7:8], v[11:12], v[7:8]
	;; [unrolled: 1-line block ×4, first 2 shown]
	s_waitcnt vmcnt(2)
	v_add_f64 v[1:2], v[55:56], -v[1:2]
	s_waitcnt vmcnt(0)
	v_add_f64 v[3:4], v[61:62], -v[3:4]
	buffer_store_dword v2, off, s[0:3], 0 offset:116
	buffer_store_dword v1, off, s[0:3], 0 offset:112
	;; [unrolled: 1-line block ×4, first 2 shown]
	v_cmpx_lt_u32_e32 5, v0
	s_cbranch_execz .LBB50_309
; %bb.308:
	v_mov_b32_e32 v4, s58
	v_mov_b32_e32 v5, 0
	s_clause 0x3
	buffer_load_dword v1, v4, s[0:3], 0 offen
	buffer_load_dword v2, v4, s[0:3], 0 offen offset:4
	buffer_load_dword v3, v4, s[0:3], 0 offen offset:8
	buffer_load_dword v4, v4, s[0:3], 0 offen offset:12
	buffer_store_dword v5, off, s[0:3], 0 offset:96
	buffer_store_dword v5, off, s[0:3], 0 offset:100
	buffer_store_dword v5, off, s[0:3], 0 offset:104
	buffer_store_dword v5, off, s[0:3], 0 offset:108
	s_waitcnt vmcnt(0)
	ds_write_b128 v85, v[1:4]
.LBB50_309:
	s_or_b32 exec_lo, exec_lo, s4
	s_waitcnt lgkmcnt(0)
	s_waitcnt_vscnt null, 0x0
	s_barrier
	buffer_gl0_inv
	s_clause 0x37
	buffer_load_dword v13, off, s[0:3], 0 offset:120
	buffer_load_dword v14, off, s[0:3], 0 offset:124
	;; [unrolled: 1-line block ×56, first 2 shown]
	v_mov_b32_e32 v86, 0
	s_mov_b32 s4, exec_lo
	ds_read_b128 v[81:84], v86 offset:912
	s_clause 0x2
	buffer_load_dword v78, off, s[0:3], 0 offset:348
	buffer_load_dword v80, off, s[0:3], 0 offset:324
	;; [unrolled: 1-line block ×3, first 2 shown]
	ds_read_b128 v[1:4], v86 offset:928
	s_clause 0x4
	buffer_load_dword v94, off, s[0:3], 0 offset:364
	buffer_load_dword v95, off, s[0:3], 0 offset:376
	buffer_load_dword v97, off, s[0:3], 0 offset:368
	buffer_load_dword v93, off, s[0:3], 0 offset:360
	buffer_load_dword v70, off, s[0:3], 0 offset:340
	ds_read_b128 v[87:90], v86 offset:944
	s_waitcnt vmcnt(62) lgkmcnt(2)
	v_mul_f64 v[91:92], v[83:84], v[13:14]
	v_mul_f64 v[13:14], v[81:82], v[13:14]
	s_waitcnt vmcnt(60) lgkmcnt(1)
	v_mul_f64 v[98:99], v[3:4], v[9:10]
	s_waitcnt vmcnt(56) lgkmcnt(0)
	v_mul_f64 v[100:101], v[87:88], v[7:8]
	v_mul_f64 v[7:8], v[89:90], v[7:8]
	v_fma_f64 v[81:82], v[81:82], v[11:12], -v[91:92]
	v_mul_f64 v[91:92], v[1:2], v[9:10]
	v_fma_f64 v[13:14], v[83:84], v[11:12], v[13:14]
	s_clause 0x2
	buffer_load_dword v96, off, s[0:3], 0 offset:380
	buffer_load_dword v84, off, s[0:3], 0 offset:356
	;; [unrolled: 1-line block ×3, first 2 shown]
	s_waitcnt vmcnt(57)
	v_fma_f64 v[102:103], v[1:2], v[5:6], -v[98:99]
	ds_read_b128 v[9:12], v86 offset:960
	s_waitcnt vmcnt(51)
	v_fma_f64 v[87:88], v[87:88], v[29:30], -v[7:8]
	v_fma_f64 v[29:30], v[89:90], v[29:30], v[100:101]
	v_add_f64 v[81:82], v[81:82], 0
	v_fma_f64 v[5:6], v[3:4], v[5:6], v[91:92]
	v_add_f64 v[13:14], v[13:14], 0
	s_clause 0x4
	buffer_load_dword v92, off, s[0:3], 0 offset:396
	buffer_load_dword v99, off, s[0:3], 0 offset:408
	;; [unrolled: 1-line block ×5, first 2 shown]
	s_waitcnt lgkmcnt(0)
	v_mul_f64 v[105:106], v[9:10], v[17:18]
	v_mul_f64 v[17:18], v[11:12], v[17:18]
	ds_read_b128 v[1:4], v86 offset:976
	s_clause 0x2
	buffer_load_dword v100, off, s[0:3], 0 offset:412
	buffer_load_dword v90, off, s[0:3], 0 offset:388
	;; [unrolled: 1-line block ×3, first 2 shown]
	v_add_f64 v[81:82], v[81:82], v[102:103]
	v_add_f64 v[13:14], v[13:14], v[5:6]
	ds_read_b128 v[5:8], v86 offset:992
	s_waitcnt vmcnt(58) lgkmcnt(1)
	v_mul_f64 v[101:102], v[1:2], v[21:22]
	v_mul_f64 v[21:22], v[3:4], v[21:22]
	s_waitcnt vmcnt(56)
	v_fma_f64 v[17:18], v[9:10], v[23:24], -v[17:18]
	v_fma_f64 v[23:24], v[11:12], v[23:24], v[105:106]
	v_add_f64 v[81:82], v[81:82], v[87:88]
	s_waitcnt vmcnt(52) lgkmcnt(0)
	v_mul_f64 v[107:108], v[5:6], v[25:26]
	v_add_f64 v[13:14], v[13:14], v[29:30]
	s_clause 0x4
	buffer_load_dword v30, off, s[0:3], 0 offset:428
	buffer_load_dword v87, off, s[0:3], 0 offset:440
	;; [unrolled: 1-line block ×5, first 2 shown]
	v_mul_f64 v[25:26], v[7:8], v[25:26]
	s_waitcnt vmcnt(56)
	v_fma_f64 v[21:22], v[1:2], v[15:16], -v[21:22]
	ds_read_b128 v[9:12], v86 offset:1008
	v_fma_f64 v[15:16], v[3:4], v[15:16], v[101:102]
	v_add_f64 v[17:18], v[81:82], v[17:18]
	v_add_f64 v[13:14], v[13:14], v[23:24]
	s_clause 0x2
	buffer_load_dword v88, off, s[0:3], 0 offset:444
	buffer_load_dword v24, off, s[0:3], 0 offset:420
	buffer_load_dword v23, off, s[0:3], 0 offset:416
	s_waitcnt vmcnt(58) lgkmcnt(0)
	v_mul_f64 v[81:82], v[9:10], v[31:32]
	v_mul_f64 v[31:32], v[11:12], v[31:32]
	s_waitcnt vmcnt(56)
	v_fma_f64 v[25:26], v[5:6], v[33:34], -v[25:26]
	ds_read_b128 v[1:4], v86 offset:1024
	v_add_f64 v[17:18], v[17:18], v[21:22]
	v_fma_f64 v[21:22], v[7:8], v[33:34], v[107:108]
	v_add_f64 v[13:14], v[13:14], v[15:16]
	s_clause 0x4
	buffer_load_dword v16, off, s[0:3], 0 offset:460
	buffer_load_dword v33, off, s[0:3], 0 offset:472
	buffer_load_dword v101, off, s[0:3], 0 offset:464
	buffer_load_dword v15, off, s[0:3], 0 offset:456
	buffer_load_dword v107, off, s[0:3], 0 offset:436
	ds_read_b128 v[5:8], v86 offset:1040
	s_waitcnt vmcnt(57) lgkmcnt(1)
	v_mul_f64 v[102:103], v[1:2], v[35:36]
	v_mul_f64 v[35:36], v[3:4], v[35:36]
	s_waitcnt vmcnt(56)
	v_fma_f64 v[31:32], v[9:10], v[19:20], -v[31:32]
	v_fma_f64 v[19:20], v[11:12], v[19:20], v[81:82]
	v_add_f64 v[17:18], v[17:18], v[25:26]
	v_add_f64 v[13:14], v[13:14], v[21:22]
	s_clause 0x2
	buffer_load_dword v34, off, s[0:3], 0 offset:476
	buffer_load_dword v22, off, s[0:3], 0 offset:452
	;; [unrolled: 1-line block ×3, first 2 shown]
	s_waitcnt vmcnt(58) lgkmcnt(0)
	v_mul_f64 v[25:26], v[5:6], v[55:56]
	v_mul_f64 v[55:56], v[7:8], v[55:56]
	s_waitcnt vmcnt(56)
	v_fma_f64 v[35:36], v[1:2], v[57:58], -v[35:36]
	ds_read_b128 v[9:12], v86 offset:1056
	v_add_f64 v[17:18], v[17:18], v[31:32]
	v_fma_f64 v[31:32], v[3:4], v[57:58], v[102:103]
	v_add_f64 v[13:14], v[13:14], v[19:20]
	s_clause 0x4
	buffer_load_dword v20, off, s[0:3], 0 offset:492
	buffer_load_dword v57, off, s[0:3], 0 offset:504
	;; [unrolled: 1-line block ×5, first 2 shown]
	ds_read_b128 v[1:4], v86 offset:1072
	s_waitcnt vmcnt(57) lgkmcnt(1)
	v_mul_f64 v[108:109], v[9:10], v[59:60]
	v_mul_f64 v[59:60], v[11:12], v[59:60]
	s_waitcnt vmcnt(56)
	v_fma_f64 v[55:56], v[5:6], v[27:28], -v[55:56]
	v_fma_f64 v[25:26], v[7:8], v[27:28], v[25:26]
	s_clause 0x2
	buffer_load_dword v58, off, s[0:3], 0 offset:508
	buffer_load_dword v28, off, s[0:3], 0 offset:484
	;; [unrolled: 1-line block ×3, first 2 shown]
	ds_read_b128 v[5:8], v86 offset:1088
	v_add_f64 v[17:18], v[17:18], v[35:36]
	v_add_f64 v[13:14], v[13:14], v[31:32]
	s_waitcnt vmcnt(58) lgkmcnt(1)
	v_mul_f64 v[35:36], v[3:4], v[63:64]
	v_mul_f64 v[31:32], v[1:2], v[63:64]
	s_waitcnt vmcnt(56)
	v_fma_f64 v[59:60], v[9:10], v[65:66], -v[59:60]
	v_add_f64 v[17:18], v[17:18], v[55:56]
	v_fma_f64 v[55:56], v[11:12], v[65:66], v[108:109]
	v_add_f64 v[13:14], v[13:14], v[25:26]
	s_clause 0x4
	buffer_load_dword v26, off, s[0:3], 0 offset:524
	buffer_load_dword v63, off, s[0:3], 0 offset:536
	;; [unrolled: 1-line block ×5, first 2 shown]
	s_waitcnt vmcnt(57) lgkmcnt(0)
	v_mul_f64 v[108:109], v[5:6], v[67:68]
	v_mul_f64 v[66:67], v[7:8], v[67:68]
	s_waitcnt vmcnt(56)
	v_fma_f64 v[35:36], v[1:2], v[53:54], -v[35:36]
	ds_read_b128 v[9:12], v86 offset:1104
	v_fma_f64 v[31:32], v[3:4], v[53:54], v[31:32]
	s_clause 0x2
	buffer_load_dword v64, off, s[0:3], 0 offset:540
	buffer_load_dword v54, off, s[0:3], 0 offset:516
	;; [unrolled: 1-line block ×3, first 2 shown]
	ds_read_b128 v[1:4], v86 offset:1120
	v_add_f64 v[17:18], v[17:18], v[59:60]
	v_add_f64 v[13:14], v[13:14], v[55:56]
	s_waitcnt vmcnt(58) lgkmcnt(1)
	v_mul_f64 v[59:60], v[11:12], v[71:72]
	s_waitcnt vmcnt(56)
	v_fma_f64 v[67:68], v[5:6], v[73:74], -v[66:67]
	v_mul_f64 v[55:56], v[9:10], v[71:72]
	v_add_f64 v[17:18], v[17:18], v[35:36]
	v_fma_f64 v[35:36], v[7:8], v[73:74], v[108:109]
	v_add_f64 v[13:14], v[13:14], v[31:32]
	s_clause 0x4
	buffer_load_dword v32, off, s[0:3], 0 offset:556
	buffer_load_dword v71, off, s[0:3], 0 offset:568
	;; [unrolled: 1-line block ×5, first 2 shown]
	s_waitcnt vmcnt(57) lgkmcnt(0)
	v_mul_f64 v[108:109], v[1:2], v[75:76]
	v_mul_f64 v[74:75], v[3:4], v[75:76]
	s_waitcnt vmcnt(56)
	v_fma_f64 v[59:60], v[9:10], v[61:62], -v[59:60]
	ds_read_b128 v[5:8], v86 offset:1136
	v_fma_f64 v[55:56], v[11:12], v[61:62], v[55:56]
	v_add_f64 v[17:18], v[17:18], v[67:68]
	v_add_f64 v[13:14], v[13:14], v[35:36]
	s_clause 0x2
	buffer_load_dword v72, off, s[0:3], 0 offset:572
	buffer_load_dword v36, off, s[0:3], 0 offset:548
	;; [unrolled: 1-line block ×3, first 2 shown]
	ds_read_b128 v[9:12], v86 offset:1152
	s_waitcnt vmcnt(58) lgkmcnt(1)
	v_mul_f64 v[67:68], v[7:8], v[77:78]
	s_waitcnt vmcnt(56)
	v_fma_f64 v[75:76], v[1:2], v[79:80], -v[74:75]
	v_mul_f64 v[61:62], v[5:6], v[77:78]
	v_add_f64 v[17:18], v[17:18], v[59:60]
	v_fma_f64 v[59:60], v[3:4], v[79:80], v[108:109]
	v_add_f64 v[13:14], v[13:14], v[55:56]
	s_clause 0x4
	buffer_load_dword v56, off, s[0:3], 0 offset:588
	buffer_load_dword v77, off, s[0:3], 0 offset:600
	;; [unrolled: 1-line block ×5, first 2 shown]
	s_waitcnt vmcnt(57) lgkmcnt(0)
	v_mul_f64 v[108:109], v[9:10], v[93:94]
	v_mul_f64 v[93:94], v[11:12], v[93:94]
	s_waitcnt vmcnt(56)
	v_fma_f64 v[67:68], v[5:6], v[69:70], -v[67:68]
	ds_read_b128 v[1:4], v86 offset:1168
	v_fma_f64 v[61:62], v[7:8], v[69:70], v[61:62]
	v_add_f64 v[17:18], v[17:18], v[75:76]
	v_add_f64 v[13:14], v[13:14], v[59:60]
	s_clause 0x2
	buffer_load_dword v78, off, s[0:3], 0 offset:604
	buffer_load_dword v60, off, s[0:3], 0 offset:580
	;; [unrolled: 1-line block ×3, first 2 shown]
	ds_read_b128 v[5:8], v86 offset:1184
	s_waitcnt vmcnt(58) lgkmcnt(1)
	v_mul_f64 v[75:76], v[3:4], v[95:96]
	v_mul_f64 v[69:70], v[1:2], v[95:96]
	s_waitcnt vmcnt(56)
	v_fma_f64 v[93:94], v[9:10], v[83:84], -v[93:94]
	v_add_f64 v[17:18], v[17:18], v[67:68]
	v_fma_f64 v[67:68], v[11:12], v[83:84], v[108:109]
	v_add_f64 v[13:14], v[13:14], v[61:62]
	s_clause 0x4
	buffer_load_dword v62, off, s[0:3], 0 offset:620
	buffer_load_dword v83, off, s[0:3], 0 offset:632
	;; [unrolled: 1-line block ×5, first 2 shown]
	ds_read_b128 v[9:12], v86 offset:1200
	s_waitcnt vmcnt(57) lgkmcnt(1)
	v_mul_f64 v[108:109], v[5:6], v[91:92]
	v_mul_f64 v[91:92], v[7:8], v[91:92]
	s_waitcnt vmcnt(56)
	v_fma_f64 v[75:76], v[1:2], v[97:98], -v[75:76]
	v_fma_f64 v[69:70], v[3:4], v[97:98], v[69:70]
	v_add_f64 v[17:18], v[17:18], v[93:94]
	v_add_f64 v[13:14], v[13:14], v[67:68]
	s_clause 0x2
	buffer_load_dword v84, off, s[0:3], 0 offset:636
	buffer_load_dword v68, off, s[0:3], 0 offset:612
	;; [unrolled: 1-line block ×3, first 2 shown]
	s_waitcnt vmcnt(58) lgkmcnt(0)
	v_mul_f64 v[97:98], v[11:12], v[99:100]
	ds_read_b128 v[1:4], v86 offset:1216
	v_mul_f64 v[93:94], v[9:10], v[99:100]
	s_waitcnt vmcnt(56)
	v_fma_f64 v[91:92], v[5:6], v[89:90], -v[91:92]
	v_add_f64 v[17:18], v[17:18], v[75:76]
	v_fma_f64 v[75:76], v[7:8], v[89:90], v[108:109]
	v_add_f64 v[13:14], v[13:14], v[69:70]
	s_clause 0x4
	buffer_load_dword v70, off, s[0:3], 0 offset:652
	buffer_load_dword v89, off, s[0:3], 0 offset:664
	;; [unrolled: 1-line block ×5, first 2 shown]
	ds_read_b128 v[5:8], v86 offset:1232
	s_waitcnt vmcnt(57) lgkmcnt(1)
	v_mul_f64 v[108:109], v[1:2], v[29:30]
	v_mul_f64 v[29:30], v[3:4], v[29:30]
	s_waitcnt vmcnt(56)
	v_fma_f64 v[97:98], v[9:10], v[104:105], -v[97:98]
	v_add_f64 v[17:18], v[17:18], v[91:92]
	v_fma_f64 v[91:92], v[11:12], v[104:105], v[93:94]
	v_add_f64 v[13:14], v[13:14], v[75:76]
	s_clause 0x2
	buffer_load_dword v90, off, s[0:3], 0 offset:668
	buffer_load_dword v76, off, s[0:3], 0 offset:644
	;; [unrolled: 1-line block ×3, first 2 shown]
	ds_read_b128 v[9:12], v86 offset:1248
	s_waitcnt vmcnt(58) lgkmcnt(1)
	v_mul_f64 v[93:94], v[5:6], v[87:88]
	v_mul_f64 v[87:88], v[7:8], v[87:88]
	s_waitcnt vmcnt(56)
	v_fma_f64 v[29:30], v[1:2], v[23:24], -v[29:30]
	v_fma_f64 v[23:24], v[3:4], v[23:24], v[108:109]
	v_add_f64 v[17:18], v[17:18], v[97:98]
	v_add_f64 v[13:14], v[13:14], v[91:92]
	s_clause 0x4
	buffer_load_dword v92, off, s[0:3], 0 offset:684
	buffer_load_dword v97, off, s[0:3], 0 offset:696
	;; [unrolled: 1-line block ×5, first 2 shown]
	ds_read_b128 v[1:4], v86 offset:1264
	s_waitcnt vmcnt(57) lgkmcnt(1)
	v_mul_f64 v[104:105], v[9:10], v[15:16]
	v_mul_f64 v[15:16], v[11:12], v[15:16]
	s_waitcnt vmcnt(56)
	v_fma_f64 v[87:88], v[5:6], v[106:107], -v[87:88]
	v_add_f64 v[17:18], v[17:18], v[29:30]
	v_fma_f64 v[29:30], v[7:8], v[106:107], v[93:94]
	v_add_f64 v[13:14], v[13:14], v[23:24]
	s_clause 0x2
	buffer_load_dword v98, off, s[0:3], 0 offset:700
	buffer_load_dword v24, off, s[0:3], 0 offset:676
	;; [unrolled: 1-line block ×3, first 2 shown]
	ds_read_b128 v[5:8], v86 offset:1280
	s_waitcnt vmcnt(58) lgkmcnt(1)
	v_mul_f64 v[93:94], v[1:2], v[33:34]
	v_mul_f64 v[33:34], v[3:4], v[33:34]
	s_waitcnt vmcnt(56)
	v_fma_f64 v[15:16], v[9:10], v[21:22], -v[15:16]
	v_fma_f64 v[21:22], v[11:12], v[21:22], v[104:105]
	v_add_f64 v[17:18], v[17:18], v[87:88]
	v_add_f64 v[13:14], v[13:14], v[29:30]
	s_clause 0x4
	buffer_load_dword v30, off, s[0:3], 0 offset:716
	buffer_load_dword v87, off, s[0:3], 0 offset:728
	;; [unrolled: 1-line block ×5, first 2 shown]
	ds_read_b128 v[9:12], v86 offset:1296
	s_waitcnt vmcnt(57) lgkmcnt(1)
	v_mul_f64 v[106:107], v[5:6], v[19:20]
	v_mul_f64 v[19:20], v[7:8], v[19:20]
	s_waitcnt vmcnt(56)
	v_fma_f64 v[33:34], v[1:2], v[101:102], -v[33:34]
	v_add_f64 v[15:16], v[17:18], v[15:16]
	v_fma_f64 v[17:18], v[3:4], v[101:102], v[93:94]
	v_add_f64 v[13:14], v[13:14], v[21:22]
	s_clause 0x2
	buffer_load_dword v88, off, s[0:3], 0 offset:732
	buffer_load_dword v22, off, s[0:3], 0 offset:708
	;; [unrolled: 1-line block ×3, first 2 shown]
	s_waitcnt vmcnt(58) lgkmcnt(0)
	v_mul_f64 v[93:94], v[9:10], v[57:58]
	v_mul_f64 v[57:58], v[11:12], v[57:58]
	ds_read_b128 v[1:4], v86 offset:1312
	s_waitcnt vmcnt(56)
	v_fma_f64 v[19:20], v[5:6], v[27:28], -v[19:20]
	v_fma_f64 v[27:28], v[7:8], v[27:28], v[106:107]
	v_add_f64 v[15:16], v[15:16], v[33:34]
	v_add_f64 v[13:14], v[13:14], v[17:18]
	s_clause 0x4
	buffer_load_dword v18, off, s[0:3], 0 offset:748
	buffer_load_dword v33, off, s[0:3], 0 offset:760
	;; [unrolled: 1-line block ×5, first 2 shown]
	ds_read_b128 v[5:8], v86 offset:1328
	s_waitcnt vmcnt(57) lgkmcnt(1)
	v_mul_f64 v[107:108], v[1:2], v[25:26]
	v_mul_f64 v[25:26], v[3:4], v[25:26]
	s_waitcnt vmcnt(56)
	v_fma_f64 v[57:58], v[9:10], v[81:82], -v[57:58]
	v_add_f64 v[15:16], v[15:16], v[19:20]
	v_fma_f64 v[19:20], v[11:12], v[81:82], v[93:94]
	v_add_f64 v[13:14], v[13:14], v[27:28]
	s_clause 0x2
	buffer_load_dword v34, off, s[0:3], 0 offset:764
	buffer_load_dword v28, off, s[0:3], 0 offset:740
	;; [unrolled: 1-line block ×3, first 2 shown]
	s_waitcnt vmcnt(58) lgkmcnt(0)
	v_mul_f64 v[81:82], v[5:6], v[63:64]
	v_mul_f64 v[63:64], v[7:8], v[63:64]
	ds_read_b128 v[9:12], v86 offset:1344
	s_waitcnt vmcnt(56)
	v_fma_f64 v[25:26], v[1:2], v[53:54], -v[25:26]
	v_fma_f64 v[53:54], v[3:4], v[53:54], v[107:108]
	v_add_f64 v[15:16], v[15:16], v[57:58]
	v_add_f64 v[13:14], v[13:14], v[19:20]
	s_clause 0x4
	buffer_load_dword v20, off, s[0:3], 0 offset:780
	buffer_load_dword v57, off, s[0:3], 0 offset:792
	;; [unrolled: 1-line block ×5, first 2 shown]
	ds_read_b128 v[1:4], v86 offset:1360
	s_waitcnt vmcnt(57) lgkmcnt(1)
	v_mul_f64 v[107:108], v[9:10], v[31:32]
	v_mul_f64 v[31:32], v[11:12], v[31:32]
	s_waitcnt vmcnt(56)
	v_fma_f64 v[63:64], v[5:6], v[65:66], -v[63:64]
	v_add_f64 v[15:16], v[15:16], v[25:26]
	v_fma_f64 v[25:26], v[7:8], v[65:66], v[81:82]
	v_add_f64 v[13:14], v[13:14], v[53:54]
	s_clause 0x2
	buffer_load_dword v58, off, s[0:3], 0 offset:796
	buffer_load_dword v54, off, s[0:3], 0 offset:772
	;; [unrolled: 1-line block ×3, first 2 shown]
	ds_read_b128 v[5:8], v86 offset:1376
	s_waitcnt vmcnt(58) lgkmcnt(1)
	v_mul_f64 v[65:66], v[1:2], v[71:72]
	v_mul_f64 v[71:72], v[3:4], v[71:72]
	s_waitcnt vmcnt(56)
	v_fma_f64 v[31:32], v[9:10], v[35:36], -v[31:32]
	v_fma_f64 v[35:36], v[11:12], v[35:36], v[107:108]
	v_add_f64 v[15:16], v[15:16], v[63:64]
	v_add_f64 v[13:14], v[13:14], v[25:26]
	s_clause 0x4
	buffer_load_dword v26, off, s[0:3], 0 offset:812
	buffer_load_dword v63, off, s[0:3], 0 offset:824
	;; [unrolled: 1-line block ×5, first 2 shown]
	ds_read_b128 v[9:12], v86 offset:1392
	s_waitcnt vmcnt(57) lgkmcnt(1)
	v_mul_f64 v[107:108], v[5:6], v[55:56]
	v_mul_f64 v[55:56], v[7:8], v[55:56]
	s_waitcnt vmcnt(56)
	v_fma_f64 v[71:72], v[1:2], v[73:74], -v[71:72]
	v_add_f64 v[15:16], v[15:16], v[31:32]
	v_fma_f64 v[31:32], v[3:4], v[73:74], v[65:66]
	v_add_f64 v[13:14], v[13:14], v[35:36]
	s_clause 0x2
	buffer_load_dword v64, off, s[0:3], 0 offset:828
	buffer_load_dword v36, off, s[0:3], 0 offset:804
	;; [unrolled: 1-line block ×3, first 2 shown]
	ds_read_b128 v[1:4], v86 offset:1408
	buffer_load_dword v82, off, s[0:3], 0 offset:820
	s_waitcnt vmcnt(59) lgkmcnt(1)
	v_mul_f64 v[73:74], v[11:12], v[77:78]
	v_mul_f64 v[65:66], v[9:10], v[77:78]
	s_waitcnt vmcnt(57)
	v_fma_f64 v[55:56], v[5:6], v[59:60], -v[55:56]
	v_fma_f64 v[59:60], v[7:8], v[59:60], v[107:108]
	ds_read_b128 v[5:8], v86 offset:1424
	v_add_f64 v[15:16], v[15:16], v[71:72]
	v_add_f64 v[13:14], v[13:14], v[31:32]
	s_waitcnt vmcnt(53) lgkmcnt(1)
	v_mul_f64 v[31:32], v[1:2], v[61:62]
	v_mul_f64 v[61:62], v[3:4], v[61:62]
	s_waitcnt vmcnt(52)
	v_fma_f64 v[71:72], v[9:10], v[79:80], -v[73:74]
	v_add_f64 v[15:16], v[15:16], v[55:56]
	v_fma_f64 v[55:56], v[11:12], v[79:80], v[65:66]
	v_add_f64 v[13:14], v[13:14], v[59:60]
	ds_read_b128 v[9:12], v86 offset:1440
	s_waitcnt vmcnt(51) lgkmcnt(1)
	v_mul_f64 v[65:66], v[7:8], v[83:84]
	v_mul_f64 v[59:60], v[5:6], v[83:84]
	s_waitcnt vmcnt(49)
	v_fma_f64 v[61:62], v[1:2], v[67:68], -v[61:62]
	v_fma_f64 v[31:32], v[3:4], v[67:68], v[31:32]
	v_add_f64 v[15:16], v[15:16], v[71:72]
	v_add_f64 v[13:14], v[13:14], v[55:56]
	s_clause 0x3
	buffer_load_dword v55, off, s[0:3], 0 offset:96
	buffer_load_dword v56, off, s[0:3], 0 offset:100
	;; [unrolled: 1-line block ×4, first 2 shown]
	ds_read_b128 v[1:4], v86 offset:1456
	s_waitcnt vmcnt(49) lgkmcnt(1)
	v_mul_f64 v[71:72], v[9:10], v[69:70]
	v_mul_f64 v[69:70], v[11:12], v[69:70]
	s_waitcnt vmcnt(48)
	v_fma_f64 v[65:66], v[5:6], v[95:96], -v[65:66]
	v_fma_f64 v[59:60], v[7:8], v[95:96], v[59:60]
	ds_read_b128 v[5:8], v86 offset:1472
	v_add_f64 v[15:16], v[15:16], v[61:62]
	v_add_f64 v[13:14], v[13:14], v[31:32]
	s_waitcnt vmcnt(47) lgkmcnt(1)
	v_mul_f64 v[61:62], v[3:4], v[89:90]
	v_mul_f64 v[31:32], v[1:2], v[89:90]
	s_waitcnt vmcnt(45)
	v_fma_f64 v[69:70], v[9:10], v[75:76], -v[69:70]
	v_add_f64 v[15:16], v[15:16], v[65:66]
	v_fma_f64 v[65:66], v[11:12], v[75:76], v[71:72]
	v_add_f64 v[13:14], v[13:14], v[59:60]
	ds_read_b128 v[9:12], v86 offset:1488
	s_waitcnt vmcnt(41) lgkmcnt(1)
	v_mul_f64 v[71:72], v[7:8], v[91:92]
	s_waitcnt vmcnt(40)
	v_fma_f64 v[61:62], v[1:2], v[99:100], -v[61:62]
	v_mul_f64 v[59:60], v[5:6], v[91:92]
	v_fma_f64 v[31:32], v[3:4], v[99:100], v[31:32]
	ds_read_b128 v[1:4], v86 offset:1504
	v_add_f64 v[15:16], v[15:16], v[69:70]
	v_add_f64 v[13:14], v[13:14], v[65:66]
	s_waitcnt vmcnt(39) lgkmcnt(1)
	v_mul_f64 v[69:70], v[11:12], v[97:98]
	v_mul_f64 v[65:66], v[9:10], v[97:98]
	s_waitcnt vmcnt(37)
	v_fma_f64 v[71:72], v[5:6], v[23:24], -v[71:72]
	v_fma_f64 v[23:24], v[7:8], v[23:24], v[59:60]
	ds_read_b128 v[5:8], v86 offset:1520
	v_add_f64 v[15:16], v[15:16], v[61:62]
	v_add_f64 v[13:14], v[13:14], v[31:32]
	s_waitcnt vmcnt(33) lgkmcnt(1)
	v_mul_f64 v[31:32], v[1:2], v[29:30]
	v_mul_f64 v[29:30], v[3:4], v[29:30]
	s_waitcnt vmcnt(32)
	v_fma_f64 v[59:60], v[9:10], v[103:104], -v[69:70]
	v_fma_f64 v[61:62], v[11:12], v[103:104], v[65:66]
	ds_read_b128 v[9:12], v86 offset:1536
	v_add_f64 v[15:16], v[15:16], v[71:72]
	v_add_f64 v[13:14], v[13:14], v[23:24]
	s_waitcnt vmcnt(31) lgkmcnt(1)
	v_mul_f64 v[65:66], v[7:8], v[87:88]
	v_mul_f64 v[23:24], v[5:6], v[87:88]
	s_waitcnt vmcnt(29)
	v_fma_f64 v[29:30], v[1:2], v[21:22], -v[29:30]
	v_fma_f64 v[21:22], v[3:4], v[21:22], v[31:32]
	ds_read_b128 v[1:4], v86 offset:1552
	v_add_f64 v[15:16], v[15:16], v[59:60]
	v_add_f64 v[13:14], v[13:14], v[61:62]
	s_waitcnt vmcnt(25) lgkmcnt(1)
	v_mul_f64 v[31:32], v[9:10], v[17:18]
	v_mul_f64 v[17:18], v[11:12], v[17:18]
	s_waitcnt vmcnt(24)
	v_fma_f64 v[59:60], v[5:6], v[105:106], -v[65:66]
	v_fma_f64 v[23:24], v[7:8], v[105:106], v[23:24]
	ds_read_b128 v[5:8], v86 offset:1568
	v_add_f64 v[15:16], v[15:16], v[29:30]
	v_add_f64 v[13:14], v[13:14], v[21:22]
	s_waitcnt vmcnt(23) lgkmcnt(1)
	v_mul_f64 v[29:30], v[3:4], v[33:34]
	v_mul_f64 v[21:22], v[1:2], v[33:34]
	s_waitcnt vmcnt(21)
	v_fma_f64 v[17:18], v[9:10], v[27:28], -v[17:18]
	v_fma_f64 v[27:28], v[11:12], v[27:28], v[31:32]
	ds_read_b128 v[9:12], v86 offset:1584
	v_add_f64 v[15:16], v[15:16], v[59:60]
	v_add_f64 v[13:14], v[13:14], v[23:24]
	s_waitcnt vmcnt(17) lgkmcnt(1)
	v_mul_f64 v[23:24], v[5:6], v[19:20]
	v_mul_f64 v[19:20], v[7:8], v[19:20]
	s_waitcnt vmcnt(16)
	v_fma_f64 v[29:30], v[1:2], v[101:102], -v[29:30]
	v_add_f64 v[15:16], v[15:16], v[17:18]
	v_fma_f64 v[17:18], v[3:4], v[101:102], v[21:22]
	v_add_f64 v[13:14], v[13:14], v[27:28]
	ds_read_b128 v[1:4], v86 offset:1600
	s_waitcnt vmcnt(15) lgkmcnt(1)
	v_mul_f64 v[27:28], v[11:12], v[57:58]
	v_mul_f64 v[21:22], v[9:10], v[57:58]
	s_waitcnt vmcnt(13)
	v_fma_f64 v[19:20], v[5:6], v[53:54], -v[19:20]
	v_fma_f64 v[23:24], v[7:8], v[53:54], v[23:24]
	ds_read_b128 v[5:8], v86 offset:1616
	v_add_f64 v[15:16], v[15:16], v[29:30]
	v_add_f64 v[13:14], v[13:14], v[17:18]
	s_waitcnt vmcnt(9) lgkmcnt(1)
	v_mul_f64 v[17:18], v[1:2], v[25:26]
	v_mul_f64 v[25:26], v[3:4], v[25:26]
	s_waitcnt vmcnt(8)
	v_fma_f64 v[9:10], v[9:10], v[93:94], -v[27:28]
	v_fma_f64 v[11:12], v[11:12], v[93:94], v[21:22]
	v_add_f64 v[15:16], v[15:16], v[19:20]
	v_add_f64 v[13:14], v[13:14], v[23:24]
	s_waitcnt vmcnt(7) lgkmcnt(0)
	v_mul_f64 v[21:22], v[7:8], v[63:64]
	v_mul_f64 v[19:20], v[5:6], v[63:64]
	s_waitcnt vmcnt(5)
	v_fma_f64 v[1:2], v[1:2], v[35:36], -v[25:26]
	v_fma_f64 v[3:4], v[3:4], v[35:36], v[17:18]
	v_add_f64 v[9:10], v[15:16], v[9:10]
	v_add_f64 v[11:12], v[13:14], v[11:12]
	s_waitcnt vmcnt(4)
	v_fma_f64 v[5:6], v[5:6], v[81:82], -v[21:22]
	v_fma_f64 v[7:8], v[7:8], v[81:82], v[19:20]
	v_add_f64 v[1:2], v[9:10], v[1:2]
	v_add_f64 v[3:4], v[11:12], v[3:4]
	;; [unrolled: 1-line block ×4, first 2 shown]
	s_waitcnt vmcnt(2)
	v_add_f64 v[1:2], v[55:56], -v[1:2]
	s_waitcnt vmcnt(0)
	v_add_f64 v[3:4], v[67:68], -v[3:4]
	buffer_store_dword v2, off, s[0:3], 0 offset:100
	buffer_store_dword v1, off, s[0:3], 0 offset:96
	;; [unrolled: 1-line block ×4, first 2 shown]
	v_cmpx_lt_u32_e32 4, v0
	s_cbranch_execz .LBB50_311
; %bb.310:
	v_mov_b32_e32 v4, s59
	s_clause 0x3
	buffer_load_dword v1, v4, s[0:3], 0 offen
	buffer_load_dword v2, v4, s[0:3], 0 offen offset:4
	buffer_load_dword v3, v4, s[0:3], 0 offen offset:8
	;; [unrolled: 1-line block ×3, first 2 shown]
	buffer_store_dword v86, off, s[0:3], 0 offset:80
	buffer_store_dword v86, off, s[0:3], 0 offset:84
	;; [unrolled: 1-line block ×4, first 2 shown]
	s_waitcnt vmcnt(0)
	ds_write_b128 v85, v[1:4]
.LBB50_311:
	s_or_b32 exec_lo, exec_lo, s4
	s_waitcnt lgkmcnt(0)
	s_waitcnt_vscnt null, 0x0
	s_barrier
	buffer_gl0_inv
	s_clause 0x37
	buffer_load_dword v17, off, s[0:3], 0 offset:104
	buffer_load_dword v18, off, s[0:3], 0 offset:108
	;; [unrolled: 1-line block ×56, first 2 shown]
	ds_read_b128 v[5:8], v86 offset:896
	s_clause 0x2
	buffer_load_dword v82, off, s[0:3], 0 offset:332
	buffer_load_dword v84, off, s[0:3], 0 offset:308
	;; [unrolled: 1-line block ×3, first 2 shown]
	ds_read_b128 v[1:4], v86 offset:912
	s_clause 0x4
	buffer_load_dword v94, off, s[0:3], 0 offset:348
	buffer_load_dword v95, off, s[0:3], 0 offset:360
	;; [unrolled: 1-line block ×5, first 2 shown]
	ds_read_b128 v[87:90], v86 offset:928
	s_mov_b32 s4, exec_lo
	s_waitcnt vmcnt(62) lgkmcnt(2)
	v_mul_f64 v[91:92], v[7:8], v[17:18]
	v_mul_f64 v[17:18], v[5:6], v[17:18]
	s_waitcnt vmcnt(60) lgkmcnt(1)
	v_mul_f64 v[98:99], v[3:4], v[13:14]
	v_mul_f64 v[13:14], v[1:2], v[13:14]
	s_waitcnt vmcnt(56) lgkmcnt(0)
	v_mul_f64 v[100:101], v[87:88], v[11:12]
	v_mul_f64 v[11:12], v[89:90], v[11:12]
	v_fma_f64 v[91:92], v[5:6], v[15:16], -v[91:92]
	v_fma_f64 v[15:16], v[7:8], v[15:16], v[17:18]
	s_clause 0x2
	buffer_load_dword v96, off, s[0:3], 0 offset:364
	buffer_load_dword v18, off, s[0:3], 0 offset:340
	;; [unrolled: 1-line block ×3, first 2 shown]
	s_waitcnt vmcnt(57)
	v_fma_f64 v[102:103], v[1:2], v[9:10], -v[98:99]
	ds_read_b128 v[5:8], v86 offset:944
	v_fma_f64 v[9:10], v[3:4], v[9:10], v[13:14]
	s_waitcnt vmcnt(51)
	v_fma_f64 v[87:88], v[87:88], v[33:34], -v[11:12]
	v_fma_f64 v[33:34], v[89:90], v[33:34], v[100:101]
	v_add_f64 v[91:92], v[91:92], 0
	v_add_f64 v[13:14], v[15:16], 0
	s_clause 0x4
	buffer_load_dword v16, off, s[0:3], 0 offset:380
	buffer_load_dword v99, off, s[0:3], 0 offset:392
	;; [unrolled: 1-line block ×5, first 2 shown]
	s_waitcnt lgkmcnt(0)
	v_mul_f64 v[105:106], v[5:6], v[21:22]
	v_mul_f64 v[21:22], v[7:8], v[21:22]
	ds_read_b128 v[1:4], v86 offset:960
	s_clause 0x2
	buffer_load_dword v100, off, s[0:3], 0 offset:396
	buffer_load_dword v90, off, s[0:3], 0 offset:372
	buffer_load_dword v89, off, s[0:3], 0 offset:368
	v_add_f64 v[91:92], v[91:92], v[102:103]
	v_add_f64 v[13:14], v[13:14], v[9:10]
	ds_read_b128 v[9:12], v86 offset:976
	s_waitcnt vmcnt(58) lgkmcnt(1)
	v_mul_f64 v[101:102], v[1:2], v[25:26]
	v_mul_f64 v[25:26], v[3:4], v[25:26]
	s_waitcnt vmcnt(56)
	v_fma_f64 v[21:22], v[5:6], v[27:28], -v[21:22]
	v_fma_f64 v[27:28], v[7:8], v[27:28], v[105:106]
	s_waitcnt vmcnt(52) lgkmcnt(0)
	v_mul_f64 v[107:108], v[9:10], v[29:30]
	v_add_f64 v[87:88], v[91:92], v[87:88]
	v_add_f64 v[13:14], v[13:14], v[33:34]
	s_clause 0x4
	buffer_load_dword v34, off, s[0:3], 0 offset:412
	buffer_load_dword v91, off, s[0:3], 0 offset:424
	;; [unrolled: 1-line block ×5, first 2 shown]
	v_mul_f64 v[29:30], v[11:12], v[29:30]
	s_waitcnt vmcnt(56)
	v_fma_f64 v[25:26], v[1:2], v[19:20], -v[25:26]
	ds_read_b128 v[5:8], v86 offset:992
	v_fma_f64 v[19:20], v[3:4], v[19:20], v[101:102]
	v_add_f64 v[21:22], v[87:88], v[21:22]
	v_add_f64 v[13:14], v[13:14], v[27:28]
	s_clause 0x2
	buffer_load_dword v92, off, s[0:3], 0 offset:428
	buffer_load_dword v28, off, s[0:3], 0 offset:404
	buffer_load_dword v27, off, s[0:3], 0 offset:400
	s_waitcnt vmcnt(58) lgkmcnt(0)
	v_mul_f64 v[87:88], v[5:6], v[35:36]
	v_mul_f64 v[35:36], v[7:8], v[35:36]
	s_waitcnt vmcnt(56)
	v_fma_f64 v[29:30], v[9:10], v[53:54], -v[29:30]
	ds_read_b128 v[1:4], v86 offset:1008
	v_add_f64 v[21:22], v[21:22], v[25:26]
	v_fma_f64 v[25:26], v[11:12], v[53:54], v[107:108]
	v_add_f64 v[13:14], v[13:14], v[19:20]
	s_clause 0x4
	buffer_load_dword v20, off, s[0:3], 0 offset:444
	buffer_load_dword v53, off, s[0:3], 0 offset:456
	;; [unrolled: 1-line block ×5, first 2 shown]
	s_waitcnt vmcnt(57) lgkmcnt(0)
	v_mul_f64 v[102:103], v[1:2], v[55:56]
	v_mul_f64 v[55:56], v[3:4], v[55:56]
	s_waitcnt vmcnt(56)
	v_fma_f64 v[35:36], v[5:6], v[23:24], -v[35:36]
	ds_read_b128 v[9:12], v86 offset:1024
	v_fma_f64 v[23:24], v[7:8], v[23:24], v[87:88]
	v_add_f64 v[21:22], v[21:22], v[29:30]
	v_add_f64 v[13:14], v[13:14], v[25:26]
	s_clause 0x2
	buffer_load_dword v54, off, s[0:3], 0 offset:460
	buffer_load_dword v26, off, s[0:3], 0 offset:436
	buffer_load_dword v25, off, s[0:3], 0 offset:432
	ds_read_b128 v[5:8], v86 offset:1040
	s_waitcnt vmcnt(58) lgkmcnt(1)
	v_mul_f64 v[29:30], v[9:10], v[59:60]
	v_mul_f64 v[59:60], v[11:12], v[59:60]
	s_waitcnt vmcnt(56)
	v_fma_f64 v[55:56], v[1:2], v[61:62], -v[55:56]
	v_add_f64 v[21:22], v[21:22], v[35:36]
	v_fma_f64 v[35:36], v[3:4], v[61:62], v[102:103]
	v_add_f64 v[13:14], v[13:14], v[23:24]
	s_clause 0x4
	buffer_load_dword v24, off, s[0:3], 0 offset:476
	buffer_load_dword v61, off, s[0:3], 0 offset:488
	;; [unrolled: 1-line block ×5, first 2 shown]
	s_waitcnt vmcnt(57) lgkmcnt(0)
	v_mul_f64 v[108:109], v[5:6], v[63:64]
	v_mul_f64 v[63:64], v[7:8], v[63:64]
	s_waitcnt vmcnt(56)
	v_fma_f64 v[59:60], v[9:10], v[31:32], -v[59:60]
	ds_read_b128 v[1:4], v86 offset:1056
	v_fma_f64 v[29:30], v[11:12], v[31:32], v[29:30]
	s_clause 0x2
	buffer_load_dword v62, off, s[0:3], 0 offset:492
	buffer_load_dword v32, off, s[0:3], 0 offset:468
	;; [unrolled: 1-line block ×3, first 2 shown]
	ds_read_b128 v[9:12], v86 offset:1072
	v_add_f64 v[21:22], v[21:22], v[55:56]
	v_add_f64 v[13:14], v[13:14], v[35:36]
	s_waitcnt vmcnt(58) lgkmcnt(1)
	v_mul_f64 v[55:56], v[3:4], v[67:68]
	s_waitcnt vmcnt(56)
	v_fma_f64 v[63:64], v[5:6], v[69:70], -v[63:64]
	v_mul_f64 v[35:36], v[1:2], v[67:68]
	v_add_f64 v[21:22], v[21:22], v[59:60]
	v_fma_f64 v[59:60], v[7:8], v[69:70], v[108:109]
	v_add_f64 v[13:14], v[13:14], v[29:30]
	s_clause 0x4
	buffer_load_dword v30, off, s[0:3], 0 offset:508
	buffer_load_dword v67, off, s[0:3], 0 offset:520
	;; [unrolled: 1-line block ×5, first 2 shown]
	s_waitcnt vmcnt(57) lgkmcnt(0)
	v_mul_f64 v[108:109], v[9:10], v[71:72]
	v_mul_f64 v[70:71], v[11:12], v[71:72]
	s_waitcnt vmcnt(56)
	v_fma_f64 v[55:56], v[1:2], v[57:58], -v[55:56]
	ds_read_b128 v[5:8], v86 offset:1088
	v_fma_f64 v[35:36], v[3:4], v[57:58], v[35:36]
	s_clause 0x2
	buffer_load_dword v68, off, s[0:3], 0 offset:524
	buffer_load_dword v58, off, s[0:3], 0 offset:500
	;; [unrolled: 1-line block ×3, first 2 shown]
	ds_read_b128 v[1:4], v86 offset:1104
	v_add_f64 v[21:22], v[21:22], v[63:64]
	v_add_f64 v[13:14], v[13:14], v[59:60]
	s_waitcnt vmcnt(58) lgkmcnt(1)
	v_mul_f64 v[63:64], v[7:8], v[75:76]
	s_waitcnt vmcnt(56)
	v_fma_f64 v[71:72], v[9:10], v[77:78], -v[70:71]
	v_mul_f64 v[59:60], v[5:6], v[75:76]
	v_add_f64 v[21:22], v[21:22], v[55:56]
	v_fma_f64 v[55:56], v[11:12], v[77:78], v[108:109]
	v_add_f64 v[13:14], v[13:14], v[35:36]
	s_clause 0x4
	buffer_load_dword v36, off, s[0:3], 0 offset:540
	buffer_load_dword v75, off, s[0:3], 0 offset:552
	;; [unrolled: 1-line block ×5, first 2 shown]
	s_waitcnt vmcnt(57) lgkmcnt(0)
	v_mul_f64 v[108:109], v[1:2], v[79:80]
	v_mul_f64 v[78:79], v[3:4], v[79:80]
	s_waitcnt vmcnt(56)
	v_fma_f64 v[63:64], v[5:6], v[65:66], -v[63:64]
	ds_read_b128 v[9:12], v86 offset:1120
	v_fma_f64 v[59:60], v[7:8], v[65:66], v[59:60]
	v_add_f64 v[21:22], v[21:22], v[71:72]
	v_add_f64 v[13:14], v[13:14], v[55:56]
	s_clause 0x2
	buffer_load_dword v76, off, s[0:3], 0 offset:556
	buffer_load_dword v56, off, s[0:3], 0 offset:532
	;; [unrolled: 1-line block ×3, first 2 shown]
	ds_read_b128 v[5:8], v86 offset:1136
	s_waitcnt vmcnt(58) lgkmcnt(1)
	v_mul_f64 v[71:72], v[11:12], v[81:82]
	s_waitcnt vmcnt(56)
	v_fma_f64 v[79:80], v[1:2], v[83:84], -v[78:79]
	v_mul_f64 v[65:66], v[9:10], v[81:82]
	v_add_f64 v[21:22], v[21:22], v[63:64]
	v_fma_f64 v[63:64], v[3:4], v[83:84], v[108:109]
	v_add_f64 v[13:14], v[13:14], v[59:60]
	s_clause 0x4
	buffer_load_dword v60, off, s[0:3], 0 offset:572
	buffer_load_dword v81, off, s[0:3], 0 offset:584
	;; [unrolled: 1-line block ×5, first 2 shown]
	s_waitcnt vmcnt(57) lgkmcnt(0)
	v_mul_f64 v[108:109], v[5:6], v[93:94]
	v_mul_f64 v[93:94], v[7:8], v[93:94]
	s_waitcnt vmcnt(56)
	v_fma_f64 v[71:72], v[9:10], v[73:74], -v[71:72]
	ds_read_b128 v[1:4], v86 offset:1152
	v_fma_f64 v[65:66], v[11:12], v[73:74], v[65:66]
	v_add_f64 v[21:22], v[21:22], v[79:80]
	v_add_f64 v[13:14], v[13:14], v[63:64]
	s_clause 0x2
	buffer_load_dword v82, off, s[0:3], 0 offset:588
	buffer_load_dword v64, off, s[0:3], 0 offset:564
	;; [unrolled: 1-line block ×3, first 2 shown]
	ds_read_b128 v[9:12], v86 offset:1168
	s_waitcnt vmcnt(58) lgkmcnt(1)
	v_mul_f64 v[79:80], v[3:4], v[95:96]
	v_mul_f64 v[73:74], v[1:2], v[95:96]
	s_waitcnt vmcnt(56)
	v_fma_f64 v[93:94], v[5:6], v[17:18], -v[93:94]
	v_fma_f64 v[17:18], v[7:8], v[17:18], v[108:109]
	v_add_f64 v[21:22], v[21:22], v[71:72]
	v_add_f64 v[13:14], v[13:14], v[65:66]
	s_clause 0x4
	buffer_load_dword v66, off, s[0:3], 0 offset:604
	buffer_load_dword v71, off, s[0:3], 0 offset:616
	;; [unrolled: 1-line block ×5, first 2 shown]
	ds_read_b128 v[5:8], v86 offset:1184
	s_waitcnt vmcnt(57) lgkmcnt(1)
	v_mul_f64 v[108:109], v[9:10], v[15:16]
	v_mul_f64 v[15:16], v[11:12], v[15:16]
	s_waitcnt vmcnt(56)
	v_fma_f64 v[79:80], v[1:2], v[97:98], -v[79:80]
	v_fma_f64 v[73:74], v[3:4], v[97:98], v[73:74]
	v_add_f64 v[21:22], v[21:22], v[93:94]
	v_add_f64 v[13:14], v[13:14], v[17:18]
	s_clause 0x2
	buffer_load_dword v72, off, s[0:3], 0 offset:620
	buffer_load_dword v18, off, s[0:3], 0 offset:596
	;; [unrolled: 1-line block ×3, first 2 shown]
	s_waitcnt vmcnt(58) lgkmcnt(0)
	v_mul_f64 v[97:98], v[7:8], v[99:100]
	ds_read_b128 v[1:4], v86 offset:1200
	v_mul_f64 v[93:94], v[5:6], v[99:100]
	s_waitcnt vmcnt(56)
	v_fma_f64 v[15:16], v[9:10], v[89:90], -v[15:16]
	v_add_f64 v[21:22], v[21:22], v[79:80]
	v_fma_f64 v[79:80], v[11:12], v[89:90], v[108:109]
	v_add_f64 v[13:14], v[13:14], v[73:74]
	s_clause 0x4
	buffer_load_dword v74, off, s[0:3], 0 offset:636
	buffer_load_dword v89, off, s[0:3], 0 offset:648
	;; [unrolled: 1-line block ×5, first 2 shown]
	ds_read_b128 v[9:12], v86 offset:1216
	s_waitcnt vmcnt(57) lgkmcnt(1)
	v_mul_f64 v[108:109], v[1:2], v[33:34]
	v_mul_f64 v[33:34], v[3:4], v[33:34]
	s_waitcnt vmcnt(56)
	v_fma_f64 v[97:98], v[5:6], v[104:105], -v[97:98]
	v_add_f64 v[15:16], v[21:22], v[15:16]
	v_fma_f64 v[21:22], v[7:8], v[104:105], v[93:94]
	v_add_f64 v[13:14], v[13:14], v[79:80]
	s_clause 0x2
	buffer_load_dword v90, off, s[0:3], 0 offset:652
	buffer_load_dword v80, off, s[0:3], 0 offset:628
	;; [unrolled: 1-line block ×3, first 2 shown]
	ds_read_b128 v[5:8], v86 offset:1232
	s_waitcnt vmcnt(58) lgkmcnt(1)
	v_mul_f64 v[93:94], v[9:10], v[91:92]
	v_mul_f64 v[91:92], v[11:12], v[91:92]
	s_waitcnt vmcnt(56)
	v_fma_f64 v[33:34], v[1:2], v[27:28], -v[33:34]
	v_fma_f64 v[27:28], v[3:4], v[27:28], v[108:109]
	v_add_f64 v[15:16], v[15:16], v[97:98]
	v_add_f64 v[13:14], v[13:14], v[21:22]
	s_clause 0x4
	buffer_load_dword v22, off, s[0:3], 0 offset:668
	buffer_load_dword v97, off, s[0:3], 0 offset:680
	buffer_load_dword v103, off, s[0:3], 0 offset:672
	buffer_load_dword v21, off, s[0:3], 0 offset:664
	buffer_load_dword v100, off, s[0:3], 0 offset:644
	ds_read_b128 v[1:4], v86 offset:1248
	s_waitcnt vmcnt(57) lgkmcnt(1)
	v_mul_f64 v[104:105], v[5:6], v[19:20]
	v_mul_f64 v[19:20], v[7:8], v[19:20]
	s_waitcnt vmcnt(56)
	v_fma_f64 v[91:92], v[9:10], v[106:107], -v[91:92]
	v_add_f64 v[15:16], v[15:16], v[33:34]
	v_fma_f64 v[33:34], v[11:12], v[106:107], v[93:94]
	v_add_f64 v[13:14], v[13:14], v[27:28]
	s_clause 0x2
	buffer_load_dword v98, off, s[0:3], 0 offset:684
	buffer_load_dword v28, off, s[0:3], 0 offset:660
	;; [unrolled: 1-line block ×3, first 2 shown]
	ds_read_b128 v[9:12], v86 offset:1264
	s_waitcnt vmcnt(58) lgkmcnt(1)
	v_mul_f64 v[93:94], v[1:2], v[53:54]
	v_mul_f64 v[53:54], v[3:4], v[53:54]
	s_waitcnt vmcnt(56)
	v_fma_f64 v[19:20], v[5:6], v[25:26], -v[19:20]
	v_fma_f64 v[25:26], v[7:8], v[25:26], v[104:105]
	v_add_f64 v[15:16], v[15:16], v[91:92]
	v_add_f64 v[13:14], v[13:14], v[33:34]
	s_clause 0x4
	buffer_load_dword v34, off, s[0:3], 0 offset:700
	buffer_load_dword v91, off, s[0:3], 0 offset:712
	;; [unrolled: 1-line block ×5, first 2 shown]
	ds_read_b128 v[5:8], v86 offset:1280
	s_waitcnt vmcnt(57) lgkmcnt(1)
	v_mul_f64 v[106:107], v[9:10], v[23:24]
	v_mul_f64 v[23:24], v[11:12], v[23:24]
	s_waitcnt vmcnt(56)
	v_fma_f64 v[53:54], v[1:2], v[101:102], -v[53:54]
	v_add_f64 v[15:16], v[15:16], v[19:20]
	v_fma_f64 v[19:20], v[3:4], v[101:102], v[93:94]
	v_add_f64 v[13:14], v[13:14], v[25:26]
	s_clause 0x2
	buffer_load_dword v92, off, s[0:3], 0 offset:716
	buffer_load_dword v26, off, s[0:3], 0 offset:692
	;; [unrolled: 1-line block ×3, first 2 shown]
	s_waitcnt vmcnt(58) lgkmcnt(0)
	v_mul_f64 v[93:94], v[5:6], v[61:62]
	v_mul_f64 v[61:62], v[7:8], v[61:62]
	ds_read_b128 v[1:4], v86 offset:1296
	s_waitcnt vmcnt(56)
	v_fma_f64 v[23:24], v[9:10], v[31:32], -v[23:24]
	v_fma_f64 v[31:32], v[11:12], v[31:32], v[106:107]
	v_add_f64 v[15:16], v[15:16], v[53:54]
	v_add_f64 v[13:14], v[13:14], v[19:20]
	s_clause 0x4
	buffer_load_dword v20, off, s[0:3], 0 offset:732
	buffer_load_dword v53, off, s[0:3], 0 offset:744
	;; [unrolled: 1-line block ×5, first 2 shown]
	ds_read_b128 v[9:12], v86 offset:1312
	s_waitcnt vmcnt(57) lgkmcnt(1)
	v_mul_f64 v[107:108], v[1:2], v[29:30]
	v_mul_f64 v[29:30], v[3:4], v[29:30]
	s_waitcnt vmcnt(56)
	v_fma_f64 v[61:62], v[5:6], v[87:88], -v[61:62]
	v_add_f64 v[15:16], v[15:16], v[23:24]
	v_fma_f64 v[23:24], v[7:8], v[87:88], v[93:94]
	v_add_f64 v[13:14], v[13:14], v[31:32]
	s_clause 0x2
	buffer_load_dword v54, off, s[0:3], 0 offset:748
	buffer_load_dword v32, off, s[0:3], 0 offset:724
	;; [unrolled: 1-line block ×3, first 2 shown]
	s_waitcnt vmcnt(58) lgkmcnt(0)
	v_mul_f64 v[87:88], v[9:10], v[67:68]
	v_mul_f64 v[67:68], v[11:12], v[67:68]
	ds_read_b128 v[5:8], v86 offset:1328
	s_waitcnt vmcnt(56)
	v_fma_f64 v[29:30], v[1:2], v[57:58], -v[29:30]
	v_fma_f64 v[57:58], v[3:4], v[57:58], v[107:108]
	v_add_f64 v[15:16], v[15:16], v[61:62]
	v_add_f64 v[13:14], v[13:14], v[23:24]
	s_clause 0x4
	buffer_load_dword v24, off, s[0:3], 0 offset:764
	buffer_load_dword v61, off, s[0:3], 0 offset:776
	;; [unrolled: 1-line block ×5, first 2 shown]
	ds_read_b128 v[1:4], v86 offset:1344
	s_waitcnt vmcnt(57) lgkmcnt(1)
	v_mul_f64 v[107:108], v[5:6], v[35:36]
	v_mul_f64 v[35:36], v[7:8], v[35:36]
	s_waitcnt vmcnt(56)
	v_fma_f64 v[67:68], v[9:10], v[69:70], -v[67:68]
	v_add_f64 v[15:16], v[15:16], v[29:30]
	v_fma_f64 v[29:30], v[11:12], v[69:70], v[87:88]
	v_add_f64 v[13:14], v[13:14], v[57:58]
	s_clause 0x2
	buffer_load_dword v62, off, s[0:3], 0 offset:780
	buffer_load_dword v58, off, s[0:3], 0 offset:756
	buffer_load_dword v57, off, s[0:3], 0 offset:752
	ds_read_b128 v[9:12], v86 offset:1360
	s_waitcnt vmcnt(58) lgkmcnt(1)
	v_mul_f64 v[69:70], v[1:2], v[75:76]
	v_mul_f64 v[75:76], v[3:4], v[75:76]
	s_waitcnt vmcnt(56)
	v_fma_f64 v[35:36], v[5:6], v[55:56], -v[35:36]
	v_fma_f64 v[55:56], v[7:8], v[55:56], v[107:108]
	v_add_f64 v[15:16], v[15:16], v[67:68]
	v_add_f64 v[13:14], v[13:14], v[29:30]
	s_clause 0x4
	buffer_load_dword v30, off, s[0:3], 0 offset:796
	buffer_load_dword v67, off, s[0:3], 0 offset:808
	;; [unrolled: 1-line block ×5, first 2 shown]
	ds_read_b128 v[5:8], v86 offset:1376
	s_waitcnt vmcnt(57) lgkmcnt(1)
	v_mul_f64 v[107:108], v[9:10], v[59:60]
	v_mul_f64 v[59:60], v[11:12], v[59:60]
	s_waitcnt vmcnt(56)
	v_fma_f64 v[75:76], v[1:2], v[77:78], -v[75:76]
	v_add_f64 v[15:16], v[15:16], v[35:36]
	v_fma_f64 v[35:36], v[3:4], v[77:78], v[69:70]
	v_add_f64 v[13:14], v[13:14], v[55:56]
	s_clause 0x2
	buffer_load_dword v68, off, s[0:3], 0 offset:812
	buffer_load_dword v56, off, s[0:3], 0 offset:788
	;; [unrolled: 1-line block ×3, first 2 shown]
	ds_read_b128 v[1:4], v86 offset:1392
	s_waitcnt vmcnt(58) lgkmcnt(1)
	v_mul_f64 v[77:78], v[7:8], v[81:82]
	v_mul_f64 v[69:70], v[5:6], v[81:82]
	s_waitcnt vmcnt(56)
	v_fma_f64 v[59:60], v[9:10], v[63:64], -v[59:60]
	v_fma_f64 v[63:64], v[11:12], v[63:64], v[107:108]
	v_add_f64 v[15:16], v[15:16], v[75:76]
	v_add_f64 v[13:14], v[13:14], v[35:36]
	s_clause 0x2
	buffer_load_dword v36, off, s[0:3], 0 offset:828
	buffer_load_dword v35, off, s[0:3], 0 offset:824
	;; [unrolled: 1-line block ×3, first 2 shown]
	ds_read_b128 v[9:12], v86 offset:1408
	s_waitcnt vmcnt(55) lgkmcnt(1)
	v_mul_f64 v[75:76], v[1:2], v[65:66]
	v_mul_f64 v[65:66], v[3:4], v[65:66]
	s_waitcnt vmcnt(54)
	v_fma_f64 v[77:78], v[5:6], v[83:84], -v[77:78]
	v_add_f64 v[15:16], v[15:16], v[59:60]
	v_fma_f64 v[59:60], v[7:8], v[83:84], v[69:70]
	v_add_f64 v[13:14], v[13:14], v[63:64]
	s_clause 0x1
	buffer_load_dword v64, off, s[0:3], 0 offset:820
	buffer_load_dword v63, off, s[0:3], 0 offset:816
	ds_read_b128 v[5:8], v86 offset:1424
	s_waitcnt vmcnt(55) lgkmcnt(1)
	v_mul_f64 v[69:70], v[9:10], v[71:72]
	v_mul_f64 v[71:72], v[11:12], v[71:72]
	s_waitcnt vmcnt(53)
	v_fma_f64 v[65:66], v[1:2], v[17:18], -v[65:66]
	v_fma_f64 v[17:18], v[3:4], v[17:18], v[75:76]
	ds_read_b128 v[1:4], v86 offset:1440
	v_add_f64 v[15:16], v[15:16], v[77:78]
	v_add_f64 v[13:14], v[13:14], v[59:60]
	s_waitcnt vmcnt(49) lgkmcnt(1)
	v_mul_f64 v[59:60], v[5:6], v[73:74]
	v_mul_f64 v[73:74], v[7:8], v[73:74]
	s_waitcnt vmcnt(48)
	v_fma_f64 v[71:72], v[9:10], v[95:96], -v[71:72]
	v_add_f64 v[15:16], v[15:16], v[65:66]
	v_fma_f64 v[65:66], v[11:12], v[95:96], v[69:70]
	v_add_f64 v[13:14], v[13:14], v[17:18]
	s_clause 0x3
	buffer_load_dword v17, off, s[0:3], 0 offset:80
	buffer_load_dword v18, off, s[0:3], 0 offset:84
	;; [unrolled: 1-line block ×4, first 2 shown]
	ds_read_b128 v[9:12], v86 offset:1456
	s_waitcnt vmcnt(51) lgkmcnt(1)
	v_mul_f64 v[77:78], v[3:4], v[89:90]
	v_mul_f64 v[75:76], v[1:2], v[89:90]
	s_waitcnt vmcnt(49)
	v_fma_f64 v[73:74], v[5:6], v[79:80], -v[73:74]
	v_fma_f64 v[59:60], v[7:8], v[79:80], v[59:60]
	ds_read_b128 v[5:8], v86 offset:1472
	v_add_f64 v[15:16], v[15:16], v[71:72]
	v_add_f64 v[13:14], v[13:14], v[65:66]
	s_waitcnt vmcnt(45) lgkmcnt(1)
	v_mul_f64 v[65:66], v[9:10], v[21:22]
	v_mul_f64 v[21:22], v[11:12], v[21:22]
	s_waitcnt vmcnt(44)
	v_fma_f64 v[71:72], v[1:2], v[99:100], -v[77:78]
	v_add_f64 v[15:16], v[15:16], v[73:74]
	v_fma_f64 v[73:74], v[3:4], v[99:100], v[75:76]
	v_add_f64 v[13:14], v[13:14], v[59:60]
	ds_read_b128 v[1:4], v86 offset:1488
	s_waitcnt vmcnt(43) lgkmcnt(1)
	v_mul_f64 v[75:76], v[7:8], v[97:98]
	v_mul_f64 v[59:60], v[5:6], v[97:98]
	s_waitcnt vmcnt(41)
	v_fma_f64 v[21:22], v[9:10], v[27:28], -v[21:22]
	v_fma_f64 v[27:28], v[11:12], v[27:28], v[65:66]
	ds_read_b128 v[9:12], v86 offset:1504
	v_add_f64 v[15:16], v[15:16], v[71:72]
	v_add_f64 v[13:14], v[13:14], v[73:74]
	s_waitcnt vmcnt(37) lgkmcnt(1)
	v_mul_f64 v[65:66], v[1:2], v[33:34]
	v_mul_f64 v[33:34], v[3:4], v[33:34]
	s_waitcnt vmcnt(36)
	v_fma_f64 v[71:72], v[5:6], v[103:104], -v[75:76]
	v_add_f64 v[15:16], v[15:16], v[21:22]
	v_fma_f64 v[21:22], v[7:8], v[103:104], v[59:60]
	v_add_f64 v[13:14], v[13:14], v[27:28]
	ds_read_b128 v[5:8], v86 offset:1520
	s_waitcnt vmcnt(35) lgkmcnt(1)
	v_mul_f64 v[59:60], v[11:12], v[91:92]
	v_mul_f64 v[27:28], v[9:10], v[91:92]
	s_waitcnt vmcnt(33)
	v_fma_f64 v[33:34], v[1:2], v[25:26], -v[33:34]
	v_fma_f64 v[25:26], v[3:4], v[25:26], v[65:66]
	ds_read_b128 v[1:4], v86 offset:1536
	v_add_f64 v[15:16], v[15:16], v[71:72]
	v_add_f64 v[13:14], v[13:14], v[21:22]
	s_waitcnt vmcnt(29) lgkmcnt(1)
	v_mul_f64 v[21:22], v[5:6], v[19:20]
	v_mul_f64 v[19:20], v[7:8], v[19:20]
	s_waitcnt vmcnt(28)
	v_fma_f64 v[59:60], v[9:10], v[105:106], -v[59:60]
	v_fma_f64 v[27:28], v[11:12], v[105:106], v[27:28]
	ds_read_b128 v[9:12], v86 offset:1552
	v_add_f64 v[15:16], v[15:16], v[33:34]
	v_add_f64 v[13:14], v[13:14], v[25:26]
	;; [unrolled: 9-line block ×3, first 2 shown]
	s_waitcnt vmcnt(21) lgkmcnt(1)
	v_mul_f64 v[27:28], v[9:10], v[23:24]
	v_mul_f64 v[23:24], v[11:12], v[23:24]
	s_waitcnt vmcnt(20)
	v_fma_f64 v[31:32], v[1:2], v[101:102], -v[33:34]
	v_add_f64 v[15:16], v[15:16], v[19:20]
	v_fma_f64 v[19:20], v[3:4], v[101:102], v[25:26]
	v_add_f64 v[13:14], v[13:14], v[21:22]
	ds_read_b128 v[1:4], v86 offset:1584
	s_waitcnt vmcnt(19) lgkmcnt(1)
	v_mul_f64 v[25:26], v[7:8], v[61:62]
	v_mul_f64 v[21:22], v[5:6], v[61:62]
	s_waitcnt vmcnt(17)
	v_fma_f64 v[23:24], v[9:10], v[57:58], -v[23:24]
	v_fma_f64 v[27:28], v[11:12], v[57:58], v[27:28]
	ds_read_b128 v[9:12], v86 offset:1600
	v_add_f64 v[15:16], v[15:16], v[31:32]
	v_add_f64 v[13:14], v[13:14], v[19:20]
	s_waitcnt vmcnt(13) lgkmcnt(1)
	v_mul_f64 v[19:20], v[1:2], v[29:30]
	v_mul_f64 v[29:30], v[3:4], v[29:30]
	s_waitcnt vmcnt(12)
	v_fma_f64 v[25:26], v[5:6], v[93:94], -v[25:26]
	v_fma_f64 v[21:22], v[7:8], v[93:94], v[21:22]
	ds_read_b128 v[5:8], v86 offset:1616
	v_add_f64 v[15:16], v[15:16], v[23:24]
	v_add_f64 v[13:14], v[13:14], v[27:28]
	s_waitcnt vmcnt(11) lgkmcnt(1)
	v_mul_f64 v[27:28], v[11:12], v[67:68]
	v_mul_f64 v[23:24], v[9:10], v[67:68]
	s_waitcnt vmcnt(9)
	v_fma_f64 v[1:2], v[1:2], v[55:56], -v[29:30]
	v_fma_f64 v[3:4], v[3:4], v[55:56], v[19:20]
	v_add_f64 v[15:16], v[15:16], v[25:26]
	v_add_f64 v[13:14], v[13:14], v[21:22]
	s_waitcnt vmcnt(7) lgkmcnt(0)
	v_mul_f64 v[21:22], v[7:8], v[35:36]
	s_waitcnt vmcnt(6)
	v_fma_f64 v[9:10], v[9:10], v[87:88], -v[27:28]
	v_mul_f64 v[19:20], v[5:6], v[35:36]
	v_fma_f64 v[11:12], v[11:12], v[87:88], v[23:24]
	v_add_f64 v[1:2], v[15:16], v[1:2]
	v_add_f64 v[3:4], v[13:14], v[3:4]
	s_waitcnt vmcnt(4)
	v_fma_f64 v[5:6], v[5:6], v[63:64], -v[21:22]
	v_fma_f64 v[7:8], v[7:8], v[63:64], v[19:20]
	v_add_f64 v[1:2], v[1:2], v[9:10]
	v_add_f64 v[3:4], v[3:4], v[11:12]
	;; [unrolled: 1-line block ×4, first 2 shown]
	s_waitcnt vmcnt(2)
	v_add_f64 v[1:2], v[17:18], -v[1:2]
	s_waitcnt vmcnt(0)
	v_add_f64 v[3:4], v[69:70], -v[3:4]
	buffer_store_dword v2, off, s[0:3], 0 offset:84
	buffer_store_dword v1, off, s[0:3], 0 offset:80
	;; [unrolled: 1-line block ×4, first 2 shown]
	v_cmpx_lt_u32_e32 3, v0
	s_cbranch_execz .LBB50_313
; %bb.312:
	v_mov_b32_e32 v4, s60
	v_mov_b32_e32 v5, 0
	s_clause 0x3
	buffer_load_dword v1, v4, s[0:3], 0 offen
	buffer_load_dword v2, v4, s[0:3], 0 offen offset:4
	buffer_load_dword v3, v4, s[0:3], 0 offen offset:8
	;; [unrolled: 1-line block ×3, first 2 shown]
	buffer_store_dword v5, off, s[0:3], 0 offset:64
	buffer_store_dword v5, off, s[0:3], 0 offset:68
	;; [unrolled: 1-line block ×4, first 2 shown]
	s_waitcnt vmcnt(0)
	ds_write_b128 v85, v[1:4]
.LBB50_313:
	s_or_b32 exec_lo, exec_lo, s4
	s_waitcnt lgkmcnt(0)
	s_waitcnt_vscnt null, 0x0
	s_barrier
	buffer_gl0_inv
	s_clause 0x37
	buffer_load_dword v17, off, s[0:3], 0 offset:88
	buffer_load_dword v18, off, s[0:3], 0 offset:92
	;; [unrolled: 1-line block ×56, first 2 shown]
	v_mov_b32_e32 v86, 0
	s_mov_b32 s4, exec_lo
	ds_read_b128 v[5:8], v86 offset:880
	s_clause 0x2
	buffer_load_dword v82, off, s[0:3], 0 offset:316
	buffer_load_dword v84, off, s[0:3], 0 offset:292
	;; [unrolled: 1-line block ×3, first 2 shown]
	ds_read_b128 v[1:4], v86 offset:896
	s_clause 0x4
	buffer_load_dword v94, off, s[0:3], 0 offset:332
	buffer_load_dword v95, off, s[0:3], 0 offset:344
	;; [unrolled: 1-line block ×5, first 2 shown]
	ds_read_b128 v[87:90], v86 offset:912
	s_waitcnt vmcnt(62) lgkmcnt(2)
	v_mul_f64 v[91:92], v[7:8], v[17:18]
	v_mul_f64 v[17:18], v[5:6], v[17:18]
	s_waitcnt vmcnt(60) lgkmcnt(1)
	v_mul_f64 v[98:99], v[3:4], v[13:14]
	v_mul_f64 v[13:14], v[1:2], v[13:14]
	;; [unrolled: 3-line block ×3, first 2 shown]
	v_fma_f64 v[91:92], v[5:6], v[15:16], -v[91:92]
	v_fma_f64 v[15:16], v[7:8], v[15:16], v[17:18]
	s_clause 0x2
	buffer_load_dword v96, off, s[0:3], 0 offset:348
	buffer_load_dword v18, off, s[0:3], 0 offset:324
	;; [unrolled: 1-line block ×3, first 2 shown]
	s_waitcnt vmcnt(57)
	v_fma_f64 v[102:103], v[1:2], v[9:10], -v[98:99]
	ds_read_b128 v[5:8], v86 offset:928
	v_fma_f64 v[9:10], v[3:4], v[9:10], v[13:14]
	s_waitcnt vmcnt(51)
	v_fma_f64 v[87:88], v[87:88], v[33:34], -v[11:12]
	v_fma_f64 v[33:34], v[89:90], v[33:34], v[100:101]
	v_add_f64 v[91:92], v[91:92], 0
	v_add_f64 v[13:14], v[15:16], 0
	s_clause 0x4
	buffer_load_dword v16, off, s[0:3], 0 offset:364
	buffer_load_dword v99, off, s[0:3], 0 offset:376
	;; [unrolled: 1-line block ×5, first 2 shown]
	s_waitcnt lgkmcnt(0)
	v_mul_f64 v[105:106], v[5:6], v[21:22]
	v_mul_f64 v[21:22], v[7:8], v[21:22]
	ds_read_b128 v[1:4], v86 offset:944
	s_clause 0x2
	buffer_load_dword v100, off, s[0:3], 0 offset:380
	buffer_load_dword v90, off, s[0:3], 0 offset:356
	buffer_load_dword v89, off, s[0:3], 0 offset:352
	v_add_f64 v[91:92], v[91:92], v[102:103]
	v_add_f64 v[13:14], v[13:14], v[9:10]
	ds_read_b128 v[9:12], v86 offset:960
	s_waitcnt vmcnt(58) lgkmcnt(1)
	v_mul_f64 v[101:102], v[1:2], v[25:26]
	v_mul_f64 v[25:26], v[3:4], v[25:26]
	s_waitcnt vmcnt(56)
	v_fma_f64 v[21:22], v[5:6], v[27:28], -v[21:22]
	v_fma_f64 v[27:28], v[7:8], v[27:28], v[105:106]
	s_waitcnt vmcnt(52) lgkmcnt(0)
	v_mul_f64 v[107:108], v[9:10], v[29:30]
	v_add_f64 v[87:88], v[91:92], v[87:88]
	v_add_f64 v[13:14], v[13:14], v[33:34]
	s_clause 0x4
	buffer_load_dword v34, off, s[0:3], 0 offset:396
	buffer_load_dword v91, off, s[0:3], 0 offset:408
	;; [unrolled: 1-line block ×5, first 2 shown]
	v_mul_f64 v[29:30], v[11:12], v[29:30]
	s_waitcnt vmcnt(56)
	v_fma_f64 v[25:26], v[1:2], v[19:20], -v[25:26]
	ds_read_b128 v[5:8], v86 offset:976
	v_fma_f64 v[19:20], v[3:4], v[19:20], v[101:102]
	v_add_f64 v[21:22], v[87:88], v[21:22]
	v_add_f64 v[13:14], v[13:14], v[27:28]
	s_clause 0x2
	buffer_load_dword v92, off, s[0:3], 0 offset:412
	buffer_load_dword v28, off, s[0:3], 0 offset:388
	;; [unrolled: 1-line block ×3, first 2 shown]
	s_waitcnt vmcnt(58) lgkmcnt(0)
	v_mul_f64 v[87:88], v[5:6], v[35:36]
	v_mul_f64 v[35:36], v[7:8], v[35:36]
	s_waitcnt vmcnt(56)
	v_fma_f64 v[29:30], v[9:10], v[53:54], -v[29:30]
	ds_read_b128 v[1:4], v86 offset:992
	v_add_f64 v[21:22], v[21:22], v[25:26]
	v_fma_f64 v[25:26], v[11:12], v[53:54], v[107:108]
	v_add_f64 v[13:14], v[13:14], v[19:20]
	s_clause 0x4
	buffer_load_dword v20, off, s[0:3], 0 offset:428
	buffer_load_dword v53, off, s[0:3], 0 offset:440
	;; [unrolled: 1-line block ×5, first 2 shown]
	s_waitcnt vmcnt(57) lgkmcnt(0)
	v_mul_f64 v[102:103], v[1:2], v[55:56]
	v_mul_f64 v[55:56], v[3:4], v[55:56]
	s_waitcnt vmcnt(56)
	v_fma_f64 v[35:36], v[5:6], v[23:24], -v[35:36]
	ds_read_b128 v[9:12], v86 offset:1008
	v_fma_f64 v[23:24], v[7:8], v[23:24], v[87:88]
	v_add_f64 v[21:22], v[21:22], v[29:30]
	v_add_f64 v[13:14], v[13:14], v[25:26]
	s_clause 0x2
	buffer_load_dword v54, off, s[0:3], 0 offset:444
	buffer_load_dword v26, off, s[0:3], 0 offset:420
	;; [unrolled: 1-line block ×3, first 2 shown]
	ds_read_b128 v[5:8], v86 offset:1024
	s_waitcnt vmcnt(58) lgkmcnt(1)
	v_mul_f64 v[29:30], v[9:10], v[59:60]
	v_mul_f64 v[59:60], v[11:12], v[59:60]
	s_waitcnt vmcnt(56)
	v_fma_f64 v[55:56], v[1:2], v[61:62], -v[55:56]
	v_add_f64 v[21:22], v[21:22], v[35:36]
	v_fma_f64 v[35:36], v[3:4], v[61:62], v[102:103]
	v_add_f64 v[13:14], v[13:14], v[23:24]
	s_clause 0x4
	buffer_load_dword v24, off, s[0:3], 0 offset:460
	buffer_load_dword v61, off, s[0:3], 0 offset:472
	;; [unrolled: 1-line block ×5, first 2 shown]
	s_waitcnt vmcnt(57) lgkmcnt(0)
	v_mul_f64 v[108:109], v[5:6], v[63:64]
	v_mul_f64 v[63:64], v[7:8], v[63:64]
	s_waitcnt vmcnt(56)
	v_fma_f64 v[59:60], v[9:10], v[31:32], -v[59:60]
	ds_read_b128 v[1:4], v86 offset:1040
	v_fma_f64 v[29:30], v[11:12], v[31:32], v[29:30]
	s_clause 0x2
	buffer_load_dword v62, off, s[0:3], 0 offset:476
	buffer_load_dword v32, off, s[0:3], 0 offset:452
	;; [unrolled: 1-line block ×3, first 2 shown]
	ds_read_b128 v[9:12], v86 offset:1056
	v_add_f64 v[21:22], v[21:22], v[55:56]
	v_add_f64 v[13:14], v[13:14], v[35:36]
	s_waitcnt vmcnt(58) lgkmcnt(1)
	v_mul_f64 v[55:56], v[3:4], v[67:68]
	s_waitcnt vmcnt(56)
	v_fma_f64 v[63:64], v[5:6], v[69:70], -v[63:64]
	v_mul_f64 v[35:36], v[1:2], v[67:68]
	v_add_f64 v[21:22], v[21:22], v[59:60]
	v_fma_f64 v[59:60], v[7:8], v[69:70], v[108:109]
	v_add_f64 v[13:14], v[13:14], v[29:30]
	s_clause 0x4
	buffer_load_dword v30, off, s[0:3], 0 offset:492
	buffer_load_dword v67, off, s[0:3], 0 offset:504
	buffer_load_dword v69, off, s[0:3], 0 offset:496
	buffer_load_dword v29, off, s[0:3], 0 offset:488
	buffer_load_dword v88, off, s[0:3], 0 offset:468
	s_waitcnt vmcnt(57) lgkmcnt(0)
	v_mul_f64 v[108:109], v[9:10], v[71:72]
	v_mul_f64 v[70:71], v[11:12], v[71:72]
	s_waitcnt vmcnt(56)
	v_fma_f64 v[55:56], v[1:2], v[57:58], -v[55:56]
	ds_read_b128 v[5:8], v86 offset:1072
	v_fma_f64 v[35:36], v[3:4], v[57:58], v[35:36]
	s_clause 0x2
	buffer_load_dword v68, off, s[0:3], 0 offset:508
	buffer_load_dword v58, off, s[0:3], 0 offset:484
	buffer_load_dword v57, off, s[0:3], 0 offset:480
	ds_read_b128 v[1:4], v86 offset:1088
	v_add_f64 v[21:22], v[21:22], v[63:64]
	v_add_f64 v[13:14], v[13:14], v[59:60]
	s_waitcnt vmcnt(58) lgkmcnt(1)
	v_mul_f64 v[63:64], v[7:8], v[75:76]
	s_waitcnt vmcnt(56)
	v_fma_f64 v[71:72], v[9:10], v[77:78], -v[70:71]
	v_mul_f64 v[59:60], v[5:6], v[75:76]
	v_add_f64 v[21:22], v[21:22], v[55:56]
	v_fma_f64 v[55:56], v[11:12], v[77:78], v[108:109]
	v_add_f64 v[13:14], v[13:14], v[35:36]
	s_clause 0x4
	buffer_load_dword v36, off, s[0:3], 0 offset:524
	buffer_load_dword v75, off, s[0:3], 0 offset:536
	;; [unrolled: 1-line block ×5, first 2 shown]
	s_waitcnt vmcnt(57) lgkmcnt(0)
	v_mul_f64 v[108:109], v[1:2], v[79:80]
	v_mul_f64 v[78:79], v[3:4], v[79:80]
	s_waitcnt vmcnt(56)
	v_fma_f64 v[63:64], v[5:6], v[65:66], -v[63:64]
	ds_read_b128 v[9:12], v86 offset:1104
	v_fma_f64 v[59:60], v[7:8], v[65:66], v[59:60]
	v_add_f64 v[21:22], v[21:22], v[71:72]
	v_add_f64 v[13:14], v[13:14], v[55:56]
	s_clause 0x2
	buffer_load_dword v76, off, s[0:3], 0 offset:540
	buffer_load_dword v56, off, s[0:3], 0 offset:516
	;; [unrolled: 1-line block ×3, first 2 shown]
	ds_read_b128 v[5:8], v86 offset:1120
	s_waitcnt vmcnt(58) lgkmcnt(1)
	v_mul_f64 v[71:72], v[11:12], v[81:82]
	s_waitcnt vmcnt(56)
	v_fma_f64 v[79:80], v[1:2], v[83:84], -v[78:79]
	v_mul_f64 v[65:66], v[9:10], v[81:82]
	v_add_f64 v[21:22], v[21:22], v[63:64]
	v_fma_f64 v[63:64], v[3:4], v[83:84], v[108:109]
	v_add_f64 v[13:14], v[13:14], v[59:60]
	s_clause 0x4
	buffer_load_dword v60, off, s[0:3], 0 offset:556
	buffer_load_dword v81, off, s[0:3], 0 offset:568
	;; [unrolled: 1-line block ×5, first 2 shown]
	s_waitcnt vmcnt(57) lgkmcnt(0)
	v_mul_f64 v[108:109], v[5:6], v[93:94]
	v_mul_f64 v[93:94], v[7:8], v[93:94]
	s_waitcnt vmcnt(56)
	v_fma_f64 v[71:72], v[9:10], v[73:74], -v[71:72]
	ds_read_b128 v[1:4], v86 offset:1136
	v_fma_f64 v[65:66], v[11:12], v[73:74], v[65:66]
	v_add_f64 v[21:22], v[21:22], v[79:80]
	v_add_f64 v[13:14], v[13:14], v[63:64]
	s_clause 0x2
	buffer_load_dword v82, off, s[0:3], 0 offset:572
	buffer_load_dword v64, off, s[0:3], 0 offset:548
	;; [unrolled: 1-line block ×3, first 2 shown]
	ds_read_b128 v[9:12], v86 offset:1152
	s_waitcnt vmcnt(58) lgkmcnt(1)
	v_mul_f64 v[79:80], v[3:4], v[95:96]
	v_mul_f64 v[73:74], v[1:2], v[95:96]
	s_waitcnt vmcnt(56)
	v_fma_f64 v[93:94], v[5:6], v[17:18], -v[93:94]
	v_fma_f64 v[17:18], v[7:8], v[17:18], v[108:109]
	v_add_f64 v[21:22], v[21:22], v[71:72]
	v_add_f64 v[13:14], v[13:14], v[65:66]
	s_clause 0x4
	buffer_load_dword v66, off, s[0:3], 0 offset:588
	buffer_load_dword v71, off, s[0:3], 0 offset:600
	;; [unrolled: 1-line block ×5, first 2 shown]
	ds_read_b128 v[5:8], v86 offset:1168
	s_waitcnt vmcnt(57) lgkmcnt(1)
	v_mul_f64 v[108:109], v[9:10], v[15:16]
	v_mul_f64 v[15:16], v[11:12], v[15:16]
	s_waitcnt vmcnt(56)
	v_fma_f64 v[79:80], v[1:2], v[97:98], -v[79:80]
	v_fma_f64 v[73:74], v[3:4], v[97:98], v[73:74]
	v_add_f64 v[21:22], v[21:22], v[93:94]
	v_add_f64 v[13:14], v[13:14], v[17:18]
	s_clause 0x2
	buffer_load_dword v72, off, s[0:3], 0 offset:604
	buffer_load_dword v18, off, s[0:3], 0 offset:580
	;; [unrolled: 1-line block ×3, first 2 shown]
	s_waitcnt vmcnt(58) lgkmcnt(0)
	v_mul_f64 v[97:98], v[7:8], v[99:100]
	ds_read_b128 v[1:4], v86 offset:1184
	v_mul_f64 v[93:94], v[5:6], v[99:100]
	s_waitcnt vmcnt(56)
	v_fma_f64 v[15:16], v[9:10], v[89:90], -v[15:16]
	v_add_f64 v[21:22], v[21:22], v[79:80]
	v_fma_f64 v[79:80], v[11:12], v[89:90], v[108:109]
	v_add_f64 v[13:14], v[13:14], v[73:74]
	s_clause 0x4
	buffer_load_dword v74, off, s[0:3], 0 offset:620
	buffer_load_dword v89, off, s[0:3], 0 offset:632
	;; [unrolled: 1-line block ×5, first 2 shown]
	ds_read_b128 v[9:12], v86 offset:1200
	s_waitcnt vmcnt(57) lgkmcnt(1)
	v_mul_f64 v[108:109], v[1:2], v[33:34]
	v_mul_f64 v[33:34], v[3:4], v[33:34]
	s_waitcnt vmcnt(56)
	v_fma_f64 v[97:98], v[5:6], v[104:105], -v[97:98]
	v_add_f64 v[15:16], v[21:22], v[15:16]
	v_fma_f64 v[21:22], v[7:8], v[104:105], v[93:94]
	v_add_f64 v[13:14], v[13:14], v[79:80]
	s_clause 0x2
	buffer_load_dword v90, off, s[0:3], 0 offset:636
	buffer_load_dword v80, off, s[0:3], 0 offset:612
	;; [unrolled: 1-line block ×3, first 2 shown]
	ds_read_b128 v[5:8], v86 offset:1216
	s_waitcnt vmcnt(58) lgkmcnt(1)
	v_mul_f64 v[93:94], v[9:10], v[91:92]
	v_mul_f64 v[91:92], v[11:12], v[91:92]
	s_waitcnt vmcnt(56)
	v_fma_f64 v[33:34], v[1:2], v[27:28], -v[33:34]
	v_fma_f64 v[27:28], v[3:4], v[27:28], v[108:109]
	v_add_f64 v[15:16], v[15:16], v[97:98]
	v_add_f64 v[13:14], v[13:14], v[21:22]
	s_clause 0x4
	buffer_load_dword v22, off, s[0:3], 0 offset:652
	buffer_load_dword v97, off, s[0:3], 0 offset:664
	;; [unrolled: 1-line block ×5, first 2 shown]
	ds_read_b128 v[1:4], v86 offset:1232
	s_waitcnt vmcnt(57) lgkmcnt(1)
	v_mul_f64 v[104:105], v[5:6], v[19:20]
	v_mul_f64 v[19:20], v[7:8], v[19:20]
	s_waitcnt vmcnt(56)
	v_fma_f64 v[91:92], v[9:10], v[106:107], -v[91:92]
	v_add_f64 v[15:16], v[15:16], v[33:34]
	v_fma_f64 v[33:34], v[11:12], v[106:107], v[93:94]
	v_add_f64 v[13:14], v[13:14], v[27:28]
	s_clause 0x2
	buffer_load_dword v98, off, s[0:3], 0 offset:668
	buffer_load_dword v28, off, s[0:3], 0 offset:644
	;; [unrolled: 1-line block ×3, first 2 shown]
	ds_read_b128 v[9:12], v86 offset:1248
	s_waitcnt vmcnt(58) lgkmcnt(1)
	v_mul_f64 v[93:94], v[1:2], v[53:54]
	v_mul_f64 v[53:54], v[3:4], v[53:54]
	s_waitcnt vmcnt(56)
	v_fma_f64 v[19:20], v[5:6], v[25:26], -v[19:20]
	v_fma_f64 v[25:26], v[7:8], v[25:26], v[104:105]
	v_add_f64 v[15:16], v[15:16], v[91:92]
	v_add_f64 v[13:14], v[13:14], v[33:34]
	s_clause 0x4
	buffer_load_dword v34, off, s[0:3], 0 offset:684
	buffer_load_dword v91, off, s[0:3], 0 offset:696
	;; [unrolled: 1-line block ×5, first 2 shown]
	ds_read_b128 v[5:8], v86 offset:1264
	s_waitcnt vmcnt(57) lgkmcnt(1)
	v_mul_f64 v[106:107], v[9:10], v[23:24]
	v_mul_f64 v[23:24], v[11:12], v[23:24]
	s_waitcnt vmcnt(56)
	v_fma_f64 v[53:54], v[1:2], v[101:102], -v[53:54]
	v_add_f64 v[15:16], v[15:16], v[19:20]
	v_fma_f64 v[19:20], v[3:4], v[101:102], v[93:94]
	v_add_f64 v[13:14], v[13:14], v[25:26]
	s_clause 0x2
	buffer_load_dword v92, off, s[0:3], 0 offset:700
	buffer_load_dword v26, off, s[0:3], 0 offset:676
	;; [unrolled: 1-line block ×3, first 2 shown]
	s_waitcnt vmcnt(58) lgkmcnt(0)
	v_mul_f64 v[93:94], v[5:6], v[61:62]
	v_mul_f64 v[61:62], v[7:8], v[61:62]
	ds_read_b128 v[1:4], v86 offset:1280
	s_waitcnt vmcnt(56)
	v_fma_f64 v[23:24], v[9:10], v[31:32], -v[23:24]
	v_fma_f64 v[31:32], v[11:12], v[31:32], v[106:107]
	v_add_f64 v[15:16], v[15:16], v[53:54]
	v_add_f64 v[13:14], v[13:14], v[19:20]
	s_clause 0x4
	buffer_load_dword v20, off, s[0:3], 0 offset:716
	buffer_load_dword v53, off, s[0:3], 0 offset:728
	;; [unrolled: 1-line block ×5, first 2 shown]
	ds_read_b128 v[9:12], v86 offset:1296
	s_waitcnt vmcnt(57) lgkmcnt(1)
	v_mul_f64 v[107:108], v[1:2], v[29:30]
	v_mul_f64 v[29:30], v[3:4], v[29:30]
	s_waitcnt vmcnt(56)
	v_fma_f64 v[61:62], v[5:6], v[87:88], -v[61:62]
	v_add_f64 v[15:16], v[15:16], v[23:24]
	v_fma_f64 v[23:24], v[7:8], v[87:88], v[93:94]
	v_add_f64 v[13:14], v[13:14], v[31:32]
	s_clause 0x2
	buffer_load_dword v54, off, s[0:3], 0 offset:732
	buffer_load_dword v32, off, s[0:3], 0 offset:708
	;; [unrolled: 1-line block ×3, first 2 shown]
	s_waitcnt vmcnt(58) lgkmcnt(0)
	v_mul_f64 v[87:88], v[9:10], v[67:68]
	v_mul_f64 v[67:68], v[11:12], v[67:68]
	ds_read_b128 v[5:8], v86 offset:1312
	s_waitcnt vmcnt(56)
	v_fma_f64 v[29:30], v[1:2], v[57:58], -v[29:30]
	v_fma_f64 v[57:58], v[3:4], v[57:58], v[107:108]
	v_add_f64 v[15:16], v[15:16], v[61:62]
	v_add_f64 v[13:14], v[13:14], v[23:24]
	s_clause 0x4
	buffer_load_dword v24, off, s[0:3], 0 offset:748
	buffer_load_dword v61, off, s[0:3], 0 offset:760
	buffer_load_dword v93, off, s[0:3], 0 offset:752
	buffer_load_dword v23, off, s[0:3], 0 offset:744
	buffer_load_dword v102, off, s[0:3], 0 offset:724
	ds_read_b128 v[1:4], v86 offset:1328
	s_waitcnt vmcnt(57) lgkmcnt(1)
	v_mul_f64 v[107:108], v[5:6], v[35:36]
	v_mul_f64 v[35:36], v[7:8], v[35:36]
	s_waitcnt vmcnt(56)
	v_fma_f64 v[67:68], v[9:10], v[69:70], -v[67:68]
	v_add_f64 v[15:16], v[15:16], v[29:30]
	v_fma_f64 v[29:30], v[11:12], v[69:70], v[87:88]
	v_add_f64 v[13:14], v[13:14], v[57:58]
	s_clause 0x2
	buffer_load_dword v62, off, s[0:3], 0 offset:764
	buffer_load_dword v58, off, s[0:3], 0 offset:740
	;; [unrolled: 1-line block ×3, first 2 shown]
	ds_read_b128 v[9:12], v86 offset:1344
	s_waitcnt vmcnt(58) lgkmcnt(1)
	v_mul_f64 v[69:70], v[1:2], v[75:76]
	v_mul_f64 v[75:76], v[3:4], v[75:76]
	s_waitcnt vmcnt(56)
	v_fma_f64 v[35:36], v[5:6], v[55:56], -v[35:36]
	v_fma_f64 v[55:56], v[7:8], v[55:56], v[107:108]
	v_add_f64 v[15:16], v[15:16], v[67:68]
	v_add_f64 v[13:14], v[13:14], v[29:30]
	s_clause 0x4
	buffer_load_dword v30, off, s[0:3], 0 offset:780
	buffer_load_dword v67, off, s[0:3], 0 offset:792
	;; [unrolled: 1-line block ×5, first 2 shown]
	ds_read_b128 v[5:8], v86 offset:1360
	s_waitcnt vmcnt(57) lgkmcnt(1)
	v_mul_f64 v[107:108], v[9:10], v[59:60]
	v_mul_f64 v[59:60], v[11:12], v[59:60]
	s_waitcnt vmcnt(56)
	v_fma_f64 v[75:76], v[1:2], v[77:78], -v[75:76]
	v_add_f64 v[15:16], v[15:16], v[35:36]
	v_fma_f64 v[35:36], v[3:4], v[77:78], v[69:70]
	v_add_f64 v[13:14], v[13:14], v[55:56]
	s_clause 0x2
	buffer_load_dword v68, off, s[0:3], 0 offset:796
	buffer_load_dword v56, off, s[0:3], 0 offset:772
	;; [unrolled: 1-line block ×3, first 2 shown]
	ds_read_b128 v[1:4], v86 offset:1376
	s_waitcnt vmcnt(58) lgkmcnt(1)
	v_mul_f64 v[77:78], v[7:8], v[81:82]
	v_mul_f64 v[69:70], v[5:6], v[81:82]
	s_waitcnt vmcnt(56)
	v_fma_f64 v[59:60], v[9:10], v[63:64], -v[59:60]
	v_fma_f64 v[63:64], v[11:12], v[63:64], v[107:108]
	v_add_f64 v[15:16], v[15:16], v[75:76]
	v_add_f64 v[13:14], v[13:14], v[35:36]
	s_clause 0x4
	buffer_load_dword v36, off, s[0:3], 0 offset:812
	buffer_load_dword v75, off, s[0:3], 0 offset:824
	;; [unrolled: 1-line block ×5, first 2 shown]
	ds_read_b128 v[9:12], v86 offset:1392
	s_waitcnt vmcnt(57) lgkmcnt(1)
	v_mul_f64 v[107:108], v[1:2], v[65:66]
	v_mul_f64 v[65:66], v[3:4], v[65:66]
	s_waitcnt vmcnt(56)
	v_fma_f64 v[77:78], v[5:6], v[83:84], -v[77:78]
	v_add_f64 v[15:16], v[15:16], v[59:60]
	v_fma_f64 v[59:60], v[7:8], v[83:84], v[69:70]
	v_add_f64 v[13:14], v[13:14], v[63:64]
	s_clause 0x2
	buffer_load_dword v76, off, s[0:3], 0 offset:828
	buffer_load_dword v64, off, s[0:3], 0 offset:804
	;; [unrolled: 1-line block ×3, first 2 shown]
	ds_read_b128 v[5:8], v86 offset:1408
	buffer_load_dword v82, off, s[0:3], 0 offset:820
	s_waitcnt vmcnt(59) lgkmcnt(1)
	v_mul_f64 v[69:70], v[9:10], v[71:72]
	v_mul_f64 v[71:72], v[11:12], v[71:72]
	s_waitcnt vmcnt(57)
	v_fma_f64 v[65:66], v[1:2], v[17:18], -v[65:66]
	v_fma_f64 v[17:18], v[3:4], v[17:18], v[107:108]
	ds_read_b128 v[1:4], v86 offset:1424
	v_add_f64 v[15:16], v[15:16], v[77:78]
	v_add_f64 v[13:14], v[13:14], v[59:60]
	s_waitcnt vmcnt(53) lgkmcnt(1)
	v_mul_f64 v[59:60], v[5:6], v[73:74]
	v_mul_f64 v[73:74], v[7:8], v[73:74]
	s_waitcnt vmcnt(52)
	v_fma_f64 v[71:72], v[9:10], v[95:96], -v[71:72]
	v_add_f64 v[15:16], v[15:16], v[65:66]
	v_fma_f64 v[65:66], v[11:12], v[95:96], v[69:70]
	v_add_f64 v[13:14], v[13:14], v[17:18]
	ds_read_b128 v[9:12], v86 offset:1440
	s_waitcnt vmcnt(51) lgkmcnt(1)
	v_mul_f64 v[69:70], v[3:4], v[89:90]
	v_mul_f64 v[17:18], v[1:2], v[89:90]
	s_waitcnt vmcnt(49)
	v_fma_f64 v[73:74], v[5:6], v[79:80], -v[73:74]
	v_fma_f64 v[59:60], v[7:8], v[79:80], v[59:60]
	v_add_f64 v[15:16], v[15:16], v[71:72]
	v_add_f64 v[13:14], v[13:14], v[65:66]
	s_clause 0x3
	buffer_load_dword v65, off, s[0:3], 0 offset:64
	buffer_load_dword v66, off, s[0:3], 0 offset:68
	;; [unrolled: 1-line block ×4, first 2 shown]
	ds_read_b128 v[5:8], v86 offset:1456
	s_waitcnt vmcnt(49) lgkmcnt(1)
	v_mul_f64 v[77:78], v[9:10], v[21:22]
	v_mul_f64 v[21:22], v[11:12], v[21:22]
	s_waitcnt vmcnt(48)
	v_fma_f64 v[69:70], v[1:2], v[99:100], -v[69:70]
	v_fma_f64 v[17:18], v[3:4], v[99:100], v[17:18]
	ds_read_b128 v[1:4], v86 offset:1472
	v_add_f64 v[15:16], v[15:16], v[73:74]
	v_add_f64 v[13:14], v[13:14], v[59:60]
	s_waitcnt vmcnt(47) lgkmcnt(1)
	v_mul_f64 v[73:74], v[7:8], v[97:98]
	v_mul_f64 v[59:60], v[5:6], v[97:98]
	s_waitcnt vmcnt(45)
	v_fma_f64 v[21:22], v[9:10], v[27:28], -v[21:22]
	v_fma_f64 v[27:28], v[11:12], v[27:28], v[77:78]
	ds_read_b128 v[9:12], v86 offset:1488
	v_add_f64 v[15:16], v[15:16], v[69:70]
	v_add_f64 v[13:14], v[13:14], v[17:18]
	s_waitcnt vmcnt(41) lgkmcnt(1)
	v_mul_f64 v[17:18], v[1:2], v[33:34]
	v_mul_f64 v[33:34], v[3:4], v[33:34]
	s_waitcnt vmcnt(40)
	v_fma_f64 v[69:70], v[5:6], v[103:104], -v[73:74]
	v_add_f64 v[15:16], v[15:16], v[21:22]
	v_fma_f64 v[21:22], v[7:8], v[103:104], v[59:60]
	v_add_f64 v[13:14], v[13:14], v[27:28]
	ds_read_b128 v[5:8], v86 offset:1504
	s_waitcnt vmcnt(39) lgkmcnt(1)
	v_mul_f64 v[59:60], v[11:12], v[91:92]
	v_mul_f64 v[27:28], v[9:10], v[91:92]
	s_waitcnt vmcnt(37)
	v_fma_f64 v[33:34], v[1:2], v[25:26], -v[33:34]
	v_fma_f64 v[17:18], v[3:4], v[25:26], v[17:18]
	ds_read_b128 v[1:4], v86 offset:1520
	v_add_f64 v[15:16], v[15:16], v[69:70]
	v_add_f64 v[13:14], v[13:14], v[21:22]
	s_waitcnt vmcnt(33) lgkmcnt(1)
	v_mul_f64 v[21:22], v[5:6], v[19:20]
	v_mul_f64 v[19:20], v[7:8], v[19:20]
	s_waitcnt vmcnt(32)
	v_fma_f64 v[25:26], v[9:10], v[105:106], -v[59:60]
	v_fma_f64 v[27:28], v[11:12], v[105:106], v[27:28]
	ds_read_b128 v[9:12], v86 offset:1536
	v_add_f64 v[15:16], v[15:16], v[33:34]
	v_add_f64 v[13:14], v[13:14], v[17:18]
	;; [unrolled: 9-line block ×5, first 2 shown]
	s_waitcnt vmcnt(17) lgkmcnt(1)
	v_mul_f64 v[27:28], v[3:4], v[29:30]
	s_waitcnt vmcnt(16)
	v_fma_f64 v[21:22], v[5:6], v[93:94], -v[21:22]
	v_mul_f64 v[17:18], v[1:2], v[29:30]
	v_fma_f64 v[19:20], v[7:8], v[93:94], v[19:20]
	ds_read_b128 v[5:8], v86 offset:1600
	v_add_f64 v[15:16], v[15:16], v[23:24]
	v_add_f64 v[13:14], v[13:14], v[25:26]
	s_waitcnt vmcnt(15) lgkmcnt(1)
	v_mul_f64 v[25:26], v[11:12], v[67:68]
	v_mul_f64 v[23:24], v[9:10], v[67:68]
	s_waitcnt vmcnt(13)
	v_fma_f64 v[27:28], v[1:2], v[55:56], -v[27:28]
	v_fma_f64 v[17:18], v[3:4], v[55:56], v[17:18]
	ds_read_b128 v[1:4], v86 offset:1616
	v_add_f64 v[15:16], v[15:16], v[21:22]
	v_add_f64 v[13:14], v[13:14], v[19:20]
	s_waitcnt vmcnt(9) lgkmcnt(1)
	v_mul_f64 v[21:22], v[7:8], v[35:36]
	s_waitcnt vmcnt(8)
	v_fma_f64 v[9:10], v[9:10], v[87:88], -v[25:26]
	v_mul_f64 v[19:20], v[5:6], v[35:36]
	v_fma_f64 v[11:12], v[11:12], v[87:88], v[23:24]
	v_add_f64 v[15:16], v[15:16], v[27:28]
	v_add_f64 v[13:14], v[13:14], v[17:18]
	s_waitcnt vmcnt(7) lgkmcnt(0)
	v_mul_f64 v[23:24], v[3:4], v[75:76]
	v_mul_f64 v[17:18], v[1:2], v[75:76]
	s_waitcnt vmcnt(5)
	v_fma_f64 v[5:6], v[5:6], v[63:64], -v[21:22]
	v_fma_f64 v[7:8], v[7:8], v[63:64], v[19:20]
	v_add_f64 v[9:10], v[15:16], v[9:10]
	v_add_f64 v[11:12], v[13:14], v[11:12]
	s_waitcnt vmcnt(4)
	v_fma_f64 v[1:2], v[1:2], v[81:82], -v[23:24]
	v_fma_f64 v[3:4], v[3:4], v[81:82], v[17:18]
	v_add_f64 v[5:6], v[9:10], v[5:6]
	v_add_f64 v[7:8], v[11:12], v[7:8]
	;; [unrolled: 1-line block ×4, first 2 shown]
	s_waitcnt vmcnt(2)
	v_add_f64 v[1:2], v[65:66], -v[1:2]
	s_waitcnt vmcnt(0)
	v_add_f64 v[3:4], v[71:72], -v[3:4]
	buffer_store_dword v2, off, s[0:3], 0 offset:68
	buffer_store_dword v1, off, s[0:3], 0 offset:64
	buffer_store_dword v4, off, s[0:3], 0 offset:76
	buffer_store_dword v3, off, s[0:3], 0 offset:72
	v_cmpx_lt_u32_e32 2, v0
	s_cbranch_execz .LBB50_315
; %bb.314:
	v_mov_b32_e32 v4, s61
	s_clause 0x3
	buffer_load_dword v1, v4, s[0:3], 0 offen
	buffer_load_dword v2, v4, s[0:3], 0 offen offset:4
	buffer_load_dword v3, v4, s[0:3], 0 offen offset:8
	;; [unrolled: 1-line block ×3, first 2 shown]
	buffer_store_dword v86, off, s[0:3], 0 offset:48
	buffer_store_dword v86, off, s[0:3], 0 offset:52
	;; [unrolled: 1-line block ×4, first 2 shown]
	s_waitcnt vmcnt(0)
	ds_write_b128 v85, v[1:4]
.LBB50_315:
	s_or_b32 exec_lo, exec_lo, s4
	s_waitcnt lgkmcnt(0)
	s_waitcnt_vscnt null, 0x0
	s_barrier
	buffer_gl0_inv
	s_clause 0x37
	buffer_load_dword v17, off, s[0:3], 0 offset:72
	buffer_load_dword v18, off, s[0:3], 0 offset:76
	;; [unrolled: 1-line block ×56, first 2 shown]
	ds_read_b128 v[5:8], v86 offset:864
	s_clause 0x2
	buffer_load_dword v82, off, s[0:3], 0 offset:300
	buffer_load_dword v84, off, s[0:3], 0 offset:276
	;; [unrolled: 1-line block ×3, first 2 shown]
	ds_read_b128 v[1:4], v86 offset:880
	s_clause 0x4
	buffer_load_dword v94, off, s[0:3], 0 offset:316
	buffer_load_dword v95, off, s[0:3], 0 offset:328
	;; [unrolled: 1-line block ×5, first 2 shown]
	ds_read_b128 v[87:90], v86 offset:896
	s_mov_b32 s4, exec_lo
	s_waitcnt vmcnt(62) lgkmcnt(2)
	v_mul_f64 v[91:92], v[7:8], v[17:18]
	v_mul_f64 v[17:18], v[5:6], v[17:18]
	s_waitcnt vmcnt(60) lgkmcnt(1)
	v_mul_f64 v[98:99], v[3:4], v[13:14]
	v_mul_f64 v[13:14], v[1:2], v[13:14]
	;; [unrolled: 3-line block ×3, first 2 shown]
	v_fma_f64 v[91:92], v[5:6], v[15:16], -v[91:92]
	v_fma_f64 v[15:16], v[7:8], v[15:16], v[17:18]
	s_clause 0x2
	buffer_load_dword v96, off, s[0:3], 0 offset:332
	buffer_load_dword v18, off, s[0:3], 0 offset:308
	buffer_load_dword v17, off, s[0:3], 0 offset:304
	s_waitcnt vmcnt(57)
	v_fma_f64 v[102:103], v[1:2], v[9:10], -v[98:99]
	ds_read_b128 v[5:8], v86 offset:912
	v_fma_f64 v[9:10], v[3:4], v[9:10], v[13:14]
	s_waitcnt vmcnt(51)
	v_fma_f64 v[87:88], v[87:88], v[33:34], -v[11:12]
	v_fma_f64 v[33:34], v[89:90], v[33:34], v[100:101]
	v_add_f64 v[91:92], v[91:92], 0
	v_add_f64 v[13:14], v[15:16], 0
	s_clause 0x4
	buffer_load_dword v16, off, s[0:3], 0 offset:348
	buffer_load_dword v99, off, s[0:3], 0 offset:360
	buffer_load_dword v104, off, s[0:3], 0 offset:352
	buffer_load_dword v15, off, s[0:3], 0 offset:344
	buffer_load_dword v98, off, s[0:3], 0 offset:324
	s_waitcnt lgkmcnt(0)
	v_mul_f64 v[105:106], v[5:6], v[21:22]
	v_mul_f64 v[21:22], v[7:8], v[21:22]
	ds_read_b128 v[1:4], v86 offset:928
	s_clause 0x2
	buffer_load_dword v100, off, s[0:3], 0 offset:364
	buffer_load_dword v90, off, s[0:3], 0 offset:340
	;; [unrolled: 1-line block ×3, first 2 shown]
	v_add_f64 v[91:92], v[91:92], v[102:103]
	v_add_f64 v[13:14], v[13:14], v[9:10]
	ds_read_b128 v[9:12], v86 offset:944
	s_waitcnt vmcnt(58) lgkmcnt(1)
	v_mul_f64 v[101:102], v[1:2], v[25:26]
	v_mul_f64 v[25:26], v[3:4], v[25:26]
	s_waitcnt vmcnt(56)
	v_fma_f64 v[21:22], v[5:6], v[27:28], -v[21:22]
	v_fma_f64 v[27:28], v[7:8], v[27:28], v[105:106]
	s_waitcnt vmcnt(52) lgkmcnt(0)
	v_mul_f64 v[107:108], v[9:10], v[29:30]
	v_add_f64 v[87:88], v[91:92], v[87:88]
	v_add_f64 v[13:14], v[13:14], v[33:34]
	s_clause 0x4
	buffer_load_dword v34, off, s[0:3], 0 offset:380
	buffer_load_dword v91, off, s[0:3], 0 offset:392
	;; [unrolled: 1-line block ×5, first 2 shown]
	v_mul_f64 v[29:30], v[11:12], v[29:30]
	s_waitcnt vmcnt(56)
	v_fma_f64 v[25:26], v[1:2], v[19:20], -v[25:26]
	ds_read_b128 v[5:8], v86 offset:960
	v_fma_f64 v[19:20], v[3:4], v[19:20], v[101:102]
	v_add_f64 v[21:22], v[87:88], v[21:22]
	v_add_f64 v[13:14], v[13:14], v[27:28]
	s_clause 0x2
	buffer_load_dword v92, off, s[0:3], 0 offset:396
	buffer_load_dword v28, off, s[0:3], 0 offset:372
	buffer_load_dword v27, off, s[0:3], 0 offset:368
	s_waitcnt vmcnt(58) lgkmcnt(0)
	v_mul_f64 v[87:88], v[5:6], v[35:36]
	v_mul_f64 v[35:36], v[7:8], v[35:36]
	s_waitcnt vmcnt(56)
	v_fma_f64 v[29:30], v[9:10], v[53:54], -v[29:30]
	ds_read_b128 v[1:4], v86 offset:976
	v_add_f64 v[21:22], v[21:22], v[25:26]
	v_fma_f64 v[25:26], v[11:12], v[53:54], v[107:108]
	v_add_f64 v[13:14], v[13:14], v[19:20]
	s_clause 0x4
	buffer_load_dword v20, off, s[0:3], 0 offset:412
	buffer_load_dword v53, off, s[0:3], 0 offset:424
	;; [unrolled: 1-line block ×5, first 2 shown]
	s_waitcnt vmcnt(57) lgkmcnt(0)
	v_mul_f64 v[102:103], v[1:2], v[55:56]
	v_mul_f64 v[55:56], v[3:4], v[55:56]
	s_waitcnt vmcnt(56)
	v_fma_f64 v[35:36], v[5:6], v[23:24], -v[35:36]
	ds_read_b128 v[9:12], v86 offset:992
	v_fma_f64 v[23:24], v[7:8], v[23:24], v[87:88]
	v_add_f64 v[21:22], v[21:22], v[29:30]
	v_add_f64 v[13:14], v[13:14], v[25:26]
	s_clause 0x2
	buffer_load_dword v54, off, s[0:3], 0 offset:428
	buffer_load_dword v26, off, s[0:3], 0 offset:404
	;; [unrolled: 1-line block ×3, first 2 shown]
	ds_read_b128 v[5:8], v86 offset:1008
	s_waitcnt vmcnt(58) lgkmcnt(1)
	v_mul_f64 v[29:30], v[9:10], v[59:60]
	v_mul_f64 v[59:60], v[11:12], v[59:60]
	s_waitcnt vmcnt(56)
	v_fma_f64 v[55:56], v[1:2], v[61:62], -v[55:56]
	v_add_f64 v[21:22], v[21:22], v[35:36]
	v_fma_f64 v[35:36], v[3:4], v[61:62], v[102:103]
	v_add_f64 v[13:14], v[13:14], v[23:24]
	s_clause 0x4
	buffer_load_dword v24, off, s[0:3], 0 offset:444
	buffer_load_dword v61, off, s[0:3], 0 offset:456
	;; [unrolled: 1-line block ×5, first 2 shown]
	s_waitcnt vmcnt(57) lgkmcnt(0)
	v_mul_f64 v[108:109], v[5:6], v[63:64]
	v_mul_f64 v[63:64], v[7:8], v[63:64]
	s_waitcnt vmcnt(56)
	v_fma_f64 v[59:60], v[9:10], v[31:32], -v[59:60]
	ds_read_b128 v[1:4], v86 offset:1024
	v_fma_f64 v[29:30], v[11:12], v[31:32], v[29:30]
	s_clause 0x2
	buffer_load_dword v62, off, s[0:3], 0 offset:460
	buffer_load_dword v32, off, s[0:3], 0 offset:436
	;; [unrolled: 1-line block ×3, first 2 shown]
	ds_read_b128 v[9:12], v86 offset:1040
	v_add_f64 v[21:22], v[21:22], v[55:56]
	v_add_f64 v[13:14], v[13:14], v[35:36]
	s_waitcnt vmcnt(58) lgkmcnt(1)
	v_mul_f64 v[55:56], v[3:4], v[67:68]
	s_waitcnt vmcnt(56)
	v_fma_f64 v[63:64], v[5:6], v[69:70], -v[63:64]
	v_mul_f64 v[35:36], v[1:2], v[67:68]
	v_add_f64 v[21:22], v[21:22], v[59:60]
	v_fma_f64 v[59:60], v[7:8], v[69:70], v[108:109]
	v_add_f64 v[13:14], v[13:14], v[29:30]
	s_clause 0x4
	buffer_load_dword v30, off, s[0:3], 0 offset:476
	buffer_load_dword v67, off, s[0:3], 0 offset:488
	;; [unrolled: 1-line block ×5, first 2 shown]
	s_waitcnt vmcnt(57) lgkmcnt(0)
	v_mul_f64 v[108:109], v[9:10], v[71:72]
	v_mul_f64 v[70:71], v[11:12], v[71:72]
	s_waitcnt vmcnt(56)
	v_fma_f64 v[55:56], v[1:2], v[57:58], -v[55:56]
	ds_read_b128 v[5:8], v86 offset:1056
	v_fma_f64 v[35:36], v[3:4], v[57:58], v[35:36]
	s_clause 0x2
	buffer_load_dword v68, off, s[0:3], 0 offset:492
	buffer_load_dword v58, off, s[0:3], 0 offset:468
	;; [unrolled: 1-line block ×3, first 2 shown]
	ds_read_b128 v[1:4], v86 offset:1072
	v_add_f64 v[21:22], v[21:22], v[63:64]
	v_add_f64 v[13:14], v[13:14], v[59:60]
	s_waitcnt vmcnt(58) lgkmcnt(1)
	v_mul_f64 v[63:64], v[7:8], v[75:76]
	s_waitcnt vmcnt(56)
	v_fma_f64 v[71:72], v[9:10], v[77:78], -v[70:71]
	v_mul_f64 v[59:60], v[5:6], v[75:76]
	v_add_f64 v[21:22], v[21:22], v[55:56]
	v_fma_f64 v[55:56], v[11:12], v[77:78], v[108:109]
	v_add_f64 v[13:14], v[13:14], v[35:36]
	s_clause 0x4
	buffer_load_dword v36, off, s[0:3], 0 offset:508
	buffer_load_dword v75, off, s[0:3], 0 offset:520
	buffer_load_dword v77, off, s[0:3], 0 offset:512
	buffer_load_dword v35, off, s[0:3], 0 offset:504
	buffer_load_dword v70, off, s[0:3], 0 offset:484
	s_waitcnt vmcnt(57) lgkmcnt(0)
	v_mul_f64 v[108:109], v[1:2], v[79:80]
	v_mul_f64 v[78:79], v[3:4], v[79:80]
	s_waitcnt vmcnt(56)
	v_fma_f64 v[63:64], v[5:6], v[65:66], -v[63:64]
	ds_read_b128 v[9:12], v86 offset:1088
	v_fma_f64 v[59:60], v[7:8], v[65:66], v[59:60]
	v_add_f64 v[21:22], v[21:22], v[71:72]
	v_add_f64 v[13:14], v[13:14], v[55:56]
	s_clause 0x2
	buffer_load_dword v76, off, s[0:3], 0 offset:524
	buffer_load_dword v56, off, s[0:3], 0 offset:500
	;; [unrolled: 1-line block ×3, first 2 shown]
	ds_read_b128 v[5:8], v86 offset:1104
	s_waitcnt vmcnt(58) lgkmcnt(1)
	v_mul_f64 v[71:72], v[11:12], v[81:82]
	s_waitcnt vmcnt(56)
	v_fma_f64 v[79:80], v[1:2], v[83:84], -v[78:79]
	v_mul_f64 v[65:66], v[9:10], v[81:82]
	v_add_f64 v[21:22], v[21:22], v[63:64]
	v_fma_f64 v[63:64], v[3:4], v[83:84], v[108:109]
	v_add_f64 v[13:14], v[13:14], v[59:60]
	s_clause 0x4
	buffer_load_dword v60, off, s[0:3], 0 offset:540
	buffer_load_dword v81, off, s[0:3], 0 offset:552
	;; [unrolled: 1-line block ×5, first 2 shown]
	s_waitcnt vmcnt(57) lgkmcnt(0)
	v_mul_f64 v[108:109], v[5:6], v[93:94]
	v_mul_f64 v[93:94], v[7:8], v[93:94]
	s_waitcnt vmcnt(56)
	v_fma_f64 v[71:72], v[9:10], v[73:74], -v[71:72]
	ds_read_b128 v[1:4], v86 offset:1120
	v_fma_f64 v[65:66], v[11:12], v[73:74], v[65:66]
	v_add_f64 v[21:22], v[21:22], v[79:80]
	v_add_f64 v[13:14], v[13:14], v[63:64]
	s_clause 0x2
	buffer_load_dword v82, off, s[0:3], 0 offset:556
	buffer_load_dword v64, off, s[0:3], 0 offset:532
	;; [unrolled: 1-line block ×3, first 2 shown]
	ds_read_b128 v[9:12], v86 offset:1136
	s_waitcnt vmcnt(58) lgkmcnt(1)
	v_mul_f64 v[79:80], v[3:4], v[95:96]
	v_mul_f64 v[73:74], v[1:2], v[95:96]
	s_waitcnt vmcnt(56)
	v_fma_f64 v[93:94], v[5:6], v[17:18], -v[93:94]
	v_fma_f64 v[17:18], v[7:8], v[17:18], v[108:109]
	v_add_f64 v[21:22], v[21:22], v[71:72]
	v_add_f64 v[13:14], v[13:14], v[65:66]
	s_clause 0x4
	buffer_load_dword v66, off, s[0:3], 0 offset:572
	buffer_load_dword v71, off, s[0:3], 0 offset:584
	;; [unrolled: 1-line block ×5, first 2 shown]
	ds_read_b128 v[5:8], v86 offset:1152
	s_waitcnt vmcnt(57) lgkmcnt(1)
	v_mul_f64 v[108:109], v[9:10], v[15:16]
	v_mul_f64 v[15:16], v[11:12], v[15:16]
	s_waitcnt vmcnt(56)
	v_fma_f64 v[79:80], v[1:2], v[97:98], -v[79:80]
	v_fma_f64 v[73:74], v[3:4], v[97:98], v[73:74]
	v_add_f64 v[21:22], v[21:22], v[93:94]
	v_add_f64 v[13:14], v[13:14], v[17:18]
	s_clause 0x2
	buffer_load_dword v72, off, s[0:3], 0 offset:588
	buffer_load_dword v18, off, s[0:3], 0 offset:564
	;; [unrolled: 1-line block ×3, first 2 shown]
	s_waitcnt vmcnt(58) lgkmcnt(0)
	v_mul_f64 v[97:98], v[7:8], v[99:100]
	ds_read_b128 v[1:4], v86 offset:1168
	v_mul_f64 v[93:94], v[5:6], v[99:100]
	s_waitcnt vmcnt(56)
	v_fma_f64 v[15:16], v[9:10], v[89:90], -v[15:16]
	v_add_f64 v[21:22], v[21:22], v[79:80]
	v_fma_f64 v[79:80], v[11:12], v[89:90], v[108:109]
	v_add_f64 v[13:14], v[13:14], v[73:74]
	s_clause 0x4
	buffer_load_dword v74, off, s[0:3], 0 offset:604
	buffer_load_dword v89, off, s[0:3], 0 offset:616
	;; [unrolled: 1-line block ×5, first 2 shown]
	ds_read_b128 v[9:12], v86 offset:1184
	s_waitcnt vmcnt(57) lgkmcnt(1)
	v_mul_f64 v[108:109], v[1:2], v[33:34]
	v_mul_f64 v[33:34], v[3:4], v[33:34]
	s_waitcnt vmcnt(56)
	v_fma_f64 v[97:98], v[5:6], v[104:105], -v[97:98]
	v_add_f64 v[15:16], v[21:22], v[15:16]
	v_fma_f64 v[21:22], v[7:8], v[104:105], v[93:94]
	v_add_f64 v[13:14], v[13:14], v[79:80]
	s_clause 0x2
	buffer_load_dword v90, off, s[0:3], 0 offset:620
	buffer_load_dword v80, off, s[0:3], 0 offset:596
	;; [unrolled: 1-line block ×3, first 2 shown]
	ds_read_b128 v[5:8], v86 offset:1200
	s_waitcnt vmcnt(58) lgkmcnt(1)
	v_mul_f64 v[93:94], v[9:10], v[91:92]
	v_mul_f64 v[91:92], v[11:12], v[91:92]
	s_waitcnt vmcnt(56)
	v_fma_f64 v[33:34], v[1:2], v[27:28], -v[33:34]
	v_fma_f64 v[27:28], v[3:4], v[27:28], v[108:109]
	v_add_f64 v[15:16], v[15:16], v[97:98]
	v_add_f64 v[13:14], v[13:14], v[21:22]
	s_clause 0x4
	buffer_load_dword v22, off, s[0:3], 0 offset:636
	buffer_load_dword v97, off, s[0:3], 0 offset:648
	;; [unrolled: 1-line block ×5, first 2 shown]
	ds_read_b128 v[1:4], v86 offset:1216
	s_waitcnt vmcnt(57) lgkmcnt(1)
	v_mul_f64 v[104:105], v[5:6], v[19:20]
	v_mul_f64 v[19:20], v[7:8], v[19:20]
	s_waitcnt vmcnt(56)
	v_fma_f64 v[91:92], v[9:10], v[106:107], -v[91:92]
	v_add_f64 v[15:16], v[15:16], v[33:34]
	v_fma_f64 v[33:34], v[11:12], v[106:107], v[93:94]
	v_add_f64 v[13:14], v[13:14], v[27:28]
	s_clause 0x2
	buffer_load_dword v98, off, s[0:3], 0 offset:652
	buffer_load_dword v28, off, s[0:3], 0 offset:628
	;; [unrolled: 1-line block ×3, first 2 shown]
	ds_read_b128 v[9:12], v86 offset:1232
	s_waitcnt vmcnt(58) lgkmcnt(1)
	v_mul_f64 v[93:94], v[1:2], v[53:54]
	v_mul_f64 v[53:54], v[3:4], v[53:54]
	s_waitcnt vmcnt(56)
	v_fma_f64 v[19:20], v[5:6], v[25:26], -v[19:20]
	v_fma_f64 v[25:26], v[7:8], v[25:26], v[104:105]
	v_add_f64 v[15:16], v[15:16], v[91:92]
	v_add_f64 v[13:14], v[13:14], v[33:34]
	s_clause 0x4
	buffer_load_dword v34, off, s[0:3], 0 offset:668
	buffer_load_dword v91, off, s[0:3], 0 offset:680
	;; [unrolled: 1-line block ×5, first 2 shown]
	ds_read_b128 v[5:8], v86 offset:1248
	s_waitcnt vmcnt(57) lgkmcnt(1)
	v_mul_f64 v[106:107], v[9:10], v[23:24]
	v_mul_f64 v[23:24], v[11:12], v[23:24]
	s_waitcnt vmcnt(56)
	v_fma_f64 v[53:54], v[1:2], v[101:102], -v[53:54]
	v_add_f64 v[15:16], v[15:16], v[19:20]
	v_fma_f64 v[19:20], v[3:4], v[101:102], v[93:94]
	v_add_f64 v[13:14], v[13:14], v[25:26]
	s_clause 0x2
	buffer_load_dword v92, off, s[0:3], 0 offset:684
	buffer_load_dword v26, off, s[0:3], 0 offset:660
	buffer_load_dword v25, off, s[0:3], 0 offset:656
	s_waitcnt vmcnt(58) lgkmcnt(0)
	v_mul_f64 v[93:94], v[5:6], v[61:62]
	v_mul_f64 v[61:62], v[7:8], v[61:62]
	ds_read_b128 v[1:4], v86 offset:1264
	s_waitcnt vmcnt(56)
	v_fma_f64 v[23:24], v[9:10], v[31:32], -v[23:24]
	v_fma_f64 v[31:32], v[11:12], v[31:32], v[106:107]
	v_add_f64 v[15:16], v[15:16], v[53:54]
	v_add_f64 v[13:14], v[13:14], v[19:20]
	s_clause 0x4
	buffer_load_dword v20, off, s[0:3], 0 offset:700
	buffer_load_dword v53, off, s[0:3], 0 offset:712
	;; [unrolled: 1-line block ×5, first 2 shown]
	ds_read_b128 v[9:12], v86 offset:1280
	s_waitcnt vmcnt(57) lgkmcnt(1)
	v_mul_f64 v[107:108], v[1:2], v[29:30]
	v_mul_f64 v[29:30], v[3:4], v[29:30]
	s_waitcnt vmcnt(56)
	v_fma_f64 v[61:62], v[5:6], v[87:88], -v[61:62]
	v_add_f64 v[15:16], v[15:16], v[23:24]
	v_fma_f64 v[23:24], v[7:8], v[87:88], v[93:94]
	v_add_f64 v[13:14], v[13:14], v[31:32]
	s_clause 0x2
	buffer_load_dword v54, off, s[0:3], 0 offset:716
	buffer_load_dword v32, off, s[0:3], 0 offset:692
	;; [unrolled: 1-line block ×3, first 2 shown]
	s_waitcnt vmcnt(58) lgkmcnt(0)
	v_mul_f64 v[87:88], v[9:10], v[67:68]
	v_mul_f64 v[67:68], v[11:12], v[67:68]
	ds_read_b128 v[5:8], v86 offset:1296
	s_waitcnt vmcnt(56)
	v_fma_f64 v[29:30], v[1:2], v[57:58], -v[29:30]
	v_fma_f64 v[57:58], v[3:4], v[57:58], v[107:108]
	v_add_f64 v[15:16], v[15:16], v[61:62]
	v_add_f64 v[13:14], v[13:14], v[23:24]
	s_clause 0x4
	buffer_load_dword v24, off, s[0:3], 0 offset:732
	buffer_load_dword v61, off, s[0:3], 0 offset:744
	buffer_load_dword v93, off, s[0:3], 0 offset:736
	buffer_load_dword v23, off, s[0:3], 0 offset:728
	buffer_load_dword v102, off, s[0:3], 0 offset:708
	ds_read_b128 v[1:4], v86 offset:1312
	s_waitcnt vmcnt(57) lgkmcnt(1)
	v_mul_f64 v[107:108], v[5:6], v[35:36]
	v_mul_f64 v[35:36], v[7:8], v[35:36]
	s_waitcnt vmcnt(56)
	v_fma_f64 v[67:68], v[9:10], v[69:70], -v[67:68]
	v_add_f64 v[15:16], v[15:16], v[29:30]
	v_fma_f64 v[29:30], v[11:12], v[69:70], v[87:88]
	v_add_f64 v[13:14], v[13:14], v[57:58]
	s_clause 0x2
	buffer_load_dword v62, off, s[0:3], 0 offset:748
	buffer_load_dword v58, off, s[0:3], 0 offset:724
	buffer_load_dword v57, off, s[0:3], 0 offset:720
	ds_read_b128 v[9:12], v86 offset:1328
	s_waitcnt vmcnt(58) lgkmcnt(1)
	v_mul_f64 v[69:70], v[1:2], v[75:76]
	v_mul_f64 v[75:76], v[3:4], v[75:76]
	s_waitcnt vmcnt(56)
	v_fma_f64 v[35:36], v[5:6], v[55:56], -v[35:36]
	v_fma_f64 v[55:56], v[7:8], v[55:56], v[107:108]
	v_add_f64 v[15:16], v[15:16], v[67:68]
	v_add_f64 v[13:14], v[13:14], v[29:30]
	s_clause 0x4
	buffer_load_dword v30, off, s[0:3], 0 offset:764
	buffer_load_dword v67, off, s[0:3], 0 offset:776
	buffer_load_dword v87, off, s[0:3], 0 offset:768
	buffer_load_dword v29, off, s[0:3], 0 offset:760
	buffer_load_dword v94, off, s[0:3], 0 offset:740
	ds_read_b128 v[5:8], v86 offset:1344
	s_waitcnt vmcnt(57) lgkmcnt(1)
	v_mul_f64 v[107:108], v[9:10], v[59:60]
	v_mul_f64 v[59:60], v[11:12], v[59:60]
	s_waitcnt vmcnt(56)
	v_fma_f64 v[75:76], v[1:2], v[77:78], -v[75:76]
	v_add_f64 v[15:16], v[15:16], v[35:36]
	v_fma_f64 v[35:36], v[3:4], v[77:78], v[69:70]
	v_add_f64 v[13:14], v[13:14], v[55:56]
	s_clause 0x2
	buffer_load_dword v68, off, s[0:3], 0 offset:780
	buffer_load_dword v56, off, s[0:3], 0 offset:756
	buffer_load_dword v55, off, s[0:3], 0 offset:752
	ds_read_b128 v[1:4], v86 offset:1360
	s_waitcnt vmcnt(58) lgkmcnt(1)
	v_mul_f64 v[77:78], v[7:8], v[81:82]
	v_mul_f64 v[69:70], v[5:6], v[81:82]
	;; [unrolled: 28-line block ×3, first 2 shown]
	s_waitcnt vmcnt(56)
	v_fma_f64 v[65:66], v[1:2], v[17:18], -v[65:66]
	v_fma_f64 v[17:18], v[3:4], v[17:18], v[107:108]
	v_add_f64 v[15:16], v[15:16], v[77:78]
	v_add_f64 v[13:14], v[13:14], v[59:60]
	s_clause 0x2
	buffer_load_dword v60, off, s[0:3], 0 offset:828
	buffer_load_dword v59, off, s[0:3], 0 offset:824
	;; [unrolled: 1-line block ×3, first 2 shown]
	ds_read_b128 v[1:4], v86 offset:1408
	s_waitcnt vmcnt(55) lgkmcnt(1)
	v_mul_f64 v[77:78], v[5:6], v[73:74]
	v_mul_f64 v[73:74], v[7:8], v[73:74]
	s_waitcnt vmcnt(54)
	v_fma_f64 v[71:72], v[9:10], v[95:96], -v[71:72]
	v_add_f64 v[15:16], v[15:16], v[65:66]
	v_fma_f64 v[65:66], v[11:12], v[95:96], v[69:70]
	v_add_f64 v[13:14], v[13:14], v[17:18]
	s_clause 0x1
	buffer_load_dword v18, off, s[0:3], 0 offset:820
	buffer_load_dword v17, off, s[0:3], 0 offset:816
	ds_read_b128 v[9:12], v86 offset:1424
	s_waitcnt vmcnt(55) lgkmcnt(1)
	v_mul_f64 v[83:84], v[3:4], v[89:90]
	v_mul_f64 v[69:70], v[1:2], v[89:90]
	s_waitcnt vmcnt(53)
	v_fma_f64 v[73:74], v[5:6], v[79:80], -v[73:74]
	v_add_f64 v[15:16], v[15:16], v[71:72]
	v_fma_f64 v[71:72], v[7:8], v[79:80], v[77:78]
	v_add_f64 v[13:14], v[13:14], v[65:66]
	ds_read_b128 v[5:8], v86 offset:1440
	s_waitcnt vmcnt(49) lgkmcnt(1)
	v_mul_f64 v[65:66], v[9:10], v[21:22]
	v_mul_f64 v[21:22], v[11:12], v[21:22]
	s_waitcnt vmcnt(48)
	v_fma_f64 v[77:78], v[1:2], v[99:100], -v[83:84]
	v_fma_f64 v[69:70], v[3:4], v[99:100], v[69:70]
	v_add_f64 v[15:16], v[15:16], v[73:74]
	v_add_f64 v[13:14], v[13:14], v[71:72]
	s_clause 0x3
	buffer_load_dword v71, off, s[0:3], 0 offset:48
	buffer_load_dword v72, off, s[0:3], 0 offset:52
	;; [unrolled: 1-line block ×4, first 2 shown]
	ds_read_b128 v[1:4], v86 offset:1456
	s_waitcnt vmcnt(51) lgkmcnt(1)
	v_mul_f64 v[83:84], v[7:8], v[97:98]
	v_mul_f64 v[79:80], v[5:6], v[97:98]
	s_waitcnt vmcnt(49)
	v_fma_f64 v[21:22], v[9:10], v[27:28], -v[21:22]
	v_fma_f64 v[27:28], v[11:12], v[27:28], v[65:66]
	ds_read_b128 v[9:12], v86 offset:1472
	v_add_f64 v[15:16], v[15:16], v[77:78]
	v_add_f64 v[13:14], v[13:14], v[69:70]
	s_waitcnt vmcnt(45) lgkmcnt(1)
	v_mul_f64 v[65:66], v[1:2], v[33:34]
	v_mul_f64 v[33:34], v[3:4], v[33:34]
	s_waitcnt vmcnt(44)
	v_fma_f64 v[69:70], v[5:6], v[103:104], -v[83:84]
	v_add_f64 v[15:16], v[15:16], v[21:22]
	v_fma_f64 v[21:22], v[7:8], v[103:104], v[79:80]
	v_add_f64 v[13:14], v[13:14], v[27:28]
	ds_read_b128 v[5:8], v86 offset:1488
	s_waitcnt vmcnt(43) lgkmcnt(1)
	v_mul_f64 v[77:78], v[11:12], v[91:92]
	v_mul_f64 v[27:28], v[9:10], v[91:92]
	s_waitcnt vmcnt(41)
	v_fma_f64 v[33:34], v[1:2], v[25:26], -v[33:34]
	v_fma_f64 v[25:26], v[3:4], v[25:26], v[65:66]
	ds_read_b128 v[1:4], v86 offset:1504
	v_add_f64 v[15:16], v[15:16], v[69:70]
	v_add_f64 v[13:14], v[13:14], v[21:22]
	s_waitcnt vmcnt(37) lgkmcnt(1)
	v_mul_f64 v[21:22], v[5:6], v[19:20]
	v_mul_f64 v[19:20], v[7:8], v[19:20]
	s_waitcnt vmcnt(36)
	v_fma_f64 v[65:66], v[9:10], v[105:106], -v[77:78]
	v_fma_f64 v[27:28], v[11:12], v[105:106], v[27:28]
	ds_read_b128 v[9:12], v86 offset:1520
	v_add_f64 v[15:16], v[15:16], v[33:34]
	v_add_f64 v[13:14], v[13:14], v[25:26]
	;; [unrolled: 9-line block ×3, first 2 shown]
	s_waitcnt vmcnt(29) lgkmcnt(1)
	v_mul_f64 v[27:28], v[9:10], v[23:24]
	v_mul_f64 v[23:24], v[11:12], v[23:24]
	s_waitcnt vmcnt(28)
	v_fma_f64 v[31:32], v[1:2], v[101:102], -v[33:34]
	v_add_f64 v[15:16], v[15:16], v[19:20]
	v_fma_f64 v[19:20], v[3:4], v[101:102], v[25:26]
	v_add_f64 v[13:14], v[13:14], v[21:22]
	ds_read_b128 v[1:4], v86 offset:1552
	s_waitcnt vmcnt(27) lgkmcnt(1)
	v_mul_f64 v[25:26], v[7:8], v[61:62]
	v_mul_f64 v[21:22], v[5:6], v[61:62]
	s_waitcnt vmcnt(25)
	v_fma_f64 v[23:24], v[9:10], v[57:58], -v[23:24]
	v_fma_f64 v[27:28], v[11:12], v[57:58], v[27:28]
	ds_read_b128 v[9:12], v86 offset:1568
	v_add_f64 v[15:16], v[15:16], v[31:32]
	v_add_f64 v[13:14], v[13:14], v[19:20]
	s_waitcnt vmcnt(21) lgkmcnt(1)
	v_mul_f64 v[19:20], v[1:2], v[29:30]
	v_mul_f64 v[29:30], v[3:4], v[29:30]
	s_waitcnt vmcnt(20)
	v_fma_f64 v[25:26], v[5:6], v[93:94], -v[25:26]
	v_fma_f64 v[21:22], v[7:8], v[93:94], v[21:22]
	ds_read_b128 v[5:8], v86 offset:1584
	v_add_f64 v[15:16], v[15:16], v[23:24]
	v_add_f64 v[13:14], v[13:14], v[27:28]
	;; [unrolled: 9-line block ×3, first 2 shown]
	s_waitcnt vmcnt(13) lgkmcnt(1)
	v_mul_f64 v[25:26], v[7:8], v[35:36]
	s_waitcnt vmcnt(12)
	v_fma_f64 v[27:28], v[9:10], v[87:88], -v[27:28]
	v_mul_f64 v[21:22], v[5:6], v[35:36]
	v_fma_f64 v[23:24], v[11:12], v[87:88], v[23:24]
	ds_read_b128 v[9:12], v86 offset:1616
	v_add_f64 v[15:16], v[15:16], v[29:30]
	v_add_f64 v[13:14], v[13:14], v[19:20]
	s_waitcnt vmcnt(11) lgkmcnt(1)
	v_mul_f64 v[29:30], v[3:4], v[75:76]
	v_mul_f64 v[19:20], v[1:2], v[75:76]
	s_waitcnt vmcnt(9)
	v_fma_f64 v[5:6], v[5:6], v[63:64], -v[25:26]
	v_fma_f64 v[7:8], v[7:8], v[63:64], v[21:22]
	v_add_f64 v[15:16], v[15:16], v[27:28]
	v_add_f64 v[13:14], v[13:14], v[23:24]
	s_waitcnt vmcnt(7) lgkmcnt(0)
	v_mul_f64 v[23:24], v[11:12], v[59:60]
	s_waitcnt vmcnt(6)
	v_fma_f64 v[1:2], v[1:2], v[81:82], -v[29:30]
	v_mul_f64 v[21:22], v[9:10], v[59:60]
	v_fma_f64 v[3:4], v[3:4], v[81:82], v[19:20]
	v_add_f64 v[5:6], v[15:16], v[5:6]
	v_add_f64 v[7:8], v[13:14], v[7:8]
	s_waitcnt vmcnt(4)
	v_fma_f64 v[9:10], v[9:10], v[17:18], -v[23:24]
	v_add_f64 v[1:2], v[5:6], v[1:2]
	v_fma_f64 v[5:6], v[11:12], v[17:18], v[21:22]
	v_add_f64 v[3:4], v[7:8], v[3:4]
	v_add_f64 v[1:2], v[1:2], v[9:10]
	;; [unrolled: 1-line block ×3, first 2 shown]
	s_waitcnt vmcnt(2)
	v_add_f64 v[1:2], v[71:72], -v[1:2]
	s_waitcnt vmcnt(0)
	v_add_f64 v[3:4], v[73:74], -v[3:4]
	buffer_store_dword v2, off, s[0:3], 0 offset:52
	buffer_store_dword v1, off, s[0:3], 0 offset:48
	;; [unrolled: 1-line block ×4, first 2 shown]
	v_cmpx_lt_u32_e32 1, v0
	s_cbranch_execz .LBB50_317
; %bb.316:
	v_mov_b32_e32 v4, s62
	v_mov_b32_e32 v5, 0
	s_clause 0x3
	buffer_load_dword v1, v4, s[0:3], 0 offen
	buffer_load_dword v2, v4, s[0:3], 0 offen offset:4
	buffer_load_dword v3, v4, s[0:3], 0 offen offset:8
	;; [unrolled: 1-line block ×3, first 2 shown]
	buffer_store_dword v5, off, s[0:3], 0 offset:32
	buffer_store_dword v5, off, s[0:3], 0 offset:36
	;; [unrolled: 1-line block ×4, first 2 shown]
	s_waitcnt vmcnt(0)
	ds_write_b128 v85, v[1:4]
.LBB50_317:
	s_or_b32 exec_lo, exec_lo, s4
	s_waitcnt lgkmcnt(0)
	s_waitcnt_vscnt null, 0x0
	s_barrier
	buffer_gl0_inv
	s_clause 0x37
	buffer_load_dword v17, off, s[0:3], 0 offset:56
	buffer_load_dword v18, off, s[0:3], 0 offset:60
	;; [unrolled: 1-line block ×56, first 2 shown]
	v_mov_b32_e32 v86, 0
	s_mov_b32 s4, exec_lo
	ds_read_b128 v[5:8], v86 offset:848
	s_clause 0x2
	buffer_load_dword v82, off, s[0:3], 0 offset:284
	buffer_load_dword v84, off, s[0:3], 0 offset:260
	;; [unrolled: 1-line block ×3, first 2 shown]
	ds_read_b128 v[1:4], v86 offset:864
	s_clause 0x4
	buffer_load_dword v94, off, s[0:3], 0 offset:300
	buffer_load_dword v95, off, s[0:3], 0 offset:312
	buffer_load_dword v97, off, s[0:3], 0 offset:304
	buffer_load_dword v93, off, s[0:3], 0 offset:296
	buffer_load_dword v74, off, s[0:3], 0 offset:276
	ds_read_b128 v[87:90], v86 offset:880
	s_waitcnt vmcnt(62) lgkmcnt(2)
	v_mul_f64 v[91:92], v[7:8], v[17:18]
	v_mul_f64 v[17:18], v[5:6], v[17:18]
	s_waitcnt vmcnt(60) lgkmcnt(1)
	v_mul_f64 v[98:99], v[3:4], v[13:14]
	v_mul_f64 v[13:14], v[1:2], v[13:14]
	;; [unrolled: 3-line block ×3, first 2 shown]
	v_fma_f64 v[91:92], v[5:6], v[15:16], -v[91:92]
	v_fma_f64 v[15:16], v[7:8], v[15:16], v[17:18]
	s_clause 0x2
	buffer_load_dword v96, off, s[0:3], 0 offset:316
	buffer_load_dword v18, off, s[0:3], 0 offset:292
	;; [unrolled: 1-line block ×3, first 2 shown]
	s_waitcnt vmcnt(57)
	v_fma_f64 v[102:103], v[1:2], v[9:10], -v[98:99]
	ds_read_b128 v[5:8], v86 offset:896
	v_fma_f64 v[9:10], v[3:4], v[9:10], v[13:14]
	s_waitcnt vmcnt(51)
	v_fma_f64 v[87:88], v[87:88], v[33:34], -v[11:12]
	v_fma_f64 v[33:34], v[89:90], v[33:34], v[100:101]
	v_add_f64 v[91:92], v[91:92], 0
	v_add_f64 v[13:14], v[15:16], 0
	s_clause 0x4
	buffer_load_dword v16, off, s[0:3], 0 offset:332
	buffer_load_dword v99, off, s[0:3], 0 offset:344
	;; [unrolled: 1-line block ×5, first 2 shown]
	s_waitcnt lgkmcnt(0)
	v_mul_f64 v[105:106], v[5:6], v[21:22]
	v_mul_f64 v[21:22], v[7:8], v[21:22]
	ds_read_b128 v[1:4], v86 offset:912
	s_clause 0x2
	buffer_load_dword v100, off, s[0:3], 0 offset:348
	buffer_load_dword v90, off, s[0:3], 0 offset:324
	;; [unrolled: 1-line block ×3, first 2 shown]
	v_add_f64 v[91:92], v[91:92], v[102:103]
	v_add_f64 v[13:14], v[13:14], v[9:10]
	ds_read_b128 v[9:12], v86 offset:928
	s_waitcnt vmcnt(58) lgkmcnt(1)
	v_mul_f64 v[101:102], v[1:2], v[25:26]
	v_mul_f64 v[25:26], v[3:4], v[25:26]
	s_waitcnt vmcnt(56)
	v_fma_f64 v[21:22], v[5:6], v[27:28], -v[21:22]
	v_fma_f64 v[27:28], v[7:8], v[27:28], v[105:106]
	s_waitcnt vmcnt(52) lgkmcnt(0)
	v_mul_f64 v[107:108], v[9:10], v[29:30]
	v_add_f64 v[87:88], v[91:92], v[87:88]
	v_add_f64 v[13:14], v[13:14], v[33:34]
	s_clause 0x4
	buffer_load_dword v34, off, s[0:3], 0 offset:364
	buffer_load_dword v91, off, s[0:3], 0 offset:376
	;; [unrolled: 1-line block ×5, first 2 shown]
	v_mul_f64 v[29:30], v[11:12], v[29:30]
	s_waitcnt vmcnt(56)
	v_fma_f64 v[25:26], v[1:2], v[19:20], -v[25:26]
	ds_read_b128 v[5:8], v86 offset:944
	v_fma_f64 v[19:20], v[3:4], v[19:20], v[101:102]
	v_add_f64 v[21:22], v[87:88], v[21:22]
	v_add_f64 v[13:14], v[13:14], v[27:28]
	s_clause 0x2
	buffer_load_dword v92, off, s[0:3], 0 offset:380
	buffer_load_dword v28, off, s[0:3], 0 offset:356
	;; [unrolled: 1-line block ×3, first 2 shown]
	s_waitcnt vmcnt(58) lgkmcnt(0)
	v_mul_f64 v[87:88], v[5:6], v[35:36]
	v_mul_f64 v[35:36], v[7:8], v[35:36]
	s_waitcnt vmcnt(56)
	v_fma_f64 v[29:30], v[9:10], v[53:54], -v[29:30]
	ds_read_b128 v[1:4], v86 offset:960
	v_add_f64 v[21:22], v[21:22], v[25:26]
	v_fma_f64 v[25:26], v[11:12], v[53:54], v[107:108]
	v_add_f64 v[13:14], v[13:14], v[19:20]
	s_clause 0x4
	buffer_load_dword v20, off, s[0:3], 0 offset:396
	buffer_load_dword v53, off, s[0:3], 0 offset:408
	;; [unrolled: 1-line block ×5, first 2 shown]
	s_waitcnt vmcnt(57) lgkmcnt(0)
	v_mul_f64 v[102:103], v[1:2], v[55:56]
	v_mul_f64 v[55:56], v[3:4], v[55:56]
	s_waitcnt vmcnt(56)
	v_fma_f64 v[35:36], v[5:6], v[23:24], -v[35:36]
	ds_read_b128 v[9:12], v86 offset:976
	v_fma_f64 v[23:24], v[7:8], v[23:24], v[87:88]
	v_add_f64 v[21:22], v[21:22], v[29:30]
	v_add_f64 v[13:14], v[13:14], v[25:26]
	s_clause 0x2
	buffer_load_dword v54, off, s[0:3], 0 offset:412
	buffer_load_dword v26, off, s[0:3], 0 offset:388
	;; [unrolled: 1-line block ×3, first 2 shown]
	ds_read_b128 v[5:8], v86 offset:992
	s_waitcnt vmcnt(58) lgkmcnt(1)
	v_mul_f64 v[29:30], v[9:10], v[59:60]
	v_mul_f64 v[59:60], v[11:12], v[59:60]
	s_waitcnt vmcnt(56)
	v_fma_f64 v[55:56], v[1:2], v[61:62], -v[55:56]
	v_add_f64 v[21:22], v[21:22], v[35:36]
	v_fma_f64 v[35:36], v[3:4], v[61:62], v[102:103]
	v_add_f64 v[13:14], v[13:14], v[23:24]
	s_clause 0x4
	buffer_load_dword v24, off, s[0:3], 0 offset:428
	buffer_load_dword v61, off, s[0:3], 0 offset:440
	;; [unrolled: 1-line block ×5, first 2 shown]
	s_waitcnt vmcnt(57) lgkmcnt(0)
	v_mul_f64 v[108:109], v[5:6], v[63:64]
	v_mul_f64 v[63:64], v[7:8], v[63:64]
	s_waitcnt vmcnt(56)
	v_fma_f64 v[59:60], v[9:10], v[31:32], -v[59:60]
	ds_read_b128 v[1:4], v86 offset:1008
	v_fma_f64 v[29:30], v[11:12], v[31:32], v[29:30]
	s_clause 0x2
	buffer_load_dword v62, off, s[0:3], 0 offset:444
	buffer_load_dword v32, off, s[0:3], 0 offset:420
	;; [unrolled: 1-line block ×3, first 2 shown]
	ds_read_b128 v[9:12], v86 offset:1024
	v_add_f64 v[21:22], v[21:22], v[55:56]
	v_add_f64 v[13:14], v[13:14], v[35:36]
	s_waitcnt vmcnt(58) lgkmcnt(1)
	v_mul_f64 v[55:56], v[3:4], v[67:68]
	s_waitcnt vmcnt(56)
	v_fma_f64 v[63:64], v[5:6], v[69:70], -v[63:64]
	v_mul_f64 v[35:36], v[1:2], v[67:68]
	v_add_f64 v[21:22], v[21:22], v[59:60]
	v_fma_f64 v[59:60], v[7:8], v[69:70], v[108:109]
	v_add_f64 v[13:14], v[13:14], v[29:30]
	s_clause 0x4
	buffer_load_dword v30, off, s[0:3], 0 offset:460
	buffer_load_dword v67, off, s[0:3], 0 offset:472
	;; [unrolled: 1-line block ×5, first 2 shown]
	s_waitcnt vmcnt(57) lgkmcnt(0)
	v_mul_f64 v[108:109], v[9:10], v[71:72]
	v_mul_f64 v[70:71], v[11:12], v[71:72]
	s_waitcnt vmcnt(56)
	v_fma_f64 v[55:56], v[1:2], v[57:58], -v[55:56]
	ds_read_b128 v[5:8], v86 offset:1040
	v_fma_f64 v[35:36], v[3:4], v[57:58], v[35:36]
	s_clause 0x2
	buffer_load_dword v68, off, s[0:3], 0 offset:476
	buffer_load_dword v58, off, s[0:3], 0 offset:452
	;; [unrolled: 1-line block ×3, first 2 shown]
	ds_read_b128 v[1:4], v86 offset:1056
	v_add_f64 v[21:22], v[21:22], v[63:64]
	v_add_f64 v[13:14], v[13:14], v[59:60]
	s_waitcnt vmcnt(58) lgkmcnt(1)
	v_mul_f64 v[63:64], v[7:8], v[75:76]
	s_waitcnt vmcnt(56)
	v_fma_f64 v[71:72], v[9:10], v[77:78], -v[70:71]
	v_mul_f64 v[59:60], v[5:6], v[75:76]
	v_add_f64 v[21:22], v[21:22], v[55:56]
	v_fma_f64 v[55:56], v[11:12], v[77:78], v[108:109]
	v_add_f64 v[13:14], v[13:14], v[35:36]
	s_clause 0x4
	buffer_load_dword v36, off, s[0:3], 0 offset:492
	buffer_load_dword v75, off, s[0:3], 0 offset:504
	;; [unrolled: 1-line block ×5, first 2 shown]
	s_waitcnt vmcnt(57) lgkmcnt(0)
	v_mul_f64 v[108:109], v[1:2], v[79:80]
	v_mul_f64 v[78:79], v[3:4], v[79:80]
	s_waitcnt vmcnt(56)
	v_fma_f64 v[63:64], v[5:6], v[65:66], -v[63:64]
	ds_read_b128 v[9:12], v86 offset:1072
	v_fma_f64 v[59:60], v[7:8], v[65:66], v[59:60]
	v_add_f64 v[21:22], v[21:22], v[71:72]
	v_add_f64 v[13:14], v[13:14], v[55:56]
	s_clause 0x2
	buffer_load_dword v76, off, s[0:3], 0 offset:508
	buffer_load_dword v56, off, s[0:3], 0 offset:484
	;; [unrolled: 1-line block ×3, first 2 shown]
	ds_read_b128 v[5:8], v86 offset:1088
	s_waitcnt vmcnt(58) lgkmcnt(1)
	v_mul_f64 v[71:72], v[11:12], v[81:82]
	s_waitcnt vmcnt(56)
	v_fma_f64 v[79:80], v[1:2], v[83:84], -v[78:79]
	v_mul_f64 v[65:66], v[9:10], v[81:82]
	v_add_f64 v[21:22], v[21:22], v[63:64]
	v_fma_f64 v[63:64], v[3:4], v[83:84], v[108:109]
	v_add_f64 v[13:14], v[13:14], v[59:60]
	s_clause 0x4
	buffer_load_dword v60, off, s[0:3], 0 offset:524
	buffer_load_dword v81, off, s[0:3], 0 offset:536
	;; [unrolled: 1-line block ×5, first 2 shown]
	s_waitcnt vmcnt(57) lgkmcnt(0)
	v_mul_f64 v[108:109], v[5:6], v[93:94]
	v_mul_f64 v[93:94], v[7:8], v[93:94]
	s_waitcnt vmcnt(56)
	v_fma_f64 v[71:72], v[9:10], v[73:74], -v[71:72]
	ds_read_b128 v[1:4], v86 offset:1104
	v_fma_f64 v[65:66], v[11:12], v[73:74], v[65:66]
	v_add_f64 v[21:22], v[21:22], v[79:80]
	v_add_f64 v[13:14], v[13:14], v[63:64]
	s_clause 0x2
	buffer_load_dword v82, off, s[0:3], 0 offset:540
	buffer_load_dword v64, off, s[0:3], 0 offset:516
	buffer_load_dword v63, off, s[0:3], 0 offset:512
	ds_read_b128 v[9:12], v86 offset:1120
	s_waitcnt vmcnt(58) lgkmcnt(1)
	v_mul_f64 v[79:80], v[3:4], v[95:96]
	v_mul_f64 v[73:74], v[1:2], v[95:96]
	s_waitcnt vmcnt(56)
	v_fma_f64 v[93:94], v[5:6], v[17:18], -v[93:94]
	v_fma_f64 v[17:18], v[7:8], v[17:18], v[108:109]
	v_add_f64 v[21:22], v[21:22], v[71:72]
	v_add_f64 v[13:14], v[13:14], v[65:66]
	s_clause 0x4
	buffer_load_dword v66, off, s[0:3], 0 offset:556
	buffer_load_dword v71, off, s[0:3], 0 offset:568
	;; [unrolled: 1-line block ×5, first 2 shown]
	ds_read_b128 v[5:8], v86 offset:1136
	s_waitcnt vmcnt(57) lgkmcnt(1)
	v_mul_f64 v[108:109], v[9:10], v[15:16]
	v_mul_f64 v[15:16], v[11:12], v[15:16]
	s_waitcnt vmcnt(56)
	v_fma_f64 v[79:80], v[1:2], v[97:98], -v[79:80]
	v_fma_f64 v[73:74], v[3:4], v[97:98], v[73:74]
	v_add_f64 v[21:22], v[21:22], v[93:94]
	v_add_f64 v[13:14], v[13:14], v[17:18]
	s_clause 0x2
	buffer_load_dword v72, off, s[0:3], 0 offset:572
	buffer_load_dword v18, off, s[0:3], 0 offset:548
	;; [unrolled: 1-line block ×3, first 2 shown]
	s_waitcnt vmcnt(58) lgkmcnt(0)
	v_mul_f64 v[97:98], v[7:8], v[99:100]
	ds_read_b128 v[1:4], v86 offset:1152
	v_mul_f64 v[93:94], v[5:6], v[99:100]
	s_waitcnt vmcnt(56)
	v_fma_f64 v[15:16], v[9:10], v[89:90], -v[15:16]
	v_add_f64 v[21:22], v[21:22], v[79:80]
	v_fma_f64 v[79:80], v[11:12], v[89:90], v[108:109]
	v_add_f64 v[13:14], v[13:14], v[73:74]
	s_clause 0x4
	buffer_load_dword v74, off, s[0:3], 0 offset:588
	buffer_load_dword v89, off, s[0:3], 0 offset:600
	;; [unrolled: 1-line block ×5, first 2 shown]
	ds_read_b128 v[9:12], v86 offset:1168
	s_waitcnt vmcnt(57) lgkmcnt(1)
	v_mul_f64 v[108:109], v[1:2], v[33:34]
	v_mul_f64 v[33:34], v[3:4], v[33:34]
	s_waitcnt vmcnt(56)
	v_fma_f64 v[97:98], v[5:6], v[104:105], -v[97:98]
	v_add_f64 v[15:16], v[21:22], v[15:16]
	v_fma_f64 v[21:22], v[7:8], v[104:105], v[93:94]
	v_add_f64 v[13:14], v[13:14], v[79:80]
	s_clause 0x2
	buffer_load_dword v90, off, s[0:3], 0 offset:604
	buffer_load_dword v80, off, s[0:3], 0 offset:580
	;; [unrolled: 1-line block ×3, first 2 shown]
	ds_read_b128 v[5:8], v86 offset:1184
	s_waitcnt vmcnt(58) lgkmcnt(1)
	v_mul_f64 v[93:94], v[9:10], v[91:92]
	v_mul_f64 v[91:92], v[11:12], v[91:92]
	s_waitcnt vmcnt(56)
	v_fma_f64 v[33:34], v[1:2], v[27:28], -v[33:34]
	v_fma_f64 v[27:28], v[3:4], v[27:28], v[108:109]
	v_add_f64 v[15:16], v[15:16], v[97:98]
	v_add_f64 v[13:14], v[13:14], v[21:22]
	s_clause 0x4
	buffer_load_dword v22, off, s[0:3], 0 offset:620
	buffer_load_dword v97, off, s[0:3], 0 offset:632
	;; [unrolled: 1-line block ×5, first 2 shown]
	ds_read_b128 v[1:4], v86 offset:1200
	s_waitcnt vmcnt(57) lgkmcnt(1)
	v_mul_f64 v[104:105], v[5:6], v[19:20]
	v_mul_f64 v[19:20], v[7:8], v[19:20]
	s_waitcnt vmcnt(56)
	v_fma_f64 v[91:92], v[9:10], v[106:107], -v[91:92]
	v_add_f64 v[15:16], v[15:16], v[33:34]
	v_fma_f64 v[33:34], v[11:12], v[106:107], v[93:94]
	v_add_f64 v[13:14], v[13:14], v[27:28]
	s_clause 0x2
	buffer_load_dword v98, off, s[0:3], 0 offset:636
	buffer_load_dword v28, off, s[0:3], 0 offset:612
	;; [unrolled: 1-line block ×3, first 2 shown]
	ds_read_b128 v[9:12], v86 offset:1216
	s_waitcnt vmcnt(58) lgkmcnt(1)
	v_mul_f64 v[93:94], v[1:2], v[53:54]
	v_mul_f64 v[53:54], v[3:4], v[53:54]
	s_waitcnt vmcnt(56)
	v_fma_f64 v[19:20], v[5:6], v[25:26], -v[19:20]
	v_fma_f64 v[25:26], v[7:8], v[25:26], v[104:105]
	v_add_f64 v[15:16], v[15:16], v[91:92]
	v_add_f64 v[13:14], v[13:14], v[33:34]
	s_clause 0x4
	buffer_load_dword v34, off, s[0:3], 0 offset:652
	buffer_load_dword v91, off, s[0:3], 0 offset:664
	;; [unrolled: 1-line block ×5, first 2 shown]
	ds_read_b128 v[5:8], v86 offset:1232
	s_waitcnt vmcnt(57) lgkmcnt(1)
	v_mul_f64 v[106:107], v[9:10], v[23:24]
	v_mul_f64 v[23:24], v[11:12], v[23:24]
	s_waitcnt vmcnt(56)
	v_fma_f64 v[53:54], v[1:2], v[101:102], -v[53:54]
	v_add_f64 v[15:16], v[15:16], v[19:20]
	v_fma_f64 v[19:20], v[3:4], v[101:102], v[93:94]
	v_add_f64 v[13:14], v[13:14], v[25:26]
	s_clause 0x2
	buffer_load_dword v92, off, s[0:3], 0 offset:668
	buffer_load_dword v26, off, s[0:3], 0 offset:644
	;; [unrolled: 1-line block ×3, first 2 shown]
	s_waitcnt vmcnt(58) lgkmcnt(0)
	v_mul_f64 v[93:94], v[5:6], v[61:62]
	v_mul_f64 v[61:62], v[7:8], v[61:62]
	ds_read_b128 v[1:4], v86 offset:1248
	s_waitcnt vmcnt(56)
	v_fma_f64 v[23:24], v[9:10], v[31:32], -v[23:24]
	v_fma_f64 v[31:32], v[11:12], v[31:32], v[106:107]
	v_add_f64 v[15:16], v[15:16], v[53:54]
	v_add_f64 v[13:14], v[13:14], v[19:20]
	s_clause 0x4
	buffer_load_dword v20, off, s[0:3], 0 offset:684
	buffer_load_dword v53, off, s[0:3], 0 offset:696
	;; [unrolled: 1-line block ×5, first 2 shown]
	ds_read_b128 v[9:12], v86 offset:1264
	s_waitcnt vmcnt(57) lgkmcnt(1)
	v_mul_f64 v[107:108], v[1:2], v[29:30]
	v_mul_f64 v[29:30], v[3:4], v[29:30]
	s_waitcnt vmcnt(56)
	v_fma_f64 v[61:62], v[5:6], v[87:88], -v[61:62]
	v_add_f64 v[15:16], v[15:16], v[23:24]
	v_fma_f64 v[23:24], v[7:8], v[87:88], v[93:94]
	v_add_f64 v[13:14], v[13:14], v[31:32]
	s_clause 0x2
	buffer_load_dword v54, off, s[0:3], 0 offset:700
	buffer_load_dword v32, off, s[0:3], 0 offset:676
	;; [unrolled: 1-line block ×3, first 2 shown]
	s_waitcnt vmcnt(58) lgkmcnt(0)
	v_mul_f64 v[87:88], v[9:10], v[67:68]
	v_mul_f64 v[67:68], v[11:12], v[67:68]
	ds_read_b128 v[5:8], v86 offset:1280
	s_waitcnt vmcnt(56)
	v_fma_f64 v[29:30], v[1:2], v[57:58], -v[29:30]
	v_fma_f64 v[57:58], v[3:4], v[57:58], v[107:108]
	v_add_f64 v[15:16], v[15:16], v[61:62]
	v_add_f64 v[13:14], v[13:14], v[23:24]
	s_clause 0x4
	buffer_load_dword v24, off, s[0:3], 0 offset:716
	buffer_load_dword v61, off, s[0:3], 0 offset:728
	buffer_load_dword v93, off, s[0:3], 0 offset:720
	buffer_load_dword v23, off, s[0:3], 0 offset:712
	buffer_load_dword v102, off, s[0:3], 0 offset:692
	ds_read_b128 v[1:4], v86 offset:1296
	s_waitcnt vmcnt(57) lgkmcnt(1)
	v_mul_f64 v[107:108], v[5:6], v[35:36]
	v_mul_f64 v[35:36], v[7:8], v[35:36]
	s_waitcnt vmcnt(56)
	v_fma_f64 v[67:68], v[9:10], v[69:70], -v[67:68]
	v_add_f64 v[15:16], v[15:16], v[29:30]
	v_fma_f64 v[29:30], v[11:12], v[69:70], v[87:88]
	v_add_f64 v[13:14], v[13:14], v[57:58]
	s_clause 0x2
	buffer_load_dword v62, off, s[0:3], 0 offset:732
	buffer_load_dword v58, off, s[0:3], 0 offset:708
	buffer_load_dword v57, off, s[0:3], 0 offset:704
	ds_read_b128 v[9:12], v86 offset:1312
	s_waitcnt vmcnt(58) lgkmcnt(1)
	v_mul_f64 v[69:70], v[1:2], v[75:76]
	v_mul_f64 v[75:76], v[3:4], v[75:76]
	s_waitcnt vmcnt(56)
	v_fma_f64 v[35:36], v[5:6], v[55:56], -v[35:36]
	v_fma_f64 v[55:56], v[7:8], v[55:56], v[107:108]
	v_add_f64 v[15:16], v[15:16], v[67:68]
	v_add_f64 v[13:14], v[13:14], v[29:30]
	s_clause 0x4
	buffer_load_dword v30, off, s[0:3], 0 offset:748
	buffer_load_dword v67, off, s[0:3], 0 offset:760
	buffer_load_dword v87, off, s[0:3], 0 offset:752
	buffer_load_dword v29, off, s[0:3], 0 offset:744
	buffer_load_dword v94, off, s[0:3], 0 offset:724
	ds_read_b128 v[5:8], v86 offset:1328
	s_waitcnt vmcnt(57) lgkmcnt(1)
	v_mul_f64 v[107:108], v[9:10], v[59:60]
	v_mul_f64 v[59:60], v[11:12], v[59:60]
	s_waitcnt vmcnt(56)
	v_fma_f64 v[75:76], v[1:2], v[77:78], -v[75:76]
	v_add_f64 v[15:16], v[15:16], v[35:36]
	v_fma_f64 v[35:36], v[3:4], v[77:78], v[69:70]
	v_add_f64 v[13:14], v[13:14], v[55:56]
	s_clause 0x2
	buffer_load_dword v68, off, s[0:3], 0 offset:764
	buffer_load_dword v56, off, s[0:3], 0 offset:740
	buffer_load_dword v55, off, s[0:3], 0 offset:736
	ds_read_b128 v[1:4], v86 offset:1344
	s_waitcnt vmcnt(58) lgkmcnt(1)
	v_mul_f64 v[77:78], v[7:8], v[81:82]
	v_mul_f64 v[69:70], v[5:6], v[81:82]
	s_waitcnt vmcnt(56)
	v_fma_f64 v[59:60], v[9:10], v[63:64], -v[59:60]
	v_fma_f64 v[63:64], v[11:12], v[63:64], v[107:108]
	v_add_f64 v[15:16], v[15:16], v[75:76]
	v_add_f64 v[13:14], v[13:14], v[35:36]
	s_clause 0x4
	buffer_load_dword v36, off, s[0:3], 0 offset:780
	buffer_load_dword v75, off, s[0:3], 0 offset:792
	buffer_load_dword v81, off, s[0:3], 0 offset:784
	buffer_load_dword v35, off, s[0:3], 0 offset:776
	buffer_load_dword v88, off, s[0:3], 0 offset:756
	ds_read_b128 v[9:12], v86 offset:1360
	s_waitcnt vmcnt(57) lgkmcnt(1)
	v_mul_f64 v[107:108], v[1:2], v[65:66]
	v_mul_f64 v[65:66], v[3:4], v[65:66]
	s_waitcnt vmcnt(56)
	v_fma_f64 v[77:78], v[5:6], v[83:84], -v[77:78]
	v_add_f64 v[15:16], v[15:16], v[59:60]
	v_fma_f64 v[59:60], v[7:8], v[83:84], v[69:70]
	v_add_f64 v[13:14], v[13:14], v[63:64]
	s_clause 0x2
	buffer_load_dword v76, off, s[0:3], 0 offset:796
	buffer_load_dword v64, off, s[0:3], 0 offset:772
	buffer_load_dword v63, off, s[0:3], 0 offset:768
	ds_read_b128 v[5:8], v86 offset:1376
	s_waitcnt vmcnt(58) lgkmcnt(1)
	v_mul_f64 v[69:70], v[9:10], v[71:72]
	v_mul_f64 v[71:72], v[11:12], v[71:72]
	s_waitcnt vmcnt(56)
	v_fma_f64 v[65:66], v[1:2], v[17:18], -v[65:66]
	v_fma_f64 v[17:18], v[3:4], v[17:18], v[107:108]
	v_add_f64 v[15:16], v[15:16], v[77:78]
	v_add_f64 v[13:14], v[13:14], v[59:60]
	s_clause 0x4
	buffer_load_dword v60, off, s[0:3], 0 offset:812
	buffer_load_dword v77, off, s[0:3], 0 offset:824
	;; [unrolled: 1-line block ×5, first 2 shown]
	ds_read_b128 v[1:4], v86 offset:1392
	s_waitcnt vmcnt(57) lgkmcnt(1)
	v_mul_f64 v[107:108], v[5:6], v[73:74]
	v_mul_f64 v[73:74], v[7:8], v[73:74]
	s_waitcnt vmcnt(56)
	v_fma_f64 v[71:72], v[9:10], v[95:96], -v[71:72]
	v_add_f64 v[15:16], v[15:16], v[65:66]
	v_fma_f64 v[65:66], v[11:12], v[95:96], v[69:70]
	v_add_f64 v[13:14], v[13:14], v[17:18]
	s_clause 0x2
	buffer_load_dword v78, off, s[0:3], 0 offset:828
	buffer_load_dword v18, off, s[0:3], 0 offset:804
	;; [unrolled: 1-line block ×3, first 2 shown]
	ds_read_b128 v[9:12], v86 offset:1408
	buffer_load_dword v84, off, s[0:3], 0 offset:820
	s_waitcnt vmcnt(59) lgkmcnt(1)
	v_mul_f64 v[69:70], v[1:2], v[89:90]
	v_mul_f64 v[89:90], v[3:4], v[89:90]
	s_waitcnt vmcnt(57)
	v_fma_f64 v[73:74], v[5:6], v[79:80], -v[73:74]
	v_add_f64 v[15:16], v[15:16], v[71:72]
	v_fma_f64 v[71:72], v[7:8], v[79:80], v[107:108]
	v_add_f64 v[13:14], v[13:14], v[65:66]
	ds_read_b128 v[5:8], v86 offset:1424
	s_waitcnt vmcnt(53) lgkmcnt(1)
	v_mul_f64 v[65:66], v[9:10], v[21:22]
	v_mul_f64 v[21:22], v[11:12], v[21:22]
	s_waitcnt vmcnt(52)
	v_fma_f64 v[79:80], v[1:2], v[99:100], -v[89:90]
	v_fma_f64 v[69:70], v[3:4], v[99:100], v[69:70]
	ds_read_b128 v[1:4], v86 offset:1440
	v_add_f64 v[15:16], v[15:16], v[73:74]
	v_add_f64 v[13:14], v[13:14], v[71:72]
	s_waitcnt vmcnt(51) lgkmcnt(1)
	v_mul_f64 v[73:74], v[7:8], v[97:98]
	v_mul_f64 v[71:72], v[5:6], v[97:98]
	s_waitcnt vmcnt(49)
	v_fma_f64 v[21:22], v[9:10], v[27:28], -v[21:22]
	v_fma_f64 v[27:28], v[11:12], v[27:28], v[65:66]
	v_add_f64 v[15:16], v[15:16], v[79:80]
	v_add_f64 v[13:14], v[13:14], v[69:70]
	s_clause 0x3
	buffer_load_dword v65, off, s[0:3], 0 offset:32
	buffer_load_dword v66, off, s[0:3], 0 offset:36
	buffer_load_dword v69, off, s[0:3], 0 offset:40
	buffer_load_dword v70, off, s[0:3], 0 offset:44
	ds_read_b128 v[9:12], v86 offset:1456
	s_waitcnt vmcnt(49) lgkmcnt(1)
	v_mul_f64 v[79:80], v[1:2], v[33:34]
	v_mul_f64 v[33:34], v[3:4], v[33:34]
	s_waitcnt vmcnt(48)
	v_fma_f64 v[73:74], v[5:6], v[103:104], -v[73:74]
	v_add_f64 v[15:16], v[15:16], v[21:22]
	v_fma_f64 v[21:22], v[7:8], v[103:104], v[71:72]
	v_add_f64 v[13:14], v[13:14], v[27:28]
	ds_read_b128 v[5:8], v86 offset:1472
	s_waitcnt vmcnt(47) lgkmcnt(1)
	v_mul_f64 v[71:72], v[11:12], v[91:92]
	v_mul_f64 v[27:28], v[9:10], v[91:92]
	s_waitcnt vmcnt(45)
	v_fma_f64 v[33:34], v[1:2], v[25:26], -v[33:34]
	v_fma_f64 v[25:26], v[3:4], v[25:26], v[79:80]
	ds_read_b128 v[1:4], v86 offset:1488
	v_add_f64 v[15:16], v[15:16], v[73:74]
	v_add_f64 v[13:14], v[13:14], v[21:22]
	s_waitcnt vmcnt(41) lgkmcnt(1)
	v_mul_f64 v[21:22], v[5:6], v[19:20]
	v_mul_f64 v[19:20], v[7:8], v[19:20]
	s_waitcnt vmcnt(40)
	v_fma_f64 v[71:72], v[9:10], v[105:106], -v[71:72]
	v_fma_f64 v[27:28], v[11:12], v[105:106], v[27:28]
	ds_read_b128 v[9:12], v86 offset:1504
	v_add_f64 v[15:16], v[15:16], v[33:34]
	v_add_f64 v[13:14], v[13:14], v[25:26]
	;; [unrolled: 9-line block ×3, first 2 shown]
	s_waitcnt vmcnt(33) lgkmcnt(1)
	v_mul_f64 v[27:28], v[9:10], v[23:24]
	v_mul_f64 v[23:24], v[11:12], v[23:24]
	s_waitcnt vmcnt(32)
	v_fma_f64 v[31:32], v[1:2], v[101:102], -v[33:34]
	v_add_f64 v[15:16], v[15:16], v[19:20]
	v_fma_f64 v[19:20], v[3:4], v[101:102], v[25:26]
	v_add_f64 v[13:14], v[13:14], v[21:22]
	ds_read_b128 v[1:4], v86 offset:1536
	s_waitcnt vmcnt(31) lgkmcnt(1)
	v_mul_f64 v[25:26], v[7:8], v[61:62]
	v_mul_f64 v[21:22], v[5:6], v[61:62]
	s_waitcnt vmcnt(29)
	v_fma_f64 v[23:24], v[9:10], v[57:58], -v[23:24]
	v_fma_f64 v[27:28], v[11:12], v[57:58], v[27:28]
	ds_read_b128 v[9:12], v86 offset:1552
	v_add_f64 v[15:16], v[15:16], v[31:32]
	v_add_f64 v[13:14], v[13:14], v[19:20]
	s_waitcnt vmcnt(25) lgkmcnt(1)
	v_mul_f64 v[19:20], v[1:2], v[29:30]
	v_mul_f64 v[29:30], v[3:4], v[29:30]
	s_waitcnt vmcnt(24)
	v_fma_f64 v[25:26], v[5:6], v[93:94], -v[25:26]
	v_fma_f64 v[21:22], v[7:8], v[93:94], v[21:22]
	ds_read_b128 v[5:8], v86 offset:1568
	v_add_f64 v[15:16], v[15:16], v[23:24]
	v_add_f64 v[13:14], v[13:14], v[27:28]
	;; [unrolled: 9-line block ×3, first 2 shown]
	s_waitcnt vmcnt(17) lgkmcnt(1)
	v_mul_f64 v[25:26], v[7:8], v[35:36]
	s_waitcnt vmcnt(16)
	v_fma_f64 v[27:28], v[9:10], v[87:88], -v[27:28]
	v_mul_f64 v[21:22], v[5:6], v[35:36]
	v_fma_f64 v[23:24], v[11:12], v[87:88], v[23:24]
	ds_read_b128 v[9:12], v86 offset:1600
	v_add_f64 v[15:16], v[15:16], v[29:30]
	v_add_f64 v[13:14], v[13:14], v[19:20]
	s_waitcnt vmcnt(15) lgkmcnt(1)
	v_mul_f64 v[29:30], v[3:4], v[75:76]
	v_mul_f64 v[19:20], v[1:2], v[75:76]
	s_waitcnt vmcnt(13)
	v_fma_f64 v[25:26], v[5:6], v[63:64], -v[25:26]
	v_fma_f64 v[21:22], v[7:8], v[63:64], v[21:22]
	ds_read_b128 v[5:8], v86 offset:1616
	v_add_f64 v[15:16], v[15:16], v[27:28]
	v_add_f64 v[13:14], v[13:14], v[23:24]
	s_waitcnt vmcnt(9) lgkmcnt(1)
	v_mul_f64 v[27:28], v[11:12], v[59:60]
	s_waitcnt vmcnt(8)
	v_fma_f64 v[1:2], v[1:2], v[81:82], -v[29:30]
	v_mul_f64 v[23:24], v[9:10], v[59:60]
	v_fma_f64 v[3:4], v[3:4], v[81:82], v[19:20]
	v_add_f64 v[15:16], v[15:16], v[25:26]
	v_add_f64 v[13:14], v[13:14], v[21:22]
	s_waitcnt vmcnt(7) lgkmcnt(0)
	v_mul_f64 v[21:22], v[7:8], v[77:78]
	v_mul_f64 v[19:20], v[5:6], v[77:78]
	s_waitcnt vmcnt(5)
	v_fma_f64 v[9:10], v[9:10], v[17:18], -v[27:28]
	v_fma_f64 v[11:12], v[11:12], v[17:18], v[23:24]
	v_add_f64 v[1:2], v[15:16], v[1:2]
	v_add_f64 v[3:4], v[13:14], v[3:4]
	s_waitcnt vmcnt(4)
	v_fma_f64 v[5:6], v[5:6], v[83:84], -v[21:22]
	v_fma_f64 v[7:8], v[7:8], v[83:84], v[19:20]
	v_add_f64 v[1:2], v[1:2], v[9:10]
	v_add_f64 v[3:4], v[3:4], v[11:12]
	;; [unrolled: 1-line block ×4, first 2 shown]
	s_waitcnt vmcnt(2)
	v_add_f64 v[1:2], v[65:66], -v[1:2]
	s_waitcnt vmcnt(0)
	v_add_f64 v[3:4], v[69:70], -v[3:4]
	buffer_store_dword v2, off, s[0:3], 0 offset:36
	buffer_store_dword v1, off, s[0:3], 0 offset:32
	buffer_store_dword v4, off, s[0:3], 0 offset:44
	buffer_store_dword v3, off, s[0:3], 0 offset:40
	v_cmpx_ne_u32_e32 0, v0
	s_cbranch_execz .LBB50_319
; %bb.318:
	s_clause 0x3
	buffer_load_dword v0, off, s[0:3], 0 offset:16
	buffer_load_dword v1, off, s[0:3], 0 offset:20
	;; [unrolled: 1-line block ×4, first 2 shown]
	buffer_store_dword v86, off, s[0:3], 0 offset:16
	buffer_store_dword v86, off, s[0:3], 0 offset:20
	;; [unrolled: 1-line block ×4, first 2 shown]
	s_waitcnt vmcnt(0)
	ds_write_b128 v85, v[0:3]
.LBB50_319:
	s_or_b32 exec_lo, exec_lo, s4
	s_waitcnt lgkmcnt(0)
	s_waitcnt_vscnt null, 0x0
	s_barrier
	buffer_gl0_inv
	s_clause 0x37
	buffer_load_dword v16, off, s[0:3], 0 offset:40
	buffer_load_dword v17, off, s[0:3], 0 offset:44
	;; [unrolled: 1-line block ×56, first 2 shown]
	ds_read_b128 v[4:7], v86 offset:832
	s_clause 0x2
	buffer_load_dword v82, off, s[0:3], 0 offset:268
	buffer_load_dword v84, off, s[0:3], 0 offset:244
	;; [unrolled: 1-line block ×3, first 2 shown]
	ds_read_b128 v[0:3], v86 offset:848
	s_clause 0x4
	buffer_load_dword v94, off, s[0:3], 0 offset:284
	buffer_load_dword v95, off, s[0:3], 0 offset:296
	buffer_load_dword v97, off, s[0:3], 0 offset:288
	buffer_load_dword v93, off, s[0:3], 0 offset:280
	buffer_load_dword v74, off, s[0:3], 0 offset:260
	ds_read_b128 v[87:90], v86 offset:864
	s_and_b32 vcc_lo, exec_lo, s63
	s_waitcnt vmcnt(62) lgkmcnt(2)
	v_mul_f64 v[91:92], v[6:7], v[16:17]
	v_mul_f64 v[16:17], v[4:5], v[16:17]
	s_waitcnt vmcnt(60) lgkmcnt(1)
	v_mul_f64 v[98:99], v[2:3], v[12:13]
	v_mul_f64 v[12:13], v[0:1], v[12:13]
	;; [unrolled: 3-line block ×3, first 2 shown]
	v_fma_f64 v[91:92], v[4:5], v[14:15], -v[91:92]
	v_fma_f64 v[14:15], v[6:7], v[14:15], v[16:17]
	s_clause 0x2
	buffer_load_dword v96, off, s[0:3], 0 offset:300
	buffer_load_dword v17, off, s[0:3], 0 offset:276
	;; [unrolled: 1-line block ×3, first 2 shown]
	s_waitcnt vmcnt(57)
	v_fma_f64 v[102:103], v[0:1], v[8:9], -v[98:99]
	ds_read_b128 v[4:7], v86 offset:880
	v_fma_f64 v[8:9], v[2:3], v[8:9], v[12:13]
	s_waitcnt vmcnt(51)
	v_fma_f64 v[87:88], v[87:88], v[32:33], -v[10:11]
	v_fma_f64 v[32:33], v[89:90], v[32:33], v[100:101]
	v_add_f64 v[91:92], v[91:92], 0
	v_add_f64 v[12:13], v[14:15], 0
	s_clause 0x4
	buffer_load_dword v15, off, s[0:3], 0 offset:316
	buffer_load_dword v99, off, s[0:3], 0 offset:328
	;; [unrolled: 1-line block ×5, first 2 shown]
	s_waitcnt lgkmcnt(0)
	v_mul_f64 v[105:106], v[4:5], v[20:21]
	v_mul_f64 v[20:21], v[6:7], v[20:21]
	ds_read_b128 v[0:3], v86 offset:896
	s_clause 0x2
	buffer_load_dword v100, off, s[0:3], 0 offset:332
	buffer_load_dword v90, off, s[0:3], 0 offset:308
	;; [unrolled: 1-line block ×3, first 2 shown]
	v_add_f64 v[91:92], v[91:92], v[102:103]
	v_add_f64 v[12:13], v[12:13], v[8:9]
	ds_read_b128 v[8:11], v86 offset:912
	s_waitcnt vmcnt(58) lgkmcnt(1)
	v_mul_f64 v[101:102], v[0:1], v[24:25]
	v_mul_f64 v[24:25], v[2:3], v[24:25]
	s_waitcnt vmcnt(56)
	v_fma_f64 v[20:21], v[4:5], v[26:27], -v[20:21]
	v_fma_f64 v[26:27], v[6:7], v[26:27], v[105:106]
	s_waitcnt vmcnt(52) lgkmcnt(0)
	v_mul_f64 v[107:108], v[8:9], v[28:29]
	v_add_f64 v[87:88], v[91:92], v[87:88]
	v_add_f64 v[12:13], v[12:13], v[32:33]
	s_clause 0x4
	buffer_load_dword v33, off, s[0:3], 0 offset:348
	buffer_load_dword v91, off, s[0:3], 0 offset:360
	;; [unrolled: 1-line block ×5, first 2 shown]
	v_mul_f64 v[28:29], v[10:11], v[28:29]
	s_waitcnt vmcnt(56)
	v_fma_f64 v[24:25], v[0:1], v[18:19], -v[24:25]
	ds_read_b128 v[4:7], v86 offset:928
	v_fma_f64 v[18:19], v[2:3], v[18:19], v[101:102]
	v_add_f64 v[20:21], v[87:88], v[20:21]
	v_add_f64 v[12:13], v[12:13], v[26:27]
	s_clause 0x2
	buffer_load_dword v92, off, s[0:3], 0 offset:364
	buffer_load_dword v27, off, s[0:3], 0 offset:340
	;; [unrolled: 1-line block ×3, first 2 shown]
	s_waitcnt vmcnt(58) lgkmcnt(0)
	v_mul_f64 v[87:88], v[4:5], v[34:35]
	v_mul_f64 v[34:35], v[6:7], v[34:35]
	s_waitcnt vmcnt(56)
	v_fma_f64 v[28:29], v[8:9], v[53:54], -v[28:29]
	ds_read_b128 v[0:3], v86 offset:944
	v_add_f64 v[20:21], v[20:21], v[24:25]
	v_fma_f64 v[24:25], v[10:11], v[53:54], v[107:108]
	v_add_f64 v[12:13], v[12:13], v[18:19]
	s_clause 0x4
	buffer_load_dword v19, off, s[0:3], 0 offset:380
	buffer_load_dword v53, off, s[0:3], 0 offset:392
	;; [unrolled: 1-line block ×5, first 2 shown]
	s_waitcnt vmcnt(57) lgkmcnt(0)
	v_mul_f64 v[102:103], v[0:1], v[55:56]
	v_mul_f64 v[55:56], v[2:3], v[55:56]
	s_waitcnt vmcnt(56)
	v_fma_f64 v[34:35], v[4:5], v[22:23], -v[34:35]
	ds_read_b128 v[8:11], v86 offset:960
	v_fma_f64 v[22:23], v[6:7], v[22:23], v[87:88]
	v_add_f64 v[20:21], v[20:21], v[28:29]
	v_add_f64 v[12:13], v[12:13], v[24:25]
	s_clause 0x2
	buffer_load_dword v54, off, s[0:3], 0 offset:396
	buffer_load_dword v25, off, s[0:3], 0 offset:372
	;; [unrolled: 1-line block ×3, first 2 shown]
	ds_read_b128 v[4:7], v86 offset:976
	s_waitcnt vmcnt(58) lgkmcnt(1)
	v_mul_f64 v[28:29], v[8:9], v[59:60]
	v_mul_f64 v[59:60], v[10:11], v[59:60]
	s_waitcnt vmcnt(56)
	v_fma_f64 v[55:56], v[0:1], v[61:62], -v[55:56]
	v_add_f64 v[20:21], v[20:21], v[34:35]
	v_fma_f64 v[34:35], v[2:3], v[61:62], v[102:103]
	v_add_f64 v[12:13], v[12:13], v[22:23]
	s_clause 0x4
	buffer_load_dword v23, off, s[0:3], 0 offset:412
	buffer_load_dword v61, off, s[0:3], 0 offset:424
	;; [unrolled: 1-line block ×5, first 2 shown]
	s_waitcnt vmcnt(57) lgkmcnt(0)
	v_mul_f64 v[108:109], v[4:5], v[63:64]
	v_mul_f64 v[63:64], v[6:7], v[63:64]
	s_waitcnt vmcnt(56)
	v_fma_f64 v[59:60], v[8:9], v[30:31], -v[59:60]
	ds_read_b128 v[0:3], v86 offset:992
	v_fma_f64 v[28:29], v[10:11], v[30:31], v[28:29]
	s_clause 0x2
	buffer_load_dword v62, off, s[0:3], 0 offset:428
	buffer_load_dword v31, off, s[0:3], 0 offset:404
	buffer_load_dword v30, off, s[0:3], 0 offset:400
	ds_read_b128 v[8:11], v86 offset:1008
	v_add_f64 v[20:21], v[20:21], v[55:56]
	v_add_f64 v[12:13], v[12:13], v[34:35]
	s_waitcnt vmcnt(58) lgkmcnt(1)
	v_mul_f64 v[55:56], v[2:3], v[67:68]
	s_waitcnt vmcnt(56)
	v_fma_f64 v[63:64], v[4:5], v[69:70], -v[63:64]
	v_mul_f64 v[34:35], v[0:1], v[67:68]
	v_add_f64 v[20:21], v[20:21], v[59:60]
	v_fma_f64 v[59:60], v[6:7], v[69:70], v[108:109]
	v_add_f64 v[12:13], v[12:13], v[28:29]
	s_clause 0x4
	buffer_load_dword v29, off, s[0:3], 0 offset:444
	buffer_load_dword v67, off, s[0:3], 0 offset:456
	;; [unrolled: 1-line block ×5, first 2 shown]
	s_waitcnt vmcnt(57) lgkmcnt(0)
	v_mul_f64 v[108:109], v[8:9], v[71:72]
	v_mul_f64 v[70:71], v[10:11], v[71:72]
	s_waitcnt vmcnt(56)
	v_fma_f64 v[55:56], v[0:1], v[57:58], -v[55:56]
	ds_read_b128 v[4:7], v86 offset:1024
	v_fma_f64 v[34:35], v[2:3], v[57:58], v[34:35]
	s_clause 0x2
	buffer_load_dword v68, off, s[0:3], 0 offset:460
	buffer_load_dword v58, off, s[0:3], 0 offset:436
	;; [unrolled: 1-line block ×3, first 2 shown]
	ds_read_b128 v[0:3], v86 offset:1040
	v_add_f64 v[20:21], v[20:21], v[63:64]
	v_add_f64 v[12:13], v[12:13], v[59:60]
	s_waitcnt vmcnt(58) lgkmcnt(1)
	v_mul_f64 v[63:64], v[6:7], v[75:76]
	s_waitcnt vmcnt(56)
	v_fma_f64 v[71:72], v[8:9], v[77:78], -v[70:71]
	v_mul_f64 v[59:60], v[4:5], v[75:76]
	v_add_f64 v[20:21], v[20:21], v[55:56]
	v_fma_f64 v[55:56], v[10:11], v[77:78], v[108:109]
	v_add_f64 v[12:13], v[12:13], v[34:35]
	s_clause 0x4
	buffer_load_dword v35, off, s[0:3], 0 offset:476
	buffer_load_dword v75, off, s[0:3], 0 offset:488
	;; [unrolled: 1-line block ×5, first 2 shown]
	s_waitcnt vmcnt(57) lgkmcnt(0)
	v_mul_f64 v[108:109], v[0:1], v[79:80]
	v_mul_f64 v[78:79], v[2:3], v[79:80]
	s_waitcnt vmcnt(56)
	v_fma_f64 v[63:64], v[4:5], v[65:66], -v[63:64]
	ds_read_b128 v[8:11], v86 offset:1056
	v_fma_f64 v[59:60], v[6:7], v[65:66], v[59:60]
	v_add_f64 v[20:21], v[20:21], v[71:72]
	v_add_f64 v[12:13], v[12:13], v[55:56]
	s_clause 0x2
	buffer_load_dword v76, off, s[0:3], 0 offset:492
	buffer_load_dword v56, off, s[0:3], 0 offset:468
	;; [unrolled: 1-line block ×3, first 2 shown]
	ds_read_b128 v[4:7], v86 offset:1072
	s_waitcnt vmcnt(58) lgkmcnt(1)
	v_mul_f64 v[71:72], v[10:11], v[81:82]
	s_waitcnt vmcnt(56)
	v_fma_f64 v[79:80], v[0:1], v[83:84], -v[78:79]
	v_mul_f64 v[65:66], v[8:9], v[81:82]
	v_add_f64 v[20:21], v[20:21], v[63:64]
	v_fma_f64 v[63:64], v[2:3], v[83:84], v[108:109]
	v_add_f64 v[12:13], v[12:13], v[59:60]
	s_clause 0x4
	buffer_load_dword v60, off, s[0:3], 0 offset:508
	buffer_load_dword v81, off, s[0:3], 0 offset:520
	;; [unrolled: 1-line block ×5, first 2 shown]
	s_waitcnt vmcnt(57) lgkmcnt(0)
	v_mul_f64 v[84:85], v[4:5], v[93:94]
	v_mul_f64 v[93:94], v[6:7], v[93:94]
	s_waitcnt vmcnt(56)
	v_fma_f64 v[71:72], v[8:9], v[73:74], -v[71:72]
	ds_read_b128 v[0:3], v86 offset:1088
	v_fma_f64 v[65:66], v[10:11], v[73:74], v[65:66]
	v_add_f64 v[20:21], v[20:21], v[79:80]
	v_add_f64 v[12:13], v[12:13], v[63:64]
	s_clause 0x2
	buffer_load_dword v82, off, s[0:3], 0 offset:524
	buffer_load_dword v64, off, s[0:3], 0 offset:500
	buffer_load_dword v63, off, s[0:3], 0 offset:496
	ds_read_b128 v[8:11], v86 offset:1104
	s_waitcnt vmcnt(58) lgkmcnt(1)
	v_mul_f64 v[79:80], v[2:3], v[95:96]
	v_mul_f64 v[73:74], v[0:1], v[95:96]
	s_waitcnt vmcnt(56)
	v_fma_f64 v[93:94], v[4:5], v[16:17], -v[93:94]
	v_fma_f64 v[16:17], v[6:7], v[16:17], v[84:85]
	v_add_f64 v[20:21], v[20:21], v[71:72]
	v_add_f64 v[12:13], v[12:13], v[65:66]
	s_clause 0x4
	buffer_load_dword v66, off, s[0:3], 0 offset:540
	buffer_load_dword v71, off, s[0:3], 0 offset:552
	;; [unrolled: 1-line block ×5, first 2 shown]
	ds_read_b128 v[4:7], v86 offset:1120
	s_waitcnt vmcnt(57) lgkmcnt(1)
	v_mul_f64 v[108:109], v[8:9], v[14:15]
	v_mul_f64 v[14:15], v[10:11], v[14:15]
	s_waitcnt vmcnt(56)
	v_fma_f64 v[79:80], v[0:1], v[97:98], -v[79:80]
	v_fma_f64 v[73:74], v[2:3], v[97:98], v[73:74]
	v_add_f64 v[20:21], v[20:21], v[93:94]
	v_add_f64 v[12:13], v[12:13], v[16:17]
	s_clause 0x2
	buffer_load_dword v72, off, s[0:3], 0 offset:556
	buffer_load_dword v17, off, s[0:3], 0 offset:532
	;; [unrolled: 1-line block ×3, first 2 shown]
	s_waitcnt vmcnt(58) lgkmcnt(0)
	v_mul_f64 v[97:98], v[6:7], v[99:100]
	ds_read_b128 v[0:3], v86 offset:1136
	v_mul_f64 v[93:94], v[4:5], v[99:100]
	s_waitcnt vmcnt(56)
	v_fma_f64 v[14:15], v[8:9], v[89:90], -v[14:15]
	v_add_f64 v[20:21], v[20:21], v[79:80]
	v_fma_f64 v[79:80], v[10:11], v[89:90], v[108:109]
	v_add_f64 v[12:13], v[12:13], v[73:74]
	s_clause 0x4
	buffer_load_dword v74, off, s[0:3], 0 offset:572
	buffer_load_dword v89, off, s[0:3], 0 offset:584
	;; [unrolled: 1-line block ×5, first 2 shown]
	ds_read_b128 v[8:11], v86 offset:1152
	s_waitcnt vmcnt(57) lgkmcnt(1)
	v_mul_f64 v[108:109], v[0:1], v[32:33]
	v_mul_f64 v[32:33], v[2:3], v[32:33]
	s_waitcnt vmcnt(56)
	v_fma_f64 v[97:98], v[4:5], v[104:105], -v[97:98]
	v_add_f64 v[14:15], v[20:21], v[14:15]
	v_fma_f64 v[20:21], v[6:7], v[104:105], v[93:94]
	v_add_f64 v[12:13], v[12:13], v[79:80]
	s_clause 0x2
	buffer_load_dword v90, off, s[0:3], 0 offset:588
	buffer_load_dword v80, off, s[0:3], 0 offset:564
	;; [unrolled: 1-line block ×3, first 2 shown]
	ds_read_b128 v[4:7], v86 offset:1168
	s_waitcnt vmcnt(58) lgkmcnt(1)
	v_mul_f64 v[93:94], v[8:9], v[91:92]
	v_mul_f64 v[91:92], v[10:11], v[91:92]
	s_waitcnt vmcnt(56)
	v_fma_f64 v[32:33], v[0:1], v[26:27], -v[32:33]
	v_fma_f64 v[26:27], v[2:3], v[26:27], v[108:109]
	v_add_f64 v[14:15], v[14:15], v[97:98]
	v_add_f64 v[12:13], v[12:13], v[20:21]
	s_clause 0x4
	buffer_load_dword v21, off, s[0:3], 0 offset:604
	buffer_load_dword v97, off, s[0:3], 0 offset:616
	;; [unrolled: 1-line block ×5, first 2 shown]
	ds_read_b128 v[0:3], v86 offset:1184
	s_waitcnt vmcnt(57) lgkmcnt(1)
	v_mul_f64 v[104:105], v[4:5], v[18:19]
	v_mul_f64 v[18:19], v[6:7], v[18:19]
	s_waitcnt vmcnt(56)
	v_fma_f64 v[91:92], v[8:9], v[106:107], -v[91:92]
	v_add_f64 v[14:15], v[14:15], v[32:33]
	v_fma_f64 v[32:33], v[10:11], v[106:107], v[93:94]
	v_add_f64 v[12:13], v[12:13], v[26:27]
	s_clause 0x2
	buffer_load_dword v98, off, s[0:3], 0 offset:620
	buffer_load_dword v27, off, s[0:3], 0 offset:596
	;; [unrolled: 1-line block ×3, first 2 shown]
	ds_read_b128 v[8:11], v86 offset:1200
	s_waitcnt vmcnt(58) lgkmcnt(1)
	v_mul_f64 v[93:94], v[0:1], v[53:54]
	v_mul_f64 v[53:54], v[2:3], v[53:54]
	s_waitcnt vmcnt(56)
	v_fma_f64 v[18:19], v[4:5], v[24:25], -v[18:19]
	v_fma_f64 v[24:25], v[6:7], v[24:25], v[104:105]
	v_add_f64 v[14:15], v[14:15], v[91:92]
	v_add_f64 v[12:13], v[12:13], v[32:33]
	s_clause 0x4
	buffer_load_dword v33, off, s[0:3], 0 offset:636
	buffer_load_dword v91, off, s[0:3], 0 offset:648
	buffer_load_dword v105, off, s[0:3], 0 offset:640
	buffer_load_dword v32, off, s[0:3], 0 offset:632
	buffer_load_dword v104, off, s[0:3], 0 offset:612
	ds_read_b128 v[4:7], v86 offset:1216
	s_waitcnt vmcnt(57) lgkmcnt(1)
	v_mul_f64 v[106:107], v[8:9], v[22:23]
	v_mul_f64 v[22:23], v[10:11], v[22:23]
	s_waitcnt vmcnt(56)
	v_fma_f64 v[53:54], v[0:1], v[101:102], -v[53:54]
	v_add_f64 v[14:15], v[14:15], v[18:19]
	v_fma_f64 v[18:19], v[2:3], v[101:102], v[93:94]
	v_add_f64 v[12:13], v[12:13], v[24:25]
	s_clause 0x2
	buffer_load_dword v92, off, s[0:3], 0 offset:652
	buffer_load_dword v25, off, s[0:3], 0 offset:628
	;; [unrolled: 1-line block ×3, first 2 shown]
	s_waitcnt vmcnt(58) lgkmcnt(0)
	v_mul_f64 v[93:94], v[4:5], v[61:62]
	v_mul_f64 v[61:62], v[6:7], v[61:62]
	ds_read_b128 v[0:3], v86 offset:1232
	s_waitcnt vmcnt(56)
	v_fma_f64 v[22:23], v[8:9], v[30:31], -v[22:23]
	v_fma_f64 v[30:31], v[10:11], v[30:31], v[106:107]
	v_add_f64 v[14:15], v[14:15], v[53:54]
	v_add_f64 v[12:13], v[12:13], v[18:19]
	s_clause 0x4
	buffer_load_dword v19, off, s[0:3], 0 offset:668
	buffer_load_dword v53, off, s[0:3], 0 offset:680
	;; [unrolled: 1-line block ×5, first 2 shown]
	ds_read_b128 v[8:11], v86 offset:1248
	s_waitcnt vmcnt(57) lgkmcnt(1)
	v_mul_f64 v[107:108], v[0:1], v[28:29]
	v_mul_f64 v[28:29], v[2:3], v[28:29]
	s_waitcnt vmcnt(56)
	v_fma_f64 v[61:62], v[4:5], v[87:88], -v[61:62]
	v_add_f64 v[14:15], v[14:15], v[22:23]
	v_fma_f64 v[22:23], v[6:7], v[87:88], v[93:94]
	v_add_f64 v[12:13], v[12:13], v[30:31]
	s_clause 0x2
	buffer_load_dword v54, off, s[0:3], 0 offset:684
	buffer_load_dword v31, off, s[0:3], 0 offset:660
	;; [unrolled: 1-line block ×3, first 2 shown]
	s_waitcnt vmcnt(58) lgkmcnt(0)
	v_mul_f64 v[87:88], v[8:9], v[67:68]
	v_mul_f64 v[67:68], v[10:11], v[67:68]
	ds_read_b128 v[4:7], v86 offset:1264
	s_waitcnt vmcnt(56)
	v_fma_f64 v[28:29], v[0:1], v[57:58], -v[28:29]
	v_fma_f64 v[57:58], v[2:3], v[57:58], v[107:108]
	v_add_f64 v[14:15], v[14:15], v[61:62]
	v_add_f64 v[12:13], v[12:13], v[22:23]
	s_clause 0x4
	buffer_load_dword v23, off, s[0:3], 0 offset:700
	buffer_load_dword v61, off, s[0:3], 0 offset:712
	buffer_load_dword v93, off, s[0:3], 0 offset:704
	buffer_load_dword v22, off, s[0:3], 0 offset:696
	buffer_load_dword v102, off, s[0:3], 0 offset:676
	ds_read_b128 v[0:3], v86 offset:1280
	s_waitcnt vmcnt(57) lgkmcnt(1)
	v_mul_f64 v[107:108], v[4:5], v[34:35]
	v_mul_f64 v[34:35], v[6:7], v[34:35]
	s_waitcnt vmcnt(56)
	v_fma_f64 v[67:68], v[8:9], v[69:70], -v[67:68]
	v_add_f64 v[14:15], v[14:15], v[28:29]
	v_fma_f64 v[28:29], v[10:11], v[69:70], v[87:88]
	v_add_f64 v[12:13], v[12:13], v[57:58]
	s_clause 0x2
	buffer_load_dword v62, off, s[0:3], 0 offset:716
	buffer_load_dword v58, off, s[0:3], 0 offset:692
	buffer_load_dword v57, off, s[0:3], 0 offset:688
	ds_read_b128 v[8:11], v86 offset:1296
	s_waitcnt vmcnt(58) lgkmcnt(1)
	v_mul_f64 v[69:70], v[0:1], v[75:76]
	v_mul_f64 v[75:76], v[2:3], v[75:76]
	s_waitcnt vmcnt(56)
	v_fma_f64 v[34:35], v[4:5], v[55:56], -v[34:35]
	v_fma_f64 v[55:56], v[6:7], v[55:56], v[107:108]
	v_add_f64 v[14:15], v[14:15], v[67:68]
	v_add_f64 v[12:13], v[12:13], v[28:29]
	s_clause 0x4
	buffer_load_dword v29, off, s[0:3], 0 offset:732
	buffer_load_dword v67, off, s[0:3], 0 offset:744
	buffer_load_dword v87, off, s[0:3], 0 offset:736
	buffer_load_dword v28, off, s[0:3], 0 offset:728
	buffer_load_dword v94, off, s[0:3], 0 offset:708
	ds_read_b128 v[4:7], v86 offset:1312
	s_waitcnt vmcnt(57) lgkmcnt(1)
	v_mul_f64 v[107:108], v[8:9], v[59:60]
	v_mul_f64 v[59:60], v[10:11], v[59:60]
	s_waitcnt vmcnt(56)
	v_fma_f64 v[75:76], v[0:1], v[77:78], -v[75:76]
	v_add_f64 v[14:15], v[14:15], v[34:35]
	v_fma_f64 v[34:35], v[2:3], v[77:78], v[69:70]
	v_add_f64 v[12:13], v[12:13], v[55:56]
	s_clause 0x2
	buffer_load_dword v68, off, s[0:3], 0 offset:748
	buffer_load_dword v56, off, s[0:3], 0 offset:724
	buffer_load_dword v55, off, s[0:3], 0 offset:720
	ds_read_b128 v[0:3], v86 offset:1328
	s_waitcnt vmcnt(58) lgkmcnt(1)
	v_mul_f64 v[77:78], v[6:7], v[81:82]
	v_mul_f64 v[69:70], v[4:5], v[81:82]
	;; [unrolled: 28-line block ×4, first 2 shown]
	s_waitcnt vmcnt(56)
	v_fma_f64 v[73:74], v[4:5], v[79:80], -v[73:74]
	v_add_f64 v[14:15], v[14:15], v[71:72]
	v_fma_f64 v[71:72], v[6:7], v[79:80], v[84:85]
	v_add_f64 v[12:13], v[12:13], v[65:66]
	s_clause 0x2
	buffer_load_dword v66, off, s[0:3], 0 offset:828
	buffer_load_dword v65, off, s[0:3], 0 offset:824
	;; [unrolled: 1-line block ×3, first 2 shown]
	ds_read_b128 v[4:7], v86 offset:1408
	s_waitcnt vmcnt(55) lgkmcnt(1)
	v_mul_f64 v[79:80], v[8:9], v[20:21]
	v_mul_f64 v[20:21], v[10:11], v[20:21]
	s_waitcnt vmcnt(54)
	v_fma_f64 v[89:90], v[0:1], v[99:100], -v[89:90]
	v_fma_f64 v[69:70], v[2:3], v[99:100], v[69:70]
	v_add_f64 v[14:15], v[14:15], v[73:74]
	v_add_f64 v[12:13], v[12:13], v[71:72]
	s_clause 0x1
	buffer_load_dword v72, off, s[0:3], 0 offset:820
	buffer_load_dword v71, off, s[0:3], 0 offset:816
	ds_read_b128 v[0:3], v86 offset:1424
	s_waitcnt vmcnt(55) lgkmcnt(1)
	v_mul_f64 v[95:96], v[6:7], v[97:98]
	v_mul_f64 v[73:74], v[4:5], v[97:98]
	s_waitcnt vmcnt(53)
	v_fma_f64 v[20:21], v[8:9], v[26:27], -v[20:21]
	v_fma_f64 v[26:27], v[10:11], v[26:27], v[79:80]
	ds_read_b128 v[8:11], v86 offset:1440
	v_add_f64 v[14:15], v[14:15], v[89:90]
	v_add_f64 v[12:13], v[12:13], v[69:70]
	s_waitcnt vmcnt(49) lgkmcnt(1)
	v_mul_f64 v[69:70], v[0:1], v[32:33]
	v_mul_f64 v[32:33], v[2:3], v[32:33]
	s_waitcnt vmcnt(48)
	v_fma_f64 v[79:80], v[4:5], v[103:104], -v[95:96]
	v_add_f64 v[14:15], v[14:15], v[20:21]
	v_fma_f64 v[20:21], v[6:7], v[103:104], v[73:74]
	v_add_f64 v[12:13], v[12:13], v[26:27]
	s_clause 0x3
	buffer_load_dword v26, off, s[0:3], 0 offset:16
	buffer_load_dword v27, off, s[0:3], 0 offset:20
	;; [unrolled: 1-line block ×4, first 2 shown]
	ds_read_b128 v[4:7], v86 offset:1456
	s_waitcnt vmcnt(51) lgkmcnt(1)
	v_mul_f64 v[89:90], v[8:9], v[91:92]
	v_mul_f64 v[91:92], v[10:11], v[91:92]
	s_waitcnt vmcnt(49)
	v_fma_f64 v[32:33], v[0:1], v[24:25], -v[32:33]
	v_fma_f64 v[24:25], v[2:3], v[24:25], v[69:70]
	ds_read_b128 v[0:3], v86 offset:1472
	v_add_f64 v[14:15], v[14:15], v[79:80]
	v_add_f64 v[12:13], v[12:13], v[20:21]
	s_waitcnt vmcnt(45) lgkmcnt(1)
	v_mul_f64 v[20:21], v[4:5], v[18:19]
	v_mul_f64 v[18:19], v[6:7], v[18:19]
	s_waitcnt vmcnt(44)
	v_fma_f64 v[69:70], v[8:9], v[105:106], -v[91:92]
	v_add_f64 v[14:15], v[14:15], v[32:33]
	v_fma_f64 v[32:33], v[10:11], v[105:106], v[89:90]
	v_add_f64 v[12:13], v[12:13], v[24:25]
	ds_read_b128 v[8:11], v86 offset:1488
	s_waitcnt vmcnt(43) lgkmcnt(1)
	v_mul_f64 v[24:25], v[0:1], v[53:54]
	v_mul_f64 v[53:54], v[2:3], v[53:54]
	s_waitcnt vmcnt(41)
	v_fma_f64 v[18:19], v[4:5], v[30:31], -v[18:19]
	v_fma_f64 v[20:21], v[6:7], v[30:31], v[20:21]
	ds_read_b128 v[4:7], v86 offset:1504
	v_add_f64 v[14:15], v[14:15], v[69:70]
	v_add_f64 v[12:13], v[12:13], v[32:33]
	s_waitcnt vmcnt(37) lgkmcnt(1)
	v_mul_f64 v[30:31], v[8:9], v[22:23]
	v_mul_f64 v[22:23], v[10:11], v[22:23]
	s_waitcnt vmcnt(36)
	v_fma_f64 v[32:33], v[0:1], v[101:102], -v[53:54]
	v_add_f64 v[14:15], v[14:15], v[18:19]
	v_fma_f64 v[18:19], v[2:3], v[101:102], v[24:25]
	v_add_f64 v[12:13], v[12:13], v[20:21]
	ds_read_b128 v[0:3], v86 offset:1520
	s_waitcnt vmcnt(35) lgkmcnt(1)
	v_mul_f64 v[24:25], v[6:7], v[61:62]
	v_mul_f64 v[20:21], v[4:5], v[61:62]
	s_waitcnt vmcnt(33)
	v_fma_f64 v[22:23], v[8:9], v[57:58], -v[22:23]
	v_fma_f64 v[30:31], v[10:11], v[57:58], v[30:31]
	ds_read_b128 v[8:11], v86 offset:1536
	v_add_f64 v[14:15], v[14:15], v[32:33]
	v_add_f64 v[12:13], v[12:13], v[18:19]
	s_waitcnt vmcnt(29) lgkmcnt(1)
	v_mul_f64 v[18:19], v[0:1], v[28:29]
	v_mul_f64 v[28:29], v[2:3], v[28:29]
	s_waitcnt vmcnt(28)
	v_fma_f64 v[24:25], v[4:5], v[93:94], -v[24:25]
	v_fma_f64 v[20:21], v[6:7], v[93:94], v[20:21]
	ds_read_b128 v[4:7], v86 offset:1552
	v_add_f64 v[14:15], v[14:15], v[22:23]
	v_add_f64 v[12:13], v[12:13], v[30:31]
	;; [unrolled: 9-line block ×3, first 2 shown]
	s_waitcnt vmcnt(21) lgkmcnt(1)
	v_mul_f64 v[24:25], v[6:7], v[34:35]
	s_waitcnt vmcnt(20)
	v_fma_f64 v[30:31], v[8:9], v[87:88], -v[30:31]
	v_mul_f64 v[20:21], v[4:5], v[34:35]
	v_fma_f64 v[22:23], v[10:11], v[87:88], v[22:23]
	ds_read_b128 v[8:11], v86 offset:1584
	v_add_f64 v[14:15], v[14:15], v[28:29]
	v_add_f64 v[12:13], v[12:13], v[18:19]
	s_waitcnt vmcnt(19) lgkmcnt(1)
	v_mul_f64 v[28:29], v[2:3], v[75:76]
	v_mul_f64 v[18:19], v[0:1], v[75:76]
	s_waitcnt vmcnt(17)
	v_fma_f64 v[24:25], v[4:5], v[63:64], -v[24:25]
	v_fma_f64 v[20:21], v[6:7], v[63:64], v[20:21]
	ds_read_b128 v[4:7], v86 offset:1600
	v_add_f64 v[14:15], v[14:15], v[30:31]
	v_add_f64 v[12:13], v[12:13], v[22:23]
	s_waitcnt vmcnt(13) lgkmcnt(1)
	v_mul_f64 v[30:31], v[10:11], v[59:60]
	s_waitcnt vmcnt(12)
	v_fma_f64 v[28:29], v[0:1], v[81:82], -v[28:29]
	v_mul_f64 v[22:23], v[8:9], v[59:60]
	v_fma_f64 v[18:19], v[2:3], v[81:82], v[18:19]
	ds_read_b128 v[0:3], v86 offset:1616
	v_add_f64 v[14:15], v[14:15], v[24:25]
	v_add_f64 v[12:13], v[12:13], v[20:21]
	s_waitcnt vmcnt(11) lgkmcnt(1)
	v_mul_f64 v[24:25], v[6:7], v[77:78]
	v_mul_f64 v[20:21], v[4:5], v[77:78]
	s_waitcnt vmcnt(9)
	v_fma_f64 v[8:9], v[8:9], v[16:17], -v[30:31]
	v_fma_f64 v[10:11], v[10:11], v[16:17], v[22:23]
	v_add_f64 v[14:15], v[14:15], v[28:29]
	v_add_f64 v[12:13], v[12:13], v[18:19]
	s_waitcnt vmcnt(7) lgkmcnt(0)
	v_mul_f64 v[18:19], v[2:3], v[65:66]
	s_waitcnt vmcnt(6)
	v_fma_f64 v[4:5], v[4:5], v[83:84], -v[24:25]
	v_mul_f64 v[16:17], v[0:1], v[65:66]
	v_fma_f64 v[6:7], v[6:7], v[83:84], v[20:21]
	v_add_f64 v[8:9], v[14:15], v[8:9]
	v_add_f64 v[10:11], v[12:13], v[10:11]
	s_waitcnt vmcnt(4)
	v_fma_f64 v[0:1], v[0:1], v[71:72], -v[18:19]
	v_fma_f64 v[2:3], v[2:3], v[71:72], v[16:17]
	v_add_f64 v[4:5], v[8:9], v[4:5]
	v_add_f64 v[6:7], v[10:11], v[6:7]
	;; [unrolled: 1-line block ×4, first 2 shown]
	s_waitcnt vmcnt(2)
	v_add_f64 v[0:1], v[26:27], -v[0:1]
	s_waitcnt vmcnt(0)
	v_add_f64 v[2:3], v[73:74], -v[2:3]
	buffer_store_dword v1, off, s[0:3], 0 offset:20
	buffer_store_dword v0, off, s[0:3], 0 offset:16
	buffer_store_dword v3, off, s[0:3], 0 offset:28
	buffer_store_dword v2, off, s[0:3], 0 offset:24
	s_cbranch_vccz .LBB50_420
; %bb.320:
	v_mov_b32_e32 v0, 0
	global_load_dword v1, v0, s[20:21] offset:196
	s_waitcnt vmcnt(0)
	v_add_nc_u32_e32 v1, -1, v1
	v_cmp_ne_u32_e32 vcc_lo, 49, v1
	s_cbranch_vccz .LBB50_322
; %bb.321:
	v_lshlrev_b32_e32 v1, 4, v1
	v_mov_b32_e32 v2, s9
	v_add_nc_u32_e32 v1, 16, v1
	s_clause 0x7
	buffer_load_dword v3, v1, s[0:3], 0 offen
	buffer_load_dword v4, v1, s[0:3], 0 offen offset:4
	buffer_load_dword v5, v1, s[0:3], 0 offen offset:8
	;; [unrolled: 1-line block ×6, first 2 shown]
	buffer_load_dword v10, v2, s[0:3], 0 offen
	s_waitcnt vmcnt(7)
	buffer_store_dword v3, v2, s[0:3], 0 offen
	s_waitcnt vmcnt(6)
	buffer_store_dword v4, v2, s[0:3], 0 offen offset:4
	s_waitcnt vmcnt(5)
	buffer_store_dword v5, v2, s[0:3], 0 offen offset:8
	;; [unrolled: 2-line block ×6, first 2 shown]
	s_waitcnt vmcnt(0)
	buffer_store_dword v10, v1, s[0:3], 0 offen
.LBB50_322:
	global_load_dword v0, v0, s[20:21] offset:192
	s_waitcnt vmcnt(0)
	v_add_nc_u32_e32 v0, -1, v0
	v_cmp_eq_u32_e32 vcc_lo, 48, v0
	s_cbranch_vccnz .LBB50_324
; %bb.323:
	v_lshlrev_b32_e32 v0, 4, v0
	v_mov_b32_e32 v1, s12
	v_add_nc_u32_e32 v0, 16, v0
	s_clause 0x7
	buffer_load_dword v2, v0, s[0:3], 0 offen
	buffer_load_dword v3, v0, s[0:3], 0 offen offset:4
	buffer_load_dword v4, v0, s[0:3], 0 offen offset:8
	;; [unrolled: 1-line block ×6, first 2 shown]
	buffer_load_dword v9, v1, s[0:3], 0 offen
	s_waitcnt vmcnt(7)
	buffer_store_dword v2, v1, s[0:3], 0 offen
	s_waitcnt vmcnt(6)
	buffer_store_dword v3, v1, s[0:3], 0 offen offset:4
	s_waitcnt vmcnt(5)
	buffer_store_dword v4, v1, s[0:3], 0 offen offset:8
	;; [unrolled: 2-line block ×6, first 2 shown]
	s_waitcnt vmcnt(0)
	buffer_store_dword v9, v0, s[0:3], 0 offen
.LBB50_324:
	v_mov_b32_e32 v0, 0
	global_load_dword v1, v0, s[20:21] offset:188
	s_waitcnt vmcnt(0)
	v_add_nc_u32_e32 v1, -1, v1
	v_cmp_eq_u32_e32 vcc_lo, 47, v1
	s_cbranch_vccnz .LBB50_326
; %bb.325:
	v_lshlrev_b32_e32 v1, 4, v1
	v_mov_b32_e32 v2, s13
	v_add_nc_u32_e32 v1, 16, v1
	s_clause 0x7
	buffer_load_dword v3, v1, s[0:3], 0 offen
	buffer_load_dword v4, v1, s[0:3], 0 offen offset:4
	buffer_load_dword v5, v1, s[0:3], 0 offen offset:8
	;; [unrolled: 1-line block ×6, first 2 shown]
	buffer_load_dword v10, v2, s[0:3], 0 offen
	s_waitcnt vmcnt(7)
	buffer_store_dword v3, v2, s[0:3], 0 offen
	s_waitcnt vmcnt(6)
	buffer_store_dword v4, v2, s[0:3], 0 offen offset:4
	s_waitcnt vmcnt(5)
	buffer_store_dword v5, v2, s[0:3], 0 offen offset:8
	;; [unrolled: 2-line block ×6, first 2 shown]
	s_waitcnt vmcnt(0)
	buffer_store_dword v10, v1, s[0:3], 0 offen
.LBB50_326:
	global_load_dword v0, v0, s[20:21] offset:184
	s_waitcnt vmcnt(0)
	v_add_nc_u32_e32 v0, -1, v0
	v_cmp_eq_u32_e32 vcc_lo, 46, v0
	s_cbranch_vccnz .LBB50_328
; %bb.327:
	v_lshlrev_b32_e32 v0, 4, v0
	v_mov_b32_e32 v1, s14
	v_add_nc_u32_e32 v0, 16, v0
	s_clause 0x7
	buffer_load_dword v2, v0, s[0:3], 0 offen
	buffer_load_dword v3, v0, s[0:3], 0 offen offset:4
	buffer_load_dword v4, v0, s[0:3], 0 offen offset:8
	;; [unrolled: 1-line block ×6, first 2 shown]
	buffer_load_dword v9, v1, s[0:3], 0 offen
	s_waitcnt vmcnt(7)
	buffer_store_dword v2, v1, s[0:3], 0 offen
	s_waitcnt vmcnt(6)
	buffer_store_dword v3, v1, s[0:3], 0 offen offset:4
	s_waitcnt vmcnt(5)
	buffer_store_dword v4, v1, s[0:3], 0 offen offset:8
	;; [unrolled: 2-line block ×6, first 2 shown]
	s_waitcnt vmcnt(0)
	buffer_store_dword v9, v0, s[0:3], 0 offen
.LBB50_328:
	v_mov_b32_e32 v0, 0
	global_load_dword v1, v0, s[20:21] offset:180
	s_waitcnt vmcnt(0)
	v_add_nc_u32_e32 v1, -1, v1
	v_cmp_eq_u32_e32 vcc_lo, 45, v1
	s_cbranch_vccnz .LBB50_330
; %bb.329:
	v_lshlrev_b32_e32 v1, 4, v1
	v_mov_b32_e32 v2, s15
	v_add_nc_u32_e32 v1, 16, v1
	s_clause 0x7
	buffer_load_dword v3, v1, s[0:3], 0 offen
	buffer_load_dword v4, v1, s[0:3], 0 offen offset:4
	buffer_load_dword v5, v1, s[0:3], 0 offen offset:8
	;; [unrolled: 1-line block ×6, first 2 shown]
	buffer_load_dword v10, v2, s[0:3], 0 offen
	s_waitcnt vmcnt(7)
	buffer_store_dword v3, v2, s[0:3], 0 offen
	s_waitcnt vmcnt(6)
	buffer_store_dword v4, v2, s[0:3], 0 offen offset:4
	s_waitcnt vmcnt(5)
	buffer_store_dword v5, v2, s[0:3], 0 offen offset:8
	;; [unrolled: 2-line block ×6, first 2 shown]
	s_waitcnt vmcnt(0)
	buffer_store_dword v10, v1, s[0:3], 0 offen
.LBB50_330:
	global_load_dword v0, v0, s[20:21] offset:176
	s_waitcnt vmcnt(0)
	v_add_nc_u32_e32 v0, -1, v0
	v_cmp_eq_u32_e32 vcc_lo, 44, v0
	s_cbranch_vccnz .LBB50_332
; %bb.331:
	v_lshlrev_b32_e32 v0, 4, v0
	v_mov_b32_e32 v1, s16
	v_add_nc_u32_e32 v0, 16, v0
	s_clause 0x7
	buffer_load_dword v2, v0, s[0:3], 0 offen
	buffer_load_dword v3, v0, s[0:3], 0 offen offset:4
	buffer_load_dword v4, v0, s[0:3], 0 offen offset:8
	;; [unrolled: 1-line block ×6, first 2 shown]
	buffer_load_dword v9, v1, s[0:3], 0 offen
	s_waitcnt vmcnt(7)
	buffer_store_dword v2, v1, s[0:3], 0 offen
	s_waitcnt vmcnt(6)
	buffer_store_dword v3, v1, s[0:3], 0 offen offset:4
	s_waitcnt vmcnt(5)
	buffer_store_dword v4, v1, s[0:3], 0 offen offset:8
	;; [unrolled: 2-line block ×6, first 2 shown]
	s_waitcnt vmcnt(0)
	buffer_store_dword v9, v0, s[0:3], 0 offen
.LBB50_332:
	v_mov_b32_e32 v0, 0
	global_load_dword v1, v0, s[20:21] offset:172
	s_waitcnt vmcnt(0)
	v_add_nc_u32_e32 v1, -1, v1
	v_cmp_eq_u32_e32 vcc_lo, 43, v1
	s_cbranch_vccnz .LBB50_334
; %bb.333:
	v_lshlrev_b32_e32 v1, 4, v1
	v_mov_b32_e32 v2, s17
	v_add_nc_u32_e32 v1, 16, v1
	s_clause 0x7
	buffer_load_dword v3, v1, s[0:3], 0 offen
	buffer_load_dword v4, v1, s[0:3], 0 offen offset:4
	buffer_load_dword v5, v1, s[0:3], 0 offen offset:8
	;; [unrolled: 1-line block ×6, first 2 shown]
	buffer_load_dword v10, v2, s[0:3], 0 offen
	s_waitcnt vmcnt(7)
	buffer_store_dword v3, v2, s[0:3], 0 offen
	s_waitcnt vmcnt(6)
	buffer_store_dword v4, v2, s[0:3], 0 offen offset:4
	s_waitcnt vmcnt(5)
	buffer_store_dword v5, v2, s[0:3], 0 offen offset:8
	;; [unrolled: 2-line block ×6, first 2 shown]
	s_waitcnt vmcnt(0)
	buffer_store_dword v10, v1, s[0:3], 0 offen
.LBB50_334:
	global_load_dword v0, v0, s[20:21] offset:168
	s_waitcnt vmcnt(0)
	v_add_nc_u32_e32 v0, -1, v0
	v_cmp_eq_u32_e32 vcc_lo, 42, v0
	s_cbranch_vccnz .LBB50_336
; %bb.335:
	v_lshlrev_b32_e32 v0, 4, v0
	v_mov_b32_e32 v1, s18
	v_add_nc_u32_e32 v0, 16, v0
	s_clause 0x7
	buffer_load_dword v2, v0, s[0:3], 0 offen
	buffer_load_dword v3, v0, s[0:3], 0 offen offset:4
	buffer_load_dword v4, v0, s[0:3], 0 offen offset:8
	;; [unrolled: 1-line block ×6, first 2 shown]
	buffer_load_dword v9, v1, s[0:3], 0 offen
	s_waitcnt vmcnt(7)
	buffer_store_dword v2, v1, s[0:3], 0 offen
	s_waitcnt vmcnt(6)
	buffer_store_dword v3, v1, s[0:3], 0 offen offset:4
	s_waitcnt vmcnt(5)
	buffer_store_dword v4, v1, s[0:3], 0 offen offset:8
	;; [unrolled: 2-line block ×6, first 2 shown]
	s_waitcnt vmcnt(0)
	buffer_store_dword v9, v0, s[0:3], 0 offen
.LBB50_336:
	v_mov_b32_e32 v0, 0
	global_load_dword v1, v0, s[20:21] offset:164
	s_waitcnt vmcnt(0)
	v_add_nc_u32_e32 v1, -1, v1
	v_cmp_eq_u32_e32 vcc_lo, 41, v1
	s_cbranch_vccnz .LBB50_338
; %bb.337:
	v_lshlrev_b32_e32 v1, 4, v1
	v_mov_b32_e32 v2, s19
	v_add_nc_u32_e32 v1, 16, v1
	s_clause 0x7
	buffer_load_dword v3, v1, s[0:3], 0 offen
	buffer_load_dword v4, v1, s[0:3], 0 offen offset:4
	buffer_load_dword v5, v1, s[0:3], 0 offen offset:8
	;; [unrolled: 1-line block ×6, first 2 shown]
	buffer_load_dword v10, v2, s[0:3], 0 offen
	s_waitcnt vmcnt(7)
	buffer_store_dword v3, v2, s[0:3], 0 offen
	s_waitcnt vmcnt(6)
	buffer_store_dword v4, v2, s[0:3], 0 offen offset:4
	s_waitcnt vmcnt(5)
	buffer_store_dword v5, v2, s[0:3], 0 offen offset:8
	;; [unrolled: 2-line block ×6, first 2 shown]
	s_waitcnt vmcnt(0)
	buffer_store_dword v10, v1, s[0:3], 0 offen
.LBB50_338:
	global_load_dword v0, v0, s[20:21] offset:160
	s_waitcnt vmcnt(0)
	v_add_nc_u32_e32 v0, -1, v0
	v_cmp_eq_u32_e32 vcc_lo, 40, v0
	s_cbranch_vccnz .LBB50_340
; %bb.339:
	v_lshlrev_b32_e32 v0, 4, v0
	v_mov_b32_e32 v1, s22
	v_add_nc_u32_e32 v0, 16, v0
	s_clause 0x7
	buffer_load_dword v2, v0, s[0:3], 0 offen
	buffer_load_dword v3, v0, s[0:3], 0 offen offset:4
	buffer_load_dword v4, v0, s[0:3], 0 offen offset:8
	;; [unrolled: 1-line block ×6, first 2 shown]
	buffer_load_dword v9, v1, s[0:3], 0 offen
	s_waitcnt vmcnt(7)
	buffer_store_dword v2, v1, s[0:3], 0 offen
	s_waitcnt vmcnt(6)
	buffer_store_dword v3, v1, s[0:3], 0 offen offset:4
	s_waitcnt vmcnt(5)
	buffer_store_dword v4, v1, s[0:3], 0 offen offset:8
	;; [unrolled: 2-line block ×6, first 2 shown]
	s_waitcnt vmcnt(0)
	buffer_store_dword v9, v0, s[0:3], 0 offen
.LBB50_340:
	v_mov_b32_e32 v0, 0
	global_load_dword v1, v0, s[20:21] offset:156
	s_waitcnt vmcnt(0)
	v_add_nc_u32_e32 v1, -1, v1
	v_cmp_eq_u32_e32 vcc_lo, 39, v1
	s_cbranch_vccnz .LBB50_342
; %bb.341:
	v_lshlrev_b32_e32 v1, 4, v1
	v_mov_b32_e32 v2, s23
	v_add_nc_u32_e32 v1, 16, v1
	s_clause 0x7
	buffer_load_dword v3, v1, s[0:3], 0 offen
	buffer_load_dword v4, v1, s[0:3], 0 offen offset:4
	buffer_load_dword v5, v1, s[0:3], 0 offen offset:8
	;; [unrolled: 1-line block ×6, first 2 shown]
	buffer_load_dword v10, v2, s[0:3], 0 offen
	s_waitcnt vmcnt(7)
	buffer_store_dword v3, v2, s[0:3], 0 offen
	s_waitcnt vmcnt(6)
	buffer_store_dword v4, v2, s[0:3], 0 offen offset:4
	s_waitcnt vmcnt(5)
	buffer_store_dword v5, v2, s[0:3], 0 offen offset:8
	;; [unrolled: 2-line block ×6, first 2 shown]
	s_waitcnt vmcnt(0)
	buffer_store_dword v10, v1, s[0:3], 0 offen
.LBB50_342:
	global_load_dword v0, v0, s[20:21] offset:152
	s_waitcnt vmcnt(0)
	v_add_nc_u32_e32 v0, -1, v0
	v_cmp_eq_u32_e32 vcc_lo, 38, v0
	s_cbranch_vccnz .LBB50_344
; %bb.343:
	v_lshlrev_b32_e32 v0, 4, v0
	v_mov_b32_e32 v1, s24
	v_add_nc_u32_e32 v0, 16, v0
	s_clause 0x7
	buffer_load_dword v2, v0, s[0:3], 0 offen
	buffer_load_dword v3, v0, s[0:3], 0 offen offset:4
	buffer_load_dword v4, v0, s[0:3], 0 offen offset:8
	;; [unrolled: 1-line block ×6, first 2 shown]
	buffer_load_dword v9, v1, s[0:3], 0 offen
	s_waitcnt vmcnt(7)
	buffer_store_dword v2, v1, s[0:3], 0 offen
	s_waitcnt vmcnt(6)
	buffer_store_dword v3, v1, s[0:3], 0 offen offset:4
	s_waitcnt vmcnt(5)
	buffer_store_dword v4, v1, s[0:3], 0 offen offset:8
	;; [unrolled: 2-line block ×6, first 2 shown]
	s_waitcnt vmcnt(0)
	buffer_store_dword v9, v0, s[0:3], 0 offen
.LBB50_344:
	v_mov_b32_e32 v0, 0
	global_load_dword v1, v0, s[20:21] offset:148
	s_waitcnt vmcnt(0)
	v_add_nc_u32_e32 v1, -1, v1
	v_cmp_eq_u32_e32 vcc_lo, 37, v1
	s_cbranch_vccnz .LBB50_346
; %bb.345:
	v_lshlrev_b32_e32 v1, 4, v1
	v_mov_b32_e32 v2, s25
	v_add_nc_u32_e32 v1, 16, v1
	s_clause 0x7
	buffer_load_dword v3, v1, s[0:3], 0 offen
	buffer_load_dword v4, v1, s[0:3], 0 offen offset:4
	buffer_load_dword v5, v1, s[0:3], 0 offen offset:8
	;; [unrolled: 1-line block ×6, first 2 shown]
	buffer_load_dword v10, v2, s[0:3], 0 offen
	s_waitcnt vmcnt(7)
	buffer_store_dword v3, v2, s[0:3], 0 offen
	s_waitcnt vmcnt(6)
	buffer_store_dword v4, v2, s[0:3], 0 offen offset:4
	s_waitcnt vmcnt(5)
	buffer_store_dword v5, v2, s[0:3], 0 offen offset:8
	;; [unrolled: 2-line block ×6, first 2 shown]
	s_waitcnt vmcnt(0)
	buffer_store_dword v10, v1, s[0:3], 0 offen
.LBB50_346:
	global_load_dword v0, v0, s[20:21] offset:144
	s_waitcnt vmcnt(0)
	v_add_nc_u32_e32 v0, -1, v0
	v_cmp_eq_u32_e32 vcc_lo, 36, v0
	s_cbranch_vccnz .LBB50_348
; %bb.347:
	v_lshlrev_b32_e32 v0, 4, v0
	v_mov_b32_e32 v1, s26
	v_add_nc_u32_e32 v0, 16, v0
	s_clause 0x7
	buffer_load_dword v2, v0, s[0:3], 0 offen
	buffer_load_dword v3, v0, s[0:3], 0 offen offset:4
	buffer_load_dword v4, v0, s[0:3], 0 offen offset:8
	;; [unrolled: 1-line block ×6, first 2 shown]
	buffer_load_dword v9, v1, s[0:3], 0 offen
	s_waitcnt vmcnt(7)
	buffer_store_dword v2, v1, s[0:3], 0 offen
	s_waitcnt vmcnt(6)
	buffer_store_dword v3, v1, s[0:3], 0 offen offset:4
	s_waitcnt vmcnt(5)
	buffer_store_dword v4, v1, s[0:3], 0 offen offset:8
	;; [unrolled: 2-line block ×6, first 2 shown]
	s_waitcnt vmcnt(0)
	buffer_store_dword v9, v0, s[0:3], 0 offen
.LBB50_348:
	v_mov_b32_e32 v0, 0
	global_load_dword v1, v0, s[20:21] offset:140
	s_waitcnt vmcnt(0)
	v_add_nc_u32_e32 v1, -1, v1
	v_cmp_eq_u32_e32 vcc_lo, 35, v1
	s_cbranch_vccnz .LBB50_350
; %bb.349:
	v_lshlrev_b32_e32 v1, 4, v1
	v_mov_b32_e32 v2, s27
	v_add_nc_u32_e32 v1, 16, v1
	s_clause 0x7
	buffer_load_dword v3, v1, s[0:3], 0 offen
	buffer_load_dword v4, v1, s[0:3], 0 offen offset:4
	buffer_load_dword v5, v1, s[0:3], 0 offen offset:8
	;; [unrolled: 1-line block ×6, first 2 shown]
	buffer_load_dword v10, v2, s[0:3], 0 offen
	s_waitcnt vmcnt(7)
	buffer_store_dword v3, v2, s[0:3], 0 offen
	s_waitcnt vmcnt(6)
	buffer_store_dword v4, v2, s[0:3], 0 offen offset:4
	s_waitcnt vmcnt(5)
	buffer_store_dword v5, v2, s[0:3], 0 offen offset:8
	;; [unrolled: 2-line block ×6, first 2 shown]
	s_waitcnt vmcnt(0)
	buffer_store_dword v10, v1, s[0:3], 0 offen
.LBB50_350:
	global_load_dword v0, v0, s[20:21] offset:136
	s_waitcnt vmcnt(0)
	v_add_nc_u32_e32 v0, -1, v0
	v_cmp_eq_u32_e32 vcc_lo, 34, v0
	s_cbranch_vccnz .LBB50_352
; %bb.351:
	v_lshlrev_b32_e32 v0, 4, v0
	v_mov_b32_e32 v1, s28
	v_add_nc_u32_e32 v0, 16, v0
	s_clause 0x7
	buffer_load_dword v2, v0, s[0:3], 0 offen
	buffer_load_dword v3, v0, s[0:3], 0 offen offset:4
	buffer_load_dword v4, v0, s[0:3], 0 offen offset:8
	;; [unrolled: 1-line block ×6, first 2 shown]
	buffer_load_dword v9, v1, s[0:3], 0 offen
	s_waitcnt vmcnt(7)
	buffer_store_dword v2, v1, s[0:3], 0 offen
	s_waitcnt vmcnt(6)
	buffer_store_dword v3, v1, s[0:3], 0 offen offset:4
	s_waitcnt vmcnt(5)
	buffer_store_dword v4, v1, s[0:3], 0 offen offset:8
	;; [unrolled: 2-line block ×6, first 2 shown]
	s_waitcnt vmcnt(0)
	buffer_store_dword v9, v0, s[0:3], 0 offen
.LBB50_352:
	v_mov_b32_e32 v0, 0
	global_load_dword v1, v0, s[20:21] offset:132
	s_waitcnt vmcnt(0)
	v_add_nc_u32_e32 v1, -1, v1
	v_cmp_eq_u32_e32 vcc_lo, 33, v1
	s_cbranch_vccnz .LBB50_354
; %bb.353:
	v_lshlrev_b32_e32 v1, 4, v1
	v_mov_b32_e32 v2, s29
	v_add_nc_u32_e32 v1, 16, v1
	s_clause 0x7
	buffer_load_dword v3, v1, s[0:3], 0 offen
	buffer_load_dword v4, v1, s[0:3], 0 offen offset:4
	buffer_load_dword v5, v1, s[0:3], 0 offen offset:8
	;; [unrolled: 1-line block ×6, first 2 shown]
	buffer_load_dword v10, v2, s[0:3], 0 offen
	s_waitcnt vmcnt(7)
	buffer_store_dword v3, v2, s[0:3], 0 offen
	s_waitcnt vmcnt(6)
	buffer_store_dword v4, v2, s[0:3], 0 offen offset:4
	s_waitcnt vmcnt(5)
	buffer_store_dword v5, v2, s[0:3], 0 offen offset:8
	;; [unrolled: 2-line block ×6, first 2 shown]
	s_waitcnt vmcnt(0)
	buffer_store_dword v10, v1, s[0:3], 0 offen
.LBB50_354:
	global_load_dword v0, v0, s[20:21] offset:128
	s_waitcnt vmcnt(0)
	v_add_nc_u32_e32 v0, -1, v0
	v_cmp_eq_u32_e32 vcc_lo, 32, v0
	s_cbranch_vccnz .LBB50_356
; %bb.355:
	v_lshlrev_b32_e32 v0, 4, v0
	v_mov_b32_e32 v1, s30
	v_add_nc_u32_e32 v0, 16, v0
	s_clause 0x7
	buffer_load_dword v2, v0, s[0:3], 0 offen
	buffer_load_dword v3, v0, s[0:3], 0 offen offset:4
	buffer_load_dword v4, v0, s[0:3], 0 offen offset:8
	;; [unrolled: 1-line block ×6, first 2 shown]
	buffer_load_dword v9, v1, s[0:3], 0 offen
	s_waitcnt vmcnt(7)
	buffer_store_dword v2, v1, s[0:3], 0 offen
	s_waitcnt vmcnt(6)
	buffer_store_dword v3, v1, s[0:3], 0 offen offset:4
	s_waitcnt vmcnt(5)
	buffer_store_dword v4, v1, s[0:3], 0 offen offset:8
	;; [unrolled: 2-line block ×6, first 2 shown]
	s_waitcnt vmcnt(0)
	buffer_store_dword v9, v0, s[0:3], 0 offen
.LBB50_356:
	v_mov_b32_e32 v0, 0
	global_load_dword v1, v0, s[20:21] offset:124
	s_waitcnt vmcnt(0)
	v_add_nc_u32_e32 v1, -1, v1
	v_cmp_eq_u32_e32 vcc_lo, 31, v1
	s_cbranch_vccnz .LBB50_358
; %bb.357:
	v_lshlrev_b32_e32 v1, 4, v1
	v_mov_b32_e32 v2, s31
	v_add_nc_u32_e32 v1, 16, v1
	s_clause 0x7
	buffer_load_dword v3, v1, s[0:3], 0 offen
	buffer_load_dword v4, v1, s[0:3], 0 offen offset:4
	buffer_load_dword v5, v1, s[0:3], 0 offen offset:8
	;; [unrolled: 1-line block ×6, first 2 shown]
	buffer_load_dword v10, v2, s[0:3], 0 offen
	s_waitcnt vmcnt(7)
	buffer_store_dword v3, v2, s[0:3], 0 offen
	s_waitcnt vmcnt(6)
	buffer_store_dword v4, v2, s[0:3], 0 offen offset:4
	s_waitcnt vmcnt(5)
	buffer_store_dword v5, v2, s[0:3], 0 offen offset:8
	;; [unrolled: 2-line block ×6, first 2 shown]
	s_waitcnt vmcnt(0)
	buffer_store_dword v10, v1, s[0:3], 0 offen
.LBB50_358:
	global_load_dword v0, v0, s[20:21] offset:120
	s_waitcnt vmcnt(0)
	v_add_nc_u32_e32 v0, -1, v0
	v_cmp_eq_u32_e32 vcc_lo, 30, v0
	s_cbranch_vccnz .LBB50_360
; %bb.359:
	v_lshlrev_b32_e32 v0, 4, v0
	v_mov_b32_e32 v1, s33
	v_add_nc_u32_e32 v0, 16, v0
	s_clause 0x7
	buffer_load_dword v2, v0, s[0:3], 0 offen
	buffer_load_dword v3, v0, s[0:3], 0 offen offset:4
	buffer_load_dword v4, v0, s[0:3], 0 offen offset:8
	buffer_load_dword v5, v0, s[0:3], 0 offen offset:12
	buffer_load_dword v6, v1, s[0:3], 0 offen offset:12
	buffer_load_dword v7, v1, s[0:3], 0 offen offset:8
	buffer_load_dword v8, v1, s[0:3], 0 offen offset:4
	buffer_load_dword v9, v1, s[0:3], 0 offen
	s_waitcnt vmcnt(7)
	buffer_store_dword v2, v1, s[0:3], 0 offen
	s_waitcnt vmcnt(6)
	buffer_store_dword v3, v1, s[0:3], 0 offen offset:4
	s_waitcnt vmcnt(5)
	buffer_store_dword v4, v1, s[0:3], 0 offen offset:8
	;; [unrolled: 2-line block ×6, first 2 shown]
	s_waitcnt vmcnt(0)
	buffer_store_dword v9, v0, s[0:3], 0 offen
.LBB50_360:
	v_mov_b32_e32 v0, 0
	global_load_dword v1, v0, s[20:21] offset:116
	s_waitcnt vmcnt(0)
	v_add_nc_u32_e32 v1, -1, v1
	v_cmp_eq_u32_e32 vcc_lo, 29, v1
	s_cbranch_vccnz .LBB50_362
; %bb.361:
	v_lshlrev_b32_e32 v1, 4, v1
	v_mov_b32_e32 v2, s34
	v_add_nc_u32_e32 v1, 16, v1
	s_clause 0x7
	buffer_load_dword v3, v1, s[0:3], 0 offen
	buffer_load_dword v4, v1, s[0:3], 0 offen offset:4
	buffer_load_dword v5, v1, s[0:3], 0 offen offset:8
	buffer_load_dword v6, v1, s[0:3], 0 offen offset:12
	buffer_load_dword v7, v2, s[0:3], 0 offen offset:12
	buffer_load_dword v8, v2, s[0:3], 0 offen offset:8
	buffer_load_dword v9, v2, s[0:3], 0 offen offset:4
	buffer_load_dword v10, v2, s[0:3], 0 offen
	s_waitcnt vmcnt(7)
	buffer_store_dword v3, v2, s[0:3], 0 offen
	s_waitcnt vmcnt(6)
	buffer_store_dword v4, v2, s[0:3], 0 offen offset:4
	s_waitcnt vmcnt(5)
	buffer_store_dword v5, v2, s[0:3], 0 offen offset:8
	;; [unrolled: 2-line block ×6, first 2 shown]
	s_waitcnt vmcnt(0)
	buffer_store_dword v10, v1, s[0:3], 0 offen
.LBB50_362:
	global_load_dword v0, v0, s[20:21] offset:112
	s_waitcnt vmcnt(0)
	v_add_nc_u32_e32 v0, -1, v0
	v_cmp_eq_u32_e32 vcc_lo, 28, v0
	s_cbranch_vccnz .LBB50_364
; %bb.363:
	v_lshlrev_b32_e32 v0, 4, v0
	v_mov_b32_e32 v1, s35
	v_add_nc_u32_e32 v0, 16, v0
	s_clause 0x7
	buffer_load_dword v2, v0, s[0:3], 0 offen
	buffer_load_dword v3, v0, s[0:3], 0 offen offset:4
	buffer_load_dword v4, v0, s[0:3], 0 offen offset:8
	;; [unrolled: 1-line block ×6, first 2 shown]
	buffer_load_dword v9, v1, s[0:3], 0 offen
	s_waitcnt vmcnt(7)
	buffer_store_dword v2, v1, s[0:3], 0 offen
	s_waitcnt vmcnt(6)
	buffer_store_dword v3, v1, s[0:3], 0 offen offset:4
	s_waitcnt vmcnt(5)
	buffer_store_dword v4, v1, s[0:3], 0 offen offset:8
	;; [unrolled: 2-line block ×6, first 2 shown]
	s_waitcnt vmcnt(0)
	buffer_store_dword v9, v0, s[0:3], 0 offen
.LBB50_364:
	v_mov_b32_e32 v0, 0
	global_load_dword v1, v0, s[20:21] offset:108
	s_waitcnt vmcnt(0)
	v_add_nc_u32_e32 v1, -1, v1
	v_cmp_eq_u32_e32 vcc_lo, 27, v1
	s_cbranch_vccnz .LBB50_366
; %bb.365:
	v_lshlrev_b32_e32 v1, 4, v1
	v_mov_b32_e32 v2, s36
	v_add_nc_u32_e32 v1, 16, v1
	s_clause 0x7
	buffer_load_dword v3, v1, s[0:3], 0 offen
	buffer_load_dword v4, v1, s[0:3], 0 offen offset:4
	buffer_load_dword v5, v1, s[0:3], 0 offen offset:8
	;; [unrolled: 1-line block ×6, first 2 shown]
	buffer_load_dword v10, v2, s[0:3], 0 offen
	s_waitcnt vmcnt(7)
	buffer_store_dword v3, v2, s[0:3], 0 offen
	s_waitcnt vmcnt(6)
	buffer_store_dword v4, v2, s[0:3], 0 offen offset:4
	s_waitcnt vmcnt(5)
	buffer_store_dword v5, v2, s[0:3], 0 offen offset:8
	;; [unrolled: 2-line block ×6, first 2 shown]
	s_waitcnt vmcnt(0)
	buffer_store_dword v10, v1, s[0:3], 0 offen
.LBB50_366:
	global_load_dword v0, v0, s[20:21] offset:104
	s_waitcnt vmcnt(0)
	v_add_nc_u32_e32 v0, -1, v0
	v_cmp_eq_u32_e32 vcc_lo, 26, v0
	s_cbranch_vccnz .LBB50_368
; %bb.367:
	v_lshlrev_b32_e32 v0, 4, v0
	v_mov_b32_e32 v1, s37
	v_add_nc_u32_e32 v0, 16, v0
	s_clause 0x7
	buffer_load_dword v2, v0, s[0:3], 0 offen
	buffer_load_dword v3, v0, s[0:3], 0 offen offset:4
	buffer_load_dword v4, v0, s[0:3], 0 offen offset:8
	buffer_load_dword v5, v0, s[0:3], 0 offen offset:12
	buffer_load_dword v6, v1, s[0:3], 0 offen offset:12
	buffer_load_dword v7, v1, s[0:3], 0 offen offset:8
	buffer_load_dword v8, v1, s[0:3], 0 offen offset:4
	buffer_load_dword v9, v1, s[0:3], 0 offen
	s_waitcnt vmcnt(7)
	buffer_store_dword v2, v1, s[0:3], 0 offen
	s_waitcnt vmcnt(6)
	buffer_store_dword v3, v1, s[0:3], 0 offen offset:4
	s_waitcnt vmcnt(5)
	buffer_store_dword v4, v1, s[0:3], 0 offen offset:8
	;; [unrolled: 2-line block ×6, first 2 shown]
	s_waitcnt vmcnt(0)
	buffer_store_dword v9, v0, s[0:3], 0 offen
.LBB50_368:
	v_mov_b32_e32 v0, 0
	global_load_dword v1, v0, s[20:21] offset:100
	s_waitcnt vmcnt(0)
	v_add_nc_u32_e32 v1, -1, v1
	v_cmp_eq_u32_e32 vcc_lo, 25, v1
	s_cbranch_vccnz .LBB50_370
; %bb.369:
	v_lshlrev_b32_e32 v1, 4, v1
	v_mov_b32_e32 v2, s38
	v_add_nc_u32_e32 v1, 16, v1
	s_clause 0x7
	buffer_load_dword v3, v1, s[0:3], 0 offen
	buffer_load_dword v4, v1, s[0:3], 0 offen offset:4
	buffer_load_dword v5, v1, s[0:3], 0 offen offset:8
	;; [unrolled: 1-line block ×6, first 2 shown]
	buffer_load_dword v10, v2, s[0:3], 0 offen
	s_waitcnt vmcnt(7)
	buffer_store_dword v3, v2, s[0:3], 0 offen
	s_waitcnt vmcnt(6)
	buffer_store_dword v4, v2, s[0:3], 0 offen offset:4
	s_waitcnt vmcnt(5)
	buffer_store_dword v5, v2, s[0:3], 0 offen offset:8
	;; [unrolled: 2-line block ×6, first 2 shown]
	s_waitcnt vmcnt(0)
	buffer_store_dword v10, v1, s[0:3], 0 offen
.LBB50_370:
	global_load_dword v0, v0, s[20:21] offset:96
	s_waitcnt vmcnt(0)
	v_add_nc_u32_e32 v0, -1, v0
	v_cmp_eq_u32_e32 vcc_lo, 24, v0
	s_cbranch_vccnz .LBB50_372
; %bb.371:
	v_lshlrev_b32_e32 v0, 4, v0
	v_mov_b32_e32 v1, s39
	v_add_nc_u32_e32 v0, 16, v0
	s_clause 0x7
	buffer_load_dword v2, v0, s[0:3], 0 offen
	buffer_load_dword v3, v0, s[0:3], 0 offen offset:4
	buffer_load_dword v4, v0, s[0:3], 0 offen offset:8
	buffer_load_dword v5, v0, s[0:3], 0 offen offset:12
	buffer_load_dword v6, v1, s[0:3], 0 offen offset:12
	buffer_load_dword v7, v1, s[0:3], 0 offen offset:8
	buffer_load_dword v8, v1, s[0:3], 0 offen offset:4
	buffer_load_dword v9, v1, s[0:3], 0 offen
	s_waitcnt vmcnt(7)
	buffer_store_dword v2, v1, s[0:3], 0 offen
	s_waitcnt vmcnt(6)
	buffer_store_dword v3, v1, s[0:3], 0 offen offset:4
	s_waitcnt vmcnt(5)
	buffer_store_dword v4, v1, s[0:3], 0 offen offset:8
	;; [unrolled: 2-line block ×6, first 2 shown]
	s_waitcnt vmcnt(0)
	buffer_store_dword v9, v0, s[0:3], 0 offen
.LBB50_372:
	v_mov_b32_e32 v0, 0
	global_load_dword v1, v0, s[20:21] offset:92
	s_waitcnt vmcnt(0)
	v_add_nc_u32_e32 v1, -1, v1
	v_cmp_eq_u32_e32 vcc_lo, 23, v1
	s_cbranch_vccnz .LBB50_374
; %bb.373:
	v_lshlrev_b32_e32 v1, 4, v1
	v_mov_b32_e32 v2, s40
	v_add_nc_u32_e32 v1, 16, v1
	s_clause 0x7
	buffer_load_dword v3, v1, s[0:3], 0 offen
	buffer_load_dword v4, v1, s[0:3], 0 offen offset:4
	buffer_load_dword v5, v1, s[0:3], 0 offen offset:8
	;; [unrolled: 1-line block ×6, first 2 shown]
	buffer_load_dword v10, v2, s[0:3], 0 offen
	s_waitcnt vmcnt(7)
	buffer_store_dword v3, v2, s[0:3], 0 offen
	s_waitcnt vmcnt(6)
	buffer_store_dword v4, v2, s[0:3], 0 offen offset:4
	s_waitcnt vmcnt(5)
	buffer_store_dword v5, v2, s[0:3], 0 offen offset:8
	;; [unrolled: 2-line block ×6, first 2 shown]
	s_waitcnt vmcnt(0)
	buffer_store_dword v10, v1, s[0:3], 0 offen
.LBB50_374:
	global_load_dword v0, v0, s[20:21] offset:88
	s_waitcnt vmcnt(0)
	v_add_nc_u32_e32 v0, -1, v0
	v_cmp_eq_u32_e32 vcc_lo, 22, v0
	s_cbranch_vccnz .LBB50_376
; %bb.375:
	v_lshlrev_b32_e32 v0, 4, v0
	v_mov_b32_e32 v1, s41
	v_add_nc_u32_e32 v0, 16, v0
	s_clause 0x7
	buffer_load_dword v2, v0, s[0:3], 0 offen
	buffer_load_dword v3, v0, s[0:3], 0 offen offset:4
	buffer_load_dword v4, v0, s[0:3], 0 offen offset:8
	;; [unrolled: 1-line block ×6, first 2 shown]
	buffer_load_dword v9, v1, s[0:3], 0 offen
	s_waitcnt vmcnt(7)
	buffer_store_dword v2, v1, s[0:3], 0 offen
	s_waitcnt vmcnt(6)
	buffer_store_dword v3, v1, s[0:3], 0 offen offset:4
	s_waitcnt vmcnt(5)
	buffer_store_dword v4, v1, s[0:3], 0 offen offset:8
	;; [unrolled: 2-line block ×6, first 2 shown]
	s_waitcnt vmcnt(0)
	buffer_store_dword v9, v0, s[0:3], 0 offen
.LBB50_376:
	v_mov_b32_e32 v0, 0
	global_load_dword v1, v0, s[20:21] offset:84
	s_waitcnt vmcnt(0)
	v_add_nc_u32_e32 v1, -1, v1
	v_cmp_eq_u32_e32 vcc_lo, 21, v1
	s_cbranch_vccnz .LBB50_378
; %bb.377:
	v_lshlrev_b32_e32 v1, 4, v1
	v_mov_b32_e32 v2, s42
	v_add_nc_u32_e32 v1, 16, v1
	s_clause 0x7
	buffer_load_dword v3, v1, s[0:3], 0 offen
	buffer_load_dword v4, v1, s[0:3], 0 offen offset:4
	buffer_load_dword v5, v1, s[0:3], 0 offen offset:8
	;; [unrolled: 1-line block ×6, first 2 shown]
	buffer_load_dword v10, v2, s[0:3], 0 offen
	s_waitcnt vmcnt(7)
	buffer_store_dword v3, v2, s[0:3], 0 offen
	s_waitcnt vmcnt(6)
	buffer_store_dword v4, v2, s[0:3], 0 offen offset:4
	s_waitcnt vmcnt(5)
	buffer_store_dword v5, v2, s[0:3], 0 offen offset:8
	;; [unrolled: 2-line block ×6, first 2 shown]
	s_waitcnt vmcnt(0)
	buffer_store_dword v10, v1, s[0:3], 0 offen
.LBB50_378:
	global_load_dword v0, v0, s[20:21] offset:80
	s_waitcnt vmcnt(0)
	v_add_nc_u32_e32 v0, -1, v0
	v_cmp_eq_u32_e32 vcc_lo, 20, v0
	s_cbranch_vccnz .LBB50_380
; %bb.379:
	v_lshlrev_b32_e32 v0, 4, v0
	v_mov_b32_e32 v1, s43
	v_add_nc_u32_e32 v0, 16, v0
	s_clause 0x7
	buffer_load_dword v2, v0, s[0:3], 0 offen
	buffer_load_dword v3, v0, s[0:3], 0 offen offset:4
	buffer_load_dword v4, v0, s[0:3], 0 offen offset:8
	buffer_load_dword v5, v0, s[0:3], 0 offen offset:12
	buffer_load_dword v6, v1, s[0:3], 0 offen offset:12
	buffer_load_dword v7, v1, s[0:3], 0 offen offset:8
	buffer_load_dword v8, v1, s[0:3], 0 offen offset:4
	buffer_load_dword v9, v1, s[0:3], 0 offen
	s_waitcnt vmcnt(7)
	buffer_store_dword v2, v1, s[0:3], 0 offen
	s_waitcnt vmcnt(6)
	buffer_store_dword v3, v1, s[0:3], 0 offen offset:4
	s_waitcnt vmcnt(5)
	buffer_store_dword v4, v1, s[0:3], 0 offen offset:8
	;; [unrolled: 2-line block ×6, first 2 shown]
	s_waitcnt vmcnt(0)
	buffer_store_dword v9, v0, s[0:3], 0 offen
.LBB50_380:
	v_mov_b32_e32 v0, 0
	global_load_dword v1, v0, s[20:21] offset:76
	s_waitcnt vmcnt(0)
	v_add_nc_u32_e32 v1, -1, v1
	v_cmp_eq_u32_e32 vcc_lo, 19, v1
	s_cbranch_vccnz .LBB50_382
; %bb.381:
	v_lshlrev_b32_e32 v1, 4, v1
	v_mov_b32_e32 v2, s44
	v_add_nc_u32_e32 v1, 16, v1
	s_clause 0x7
	buffer_load_dword v3, v1, s[0:3], 0 offen
	buffer_load_dword v4, v1, s[0:3], 0 offen offset:4
	buffer_load_dword v5, v1, s[0:3], 0 offen offset:8
	;; [unrolled: 1-line block ×6, first 2 shown]
	buffer_load_dword v10, v2, s[0:3], 0 offen
	s_waitcnt vmcnt(7)
	buffer_store_dword v3, v2, s[0:3], 0 offen
	s_waitcnt vmcnt(6)
	buffer_store_dword v4, v2, s[0:3], 0 offen offset:4
	s_waitcnt vmcnt(5)
	buffer_store_dword v5, v2, s[0:3], 0 offen offset:8
	;; [unrolled: 2-line block ×6, first 2 shown]
	s_waitcnt vmcnt(0)
	buffer_store_dword v10, v1, s[0:3], 0 offen
.LBB50_382:
	global_load_dword v0, v0, s[20:21] offset:72
	s_waitcnt vmcnt(0)
	v_add_nc_u32_e32 v0, -1, v0
	v_cmp_eq_u32_e32 vcc_lo, 18, v0
	s_cbranch_vccnz .LBB50_384
; %bb.383:
	v_lshlrev_b32_e32 v0, 4, v0
	v_mov_b32_e32 v1, s45
	v_add_nc_u32_e32 v0, 16, v0
	s_clause 0x7
	buffer_load_dword v2, v0, s[0:3], 0 offen
	buffer_load_dword v3, v0, s[0:3], 0 offen offset:4
	buffer_load_dword v4, v0, s[0:3], 0 offen offset:8
	;; [unrolled: 1-line block ×6, first 2 shown]
	buffer_load_dword v9, v1, s[0:3], 0 offen
	s_waitcnt vmcnt(7)
	buffer_store_dword v2, v1, s[0:3], 0 offen
	s_waitcnt vmcnt(6)
	buffer_store_dword v3, v1, s[0:3], 0 offen offset:4
	s_waitcnt vmcnt(5)
	buffer_store_dword v4, v1, s[0:3], 0 offen offset:8
	s_waitcnt vmcnt(4)
	buffer_store_dword v5, v1, s[0:3], 0 offen offset:12
	s_waitcnt vmcnt(3)
	buffer_store_dword v6, v0, s[0:3], 0 offen offset:12
	s_waitcnt vmcnt(2)
	buffer_store_dword v7, v0, s[0:3], 0 offen offset:8
	s_waitcnt vmcnt(1)
	buffer_store_dword v8, v0, s[0:3], 0 offen offset:4
	s_waitcnt vmcnt(0)
	buffer_store_dword v9, v0, s[0:3], 0 offen
.LBB50_384:
	v_mov_b32_e32 v0, 0
	global_load_dword v1, v0, s[20:21] offset:68
	s_waitcnt vmcnt(0)
	v_add_nc_u32_e32 v1, -1, v1
	v_cmp_eq_u32_e32 vcc_lo, 17, v1
	s_cbranch_vccnz .LBB50_386
; %bb.385:
	v_lshlrev_b32_e32 v1, 4, v1
	v_mov_b32_e32 v2, s46
	v_add_nc_u32_e32 v1, 16, v1
	s_clause 0x7
	buffer_load_dword v3, v1, s[0:3], 0 offen
	buffer_load_dword v4, v1, s[0:3], 0 offen offset:4
	buffer_load_dword v5, v1, s[0:3], 0 offen offset:8
	;; [unrolled: 1-line block ×6, first 2 shown]
	buffer_load_dword v10, v2, s[0:3], 0 offen
	s_waitcnt vmcnt(7)
	buffer_store_dword v3, v2, s[0:3], 0 offen
	s_waitcnt vmcnt(6)
	buffer_store_dword v4, v2, s[0:3], 0 offen offset:4
	s_waitcnt vmcnt(5)
	buffer_store_dword v5, v2, s[0:3], 0 offen offset:8
	;; [unrolled: 2-line block ×6, first 2 shown]
	s_waitcnt vmcnt(0)
	buffer_store_dword v10, v1, s[0:3], 0 offen
.LBB50_386:
	global_load_dword v0, v0, s[20:21] offset:64
	s_waitcnt vmcnt(0)
	v_add_nc_u32_e32 v0, -1, v0
	v_cmp_eq_u32_e32 vcc_lo, 16, v0
	s_cbranch_vccnz .LBB50_388
; %bb.387:
	v_lshlrev_b32_e32 v0, 4, v0
	v_mov_b32_e32 v1, s47
	v_add_nc_u32_e32 v0, 16, v0
	s_clause 0x7
	buffer_load_dword v2, v0, s[0:3], 0 offen
	buffer_load_dword v3, v0, s[0:3], 0 offen offset:4
	buffer_load_dword v4, v0, s[0:3], 0 offen offset:8
	;; [unrolled: 1-line block ×6, first 2 shown]
	buffer_load_dword v9, v1, s[0:3], 0 offen
	s_waitcnt vmcnt(7)
	buffer_store_dword v2, v1, s[0:3], 0 offen
	s_waitcnt vmcnt(6)
	buffer_store_dword v3, v1, s[0:3], 0 offen offset:4
	s_waitcnt vmcnt(5)
	buffer_store_dword v4, v1, s[0:3], 0 offen offset:8
	;; [unrolled: 2-line block ×6, first 2 shown]
	s_waitcnt vmcnt(0)
	buffer_store_dword v9, v0, s[0:3], 0 offen
.LBB50_388:
	v_mov_b32_e32 v0, 0
	global_load_dword v1, v0, s[20:21] offset:60
	s_waitcnt vmcnt(0)
	v_add_nc_u32_e32 v1, -1, v1
	v_cmp_eq_u32_e32 vcc_lo, 15, v1
	s_cbranch_vccnz .LBB50_390
; %bb.389:
	v_lshlrev_b32_e32 v1, 4, v1
	v_mov_b32_e32 v2, s48
	v_add_nc_u32_e32 v1, 16, v1
	s_clause 0x7
	buffer_load_dword v3, v1, s[0:3], 0 offen
	buffer_load_dword v4, v1, s[0:3], 0 offen offset:4
	buffer_load_dword v5, v1, s[0:3], 0 offen offset:8
	;; [unrolled: 1-line block ×6, first 2 shown]
	buffer_load_dword v10, v2, s[0:3], 0 offen
	s_waitcnt vmcnt(7)
	buffer_store_dword v3, v2, s[0:3], 0 offen
	s_waitcnt vmcnt(6)
	buffer_store_dword v4, v2, s[0:3], 0 offen offset:4
	s_waitcnt vmcnt(5)
	buffer_store_dword v5, v2, s[0:3], 0 offen offset:8
	;; [unrolled: 2-line block ×6, first 2 shown]
	s_waitcnt vmcnt(0)
	buffer_store_dword v10, v1, s[0:3], 0 offen
.LBB50_390:
	global_load_dword v0, v0, s[20:21] offset:56
	s_waitcnt vmcnt(0)
	v_add_nc_u32_e32 v0, -1, v0
	v_cmp_eq_u32_e32 vcc_lo, 14, v0
	s_cbranch_vccnz .LBB50_392
; %bb.391:
	v_lshlrev_b32_e32 v0, 4, v0
	v_mov_b32_e32 v1, s49
	v_add_nc_u32_e32 v0, 16, v0
	s_clause 0x7
	buffer_load_dword v2, v0, s[0:3], 0 offen
	buffer_load_dword v3, v0, s[0:3], 0 offen offset:4
	buffer_load_dword v4, v0, s[0:3], 0 offen offset:8
	;; [unrolled: 1-line block ×6, first 2 shown]
	buffer_load_dword v9, v1, s[0:3], 0 offen
	s_waitcnt vmcnt(7)
	buffer_store_dword v2, v1, s[0:3], 0 offen
	s_waitcnt vmcnt(6)
	buffer_store_dword v3, v1, s[0:3], 0 offen offset:4
	s_waitcnt vmcnt(5)
	buffer_store_dword v4, v1, s[0:3], 0 offen offset:8
	;; [unrolled: 2-line block ×6, first 2 shown]
	s_waitcnt vmcnt(0)
	buffer_store_dword v9, v0, s[0:3], 0 offen
.LBB50_392:
	v_mov_b32_e32 v0, 0
	global_load_dword v1, v0, s[20:21] offset:52
	s_waitcnt vmcnt(0)
	v_add_nc_u32_e32 v1, -1, v1
	v_cmp_eq_u32_e32 vcc_lo, 13, v1
	s_cbranch_vccnz .LBB50_394
; %bb.393:
	v_lshlrev_b32_e32 v1, 4, v1
	v_mov_b32_e32 v2, s50
	v_add_nc_u32_e32 v1, 16, v1
	s_clause 0x7
	buffer_load_dword v3, v1, s[0:3], 0 offen
	buffer_load_dword v4, v1, s[0:3], 0 offen offset:4
	buffer_load_dword v5, v1, s[0:3], 0 offen offset:8
	;; [unrolled: 1-line block ×6, first 2 shown]
	buffer_load_dword v10, v2, s[0:3], 0 offen
	s_waitcnt vmcnt(7)
	buffer_store_dword v3, v2, s[0:3], 0 offen
	s_waitcnt vmcnt(6)
	buffer_store_dword v4, v2, s[0:3], 0 offen offset:4
	s_waitcnt vmcnt(5)
	buffer_store_dword v5, v2, s[0:3], 0 offen offset:8
	;; [unrolled: 2-line block ×6, first 2 shown]
	s_waitcnt vmcnt(0)
	buffer_store_dword v10, v1, s[0:3], 0 offen
.LBB50_394:
	global_load_dword v0, v0, s[20:21] offset:48
	s_waitcnt vmcnt(0)
	v_add_nc_u32_e32 v0, -1, v0
	v_cmp_eq_u32_e32 vcc_lo, 12, v0
	s_cbranch_vccnz .LBB50_396
; %bb.395:
	v_lshlrev_b32_e32 v0, 4, v0
	v_mov_b32_e32 v1, s51
	v_add_nc_u32_e32 v0, 16, v0
	s_clause 0x7
	buffer_load_dword v2, v0, s[0:3], 0 offen
	buffer_load_dword v3, v0, s[0:3], 0 offen offset:4
	buffer_load_dword v4, v0, s[0:3], 0 offen offset:8
	;; [unrolled: 1-line block ×6, first 2 shown]
	buffer_load_dword v9, v1, s[0:3], 0 offen
	s_waitcnt vmcnt(7)
	buffer_store_dword v2, v1, s[0:3], 0 offen
	s_waitcnt vmcnt(6)
	buffer_store_dword v3, v1, s[0:3], 0 offen offset:4
	s_waitcnt vmcnt(5)
	buffer_store_dword v4, v1, s[0:3], 0 offen offset:8
	;; [unrolled: 2-line block ×6, first 2 shown]
	s_waitcnt vmcnt(0)
	buffer_store_dword v9, v0, s[0:3], 0 offen
.LBB50_396:
	v_mov_b32_e32 v0, 0
	global_load_dword v1, v0, s[20:21] offset:44
	s_waitcnt vmcnt(0)
	v_add_nc_u32_e32 v1, -1, v1
	v_cmp_eq_u32_e32 vcc_lo, 11, v1
	s_cbranch_vccnz .LBB50_398
; %bb.397:
	v_lshlrev_b32_e32 v1, 4, v1
	v_mov_b32_e32 v2, s52
	v_add_nc_u32_e32 v1, 16, v1
	s_clause 0x7
	buffer_load_dword v3, v1, s[0:3], 0 offen
	buffer_load_dword v4, v1, s[0:3], 0 offen offset:4
	buffer_load_dword v5, v1, s[0:3], 0 offen offset:8
	;; [unrolled: 1-line block ×6, first 2 shown]
	buffer_load_dword v10, v2, s[0:3], 0 offen
	s_waitcnt vmcnt(7)
	buffer_store_dword v3, v2, s[0:3], 0 offen
	s_waitcnt vmcnt(6)
	buffer_store_dword v4, v2, s[0:3], 0 offen offset:4
	s_waitcnt vmcnt(5)
	buffer_store_dword v5, v2, s[0:3], 0 offen offset:8
	;; [unrolled: 2-line block ×6, first 2 shown]
	s_waitcnt vmcnt(0)
	buffer_store_dword v10, v1, s[0:3], 0 offen
.LBB50_398:
	global_load_dword v0, v0, s[20:21] offset:40
	s_waitcnt vmcnt(0)
	v_add_nc_u32_e32 v0, -1, v0
	v_cmp_eq_u32_e32 vcc_lo, 10, v0
	s_cbranch_vccnz .LBB50_400
; %bb.399:
	v_lshlrev_b32_e32 v0, 4, v0
	v_mov_b32_e32 v1, s53
	v_add_nc_u32_e32 v0, 16, v0
	s_clause 0x7
	buffer_load_dword v2, v0, s[0:3], 0 offen
	buffer_load_dword v3, v0, s[0:3], 0 offen offset:4
	buffer_load_dword v4, v0, s[0:3], 0 offen offset:8
	;; [unrolled: 1-line block ×6, first 2 shown]
	buffer_load_dword v9, v1, s[0:3], 0 offen
	s_waitcnt vmcnt(7)
	buffer_store_dword v2, v1, s[0:3], 0 offen
	s_waitcnt vmcnt(6)
	buffer_store_dword v3, v1, s[0:3], 0 offen offset:4
	s_waitcnt vmcnt(5)
	buffer_store_dword v4, v1, s[0:3], 0 offen offset:8
	;; [unrolled: 2-line block ×6, first 2 shown]
	s_waitcnt vmcnt(0)
	buffer_store_dword v9, v0, s[0:3], 0 offen
.LBB50_400:
	v_mov_b32_e32 v0, 0
	global_load_dword v1, v0, s[20:21] offset:36
	s_waitcnt vmcnt(0)
	v_add_nc_u32_e32 v1, -1, v1
	v_cmp_eq_u32_e32 vcc_lo, 9, v1
	s_cbranch_vccnz .LBB50_402
; %bb.401:
	v_lshlrev_b32_e32 v1, 4, v1
	v_mov_b32_e32 v2, s54
	v_add_nc_u32_e32 v1, 16, v1
	s_clause 0x7
	buffer_load_dword v3, v1, s[0:3], 0 offen
	buffer_load_dword v4, v1, s[0:3], 0 offen offset:4
	buffer_load_dword v5, v1, s[0:3], 0 offen offset:8
	;; [unrolled: 1-line block ×6, first 2 shown]
	buffer_load_dword v10, v2, s[0:3], 0 offen
	s_waitcnt vmcnt(7)
	buffer_store_dword v3, v2, s[0:3], 0 offen
	s_waitcnt vmcnt(6)
	buffer_store_dword v4, v2, s[0:3], 0 offen offset:4
	s_waitcnt vmcnt(5)
	buffer_store_dword v5, v2, s[0:3], 0 offen offset:8
	;; [unrolled: 2-line block ×6, first 2 shown]
	s_waitcnt vmcnt(0)
	buffer_store_dword v10, v1, s[0:3], 0 offen
.LBB50_402:
	global_load_dword v0, v0, s[20:21] offset:32
	s_waitcnt vmcnt(0)
	v_add_nc_u32_e32 v0, -1, v0
	v_cmp_eq_u32_e32 vcc_lo, 8, v0
	s_cbranch_vccnz .LBB50_404
; %bb.403:
	v_lshlrev_b32_e32 v0, 4, v0
	v_mov_b32_e32 v1, s55
	v_add_nc_u32_e32 v0, 16, v0
	s_clause 0x7
	buffer_load_dword v2, v0, s[0:3], 0 offen
	buffer_load_dword v3, v0, s[0:3], 0 offen offset:4
	buffer_load_dword v4, v0, s[0:3], 0 offen offset:8
	;; [unrolled: 1-line block ×6, first 2 shown]
	buffer_load_dword v9, v1, s[0:3], 0 offen
	s_waitcnt vmcnt(7)
	buffer_store_dword v2, v1, s[0:3], 0 offen
	s_waitcnt vmcnt(6)
	buffer_store_dword v3, v1, s[0:3], 0 offen offset:4
	s_waitcnt vmcnt(5)
	buffer_store_dword v4, v1, s[0:3], 0 offen offset:8
	;; [unrolled: 2-line block ×6, first 2 shown]
	s_waitcnt vmcnt(0)
	buffer_store_dword v9, v0, s[0:3], 0 offen
.LBB50_404:
	v_mov_b32_e32 v0, 0
	global_load_dword v1, v0, s[20:21] offset:28
	s_waitcnt vmcnt(0)
	v_add_nc_u32_e32 v1, -1, v1
	v_cmp_eq_u32_e32 vcc_lo, 7, v1
	s_cbranch_vccnz .LBB50_406
; %bb.405:
	v_lshlrev_b32_e32 v1, 4, v1
	v_mov_b32_e32 v2, s56
	v_add_nc_u32_e32 v1, 16, v1
	s_clause 0x7
	buffer_load_dword v3, v1, s[0:3], 0 offen
	buffer_load_dword v4, v1, s[0:3], 0 offen offset:4
	buffer_load_dword v5, v1, s[0:3], 0 offen offset:8
	;; [unrolled: 1-line block ×6, first 2 shown]
	buffer_load_dword v10, v2, s[0:3], 0 offen
	s_waitcnt vmcnt(7)
	buffer_store_dword v3, v2, s[0:3], 0 offen
	s_waitcnt vmcnt(6)
	buffer_store_dword v4, v2, s[0:3], 0 offen offset:4
	s_waitcnt vmcnt(5)
	buffer_store_dword v5, v2, s[0:3], 0 offen offset:8
	;; [unrolled: 2-line block ×6, first 2 shown]
	s_waitcnt vmcnt(0)
	buffer_store_dword v10, v1, s[0:3], 0 offen
.LBB50_406:
	global_load_dword v0, v0, s[20:21] offset:24
	s_waitcnt vmcnt(0)
	v_add_nc_u32_e32 v0, -1, v0
	v_cmp_eq_u32_e32 vcc_lo, 6, v0
	s_cbranch_vccnz .LBB50_408
; %bb.407:
	v_lshlrev_b32_e32 v0, 4, v0
	v_mov_b32_e32 v1, s57
	v_add_nc_u32_e32 v0, 16, v0
	s_clause 0x7
	buffer_load_dword v2, v0, s[0:3], 0 offen
	buffer_load_dword v3, v0, s[0:3], 0 offen offset:4
	buffer_load_dword v4, v0, s[0:3], 0 offen offset:8
	;; [unrolled: 1-line block ×6, first 2 shown]
	buffer_load_dword v9, v1, s[0:3], 0 offen
	s_waitcnt vmcnt(7)
	buffer_store_dword v2, v1, s[0:3], 0 offen
	s_waitcnt vmcnt(6)
	buffer_store_dword v3, v1, s[0:3], 0 offen offset:4
	s_waitcnt vmcnt(5)
	buffer_store_dword v4, v1, s[0:3], 0 offen offset:8
	;; [unrolled: 2-line block ×6, first 2 shown]
	s_waitcnt vmcnt(0)
	buffer_store_dword v9, v0, s[0:3], 0 offen
.LBB50_408:
	v_mov_b32_e32 v0, 0
	global_load_dword v1, v0, s[20:21] offset:20
	s_waitcnt vmcnt(0)
	v_add_nc_u32_e32 v1, -1, v1
	v_cmp_eq_u32_e32 vcc_lo, 5, v1
	s_cbranch_vccnz .LBB50_410
; %bb.409:
	v_lshlrev_b32_e32 v1, 4, v1
	v_mov_b32_e32 v2, s58
	v_add_nc_u32_e32 v1, 16, v1
	s_clause 0x7
	buffer_load_dword v3, v1, s[0:3], 0 offen
	buffer_load_dword v4, v1, s[0:3], 0 offen offset:4
	buffer_load_dword v5, v1, s[0:3], 0 offen offset:8
	;; [unrolled: 1-line block ×6, first 2 shown]
	buffer_load_dword v10, v2, s[0:3], 0 offen
	s_waitcnt vmcnt(7)
	buffer_store_dword v3, v2, s[0:3], 0 offen
	s_waitcnt vmcnt(6)
	buffer_store_dword v4, v2, s[0:3], 0 offen offset:4
	s_waitcnt vmcnt(5)
	buffer_store_dword v5, v2, s[0:3], 0 offen offset:8
	;; [unrolled: 2-line block ×6, first 2 shown]
	s_waitcnt vmcnt(0)
	buffer_store_dword v10, v1, s[0:3], 0 offen
.LBB50_410:
	global_load_dword v0, v0, s[20:21] offset:16
	s_waitcnt vmcnt(0)
	v_add_nc_u32_e32 v0, -1, v0
	v_cmp_eq_u32_e32 vcc_lo, 4, v0
	s_cbranch_vccnz .LBB50_412
; %bb.411:
	v_lshlrev_b32_e32 v0, 4, v0
	v_mov_b32_e32 v1, s59
	v_add_nc_u32_e32 v0, 16, v0
	s_clause 0x7
	buffer_load_dword v2, v0, s[0:3], 0 offen
	buffer_load_dword v3, v0, s[0:3], 0 offen offset:4
	buffer_load_dword v4, v0, s[0:3], 0 offen offset:8
	;; [unrolled: 1-line block ×6, first 2 shown]
	buffer_load_dword v9, v1, s[0:3], 0 offen
	s_waitcnt vmcnt(7)
	buffer_store_dword v2, v1, s[0:3], 0 offen
	s_waitcnt vmcnt(6)
	buffer_store_dword v3, v1, s[0:3], 0 offen offset:4
	s_waitcnt vmcnt(5)
	buffer_store_dword v4, v1, s[0:3], 0 offen offset:8
	;; [unrolled: 2-line block ×6, first 2 shown]
	s_waitcnt vmcnt(0)
	buffer_store_dword v9, v0, s[0:3], 0 offen
.LBB50_412:
	v_mov_b32_e32 v0, 0
	global_load_dword v1, v0, s[20:21] offset:12
	s_waitcnt vmcnt(0)
	v_add_nc_u32_e32 v1, -1, v1
	v_cmp_eq_u32_e32 vcc_lo, 3, v1
	s_cbranch_vccnz .LBB50_414
; %bb.413:
	v_lshlrev_b32_e32 v1, 4, v1
	v_mov_b32_e32 v2, s60
	v_add_nc_u32_e32 v1, 16, v1
	s_clause 0x7
	buffer_load_dword v3, v1, s[0:3], 0 offen
	buffer_load_dword v4, v1, s[0:3], 0 offen offset:4
	buffer_load_dword v5, v1, s[0:3], 0 offen offset:8
	;; [unrolled: 1-line block ×6, first 2 shown]
	buffer_load_dword v10, v2, s[0:3], 0 offen
	s_waitcnt vmcnt(7)
	buffer_store_dword v3, v2, s[0:3], 0 offen
	s_waitcnt vmcnt(6)
	buffer_store_dword v4, v2, s[0:3], 0 offen offset:4
	s_waitcnt vmcnt(5)
	buffer_store_dword v5, v2, s[0:3], 0 offen offset:8
	;; [unrolled: 2-line block ×6, first 2 shown]
	s_waitcnt vmcnt(0)
	buffer_store_dword v10, v1, s[0:3], 0 offen
.LBB50_414:
	global_load_dword v0, v0, s[20:21] offset:8
	s_waitcnt vmcnt(0)
	v_add_nc_u32_e32 v0, -1, v0
	v_cmp_eq_u32_e32 vcc_lo, 2, v0
	s_cbranch_vccnz .LBB50_416
; %bb.415:
	v_lshlrev_b32_e32 v0, 4, v0
	v_mov_b32_e32 v1, s61
	v_add_nc_u32_e32 v0, 16, v0
	s_clause 0x7
	buffer_load_dword v2, v0, s[0:3], 0 offen
	buffer_load_dword v3, v0, s[0:3], 0 offen offset:4
	buffer_load_dword v4, v0, s[0:3], 0 offen offset:8
	;; [unrolled: 1-line block ×6, first 2 shown]
	buffer_load_dword v9, v1, s[0:3], 0 offen
	s_waitcnt vmcnt(7)
	buffer_store_dword v2, v1, s[0:3], 0 offen
	s_waitcnt vmcnt(6)
	buffer_store_dword v3, v1, s[0:3], 0 offen offset:4
	s_waitcnt vmcnt(5)
	buffer_store_dword v4, v1, s[0:3], 0 offen offset:8
	;; [unrolled: 2-line block ×6, first 2 shown]
	s_waitcnt vmcnt(0)
	buffer_store_dword v9, v0, s[0:3], 0 offen
.LBB50_416:
	v_mov_b32_e32 v0, 0
	global_load_dword v1, v0, s[20:21] offset:4
	s_waitcnt vmcnt(0)
	v_add_nc_u32_e32 v1, -1, v1
	v_cmp_eq_u32_e32 vcc_lo, 1, v1
	s_cbranch_vccnz .LBB50_418
; %bb.417:
	v_lshlrev_b32_e32 v1, 4, v1
	v_mov_b32_e32 v2, s62
	v_add_nc_u32_e32 v1, 16, v1
	s_clause 0x7
	buffer_load_dword v3, v1, s[0:3], 0 offen
	buffer_load_dword v4, v1, s[0:3], 0 offen offset:4
	buffer_load_dword v5, v1, s[0:3], 0 offen offset:8
	;; [unrolled: 1-line block ×6, first 2 shown]
	buffer_load_dword v10, v2, s[0:3], 0 offen
	s_waitcnt vmcnt(7)
	buffer_store_dword v3, v2, s[0:3], 0 offen
	s_waitcnt vmcnt(6)
	buffer_store_dword v4, v2, s[0:3], 0 offen offset:4
	s_waitcnt vmcnt(5)
	buffer_store_dword v5, v2, s[0:3], 0 offen offset:8
	;; [unrolled: 2-line block ×6, first 2 shown]
	s_waitcnt vmcnt(0)
	buffer_store_dword v10, v1, s[0:3], 0 offen
.LBB50_418:
	global_load_dword v0, v0, s[20:21]
	s_waitcnt vmcnt(0)
	v_add_nc_u32_e32 v0, -1, v0
	v_cmp_eq_u32_e32 vcc_lo, 0, v0
	s_cbranch_vccnz .LBB50_420
; %bb.419:
	v_lshlrev_b32_e32 v0, 4, v0
	v_add_nc_u32_e32 v0, 16, v0
	s_clause 0x7
	buffer_load_dword v1, v0, s[0:3], 0 offen
	buffer_load_dword v2, v0, s[0:3], 0 offen offset:4
	buffer_load_dword v3, v0, s[0:3], 0 offen offset:8
	;; [unrolled: 1-line block ×3, first 2 shown]
	buffer_load_dword v5, off, s[0:3], 0 offset:28
	buffer_load_dword v6, off, s[0:3], 0 offset:24
	;; [unrolled: 1-line block ×4, first 2 shown]
	s_waitcnt vmcnt(7)
	buffer_store_dword v1, off, s[0:3], 0 offset:16
	s_waitcnt vmcnt(6)
	buffer_store_dword v2, off, s[0:3], 0 offset:20
	;; [unrolled: 2-line block ×4, first 2 shown]
	s_waitcnt vmcnt(3)
	buffer_store_dword v5, v0, s[0:3], 0 offen offset:12
	s_waitcnt vmcnt(2)
	buffer_store_dword v6, v0, s[0:3], 0 offen offset:8
	;; [unrolled: 2-line block ×3, first 2 shown]
	s_waitcnt vmcnt(0)
	buffer_store_dword v8, v0, s[0:3], 0 offen
.LBB50_420:
	s_clause 0x3
	buffer_load_dword v0, off, s[0:3], 0 offset:16
	buffer_load_dword v1, off, s[0:3], 0 offset:20
	;; [unrolled: 1-line block ×4, first 2 shown]
	v_mov_b32_e32 v7, s62
	v_mov_b32_e32 v11, s61
	;; [unrolled: 1-line block ×28, first 2 shown]
	s_clause 0x1f
	buffer_load_dword v4, v7, s[0:3], 0 offen
	buffer_load_dword v5, v7, s[0:3], 0 offen offset:4
	buffer_load_dword v6, v7, s[0:3], 0 offen offset:8
	buffer_load_dword v7, v7, s[0:3], 0 offen offset:12
	buffer_load_dword v8, v11, s[0:3], 0 offen
	buffer_load_dword v9, v11, s[0:3], 0 offen offset:4
	buffer_load_dword v10, v11, s[0:3], 0 offen offset:8
	buffer_load_dword v11, v11, s[0:3], 0 offen offset:12
	buffer_load_dword v12, v15, s[0:3], 0 offen
	buffer_load_dword v13, v15, s[0:3], 0 offen offset:4
	buffer_load_dword v14, v15, s[0:3], 0 offen offset:8
	buffer_load_dword v15, v15, s[0:3], 0 offen offset:12
	buffer_load_dword v16, v19, s[0:3], 0 offen
	buffer_load_dword v17, v19, s[0:3], 0 offen offset:4
	buffer_load_dword v18, v19, s[0:3], 0 offen offset:8
	buffer_load_dword v19, v19, s[0:3], 0 offen offset:12
	buffer_load_dword v20, v23, s[0:3], 0 offen
	buffer_load_dword v21, v23, s[0:3], 0 offen offset:4
	buffer_load_dword v22, v23, s[0:3], 0 offen offset:8
	buffer_load_dword v23, v23, s[0:3], 0 offen offset:12
	buffer_load_dword v24, v27, s[0:3], 0 offen
	buffer_load_dword v25, v27, s[0:3], 0 offen offset:4
	buffer_load_dword v26, v27, s[0:3], 0 offen offset:8
	buffer_load_dword v27, v27, s[0:3], 0 offen offset:12
	buffer_load_dword v28, v31, s[0:3], 0 offen
	buffer_load_dword v29, v31, s[0:3], 0 offen offset:4
	buffer_load_dword v30, v31, s[0:3], 0 offen offset:8
	buffer_load_dword v31, v31, s[0:3], 0 offen offset:12
	buffer_load_dword v32, v35, s[0:3], 0 offen
	buffer_load_dword v33, v35, s[0:3], 0 offen offset:4
	buffer_load_dword v34, v35, s[0:3], 0 offen offset:8
	buffer_load_dword v35, v35, s[0:3], 0 offen offset:12
	v_mov_b32_e32 v119, s38
	v_mov_b32_e32 v120, s37
	;; [unrolled: 1-line block ×5, first 2 shown]
	s_clause 0x3e
	buffer_load_dword v53, v36, s[0:3], 0 offen
	buffer_load_dword v54, v36, s[0:3], 0 offen offset:4
	buffer_load_dword v55, v36, s[0:3], 0 offen offset:8
	buffer_load_dword v56, v36, s[0:3], 0 offen offset:12
	buffer_load_dword v57, v60, s[0:3], 0 offen
	buffer_load_dword v58, v60, s[0:3], 0 offen offset:4
	buffer_load_dword v59, v60, s[0:3], 0 offen offset:8
	buffer_load_dword v60, v60, s[0:3], 0 offen offset:12
	;; [unrolled: 4-line block ×15, first 2 shown]
	buffer_load_dword v113, v116, s[0:3], 0 offen
	buffer_load_dword v114, v116, s[0:3], 0 offen offset:4
	buffer_load_dword v115, v116, s[0:3], 0 offen offset:8
	s_clause 0x1c
	buffer_load_dword v116, v116, s[0:3], 0 offen offset:12
	buffer_load_dword v203, v119, s[0:3], 0 offen
	buffer_load_dword v204, v119, s[0:3], 0 offen offset:4
	buffer_load_dword v205, v119, s[0:3], 0 offen offset:8
	buffer_load_dword v206, v119, s[0:3], 0 offen offset:12
	buffer_load_dword v207, v120, s[0:3], 0 offen
	buffer_load_dword v208, v120, s[0:3], 0 offen offset:4
	buffer_load_dword v209, v120, s[0:3], 0 offen offset:8
	;; [unrolled: 4-line block ×7, first 2 shown]
	buffer_load_dword v230, v230, s[0:3], 0 offen offset:12
	v_mov_b32_e32 v235, s28
	v_mov_b32_e32 v236, s27
	;; [unrolled: 1-line block ×17, first 2 shown]
	s_waitcnt vmcnt(62)
	global_store_dwordx4 v[117:118], v[0:3], off
	s_clause 0x9
	buffer_load_dword v0, v231, s[0:3], 0 offen
	buffer_load_dword v1, v231, s[0:3], 0 offen offset:4
	buffer_load_dword v2, v231, s[0:3], 0 offen offset:8
	;; [unrolled: 1-line block ×3, first 2 shown]
	buffer_load_dword v231, v234, s[0:3], 0 offen
	buffer_load_dword v232, v234, s[0:3], 0 offen offset:4
	buffer_load_dword v233, v234, s[0:3], 0 offen offset:8
	;; [unrolled: 1-line block ×3, first 2 shown]
	buffer_load_dword v117, off, s[0:3], 0 offset:832
	buffer_load_dword v118, off, s[0:3], 0 offset:836
	s_waitcnt vmcnt(0)
	global_store_dwordx4 v[117:118], v[4:7], off
	s_clause 0x9
	buffer_load_dword v4, v235, s[0:3], 0 offen
	buffer_load_dword v5, v235, s[0:3], 0 offen offset:4
	buffer_load_dword v6, v235, s[0:3], 0 offen offset:8
	;; [unrolled: 1-line block ×3, first 2 shown]
	buffer_load_dword v117, v236, s[0:3], 0 offen
	buffer_load_dword v118, v236, s[0:3], 0 offen offset:4
	buffer_load_dword v119, v236, s[0:3], 0 offen offset:8
	;; [unrolled: 1-line block ×3, first 2 shown]
	buffer_load_dword v121, off, s[0:3], 0 offset:840
	buffer_load_dword v122, off, s[0:3], 0 offset:844
	s_waitcnt vmcnt(0)
	global_store_dwordx4 v[121:122], v[8:11], off
	s_clause 0x7
	buffer_load_dword v8, v237, s[0:3], 0 offen
	buffer_load_dword v9, v237, s[0:3], 0 offen offset:4
	buffer_load_dword v10, v237, s[0:3], 0 offen offset:8
	buffer_load_dword v11, v237, s[0:3], 0 offen offset:12
	buffer_load_dword v235, v238, s[0:3], 0 offen
	buffer_load_dword v236, v238, s[0:3], 0 offen offset:4
	buffer_load_dword v237, v238, s[0:3], 0 offen offset:8
	buffer_load_dword v238, v238, s[0:3], 0 offen offset:12
	global_store_dwordx4 v[123:124], v[12:15], off
	s_clause 0x7
	buffer_load_dword v12, v239, s[0:3], 0 offen
	buffer_load_dword v13, v239, s[0:3], 0 offen offset:4
	buffer_load_dword v14, v239, s[0:3], 0 offen offset:8
	buffer_load_dword v15, v239, s[0:3], 0 offen offset:12
	buffer_load_dword v121, v240, s[0:3], 0 offen
	buffer_load_dword v122, v240, s[0:3], 0 offen offset:4
	buffer_load_dword v123, v240, s[0:3], 0 offen offset:8
	buffer_load_dword v124, v240, s[0:3], 0 offen offset:12
	global_store_dwordx4 v[125:126], v[16:19], off
	s_clause 0x7
	buffer_load_dword v16, v241, s[0:3], 0 offen
	buffer_load_dword v17, v241, s[0:3], 0 offen offset:4
	buffer_load_dword v18, v241, s[0:3], 0 offen offset:8
	buffer_load_dword v19, v241, s[0:3], 0 offen offset:12
	buffer_load_dword v239, v242, s[0:3], 0 offen
	buffer_load_dword v240, v242, s[0:3], 0 offen offset:4
	buffer_load_dword v241, v242, s[0:3], 0 offen offset:8
	buffer_load_dword v242, v242, s[0:3], 0 offen offset:12
	global_store_dwordx4 v[127:128], v[20:23], off
	s_clause 0x7
	buffer_load_dword v20, v243, s[0:3], 0 offen
	buffer_load_dword v21, v243, s[0:3], 0 offen offset:4
	buffer_load_dword v22, v243, s[0:3], 0 offen offset:8
	buffer_load_dword v23, v243, s[0:3], 0 offen offset:12
	buffer_load_dword v125, v244, s[0:3], 0 offen
	buffer_load_dword v126, v244, s[0:3], 0 offen offset:4
	buffer_load_dword v127, v244, s[0:3], 0 offen offset:8
	buffer_load_dword v128, v244, s[0:3], 0 offen offset:12
	global_store_dwordx4 v[129:130], v[24:27], off
	s_clause 0x7
	buffer_load_dword v24, v245, s[0:3], 0 offen
	buffer_load_dword v25, v245, s[0:3], 0 offen offset:4
	buffer_load_dword v26, v245, s[0:3], 0 offen offset:8
	buffer_load_dword v27, v245, s[0:3], 0 offen offset:12
	buffer_load_dword v243, v246, s[0:3], 0 offen
	buffer_load_dword v244, v246, s[0:3], 0 offen offset:4
	buffer_load_dword v245, v246, s[0:3], 0 offen offset:8
	buffer_load_dword v246, v246, s[0:3], 0 offen offset:12
	global_store_dwordx4 v[131:132], v[28:31], off
	s_clause 0x7
	buffer_load_dword v28, v247, s[0:3], 0 offen
	buffer_load_dword v29, v247, s[0:3], 0 offen offset:4
	buffer_load_dword v30, v247, s[0:3], 0 offen offset:8
	buffer_load_dword v31, v247, s[0:3], 0 offen offset:12
	buffer_load_dword v129, v248, s[0:3], 0 offen
	buffer_load_dword v130, v248, s[0:3], 0 offen offset:4
	buffer_load_dword v131, v248, s[0:3], 0 offen offset:8
	buffer_load_dword v132, v248, s[0:3], 0 offen offset:12
	global_store_dwordx4 v[133:134], v[32:35], off
	s_clause 0xb
	buffer_load_dword v32, v249, s[0:3], 0 offen
	buffer_load_dword v33, v249, s[0:3], 0 offen offset:4
	buffer_load_dword v34, v249, s[0:3], 0 offen offset:8
	buffer_load_dword v35, v249, s[0:3], 0 offen offset:12
	buffer_load_dword v247, v250, s[0:3], 0 offen
	buffer_load_dword v248, v250, s[0:3], 0 offen offset:4
	buffer_load_dword v249, v250, s[0:3], 0 offen offset:8
	buffer_load_dword v250, v250, s[0:3], 0 offen offset:12
	buffer_load_dword v251, v254, s[0:3], 0 offen
	buffer_load_dword v252, v254, s[0:3], 0 offen offset:4
	buffer_load_dword v253, v254, s[0:3], 0 offen offset:8
	;; [unrolled: 1-line block ×3, first 2 shown]
	global_store_dwordx4 v[135:136], v[53:56], off
	global_store_dwordx4 v[137:138], v[57:60], off
	;; [unrolled: 1-line block ×27, first 2 shown]
	s_waitcnt vmcnt(56)
	global_store_dwordx4 v[189:190], v[8:11], off
	s_waitcnt vmcnt(52)
	global_store_dwordx4 v[191:192], v[235:238], off
	;; [unrolled: 2-line block ×15, first 2 shown]
	s_endpgm
	.section	.rodata,"a",@progbits
	.p2align	6, 0x0
	.amdhsa_kernel _ZN9rocsolver6v33100L18getri_kernel_smallILi51E19rocblas_complex_numIdEPS3_EEvT1_iilPiilS6_bb
		.amdhsa_group_segment_fixed_size 1640
		.amdhsa_private_segment_fixed_size 864
		.amdhsa_kernarg_size 60
		.amdhsa_user_sgpr_count 6
		.amdhsa_user_sgpr_private_segment_buffer 1
		.amdhsa_user_sgpr_dispatch_ptr 0
		.amdhsa_user_sgpr_queue_ptr 0
		.amdhsa_user_sgpr_kernarg_segment_ptr 1
		.amdhsa_user_sgpr_dispatch_id 0
		.amdhsa_user_sgpr_flat_scratch_init 0
		.amdhsa_user_sgpr_private_segment_size 0
		.amdhsa_wavefront_size32 1
		.amdhsa_uses_dynamic_stack 0
		.amdhsa_system_sgpr_private_segment_wavefront_offset 1
		.amdhsa_system_sgpr_workgroup_id_x 1
		.amdhsa_system_sgpr_workgroup_id_y 0
		.amdhsa_system_sgpr_workgroup_id_z 0
		.amdhsa_system_sgpr_workgroup_info 0
		.amdhsa_system_vgpr_workitem_id 0
		.amdhsa_next_free_vgpr 256
		.amdhsa_next_free_sgpr 67
		.amdhsa_reserve_vcc 1
		.amdhsa_reserve_flat_scratch 0
		.amdhsa_float_round_mode_32 0
		.amdhsa_float_round_mode_16_64 0
		.amdhsa_float_denorm_mode_32 3
		.amdhsa_float_denorm_mode_16_64 3
		.amdhsa_dx10_clamp 1
		.amdhsa_ieee_mode 1
		.amdhsa_fp16_overflow 0
		.amdhsa_workgroup_processor_mode 1
		.amdhsa_memory_ordered 1
		.amdhsa_forward_progress 1
		.amdhsa_shared_vgpr_count 0
		.amdhsa_exception_fp_ieee_invalid_op 0
		.amdhsa_exception_fp_denorm_src 0
		.amdhsa_exception_fp_ieee_div_zero 0
		.amdhsa_exception_fp_ieee_overflow 0
		.amdhsa_exception_fp_ieee_underflow 0
		.amdhsa_exception_fp_ieee_inexact 0
		.amdhsa_exception_int_div_zero 0
	.end_amdhsa_kernel
	.section	.text._ZN9rocsolver6v33100L18getri_kernel_smallILi51E19rocblas_complex_numIdEPS3_EEvT1_iilPiilS6_bb,"axG",@progbits,_ZN9rocsolver6v33100L18getri_kernel_smallILi51E19rocblas_complex_numIdEPS3_EEvT1_iilPiilS6_bb,comdat
.Lfunc_end50:
	.size	_ZN9rocsolver6v33100L18getri_kernel_smallILi51E19rocblas_complex_numIdEPS3_EEvT1_iilPiilS6_bb, .Lfunc_end50-_ZN9rocsolver6v33100L18getri_kernel_smallILi51E19rocblas_complex_numIdEPS3_EEvT1_iilPiilS6_bb
                                        ; -- End function
	.set _ZN9rocsolver6v33100L18getri_kernel_smallILi51E19rocblas_complex_numIdEPS3_EEvT1_iilPiilS6_bb.num_vgpr, 256
	.set _ZN9rocsolver6v33100L18getri_kernel_smallILi51E19rocblas_complex_numIdEPS3_EEvT1_iilPiilS6_bb.num_agpr, 0
	.set _ZN9rocsolver6v33100L18getri_kernel_smallILi51E19rocblas_complex_numIdEPS3_EEvT1_iilPiilS6_bb.numbered_sgpr, 67
	.set _ZN9rocsolver6v33100L18getri_kernel_smallILi51E19rocblas_complex_numIdEPS3_EEvT1_iilPiilS6_bb.num_named_barrier, 0
	.set _ZN9rocsolver6v33100L18getri_kernel_smallILi51E19rocblas_complex_numIdEPS3_EEvT1_iilPiilS6_bb.private_seg_size, 864
	.set _ZN9rocsolver6v33100L18getri_kernel_smallILi51E19rocblas_complex_numIdEPS3_EEvT1_iilPiilS6_bb.uses_vcc, 1
	.set _ZN9rocsolver6v33100L18getri_kernel_smallILi51E19rocblas_complex_numIdEPS3_EEvT1_iilPiilS6_bb.uses_flat_scratch, 0
	.set _ZN9rocsolver6v33100L18getri_kernel_smallILi51E19rocblas_complex_numIdEPS3_EEvT1_iilPiilS6_bb.has_dyn_sized_stack, 0
	.set _ZN9rocsolver6v33100L18getri_kernel_smallILi51E19rocblas_complex_numIdEPS3_EEvT1_iilPiilS6_bb.has_recursion, 0
	.set _ZN9rocsolver6v33100L18getri_kernel_smallILi51E19rocblas_complex_numIdEPS3_EEvT1_iilPiilS6_bb.has_indirect_call, 0
	.section	.AMDGPU.csdata,"",@progbits
; Kernel info:
; codeLenInByte = 172992
; TotalNumSgprs: 69
; NumVgprs: 256
; ScratchSize: 864
; MemoryBound: 0
; FloatMode: 240
; IeeeMode: 1
; LDSByteSize: 1640 bytes/workgroup (compile time only)
; SGPRBlocks: 0
; VGPRBlocks: 31
; NumSGPRsForWavesPerEU: 69
; NumVGPRsForWavesPerEU: 256
; Occupancy: 4
; WaveLimiterHint : 1
; COMPUTE_PGM_RSRC2:SCRATCH_EN: 1
; COMPUTE_PGM_RSRC2:USER_SGPR: 6
; COMPUTE_PGM_RSRC2:TRAP_HANDLER: 0
; COMPUTE_PGM_RSRC2:TGID_X_EN: 1
; COMPUTE_PGM_RSRC2:TGID_Y_EN: 0
; COMPUTE_PGM_RSRC2:TGID_Z_EN: 0
; COMPUTE_PGM_RSRC2:TIDIG_COMP_CNT: 0
	.section	.text._ZN9rocsolver6v33100L18getri_kernel_smallILi52E19rocblas_complex_numIdEPS3_EEvT1_iilPiilS6_bb,"axG",@progbits,_ZN9rocsolver6v33100L18getri_kernel_smallILi52E19rocblas_complex_numIdEPS3_EEvT1_iilPiilS6_bb,comdat
	.globl	_ZN9rocsolver6v33100L18getri_kernel_smallILi52E19rocblas_complex_numIdEPS3_EEvT1_iilPiilS6_bb ; -- Begin function _ZN9rocsolver6v33100L18getri_kernel_smallILi52E19rocblas_complex_numIdEPS3_EEvT1_iilPiilS6_bb
	.p2align	8
	.type	_ZN9rocsolver6v33100L18getri_kernel_smallILi52E19rocblas_complex_numIdEPS3_EEvT1_iilPiilS6_bb,@function
_ZN9rocsolver6v33100L18getri_kernel_smallILi52E19rocblas_complex_numIdEPS3_EEvT1_iilPiilS6_bb: ; @_ZN9rocsolver6v33100L18getri_kernel_smallILi52E19rocblas_complex_numIdEPS3_EEvT1_iilPiilS6_bb
; %bb.0:
	s_add_u32 s0, s0, s7
	s_addc_u32 s1, s1, 0
	s_mov_b32 s7, exec_lo
	v_cmpx_gt_u32_e32 52, v0
	s_cbranch_execz .LBB51_222
; %bb.1:
	s_clause 0x2
	s_load_dword s7, s[4:5], 0x38
	s_load_dwordx4 s[16:19], s[4:5], 0x10
	s_load_dwordx4 s[8:11], s[4:5], 0x28
                                        ; implicit-def: $sgpr20_sgpr21
	s_waitcnt lgkmcnt(0)
	s_bitcmp1_b32 s7, 8
	s_cselect_b32 s64, -1, 0
	s_bfe_u32 s12, s7, 0x10008
	s_ashr_i32 s7, s6, 31
	s_cmp_eq_u32 s12, 0
	s_cbranch_scc1 .LBB51_3
; %bb.2:
	s_load_dword s12, s[4:5], 0x20
	s_mul_i32 s13, s8, s7
	s_mul_hi_u32 s14, s8, s6
	s_mul_i32 s9, s9, s6
	s_add_i32 s13, s14, s13
	s_mul_i32 s8, s8, s6
	s_add_i32 s9, s13, s9
	s_lshl_b64 s[8:9], s[8:9], 2
	s_waitcnt lgkmcnt(0)
	s_ashr_i32 s13, s12, 31
	s_add_u32 s14, s18, s8
	s_addc_u32 s15, s19, s9
	s_lshl_b64 s[8:9], s[12:13], 2
	s_add_u32 s20, s14, s8
	s_addc_u32 s21, s15, s9
.LBB51_3:
	s_clause 0x1
	s_load_dwordx4 s[12:15], s[4:5], 0x0
	s_load_dword s65, s[4:5], 0x38
	s_mul_i32 s4, s16, s7
	s_mul_hi_u32 s5, s16, s6
	s_mul_i32 s8, s17, s6
	s_add_i32 s5, s5, s4
	s_mul_i32 s4, s16, s6
	s_add_i32 s5, s5, s8
	v_lshlrev_b32_e32 v209, 4, v0
	s_lshl_b64 s[4:5], s[4:5], 4
	s_mov_b32 s63, 32
	s_mov_b32 s62, 48
	;; [unrolled: 1-line block ×3, first 2 shown]
	s_movk_i32 s60, 0x50
	s_waitcnt lgkmcnt(0)
	v_add3_u32 v5, s15, s15, v0
	s_ashr_i32 s9, s14, 31
	s_mov_b32 s8, s14
	s_add_u32 s12, s12, s4
	s_addc_u32 s13, s13, s5
	v_add_nc_u32_e32 v7, s15, v5
	s_lshl_b64 s[4:5], s[8:9], 4
	v_ashrrev_i32_e32 v6, 31, v5
	s_add_u32 s4, s12, s4
	s_addc_u32 s5, s13, s5
	v_add_nc_u32_e32 v9, s15, v7
	v_add_co_u32 v125, s12, s4, v209
	s_mov_b32 s8, s15
	s_ashr_i32 s9, s15, 31
	v_lshlrev_b64 v[5:6], 4, v[5:6]
	v_ashrrev_i32_e32 v8, 31, v7
	v_add_co_ci_u32_e64 v126, null, s5, 0, s12
	s_lshl_b64 s[8:9], s[8:9], 4
	v_ashrrev_i32_e32 v10, 31, v9
	v_add_nc_u32_e32 v11, s15, v9
	v_add_co_u32 v141, vcc_lo, v125, s8
	v_lshlrev_b64 v[7:8], 4, v[7:8]
	v_add_co_ci_u32_e64 v142, null, s9, v126, vcc_lo
	v_add_co_u32 v143, vcc_lo, s4, v5
	v_add_co_ci_u32_e64 v144, null, s5, v6, vcc_lo
	v_lshlrev_b64 v[5:6], 4, v[9:10]
	v_ashrrev_i32_e32 v12, 31, v11
	v_add_nc_u32_e32 v9, s15, v11
	v_add_co_u32 v131, vcc_lo, s4, v7
	v_add_co_ci_u32_e64 v132, null, s5, v8, vcc_lo
	v_lshlrev_b64 v[7:8], 4, v[11:12]
	v_ashrrev_i32_e32 v10, 31, v9
	v_add_nc_u32_e32 v11, s15, v9
	;; [unrolled: 5-line block ×3, first 2 shown]
	v_add_co_u32 v135, vcc_lo, s4, v7
	v_add_co_ci_u32_e64 v136, null, s5, v8, vcc_lo
	v_lshlrev_b64 v[7:8], 4, v[11:12]
	v_add_nc_u32_e32 v11, s15, v9
	v_ashrrev_i32_e32 v10, 31, v9
	v_add_co_u32 v137, vcc_lo, s4, v5
	v_add_co_ci_u32_e64 v138, null, s5, v6, vcc_lo
	v_ashrrev_i32_e32 v12, 31, v11
	v_lshlrev_b64 v[5:6], 4, v[9:10]
	v_add_co_u32 v139, vcc_lo, s4, v7
	v_add_co_ci_u32_e64 v140, null, s5, v8, vcc_lo
	v_lshlrev_b64 v[7:8], 4, v[11:12]
	v_add_co_u32 v145, vcc_lo, s4, v5
	v_add_co_ci_u32_e64 v146, null, s5, v6, vcc_lo
	s_clause 0x1
	global_load_dwordx4 v[1:4], v209, s[4:5]
	global_load_dwordx4 v[41:44], v[131:132], off
	v_add_co_u32 v13, vcc_lo, s4, v7
	v_add_co_ci_u32_e64 v14, null, s5, v8, vcc_lo
	s_clause 0x6
	global_load_dwordx4 v[61:64], v[141:142], off
	global_load_dwordx4 v[37:40], v[143:144], off
	;; [unrolled: 1-line block ×7, first 2 shown]
	buffer_store_dword v13, off, s[0:3], 0 offset:848 ; 4-byte Folded Spill
	buffer_store_dword v14, off, s[0:3], 0 offset:852 ; 4-byte Folded Spill
	v_add_nc_u32_e32 v9, s15, v11
	v_ashrrev_i32_e32 v10, 31, v9
	v_add_nc_u32_e32 v11, s15, v9
	v_lshlrev_b64 v[5:6], 4, v[9:10]
	v_ashrrev_i32_e32 v12, 31, v11
	v_add_nc_u32_e32 v9, s15, v11
	v_lshlrev_b64 v[7:8], 4, v[11:12]
	v_ashrrev_i32_e32 v10, 31, v9
	v_add_nc_u32_e32 v11, s15, v9
	v_add_co_u32 v254, vcc_lo, s4, v5
	v_add_co_ci_u32_e64 v255, null, s5, v6, vcc_lo
	v_lshlrev_b64 v[5:6], 4, v[9:10]
	v_ashrrev_i32_e32 v12, 31, v11
	v_add_nc_u32_e32 v9, s15, v11
	v_add_co_u32 v147, vcc_lo, s4, v7
	v_add_co_ci_u32_e64 v148, null, s5, v8, vcc_lo
	v_lshlrev_b64 v[7:8], 4, v[11:12]
	v_add_nc_u32_e32 v11, s15, v9
	v_ashrrev_i32_e32 v10, 31, v9
	v_add_co_u32 v149, vcc_lo, s4, v5
	v_add_co_ci_u32_e64 v150, null, s5, v6, vcc_lo
	v_ashrrev_i32_e32 v12, 31, v11
	v_lshlrev_b64 v[5:6], 4, v[9:10]
	v_add_co_u32 v151, vcc_lo, s4, v7
	v_add_co_ci_u32_e64 v152, null, s5, v8, vcc_lo
	v_lshlrev_b64 v[7:8], 4, v[11:12]
	v_add_co_u32 v153, vcc_lo, s4, v5
	v_add_co_ci_u32_e64 v154, null, s5, v6, vcc_lo
	global_load_dwordx4 v[73:76], v[254:255], off
	v_add_co_u32 v155, vcc_lo, s4, v7
	v_add_co_ci_u32_e64 v156, null, s5, v8, vcc_lo
	s_clause 0x1
	global_load_dwordx4 v[81:84], v[149:150], off
	global_load_dwordx4 v[85:88], v[151:152], off
	v_add_nc_u32_e32 v9, s15, v11
	global_load_dwordx4 v[77:80], v[147:148], off
	v_add_nc_u32_e32 v11, s15, v9
	v_ashrrev_i32_e32 v10, 31, v9
	v_ashrrev_i32_e32 v12, 31, v11
	v_lshlrev_b64 v[9:10], 4, v[9:10]
	v_add_co_u32 v157, vcc_lo, s4, v9
	v_add_co_ci_u32_e64 v158, null, s5, v10, vcc_lo
	s_clause 0x2
	global_load_dwordx4 v[69:72], v[13:14], off
	global_load_dwordx4 v[89:92], v[153:154], off
	;; [unrolled: 1-line block ×3, first 2 shown]
	v_add_nc_u32_e32 v13, s15, v11
	v_lshlrev_b64 v[11:12], 4, v[11:12]
	v_add_nc_u32_e32 v15, s15, v13
	v_ashrrev_i32_e32 v14, 31, v13
	v_add_co_u32 v159, vcc_lo, s4, v11
	v_add_co_ci_u32_e64 v160, null, s5, v12, vcc_lo
	v_add_nc_u32_e32 v17, s15, v15
	v_ashrrev_i32_e32 v16, 31, v15
	v_lshlrev_b64 v[13:14], 4, v[13:14]
	global_load_dwordx4 v[9:12], v[157:158], off
	v_add_nc_u32_e32 v21, s15, v17
	v_ashrrev_i32_e32 v18, 31, v17
	v_lshlrev_b64 v[15:16], 4, v[15:16]
	v_add_co_u32 v161, vcc_lo, s4, v13
	v_add_nc_u32_e32 v25, s15, v21
	v_ashrrev_i32_e32 v22, 31, v21
	v_lshlrev_b64 v[23:24], 4, v[17:18]
	v_add_co_ci_u32_e64 v162, null, s5, v14, vcc_lo
	v_add_nc_u32_e32 v29, s15, v25
	v_ashrrev_i32_e32 v26, 31, v25
	v_lshlrev_b64 v[21:22], 4, v[21:22]
	v_add_co_u32 v163, vcc_lo, s4, v15
	v_add_nc_u32_e32 v33, s15, v29
	v_ashrrev_i32_e32 v30, 31, v29
	v_lshlrev_b64 v[31:32], 4, v[25:26]
	v_add_co_ci_u32_e64 v164, null, s5, v16, vcc_lo
	v_add_nc_u32_e32 v93, s15, v33
	v_ashrrev_i32_e32 v34, 31, v33
	v_add_co_u32 v165, vcc_lo, s4, v23
	v_lshlrev_b64 v[29:30], 4, v[29:30]
	v_add_nc_u32_e32 v97, s15, v93
	v_ashrrev_i32_e32 v94, 31, v93
	v_add_co_ci_u32_e64 v166, null, s5, v24, vcc_lo
	v_add_co_u32 v167, vcc_lo, s4, v21
	v_add_nc_u32_e32 v103, s15, v97
	v_ashrrev_i32_e32 v98, 31, v97
	v_lshlrev_b64 v[95:96], 4, v[33:34]
	v_add_co_ci_u32_e64 v168, null, s5, v22, vcc_lo
	v_add_nc_u32_e32 v107, s15, v103
	v_ashrrev_i32_e32 v104, 31, v103
	v_add_co_u32 v169, vcc_lo, s4, v31
	v_lshlrev_b64 v[101:102], 4, v[93:94]
	v_add_nc_u32_e32 v111, s15, v107
	v_ashrrev_i32_e32 v108, 31, v107
	v_add_co_ci_u32_e64 v170, null, s5, v32, vcc_lo
	v_add_co_u32 v171, vcc_lo, s4, v29
	v_add_nc_u32_e32 v115, s15, v111
	v_lshlrev_b64 v[105:106], 4, v[97:98]
	v_ashrrev_i32_e32 v112, 31, v111
	v_add_co_ci_u32_e64 v172, null, s5, v30, vcc_lo
	v_add_nc_u32_e32 v119, s15, v115
	v_add_co_u32 v173, vcc_lo, s4, v95
	v_lshlrev_b64 v[109:110], 4, v[103:104]
	v_ashrrev_i32_e32 v116, 31, v115
	v_add_nc_u32_e32 v123, s15, v119
	v_add_co_ci_u32_e64 v174, null, s5, v96, vcc_lo
	v_add_co_u32 v175, vcc_lo, s4, v101
	v_lshlrev_b64 v[113:114], 4, v[107:108]
	v_ashrrev_i32_e32 v120, 31, v119
	v_add_co_ci_u32_e64 v176, null, s5, v102, vcc_lo
	v_add_co_u32 v177, vcc_lo, s4, v105
	v_lshlrev_b64 v[117:118], 4, v[111:112]
	v_add_co_ci_u32_e64 v178, null, s5, v106, vcc_lo
	v_add_co_u32 v179, vcc_lo, s4, v109
	v_lshlrev_b64 v[121:122], 4, v[115:116]
	v_add_nc_u32_e32 v129, s15, v123
	v_add_co_ci_u32_e64 v180, null, s5, v110, vcc_lo
	v_add_co_u32 v181, vcc_lo, s4, v113
	v_lshlrev_b64 v[127:128], 4, v[119:120]
	v_add_co_ci_u32_e64 v182, null, s5, v114, vcc_lo
	v_add_co_u32 v183, vcc_lo, s4, v117
	v_ashrrev_i32_e32 v124, 31, v123
	v_ashrrev_i32_e32 v130, 31, v129
	v_add_nc_u32_e32 v191, s15, v129
	v_add_co_ci_u32_e64 v184, null, s5, v118, vcc_lo
	v_add_co_u32 v185, vcc_lo, s4, v121
	v_add_co_ci_u32_e64 v186, null, s5, v122, vcc_lo
	v_add_co_u32 v187, vcc_lo, s4, v127
	v_lshlrev_b64 v[189:190], 4, v[123:124]
	v_add_co_ci_u32_e64 v188, null, s5, v128, vcc_lo
	v_lshlrev_b64 v[127:128], 4, v[129:130]
	v_add_nc_u32_e32 v129, s15, v191
	v_ashrrev_i32_e32 v192, 31, v191
	v_add_co_u32 v189, vcc_lo, s4, v189
	v_add_co_ci_u32_e64 v190, null, s5, v190, vcc_lo
	v_ashrrev_i32_e32 v130, 31, v129
	v_add_nc_u32_e32 v195, s15, v129
	v_lshlrev_b64 v[193:194], 4, v[191:192]
	v_add_co_u32 v191, vcc_lo, s4, v127
	v_add_co_ci_u32_e64 v192, null, s5, v128, vcc_lo
	v_lshlrev_b64 v[127:128], 4, v[129:130]
	v_add_nc_u32_e32 v129, s15, v195
	v_ashrrev_i32_e32 v196, 31, v195
	v_add_co_u32 v193, vcc_lo, s4, v193
	v_add_co_ci_u32_e64 v194, null, s5, v194, vcc_lo
	v_ashrrev_i32_e32 v130, 31, v129
	v_add_nc_u32_e32 v199, s15, v129
	v_lshlrev_b64 v[197:198], 4, v[195:196]
	v_add_co_u32 v195, vcc_lo, s4, v127
	v_add_co_ci_u32_e64 v196, null, s5, v128, vcc_lo
	v_lshlrev_b64 v[127:128], 4, v[129:130]
	v_add_nc_u32_e32 v129, s15, v199
	v_ashrrev_i32_e32 v200, 31, v199
	v_add_co_u32 v197, vcc_lo, s4, v197
	v_add_co_ci_u32_e64 v198, null, s5, v198, vcc_lo
	v_ashrrev_i32_e32 v130, 31, v129
	v_add_nc_u32_e32 v203, s15, v129
	v_lshlrev_b64 v[201:202], 4, v[199:200]
	v_add_co_u32 v199, vcc_lo, s4, v127
	v_add_co_ci_u32_e64 v200, null, s5, v128, vcc_lo
	v_lshlrev_b64 v[127:128], 4, v[129:130]
	v_add_nc_u32_e32 v129, s15, v203
	v_ashrrev_i32_e32 v204, 31, v203
	v_add_co_u32 v201, vcc_lo, s4, v201
	v_add_co_ci_u32_e64 v202, null, s5, v202, vcc_lo
	v_ashrrev_i32_e32 v130, 31, v129
	v_add_nc_u32_e32 v207, s15, v129
	v_lshlrev_b64 v[205:206], 4, v[203:204]
	v_add_co_u32 v203, vcc_lo, s4, v127
	v_add_co_ci_u32_e64 v204, null, s5, v128, vcc_lo
	v_lshlrev_b64 v[127:128], 4, v[129:130]
	v_add_nc_u32_e32 v129, s15, v207
	v_ashrrev_i32_e32 v208, 31, v207
	v_add_co_u32 v205, vcc_lo, s4, v205
	v_add_co_ci_u32_e64 v206, null, s5, v206, vcc_lo
	v_add_nc_u32_e32 v248, s15, v129
	s_clause 0x15
	global_load_dwordx4 v[13:16], v[159:160], off
	global_load_dwordx4 v[17:20], v[161:162], off
	;; [unrolled: 1-line block ×22, first 2 shown]
	v_lshlrev_b64 v[246:247], 4, v[207:208]
	s_waitcnt vmcnt(38)
	buffer_store_dword v4, off, s[0:3], 0 offset:28
	buffer_store_dword v3, off, s[0:3], 0 offset:24
	;; [unrolled: 1-line block ×4, first 2 shown]
	s_clause 0x1
	global_load_dwordx4 v[1:4], v[203:204], off
	global_load_dwordx4 v[242:245], v[205:206], off
	s_waitcnt vmcnt(38)
	buffer_store_dword v64, off, s[0:3], 0 offset:44
	buffer_store_dword v63, off, s[0:3], 0 offset:40
	;; [unrolled: 1-line block ×4, first 2 shown]
	v_add_nc_u32_e32 v63, s15, v248
	v_add_co_u32 v207, vcc_lo, s4, v127
	v_ashrrev_i32_e32 v130, 31, v129
	v_add_co_ci_u32_e64 v208, null, s5, v128, vcc_lo
	v_add_co_u32 v61, vcc_lo, s4, v246
	s_waitcnt vmcnt(37)
	buffer_store_dword v40, off, s[0:3], 0 offset:60
	buffer_store_dword v39, off, s[0:3], 0 offset:56
	buffer_store_dword v38, off, s[0:3], 0 offset:52
	buffer_store_dword v37, off, s[0:3], 0 offset:48
	buffer_store_dword v44, off, s[0:3], 0 offset:76
	buffer_store_dword v43, off, s[0:3], 0 offset:72
	buffer_store_dword v42, off, s[0:3], 0 offset:68
	buffer_store_dword v41, off, s[0:3], 0 offset:64
	v_add_nc_u32_e32 v37, s15, v63
	v_ashrrev_i32_e32 v249, 31, v248
	v_add_co_ci_u32_e64 v62, null, s5, v247, vcc_lo
	v_ashrrev_i32_e32 v64, 31, v63
	v_lshlrev_b64 v[127:128], 4, v[129:130]
	v_ashrrev_i32_e32 v38, 31, v37
	v_lshlrev_b64 v[129:130], 4, v[248:249]
	s_clause 0x1
	global_load_dwordx4 v[246:249], v[207:208], off
	global_load_dwordx4 v[250:253], v[61:62], off
	s_waitcnt vmcnt(38)
	buffer_store_dword v48, off, s[0:3], 0 offset:92
	buffer_store_dword v47, off, s[0:3], 0 offset:88
	buffer_store_dword v46, off, s[0:3], 0 offset:84
	buffer_store_dword v45, off, s[0:3], 0 offset:80
	s_waitcnt vmcnt(37)
	buffer_store_dword v52, off, s[0:3], 0 offset:108
	buffer_store_dword v51, off, s[0:3], 0 offset:104
	buffer_store_dword v50, off, s[0:3], 0 offset:100
	buffer_store_dword v49, off, s[0:3], 0 offset:96
	;; [unrolled: 5-line block ×6, first 2 shown]
	buffer_store_dword v73, off, s[0:3], 0 offset:176
	buffer_store_dword v74, off, s[0:3], 0 offset:180
	;; [unrolled: 1-line block ×16, first 2 shown]
	s_waitcnt vmcnt(28)
	buffer_store_dword v92, off, s[0:3], 0 offset:252
	buffer_store_dword v91, off, s[0:3], 0 offset:248
	;; [unrolled: 1-line block ×4, first 2 shown]
	s_waitcnt vmcnt(27)
	buffer_store_dword v8, off, s[0:3], 0 offset:268
	v_add_nc_u32_e32 v48, s15, v37
	v_lshlrev_b64 v[44:45], 4, v[63:64]
	v_add_co_u32 v40, vcc_lo, s4, v127
	v_lshlrev_b64 v[38:39], 4, v[37:38]
	v_add_nc_u32_e32 v37, s15, v48
	v_add_co_ci_u32_e64 v41, null, s5, v128, vcc_lo
	v_add_co_u32 v42, vcc_lo, s4, v129
	v_add_co_ci_u32_e64 v43, null, s5, v130, vcc_lo
	v_add_co_u32 v44, vcc_lo, s4, v44
	v_add_co_ci_u32_e64 v45, null, s5, v45, vcc_lo
	v_ashrrev_i32_e32 v49, 31, v48
	v_add_co_u32 v46, vcc_lo, s4, v38
	v_ashrrev_i32_e32 v38, 31, v37
	v_add_nc_u32_e32 v52, s15, v37
	v_add_co_ci_u32_e64 v47, null, s5, v39, vcc_lo
	v_lshlrev_b64 v[48:49], 4, v[48:49]
	v_lshlrev_b64 v[38:39], 4, v[37:38]
	v_add_nc_u32_e32 v37, s15, v52
	v_ashrrev_i32_e32 v53, 31, v52
	s_clause 0x3
	global_load_dwordx4 v[63:66], v[40:41], off
	global_load_dwordx4 v[67:70], v[42:43], off
	;; [unrolled: 1-line block ×4, first 2 shown]
	v_add_co_u32 v48, vcc_lo, s4, v48
	v_add_nc_u32_e32 v54, s15, v37
	v_add_co_ci_u32_e64 v49, null, s5, v49, vcc_lo
	v_add_co_u32 v50, vcc_lo, s4, v38
	v_ashrrev_i32_e32 v38, 31, v37
	v_ashrrev_i32_e32 v55, 31, v54
	v_lshlrev_b64 v[52:53], 4, v[52:53]
	v_add_co_ci_u32_e64 v51, null, s5, v39, vcc_lo
	v_lshlrev_b64 v[37:38], 4, v[37:38]
	v_lshlrev_b64 v[54:55], 4, v[54:55]
	s_clause 0x1
	global_load_dwordx4 v[79:82], v[48:49], off
	global_load_dwordx4 v[83:86], v[50:51], off
	v_add_co_u32 v52, vcc_lo, s4, v52
	v_add_co_ci_u32_e64 v53, null, s5, v53, vcc_lo
	v_add_co_u32 v56, vcc_lo, s4, v37
	v_add_co_ci_u32_e64 v57, null, s5, v38, vcc_lo
	;; [unrolled: 2-line block ×3, first 2 shown]
	s_clause 0x1
	global_load_dwordx4 v[87:90], v[52:53], off
	global_load_dwordx4 v[127:130], v[56:57], off
	buffer_store_dword v7, off, s[0:3], 0 offset:264
	buffer_store_dword v6, off, s[0:3], 0 offset:260
	;; [unrolled: 1-line block ×3, first 2 shown]
	global_load_dwordx4 v[5:8], v[54:55], off
	s_movk_i32 s4, 0x50
	s_movk_i32 s5, 0x70
	s_add_i32 s59, s4, 16
	s_movk_i32 s4, 0x60
	s_add_i32 s57, s5, 16
	s_add_i32 s58, s4, 16
	s_movk_i32 s4, 0x80
	s_movk_i32 s5, 0x90
	s_add_i32 s56, s4, 16
	s_add_i32 s55, s5, 16
	s_movk_i32 s4, 0xa0
	;; [unrolled: 4-line block ×22, first 2 shown]
	s_movk_i32 s5, 0x330
	s_add_i32 s9, s4, 16
	s_add_i32 s8, s5, 16
	s_bitcmp0_b32 s65, 0
	s_mov_b32 s5, -1
	s_waitcnt vmcnt(35)
	buffer_store_dword v12, off, s[0:3], 0 offset:284
	buffer_store_dword v11, off, s[0:3], 0 offset:280
	buffer_store_dword v10, off, s[0:3], 0 offset:276
	buffer_store_dword v9, off, s[0:3], 0 offset:272
	s_waitcnt vmcnt(34)
	buffer_store_dword v16, off, s[0:3], 0 offset:300
	buffer_store_dword v15, off, s[0:3], 0 offset:296
	buffer_store_dword v14, off, s[0:3], 0 offset:292
	buffer_store_dword v13, off, s[0:3], 0 offset:288
	;; [unrolled: 5-line block ×36, first 2 shown]
	s_cbranch_scc1 .LBB51_220
; %bb.4:
	v_cmp_eq_u32_e64 s4, 0, v0
	s_and_saveexec_b32 s5, s4
; %bb.5:
	v_mov_b32_e32 v1, 0
	ds_write_b32 v1, v1 offset:1664
; %bb.6:
	s_or_b32 exec_lo, exec_lo, s5
	v_lshl_add_u32 v11, v0, 4, 16
	s_waitcnt lgkmcnt(0)
	s_waitcnt_vscnt null, 0x0
	s_barrier
	buffer_gl0_inv
	s_clause 0x3
	buffer_load_dword v1, v11, s[0:3], 0 offen
	buffer_load_dword v2, v11, s[0:3], 0 offen offset:4
	buffer_load_dword v3, v11, s[0:3], 0 offen offset:8
	;; [unrolled: 1-line block ×3, first 2 shown]
	s_waitcnt vmcnt(2)
	v_cmp_eq_f64_e32 vcc_lo, 0, v[1:2]
	s_waitcnt vmcnt(0)
	v_cmp_eq_f64_e64 s5, 0, v[3:4]
	s_and_b32 s5, vcc_lo, s5
	s_and_saveexec_b32 s65, s5
	s_cbranch_execz .LBB51_10
; %bb.7:
	v_mov_b32_e32 v1, 0
	s_mov_b32 s66, 0
	ds_read_b32 v2, v1 offset:1664
	s_waitcnt lgkmcnt(0)
	v_readfirstlane_b32 s5, v2
	v_add_nc_u32_e32 v2, 1, v0
	s_cmp_eq_u32 s5, 0
	v_cmp_gt_i32_e32 vcc_lo, s5, v2
	s_cselect_b32 s67, -1, 0
	s_or_b32 s67, s67, vcc_lo
	s_and_b32 exec_lo, exec_lo, s67
	s_cbranch_execz .LBB51_10
; %bb.8:
	v_mov_b32_e32 v3, s5
.LBB51_9:                               ; =>This Inner Loop Header: Depth=1
	ds_cmpst_rtn_b32 v3, v1, v3, v2 offset:1664
	s_waitcnt lgkmcnt(0)
	v_cmp_ne_u32_e32 vcc_lo, 0, v3
	v_cmp_le_i32_e64 s5, v3, v2
	s_and_b32 s5, vcc_lo, s5
	s_and_b32 s5, exec_lo, s5
	s_or_b32 s66, s5, s66
	s_andn2_b32 exec_lo, exec_lo, s66
	s_cbranch_execnz .LBB51_9
.LBB51_10:
	s_or_b32 exec_lo, exec_lo, s65
	v_mov_b32_e32 v1, 0
	s_barrier
	buffer_gl0_inv
	ds_read_b32 v2, v1 offset:1664
	s_and_saveexec_b32 s5, s4
	s_cbranch_execz .LBB51_12
; %bb.11:
	s_lshl_b64 s[66:67], s[6:7], 2
	s_add_u32 s66, s10, s66
	s_addc_u32 s67, s11, s67
	s_waitcnt lgkmcnt(0)
	global_store_dword v1, v2, s[66:67]
.LBB51_12:
	s_or_b32 exec_lo, exec_lo, s5
	s_waitcnt lgkmcnt(0)
	v_cmp_ne_u32_e32 vcc_lo, 0, v2
	s_mov_b32 s5, 0
	s_cbranch_vccnz .LBB51_220
; %bb.13:
	s_clause 0x3
	buffer_load_dword v7, v11, s[0:3], 0 offen
	buffer_load_dword v8, v11, s[0:3], 0 offen offset:4
	buffer_load_dword v9, v11, s[0:3], 0 offen offset:8
	;; [unrolled: 1-line block ×3, first 2 shown]
                                        ; implicit-def: $vgpr5_vgpr6
                                        ; implicit-def: $vgpr3_vgpr4
	s_waitcnt vmcnt(0)
	v_cmp_ngt_f64_e64 s5, |v[7:8]|, |v[9:10]|
	s_and_saveexec_b32 s65, s5
	s_xor_b32 s5, exec_lo, s65
	s_cbranch_execz .LBB51_15
; %bb.14:
	v_div_scale_f64 v[1:2], null, v[9:10], v[9:10], v[7:8]
	v_div_scale_f64 v[12:13], vcc_lo, v[7:8], v[9:10], v[7:8]
	v_rcp_f64_e32 v[3:4], v[1:2]
	v_fma_f64 v[5:6], -v[1:2], v[3:4], 1.0
	v_fma_f64 v[3:4], v[3:4], v[5:6], v[3:4]
	v_fma_f64 v[5:6], -v[1:2], v[3:4], 1.0
	v_fma_f64 v[3:4], v[3:4], v[5:6], v[3:4]
	v_mul_f64 v[5:6], v[12:13], v[3:4]
	v_fma_f64 v[1:2], -v[1:2], v[5:6], v[12:13]
	v_div_fmas_f64 v[1:2], v[1:2], v[3:4], v[5:6]
	v_div_fixup_f64 v[1:2], v[1:2], v[9:10], v[7:8]
	v_fma_f64 v[3:4], v[7:8], v[1:2], v[9:10]
	v_div_scale_f64 v[5:6], null, v[3:4], v[3:4], 1.0
	v_div_scale_f64 v[12:13], vcc_lo, 1.0, v[3:4], 1.0
	v_rcp_f64_e32 v[7:8], v[5:6]
	v_fma_f64 v[9:10], -v[5:6], v[7:8], 1.0
	v_fma_f64 v[7:8], v[7:8], v[9:10], v[7:8]
	v_fma_f64 v[9:10], -v[5:6], v[7:8], 1.0
	v_fma_f64 v[7:8], v[7:8], v[9:10], v[7:8]
	v_mul_f64 v[9:10], v[12:13], v[7:8]
	v_fma_f64 v[5:6], -v[5:6], v[9:10], v[12:13]
	v_div_fmas_f64 v[5:6], v[5:6], v[7:8], v[9:10]
                                        ; implicit-def: $vgpr7_vgpr8
                                        ; implicit-def: $vgpr9_vgpr10
	v_div_fixup_f64 v[3:4], v[5:6], v[3:4], 1.0
	v_mul_f64 v[5:6], v[1:2], v[3:4]
	v_xor_b32_e32 v4, 0x80000000, v4
	v_xor_b32_e32 v2, 0x80000000, v6
	v_mov_b32_e32 v1, v5
.LBB51_15:
	s_andn2_saveexec_b32 s5, s5
	s_cbranch_execz .LBB51_17
; %bb.16:
	v_div_scale_f64 v[1:2], null, v[7:8], v[7:8], v[9:10]
	v_div_scale_f64 v[12:13], vcc_lo, v[9:10], v[7:8], v[9:10]
	v_rcp_f64_e32 v[3:4], v[1:2]
	v_fma_f64 v[5:6], -v[1:2], v[3:4], 1.0
	v_fma_f64 v[3:4], v[3:4], v[5:6], v[3:4]
	v_fma_f64 v[5:6], -v[1:2], v[3:4], 1.0
	v_fma_f64 v[3:4], v[3:4], v[5:6], v[3:4]
	v_mul_f64 v[5:6], v[12:13], v[3:4]
	v_fma_f64 v[1:2], -v[1:2], v[5:6], v[12:13]
	v_div_fmas_f64 v[1:2], v[1:2], v[3:4], v[5:6]
	v_div_fixup_f64 v[1:2], v[1:2], v[7:8], v[9:10]
	v_fma_f64 v[3:4], v[9:10], v[1:2], v[7:8]
	v_div_scale_f64 v[5:6], null, v[3:4], v[3:4], 1.0
	v_rcp_f64_e32 v[7:8], v[5:6]
	v_fma_f64 v[9:10], -v[5:6], v[7:8], 1.0
	v_fma_f64 v[7:8], v[7:8], v[9:10], v[7:8]
	v_fma_f64 v[9:10], -v[5:6], v[7:8], 1.0
	v_fma_f64 v[7:8], v[7:8], v[9:10], v[7:8]
	v_div_scale_f64 v[9:10], vcc_lo, 1.0, v[3:4], 1.0
	v_mul_f64 v[12:13], v[9:10], v[7:8]
	v_fma_f64 v[5:6], -v[5:6], v[12:13], v[9:10]
	v_div_fmas_f64 v[5:6], v[5:6], v[7:8], v[12:13]
	v_div_fixup_f64 v[5:6], v[5:6], v[3:4], 1.0
	v_mul_f64 v[3:4], v[1:2], -v[5:6]
	v_xor_b32_e32 v2, 0x80000000, v6
	v_mov_b32_e32 v1, v5
.LBB51_17:
	s_or_b32 exec_lo, exec_lo, s5
	v_mov_b32_e32 v10, s63
	buffer_store_dword v6, v11, s[0:3], 0 offen offset:4
	buffer_store_dword v5, v11, s[0:3], 0 offen
	buffer_store_dword v4, v11, s[0:3], 0 offen offset:12
	buffer_store_dword v3, v11, s[0:3], 0 offen offset:8
	v_xor_b32_e32 v4, 0x80000000, v4
	v_add_nc_u32_e32 v5, 0x340, v209
	s_clause 0x3
	buffer_load_dword v9, v10, s[0:3], 0 offen offset:12
	buffer_load_dword v8, v10, s[0:3], 0 offen offset:8
	;; [unrolled: 1-line block ×3, first 2 shown]
	buffer_load_dword v6, v10, s[0:3], 0 offen
	ds_write_b128 v209, v[1:4]
	s_waitcnt vmcnt(0)
	ds_write_b128 v209, v[6:9] offset:832
	s_waitcnt lgkmcnt(0)
	s_waitcnt_vscnt null, 0x0
	s_barrier
	buffer_gl0_inv
	s_and_saveexec_b32 s5, s4
	s_cbranch_execz .LBB51_19
; %bb.18:
	s_clause 0x3
	buffer_load_dword v12, v11, s[0:3], 0 offen offset:8
	buffer_load_dword v13, v11, s[0:3], 0 offen offset:12
	buffer_load_dword v14, v11, s[0:3], 0 offen
	buffer_load_dword v15, v11, s[0:3], 0 offen offset:4
	ds_read_b128 v[1:4], v5
	v_mov_b32_e32 v6, 0
	ds_read_b128 v[6:9], v6 offset:16
	s_waitcnt vmcnt(2) lgkmcnt(1)
	v_mul_f64 v[16:17], v[1:2], v[12:13]
	v_mul_f64 v[12:13], v[3:4], v[12:13]
	s_waitcnt vmcnt(0)
	v_fma_f64 v[3:4], v[3:4], v[14:15], v[16:17]
	v_fma_f64 v[1:2], v[1:2], v[14:15], -v[12:13]
	v_add_f64 v[3:4], v[3:4], 0
	v_add_f64 v[1:2], v[1:2], 0
	s_waitcnt lgkmcnt(0)
	v_mul_f64 v[12:13], v[3:4], v[8:9]
	v_mul_f64 v[8:9], v[1:2], v[8:9]
	v_fma_f64 v[1:2], v[1:2], v[6:7], -v[12:13]
	v_fma_f64 v[3:4], v[3:4], v[6:7], v[8:9]
	buffer_store_dword v1, off, s[0:3], 0 offset:32
	buffer_store_dword v2, off, s[0:3], 0 offset:36
	;; [unrolled: 1-line block ×4, first 2 shown]
.LBB51_19:
	s_or_b32 exec_lo, exec_lo, s5
	v_mov_b32_e32 v4, s62
	s_waitcnt_vscnt null, 0x0
	s_barrier
	buffer_gl0_inv
	s_mov_b32 s5, exec_lo
	s_clause 0x3
	buffer_load_dword v1, v4, s[0:3], 0 offen
	buffer_load_dword v2, v4, s[0:3], 0 offen offset:4
	buffer_load_dword v3, v4, s[0:3], 0 offen offset:8
	;; [unrolled: 1-line block ×3, first 2 shown]
	s_waitcnt vmcnt(0)
	ds_write_b128 v5, v[1:4]
	s_waitcnt lgkmcnt(0)
	s_barrier
	buffer_gl0_inv
	v_cmpx_gt_u32_e32 2, v0
	s_cbranch_execz .LBB51_23
; %bb.20:
	s_clause 0x3
	buffer_load_dword v6, v11, s[0:3], 0 offen offset:8
	buffer_load_dword v7, v11, s[0:3], 0 offen offset:12
	buffer_load_dword v8, v11, s[0:3], 0 offen
	buffer_load_dword v9, v11, s[0:3], 0 offen offset:4
	ds_read_b128 v[1:4], v5
	s_waitcnt vmcnt(2) lgkmcnt(0)
	v_mul_f64 v[10:11], v[3:4], v[6:7]
	v_mul_f64 v[6:7], v[1:2], v[6:7]
	s_waitcnt vmcnt(0)
	v_fma_f64 v[1:2], v[1:2], v[8:9], -v[10:11]
	v_fma_f64 v[3:4], v[3:4], v[8:9], v[6:7]
	v_add_f64 v[1:2], v[1:2], 0
	v_add_f64 v[3:4], v[3:4], 0
	s_and_saveexec_b32 s65, s4
	s_cbranch_execz .LBB51_22
; %bb.21:
	s_clause 0x3
	buffer_load_dword v10, off, s[0:3], 0 offset:40
	buffer_load_dword v11, off, s[0:3], 0 offset:44
	;; [unrolled: 1-line block ×4, first 2 shown]
	v_mov_b32_e32 v6, 0
	ds_read_b128 v[6:9], v6 offset:848
	s_waitcnt vmcnt(2) lgkmcnt(0)
	v_mul_f64 v[14:15], v[6:7], v[10:11]
	v_mul_f64 v[10:11], v[8:9], v[10:11]
	s_waitcnt vmcnt(0)
	v_fma_f64 v[8:9], v[8:9], v[12:13], v[14:15]
	v_fma_f64 v[6:7], v[6:7], v[12:13], -v[10:11]
	v_add_f64 v[3:4], v[3:4], v[8:9]
	v_add_f64 v[1:2], v[1:2], v[6:7]
.LBB51_22:
	s_or_b32 exec_lo, exec_lo, s65
	v_mov_b32_e32 v6, 0
	ds_read_b128 v[6:9], v6 offset:32
	s_waitcnt lgkmcnt(0)
	v_mul_f64 v[10:11], v[3:4], v[8:9]
	v_mul_f64 v[8:9], v[1:2], v[8:9]
	v_fma_f64 v[1:2], v[1:2], v[6:7], -v[10:11]
	v_fma_f64 v[3:4], v[3:4], v[6:7], v[8:9]
	buffer_store_dword v2, off, s[0:3], 0 offset:52
	buffer_store_dword v1, off, s[0:3], 0 offset:48
	;; [unrolled: 1-line block ×4, first 2 shown]
.LBB51_23:
	s_or_b32 exec_lo, exec_lo, s5
	v_mov_b32_e32 v4, s61
	s_waitcnt_vscnt null, 0x0
	s_barrier
	buffer_gl0_inv
	v_add_nc_u32_e32 v6, -1, v0
	s_clause 0x3
	buffer_load_dword v1, v4, s[0:3], 0 offen
	buffer_load_dword v2, v4, s[0:3], 0 offen offset:4
	buffer_load_dword v3, v4, s[0:3], 0 offen offset:8
	;; [unrolled: 1-line block ×3, first 2 shown]
	s_mov_b32 s4, exec_lo
	s_waitcnt vmcnt(0)
	ds_write_b128 v5, v[1:4]
	s_waitcnt lgkmcnt(0)
	s_barrier
	buffer_gl0_inv
	v_cmpx_gt_u32_e32 3, v0
	s_cbranch_execz .LBB51_27
; %bb.24:
	v_mov_b32_e32 v1, 0
	v_mov_b32_e32 v3, 0
	v_add_nc_u32_e32 v7, -1, v0
	v_add_nc_u32_e32 v8, 0x340, v209
	v_mov_b32_e32 v2, 0
	v_mov_b32_e32 v4, 0
	v_add_nc_u32_e32 v9, 16, v209
	s_mov_b32 s5, 0
	.p2align	6
.LBB51_25:                              ; =>This Inner Loop Header: Depth=1
	s_clause 0x3
	buffer_load_dword v14, v9, s[0:3], 0 offen offset:8
	buffer_load_dword v15, v9, s[0:3], 0 offen offset:12
	buffer_load_dword v16, v9, s[0:3], 0 offen
	buffer_load_dword v17, v9, s[0:3], 0 offen offset:4
	ds_read_b128 v[10:13], v8
	v_add_nc_u32_e32 v7, 1, v7
	v_add_nc_u32_e32 v8, 16, v8
	;; [unrolled: 1-line block ×3, first 2 shown]
	v_cmp_lt_u32_e32 vcc_lo, 1, v7
	s_or_b32 s5, vcc_lo, s5
	s_waitcnt vmcnt(2) lgkmcnt(0)
	v_mul_f64 v[18:19], v[12:13], v[14:15]
	v_mul_f64 v[14:15], v[10:11], v[14:15]
	s_waitcnt vmcnt(0)
	v_fma_f64 v[10:11], v[10:11], v[16:17], -v[18:19]
	v_fma_f64 v[12:13], v[12:13], v[16:17], v[14:15]
	v_add_f64 v[3:4], v[3:4], v[10:11]
	v_add_f64 v[1:2], v[1:2], v[12:13]
	s_andn2_b32 exec_lo, exec_lo, s5
	s_cbranch_execnz .LBB51_25
; %bb.26:
	s_or_b32 exec_lo, exec_lo, s5
	v_mov_b32_e32 v7, 0
	ds_read_b128 v[7:10], v7 offset:48
	s_waitcnt lgkmcnt(0)
	v_mul_f64 v[11:12], v[1:2], v[9:10]
	v_mul_f64 v[9:10], v[3:4], v[9:10]
	v_fma_f64 v[3:4], v[3:4], v[7:8], -v[11:12]
	v_fma_f64 v[1:2], v[1:2], v[7:8], v[9:10]
	buffer_store_dword v4, off, s[0:3], 0 offset:68
	buffer_store_dword v3, off, s[0:3], 0 offset:64
	buffer_store_dword v2, off, s[0:3], 0 offset:76
	buffer_store_dword v1, off, s[0:3], 0 offset:72
.LBB51_27:
	s_or_b32 exec_lo, exec_lo, s4
	v_mov_b32_e32 v4, s60
	s_waitcnt_vscnt null, 0x0
	s_barrier
	buffer_gl0_inv
	s_mov_b32 s4, exec_lo
	s_clause 0x3
	buffer_load_dword v1, v4, s[0:3], 0 offen
	buffer_load_dword v2, v4, s[0:3], 0 offen offset:4
	buffer_load_dword v3, v4, s[0:3], 0 offen offset:8
	;; [unrolled: 1-line block ×3, first 2 shown]
	s_waitcnt vmcnt(0)
	ds_write_b128 v5, v[1:4]
	s_waitcnt lgkmcnt(0)
	s_barrier
	buffer_gl0_inv
	v_cmpx_gt_u32_e32 4, v0
	s_cbranch_execz .LBB51_31
; %bb.28:
	v_mov_b32_e32 v1, 0
	v_mov_b32_e32 v3, 0
	v_add_nc_u32_e32 v7, -1, v0
	v_add_nc_u32_e32 v8, 0x340, v209
	v_mov_b32_e32 v2, 0
	v_mov_b32_e32 v4, 0
	v_add_nc_u32_e32 v9, 16, v209
	s_mov_b32 s5, 0
	.p2align	6
.LBB51_29:                              ; =>This Inner Loop Header: Depth=1
	s_clause 0x3
	buffer_load_dword v14, v9, s[0:3], 0 offen offset:8
	buffer_load_dword v15, v9, s[0:3], 0 offen offset:12
	buffer_load_dword v16, v9, s[0:3], 0 offen
	buffer_load_dword v17, v9, s[0:3], 0 offen offset:4
	ds_read_b128 v[10:13], v8
	v_add_nc_u32_e32 v7, 1, v7
	v_add_nc_u32_e32 v8, 16, v8
	v_add_nc_u32_e32 v9, 16, v9
	v_cmp_lt_u32_e32 vcc_lo, 2, v7
	s_or_b32 s5, vcc_lo, s5
	s_waitcnt vmcnt(2) lgkmcnt(0)
	v_mul_f64 v[18:19], v[12:13], v[14:15]
	v_mul_f64 v[14:15], v[10:11], v[14:15]
	s_waitcnt vmcnt(0)
	v_fma_f64 v[10:11], v[10:11], v[16:17], -v[18:19]
	v_fma_f64 v[12:13], v[12:13], v[16:17], v[14:15]
	v_add_f64 v[3:4], v[3:4], v[10:11]
	v_add_f64 v[1:2], v[1:2], v[12:13]
	s_andn2_b32 exec_lo, exec_lo, s5
	s_cbranch_execnz .LBB51_29
; %bb.30:
	s_or_b32 exec_lo, exec_lo, s5
	v_mov_b32_e32 v7, 0
	ds_read_b128 v[7:10], v7 offset:64
	s_waitcnt lgkmcnt(0)
	v_mul_f64 v[11:12], v[1:2], v[9:10]
	v_mul_f64 v[9:10], v[3:4], v[9:10]
	v_fma_f64 v[3:4], v[3:4], v[7:8], -v[11:12]
	v_fma_f64 v[1:2], v[1:2], v[7:8], v[9:10]
	buffer_store_dword v4, off, s[0:3], 0 offset:84
	buffer_store_dword v3, off, s[0:3], 0 offset:80
	;; [unrolled: 1-line block ×4, first 2 shown]
.LBB51_31:
	s_or_b32 exec_lo, exec_lo, s4
	v_mov_b32_e32 v4, s59
	s_waitcnt_vscnt null, 0x0
	s_barrier
	buffer_gl0_inv
	s_mov_b32 s4, exec_lo
	s_clause 0x3
	buffer_load_dword v1, v4, s[0:3], 0 offen
	buffer_load_dword v2, v4, s[0:3], 0 offen offset:4
	buffer_load_dword v3, v4, s[0:3], 0 offen offset:8
	;; [unrolled: 1-line block ×3, first 2 shown]
	s_waitcnt vmcnt(0)
	ds_write_b128 v5, v[1:4]
	s_waitcnt lgkmcnt(0)
	s_barrier
	buffer_gl0_inv
	v_cmpx_gt_u32_e32 5, v0
	s_cbranch_execz .LBB51_35
; %bb.32:
	v_mov_b32_e32 v1, 0
	v_mov_b32_e32 v3, 0
	v_add_nc_u32_e32 v7, -1, v0
	v_add_nc_u32_e32 v8, 0x340, v209
	v_mov_b32_e32 v2, 0
	v_mov_b32_e32 v4, 0
	v_add_nc_u32_e32 v9, 16, v209
	s_mov_b32 s5, 0
	.p2align	6
.LBB51_33:                              ; =>This Inner Loop Header: Depth=1
	s_clause 0x3
	buffer_load_dword v14, v9, s[0:3], 0 offen offset:8
	buffer_load_dword v15, v9, s[0:3], 0 offen offset:12
	buffer_load_dword v16, v9, s[0:3], 0 offen
	buffer_load_dword v17, v9, s[0:3], 0 offen offset:4
	ds_read_b128 v[10:13], v8
	v_add_nc_u32_e32 v7, 1, v7
	v_add_nc_u32_e32 v8, 16, v8
	;; [unrolled: 1-line block ×3, first 2 shown]
	v_cmp_lt_u32_e32 vcc_lo, 3, v7
	s_or_b32 s5, vcc_lo, s5
	s_waitcnt vmcnt(2) lgkmcnt(0)
	v_mul_f64 v[18:19], v[12:13], v[14:15]
	v_mul_f64 v[14:15], v[10:11], v[14:15]
	s_waitcnt vmcnt(0)
	v_fma_f64 v[10:11], v[10:11], v[16:17], -v[18:19]
	v_fma_f64 v[12:13], v[12:13], v[16:17], v[14:15]
	v_add_f64 v[3:4], v[3:4], v[10:11]
	v_add_f64 v[1:2], v[1:2], v[12:13]
	s_andn2_b32 exec_lo, exec_lo, s5
	s_cbranch_execnz .LBB51_33
; %bb.34:
	s_or_b32 exec_lo, exec_lo, s5
	v_mov_b32_e32 v7, 0
	ds_read_b128 v[7:10], v7 offset:80
	s_waitcnt lgkmcnt(0)
	v_mul_f64 v[11:12], v[1:2], v[9:10]
	v_mul_f64 v[9:10], v[3:4], v[9:10]
	v_fma_f64 v[3:4], v[3:4], v[7:8], -v[11:12]
	v_fma_f64 v[1:2], v[1:2], v[7:8], v[9:10]
	buffer_store_dword v4, off, s[0:3], 0 offset:100
	buffer_store_dword v3, off, s[0:3], 0 offset:96
	;; [unrolled: 1-line block ×4, first 2 shown]
.LBB51_35:
	s_or_b32 exec_lo, exec_lo, s4
	v_mov_b32_e32 v4, s58
	s_waitcnt_vscnt null, 0x0
	s_barrier
	buffer_gl0_inv
	s_mov_b32 s4, exec_lo
	s_clause 0x3
	buffer_load_dword v1, v4, s[0:3], 0 offen
	buffer_load_dword v2, v4, s[0:3], 0 offen offset:4
	buffer_load_dword v3, v4, s[0:3], 0 offen offset:8
	;; [unrolled: 1-line block ×3, first 2 shown]
	s_waitcnt vmcnt(0)
	ds_write_b128 v5, v[1:4]
	s_waitcnt lgkmcnt(0)
	s_barrier
	buffer_gl0_inv
	v_cmpx_gt_u32_e32 6, v0
	s_cbranch_execz .LBB51_39
; %bb.36:
	v_mov_b32_e32 v1, 0
	v_mov_b32_e32 v3, 0
	v_add_nc_u32_e32 v7, -1, v0
	v_add_nc_u32_e32 v8, 0x340, v209
	v_mov_b32_e32 v2, 0
	v_mov_b32_e32 v4, 0
	v_add_nc_u32_e32 v9, 16, v209
	s_mov_b32 s5, 0
	.p2align	6
.LBB51_37:                              ; =>This Inner Loop Header: Depth=1
	s_clause 0x3
	buffer_load_dword v14, v9, s[0:3], 0 offen offset:8
	buffer_load_dword v15, v9, s[0:3], 0 offen offset:12
	buffer_load_dword v16, v9, s[0:3], 0 offen
	buffer_load_dword v17, v9, s[0:3], 0 offen offset:4
	ds_read_b128 v[10:13], v8
	v_add_nc_u32_e32 v7, 1, v7
	v_add_nc_u32_e32 v8, 16, v8
	;; [unrolled: 1-line block ×3, first 2 shown]
	v_cmp_lt_u32_e32 vcc_lo, 4, v7
	s_or_b32 s5, vcc_lo, s5
	s_waitcnt vmcnt(2) lgkmcnt(0)
	v_mul_f64 v[18:19], v[12:13], v[14:15]
	v_mul_f64 v[14:15], v[10:11], v[14:15]
	s_waitcnt vmcnt(0)
	v_fma_f64 v[10:11], v[10:11], v[16:17], -v[18:19]
	v_fma_f64 v[12:13], v[12:13], v[16:17], v[14:15]
	v_add_f64 v[3:4], v[3:4], v[10:11]
	v_add_f64 v[1:2], v[1:2], v[12:13]
	s_andn2_b32 exec_lo, exec_lo, s5
	s_cbranch_execnz .LBB51_37
; %bb.38:
	s_or_b32 exec_lo, exec_lo, s5
	v_mov_b32_e32 v7, 0
	ds_read_b128 v[7:10], v7 offset:96
	s_waitcnt lgkmcnt(0)
	v_mul_f64 v[11:12], v[1:2], v[9:10]
	v_mul_f64 v[9:10], v[3:4], v[9:10]
	v_fma_f64 v[3:4], v[3:4], v[7:8], -v[11:12]
	v_fma_f64 v[1:2], v[1:2], v[7:8], v[9:10]
	buffer_store_dword v4, off, s[0:3], 0 offset:116
	buffer_store_dword v3, off, s[0:3], 0 offset:112
	;; [unrolled: 1-line block ×4, first 2 shown]
.LBB51_39:
	s_or_b32 exec_lo, exec_lo, s4
	v_mov_b32_e32 v4, s57
	s_waitcnt_vscnt null, 0x0
	s_barrier
	buffer_gl0_inv
	s_mov_b32 s4, exec_lo
	s_clause 0x3
	buffer_load_dword v1, v4, s[0:3], 0 offen
	buffer_load_dword v2, v4, s[0:3], 0 offen offset:4
	buffer_load_dword v3, v4, s[0:3], 0 offen offset:8
	buffer_load_dword v4, v4, s[0:3], 0 offen offset:12
	s_waitcnt vmcnt(0)
	ds_write_b128 v5, v[1:4]
	s_waitcnt lgkmcnt(0)
	s_barrier
	buffer_gl0_inv
	v_cmpx_gt_u32_e32 7, v0
	s_cbranch_execz .LBB51_43
; %bb.40:
	v_mov_b32_e32 v1, 0
	v_mov_b32_e32 v3, 0
	v_add_nc_u32_e32 v7, -1, v0
	v_add_nc_u32_e32 v8, 0x340, v209
	v_mov_b32_e32 v2, 0
	v_mov_b32_e32 v4, 0
	v_add_nc_u32_e32 v9, 16, v209
	s_mov_b32 s5, 0
	.p2align	6
.LBB51_41:                              ; =>This Inner Loop Header: Depth=1
	s_clause 0x3
	buffer_load_dword v14, v9, s[0:3], 0 offen offset:8
	buffer_load_dword v15, v9, s[0:3], 0 offen offset:12
	buffer_load_dword v16, v9, s[0:3], 0 offen
	buffer_load_dword v17, v9, s[0:3], 0 offen offset:4
	ds_read_b128 v[10:13], v8
	v_add_nc_u32_e32 v7, 1, v7
	v_add_nc_u32_e32 v8, 16, v8
	;; [unrolled: 1-line block ×3, first 2 shown]
	v_cmp_lt_u32_e32 vcc_lo, 5, v7
	s_or_b32 s5, vcc_lo, s5
	s_waitcnt vmcnt(2) lgkmcnt(0)
	v_mul_f64 v[18:19], v[12:13], v[14:15]
	v_mul_f64 v[14:15], v[10:11], v[14:15]
	s_waitcnt vmcnt(0)
	v_fma_f64 v[10:11], v[10:11], v[16:17], -v[18:19]
	v_fma_f64 v[12:13], v[12:13], v[16:17], v[14:15]
	v_add_f64 v[3:4], v[3:4], v[10:11]
	v_add_f64 v[1:2], v[1:2], v[12:13]
	s_andn2_b32 exec_lo, exec_lo, s5
	s_cbranch_execnz .LBB51_41
; %bb.42:
	s_or_b32 exec_lo, exec_lo, s5
	v_mov_b32_e32 v7, 0
	ds_read_b128 v[7:10], v7 offset:112
	s_waitcnt lgkmcnt(0)
	v_mul_f64 v[11:12], v[1:2], v[9:10]
	v_mul_f64 v[9:10], v[3:4], v[9:10]
	v_fma_f64 v[3:4], v[3:4], v[7:8], -v[11:12]
	v_fma_f64 v[1:2], v[1:2], v[7:8], v[9:10]
	buffer_store_dword v4, off, s[0:3], 0 offset:132
	buffer_store_dword v3, off, s[0:3], 0 offset:128
	;; [unrolled: 1-line block ×4, first 2 shown]
.LBB51_43:
	s_or_b32 exec_lo, exec_lo, s4
	v_mov_b32_e32 v4, s56
	s_waitcnt_vscnt null, 0x0
	s_barrier
	buffer_gl0_inv
	s_mov_b32 s4, exec_lo
	s_clause 0x3
	buffer_load_dword v1, v4, s[0:3], 0 offen
	buffer_load_dword v2, v4, s[0:3], 0 offen offset:4
	buffer_load_dword v3, v4, s[0:3], 0 offen offset:8
	;; [unrolled: 1-line block ×3, first 2 shown]
	s_waitcnt vmcnt(0)
	ds_write_b128 v5, v[1:4]
	s_waitcnt lgkmcnt(0)
	s_barrier
	buffer_gl0_inv
	v_cmpx_gt_u32_e32 8, v0
	s_cbranch_execz .LBB51_47
; %bb.44:
	v_mov_b32_e32 v1, 0
	v_mov_b32_e32 v3, 0
	v_add_nc_u32_e32 v7, -1, v0
	v_add_nc_u32_e32 v8, 0x340, v209
	v_mov_b32_e32 v2, 0
	v_mov_b32_e32 v4, 0
	v_add_nc_u32_e32 v9, 16, v209
	s_mov_b32 s5, 0
	.p2align	6
.LBB51_45:                              ; =>This Inner Loop Header: Depth=1
	s_clause 0x3
	buffer_load_dword v14, v9, s[0:3], 0 offen offset:8
	buffer_load_dword v15, v9, s[0:3], 0 offen offset:12
	buffer_load_dword v16, v9, s[0:3], 0 offen
	buffer_load_dword v17, v9, s[0:3], 0 offen offset:4
	ds_read_b128 v[10:13], v8
	v_add_nc_u32_e32 v7, 1, v7
	v_add_nc_u32_e32 v8, 16, v8
	;; [unrolled: 1-line block ×3, first 2 shown]
	v_cmp_lt_u32_e32 vcc_lo, 6, v7
	s_or_b32 s5, vcc_lo, s5
	s_waitcnt vmcnt(2) lgkmcnt(0)
	v_mul_f64 v[18:19], v[12:13], v[14:15]
	v_mul_f64 v[14:15], v[10:11], v[14:15]
	s_waitcnt vmcnt(0)
	v_fma_f64 v[10:11], v[10:11], v[16:17], -v[18:19]
	v_fma_f64 v[12:13], v[12:13], v[16:17], v[14:15]
	v_add_f64 v[3:4], v[3:4], v[10:11]
	v_add_f64 v[1:2], v[1:2], v[12:13]
	s_andn2_b32 exec_lo, exec_lo, s5
	s_cbranch_execnz .LBB51_45
; %bb.46:
	s_or_b32 exec_lo, exec_lo, s5
	v_mov_b32_e32 v7, 0
	ds_read_b128 v[7:10], v7 offset:128
	s_waitcnt lgkmcnt(0)
	v_mul_f64 v[11:12], v[1:2], v[9:10]
	v_mul_f64 v[9:10], v[3:4], v[9:10]
	v_fma_f64 v[3:4], v[3:4], v[7:8], -v[11:12]
	v_fma_f64 v[1:2], v[1:2], v[7:8], v[9:10]
	buffer_store_dword v4, off, s[0:3], 0 offset:148
	buffer_store_dword v3, off, s[0:3], 0 offset:144
	;; [unrolled: 1-line block ×4, first 2 shown]
.LBB51_47:
	s_or_b32 exec_lo, exec_lo, s4
	v_mov_b32_e32 v4, s55
	s_waitcnt_vscnt null, 0x0
	s_barrier
	buffer_gl0_inv
	s_mov_b32 s4, exec_lo
	s_clause 0x3
	buffer_load_dword v1, v4, s[0:3], 0 offen
	buffer_load_dword v2, v4, s[0:3], 0 offen offset:4
	buffer_load_dword v3, v4, s[0:3], 0 offen offset:8
	;; [unrolled: 1-line block ×3, first 2 shown]
	s_waitcnt vmcnt(0)
	ds_write_b128 v5, v[1:4]
	s_waitcnt lgkmcnt(0)
	s_barrier
	buffer_gl0_inv
	v_cmpx_gt_u32_e32 9, v0
	s_cbranch_execz .LBB51_51
; %bb.48:
	v_mov_b32_e32 v1, 0
	v_mov_b32_e32 v3, 0
	v_add_nc_u32_e32 v7, -1, v0
	v_add_nc_u32_e32 v8, 0x340, v209
	v_mov_b32_e32 v2, 0
	v_mov_b32_e32 v4, 0
	v_add_nc_u32_e32 v9, 16, v209
	s_mov_b32 s5, 0
	.p2align	6
.LBB51_49:                              ; =>This Inner Loop Header: Depth=1
	s_clause 0x3
	buffer_load_dword v14, v9, s[0:3], 0 offen offset:8
	buffer_load_dword v15, v9, s[0:3], 0 offen offset:12
	buffer_load_dword v16, v9, s[0:3], 0 offen
	buffer_load_dword v17, v9, s[0:3], 0 offen offset:4
	ds_read_b128 v[10:13], v8
	v_add_nc_u32_e32 v7, 1, v7
	v_add_nc_u32_e32 v8, 16, v8
	;; [unrolled: 1-line block ×3, first 2 shown]
	v_cmp_lt_u32_e32 vcc_lo, 7, v7
	s_or_b32 s5, vcc_lo, s5
	s_waitcnt vmcnt(2) lgkmcnt(0)
	v_mul_f64 v[18:19], v[12:13], v[14:15]
	v_mul_f64 v[14:15], v[10:11], v[14:15]
	s_waitcnt vmcnt(0)
	v_fma_f64 v[10:11], v[10:11], v[16:17], -v[18:19]
	v_fma_f64 v[12:13], v[12:13], v[16:17], v[14:15]
	v_add_f64 v[3:4], v[3:4], v[10:11]
	v_add_f64 v[1:2], v[1:2], v[12:13]
	s_andn2_b32 exec_lo, exec_lo, s5
	s_cbranch_execnz .LBB51_49
; %bb.50:
	s_or_b32 exec_lo, exec_lo, s5
	v_mov_b32_e32 v7, 0
	ds_read_b128 v[7:10], v7 offset:144
	s_waitcnt lgkmcnt(0)
	v_mul_f64 v[11:12], v[1:2], v[9:10]
	v_mul_f64 v[9:10], v[3:4], v[9:10]
	v_fma_f64 v[3:4], v[3:4], v[7:8], -v[11:12]
	v_fma_f64 v[1:2], v[1:2], v[7:8], v[9:10]
	buffer_store_dword v4, off, s[0:3], 0 offset:164
	buffer_store_dword v3, off, s[0:3], 0 offset:160
	;; [unrolled: 1-line block ×4, first 2 shown]
.LBB51_51:
	s_or_b32 exec_lo, exec_lo, s4
	v_mov_b32_e32 v4, s54
	s_waitcnt_vscnt null, 0x0
	s_barrier
	buffer_gl0_inv
	s_mov_b32 s4, exec_lo
	s_clause 0x3
	buffer_load_dword v1, v4, s[0:3], 0 offen
	buffer_load_dword v2, v4, s[0:3], 0 offen offset:4
	buffer_load_dword v3, v4, s[0:3], 0 offen offset:8
	;; [unrolled: 1-line block ×3, first 2 shown]
	s_waitcnt vmcnt(0)
	ds_write_b128 v5, v[1:4]
	s_waitcnt lgkmcnt(0)
	s_barrier
	buffer_gl0_inv
	v_cmpx_gt_u32_e32 10, v0
	s_cbranch_execz .LBB51_55
; %bb.52:
	v_mov_b32_e32 v1, 0
	v_mov_b32_e32 v3, 0
	v_add_nc_u32_e32 v7, -1, v0
	v_add_nc_u32_e32 v8, 0x340, v209
	v_mov_b32_e32 v2, 0
	v_mov_b32_e32 v4, 0
	v_add_nc_u32_e32 v9, 16, v209
	s_mov_b32 s5, 0
	.p2align	6
.LBB51_53:                              ; =>This Inner Loop Header: Depth=1
	s_clause 0x3
	buffer_load_dword v14, v9, s[0:3], 0 offen offset:8
	buffer_load_dword v15, v9, s[0:3], 0 offen offset:12
	buffer_load_dword v16, v9, s[0:3], 0 offen
	buffer_load_dword v17, v9, s[0:3], 0 offen offset:4
	ds_read_b128 v[10:13], v8
	v_add_nc_u32_e32 v7, 1, v7
	v_add_nc_u32_e32 v8, 16, v8
	;; [unrolled: 1-line block ×3, first 2 shown]
	v_cmp_lt_u32_e32 vcc_lo, 8, v7
	s_or_b32 s5, vcc_lo, s5
	s_waitcnt vmcnt(2) lgkmcnt(0)
	v_mul_f64 v[18:19], v[12:13], v[14:15]
	v_mul_f64 v[14:15], v[10:11], v[14:15]
	s_waitcnt vmcnt(0)
	v_fma_f64 v[10:11], v[10:11], v[16:17], -v[18:19]
	v_fma_f64 v[12:13], v[12:13], v[16:17], v[14:15]
	v_add_f64 v[3:4], v[3:4], v[10:11]
	v_add_f64 v[1:2], v[1:2], v[12:13]
	s_andn2_b32 exec_lo, exec_lo, s5
	s_cbranch_execnz .LBB51_53
; %bb.54:
	s_or_b32 exec_lo, exec_lo, s5
	v_mov_b32_e32 v7, 0
	ds_read_b128 v[7:10], v7 offset:160
	s_waitcnt lgkmcnt(0)
	v_mul_f64 v[11:12], v[1:2], v[9:10]
	v_mul_f64 v[9:10], v[3:4], v[9:10]
	v_fma_f64 v[3:4], v[3:4], v[7:8], -v[11:12]
	v_fma_f64 v[1:2], v[1:2], v[7:8], v[9:10]
	buffer_store_dword v4, off, s[0:3], 0 offset:180
	buffer_store_dword v3, off, s[0:3], 0 offset:176
	;; [unrolled: 1-line block ×4, first 2 shown]
.LBB51_55:
	s_or_b32 exec_lo, exec_lo, s4
	v_mov_b32_e32 v4, s53
	s_waitcnt_vscnt null, 0x0
	s_barrier
	buffer_gl0_inv
	s_mov_b32 s4, exec_lo
	s_clause 0x3
	buffer_load_dword v1, v4, s[0:3], 0 offen
	buffer_load_dword v2, v4, s[0:3], 0 offen offset:4
	buffer_load_dword v3, v4, s[0:3], 0 offen offset:8
	;; [unrolled: 1-line block ×3, first 2 shown]
	s_waitcnt vmcnt(0)
	ds_write_b128 v5, v[1:4]
	s_waitcnt lgkmcnt(0)
	s_barrier
	buffer_gl0_inv
	v_cmpx_gt_u32_e32 11, v0
	s_cbranch_execz .LBB51_59
; %bb.56:
	v_mov_b32_e32 v1, 0
	v_mov_b32_e32 v3, 0
	v_add_nc_u32_e32 v7, -1, v0
	v_add_nc_u32_e32 v8, 0x340, v209
	v_mov_b32_e32 v2, 0
	v_mov_b32_e32 v4, 0
	v_add_nc_u32_e32 v9, 16, v209
	s_mov_b32 s5, 0
	.p2align	6
.LBB51_57:                              ; =>This Inner Loop Header: Depth=1
	s_clause 0x3
	buffer_load_dword v14, v9, s[0:3], 0 offen offset:8
	buffer_load_dword v15, v9, s[0:3], 0 offen offset:12
	buffer_load_dword v16, v9, s[0:3], 0 offen
	buffer_load_dword v17, v9, s[0:3], 0 offen offset:4
	ds_read_b128 v[10:13], v8
	v_add_nc_u32_e32 v7, 1, v7
	v_add_nc_u32_e32 v8, 16, v8
	;; [unrolled: 1-line block ×3, first 2 shown]
	v_cmp_lt_u32_e32 vcc_lo, 9, v7
	s_or_b32 s5, vcc_lo, s5
	s_waitcnt vmcnt(2) lgkmcnt(0)
	v_mul_f64 v[18:19], v[12:13], v[14:15]
	v_mul_f64 v[14:15], v[10:11], v[14:15]
	s_waitcnt vmcnt(0)
	v_fma_f64 v[10:11], v[10:11], v[16:17], -v[18:19]
	v_fma_f64 v[12:13], v[12:13], v[16:17], v[14:15]
	v_add_f64 v[3:4], v[3:4], v[10:11]
	v_add_f64 v[1:2], v[1:2], v[12:13]
	s_andn2_b32 exec_lo, exec_lo, s5
	s_cbranch_execnz .LBB51_57
; %bb.58:
	s_or_b32 exec_lo, exec_lo, s5
	v_mov_b32_e32 v7, 0
	ds_read_b128 v[7:10], v7 offset:176
	s_waitcnt lgkmcnt(0)
	v_mul_f64 v[11:12], v[1:2], v[9:10]
	v_mul_f64 v[9:10], v[3:4], v[9:10]
	v_fma_f64 v[3:4], v[3:4], v[7:8], -v[11:12]
	v_fma_f64 v[1:2], v[1:2], v[7:8], v[9:10]
	buffer_store_dword v4, off, s[0:3], 0 offset:196
	buffer_store_dword v3, off, s[0:3], 0 offset:192
	;; [unrolled: 1-line block ×4, first 2 shown]
.LBB51_59:
	s_or_b32 exec_lo, exec_lo, s4
	v_mov_b32_e32 v4, s52
	s_waitcnt_vscnt null, 0x0
	s_barrier
	buffer_gl0_inv
	s_mov_b32 s4, exec_lo
	s_clause 0x3
	buffer_load_dword v1, v4, s[0:3], 0 offen
	buffer_load_dword v2, v4, s[0:3], 0 offen offset:4
	buffer_load_dword v3, v4, s[0:3], 0 offen offset:8
	;; [unrolled: 1-line block ×3, first 2 shown]
	s_waitcnt vmcnt(0)
	ds_write_b128 v5, v[1:4]
	s_waitcnt lgkmcnt(0)
	s_barrier
	buffer_gl0_inv
	v_cmpx_gt_u32_e32 12, v0
	s_cbranch_execz .LBB51_63
; %bb.60:
	v_mov_b32_e32 v1, 0
	v_mov_b32_e32 v3, 0
	v_add_nc_u32_e32 v7, -1, v0
	v_add_nc_u32_e32 v8, 0x340, v209
	v_mov_b32_e32 v2, 0
	v_mov_b32_e32 v4, 0
	v_add_nc_u32_e32 v9, 16, v209
	s_mov_b32 s5, 0
	.p2align	6
.LBB51_61:                              ; =>This Inner Loop Header: Depth=1
	s_clause 0x3
	buffer_load_dword v14, v9, s[0:3], 0 offen offset:8
	buffer_load_dword v15, v9, s[0:3], 0 offen offset:12
	buffer_load_dword v16, v9, s[0:3], 0 offen
	buffer_load_dword v17, v9, s[0:3], 0 offen offset:4
	ds_read_b128 v[10:13], v8
	v_add_nc_u32_e32 v7, 1, v7
	v_add_nc_u32_e32 v8, 16, v8
	;; [unrolled: 1-line block ×3, first 2 shown]
	v_cmp_lt_u32_e32 vcc_lo, 10, v7
	s_or_b32 s5, vcc_lo, s5
	s_waitcnt vmcnt(2) lgkmcnt(0)
	v_mul_f64 v[18:19], v[12:13], v[14:15]
	v_mul_f64 v[14:15], v[10:11], v[14:15]
	s_waitcnt vmcnt(0)
	v_fma_f64 v[10:11], v[10:11], v[16:17], -v[18:19]
	v_fma_f64 v[12:13], v[12:13], v[16:17], v[14:15]
	v_add_f64 v[3:4], v[3:4], v[10:11]
	v_add_f64 v[1:2], v[1:2], v[12:13]
	s_andn2_b32 exec_lo, exec_lo, s5
	s_cbranch_execnz .LBB51_61
; %bb.62:
	s_or_b32 exec_lo, exec_lo, s5
	v_mov_b32_e32 v7, 0
	ds_read_b128 v[7:10], v7 offset:192
	s_waitcnt lgkmcnt(0)
	v_mul_f64 v[11:12], v[1:2], v[9:10]
	v_mul_f64 v[9:10], v[3:4], v[9:10]
	v_fma_f64 v[3:4], v[3:4], v[7:8], -v[11:12]
	v_fma_f64 v[1:2], v[1:2], v[7:8], v[9:10]
	buffer_store_dword v4, off, s[0:3], 0 offset:212
	buffer_store_dword v3, off, s[0:3], 0 offset:208
	;; [unrolled: 1-line block ×4, first 2 shown]
.LBB51_63:
	s_or_b32 exec_lo, exec_lo, s4
	v_mov_b32_e32 v4, s51
	s_waitcnt_vscnt null, 0x0
	s_barrier
	buffer_gl0_inv
	s_mov_b32 s4, exec_lo
	s_clause 0x3
	buffer_load_dword v1, v4, s[0:3], 0 offen
	buffer_load_dword v2, v4, s[0:3], 0 offen offset:4
	buffer_load_dword v3, v4, s[0:3], 0 offen offset:8
	;; [unrolled: 1-line block ×3, first 2 shown]
	s_waitcnt vmcnt(0)
	ds_write_b128 v5, v[1:4]
	s_waitcnt lgkmcnt(0)
	s_barrier
	buffer_gl0_inv
	v_cmpx_gt_u32_e32 13, v0
	s_cbranch_execz .LBB51_67
; %bb.64:
	v_mov_b32_e32 v1, 0
	v_mov_b32_e32 v3, 0
	v_add_nc_u32_e32 v7, -1, v0
	v_add_nc_u32_e32 v8, 0x340, v209
	v_mov_b32_e32 v2, 0
	v_mov_b32_e32 v4, 0
	v_add_nc_u32_e32 v9, 16, v209
	s_mov_b32 s5, 0
	.p2align	6
.LBB51_65:                              ; =>This Inner Loop Header: Depth=1
	s_clause 0x3
	buffer_load_dword v14, v9, s[0:3], 0 offen offset:8
	buffer_load_dword v15, v9, s[0:3], 0 offen offset:12
	buffer_load_dword v16, v9, s[0:3], 0 offen
	buffer_load_dword v17, v9, s[0:3], 0 offen offset:4
	ds_read_b128 v[10:13], v8
	v_add_nc_u32_e32 v7, 1, v7
	v_add_nc_u32_e32 v8, 16, v8
	v_add_nc_u32_e32 v9, 16, v9
	v_cmp_lt_u32_e32 vcc_lo, 11, v7
	s_or_b32 s5, vcc_lo, s5
	s_waitcnt vmcnt(2) lgkmcnt(0)
	v_mul_f64 v[18:19], v[12:13], v[14:15]
	v_mul_f64 v[14:15], v[10:11], v[14:15]
	s_waitcnt vmcnt(0)
	v_fma_f64 v[10:11], v[10:11], v[16:17], -v[18:19]
	v_fma_f64 v[12:13], v[12:13], v[16:17], v[14:15]
	v_add_f64 v[3:4], v[3:4], v[10:11]
	v_add_f64 v[1:2], v[1:2], v[12:13]
	s_andn2_b32 exec_lo, exec_lo, s5
	s_cbranch_execnz .LBB51_65
; %bb.66:
	s_or_b32 exec_lo, exec_lo, s5
	v_mov_b32_e32 v7, 0
	ds_read_b128 v[7:10], v7 offset:208
	s_waitcnt lgkmcnt(0)
	v_mul_f64 v[11:12], v[1:2], v[9:10]
	v_mul_f64 v[9:10], v[3:4], v[9:10]
	v_fma_f64 v[3:4], v[3:4], v[7:8], -v[11:12]
	v_fma_f64 v[1:2], v[1:2], v[7:8], v[9:10]
	buffer_store_dword v4, off, s[0:3], 0 offset:228
	buffer_store_dword v3, off, s[0:3], 0 offset:224
	;; [unrolled: 1-line block ×4, first 2 shown]
.LBB51_67:
	s_or_b32 exec_lo, exec_lo, s4
	v_mov_b32_e32 v4, s50
	s_waitcnt_vscnt null, 0x0
	s_barrier
	buffer_gl0_inv
	s_mov_b32 s4, exec_lo
	s_clause 0x3
	buffer_load_dword v1, v4, s[0:3], 0 offen
	buffer_load_dword v2, v4, s[0:3], 0 offen offset:4
	buffer_load_dword v3, v4, s[0:3], 0 offen offset:8
	;; [unrolled: 1-line block ×3, first 2 shown]
	s_waitcnt vmcnt(0)
	ds_write_b128 v5, v[1:4]
	s_waitcnt lgkmcnt(0)
	s_barrier
	buffer_gl0_inv
	v_cmpx_gt_u32_e32 14, v0
	s_cbranch_execz .LBB51_71
; %bb.68:
	v_mov_b32_e32 v1, 0
	v_mov_b32_e32 v3, 0
	v_add_nc_u32_e32 v7, -1, v0
	v_add_nc_u32_e32 v8, 0x340, v209
	v_mov_b32_e32 v2, 0
	v_mov_b32_e32 v4, 0
	v_add_nc_u32_e32 v9, 16, v209
	s_mov_b32 s5, 0
	.p2align	6
.LBB51_69:                              ; =>This Inner Loop Header: Depth=1
	s_clause 0x3
	buffer_load_dword v14, v9, s[0:3], 0 offen offset:8
	buffer_load_dword v15, v9, s[0:3], 0 offen offset:12
	buffer_load_dword v16, v9, s[0:3], 0 offen
	buffer_load_dword v17, v9, s[0:3], 0 offen offset:4
	ds_read_b128 v[10:13], v8
	v_add_nc_u32_e32 v7, 1, v7
	v_add_nc_u32_e32 v8, 16, v8
	;; [unrolled: 1-line block ×3, first 2 shown]
	v_cmp_lt_u32_e32 vcc_lo, 12, v7
	s_or_b32 s5, vcc_lo, s5
	s_waitcnt vmcnt(2) lgkmcnt(0)
	v_mul_f64 v[18:19], v[12:13], v[14:15]
	v_mul_f64 v[14:15], v[10:11], v[14:15]
	s_waitcnt vmcnt(0)
	v_fma_f64 v[10:11], v[10:11], v[16:17], -v[18:19]
	v_fma_f64 v[12:13], v[12:13], v[16:17], v[14:15]
	v_add_f64 v[3:4], v[3:4], v[10:11]
	v_add_f64 v[1:2], v[1:2], v[12:13]
	s_andn2_b32 exec_lo, exec_lo, s5
	s_cbranch_execnz .LBB51_69
; %bb.70:
	s_or_b32 exec_lo, exec_lo, s5
	v_mov_b32_e32 v7, 0
	ds_read_b128 v[7:10], v7 offset:224
	s_waitcnt lgkmcnt(0)
	v_mul_f64 v[11:12], v[1:2], v[9:10]
	v_mul_f64 v[9:10], v[3:4], v[9:10]
	v_fma_f64 v[3:4], v[3:4], v[7:8], -v[11:12]
	v_fma_f64 v[1:2], v[1:2], v[7:8], v[9:10]
	buffer_store_dword v4, off, s[0:3], 0 offset:244
	buffer_store_dword v3, off, s[0:3], 0 offset:240
	;; [unrolled: 1-line block ×4, first 2 shown]
.LBB51_71:
	s_or_b32 exec_lo, exec_lo, s4
	v_mov_b32_e32 v4, s49
	s_waitcnt_vscnt null, 0x0
	s_barrier
	buffer_gl0_inv
	s_mov_b32 s4, exec_lo
	s_clause 0x3
	buffer_load_dword v1, v4, s[0:3], 0 offen
	buffer_load_dword v2, v4, s[0:3], 0 offen offset:4
	buffer_load_dword v3, v4, s[0:3], 0 offen offset:8
	;; [unrolled: 1-line block ×3, first 2 shown]
	s_waitcnt vmcnt(0)
	ds_write_b128 v5, v[1:4]
	s_waitcnt lgkmcnt(0)
	s_barrier
	buffer_gl0_inv
	v_cmpx_gt_u32_e32 15, v0
	s_cbranch_execz .LBB51_75
; %bb.72:
	v_mov_b32_e32 v1, 0
	v_mov_b32_e32 v3, 0
	v_add_nc_u32_e32 v7, -1, v0
	v_add_nc_u32_e32 v8, 0x340, v209
	v_mov_b32_e32 v2, 0
	v_mov_b32_e32 v4, 0
	v_add_nc_u32_e32 v9, 16, v209
	s_mov_b32 s5, 0
	.p2align	6
.LBB51_73:                              ; =>This Inner Loop Header: Depth=1
	s_clause 0x3
	buffer_load_dword v14, v9, s[0:3], 0 offen offset:8
	buffer_load_dword v15, v9, s[0:3], 0 offen offset:12
	buffer_load_dword v16, v9, s[0:3], 0 offen
	buffer_load_dword v17, v9, s[0:3], 0 offen offset:4
	ds_read_b128 v[10:13], v8
	v_add_nc_u32_e32 v7, 1, v7
	v_add_nc_u32_e32 v8, 16, v8
	;; [unrolled: 1-line block ×3, first 2 shown]
	v_cmp_lt_u32_e32 vcc_lo, 13, v7
	s_or_b32 s5, vcc_lo, s5
	s_waitcnt vmcnt(2) lgkmcnt(0)
	v_mul_f64 v[18:19], v[12:13], v[14:15]
	v_mul_f64 v[14:15], v[10:11], v[14:15]
	s_waitcnt vmcnt(0)
	v_fma_f64 v[10:11], v[10:11], v[16:17], -v[18:19]
	v_fma_f64 v[12:13], v[12:13], v[16:17], v[14:15]
	v_add_f64 v[3:4], v[3:4], v[10:11]
	v_add_f64 v[1:2], v[1:2], v[12:13]
	s_andn2_b32 exec_lo, exec_lo, s5
	s_cbranch_execnz .LBB51_73
; %bb.74:
	s_or_b32 exec_lo, exec_lo, s5
	v_mov_b32_e32 v7, 0
	ds_read_b128 v[7:10], v7 offset:240
	s_waitcnt lgkmcnt(0)
	v_mul_f64 v[11:12], v[1:2], v[9:10]
	v_mul_f64 v[9:10], v[3:4], v[9:10]
	v_fma_f64 v[3:4], v[3:4], v[7:8], -v[11:12]
	v_fma_f64 v[1:2], v[1:2], v[7:8], v[9:10]
	buffer_store_dword v4, off, s[0:3], 0 offset:260
	buffer_store_dword v3, off, s[0:3], 0 offset:256
	;; [unrolled: 1-line block ×4, first 2 shown]
.LBB51_75:
	s_or_b32 exec_lo, exec_lo, s4
	v_mov_b32_e32 v4, s48
	s_waitcnt_vscnt null, 0x0
	s_barrier
	buffer_gl0_inv
	s_mov_b32 s4, exec_lo
	s_clause 0x3
	buffer_load_dword v1, v4, s[0:3], 0 offen
	buffer_load_dword v2, v4, s[0:3], 0 offen offset:4
	buffer_load_dword v3, v4, s[0:3], 0 offen offset:8
	;; [unrolled: 1-line block ×3, first 2 shown]
	s_waitcnt vmcnt(0)
	ds_write_b128 v5, v[1:4]
	s_waitcnt lgkmcnt(0)
	s_barrier
	buffer_gl0_inv
	v_cmpx_gt_u32_e32 16, v0
	s_cbranch_execz .LBB51_79
; %bb.76:
	v_mov_b32_e32 v1, 0
	v_mov_b32_e32 v3, 0
	v_add_nc_u32_e32 v7, -1, v0
	v_add_nc_u32_e32 v8, 0x340, v209
	v_mov_b32_e32 v2, 0
	v_mov_b32_e32 v4, 0
	v_add_nc_u32_e32 v9, 16, v209
	s_mov_b32 s5, 0
	.p2align	6
.LBB51_77:                              ; =>This Inner Loop Header: Depth=1
	s_clause 0x3
	buffer_load_dword v14, v9, s[0:3], 0 offen offset:8
	buffer_load_dword v15, v9, s[0:3], 0 offen offset:12
	buffer_load_dword v16, v9, s[0:3], 0 offen
	buffer_load_dword v17, v9, s[0:3], 0 offen offset:4
	ds_read_b128 v[10:13], v8
	v_add_nc_u32_e32 v7, 1, v7
	v_add_nc_u32_e32 v8, 16, v8
	;; [unrolled: 1-line block ×3, first 2 shown]
	v_cmp_lt_u32_e32 vcc_lo, 14, v7
	s_or_b32 s5, vcc_lo, s5
	s_waitcnt vmcnt(2) lgkmcnt(0)
	v_mul_f64 v[18:19], v[12:13], v[14:15]
	v_mul_f64 v[14:15], v[10:11], v[14:15]
	s_waitcnt vmcnt(0)
	v_fma_f64 v[10:11], v[10:11], v[16:17], -v[18:19]
	v_fma_f64 v[12:13], v[12:13], v[16:17], v[14:15]
	v_add_f64 v[3:4], v[3:4], v[10:11]
	v_add_f64 v[1:2], v[1:2], v[12:13]
	s_andn2_b32 exec_lo, exec_lo, s5
	s_cbranch_execnz .LBB51_77
; %bb.78:
	s_or_b32 exec_lo, exec_lo, s5
	v_mov_b32_e32 v7, 0
	ds_read_b128 v[7:10], v7 offset:256
	s_waitcnt lgkmcnt(0)
	v_mul_f64 v[11:12], v[1:2], v[9:10]
	v_mul_f64 v[9:10], v[3:4], v[9:10]
	v_fma_f64 v[3:4], v[3:4], v[7:8], -v[11:12]
	v_fma_f64 v[1:2], v[1:2], v[7:8], v[9:10]
	buffer_store_dword v4, off, s[0:3], 0 offset:276
	buffer_store_dword v3, off, s[0:3], 0 offset:272
	;; [unrolled: 1-line block ×4, first 2 shown]
.LBB51_79:
	s_or_b32 exec_lo, exec_lo, s4
	v_mov_b32_e32 v4, s47
	s_waitcnt_vscnt null, 0x0
	s_barrier
	buffer_gl0_inv
	s_mov_b32 s4, exec_lo
	s_clause 0x3
	buffer_load_dword v1, v4, s[0:3], 0 offen
	buffer_load_dword v2, v4, s[0:3], 0 offen offset:4
	buffer_load_dword v3, v4, s[0:3], 0 offen offset:8
	;; [unrolled: 1-line block ×3, first 2 shown]
	s_waitcnt vmcnt(0)
	ds_write_b128 v5, v[1:4]
	s_waitcnt lgkmcnt(0)
	s_barrier
	buffer_gl0_inv
	v_cmpx_gt_u32_e32 17, v0
	s_cbranch_execz .LBB51_83
; %bb.80:
	v_mov_b32_e32 v1, 0
	v_mov_b32_e32 v3, 0
	v_add_nc_u32_e32 v7, -1, v0
	v_add_nc_u32_e32 v8, 0x340, v209
	v_mov_b32_e32 v2, 0
	v_mov_b32_e32 v4, 0
	v_add_nc_u32_e32 v9, 16, v209
	s_mov_b32 s5, 0
	.p2align	6
.LBB51_81:                              ; =>This Inner Loop Header: Depth=1
	s_clause 0x3
	buffer_load_dword v14, v9, s[0:3], 0 offen offset:8
	buffer_load_dword v15, v9, s[0:3], 0 offen offset:12
	buffer_load_dword v16, v9, s[0:3], 0 offen
	buffer_load_dword v17, v9, s[0:3], 0 offen offset:4
	ds_read_b128 v[10:13], v8
	v_add_nc_u32_e32 v7, 1, v7
	v_add_nc_u32_e32 v8, 16, v8
	;; [unrolled: 1-line block ×3, first 2 shown]
	v_cmp_lt_u32_e32 vcc_lo, 15, v7
	s_or_b32 s5, vcc_lo, s5
	s_waitcnt vmcnt(2) lgkmcnt(0)
	v_mul_f64 v[18:19], v[12:13], v[14:15]
	v_mul_f64 v[14:15], v[10:11], v[14:15]
	s_waitcnt vmcnt(0)
	v_fma_f64 v[10:11], v[10:11], v[16:17], -v[18:19]
	v_fma_f64 v[12:13], v[12:13], v[16:17], v[14:15]
	v_add_f64 v[3:4], v[3:4], v[10:11]
	v_add_f64 v[1:2], v[1:2], v[12:13]
	s_andn2_b32 exec_lo, exec_lo, s5
	s_cbranch_execnz .LBB51_81
; %bb.82:
	s_or_b32 exec_lo, exec_lo, s5
	v_mov_b32_e32 v7, 0
	ds_read_b128 v[7:10], v7 offset:272
	s_waitcnt lgkmcnt(0)
	v_mul_f64 v[11:12], v[1:2], v[9:10]
	v_mul_f64 v[9:10], v[3:4], v[9:10]
	v_fma_f64 v[3:4], v[3:4], v[7:8], -v[11:12]
	v_fma_f64 v[1:2], v[1:2], v[7:8], v[9:10]
	buffer_store_dword v4, off, s[0:3], 0 offset:292
	buffer_store_dword v3, off, s[0:3], 0 offset:288
	;; [unrolled: 1-line block ×4, first 2 shown]
.LBB51_83:
	s_or_b32 exec_lo, exec_lo, s4
	v_mov_b32_e32 v4, s46
	s_waitcnt_vscnt null, 0x0
	s_barrier
	buffer_gl0_inv
	s_mov_b32 s4, exec_lo
	s_clause 0x3
	buffer_load_dword v1, v4, s[0:3], 0 offen
	buffer_load_dword v2, v4, s[0:3], 0 offen offset:4
	buffer_load_dword v3, v4, s[0:3], 0 offen offset:8
	;; [unrolled: 1-line block ×3, first 2 shown]
	s_waitcnt vmcnt(0)
	ds_write_b128 v5, v[1:4]
	s_waitcnt lgkmcnt(0)
	s_barrier
	buffer_gl0_inv
	v_cmpx_gt_u32_e32 18, v0
	s_cbranch_execz .LBB51_87
; %bb.84:
	v_mov_b32_e32 v1, 0
	v_mov_b32_e32 v3, 0
	v_add_nc_u32_e32 v7, -1, v0
	v_add_nc_u32_e32 v8, 0x340, v209
	v_mov_b32_e32 v2, 0
	v_mov_b32_e32 v4, 0
	v_add_nc_u32_e32 v9, 16, v209
	s_mov_b32 s5, 0
	.p2align	6
.LBB51_85:                              ; =>This Inner Loop Header: Depth=1
	s_clause 0x3
	buffer_load_dword v14, v9, s[0:3], 0 offen offset:8
	buffer_load_dword v15, v9, s[0:3], 0 offen offset:12
	buffer_load_dword v16, v9, s[0:3], 0 offen
	buffer_load_dword v17, v9, s[0:3], 0 offen offset:4
	ds_read_b128 v[10:13], v8
	v_add_nc_u32_e32 v7, 1, v7
	v_add_nc_u32_e32 v8, 16, v8
	;; [unrolled: 1-line block ×3, first 2 shown]
	v_cmp_lt_u32_e32 vcc_lo, 16, v7
	s_or_b32 s5, vcc_lo, s5
	s_waitcnt vmcnt(2) lgkmcnt(0)
	v_mul_f64 v[18:19], v[12:13], v[14:15]
	v_mul_f64 v[14:15], v[10:11], v[14:15]
	s_waitcnt vmcnt(0)
	v_fma_f64 v[10:11], v[10:11], v[16:17], -v[18:19]
	v_fma_f64 v[12:13], v[12:13], v[16:17], v[14:15]
	v_add_f64 v[3:4], v[3:4], v[10:11]
	v_add_f64 v[1:2], v[1:2], v[12:13]
	s_andn2_b32 exec_lo, exec_lo, s5
	s_cbranch_execnz .LBB51_85
; %bb.86:
	s_or_b32 exec_lo, exec_lo, s5
	v_mov_b32_e32 v7, 0
	ds_read_b128 v[7:10], v7 offset:288
	s_waitcnt lgkmcnt(0)
	v_mul_f64 v[11:12], v[1:2], v[9:10]
	v_mul_f64 v[9:10], v[3:4], v[9:10]
	v_fma_f64 v[3:4], v[3:4], v[7:8], -v[11:12]
	v_fma_f64 v[1:2], v[1:2], v[7:8], v[9:10]
	buffer_store_dword v4, off, s[0:3], 0 offset:308
	buffer_store_dword v3, off, s[0:3], 0 offset:304
	;; [unrolled: 1-line block ×4, first 2 shown]
.LBB51_87:
	s_or_b32 exec_lo, exec_lo, s4
	v_mov_b32_e32 v4, s45
	s_waitcnt_vscnt null, 0x0
	s_barrier
	buffer_gl0_inv
	s_mov_b32 s4, exec_lo
	s_clause 0x3
	buffer_load_dword v1, v4, s[0:3], 0 offen
	buffer_load_dword v2, v4, s[0:3], 0 offen offset:4
	buffer_load_dword v3, v4, s[0:3], 0 offen offset:8
	buffer_load_dword v4, v4, s[0:3], 0 offen offset:12
	s_waitcnt vmcnt(0)
	ds_write_b128 v5, v[1:4]
	s_waitcnt lgkmcnt(0)
	s_barrier
	buffer_gl0_inv
	v_cmpx_gt_u32_e32 19, v0
	s_cbranch_execz .LBB51_91
; %bb.88:
	v_mov_b32_e32 v1, 0
	v_mov_b32_e32 v3, 0
	v_add_nc_u32_e32 v7, -1, v0
	v_add_nc_u32_e32 v8, 0x340, v209
	v_mov_b32_e32 v2, 0
	v_mov_b32_e32 v4, 0
	v_add_nc_u32_e32 v9, 16, v209
	s_mov_b32 s5, 0
	.p2align	6
.LBB51_89:                              ; =>This Inner Loop Header: Depth=1
	s_clause 0x3
	buffer_load_dword v14, v9, s[0:3], 0 offen offset:8
	buffer_load_dword v15, v9, s[0:3], 0 offen offset:12
	buffer_load_dword v16, v9, s[0:3], 0 offen
	buffer_load_dword v17, v9, s[0:3], 0 offen offset:4
	ds_read_b128 v[10:13], v8
	v_add_nc_u32_e32 v7, 1, v7
	v_add_nc_u32_e32 v8, 16, v8
	;; [unrolled: 1-line block ×3, first 2 shown]
	v_cmp_lt_u32_e32 vcc_lo, 17, v7
	s_or_b32 s5, vcc_lo, s5
	s_waitcnt vmcnt(2) lgkmcnt(0)
	v_mul_f64 v[18:19], v[12:13], v[14:15]
	v_mul_f64 v[14:15], v[10:11], v[14:15]
	s_waitcnt vmcnt(0)
	v_fma_f64 v[10:11], v[10:11], v[16:17], -v[18:19]
	v_fma_f64 v[12:13], v[12:13], v[16:17], v[14:15]
	v_add_f64 v[3:4], v[3:4], v[10:11]
	v_add_f64 v[1:2], v[1:2], v[12:13]
	s_andn2_b32 exec_lo, exec_lo, s5
	s_cbranch_execnz .LBB51_89
; %bb.90:
	s_or_b32 exec_lo, exec_lo, s5
	v_mov_b32_e32 v7, 0
	ds_read_b128 v[7:10], v7 offset:304
	s_waitcnt lgkmcnt(0)
	v_mul_f64 v[11:12], v[1:2], v[9:10]
	v_mul_f64 v[9:10], v[3:4], v[9:10]
	v_fma_f64 v[3:4], v[3:4], v[7:8], -v[11:12]
	v_fma_f64 v[1:2], v[1:2], v[7:8], v[9:10]
	buffer_store_dword v4, off, s[0:3], 0 offset:324
	buffer_store_dword v3, off, s[0:3], 0 offset:320
	;; [unrolled: 1-line block ×4, first 2 shown]
.LBB51_91:
	s_or_b32 exec_lo, exec_lo, s4
	v_mov_b32_e32 v4, s44
	s_waitcnt_vscnt null, 0x0
	s_barrier
	buffer_gl0_inv
	s_mov_b32 s4, exec_lo
	s_clause 0x3
	buffer_load_dword v1, v4, s[0:3], 0 offen
	buffer_load_dword v2, v4, s[0:3], 0 offen offset:4
	buffer_load_dword v3, v4, s[0:3], 0 offen offset:8
	buffer_load_dword v4, v4, s[0:3], 0 offen offset:12
	s_waitcnt vmcnt(0)
	ds_write_b128 v5, v[1:4]
	s_waitcnt lgkmcnt(0)
	s_barrier
	buffer_gl0_inv
	v_cmpx_gt_u32_e32 20, v0
	s_cbranch_execz .LBB51_95
; %bb.92:
	v_mov_b32_e32 v1, 0
	v_mov_b32_e32 v3, 0
	v_add_nc_u32_e32 v7, -1, v0
	v_add_nc_u32_e32 v8, 0x340, v209
	v_mov_b32_e32 v2, 0
	v_mov_b32_e32 v4, 0
	v_add_nc_u32_e32 v9, 16, v209
	s_mov_b32 s5, 0
	.p2align	6
.LBB51_93:                              ; =>This Inner Loop Header: Depth=1
	s_clause 0x3
	buffer_load_dword v14, v9, s[0:3], 0 offen offset:8
	buffer_load_dword v15, v9, s[0:3], 0 offen offset:12
	buffer_load_dword v16, v9, s[0:3], 0 offen
	buffer_load_dword v17, v9, s[0:3], 0 offen offset:4
	ds_read_b128 v[10:13], v8
	v_add_nc_u32_e32 v7, 1, v7
	v_add_nc_u32_e32 v8, 16, v8
	;; [unrolled: 1-line block ×3, first 2 shown]
	v_cmp_lt_u32_e32 vcc_lo, 18, v7
	s_or_b32 s5, vcc_lo, s5
	s_waitcnt vmcnt(2) lgkmcnt(0)
	v_mul_f64 v[18:19], v[12:13], v[14:15]
	v_mul_f64 v[14:15], v[10:11], v[14:15]
	s_waitcnt vmcnt(0)
	v_fma_f64 v[10:11], v[10:11], v[16:17], -v[18:19]
	v_fma_f64 v[12:13], v[12:13], v[16:17], v[14:15]
	v_add_f64 v[3:4], v[3:4], v[10:11]
	v_add_f64 v[1:2], v[1:2], v[12:13]
	s_andn2_b32 exec_lo, exec_lo, s5
	s_cbranch_execnz .LBB51_93
; %bb.94:
	s_or_b32 exec_lo, exec_lo, s5
	v_mov_b32_e32 v7, 0
	ds_read_b128 v[7:10], v7 offset:320
	s_waitcnt lgkmcnt(0)
	v_mul_f64 v[11:12], v[1:2], v[9:10]
	v_mul_f64 v[9:10], v[3:4], v[9:10]
	v_fma_f64 v[3:4], v[3:4], v[7:8], -v[11:12]
	v_fma_f64 v[1:2], v[1:2], v[7:8], v[9:10]
	buffer_store_dword v4, off, s[0:3], 0 offset:340
	buffer_store_dword v3, off, s[0:3], 0 offset:336
	;; [unrolled: 1-line block ×4, first 2 shown]
.LBB51_95:
	s_or_b32 exec_lo, exec_lo, s4
	v_mov_b32_e32 v4, s43
	s_waitcnt_vscnt null, 0x0
	s_barrier
	buffer_gl0_inv
	s_mov_b32 s4, exec_lo
	s_clause 0x3
	buffer_load_dword v1, v4, s[0:3], 0 offen
	buffer_load_dword v2, v4, s[0:3], 0 offen offset:4
	buffer_load_dword v3, v4, s[0:3], 0 offen offset:8
	;; [unrolled: 1-line block ×3, first 2 shown]
	s_waitcnt vmcnt(0)
	ds_write_b128 v5, v[1:4]
	s_waitcnt lgkmcnt(0)
	s_barrier
	buffer_gl0_inv
	v_cmpx_gt_u32_e32 21, v0
	s_cbranch_execz .LBB51_99
; %bb.96:
	v_mov_b32_e32 v1, 0
	v_mov_b32_e32 v3, 0
	v_add_nc_u32_e32 v7, -1, v0
	v_add_nc_u32_e32 v8, 0x340, v209
	v_mov_b32_e32 v2, 0
	v_mov_b32_e32 v4, 0
	v_add_nc_u32_e32 v9, 16, v209
	s_mov_b32 s5, 0
	.p2align	6
.LBB51_97:                              ; =>This Inner Loop Header: Depth=1
	s_clause 0x3
	buffer_load_dword v14, v9, s[0:3], 0 offen offset:8
	buffer_load_dword v15, v9, s[0:3], 0 offen offset:12
	buffer_load_dword v16, v9, s[0:3], 0 offen
	buffer_load_dword v17, v9, s[0:3], 0 offen offset:4
	ds_read_b128 v[10:13], v8
	v_add_nc_u32_e32 v7, 1, v7
	v_add_nc_u32_e32 v8, 16, v8
	;; [unrolled: 1-line block ×3, first 2 shown]
	v_cmp_lt_u32_e32 vcc_lo, 19, v7
	s_or_b32 s5, vcc_lo, s5
	s_waitcnt vmcnt(2) lgkmcnt(0)
	v_mul_f64 v[18:19], v[12:13], v[14:15]
	v_mul_f64 v[14:15], v[10:11], v[14:15]
	s_waitcnt vmcnt(0)
	v_fma_f64 v[10:11], v[10:11], v[16:17], -v[18:19]
	v_fma_f64 v[12:13], v[12:13], v[16:17], v[14:15]
	v_add_f64 v[3:4], v[3:4], v[10:11]
	v_add_f64 v[1:2], v[1:2], v[12:13]
	s_andn2_b32 exec_lo, exec_lo, s5
	s_cbranch_execnz .LBB51_97
; %bb.98:
	s_or_b32 exec_lo, exec_lo, s5
	v_mov_b32_e32 v7, 0
	ds_read_b128 v[7:10], v7 offset:336
	s_waitcnt lgkmcnt(0)
	v_mul_f64 v[11:12], v[1:2], v[9:10]
	v_mul_f64 v[9:10], v[3:4], v[9:10]
	v_fma_f64 v[3:4], v[3:4], v[7:8], -v[11:12]
	v_fma_f64 v[1:2], v[1:2], v[7:8], v[9:10]
	buffer_store_dword v4, off, s[0:3], 0 offset:356
	buffer_store_dword v3, off, s[0:3], 0 offset:352
	buffer_store_dword v2, off, s[0:3], 0 offset:364
	buffer_store_dword v1, off, s[0:3], 0 offset:360
.LBB51_99:
	s_or_b32 exec_lo, exec_lo, s4
	v_mov_b32_e32 v4, s42
	s_waitcnt_vscnt null, 0x0
	s_barrier
	buffer_gl0_inv
	s_mov_b32 s4, exec_lo
	s_clause 0x3
	buffer_load_dword v1, v4, s[0:3], 0 offen
	buffer_load_dword v2, v4, s[0:3], 0 offen offset:4
	buffer_load_dword v3, v4, s[0:3], 0 offen offset:8
	;; [unrolled: 1-line block ×3, first 2 shown]
	s_waitcnt vmcnt(0)
	ds_write_b128 v5, v[1:4]
	s_waitcnt lgkmcnt(0)
	s_barrier
	buffer_gl0_inv
	v_cmpx_gt_u32_e32 22, v0
	s_cbranch_execz .LBB51_103
; %bb.100:
	v_mov_b32_e32 v1, 0
	v_mov_b32_e32 v3, 0
	v_add_nc_u32_e32 v7, -1, v0
	v_add_nc_u32_e32 v8, 0x340, v209
	v_mov_b32_e32 v2, 0
	v_mov_b32_e32 v4, 0
	v_add_nc_u32_e32 v9, 16, v209
	s_mov_b32 s5, 0
	.p2align	6
.LBB51_101:                             ; =>This Inner Loop Header: Depth=1
	s_clause 0x3
	buffer_load_dword v14, v9, s[0:3], 0 offen offset:8
	buffer_load_dword v15, v9, s[0:3], 0 offen offset:12
	buffer_load_dword v16, v9, s[0:3], 0 offen
	buffer_load_dword v17, v9, s[0:3], 0 offen offset:4
	ds_read_b128 v[10:13], v8
	v_add_nc_u32_e32 v7, 1, v7
	v_add_nc_u32_e32 v8, 16, v8
	;; [unrolled: 1-line block ×3, first 2 shown]
	v_cmp_lt_u32_e32 vcc_lo, 20, v7
	s_or_b32 s5, vcc_lo, s5
	s_waitcnt vmcnt(2) lgkmcnt(0)
	v_mul_f64 v[18:19], v[12:13], v[14:15]
	v_mul_f64 v[14:15], v[10:11], v[14:15]
	s_waitcnt vmcnt(0)
	v_fma_f64 v[10:11], v[10:11], v[16:17], -v[18:19]
	v_fma_f64 v[12:13], v[12:13], v[16:17], v[14:15]
	v_add_f64 v[3:4], v[3:4], v[10:11]
	v_add_f64 v[1:2], v[1:2], v[12:13]
	s_andn2_b32 exec_lo, exec_lo, s5
	s_cbranch_execnz .LBB51_101
; %bb.102:
	s_or_b32 exec_lo, exec_lo, s5
	v_mov_b32_e32 v7, 0
	ds_read_b128 v[7:10], v7 offset:352
	s_waitcnt lgkmcnt(0)
	v_mul_f64 v[11:12], v[1:2], v[9:10]
	v_mul_f64 v[9:10], v[3:4], v[9:10]
	v_fma_f64 v[3:4], v[3:4], v[7:8], -v[11:12]
	v_fma_f64 v[1:2], v[1:2], v[7:8], v[9:10]
	buffer_store_dword v4, off, s[0:3], 0 offset:372
	buffer_store_dword v3, off, s[0:3], 0 offset:368
	;; [unrolled: 1-line block ×4, first 2 shown]
.LBB51_103:
	s_or_b32 exec_lo, exec_lo, s4
	v_mov_b32_e32 v4, s41
	s_waitcnt_vscnt null, 0x0
	s_barrier
	buffer_gl0_inv
	s_mov_b32 s4, exec_lo
	s_clause 0x3
	buffer_load_dword v1, v4, s[0:3], 0 offen
	buffer_load_dword v2, v4, s[0:3], 0 offen offset:4
	buffer_load_dword v3, v4, s[0:3], 0 offen offset:8
	;; [unrolled: 1-line block ×3, first 2 shown]
	s_waitcnt vmcnt(0)
	ds_write_b128 v5, v[1:4]
	s_waitcnt lgkmcnt(0)
	s_barrier
	buffer_gl0_inv
	v_cmpx_gt_u32_e32 23, v0
	s_cbranch_execz .LBB51_107
; %bb.104:
	v_mov_b32_e32 v1, 0
	v_mov_b32_e32 v3, 0
	v_add_nc_u32_e32 v7, -1, v0
	v_add_nc_u32_e32 v8, 0x340, v209
	v_mov_b32_e32 v2, 0
	v_mov_b32_e32 v4, 0
	v_add_nc_u32_e32 v9, 16, v209
	s_mov_b32 s5, 0
	.p2align	6
.LBB51_105:                             ; =>This Inner Loop Header: Depth=1
	s_clause 0x3
	buffer_load_dword v14, v9, s[0:3], 0 offen offset:8
	buffer_load_dword v15, v9, s[0:3], 0 offen offset:12
	buffer_load_dword v16, v9, s[0:3], 0 offen
	buffer_load_dword v17, v9, s[0:3], 0 offen offset:4
	ds_read_b128 v[10:13], v8
	v_add_nc_u32_e32 v7, 1, v7
	v_add_nc_u32_e32 v8, 16, v8
	;; [unrolled: 1-line block ×3, first 2 shown]
	v_cmp_lt_u32_e32 vcc_lo, 21, v7
	s_or_b32 s5, vcc_lo, s5
	s_waitcnt vmcnt(2) lgkmcnt(0)
	v_mul_f64 v[18:19], v[12:13], v[14:15]
	v_mul_f64 v[14:15], v[10:11], v[14:15]
	s_waitcnt vmcnt(0)
	v_fma_f64 v[10:11], v[10:11], v[16:17], -v[18:19]
	v_fma_f64 v[12:13], v[12:13], v[16:17], v[14:15]
	v_add_f64 v[3:4], v[3:4], v[10:11]
	v_add_f64 v[1:2], v[1:2], v[12:13]
	s_andn2_b32 exec_lo, exec_lo, s5
	s_cbranch_execnz .LBB51_105
; %bb.106:
	s_or_b32 exec_lo, exec_lo, s5
	v_mov_b32_e32 v7, 0
	ds_read_b128 v[7:10], v7 offset:368
	s_waitcnt lgkmcnt(0)
	v_mul_f64 v[11:12], v[1:2], v[9:10]
	v_mul_f64 v[9:10], v[3:4], v[9:10]
	v_fma_f64 v[3:4], v[3:4], v[7:8], -v[11:12]
	v_fma_f64 v[1:2], v[1:2], v[7:8], v[9:10]
	buffer_store_dword v4, off, s[0:3], 0 offset:388
	buffer_store_dword v3, off, s[0:3], 0 offset:384
	buffer_store_dword v2, off, s[0:3], 0 offset:396
	buffer_store_dword v1, off, s[0:3], 0 offset:392
.LBB51_107:
	s_or_b32 exec_lo, exec_lo, s4
	v_mov_b32_e32 v4, s40
	s_waitcnt_vscnt null, 0x0
	s_barrier
	buffer_gl0_inv
	s_mov_b32 s4, exec_lo
	s_clause 0x3
	buffer_load_dword v1, v4, s[0:3], 0 offen
	buffer_load_dword v2, v4, s[0:3], 0 offen offset:4
	buffer_load_dword v3, v4, s[0:3], 0 offen offset:8
	;; [unrolled: 1-line block ×3, first 2 shown]
	s_waitcnt vmcnt(0)
	ds_write_b128 v5, v[1:4]
	s_waitcnt lgkmcnt(0)
	s_barrier
	buffer_gl0_inv
	v_cmpx_gt_u32_e32 24, v0
	s_cbranch_execz .LBB51_111
; %bb.108:
	v_mov_b32_e32 v1, 0
	v_mov_b32_e32 v3, 0
	v_add_nc_u32_e32 v7, -1, v0
	v_add_nc_u32_e32 v8, 0x340, v209
	v_mov_b32_e32 v2, 0
	v_mov_b32_e32 v4, 0
	v_add_nc_u32_e32 v9, 16, v209
	s_mov_b32 s5, 0
	.p2align	6
.LBB51_109:                             ; =>This Inner Loop Header: Depth=1
	s_clause 0x3
	buffer_load_dword v14, v9, s[0:3], 0 offen offset:8
	buffer_load_dword v15, v9, s[0:3], 0 offen offset:12
	buffer_load_dword v16, v9, s[0:3], 0 offen
	buffer_load_dword v17, v9, s[0:3], 0 offen offset:4
	ds_read_b128 v[10:13], v8
	v_add_nc_u32_e32 v7, 1, v7
	v_add_nc_u32_e32 v8, 16, v8
	;; [unrolled: 1-line block ×3, first 2 shown]
	v_cmp_lt_u32_e32 vcc_lo, 22, v7
	s_or_b32 s5, vcc_lo, s5
	s_waitcnt vmcnt(2) lgkmcnt(0)
	v_mul_f64 v[18:19], v[12:13], v[14:15]
	v_mul_f64 v[14:15], v[10:11], v[14:15]
	s_waitcnt vmcnt(0)
	v_fma_f64 v[10:11], v[10:11], v[16:17], -v[18:19]
	v_fma_f64 v[12:13], v[12:13], v[16:17], v[14:15]
	v_add_f64 v[3:4], v[3:4], v[10:11]
	v_add_f64 v[1:2], v[1:2], v[12:13]
	s_andn2_b32 exec_lo, exec_lo, s5
	s_cbranch_execnz .LBB51_109
; %bb.110:
	s_or_b32 exec_lo, exec_lo, s5
	v_mov_b32_e32 v7, 0
	ds_read_b128 v[7:10], v7 offset:384
	s_waitcnt lgkmcnt(0)
	v_mul_f64 v[11:12], v[1:2], v[9:10]
	v_mul_f64 v[9:10], v[3:4], v[9:10]
	v_fma_f64 v[3:4], v[3:4], v[7:8], -v[11:12]
	v_fma_f64 v[1:2], v[1:2], v[7:8], v[9:10]
	buffer_store_dword v4, off, s[0:3], 0 offset:404
	buffer_store_dword v3, off, s[0:3], 0 offset:400
	;; [unrolled: 1-line block ×4, first 2 shown]
.LBB51_111:
	s_or_b32 exec_lo, exec_lo, s4
	v_mov_b32_e32 v4, s39
	s_waitcnt_vscnt null, 0x0
	s_barrier
	buffer_gl0_inv
	s_mov_b32 s4, exec_lo
	s_clause 0x3
	buffer_load_dword v1, v4, s[0:3], 0 offen
	buffer_load_dword v2, v4, s[0:3], 0 offen offset:4
	buffer_load_dword v3, v4, s[0:3], 0 offen offset:8
	;; [unrolled: 1-line block ×3, first 2 shown]
	s_waitcnt vmcnt(0)
	ds_write_b128 v5, v[1:4]
	s_waitcnt lgkmcnt(0)
	s_barrier
	buffer_gl0_inv
	v_cmpx_gt_u32_e32 25, v0
	s_cbranch_execz .LBB51_115
; %bb.112:
	v_mov_b32_e32 v1, 0
	v_mov_b32_e32 v3, 0
	v_add_nc_u32_e32 v7, -1, v0
	v_add_nc_u32_e32 v8, 0x340, v209
	v_mov_b32_e32 v2, 0
	v_mov_b32_e32 v4, 0
	v_add_nc_u32_e32 v9, 16, v209
	s_mov_b32 s5, 0
	.p2align	6
.LBB51_113:                             ; =>This Inner Loop Header: Depth=1
	s_clause 0x3
	buffer_load_dword v14, v9, s[0:3], 0 offen offset:8
	buffer_load_dword v15, v9, s[0:3], 0 offen offset:12
	buffer_load_dword v16, v9, s[0:3], 0 offen
	buffer_load_dword v17, v9, s[0:3], 0 offen offset:4
	ds_read_b128 v[10:13], v8
	v_add_nc_u32_e32 v7, 1, v7
	v_add_nc_u32_e32 v8, 16, v8
	;; [unrolled: 1-line block ×3, first 2 shown]
	v_cmp_lt_u32_e32 vcc_lo, 23, v7
	s_or_b32 s5, vcc_lo, s5
	s_waitcnt vmcnt(2) lgkmcnt(0)
	v_mul_f64 v[18:19], v[12:13], v[14:15]
	v_mul_f64 v[14:15], v[10:11], v[14:15]
	s_waitcnt vmcnt(0)
	v_fma_f64 v[10:11], v[10:11], v[16:17], -v[18:19]
	v_fma_f64 v[12:13], v[12:13], v[16:17], v[14:15]
	v_add_f64 v[3:4], v[3:4], v[10:11]
	v_add_f64 v[1:2], v[1:2], v[12:13]
	s_andn2_b32 exec_lo, exec_lo, s5
	s_cbranch_execnz .LBB51_113
; %bb.114:
	s_or_b32 exec_lo, exec_lo, s5
	v_mov_b32_e32 v7, 0
	ds_read_b128 v[7:10], v7 offset:400
	s_waitcnt lgkmcnt(0)
	v_mul_f64 v[11:12], v[1:2], v[9:10]
	v_mul_f64 v[9:10], v[3:4], v[9:10]
	v_fma_f64 v[3:4], v[3:4], v[7:8], -v[11:12]
	v_fma_f64 v[1:2], v[1:2], v[7:8], v[9:10]
	buffer_store_dword v4, off, s[0:3], 0 offset:420
	buffer_store_dword v3, off, s[0:3], 0 offset:416
	;; [unrolled: 1-line block ×4, first 2 shown]
.LBB51_115:
	s_or_b32 exec_lo, exec_lo, s4
	v_mov_b32_e32 v4, s38
	s_waitcnt_vscnt null, 0x0
	s_barrier
	buffer_gl0_inv
	s_mov_b32 s4, exec_lo
	s_clause 0x3
	buffer_load_dword v1, v4, s[0:3], 0 offen
	buffer_load_dword v2, v4, s[0:3], 0 offen offset:4
	buffer_load_dword v3, v4, s[0:3], 0 offen offset:8
	;; [unrolled: 1-line block ×3, first 2 shown]
	s_waitcnt vmcnt(0)
	ds_write_b128 v5, v[1:4]
	s_waitcnt lgkmcnt(0)
	s_barrier
	buffer_gl0_inv
	v_cmpx_gt_u32_e32 26, v0
	s_cbranch_execz .LBB51_119
; %bb.116:
	v_mov_b32_e32 v1, 0
	v_mov_b32_e32 v3, 0
	v_add_nc_u32_e32 v7, -1, v0
	v_add_nc_u32_e32 v8, 0x340, v209
	v_mov_b32_e32 v2, 0
	v_mov_b32_e32 v4, 0
	v_add_nc_u32_e32 v9, 16, v209
	s_mov_b32 s5, 0
	.p2align	6
.LBB51_117:                             ; =>This Inner Loop Header: Depth=1
	s_clause 0x3
	buffer_load_dword v14, v9, s[0:3], 0 offen offset:8
	buffer_load_dword v15, v9, s[0:3], 0 offen offset:12
	buffer_load_dword v16, v9, s[0:3], 0 offen
	buffer_load_dword v17, v9, s[0:3], 0 offen offset:4
	ds_read_b128 v[10:13], v8
	v_add_nc_u32_e32 v7, 1, v7
	v_add_nc_u32_e32 v8, 16, v8
	;; [unrolled: 1-line block ×3, first 2 shown]
	v_cmp_lt_u32_e32 vcc_lo, 24, v7
	s_or_b32 s5, vcc_lo, s5
	s_waitcnt vmcnt(2) lgkmcnt(0)
	v_mul_f64 v[18:19], v[12:13], v[14:15]
	v_mul_f64 v[14:15], v[10:11], v[14:15]
	s_waitcnt vmcnt(0)
	v_fma_f64 v[10:11], v[10:11], v[16:17], -v[18:19]
	v_fma_f64 v[12:13], v[12:13], v[16:17], v[14:15]
	v_add_f64 v[3:4], v[3:4], v[10:11]
	v_add_f64 v[1:2], v[1:2], v[12:13]
	s_andn2_b32 exec_lo, exec_lo, s5
	s_cbranch_execnz .LBB51_117
; %bb.118:
	s_or_b32 exec_lo, exec_lo, s5
	v_mov_b32_e32 v7, 0
	ds_read_b128 v[7:10], v7 offset:416
	s_waitcnt lgkmcnt(0)
	v_mul_f64 v[11:12], v[1:2], v[9:10]
	v_mul_f64 v[9:10], v[3:4], v[9:10]
	v_fma_f64 v[3:4], v[3:4], v[7:8], -v[11:12]
	v_fma_f64 v[1:2], v[1:2], v[7:8], v[9:10]
	buffer_store_dword v4, off, s[0:3], 0 offset:436
	buffer_store_dword v3, off, s[0:3], 0 offset:432
	;; [unrolled: 1-line block ×4, first 2 shown]
.LBB51_119:
	s_or_b32 exec_lo, exec_lo, s4
	v_mov_b32_e32 v4, s37
	s_waitcnt_vscnt null, 0x0
	s_barrier
	buffer_gl0_inv
	s_mov_b32 s4, exec_lo
	s_clause 0x3
	buffer_load_dword v1, v4, s[0:3], 0 offen
	buffer_load_dword v2, v4, s[0:3], 0 offen offset:4
	buffer_load_dword v3, v4, s[0:3], 0 offen offset:8
	;; [unrolled: 1-line block ×3, first 2 shown]
	s_waitcnt vmcnt(0)
	ds_write_b128 v5, v[1:4]
	s_waitcnt lgkmcnt(0)
	s_barrier
	buffer_gl0_inv
	v_cmpx_gt_u32_e32 27, v0
	s_cbranch_execz .LBB51_123
; %bb.120:
	v_mov_b32_e32 v1, 0
	v_mov_b32_e32 v3, 0
	v_add_nc_u32_e32 v7, -1, v0
	v_add_nc_u32_e32 v8, 0x340, v209
	v_mov_b32_e32 v2, 0
	v_mov_b32_e32 v4, 0
	v_add_nc_u32_e32 v9, 16, v209
	s_mov_b32 s5, 0
	.p2align	6
.LBB51_121:                             ; =>This Inner Loop Header: Depth=1
	s_clause 0x3
	buffer_load_dword v14, v9, s[0:3], 0 offen offset:8
	buffer_load_dword v15, v9, s[0:3], 0 offen offset:12
	buffer_load_dword v16, v9, s[0:3], 0 offen
	buffer_load_dword v17, v9, s[0:3], 0 offen offset:4
	ds_read_b128 v[10:13], v8
	v_add_nc_u32_e32 v7, 1, v7
	v_add_nc_u32_e32 v8, 16, v8
	;; [unrolled: 1-line block ×3, first 2 shown]
	v_cmp_lt_u32_e32 vcc_lo, 25, v7
	s_or_b32 s5, vcc_lo, s5
	s_waitcnt vmcnt(2) lgkmcnt(0)
	v_mul_f64 v[18:19], v[12:13], v[14:15]
	v_mul_f64 v[14:15], v[10:11], v[14:15]
	s_waitcnt vmcnt(0)
	v_fma_f64 v[10:11], v[10:11], v[16:17], -v[18:19]
	v_fma_f64 v[12:13], v[12:13], v[16:17], v[14:15]
	v_add_f64 v[3:4], v[3:4], v[10:11]
	v_add_f64 v[1:2], v[1:2], v[12:13]
	s_andn2_b32 exec_lo, exec_lo, s5
	s_cbranch_execnz .LBB51_121
; %bb.122:
	s_or_b32 exec_lo, exec_lo, s5
	v_mov_b32_e32 v7, 0
	ds_read_b128 v[7:10], v7 offset:432
	s_waitcnt lgkmcnt(0)
	v_mul_f64 v[11:12], v[1:2], v[9:10]
	v_mul_f64 v[9:10], v[3:4], v[9:10]
	v_fma_f64 v[3:4], v[3:4], v[7:8], -v[11:12]
	v_fma_f64 v[1:2], v[1:2], v[7:8], v[9:10]
	buffer_store_dword v4, off, s[0:3], 0 offset:452
	buffer_store_dword v3, off, s[0:3], 0 offset:448
	;; [unrolled: 1-line block ×4, first 2 shown]
.LBB51_123:
	s_or_b32 exec_lo, exec_lo, s4
	v_mov_b32_e32 v4, s36
	s_waitcnt_vscnt null, 0x0
	s_barrier
	buffer_gl0_inv
	s_mov_b32 s4, exec_lo
	s_clause 0x3
	buffer_load_dword v1, v4, s[0:3], 0 offen
	buffer_load_dword v2, v4, s[0:3], 0 offen offset:4
	buffer_load_dword v3, v4, s[0:3], 0 offen offset:8
	buffer_load_dword v4, v4, s[0:3], 0 offen offset:12
	s_waitcnt vmcnt(0)
	ds_write_b128 v5, v[1:4]
	s_waitcnt lgkmcnt(0)
	s_barrier
	buffer_gl0_inv
	v_cmpx_gt_u32_e32 28, v0
	s_cbranch_execz .LBB51_127
; %bb.124:
	v_mov_b32_e32 v1, 0
	v_mov_b32_e32 v3, 0
	v_add_nc_u32_e32 v7, -1, v0
	v_add_nc_u32_e32 v8, 0x340, v209
	v_mov_b32_e32 v2, 0
	v_mov_b32_e32 v4, 0
	v_add_nc_u32_e32 v9, 16, v209
	s_mov_b32 s5, 0
	.p2align	6
.LBB51_125:                             ; =>This Inner Loop Header: Depth=1
	s_clause 0x3
	buffer_load_dword v14, v9, s[0:3], 0 offen offset:8
	buffer_load_dword v15, v9, s[0:3], 0 offen offset:12
	buffer_load_dword v16, v9, s[0:3], 0 offen
	buffer_load_dword v17, v9, s[0:3], 0 offen offset:4
	ds_read_b128 v[10:13], v8
	v_add_nc_u32_e32 v7, 1, v7
	v_add_nc_u32_e32 v8, 16, v8
	;; [unrolled: 1-line block ×3, first 2 shown]
	v_cmp_lt_u32_e32 vcc_lo, 26, v7
	s_or_b32 s5, vcc_lo, s5
	s_waitcnt vmcnt(2) lgkmcnt(0)
	v_mul_f64 v[18:19], v[12:13], v[14:15]
	v_mul_f64 v[14:15], v[10:11], v[14:15]
	s_waitcnt vmcnt(0)
	v_fma_f64 v[10:11], v[10:11], v[16:17], -v[18:19]
	v_fma_f64 v[12:13], v[12:13], v[16:17], v[14:15]
	v_add_f64 v[3:4], v[3:4], v[10:11]
	v_add_f64 v[1:2], v[1:2], v[12:13]
	s_andn2_b32 exec_lo, exec_lo, s5
	s_cbranch_execnz .LBB51_125
; %bb.126:
	s_or_b32 exec_lo, exec_lo, s5
	v_mov_b32_e32 v7, 0
	ds_read_b128 v[7:10], v7 offset:448
	s_waitcnt lgkmcnt(0)
	v_mul_f64 v[11:12], v[1:2], v[9:10]
	v_mul_f64 v[9:10], v[3:4], v[9:10]
	v_fma_f64 v[3:4], v[3:4], v[7:8], -v[11:12]
	v_fma_f64 v[1:2], v[1:2], v[7:8], v[9:10]
	buffer_store_dword v4, off, s[0:3], 0 offset:468
	buffer_store_dword v3, off, s[0:3], 0 offset:464
	;; [unrolled: 1-line block ×4, first 2 shown]
.LBB51_127:
	s_or_b32 exec_lo, exec_lo, s4
	v_mov_b32_e32 v4, s35
	s_waitcnt_vscnt null, 0x0
	s_barrier
	buffer_gl0_inv
	s_mov_b32 s4, exec_lo
	s_clause 0x3
	buffer_load_dword v1, v4, s[0:3], 0 offen
	buffer_load_dword v2, v4, s[0:3], 0 offen offset:4
	buffer_load_dword v3, v4, s[0:3], 0 offen offset:8
	;; [unrolled: 1-line block ×3, first 2 shown]
	s_waitcnt vmcnt(0)
	ds_write_b128 v5, v[1:4]
	s_waitcnt lgkmcnt(0)
	s_barrier
	buffer_gl0_inv
	v_cmpx_gt_u32_e32 29, v0
	s_cbranch_execz .LBB51_131
; %bb.128:
	v_mov_b32_e32 v1, 0
	v_mov_b32_e32 v3, 0
	v_add_nc_u32_e32 v7, -1, v0
	v_add_nc_u32_e32 v8, 0x340, v209
	v_mov_b32_e32 v2, 0
	v_mov_b32_e32 v4, 0
	v_add_nc_u32_e32 v9, 16, v209
	s_mov_b32 s5, 0
	.p2align	6
.LBB51_129:                             ; =>This Inner Loop Header: Depth=1
	s_clause 0x3
	buffer_load_dword v14, v9, s[0:3], 0 offen offset:8
	buffer_load_dword v15, v9, s[0:3], 0 offen offset:12
	buffer_load_dword v16, v9, s[0:3], 0 offen
	buffer_load_dword v17, v9, s[0:3], 0 offen offset:4
	ds_read_b128 v[10:13], v8
	v_add_nc_u32_e32 v7, 1, v7
	v_add_nc_u32_e32 v8, 16, v8
	;; [unrolled: 1-line block ×3, first 2 shown]
	v_cmp_lt_u32_e32 vcc_lo, 27, v7
	s_or_b32 s5, vcc_lo, s5
	s_waitcnt vmcnt(2) lgkmcnt(0)
	v_mul_f64 v[18:19], v[12:13], v[14:15]
	v_mul_f64 v[14:15], v[10:11], v[14:15]
	s_waitcnt vmcnt(0)
	v_fma_f64 v[10:11], v[10:11], v[16:17], -v[18:19]
	v_fma_f64 v[12:13], v[12:13], v[16:17], v[14:15]
	v_add_f64 v[3:4], v[3:4], v[10:11]
	v_add_f64 v[1:2], v[1:2], v[12:13]
	s_andn2_b32 exec_lo, exec_lo, s5
	s_cbranch_execnz .LBB51_129
; %bb.130:
	s_or_b32 exec_lo, exec_lo, s5
	v_mov_b32_e32 v7, 0
	ds_read_b128 v[7:10], v7 offset:464
	s_waitcnt lgkmcnt(0)
	v_mul_f64 v[11:12], v[1:2], v[9:10]
	v_mul_f64 v[9:10], v[3:4], v[9:10]
	v_fma_f64 v[3:4], v[3:4], v[7:8], -v[11:12]
	v_fma_f64 v[1:2], v[1:2], v[7:8], v[9:10]
	buffer_store_dword v4, off, s[0:3], 0 offset:484
	buffer_store_dword v3, off, s[0:3], 0 offset:480
	;; [unrolled: 1-line block ×4, first 2 shown]
.LBB51_131:
	s_or_b32 exec_lo, exec_lo, s4
	v_mov_b32_e32 v4, s34
	s_waitcnt_vscnt null, 0x0
	s_barrier
	buffer_gl0_inv
	s_mov_b32 s4, exec_lo
	s_clause 0x3
	buffer_load_dword v1, v4, s[0:3], 0 offen
	buffer_load_dword v2, v4, s[0:3], 0 offen offset:4
	buffer_load_dword v3, v4, s[0:3], 0 offen offset:8
	;; [unrolled: 1-line block ×3, first 2 shown]
	s_waitcnt vmcnt(0)
	ds_write_b128 v5, v[1:4]
	s_waitcnt lgkmcnt(0)
	s_barrier
	buffer_gl0_inv
	v_cmpx_gt_u32_e32 30, v0
	s_cbranch_execz .LBB51_135
; %bb.132:
	v_mov_b32_e32 v1, 0
	v_mov_b32_e32 v3, 0
	v_add_nc_u32_e32 v7, -1, v0
	v_add_nc_u32_e32 v8, 0x340, v209
	v_mov_b32_e32 v2, 0
	v_mov_b32_e32 v4, 0
	v_add_nc_u32_e32 v9, 16, v209
	s_mov_b32 s5, 0
	.p2align	6
.LBB51_133:                             ; =>This Inner Loop Header: Depth=1
	s_clause 0x3
	buffer_load_dword v14, v9, s[0:3], 0 offen offset:8
	buffer_load_dword v15, v9, s[0:3], 0 offen offset:12
	buffer_load_dword v16, v9, s[0:3], 0 offen
	buffer_load_dword v17, v9, s[0:3], 0 offen offset:4
	ds_read_b128 v[10:13], v8
	v_add_nc_u32_e32 v7, 1, v7
	v_add_nc_u32_e32 v8, 16, v8
	;; [unrolled: 1-line block ×3, first 2 shown]
	v_cmp_lt_u32_e32 vcc_lo, 28, v7
	s_or_b32 s5, vcc_lo, s5
	s_waitcnt vmcnt(2) lgkmcnt(0)
	v_mul_f64 v[18:19], v[12:13], v[14:15]
	v_mul_f64 v[14:15], v[10:11], v[14:15]
	s_waitcnt vmcnt(0)
	v_fma_f64 v[10:11], v[10:11], v[16:17], -v[18:19]
	v_fma_f64 v[12:13], v[12:13], v[16:17], v[14:15]
	v_add_f64 v[3:4], v[3:4], v[10:11]
	v_add_f64 v[1:2], v[1:2], v[12:13]
	s_andn2_b32 exec_lo, exec_lo, s5
	s_cbranch_execnz .LBB51_133
; %bb.134:
	s_or_b32 exec_lo, exec_lo, s5
	v_mov_b32_e32 v7, 0
	ds_read_b128 v[7:10], v7 offset:480
	s_waitcnt lgkmcnt(0)
	v_mul_f64 v[11:12], v[1:2], v[9:10]
	v_mul_f64 v[9:10], v[3:4], v[9:10]
	v_fma_f64 v[3:4], v[3:4], v[7:8], -v[11:12]
	v_fma_f64 v[1:2], v[1:2], v[7:8], v[9:10]
	buffer_store_dword v4, off, s[0:3], 0 offset:500
	buffer_store_dword v3, off, s[0:3], 0 offset:496
	;; [unrolled: 1-line block ×4, first 2 shown]
.LBB51_135:
	s_or_b32 exec_lo, exec_lo, s4
	v_mov_b32_e32 v4, s33
	s_waitcnt_vscnt null, 0x0
	s_barrier
	buffer_gl0_inv
	s_mov_b32 s4, exec_lo
	s_clause 0x3
	buffer_load_dword v1, v4, s[0:3], 0 offen
	buffer_load_dword v2, v4, s[0:3], 0 offen offset:4
	buffer_load_dword v3, v4, s[0:3], 0 offen offset:8
	;; [unrolled: 1-line block ×3, first 2 shown]
	s_waitcnt vmcnt(0)
	ds_write_b128 v5, v[1:4]
	s_waitcnt lgkmcnt(0)
	s_barrier
	buffer_gl0_inv
	v_cmpx_gt_u32_e32 31, v0
	s_cbranch_execz .LBB51_139
; %bb.136:
	v_mov_b32_e32 v1, 0
	v_mov_b32_e32 v3, 0
	v_add_nc_u32_e32 v7, -1, v0
	v_add_nc_u32_e32 v8, 0x340, v209
	v_mov_b32_e32 v2, 0
	v_mov_b32_e32 v4, 0
	v_add_nc_u32_e32 v9, 16, v209
	s_mov_b32 s5, 0
	.p2align	6
.LBB51_137:                             ; =>This Inner Loop Header: Depth=1
	s_clause 0x3
	buffer_load_dword v14, v9, s[0:3], 0 offen offset:8
	buffer_load_dword v15, v9, s[0:3], 0 offen offset:12
	buffer_load_dword v16, v9, s[0:3], 0 offen
	buffer_load_dword v17, v9, s[0:3], 0 offen offset:4
	ds_read_b128 v[10:13], v8
	v_add_nc_u32_e32 v7, 1, v7
	v_add_nc_u32_e32 v8, 16, v8
	v_add_nc_u32_e32 v9, 16, v9
	v_cmp_lt_u32_e32 vcc_lo, 29, v7
	s_or_b32 s5, vcc_lo, s5
	s_waitcnt vmcnt(2) lgkmcnt(0)
	v_mul_f64 v[18:19], v[12:13], v[14:15]
	v_mul_f64 v[14:15], v[10:11], v[14:15]
	s_waitcnt vmcnt(0)
	v_fma_f64 v[10:11], v[10:11], v[16:17], -v[18:19]
	v_fma_f64 v[12:13], v[12:13], v[16:17], v[14:15]
	v_add_f64 v[3:4], v[3:4], v[10:11]
	v_add_f64 v[1:2], v[1:2], v[12:13]
	s_andn2_b32 exec_lo, exec_lo, s5
	s_cbranch_execnz .LBB51_137
; %bb.138:
	s_or_b32 exec_lo, exec_lo, s5
	v_mov_b32_e32 v7, 0
	ds_read_b128 v[7:10], v7 offset:496
	s_waitcnt lgkmcnt(0)
	v_mul_f64 v[11:12], v[1:2], v[9:10]
	v_mul_f64 v[9:10], v[3:4], v[9:10]
	v_fma_f64 v[3:4], v[3:4], v[7:8], -v[11:12]
	v_fma_f64 v[1:2], v[1:2], v[7:8], v[9:10]
	buffer_store_dword v4, off, s[0:3], 0 offset:516
	buffer_store_dword v3, off, s[0:3], 0 offset:512
	;; [unrolled: 1-line block ×4, first 2 shown]
.LBB51_139:
	s_or_b32 exec_lo, exec_lo, s4
	v_mov_b32_e32 v4, s31
	s_waitcnt_vscnt null, 0x0
	s_barrier
	buffer_gl0_inv
	s_mov_b32 s4, exec_lo
	s_clause 0x3
	buffer_load_dword v1, v4, s[0:3], 0 offen
	buffer_load_dword v2, v4, s[0:3], 0 offen offset:4
	buffer_load_dword v3, v4, s[0:3], 0 offen offset:8
	;; [unrolled: 1-line block ×3, first 2 shown]
	s_waitcnt vmcnt(0)
	ds_write_b128 v5, v[1:4]
	s_waitcnt lgkmcnt(0)
	s_barrier
	buffer_gl0_inv
	v_cmpx_gt_u32_e32 32, v0
	s_cbranch_execz .LBB51_143
; %bb.140:
	v_mov_b32_e32 v1, 0
	v_mov_b32_e32 v3, 0
	v_add_nc_u32_e32 v7, -1, v0
	v_add_nc_u32_e32 v8, 0x340, v209
	v_mov_b32_e32 v2, 0
	v_mov_b32_e32 v4, 0
	v_add_nc_u32_e32 v9, 16, v209
	s_mov_b32 s5, 0
	.p2align	6
.LBB51_141:                             ; =>This Inner Loop Header: Depth=1
	s_clause 0x3
	buffer_load_dword v14, v9, s[0:3], 0 offen offset:8
	buffer_load_dword v15, v9, s[0:3], 0 offen offset:12
	buffer_load_dword v16, v9, s[0:3], 0 offen
	buffer_load_dword v17, v9, s[0:3], 0 offen offset:4
	ds_read_b128 v[10:13], v8
	v_add_nc_u32_e32 v7, 1, v7
	v_add_nc_u32_e32 v8, 16, v8
	;; [unrolled: 1-line block ×3, first 2 shown]
	v_cmp_lt_u32_e32 vcc_lo, 30, v7
	s_or_b32 s5, vcc_lo, s5
	s_waitcnt vmcnt(2) lgkmcnt(0)
	v_mul_f64 v[18:19], v[12:13], v[14:15]
	v_mul_f64 v[14:15], v[10:11], v[14:15]
	s_waitcnt vmcnt(0)
	v_fma_f64 v[10:11], v[10:11], v[16:17], -v[18:19]
	v_fma_f64 v[12:13], v[12:13], v[16:17], v[14:15]
	v_add_f64 v[3:4], v[3:4], v[10:11]
	v_add_f64 v[1:2], v[1:2], v[12:13]
	s_andn2_b32 exec_lo, exec_lo, s5
	s_cbranch_execnz .LBB51_141
; %bb.142:
	s_or_b32 exec_lo, exec_lo, s5
	v_mov_b32_e32 v7, 0
	ds_read_b128 v[7:10], v7 offset:512
	s_waitcnt lgkmcnt(0)
	v_mul_f64 v[11:12], v[1:2], v[9:10]
	v_mul_f64 v[9:10], v[3:4], v[9:10]
	v_fma_f64 v[3:4], v[3:4], v[7:8], -v[11:12]
	v_fma_f64 v[1:2], v[1:2], v[7:8], v[9:10]
	buffer_store_dword v4, off, s[0:3], 0 offset:532
	buffer_store_dword v3, off, s[0:3], 0 offset:528
	;; [unrolled: 1-line block ×4, first 2 shown]
.LBB51_143:
	s_or_b32 exec_lo, exec_lo, s4
	v_mov_b32_e32 v4, s30
	s_waitcnt_vscnt null, 0x0
	s_barrier
	buffer_gl0_inv
	s_mov_b32 s4, exec_lo
	s_clause 0x3
	buffer_load_dword v1, v4, s[0:3], 0 offen
	buffer_load_dword v2, v4, s[0:3], 0 offen offset:4
	buffer_load_dword v3, v4, s[0:3], 0 offen offset:8
	;; [unrolled: 1-line block ×3, first 2 shown]
	s_waitcnt vmcnt(0)
	ds_write_b128 v5, v[1:4]
	s_waitcnt lgkmcnt(0)
	s_barrier
	buffer_gl0_inv
	v_cmpx_gt_u32_e32 33, v0
	s_cbranch_execz .LBB51_147
; %bb.144:
	v_mov_b32_e32 v1, 0
	v_mov_b32_e32 v3, 0
	v_add_nc_u32_e32 v7, -1, v0
	v_add_nc_u32_e32 v8, 0x340, v209
	v_mov_b32_e32 v2, 0
	v_mov_b32_e32 v4, 0
	v_add_nc_u32_e32 v9, 16, v209
	s_mov_b32 s5, 0
	.p2align	6
.LBB51_145:                             ; =>This Inner Loop Header: Depth=1
	s_clause 0x3
	buffer_load_dword v14, v9, s[0:3], 0 offen offset:8
	buffer_load_dword v15, v9, s[0:3], 0 offen offset:12
	buffer_load_dword v16, v9, s[0:3], 0 offen
	buffer_load_dword v17, v9, s[0:3], 0 offen offset:4
	ds_read_b128 v[10:13], v8
	v_add_nc_u32_e32 v7, 1, v7
	v_add_nc_u32_e32 v8, 16, v8
	;; [unrolled: 1-line block ×3, first 2 shown]
	v_cmp_lt_u32_e32 vcc_lo, 31, v7
	s_or_b32 s5, vcc_lo, s5
	s_waitcnt vmcnt(2) lgkmcnt(0)
	v_mul_f64 v[18:19], v[12:13], v[14:15]
	v_mul_f64 v[14:15], v[10:11], v[14:15]
	s_waitcnt vmcnt(0)
	v_fma_f64 v[10:11], v[10:11], v[16:17], -v[18:19]
	v_fma_f64 v[12:13], v[12:13], v[16:17], v[14:15]
	v_add_f64 v[3:4], v[3:4], v[10:11]
	v_add_f64 v[1:2], v[1:2], v[12:13]
	s_andn2_b32 exec_lo, exec_lo, s5
	s_cbranch_execnz .LBB51_145
; %bb.146:
	s_or_b32 exec_lo, exec_lo, s5
	v_mov_b32_e32 v7, 0
	ds_read_b128 v[7:10], v7 offset:528
	s_waitcnt lgkmcnt(0)
	v_mul_f64 v[11:12], v[1:2], v[9:10]
	v_mul_f64 v[9:10], v[3:4], v[9:10]
	v_fma_f64 v[3:4], v[3:4], v[7:8], -v[11:12]
	v_fma_f64 v[1:2], v[1:2], v[7:8], v[9:10]
	buffer_store_dword v4, off, s[0:3], 0 offset:548
	buffer_store_dword v3, off, s[0:3], 0 offset:544
	;; [unrolled: 1-line block ×4, first 2 shown]
.LBB51_147:
	s_or_b32 exec_lo, exec_lo, s4
	v_mov_b32_e32 v4, s29
	s_waitcnt_vscnt null, 0x0
	s_barrier
	buffer_gl0_inv
	s_mov_b32 s4, exec_lo
	s_clause 0x3
	buffer_load_dword v1, v4, s[0:3], 0 offen
	buffer_load_dword v2, v4, s[0:3], 0 offen offset:4
	buffer_load_dword v3, v4, s[0:3], 0 offen offset:8
	;; [unrolled: 1-line block ×3, first 2 shown]
	s_waitcnt vmcnt(0)
	ds_write_b128 v5, v[1:4]
	s_waitcnt lgkmcnt(0)
	s_barrier
	buffer_gl0_inv
	v_cmpx_gt_u32_e32 34, v0
	s_cbranch_execz .LBB51_151
; %bb.148:
	v_mov_b32_e32 v1, 0
	v_mov_b32_e32 v3, 0
	v_add_nc_u32_e32 v7, -1, v0
	v_add_nc_u32_e32 v8, 0x340, v209
	v_mov_b32_e32 v2, 0
	v_mov_b32_e32 v4, 0
	v_add_nc_u32_e32 v9, 16, v209
	s_mov_b32 s5, 0
	.p2align	6
.LBB51_149:                             ; =>This Inner Loop Header: Depth=1
	s_clause 0x3
	buffer_load_dword v14, v9, s[0:3], 0 offen offset:8
	buffer_load_dword v15, v9, s[0:3], 0 offen offset:12
	buffer_load_dword v16, v9, s[0:3], 0 offen
	buffer_load_dword v17, v9, s[0:3], 0 offen offset:4
	ds_read_b128 v[10:13], v8
	v_add_nc_u32_e32 v7, 1, v7
	v_add_nc_u32_e32 v8, 16, v8
	;; [unrolled: 1-line block ×3, first 2 shown]
	v_cmp_lt_u32_e32 vcc_lo, 32, v7
	s_or_b32 s5, vcc_lo, s5
	s_waitcnt vmcnt(2) lgkmcnt(0)
	v_mul_f64 v[18:19], v[12:13], v[14:15]
	v_mul_f64 v[14:15], v[10:11], v[14:15]
	s_waitcnt vmcnt(0)
	v_fma_f64 v[10:11], v[10:11], v[16:17], -v[18:19]
	v_fma_f64 v[12:13], v[12:13], v[16:17], v[14:15]
	v_add_f64 v[3:4], v[3:4], v[10:11]
	v_add_f64 v[1:2], v[1:2], v[12:13]
	s_andn2_b32 exec_lo, exec_lo, s5
	s_cbranch_execnz .LBB51_149
; %bb.150:
	s_or_b32 exec_lo, exec_lo, s5
	v_mov_b32_e32 v7, 0
	ds_read_b128 v[7:10], v7 offset:544
	s_waitcnt lgkmcnt(0)
	v_mul_f64 v[11:12], v[1:2], v[9:10]
	v_mul_f64 v[9:10], v[3:4], v[9:10]
	v_fma_f64 v[3:4], v[3:4], v[7:8], -v[11:12]
	v_fma_f64 v[1:2], v[1:2], v[7:8], v[9:10]
	buffer_store_dword v4, off, s[0:3], 0 offset:564
	buffer_store_dword v3, off, s[0:3], 0 offset:560
	;; [unrolled: 1-line block ×4, first 2 shown]
.LBB51_151:
	s_or_b32 exec_lo, exec_lo, s4
	v_mov_b32_e32 v4, s28
	s_waitcnt_vscnt null, 0x0
	s_barrier
	buffer_gl0_inv
	s_mov_b32 s4, exec_lo
	s_clause 0x3
	buffer_load_dword v1, v4, s[0:3], 0 offen
	buffer_load_dword v2, v4, s[0:3], 0 offen offset:4
	buffer_load_dword v3, v4, s[0:3], 0 offen offset:8
	buffer_load_dword v4, v4, s[0:3], 0 offen offset:12
	s_waitcnt vmcnt(0)
	ds_write_b128 v5, v[1:4]
	s_waitcnt lgkmcnt(0)
	s_barrier
	buffer_gl0_inv
	v_cmpx_gt_u32_e32 35, v0
	s_cbranch_execz .LBB51_155
; %bb.152:
	v_mov_b32_e32 v1, 0
	v_mov_b32_e32 v3, 0
	v_add_nc_u32_e32 v7, -1, v0
	v_add_nc_u32_e32 v8, 0x340, v209
	v_mov_b32_e32 v2, 0
	v_mov_b32_e32 v4, 0
	v_add_nc_u32_e32 v9, 16, v209
	s_mov_b32 s5, 0
	.p2align	6
.LBB51_153:                             ; =>This Inner Loop Header: Depth=1
	s_clause 0x3
	buffer_load_dword v14, v9, s[0:3], 0 offen offset:8
	buffer_load_dword v15, v9, s[0:3], 0 offen offset:12
	buffer_load_dword v16, v9, s[0:3], 0 offen
	buffer_load_dword v17, v9, s[0:3], 0 offen offset:4
	ds_read_b128 v[10:13], v8
	v_add_nc_u32_e32 v7, 1, v7
	v_add_nc_u32_e32 v8, 16, v8
	;; [unrolled: 1-line block ×3, first 2 shown]
	v_cmp_lt_u32_e32 vcc_lo, 33, v7
	s_or_b32 s5, vcc_lo, s5
	s_waitcnt vmcnt(2) lgkmcnt(0)
	v_mul_f64 v[18:19], v[12:13], v[14:15]
	v_mul_f64 v[14:15], v[10:11], v[14:15]
	s_waitcnt vmcnt(0)
	v_fma_f64 v[10:11], v[10:11], v[16:17], -v[18:19]
	v_fma_f64 v[12:13], v[12:13], v[16:17], v[14:15]
	v_add_f64 v[3:4], v[3:4], v[10:11]
	v_add_f64 v[1:2], v[1:2], v[12:13]
	s_andn2_b32 exec_lo, exec_lo, s5
	s_cbranch_execnz .LBB51_153
; %bb.154:
	s_or_b32 exec_lo, exec_lo, s5
	v_mov_b32_e32 v7, 0
	ds_read_b128 v[7:10], v7 offset:560
	s_waitcnt lgkmcnt(0)
	v_mul_f64 v[11:12], v[1:2], v[9:10]
	v_mul_f64 v[9:10], v[3:4], v[9:10]
	v_fma_f64 v[3:4], v[3:4], v[7:8], -v[11:12]
	v_fma_f64 v[1:2], v[1:2], v[7:8], v[9:10]
	buffer_store_dword v4, off, s[0:3], 0 offset:580
	buffer_store_dword v3, off, s[0:3], 0 offset:576
	;; [unrolled: 1-line block ×4, first 2 shown]
.LBB51_155:
	s_or_b32 exec_lo, exec_lo, s4
	v_mov_b32_e32 v4, s27
	s_waitcnt_vscnt null, 0x0
	s_barrier
	buffer_gl0_inv
	s_mov_b32 s4, exec_lo
	s_clause 0x3
	buffer_load_dword v1, v4, s[0:3], 0 offen
	buffer_load_dword v2, v4, s[0:3], 0 offen offset:4
	buffer_load_dword v3, v4, s[0:3], 0 offen offset:8
	;; [unrolled: 1-line block ×3, first 2 shown]
	s_waitcnt vmcnt(0)
	ds_write_b128 v5, v[1:4]
	s_waitcnt lgkmcnt(0)
	s_barrier
	buffer_gl0_inv
	v_cmpx_gt_u32_e32 36, v0
	s_cbranch_execz .LBB51_159
; %bb.156:
	v_mov_b32_e32 v1, 0
	v_mov_b32_e32 v3, 0
	v_add_nc_u32_e32 v7, -1, v0
	v_add_nc_u32_e32 v8, 0x340, v209
	v_mov_b32_e32 v2, 0
	v_mov_b32_e32 v4, 0
	v_add_nc_u32_e32 v9, 16, v209
	s_mov_b32 s5, 0
	.p2align	6
.LBB51_157:                             ; =>This Inner Loop Header: Depth=1
	s_clause 0x3
	buffer_load_dword v14, v9, s[0:3], 0 offen offset:8
	buffer_load_dword v15, v9, s[0:3], 0 offen offset:12
	buffer_load_dword v16, v9, s[0:3], 0 offen
	buffer_load_dword v17, v9, s[0:3], 0 offen offset:4
	ds_read_b128 v[10:13], v8
	v_add_nc_u32_e32 v7, 1, v7
	v_add_nc_u32_e32 v8, 16, v8
	;; [unrolled: 1-line block ×3, first 2 shown]
	v_cmp_lt_u32_e32 vcc_lo, 34, v7
	s_or_b32 s5, vcc_lo, s5
	s_waitcnt vmcnt(2) lgkmcnt(0)
	v_mul_f64 v[18:19], v[12:13], v[14:15]
	v_mul_f64 v[14:15], v[10:11], v[14:15]
	s_waitcnt vmcnt(0)
	v_fma_f64 v[10:11], v[10:11], v[16:17], -v[18:19]
	v_fma_f64 v[12:13], v[12:13], v[16:17], v[14:15]
	v_add_f64 v[3:4], v[3:4], v[10:11]
	v_add_f64 v[1:2], v[1:2], v[12:13]
	s_andn2_b32 exec_lo, exec_lo, s5
	s_cbranch_execnz .LBB51_157
; %bb.158:
	s_or_b32 exec_lo, exec_lo, s5
	v_mov_b32_e32 v7, 0
	ds_read_b128 v[7:10], v7 offset:576
	s_waitcnt lgkmcnt(0)
	v_mul_f64 v[11:12], v[1:2], v[9:10]
	v_mul_f64 v[9:10], v[3:4], v[9:10]
	v_fma_f64 v[3:4], v[3:4], v[7:8], -v[11:12]
	v_fma_f64 v[1:2], v[1:2], v[7:8], v[9:10]
	buffer_store_dword v4, off, s[0:3], 0 offset:596
	buffer_store_dword v3, off, s[0:3], 0 offset:592
	;; [unrolled: 1-line block ×4, first 2 shown]
.LBB51_159:
	s_or_b32 exec_lo, exec_lo, s4
	v_mov_b32_e32 v4, s26
	s_waitcnt_vscnt null, 0x0
	s_barrier
	buffer_gl0_inv
	s_mov_b32 s4, exec_lo
	s_clause 0x3
	buffer_load_dword v1, v4, s[0:3], 0 offen
	buffer_load_dword v2, v4, s[0:3], 0 offen offset:4
	buffer_load_dword v3, v4, s[0:3], 0 offen offset:8
	;; [unrolled: 1-line block ×3, first 2 shown]
	s_waitcnt vmcnt(0)
	ds_write_b128 v5, v[1:4]
	s_waitcnt lgkmcnt(0)
	s_barrier
	buffer_gl0_inv
	v_cmpx_gt_u32_e32 37, v0
	s_cbranch_execz .LBB51_163
; %bb.160:
	v_mov_b32_e32 v1, 0
	v_mov_b32_e32 v3, 0
	v_add_nc_u32_e32 v7, -1, v0
	v_add_nc_u32_e32 v8, 0x340, v209
	v_mov_b32_e32 v2, 0
	v_mov_b32_e32 v4, 0
	v_add_nc_u32_e32 v9, 16, v209
	s_mov_b32 s5, 0
	.p2align	6
.LBB51_161:                             ; =>This Inner Loop Header: Depth=1
	s_clause 0x3
	buffer_load_dword v14, v9, s[0:3], 0 offen offset:8
	buffer_load_dword v15, v9, s[0:3], 0 offen offset:12
	buffer_load_dword v16, v9, s[0:3], 0 offen
	buffer_load_dword v17, v9, s[0:3], 0 offen offset:4
	ds_read_b128 v[10:13], v8
	v_add_nc_u32_e32 v7, 1, v7
	v_add_nc_u32_e32 v8, 16, v8
	v_add_nc_u32_e32 v9, 16, v9
	v_cmp_lt_u32_e32 vcc_lo, 35, v7
	s_or_b32 s5, vcc_lo, s5
	s_waitcnt vmcnt(2) lgkmcnt(0)
	v_mul_f64 v[18:19], v[12:13], v[14:15]
	v_mul_f64 v[14:15], v[10:11], v[14:15]
	s_waitcnt vmcnt(0)
	v_fma_f64 v[10:11], v[10:11], v[16:17], -v[18:19]
	v_fma_f64 v[12:13], v[12:13], v[16:17], v[14:15]
	v_add_f64 v[3:4], v[3:4], v[10:11]
	v_add_f64 v[1:2], v[1:2], v[12:13]
	s_andn2_b32 exec_lo, exec_lo, s5
	s_cbranch_execnz .LBB51_161
; %bb.162:
	s_or_b32 exec_lo, exec_lo, s5
	v_mov_b32_e32 v7, 0
	ds_read_b128 v[7:10], v7 offset:592
	s_waitcnt lgkmcnt(0)
	v_mul_f64 v[11:12], v[1:2], v[9:10]
	v_mul_f64 v[9:10], v[3:4], v[9:10]
	v_fma_f64 v[3:4], v[3:4], v[7:8], -v[11:12]
	v_fma_f64 v[1:2], v[1:2], v[7:8], v[9:10]
	buffer_store_dword v4, off, s[0:3], 0 offset:612
	buffer_store_dword v3, off, s[0:3], 0 offset:608
	;; [unrolled: 1-line block ×4, first 2 shown]
.LBB51_163:
	s_or_b32 exec_lo, exec_lo, s4
	v_mov_b32_e32 v4, s25
	s_waitcnt_vscnt null, 0x0
	s_barrier
	buffer_gl0_inv
	s_mov_b32 s4, exec_lo
	s_clause 0x3
	buffer_load_dword v1, v4, s[0:3], 0 offen
	buffer_load_dword v2, v4, s[0:3], 0 offen offset:4
	buffer_load_dword v3, v4, s[0:3], 0 offen offset:8
	;; [unrolled: 1-line block ×3, first 2 shown]
	s_waitcnt vmcnt(0)
	ds_write_b128 v5, v[1:4]
	s_waitcnt lgkmcnt(0)
	s_barrier
	buffer_gl0_inv
	v_cmpx_gt_u32_e32 38, v0
	s_cbranch_execz .LBB51_167
; %bb.164:
	v_mov_b32_e32 v1, 0
	v_mov_b32_e32 v3, 0
	v_add_nc_u32_e32 v7, -1, v0
	v_add_nc_u32_e32 v8, 0x340, v209
	v_mov_b32_e32 v2, 0
	v_mov_b32_e32 v4, 0
	v_add_nc_u32_e32 v9, 16, v209
	s_mov_b32 s5, 0
	.p2align	6
.LBB51_165:                             ; =>This Inner Loop Header: Depth=1
	s_clause 0x3
	buffer_load_dword v14, v9, s[0:3], 0 offen offset:8
	buffer_load_dword v15, v9, s[0:3], 0 offen offset:12
	buffer_load_dword v16, v9, s[0:3], 0 offen
	buffer_load_dword v17, v9, s[0:3], 0 offen offset:4
	ds_read_b128 v[10:13], v8
	v_add_nc_u32_e32 v7, 1, v7
	v_add_nc_u32_e32 v8, 16, v8
	v_add_nc_u32_e32 v9, 16, v9
	v_cmp_lt_u32_e32 vcc_lo, 36, v7
	s_or_b32 s5, vcc_lo, s5
	s_waitcnt vmcnt(2) lgkmcnt(0)
	v_mul_f64 v[18:19], v[12:13], v[14:15]
	v_mul_f64 v[14:15], v[10:11], v[14:15]
	s_waitcnt vmcnt(0)
	v_fma_f64 v[10:11], v[10:11], v[16:17], -v[18:19]
	v_fma_f64 v[12:13], v[12:13], v[16:17], v[14:15]
	v_add_f64 v[3:4], v[3:4], v[10:11]
	v_add_f64 v[1:2], v[1:2], v[12:13]
	s_andn2_b32 exec_lo, exec_lo, s5
	s_cbranch_execnz .LBB51_165
; %bb.166:
	s_or_b32 exec_lo, exec_lo, s5
	v_mov_b32_e32 v7, 0
	ds_read_b128 v[7:10], v7 offset:608
	s_waitcnt lgkmcnt(0)
	v_mul_f64 v[11:12], v[1:2], v[9:10]
	v_mul_f64 v[9:10], v[3:4], v[9:10]
	v_fma_f64 v[3:4], v[3:4], v[7:8], -v[11:12]
	v_fma_f64 v[1:2], v[1:2], v[7:8], v[9:10]
	buffer_store_dword v4, off, s[0:3], 0 offset:628
	buffer_store_dword v3, off, s[0:3], 0 offset:624
	;; [unrolled: 1-line block ×4, first 2 shown]
.LBB51_167:
	s_or_b32 exec_lo, exec_lo, s4
	v_mov_b32_e32 v4, s24
	s_waitcnt_vscnt null, 0x0
	s_barrier
	buffer_gl0_inv
	s_mov_b32 s4, exec_lo
	s_clause 0x3
	buffer_load_dword v1, v4, s[0:3], 0 offen
	buffer_load_dword v2, v4, s[0:3], 0 offen offset:4
	buffer_load_dword v3, v4, s[0:3], 0 offen offset:8
	;; [unrolled: 1-line block ×3, first 2 shown]
	s_waitcnt vmcnt(0)
	ds_write_b128 v5, v[1:4]
	s_waitcnt lgkmcnt(0)
	s_barrier
	buffer_gl0_inv
	v_cmpx_gt_u32_e32 39, v0
	s_cbranch_execz .LBB51_171
; %bb.168:
	v_mov_b32_e32 v1, 0
	v_mov_b32_e32 v3, 0
	v_add_nc_u32_e32 v7, -1, v0
	v_add_nc_u32_e32 v8, 0x340, v209
	v_mov_b32_e32 v2, 0
	v_mov_b32_e32 v4, 0
	v_add_nc_u32_e32 v9, 16, v209
	s_mov_b32 s5, 0
	.p2align	6
.LBB51_169:                             ; =>This Inner Loop Header: Depth=1
	s_clause 0x3
	buffer_load_dword v14, v9, s[0:3], 0 offen offset:8
	buffer_load_dword v15, v9, s[0:3], 0 offen offset:12
	buffer_load_dword v16, v9, s[0:3], 0 offen
	buffer_load_dword v17, v9, s[0:3], 0 offen offset:4
	ds_read_b128 v[10:13], v8
	v_add_nc_u32_e32 v7, 1, v7
	v_add_nc_u32_e32 v8, 16, v8
	;; [unrolled: 1-line block ×3, first 2 shown]
	v_cmp_lt_u32_e32 vcc_lo, 37, v7
	s_or_b32 s5, vcc_lo, s5
	s_waitcnt vmcnt(2) lgkmcnt(0)
	v_mul_f64 v[18:19], v[12:13], v[14:15]
	v_mul_f64 v[14:15], v[10:11], v[14:15]
	s_waitcnt vmcnt(0)
	v_fma_f64 v[10:11], v[10:11], v[16:17], -v[18:19]
	v_fma_f64 v[12:13], v[12:13], v[16:17], v[14:15]
	v_add_f64 v[3:4], v[3:4], v[10:11]
	v_add_f64 v[1:2], v[1:2], v[12:13]
	s_andn2_b32 exec_lo, exec_lo, s5
	s_cbranch_execnz .LBB51_169
; %bb.170:
	s_or_b32 exec_lo, exec_lo, s5
	v_mov_b32_e32 v7, 0
	ds_read_b128 v[7:10], v7 offset:624
	s_waitcnt lgkmcnt(0)
	v_mul_f64 v[11:12], v[1:2], v[9:10]
	v_mul_f64 v[9:10], v[3:4], v[9:10]
	v_fma_f64 v[3:4], v[3:4], v[7:8], -v[11:12]
	v_fma_f64 v[1:2], v[1:2], v[7:8], v[9:10]
	buffer_store_dword v4, off, s[0:3], 0 offset:644
	buffer_store_dword v3, off, s[0:3], 0 offset:640
	;; [unrolled: 1-line block ×4, first 2 shown]
.LBB51_171:
	s_or_b32 exec_lo, exec_lo, s4
	v_mov_b32_e32 v4, s23
	s_waitcnt_vscnt null, 0x0
	s_barrier
	buffer_gl0_inv
	s_mov_b32 s4, exec_lo
	s_clause 0x3
	buffer_load_dword v1, v4, s[0:3], 0 offen
	buffer_load_dword v2, v4, s[0:3], 0 offen offset:4
	buffer_load_dword v3, v4, s[0:3], 0 offen offset:8
	;; [unrolled: 1-line block ×3, first 2 shown]
	s_waitcnt vmcnt(0)
	ds_write_b128 v5, v[1:4]
	s_waitcnt lgkmcnt(0)
	s_barrier
	buffer_gl0_inv
	v_cmpx_gt_u32_e32 40, v0
	s_cbranch_execz .LBB51_175
; %bb.172:
	v_mov_b32_e32 v1, 0
	v_mov_b32_e32 v3, 0
	v_add_nc_u32_e32 v7, -1, v0
	v_add_nc_u32_e32 v8, 0x340, v209
	v_mov_b32_e32 v2, 0
	v_mov_b32_e32 v4, 0
	v_add_nc_u32_e32 v9, 16, v209
	s_mov_b32 s5, 0
	.p2align	6
.LBB51_173:                             ; =>This Inner Loop Header: Depth=1
	s_clause 0x3
	buffer_load_dword v14, v9, s[0:3], 0 offen offset:8
	buffer_load_dword v15, v9, s[0:3], 0 offen offset:12
	buffer_load_dword v16, v9, s[0:3], 0 offen
	buffer_load_dword v17, v9, s[0:3], 0 offen offset:4
	ds_read_b128 v[10:13], v8
	v_add_nc_u32_e32 v7, 1, v7
	v_add_nc_u32_e32 v8, 16, v8
	;; [unrolled: 1-line block ×3, first 2 shown]
	v_cmp_lt_u32_e32 vcc_lo, 38, v7
	s_or_b32 s5, vcc_lo, s5
	s_waitcnt vmcnt(2) lgkmcnt(0)
	v_mul_f64 v[18:19], v[12:13], v[14:15]
	v_mul_f64 v[14:15], v[10:11], v[14:15]
	s_waitcnt vmcnt(0)
	v_fma_f64 v[10:11], v[10:11], v[16:17], -v[18:19]
	v_fma_f64 v[12:13], v[12:13], v[16:17], v[14:15]
	v_add_f64 v[3:4], v[3:4], v[10:11]
	v_add_f64 v[1:2], v[1:2], v[12:13]
	s_andn2_b32 exec_lo, exec_lo, s5
	s_cbranch_execnz .LBB51_173
; %bb.174:
	s_or_b32 exec_lo, exec_lo, s5
	v_mov_b32_e32 v7, 0
	ds_read_b128 v[7:10], v7 offset:640
	s_waitcnt lgkmcnt(0)
	v_mul_f64 v[11:12], v[1:2], v[9:10]
	v_mul_f64 v[9:10], v[3:4], v[9:10]
	v_fma_f64 v[3:4], v[3:4], v[7:8], -v[11:12]
	v_fma_f64 v[1:2], v[1:2], v[7:8], v[9:10]
	buffer_store_dword v4, off, s[0:3], 0 offset:660
	buffer_store_dword v3, off, s[0:3], 0 offset:656
	;; [unrolled: 1-line block ×4, first 2 shown]
.LBB51_175:
	s_or_b32 exec_lo, exec_lo, s4
	v_mov_b32_e32 v4, s22
	s_waitcnt_vscnt null, 0x0
	s_barrier
	buffer_gl0_inv
	s_mov_b32 s4, exec_lo
	s_clause 0x3
	buffer_load_dword v1, v4, s[0:3], 0 offen
	buffer_load_dword v2, v4, s[0:3], 0 offen offset:4
	buffer_load_dword v3, v4, s[0:3], 0 offen offset:8
	;; [unrolled: 1-line block ×3, first 2 shown]
	s_waitcnt vmcnt(0)
	ds_write_b128 v5, v[1:4]
	s_waitcnt lgkmcnt(0)
	s_barrier
	buffer_gl0_inv
	v_cmpx_gt_u32_e32 41, v0
	s_cbranch_execz .LBB51_179
; %bb.176:
	v_mov_b32_e32 v1, 0
	v_mov_b32_e32 v3, 0
	v_add_nc_u32_e32 v7, -1, v0
	v_add_nc_u32_e32 v8, 0x340, v209
	v_mov_b32_e32 v2, 0
	v_mov_b32_e32 v4, 0
	v_add_nc_u32_e32 v9, 16, v209
	s_mov_b32 s5, 0
	.p2align	6
.LBB51_177:                             ; =>This Inner Loop Header: Depth=1
	s_clause 0x3
	buffer_load_dword v14, v9, s[0:3], 0 offen offset:8
	buffer_load_dword v15, v9, s[0:3], 0 offen offset:12
	buffer_load_dword v16, v9, s[0:3], 0 offen
	buffer_load_dword v17, v9, s[0:3], 0 offen offset:4
	ds_read_b128 v[10:13], v8
	v_add_nc_u32_e32 v7, 1, v7
	v_add_nc_u32_e32 v8, 16, v8
	;; [unrolled: 1-line block ×3, first 2 shown]
	v_cmp_lt_u32_e32 vcc_lo, 39, v7
	s_or_b32 s5, vcc_lo, s5
	s_waitcnt vmcnt(2) lgkmcnt(0)
	v_mul_f64 v[18:19], v[12:13], v[14:15]
	v_mul_f64 v[14:15], v[10:11], v[14:15]
	s_waitcnt vmcnt(0)
	v_fma_f64 v[10:11], v[10:11], v[16:17], -v[18:19]
	v_fma_f64 v[12:13], v[12:13], v[16:17], v[14:15]
	v_add_f64 v[3:4], v[3:4], v[10:11]
	v_add_f64 v[1:2], v[1:2], v[12:13]
	s_andn2_b32 exec_lo, exec_lo, s5
	s_cbranch_execnz .LBB51_177
; %bb.178:
	s_or_b32 exec_lo, exec_lo, s5
	v_mov_b32_e32 v7, 0
	ds_read_b128 v[7:10], v7 offset:656
	s_waitcnt lgkmcnt(0)
	v_mul_f64 v[11:12], v[1:2], v[9:10]
	v_mul_f64 v[9:10], v[3:4], v[9:10]
	v_fma_f64 v[3:4], v[3:4], v[7:8], -v[11:12]
	v_fma_f64 v[1:2], v[1:2], v[7:8], v[9:10]
	buffer_store_dword v4, off, s[0:3], 0 offset:676
	buffer_store_dword v3, off, s[0:3], 0 offset:672
	;; [unrolled: 1-line block ×4, first 2 shown]
.LBB51_179:
	s_or_b32 exec_lo, exec_lo, s4
	v_mov_b32_e32 v4, s19
	s_waitcnt_vscnt null, 0x0
	s_barrier
	buffer_gl0_inv
	s_mov_b32 s4, exec_lo
	s_clause 0x3
	buffer_load_dword v1, v4, s[0:3], 0 offen
	buffer_load_dword v2, v4, s[0:3], 0 offen offset:4
	buffer_load_dword v3, v4, s[0:3], 0 offen offset:8
	;; [unrolled: 1-line block ×3, first 2 shown]
	s_waitcnt vmcnt(0)
	ds_write_b128 v5, v[1:4]
	s_waitcnt lgkmcnt(0)
	s_barrier
	buffer_gl0_inv
	v_cmpx_gt_u32_e32 42, v0
	s_cbranch_execz .LBB51_183
; %bb.180:
	v_mov_b32_e32 v1, 0
	v_mov_b32_e32 v3, 0
	v_add_nc_u32_e32 v7, -1, v0
	v_add_nc_u32_e32 v8, 0x340, v209
	v_mov_b32_e32 v2, 0
	v_mov_b32_e32 v4, 0
	v_add_nc_u32_e32 v9, 16, v209
	s_mov_b32 s5, 0
	.p2align	6
.LBB51_181:                             ; =>This Inner Loop Header: Depth=1
	s_clause 0x3
	buffer_load_dword v14, v9, s[0:3], 0 offen offset:8
	buffer_load_dword v15, v9, s[0:3], 0 offen offset:12
	buffer_load_dword v16, v9, s[0:3], 0 offen
	buffer_load_dword v17, v9, s[0:3], 0 offen offset:4
	ds_read_b128 v[10:13], v8
	v_add_nc_u32_e32 v7, 1, v7
	v_add_nc_u32_e32 v8, 16, v8
	;; [unrolled: 1-line block ×3, first 2 shown]
	v_cmp_lt_u32_e32 vcc_lo, 40, v7
	s_or_b32 s5, vcc_lo, s5
	s_waitcnt vmcnt(2) lgkmcnt(0)
	v_mul_f64 v[18:19], v[12:13], v[14:15]
	v_mul_f64 v[14:15], v[10:11], v[14:15]
	s_waitcnt vmcnt(0)
	v_fma_f64 v[10:11], v[10:11], v[16:17], -v[18:19]
	v_fma_f64 v[12:13], v[12:13], v[16:17], v[14:15]
	v_add_f64 v[3:4], v[3:4], v[10:11]
	v_add_f64 v[1:2], v[1:2], v[12:13]
	s_andn2_b32 exec_lo, exec_lo, s5
	s_cbranch_execnz .LBB51_181
; %bb.182:
	s_or_b32 exec_lo, exec_lo, s5
	v_mov_b32_e32 v7, 0
	ds_read_b128 v[7:10], v7 offset:672
	s_waitcnt lgkmcnt(0)
	v_mul_f64 v[11:12], v[1:2], v[9:10]
	v_mul_f64 v[9:10], v[3:4], v[9:10]
	v_fma_f64 v[3:4], v[3:4], v[7:8], -v[11:12]
	v_fma_f64 v[1:2], v[1:2], v[7:8], v[9:10]
	buffer_store_dword v4, off, s[0:3], 0 offset:692
	buffer_store_dword v3, off, s[0:3], 0 offset:688
	;; [unrolled: 1-line block ×4, first 2 shown]
.LBB51_183:
	s_or_b32 exec_lo, exec_lo, s4
	v_mov_b32_e32 v4, s18
	s_waitcnt_vscnt null, 0x0
	s_barrier
	buffer_gl0_inv
	s_mov_b32 s4, exec_lo
	s_clause 0x3
	buffer_load_dword v1, v4, s[0:3], 0 offen
	buffer_load_dword v2, v4, s[0:3], 0 offen offset:4
	buffer_load_dword v3, v4, s[0:3], 0 offen offset:8
	;; [unrolled: 1-line block ×3, first 2 shown]
	s_waitcnt vmcnt(0)
	ds_write_b128 v5, v[1:4]
	s_waitcnt lgkmcnt(0)
	s_barrier
	buffer_gl0_inv
	v_cmpx_gt_u32_e32 43, v0
	s_cbranch_execz .LBB51_187
; %bb.184:
	v_mov_b32_e32 v1, 0
	v_mov_b32_e32 v3, 0
	v_add_nc_u32_e32 v7, -1, v0
	v_add_nc_u32_e32 v8, 0x340, v209
	v_mov_b32_e32 v2, 0
	v_mov_b32_e32 v4, 0
	v_add_nc_u32_e32 v9, 16, v209
	s_mov_b32 s5, 0
	.p2align	6
.LBB51_185:                             ; =>This Inner Loop Header: Depth=1
	s_clause 0x3
	buffer_load_dword v14, v9, s[0:3], 0 offen offset:8
	buffer_load_dword v15, v9, s[0:3], 0 offen offset:12
	buffer_load_dword v16, v9, s[0:3], 0 offen
	buffer_load_dword v17, v9, s[0:3], 0 offen offset:4
	ds_read_b128 v[10:13], v8
	v_add_nc_u32_e32 v7, 1, v7
	v_add_nc_u32_e32 v8, 16, v8
	v_add_nc_u32_e32 v9, 16, v9
	v_cmp_lt_u32_e32 vcc_lo, 41, v7
	s_or_b32 s5, vcc_lo, s5
	s_waitcnt vmcnt(2) lgkmcnt(0)
	v_mul_f64 v[18:19], v[12:13], v[14:15]
	v_mul_f64 v[14:15], v[10:11], v[14:15]
	s_waitcnt vmcnt(0)
	v_fma_f64 v[10:11], v[10:11], v[16:17], -v[18:19]
	v_fma_f64 v[12:13], v[12:13], v[16:17], v[14:15]
	v_add_f64 v[3:4], v[3:4], v[10:11]
	v_add_f64 v[1:2], v[1:2], v[12:13]
	s_andn2_b32 exec_lo, exec_lo, s5
	s_cbranch_execnz .LBB51_185
; %bb.186:
	s_or_b32 exec_lo, exec_lo, s5
	v_mov_b32_e32 v7, 0
	ds_read_b128 v[7:10], v7 offset:688
	s_waitcnt lgkmcnt(0)
	v_mul_f64 v[11:12], v[1:2], v[9:10]
	v_mul_f64 v[9:10], v[3:4], v[9:10]
	v_fma_f64 v[3:4], v[3:4], v[7:8], -v[11:12]
	v_fma_f64 v[1:2], v[1:2], v[7:8], v[9:10]
	buffer_store_dword v4, off, s[0:3], 0 offset:708
	buffer_store_dword v3, off, s[0:3], 0 offset:704
	;; [unrolled: 1-line block ×4, first 2 shown]
.LBB51_187:
	s_or_b32 exec_lo, exec_lo, s4
	v_mov_b32_e32 v4, s17
	s_waitcnt_vscnt null, 0x0
	s_barrier
	buffer_gl0_inv
	s_mov_b32 s4, exec_lo
	s_clause 0x3
	buffer_load_dword v1, v4, s[0:3], 0 offen
	buffer_load_dword v2, v4, s[0:3], 0 offen offset:4
	buffer_load_dword v3, v4, s[0:3], 0 offen offset:8
	;; [unrolled: 1-line block ×3, first 2 shown]
	s_waitcnt vmcnt(0)
	ds_write_b128 v5, v[1:4]
	s_waitcnt lgkmcnt(0)
	s_barrier
	buffer_gl0_inv
	v_cmpx_gt_u32_e32 44, v0
	s_cbranch_execz .LBB51_191
; %bb.188:
	v_mov_b32_e32 v1, 0
	v_mov_b32_e32 v3, 0
	v_add_nc_u32_e32 v7, -1, v0
	v_add_nc_u32_e32 v8, 0x340, v209
	v_mov_b32_e32 v2, 0
	v_mov_b32_e32 v4, 0
	v_add_nc_u32_e32 v9, 16, v209
	s_mov_b32 s5, 0
	.p2align	6
.LBB51_189:                             ; =>This Inner Loop Header: Depth=1
	s_clause 0x3
	buffer_load_dword v14, v9, s[0:3], 0 offen offset:8
	buffer_load_dword v15, v9, s[0:3], 0 offen offset:12
	buffer_load_dword v16, v9, s[0:3], 0 offen
	buffer_load_dword v17, v9, s[0:3], 0 offen offset:4
	ds_read_b128 v[10:13], v8
	v_add_nc_u32_e32 v7, 1, v7
	v_add_nc_u32_e32 v8, 16, v8
	;; [unrolled: 1-line block ×3, first 2 shown]
	v_cmp_lt_u32_e32 vcc_lo, 42, v7
	s_or_b32 s5, vcc_lo, s5
	s_waitcnt vmcnt(2) lgkmcnt(0)
	v_mul_f64 v[18:19], v[12:13], v[14:15]
	v_mul_f64 v[14:15], v[10:11], v[14:15]
	s_waitcnt vmcnt(0)
	v_fma_f64 v[10:11], v[10:11], v[16:17], -v[18:19]
	v_fma_f64 v[12:13], v[12:13], v[16:17], v[14:15]
	v_add_f64 v[3:4], v[3:4], v[10:11]
	v_add_f64 v[1:2], v[1:2], v[12:13]
	s_andn2_b32 exec_lo, exec_lo, s5
	s_cbranch_execnz .LBB51_189
; %bb.190:
	s_or_b32 exec_lo, exec_lo, s5
	v_mov_b32_e32 v7, 0
	ds_read_b128 v[7:10], v7 offset:704
	s_waitcnt lgkmcnt(0)
	v_mul_f64 v[11:12], v[1:2], v[9:10]
	v_mul_f64 v[9:10], v[3:4], v[9:10]
	v_fma_f64 v[3:4], v[3:4], v[7:8], -v[11:12]
	v_fma_f64 v[1:2], v[1:2], v[7:8], v[9:10]
	buffer_store_dword v4, off, s[0:3], 0 offset:724
	buffer_store_dword v3, off, s[0:3], 0 offset:720
	;; [unrolled: 1-line block ×4, first 2 shown]
.LBB51_191:
	s_or_b32 exec_lo, exec_lo, s4
	v_mov_b32_e32 v4, s16
	s_waitcnt_vscnt null, 0x0
	s_barrier
	buffer_gl0_inv
	s_mov_b32 s4, exec_lo
	s_clause 0x3
	buffer_load_dword v1, v4, s[0:3], 0 offen
	buffer_load_dword v2, v4, s[0:3], 0 offen offset:4
	buffer_load_dword v3, v4, s[0:3], 0 offen offset:8
	;; [unrolled: 1-line block ×3, first 2 shown]
	s_waitcnt vmcnt(0)
	ds_write_b128 v5, v[1:4]
	s_waitcnt lgkmcnt(0)
	s_barrier
	buffer_gl0_inv
	v_cmpx_gt_u32_e32 45, v0
	s_cbranch_execz .LBB51_195
; %bb.192:
	v_mov_b32_e32 v1, 0
	v_mov_b32_e32 v3, 0
	v_add_nc_u32_e32 v7, -1, v0
	v_add_nc_u32_e32 v8, 0x340, v209
	v_mov_b32_e32 v2, 0
	v_mov_b32_e32 v4, 0
	v_add_nc_u32_e32 v9, 16, v209
	s_mov_b32 s5, 0
	.p2align	6
.LBB51_193:                             ; =>This Inner Loop Header: Depth=1
	s_clause 0x3
	buffer_load_dword v14, v9, s[0:3], 0 offen offset:8
	buffer_load_dword v15, v9, s[0:3], 0 offen offset:12
	buffer_load_dword v16, v9, s[0:3], 0 offen
	buffer_load_dword v17, v9, s[0:3], 0 offen offset:4
	ds_read_b128 v[10:13], v8
	v_add_nc_u32_e32 v7, 1, v7
	v_add_nc_u32_e32 v8, 16, v8
	;; [unrolled: 1-line block ×3, first 2 shown]
	v_cmp_lt_u32_e32 vcc_lo, 43, v7
	s_or_b32 s5, vcc_lo, s5
	s_waitcnt vmcnt(2) lgkmcnt(0)
	v_mul_f64 v[18:19], v[12:13], v[14:15]
	v_mul_f64 v[14:15], v[10:11], v[14:15]
	s_waitcnt vmcnt(0)
	v_fma_f64 v[10:11], v[10:11], v[16:17], -v[18:19]
	v_fma_f64 v[12:13], v[12:13], v[16:17], v[14:15]
	v_add_f64 v[3:4], v[3:4], v[10:11]
	v_add_f64 v[1:2], v[1:2], v[12:13]
	s_andn2_b32 exec_lo, exec_lo, s5
	s_cbranch_execnz .LBB51_193
; %bb.194:
	s_or_b32 exec_lo, exec_lo, s5
	v_mov_b32_e32 v7, 0
	ds_read_b128 v[7:10], v7 offset:720
	s_waitcnt lgkmcnt(0)
	v_mul_f64 v[11:12], v[1:2], v[9:10]
	v_mul_f64 v[9:10], v[3:4], v[9:10]
	v_fma_f64 v[3:4], v[3:4], v[7:8], -v[11:12]
	v_fma_f64 v[1:2], v[1:2], v[7:8], v[9:10]
	buffer_store_dword v4, off, s[0:3], 0 offset:740
	buffer_store_dword v3, off, s[0:3], 0 offset:736
	;; [unrolled: 1-line block ×4, first 2 shown]
.LBB51_195:
	s_or_b32 exec_lo, exec_lo, s4
	v_mov_b32_e32 v4, s15
	s_waitcnt_vscnt null, 0x0
	s_barrier
	buffer_gl0_inv
	s_mov_b32 s4, exec_lo
	s_clause 0x3
	buffer_load_dword v1, v4, s[0:3], 0 offen
	buffer_load_dword v2, v4, s[0:3], 0 offen offset:4
	buffer_load_dword v3, v4, s[0:3], 0 offen offset:8
	;; [unrolled: 1-line block ×3, first 2 shown]
	s_waitcnt vmcnt(0)
	ds_write_b128 v5, v[1:4]
	s_waitcnt lgkmcnt(0)
	s_barrier
	buffer_gl0_inv
	v_cmpx_gt_u32_e32 46, v0
	s_cbranch_execz .LBB51_199
; %bb.196:
	v_mov_b32_e32 v1, 0
	v_mov_b32_e32 v3, 0
	v_add_nc_u32_e32 v7, -1, v0
	v_add_nc_u32_e32 v8, 0x340, v209
	v_mov_b32_e32 v2, 0
	v_mov_b32_e32 v4, 0
	v_add_nc_u32_e32 v9, 16, v209
	s_mov_b32 s5, 0
	.p2align	6
.LBB51_197:                             ; =>This Inner Loop Header: Depth=1
	s_clause 0x3
	buffer_load_dword v14, v9, s[0:3], 0 offen offset:8
	buffer_load_dword v15, v9, s[0:3], 0 offen offset:12
	buffer_load_dword v16, v9, s[0:3], 0 offen
	buffer_load_dword v17, v9, s[0:3], 0 offen offset:4
	ds_read_b128 v[10:13], v8
	v_add_nc_u32_e32 v7, 1, v7
	v_add_nc_u32_e32 v8, 16, v8
	;; [unrolled: 1-line block ×3, first 2 shown]
	v_cmp_lt_u32_e32 vcc_lo, 44, v7
	s_or_b32 s5, vcc_lo, s5
	s_waitcnt vmcnt(2) lgkmcnt(0)
	v_mul_f64 v[18:19], v[12:13], v[14:15]
	v_mul_f64 v[14:15], v[10:11], v[14:15]
	s_waitcnt vmcnt(0)
	v_fma_f64 v[10:11], v[10:11], v[16:17], -v[18:19]
	v_fma_f64 v[12:13], v[12:13], v[16:17], v[14:15]
	v_add_f64 v[3:4], v[3:4], v[10:11]
	v_add_f64 v[1:2], v[1:2], v[12:13]
	s_andn2_b32 exec_lo, exec_lo, s5
	s_cbranch_execnz .LBB51_197
; %bb.198:
	s_or_b32 exec_lo, exec_lo, s5
	v_mov_b32_e32 v7, 0
	ds_read_b128 v[7:10], v7 offset:736
	s_waitcnt lgkmcnt(0)
	v_mul_f64 v[11:12], v[1:2], v[9:10]
	v_mul_f64 v[9:10], v[3:4], v[9:10]
	v_fma_f64 v[3:4], v[3:4], v[7:8], -v[11:12]
	v_fma_f64 v[1:2], v[1:2], v[7:8], v[9:10]
	buffer_store_dword v4, off, s[0:3], 0 offset:756
	buffer_store_dword v3, off, s[0:3], 0 offset:752
	;; [unrolled: 1-line block ×4, first 2 shown]
.LBB51_199:
	s_or_b32 exec_lo, exec_lo, s4
	v_mov_b32_e32 v4, s14
	s_waitcnt_vscnt null, 0x0
	s_barrier
	buffer_gl0_inv
	s_mov_b32 s4, exec_lo
	s_clause 0x3
	buffer_load_dword v1, v4, s[0:3], 0 offen
	buffer_load_dword v2, v4, s[0:3], 0 offen offset:4
	buffer_load_dword v3, v4, s[0:3], 0 offen offset:8
	;; [unrolled: 1-line block ×3, first 2 shown]
	s_waitcnt vmcnt(0)
	ds_write_b128 v5, v[1:4]
	s_waitcnt lgkmcnt(0)
	s_barrier
	buffer_gl0_inv
	v_cmpx_gt_u32_e32 47, v0
	s_cbranch_execz .LBB51_203
; %bb.200:
	v_mov_b32_e32 v1, 0
	v_mov_b32_e32 v3, 0
	v_add_nc_u32_e32 v7, -1, v0
	v_add_nc_u32_e32 v8, 0x340, v209
	v_mov_b32_e32 v2, 0
	v_mov_b32_e32 v4, 0
	v_add_nc_u32_e32 v9, 16, v209
	s_mov_b32 s5, 0
	.p2align	6
.LBB51_201:                             ; =>This Inner Loop Header: Depth=1
	s_clause 0x3
	buffer_load_dword v14, v9, s[0:3], 0 offen offset:8
	buffer_load_dword v15, v9, s[0:3], 0 offen offset:12
	buffer_load_dword v16, v9, s[0:3], 0 offen
	buffer_load_dword v17, v9, s[0:3], 0 offen offset:4
	ds_read_b128 v[10:13], v8
	v_add_nc_u32_e32 v7, 1, v7
	v_add_nc_u32_e32 v8, 16, v8
	;; [unrolled: 1-line block ×3, first 2 shown]
	v_cmp_lt_u32_e32 vcc_lo, 45, v7
	s_or_b32 s5, vcc_lo, s5
	s_waitcnt vmcnt(2) lgkmcnt(0)
	v_mul_f64 v[18:19], v[12:13], v[14:15]
	v_mul_f64 v[14:15], v[10:11], v[14:15]
	s_waitcnt vmcnt(0)
	v_fma_f64 v[10:11], v[10:11], v[16:17], -v[18:19]
	v_fma_f64 v[12:13], v[12:13], v[16:17], v[14:15]
	v_add_f64 v[3:4], v[3:4], v[10:11]
	v_add_f64 v[1:2], v[1:2], v[12:13]
	s_andn2_b32 exec_lo, exec_lo, s5
	s_cbranch_execnz .LBB51_201
; %bb.202:
	s_or_b32 exec_lo, exec_lo, s5
	v_mov_b32_e32 v7, 0
	ds_read_b128 v[7:10], v7 offset:752
	s_waitcnt lgkmcnt(0)
	v_mul_f64 v[11:12], v[1:2], v[9:10]
	v_mul_f64 v[9:10], v[3:4], v[9:10]
	v_fma_f64 v[3:4], v[3:4], v[7:8], -v[11:12]
	v_fma_f64 v[1:2], v[1:2], v[7:8], v[9:10]
	buffer_store_dword v4, off, s[0:3], 0 offset:772
	buffer_store_dword v3, off, s[0:3], 0 offset:768
	;; [unrolled: 1-line block ×4, first 2 shown]
.LBB51_203:
	s_or_b32 exec_lo, exec_lo, s4
	v_mov_b32_e32 v4, s13
	s_waitcnt_vscnt null, 0x0
	s_barrier
	buffer_gl0_inv
	s_mov_b32 s4, exec_lo
	s_clause 0x3
	buffer_load_dword v1, v4, s[0:3], 0 offen
	buffer_load_dword v2, v4, s[0:3], 0 offen offset:4
	buffer_load_dword v3, v4, s[0:3], 0 offen offset:8
	;; [unrolled: 1-line block ×3, first 2 shown]
	s_waitcnt vmcnt(0)
	ds_write_b128 v5, v[1:4]
	s_waitcnt lgkmcnt(0)
	s_barrier
	buffer_gl0_inv
	v_cmpx_gt_u32_e32 48, v0
	s_cbranch_execz .LBB51_207
; %bb.204:
	v_mov_b32_e32 v1, 0
	v_mov_b32_e32 v3, 0
	v_add_nc_u32_e32 v7, -1, v0
	v_add_nc_u32_e32 v8, 0x340, v209
	v_mov_b32_e32 v2, 0
	v_mov_b32_e32 v4, 0
	v_add_nc_u32_e32 v9, 16, v209
	s_mov_b32 s5, 0
	.p2align	6
.LBB51_205:                             ; =>This Inner Loop Header: Depth=1
	s_clause 0x3
	buffer_load_dword v14, v9, s[0:3], 0 offen offset:8
	buffer_load_dword v15, v9, s[0:3], 0 offen offset:12
	buffer_load_dword v16, v9, s[0:3], 0 offen
	buffer_load_dword v17, v9, s[0:3], 0 offen offset:4
	ds_read_b128 v[10:13], v8
	v_add_nc_u32_e32 v7, 1, v7
	v_add_nc_u32_e32 v8, 16, v8
	;; [unrolled: 1-line block ×3, first 2 shown]
	v_cmp_lt_u32_e32 vcc_lo, 46, v7
	s_or_b32 s5, vcc_lo, s5
	s_waitcnt vmcnt(2) lgkmcnt(0)
	v_mul_f64 v[18:19], v[12:13], v[14:15]
	v_mul_f64 v[14:15], v[10:11], v[14:15]
	s_waitcnt vmcnt(0)
	v_fma_f64 v[10:11], v[10:11], v[16:17], -v[18:19]
	v_fma_f64 v[12:13], v[12:13], v[16:17], v[14:15]
	v_add_f64 v[3:4], v[3:4], v[10:11]
	v_add_f64 v[1:2], v[1:2], v[12:13]
	s_andn2_b32 exec_lo, exec_lo, s5
	s_cbranch_execnz .LBB51_205
; %bb.206:
	s_or_b32 exec_lo, exec_lo, s5
	v_mov_b32_e32 v7, 0
	ds_read_b128 v[7:10], v7 offset:768
	s_waitcnt lgkmcnt(0)
	v_mul_f64 v[11:12], v[1:2], v[9:10]
	v_mul_f64 v[9:10], v[3:4], v[9:10]
	v_fma_f64 v[3:4], v[3:4], v[7:8], -v[11:12]
	v_fma_f64 v[1:2], v[1:2], v[7:8], v[9:10]
	buffer_store_dword v4, off, s[0:3], 0 offset:788
	buffer_store_dword v3, off, s[0:3], 0 offset:784
	;; [unrolled: 1-line block ×4, first 2 shown]
.LBB51_207:
	s_or_b32 exec_lo, exec_lo, s4
	v_mov_b32_e32 v4, s12
	s_waitcnt_vscnt null, 0x0
	s_barrier
	buffer_gl0_inv
	s_mov_b32 s4, exec_lo
	s_clause 0x3
	buffer_load_dword v1, v4, s[0:3], 0 offen
	buffer_load_dword v2, v4, s[0:3], 0 offen offset:4
	buffer_load_dword v3, v4, s[0:3], 0 offen offset:8
	buffer_load_dword v4, v4, s[0:3], 0 offen offset:12
	s_waitcnt vmcnt(0)
	ds_write_b128 v5, v[1:4]
	s_waitcnt lgkmcnt(0)
	s_barrier
	buffer_gl0_inv
	v_cmpx_gt_u32_e32 49, v0
	s_cbranch_execz .LBB51_211
; %bb.208:
	v_mov_b32_e32 v1, 0
	v_mov_b32_e32 v3, 0
	v_add_nc_u32_e32 v7, -1, v0
	v_add_nc_u32_e32 v8, 0x340, v209
	v_mov_b32_e32 v2, 0
	v_mov_b32_e32 v4, 0
	v_add_nc_u32_e32 v9, 16, v209
	s_mov_b32 s5, 0
	.p2align	6
.LBB51_209:                             ; =>This Inner Loop Header: Depth=1
	s_clause 0x3
	buffer_load_dword v14, v9, s[0:3], 0 offen offset:8
	buffer_load_dword v15, v9, s[0:3], 0 offen offset:12
	buffer_load_dword v16, v9, s[0:3], 0 offen
	buffer_load_dword v17, v9, s[0:3], 0 offen offset:4
	ds_read_b128 v[10:13], v8
	v_add_nc_u32_e32 v7, 1, v7
	v_add_nc_u32_e32 v8, 16, v8
	;; [unrolled: 1-line block ×3, first 2 shown]
	v_cmp_lt_u32_e32 vcc_lo, 47, v7
	s_or_b32 s5, vcc_lo, s5
	s_waitcnt vmcnt(2) lgkmcnt(0)
	v_mul_f64 v[18:19], v[12:13], v[14:15]
	v_mul_f64 v[14:15], v[10:11], v[14:15]
	s_waitcnt vmcnt(0)
	v_fma_f64 v[10:11], v[10:11], v[16:17], -v[18:19]
	v_fma_f64 v[12:13], v[12:13], v[16:17], v[14:15]
	v_add_f64 v[3:4], v[3:4], v[10:11]
	v_add_f64 v[1:2], v[1:2], v[12:13]
	s_andn2_b32 exec_lo, exec_lo, s5
	s_cbranch_execnz .LBB51_209
; %bb.210:
	s_or_b32 exec_lo, exec_lo, s5
	v_mov_b32_e32 v7, 0
	ds_read_b128 v[7:10], v7 offset:784
	s_waitcnt lgkmcnt(0)
	v_mul_f64 v[11:12], v[1:2], v[9:10]
	v_mul_f64 v[9:10], v[3:4], v[9:10]
	v_fma_f64 v[3:4], v[3:4], v[7:8], -v[11:12]
	v_fma_f64 v[1:2], v[1:2], v[7:8], v[9:10]
	buffer_store_dword v4, off, s[0:3], 0 offset:804
	buffer_store_dword v3, off, s[0:3], 0 offset:800
	;; [unrolled: 1-line block ×4, first 2 shown]
.LBB51_211:
	s_or_b32 exec_lo, exec_lo, s4
	v_mov_b32_e32 v4, s9
	s_waitcnt_vscnt null, 0x0
	s_barrier
	buffer_gl0_inv
	s_mov_b32 s4, exec_lo
	s_clause 0x3
	buffer_load_dword v1, v4, s[0:3], 0 offen
	buffer_load_dword v2, v4, s[0:3], 0 offen offset:4
	buffer_load_dword v3, v4, s[0:3], 0 offen offset:8
	;; [unrolled: 1-line block ×3, first 2 shown]
	s_waitcnt vmcnt(0)
	ds_write_b128 v5, v[1:4]
	s_waitcnt lgkmcnt(0)
	s_barrier
	buffer_gl0_inv
	v_cmpx_gt_u32_e32 50, v0
	s_cbranch_execz .LBB51_215
; %bb.212:
	v_mov_b32_e32 v1, 0
	v_mov_b32_e32 v3, 0
	v_add_nc_u32_e32 v7, -1, v0
	v_add_nc_u32_e32 v8, 0x340, v209
	v_mov_b32_e32 v2, 0
	v_mov_b32_e32 v4, 0
	v_add_nc_u32_e32 v9, 16, v209
	s_mov_b32 s5, 0
	.p2align	6
.LBB51_213:                             ; =>This Inner Loop Header: Depth=1
	s_clause 0x3
	buffer_load_dword v14, v9, s[0:3], 0 offen offset:8
	buffer_load_dword v15, v9, s[0:3], 0 offen offset:12
	buffer_load_dword v16, v9, s[0:3], 0 offen
	buffer_load_dword v17, v9, s[0:3], 0 offen offset:4
	ds_read_b128 v[10:13], v8
	v_add_nc_u32_e32 v7, 1, v7
	v_add_nc_u32_e32 v8, 16, v8
	;; [unrolled: 1-line block ×3, first 2 shown]
	v_cmp_lt_u32_e32 vcc_lo, 48, v7
	s_or_b32 s5, vcc_lo, s5
	s_waitcnt vmcnt(2) lgkmcnt(0)
	v_mul_f64 v[18:19], v[12:13], v[14:15]
	v_mul_f64 v[14:15], v[10:11], v[14:15]
	s_waitcnt vmcnt(0)
	v_fma_f64 v[10:11], v[10:11], v[16:17], -v[18:19]
	v_fma_f64 v[12:13], v[12:13], v[16:17], v[14:15]
	v_add_f64 v[3:4], v[3:4], v[10:11]
	v_add_f64 v[1:2], v[1:2], v[12:13]
	s_andn2_b32 exec_lo, exec_lo, s5
	s_cbranch_execnz .LBB51_213
; %bb.214:
	s_or_b32 exec_lo, exec_lo, s5
	v_mov_b32_e32 v7, 0
	ds_read_b128 v[7:10], v7 offset:800
	s_waitcnt lgkmcnt(0)
	v_mul_f64 v[11:12], v[1:2], v[9:10]
	v_mul_f64 v[9:10], v[3:4], v[9:10]
	v_fma_f64 v[3:4], v[3:4], v[7:8], -v[11:12]
	v_fma_f64 v[1:2], v[1:2], v[7:8], v[9:10]
	buffer_store_dword v4, off, s[0:3], 0 offset:820
	buffer_store_dword v3, off, s[0:3], 0 offset:816
	;; [unrolled: 1-line block ×4, first 2 shown]
.LBB51_215:
	s_or_b32 exec_lo, exec_lo, s4
	v_mov_b32_e32 v4, s8
	s_waitcnt_vscnt null, 0x0
	s_barrier
	buffer_gl0_inv
	s_mov_b32 s4, exec_lo
	s_clause 0x3
	buffer_load_dword v1, v4, s[0:3], 0 offen
	buffer_load_dword v2, v4, s[0:3], 0 offen offset:4
	buffer_load_dword v3, v4, s[0:3], 0 offen offset:8
	;; [unrolled: 1-line block ×3, first 2 shown]
	s_waitcnt vmcnt(0)
	ds_write_b128 v5, v[1:4]
	s_waitcnt lgkmcnt(0)
	s_barrier
	buffer_gl0_inv
	v_cmpx_ne_u32_e32 51, v0
	s_cbranch_execz .LBB51_219
; %bb.216:
	v_mov_b32_e32 v1, 0
	v_mov_b32_e32 v3, 0
	;; [unrolled: 1-line block ×4, first 2 shown]
	v_add_nc_u32_e32 v7, 16, v209
	s_mov_b32 s5, 0
	.p2align	6
.LBB51_217:                             ; =>This Inner Loop Header: Depth=1
	s_clause 0x3
	buffer_load_dword v12, v7, s[0:3], 0 offen offset:8
	buffer_load_dword v13, v7, s[0:3], 0 offen offset:12
	buffer_load_dword v14, v7, s[0:3], 0 offen
	buffer_load_dword v15, v7, s[0:3], 0 offen offset:4
	ds_read_b128 v[8:11], v5
	v_add_nc_u32_e32 v6, 1, v6
	v_add_nc_u32_e32 v5, 16, v5
	;; [unrolled: 1-line block ×3, first 2 shown]
	v_cmp_lt_u32_e32 vcc_lo, 49, v6
	s_or_b32 s5, vcc_lo, s5
	s_waitcnt vmcnt(2) lgkmcnt(0)
	v_mul_f64 v[16:17], v[10:11], v[12:13]
	v_mul_f64 v[12:13], v[8:9], v[12:13]
	s_waitcnt vmcnt(0)
	v_fma_f64 v[8:9], v[8:9], v[14:15], -v[16:17]
	v_fma_f64 v[10:11], v[10:11], v[14:15], v[12:13]
	v_add_f64 v[3:4], v[3:4], v[8:9]
	v_add_f64 v[1:2], v[1:2], v[10:11]
	s_andn2_b32 exec_lo, exec_lo, s5
	s_cbranch_execnz .LBB51_217
; %bb.218:
	s_or_b32 exec_lo, exec_lo, s5
	v_mov_b32_e32 v5, 0
	ds_read_b128 v[5:8], v5 offset:816
	s_waitcnt lgkmcnt(0)
	v_mul_f64 v[9:10], v[1:2], v[7:8]
	v_mul_f64 v[7:8], v[3:4], v[7:8]
	v_fma_f64 v[3:4], v[3:4], v[5:6], -v[9:10]
	v_fma_f64 v[1:2], v[1:2], v[5:6], v[7:8]
	buffer_store_dword v4, off, s[0:3], 0 offset:836
	buffer_store_dword v3, off, s[0:3], 0 offset:832
	;; [unrolled: 1-line block ×4, first 2 shown]
.LBB51_219:
	s_or_b32 exec_lo, exec_lo, s4
	s_mov_b32 s5, -1
	s_waitcnt_vscnt null, 0x0
	s_barrier
	buffer_gl0_inv
.LBB51_220:
	s_and_b32 vcc_lo, exec_lo, s5
	s_cbranch_vccz .LBB51_222
; %bb.221:
	s_lshl_b64 s[4:5], s[6:7], 2
	v_mov_b32_e32 v1, 0
	s_add_u32 s4, s10, s4
	s_addc_u32 s5, s11, s5
	global_load_dword v1, v1, s[4:5]
	s_waitcnt vmcnt(0)
	v_cmp_ne_u32_e32 vcc_lo, 0, v1
	s_cbranch_vccz .LBB51_223
.LBB51_222:
	s_endpgm
.LBB51_223:
	v_lshl_add_u32 v39, v0, 4, 0x340
	s_mov_b32 s4, exec_lo
	v_cmpx_eq_u32_e32 51, v0
	s_cbranch_execz .LBB51_225
; %bb.224:
	v_mov_b32_e32 v4, s9
	v_mov_b32_e32 v5, 0
	s_clause 0x3
	buffer_load_dword v1, v4, s[0:3], 0 offen
	buffer_load_dword v2, v4, s[0:3], 0 offen offset:4
	buffer_load_dword v3, v4, s[0:3], 0 offen offset:8
	;; [unrolled: 1-line block ×3, first 2 shown]
	buffer_store_dword v5, off, s[0:3], 0 offset:816
	buffer_store_dword v5, off, s[0:3], 0 offset:820
	;; [unrolled: 1-line block ×4, first 2 shown]
	s_waitcnt vmcnt(0)
	ds_write_b128 v39, v[1:4]
.LBB51_225:
	s_or_b32 exec_lo, exec_lo, s4
	s_waitcnt lgkmcnt(0)
	s_waitcnt_vscnt null, 0x0
	s_barrier
	buffer_gl0_inv
	s_clause 0x7
	buffer_load_dword v6, off, s[0:3], 0 offset:840
	buffer_load_dword v7, off, s[0:3], 0 offset:844
	;; [unrolled: 1-line block ×8, first 2 shown]
	v_mov_b32_e32 v1, 0
	s_mov_b32 s4, exec_lo
	ds_read_b128 v[2:5], v1 offset:1648
	s_waitcnt vmcnt(6) lgkmcnt(0)
	v_mul_f64 v[14:15], v[4:5], v[6:7]
	v_mul_f64 v[6:7], v[2:3], v[6:7]
	s_waitcnt vmcnt(4)
	v_fma_f64 v[2:3], v[2:3], v[8:9], -v[14:15]
	v_fma_f64 v[4:5], v[4:5], v[8:9], v[6:7]
	v_add_f64 v[2:3], v[2:3], 0
	v_add_f64 v[4:5], v[4:5], 0
	s_waitcnt vmcnt(2)
	v_add_f64 v[2:3], v[10:11], -v[2:3]
	s_waitcnt vmcnt(0)
	v_add_f64 v[4:5], v[12:13], -v[4:5]
	buffer_store_dword v2, off, s[0:3], 0 offset:816
	buffer_store_dword v3, off, s[0:3], 0 offset:820
	;; [unrolled: 1-line block ×4, first 2 shown]
	v_cmpx_lt_u32_e32 49, v0
	s_cbranch_execz .LBB51_227
; %bb.226:
	v_mov_b32_e32 v5, s12
	s_clause 0x3
	buffer_load_dword v2, v5, s[0:3], 0 offen
	buffer_load_dword v3, v5, s[0:3], 0 offen offset:4
	buffer_load_dword v4, v5, s[0:3], 0 offen offset:8
	buffer_load_dword v5, v5, s[0:3], 0 offen offset:12
	buffer_store_dword v1, off, s[0:3], 0 offset:800
	buffer_store_dword v1, off, s[0:3], 0 offset:804
	;; [unrolled: 1-line block ×4, first 2 shown]
	s_waitcnt vmcnt(0)
	ds_write_b128 v39, v[2:5]
.LBB51_227:
	s_or_b32 exec_lo, exec_lo, s4
	s_waitcnt lgkmcnt(0)
	s_waitcnt_vscnt null, 0x0
	s_barrier
	buffer_gl0_inv
	s_clause 0xb
	buffer_load_dword v10, off, s[0:3], 0 offset:824
	buffer_load_dword v11, off, s[0:3], 0 offset:828
	;; [unrolled: 1-line block ×12, first 2 shown]
	ds_read_b128 v[2:5], v1 offset:1632
	ds_read_b128 v[6:9], v1 offset:1648
	s_mov_b32 s4, exec_lo
	s_waitcnt vmcnt(10) lgkmcnt(1)
	v_mul_f64 v[22:23], v[4:5], v[10:11]
	v_mul_f64 v[10:11], v[2:3], v[10:11]
	s_waitcnt vmcnt(8) lgkmcnt(0)
	v_mul_f64 v[24:25], v[8:9], v[12:13]
	v_mul_f64 v[12:13], v[6:7], v[12:13]
	s_waitcnt vmcnt(6)
	v_fma_f64 v[1:2], v[2:3], v[14:15], -v[22:23]
	v_fma_f64 v[3:4], v[4:5], v[14:15], v[10:11]
	s_waitcnt vmcnt(4)
	v_fma_f64 v[5:6], v[6:7], v[16:17], -v[24:25]
	v_fma_f64 v[7:8], v[8:9], v[16:17], v[12:13]
	v_add_f64 v[1:2], v[1:2], 0
	v_add_f64 v[3:4], v[3:4], 0
	;; [unrolled: 1-line block ×4, first 2 shown]
	s_waitcnt vmcnt(2)
	v_add_f64 v[1:2], v[18:19], -v[1:2]
	s_waitcnt vmcnt(0)
	v_add_f64 v[3:4], v[20:21], -v[3:4]
	buffer_store_dword v1, off, s[0:3], 0 offset:800
	buffer_store_dword v2, off, s[0:3], 0 offset:804
	;; [unrolled: 1-line block ×4, first 2 shown]
	v_cmpx_lt_u32_e32 48, v0
	s_cbranch_execz .LBB51_229
; %bb.228:
	v_mov_b32_e32 v4, s13
	v_mov_b32_e32 v5, 0
	s_clause 0x3
	buffer_load_dword v1, v4, s[0:3], 0 offen
	buffer_load_dword v2, v4, s[0:3], 0 offen offset:4
	buffer_load_dword v3, v4, s[0:3], 0 offen offset:8
	buffer_load_dword v4, v4, s[0:3], 0 offen offset:12
	buffer_store_dword v5, off, s[0:3], 0 offset:784
	buffer_store_dword v5, off, s[0:3], 0 offset:788
	buffer_store_dword v5, off, s[0:3], 0 offset:792
	buffer_store_dword v5, off, s[0:3], 0 offset:796
	s_waitcnt vmcnt(0)
	ds_write_b128 v39, v[1:4]
.LBB51_229:
	s_or_b32 exec_lo, exec_lo, s4
	s_waitcnt lgkmcnt(0)
	s_waitcnt_vscnt null, 0x0
	s_barrier
	buffer_gl0_inv
	s_clause 0xf
	buffer_load_dword v10, off, s[0:3], 0 offset:808
	buffer_load_dword v11, off, s[0:3], 0 offset:812
	;; [unrolled: 1-line block ×16, first 2 shown]
	v_mov_b32_e32 v1, 0
	ds_read_b128 v[2:5], v1 offset:1616
	ds_read_b128 v[6:9], v1 offset:1632
	s_mov_b32 s4, exec_lo
	s_waitcnt vmcnt(14) lgkmcnt(1)
	v_mul_f64 v[28:29], v[4:5], v[10:11]
	v_mul_f64 v[30:31], v[2:3], v[10:11]
	s_waitcnt vmcnt(12) lgkmcnt(0)
	v_mul_f64 v[32:33], v[8:9], v[14:15]
	ds_read_b128 v[10:13], v1 offset:1648
	v_mul_f64 v[14:15], v[6:7], v[14:15]
	s_waitcnt vmcnt(10)
	v_fma_f64 v[2:3], v[2:3], v[16:17], -v[28:29]
	v_fma_f64 v[4:5], v[4:5], v[16:17], v[30:31]
	s_waitcnt vmcnt(8) lgkmcnt(0)
	v_mul_f64 v[16:17], v[10:11], v[18:19]
	v_mul_f64 v[18:19], v[12:13], v[18:19]
	s_waitcnt vmcnt(6)
	v_fma_f64 v[6:7], v[6:7], v[20:21], -v[32:33]
	v_fma_f64 v[8:9], v[8:9], v[20:21], v[14:15]
	v_add_f64 v[2:3], v[2:3], 0
	v_add_f64 v[4:5], v[4:5], 0
	s_waitcnt vmcnt(4)
	v_fma_f64 v[10:11], v[10:11], v[22:23], -v[18:19]
	v_add_f64 v[2:3], v[2:3], v[6:7]
	v_fma_f64 v[6:7], v[12:13], v[22:23], v[16:17]
	v_add_f64 v[4:5], v[4:5], v[8:9]
	v_add_f64 v[2:3], v[2:3], v[10:11]
	v_add_f64 v[4:5], v[4:5], v[6:7]
	s_waitcnt vmcnt(2)
	v_add_f64 v[2:3], v[24:25], -v[2:3]
	s_waitcnt vmcnt(0)
	v_add_f64 v[4:5], v[26:27], -v[4:5]
	buffer_store_dword v2, off, s[0:3], 0 offset:784
	buffer_store_dword v3, off, s[0:3], 0 offset:788
	;; [unrolled: 1-line block ×4, first 2 shown]
	v_cmpx_lt_u32_e32 47, v0
	s_cbranch_execz .LBB51_231
; %bb.230:
	v_mov_b32_e32 v5, s14
	s_clause 0x3
	buffer_load_dword v2, v5, s[0:3], 0 offen
	buffer_load_dword v3, v5, s[0:3], 0 offen offset:4
	buffer_load_dword v4, v5, s[0:3], 0 offen offset:8
	;; [unrolled: 1-line block ×3, first 2 shown]
	buffer_store_dword v1, off, s[0:3], 0 offset:768
	buffer_store_dword v1, off, s[0:3], 0 offset:772
	;; [unrolled: 1-line block ×4, first 2 shown]
	s_waitcnt vmcnt(0)
	ds_write_b128 v39, v[2:5]
.LBB51_231:
	s_or_b32 exec_lo, exec_lo, s4
	s_waitcnt lgkmcnt(0)
	s_waitcnt_vscnt null, 0x0
	s_barrier
	buffer_gl0_inv
	s_clause 0x13
	buffer_load_dword v10, off, s[0:3], 0 offset:792
	buffer_load_dword v11, off, s[0:3], 0 offset:796
	;; [unrolled: 1-line block ×20, first 2 shown]
	ds_read_b128 v[2:5], v1 offset:1600
	ds_read_b128 v[6:9], v1 offset:1616
	s_mov_b32 s4, exec_lo
	s_waitcnt vmcnt(18) lgkmcnt(1)
	v_mul_f64 v[32:33], v[4:5], v[10:11]
	v_mul_f64 v[34:35], v[2:3], v[10:11]
	s_waitcnt vmcnt(16) lgkmcnt(0)
	v_mul_f64 v[36:37], v[8:9], v[14:15]
	ds_read_b128 v[10:13], v1 offset:1632
	v_mul_f64 v[14:15], v[6:7], v[14:15]
	s_waitcnt vmcnt(14)
	v_fma_f64 v[32:33], v[2:3], v[16:17], -v[32:33]
	v_fma_f64 v[16:17], v[4:5], v[16:17], v[34:35]
	s_waitcnt vmcnt(12) lgkmcnt(0)
	v_mul_f64 v[34:35], v[10:11], v[18:19]
	v_mul_f64 v[18:19], v[12:13], v[18:19]
	s_waitcnt vmcnt(10)
	v_fma_f64 v[5:6], v[6:7], v[20:21], -v[36:37]
	ds_read_b128 v[1:4], v1 offset:1648
	v_fma_f64 v[7:8], v[8:9], v[20:21], v[14:15]
	v_add_f64 v[32:33], v[32:33], 0
	v_add_f64 v[14:15], v[16:17], 0
	s_waitcnt vmcnt(8) lgkmcnt(0)
	v_mul_f64 v[20:21], v[3:4], v[22:23]
	s_waitcnt vmcnt(6)
	v_fma_f64 v[9:10], v[10:11], v[24:25], -v[18:19]
	v_mul_f64 v[16:17], v[1:2], v[22:23]
	v_fma_f64 v[11:12], v[12:13], v[24:25], v[34:35]
	v_add_f64 v[5:6], v[32:33], v[5:6]
	v_add_f64 v[7:8], v[14:15], v[7:8]
	s_waitcnt vmcnt(4)
	v_fma_f64 v[1:2], v[1:2], v[26:27], -v[20:21]
	v_fma_f64 v[3:4], v[3:4], v[26:27], v[16:17]
	v_add_f64 v[5:6], v[5:6], v[9:10]
	v_add_f64 v[7:8], v[7:8], v[11:12]
	;; [unrolled: 1-line block ×4, first 2 shown]
	s_waitcnt vmcnt(2)
	v_add_f64 v[1:2], v[28:29], -v[1:2]
	s_waitcnt vmcnt(0)
	v_add_f64 v[3:4], v[30:31], -v[3:4]
	buffer_store_dword v1, off, s[0:3], 0 offset:768
	buffer_store_dword v2, off, s[0:3], 0 offset:772
	;; [unrolled: 1-line block ×4, first 2 shown]
	v_cmpx_lt_u32_e32 46, v0
	s_cbranch_execz .LBB51_233
; %bb.232:
	v_mov_b32_e32 v4, s15
	v_mov_b32_e32 v5, 0
	s_clause 0x3
	buffer_load_dword v1, v4, s[0:3], 0 offen
	buffer_load_dword v2, v4, s[0:3], 0 offen offset:4
	buffer_load_dword v3, v4, s[0:3], 0 offen offset:8
	;; [unrolled: 1-line block ×3, first 2 shown]
	buffer_store_dword v5, off, s[0:3], 0 offset:752
	buffer_store_dword v5, off, s[0:3], 0 offset:756
	;; [unrolled: 1-line block ×4, first 2 shown]
	s_waitcnt vmcnt(0)
	ds_write_b128 v39, v[1:4]
.LBB51_233:
	s_or_b32 exec_lo, exec_lo, s4
	s_waitcnt lgkmcnt(0)
	s_waitcnt_vscnt null, 0x0
	s_barrier
	buffer_gl0_inv
	s_clause 0x17
	buffer_load_dword v10, off, s[0:3], 0 offset:776
	buffer_load_dword v11, off, s[0:3], 0 offset:780
	;; [unrolled: 1-line block ×24, first 2 shown]
	v_mov_b32_e32 v1, 0
	ds_read_b128 v[2:5], v1 offset:1584
	ds_read_b128 v[6:9], v1 offset:1600
	s_mov_b32 s4, exec_lo
	s_waitcnt vmcnt(22) lgkmcnt(1)
	v_mul_f64 v[36:37], v[4:5], v[10:11]
	v_mul_f64 v[58:59], v[2:3], v[10:11]
	s_waitcnt vmcnt(20) lgkmcnt(0)
	v_mul_f64 v[63:64], v[8:9], v[14:15]
	ds_read_b128 v[10:13], v1 offset:1616
	v_mul_f64 v[14:15], v[6:7], v[14:15]
	s_waitcnt vmcnt(18)
	v_fma_f64 v[36:37], v[2:3], v[16:17], -v[36:37]
	v_fma_f64 v[16:17], v[4:5], v[16:17], v[58:59]
	ds_read_b128 v[2:5], v1 offset:1632
	s_waitcnt vmcnt(16) lgkmcnt(1)
	v_mul_f64 v[58:59], v[10:11], v[18:19]
	v_mul_f64 v[18:19], v[12:13], v[18:19]
	s_waitcnt vmcnt(14)
	v_fma_f64 v[63:64], v[6:7], v[20:21], -v[63:64]
	v_fma_f64 v[14:15], v[8:9], v[20:21], v[14:15]
	ds_read_b128 v[6:9], v1 offset:1648
	s_waitcnt vmcnt(10) lgkmcnt(1)
	v_mul_f64 v[20:21], v[2:3], v[22:23]
	v_add_f64 v[36:37], v[36:37], 0
	v_add_f64 v[16:17], v[16:17], 0
	v_mul_f64 v[22:23], v[4:5], v[22:23]
	s_waitcnt vmcnt(8)
	v_fma_f64 v[10:11], v[10:11], v[28:29], -v[18:19]
	v_fma_f64 v[12:13], v[12:13], v[28:29], v[58:59]
	s_waitcnt vmcnt(5)
	v_fma_f64 v[4:5], v[4:5], v[30:31], v[20:21]
	v_add_f64 v[18:19], v[36:37], v[63:64]
	v_add_f64 v[14:15], v[16:17], v[14:15]
	s_waitcnt lgkmcnt(0)
	v_mul_f64 v[16:17], v[6:7], v[24:25]
	v_mul_f64 v[24:25], v[8:9], v[24:25]
	v_fma_f64 v[2:3], v[2:3], v[30:31], -v[22:23]
	v_add_f64 v[10:11], v[18:19], v[10:11]
	v_add_f64 v[12:13], v[14:15], v[12:13]
	s_waitcnt vmcnt(4)
	v_fma_f64 v[8:9], v[8:9], v[26:27], v[16:17]
	v_fma_f64 v[6:7], v[6:7], v[26:27], -v[24:25]
	v_add_f64 v[2:3], v[10:11], v[2:3]
	v_add_f64 v[4:5], v[12:13], v[4:5]
	;; [unrolled: 1-line block ×4, first 2 shown]
	s_waitcnt vmcnt(2)
	v_add_f64 v[2:3], v[32:33], -v[2:3]
	s_waitcnt vmcnt(0)
	v_add_f64 v[4:5], v[34:35], -v[4:5]
	buffer_store_dword v3, off, s[0:3], 0 offset:756
	buffer_store_dword v2, off, s[0:3], 0 offset:752
	buffer_store_dword v5, off, s[0:3], 0 offset:764
	buffer_store_dword v4, off, s[0:3], 0 offset:760
	v_cmpx_lt_u32_e32 45, v0
	s_cbranch_execz .LBB51_235
; %bb.234:
	v_mov_b32_e32 v5, s16
	s_clause 0x3
	buffer_load_dword v2, v5, s[0:3], 0 offen
	buffer_load_dword v3, v5, s[0:3], 0 offen offset:4
	buffer_load_dword v4, v5, s[0:3], 0 offen offset:8
	;; [unrolled: 1-line block ×3, first 2 shown]
	buffer_store_dword v1, off, s[0:3], 0 offset:736
	buffer_store_dword v1, off, s[0:3], 0 offset:740
	;; [unrolled: 1-line block ×4, first 2 shown]
	s_waitcnt vmcnt(0)
	ds_write_b128 v39, v[2:5]
.LBB51_235:
	s_or_b32 exec_lo, exec_lo, s4
	s_waitcnt lgkmcnt(0)
	s_waitcnt_vscnt null, 0x0
	s_barrier
	buffer_gl0_inv
	s_clause 0x1b
	buffer_load_dword v10, off, s[0:3], 0 offset:760
	buffer_load_dword v11, off, s[0:3], 0 offset:764
	;; [unrolled: 1-line block ×28, first 2 shown]
	ds_read_b128 v[2:5], v1 offset:1568
	ds_read_b128 v[6:9], v1 offset:1584
	s_mov_b32 s4, exec_lo
	s_waitcnt vmcnt(26) lgkmcnt(1)
	v_mul_f64 v[63:64], v[4:5], v[10:11]
	v_mul_f64 v[65:66], v[2:3], v[10:11]
	s_waitcnt vmcnt(24) lgkmcnt(0)
	v_mul_f64 v[67:68], v[8:9], v[14:15]
	ds_read_b128 v[10:13], v1 offset:1600
	v_mul_f64 v[14:15], v[6:7], v[14:15]
	s_waitcnt vmcnt(22)
	v_fma_f64 v[63:64], v[2:3], v[16:17], -v[63:64]
	v_fma_f64 v[16:17], v[4:5], v[16:17], v[65:66]
	ds_read_b128 v[2:5], v1 offset:1616
	s_waitcnt vmcnt(20) lgkmcnt(1)
	v_mul_f64 v[65:66], v[10:11], v[18:19]
	v_mul_f64 v[18:19], v[12:13], v[18:19]
	s_waitcnt vmcnt(18)
	v_fma_f64 v[67:68], v[6:7], v[20:21], -v[67:68]
	v_fma_f64 v[14:15], v[8:9], v[20:21], v[14:15]
	ds_read_b128 v[6:9], v1 offset:1632
	s_waitcnt vmcnt(14) lgkmcnt(1)
	v_mul_f64 v[20:21], v[2:3], v[22:23]
	v_add_f64 v[63:64], v[63:64], 0
	v_add_f64 v[16:17], v[16:17], 0
	v_mul_f64 v[22:23], v[4:5], v[22:23]
	s_waitcnt vmcnt(12)
	v_fma_f64 v[18:19], v[10:11], v[28:29], -v[18:19]
	v_fma_f64 v[28:29], v[12:13], v[28:29], v[65:66]
	ds_read_b128 v[10:13], v1 offset:1648
	v_add_f64 v[63:64], v[63:64], v[67:68]
	v_add_f64 v[14:15], v[16:17], v[14:15]
	s_waitcnt vmcnt(11) lgkmcnt(1)
	v_mul_f64 v[16:17], v[6:7], v[24:25]
	v_mul_f64 v[24:25], v[8:9], v[24:25]
	s_waitcnt vmcnt(9)
	v_fma_f64 v[1:2], v[2:3], v[30:31], -v[22:23]
	v_fma_f64 v[3:4], v[4:5], v[30:31], v[20:21]
	s_waitcnt vmcnt(7) lgkmcnt(0)
	v_mul_f64 v[22:23], v[12:13], v[32:33]
	v_mul_f64 v[20:21], v[10:11], v[32:33]
	v_add_f64 v[18:19], v[63:64], v[18:19]
	v_add_f64 v[14:15], v[14:15], v[28:29]
	s_waitcnt vmcnt(6)
	v_fma_f64 v[5:6], v[6:7], v[26:27], -v[24:25]
	v_fma_f64 v[7:8], v[8:9], v[26:27], v[16:17]
	s_waitcnt vmcnt(4)
	v_fma_f64 v[9:10], v[10:11], v[34:35], -v[22:23]
	v_add_f64 v[1:2], v[18:19], v[1:2]
	v_add_f64 v[3:4], v[14:15], v[3:4]
	;; [unrolled: 1-line block ×3, first 2 shown]
	v_fma_f64 v[5:6], v[12:13], v[34:35], v[20:21]
	v_add_f64 v[3:4], v[3:4], v[7:8]
	v_add_f64 v[1:2], v[1:2], v[9:10]
	;; [unrolled: 1-line block ×3, first 2 shown]
	s_waitcnt vmcnt(2)
	v_add_f64 v[1:2], v[36:37], -v[1:2]
	s_waitcnt vmcnt(0)
	v_add_f64 v[3:4], v[58:59], -v[3:4]
	buffer_store_dword v2, off, s[0:3], 0 offset:740
	buffer_store_dword v1, off, s[0:3], 0 offset:736
	;; [unrolled: 1-line block ×4, first 2 shown]
	v_cmpx_lt_u32_e32 44, v0
	s_cbranch_execz .LBB51_237
; %bb.236:
	v_mov_b32_e32 v4, s17
	v_mov_b32_e32 v5, 0
	s_clause 0x3
	buffer_load_dword v1, v4, s[0:3], 0 offen
	buffer_load_dword v2, v4, s[0:3], 0 offen offset:4
	buffer_load_dword v3, v4, s[0:3], 0 offen offset:8
	;; [unrolled: 1-line block ×3, first 2 shown]
	buffer_store_dword v5, off, s[0:3], 0 offset:720
	buffer_store_dword v5, off, s[0:3], 0 offset:724
	buffer_store_dword v5, off, s[0:3], 0 offset:728
	buffer_store_dword v5, off, s[0:3], 0 offset:732
	s_waitcnt vmcnt(0)
	ds_write_b128 v39, v[1:4]
.LBB51_237:
	s_or_b32 exec_lo, exec_lo, s4
	s_waitcnt lgkmcnt(0)
	s_waitcnt_vscnt null, 0x0
	s_barrier
	buffer_gl0_inv
	s_clause 0x1f
	buffer_load_dword v10, off, s[0:3], 0 offset:744
	buffer_load_dword v11, off, s[0:3], 0 offset:748
	;; [unrolled: 1-line block ×32, first 2 shown]
	v_mov_b32_e32 v1, 0
	ds_read_b128 v[2:5], v1 offset:1552
	ds_read_b128 v[6:9], v1 offset:1568
	s_mov_b32 s4, exec_lo
	s_waitcnt vmcnt(30) lgkmcnt(1)
	v_mul_f64 v[67:68], v[4:5], v[10:11]
	v_mul_f64 v[69:70], v[2:3], v[10:11]
	s_waitcnt vmcnt(28) lgkmcnt(0)
	v_mul_f64 v[71:72], v[8:9], v[14:15]
	ds_read_b128 v[10:13], v1 offset:1584
	v_mul_f64 v[14:15], v[6:7], v[14:15]
	s_waitcnt vmcnt(26)
	v_fma_f64 v[67:68], v[2:3], v[16:17], -v[67:68]
	v_fma_f64 v[16:17], v[4:5], v[16:17], v[69:70]
	ds_read_b128 v[2:5], v1 offset:1600
	s_waitcnt vmcnt(24) lgkmcnt(1)
	v_mul_f64 v[69:70], v[10:11], v[18:19]
	v_mul_f64 v[18:19], v[12:13], v[18:19]
	s_waitcnt vmcnt(22)
	v_fma_f64 v[71:72], v[6:7], v[20:21], -v[71:72]
	v_fma_f64 v[14:15], v[8:9], v[20:21], v[14:15]
	ds_read_b128 v[6:9], v1 offset:1616
	s_waitcnt vmcnt(18) lgkmcnt(1)
	v_mul_f64 v[20:21], v[2:3], v[22:23]
	v_add_f64 v[67:68], v[67:68], 0
	v_add_f64 v[16:17], v[16:17], 0
	v_mul_f64 v[22:23], v[4:5], v[22:23]
	s_waitcnt vmcnt(16)
	v_fma_f64 v[18:19], v[10:11], v[28:29], -v[18:19]
	v_fma_f64 v[28:29], v[12:13], v[28:29], v[69:70]
	ds_read_b128 v[10:13], v1 offset:1632
	s_waitcnt vmcnt(13)
	v_fma_f64 v[20:21], v[4:5], v[30:31], v[20:21]
	v_add_f64 v[67:68], v[67:68], v[71:72]
	v_add_f64 v[14:15], v[16:17], v[14:15]
	s_waitcnt lgkmcnt(1)
	v_mul_f64 v[16:17], v[6:7], v[24:25]
	v_mul_f64 v[24:25], v[8:9], v[24:25]
	v_fma_f64 v[22:23], v[2:3], v[30:31], -v[22:23]
	s_waitcnt vmcnt(9) lgkmcnt(0)
	v_mul_f64 v[30:31], v[12:13], v[32:33]
	ds_read_b128 v[2:5], v1 offset:1648
	v_add_f64 v[18:19], v[67:68], v[18:19]
	v_add_f64 v[14:15], v[14:15], v[28:29]
	v_mul_f64 v[28:29], v[10:11], v[32:33]
	s_waitcnt vmcnt(8)
	v_fma_f64 v[6:7], v[6:7], v[26:27], -v[24:25]
	v_fma_f64 v[8:9], v[8:9], v[26:27], v[16:17]
	s_waitcnt vmcnt(5)
	v_fma_f64 v[10:11], v[10:11], v[58:59], -v[30:31]
	s_waitcnt lgkmcnt(0)
	v_mul_f64 v[16:17], v[2:3], v[34:35]
	v_add_f64 v[18:19], v[18:19], v[22:23]
	v_add_f64 v[14:15], v[14:15], v[20:21]
	v_mul_f64 v[20:21], v[4:5], v[34:35]
	v_fma_f64 v[12:13], v[12:13], v[58:59], v[28:29]
	s_waitcnt vmcnt(4)
	v_fma_f64 v[4:5], v[4:5], v[36:37], v[16:17]
	v_add_f64 v[6:7], v[18:19], v[6:7]
	v_add_f64 v[8:9], v[14:15], v[8:9]
	v_fma_f64 v[2:3], v[2:3], v[36:37], -v[20:21]
	v_add_f64 v[6:7], v[6:7], v[10:11]
	v_add_f64 v[8:9], v[8:9], v[12:13]
	;; [unrolled: 1-line block ×4, first 2 shown]
	s_waitcnt vmcnt(2)
	v_add_f64 v[2:3], v[63:64], -v[2:3]
	s_waitcnt vmcnt(0)
	v_add_f64 v[4:5], v[65:66], -v[4:5]
	buffer_store_dword v3, off, s[0:3], 0 offset:724
	buffer_store_dword v2, off, s[0:3], 0 offset:720
	;; [unrolled: 1-line block ×4, first 2 shown]
	v_cmpx_lt_u32_e32 43, v0
	s_cbranch_execz .LBB51_239
; %bb.238:
	v_mov_b32_e32 v5, s18
	s_clause 0x3
	buffer_load_dword v2, v5, s[0:3], 0 offen
	buffer_load_dword v3, v5, s[0:3], 0 offen offset:4
	buffer_load_dword v4, v5, s[0:3], 0 offen offset:8
	;; [unrolled: 1-line block ×3, first 2 shown]
	buffer_store_dword v1, off, s[0:3], 0 offset:704
	buffer_store_dword v1, off, s[0:3], 0 offset:708
	buffer_store_dword v1, off, s[0:3], 0 offset:712
	buffer_store_dword v1, off, s[0:3], 0 offset:716
	s_waitcnt vmcnt(0)
	ds_write_b128 v39, v[2:5]
.LBB51_239:
	s_or_b32 exec_lo, exec_lo, s4
	s_waitcnt lgkmcnt(0)
	s_waitcnt_vscnt null, 0x0
	s_barrier
	buffer_gl0_inv
	s_clause 0x23
	buffer_load_dword v10, off, s[0:3], 0 offset:728
	buffer_load_dword v11, off, s[0:3], 0 offset:732
	;; [unrolled: 1-line block ×36, first 2 shown]
	ds_read_b128 v[2:5], v1 offset:1536
	ds_read_b128 v[6:9], v1 offset:1552
	s_mov_b32 s4, exec_lo
	s_waitcnt vmcnt(34) lgkmcnt(1)
	v_mul_f64 v[71:72], v[4:5], v[10:11]
	v_mul_f64 v[73:74], v[2:3], v[10:11]
	s_waitcnt vmcnt(32) lgkmcnt(0)
	v_mul_f64 v[75:76], v[8:9], v[14:15]
	ds_read_b128 v[10:13], v1 offset:1568
	v_mul_f64 v[14:15], v[6:7], v[14:15]
	s_waitcnt vmcnt(30)
	v_fma_f64 v[71:72], v[2:3], v[16:17], -v[71:72]
	v_fma_f64 v[16:17], v[4:5], v[16:17], v[73:74]
	ds_read_b128 v[2:5], v1 offset:1584
	s_waitcnt vmcnt(28) lgkmcnt(1)
	v_mul_f64 v[73:74], v[10:11], v[18:19]
	v_mul_f64 v[18:19], v[12:13], v[18:19]
	s_waitcnt vmcnt(26)
	v_fma_f64 v[75:76], v[6:7], v[20:21], -v[75:76]
	v_fma_f64 v[14:15], v[8:9], v[20:21], v[14:15]
	ds_read_b128 v[6:9], v1 offset:1600
	s_waitcnt vmcnt(22) lgkmcnt(1)
	v_mul_f64 v[20:21], v[2:3], v[22:23]
	v_add_f64 v[71:72], v[71:72], 0
	v_add_f64 v[16:17], v[16:17], 0
	v_mul_f64 v[22:23], v[4:5], v[22:23]
	s_waitcnt vmcnt(20)
	v_fma_f64 v[18:19], v[10:11], v[28:29], -v[18:19]
	v_fma_f64 v[28:29], v[12:13], v[28:29], v[73:74]
	ds_read_b128 v[10:13], v1 offset:1616
	s_waitcnt vmcnt(17)
	v_fma_f64 v[20:21], v[4:5], v[30:31], v[20:21]
	v_add_f64 v[71:72], v[71:72], v[75:76]
	v_add_f64 v[14:15], v[16:17], v[14:15]
	s_waitcnt lgkmcnt(1)
	v_mul_f64 v[16:17], v[6:7], v[24:25]
	v_mul_f64 v[24:25], v[8:9], v[24:25]
	v_fma_f64 v[22:23], v[2:3], v[30:31], -v[22:23]
	s_waitcnt vmcnt(13) lgkmcnt(0)
	v_mul_f64 v[30:31], v[12:13], v[32:33]
	ds_read_b128 v[2:5], v1 offset:1632
	v_add_f64 v[18:19], v[71:72], v[18:19]
	v_add_f64 v[14:15], v[14:15], v[28:29]
	v_mul_f64 v[28:29], v[10:11], v[32:33]
	s_waitcnt vmcnt(12)
	v_fma_f64 v[24:25], v[6:7], v[26:27], -v[24:25]
	v_fma_f64 v[16:17], v[8:9], v[26:27], v[16:17]
	ds_read_b128 v[6:9], v1 offset:1648
	s_waitcnt vmcnt(9)
	v_fma_f64 v[10:11], v[10:11], v[58:59], -v[30:31]
	v_add_f64 v[18:19], v[18:19], v[22:23]
	v_add_f64 v[14:15], v[14:15], v[20:21]
	s_waitcnt lgkmcnt(1)
	v_mul_f64 v[22:23], v[4:5], v[34:35]
	v_mul_f64 v[20:21], v[2:3], v[34:35]
	v_fma_f64 v[12:13], v[12:13], v[58:59], v[28:29]
	v_add_f64 v[18:19], v[18:19], v[24:25]
	v_add_f64 v[14:15], v[14:15], v[16:17]
	s_waitcnt vmcnt(7) lgkmcnt(0)
	v_mul_f64 v[24:25], v[8:9], v[63:64]
	s_waitcnt vmcnt(6)
	v_fma_f64 v[1:2], v[2:3], v[36:37], -v[22:23]
	v_mul_f64 v[16:17], v[6:7], v[63:64]
	v_fma_f64 v[3:4], v[4:5], v[36:37], v[20:21]
	v_add_f64 v[10:11], v[18:19], v[10:11]
	v_add_f64 v[12:13], v[14:15], v[12:13]
	s_waitcnt vmcnt(4)
	v_fma_f64 v[5:6], v[6:7], v[65:66], -v[24:25]
	v_fma_f64 v[7:8], v[8:9], v[65:66], v[16:17]
	v_add_f64 v[1:2], v[10:11], v[1:2]
	v_add_f64 v[3:4], v[12:13], v[3:4]
	;; [unrolled: 1-line block ×4, first 2 shown]
	s_waitcnt vmcnt(2)
	v_add_f64 v[1:2], v[67:68], -v[1:2]
	s_waitcnt vmcnt(0)
	v_add_f64 v[3:4], v[69:70], -v[3:4]
	buffer_store_dword v2, off, s[0:3], 0 offset:708
	buffer_store_dword v1, off, s[0:3], 0 offset:704
	;; [unrolled: 1-line block ×4, first 2 shown]
	v_cmpx_lt_u32_e32 42, v0
	s_cbranch_execz .LBB51_241
; %bb.240:
	v_mov_b32_e32 v4, s19
	v_mov_b32_e32 v5, 0
	s_clause 0x3
	buffer_load_dword v1, v4, s[0:3], 0 offen
	buffer_load_dword v2, v4, s[0:3], 0 offen offset:4
	buffer_load_dword v3, v4, s[0:3], 0 offen offset:8
	;; [unrolled: 1-line block ×3, first 2 shown]
	buffer_store_dword v5, off, s[0:3], 0 offset:688
	buffer_store_dword v5, off, s[0:3], 0 offset:692
	buffer_store_dword v5, off, s[0:3], 0 offset:696
	buffer_store_dword v5, off, s[0:3], 0 offset:700
	s_waitcnt vmcnt(0)
	ds_write_b128 v39, v[1:4]
.LBB51_241:
	s_or_b32 exec_lo, exec_lo, s4
	s_waitcnt lgkmcnt(0)
	s_waitcnt_vscnt null, 0x0
	s_barrier
	buffer_gl0_inv
	s_clause 0x27
	buffer_load_dword v10, off, s[0:3], 0 offset:712
	buffer_load_dword v11, off, s[0:3], 0 offset:716
	;; [unrolled: 1-line block ×40, first 2 shown]
	v_mov_b32_e32 v1, 0
	ds_read_b128 v[2:5], v1 offset:1520
	ds_read_b128 v[6:9], v1 offset:1536
	s_mov_b32 s4, exec_lo
	s_waitcnt vmcnt(38) lgkmcnt(1)
	v_mul_f64 v[75:76], v[4:5], v[10:11]
	v_mul_f64 v[77:78], v[2:3], v[10:11]
	s_waitcnt vmcnt(36) lgkmcnt(0)
	v_mul_f64 v[79:80], v[8:9], v[14:15]
	ds_read_b128 v[10:13], v1 offset:1552
	v_mul_f64 v[14:15], v[6:7], v[14:15]
	s_waitcnt vmcnt(34)
	v_fma_f64 v[75:76], v[2:3], v[16:17], -v[75:76]
	v_fma_f64 v[16:17], v[4:5], v[16:17], v[77:78]
	ds_read_b128 v[2:5], v1 offset:1568
	s_waitcnt vmcnt(32) lgkmcnt(1)
	v_mul_f64 v[77:78], v[10:11], v[18:19]
	v_mul_f64 v[18:19], v[12:13], v[18:19]
	s_waitcnt vmcnt(30)
	v_fma_f64 v[79:80], v[6:7], v[20:21], -v[79:80]
	v_fma_f64 v[14:15], v[8:9], v[20:21], v[14:15]
	ds_read_b128 v[6:9], v1 offset:1584
	s_waitcnt vmcnt(26) lgkmcnt(1)
	v_mul_f64 v[20:21], v[2:3], v[22:23]
	v_add_f64 v[75:76], v[75:76], 0
	v_add_f64 v[16:17], v[16:17], 0
	v_mul_f64 v[22:23], v[4:5], v[22:23]
	s_waitcnt vmcnt(24)
	v_fma_f64 v[18:19], v[10:11], v[28:29], -v[18:19]
	v_fma_f64 v[28:29], v[12:13], v[28:29], v[77:78]
	ds_read_b128 v[10:13], v1 offset:1600
	s_waitcnt vmcnt(21)
	v_fma_f64 v[20:21], v[4:5], v[30:31], v[20:21]
	v_add_f64 v[75:76], v[75:76], v[79:80]
	v_add_f64 v[14:15], v[16:17], v[14:15]
	s_waitcnt lgkmcnt(1)
	v_mul_f64 v[16:17], v[6:7], v[24:25]
	v_mul_f64 v[24:25], v[8:9], v[24:25]
	v_fma_f64 v[22:23], v[2:3], v[30:31], -v[22:23]
	s_waitcnt vmcnt(17) lgkmcnt(0)
	v_mul_f64 v[30:31], v[12:13], v[32:33]
	ds_read_b128 v[2:5], v1 offset:1616
	v_add_f64 v[18:19], v[75:76], v[18:19]
	v_add_f64 v[14:15], v[14:15], v[28:29]
	v_mul_f64 v[28:29], v[10:11], v[32:33]
	s_waitcnt vmcnt(16)
	v_fma_f64 v[24:25], v[6:7], v[26:27], -v[24:25]
	v_fma_f64 v[16:17], v[8:9], v[26:27], v[16:17]
	ds_read_b128 v[6:9], v1 offset:1632
	s_waitcnt vmcnt(13)
	v_fma_f64 v[26:27], v[10:11], v[58:59], -v[30:31]
	v_add_f64 v[18:19], v[18:19], v[22:23]
	v_add_f64 v[14:15], v[14:15], v[20:21]
	s_waitcnt lgkmcnt(1)
	v_mul_f64 v[22:23], v[4:5], v[34:35]
	v_mul_f64 v[20:21], v[2:3], v[34:35]
	v_add_f64 v[18:19], v[18:19], v[24:25]
	v_fma_f64 v[24:25], v[12:13], v[58:59], v[28:29]
	v_add_f64 v[14:15], v[14:15], v[16:17]
	s_waitcnt vmcnt(9) lgkmcnt(0)
	v_mul_f64 v[28:29], v[8:9], v[63:64]
	s_waitcnt vmcnt(8)
	v_fma_f64 v[2:3], v[2:3], v[36:37], -v[22:23]
	ds_read_b128 v[10:13], v1 offset:1648
	v_mul_f64 v[16:17], v[6:7], v[63:64]
	v_fma_f64 v[4:5], v[4:5], v[36:37], v[20:21]
	v_add_f64 v[18:19], v[18:19], v[26:27]
	v_add_f64 v[14:15], v[14:15], v[24:25]
	s_waitcnt vmcnt(7) lgkmcnt(0)
	v_mul_f64 v[22:23], v[12:13], v[65:66]
	s_waitcnt vmcnt(5)
	v_fma_f64 v[6:7], v[6:7], v[69:70], -v[28:29]
	v_mul_f64 v[20:21], v[10:11], v[65:66]
	v_fma_f64 v[8:9], v[8:9], v[69:70], v[16:17]
	v_add_f64 v[2:3], v[18:19], v[2:3]
	v_add_f64 v[4:5], v[14:15], v[4:5]
	s_waitcnt vmcnt(4)
	v_fma_f64 v[10:11], v[10:11], v[67:68], -v[22:23]
	v_add_f64 v[2:3], v[2:3], v[6:7]
	v_fma_f64 v[6:7], v[12:13], v[67:68], v[20:21]
	v_add_f64 v[4:5], v[4:5], v[8:9]
	v_add_f64 v[2:3], v[2:3], v[10:11]
	;; [unrolled: 1-line block ×3, first 2 shown]
	s_waitcnt vmcnt(2)
	v_add_f64 v[2:3], v[71:72], -v[2:3]
	s_waitcnt vmcnt(0)
	v_add_f64 v[4:5], v[73:74], -v[4:5]
	buffer_store_dword v3, off, s[0:3], 0 offset:692
	buffer_store_dword v2, off, s[0:3], 0 offset:688
	;; [unrolled: 1-line block ×4, first 2 shown]
	v_cmpx_lt_u32_e32 41, v0
	s_cbranch_execz .LBB51_243
; %bb.242:
	v_mov_b32_e32 v5, s22
	s_clause 0x3
	buffer_load_dword v2, v5, s[0:3], 0 offen
	buffer_load_dword v3, v5, s[0:3], 0 offen offset:4
	buffer_load_dword v4, v5, s[0:3], 0 offen offset:8
	;; [unrolled: 1-line block ×3, first 2 shown]
	buffer_store_dword v1, off, s[0:3], 0 offset:672
	buffer_store_dword v1, off, s[0:3], 0 offset:676
	;; [unrolled: 1-line block ×4, first 2 shown]
	s_waitcnt vmcnt(0)
	ds_write_b128 v39, v[2:5]
.LBB51_243:
	s_or_b32 exec_lo, exec_lo, s4
	s_waitcnt lgkmcnt(0)
	s_waitcnt_vscnt null, 0x0
	s_barrier
	buffer_gl0_inv
	s_clause 0x2b
	buffer_load_dword v10, off, s[0:3], 0 offset:696
	buffer_load_dword v11, off, s[0:3], 0 offset:700
	;; [unrolled: 1-line block ×44, first 2 shown]
	ds_read_b128 v[2:5], v1 offset:1504
	ds_read_b128 v[6:9], v1 offset:1520
	s_mov_b32 s4, exec_lo
	s_waitcnt vmcnt(42) lgkmcnt(1)
	v_mul_f64 v[79:80], v[4:5], v[10:11]
	v_mul_f64 v[81:82], v[2:3], v[10:11]
	s_waitcnt vmcnt(40) lgkmcnt(0)
	v_mul_f64 v[83:84], v[8:9], v[14:15]
	ds_read_b128 v[10:13], v1 offset:1536
	v_mul_f64 v[14:15], v[6:7], v[14:15]
	s_waitcnt vmcnt(38)
	v_fma_f64 v[79:80], v[2:3], v[16:17], -v[79:80]
	v_fma_f64 v[16:17], v[4:5], v[16:17], v[81:82]
	ds_read_b128 v[2:5], v1 offset:1552
	s_waitcnt vmcnt(36) lgkmcnt(1)
	v_mul_f64 v[81:82], v[10:11], v[18:19]
	v_mul_f64 v[18:19], v[12:13], v[18:19]
	s_waitcnt vmcnt(34)
	v_fma_f64 v[83:84], v[6:7], v[20:21], -v[83:84]
	v_fma_f64 v[14:15], v[8:9], v[20:21], v[14:15]
	ds_read_b128 v[6:9], v1 offset:1568
	s_waitcnt vmcnt(30) lgkmcnt(1)
	v_mul_f64 v[20:21], v[2:3], v[22:23]
	v_add_f64 v[79:80], v[79:80], 0
	v_add_f64 v[16:17], v[16:17], 0
	v_mul_f64 v[22:23], v[4:5], v[22:23]
	s_waitcnt vmcnt(28)
	v_fma_f64 v[18:19], v[10:11], v[28:29], -v[18:19]
	v_fma_f64 v[28:29], v[12:13], v[28:29], v[81:82]
	ds_read_b128 v[10:13], v1 offset:1584
	s_waitcnt vmcnt(25)
	v_fma_f64 v[20:21], v[4:5], v[30:31], v[20:21]
	v_add_f64 v[79:80], v[79:80], v[83:84]
	v_add_f64 v[14:15], v[16:17], v[14:15]
	s_waitcnt lgkmcnt(1)
	v_mul_f64 v[16:17], v[6:7], v[24:25]
	v_mul_f64 v[24:25], v[8:9], v[24:25]
	v_fma_f64 v[22:23], v[2:3], v[30:31], -v[22:23]
	s_waitcnt vmcnt(21) lgkmcnt(0)
	v_mul_f64 v[30:31], v[12:13], v[32:33]
	ds_read_b128 v[2:5], v1 offset:1600
	v_add_f64 v[18:19], v[79:80], v[18:19]
	v_add_f64 v[14:15], v[14:15], v[28:29]
	v_mul_f64 v[28:29], v[10:11], v[32:33]
	s_waitcnt vmcnt(20)
	v_fma_f64 v[24:25], v[6:7], v[26:27], -v[24:25]
	v_fma_f64 v[16:17], v[8:9], v[26:27], v[16:17]
	ds_read_b128 v[6:9], v1 offset:1616
	s_waitcnt vmcnt(17)
	v_fma_f64 v[26:27], v[10:11], v[58:59], -v[30:31]
	v_add_f64 v[18:19], v[18:19], v[22:23]
	v_add_f64 v[14:15], v[14:15], v[20:21]
	s_waitcnt lgkmcnt(1)
	v_mul_f64 v[22:23], v[4:5], v[34:35]
	v_mul_f64 v[20:21], v[2:3], v[34:35]
	v_add_f64 v[18:19], v[18:19], v[24:25]
	v_fma_f64 v[24:25], v[12:13], v[58:59], v[28:29]
	v_add_f64 v[14:15], v[14:15], v[16:17]
	s_waitcnt vmcnt(13) lgkmcnt(0)
	v_mul_f64 v[28:29], v[8:9], v[63:64]
	s_waitcnt vmcnt(12)
	v_fma_f64 v[22:23], v[2:3], v[36:37], -v[22:23]
	ds_read_b128 v[10:13], v1 offset:1632
	v_mul_f64 v[16:17], v[6:7], v[63:64]
	v_fma_f64 v[20:21], v[4:5], v[36:37], v[20:21]
	ds_read_b128 v[1:4], v1 offset:1648
	v_add_f64 v[18:19], v[18:19], v[26:27]
	v_add_f64 v[14:15], v[14:15], v[24:25]
	s_waitcnt vmcnt(11) lgkmcnt(1)
	v_mul_f64 v[26:27], v[12:13], v[65:66]
	s_waitcnt vmcnt(9)
	v_fma_f64 v[5:6], v[6:7], v[69:70], -v[28:29]
	v_mul_f64 v[24:25], v[10:11], v[65:66]
	v_fma_f64 v[7:8], v[8:9], v[69:70], v[16:17]
	s_waitcnt vmcnt(7) lgkmcnt(0)
	v_mul_f64 v[16:17], v[1:2], v[71:72]
	v_add_f64 v[18:19], v[18:19], v[22:23]
	v_add_f64 v[14:15], v[14:15], v[20:21]
	v_mul_f64 v[20:21], v[3:4], v[71:72]
	s_waitcnt vmcnt(6)
	v_fma_f64 v[9:10], v[10:11], v[67:68], -v[26:27]
	v_fma_f64 v[11:12], v[12:13], v[67:68], v[24:25]
	s_waitcnt vmcnt(4)
	v_fma_f64 v[3:4], v[3:4], v[73:74], v[16:17]
	v_add_f64 v[5:6], v[18:19], v[5:6]
	v_add_f64 v[7:8], v[14:15], v[7:8]
	v_fma_f64 v[1:2], v[1:2], v[73:74], -v[20:21]
	v_add_f64 v[5:6], v[5:6], v[9:10]
	v_add_f64 v[7:8], v[7:8], v[11:12]
	;; [unrolled: 1-line block ×4, first 2 shown]
	s_waitcnt vmcnt(2)
	v_add_f64 v[1:2], v[75:76], -v[1:2]
	s_waitcnt vmcnt(0)
	v_add_f64 v[3:4], v[77:78], -v[3:4]
	buffer_store_dword v2, off, s[0:3], 0 offset:676
	buffer_store_dword v1, off, s[0:3], 0 offset:672
	;; [unrolled: 1-line block ×4, first 2 shown]
	v_cmpx_lt_u32_e32 40, v0
	s_cbranch_execz .LBB51_245
; %bb.244:
	v_mov_b32_e32 v4, s23
	v_mov_b32_e32 v5, 0
	s_clause 0x3
	buffer_load_dword v1, v4, s[0:3], 0 offen
	buffer_load_dword v2, v4, s[0:3], 0 offen offset:4
	buffer_load_dword v3, v4, s[0:3], 0 offen offset:8
	;; [unrolled: 1-line block ×3, first 2 shown]
	buffer_store_dword v5, off, s[0:3], 0 offset:656
	buffer_store_dword v5, off, s[0:3], 0 offset:660
	;; [unrolled: 1-line block ×4, first 2 shown]
	s_waitcnt vmcnt(0)
	ds_write_b128 v39, v[1:4]
.LBB51_245:
	s_or_b32 exec_lo, exec_lo, s4
	s_waitcnt lgkmcnt(0)
	s_waitcnt_vscnt null, 0x0
	s_barrier
	buffer_gl0_inv
	s_clause 0x2f
	buffer_load_dword v10, off, s[0:3], 0 offset:680
	buffer_load_dword v11, off, s[0:3], 0 offset:684
	buffer_load_dword v14, off, s[0:3], 0 offset:696
	buffer_load_dword v15, off, s[0:3], 0 offset:700
	buffer_load_dword v16, off, s[0:3], 0 offset:672
	buffer_load_dword v17, off, s[0:3], 0 offset:676
	buffer_load_dword v18, off, s[0:3], 0 offset:712
	buffer_load_dword v19, off, s[0:3], 0 offset:716
	buffer_load_dword v20, off, s[0:3], 0 offset:688
	buffer_load_dword v21, off, s[0:3], 0 offset:692
	buffer_load_dword v23, off, s[0:3], 0 offset:732
	buffer_load_dword v24, off, s[0:3], 0 offset:744
	buffer_load_dword v26, off, s[0:3], 0 offset:736
	buffer_load_dword v22, off, s[0:3], 0 offset:728
	buffer_load_dword v28, off, s[0:3], 0 offset:704
	buffer_load_dword v29, off, s[0:3], 0 offset:708
	buffer_load_dword v25, off, s[0:3], 0 offset:748
	buffer_load_dword v31, off, s[0:3], 0 offset:724
	buffer_load_dword v30, off, s[0:3], 0 offset:720
	buffer_load_dword v33, off, s[0:3], 0 offset:764
	buffer_load_dword v34, off, s[0:3], 0 offset:776
	buffer_load_dword v36, off, s[0:3], 0 offset:768
	buffer_load_dword v32, off, s[0:3], 0 offset:760
	buffer_load_dword v27, off, s[0:3], 0 offset:740
	buffer_load_dword v35, off, s[0:3], 0 offset:780
	buffer_load_dword v59, off, s[0:3], 0 offset:756
	buffer_load_dword v58, off, s[0:3], 0 offset:752
	buffer_load_dword v64, off, s[0:3], 0 offset:796
	buffer_load_dword v65, off, s[0:3], 0 offset:808
	buffer_load_dword v67, off, s[0:3], 0 offset:800
	buffer_load_dword v63, off, s[0:3], 0 offset:792
	buffer_load_dword v37, off, s[0:3], 0 offset:772
	buffer_load_dword v66, off, s[0:3], 0 offset:812
	buffer_load_dword v70, off, s[0:3], 0 offset:788
	buffer_load_dword v69, off, s[0:3], 0 offset:784
	buffer_load_dword v72, off, s[0:3], 0 offset:828
	buffer_load_dword v73, off, s[0:3], 0 offset:840
	buffer_load_dword v75, off, s[0:3], 0 offset:832
	buffer_load_dword v71, off, s[0:3], 0 offset:824
	buffer_load_dword v68, off, s[0:3], 0 offset:804
	buffer_load_dword v74, off, s[0:3], 0 offset:844
	buffer_load_dword v78, off, s[0:3], 0 offset:820
	buffer_load_dword v77, off, s[0:3], 0 offset:816
	buffer_load_dword v76, off, s[0:3], 0 offset:836
	buffer_load_dword v79, off, s[0:3], 0 offset:656
	buffer_load_dword v80, off, s[0:3], 0 offset:660
	buffer_load_dword v81, off, s[0:3], 0 offset:664
	buffer_load_dword v82, off, s[0:3], 0 offset:668
	v_mov_b32_e32 v1, 0
	ds_read_b128 v[2:5], v1 offset:1488
	ds_read_b128 v[6:9], v1 offset:1504
	s_mov_b32 s4, exec_lo
	s_waitcnt vmcnt(46) lgkmcnt(1)
	v_mul_f64 v[83:84], v[4:5], v[10:11]
	v_mul_f64 v[85:86], v[2:3], v[10:11]
	s_waitcnt vmcnt(44) lgkmcnt(0)
	v_mul_f64 v[87:88], v[8:9], v[14:15]
	ds_read_b128 v[10:13], v1 offset:1520
	v_mul_f64 v[14:15], v[6:7], v[14:15]
	s_waitcnt vmcnt(42)
	v_fma_f64 v[83:84], v[2:3], v[16:17], -v[83:84]
	v_fma_f64 v[16:17], v[4:5], v[16:17], v[85:86]
	ds_read_b128 v[2:5], v1 offset:1536
	s_waitcnt vmcnt(40) lgkmcnt(1)
	v_mul_f64 v[85:86], v[10:11], v[18:19]
	v_mul_f64 v[18:19], v[12:13], v[18:19]
	s_waitcnt vmcnt(38)
	v_fma_f64 v[87:88], v[6:7], v[20:21], -v[87:88]
	v_fma_f64 v[14:15], v[8:9], v[20:21], v[14:15]
	ds_read_b128 v[6:9], v1 offset:1552
	s_waitcnt vmcnt(34) lgkmcnt(1)
	v_mul_f64 v[20:21], v[2:3], v[22:23]
	v_add_f64 v[83:84], v[83:84], 0
	v_add_f64 v[16:17], v[16:17], 0
	v_mul_f64 v[22:23], v[4:5], v[22:23]
	s_waitcnt vmcnt(32)
	v_fma_f64 v[18:19], v[10:11], v[28:29], -v[18:19]
	v_fma_f64 v[28:29], v[12:13], v[28:29], v[85:86]
	ds_read_b128 v[10:13], v1 offset:1568
	s_waitcnt vmcnt(29)
	v_fma_f64 v[20:21], v[4:5], v[30:31], v[20:21]
	v_add_f64 v[83:84], v[83:84], v[87:88]
	v_add_f64 v[14:15], v[16:17], v[14:15]
	s_waitcnt lgkmcnt(1)
	v_mul_f64 v[16:17], v[6:7], v[24:25]
	v_mul_f64 v[24:25], v[8:9], v[24:25]
	v_fma_f64 v[22:23], v[2:3], v[30:31], -v[22:23]
	s_waitcnt vmcnt(25) lgkmcnt(0)
	v_mul_f64 v[30:31], v[12:13], v[32:33]
	ds_read_b128 v[2:5], v1 offset:1584
	v_add_f64 v[18:19], v[83:84], v[18:19]
	v_add_f64 v[14:15], v[14:15], v[28:29]
	v_mul_f64 v[28:29], v[10:11], v[32:33]
	s_waitcnt vmcnt(24)
	v_fma_f64 v[24:25], v[6:7], v[26:27], -v[24:25]
	v_fma_f64 v[16:17], v[8:9], v[26:27], v[16:17]
	ds_read_b128 v[6:9], v1 offset:1600
	s_waitcnt vmcnt(21)
	v_fma_f64 v[26:27], v[10:11], v[58:59], -v[30:31]
	v_add_f64 v[18:19], v[18:19], v[22:23]
	v_add_f64 v[14:15], v[14:15], v[20:21]
	s_waitcnt lgkmcnt(1)
	v_mul_f64 v[22:23], v[4:5], v[34:35]
	v_mul_f64 v[20:21], v[2:3], v[34:35]
	v_add_f64 v[18:19], v[18:19], v[24:25]
	v_fma_f64 v[24:25], v[12:13], v[58:59], v[28:29]
	v_add_f64 v[14:15], v[14:15], v[16:17]
	s_waitcnt vmcnt(17) lgkmcnt(0)
	v_mul_f64 v[28:29], v[8:9], v[63:64]
	s_waitcnt vmcnt(16)
	v_fma_f64 v[22:23], v[2:3], v[36:37], -v[22:23]
	ds_read_b128 v[10:13], v1 offset:1616
	v_mul_f64 v[16:17], v[6:7], v[63:64]
	v_fma_f64 v[20:21], v[4:5], v[36:37], v[20:21]
	ds_read_b128 v[2:5], v1 offset:1632
	v_add_f64 v[18:19], v[18:19], v[26:27]
	v_add_f64 v[14:15], v[14:15], v[24:25]
	s_waitcnt vmcnt(15) lgkmcnt(1)
	v_mul_f64 v[26:27], v[12:13], v[65:66]
	s_waitcnt vmcnt(13)
	v_fma_f64 v[28:29], v[6:7], v[69:70], -v[28:29]
	v_mul_f64 v[24:25], v[10:11], v[65:66]
	v_fma_f64 v[16:17], v[8:9], v[69:70], v[16:17]
	ds_read_b128 v[6:9], v1 offset:1648
	v_add_f64 v[18:19], v[18:19], v[22:23]
	s_waitcnt vmcnt(9) lgkmcnt(1)
	v_mul_f64 v[22:23], v[4:5], v[71:72]
	v_add_f64 v[14:15], v[14:15], v[20:21]
	s_waitcnt vmcnt(8)
	v_fma_f64 v[10:11], v[10:11], v[67:68], -v[26:27]
	v_mul_f64 v[20:21], v[2:3], v[71:72]
	v_fma_f64 v[12:13], v[12:13], v[67:68], v[24:25]
	s_waitcnt vmcnt(7) lgkmcnt(0)
	v_mul_f64 v[24:25], v[8:9], v[73:74]
	v_add_f64 v[18:19], v[18:19], v[28:29]
	s_waitcnt vmcnt(5)
	v_fma_f64 v[2:3], v[2:3], v[77:78], -v[22:23]
	v_add_f64 v[14:15], v[14:15], v[16:17]
	v_mul_f64 v[16:17], v[6:7], v[73:74]
	v_fma_f64 v[4:5], v[4:5], v[77:78], v[20:21]
	s_waitcnt vmcnt(4)
	v_fma_f64 v[6:7], v[6:7], v[75:76], -v[24:25]
	v_add_f64 v[10:11], v[18:19], v[10:11]
	v_add_f64 v[12:13], v[14:15], v[12:13]
	v_fma_f64 v[8:9], v[8:9], v[75:76], v[16:17]
	v_add_f64 v[2:3], v[10:11], v[2:3]
	v_add_f64 v[4:5], v[12:13], v[4:5]
	;; [unrolled: 1-line block ×4, first 2 shown]
	s_waitcnt vmcnt(2)
	v_add_f64 v[2:3], v[79:80], -v[2:3]
	s_waitcnt vmcnt(0)
	v_add_f64 v[4:5], v[81:82], -v[4:5]
	buffer_store_dword v3, off, s[0:3], 0 offset:660
	buffer_store_dword v2, off, s[0:3], 0 offset:656
	;; [unrolled: 1-line block ×4, first 2 shown]
	v_cmpx_lt_u32_e32 39, v0
	s_cbranch_execz .LBB51_247
; %bb.246:
	v_mov_b32_e32 v5, s24
	s_clause 0x3
	buffer_load_dword v2, v5, s[0:3], 0 offen
	buffer_load_dword v3, v5, s[0:3], 0 offen offset:4
	buffer_load_dword v4, v5, s[0:3], 0 offen offset:8
	;; [unrolled: 1-line block ×3, first 2 shown]
	buffer_store_dword v1, off, s[0:3], 0 offset:640
	buffer_store_dword v1, off, s[0:3], 0 offset:644
	;; [unrolled: 1-line block ×4, first 2 shown]
	s_waitcnt vmcnt(0)
	ds_write_b128 v39, v[2:5]
.LBB51_247:
	s_or_b32 exec_lo, exec_lo, s4
	s_waitcnt lgkmcnt(0)
	s_waitcnt_vscnt null, 0x0
	s_barrier
	buffer_gl0_inv
	s_clause 0x2f
	buffer_load_dword v10, off, s[0:3], 0 offset:664
	buffer_load_dword v11, off, s[0:3], 0 offset:668
	;; [unrolled: 1-line block ×48, first 2 shown]
	ds_read_b128 v[2:5], v1 offset:1472
	s_clause 0x3
	buffer_load_dword v83, off, s[0:3], 0 offset:640
	buffer_load_dword v84, off, s[0:3], 0 offset:644
	;; [unrolled: 1-line block ×4, first 2 shown]
	ds_read_b128 v[6:9], v1 offset:1488
	s_mov_b32 s4, exec_lo
	s_waitcnt vmcnt(50) lgkmcnt(1)
	v_mul_f64 v[87:88], v[4:5], v[10:11]
	v_mul_f64 v[89:90], v[2:3], v[10:11]
	ds_read_b128 v[10:13], v1 offset:1504
	s_waitcnt vmcnt(48) lgkmcnt(1)
	v_mul_f64 v[91:92], v[8:9], v[14:15]
	v_mul_f64 v[14:15], v[6:7], v[14:15]
	s_waitcnt vmcnt(46)
	v_fma_f64 v[87:88], v[2:3], v[16:17], -v[87:88]
	v_fma_f64 v[16:17], v[4:5], v[16:17], v[89:90]
	s_waitcnt vmcnt(44) lgkmcnt(0)
	v_mul_f64 v[89:90], v[10:11], v[18:19]
	v_mul_f64 v[18:19], v[12:13], v[18:19]
	s_waitcnt vmcnt(42)
	v_fma_f64 v[91:92], v[6:7], v[20:21], -v[91:92]
	ds_read_b128 v[2:5], v1 offset:1520
	v_fma_f64 v[14:15], v[8:9], v[20:21], v[14:15]
	ds_read_b128 v[6:9], v1 offset:1536
	v_add_f64 v[87:88], v[87:88], 0
	v_add_f64 v[16:17], v[16:17], 0
	s_waitcnt vmcnt(38) lgkmcnt(1)
	v_mul_f64 v[20:21], v[2:3], v[22:23]
	v_mul_f64 v[22:23], v[4:5], v[22:23]
	s_waitcnt vmcnt(36)
	v_fma_f64 v[18:19], v[10:11], v[28:29], -v[18:19]
	v_fma_f64 v[28:29], v[12:13], v[28:29], v[89:90]
	ds_read_b128 v[10:13], v1 offset:1552
	v_add_f64 v[87:88], v[87:88], v[91:92]
	v_add_f64 v[14:15], v[16:17], v[14:15]
	s_waitcnt vmcnt(35) lgkmcnt(1)
	v_mul_f64 v[16:17], v[6:7], v[24:25]
	v_mul_f64 v[24:25], v[8:9], v[24:25]
	s_waitcnt vmcnt(33)
	v_fma_f64 v[22:23], v[2:3], v[30:31], -v[22:23]
	v_fma_f64 v[20:21], v[4:5], v[30:31], v[20:21]
	ds_read_b128 v[2:5], v1 offset:1568
	s_waitcnt vmcnt(29) lgkmcnt(1)
	v_mul_f64 v[30:31], v[12:13], v[32:33]
	v_add_f64 v[18:19], v[87:88], v[18:19]
	v_add_f64 v[14:15], v[14:15], v[28:29]
	v_mul_f64 v[28:29], v[10:11], v[32:33]
	s_waitcnt vmcnt(28)
	v_fma_f64 v[24:25], v[6:7], v[26:27], -v[24:25]
	v_fma_f64 v[16:17], v[8:9], v[26:27], v[16:17]
	ds_read_b128 v[6:9], v1 offset:1584
	s_waitcnt vmcnt(25)
	v_fma_f64 v[26:27], v[10:11], v[58:59], -v[30:31]
	v_add_f64 v[18:19], v[18:19], v[22:23]
	v_add_f64 v[14:15], v[14:15], v[20:21]
	s_waitcnt lgkmcnt(1)
	v_mul_f64 v[22:23], v[4:5], v[34:35]
	v_mul_f64 v[20:21], v[2:3], v[34:35]
	v_add_f64 v[18:19], v[18:19], v[24:25]
	v_fma_f64 v[24:25], v[12:13], v[58:59], v[28:29]
	v_add_f64 v[14:15], v[14:15], v[16:17]
	ds_read_b128 v[10:13], v1 offset:1600
	s_waitcnt vmcnt(21) lgkmcnt(1)
	v_mul_f64 v[28:29], v[8:9], v[63:64]
	s_waitcnt vmcnt(20)
	v_fma_f64 v[22:23], v[2:3], v[36:37], -v[22:23]
	v_mul_f64 v[16:17], v[6:7], v[63:64]
	v_fma_f64 v[20:21], v[4:5], v[36:37], v[20:21]
	ds_read_b128 v[2:5], v1 offset:1616
	v_add_f64 v[18:19], v[18:19], v[26:27]
	s_waitcnt vmcnt(19) lgkmcnt(1)
	v_mul_f64 v[26:27], v[12:13], v[65:66]
	v_add_f64 v[14:15], v[14:15], v[24:25]
	v_mul_f64 v[24:25], v[10:11], v[65:66]
	s_waitcnt vmcnt(17)
	v_fma_f64 v[28:29], v[6:7], v[69:70], -v[28:29]
	v_fma_f64 v[16:17], v[8:9], v[69:70], v[16:17]
	ds_read_b128 v[6:9], v1 offset:1632
	v_add_f64 v[18:19], v[18:19], v[22:23]
	s_waitcnt vmcnt(13) lgkmcnt(1)
	v_mul_f64 v[22:23], v[4:5], v[71:72]
	v_add_f64 v[14:15], v[14:15], v[20:21]
	s_waitcnt vmcnt(12)
	v_fma_f64 v[26:27], v[10:11], v[67:68], -v[26:27]
	v_mul_f64 v[20:21], v[2:3], v[71:72]
	v_fma_f64 v[24:25], v[12:13], v[67:68], v[24:25]
	ds_read_b128 v[10:13], v1 offset:1648
	v_add_f64 v[18:19], v[18:19], v[28:29]
	s_waitcnt vmcnt(11) lgkmcnt(1)
	v_mul_f64 v[28:29], v[8:9], v[73:74]
	v_add_f64 v[14:15], v[14:15], v[16:17]
	s_waitcnt vmcnt(9)
	v_fma_f64 v[1:2], v[2:3], v[77:78], -v[22:23]
	v_mul_f64 v[16:17], v[6:7], v[73:74]
	v_fma_f64 v[3:4], v[4:5], v[77:78], v[20:21]
	s_waitcnt vmcnt(7) lgkmcnt(0)
	v_mul_f64 v[22:23], v[12:13], v[79:80]
	v_mul_f64 v[20:21], v[10:11], v[79:80]
	v_add_f64 v[18:19], v[18:19], v[26:27]
	s_waitcnt vmcnt(6)
	v_fma_f64 v[5:6], v[6:7], v[75:76], -v[28:29]
	v_add_f64 v[14:15], v[14:15], v[24:25]
	v_fma_f64 v[7:8], v[8:9], v[75:76], v[16:17]
	s_waitcnt vmcnt(4)
	v_fma_f64 v[9:10], v[10:11], v[81:82], -v[22:23]
	v_add_f64 v[1:2], v[18:19], v[1:2]
	v_add_f64 v[3:4], v[14:15], v[3:4]
	;; [unrolled: 1-line block ×3, first 2 shown]
	v_fma_f64 v[5:6], v[12:13], v[81:82], v[20:21]
	v_add_f64 v[3:4], v[3:4], v[7:8]
	v_add_f64 v[1:2], v[1:2], v[9:10]
	;; [unrolled: 1-line block ×3, first 2 shown]
	s_waitcnt vmcnt(2)
	v_add_f64 v[1:2], v[83:84], -v[1:2]
	s_waitcnt vmcnt(0)
	v_add_f64 v[3:4], v[85:86], -v[3:4]
	buffer_store_dword v2, off, s[0:3], 0 offset:644
	buffer_store_dword v1, off, s[0:3], 0 offset:640
	buffer_store_dword v4, off, s[0:3], 0 offset:652
	buffer_store_dword v3, off, s[0:3], 0 offset:648
	v_cmpx_lt_u32_e32 38, v0
	s_cbranch_execz .LBB51_249
; %bb.248:
	v_mov_b32_e32 v4, s25
	v_mov_b32_e32 v5, 0
	s_clause 0x3
	buffer_load_dword v1, v4, s[0:3], 0 offen
	buffer_load_dword v2, v4, s[0:3], 0 offen offset:4
	buffer_load_dword v3, v4, s[0:3], 0 offen offset:8
	;; [unrolled: 1-line block ×3, first 2 shown]
	buffer_store_dword v5, off, s[0:3], 0 offset:624
	buffer_store_dword v5, off, s[0:3], 0 offset:628
	;; [unrolled: 1-line block ×4, first 2 shown]
	s_waitcnt vmcnt(0)
	ds_write_b128 v39, v[1:4]
.LBB51_249:
	s_or_b32 exec_lo, exec_lo, s4
	s_waitcnt lgkmcnt(0)
	s_waitcnt_vscnt null, 0x0
	s_barrier
	buffer_gl0_inv
	s_clause 0x33
	buffer_load_dword v10, off, s[0:3], 0 offset:648
	buffer_load_dword v11, off, s[0:3], 0 offset:652
	;; [unrolled: 1-line block ×52, first 2 shown]
	v_mov_b32_e32 v1, 0
	ds_read_b128 v[2:5], v1 offset:1456
	ds_read_b128 v[6:9], v1 offset:1472
	s_clause 0x3
	buffer_load_dword v91, off, s[0:3], 0 offset:624
	buffer_load_dword v92, off, s[0:3], 0 offset:628
	;; [unrolled: 1-line block ×4, first 2 shown]
	s_mov_b32 s4, exec_lo
	s_waitcnt vmcnt(54) lgkmcnt(1)
	v_mul_f64 v[87:88], v[4:5], v[10:11]
	v_mul_f64 v[89:90], v[2:3], v[10:11]
	s_waitcnt vmcnt(52) lgkmcnt(0)
	v_mul_f64 v[95:96], v[8:9], v[14:15]
	ds_read_b128 v[10:13], v1 offset:1488
	v_mul_f64 v[14:15], v[6:7], v[14:15]
	s_waitcnt vmcnt(50)
	v_fma_f64 v[87:88], v[2:3], v[16:17], -v[87:88]
	v_fma_f64 v[16:17], v[4:5], v[16:17], v[89:90]
	ds_read_b128 v[2:5], v1 offset:1504
	s_waitcnt vmcnt(48) lgkmcnt(1)
	v_mul_f64 v[89:90], v[10:11], v[18:19]
	v_mul_f64 v[18:19], v[12:13], v[18:19]
	s_waitcnt vmcnt(46)
	v_fma_f64 v[95:96], v[6:7], v[20:21], -v[95:96]
	v_fma_f64 v[14:15], v[8:9], v[20:21], v[14:15]
	ds_read_b128 v[6:9], v1 offset:1520
	s_waitcnt vmcnt(42) lgkmcnt(1)
	v_mul_f64 v[20:21], v[2:3], v[22:23]
	v_add_f64 v[87:88], v[87:88], 0
	v_add_f64 v[16:17], v[16:17], 0
	v_mul_f64 v[22:23], v[4:5], v[22:23]
	s_waitcnt vmcnt(40)
	v_fma_f64 v[18:19], v[10:11], v[28:29], -v[18:19]
	v_fma_f64 v[28:29], v[12:13], v[28:29], v[89:90]
	ds_read_b128 v[10:13], v1 offset:1536
	s_waitcnt vmcnt(37)
	v_fma_f64 v[20:21], v[4:5], v[30:31], v[20:21]
	v_add_f64 v[87:88], v[87:88], v[95:96]
	v_add_f64 v[14:15], v[16:17], v[14:15]
	s_waitcnt lgkmcnt(1)
	v_mul_f64 v[16:17], v[6:7], v[24:25]
	v_mul_f64 v[24:25], v[8:9], v[24:25]
	v_fma_f64 v[22:23], v[2:3], v[30:31], -v[22:23]
	s_waitcnt vmcnt(33) lgkmcnt(0)
	v_mul_f64 v[30:31], v[12:13], v[32:33]
	ds_read_b128 v[2:5], v1 offset:1552
	v_add_f64 v[18:19], v[87:88], v[18:19]
	v_add_f64 v[14:15], v[14:15], v[28:29]
	v_mul_f64 v[28:29], v[10:11], v[32:33]
	s_waitcnt vmcnt(32)
	v_fma_f64 v[24:25], v[6:7], v[26:27], -v[24:25]
	v_fma_f64 v[16:17], v[8:9], v[26:27], v[16:17]
	ds_read_b128 v[6:9], v1 offset:1568
	s_waitcnt vmcnt(29)
	v_fma_f64 v[26:27], v[10:11], v[58:59], -v[30:31]
	v_add_f64 v[18:19], v[18:19], v[22:23]
	v_add_f64 v[14:15], v[14:15], v[20:21]
	s_waitcnt lgkmcnt(1)
	v_mul_f64 v[22:23], v[4:5], v[34:35]
	v_mul_f64 v[20:21], v[2:3], v[34:35]
	v_add_f64 v[18:19], v[18:19], v[24:25]
	v_fma_f64 v[24:25], v[12:13], v[58:59], v[28:29]
	v_add_f64 v[14:15], v[14:15], v[16:17]
	s_waitcnt vmcnt(25) lgkmcnt(0)
	v_mul_f64 v[28:29], v[8:9], v[63:64]
	s_waitcnt vmcnt(24)
	v_fma_f64 v[22:23], v[2:3], v[36:37], -v[22:23]
	ds_read_b128 v[10:13], v1 offset:1584
	v_mul_f64 v[16:17], v[6:7], v[63:64]
	v_fma_f64 v[20:21], v[4:5], v[36:37], v[20:21]
	ds_read_b128 v[2:5], v1 offset:1600
	v_add_f64 v[18:19], v[18:19], v[26:27]
	v_add_f64 v[14:15], v[14:15], v[24:25]
	s_waitcnt vmcnt(23) lgkmcnt(1)
	v_mul_f64 v[26:27], v[12:13], v[65:66]
	s_waitcnt vmcnt(21)
	v_fma_f64 v[28:29], v[6:7], v[69:70], -v[28:29]
	v_mul_f64 v[24:25], v[10:11], v[65:66]
	v_fma_f64 v[16:17], v[8:9], v[69:70], v[16:17]
	ds_read_b128 v[6:9], v1 offset:1616
	v_add_f64 v[18:19], v[18:19], v[22:23]
	s_waitcnt vmcnt(17) lgkmcnt(1)
	v_mul_f64 v[22:23], v[4:5], v[71:72]
	v_add_f64 v[14:15], v[14:15], v[20:21]
	s_waitcnt vmcnt(16)
	v_fma_f64 v[26:27], v[10:11], v[67:68], -v[26:27]
	v_mul_f64 v[20:21], v[2:3], v[71:72]
	v_fma_f64 v[24:25], v[12:13], v[67:68], v[24:25]
	ds_read_b128 v[10:13], v1 offset:1632
	v_add_f64 v[18:19], v[18:19], v[28:29]
	s_waitcnt vmcnt(15) lgkmcnt(1)
	v_mul_f64 v[28:29], v[8:9], v[73:74]
	v_add_f64 v[14:15], v[14:15], v[16:17]
	;; [unrolled: 9-line block ×3, first 2 shown]
	s_waitcnt vmcnt(8)
	v_fma_f64 v[6:7], v[6:7], v[75:76], -v[28:29]
	v_mul_f64 v[24:25], v[10:11], v[79:80]
	v_fma_f64 v[8:9], v[8:9], v[75:76], v[16:17]
	s_waitcnt vmcnt(7) lgkmcnt(0)
	v_mul_f64 v[16:17], v[2:3], v[81:82]
	v_add_f64 v[18:19], v[18:19], v[22:23]
	s_waitcnt vmcnt(5)
	v_fma_f64 v[10:11], v[10:11], v[85:86], -v[26:27]
	v_add_f64 v[14:15], v[14:15], v[20:21]
	v_mul_f64 v[20:21], v[4:5], v[81:82]
	v_fma_f64 v[12:13], v[12:13], v[85:86], v[24:25]
	s_waitcnt vmcnt(4)
	v_fma_f64 v[4:5], v[4:5], v[83:84], v[16:17]
	v_add_f64 v[6:7], v[18:19], v[6:7]
	v_add_f64 v[8:9], v[14:15], v[8:9]
	v_fma_f64 v[2:3], v[2:3], v[83:84], -v[20:21]
	v_add_f64 v[6:7], v[6:7], v[10:11]
	v_add_f64 v[8:9], v[8:9], v[12:13]
	;; [unrolled: 1-line block ×4, first 2 shown]
	s_waitcnt vmcnt(2)
	v_add_f64 v[2:3], v[91:92], -v[2:3]
	s_waitcnt vmcnt(0)
	v_add_f64 v[4:5], v[93:94], -v[4:5]
	buffer_store_dword v3, off, s[0:3], 0 offset:628
	buffer_store_dword v2, off, s[0:3], 0 offset:624
	;; [unrolled: 1-line block ×4, first 2 shown]
	v_cmpx_lt_u32_e32 37, v0
	s_cbranch_execz .LBB51_251
; %bb.250:
	v_mov_b32_e32 v5, s26
	s_clause 0x3
	buffer_load_dword v2, v5, s[0:3], 0 offen
	buffer_load_dword v3, v5, s[0:3], 0 offen offset:4
	buffer_load_dword v4, v5, s[0:3], 0 offen offset:8
	;; [unrolled: 1-line block ×3, first 2 shown]
	buffer_store_dword v1, off, s[0:3], 0 offset:608
	buffer_store_dword v1, off, s[0:3], 0 offset:612
	;; [unrolled: 1-line block ×4, first 2 shown]
	s_waitcnt vmcnt(0)
	ds_write_b128 v39, v[2:5]
.LBB51_251:
	s_or_b32 exec_lo, exec_lo, s4
	s_waitcnt lgkmcnt(0)
	s_waitcnt_vscnt null, 0x0
	s_barrier
	buffer_gl0_inv
	s_clause 0x35
	buffer_load_dword v10, off, s[0:3], 0 offset:632
	buffer_load_dword v11, off, s[0:3], 0 offset:636
	;; [unrolled: 1-line block ×54, first 2 shown]
	ds_read_b128 v[2:5], v1 offset:1440
	s_clause 0x1
	buffer_load_dword v90, off, s[0:3], 0 offset:836
	buffer_load_dword v89, off, s[0:3], 0 offset:832
	ds_read_b128 v[6:9], v1 offset:1456
	s_mov_b32 s4, exec_lo
	s_waitcnt vmcnt(54) lgkmcnt(1)
	v_mul_f64 v[91:92], v[4:5], v[10:11]
	v_mul_f64 v[93:94], v[2:3], v[10:11]
	ds_read_b128 v[10:13], v1 offset:1472
	s_waitcnt vmcnt(52) lgkmcnt(1)
	v_mul_f64 v[95:96], v[8:9], v[14:15]
	v_mul_f64 v[14:15], v[6:7], v[14:15]
	s_waitcnt vmcnt(48) lgkmcnt(0)
	v_mul_f64 v[99:100], v[10:11], v[18:19]
	v_fma_f64 v[91:92], v[2:3], v[16:17], -v[91:92]
	v_fma_f64 v[16:17], v[4:5], v[16:17], v[93:94]
	s_clause 0x3
	buffer_load_dword v93, off, s[0:3], 0 offset:608
	buffer_load_dword v94, off, s[0:3], 0 offset:612
	;; [unrolled: 1-line block ×4, first 2 shown]
	v_mul_f64 v[18:19], v[12:13], v[18:19]
	s_waitcnt vmcnt(50)
	v_fma_f64 v[95:96], v[6:7], v[20:21], -v[95:96]
	ds_read_b128 v[2:5], v1 offset:1488
	v_fma_f64 v[14:15], v[8:9], v[20:21], v[14:15]
	ds_read_b128 v[6:9], v1 offset:1504
	v_add_f64 v[91:92], v[91:92], 0
	v_add_f64 v[16:17], v[16:17], 0
	s_waitcnt vmcnt(46) lgkmcnt(1)
	v_mul_f64 v[20:21], v[2:3], v[22:23]
	v_mul_f64 v[22:23], v[4:5], v[22:23]
	s_waitcnt vmcnt(44)
	v_fma_f64 v[18:19], v[10:11], v[28:29], -v[18:19]
	v_fma_f64 v[28:29], v[12:13], v[28:29], v[99:100]
	ds_read_b128 v[10:13], v1 offset:1520
	v_add_f64 v[91:92], v[91:92], v[95:96]
	v_add_f64 v[14:15], v[16:17], v[14:15]
	s_waitcnt vmcnt(43) lgkmcnt(1)
	v_mul_f64 v[16:17], v[6:7], v[24:25]
	v_mul_f64 v[24:25], v[8:9], v[24:25]
	s_waitcnt vmcnt(41)
	v_fma_f64 v[22:23], v[2:3], v[30:31], -v[22:23]
	v_fma_f64 v[20:21], v[4:5], v[30:31], v[20:21]
	ds_read_b128 v[2:5], v1 offset:1536
	s_waitcnt vmcnt(37) lgkmcnt(1)
	v_mul_f64 v[30:31], v[12:13], v[32:33]
	v_add_f64 v[18:19], v[91:92], v[18:19]
	v_add_f64 v[14:15], v[14:15], v[28:29]
	v_mul_f64 v[28:29], v[10:11], v[32:33]
	s_waitcnt vmcnt(36)
	v_fma_f64 v[24:25], v[6:7], v[26:27], -v[24:25]
	v_fma_f64 v[16:17], v[8:9], v[26:27], v[16:17]
	ds_read_b128 v[6:9], v1 offset:1552
	s_waitcnt vmcnt(33)
	v_fma_f64 v[26:27], v[10:11], v[58:59], -v[30:31]
	v_add_f64 v[18:19], v[18:19], v[22:23]
	v_add_f64 v[14:15], v[14:15], v[20:21]
	s_waitcnt lgkmcnt(1)
	v_mul_f64 v[22:23], v[4:5], v[34:35]
	v_mul_f64 v[20:21], v[2:3], v[34:35]
	v_add_f64 v[18:19], v[18:19], v[24:25]
	v_fma_f64 v[24:25], v[12:13], v[58:59], v[28:29]
	v_add_f64 v[14:15], v[14:15], v[16:17]
	ds_read_b128 v[10:13], v1 offset:1568
	s_waitcnt vmcnt(29) lgkmcnt(1)
	v_mul_f64 v[28:29], v[8:9], v[63:64]
	s_waitcnt vmcnt(28)
	v_fma_f64 v[22:23], v[2:3], v[36:37], -v[22:23]
	v_mul_f64 v[16:17], v[6:7], v[63:64]
	v_fma_f64 v[20:21], v[4:5], v[36:37], v[20:21]
	ds_read_b128 v[2:5], v1 offset:1584
	v_add_f64 v[18:19], v[18:19], v[26:27]
	s_waitcnt vmcnt(27) lgkmcnt(1)
	v_mul_f64 v[26:27], v[12:13], v[65:66]
	v_add_f64 v[14:15], v[14:15], v[24:25]
	v_mul_f64 v[24:25], v[10:11], v[65:66]
	s_waitcnt vmcnt(25)
	v_fma_f64 v[28:29], v[6:7], v[69:70], -v[28:29]
	v_fma_f64 v[16:17], v[8:9], v[69:70], v[16:17]
	ds_read_b128 v[6:9], v1 offset:1600
	v_add_f64 v[18:19], v[18:19], v[22:23]
	s_waitcnt vmcnt(21) lgkmcnt(1)
	v_mul_f64 v[22:23], v[4:5], v[71:72]
	v_add_f64 v[14:15], v[14:15], v[20:21]
	s_waitcnt vmcnt(20)
	v_fma_f64 v[26:27], v[10:11], v[67:68], -v[26:27]
	v_mul_f64 v[20:21], v[2:3], v[71:72]
	v_fma_f64 v[24:25], v[12:13], v[67:68], v[24:25]
	ds_read_b128 v[10:13], v1 offset:1616
	v_add_f64 v[18:19], v[18:19], v[28:29]
	s_waitcnt vmcnt(19) lgkmcnt(1)
	v_mul_f64 v[28:29], v[8:9], v[73:74]
	v_add_f64 v[14:15], v[14:15], v[16:17]
	s_waitcnt vmcnt(17)
	v_fma_f64 v[22:23], v[2:3], v[77:78], -v[22:23]
	v_mul_f64 v[16:17], v[6:7], v[73:74]
	v_fma_f64 v[20:21], v[4:5], v[77:78], v[20:21]
	ds_read_b128 v[2:5], v1 offset:1632
	v_add_f64 v[18:19], v[18:19], v[26:27]
	s_waitcnt vmcnt(13) lgkmcnt(1)
	v_mul_f64 v[26:27], v[12:13], v[79:80]
	v_add_f64 v[14:15], v[14:15], v[24:25]
	s_waitcnt vmcnt(12)
	v_fma_f64 v[28:29], v[6:7], v[75:76], -v[28:29]
	v_mul_f64 v[24:25], v[10:11], v[79:80]
	v_fma_f64 v[16:17], v[8:9], v[75:76], v[16:17]
	ds_read_b128 v[6:9], v1 offset:1648
	v_add_f64 v[18:19], v[18:19], v[22:23]
	s_waitcnt vmcnt(11) lgkmcnt(1)
	v_mul_f64 v[22:23], v[4:5], v[81:82]
	v_add_f64 v[14:15], v[14:15], v[20:21]
	s_waitcnt vmcnt(9)
	v_fma_f64 v[10:11], v[10:11], v[85:86], -v[26:27]
	v_mul_f64 v[20:21], v[2:3], v[81:82]
	v_fma_f64 v[12:13], v[12:13], v[85:86], v[24:25]
	s_waitcnt vmcnt(7) lgkmcnt(0)
	v_mul_f64 v[24:25], v[8:9], v[87:88]
	v_add_f64 v[18:19], v[18:19], v[28:29]
	s_waitcnt vmcnt(6)
	v_fma_f64 v[1:2], v[2:3], v[83:84], -v[22:23]
	v_add_f64 v[14:15], v[14:15], v[16:17]
	v_mul_f64 v[16:17], v[6:7], v[87:88]
	v_fma_f64 v[3:4], v[4:5], v[83:84], v[20:21]
	s_waitcnt vmcnt(4)
	v_fma_f64 v[5:6], v[6:7], v[89:90], -v[24:25]
	v_add_f64 v[10:11], v[18:19], v[10:11]
	v_add_f64 v[12:13], v[14:15], v[12:13]
	v_fma_f64 v[7:8], v[8:9], v[89:90], v[16:17]
	v_add_f64 v[1:2], v[10:11], v[1:2]
	v_add_f64 v[3:4], v[12:13], v[3:4]
	;; [unrolled: 1-line block ×4, first 2 shown]
	s_waitcnt vmcnt(2)
	v_add_f64 v[1:2], v[93:94], -v[1:2]
	s_waitcnt vmcnt(0)
	v_add_f64 v[3:4], v[97:98], -v[3:4]
	buffer_store_dword v2, off, s[0:3], 0 offset:612
	buffer_store_dword v1, off, s[0:3], 0 offset:608
	;; [unrolled: 1-line block ×4, first 2 shown]
	v_cmpx_lt_u32_e32 36, v0
	s_cbranch_execz .LBB51_253
; %bb.252:
	v_mov_b32_e32 v4, s27
	v_mov_b32_e32 v5, 0
	s_clause 0x3
	buffer_load_dword v1, v4, s[0:3], 0 offen
	buffer_load_dword v2, v4, s[0:3], 0 offen offset:4
	buffer_load_dword v3, v4, s[0:3], 0 offen offset:8
	;; [unrolled: 1-line block ×3, first 2 shown]
	buffer_store_dword v5, off, s[0:3], 0 offset:592
	buffer_store_dword v5, off, s[0:3], 0 offset:596
	;; [unrolled: 1-line block ×4, first 2 shown]
	s_waitcnt vmcnt(0)
	ds_write_b128 v39, v[1:4]
.LBB51_253:
	s_or_b32 exec_lo, exec_lo, s4
	s_waitcnt lgkmcnt(0)
	s_waitcnt_vscnt null, 0x0
	s_barrier
	buffer_gl0_inv
	s_clause 0x37
	buffer_load_dword v10, off, s[0:3], 0 offset:616
	buffer_load_dword v11, off, s[0:3], 0 offset:620
	buffer_load_dword v14, off, s[0:3], 0 offset:632
	buffer_load_dword v15, off, s[0:3], 0 offset:636
	buffer_load_dword v16, off, s[0:3], 0 offset:608
	buffer_load_dword v17, off, s[0:3], 0 offset:612
	buffer_load_dword v18, off, s[0:3], 0 offset:648
	buffer_load_dword v19, off, s[0:3], 0 offset:652
	buffer_load_dword v20, off, s[0:3], 0 offset:624
	buffer_load_dword v21, off, s[0:3], 0 offset:628
	buffer_load_dword v23, off, s[0:3], 0 offset:668
	buffer_load_dword v24, off, s[0:3], 0 offset:680
	buffer_load_dword v26, off, s[0:3], 0 offset:672
	buffer_load_dword v22, off, s[0:3], 0 offset:664
	buffer_load_dword v28, off, s[0:3], 0 offset:640
	buffer_load_dword v29, off, s[0:3], 0 offset:644
	buffer_load_dword v25, off, s[0:3], 0 offset:684
	buffer_load_dword v31, off, s[0:3], 0 offset:660
	buffer_load_dword v30, off, s[0:3], 0 offset:656
	buffer_load_dword v33, off, s[0:3], 0 offset:700
	buffer_load_dword v34, off, s[0:3], 0 offset:712
	buffer_load_dword v36, off, s[0:3], 0 offset:704
	buffer_load_dword v32, off, s[0:3], 0 offset:696
	buffer_load_dword v27, off, s[0:3], 0 offset:676
	buffer_load_dword v35, off, s[0:3], 0 offset:716
	buffer_load_dword v59, off, s[0:3], 0 offset:692
	buffer_load_dword v58, off, s[0:3], 0 offset:688
	buffer_load_dword v64, off, s[0:3], 0 offset:732
	buffer_load_dword v65, off, s[0:3], 0 offset:744
	buffer_load_dword v67, off, s[0:3], 0 offset:736
	buffer_load_dword v63, off, s[0:3], 0 offset:728
	buffer_load_dword v37, off, s[0:3], 0 offset:708
	buffer_load_dword v66, off, s[0:3], 0 offset:748
	buffer_load_dword v70, off, s[0:3], 0 offset:724
	buffer_load_dword v69, off, s[0:3], 0 offset:720
	buffer_load_dword v72, off, s[0:3], 0 offset:764
	buffer_load_dword v73, off, s[0:3], 0 offset:776
	buffer_load_dword v75, off, s[0:3], 0 offset:768
	buffer_load_dword v71, off, s[0:3], 0 offset:760
	buffer_load_dword v68, off, s[0:3], 0 offset:740
	buffer_load_dword v74, off, s[0:3], 0 offset:780
	buffer_load_dword v78, off, s[0:3], 0 offset:756
	buffer_load_dword v77, off, s[0:3], 0 offset:752
	buffer_load_dword v80, off, s[0:3], 0 offset:796
	buffer_load_dword v81, off, s[0:3], 0 offset:808
	buffer_load_dword v83, off, s[0:3], 0 offset:800
	buffer_load_dword v79, off, s[0:3], 0 offset:792
	buffer_load_dword v76, off, s[0:3], 0 offset:772
	buffer_load_dword v82, off, s[0:3], 0 offset:812
	buffer_load_dword v86, off, s[0:3], 0 offset:788
	buffer_load_dword v85, off, s[0:3], 0 offset:784
	buffer_load_dword v88, off, s[0:3], 0 offset:828
	buffer_load_dword v89, off, s[0:3], 0 offset:840
	buffer_load_dword v91, off, s[0:3], 0 offset:832
	buffer_load_dword v87, off, s[0:3], 0 offset:824
	buffer_load_dword v84, off, s[0:3], 0 offset:804
	v_mov_b32_e32 v1, 0
	s_mov_b32 s4, exec_lo
	ds_read_b128 v[2:5], v1 offset:1424
	s_clause 0x2
	buffer_load_dword v90, off, s[0:3], 0 offset:844
	buffer_load_dword v94, off, s[0:3], 0 offset:820
	;; [unrolled: 1-line block ×3, first 2 shown]
	ds_read_b128 v[6:9], v1 offset:1440
	buffer_load_dword v92, off, s[0:3], 0 offset:836
	s_waitcnt vmcnt(58) lgkmcnt(1)
	v_mul_f64 v[95:96], v[4:5], v[10:11]
	v_mul_f64 v[97:98], v[2:3], v[10:11]
	ds_read_b128 v[10:13], v1 offset:1456
	s_waitcnt vmcnt(56) lgkmcnt(1)
	v_mul_f64 v[99:100], v[8:9], v[14:15]
	v_mul_f64 v[14:15], v[6:7], v[14:15]
	s_waitcnt vmcnt(54)
	v_fma_f64 v[95:96], v[2:3], v[16:17], -v[95:96]
	v_fma_f64 v[16:17], v[4:5], v[16:17], v[97:98]
	s_waitcnt vmcnt(52) lgkmcnt(0)
	v_mul_f64 v[97:98], v[10:11], v[18:19]
	v_mul_f64 v[18:19], v[12:13], v[18:19]
	s_waitcnt vmcnt(50)
	v_fma_f64 v[99:100], v[6:7], v[20:21], -v[99:100]
	ds_read_b128 v[2:5], v1 offset:1472
	v_fma_f64 v[14:15], v[8:9], v[20:21], v[14:15]
	s_clause 0x3
	buffer_load_dword v20, off, s[0:3], 0 offset:592
	buffer_load_dword v21, off, s[0:3], 0 offset:596
	;; [unrolled: 1-line block ×4, first 2 shown]
	ds_read_b128 v[6:9], v1 offset:1488
	v_add_f64 v[95:96], v[95:96], 0
	v_add_f64 v[16:17], v[16:17], 0
	s_waitcnt vmcnt(50) lgkmcnt(1)
	v_mul_f64 v[103:104], v[2:3], v[22:23]
	v_mul_f64 v[22:23], v[4:5], v[22:23]
	s_waitcnt vmcnt(48)
	v_fma_f64 v[18:19], v[10:11], v[28:29], -v[18:19]
	v_fma_f64 v[28:29], v[12:13], v[28:29], v[97:98]
	ds_read_b128 v[10:13], v1 offset:1504
	v_add_f64 v[95:96], v[95:96], v[99:100]
	v_add_f64 v[14:15], v[16:17], v[14:15]
	s_waitcnt vmcnt(47) lgkmcnt(1)
	v_mul_f64 v[16:17], v[6:7], v[24:25]
	v_mul_f64 v[24:25], v[8:9], v[24:25]
	s_waitcnt vmcnt(45)
	v_fma_f64 v[22:23], v[2:3], v[30:31], -v[22:23]
	v_fma_f64 v[30:31], v[4:5], v[30:31], v[103:104]
	ds_read_b128 v[2:5], v1 offset:1520
	v_add_f64 v[18:19], v[95:96], v[18:19]
	v_add_f64 v[14:15], v[14:15], v[28:29]
	s_waitcnt vmcnt(41) lgkmcnt(1)
	v_mul_f64 v[28:29], v[10:11], v[32:33]
	v_mul_f64 v[32:33], v[12:13], v[32:33]
	s_waitcnt vmcnt(40)
	v_fma_f64 v[24:25], v[6:7], v[26:27], -v[24:25]
	v_fma_f64 v[16:17], v[8:9], v[26:27], v[16:17]
	ds_read_b128 v[6:9], v1 offset:1536
	s_waitcnt vmcnt(39) lgkmcnt(1)
	v_mul_f64 v[26:27], v[4:5], v[34:35]
	v_add_f64 v[18:19], v[18:19], v[22:23]
	v_add_f64 v[14:15], v[14:15], v[30:31]
	v_mul_f64 v[22:23], v[2:3], v[34:35]
	s_waitcnt vmcnt(37)
	v_fma_f64 v[30:31], v[10:11], v[58:59], -v[32:33]
	s_waitcnt vmcnt(32)
	v_fma_f64 v[26:27], v[2:3], v[36:37], -v[26:27]
	v_add_f64 v[18:19], v[18:19], v[24:25]
	v_fma_f64 v[24:25], v[12:13], v[58:59], v[28:29]
	v_add_f64 v[14:15], v[14:15], v[16:17]
	s_waitcnt lgkmcnt(0)
	v_mul_f64 v[28:29], v[8:9], v[63:64]
	ds_read_b128 v[10:13], v1 offset:1552
	v_mul_f64 v[16:17], v[6:7], v[63:64]
	v_fma_f64 v[22:23], v[4:5], v[36:37], v[22:23]
	ds_read_b128 v[2:5], v1 offset:1568
	v_add_f64 v[18:19], v[18:19], v[30:31]
	v_add_f64 v[14:15], v[14:15], v[24:25]
	s_waitcnt vmcnt(31) lgkmcnt(1)
	v_mul_f64 v[30:31], v[12:13], v[65:66]
	s_waitcnt vmcnt(29)
	v_fma_f64 v[28:29], v[6:7], v[69:70], -v[28:29]
	v_mul_f64 v[24:25], v[10:11], v[65:66]
	v_fma_f64 v[16:17], v[8:9], v[69:70], v[16:17]
	ds_read_b128 v[6:9], v1 offset:1584
	v_add_f64 v[18:19], v[18:19], v[26:27]
	s_waitcnt vmcnt(25) lgkmcnt(1)
	v_mul_f64 v[26:27], v[4:5], v[71:72]
	v_add_f64 v[14:15], v[14:15], v[22:23]
	s_waitcnt vmcnt(24)
	v_fma_f64 v[30:31], v[10:11], v[67:68], -v[30:31]
	v_mul_f64 v[22:23], v[2:3], v[71:72]
	v_fma_f64 v[24:25], v[12:13], v[67:68], v[24:25]
	ds_read_b128 v[10:13], v1 offset:1600
	v_add_f64 v[18:19], v[18:19], v[28:29]
	s_waitcnt vmcnt(23) lgkmcnt(1)
	v_mul_f64 v[28:29], v[8:9], v[73:74]
	v_add_f64 v[14:15], v[14:15], v[16:17]
	;; [unrolled: 9-line block ×5, first 2 shown]
	s_waitcnt vmcnt(8)
	v_fma_f64 v[2:3], v[2:3], v[83:84], -v[26:27]
	v_mul_f64 v[16:17], v[6:7], v[87:88]
	v_fma_f64 v[4:5], v[4:5], v[83:84], v[22:23]
	s_waitcnt vmcnt(7) lgkmcnt(0)
	v_mul_f64 v[22:23], v[10:11], v[89:90]
	v_add_f64 v[18:19], v[18:19], v[30:31]
	s_waitcnt vmcnt(5)
	v_fma_f64 v[6:7], v[6:7], v[93:94], -v[28:29]
	v_add_f64 v[14:15], v[14:15], v[24:25]
	v_mul_f64 v[24:25], v[12:13], v[89:90]
	v_fma_f64 v[8:9], v[8:9], v[93:94], v[16:17]
	v_add_f64 v[2:3], v[18:19], v[2:3]
	v_add_f64 v[4:5], v[14:15], v[4:5]
	s_waitcnt vmcnt(4)
	v_fma_f64 v[10:11], v[10:11], v[91:92], -v[24:25]
	v_add_f64 v[2:3], v[2:3], v[6:7]
	v_fma_f64 v[6:7], v[12:13], v[91:92], v[22:23]
	v_add_f64 v[4:5], v[4:5], v[8:9]
	v_add_f64 v[2:3], v[2:3], v[10:11]
	;; [unrolled: 1-line block ×3, first 2 shown]
	s_waitcnt vmcnt(2)
	v_add_f64 v[2:3], v[20:21], -v[2:3]
	s_waitcnt vmcnt(0)
	v_add_f64 v[4:5], v[101:102], -v[4:5]
	buffer_store_dword v3, off, s[0:3], 0 offset:596
	buffer_store_dword v2, off, s[0:3], 0 offset:592
	;; [unrolled: 1-line block ×4, first 2 shown]
	v_cmpx_lt_u32_e32 35, v0
	s_cbranch_execz .LBB51_255
; %bb.254:
	v_mov_b32_e32 v5, s28
	s_clause 0x3
	buffer_load_dword v2, v5, s[0:3], 0 offen
	buffer_load_dword v3, v5, s[0:3], 0 offen offset:4
	buffer_load_dword v4, v5, s[0:3], 0 offen offset:8
	;; [unrolled: 1-line block ×3, first 2 shown]
	buffer_store_dword v1, off, s[0:3], 0 offset:576
	buffer_store_dword v1, off, s[0:3], 0 offset:580
	;; [unrolled: 1-line block ×4, first 2 shown]
	s_waitcnt vmcnt(0)
	ds_write_b128 v39, v[2:5]
.LBB51_255:
	s_or_b32 exec_lo, exec_lo, s4
	s_waitcnt lgkmcnt(0)
	s_waitcnt_vscnt null, 0x0
	s_barrier
	buffer_gl0_inv
	s_clause 0x37
	buffer_load_dword v10, off, s[0:3], 0 offset:600
	buffer_load_dword v11, off, s[0:3], 0 offset:604
	;; [unrolled: 1-line block ×56, first 2 shown]
	ds_read_b128 v[2:5], v1 offset:1408
	s_clause 0x2
	buffer_load_dword v90, off, s[0:3], 0 offset:828
	buffer_load_dword v94, off, s[0:3], 0 offset:804
	buffer_load_dword v93, off, s[0:3], 0 offset:800
	ds_read_b128 v[6:9], v1 offset:1424
	s_clause 0x2
	buffer_load_dword v100, off, s[0:3], 0 offset:844
	buffer_load_dword v99, off, s[0:3], 0 offset:840
	;; [unrolled: 1-line block ×3, first 2 shown]
	s_mov_b32 s4, exec_lo
	s_waitcnt vmcnt(60) lgkmcnt(1)
	v_mul_f64 v[95:96], v[4:5], v[10:11]
	v_mul_f64 v[97:98], v[2:3], v[10:11]
	s_waitcnt vmcnt(58) lgkmcnt(0)
	v_mul_f64 v[101:102], v[8:9], v[14:15]
	ds_read_b128 v[10:13], v1 offset:1440
	v_mul_f64 v[14:15], v[6:7], v[14:15]
	s_waitcnt vmcnt(56)
	v_fma_f64 v[95:96], v[2:3], v[16:17], -v[95:96]
	v_fma_f64 v[16:17], v[4:5], v[16:17], v[97:98]
	s_clause 0x1
	buffer_load_dword v98, off, s[0:3], 0 offset:836
	buffer_load_dword v97, off, s[0:3], 0 offset:832
	s_waitcnt vmcnt(56) lgkmcnt(0)
	v_mul_f64 v[103:104], v[10:11], v[18:19]
	v_mul_f64 v[18:19], v[12:13], v[18:19]
	s_waitcnt vmcnt(54)
	v_fma_f64 v[101:102], v[6:7], v[20:21], -v[101:102]
	ds_read_b128 v[2:5], v1 offset:1456
	v_fma_f64 v[14:15], v[8:9], v[20:21], v[14:15]
	ds_read_b128 v[6:9], v1 offset:1472
	v_add_f64 v[95:96], v[95:96], 0
	v_add_f64 v[16:17], v[16:17], 0
	s_waitcnt vmcnt(50) lgkmcnt(1)
	v_mul_f64 v[20:21], v[2:3], v[22:23]
	v_mul_f64 v[22:23], v[4:5], v[22:23]
	s_waitcnt vmcnt(48)
	v_fma_f64 v[18:19], v[10:11], v[28:29], -v[18:19]
	v_fma_f64 v[28:29], v[12:13], v[28:29], v[103:104]
	s_waitcnt vmcnt(47) lgkmcnt(0)
	v_mul_f64 v[103:104], v[6:7], v[24:25]
	v_mul_f64 v[24:25], v[8:9], v[24:25]
	v_add_f64 v[95:96], v[95:96], v[101:102]
	v_add_f64 v[14:15], v[16:17], v[14:15]
	s_clause 0x3
	buffer_load_dword v16, off, s[0:3], 0 offset:576
	buffer_load_dword v17, off, s[0:3], 0 offset:580
	;; [unrolled: 1-line block ×4, first 2 shown]
	ds_read_b128 v[10:13], v1 offset:1488
	s_waitcnt vmcnt(49)
	v_fma_f64 v[20:21], v[4:5], v[30:31], v[20:21]
	v_fma_f64 v[22:23], v[2:3], v[30:31], -v[22:23]
	ds_read_b128 v[2:5], v1 offset:1504
	s_waitcnt vmcnt(44)
	v_fma_f64 v[24:25], v[6:7], v[26:27], -v[24:25]
	v_add_f64 v[18:19], v[95:96], v[18:19]
	v_add_f64 v[14:15], v[14:15], v[28:29]
	s_waitcnt lgkmcnt(1)
	v_mul_f64 v[30:31], v[12:13], v[32:33]
	v_mul_f64 v[28:29], v[10:11], v[32:33]
	v_add_f64 v[18:19], v[18:19], v[22:23]
	v_fma_f64 v[22:23], v[8:9], v[26:27], v[103:104]
	v_add_f64 v[14:15], v[14:15], v[20:21]
	s_waitcnt vmcnt(43) lgkmcnt(0)
	v_mul_f64 v[26:27], v[4:5], v[34:35]
	s_waitcnt vmcnt(41)
	v_fma_f64 v[30:31], v[10:11], v[58:59], -v[30:31]
	ds_read_b128 v[6:9], v1 offset:1520
	v_mul_f64 v[20:21], v[2:3], v[34:35]
	v_add_f64 v[18:19], v[18:19], v[24:25]
	v_fma_f64 v[24:25], v[12:13], v[58:59], v[28:29]
	v_add_f64 v[14:15], v[14:15], v[22:23]
	ds_read_b128 v[10:13], v1 offset:1536
	s_waitcnt vmcnt(37) lgkmcnt(1)
	v_mul_f64 v[28:29], v[8:9], v[63:64]
	s_waitcnt vmcnt(36)
	v_fma_f64 v[26:27], v[2:3], v[36:37], -v[26:27]
	v_mul_f64 v[22:23], v[6:7], v[63:64]
	v_fma_f64 v[20:21], v[4:5], v[36:37], v[20:21]
	ds_read_b128 v[2:5], v1 offset:1552
	v_add_f64 v[18:19], v[18:19], v[30:31]
	s_waitcnt vmcnt(35) lgkmcnt(1)
	v_mul_f64 v[30:31], v[12:13], v[65:66]
	v_add_f64 v[14:15], v[14:15], v[24:25]
	v_mul_f64 v[24:25], v[10:11], v[65:66]
	s_waitcnt vmcnt(33)
	v_fma_f64 v[28:29], v[6:7], v[69:70], -v[28:29]
	v_fma_f64 v[22:23], v[8:9], v[69:70], v[22:23]
	ds_read_b128 v[6:9], v1 offset:1568
	v_add_f64 v[18:19], v[18:19], v[26:27]
	s_waitcnt vmcnt(29) lgkmcnt(1)
	v_mul_f64 v[26:27], v[4:5], v[71:72]
	v_add_f64 v[14:15], v[14:15], v[20:21]
	s_waitcnt vmcnt(28)
	v_fma_f64 v[30:31], v[10:11], v[67:68], -v[30:31]
	v_mul_f64 v[20:21], v[2:3], v[71:72]
	v_fma_f64 v[24:25], v[12:13], v[67:68], v[24:25]
	ds_read_b128 v[10:13], v1 offset:1584
	v_add_f64 v[18:19], v[18:19], v[28:29]
	s_waitcnt vmcnt(27) lgkmcnt(1)
	v_mul_f64 v[28:29], v[8:9], v[73:74]
	v_add_f64 v[14:15], v[14:15], v[22:23]
	s_waitcnt vmcnt(25)
	v_fma_f64 v[26:27], v[2:3], v[77:78], -v[26:27]
	v_mul_f64 v[22:23], v[6:7], v[73:74]
	;; [unrolled: 9-line block ×6, first 2 shown]
	v_fma_f64 v[7:8], v[8:9], v[93:94], v[22:23]
	s_waitcnt vmcnt(7) lgkmcnt(0)
	v_mul_f64 v[22:23], v[3:4], v[99:100]
	v_add_f64 v[18:19], v[18:19], v[26:27]
	s_waitcnt vmcnt(6)
	v_fma_f64 v[9:10], v[10:11], v[91:92], -v[30:31]
	v_add_f64 v[14:15], v[14:15], v[20:21]
	v_mul_f64 v[20:21], v[1:2], v[99:100]
	v_fma_f64 v[11:12], v[12:13], v[91:92], v[24:25]
	v_add_f64 v[5:6], v[18:19], v[5:6]
	v_add_f64 v[7:8], v[14:15], v[7:8]
	s_waitcnt vmcnt(4)
	v_fma_f64 v[1:2], v[1:2], v[97:98], -v[22:23]
	v_fma_f64 v[3:4], v[3:4], v[97:98], v[20:21]
	v_add_f64 v[5:6], v[5:6], v[9:10]
	v_add_f64 v[7:8], v[7:8], v[11:12]
	;; [unrolled: 1-line block ×4, first 2 shown]
	s_waitcnt vmcnt(2)
	v_add_f64 v[1:2], v[16:17], -v[1:2]
	s_waitcnt vmcnt(0)
	v_add_f64 v[3:4], v[101:102], -v[3:4]
	buffer_store_dword v2, off, s[0:3], 0 offset:580
	buffer_store_dword v1, off, s[0:3], 0 offset:576
	;; [unrolled: 1-line block ×4, first 2 shown]
	v_cmpx_lt_u32_e32 34, v0
	s_cbranch_execz .LBB51_257
; %bb.256:
	v_mov_b32_e32 v4, s29
	v_mov_b32_e32 v5, 0
	s_clause 0x3
	buffer_load_dword v1, v4, s[0:3], 0 offen
	buffer_load_dword v2, v4, s[0:3], 0 offen offset:4
	buffer_load_dword v3, v4, s[0:3], 0 offen offset:8
	;; [unrolled: 1-line block ×3, first 2 shown]
	buffer_store_dword v5, off, s[0:3], 0 offset:560
	buffer_store_dword v5, off, s[0:3], 0 offset:564
	;; [unrolled: 1-line block ×4, first 2 shown]
	s_waitcnt vmcnt(0)
	ds_write_b128 v39, v[1:4]
.LBB51_257:
	s_or_b32 exec_lo, exec_lo, s4
	s_waitcnt lgkmcnt(0)
	s_waitcnt_vscnt null, 0x0
	s_barrier
	buffer_gl0_inv
	s_clause 0x35
	buffer_load_dword v10, off, s[0:3], 0 offset:584
	buffer_load_dword v11, off, s[0:3], 0 offset:588
	;; [unrolled: 1-line block ×54, first 2 shown]
	v_mov_b32_e32 v1, 0
	s_mov_b32 s4, exec_lo
	ds_read_b128 v[2:5], v1 offset:1392
	s_clause 0x3
	buffer_load_dword v89, off, s[0:3], 0 offset:808
	buffer_load_dword v90, off, s[0:3], 0 offset:812
	;; [unrolled: 1-line block ×4, first 2 shown]
	ds_read_b128 v[6:9], v1 offset:1408
	s_clause 0x3
	buffer_load_dword v98, off, s[0:3], 0 offset:828
	buffer_load_dword v97, off, s[0:3], 0 offset:824
	;; [unrolled: 1-line block ×4, first 2 shown]
	s_waitcnt vmcnt(60) lgkmcnt(1)
	v_mul_f64 v[93:94], v[4:5], v[10:11]
	v_mul_f64 v[95:96], v[2:3], v[10:11]
	s_waitcnt vmcnt(58) lgkmcnt(0)
	v_mul_f64 v[101:102], v[8:9], v[14:15]
	ds_read_b128 v[10:13], v1 offset:1424
	v_mul_f64 v[14:15], v[6:7], v[14:15]
	s_waitcnt vmcnt(56)
	v_fma_f64 v[93:94], v[2:3], v[16:17], -v[93:94]
	v_fma_f64 v[16:17], v[4:5], v[16:17], v[95:96]
	s_clause 0x3
	buffer_load_dword v95, off, s[0:3], 0 offset:840
	buffer_load_dword v96, off, s[0:3], 0 offset:844
	;; [unrolled: 1-line block ×4, first 2 shown]
	s_waitcnt vmcnt(58) lgkmcnt(0)
	v_mul_f64 v[105:106], v[10:11], v[18:19]
	v_mul_f64 v[18:19], v[12:13], v[18:19]
	s_waitcnt vmcnt(56)
	v_fma_f64 v[101:102], v[6:7], v[20:21], -v[101:102]
	ds_read_b128 v[2:5], v1 offset:1440
	v_fma_f64 v[14:15], v[8:9], v[20:21], v[14:15]
	s_clause 0x1
	buffer_load_dword v20, off, s[0:3], 0 offset:832
	buffer_load_dword v21, off, s[0:3], 0 offset:836
	ds_read_b128 v[6:9], v1 offset:1456
	v_add_f64 v[93:94], v[93:94], 0
	v_add_f64 v[16:17], v[16:17], 0
	s_waitcnt vmcnt(56) lgkmcnt(1)
	v_mul_f64 v[107:108], v[2:3], v[22:23]
	v_mul_f64 v[22:23], v[4:5], v[22:23]
	s_waitcnt vmcnt(54)
	v_fma_f64 v[18:19], v[10:11], v[24:25], -v[18:19]
	v_fma_f64 v[24:25], v[12:13], v[24:25], v[105:106]
	ds_read_b128 v[10:13], v1 offset:1472
	v_add_f64 v[93:94], v[93:94], v[101:102]
	v_add_f64 v[14:15], v[16:17], v[14:15]
	s_waitcnt vmcnt(52) lgkmcnt(1)
	v_mul_f64 v[16:17], v[6:7], v[26:27]
	v_mul_f64 v[26:27], v[8:9], v[26:27]
	s_waitcnt vmcnt(50)
	v_fma_f64 v[22:23], v[2:3], v[28:29], -v[22:23]
	v_fma_f64 v[28:29], v[4:5], v[28:29], v[107:108]
	s_waitcnt vmcnt(48) lgkmcnt(0)
	v_mul_f64 v[101:102], v[10:11], v[30:31]
	v_mul_f64 v[30:31], v[12:13], v[30:31]
	v_add_f64 v[18:19], v[93:94], v[18:19]
	v_add_f64 v[14:15], v[14:15], v[24:25]
	s_clause 0x3
	buffer_load_dword v24, off, s[0:3], 0 offset:560
	buffer_load_dword v25, off, s[0:3], 0 offset:564
	;; [unrolled: 1-line block ×4, first 2 shown]
	s_waitcnt vmcnt(50)
	v_fma_f64 v[26:27], v[6:7], v[32:33], -v[26:27]
	ds_read_b128 v[2:5], v1 offset:1488
	v_fma_f64 v[16:17], v[8:9], v[32:33], v[16:17]
	ds_read_b128 v[6:9], v1 offset:1504
	s_waitcnt vmcnt(46)
	v_fma_f64 v[30:31], v[10:11], v[36:37], -v[30:31]
	v_add_f64 v[18:19], v[18:19], v[22:23]
	v_add_f64 v[14:15], v[14:15], v[28:29]
	s_waitcnt lgkmcnt(1)
	v_mul_f64 v[28:29], v[4:5], v[34:35]
	v_mul_f64 v[22:23], v[2:3], v[34:35]
	s_waitcnt vmcnt(44) lgkmcnt(0)
	v_mul_f64 v[32:33], v[8:9], v[58:59]
	v_add_f64 v[18:19], v[18:19], v[26:27]
	v_fma_f64 v[26:27], v[12:13], v[36:37], v[101:102]
	v_add_f64 v[14:15], v[14:15], v[16:17]
	s_waitcnt vmcnt(42)
	v_fma_f64 v[28:29], v[2:3], v[63:64], -v[28:29]
	ds_read_b128 v[10:13], v1 offset:1520
	v_mul_f64 v[16:17], v[6:7], v[58:59]
	v_fma_f64 v[22:23], v[4:5], v[63:64], v[22:23]
	ds_read_b128 v[2:5], v1 offset:1536
	s_waitcnt vmcnt(38)
	v_fma_f64 v[32:33], v[6:7], v[67:68], -v[32:33]
	v_add_f64 v[18:19], v[18:19], v[30:31]
	v_add_f64 v[14:15], v[14:15], v[26:27]
	s_waitcnt lgkmcnt(1)
	v_mul_f64 v[30:31], v[12:13], v[65:66]
	v_mul_f64 v[26:27], v[10:11], v[65:66]
	v_fma_f64 v[16:17], v[8:9], v[67:68], v[16:17]
	ds_read_b128 v[6:9], v1 offset:1552
	v_add_f64 v[18:19], v[18:19], v[28:29]
	s_waitcnt vmcnt(36) lgkmcnt(1)
	v_mul_f64 v[28:29], v[4:5], v[69:70]
	v_add_f64 v[14:15], v[14:15], v[22:23]
	s_waitcnt vmcnt(34)
	v_fma_f64 v[30:31], v[10:11], v[71:72], -v[30:31]
	v_mul_f64 v[22:23], v[2:3], v[69:70]
	v_fma_f64 v[26:27], v[12:13], v[71:72], v[26:27]
	ds_read_b128 v[10:13], v1 offset:1568
	v_add_f64 v[18:19], v[18:19], v[32:33]
	s_waitcnt vmcnt(32) lgkmcnt(1)
	v_mul_f64 v[32:33], v[8:9], v[73:74]
	v_add_f64 v[14:15], v[14:15], v[16:17]
	s_waitcnt vmcnt(30)
	v_fma_f64 v[28:29], v[2:3], v[75:76], -v[28:29]
	;; [unrolled: 9-line block ×7, first 2 shown]
	v_mul_f64 v[22:23], v[2:3], v[97:98]
	v_fma_f64 v[12:13], v[12:13], v[99:100], v[26:27]
	v_add_f64 v[18:19], v[18:19], v[32:33]
	v_add_f64 v[14:15], v[14:15], v[16:17]
	s_waitcnt vmcnt(8) lgkmcnt(0)
	v_mul_f64 v[26:27], v[8:9], v[95:96]
	v_mul_f64 v[16:17], v[6:7], v[95:96]
	s_waitcnt vmcnt(6)
	v_fma_f64 v[2:3], v[2:3], v[103:104], -v[28:29]
	v_fma_f64 v[4:5], v[4:5], v[103:104], v[22:23]
	v_add_f64 v[10:11], v[18:19], v[10:11]
	v_add_f64 v[12:13], v[14:15], v[12:13]
	s_waitcnt vmcnt(4)
	v_fma_f64 v[6:7], v[6:7], v[20:21], -v[26:27]
	v_fma_f64 v[8:9], v[8:9], v[20:21], v[16:17]
	v_add_f64 v[2:3], v[10:11], v[2:3]
	v_add_f64 v[4:5], v[12:13], v[4:5]
	;; [unrolled: 1-line block ×4, first 2 shown]
	s_waitcnt vmcnt(2)
	v_add_f64 v[2:3], v[24:25], -v[2:3]
	s_waitcnt vmcnt(0)
	v_add_f64 v[4:5], v[93:94], -v[4:5]
	buffer_store_dword v3, off, s[0:3], 0 offset:564
	buffer_store_dword v2, off, s[0:3], 0 offset:560
	;; [unrolled: 1-line block ×4, first 2 shown]
	v_cmpx_lt_u32_e32 33, v0
	s_cbranch_execz .LBB51_259
; %bb.258:
	v_mov_b32_e32 v5, s30
	s_clause 0x3
	buffer_load_dword v2, v5, s[0:3], 0 offen
	buffer_load_dword v3, v5, s[0:3], 0 offen offset:4
	buffer_load_dword v4, v5, s[0:3], 0 offen offset:8
	;; [unrolled: 1-line block ×3, first 2 shown]
	buffer_store_dword v1, off, s[0:3], 0 offset:544
	buffer_store_dword v1, off, s[0:3], 0 offset:548
	;; [unrolled: 1-line block ×4, first 2 shown]
	s_waitcnt vmcnt(0)
	ds_write_b128 v39, v[2:5]
.LBB51_259:
	s_or_b32 exec_lo, exec_lo, s4
	s_waitcnt lgkmcnt(0)
	s_waitcnt_vscnt null, 0x0
	s_barrier
	buffer_gl0_inv
	s_clause 0x37
	buffer_load_dword v10, off, s[0:3], 0 offset:568
	buffer_load_dword v11, off, s[0:3], 0 offset:572
	;; [unrolled: 1-line block ×56, first 2 shown]
	ds_read_b128 v[2:5], v1 offset:1376
	s_clause 0x2
	buffer_load_dword v90, off, s[0:3], 0 offset:796
	buffer_load_dword v94, off, s[0:3], 0 offset:772
	;; [unrolled: 1-line block ×3, first 2 shown]
	ds_read_b128 v[6:9], v1 offset:1392
	s_clause 0x4
	buffer_load_dword v100, off, s[0:3], 0 offset:812
	buffer_load_dword v101, off, s[0:3], 0 offset:824
	;; [unrolled: 1-line block ×5, first 2 shown]
	s_mov_b32 s4, exec_lo
	s_waitcnt vmcnt(62) lgkmcnt(1)
	v_mul_f64 v[95:96], v[4:5], v[10:11]
	v_mul_f64 v[97:98], v[2:3], v[10:11]
	s_waitcnt vmcnt(60) lgkmcnt(0)
	v_mul_f64 v[104:105], v[8:9], v[14:15]
	ds_read_b128 v[10:13], v1 offset:1408
	v_mul_f64 v[14:15], v[6:7], v[14:15]
	s_waitcnt vmcnt(58)
	v_fma_f64 v[95:96], v[2:3], v[16:17], -v[95:96]
	v_fma_f64 v[16:17], v[4:5], v[16:17], v[97:98]
	s_clause 0x2
	buffer_load_dword v102, off, s[0:3], 0 offset:828
	buffer_load_dword v98, off, s[0:3], 0 offset:804
	;; [unrolled: 1-line block ×3, first 2 shown]
	s_waitcnt vmcnt(59) lgkmcnt(0)
	v_mul_f64 v[106:107], v[10:11], v[18:19]
	v_mul_f64 v[18:19], v[12:13], v[18:19]
	s_waitcnt vmcnt(57)
	v_fma_f64 v[108:109], v[6:7], v[20:21], -v[104:105]
	ds_read_b128 v[2:5], v1 offset:1424
	v_fma_f64 v[14:15], v[8:9], v[20:21], v[14:15]
	s_clause 0x2
	buffer_load_dword v21, off, s[0:3], 0 offset:844
	buffer_load_dword v20, off, s[0:3], 0 offset:840
	;; [unrolled: 1-line block ×3, first 2 shown]
	ds_read_b128 v[6:9], v1 offset:1440
	v_add_f64 v[95:96], v[95:96], 0
	v_add_f64 v[16:17], v[16:17], 0
	s_waitcnt vmcnt(56) lgkmcnt(1)
	v_mul_f64 v[110:111], v[2:3], v[22:23]
	v_mul_f64 v[22:23], v[4:5], v[22:23]
	s_waitcnt vmcnt(54)
	v_fma_f64 v[18:19], v[10:11], v[28:29], -v[18:19]
	v_fma_f64 v[28:29], v[12:13], v[28:29], v[106:107]
	s_waitcnt vmcnt(53) lgkmcnt(0)
	v_mul_f64 v[105:106], v[6:7], v[24:25]
	v_mul_f64 v[24:25], v[8:9], v[24:25]
	v_add_f64 v[95:96], v[95:96], v[108:109]
	v_add_f64 v[14:15], v[16:17], v[14:15]
	s_clause 0x1
	buffer_load_dword v17, off, s[0:3], 0 offset:836
	buffer_load_dword v16, off, s[0:3], 0 offset:832
	ds_read_b128 v[10:13], v1 offset:1456
	s_waitcnt vmcnt(53)
	v_fma_f64 v[22:23], v[2:3], v[30:31], -v[22:23]
	v_fma_f64 v[30:31], v[4:5], v[30:31], v[110:111]
	ds_read_b128 v[2:5], v1 offset:1472
	s_waitcnt vmcnt(48)
	v_fma_f64 v[24:25], v[6:7], v[26:27], -v[24:25]
	v_add_f64 v[18:19], v[95:96], v[18:19]
	v_add_f64 v[14:15], v[14:15], v[28:29]
	s_waitcnt lgkmcnt(1)
	v_mul_f64 v[28:29], v[10:11], v[32:33]
	v_mul_f64 v[32:33], v[12:13], v[32:33]
	s_waitcnt vmcnt(47) lgkmcnt(0)
	v_mul_f64 v[95:96], v[2:3], v[34:35]
	v_mul_f64 v[34:35], v[4:5], v[34:35]
	v_add_f64 v[18:19], v[18:19], v[22:23]
	v_fma_f64 v[22:23], v[8:9], v[26:27], v[105:106]
	v_add_f64 v[14:15], v[14:15], v[30:31]
	s_clause 0x3
	buffer_load_dword v26, off, s[0:3], 0 offset:544
	buffer_load_dword v27, off, s[0:3], 0 offset:548
	;; [unrolled: 1-line block ×4, first 2 shown]
	s_waitcnt vmcnt(49)
	v_fma_f64 v[32:33], v[10:11], v[58:59], -v[32:33]
	ds_read_b128 v[6:9], v1 offset:1488
	s_waitcnt vmcnt(44)
	v_fma_f64 v[34:35], v[2:3], v[36:37], -v[34:35]
	v_add_f64 v[18:19], v[18:19], v[24:25]
	v_fma_f64 v[24:25], v[12:13], v[58:59], v[28:29]
	v_add_f64 v[14:15], v[14:15], v[22:23]
	ds_read_b128 v[10:13], v1 offset:1504
	s_waitcnt lgkmcnt(1)
	v_mul_f64 v[28:29], v[8:9], v[63:64]
	v_mul_f64 v[22:23], v[6:7], v[63:64]
	v_add_f64 v[18:19], v[18:19], v[32:33]
	v_fma_f64 v[32:33], v[4:5], v[36:37], v[95:96]
	v_add_f64 v[14:15], v[14:15], v[24:25]
	s_waitcnt vmcnt(43) lgkmcnt(0)
	v_mul_f64 v[36:37], v[12:13], v[65:66]
	s_waitcnt vmcnt(41)
	v_fma_f64 v[28:29], v[6:7], v[69:70], -v[28:29]
	ds_read_b128 v[2:5], v1 offset:1520
	v_mul_f64 v[24:25], v[10:11], v[65:66]
	v_fma_f64 v[22:23], v[8:9], v[69:70], v[22:23]
	ds_read_b128 v[6:9], v1 offset:1536
	v_add_f64 v[18:19], v[18:19], v[34:35]
	v_add_f64 v[14:15], v[14:15], v[32:33]
	s_waitcnt vmcnt(37) lgkmcnt(1)
	v_mul_f64 v[34:35], v[4:5], v[71:72]
	s_waitcnt vmcnt(36)
	v_fma_f64 v[36:37], v[10:11], v[67:68], -v[36:37]
	v_mul_f64 v[32:33], v[2:3], v[71:72]
	v_fma_f64 v[24:25], v[12:13], v[67:68], v[24:25]
	ds_read_b128 v[10:13], v1 offset:1552
	v_add_f64 v[18:19], v[18:19], v[28:29]
	s_waitcnt vmcnt(35) lgkmcnt(1)
	v_mul_f64 v[28:29], v[8:9], v[73:74]
	v_add_f64 v[14:15], v[14:15], v[22:23]
	s_waitcnt vmcnt(33)
	v_fma_f64 v[34:35], v[2:3], v[77:78], -v[34:35]
	v_mul_f64 v[22:23], v[6:7], v[73:74]
	v_fma_f64 v[32:33], v[4:5], v[77:78], v[32:33]
	ds_read_b128 v[2:5], v1 offset:1568
	v_add_f64 v[18:19], v[18:19], v[36:37]
	s_waitcnt vmcnt(29) lgkmcnt(1)
	v_mul_f64 v[36:37], v[12:13], v[79:80]
	v_add_f64 v[14:15], v[14:15], v[24:25]
	;; [unrolled: 9-line block ×6, first 2 shown]
	s_waitcnt vmcnt(12)
	v_fma_f64 v[36:37], v[10:11], v[91:92], -v[36:37]
	v_mul_f64 v[32:33], v[2:3], v[99:100]
	v_fma_f64 v[24:25], v[12:13], v[91:92], v[24:25]
	ds_read_b128 v[10:13], v1 offset:1648
	v_add_f64 v[18:19], v[18:19], v[28:29]
	v_add_f64 v[14:15], v[14:15], v[22:23]
	s_waitcnt vmcnt(11) lgkmcnt(1)
	v_mul_f64 v[28:29], v[8:9], v[101:102]
	v_mul_f64 v[22:23], v[6:7], v[101:102]
	s_waitcnt vmcnt(9)
	v_fma_f64 v[1:2], v[2:3], v[97:98], -v[34:35]
	v_fma_f64 v[3:4], v[4:5], v[97:98], v[32:33]
	v_add_f64 v[18:19], v[18:19], v[36:37]
	v_add_f64 v[14:15], v[14:15], v[24:25]
	s_waitcnt vmcnt(7) lgkmcnt(0)
	v_mul_f64 v[24:25], v[10:11], v[20:21]
	v_mul_f64 v[20:21], v[12:13], v[20:21]
	s_waitcnt vmcnt(6)
	v_fma_f64 v[5:6], v[6:7], v[103:104], -v[28:29]
	v_fma_f64 v[7:8], v[8:9], v[103:104], v[22:23]
	v_add_f64 v[1:2], v[18:19], v[1:2]
	v_add_f64 v[3:4], v[14:15], v[3:4]
	s_waitcnt vmcnt(4)
	v_fma_f64 v[9:10], v[10:11], v[16:17], -v[20:21]
	v_add_f64 v[1:2], v[1:2], v[5:6]
	v_fma_f64 v[5:6], v[12:13], v[16:17], v[24:25]
	v_add_f64 v[3:4], v[3:4], v[7:8]
	v_add_f64 v[1:2], v[1:2], v[9:10]
	;; [unrolled: 1-line block ×3, first 2 shown]
	s_waitcnt vmcnt(2)
	v_add_f64 v[1:2], v[26:27], -v[1:2]
	s_waitcnt vmcnt(0)
	v_add_f64 v[3:4], v[30:31], -v[3:4]
	buffer_store_dword v2, off, s[0:3], 0 offset:548
	buffer_store_dword v1, off, s[0:3], 0 offset:544
	;; [unrolled: 1-line block ×4, first 2 shown]
	v_cmpx_lt_u32_e32 32, v0
	s_cbranch_execz .LBB51_261
; %bb.260:
	v_mov_b32_e32 v4, s31
	v_mov_b32_e32 v5, 0
	s_clause 0x3
	buffer_load_dword v1, v4, s[0:3], 0 offen
	buffer_load_dword v2, v4, s[0:3], 0 offen offset:4
	buffer_load_dword v3, v4, s[0:3], 0 offen offset:8
	;; [unrolled: 1-line block ×3, first 2 shown]
	buffer_store_dword v5, off, s[0:3], 0 offset:528
	buffer_store_dword v5, off, s[0:3], 0 offset:532
	buffer_store_dword v5, off, s[0:3], 0 offset:536
	buffer_store_dword v5, off, s[0:3], 0 offset:540
	s_waitcnt vmcnt(0)
	ds_write_b128 v39, v[1:4]
.LBB51_261:
	s_or_b32 exec_lo, exec_lo, s4
	s_waitcnt lgkmcnt(0)
	s_waitcnt_vscnt null, 0x0
	s_barrier
	buffer_gl0_inv
	s_clause 0x37
	buffer_load_dword v10, off, s[0:3], 0 offset:552
	buffer_load_dword v11, off, s[0:3], 0 offset:556
	;; [unrolled: 1-line block ×56, first 2 shown]
	v_mov_b32_e32 v1, 0
	s_mov_b32 s4, exec_lo
	ds_read_b128 v[2:5], v1 offset:1360
	s_clause 0x2
	buffer_load_dword v90, off, s[0:3], 0 offset:780
	buffer_load_dword v94, off, s[0:3], 0 offset:756
	;; [unrolled: 1-line block ×3, first 2 shown]
	ds_read_b128 v[6:9], v1 offset:1376
	s_clause 0x4
	buffer_load_dword v100, off, s[0:3], 0 offset:796
	buffer_load_dword v101, off, s[0:3], 0 offset:808
	;; [unrolled: 1-line block ×5, first 2 shown]
	s_waitcnt vmcnt(62) lgkmcnt(1)
	v_mul_f64 v[95:96], v[4:5], v[10:11]
	v_mul_f64 v[97:98], v[2:3], v[10:11]
	s_waitcnt vmcnt(60) lgkmcnt(0)
	v_mul_f64 v[104:105], v[8:9], v[14:15]
	ds_read_b128 v[10:13], v1 offset:1392
	v_mul_f64 v[14:15], v[6:7], v[14:15]
	s_waitcnt vmcnt(58)
	v_fma_f64 v[95:96], v[2:3], v[16:17], -v[95:96]
	v_fma_f64 v[16:17], v[4:5], v[16:17], v[97:98]
	s_clause 0x2
	buffer_load_dword v102, off, s[0:3], 0 offset:812
	buffer_load_dword v98, off, s[0:3], 0 offset:788
	;; [unrolled: 1-line block ×3, first 2 shown]
	s_waitcnt vmcnt(59) lgkmcnt(0)
	v_mul_f64 v[106:107], v[10:11], v[18:19]
	v_mul_f64 v[18:19], v[12:13], v[18:19]
	s_waitcnt vmcnt(57)
	v_fma_f64 v[108:109], v[6:7], v[20:21], -v[104:105]
	ds_read_b128 v[2:5], v1 offset:1408
	v_fma_f64 v[14:15], v[8:9], v[20:21], v[14:15]
	s_clause 0x4
	buffer_load_dword v21, off, s[0:3], 0 offset:828
	buffer_load_dword v105, off, s[0:3], 0 offset:840
	;; [unrolled: 1-line block ×5, first 2 shown]
	ds_read_b128 v[6:9], v1 offset:1424
	v_add_f64 v[95:96], v[95:96], 0
	v_add_f64 v[16:17], v[16:17], 0
	s_waitcnt vmcnt(58) lgkmcnt(1)
	v_mul_f64 v[111:112], v[2:3], v[22:23]
	v_mul_f64 v[22:23], v[4:5], v[22:23]
	s_waitcnt vmcnt(56)
	v_fma_f64 v[18:19], v[10:11], v[28:29], -v[18:19]
	v_fma_f64 v[28:29], v[12:13], v[28:29], v[106:107]
	v_add_f64 v[95:96], v[95:96], v[108:109]
	v_add_f64 v[14:15], v[16:17], v[14:15]
	s_clause 0x2
	buffer_load_dword v106, off, s[0:3], 0 offset:844
	buffer_load_dword v17, off, s[0:3], 0 offset:820
	buffer_load_dword v16, off, s[0:3], 0 offset:816
	s_waitcnt vmcnt(58) lgkmcnt(0)
	v_mul_f64 v[107:108], v[6:7], v[24:25]
	v_mul_f64 v[24:25], v[8:9], v[24:25]
	s_waitcnt vmcnt(56)
	v_fma_f64 v[22:23], v[2:3], v[30:31], -v[22:23]
	ds_read_b128 v[10:13], v1 offset:1440
	v_fma_f64 v[30:31], v[4:5], v[30:31], v[111:112]
	buffer_load_dword v111, off, s[0:3], 0 offset:836
	ds_read_b128 v[2:5], v1 offset:1456
	v_add_f64 v[18:19], v[95:96], v[18:19]
	v_add_f64 v[14:15], v[14:15], v[28:29]
	s_waitcnt vmcnt(53) lgkmcnt(1)
	v_mul_f64 v[28:29], v[10:11], v[32:33]
	v_mul_f64 v[32:33], v[12:13], v[32:33]
	s_waitcnt vmcnt(52)
	v_fma_f64 v[24:25], v[6:7], v[26:27], -v[24:25]
	v_add_f64 v[18:19], v[18:19], v[22:23]
	v_fma_f64 v[22:23], v[8:9], v[26:27], v[107:108]
	v_add_f64 v[14:15], v[14:15], v[30:31]
	s_waitcnt vmcnt(51) lgkmcnt(0)
	v_mul_f64 v[30:31], v[4:5], v[34:35]
	ds_read_b128 v[6:9], v1 offset:1472
	s_waitcnt vmcnt(49)
	v_fma_f64 v[32:33], v[10:11], v[58:59], -v[32:33]
	v_mul_f64 v[26:27], v[2:3], v[34:35]
	v_add_f64 v[18:19], v[18:19], v[24:25]
	v_fma_f64 v[24:25], v[12:13], v[58:59], v[28:29]
	v_add_f64 v[14:15], v[14:15], v[22:23]
	s_clause 0x3
	buffer_load_dword v22, off, s[0:3], 0 offset:528
	buffer_load_dword v23, off, s[0:3], 0 offset:532
	;; [unrolled: 1-line block ×4, first 2 shown]
	s_waitcnt vmcnt(49) lgkmcnt(0)
	v_mul_f64 v[58:59], v[8:9], v[63:64]
	s_waitcnt vmcnt(48)
	v_fma_f64 v[30:31], v[2:3], v[36:37], -v[30:31]
	ds_read_b128 v[10:13], v1 offset:1488
	v_mul_f64 v[34:35], v[6:7], v[63:64]
	v_fma_f64 v[26:27], v[4:5], v[36:37], v[26:27]
	ds_read_b128 v[2:5], v1 offset:1504
	v_add_f64 v[18:19], v[18:19], v[32:33]
	v_add_f64 v[14:15], v[14:15], v[24:25]
	s_waitcnt vmcnt(47) lgkmcnt(1)
	v_mul_f64 v[32:33], v[12:13], v[65:66]
	s_waitcnt vmcnt(45)
	v_fma_f64 v[36:37], v[6:7], v[69:70], -v[58:59]
	v_mul_f64 v[24:25], v[10:11], v[65:66]
	v_add_f64 v[18:19], v[18:19], v[30:31]
	v_fma_f64 v[30:31], v[8:9], v[69:70], v[34:35]
	v_add_f64 v[14:15], v[14:15], v[26:27]
	s_waitcnt vmcnt(41) lgkmcnt(0)
	v_mul_f64 v[34:35], v[4:5], v[71:72]
	s_waitcnt vmcnt(40)
	v_fma_f64 v[32:33], v[10:11], v[67:68], -v[32:33]
	ds_read_b128 v[6:9], v1 offset:1520
	v_mul_f64 v[26:27], v[2:3], v[71:72]
	v_fma_f64 v[24:25], v[12:13], v[67:68], v[24:25]
	ds_read_b128 v[10:13], v1 offset:1536
	v_add_f64 v[18:19], v[18:19], v[36:37]
	v_add_f64 v[14:15], v[14:15], v[30:31]
	s_waitcnt vmcnt(39) lgkmcnt(1)
	v_mul_f64 v[36:37], v[8:9], v[73:74]
	s_waitcnt vmcnt(37)
	v_fma_f64 v[34:35], v[2:3], v[77:78], -v[34:35]
	v_mul_f64 v[30:31], v[6:7], v[73:74]
	v_fma_f64 v[26:27], v[4:5], v[77:78], v[26:27]
	ds_read_b128 v[2:5], v1 offset:1552
	v_add_f64 v[18:19], v[18:19], v[32:33]
	s_waitcnt vmcnt(33) lgkmcnt(1)
	v_mul_f64 v[32:33], v[12:13], v[79:80]
	v_add_f64 v[14:15], v[14:15], v[24:25]
	s_waitcnt vmcnt(32)
	v_fma_f64 v[36:37], v[6:7], v[75:76], -v[36:37]
	v_mul_f64 v[24:25], v[10:11], v[79:80]
	v_fma_f64 v[30:31], v[8:9], v[75:76], v[30:31]
	ds_read_b128 v[6:9], v1 offset:1568
	v_add_f64 v[18:19], v[18:19], v[34:35]
	s_waitcnt vmcnt(31) lgkmcnt(1)
	v_mul_f64 v[34:35], v[4:5], v[81:82]
	v_add_f64 v[14:15], v[14:15], v[26:27]
	s_waitcnt vmcnt(29)
	v_fma_f64 v[32:33], v[10:11], v[85:86], -v[32:33]
	v_mul_f64 v[26:27], v[2:3], v[81:82]
	v_fma_f64 v[24:25], v[12:13], v[85:86], v[24:25]
	ds_read_b128 v[10:13], v1 offset:1584
	v_add_f64 v[18:19], v[18:19], v[36:37]
	s_waitcnt vmcnt(25) lgkmcnt(1)
	v_mul_f64 v[36:37], v[8:9], v[87:88]
	v_add_f64 v[14:15], v[14:15], v[30:31]
	s_waitcnt vmcnt(24)
	v_fma_f64 v[34:35], v[2:3], v[83:84], -v[34:35]
	v_mul_f64 v[30:31], v[6:7], v[87:88]
	v_fma_f64 v[26:27], v[4:5], v[83:84], v[26:27]
	ds_read_b128 v[2:5], v1 offset:1600
	v_add_f64 v[18:19], v[18:19], v[32:33]
	s_waitcnt vmcnt(23) lgkmcnt(1)
	v_mul_f64 v[32:33], v[12:13], v[89:90]
	v_add_f64 v[14:15], v[14:15], v[24:25]
	s_waitcnt vmcnt(21)
	v_fma_f64 v[36:37], v[6:7], v[93:94], -v[36:37]
	v_mul_f64 v[24:25], v[10:11], v[89:90]
	v_fma_f64 v[30:31], v[8:9], v[93:94], v[30:31]
	ds_read_b128 v[6:9], v1 offset:1616
	v_add_f64 v[18:19], v[18:19], v[34:35]
	s_waitcnt vmcnt(17) lgkmcnt(1)
	v_mul_f64 v[34:35], v[4:5], v[99:100]
	v_add_f64 v[14:15], v[14:15], v[26:27]
	s_waitcnt vmcnt(16)
	v_fma_f64 v[32:33], v[10:11], v[91:92], -v[32:33]
	v_mul_f64 v[26:27], v[2:3], v[99:100]
	v_fma_f64 v[24:25], v[12:13], v[91:92], v[24:25]
	ds_read_b128 v[10:13], v1 offset:1632
	v_add_f64 v[18:19], v[18:19], v[36:37]
	v_add_f64 v[14:15], v[14:15], v[30:31]
	s_waitcnt vmcnt(15) lgkmcnt(1)
	v_mul_f64 v[36:37], v[8:9], v[101:102]
	v_mul_f64 v[30:31], v[6:7], v[101:102]
	s_waitcnt vmcnt(13)
	v_fma_f64 v[34:35], v[2:3], v[97:98], -v[34:35]
	v_fma_f64 v[26:27], v[4:5], v[97:98], v[26:27]
	ds_read_b128 v[2:5], v1 offset:1648
	v_add_f64 v[18:19], v[18:19], v[32:33]
	v_add_f64 v[14:15], v[14:15], v[24:25]
	s_waitcnt vmcnt(9) lgkmcnt(1)
	v_mul_f64 v[24:25], v[10:11], v[20:21]
	v_mul_f64 v[20:21], v[12:13], v[20:21]
	s_waitcnt vmcnt(8)
	v_fma_f64 v[6:7], v[6:7], v[103:104], -v[36:37]
	v_fma_f64 v[8:9], v[8:9], v[103:104], v[30:31]
	v_add_f64 v[18:19], v[18:19], v[34:35]
	v_add_f64 v[14:15], v[14:15], v[26:27]
	s_waitcnt vmcnt(7) lgkmcnt(0)
	v_mul_f64 v[30:31], v[4:5], v[105:106]
	v_mul_f64 v[26:27], v[2:3], v[105:106]
	s_waitcnt vmcnt(5)
	v_fma_f64 v[10:11], v[10:11], v[16:17], -v[20:21]
	v_fma_f64 v[12:13], v[12:13], v[16:17], v[24:25]
	v_add_f64 v[6:7], v[18:19], v[6:7]
	v_add_f64 v[8:9], v[14:15], v[8:9]
	s_waitcnt vmcnt(4)
	v_fma_f64 v[2:3], v[2:3], v[110:111], -v[30:31]
	v_fma_f64 v[4:5], v[4:5], v[110:111], v[26:27]
	v_add_f64 v[6:7], v[6:7], v[10:11]
	v_add_f64 v[8:9], v[8:9], v[12:13]
	;; [unrolled: 1-line block ×4, first 2 shown]
	s_waitcnt vmcnt(2)
	v_add_f64 v[2:3], v[22:23], -v[2:3]
	s_waitcnt vmcnt(0)
	v_add_f64 v[4:5], v[28:29], -v[4:5]
	buffer_store_dword v3, off, s[0:3], 0 offset:532
	buffer_store_dword v2, off, s[0:3], 0 offset:528
	;; [unrolled: 1-line block ×4, first 2 shown]
	v_cmpx_lt_u32_e32 31, v0
	s_cbranch_execz .LBB51_263
; %bb.262:
	v_mov_b32_e32 v5, s33
	s_clause 0x3
	buffer_load_dword v2, v5, s[0:3], 0 offen
	buffer_load_dword v3, v5, s[0:3], 0 offen offset:4
	buffer_load_dword v4, v5, s[0:3], 0 offen offset:8
	;; [unrolled: 1-line block ×3, first 2 shown]
	buffer_store_dword v1, off, s[0:3], 0 offset:512
	buffer_store_dword v1, off, s[0:3], 0 offset:516
	;; [unrolled: 1-line block ×4, first 2 shown]
	s_waitcnt vmcnt(0)
	ds_write_b128 v39, v[2:5]
.LBB51_263:
	s_or_b32 exec_lo, exec_lo, s4
	s_waitcnt lgkmcnt(0)
	s_waitcnt_vscnt null, 0x0
	s_barrier
	buffer_gl0_inv
	s_clause 0x37
	buffer_load_dword v10, off, s[0:3], 0 offset:536
	buffer_load_dword v11, off, s[0:3], 0 offset:540
	;; [unrolled: 1-line block ×56, first 2 shown]
	ds_read_b128 v[2:5], v1 offset:1344
	s_clause 0x2
	buffer_load_dword v90, off, s[0:3], 0 offset:764
	buffer_load_dword v94, off, s[0:3], 0 offset:740
	buffer_load_dword v93, off, s[0:3], 0 offset:736
	ds_read_b128 v[6:9], v1 offset:1360
	s_clause 0x4
	buffer_load_dword v100, off, s[0:3], 0 offset:780
	buffer_load_dword v101, off, s[0:3], 0 offset:792
	;; [unrolled: 1-line block ×5, first 2 shown]
	s_mov_b32 s4, exec_lo
	s_waitcnt vmcnt(62) lgkmcnt(1)
	v_mul_f64 v[95:96], v[4:5], v[10:11]
	v_mul_f64 v[97:98], v[2:3], v[10:11]
	s_waitcnt vmcnt(60) lgkmcnt(0)
	v_mul_f64 v[104:105], v[8:9], v[14:15]
	ds_read_b128 v[10:13], v1 offset:1376
	v_mul_f64 v[14:15], v[6:7], v[14:15]
	s_waitcnt vmcnt(58)
	v_fma_f64 v[95:96], v[2:3], v[16:17], -v[95:96]
	v_fma_f64 v[16:17], v[4:5], v[16:17], v[97:98]
	s_clause 0x2
	buffer_load_dword v102, off, s[0:3], 0 offset:796
	buffer_load_dword v98, off, s[0:3], 0 offset:772
	;; [unrolled: 1-line block ×3, first 2 shown]
	s_waitcnt vmcnt(59) lgkmcnt(0)
	v_mul_f64 v[106:107], v[10:11], v[18:19]
	v_mul_f64 v[18:19], v[12:13], v[18:19]
	s_waitcnt vmcnt(57)
	v_fma_f64 v[108:109], v[6:7], v[20:21], -v[104:105]
	ds_read_b128 v[2:5], v1 offset:1392
	v_fma_f64 v[14:15], v[8:9], v[20:21], v[14:15]
	s_clause 0x4
	buffer_load_dword v21, off, s[0:3], 0 offset:812
	buffer_load_dword v105, off, s[0:3], 0 offset:824
	;; [unrolled: 1-line block ×5, first 2 shown]
	ds_read_b128 v[6:9], v1 offset:1408
	v_add_f64 v[95:96], v[95:96], 0
	v_add_f64 v[16:17], v[16:17], 0
	s_waitcnt vmcnt(58) lgkmcnt(1)
	v_mul_f64 v[111:112], v[2:3], v[22:23]
	v_mul_f64 v[22:23], v[4:5], v[22:23]
	s_waitcnt vmcnt(56)
	v_fma_f64 v[18:19], v[10:11], v[28:29], -v[18:19]
	v_fma_f64 v[28:29], v[12:13], v[28:29], v[106:107]
	v_add_f64 v[95:96], v[95:96], v[108:109]
	v_add_f64 v[14:15], v[16:17], v[14:15]
	s_clause 0x2
	buffer_load_dword v106, off, s[0:3], 0 offset:828
	buffer_load_dword v17, off, s[0:3], 0 offset:804
	;; [unrolled: 1-line block ×3, first 2 shown]
	s_waitcnt vmcnt(58) lgkmcnt(0)
	v_mul_f64 v[107:108], v[6:7], v[24:25]
	v_mul_f64 v[24:25], v[8:9], v[24:25]
	s_waitcnt vmcnt(56)
	v_fma_f64 v[22:23], v[2:3], v[30:31], -v[22:23]
	ds_read_b128 v[10:13], v1 offset:1424
	v_fma_f64 v[30:31], v[4:5], v[30:31], v[111:112]
	v_add_f64 v[18:19], v[95:96], v[18:19]
	v_add_f64 v[14:15], v[14:15], v[28:29]
	s_clause 0x2
	buffer_load_dword v29, off, s[0:3], 0 offset:844
	buffer_load_dword v28, off, s[0:3], 0 offset:840
	;; [unrolled: 1-line block ×3, first 2 shown]
	ds_read_b128 v[2:5], v1 offset:1440
	s_waitcnt vmcnt(55) lgkmcnt(1)
	v_mul_f64 v[95:96], v[10:11], v[32:33]
	v_mul_f64 v[32:33], v[12:13], v[32:33]
	s_waitcnt vmcnt(54)
	v_fma_f64 v[24:25], v[6:7], v[26:27], -v[24:25]
	v_add_f64 v[18:19], v[18:19], v[22:23]
	v_fma_f64 v[22:23], v[8:9], v[26:27], v[107:108]
	v_add_f64 v[14:15], v[14:15], v[30:31]
	s_clause 0x1
	buffer_load_dword v27, off, s[0:3], 0 offset:836
	buffer_load_dword v26, off, s[0:3], 0 offset:832
	s_waitcnt vmcnt(55) lgkmcnt(0)
	v_mul_f64 v[30:31], v[2:3], v[34:35]
	v_mul_f64 v[34:35], v[4:5], v[34:35]
	s_waitcnt vmcnt(53)
	v_fma_f64 v[32:33], v[10:11], v[58:59], -v[32:33]
	ds_read_b128 v[6:9], v1 offset:1456
	v_add_f64 v[18:19], v[18:19], v[24:25]
	v_fma_f64 v[24:25], v[12:13], v[58:59], v[95:96]
	v_add_f64 v[14:15], v[14:15], v[22:23]
	ds_read_b128 v[10:13], v1 offset:1472
	s_waitcnt vmcnt(48)
	v_fma_f64 v[30:31], v[4:5], v[36:37], v[30:31]
	s_waitcnt lgkmcnt(1)
	v_mul_f64 v[58:59], v[8:9], v[63:64]
	v_fma_f64 v[34:35], v[2:3], v[36:37], -v[34:35]
	v_mul_f64 v[22:23], v[6:7], v[63:64]
	v_add_f64 v[18:19], v[18:19], v[32:33]
	s_waitcnt vmcnt(47) lgkmcnt(0)
	v_mul_f64 v[63:64], v[12:13], v[65:66]
	v_add_f64 v[14:15], v[14:15], v[24:25]
	s_clause 0x3
	buffer_load_dword v24, off, s[0:3], 0 offset:512
	buffer_load_dword v25, off, s[0:3], 0 offset:516
	buffer_load_dword v32, off, s[0:3], 0 offset:520
	buffer_load_dword v33, off, s[0:3], 0 offset:524
	ds_read_b128 v[2:5], v1 offset:1488
	s_waitcnt vmcnt(49)
	v_fma_f64 v[58:59], v[6:7], v[69:70], -v[58:59]
	v_mul_f64 v[36:37], v[10:11], v[65:66]
	v_fma_f64 v[22:23], v[8:9], v[69:70], v[22:23]
	ds_read_b128 v[6:9], v1 offset:1504
	v_add_f64 v[18:19], v[18:19], v[34:35]
	s_waitcnt vmcnt(44)
	v_fma_f64 v[63:64], v[10:11], v[67:68], -v[63:64]
	v_add_f64 v[14:15], v[14:15], v[30:31]
	s_waitcnt lgkmcnt(1)
	v_mul_f64 v[34:35], v[4:5], v[71:72]
	v_mul_f64 v[30:31], v[2:3], v[71:72]
	v_fma_f64 v[36:37], v[12:13], v[67:68], v[36:37]
	ds_read_b128 v[10:13], v1 offset:1520
	v_add_f64 v[18:19], v[18:19], v[58:59]
	s_waitcnt vmcnt(43) lgkmcnt(1)
	v_mul_f64 v[58:59], v[8:9], v[73:74]
	v_add_f64 v[14:15], v[14:15], v[22:23]
	s_waitcnt vmcnt(41)
	v_fma_f64 v[34:35], v[2:3], v[77:78], -v[34:35]
	v_mul_f64 v[22:23], v[6:7], v[73:74]
	v_fma_f64 v[30:31], v[4:5], v[77:78], v[30:31]
	ds_read_b128 v[2:5], v1 offset:1536
	v_add_f64 v[18:19], v[18:19], v[63:64]
	s_waitcnt vmcnt(37) lgkmcnt(1)
	v_mul_f64 v[63:64], v[12:13], v[79:80]
	v_add_f64 v[14:15], v[14:15], v[36:37]
	s_waitcnt vmcnt(36)
	v_fma_f64 v[58:59], v[6:7], v[75:76], -v[58:59]
	;; [unrolled: 9-line block ×6, first 2 shown]
	v_mul_f64 v[30:31], v[2:3], v[99:100]
	v_fma_f64 v[36:37], v[12:13], v[91:92], v[36:37]
	ds_read_b128 v[10:13], v1 offset:1616
	v_add_f64 v[18:19], v[18:19], v[58:59]
	v_add_f64 v[14:15], v[14:15], v[22:23]
	s_waitcnt vmcnt(19) lgkmcnt(1)
	v_mul_f64 v[58:59], v[8:9], v[101:102]
	v_mul_f64 v[22:23], v[6:7], v[101:102]
	s_waitcnt vmcnt(17)
	v_fma_f64 v[34:35], v[2:3], v[97:98], -v[34:35]
	v_fma_f64 v[30:31], v[4:5], v[97:98], v[30:31]
	ds_read_b128 v[2:5], v1 offset:1632
	v_add_f64 v[18:19], v[18:19], v[63:64]
	v_add_f64 v[14:15], v[14:15], v[36:37]
	s_waitcnt vmcnt(13) lgkmcnt(1)
	v_mul_f64 v[36:37], v[10:11], v[20:21]
	v_mul_f64 v[20:21], v[12:13], v[20:21]
	s_waitcnt vmcnt(12)
	v_fma_f64 v[58:59], v[6:7], v[103:104], -v[58:59]
	;; [unrolled: 9-line block ×3, first 2 shown]
	v_fma_f64 v[12:13], v[12:13], v[16:17], v[36:37]
	v_add_f64 v[18:19], v[18:19], v[58:59]
	v_add_f64 v[14:15], v[14:15], v[22:23]
	s_waitcnt vmcnt(7) lgkmcnt(0)
	v_mul_f64 v[20:21], v[8:9], v[28:29]
	s_waitcnt vmcnt(6)
	v_fma_f64 v[1:2], v[2:3], v[110:111], -v[34:35]
	v_mul_f64 v[16:17], v[6:7], v[28:29]
	v_fma_f64 v[3:4], v[4:5], v[110:111], v[30:31]
	v_add_f64 v[10:11], v[18:19], v[10:11]
	v_add_f64 v[12:13], v[14:15], v[12:13]
	s_waitcnt vmcnt(4)
	v_fma_f64 v[5:6], v[6:7], v[26:27], -v[20:21]
	v_fma_f64 v[7:8], v[8:9], v[26:27], v[16:17]
	v_add_f64 v[1:2], v[10:11], v[1:2]
	v_add_f64 v[3:4], v[12:13], v[3:4]
	;; [unrolled: 1-line block ×4, first 2 shown]
	s_waitcnt vmcnt(2)
	v_add_f64 v[1:2], v[24:25], -v[1:2]
	s_waitcnt vmcnt(0)
	v_add_f64 v[3:4], v[32:33], -v[3:4]
	buffer_store_dword v2, off, s[0:3], 0 offset:516
	buffer_store_dword v1, off, s[0:3], 0 offset:512
	;; [unrolled: 1-line block ×4, first 2 shown]
	v_cmpx_lt_u32_e32 30, v0
	s_cbranch_execz .LBB51_265
; %bb.264:
	v_mov_b32_e32 v4, s34
	v_mov_b32_e32 v5, 0
	s_clause 0x3
	buffer_load_dword v1, v4, s[0:3], 0 offen
	buffer_load_dword v2, v4, s[0:3], 0 offen offset:4
	buffer_load_dword v3, v4, s[0:3], 0 offen offset:8
	;; [unrolled: 1-line block ×3, first 2 shown]
	buffer_store_dword v5, off, s[0:3], 0 offset:496
	buffer_store_dword v5, off, s[0:3], 0 offset:500
	;; [unrolled: 1-line block ×4, first 2 shown]
	s_waitcnt vmcnt(0)
	ds_write_b128 v39, v[1:4]
.LBB51_265:
	s_or_b32 exec_lo, exec_lo, s4
	s_waitcnt lgkmcnt(0)
	s_waitcnt_vscnt null, 0x0
	s_barrier
	buffer_gl0_inv
	s_clause 0x37
	buffer_load_dword v10, off, s[0:3], 0 offset:520
	buffer_load_dword v11, off, s[0:3], 0 offset:524
	;; [unrolled: 1-line block ×56, first 2 shown]
	v_mov_b32_e32 v1, 0
	s_mov_b32 s4, exec_lo
	ds_read_b128 v[2:5], v1 offset:1328
	s_clause 0x2
	buffer_load_dword v90, off, s[0:3], 0 offset:748
	buffer_load_dword v94, off, s[0:3], 0 offset:724
	;; [unrolled: 1-line block ×3, first 2 shown]
	ds_read_b128 v[6:9], v1 offset:1344
	s_clause 0x4
	buffer_load_dword v100, off, s[0:3], 0 offset:764
	buffer_load_dword v101, off, s[0:3], 0 offset:776
	buffer_load_dword v103, off, s[0:3], 0 offset:768
	buffer_load_dword v99, off, s[0:3], 0 offset:760
	buffer_load_dword v92, off, s[0:3], 0 offset:740
	s_waitcnt vmcnt(62) lgkmcnt(1)
	v_mul_f64 v[95:96], v[4:5], v[10:11]
	v_mul_f64 v[97:98], v[2:3], v[10:11]
	s_waitcnt vmcnt(60) lgkmcnt(0)
	v_mul_f64 v[104:105], v[8:9], v[14:15]
	ds_read_b128 v[10:13], v1 offset:1360
	v_mul_f64 v[14:15], v[6:7], v[14:15]
	s_waitcnt vmcnt(58)
	v_fma_f64 v[95:96], v[2:3], v[16:17], -v[95:96]
	v_fma_f64 v[16:17], v[4:5], v[16:17], v[97:98]
	s_clause 0x2
	buffer_load_dword v102, off, s[0:3], 0 offset:780
	buffer_load_dword v98, off, s[0:3], 0 offset:756
	;; [unrolled: 1-line block ×3, first 2 shown]
	s_waitcnt vmcnt(59) lgkmcnt(0)
	v_mul_f64 v[106:107], v[10:11], v[18:19]
	v_mul_f64 v[18:19], v[12:13], v[18:19]
	s_waitcnt vmcnt(57)
	v_fma_f64 v[108:109], v[6:7], v[20:21], -v[104:105]
	ds_read_b128 v[2:5], v1 offset:1376
	v_fma_f64 v[14:15], v[8:9], v[20:21], v[14:15]
	s_clause 0x4
	buffer_load_dword v21, off, s[0:3], 0 offset:796
	buffer_load_dword v105, off, s[0:3], 0 offset:808
	;; [unrolled: 1-line block ×5, first 2 shown]
	ds_read_b128 v[6:9], v1 offset:1392
	v_add_f64 v[95:96], v[95:96], 0
	v_add_f64 v[16:17], v[16:17], 0
	s_waitcnt vmcnt(58) lgkmcnt(1)
	v_mul_f64 v[111:112], v[2:3], v[22:23]
	v_mul_f64 v[22:23], v[4:5], v[22:23]
	s_waitcnt vmcnt(56)
	v_fma_f64 v[18:19], v[10:11], v[28:29], -v[18:19]
	v_fma_f64 v[28:29], v[12:13], v[28:29], v[106:107]
	v_add_f64 v[95:96], v[95:96], v[108:109]
	v_add_f64 v[14:15], v[16:17], v[14:15]
	s_clause 0x2
	buffer_load_dword v106, off, s[0:3], 0 offset:812
	buffer_load_dword v17, off, s[0:3], 0 offset:788
	;; [unrolled: 1-line block ×3, first 2 shown]
	s_waitcnt vmcnt(58) lgkmcnt(0)
	v_mul_f64 v[107:108], v[6:7], v[24:25]
	v_mul_f64 v[24:25], v[8:9], v[24:25]
	s_waitcnt vmcnt(56)
	v_fma_f64 v[22:23], v[2:3], v[30:31], -v[22:23]
	ds_read_b128 v[10:13], v1 offset:1408
	v_fma_f64 v[30:31], v[4:5], v[30:31], v[111:112]
	v_add_f64 v[18:19], v[95:96], v[18:19]
	v_add_f64 v[14:15], v[14:15], v[28:29]
	s_clause 0x4
	buffer_load_dword v29, off, s[0:3], 0 offset:828
	buffer_load_dword v95, off, s[0:3], 0 offset:840
	;; [unrolled: 1-line block ×5, first 2 shown]
	ds_read_b128 v[2:5], v1 offset:1424
	s_waitcnt vmcnt(57) lgkmcnt(1)
	v_mul_f64 v[113:114], v[10:11], v[32:33]
	v_mul_f64 v[32:33], v[12:13], v[32:33]
	s_waitcnt vmcnt(56)
	v_fma_f64 v[24:25], v[6:7], v[26:27], -v[24:25]
	v_add_f64 v[18:19], v[18:19], v[22:23]
	v_fma_f64 v[22:23], v[8:9], v[26:27], v[107:108]
	v_add_f64 v[14:15], v[14:15], v[30:31]
	s_clause 0x2
	buffer_load_dword v96, off, s[0:3], 0 offset:844
	buffer_load_dword v27, off, s[0:3], 0 offset:820
	buffer_load_dword v26, off, s[0:3], 0 offset:816
	s_waitcnt vmcnt(58) lgkmcnt(0)
	v_mul_f64 v[30:31], v[2:3], v[34:35]
	v_mul_f64 v[34:35], v[4:5], v[34:35]
	s_waitcnt vmcnt(56)
	v_fma_f64 v[32:33], v[10:11], v[58:59], -v[32:33]
	ds_read_b128 v[6:9], v1 offset:1440
	v_add_f64 v[18:19], v[18:19], v[24:25]
	v_fma_f64 v[24:25], v[12:13], v[58:59], v[113:114]
	v_add_f64 v[14:15], v[14:15], v[22:23]
	buffer_load_dword v113, off, s[0:3], 0 offset:836
	ds_read_b128 v[10:13], v1 offset:1456
	s_waitcnt vmcnt(53) lgkmcnt(1)
	v_mul_f64 v[58:59], v[8:9], v[63:64]
	s_waitcnt vmcnt(52)
	v_fma_f64 v[34:35], v[2:3], v[36:37], -v[34:35]
	v_mul_f64 v[22:23], v[6:7], v[63:64]
	v_fma_f64 v[30:31], v[4:5], v[36:37], v[30:31]
	ds_read_b128 v[2:5], v1 offset:1472
	v_add_f64 v[18:19], v[18:19], v[32:33]
	v_add_f64 v[14:15], v[14:15], v[24:25]
	s_waitcnt vmcnt(51) lgkmcnt(1)
	v_mul_f64 v[32:33], v[12:13], v[65:66]
	v_mul_f64 v[24:25], v[10:11], v[65:66]
	s_waitcnt vmcnt(49)
	v_fma_f64 v[36:37], v[6:7], v[69:70], -v[58:59]
	v_fma_f64 v[22:23], v[8:9], v[69:70], v[22:23]
	s_waitcnt vmcnt(45) lgkmcnt(0)
	v_mul_f64 v[63:64], v[4:5], v[71:72]
	v_mul_f64 v[58:59], v[2:3], v[71:72]
	v_add_f64 v[18:19], v[18:19], v[34:35]
	v_add_f64 v[14:15], v[14:15], v[30:31]
	s_clause 0x3
	buffer_load_dword v30, off, s[0:3], 0 offset:496
	buffer_load_dword v31, off, s[0:3], 0 offset:500
	;; [unrolled: 1-line block ×4, first 2 shown]
	s_waitcnt vmcnt(48)
	v_fma_f64 v[32:33], v[10:11], v[67:68], -v[32:33]
	ds_read_b128 v[6:9], v1 offset:1488
	v_fma_f64 v[24:25], v[12:13], v[67:68], v[24:25]
	ds_read_b128 v[10:13], v1 offset:1504
	s_waitcnt vmcnt(45)
	v_fma_f64 v[63:64], v[2:3], v[77:78], -v[63:64]
	v_add_f64 v[18:19], v[18:19], v[36:37]
	v_add_f64 v[14:15], v[14:15], v[22:23]
	s_waitcnt lgkmcnt(1)
	v_mul_f64 v[36:37], v[8:9], v[73:74]
	v_mul_f64 v[22:23], v[6:7], v[73:74]
	v_add_f64 v[18:19], v[18:19], v[32:33]
	v_fma_f64 v[32:33], v[4:5], v[77:78], v[58:59]
	v_add_f64 v[14:15], v[14:15], v[24:25]
	s_waitcnt vmcnt(41) lgkmcnt(0)
	v_mul_f64 v[58:59], v[12:13], v[79:80]
	s_waitcnt vmcnt(40)
	v_fma_f64 v[36:37], v[6:7], v[75:76], -v[36:37]
	ds_read_b128 v[2:5], v1 offset:1520
	v_mul_f64 v[24:25], v[10:11], v[79:80]
	v_fma_f64 v[22:23], v[8:9], v[75:76], v[22:23]
	ds_read_b128 v[6:9], v1 offset:1536
	v_add_f64 v[18:19], v[18:19], v[63:64]
	v_add_f64 v[14:15], v[14:15], v[32:33]
	s_waitcnt vmcnt(39) lgkmcnt(1)
	v_mul_f64 v[63:64], v[4:5], v[81:82]
	s_waitcnt vmcnt(37)
	v_fma_f64 v[58:59], v[10:11], v[85:86], -v[58:59]
	v_mul_f64 v[32:33], v[2:3], v[81:82]
	v_fma_f64 v[24:25], v[12:13], v[85:86], v[24:25]
	ds_read_b128 v[10:13], v1 offset:1552
	v_add_f64 v[18:19], v[18:19], v[36:37]
	s_waitcnt vmcnt(33) lgkmcnt(1)
	v_mul_f64 v[36:37], v[8:9], v[87:88]
	v_add_f64 v[14:15], v[14:15], v[22:23]
	s_waitcnt vmcnt(32)
	v_fma_f64 v[63:64], v[2:3], v[83:84], -v[63:64]
	v_mul_f64 v[22:23], v[6:7], v[87:88]
	v_fma_f64 v[32:33], v[4:5], v[83:84], v[32:33]
	ds_read_b128 v[2:5], v1 offset:1568
	v_add_f64 v[18:19], v[18:19], v[58:59]
	s_waitcnt vmcnt(31) lgkmcnt(1)
	v_mul_f64 v[58:59], v[12:13], v[89:90]
	v_add_f64 v[14:15], v[14:15], v[24:25]
	;; [unrolled: 9-line block ×3, first 2 shown]
	s_waitcnt vmcnt(24)
	v_fma_f64 v[58:59], v[10:11], v[91:92], -v[58:59]
	v_mul_f64 v[32:33], v[2:3], v[99:100]
	v_fma_f64 v[24:25], v[12:13], v[91:92], v[24:25]
	ds_read_b128 v[10:13], v1 offset:1600
	v_add_f64 v[18:19], v[18:19], v[36:37]
	v_add_f64 v[14:15], v[14:15], v[22:23]
	s_waitcnt vmcnt(23) lgkmcnt(1)
	v_mul_f64 v[36:37], v[8:9], v[101:102]
	v_mul_f64 v[22:23], v[6:7], v[101:102]
	s_waitcnt vmcnt(21)
	v_fma_f64 v[63:64], v[2:3], v[97:98], -v[63:64]
	v_fma_f64 v[32:33], v[4:5], v[97:98], v[32:33]
	ds_read_b128 v[2:5], v1 offset:1616
	v_add_f64 v[18:19], v[18:19], v[58:59]
	v_add_f64 v[14:15], v[14:15], v[24:25]
	s_waitcnt vmcnt(17) lgkmcnt(1)
	v_mul_f64 v[24:25], v[10:11], v[20:21]
	v_mul_f64 v[20:21], v[12:13], v[20:21]
	s_waitcnt vmcnt(16)
	v_fma_f64 v[36:37], v[6:7], v[103:104], -v[36:37]
	;; [unrolled: 9-line block ×3, first 2 shown]
	v_fma_f64 v[16:17], v[12:13], v[16:17], v[24:25]
	ds_read_b128 v[10:13], v1 offset:1648
	v_add_f64 v[18:19], v[18:19], v[36:37]
	v_add_f64 v[14:15], v[14:15], v[22:23]
	s_waitcnt vmcnt(9) lgkmcnt(1)
	v_mul_f64 v[24:25], v[8:9], v[28:29]
	s_waitcnt vmcnt(8)
	v_fma_f64 v[2:3], v[2:3], v[110:111], -v[58:59]
	v_mul_f64 v[22:23], v[6:7], v[28:29]
	v_fma_f64 v[4:5], v[4:5], v[110:111], v[32:33]
	v_add_f64 v[18:19], v[18:19], v[20:21]
	v_add_f64 v[14:15], v[14:15], v[16:17]
	s_waitcnt vmcnt(7) lgkmcnt(0)
	v_mul_f64 v[20:21], v[12:13], v[95:96]
	v_mul_f64 v[16:17], v[10:11], v[95:96]
	s_waitcnt vmcnt(5)
	v_fma_f64 v[6:7], v[6:7], v[26:27], -v[24:25]
	v_fma_f64 v[8:9], v[8:9], v[26:27], v[22:23]
	v_add_f64 v[2:3], v[18:19], v[2:3]
	v_add_f64 v[4:5], v[14:15], v[4:5]
	s_waitcnt vmcnt(4)
	v_fma_f64 v[10:11], v[10:11], v[112:113], -v[20:21]
	v_add_f64 v[2:3], v[2:3], v[6:7]
	v_fma_f64 v[6:7], v[12:13], v[112:113], v[16:17]
	v_add_f64 v[4:5], v[4:5], v[8:9]
	v_add_f64 v[2:3], v[2:3], v[10:11]
	;; [unrolled: 1-line block ×3, first 2 shown]
	s_waitcnt vmcnt(2)
	v_add_f64 v[2:3], v[30:31], -v[2:3]
	s_waitcnt vmcnt(0)
	v_add_f64 v[4:5], v[34:35], -v[4:5]
	buffer_store_dword v3, off, s[0:3], 0 offset:500
	buffer_store_dword v2, off, s[0:3], 0 offset:496
	;; [unrolled: 1-line block ×4, first 2 shown]
	v_cmpx_lt_u32_e32 29, v0
	s_cbranch_execz .LBB51_267
; %bb.266:
	v_mov_b32_e32 v5, s35
	s_clause 0x3
	buffer_load_dword v2, v5, s[0:3], 0 offen
	buffer_load_dword v3, v5, s[0:3], 0 offen offset:4
	buffer_load_dword v4, v5, s[0:3], 0 offen offset:8
	;; [unrolled: 1-line block ×3, first 2 shown]
	buffer_store_dword v1, off, s[0:3], 0 offset:480
	buffer_store_dword v1, off, s[0:3], 0 offset:484
	;; [unrolled: 1-line block ×4, first 2 shown]
	s_waitcnt vmcnt(0)
	ds_write_b128 v39, v[2:5]
.LBB51_267:
	s_or_b32 exec_lo, exec_lo, s4
	s_waitcnt lgkmcnt(0)
	s_waitcnt_vscnt null, 0x0
	s_barrier
	buffer_gl0_inv
	s_clause 0x37
	buffer_load_dword v10, off, s[0:3], 0 offset:504
	buffer_load_dword v11, off, s[0:3], 0 offset:508
	;; [unrolled: 1-line block ×56, first 2 shown]
	ds_read_b128 v[2:5], v1 offset:1312
	s_clause 0x2
	buffer_load_dword v90, off, s[0:3], 0 offset:732
	buffer_load_dword v94, off, s[0:3], 0 offset:708
	;; [unrolled: 1-line block ×3, first 2 shown]
	ds_read_b128 v[6:9], v1 offset:1328
	s_clause 0x4
	buffer_load_dword v100, off, s[0:3], 0 offset:748
	buffer_load_dword v101, off, s[0:3], 0 offset:760
	;; [unrolled: 1-line block ×5, first 2 shown]
	s_mov_b32 s4, exec_lo
	s_waitcnt vmcnt(62) lgkmcnt(1)
	v_mul_f64 v[95:96], v[4:5], v[10:11]
	v_mul_f64 v[97:98], v[2:3], v[10:11]
	s_waitcnt vmcnt(60) lgkmcnt(0)
	v_mul_f64 v[104:105], v[8:9], v[14:15]
	ds_read_b128 v[10:13], v1 offset:1344
	v_mul_f64 v[14:15], v[6:7], v[14:15]
	s_waitcnt vmcnt(58)
	v_fma_f64 v[95:96], v[2:3], v[16:17], -v[95:96]
	v_fma_f64 v[16:17], v[4:5], v[16:17], v[97:98]
	s_clause 0x2
	buffer_load_dword v102, off, s[0:3], 0 offset:764
	buffer_load_dword v98, off, s[0:3], 0 offset:740
	;; [unrolled: 1-line block ×3, first 2 shown]
	s_waitcnt vmcnt(59) lgkmcnt(0)
	v_mul_f64 v[106:107], v[10:11], v[18:19]
	v_mul_f64 v[18:19], v[12:13], v[18:19]
	s_waitcnt vmcnt(57)
	v_fma_f64 v[108:109], v[6:7], v[20:21], -v[104:105]
	ds_read_b128 v[2:5], v1 offset:1360
	v_fma_f64 v[14:15], v[8:9], v[20:21], v[14:15]
	s_clause 0x4
	buffer_load_dword v21, off, s[0:3], 0 offset:780
	buffer_load_dword v105, off, s[0:3], 0 offset:792
	;; [unrolled: 1-line block ×5, first 2 shown]
	ds_read_b128 v[6:9], v1 offset:1376
	v_add_f64 v[95:96], v[95:96], 0
	v_add_f64 v[16:17], v[16:17], 0
	s_waitcnt vmcnt(58) lgkmcnt(1)
	v_mul_f64 v[111:112], v[2:3], v[22:23]
	v_mul_f64 v[22:23], v[4:5], v[22:23]
	s_waitcnt vmcnt(56)
	v_fma_f64 v[18:19], v[10:11], v[28:29], -v[18:19]
	v_fma_f64 v[28:29], v[12:13], v[28:29], v[106:107]
	v_add_f64 v[95:96], v[95:96], v[108:109]
	v_add_f64 v[14:15], v[16:17], v[14:15]
	s_clause 0x2
	buffer_load_dword v106, off, s[0:3], 0 offset:796
	buffer_load_dword v17, off, s[0:3], 0 offset:772
	;; [unrolled: 1-line block ×3, first 2 shown]
	s_waitcnt vmcnt(58) lgkmcnt(0)
	v_mul_f64 v[107:108], v[6:7], v[24:25]
	v_mul_f64 v[24:25], v[8:9], v[24:25]
	s_waitcnt vmcnt(56)
	v_fma_f64 v[22:23], v[2:3], v[30:31], -v[22:23]
	ds_read_b128 v[10:13], v1 offset:1392
	v_fma_f64 v[30:31], v[4:5], v[30:31], v[111:112]
	v_add_f64 v[18:19], v[95:96], v[18:19]
	v_add_f64 v[14:15], v[14:15], v[28:29]
	s_clause 0x4
	buffer_load_dword v29, off, s[0:3], 0 offset:812
	buffer_load_dword v95, off, s[0:3], 0 offset:824
	;; [unrolled: 1-line block ×5, first 2 shown]
	ds_read_b128 v[2:5], v1 offset:1408
	s_waitcnt vmcnt(57) lgkmcnt(1)
	v_mul_f64 v[113:114], v[10:11], v[32:33]
	v_mul_f64 v[32:33], v[12:13], v[32:33]
	s_waitcnt vmcnt(56)
	v_fma_f64 v[24:25], v[6:7], v[26:27], -v[24:25]
	v_add_f64 v[18:19], v[18:19], v[22:23]
	v_fma_f64 v[22:23], v[8:9], v[26:27], v[107:108]
	v_add_f64 v[14:15], v[14:15], v[30:31]
	s_clause 0x2
	buffer_load_dword v96, off, s[0:3], 0 offset:828
	buffer_load_dword v27, off, s[0:3], 0 offset:804
	;; [unrolled: 1-line block ×3, first 2 shown]
	s_waitcnt vmcnt(58) lgkmcnt(0)
	v_mul_f64 v[30:31], v[2:3], v[34:35]
	v_mul_f64 v[34:35], v[4:5], v[34:35]
	s_waitcnt vmcnt(56)
	v_fma_f64 v[32:33], v[10:11], v[58:59], -v[32:33]
	ds_read_b128 v[6:9], v1 offset:1424
	v_add_f64 v[18:19], v[18:19], v[24:25]
	v_fma_f64 v[24:25], v[12:13], v[58:59], v[113:114]
	v_add_f64 v[14:15], v[14:15], v[22:23]
	s_clause 0x2
	buffer_load_dword v23, off, s[0:3], 0 offset:844
	buffer_load_dword v22, off, s[0:3], 0 offset:840
	;; [unrolled: 1-line block ×3, first 2 shown]
	ds_read_b128 v[10:13], v1 offset:1440
	s_waitcnt vmcnt(55) lgkmcnt(1)
	v_mul_f64 v[58:59], v[6:7], v[63:64]
	v_mul_f64 v[63:64], v[8:9], v[63:64]
	s_waitcnt vmcnt(54)
	v_fma_f64 v[34:35], v[2:3], v[36:37], -v[34:35]
	v_fma_f64 v[30:31], v[4:5], v[36:37], v[30:31]
	v_add_f64 v[18:19], v[18:19], v[32:33]
	v_add_f64 v[14:15], v[14:15], v[24:25]
	s_clause 0x1
	buffer_load_dword v25, off, s[0:3], 0 offset:836
	buffer_load_dword v24, off, s[0:3], 0 offset:832
	s_waitcnt vmcnt(55) lgkmcnt(0)
	v_mul_f64 v[36:37], v[12:13], v[65:66]
	ds_read_b128 v[2:5], v1 offset:1456
	s_waitcnt vmcnt(53)
	v_fma_f64 v[63:64], v[6:7], v[69:70], -v[63:64]
	v_mul_f64 v[32:33], v[10:11], v[65:66]
	v_add_f64 v[18:19], v[18:19], v[34:35]
	v_fma_f64 v[34:35], v[8:9], v[69:70], v[58:59]
	v_add_f64 v[14:15], v[14:15], v[30:31]
	ds_read_b128 v[6:9], v1 offset:1472
	s_waitcnt vmcnt(49) lgkmcnt(1)
	v_mul_f64 v[58:59], v[4:5], v[71:72]
	s_waitcnt vmcnt(48)
	v_fma_f64 v[36:37], v[10:11], v[67:68], -v[36:37]
	v_mul_f64 v[30:31], v[2:3], v[71:72]
	v_fma_f64 v[32:33], v[12:13], v[67:68], v[32:33]
	v_add_f64 v[18:19], v[18:19], v[63:64]
	s_waitcnt vmcnt(47) lgkmcnt(0)
	v_mul_f64 v[67:68], v[8:9], v[73:74]
	v_add_f64 v[14:15], v[14:15], v[34:35]
	s_clause 0x3
	buffer_load_dword v34, off, s[0:3], 0 offset:480
	buffer_load_dword v35, off, s[0:3], 0 offset:484
	;; [unrolled: 1-line block ×4, first 2 shown]
	s_waitcnt vmcnt(49)
	v_fma_f64 v[58:59], v[2:3], v[77:78], -v[58:59]
	ds_read_b128 v[10:13], v1 offset:1488
	v_mul_f64 v[65:66], v[6:7], v[73:74]
	v_fma_f64 v[30:31], v[4:5], v[77:78], v[30:31]
	ds_read_b128 v[2:5], v1 offset:1504
	v_add_f64 v[18:19], v[18:19], v[36:37]
	s_waitcnt vmcnt(44)
	v_fma_f64 v[67:68], v[6:7], v[75:76], -v[67:68]
	v_add_f64 v[14:15], v[14:15], v[32:33]
	s_waitcnt lgkmcnt(1)
	v_mul_f64 v[36:37], v[12:13], v[79:80]
	v_mul_f64 v[32:33], v[10:11], v[79:80]
	v_add_f64 v[18:19], v[18:19], v[58:59]
	v_fma_f64 v[58:59], v[8:9], v[75:76], v[65:66]
	v_add_f64 v[14:15], v[14:15], v[30:31]
	s_waitcnt vmcnt(43) lgkmcnt(0)
	v_mul_f64 v[65:66], v[4:5], v[81:82]
	s_waitcnt vmcnt(41)
	v_fma_f64 v[36:37], v[10:11], v[85:86], -v[36:37]
	ds_read_b128 v[6:9], v1 offset:1520
	v_mul_f64 v[30:31], v[2:3], v[81:82]
	v_fma_f64 v[32:33], v[12:13], v[85:86], v[32:33]
	ds_read_b128 v[10:13], v1 offset:1536
	v_add_f64 v[18:19], v[18:19], v[67:68]
	v_add_f64 v[14:15], v[14:15], v[58:59]
	s_waitcnt vmcnt(37) lgkmcnt(1)
	v_mul_f64 v[67:68], v[8:9], v[87:88]
	s_waitcnt vmcnt(36)
	v_fma_f64 v[65:66], v[2:3], v[83:84], -v[65:66]
	v_mul_f64 v[58:59], v[6:7], v[87:88]
	v_fma_f64 v[30:31], v[4:5], v[83:84], v[30:31]
	ds_read_b128 v[2:5], v1 offset:1552
	v_add_f64 v[18:19], v[18:19], v[36:37]
	s_waitcnt vmcnt(35) lgkmcnt(1)
	v_mul_f64 v[36:37], v[12:13], v[89:90]
	v_add_f64 v[14:15], v[14:15], v[32:33]
	s_waitcnt vmcnt(33)
	v_fma_f64 v[67:68], v[6:7], v[93:94], -v[67:68]
	v_mul_f64 v[32:33], v[10:11], v[89:90]
	v_fma_f64 v[58:59], v[8:9], v[93:94], v[58:59]
	ds_read_b128 v[6:9], v1 offset:1568
	v_add_f64 v[18:19], v[18:19], v[65:66]
	s_waitcnt vmcnt(29) lgkmcnt(1)
	v_mul_f64 v[65:66], v[4:5], v[99:100]
	v_add_f64 v[14:15], v[14:15], v[30:31]
	s_waitcnt vmcnt(28)
	v_fma_f64 v[36:37], v[10:11], v[91:92], -v[36:37]
	v_mul_f64 v[30:31], v[2:3], v[99:100]
	v_fma_f64 v[32:33], v[12:13], v[91:92], v[32:33]
	ds_read_b128 v[10:13], v1 offset:1584
	v_add_f64 v[18:19], v[18:19], v[67:68]
	v_add_f64 v[14:15], v[14:15], v[58:59]
	s_waitcnt vmcnt(27) lgkmcnt(1)
	v_mul_f64 v[67:68], v[8:9], v[101:102]
	v_mul_f64 v[58:59], v[6:7], v[101:102]
	s_waitcnt vmcnt(25)
	v_fma_f64 v[65:66], v[2:3], v[97:98], -v[65:66]
	v_fma_f64 v[30:31], v[4:5], v[97:98], v[30:31]
	ds_read_b128 v[2:5], v1 offset:1600
	v_add_f64 v[18:19], v[18:19], v[36:37]
	v_add_f64 v[14:15], v[14:15], v[32:33]
	s_waitcnt vmcnt(21) lgkmcnt(1)
	v_mul_f64 v[32:33], v[10:11], v[20:21]
	v_mul_f64 v[20:21], v[12:13], v[20:21]
	s_waitcnt vmcnt(20)
	v_fma_f64 v[36:37], v[6:7], v[103:104], -v[67:68]
	v_fma_f64 v[58:59], v[8:9], v[103:104], v[58:59]
	ds_read_b128 v[6:9], v1 offset:1616
	v_add_f64 v[18:19], v[18:19], v[65:66]
	v_add_f64 v[14:15], v[14:15], v[30:31]
	s_waitcnt vmcnt(19) lgkmcnt(1)
	v_mul_f64 v[65:66], v[4:5], v[105:106]
	v_mul_f64 v[30:31], v[2:3], v[105:106]
	s_waitcnt vmcnt(17)
	v_fma_f64 v[20:21], v[10:11], v[16:17], -v[20:21]
	v_fma_f64 v[16:17], v[12:13], v[16:17], v[32:33]
	ds_read_b128 v[10:13], v1 offset:1632
	v_add_f64 v[18:19], v[18:19], v[36:37]
	v_add_f64 v[14:15], v[14:15], v[58:59]
	s_waitcnt vmcnt(13) lgkmcnt(1)
	v_mul_f64 v[32:33], v[6:7], v[28:29]
	v_mul_f64 v[28:29], v[8:9], v[28:29]
	s_waitcnt vmcnt(12)
	v_fma_f64 v[36:37], v[2:3], v[110:111], -v[65:66]
	v_add_f64 v[18:19], v[18:19], v[20:21]
	v_fma_f64 v[20:21], v[4:5], v[110:111], v[30:31]
	v_add_f64 v[14:15], v[14:15], v[16:17]
	ds_read_b128 v[1:4], v1 offset:1648
	s_waitcnt vmcnt(11) lgkmcnt(1)
	v_mul_f64 v[30:31], v[12:13], v[95:96]
	v_mul_f64 v[16:17], v[10:11], v[95:96]
	s_waitcnt vmcnt(9)
	v_fma_f64 v[5:6], v[6:7], v[26:27], -v[28:29]
	v_fma_f64 v[7:8], v[8:9], v[26:27], v[32:33]
	v_add_f64 v[18:19], v[18:19], v[36:37]
	v_add_f64 v[14:15], v[14:15], v[20:21]
	s_waitcnt vmcnt(7) lgkmcnt(0)
	v_mul_f64 v[20:21], v[1:2], v[22:23]
	v_mul_f64 v[22:23], v[3:4], v[22:23]
	s_waitcnt vmcnt(6)
	v_fma_f64 v[9:10], v[10:11], v[112:113], -v[30:31]
	v_fma_f64 v[11:12], v[12:13], v[112:113], v[16:17]
	v_add_f64 v[5:6], v[18:19], v[5:6]
	v_add_f64 v[7:8], v[14:15], v[7:8]
	s_waitcnt vmcnt(4)
	v_fma_f64 v[1:2], v[1:2], v[24:25], -v[22:23]
	v_fma_f64 v[3:4], v[3:4], v[24:25], v[20:21]
	v_add_f64 v[5:6], v[5:6], v[9:10]
	v_add_f64 v[7:8], v[7:8], v[11:12]
	;; [unrolled: 1-line block ×4, first 2 shown]
	s_waitcnt vmcnt(2)
	v_add_f64 v[1:2], v[34:35], -v[1:2]
	s_waitcnt vmcnt(0)
	v_add_f64 v[3:4], v[63:64], -v[3:4]
	buffer_store_dword v2, off, s[0:3], 0 offset:484
	buffer_store_dword v1, off, s[0:3], 0 offset:480
	;; [unrolled: 1-line block ×4, first 2 shown]
	v_cmpx_lt_u32_e32 28, v0
	s_cbranch_execz .LBB51_269
; %bb.268:
	v_mov_b32_e32 v4, s36
	v_mov_b32_e32 v5, 0
	s_clause 0x3
	buffer_load_dword v1, v4, s[0:3], 0 offen
	buffer_load_dword v2, v4, s[0:3], 0 offen offset:4
	buffer_load_dword v3, v4, s[0:3], 0 offen offset:8
	;; [unrolled: 1-line block ×3, first 2 shown]
	buffer_store_dword v5, off, s[0:3], 0 offset:464
	buffer_store_dword v5, off, s[0:3], 0 offset:468
	;; [unrolled: 1-line block ×4, first 2 shown]
	s_waitcnt vmcnt(0)
	ds_write_b128 v39, v[1:4]
.LBB51_269:
	s_or_b32 exec_lo, exec_lo, s4
	s_waitcnt lgkmcnt(0)
	s_waitcnt_vscnt null, 0x0
	s_barrier
	buffer_gl0_inv
	s_clause 0x37
	buffer_load_dword v10, off, s[0:3], 0 offset:488
	buffer_load_dword v11, off, s[0:3], 0 offset:492
	;; [unrolled: 1-line block ×56, first 2 shown]
	v_mov_b32_e32 v1, 0
	s_mov_b32 s4, exec_lo
	ds_read_b128 v[2:5], v1 offset:1296
	s_clause 0x2
	buffer_load_dword v90, off, s[0:3], 0 offset:716
	buffer_load_dword v94, off, s[0:3], 0 offset:692
	buffer_load_dword v93, off, s[0:3], 0 offset:688
	ds_read_b128 v[6:9], v1 offset:1312
	s_clause 0x4
	buffer_load_dword v100, off, s[0:3], 0 offset:732
	buffer_load_dword v101, off, s[0:3], 0 offset:744
	;; [unrolled: 1-line block ×5, first 2 shown]
	s_waitcnt vmcnt(62) lgkmcnt(1)
	v_mul_f64 v[95:96], v[4:5], v[10:11]
	v_mul_f64 v[97:98], v[2:3], v[10:11]
	s_waitcnt vmcnt(60) lgkmcnt(0)
	v_mul_f64 v[104:105], v[8:9], v[14:15]
	ds_read_b128 v[10:13], v1 offset:1328
	v_mul_f64 v[14:15], v[6:7], v[14:15]
	s_waitcnt vmcnt(58)
	v_fma_f64 v[95:96], v[2:3], v[16:17], -v[95:96]
	v_fma_f64 v[16:17], v[4:5], v[16:17], v[97:98]
	s_clause 0x2
	buffer_load_dword v102, off, s[0:3], 0 offset:748
	buffer_load_dword v98, off, s[0:3], 0 offset:724
	;; [unrolled: 1-line block ×3, first 2 shown]
	s_waitcnt vmcnt(59) lgkmcnt(0)
	v_mul_f64 v[106:107], v[10:11], v[18:19]
	v_mul_f64 v[18:19], v[12:13], v[18:19]
	s_waitcnt vmcnt(57)
	v_fma_f64 v[108:109], v[6:7], v[20:21], -v[104:105]
	ds_read_b128 v[2:5], v1 offset:1344
	v_fma_f64 v[14:15], v[8:9], v[20:21], v[14:15]
	s_clause 0x4
	buffer_load_dword v21, off, s[0:3], 0 offset:764
	buffer_load_dword v105, off, s[0:3], 0 offset:776
	;; [unrolled: 1-line block ×5, first 2 shown]
	ds_read_b128 v[6:9], v1 offset:1360
	v_add_f64 v[95:96], v[95:96], 0
	v_add_f64 v[16:17], v[16:17], 0
	s_waitcnt vmcnt(58) lgkmcnt(1)
	v_mul_f64 v[111:112], v[2:3], v[22:23]
	v_mul_f64 v[22:23], v[4:5], v[22:23]
	s_waitcnt vmcnt(56)
	v_fma_f64 v[18:19], v[10:11], v[28:29], -v[18:19]
	v_fma_f64 v[28:29], v[12:13], v[28:29], v[106:107]
	v_add_f64 v[95:96], v[95:96], v[108:109]
	v_add_f64 v[14:15], v[16:17], v[14:15]
	s_clause 0x2
	buffer_load_dword v106, off, s[0:3], 0 offset:780
	buffer_load_dword v17, off, s[0:3], 0 offset:756
	buffer_load_dword v16, off, s[0:3], 0 offset:752
	s_waitcnt vmcnt(58) lgkmcnt(0)
	v_mul_f64 v[107:108], v[6:7], v[24:25]
	v_mul_f64 v[24:25], v[8:9], v[24:25]
	s_waitcnt vmcnt(56)
	v_fma_f64 v[22:23], v[2:3], v[30:31], -v[22:23]
	ds_read_b128 v[10:13], v1 offset:1376
	v_fma_f64 v[30:31], v[4:5], v[30:31], v[111:112]
	v_add_f64 v[18:19], v[95:96], v[18:19]
	v_add_f64 v[14:15], v[14:15], v[28:29]
	s_clause 0x4
	buffer_load_dword v29, off, s[0:3], 0 offset:796
	buffer_load_dword v95, off, s[0:3], 0 offset:808
	;; [unrolled: 1-line block ×5, first 2 shown]
	ds_read_b128 v[2:5], v1 offset:1392
	s_waitcnt vmcnt(57) lgkmcnt(1)
	v_mul_f64 v[113:114], v[10:11], v[32:33]
	v_mul_f64 v[32:33], v[12:13], v[32:33]
	s_waitcnt vmcnt(56)
	v_fma_f64 v[24:25], v[6:7], v[26:27], -v[24:25]
	v_add_f64 v[18:19], v[18:19], v[22:23]
	v_fma_f64 v[22:23], v[8:9], v[26:27], v[107:108]
	v_add_f64 v[14:15], v[14:15], v[30:31]
	s_clause 0x2
	buffer_load_dword v96, off, s[0:3], 0 offset:812
	buffer_load_dword v27, off, s[0:3], 0 offset:788
	;; [unrolled: 1-line block ×3, first 2 shown]
	s_waitcnt vmcnt(58) lgkmcnt(0)
	v_mul_f64 v[30:31], v[2:3], v[34:35]
	v_mul_f64 v[34:35], v[4:5], v[34:35]
	s_waitcnt vmcnt(56)
	v_fma_f64 v[32:33], v[10:11], v[58:59], -v[32:33]
	ds_read_b128 v[6:9], v1 offset:1408
	v_add_f64 v[18:19], v[18:19], v[24:25]
	v_fma_f64 v[24:25], v[12:13], v[58:59], v[113:114]
	v_add_f64 v[14:15], v[14:15], v[22:23]
	s_clause 0x4
	buffer_load_dword v23, off, s[0:3], 0 offset:828
	buffer_load_dword v58, off, s[0:3], 0 offset:840
	;; [unrolled: 1-line block ×5, first 2 shown]
	ds_read_b128 v[10:13], v1 offset:1424
	s_waitcnt vmcnt(57) lgkmcnt(1)
	v_mul_f64 v[108:109], v[6:7], v[63:64]
	v_mul_f64 v[63:64], v[8:9], v[63:64]
	s_waitcnt vmcnt(56)
	v_fma_f64 v[34:35], v[2:3], v[36:37], -v[34:35]
	v_fma_f64 v[30:31], v[4:5], v[36:37], v[30:31]
	v_add_f64 v[18:19], v[18:19], v[32:33]
	v_add_f64 v[14:15], v[14:15], v[24:25]
	s_clause 0x2
	buffer_load_dword v59, off, s[0:3], 0 offset:844
	buffer_load_dword v25, off, s[0:3], 0 offset:820
	;; [unrolled: 1-line block ×3, first 2 shown]
	s_waitcnt vmcnt(58) lgkmcnt(0)
	v_mul_f64 v[36:37], v[12:13], v[65:66]
	ds_read_b128 v[2:5], v1 offset:1440
	s_waitcnt vmcnt(56)
	v_fma_f64 v[63:64], v[6:7], v[69:70], -v[63:64]
	v_mul_f64 v[32:33], v[10:11], v[65:66]
	v_add_f64 v[18:19], v[18:19], v[34:35]
	v_fma_f64 v[34:35], v[8:9], v[69:70], v[108:109]
	v_add_f64 v[14:15], v[14:15], v[30:31]
	buffer_load_dword v108, off, s[0:3], 0 offset:836
	ds_read_b128 v[6:9], v1 offset:1456
	s_waitcnt vmcnt(53) lgkmcnt(1)
	v_mul_f64 v[65:66], v[4:5], v[71:72]
	s_waitcnt vmcnt(52)
	v_fma_f64 v[36:37], v[10:11], v[67:68], -v[36:37]
	v_mul_f64 v[30:31], v[2:3], v[71:72]
	v_fma_f64 v[32:33], v[12:13], v[67:68], v[32:33]
	ds_read_b128 v[10:13], v1 offset:1472
	v_add_f64 v[18:19], v[18:19], v[63:64]
	v_add_f64 v[14:15], v[14:15], v[34:35]
	s_waitcnt vmcnt(51) lgkmcnt(1)
	v_mul_f64 v[63:64], v[8:9], v[73:74]
	v_mul_f64 v[34:35], v[6:7], v[73:74]
	s_waitcnt vmcnt(49)
	v_fma_f64 v[65:66], v[2:3], v[77:78], -v[65:66]
	v_fma_f64 v[30:31], v[4:5], v[77:78], v[30:31]
	s_waitcnt vmcnt(45) lgkmcnt(0)
	v_mul_f64 v[69:70], v[12:13], v[79:80]
	v_mul_f64 v[67:68], v[10:11], v[79:80]
	v_add_f64 v[18:19], v[18:19], v[36:37]
	v_add_f64 v[14:15], v[14:15], v[32:33]
	s_clause 0x3
	buffer_load_dword v32, off, s[0:3], 0 offset:464
	buffer_load_dword v33, off, s[0:3], 0 offset:468
	;; [unrolled: 1-line block ×4, first 2 shown]
	s_waitcnt vmcnt(48)
	v_fma_f64 v[63:64], v[6:7], v[75:76], -v[63:64]
	ds_read_b128 v[2:5], v1 offset:1488
	v_fma_f64 v[34:35], v[8:9], v[75:76], v[34:35]
	ds_read_b128 v[6:9], v1 offset:1504
	s_waitcnt vmcnt(45)
	v_fma_f64 v[69:70], v[10:11], v[85:86], -v[69:70]
	v_add_f64 v[18:19], v[18:19], v[65:66]
	v_add_f64 v[14:15], v[14:15], v[30:31]
	s_waitcnt lgkmcnt(1)
	v_mul_f64 v[65:66], v[4:5], v[81:82]
	v_mul_f64 v[30:31], v[2:3], v[81:82]
	v_add_f64 v[18:19], v[18:19], v[63:64]
	v_fma_f64 v[63:64], v[12:13], v[85:86], v[67:68]
	v_add_f64 v[14:15], v[14:15], v[34:35]
	s_waitcnt vmcnt(41) lgkmcnt(0)
	v_mul_f64 v[67:68], v[8:9], v[87:88]
	s_waitcnt vmcnt(40)
	v_fma_f64 v[65:66], v[2:3], v[83:84], -v[65:66]
	ds_read_b128 v[10:13], v1 offset:1520
	v_mul_f64 v[34:35], v[6:7], v[87:88]
	v_fma_f64 v[30:31], v[4:5], v[83:84], v[30:31]
	ds_read_b128 v[2:5], v1 offset:1536
	v_add_f64 v[18:19], v[18:19], v[69:70]
	v_add_f64 v[14:15], v[14:15], v[63:64]
	s_waitcnt vmcnt(39) lgkmcnt(1)
	v_mul_f64 v[69:70], v[12:13], v[89:90]
	s_waitcnt vmcnt(37)
	v_fma_f64 v[67:68], v[6:7], v[93:94], -v[67:68]
	v_mul_f64 v[63:64], v[10:11], v[89:90]
	v_fma_f64 v[34:35], v[8:9], v[93:94], v[34:35]
	ds_read_b128 v[6:9], v1 offset:1552
	v_add_f64 v[18:19], v[18:19], v[65:66]
	s_waitcnt vmcnt(33) lgkmcnt(1)
	v_mul_f64 v[65:66], v[4:5], v[99:100]
	v_add_f64 v[14:15], v[14:15], v[30:31]
	s_waitcnt vmcnt(32)
	v_fma_f64 v[69:70], v[10:11], v[91:92], -v[69:70]
	v_mul_f64 v[30:31], v[2:3], v[99:100]
	v_fma_f64 v[63:64], v[12:13], v[91:92], v[63:64]
	ds_read_b128 v[10:13], v1 offset:1568
	v_add_f64 v[18:19], v[18:19], v[67:68]
	v_add_f64 v[14:15], v[14:15], v[34:35]
	s_waitcnt vmcnt(31) lgkmcnt(1)
	v_mul_f64 v[67:68], v[8:9], v[101:102]
	v_mul_f64 v[34:35], v[6:7], v[101:102]
	s_waitcnt vmcnt(29)
	v_fma_f64 v[65:66], v[2:3], v[97:98], -v[65:66]
	v_fma_f64 v[30:31], v[4:5], v[97:98], v[30:31]
	ds_read_b128 v[2:5], v1 offset:1584
	v_add_f64 v[18:19], v[18:19], v[69:70]
	v_add_f64 v[14:15], v[14:15], v[63:64]
	s_waitcnt vmcnt(25) lgkmcnt(1)
	v_mul_f64 v[63:64], v[10:11], v[20:21]
	v_mul_f64 v[20:21], v[12:13], v[20:21]
	s_waitcnt vmcnt(24)
	v_fma_f64 v[67:68], v[6:7], v[103:104], -v[67:68]
	;; [unrolled: 9-line block ×4, first 2 shown]
	v_add_f64 v[18:19], v[18:19], v[20:21]
	v_fma_f64 v[20:21], v[4:5], v[110:111], v[30:31]
	v_add_f64 v[14:15], v[14:15], v[16:17]
	ds_read_b128 v[2:5], v1 offset:1632
	s_waitcnt vmcnt(15) lgkmcnt(1)
	v_mul_f64 v[30:31], v[12:13], v[95:96]
	v_mul_f64 v[16:17], v[10:11], v[95:96]
	s_waitcnt vmcnt(13)
	v_fma_f64 v[28:29], v[6:7], v[26:27], -v[28:29]
	v_fma_f64 v[26:27], v[8:9], v[26:27], v[34:35]
	ds_read_b128 v[6:9], v1 offset:1648
	v_add_f64 v[18:19], v[18:19], v[63:64]
	v_add_f64 v[14:15], v[14:15], v[20:21]
	s_waitcnt vmcnt(9) lgkmcnt(1)
	v_mul_f64 v[20:21], v[2:3], v[22:23]
	v_mul_f64 v[22:23], v[4:5], v[22:23]
	s_waitcnt vmcnt(8)
	v_fma_f64 v[10:11], v[10:11], v[112:113], -v[30:31]
	v_fma_f64 v[12:13], v[12:13], v[112:113], v[16:17]
	v_add_f64 v[18:19], v[18:19], v[28:29]
	v_add_f64 v[14:15], v[14:15], v[26:27]
	s_waitcnt vmcnt(7) lgkmcnt(0)
	v_mul_f64 v[26:27], v[8:9], v[58:59]
	v_mul_f64 v[16:17], v[6:7], v[58:59]
	s_waitcnt vmcnt(5)
	v_fma_f64 v[2:3], v[2:3], v[24:25], -v[22:23]
	v_fma_f64 v[4:5], v[4:5], v[24:25], v[20:21]
	v_add_f64 v[10:11], v[18:19], v[10:11]
	v_add_f64 v[12:13], v[14:15], v[12:13]
	s_waitcnt vmcnt(4)
	v_fma_f64 v[6:7], v[6:7], v[107:108], -v[26:27]
	v_fma_f64 v[8:9], v[8:9], v[107:108], v[16:17]
	v_add_f64 v[2:3], v[10:11], v[2:3]
	v_add_f64 v[4:5], v[12:13], v[4:5]
	;; [unrolled: 1-line block ×4, first 2 shown]
	s_waitcnt vmcnt(2)
	v_add_f64 v[2:3], v[32:33], -v[2:3]
	s_waitcnt vmcnt(0)
	v_add_f64 v[4:5], v[36:37], -v[4:5]
	buffer_store_dword v3, off, s[0:3], 0 offset:468
	buffer_store_dword v2, off, s[0:3], 0 offset:464
	buffer_store_dword v5, off, s[0:3], 0 offset:476
	buffer_store_dword v4, off, s[0:3], 0 offset:472
	v_cmpx_lt_u32_e32 27, v0
	s_cbranch_execz .LBB51_271
; %bb.270:
	v_mov_b32_e32 v5, s37
	s_clause 0x3
	buffer_load_dword v2, v5, s[0:3], 0 offen
	buffer_load_dword v3, v5, s[0:3], 0 offen offset:4
	buffer_load_dword v4, v5, s[0:3], 0 offen offset:8
	buffer_load_dword v5, v5, s[0:3], 0 offen offset:12
	buffer_store_dword v1, off, s[0:3], 0 offset:448
	buffer_store_dword v1, off, s[0:3], 0 offset:452
	;; [unrolled: 1-line block ×4, first 2 shown]
	s_waitcnt vmcnt(0)
	ds_write_b128 v39, v[2:5]
.LBB51_271:
	s_or_b32 exec_lo, exec_lo, s4
	s_waitcnt lgkmcnt(0)
	s_waitcnt_vscnt null, 0x0
	s_barrier
	buffer_gl0_inv
	s_clause 0x37
	buffer_load_dword v10, off, s[0:3], 0 offset:472
	buffer_load_dword v11, off, s[0:3], 0 offset:476
	;; [unrolled: 1-line block ×56, first 2 shown]
	ds_read_b128 v[2:5], v1 offset:1280
	s_clause 0x2
	buffer_load_dword v90, off, s[0:3], 0 offset:700
	buffer_load_dword v94, off, s[0:3], 0 offset:676
	;; [unrolled: 1-line block ×3, first 2 shown]
	ds_read_b128 v[6:9], v1 offset:1296
	s_clause 0x4
	buffer_load_dword v100, off, s[0:3], 0 offset:716
	buffer_load_dword v101, off, s[0:3], 0 offset:728
	;; [unrolled: 1-line block ×5, first 2 shown]
	s_mov_b32 s4, exec_lo
	s_waitcnt vmcnt(62) lgkmcnt(1)
	v_mul_f64 v[95:96], v[4:5], v[10:11]
	v_mul_f64 v[97:98], v[2:3], v[10:11]
	s_waitcnt vmcnt(60) lgkmcnt(0)
	v_mul_f64 v[104:105], v[8:9], v[14:15]
	ds_read_b128 v[10:13], v1 offset:1312
	v_mul_f64 v[14:15], v[6:7], v[14:15]
	s_waitcnt vmcnt(58)
	v_fma_f64 v[95:96], v[2:3], v[16:17], -v[95:96]
	v_fma_f64 v[16:17], v[4:5], v[16:17], v[97:98]
	s_clause 0x2
	buffer_load_dword v102, off, s[0:3], 0 offset:732
	buffer_load_dword v98, off, s[0:3], 0 offset:708
	;; [unrolled: 1-line block ×3, first 2 shown]
	s_waitcnt vmcnt(59) lgkmcnt(0)
	v_mul_f64 v[106:107], v[10:11], v[18:19]
	v_mul_f64 v[18:19], v[12:13], v[18:19]
	s_waitcnt vmcnt(57)
	v_fma_f64 v[108:109], v[6:7], v[20:21], -v[104:105]
	ds_read_b128 v[2:5], v1 offset:1328
	v_fma_f64 v[14:15], v[8:9], v[20:21], v[14:15]
	s_clause 0x4
	buffer_load_dword v21, off, s[0:3], 0 offset:748
	buffer_load_dword v105, off, s[0:3], 0 offset:760
	;; [unrolled: 1-line block ×5, first 2 shown]
	ds_read_b128 v[6:9], v1 offset:1344
	v_add_f64 v[95:96], v[95:96], 0
	v_add_f64 v[16:17], v[16:17], 0
	s_waitcnt vmcnt(58) lgkmcnt(1)
	v_mul_f64 v[111:112], v[2:3], v[22:23]
	v_mul_f64 v[22:23], v[4:5], v[22:23]
	s_waitcnt vmcnt(56)
	v_fma_f64 v[18:19], v[10:11], v[28:29], -v[18:19]
	v_fma_f64 v[28:29], v[12:13], v[28:29], v[106:107]
	v_add_f64 v[95:96], v[95:96], v[108:109]
	v_add_f64 v[14:15], v[16:17], v[14:15]
	s_clause 0x2
	buffer_load_dword v106, off, s[0:3], 0 offset:764
	buffer_load_dword v17, off, s[0:3], 0 offset:740
	;; [unrolled: 1-line block ×3, first 2 shown]
	s_waitcnt vmcnt(58) lgkmcnt(0)
	v_mul_f64 v[107:108], v[6:7], v[24:25]
	v_mul_f64 v[24:25], v[8:9], v[24:25]
	s_waitcnt vmcnt(56)
	v_fma_f64 v[22:23], v[2:3], v[30:31], -v[22:23]
	ds_read_b128 v[10:13], v1 offset:1360
	v_fma_f64 v[30:31], v[4:5], v[30:31], v[111:112]
	v_add_f64 v[18:19], v[95:96], v[18:19]
	v_add_f64 v[14:15], v[14:15], v[28:29]
	s_clause 0x4
	buffer_load_dword v29, off, s[0:3], 0 offset:780
	buffer_load_dword v95, off, s[0:3], 0 offset:792
	;; [unrolled: 1-line block ×5, first 2 shown]
	ds_read_b128 v[2:5], v1 offset:1376
	s_waitcnt vmcnt(57) lgkmcnt(1)
	v_mul_f64 v[113:114], v[10:11], v[32:33]
	v_mul_f64 v[32:33], v[12:13], v[32:33]
	s_waitcnt vmcnt(56)
	v_fma_f64 v[24:25], v[6:7], v[26:27], -v[24:25]
	v_add_f64 v[18:19], v[18:19], v[22:23]
	v_fma_f64 v[22:23], v[8:9], v[26:27], v[107:108]
	v_add_f64 v[14:15], v[14:15], v[30:31]
	s_clause 0x2
	buffer_load_dword v96, off, s[0:3], 0 offset:796
	buffer_load_dword v27, off, s[0:3], 0 offset:772
	;; [unrolled: 1-line block ×3, first 2 shown]
	s_waitcnt vmcnt(58) lgkmcnt(0)
	v_mul_f64 v[30:31], v[2:3], v[34:35]
	v_mul_f64 v[34:35], v[4:5], v[34:35]
	s_waitcnt vmcnt(56)
	v_fma_f64 v[32:33], v[10:11], v[58:59], -v[32:33]
	ds_read_b128 v[6:9], v1 offset:1392
	v_add_f64 v[18:19], v[18:19], v[24:25]
	v_fma_f64 v[24:25], v[12:13], v[58:59], v[113:114]
	v_add_f64 v[14:15], v[14:15], v[22:23]
	s_clause 0x4
	buffer_load_dword v23, off, s[0:3], 0 offset:812
	buffer_load_dword v58, off, s[0:3], 0 offset:824
	;; [unrolled: 1-line block ×5, first 2 shown]
	ds_read_b128 v[10:13], v1 offset:1408
	s_waitcnt vmcnt(57) lgkmcnt(1)
	v_mul_f64 v[108:109], v[6:7], v[63:64]
	v_mul_f64 v[63:64], v[8:9], v[63:64]
	s_waitcnt vmcnt(56)
	v_fma_f64 v[34:35], v[2:3], v[36:37], -v[34:35]
	v_fma_f64 v[30:31], v[4:5], v[36:37], v[30:31]
	v_add_f64 v[18:19], v[18:19], v[32:33]
	v_add_f64 v[14:15], v[14:15], v[24:25]
	s_clause 0x2
	buffer_load_dword v59, off, s[0:3], 0 offset:828
	buffer_load_dword v25, off, s[0:3], 0 offset:804
	buffer_load_dword v24, off, s[0:3], 0 offset:800
	s_waitcnt vmcnt(58) lgkmcnt(0)
	v_mul_f64 v[36:37], v[12:13], v[65:66]
	ds_read_b128 v[2:5], v1 offset:1424
	s_waitcnt vmcnt(56)
	v_fma_f64 v[63:64], v[6:7], v[69:70], -v[63:64]
	v_mul_f64 v[32:33], v[10:11], v[65:66]
	v_add_f64 v[18:19], v[18:19], v[34:35]
	v_fma_f64 v[34:35], v[8:9], v[69:70], v[108:109]
	v_add_f64 v[14:15], v[14:15], v[30:31]
	s_clause 0x2
	buffer_load_dword v31, off, s[0:3], 0 offset:844
	buffer_load_dword v30, off, s[0:3], 0 offset:840
	;; [unrolled: 1-line block ×3, first 2 shown]
	s_waitcnt vmcnt(55) lgkmcnt(0)
	v_mul_f64 v[69:70], v[4:5], v[71:72]
	s_waitcnt vmcnt(54)
	v_fma_f64 v[36:37], v[10:11], v[67:68], -v[36:37]
	ds_read_b128 v[6:9], v1 offset:1440
	v_mul_f64 v[65:66], v[2:3], v[71:72]
	v_fma_f64 v[32:33], v[12:13], v[67:68], v[32:33]
	v_add_f64 v[18:19], v[18:19], v[63:64]
	v_add_f64 v[14:15], v[14:15], v[34:35]
	s_clause 0x1
	buffer_load_dword v35, off, s[0:3], 0 offset:836
	buffer_load_dword v34, off, s[0:3], 0 offset:832
	s_waitcnt vmcnt(55) lgkmcnt(0)
	v_mul_f64 v[67:68], v[8:9], v[73:74]
	s_waitcnt vmcnt(53)
	v_fma_f64 v[69:70], v[2:3], v[77:78], -v[69:70]
	ds_read_b128 v[10:13], v1 offset:1456
	v_mul_f64 v[63:64], v[6:7], v[73:74]
	v_add_f64 v[18:19], v[18:19], v[36:37]
	v_fma_f64 v[36:37], v[4:5], v[77:78], v[65:66]
	v_add_f64 v[14:15], v[14:15], v[32:33]
	ds_read_b128 v[2:5], v1 offset:1472
	s_waitcnt vmcnt(49) lgkmcnt(1)
	v_mul_f64 v[65:66], v[12:13], v[79:80]
	s_waitcnt vmcnt(48)
	v_fma_f64 v[67:68], v[6:7], v[75:76], -v[67:68]
	v_mul_f64 v[32:33], v[10:11], v[79:80]
	v_fma_f64 v[63:64], v[8:9], v[75:76], v[63:64]
	v_add_f64 v[18:19], v[18:19], v[69:70]
	s_waitcnt vmcnt(47) lgkmcnt(0)
	v_mul_f64 v[73:74], v[4:5], v[81:82]
	v_add_f64 v[14:15], v[14:15], v[36:37]
	s_clause 0x3
	buffer_load_dword v36, off, s[0:3], 0 offset:448
	buffer_load_dword v37, off, s[0:3], 0 offset:452
	buffer_load_dword v69, off, s[0:3], 0 offset:456
	buffer_load_dword v70, off, s[0:3], 0 offset:460
	s_waitcnt vmcnt(49)
	v_fma_f64 v[65:66], v[10:11], v[85:86], -v[65:66]
	ds_read_b128 v[6:9], v1 offset:1488
	v_mul_f64 v[71:72], v[2:3], v[81:82]
	v_fma_f64 v[32:33], v[12:13], v[85:86], v[32:33]
	ds_read_b128 v[10:13], v1 offset:1504
	v_add_f64 v[18:19], v[18:19], v[67:68]
	s_waitcnt vmcnt(44)
	v_fma_f64 v[73:74], v[2:3], v[83:84], -v[73:74]
	v_add_f64 v[14:15], v[14:15], v[63:64]
	s_waitcnt lgkmcnt(1)
	v_mul_f64 v[67:68], v[8:9], v[87:88]
	v_mul_f64 v[63:64], v[6:7], v[87:88]
	v_add_f64 v[18:19], v[18:19], v[65:66]
	v_fma_f64 v[65:66], v[4:5], v[83:84], v[71:72]
	v_add_f64 v[14:15], v[14:15], v[32:33]
	s_waitcnt vmcnt(43) lgkmcnt(0)
	v_mul_f64 v[71:72], v[12:13], v[89:90]
	s_waitcnt vmcnt(41)
	v_fma_f64 v[67:68], v[6:7], v[93:94], -v[67:68]
	ds_read_b128 v[2:5], v1 offset:1520
	v_mul_f64 v[32:33], v[10:11], v[89:90]
	v_fma_f64 v[63:64], v[8:9], v[93:94], v[63:64]
	ds_read_b128 v[6:9], v1 offset:1536
	v_add_f64 v[18:19], v[18:19], v[73:74]
	v_add_f64 v[14:15], v[14:15], v[65:66]
	s_waitcnt vmcnt(37) lgkmcnt(1)
	v_mul_f64 v[73:74], v[4:5], v[99:100]
	s_waitcnt vmcnt(36)
	v_fma_f64 v[71:72], v[10:11], v[91:92], -v[71:72]
	v_mul_f64 v[65:66], v[2:3], v[99:100]
	v_fma_f64 v[32:33], v[12:13], v[91:92], v[32:33]
	ds_read_b128 v[10:13], v1 offset:1552
	v_add_f64 v[18:19], v[18:19], v[67:68]
	v_add_f64 v[14:15], v[14:15], v[63:64]
	s_waitcnt vmcnt(35) lgkmcnt(1)
	v_mul_f64 v[67:68], v[8:9], v[101:102]
	v_mul_f64 v[63:64], v[6:7], v[101:102]
	s_waitcnt vmcnt(33)
	v_fma_f64 v[73:74], v[2:3], v[97:98], -v[73:74]
	v_fma_f64 v[65:66], v[4:5], v[97:98], v[65:66]
	ds_read_b128 v[2:5], v1 offset:1568
	v_add_f64 v[18:19], v[18:19], v[71:72]
	v_add_f64 v[14:15], v[14:15], v[32:33]
	s_waitcnt vmcnt(29) lgkmcnt(1)
	v_mul_f64 v[32:33], v[10:11], v[20:21]
	v_mul_f64 v[20:21], v[12:13], v[20:21]
	s_waitcnt vmcnt(28)
	v_fma_f64 v[67:68], v[6:7], v[103:104], -v[67:68]
	;; [unrolled: 9-line block ×4, first 2 shown]
	v_add_f64 v[18:19], v[18:19], v[20:21]
	v_fma_f64 v[20:21], v[4:5], v[110:111], v[65:66]
	v_add_f64 v[14:15], v[14:15], v[16:17]
	ds_read_b128 v[2:5], v1 offset:1616
	s_waitcnt vmcnt(19) lgkmcnt(1)
	v_mul_f64 v[65:66], v[12:13], v[95:96]
	v_mul_f64 v[16:17], v[10:11], v[95:96]
	s_waitcnt vmcnt(17)
	v_fma_f64 v[28:29], v[6:7], v[26:27], -v[28:29]
	v_fma_f64 v[26:27], v[8:9], v[26:27], v[32:33]
	ds_read_b128 v[6:9], v1 offset:1632
	v_add_f64 v[18:19], v[18:19], v[63:64]
	v_add_f64 v[14:15], v[14:15], v[20:21]
	s_waitcnt vmcnt(13) lgkmcnt(1)
	v_mul_f64 v[20:21], v[2:3], v[22:23]
	v_mul_f64 v[22:23], v[4:5], v[22:23]
	s_waitcnt vmcnt(12)
	v_fma_f64 v[32:33], v[10:11], v[112:113], -v[65:66]
	v_fma_f64 v[16:17], v[12:13], v[112:113], v[16:17]
	ds_read_b128 v[10:13], v1 offset:1648
	v_add_f64 v[18:19], v[18:19], v[28:29]
	v_add_f64 v[14:15], v[14:15], v[26:27]
	s_waitcnt vmcnt(11) lgkmcnt(1)
	v_mul_f64 v[28:29], v[8:9], v[58:59]
	v_mul_f64 v[26:27], v[6:7], v[58:59]
	s_waitcnt vmcnt(9)
	v_fma_f64 v[1:2], v[2:3], v[24:25], -v[22:23]
	v_fma_f64 v[3:4], v[4:5], v[24:25], v[20:21]
	v_add_f64 v[18:19], v[18:19], v[32:33]
	v_add_f64 v[14:15], v[14:15], v[16:17]
	s_waitcnt vmcnt(7) lgkmcnt(0)
	v_mul_f64 v[20:21], v[12:13], v[30:31]
	s_waitcnt vmcnt(6)
	v_fma_f64 v[5:6], v[6:7], v[107:108], -v[28:29]
	v_mul_f64 v[16:17], v[10:11], v[30:31]
	v_fma_f64 v[7:8], v[8:9], v[107:108], v[26:27]
	v_add_f64 v[1:2], v[18:19], v[1:2]
	v_add_f64 v[3:4], v[14:15], v[3:4]
	s_waitcnt vmcnt(4)
	v_fma_f64 v[9:10], v[10:11], v[34:35], -v[20:21]
	v_add_f64 v[1:2], v[1:2], v[5:6]
	v_fma_f64 v[5:6], v[12:13], v[34:35], v[16:17]
	v_add_f64 v[3:4], v[3:4], v[7:8]
	v_add_f64 v[1:2], v[1:2], v[9:10]
	;; [unrolled: 1-line block ×3, first 2 shown]
	s_waitcnt vmcnt(2)
	v_add_f64 v[1:2], v[36:37], -v[1:2]
	s_waitcnt vmcnt(0)
	v_add_f64 v[3:4], v[69:70], -v[3:4]
	buffer_store_dword v2, off, s[0:3], 0 offset:452
	buffer_store_dword v1, off, s[0:3], 0 offset:448
	buffer_store_dword v4, off, s[0:3], 0 offset:460
	buffer_store_dword v3, off, s[0:3], 0 offset:456
	v_cmpx_lt_u32_e32 26, v0
	s_cbranch_execz .LBB51_273
; %bb.272:
	v_mov_b32_e32 v4, s38
	v_mov_b32_e32 v5, 0
	s_clause 0x3
	buffer_load_dword v1, v4, s[0:3], 0 offen
	buffer_load_dword v2, v4, s[0:3], 0 offen offset:4
	buffer_load_dword v3, v4, s[0:3], 0 offen offset:8
	;; [unrolled: 1-line block ×3, first 2 shown]
	buffer_store_dword v5, off, s[0:3], 0 offset:432
	buffer_store_dword v5, off, s[0:3], 0 offset:436
	;; [unrolled: 1-line block ×4, first 2 shown]
	s_waitcnt vmcnt(0)
	ds_write_b128 v39, v[1:4]
.LBB51_273:
	s_or_b32 exec_lo, exec_lo, s4
	s_waitcnt lgkmcnt(0)
	s_waitcnt_vscnt null, 0x0
	s_barrier
	buffer_gl0_inv
	s_clause 0x37
	buffer_load_dword v10, off, s[0:3], 0 offset:456
	buffer_load_dword v11, off, s[0:3], 0 offset:460
	;; [unrolled: 1-line block ×56, first 2 shown]
	v_mov_b32_e32 v1, 0
	s_mov_b32 s4, exec_lo
	ds_read_b128 v[2:5], v1 offset:1264
	s_clause 0x2
	buffer_load_dword v90, off, s[0:3], 0 offset:684
	buffer_load_dword v94, off, s[0:3], 0 offset:660
	;; [unrolled: 1-line block ×3, first 2 shown]
	ds_read_b128 v[6:9], v1 offset:1280
	s_clause 0x4
	buffer_load_dword v100, off, s[0:3], 0 offset:700
	buffer_load_dword v101, off, s[0:3], 0 offset:712
	;; [unrolled: 1-line block ×5, first 2 shown]
	s_waitcnt vmcnt(62) lgkmcnt(1)
	v_mul_f64 v[95:96], v[4:5], v[10:11]
	v_mul_f64 v[97:98], v[2:3], v[10:11]
	s_waitcnt vmcnt(60) lgkmcnt(0)
	v_mul_f64 v[104:105], v[8:9], v[14:15]
	ds_read_b128 v[10:13], v1 offset:1296
	v_mul_f64 v[14:15], v[6:7], v[14:15]
	s_waitcnt vmcnt(58)
	v_fma_f64 v[95:96], v[2:3], v[16:17], -v[95:96]
	v_fma_f64 v[16:17], v[4:5], v[16:17], v[97:98]
	s_clause 0x2
	buffer_load_dword v102, off, s[0:3], 0 offset:716
	buffer_load_dword v98, off, s[0:3], 0 offset:692
	;; [unrolled: 1-line block ×3, first 2 shown]
	s_waitcnt vmcnt(59) lgkmcnt(0)
	v_mul_f64 v[106:107], v[10:11], v[18:19]
	v_mul_f64 v[18:19], v[12:13], v[18:19]
	s_waitcnt vmcnt(57)
	v_fma_f64 v[108:109], v[6:7], v[20:21], -v[104:105]
	ds_read_b128 v[2:5], v1 offset:1312
	v_fma_f64 v[14:15], v[8:9], v[20:21], v[14:15]
	s_clause 0x4
	buffer_load_dword v21, off, s[0:3], 0 offset:732
	buffer_load_dword v105, off, s[0:3], 0 offset:744
	buffer_load_dword v110, off, s[0:3], 0 offset:736
	buffer_load_dword v20, off, s[0:3], 0 offset:728
	buffer_load_dword v104, off, s[0:3], 0 offset:708
	ds_read_b128 v[6:9], v1 offset:1328
	v_add_f64 v[95:96], v[95:96], 0
	v_add_f64 v[16:17], v[16:17], 0
	s_waitcnt vmcnt(58) lgkmcnt(1)
	v_mul_f64 v[111:112], v[2:3], v[22:23]
	v_mul_f64 v[22:23], v[4:5], v[22:23]
	s_waitcnt vmcnt(56)
	v_fma_f64 v[18:19], v[10:11], v[28:29], -v[18:19]
	v_fma_f64 v[28:29], v[12:13], v[28:29], v[106:107]
	v_add_f64 v[95:96], v[95:96], v[108:109]
	v_add_f64 v[14:15], v[16:17], v[14:15]
	s_clause 0x2
	buffer_load_dword v106, off, s[0:3], 0 offset:748
	buffer_load_dword v17, off, s[0:3], 0 offset:724
	;; [unrolled: 1-line block ×3, first 2 shown]
	s_waitcnt vmcnt(58) lgkmcnt(0)
	v_mul_f64 v[107:108], v[6:7], v[24:25]
	v_mul_f64 v[24:25], v[8:9], v[24:25]
	s_waitcnt vmcnt(56)
	v_fma_f64 v[22:23], v[2:3], v[30:31], -v[22:23]
	ds_read_b128 v[10:13], v1 offset:1344
	v_fma_f64 v[30:31], v[4:5], v[30:31], v[111:112]
	v_add_f64 v[18:19], v[95:96], v[18:19]
	v_add_f64 v[14:15], v[14:15], v[28:29]
	s_clause 0x4
	buffer_load_dword v29, off, s[0:3], 0 offset:764
	buffer_load_dword v95, off, s[0:3], 0 offset:776
	;; [unrolled: 1-line block ×5, first 2 shown]
	ds_read_b128 v[2:5], v1 offset:1360
	s_waitcnt vmcnt(57) lgkmcnt(1)
	v_mul_f64 v[113:114], v[10:11], v[32:33]
	v_mul_f64 v[32:33], v[12:13], v[32:33]
	s_waitcnt vmcnt(56)
	v_fma_f64 v[24:25], v[6:7], v[26:27], -v[24:25]
	v_add_f64 v[18:19], v[18:19], v[22:23]
	v_fma_f64 v[22:23], v[8:9], v[26:27], v[107:108]
	v_add_f64 v[14:15], v[14:15], v[30:31]
	s_clause 0x2
	buffer_load_dword v96, off, s[0:3], 0 offset:780
	buffer_load_dword v27, off, s[0:3], 0 offset:756
	;; [unrolled: 1-line block ×3, first 2 shown]
	s_waitcnt vmcnt(58) lgkmcnt(0)
	v_mul_f64 v[30:31], v[2:3], v[34:35]
	v_mul_f64 v[34:35], v[4:5], v[34:35]
	s_waitcnt vmcnt(56)
	v_fma_f64 v[32:33], v[10:11], v[58:59], -v[32:33]
	ds_read_b128 v[6:9], v1 offset:1376
	v_add_f64 v[18:19], v[18:19], v[24:25]
	v_fma_f64 v[24:25], v[12:13], v[58:59], v[113:114]
	v_add_f64 v[14:15], v[14:15], v[22:23]
	s_clause 0x4
	buffer_load_dword v23, off, s[0:3], 0 offset:796
	buffer_load_dword v58, off, s[0:3], 0 offset:808
	;; [unrolled: 1-line block ×5, first 2 shown]
	ds_read_b128 v[10:13], v1 offset:1392
	s_waitcnt vmcnt(57) lgkmcnt(1)
	v_mul_f64 v[108:109], v[6:7], v[63:64]
	v_mul_f64 v[63:64], v[8:9], v[63:64]
	s_waitcnt vmcnt(56)
	v_fma_f64 v[34:35], v[2:3], v[36:37], -v[34:35]
	v_fma_f64 v[30:31], v[4:5], v[36:37], v[30:31]
	v_add_f64 v[18:19], v[18:19], v[32:33]
	v_add_f64 v[14:15], v[14:15], v[24:25]
	s_clause 0x2
	buffer_load_dword v59, off, s[0:3], 0 offset:812
	buffer_load_dword v25, off, s[0:3], 0 offset:788
	;; [unrolled: 1-line block ×3, first 2 shown]
	s_waitcnt vmcnt(58) lgkmcnt(0)
	v_mul_f64 v[36:37], v[12:13], v[65:66]
	ds_read_b128 v[2:5], v1 offset:1408
	s_waitcnt vmcnt(56)
	v_fma_f64 v[63:64], v[6:7], v[69:70], -v[63:64]
	v_mul_f64 v[32:33], v[10:11], v[65:66]
	v_add_f64 v[18:19], v[18:19], v[34:35]
	v_fma_f64 v[34:35], v[8:9], v[69:70], v[108:109]
	v_add_f64 v[14:15], v[14:15], v[30:31]
	s_clause 0x4
	buffer_load_dword v31, off, s[0:3], 0 offset:828
	buffer_load_dword v65, off, s[0:3], 0 offset:840
	;; [unrolled: 1-line block ×5, first 2 shown]
	s_waitcnt vmcnt(57) lgkmcnt(0)
	v_mul_f64 v[114:115], v[2:3], v[71:72]
	v_mul_f64 v[70:71], v[4:5], v[71:72]
	s_waitcnt vmcnt(56)
	v_fma_f64 v[36:37], v[10:11], v[67:68], -v[36:37]
	ds_read_b128 v[6:9], v1 offset:1424
	v_fma_f64 v[32:33], v[12:13], v[67:68], v[32:33]
	v_add_f64 v[18:19], v[18:19], v[63:64]
	v_add_f64 v[14:15], v[14:15], v[34:35]
	s_clause 0x2
	buffer_load_dword v66, off, s[0:3], 0 offset:844
	buffer_load_dword v35, off, s[0:3], 0 offset:820
	buffer_load_dword v34, off, s[0:3], 0 offset:816
	ds_read_b128 v[10:13], v1 offset:1440
	s_waitcnt vmcnt(58) lgkmcnt(1)
	v_mul_f64 v[67:68], v[8:9], v[73:74]
	s_waitcnt vmcnt(56)
	v_fma_f64 v[71:72], v[2:3], v[77:78], -v[70:71]
	v_mul_f64 v[63:64], v[6:7], v[73:74]
	buffer_load_dword v70, off, s[0:3], 0 offset:836
	v_add_f64 v[18:19], v[18:19], v[36:37]
	v_fma_f64 v[36:37], v[4:5], v[77:78], v[114:115]
	v_add_f64 v[14:15], v[14:15], v[32:33]
	ds_read_b128 v[2:5], v1 offset:1456
	s_waitcnt vmcnt(53) lgkmcnt(1)
	v_mul_f64 v[73:74], v[12:13], v[79:80]
	s_waitcnt vmcnt(52)
	v_fma_f64 v[67:68], v[6:7], v[75:76], -v[67:68]
	v_mul_f64 v[32:33], v[10:11], v[79:80]
	v_fma_f64 v[63:64], v[8:9], v[75:76], v[63:64]
	ds_read_b128 v[6:9], v1 offset:1472
	v_add_f64 v[18:19], v[18:19], v[71:72]
	s_waitcnt vmcnt(51) lgkmcnt(1)
	v_mul_f64 v[71:72], v[4:5], v[81:82]
	v_add_f64 v[14:15], v[14:15], v[36:37]
	v_mul_f64 v[36:37], v[2:3], v[81:82]
	s_waitcnt vmcnt(49)
	v_fma_f64 v[73:74], v[10:11], v[85:86], -v[73:74]
	v_fma_f64 v[32:33], v[12:13], v[85:86], v[32:33]
	s_waitcnt vmcnt(45) lgkmcnt(0)
	v_mul_f64 v[77:78], v[8:9], v[87:88]
	v_mul_f64 v[75:76], v[6:7], v[87:88]
	v_add_f64 v[18:19], v[18:19], v[67:68]
	s_waitcnt vmcnt(44)
	v_fma_f64 v[71:72], v[2:3], v[83:84], -v[71:72]
	v_add_f64 v[14:15], v[14:15], v[63:64]
	s_clause 0x3
	buffer_load_dword v63, off, s[0:3], 0 offset:432
	buffer_load_dword v64, off, s[0:3], 0 offset:436
	buffer_load_dword v67, off, s[0:3], 0 offset:440
	buffer_load_dword v68, off, s[0:3], 0 offset:444
	ds_read_b128 v[10:13], v1 offset:1488
	v_fma_f64 v[36:37], v[4:5], v[83:84], v[36:37]
	ds_read_b128 v[2:5], v1 offset:1504
	s_waitcnt vmcnt(45)
	v_fma_f64 v[77:78], v[6:7], v[93:94], -v[77:78]
	v_add_f64 v[18:19], v[18:19], v[73:74]
	v_add_f64 v[14:15], v[14:15], v[32:33]
	s_waitcnt lgkmcnt(1)
	v_mul_f64 v[73:74], v[12:13], v[89:90]
	v_mul_f64 v[32:33], v[10:11], v[89:90]
	v_add_f64 v[18:19], v[18:19], v[71:72]
	v_fma_f64 v[71:72], v[8:9], v[93:94], v[75:76]
	v_add_f64 v[14:15], v[14:15], v[36:37]
	s_waitcnt vmcnt(41) lgkmcnt(0)
	v_mul_f64 v[75:76], v[4:5], v[99:100]
	s_waitcnt vmcnt(40)
	v_fma_f64 v[73:74], v[10:11], v[91:92], -v[73:74]
	ds_read_b128 v[6:9], v1 offset:1520
	v_mul_f64 v[36:37], v[2:3], v[99:100]
	v_fma_f64 v[32:33], v[12:13], v[91:92], v[32:33]
	ds_read_b128 v[10:13], v1 offset:1536
	v_add_f64 v[18:19], v[18:19], v[77:78]
	v_add_f64 v[14:15], v[14:15], v[71:72]
	s_waitcnt vmcnt(39) lgkmcnt(1)
	v_mul_f64 v[77:78], v[8:9], v[101:102]
	v_mul_f64 v[71:72], v[6:7], v[101:102]
	s_waitcnt vmcnt(37)
	v_fma_f64 v[75:76], v[2:3], v[97:98], -v[75:76]
	v_fma_f64 v[36:37], v[4:5], v[97:98], v[36:37]
	ds_read_b128 v[2:5], v1 offset:1552
	v_add_f64 v[18:19], v[18:19], v[73:74]
	v_add_f64 v[14:15], v[14:15], v[32:33]
	s_waitcnt vmcnt(33) lgkmcnt(1)
	v_mul_f64 v[32:33], v[10:11], v[20:21]
	v_mul_f64 v[20:21], v[12:13], v[20:21]
	s_waitcnt vmcnt(32)
	v_fma_f64 v[73:74], v[6:7], v[103:104], -v[77:78]
	;; [unrolled: 9-line block ×4, first 2 shown]
	v_add_f64 v[18:19], v[18:19], v[20:21]
	v_fma_f64 v[20:21], v[4:5], v[110:111], v[36:37]
	v_add_f64 v[14:15], v[14:15], v[16:17]
	ds_read_b128 v[2:5], v1 offset:1600
	s_waitcnt vmcnt(23) lgkmcnt(1)
	v_mul_f64 v[36:37], v[12:13], v[95:96]
	v_mul_f64 v[16:17], v[10:11], v[95:96]
	s_waitcnt vmcnt(21)
	v_fma_f64 v[28:29], v[6:7], v[26:27], -v[28:29]
	v_fma_f64 v[26:27], v[8:9], v[26:27], v[32:33]
	ds_read_b128 v[6:9], v1 offset:1616
	v_add_f64 v[18:19], v[18:19], v[71:72]
	v_add_f64 v[14:15], v[14:15], v[20:21]
	s_waitcnt vmcnt(17) lgkmcnt(1)
	v_mul_f64 v[20:21], v[2:3], v[22:23]
	v_mul_f64 v[22:23], v[4:5], v[22:23]
	s_waitcnt vmcnt(16)
	v_fma_f64 v[32:33], v[10:11], v[112:113], -v[36:37]
	v_fma_f64 v[16:17], v[12:13], v[112:113], v[16:17]
	ds_read_b128 v[10:13], v1 offset:1632
	v_add_f64 v[18:19], v[18:19], v[28:29]
	v_add_f64 v[14:15], v[14:15], v[26:27]
	;; [unrolled: 9-line block ×3, first 2 shown]
	s_waitcnt vmcnt(9) lgkmcnt(1)
	v_mul_f64 v[24:25], v[12:13], v[30:31]
	s_waitcnt vmcnt(8)
	v_fma_f64 v[6:7], v[6:7], v[107:108], -v[28:29]
	v_mul_f64 v[16:17], v[10:11], v[30:31]
	v_fma_f64 v[8:9], v[8:9], v[107:108], v[26:27]
	v_add_f64 v[18:19], v[18:19], v[22:23]
	v_add_f64 v[14:15], v[14:15], v[20:21]
	s_waitcnt vmcnt(7) lgkmcnt(0)
	v_mul_f64 v[22:23], v[4:5], v[65:66]
	v_mul_f64 v[20:21], v[2:3], v[65:66]
	s_waitcnt vmcnt(5)
	v_fma_f64 v[10:11], v[10:11], v[34:35], -v[24:25]
	v_fma_f64 v[12:13], v[12:13], v[34:35], v[16:17]
	v_add_f64 v[6:7], v[18:19], v[6:7]
	v_add_f64 v[8:9], v[14:15], v[8:9]
	s_waitcnt vmcnt(4)
	v_fma_f64 v[2:3], v[2:3], v[69:70], -v[22:23]
	v_fma_f64 v[4:5], v[4:5], v[69:70], v[20:21]
	v_add_f64 v[6:7], v[6:7], v[10:11]
	v_add_f64 v[8:9], v[8:9], v[12:13]
	v_add_f64 v[2:3], v[6:7], v[2:3]
	v_add_f64 v[4:5], v[8:9], v[4:5]
	s_waitcnt vmcnt(2)
	v_add_f64 v[2:3], v[63:64], -v[2:3]
	s_waitcnt vmcnt(0)
	v_add_f64 v[4:5], v[67:68], -v[4:5]
	buffer_store_dword v3, off, s[0:3], 0 offset:436
	buffer_store_dword v2, off, s[0:3], 0 offset:432
	;; [unrolled: 1-line block ×4, first 2 shown]
	v_cmpx_lt_u32_e32 25, v0
	s_cbranch_execz .LBB51_275
; %bb.274:
	v_mov_b32_e32 v5, s39
	s_clause 0x3
	buffer_load_dword v2, v5, s[0:3], 0 offen
	buffer_load_dword v3, v5, s[0:3], 0 offen offset:4
	buffer_load_dword v4, v5, s[0:3], 0 offen offset:8
	;; [unrolled: 1-line block ×3, first 2 shown]
	buffer_store_dword v1, off, s[0:3], 0 offset:416
	buffer_store_dword v1, off, s[0:3], 0 offset:420
	;; [unrolled: 1-line block ×4, first 2 shown]
	s_waitcnt vmcnt(0)
	ds_write_b128 v39, v[2:5]
.LBB51_275:
	s_or_b32 exec_lo, exec_lo, s4
	s_waitcnt lgkmcnt(0)
	s_waitcnt_vscnt null, 0x0
	s_barrier
	buffer_gl0_inv
	s_clause 0x37
	buffer_load_dword v10, off, s[0:3], 0 offset:440
	buffer_load_dword v11, off, s[0:3], 0 offset:444
	;; [unrolled: 1-line block ×56, first 2 shown]
	ds_read_b128 v[2:5], v1 offset:1248
	s_clause 0x2
	buffer_load_dword v90, off, s[0:3], 0 offset:668
	buffer_load_dword v94, off, s[0:3], 0 offset:644
	;; [unrolled: 1-line block ×3, first 2 shown]
	ds_read_b128 v[6:9], v1 offset:1264
	s_clause 0x4
	buffer_load_dword v100, off, s[0:3], 0 offset:684
	buffer_load_dword v101, off, s[0:3], 0 offset:696
	;; [unrolled: 1-line block ×5, first 2 shown]
	s_mov_b32 s4, exec_lo
	s_waitcnt vmcnt(62) lgkmcnt(1)
	v_mul_f64 v[95:96], v[4:5], v[10:11]
	v_mul_f64 v[97:98], v[2:3], v[10:11]
	s_waitcnt vmcnt(60) lgkmcnt(0)
	v_mul_f64 v[104:105], v[8:9], v[14:15]
	ds_read_b128 v[10:13], v1 offset:1280
	v_mul_f64 v[14:15], v[6:7], v[14:15]
	s_waitcnt vmcnt(58)
	v_fma_f64 v[95:96], v[2:3], v[16:17], -v[95:96]
	v_fma_f64 v[16:17], v[4:5], v[16:17], v[97:98]
	s_clause 0x2
	buffer_load_dword v102, off, s[0:3], 0 offset:700
	buffer_load_dword v98, off, s[0:3], 0 offset:676
	;; [unrolled: 1-line block ×3, first 2 shown]
	s_waitcnt vmcnt(59) lgkmcnt(0)
	v_mul_f64 v[106:107], v[10:11], v[18:19]
	v_mul_f64 v[18:19], v[12:13], v[18:19]
	s_waitcnt vmcnt(57)
	v_fma_f64 v[108:109], v[6:7], v[20:21], -v[104:105]
	ds_read_b128 v[2:5], v1 offset:1296
	v_fma_f64 v[14:15], v[8:9], v[20:21], v[14:15]
	s_clause 0x4
	buffer_load_dword v21, off, s[0:3], 0 offset:716
	buffer_load_dword v105, off, s[0:3], 0 offset:728
	;; [unrolled: 1-line block ×5, first 2 shown]
	ds_read_b128 v[6:9], v1 offset:1312
	v_add_f64 v[95:96], v[95:96], 0
	v_add_f64 v[16:17], v[16:17], 0
	s_waitcnt vmcnt(58) lgkmcnt(1)
	v_mul_f64 v[111:112], v[2:3], v[22:23]
	v_mul_f64 v[22:23], v[4:5], v[22:23]
	s_waitcnt vmcnt(56)
	v_fma_f64 v[18:19], v[10:11], v[28:29], -v[18:19]
	v_fma_f64 v[28:29], v[12:13], v[28:29], v[106:107]
	v_add_f64 v[95:96], v[95:96], v[108:109]
	v_add_f64 v[14:15], v[16:17], v[14:15]
	s_clause 0x2
	buffer_load_dword v106, off, s[0:3], 0 offset:732
	buffer_load_dword v17, off, s[0:3], 0 offset:708
	;; [unrolled: 1-line block ×3, first 2 shown]
	s_waitcnt vmcnt(58) lgkmcnt(0)
	v_mul_f64 v[107:108], v[6:7], v[24:25]
	v_mul_f64 v[24:25], v[8:9], v[24:25]
	s_waitcnt vmcnt(56)
	v_fma_f64 v[22:23], v[2:3], v[30:31], -v[22:23]
	ds_read_b128 v[10:13], v1 offset:1328
	v_fma_f64 v[30:31], v[4:5], v[30:31], v[111:112]
	v_add_f64 v[18:19], v[95:96], v[18:19]
	v_add_f64 v[14:15], v[14:15], v[28:29]
	s_clause 0x4
	buffer_load_dword v29, off, s[0:3], 0 offset:748
	buffer_load_dword v95, off, s[0:3], 0 offset:760
	;; [unrolled: 1-line block ×5, first 2 shown]
	ds_read_b128 v[2:5], v1 offset:1344
	s_waitcnt vmcnt(57) lgkmcnt(1)
	v_mul_f64 v[113:114], v[10:11], v[32:33]
	v_mul_f64 v[32:33], v[12:13], v[32:33]
	s_waitcnt vmcnt(56)
	v_fma_f64 v[24:25], v[6:7], v[26:27], -v[24:25]
	v_add_f64 v[18:19], v[18:19], v[22:23]
	v_fma_f64 v[22:23], v[8:9], v[26:27], v[107:108]
	v_add_f64 v[14:15], v[14:15], v[30:31]
	s_clause 0x2
	buffer_load_dword v96, off, s[0:3], 0 offset:764
	buffer_load_dword v27, off, s[0:3], 0 offset:740
	buffer_load_dword v26, off, s[0:3], 0 offset:736
	s_waitcnt vmcnt(58) lgkmcnt(0)
	v_mul_f64 v[30:31], v[2:3], v[34:35]
	v_mul_f64 v[34:35], v[4:5], v[34:35]
	s_waitcnt vmcnt(56)
	v_fma_f64 v[32:33], v[10:11], v[58:59], -v[32:33]
	ds_read_b128 v[6:9], v1 offset:1360
	v_add_f64 v[18:19], v[18:19], v[24:25]
	v_fma_f64 v[24:25], v[12:13], v[58:59], v[113:114]
	v_add_f64 v[14:15], v[14:15], v[22:23]
	s_clause 0x4
	buffer_load_dword v23, off, s[0:3], 0 offset:780
	buffer_load_dword v58, off, s[0:3], 0 offset:792
	;; [unrolled: 1-line block ×5, first 2 shown]
	ds_read_b128 v[10:13], v1 offset:1376
	s_waitcnt vmcnt(57) lgkmcnt(1)
	v_mul_f64 v[108:109], v[6:7], v[63:64]
	v_mul_f64 v[63:64], v[8:9], v[63:64]
	s_waitcnt vmcnt(56)
	v_fma_f64 v[34:35], v[2:3], v[36:37], -v[34:35]
	v_fma_f64 v[30:31], v[4:5], v[36:37], v[30:31]
	v_add_f64 v[18:19], v[18:19], v[32:33]
	v_add_f64 v[14:15], v[14:15], v[24:25]
	s_clause 0x2
	buffer_load_dword v59, off, s[0:3], 0 offset:796
	buffer_load_dword v25, off, s[0:3], 0 offset:772
	;; [unrolled: 1-line block ×3, first 2 shown]
	s_waitcnt vmcnt(58) lgkmcnt(0)
	v_mul_f64 v[36:37], v[12:13], v[65:66]
	ds_read_b128 v[2:5], v1 offset:1392
	s_waitcnt vmcnt(56)
	v_fma_f64 v[63:64], v[6:7], v[69:70], -v[63:64]
	v_mul_f64 v[32:33], v[10:11], v[65:66]
	v_add_f64 v[18:19], v[18:19], v[34:35]
	v_fma_f64 v[34:35], v[8:9], v[69:70], v[108:109]
	v_add_f64 v[14:15], v[14:15], v[30:31]
	s_clause 0x4
	buffer_load_dword v31, off, s[0:3], 0 offset:812
	buffer_load_dword v65, off, s[0:3], 0 offset:824
	;; [unrolled: 1-line block ×5, first 2 shown]
	s_waitcnt vmcnt(57) lgkmcnt(0)
	v_mul_f64 v[114:115], v[2:3], v[71:72]
	v_mul_f64 v[70:71], v[4:5], v[71:72]
	s_waitcnt vmcnt(56)
	v_fma_f64 v[36:37], v[10:11], v[67:68], -v[36:37]
	ds_read_b128 v[6:9], v1 offset:1408
	v_fma_f64 v[32:33], v[12:13], v[67:68], v[32:33]
	v_add_f64 v[18:19], v[18:19], v[63:64]
	v_add_f64 v[14:15], v[14:15], v[34:35]
	s_clause 0x2
	buffer_load_dword v66, off, s[0:3], 0 offset:828
	buffer_load_dword v35, off, s[0:3], 0 offset:804
	;; [unrolled: 1-line block ×3, first 2 shown]
	ds_read_b128 v[10:13], v1 offset:1424
	s_waitcnt vmcnt(58) lgkmcnt(1)
	v_mul_f64 v[67:68], v[8:9], v[73:74]
	s_waitcnt vmcnt(56)
	v_fma_f64 v[71:72], v[2:3], v[77:78], -v[70:71]
	v_mul_f64 v[63:64], v[6:7], v[73:74]
	v_add_f64 v[18:19], v[18:19], v[36:37]
	v_fma_f64 v[36:37], v[4:5], v[77:78], v[114:115]
	v_add_f64 v[14:15], v[14:15], v[32:33]
	s_clause 0x2
	buffer_load_dword v33, off, s[0:3], 0 offset:844
	buffer_load_dword v32, off, s[0:3], 0 offset:840
	;; [unrolled: 1-line block ×3, first 2 shown]
	s_waitcnt vmcnt(55) lgkmcnt(0)
	v_mul_f64 v[77:78], v[12:13], v[79:80]
	s_waitcnt vmcnt(54)
	v_fma_f64 v[67:68], v[6:7], v[75:76], -v[67:68]
	ds_read_b128 v[2:5], v1 offset:1440
	v_mul_f64 v[73:74], v[10:11], v[79:80]
	v_fma_f64 v[63:64], v[8:9], v[75:76], v[63:64]
	v_add_f64 v[18:19], v[18:19], v[71:72]
	v_add_f64 v[14:15], v[14:15], v[36:37]
	s_clause 0x1
	buffer_load_dword v37, off, s[0:3], 0 offset:836
	buffer_load_dword v36, off, s[0:3], 0 offset:832
	s_waitcnt vmcnt(55) lgkmcnt(0)
	v_mul_f64 v[75:76], v[4:5], v[81:82]
	s_waitcnt vmcnt(53)
	v_fma_f64 v[77:78], v[10:11], v[85:86], -v[77:78]
	ds_read_b128 v[6:9], v1 offset:1456
	v_mul_f64 v[71:72], v[2:3], v[81:82]
	v_add_f64 v[18:19], v[18:19], v[67:68]
	v_fma_f64 v[67:68], v[12:13], v[85:86], v[73:74]
	v_add_f64 v[14:15], v[14:15], v[63:64]
	ds_read_b128 v[10:13], v1 offset:1472
	s_waitcnt vmcnt(49) lgkmcnt(1)
	v_mul_f64 v[73:74], v[8:9], v[87:88]
	s_waitcnt vmcnt(48)
	v_fma_f64 v[75:76], v[2:3], v[83:84], -v[75:76]
	v_mul_f64 v[63:64], v[6:7], v[87:88]
	v_fma_f64 v[71:72], v[4:5], v[83:84], v[71:72]
	v_add_f64 v[18:19], v[18:19], v[77:78]
	s_waitcnt vmcnt(47) lgkmcnt(0)
	v_mul_f64 v[81:82], v[12:13], v[89:90]
	v_add_f64 v[14:15], v[14:15], v[67:68]
	s_clause 0x3
	buffer_load_dword v67, off, s[0:3], 0 offset:416
	buffer_load_dword v68, off, s[0:3], 0 offset:420
	buffer_load_dword v77, off, s[0:3], 0 offset:424
	buffer_load_dword v78, off, s[0:3], 0 offset:428
	s_waitcnt vmcnt(49)
	v_fma_f64 v[73:74], v[6:7], v[93:94], -v[73:74]
	ds_read_b128 v[2:5], v1 offset:1488
	v_mul_f64 v[79:80], v[10:11], v[89:90]
	v_fma_f64 v[63:64], v[8:9], v[93:94], v[63:64]
	ds_read_b128 v[6:9], v1 offset:1504
	v_add_f64 v[18:19], v[18:19], v[75:76]
	s_waitcnt vmcnt(44)
	v_fma_f64 v[81:82], v[10:11], v[91:92], -v[81:82]
	v_add_f64 v[14:15], v[14:15], v[71:72]
	s_waitcnt lgkmcnt(1)
	v_mul_f64 v[75:76], v[4:5], v[99:100]
	v_mul_f64 v[71:72], v[2:3], v[99:100]
	v_add_f64 v[18:19], v[18:19], v[73:74]
	v_fma_f64 v[73:74], v[12:13], v[91:92], v[79:80]
	v_add_f64 v[14:15], v[14:15], v[63:64]
	ds_read_b128 v[10:13], v1 offset:1520
	s_waitcnt vmcnt(43) lgkmcnt(1)
	v_mul_f64 v[79:80], v[8:9], v[101:102]
	v_mul_f64 v[63:64], v[6:7], v[101:102]
	s_waitcnt vmcnt(41)
	v_fma_f64 v[75:76], v[2:3], v[97:98], -v[75:76]
	v_fma_f64 v[71:72], v[4:5], v[97:98], v[71:72]
	ds_read_b128 v[2:5], v1 offset:1536
	v_add_f64 v[18:19], v[18:19], v[81:82]
	v_add_f64 v[14:15], v[14:15], v[73:74]
	s_waitcnt vmcnt(37) lgkmcnt(1)
	v_mul_f64 v[73:74], v[10:11], v[20:21]
	v_mul_f64 v[20:21], v[12:13], v[20:21]
	s_waitcnt vmcnt(36)
	v_fma_f64 v[79:80], v[6:7], v[103:104], -v[79:80]
	v_fma_f64 v[63:64], v[8:9], v[103:104], v[63:64]
	ds_read_b128 v[6:9], v1 offset:1552
	v_add_f64 v[18:19], v[18:19], v[75:76]
	v_add_f64 v[14:15], v[14:15], v[71:72]
	;; [unrolled: 9-line block ×3, first 2 shown]
	s_waitcnt vmcnt(29) lgkmcnt(1)
	v_mul_f64 v[63:64], v[6:7], v[28:29]
	v_mul_f64 v[28:29], v[8:9], v[28:29]
	s_waitcnt vmcnt(28)
	v_fma_f64 v[73:74], v[2:3], v[110:111], -v[75:76]
	v_add_f64 v[18:19], v[18:19], v[20:21]
	v_fma_f64 v[20:21], v[4:5], v[110:111], v[71:72]
	v_add_f64 v[14:15], v[14:15], v[16:17]
	ds_read_b128 v[2:5], v1 offset:1584
	s_waitcnt vmcnt(27) lgkmcnt(1)
	v_mul_f64 v[71:72], v[12:13], v[95:96]
	v_mul_f64 v[16:17], v[10:11], v[95:96]
	s_waitcnt vmcnt(25)
	v_fma_f64 v[28:29], v[6:7], v[26:27], -v[28:29]
	v_fma_f64 v[26:27], v[8:9], v[26:27], v[63:64]
	ds_read_b128 v[6:9], v1 offset:1600
	v_add_f64 v[18:19], v[18:19], v[73:74]
	v_add_f64 v[14:15], v[14:15], v[20:21]
	s_waitcnt vmcnt(21) lgkmcnt(1)
	v_mul_f64 v[20:21], v[2:3], v[22:23]
	v_mul_f64 v[22:23], v[4:5], v[22:23]
	s_waitcnt vmcnt(20)
	v_fma_f64 v[63:64], v[10:11], v[112:113], -v[71:72]
	v_fma_f64 v[16:17], v[12:13], v[112:113], v[16:17]
	ds_read_b128 v[10:13], v1 offset:1616
	v_add_f64 v[18:19], v[18:19], v[28:29]
	v_add_f64 v[14:15], v[14:15], v[26:27]
	;; [unrolled: 9-line block ×3, first 2 shown]
	s_waitcnt vmcnt(13) lgkmcnt(1)
	v_mul_f64 v[24:25], v[12:13], v[30:31]
	s_waitcnt vmcnt(12)
	v_fma_f64 v[28:29], v[6:7], v[107:108], -v[28:29]
	v_mul_f64 v[16:17], v[10:11], v[30:31]
	v_add_f64 v[18:19], v[18:19], v[22:23]
	v_fma_f64 v[22:23], v[8:9], v[107:108], v[26:27]
	v_add_f64 v[14:15], v[14:15], v[20:21]
	ds_read_b128 v[6:9], v1 offset:1648
	s_waitcnt vmcnt(11) lgkmcnt(1)
	v_mul_f64 v[26:27], v[4:5], v[65:66]
	v_mul_f64 v[20:21], v[2:3], v[65:66]
	s_waitcnt vmcnt(9)
	v_fma_f64 v[10:11], v[10:11], v[34:35], -v[24:25]
	v_fma_f64 v[12:13], v[12:13], v[34:35], v[16:17]
	v_add_f64 v[18:19], v[18:19], v[28:29]
	v_add_f64 v[14:15], v[14:15], v[22:23]
	s_waitcnt vmcnt(7) lgkmcnt(0)
	v_mul_f64 v[22:23], v[8:9], v[32:33]
	s_waitcnt vmcnt(6)
	v_fma_f64 v[1:2], v[2:3], v[69:70], -v[26:27]
	v_mul_f64 v[16:17], v[6:7], v[32:33]
	v_fma_f64 v[3:4], v[4:5], v[69:70], v[20:21]
	v_add_f64 v[10:11], v[18:19], v[10:11]
	v_add_f64 v[12:13], v[14:15], v[12:13]
	s_waitcnt vmcnt(4)
	v_fma_f64 v[5:6], v[6:7], v[36:37], -v[22:23]
	v_fma_f64 v[7:8], v[8:9], v[36:37], v[16:17]
	v_add_f64 v[1:2], v[10:11], v[1:2]
	v_add_f64 v[3:4], v[12:13], v[3:4]
	;; [unrolled: 1-line block ×4, first 2 shown]
	s_waitcnt vmcnt(2)
	v_add_f64 v[1:2], v[67:68], -v[1:2]
	s_waitcnt vmcnt(0)
	v_add_f64 v[3:4], v[77:78], -v[3:4]
	buffer_store_dword v2, off, s[0:3], 0 offset:420
	buffer_store_dword v1, off, s[0:3], 0 offset:416
	;; [unrolled: 1-line block ×4, first 2 shown]
	v_cmpx_lt_u32_e32 24, v0
	s_cbranch_execz .LBB51_277
; %bb.276:
	v_mov_b32_e32 v4, s40
	v_mov_b32_e32 v5, 0
	s_clause 0x3
	buffer_load_dword v1, v4, s[0:3], 0 offen
	buffer_load_dword v2, v4, s[0:3], 0 offen offset:4
	buffer_load_dword v3, v4, s[0:3], 0 offen offset:8
	;; [unrolled: 1-line block ×3, first 2 shown]
	buffer_store_dword v5, off, s[0:3], 0 offset:400
	buffer_store_dword v5, off, s[0:3], 0 offset:404
	;; [unrolled: 1-line block ×4, first 2 shown]
	s_waitcnt vmcnt(0)
	ds_write_b128 v39, v[1:4]
.LBB51_277:
	s_or_b32 exec_lo, exec_lo, s4
	s_waitcnt lgkmcnt(0)
	s_waitcnt_vscnt null, 0x0
	s_barrier
	buffer_gl0_inv
	s_clause 0x37
	buffer_load_dword v10, off, s[0:3], 0 offset:424
	buffer_load_dword v11, off, s[0:3], 0 offset:428
	;; [unrolled: 1-line block ×56, first 2 shown]
	v_mov_b32_e32 v1, 0
	s_mov_b32 s4, exec_lo
	ds_read_b128 v[2:5], v1 offset:1232
	s_clause 0x2
	buffer_load_dword v90, off, s[0:3], 0 offset:652
	buffer_load_dword v94, off, s[0:3], 0 offset:628
	;; [unrolled: 1-line block ×3, first 2 shown]
	ds_read_b128 v[6:9], v1 offset:1248
	s_clause 0x4
	buffer_load_dword v100, off, s[0:3], 0 offset:668
	buffer_load_dword v101, off, s[0:3], 0 offset:680
	;; [unrolled: 1-line block ×5, first 2 shown]
	s_waitcnt vmcnt(62) lgkmcnt(1)
	v_mul_f64 v[95:96], v[4:5], v[10:11]
	v_mul_f64 v[97:98], v[2:3], v[10:11]
	s_waitcnt vmcnt(60) lgkmcnt(0)
	v_mul_f64 v[104:105], v[8:9], v[14:15]
	ds_read_b128 v[10:13], v1 offset:1264
	v_mul_f64 v[14:15], v[6:7], v[14:15]
	s_waitcnt vmcnt(58)
	v_fma_f64 v[95:96], v[2:3], v[16:17], -v[95:96]
	v_fma_f64 v[16:17], v[4:5], v[16:17], v[97:98]
	s_clause 0x2
	buffer_load_dword v102, off, s[0:3], 0 offset:684
	buffer_load_dword v98, off, s[0:3], 0 offset:660
	;; [unrolled: 1-line block ×3, first 2 shown]
	s_waitcnt vmcnt(59) lgkmcnt(0)
	v_mul_f64 v[106:107], v[10:11], v[18:19]
	v_mul_f64 v[18:19], v[12:13], v[18:19]
	s_waitcnt vmcnt(57)
	v_fma_f64 v[108:109], v[6:7], v[20:21], -v[104:105]
	ds_read_b128 v[2:5], v1 offset:1280
	v_fma_f64 v[14:15], v[8:9], v[20:21], v[14:15]
	s_clause 0x4
	buffer_load_dword v21, off, s[0:3], 0 offset:700
	buffer_load_dword v105, off, s[0:3], 0 offset:712
	;; [unrolled: 1-line block ×5, first 2 shown]
	ds_read_b128 v[6:9], v1 offset:1296
	v_add_f64 v[95:96], v[95:96], 0
	v_add_f64 v[16:17], v[16:17], 0
	s_waitcnt vmcnt(58) lgkmcnt(1)
	v_mul_f64 v[111:112], v[2:3], v[22:23]
	v_mul_f64 v[22:23], v[4:5], v[22:23]
	s_waitcnt vmcnt(56)
	v_fma_f64 v[18:19], v[10:11], v[28:29], -v[18:19]
	v_fma_f64 v[28:29], v[12:13], v[28:29], v[106:107]
	v_add_f64 v[95:96], v[95:96], v[108:109]
	v_add_f64 v[14:15], v[16:17], v[14:15]
	s_clause 0x2
	buffer_load_dword v106, off, s[0:3], 0 offset:716
	buffer_load_dword v17, off, s[0:3], 0 offset:692
	;; [unrolled: 1-line block ×3, first 2 shown]
	s_waitcnt vmcnt(58) lgkmcnt(0)
	v_mul_f64 v[107:108], v[6:7], v[24:25]
	v_mul_f64 v[24:25], v[8:9], v[24:25]
	s_waitcnt vmcnt(56)
	v_fma_f64 v[22:23], v[2:3], v[30:31], -v[22:23]
	ds_read_b128 v[10:13], v1 offset:1312
	v_fma_f64 v[30:31], v[4:5], v[30:31], v[111:112]
	v_add_f64 v[18:19], v[95:96], v[18:19]
	v_add_f64 v[14:15], v[14:15], v[28:29]
	s_clause 0x4
	buffer_load_dword v29, off, s[0:3], 0 offset:732
	buffer_load_dword v95, off, s[0:3], 0 offset:744
	;; [unrolled: 1-line block ×5, first 2 shown]
	ds_read_b128 v[2:5], v1 offset:1328
	s_waitcnt vmcnt(57) lgkmcnt(1)
	v_mul_f64 v[113:114], v[10:11], v[32:33]
	v_mul_f64 v[32:33], v[12:13], v[32:33]
	s_waitcnt vmcnt(56)
	v_fma_f64 v[24:25], v[6:7], v[26:27], -v[24:25]
	v_add_f64 v[18:19], v[18:19], v[22:23]
	v_fma_f64 v[22:23], v[8:9], v[26:27], v[107:108]
	v_add_f64 v[14:15], v[14:15], v[30:31]
	s_clause 0x2
	buffer_load_dword v96, off, s[0:3], 0 offset:748
	buffer_load_dword v27, off, s[0:3], 0 offset:724
	;; [unrolled: 1-line block ×3, first 2 shown]
	s_waitcnt vmcnt(58) lgkmcnt(0)
	v_mul_f64 v[30:31], v[2:3], v[34:35]
	v_mul_f64 v[34:35], v[4:5], v[34:35]
	s_waitcnt vmcnt(56)
	v_fma_f64 v[32:33], v[10:11], v[58:59], -v[32:33]
	ds_read_b128 v[6:9], v1 offset:1344
	v_add_f64 v[18:19], v[18:19], v[24:25]
	v_fma_f64 v[24:25], v[12:13], v[58:59], v[113:114]
	v_add_f64 v[14:15], v[14:15], v[22:23]
	s_clause 0x4
	buffer_load_dword v23, off, s[0:3], 0 offset:764
	buffer_load_dword v58, off, s[0:3], 0 offset:776
	;; [unrolled: 1-line block ×5, first 2 shown]
	ds_read_b128 v[10:13], v1 offset:1360
	s_waitcnt vmcnt(57) lgkmcnt(1)
	v_mul_f64 v[108:109], v[6:7], v[63:64]
	v_mul_f64 v[63:64], v[8:9], v[63:64]
	s_waitcnt vmcnt(56)
	v_fma_f64 v[34:35], v[2:3], v[36:37], -v[34:35]
	v_fma_f64 v[30:31], v[4:5], v[36:37], v[30:31]
	v_add_f64 v[18:19], v[18:19], v[32:33]
	v_add_f64 v[14:15], v[14:15], v[24:25]
	s_clause 0x2
	buffer_load_dword v59, off, s[0:3], 0 offset:780
	buffer_load_dword v25, off, s[0:3], 0 offset:756
	;; [unrolled: 1-line block ×3, first 2 shown]
	s_waitcnt vmcnt(58) lgkmcnt(0)
	v_mul_f64 v[36:37], v[12:13], v[65:66]
	ds_read_b128 v[2:5], v1 offset:1376
	s_waitcnt vmcnt(56)
	v_fma_f64 v[63:64], v[6:7], v[69:70], -v[63:64]
	v_mul_f64 v[32:33], v[10:11], v[65:66]
	v_add_f64 v[18:19], v[18:19], v[34:35]
	v_fma_f64 v[34:35], v[8:9], v[69:70], v[108:109]
	v_add_f64 v[14:15], v[14:15], v[30:31]
	s_clause 0x4
	buffer_load_dword v31, off, s[0:3], 0 offset:796
	buffer_load_dword v65, off, s[0:3], 0 offset:808
	;; [unrolled: 1-line block ×5, first 2 shown]
	s_waitcnt vmcnt(57) lgkmcnt(0)
	v_mul_f64 v[114:115], v[2:3], v[71:72]
	v_mul_f64 v[70:71], v[4:5], v[71:72]
	s_waitcnt vmcnt(56)
	v_fma_f64 v[36:37], v[10:11], v[67:68], -v[36:37]
	ds_read_b128 v[6:9], v1 offset:1392
	v_fma_f64 v[32:33], v[12:13], v[67:68], v[32:33]
	v_add_f64 v[18:19], v[18:19], v[63:64]
	v_add_f64 v[14:15], v[14:15], v[34:35]
	s_clause 0x2
	buffer_load_dword v66, off, s[0:3], 0 offset:812
	buffer_load_dword v35, off, s[0:3], 0 offset:788
	;; [unrolled: 1-line block ×3, first 2 shown]
	ds_read_b128 v[10:13], v1 offset:1408
	s_waitcnt vmcnt(58) lgkmcnt(1)
	v_mul_f64 v[67:68], v[8:9], v[73:74]
	s_waitcnt vmcnt(56)
	v_fma_f64 v[71:72], v[2:3], v[77:78], -v[70:71]
	v_mul_f64 v[63:64], v[6:7], v[73:74]
	v_add_f64 v[18:19], v[18:19], v[36:37]
	v_fma_f64 v[36:37], v[4:5], v[77:78], v[114:115]
	v_add_f64 v[14:15], v[14:15], v[32:33]
	s_clause 0x4
	buffer_load_dword v33, off, s[0:3], 0 offset:828
	buffer_load_dword v73, off, s[0:3], 0 offset:840
	;; [unrolled: 1-line block ×5, first 2 shown]
	s_waitcnt vmcnt(57) lgkmcnt(0)
	v_mul_f64 v[114:115], v[10:11], v[79:80]
	v_mul_f64 v[78:79], v[12:13], v[79:80]
	s_waitcnt vmcnt(56)
	v_fma_f64 v[67:68], v[6:7], v[75:76], -v[67:68]
	ds_read_b128 v[2:5], v1 offset:1424
	v_fma_f64 v[63:64], v[8:9], v[75:76], v[63:64]
	v_add_f64 v[18:19], v[18:19], v[71:72]
	v_add_f64 v[14:15], v[14:15], v[36:37]
	s_clause 0x2
	buffer_load_dword v74, off, s[0:3], 0 offset:844
	buffer_load_dword v37, off, s[0:3], 0 offset:820
	;; [unrolled: 1-line block ×3, first 2 shown]
	ds_read_b128 v[6:9], v1 offset:1440
	s_waitcnt vmcnt(58) lgkmcnt(1)
	v_mul_f64 v[75:76], v[4:5], v[81:82]
	s_waitcnt vmcnt(56)
	v_fma_f64 v[79:80], v[10:11], v[85:86], -v[78:79]
	v_mul_f64 v[71:72], v[2:3], v[81:82]
	buffer_load_dword v78, off, s[0:3], 0 offset:836
	v_add_f64 v[18:19], v[18:19], v[67:68]
	v_fma_f64 v[67:68], v[12:13], v[85:86], v[114:115]
	v_add_f64 v[14:15], v[14:15], v[63:64]
	ds_read_b128 v[10:13], v1 offset:1456
	s_waitcnt vmcnt(53) lgkmcnt(1)
	v_mul_f64 v[81:82], v[8:9], v[87:88]
	s_waitcnt vmcnt(52)
	v_fma_f64 v[75:76], v[2:3], v[83:84], -v[75:76]
	v_mul_f64 v[63:64], v[6:7], v[87:88]
	v_fma_f64 v[71:72], v[4:5], v[83:84], v[71:72]
	ds_read_b128 v[2:5], v1 offset:1472
	v_add_f64 v[18:19], v[18:19], v[79:80]
	s_waitcnt vmcnt(51) lgkmcnt(1)
	v_mul_f64 v[79:80], v[12:13], v[89:90]
	v_add_f64 v[14:15], v[14:15], v[67:68]
	v_mul_f64 v[67:68], v[10:11], v[89:90]
	s_waitcnt vmcnt(49)
	v_fma_f64 v[81:82], v[6:7], v[93:94], -v[81:82]
	v_fma_f64 v[63:64], v[8:9], v[93:94], v[63:64]
	s_waitcnt vmcnt(45) lgkmcnt(0)
	v_mul_f64 v[85:86], v[4:5], v[99:100]
	v_mul_f64 v[83:84], v[2:3], v[99:100]
	v_add_f64 v[18:19], v[18:19], v[75:76]
	s_waitcnt vmcnt(44)
	v_fma_f64 v[79:80], v[10:11], v[91:92], -v[79:80]
	v_add_f64 v[14:15], v[14:15], v[71:72]
	s_clause 0x3
	buffer_load_dword v71, off, s[0:3], 0 offset:400
	buffer_load_dword v72, off, s[0:3], 0 offset:404
	;; [unrolled: 1-line block ×4, first 2 shown]
	ds_read_b128 v[6:9], v1 offset:1488
	v_fma_f64 v[67:68], v[12:13], v[91:92], v[67:68]
	ds_read_b128 v[10:13], v1 offset:1504
	v_add_f64 v[18:19], v[18:19], v[81:82]
	v_add_f64 v[14:15], v[14:15], v[63:64]
	s_waitcnt vmcnt(47) lgkmcnt(1)
	v_mul_f64 v[81:82], v[8:9], v[101:102]
	v_mul_f64 v[63:64], v[6:7], v[101:102]
	s_waitcnt vmcnt(45)
	v_fma_f64 v[85:86], v[2:3], v[97:98], -v[85:86]
	v_add_f64 v[18:19], v[18:19], v[79:80]
	v_fma_f64 v[79:80], v[4:5], v[97:98], v[83:84]
	v_add_f64 v[14:15], v[14:15], v[67:68]
	s_waitcnt vmcnt(41) lgkmcnt(0)
	v_mul_f64 v[67:68], v[10:11], v[20:21]
	v_mul_f64 v[20:21], v[12:13], v[20:21]
	ds_read_b128 v[2:5], v1 offset:1520
	s_waitcnt vmcnt(40)
	v_fma_f64 v[81:82], v[6:7], v[103:104], -v[81:82]
	v_fma_f64 v[63:64], v[8:9], v[103:104], v[63:64]
	ds_read_b128 v[6:9], v1 offset:1536
	v_add_f64 v[18:19], v[18:19], v[85:86]
	v_add_f64 v[14:15], v[14:15], v[79:80]
	s_waitcnt vmcnt(39) lgkmcnt(1)
	v_mul_f64 v[83:84], v[4:5], v[105:106]
	v_mul_f64 v[79:80], v[2:3], v[105:106]
	s_waitcnt vmcnt(37)
	v_fma_f64 v[20:21], v[10:11], v[16:17], -v[20:21]
	v_fma_f64 v[16:17], v[12:13], v[16:17], v[67:68]
	ds_read_b128 v[10:13], v1 offset:1552
	v_add_f64 v[18:19], v[18:19], v[81:82]
	v_add_f64 v[14:15], v[14:15], v[63:64]
	s_waitcnt vmcnt(33) lgkmcnt(1)
	v_mul_f64 v[63:64], v[6:7], v[28:29]
	v_mul_f64 v[28:29], v[8:9], v[28:29]
	s_waitcnt vmcnt(32)
	v_fma_f64 v[67:68], v[2:3], v[110:111], -v[83:84]
	v_add_f64 v[18:19], v[18:19], v[20:21]
	v_fma_f64 v[20:21], v[4:5], v[110:111], v[79:80]
	v_add_f64 v[14:15], v[14:15], v[16:17]
	ds_read_b128 v[2:5], v1 offset:1568
	s_waitcnt vmcnt(31) lgkmcnt(1)
	v_mul_f64 v[79:80], v[12:13], v[95:96]
	v_mul_f64 v[16:17], v[10:11], v[95:96]
	s_waitcnt vmcnt(29)
	v_fma_f64 v[28:29], v[6:7], v[26:27], -v[28:29]
	v_fma_f64 v[26:27], v[8:9], v[26:27], v[63:64]
	ds_read_b128 v[6:9], v1 offset:1584
	v_add_f64 v[18:19], v[18:19], v[67:68]
	v_add_f64 v[14:15], v[14:15], v[20:21]
	s_waitcnt vmcnt(25) lgkmcnt(1)
	v_mul_f64 v[20:21], v[2:3], v[22:23]
	v_mul_f64 v[22:23], v[4:5], v[22:23]
	s_waitcnt vmcnt(24)
	v_fma_f64 v[63:64], v[10:11], v[112:113], -v[79:80]
	v_fma_f64 v[16:17], v[12:13], v[112:113], v[16:17]
	ds_read_b128 v[10:13], v1 offset:1600
	v_add_f64 v[18:19], v[18:19], v[28:29]
	v_add_f64 v[14:15], v[14:15], v[26:27]
	;; [unrolled: 9-line block ×3, first 2 shown]
	s_waitcnt vmcnt(17) lgkmcnt(1)
	v_mul_f64 v[24:25], v[12:13], v[30:31]
	s_waitcnt vmcnt(16)
	v_fma_f64 v[28:29], v[6:7], v[107:108], -v[28:29]
	v_mul_f64 v[16:17], v[10:11], v[30:31]
	v_add_f64 v[18:19], v[18:19], v[22:23]
	v_fma_f64 v[22:23], v[8:9], v[107:108], v[26:27]
	v_add_f64 v[14:15], v[14:15], v[20:21]
	ds_read_b128 v[6:9], v1 offset:1632
	s_waitcnt vmcnt(15) lgkmcnt(1)
	v_mul_f64 v[26:27], v[4:5], v[65:66]
	v_mul_f64 v[20:21], v[2:3], v[65:66]
	s_waitcnt vmcnt(13)
	v_fma_f64 v[24:25], v[10:11], v[34:35], -v[24:25]
	v_fma_f64 v[16:17], v[12:13], v[34:35], v[16:17]
	ds_read_b128 v[10:13], v1 offset:1648
	v_add_f64 v[18:19], v[18:19], v[28:29]
	v_add_f64 v[14:15], v[14:15], v[22:23]
	s_waitcnt vmcnt(9) lgkmcnt(1)
	v_mul_f64 v[28:29], v[8:9], v[32:33]
	s_waitcnt vmcnt(8)
	v_fma_f64 v[2:3], v[2:3], v[69:70], -v[26:27]
	v_mul_f64 v[22:23], v[6:7], v[32:33]
	v_fma_f64 v[4:5], v[4:5], v[69:70], v[20:21]
	v_add_f64 v[18:19], v[18:19], v[24:25]
	v_add_f64 v[14:15], v[14:15], v[16:17]
	s_waitcnt vmcnt(7) lgkmcnt(0)
	v_mul_f64 v[20:21], v[12:13], v[73:74]
	v_mul_f64 v[16:17], v[10:11], v[73:74]
	s_waitcnt vmcnt(5)
	v_fma_f64 v[6:7], v[6:7], v[36:37], -v[28:29]
	v_fma_f64 v[8:9], v[8:9], v[36:37], v[22:23]
	v_add_f64 v[2:3], v[18:19], v[2:3]
	v_add_f64 v[4:5], v[14:15], v[4:5]
	s_waitcnt vmcnt(4)
	v_fma_f64 v[10:11], v[10:11], v[77:78], -v[20:21]
	v_add_f64 v[2:3], v[2:3], v[6:7]
	v_fma_f64 v[6:7], v[12:13], v[77:78], v[16:17]
	v_add_f64 v[4:5], v[4:5], v[8:9]
	v_add_f64 v[2:3], v[2:3], v[10:11]
	v_add_f64 v[4:5], v[4:5], v[6:7]
	s_waitcnt vmcnt(2)
	v_add_f64 v[2:3], v[71:72], -v[2:3]
	s_waitcnt vmcnt(0)
	v_add_f64 v[4:5], v[75:76], -v[4:5]
	buffer_store_dword v3, off, s[0:3], 0 offset:404
	buffer_store_dword v2, off, s[0:3], 0 offset:400
	;; [unrolled: 1-line block ×4, first 2 shown]
	v_cmpx_lt_u32_e32 23, v0
	s_cbranch_execz .LBB51_279
; %bb.278:
	v_mov_b32_e32 v5, s41
	s_clause 0x3
	buffer_load_dword v2, v5, s[0:3], 0 offen
	buffer_load_dword v3, v5, s[0:3], 0 offen offset:4
	buffer_load_dword v4, v5, s[0:3], 0 offen offset:8
	;; [unrolled: 1-line block ×3, first 2 shown]
	buffer_store_dword v1, off, s[0:3], 0 offset:384
	buffer_store_dword v1, off, s[0:3], 0 offset:388
	buffer_store_dword v1, off, s[0:3], 0 offset:392
	buffer_store_dword v1, off, s[0:3], 0 offset:396
	s_waitcnt vmcnt(0)
	ds_write_b128 v39, v[2:5]
.LBB51_279:
	s_or_b32 exec_lo, exec_lo, s4
	s_waitcnt lgkmcnt(0)
	s_waitcnt_vscnt null, 0x0
	s_barrier
	buffer_gl0_inv
	s_clause 0x37
	buffer_load_dword v10, off, s[0:3], 0 offset:408
	buffer_load_dword v11, off, s[0:3], 0 offset:412
	;; [unrolled: 1-line block ×56, first 2 shown]
	ds_read_b128 v[2:5], v1 offset:1216
	s_clause 0x2
	buffer_load_dword v90, off, s[0:3], 0 offset:636
	buffer_load_dword v94, off, s[0:3], 0 offset:612
	;; [unrolled: 1-line block ×3, first 2 shown]
	ds_read_b128 v[6:9], v1 offset:1232
	s_clause 0x4
	buffer_load_dword v100, off, s[0:3], 0 offset:652
	buffer_load_dword v101, off, s[0:3], 0 offset:664
	;; [unrolled: 1-line block ×5, first 2 shown]
	s_mov_b32 s4, exec_lo
	s_waitcnt vmcnt(62) lgkmcnt(1)
	v_mul_f64 v[95:96], v[4:5], v[10:11]
	v_mul_f64 v[97:98], v[2:3], v[10:11]
	s_waitcnt vmcnt(60) lgkmcnt(0)
	v_mul_f64 v[104:105], v[8:9], v[14:15]
	ds_read_b128 v[10:13], v1 offset:1248
	v_mul_f64 v[14:15], v[6:7], v[14:15]
	s_waitcnt vmcnt(58)
	v_fma_f64 v[95:96], v[2:3], v[16:17], -v[95:96]
	v_fma_f64 v[16:17], v[4:5], v[16:17], v[97:98]
	s_clause 0x2
	buffer_load_dword v102, off, s[0:3], 0 offset:668
	buffer_load_dword v98, off, s[0:3], 0 offset:644
	;; [unrolled: 1-line block ×3, first 2 shown]
	s_waitcnt vmcnt(59) lgkmcnt(0)
	v_mul_f64 v[106:107], v[10:11], v[18:19]
	v_mul_f64 v[18:19], v[12:13], v[18:19]
	s_waitcnt vmcnt(57)
	v_fma_f64 v[108:109], v[6:7], v[20:21], -v[104:105]
	ds_read_b128 v[2:5], v1 offset:1264
	v_fma_f64 v[14:15], v[8:9], v[20:21], v[14:15]
	s_clause 0x4
	buffer_load_dword v21, off, s[0:3], 0 offset:684
	buffer_load_dword v105, off, s[0:3], 0 offset:696
	;; [unrolled: 1-line block ×5, first 2 shown]
	ds_read_b128 v[6:9], v1 offset:1280
	v_add_f64 v[95:96], v[95:96], 0
	v_add_f64 v[16:17], v[16:17], 0
	s_waitcnt vmcnt(58) lgkmcnt(1)
	v_mul_f64 v[111:112], v[2:3], v[22:23]
	v_mul_f64 v[22:23], v[4:5], v[22:23]
	s_waitcnt vmcnt(56)
	v_fma_f64 v[18:19], v[10:11], v[28:29], -v[18:19]
	v_fma_f64 v[28:29], v[12:13], v[28:29], v[106:107]
	v_add_f64 v[95:96], v[95:96], v[108:109]
	v_add_f64 v[14:15], v[16:17], v[14:15]
	s_clause 0x2
	buffer_load_dword v106, off, s[0:3], 0 offset:700
	buffer_load_dword v17, off, s[0:3], 0 offset:676
	;; [unrolled: 1-line block ×3, first 2 shown]
	s_waitcnt vmcnt(58) lgkmcnt(0)
	v_mul_f64 v[107:108], v[6:7], v[24:25]
	v_mul_f64 v[24:25], v[8:9], v[24:25]
	s_waitcnt vmcnt(56)
	v_fma_f64 v[22:23], v[2:3], v[30:31], -v[22:23]
	ds_read_b128 v[10:13], v1 offset:1296
	v_fma_f64 v[30:31], v[4:5], v[30:31], v[111:112]
	v_add_f64 v[18:19], v[95:96], v[18:19]
	v_add_f64 v[14:15], v[14:15], v[28:29]
	s_clause 0x4
	buffer_load_dword v29, off, s[0:3], 0 offset:716
	buffer_load_dword v95, off, s[0:3], 0 offset:728
	;; [unrolled: 1-line block ×5, first 2 shown]
	ds_read_b128 v[2:5], v1 offset:1312
	s_waitcnt vmcnt(57) lgkmcnt(1)
	v_mul_f64 v[113:114], v[10:11], v[32:33]
	v_mul_f64 v[32:33], v[12:13], v[32:33]
	s_waitcnt vmcnt(56)
	v_fma_f64 v[24:25], v[6:7], v[26:27], -v[24:25]
	v_add_f64 v[18:19], v[18:19], v[22:23]
	v_fma_f64 v[22:23], v[8:9], v[26:27], v[107:108]
	v_add_f64 v[14:15], v[14:15], v[30:31]
	s_clause 0x2
	buffer_load_dword v96, off, s[0:3], 0 offset:732
	buffer_load_dword v27, off, s[0:3], 0 offset:708
	;; [unrolled: 1-line block ×3, first 2 shown]
	s_waitcnt vmcnt(58) lgkmcnt(0)
	v_mul_f64 v[30:31], v[2:3], v[34:35]
	v_mul_f64 v[34:35], v[4:5], v[34:35]
	s_waitcnt vmcnt(56)
	v_fma_f64 v[32:33], v[10:11], v[58:59], -v[32:33]
	ds_read_b128 v[6:9], v1 offset:1328
	v_add_f64 v[18:19], v[18:19], v[24:25]
	v_fma_f64 v[24:25], v[12:13], v[58:59], v[113:114]
	v_add_f64 v[14:15], v[14:15], v[22:23]
	s_clause 0x4
	buffer_load_dword v23, off, s[0:3], 0 offset:748
	buffer_load_dword v58, off, s[0:3], 0 offset:760
	;; [unrolled: 1-line block ×5, first 2 shown]
	ds_read_b128 v[10:13], v1 offset:1344
	s_waitcnt vmcnt(57) lgkmcnt(1)
	v_mul_f64 v[108:109], v[6:7], v[63:64]
	v_mul_f64 v[63:64], v[8:9], v[63:64]
	s_waitcnt vmcnt(56)
	v_fma_f64 v[34:35], v[2:3], v[36:37], -v[34:35]
	v_fma_f64 v[30:31], v[4:5], v[36:37], v[30:31]
	v_add_f64 v[18:19], v[18:19], v[32:33]
	v_add_f64 v[14:15], v[14:15], v[24:25]
	s_clause 0x2
	buffer_load_dword v59, off, s[0:3], 0 offset:764
	buffer_load_dword v25, off, s[0:3], 0 offset:740
	;; [unrolled: 1-line block ×3, first 2 shown]
	s_waitcnt vmcnt(58) lgkmcnt(0)
	v_mul_f64 v[36:37], v[12:13], v[65:66]
	ds_read_b128 v[2:5], v1 offset:1360
	s_waitcnt vmcnt(56)
	v_fma_f64 v[63:64], v[6:7], v[69:70], -v[63:64]
	v_mul_f64 v[32:33], v[10:11], v[65:66]
	v_add_f64 v[18:19], v[18:19], v[34:35]
	v_fma_f64 v[34:35], v[8:9], v[69:70], v[108:109]
	v_add_f64 v[14:15], v[14:15], v[30:31]
	s_clause 0x4
	buffer_load_dword v31, off, s[0:3], 0 offset:780
	buffer_load_dword v65, off, s[0:3], 0 offset:792
	;; [unrolled: 1-line block ×5, first 2 shown]
	s_waitcnt vmcnt(57) lgkmcnt(0)
	v_mul_f64 v[114:115], v[2:3], v[71:72]
	v_mul_f64 v[70:71], v[4:5], v[71:72]
	s_waitcnt vmcnt(56)
	v_fma_f64 v[36:37], v[10:11], v[67:68], -v[36:37]
	ds_read_b128 v[6:9], v1 offset:1376
	v_fma_f64 v[32:33], v[12:13], v[67:68], v[32:33]
	v_add_f64 v[18:19], v[18:19], v[63:64]
	v_add_f64 v[14:15], v[14:15], v[34:35]
	s_clause 0x2
	buffer_load_dword v66, off, s[0:3], 0 offset:796
	buffer_load_dword v35, off, s[0:3], 0 offset:772
	;; [unrolled: 1-line block ×3, first 2 shown]
	ds_read_b128 v[10:13], v1 offset:1392
	s_waitcnt vmcnt(58) lgkmcnt(1)
	v_mul_f64 v[67:68], v[8:9], v[73:74]
	s_waitcnt vmcnt(56)
	v_fma_f64 v[71:72], v[2:3], v[77:78], -v[70:71]
	v_mul_f64 v[63:64], v[6:7], v[73:74]
	v_add_f64 v[18:19], v[18:19], v[36:37]
	v_fma_f64 v[36:37], v[4:5], v[77:78], v[114:115]
	v_add_f64 v[14:15], v[14:15], v[32:33]
	s_clause 0x4
	buffer_load_dword v33, off, s[0:3], 0 offset:812
	buffer_load_dword v73, off, s[0:3], 0 offset:824
	;; [unrolled: 1-line block ×5, first 2 shown]
	s_waitcnt vmcnt(57) lgkmcnt(0)
	v_mul_f64 v[114:115], v[10:11], v[79:80]
	v_mul_f64 v[78:79], v[12:13], v[79:80]
	s_waitcnt vmcnt(56)
	v_fma_f64 v[67:68], v[6:7], v[75:76], -v[67:68]
	ds_read_b128 v[2:5], v1 offset:1408
	v_fma_f64 v[63:64], v[8:9], v[75:76], v[63:64]
	v_add_f64 v[18:19], v[18:19], v[71:72]
	v_add_f64 v[14:15], v[14:15], v[36:37]
	s_clause 0x2
	buffer_load_dword v74, off, s[0:3], 0 offset:828
	buffer_load_dword v37, off, s[0:3], 0 offset:804
	;; [unrolled: 1-line block ×3, first 2 shown]
	ds_read_b128 v[6:9], v1 offset:1424
	s_waitcnt vmcnt(58) lgkmcnt(1)
	v_mul_f64 v[75:76], v[4:5], v[81:82]
	s_waitcnt vmcnt(56)
	v_fma_f64 v[79:80], v[10:11], v[85:86], -v[78:79]
	v_mul_f64 v[71:72], v[2:3], v[81:82]
	v_add_f64 v[18:19], v[18:19], v[67:68]
	v_fma_f64 v[67:68], v[12:13], v[85:86], v[114:115]
	v_add_f64 v[14:15], v[14:15], v[63:64]
	s_clause 0x2
	buffer_load_dword v64, off, s[0:3], 0 offset:844
	buffer_load_dword v63, off, s[0:3], 0 offset:840
	;; [unrolled: 1-line block ×3, first 2 shown]
	s_waitcnt vmcnt(55) lgkmcnt(0)
	v_mul_f64 v[85:86], v[8:9], v[87:88]
	s_waitcnt vmcnt(54)
	v_fma_f64 v[75:76], v[2:3], v[83:84], -v[75:76]
	ds_read_b128 v[10:13], v1 offset:1440
	v_mul_f64 v[81:82], v[6:7], v[87:88]
	v_fma_f64 v[71:72], v[4:5], v[83:84], v[71:72]
	v_add_f64 v[18:19], v[18:19], v[79:80]
	v_add_f64 v[14:15], v[14:15], v[67:68]
	s_clause 0x1
	buffer_load_dword v68, off, s[0:3], 0 offset:836
	buffer_load_dword v67, off, s[0:3], 0 offset:832
	s_waitcnt vmcnt(55) lgkmcnt(0)
	v_mul_f64 v[83:84], v[12:13], v[89:90]
	s_waitcnt vmcnt(53)
	v_fma_f64 v[85:86], v[6:7], v[93:94], -v[85:86]
	ds_read_b128 v[2:5], v1 offset:1456
	v_mul_f64 v[79:80], v[10:11], v[89:90]
	v_add_f64 v[18:19], v[18:19], v[75:76]
	v_fma_f64 v[75:76], v[8:9], v[93:94], v[81:82]
	v_add_f64 v[14:15], v[14:15], v[71:72]
	ds_read_b128 v[6:9], v1 offset:1472
	s_waitcnt vmcnt(49) lgkmcnt(1)
	v_mul_f64 v[81:82], v[4:5], v[99:100]
	s_waitcnt vmcnt(48)
	v_fma_f64 v[83:84], v[10:11], v[91:92], -v[83:84]
	v_mul_f64 v[71:72], v[2:3], v[99:100]
	v_fma_f64 v[79:80], v[12:13], v[91:92], v[79:80]
	v_add_f64 v[18:19], v[18:19], v[85:86]
	v_add_f64 v[14:15], v[14:15], v[75:76]
	s_clause 0x3
	buffer_load_dword v75, off, s[0:3], 0 offset:384
	buffer_load_dword v76, off, s[0:3], 0 offset:388
	;; [unrolled: 1-line block ×4, first 2 shown]
	ds_read_b128 v[10:13], v1 offset:1488
	s_waitcnt vmcnt(51) lgkmcnt(1)
	v_mul_f64 v[89:90], v[8:9], v[101:102]
	v_mul_f64 v[87:88], v[6:7], v[101:102]
	s_waitcnt vmcnt(49)
	v_fma_f64 v[81:82], v[2:3], v[97:98], -v[81:82]
	v_fma_f64 v[71:72], v[4:5], v[97:98], v[71:72]
	ds_read_b128 v[2:5], v1 offset:1504
	v_add_f64 v[18:19], v[18:19], v[83:84]
	v_add_f64 v[14:15], v[14:15], v[79:80]
	s_waitcnt vmcnt(45) lgkmcnt(1)
	v_mul_f64 v[79:80], v[10:11], v[20:21]
	v_mul_f64 v[20:21], v[12:13], v[20:21]
	s_waitcnt vmcnt(44)
	v_fma_f64 v[83:84], v[6:7], v[103:104], -v[89:90]
	v_add_f64 v[18:19], v[18:19], v[81:82]
	v_fma_f64 v[81:82], v[8:9], v[103:104], v[87:88]
	v_add_f64 v[14:15], v[14:15], v[71:72]
	ds_read_b128 v[6:9], v1 offset:1520
	s_waitcnt vmcnt(43) lgkmcnt(1)
	v_mul_f64 v[87:88], v[4:5], v[105:106]
	v_mul_f64 v[71:72], v[2:3], v[105:106]
	s_waitcnt vmcnt(41)
	v_fma_f64 v[20:21], v[10:11], v[16:17], -v[20:21]
	v_fma_f64 v[16:17], v[12:13], v[16:17], v[79:80]
	ds_read_b128 v[10:13], v1 offset:1536
	v_add_f64 v[18:19], v[18:19], v[83:84]
	v_add_f64 v[14:15], v[14:15], v[81:82]
	s_waitcnt vmcnt(37) lgkmcnt(1)
	v_mul_f64 v[79:80], v[6:7], v[28:29]
	v_mul_f64 v[28:29], v[8:9], v[28:29]
	s_waitcnt vmcnt(36)
	v_fma_f64 v[81:82], v[2:3], v[110:111], -v[87:88]
	v_add_f64 v[18:19], v[18:19], v[20:21]
	v_fma_f64 v[20:21], v[4:5], v[110:111], v[71:72]
	v_add_f64 v[14:15], v[14:15], v[16:17]
	ds_read_b128 v[2:5], v1 offset:1552
	s_waitcnt vmcnt(35) lgkmcnt(1)
	v_mul_f64 v[71:72], v[12:13], v[95:96]
	v_mul_f64 v[16:17], v[10:11], v[95:96]
	s_waitcnt vmcnt(33)
	v_fma_f64 v[28:29], v[6:7], v[26:27], -v[28:29]
	v_fma_f64 v[26:27], v[8:9], v[26:27], v[79:80]
	ds_read_b128 v[6:9], v1 offset:1568
	v_add_f64 v[18:19], v[18:19], v[81:82]
	v_add_f64 v[14:15], v[14:15], v[20:21]
	s_waitcnt vmcnt(29) lgkmcnt(1)
	v_mul_f64 v[20:21], v[2:3], v[22:23]
	v_mul_f64 v[22:23], v[4:5], v[22:23]
	s_waitcnt vmcnt(28)
	v_fma_f64 v[71:72], v[10:11], v[112:113], -v[71:72]
	v_fma_f64 v[16:17], v[12:13], v[112:113], v[16:17]
	ds_read_b128 v[10:13], v1 offset:1584
	v_add_f64 v[18:19], v[18:19], v[28:29]
	v_add_f64 v[14:15], v[14:15], v[26:27]
	;; [unrolled: 9-line block ×3, first 2 shown]
	s_waitcnt vmcnt(21) lgkmcnt(1)
	v_mul_f64 v[24:25], v[12:13], v[30:31]
	s_waitcnt vmcnt(20)
	v_fma_f64 v[28:29], v[6:7], v[107:108], -v[28:29]
	v_mul_f64 v[16:17], v[10:11], v[30:31]
	v_add_f64 v[18:19], v[18:19], v[22:23]
	v_fma_f64 v[22:23], v[8:9], v[107:108], v[26:27]
	v_add_f64 v[14:15], v[14:15], v[20:21]
	ds_read_b128 v[6:9], v1 offset:1616
	s_waitcnt vmcnt(19) lgkmcnt(1)
	v_mul_f64 v[26:27], v[4:5], v[65:66]
	v_mul_f64 v[20:21], v[2:3], v[65:66]
	s_waitcnt vmcnt(17)
	v_fma_f64 v[24:25], v[10:11], v[34:35], -v[24:25]
	v_fma_f64 v[16:17], v[12:13], v[34:35], v[16:17]
	ds_read_b128 v[10:13], v1 offset:1632
	v_add_f64 v[18:19], v[18:19], v[28:29]
	v_add_f64 v[14:15], v[14:15], v[22:23]
	s_waitcnt vmcnt(13) lgkmcnt(1)
	v_mul_f64 v[28:29], v[8:9], v[32:33]
	s_waitcnt vmcnt(12)
	v_fma_f64 v[26:27], v[2:3], v[69:70], -v[26:27]
	v_mul_f64 v[22:23], v[6:7], v[32:33]
	v_fma_f64 v[20:21], v[4:5], v[69:70], v[20:21]
	ds_read_b128 v[1:4], v1 offset:1648
	v_add_f64 v[18:19], v[18:19], v[24:25]
	v_add_f64 v[14:15], v[14:15], v[16:17]
	s_waitcnt vmcnt(11) lgkmcnt(1)
	v_mul_f64 v[24:25], v[12:13], v[73:74]
	v_mul_f64 v[16:17], v[10:11], v[73:74]
	s_waitcnt vmcnt(9)
	v_fma_f64 v[5:6], v[6:7], v[36:37], -v[28:29]
	v_fma_f64 v[7:8], v[8:9], v[36:37], v[22:23]
	v_add_f64 v[18:19], v[18:19], v[26:27]
	v_add_f64 v[14:15], v[14:15], v[20:21]
	s_waitcnt vmcnt(7) lgkmcnt(0)
	v_mul_f64 v[22:23], v[3:4], v[63:64]
	s_waitcnt vmcnt(6)
	v_fma_f64 v[9:10], v[10:11], v[77:78], -v[24:25]
	v_mul_f64 v[20:21], v[1:2], v[63:64]
	v_fma_f64 v[11:12], v[12:13], v[77:78], v[16:17]
	v_add_f64 v[5:6], v[18:19], v[5:6]
	v_add_f64 v[7:8], v[14:15], v[7:8]
	s_waitcnt vmcnt(4)
	v_fma_f64 v[1:2], v[1:2], v[67:68], -v[22:23]
	v_fma_f64 v[3:4], v[3:4], v[67:68], v[20:21]
	v_add_f64 v[5:6], v[5:6], v[9:10]
	v_add_f64 v[7:8], v[7:8], v[11:12]
	;; [unrolled: 1-line block ×4, first 2 shown]
	s_waitcnt vmcnt(2)
	v_add_f64 v[1:2], v[75:76], -v[1:2]
	s_waitcnt vmcnt(0)
	v_add_f64 v[3:4], v[85:86], -v[3:4]
	buffer_store_dword v2, off, s[0:3], 0 offset:388
	buffer_store_dword v1, off, s[0:3], 0 offset:384
	;; [unrolled: 1-line block ×4, first 2 shown]
	v_cmpx_lt_u32_e32 22, v0
	s_cbranch_execz .LBB51_281
; %bb.280:
	v_mov_b32_e32 v4, s42
	v_mov_b32_e32 v5, 0
	s_clause 0x3
	buffer_load_dword v1, v4, s[0:3], 0 offen
	buffer_load_dword v2, v4, s[0:3], 0 offen offset:4
	buffer_load_dword v3, v4, s[0:3], 0 offen offset:8
	;; [unrolled: 1-line block ×3, first 2 shown]
	buffer_store_dword v5, off, s[0:3], 0 offset:368
	buffer_store_dword v5, off, s[0:3], 0 offset:372
	;; [unrolled: 1-line block ×4, first 2 shown]
	s_waitcnt vmcnt(0)
	ds_write_b128 v39, v[1:4]
.LBB51_281:
	s_or_b32 exec_lo, exec_lo, s4
	s_waitcnt lgkmcnt(0)
	s_waitcnt_vscnt null, 0x0
	s_barrier
	buffer_gl0_inv
	s_clause 0x37
	buffer_load_dword v9, off, s[0:3], 0 offset:392
	buffer_load_dword v10, off, s[0:3], 0 offset:396
	;; [unrolled: 1-line block ×56, first 2 shown]
	v_mov_b32_e32 v11, 0
	s_mov_b32 s4, exec_lo
	ds_read_b128 v[5:8], v11 offset:1200
	s_clause 0x2
	buffer_load_dword v92, off, s[0:3], 0 offset:620
	buffer_load_dword v96, off, s[0:3], 0 offset:596
	;; [unrolled: 1-line block ×3, first 2 shown]
	ds_read_b128 v[12:15], v11 offset:1216
	s_clause 0x4
	buffer_load_dword v100, off, s[0:3], 0 offset:636
	buffer_load_dword v101, off, s[0:3], 0 offset:648
	;; [unrolled: 1-line block ×5, first 2 shown]
	ds_read_b128 v[16:19], v11 offset:1232
	s_waitcnt vmcnt(62) lgkmcnt(2)
	v_mul_f64 v[97:98], v[7:8], v[9:10]
	v_mul_f64 v[9:10], v[5:6], v[9:10]
	s_waitcnt vmcnt(60) lgkmcnt(1)
	v_mul_f64 v[104:105], v[14:15], v[20:21]
	v_mul_f64 v[20:21], v[12:13], v[20:21]
	;; [unrolled: 3-line block ×3, first 2 shown]
	v_fma_f64 v[97:98], v[5:6], v[22:23], -v[97:98]
	v_fma_f64 v[9:10], v[7:8], v[22:23], v[9:10]
	s_clause 0x2
	buffer_load_dword v102, off, s[0:3], 0 offset:652
	buffer_load_dword v23, off, s[0:3], 0 offset:628
	buffer_load_dword v22, off, s[0:3], 0 offset:624
	s_waitcnt vmcnt(57)
	v_fma_f64 v[12:13], v[12:13], v[1:2], -v[104:105]
	ds_read_b128 v[5:8], v11 offset:1248
	v_fma_f64 v[14:15], v[14:15], v[1:2], v[20:21]
	s_clause 0x4
	buffer_load_dword v21, off, s[0:3], 0 offset:668
	buffer_load_dword v105, off, s[0:3], 0 offset:680
	buffer_load_dword v110, off, s[0:3], 0 offset:672
	buffer_load_dword v20, off, s[0:3], 0 offset:664
	buffer_load_dword v104, off, s[0:3], 0 offset:644
	s_waitcnt vmcnt(56)
	v_fma_f64 v[16:17], v[16:17], v[30:31], -v[108:109]
	ds_read_b128 v[1:4], v11 offset:1264
	v_fma_f64 v[18:19], v[18:19], v[30:31], v[106:107]
	s_clause 0x2
	buffer_load_dword v106, off, s[0:3], 0 offset:684
	buffer_load_dword v31, off, s[0:3], 0 offset:660
	;; [unrolled: 1-line block ×3, first 2 shown]
	v_add_f64 v[97:98], v[97:98], 0
	v_add_f64 v[9:10], v[9:10], 0
	s_waitcnt lgkmcnt(1)
	v_mul_f64 v[111:112], v[5:6], v[24:25]
	v_mul_f64 v[24:25], v[7:8], v[24:25]
	s_waitcnt vmcnt(58) lgkmcnt(0)
	v_mul_f64 v[107:108], v[1:2], v[26:27]
	v_mul_f64 v[26:27], v[3:4], v[26:27]
	v_add_f64 v[97:98], v[97:98], v[12:13]
	v_add_f64 v[9:10], v[9:10], v[14:15]
	ds_read_b128 v[12:15], v11 offset:1280
	s_waitcnt vmcnt(56)
	v_fma_f64 v[24:25], v[5:6], v[32:33], -v[24:25]
	v_fma_f64 v[32:33], v[7:8], v[32:33], v[111:112]
	s_waitcnt vmcnt(51)
	v_fma_f64 v[26:27], v[1:2], v[28:29], -v[26:27]
	s_waitcnt lgkmcnt(0)
	v_mul_f64 v[113:114], v[12:13], v[34:35]
	v_add_f64 v[16:17], v[97:98], v[16:17]
	v_add_f64 v[9:10], v[9:10], v[18:19]
	s_clause 0x4
	buffer_load_dword v19, off, s[0:3], 0 offset:700
	buffer_load_dword v97, off, s[0:3], 0 offset:712
	buffer_load_dword v112, off, s[0:3], 0 offset:704
	buffer_load_dword v18, off, s[0:3], 0 offset:696
	buffer_load_dword v111, off, s[0:3], 0 offset:676
	v_mul_f64 v[34:35], v[14:15], v[34:35]
	ds_read_b128 v[5:8], v11 offset:1296
	v_add_f64 v[16:17], v[16:17], v[24:25]
	v_fma_f64 v[24:25], v[3:4], v[28:29], v[107:108]
	v_add_f64 v[9:10], v[9:10], v[32:33]
	s_clause 0x2
	buffer_load_dword v98, off, s[0:3], 0 offset:716
	buffer_load_dword v29, off, s[0:3], 0 offset:692
	;; [unrolled: 1-line block ×3, first 2 shown]
	s_waitcnt vmcnt(58) lgkmcnt(0)
	v_mul_f64 v[32:33], v[5:6], v[36:37]
	v_mul_f64 v[36:37], v[7:8], v[36:37]
	s_waitcnt vmcnt(56)
	v_fma_f64 v[34:35], v[12:13], v[63:64], -v[34:35]
	ds_read_b128 v[1:4], v11 offset:1312
	v_add_f64 v[16:17], v[16:17], v[26:27]
	v_fma_f64 v[26:27], v[14:15], v[63:64], v[113:114]
	v_add_f64 v[9:10], v[9:10], v[24:25]
	s_clause 0x4
	buffer_load_dword v25, off, s[0:3], 0 offset:732
	buffer_load_dword v63, off, s[0:3], 0 offset:744
	buffer_load_dword v107, off, s[0:3], 0 offset:736
	buffer_load_dword v24, off, s[0:3], 0 offset:728
	buffer_load_dword v113, off, s[0:3], 0 offset:708
	ds_read_b128 v[12:15], v11 offset:1328
	s_waitcnt vmcnt(57) lgkmcnt(1)
	v_mul_f64 v[108:109], v[1:2], v[65:66]
	v_mul_f64 v[65:66], v[3:4], v[65:66]
	s_waitcnt vmcnt(56)
	v_fma_f64 v[36:37], v[5:6], v[58:59], -v[36:37]
	v_fma_f64 v[32:33], v[7:8], v[58:59], v[32:33]
	v_add_f64 v[16:17], v[16:17], v[34:35]
	v_add_f64 v[9:10], v[9:10], v[26:27]
	s_clause 0x2
	buffer_load_dword v64, off, s[0:3], 0 offset:748
	buffer_load_dword v27, off, s[0:3], 0 offset:724
	;; [unrolled: 1-line block ×3, first 2 shown]
	s_waitcnt vmcnt(58) lgkmcnt(0)
	v_mul_f64 v[58:59], v[14:15], v[67:68]
	ds_read_b128 v[5:8], v11 offset:1344
	s_waitcnt vmcnt(56)
	v_fma_f64 v[65:66], v[1:2], v[71:72], -v[65:66]
	v_mul_f64 v[34:35], v[12:13], v[67:68]
	v_add_f64 v[16:17], v[16:17], v[36:37]
	v_fma_f64 v[36:37], v[3:4], v[71:72], v[108:109]
	v_add_f64 v[9:10], v[9:10], v[32:33]
	s_clause 0x4
	buffer_load_dword v33, off, s[0:3], 0 offset:764
	buffer_load_dword v67, off, s[0:3], 0 offset:776
	buffer_load_dword v71, off, s[0:3], 0 offset:768
	buffer_load_dword v32, off, s[0:3], 0 offset:760
	buffer_load_dword v108, off, s[0:3], 0 offset:740
	s_waitcnt vmcnt(57) lgkmcnt(0)
	v_mul_f64 v[114:115], v[5:6], v[73:74]
	v_mul_f64 v[72:73], v[7:8], v[73:74]
	s_waitcnt vmcnt(56)
	v_fma_f64 v[58:59], v[12:13], v[69:70], -v[58:59]
	ds_read_b128 v[1:4], v11 offset:1360
	v_fma_f64 v[34:35], v[14:15], v[69:70], v[34:35]
	v_add_f64 v[16:17], v[16:17], v[65:66]
	v_add_f64 v[9:10], v[9:10], v[36:37]
	s_clause 0x2
	buffer_load_dword v68, off, s[0:3], 0 offset:780
	buffer_load_dword v37, off, s[0:3], 0 offset:756
	buffer_load_dword v36, off, s[0:3], 0 offset:752
	ds_read_b128 v[12:15], v11 offset:1376
	s_waitcnt vmcnt(58) lgkmcnt(1)
	v_mul_f64 v[69:70], v[3:4], v[75:76]
	s_waitcnt vmcnt(56)
	v_fma_f64 v[73:74], v[5:6], v[79:80], -v[72:73]
	v_mul_f64 v[65:66], v[1:2], v[75:76]
	v_add_f64 v[16:17], v[16:17], v[58:59]
	v_fma_f64 v[58:59], v[7:8], v[79:80], v[114:115]
	v_add_f64 v[9:10], v[9:10], v[34:35]
	s_clause 0x4
	buffer_load_dword v35, off, s[0:3], 0 offset:796
	buffer_load_dword v75, off, s[0:3], 0 offset:808
	buffer_load_dword v79, off, s[0:3], 0 offset:800
	buffer_load_dword v34, off, s[0:3], 0 offset:792
	buffer_load_dword v72, off, s[0:3], 0 offset:772
	s_waitcnt vmcnt(57) lgkmcnt(0)
	v_mul_f64 v[114:115], v[12:13], v[81:82]
	v_mul_f64 v[80:81], v[14:15], v[81:82]
	s_waitcnt vmcnt(56)
	v_fma_f64 v[69:70], v[1:2], v[77:78], -v[69:70]
	ds_read_b128 v[5:8], v11 offset:1392
	v_fma_f64 v[65:66], v[3:4], v[77:78], v[65:66]
	v_add_f64 v[16:17], v[16:17], v[73:74]
	v_add_f64 v[9:10], v[9:10], v[58:59]
	s_clause 0x2
	buffer_load_dword v76, off, s[0:3], 0 offset:812
	buffer_load_dword v59, off, s[0:3], 0 offset:788
	buffer_load_dword v58, off, s[0:3], 0 offset:784
	ds_read_b128 v[1:4], v11 offset:1408
	s_waitcnt vmcnt(58) lgkmcnt(1)
	v_mul_f64 v[77:78], v[7:8], v[83:84]
	;; [unrolled: 28-line block ×3, first 2 shown]
	s_waitcnt vmcnt(56)
	v_fma_f64 v[89:90], v[1:2], v[95:96], -v[88:89]
	v_mul_f64 v[81:82], v[12:13], v[91:92]
	buffer_load_dword v88, off, s[0:3], 0 offset:836
	v_add_f64 v[16:17], v[16:17], v[77:78]
	v_fma_f64 v[77:78], v[3:4], v[95:96], v[114:115]
	v_add_f64 v[9:10], v[9:10], v[73:74]
	ds_read_b128 v[1:4], v11 offset:1456
	s_waitcnt vmcnt(53) lgkmcnt(1)
	v_mul_f64 v[91:92], v[7:8], v[99:100]
	s_waitcnt vmcnt(52)
	v_fma_f64 v[85:86], v[12:13], v[93:94], -v[85:86]
	v_mul_f64 v[73:74], v[5:6], v[99:100]
	v_fma_f64 v[81:82], v[14:15], v[93:94], v[81:82]
	ds_read_b128 v[12:15], v11 offset:1472
	v_add_f64 v[16:17], v[16:17], v[89:90]
	v_add_f64 v[9:10], v[9:10], v[77:78]
	s_waitcnt vmcnt(51) lgkmcnt(1)
	v_mul_f64 v[89:90], v[3:4], v[101:102]
	v_mul_f64 v[77:78], v[1:2], v[101:102]
	s_waitcnt vmcnt(49)
	v_fma_f64 v[91:92], v[5:6], v[22:23], -v[91:92]
	v_fma_f64 v[22:23], v[7:8], v[22:23], v[73:74]
	v_add_f64 v[16:17], v[16:17], v[85:86]
	s_waitcnt vmcnt(45) lgkmcnt(0)
	v_mul_f64 v[85:86], v[12:13], v[20:21]
	v_add_f64 v[9:10], v[9:10], v[81:82]
	s_clause 0x3
	buffer_load_dword v73, off, s[0:3], 0 offset:368
	buffer_load_dword v74, off, s[0:3], 0 offset:372
	buffer_load_dword v81, off, s[0:3], 0 offset:376
	buffer_load_dword v82, off, s[0:3], 0 offset:380
	v_mul_f64 v[20:21], v[14:15], v[20:21]
	ds_read_b128 v[5:8], v11 offset:1488
	s_waitcnt vmcnt(48)
	v_fma_f64 v[89:90], v[1:2], v[103:104], -v[89:90]
	v_fma_f64 v[77:78], v[3:4], v[103:104], v[77:78]
	ds_read_b128 v[1:4], v11 offset:1504
	v_add_f64 v[16:17], v[16:17], v[91:92]
	v_add_f64 v[9:10], v[9:10], v[22:23]
	s_waitcnt vmcnt(47) lgkmcnt(1)
	v_mul_f64 v[91:92], v[7:8], v[105:106]
	s_waitcnt vmcnt(45)
	v_fma_f64 v[20:21], v[12:13], v[30:31], -v[20:21]
	v_mul_f64 v[22:23], v[5:6], v[105:106]
	v_fma_f64 v[30:31], v[14:15], v[30:31], v[85:86]
	ds_read_b128 v[12:15], v11 offset:1520
	v_add_f64 v[16:17], v[16:17], v[89:90]
	v_add_f64 v[9:10], v[9:10], v[77:78]
	s_waitcnt vmcnt(41) lgkmcnt(1)
	v_mul_f64 v[77:78], v[1:2], v[18:19]
	v_mul_f64 v[18:19], v[3:4], v[18:19]
	s_waitcnt vmcnt(40)
	v_fma_f64 v[85:86], v[5:6], v[110:111], -v[91:92]
	v_add_f64 v[16:17], v[16:17], v[20:21]
	v_fma_f64 v[20:21], v[7:8], v[110:111], v[22:23]
	v_add_f64 v[9:10], v[9:10], v[30:31]
	ds_read_b128 v[5:8], v11 offset:1536
	s_waitcnt vmcnt(39) lgkmcnt(1)
	v_mul_f64 v[30:31], v[14:15], v[97:98]
	v_mul_f64 v[22:23], v[12:13], v[97:98]
	s_waitcnt vmcnt(37)
	v_fma_f64 v[18:19], v[1:2], v[28:29], -v[18:19]
	v_fma_f64 v[28:29], v[3:4], v[28:29], v[77:78]
	ds_read_b128 v[1:4], v11 offset:1552
	v_add_f64 v[16:17], v[16:17], v[85:86]
	v_add_f64 v[9:10], v[9:10], v[20:21]
	s_waitcnt vmcnt(33) lgkmcnt(1)
	v_mul_f64 v[20:21], v[5:6], v[24:25]
	v_mul_f64 v[24:25], v[7:8], v[24:25]
	s_waitcnt vmcnt(32)
	v_fma_f64 v[30:31], v[12:13], v[112:113], -v[30:31]
	v_add_f64 v[16:17], v[16:17], v[18:19]
	v_fma_f64 v[18:19], v[14:15], v[112:113], v[22:23]
	v_add_f64 v[9:10], v[9:10], v[28:29]
	ds_read_b128 v[12:15], v11 offset:1568
	s_waitcnt vmcnt(31) lgkmcnt(1)
	v_mul_f64 v[28:29], v[3:4], v[63:64]
	v_mul_f64 v[22:23], v[1:2], v[63:64]
	s_waitcnt vmcnt(29)
	v_fma_f64 v[24:25], v[5:6], v[26:27], -v[24:25]
	v_fma_f64 v[20:21], v[7:8], v[26:27], v[20:21]
	ds_read_b128 v[5:8], v11 offset:1584
	v_add_f64 v[16:17], v[16:17], v[30:31]
	v_add_f64 v[9:10], v[9:10], v[18:19]
	s_waitcnt vmcnt(25) lgkmcnt(1)
	v_mul_f64 v[26:27], v[14:15], v[32:33]
	s_waitcnt vmcnt(24)
	v_fma_f64 v[28:29], v[1:2], v[107:108], -v[28:29]
	v_mul_f64 v[18:19], v[12:13], v[32:33]
	v_fma_f64 v[22:23], v[3:4], v[107:108], v[22:23]
	ds_read_b128 v[1:4], v11 offset:1600
	v_add_f64 v[16:17], v[16:17], v[24:25]
	v_add_f64 v[9:10], v[9:10], v[20:21]
	s_waitcnt vmcnt(23) lgkmcnt(1)
	v_mul_f64 v[24:25], v[7:8], v[67:68]
	v_mul_f64 v[20:21], v[5:6], v[67:68]
	s_waitcnt vmcnt(21)
	v_fma_f64 v[26:27], v[12:13], v[36:37], -v[26:27]
	v_fma_f64 v[18:19], v[14:15], v[36:37], v[18:19]
	ds_read_b128 v[12:15], v11 offset:1616
	v_add_f64 v[16:17], v[16:17], v[28:29]
	v_add_f64 v[9:10], v[9:10], v[22:23]
	s_waitcnt vmcnt(17) lgkmcnt(1)
	v_mul_f64 v[28:29], v[3:4], v[34:35]
	s_waitcnt vmcnt(16)
	v_fma_f64 v[24:25], v[5:6], v[71:72], -v[24:25]
	v_mul_f64 v[22:23], v[1:2], v[34:35]
	v_fma_f64 v[20:21], v[7:8], v[71:72], v[20:21]
	ds_read_b128 v[5:8], v11 offset:1632
	v_add_f64 v[16:17], v[16:17], v[26:27]
	v_add_f64 v[9:10], v[9:10], v[18:19]
	s_waitcnt vmcnt(15) lgkmcnt(1)
	v_mul_f64 v[26:27], v[14:15], v[75:76]
	v_mul_f64 v[18:19], v[12:13], v[75:76]
	s_waitcnt vmcnt(13)
	v_fma_f64 v[28:29], v[1:2], v[58:59], -v[28:29]
	v_fma_f64 v[22:23], v[3:4], v[58:59], v[22:23]
	ds_read_b128 v[1:4], v11 offset:1648
	v_add_f64 v[16:17], v[16:17], v[24:25]
	v_add_f64 v[9:10], v[9:10], v[20:21]
	s_waitcnt vmcnt(9) lgkmcnt(1)
	v_mul_f64 v[24:25], v[7:8], v[65:66]
	s_waitcnt vmcnt(8)
	v_fma_f64 v[12:13], v[12:13], v[79:80], -v[26:27]
	v_mul_f64 v[20:21], v[5:6], v[65:66]
	v_fma_f64 v[14:15], v[14:15], v[79:80], v[18:19]
	v_add_f64 v[16:17], v[16:17], v[28:29]
	v_add_f64 v[9:10], v[9:10], v[22:23]
	s_waitcnt vmcnt(7) lgkmcnt(0)
	v_mul_f64 v[22:23], v[3:4], v[83:84]
	v_mul_f64 v[18:19], v[1:2], v[83:84]
	s_waitcnt vmcnt(5)
	v_fma_f64 v[5:6], v[5:6], v[69:70], -v[24:25]
	v_fma_f64 v[7:8], v[7:8], v[69:70], v[20:21]
	v_add_f64 v[12:13], v[16:17], v[12:13]
	v_add_f64 v[9:10], v[9:10], v[14:15]
	s_waitcnt vmcnt(4)
	v_fma_f64 v[1:2], v[1:2], v[87:88], -v[22:23]
	v_fma_f64 v[3:4], v[3:4], v[87:88], v[18:19]
	v_add_f64 v[5:6], v[12:13], v[5:6]
	v_add_f64 v[7:8], v[9:10], v[7:8]
	v_add_f64 v[1:2], v[5:6], v[1:2]
	v_add_f64 v[3:4], v[7:8], v[3:4]
	s_waitcnt vmcnt(2)
	v_add_f64 v[1:2], v[73:74], -v[1:2]
	s_waitcnt vmcnt(0)
	v_add_f64 v[3:4], v[81:82], -v[3:4]
	buffer_store_dword v2, off, s[0:3], 0 offset:372
	buffer_store_dword v1, off, s[0:3], 0 offset:368
	;; [unrolled: 1-line block ×4, first 2 shown]
	v_cmpx_lt_u32_e32 21, v0
	s_cbranch_execz .LBB51_283
; %bb.282:
	v_mov_b32_e32 v4, s43
	s_clause 0x3
	buffer_load_dword v1, v4, s[0:3], 0 offen
	buffer_load_dword v2, v4, s[0:3], 0 offen offset:4
	buffer_load_dword v3, v4, s[0:3], 0 offen offset:8
	;; [unrolled: 1-line block ×3, first 2 shown]
	buffer_store_dword v11, off, s[0:3], 0 offset:352
	buffer_store_dword v11, off, s[0:3], 0 offset:356
	;; [unrolled: 1-line block ×4, first 2 shown]
	s_waitcnt vmcnt(0)
	ds_write_b128 v39, v[1:4]
.LBB51_283:
	s_or_b32 exec_lo, exec_lo, s4
	s_waitcnt lgkmcnt(0)
	s_waitcnt_vscnt null, 0x0
	s_barrier
	buffer_gl0_inv
	s_clause 0x37
	buffer_load_dword v9, off, s[0:3], 0 offset:376
	buffer_load_dword v10, off, s[0:3], 0 offset:380
	;; [unrolled: 1-line block ×56, first 2 shown]
	ds_read_b128 v[12:15], v11 offset:1184
	s_clause 0x2
	buffer_load_dword v92, off, s[0:3], 0 offset:604
	buffer_load_dword v96, off, s[0:3], 0 offset:580
	;; [unrolled: 1-line block ×3, first 2 shown]
	ds_read_b128 v[16:19], v11 offset:1200
	s_clause 0x4
	buffer_load_dword v100, off, s[0:3], 0 offset:620
	buffer_load_dword v101, off, s[0:3], 0 offset:632
	;; [unrolled: 1-line block ×5, first 2 shown]
	ds_read_b128 v[20:23], v11 offset:1216
	s_clause 0x2
	buffer_load_dword v102, off, s[0:3], 0 offset:636
	buffer_load_dword v107, off, s[0:3], 0 offset:612
	buffer_load_dword v106, off, s[0:3], 0 offset:608
	s_mov_b32 s4, exec_lo
	s_waitcnt vmcnt(62) lgkmcnt(2)
	v_mul_f64 v[97:98], v[14:15], v[9:10]
	v_mul_f64 v[9:10], v[12:13], v[9:10]
	s_waitcnt lgkmcnt(1)
	v_mul_f64 v[104:105], v[18:19], v[5:6]
	s_waitcnt vmcnt(59) lgkmcnt(0)
	v_mul_f64 v[108:109], v[22:23], v[3:4]
	v_fma_f64 v[12:13], v[12:13], v[7:8], -v[97:98]
	v_mul_f64 v[97:98], v[16:17], v[5:6]
	v_fma_f64 v[9:10], v[14:15], v[7:8], v[9:10]
	s_waitcnt vmcnt(57)
	v_fma_f64 v[16:17], v[16:17], v[1:2], -v[104:105]
	ds_read_b128 v[5:8], v11 offset:1232
	v_mul_f64 v[14:15], v[20:21], v[3:4]
	s_waitcnt vmcnt(51)
	v_fma_f64 v[20:21], v[20:21], v[30:31], -v[108:109]
	v_add_f64 v[12:13], v[12:13], 0
	v_fma_f64 v[18:19], v[18:19], v[1:2], v[97:98]
	v_add_f64 v[9:10], v[9:10], 0
	s_clause 0x4
	buffer_load_dword v98, off, s[0:3], 0 offset:652
	buffer_load_dword v110, off, s[0:3], 0 offset:664
	;; [unrolled: 1-line block ×5, first 2 shown]
	s_waitcnt lgkmcnt(0)
	v_mul_f64 v[113:114], v[5:6], v[24:25]
	v_mul_f64 v[24:25], v[7:8], v[24:25]
	ds_read_b128 v[1:4], v11 offset:1248
	v_fma_f64 v[22:23], v[22:23], v[30:31], v[14:15]
	v_add_f64 v[16:17], v[12:13], v[16:17]
	v_add_f64 v[9:10], v[9:10], v[18:19]
	s_clause 0x2
	buffer_load_dword v111, off, s[0:3], 0 offset:668
	buffer_load_dword v19, off, s[0:3], 0 offset:644
	;; [unrolled: 1-line block ×3, first 2 shown]
	s_waitcnt vmcnt(58) lgkmcnt(0)
	v_mul_f64 v[30:31], v[1:2], v[26:27]
	v_mul_f64 v[26:27], v[3:4], v[26:27]
	s_waitcnt vmcnt(56)
	v_fma_f64 v[24:25], v[5:6], v[32:33], -v[24:25]
	ds_read_b128 v[12:15], v11 offset:1264
	v_add_f64 v[16:17], v[16:17], v[20:21]
	v_fma_f64 v[20:21], v[7:8], v[32:33], v[113:114]
	v_add_f64 v[9:10], v[9:10], v[22:23]
	s_clause 0x4
	buffer_load_dword v23, off, s[0:3], 0 offset:684
	buffer_load_dword v32, off, s[0:3], 0 offset:696
	;; [unrolled: 1-line block ×5, first 2 shown]
	ds_read_b128 v[5:8], v11 offset:1280
	s_waitcnt vmcnt(57) lgkmcnt(1)
	v_mul_f64 v[114:115], v[12:13], v[34:35]
	v_mul_f64 v[34:35], v[14:15], v[34:35]
	s_waitcnt vmcnt(56)
	v_fma_f64 v[26:27], v[1:2], v[28:29], -v[26:27]
	v_add_f64 v[16:17], v[16:17], v[24:25]
	v_fma_f64 v[24:25], v[3:4], v[28:29], v[30:31]
	v_add_f64 v[9:10], v[9:10], v[20:21]
	s_clause 0x2
	buffer_load_dword v33, off, s[0:3], 0 offset:700
	buffer_load_dword v21, off, s[0:3], 0 offset:676
	;; [unrolled: 1-line block ×3, first 2 shown]
	s_waitcnt vmcnt(58) lgkmcnt(0)
	v_mul_f64 v[30:31], v[7:8], v[36:37]
	ds_read_b128 v[1:4], v11 offset:1296
	s_waitcnt vmcnt(56)
	v_fma_f64 v[34:35], v[12:13], v[63:64], -v[34:35]
	v_mul_f64 v[28:29], v[5:6], v[36:37]
	v_add_f64 v[16:17], v[16:17], v[26:27]
	v_fma_f64 v[26:27], v[14:15], v[63:64], v[114:115]
	v_add_f64 v[9:10], v[9:10], v[24:25]
	s_clause 0x4
	buffer_load_dword v25, off, s[0:3], 0 offset:716
	buffer_load_dword v36, off, s[0:3], 0 offset:728
	buffer_load_dword v63, off, s[0:3], 0 offset:720
	buffer_load_dword v24, off, s[0:3], 0 offset:712
	buffer_load_dword v109, off, s[0:3], 0 offset:692
	s_waitcnt vmcnt(57) lgkmcnt(0)
	v_mul_f64 v[114:115], v[1:2], v[65:66]
	v_mul_f64 v[64:65], v[3:4], v[65:66]
	s_waitcnt vmcnt(56)
	v_fma_f64 v[30:31], v[5:6], v[58:59], -v[30:31]
	ds_read_b128 v[12:15], v11 offset:1312
	v_fma_f64 v[28:29], v[7:8], v[58:59], v[28:29]
	v_add_f64 v[16:17], v[16:17], v[34:35]
	v_add_f64 v[9:10], v[9:10], v[26:27]
	s_clause 0x2
	buffer_load_dword v37, off, s[0:3], 0 offset:732
	buffer_load_dword v27, off, s[0:3], 0 offset:708
	buffer_load_dword v26, off, s[0:3], 0 offset:704
	ds_read_b128 v[5:8], v11 offset:1328
	s_waitcnt vmcnt(58) lgkmcnt(1)
	v_mul_f64 v[58:59], v[14:15], v[67:68]
	s_waitcnt vmcnt(56)
	v_fma_f64 v[65:66], v[1:2], v[71:72], -v[64:65]
	v_mul_f64 v[34:35], v[12:13], v[67:68]
	v_add_f64 v[16:17], v[16:17], v[30:31]
	v_fma_f64 v[30:31], v[3:4], v[71:72], v[114:115]
	v_add_f64 v[9:10], v[9:10], v[28:29]
	s_clause 0x4
	buffer_load_dword v29, off, s[0:3], 0 offset:748
	buffer_load_dword v67, off, s[0:3], 0 offset:760
	buffer_load_dword v71, off, s[0:3], 0 offset:752
	buffer_load_dword v28, off, s[0:3], 0 offset:744
	buffer_load_dword v64, off, s[0:3], 0 offset:724
	s_waitcnt vmcnt(57) lgkmcnt(0)
	v_mul_f64 v[114:115], v[5:6], v[73:74]
	v_mul_f64 v[72:73], v[7:8], v[73:74]
	s_waitcnt vmcnt(56)
	v_fma_f64 v[58:59], v[12:13], v[69:70], -v[58:59]
	ds_read_b128 v[1:4], v11 offset:1344
	v_fma_f64 v[34:35], v[14:15], v[69:70], v[34:35]
	v_add_f64 v[16:17], v[16:17], v[65:66]
	v_add_f64 v[9:10], v[9:10], v[30:31]
	s_clause 0x2
	buffer_load_dword v68, off, s[0:3], 0 offset:764
	buffer_load_dword v31, off, s[0:3], 0 offset:740
	buffer_load_dword v30, off, s[0:3], 0 offset:736
	ds_read_b128 v[12:15], v11 offset:1360
	s_waitcnt vmcnt(58) lgkmcnt(1)
	v_mul_f64 v[69:70], v[3:4], v[75:76]
	;; [unrolled: 28-line block ×4, first 2 shown]
	s_waitcnt vmcnt(56)
	v_fma_f64 v[89:90], v[1:2], v[95:96], -v[88:89]
	v_mul_f64 v[81:82], v[12:13], v[91:92]
	v_add_f64 v[16:17], v[16:17], v[77:78]
	v_fma_f64 v[77:78], v[3:4], v[95:96], v[114:115]
	v_add_f64 v[9:10], v[9:10], v[73:74]
	s_clause 0x2
	buffer_load_dword v74, off, s[0:3], 0 offset:844
	buffer_load_dword v73, off, s[0:3], 0 offset:840
	;; [unrolled: 1-line block ×3, first 2 shown]
	s_waitcnt vmcnt(55) lgkmcnt(0)
	v_mul_f64 v[95:96], v[7:8], v[99:100]
	s_waitcnt vmcnt(54)
	v_fma_f64 v[85:86], v[12:13], v[93:94], -v[85:86]
	ds_read_b128 v[1:4], v11 offset:1440
	v_mul_f64 v[91:92], v[5:6], v[99:100]
	v_fma_f64 v[81:82], v[14:15], v[93:94], v[81:82]
	v_add_f64 v[16:17], v[16:17], v[89:90]
	v_add_f64 v[9:10], v[9:10], v[77:78]
	s_clause 0x1
	buffer_load_dword v78, off, s[0:3], 0 offset:836
	buffer_load_dword v77, off, s[0:3], 0 offset:832
	s_waitcnt vmcnt(55) lgkmcnt(0)
	v_mul_f64 v[93:94], v[3:4], v[101:102]
	s_waitcnt vmcnt(53)
	v_fma_f64 v[95:96], v[5:6], v[106:107], -v[95:96]
	ds_read_b128 v[12:15], v11 offset:1456
	v_mul_f64 v[89:90], v[1:2], v[101:102]
	v_add_f64 v[16:17], v[16:17], v[85:86]
	v_fma_f64 v[85:86], v[7:8], v[106:107], v[91:92]
	v_add_f64 v[9:10], v[9:10], v[81:82]
	ds_read_b128 v[5:8], v11 offset:1472
	s_waitcnt vmcnt(49) lgkmcnt(1)
	v_mul_f64 v[91:92], v[14:15], v[97:98]
	s_waitcnt vmcnt(48)
	v_fma_f64 v[93:94], v[1:2], v[103:104], -v[93:94]
	v_mul_f64 v[81:82], v[12:13], v[97:98]
	v_fma_f64 v[89:90], v[3:4], v[103:104], v[89:90]
	v_add_f64 v[16:17], v[16:17], v[95:96]
	v_add_f64 v[9:10], v[9:10], v[85:86]
	s_clause 0x3
	buffer_load_dword v85, off, s[0:3], 0 offset:352
	buffer_load_dword v86, off, s[0:3], 0 offset:356
	;; [unrolled: 1-line block ×4, first 2 shown]
	ds_read_b128 v[1:4], v11 offset:1488
	s_waitcnt vmcnt(51) lgkmcnt(1)
	v_mul_f64 v[99:100], v[7:8], v[110:111]
	v_mul_f64 v[97:98], v[5:6], v[110:111]
	s_waitcnt vmcnt(49)
	v_fma_f64 v[91:92], v[12:13], v[18:19], -v[91:92]
	v_fma_f64 v[18:19], v[14:15], v[18:19], v[81:82]
	ds_read_b128 v[12:15], v11 offset:1504
	v_add_f64 v[16:17], v[16:17], v[93:94]
	v_add_f64 v[9:10], v[9:10], v[89:90]
	s_waitcnt vmcnt(45) lgkmcnt(1)
	v_mul_f64 v[81:82], v[1:2], v[22:23]
	v_mul_f64 v[22:23], v[3:4], v[22:23]
	s_waitcnt vmcnt(44)
	v_fma_f64 v[89:90], v[5:6], v[112:113], -v[99:100]
	v_add_f64 v[16:17], v[16:17], v[91:92]
	v_fma_f64 v[91:92], v[7:8], v[112:113], v[97:98]
	v_add_f64 v[9:10], v[9:10], v[18:19]
	ds_read_b128 v[5:8], v11 offset:1520
	s_waitcnt vmcnt(43) lgkmcnt(1)
	v_mul_f64 v[18:19], v[12:13], v[32:33]
	v_mul_f64 v[32:33], v[14:15], v[32:33]
	s_waitcnt vmcnt(41)
	v_fma_f64 v[22:23], v[1:2], v[20:21], -v[22:23]
	v_fma_f64 v[20:21], v[3:4], v[20:21], v[81:82]
	ds_read_b128 v[1:4], v11 offset:1536
	v_add_f64 v[16:17], v[16:17], v[89:90]
	v_add_f64 v[9:10], v[9:10], v[91:92]
	s_waitcnt vmcnt(37) lgkmcnt(1)
	v_mul_f64 v[81:82], v[5:6], v[24:25]
	v_mul_f64 v[24:25], v[7:8], v[24:25]
	s_waitcnt vmcnt(36)
	v_fma_f64 v[32:33], v[12:13], v[108:109], -v[32:33]
	v_fma_f64 v[18:19], v[14:15], v[108:109], v[18:19]
	ds_read_b128 v[12:15], v11 offset:1552
	v_add_f64 v[16:17], v[16:17], v[22:23]
	v_add_f64 v[9:10], v[9:10], v[20:21]
	s_waitcnt vmcnt(35) lgkmcnt(1)
	v_mul_f64 v[22:23], v[3:4], v[36:37]
	v_mul_f64 v[20:21], v[1:2], v[36:37]
	s_waitcnt vmcnt(33)
	v_fma_f64 v[24:25], v[5:6], v[26:27], -v[24:25]
	v_fma_f64 v[26:27], v[7:8], v[26:27], v[81:82]
	ds_read_b128 v[5:8], v11 offset:1568
	v_add_f64 v[16:17], v[16:17], v[32:33]
	v_add_f64 v[9:10], v[9:10], v[18:19]
	s_waitcnt vmcnt(29) lgkmcnt(1)
	v_mul_f64 v[18:19], v[12:13], v[28:29]
	v_mul_f64 v[28:29], v[14:15], v[28:29]
	s_waitcnt vmcnt(28)
	v_fma_f64 v[22:23], v[1:2], v[63:64], -v[22:23]
	v_fma_f64 v[20:21], v[3:4], v[63:64], v[20:21]
	ds_read_b128 v[1:4], v11 offset:1584
	v_add_f64 v[16:17], v[16:17], v[24:25]
	v_add_f64 v[9:10], v[9:10], v[26:27]
	s_waitcnt vmcnt(27) lgkmcnt(1)
	v_mul_f64 v[26:27], v[7:8], v[67:68]
	v_mul_f64 v[24:25], v[5:6], v[67:68]
	s_waitcnt vmcnt(25)
	v_fma_f64 v[28:29], v[12:13], v[30:31], -v[28:29]
	v_fma_f64 v[18:19], v[14:15], v[30:31], v[18:19]
	ds_read_b128 v[12:15], v11 offset:1600
	v_add_f64 v[16:17], v[16:17], v[22:23]
	v_add_f64 v[9:10], v[9:10], v[20:21]
	s_waitcnt vmcnt(21) lgkmcnt(1)
	v_mul_f64 v[22:23], v[3:4], v[34:35]
	s_waitcnt vmcnt(20)
	v_fma_f64 v[26:27], v[5:6], v[71:72], -v[26:27]
	v_mul_f64 v[20:21], v[1:2], v[34:35]
	v_fma_f64 v[24:25], v[7:8], v[71:72], v[24:25]
	ds_read_b128 v[5:8], v11 offset:1616
	v_add_f64 v[16:17], v[16:17], v[28:29]
	v_add_f64 v[9:10], v[9:10], v[18:19]
	s_waitcnt vmcnt(19) lgkmcnt(1)
	v_mul_f64 v[28:29], v[14:15], v[75:76]
	v_mul_f64 v[18:19], v[12:13], v[75:76]
	s_waitcnt vmcnt(17)
	v_fma_f64 v[22:23], v[1:2], v[58:59], -v[22:23]
	v_fma_f64 v[20:21], v[3:4], v[58:59], v[20:21]
	ds_read_b128 v[1:4], v11 offset:1632
	v_add_f64 v[16:17], v[16:17], v[26:27]
	v_add_f64 v[9:10], v[9:10], v[24:25]
	s_waitcnt vmcnt(13) lgkmcnt(1)
	v_mul_f64 v[26:27], v[7:8], v[65:66]
	s_waitcnt vmcnt(12)
	v_fma_f64 v[28:29], v[12:13], v[79:80], -v[28:29]
	v_mul_f64 v[24:25], v[5:6], v[65:66]
	v_fma_f64 v[13:14], v[14:15], v[79:80], v[18:19]
	v_add_f64 v[16:17], v[16:17], v[22:23]
	v_add_f64 v[18:19], v[9:10], v[20:21]
	ds_read_b128 v[9:12], v11 offset:1648
	s_waitcnt vmcnt(11) lgkmcnt(1)
	v_mul_f64 v[22:23], v[3:4], v[83:84]
	v_mul_f64 v[20:21], v[1:2], v[83:84]
	s_waitcnt vmcnt(9)
	v_fma_f64 v[5:6], v[5:6], v[69:70], -v[26:27]
	v_fma_f64 v[7:8], v[7:8], v[69:70], v[24:25]
	v_add_f64 v[15:16], v[16:17], v[28:29]
	v_add_f64 v[13:14], v[18:19], v[13:14]
	s_waitcnt vmcnt(7) lgkmcnt(0)
	v_mul_f64 v[24:25], v[11:12], v[73:74]
	s_waitcnt vmcnt(6)
	v_fma_f64 v[1:2], v[1:2], v[87:88], -v[22:23]
	v_mul_f64 v[17:18], v[9:10], v[73:74]
	v_fma_f64 v[3:4], v[3:4], v[87:88], v[20:21]
	v_add_f64 v[5:6], v[15:16], v[5:6]
	v_add_f64 v[7:8], v[13:14], v[7:8]
	s_waitcnt vmcnt(4)
	v_fma_f64 v[9:10], v[9:10], v[77:78], -v[24:25]
	v_add_f64 v[1:2], v[5:6], v[1:2]
	v_fma_f64 v[5:6], v[11:12], v[77:78], v[17:18]
	v_add_f64 v[3:4], v[7:8], v[3:4]
	v_add_f64 v[1:2], v[1:2], v[9:10]
	v_add_f64 v[3:4], v[3:4], v[5:6]
	s_waitcnt vmcnt(2)
	v_add_f64 v[1:2], v[85:86], -v[1:2]
	s_waitcnt vmcnt(0)
	v_add_f64 v[3:4], v[95:96], -v[3:4]
	buffer_store_dword v2, off, s[0:3], 0 offset:356
	buffer_store_dword v1, off, s[0:3], 0 offset:352
	;; [unrolled: 1-line block ×4, first 2 shown]
	v_cmpx_lt_u32_e32 20, v0
	s_cbranch_execz .LBB51_285
; %bb.284:
	v_mov_b32_e32 v4, s44
	v_mov_b32_e32 v5, 0
	s_clause 0x3
	buffer_load_dword v1, v4, s[0:3], 0 offen
	buffer_load_dword v2, v4, s[0:3], 0 offen offset:4
	buffer_load_dword v3, v4, s[0:3], 0 offen offset:8
	;; [unrolled: 1-line block ×3, first 2 shown]
	buffer_store_dword v5, off, s[0:3], 0 offset:336
	buffer_store_dword v5, off, s[0:3], 0 offset:340
	;; [unrolled: 1-line block ×4, first 2 shown]
	s_waitcnt vmcnt(0)
	ds_write_b128 v39, v[1:4]
.LBB51_285:
	s_or_b32 exec_lo, exec_lo, s4
	s_waitcnt lgkmcnt(0)
	s_waitcnt_vscnt null, 0x0
	s_barrier
	buffer_gl0_inv
	s_clause 0x37
	buffer_load_dword v9, off, s[0:3], 0 offset:360
	buffer_load_dword v10, off, s[0:3], 0 offset:364
	;; [unrolled: 1-line block ×56, first 2 shown]
	v_mov_b32_e32 v29, 0
	s_mov_b32 s4, exec_lo
	ds_read_b128 v[17:20], v29 offset:1168
	s_clause 0x2
	buffer_load_dword v92, off, s[0:3], 0 offset:588
	buffer_load_dword v96, off, s[0:3], 0 offset:564
	;; [unrolled: 1-line block ×3, first 2 shown]
	ds_read_b128 v[21:24], v29 offset:1184
	s_clause 0x4
	buffer_load_dword v100, off, s[0:3], 0 offset:604
	buffer_load_dword v101, off, s[0:3], 0 offset:616
	;; [unrolled: 1-line block ×5, first 2 shown]
	ds_read_b128 v[25:28], v29 offset:1200
	s_clause 0x2
	buffer_load_dword v102, off, s[0:3], 0 offset:620
	buffer_load_dword v107, off, s[0:3], 0 offset:596
	;; [unrolled: 1-line block ×3, first 2 shown]
	s_waitcnt vmcnt(62) lgkmcnt(2)
	v_mul_f64 v[97:98], v[19:20], v[9:10]
	v_mul_f64 v[9:10], v[17:18], v[9:10]
	s_waitcnt lgkmcnt(1)
	v_mul_f64 v[104:105], v[23:24], v[5:6]
	s_waitcnt vmcnt(59) lgkmcnt(0)
	v_mul_f64 v[108:109], v[27:28], v[3:4]
	v_fma_f64 v[17:18], v[17:18], v[7:8], -v[97:98]
	v_mul_f64 v[97:98], v[21:22], v[5:6]
	v_fma_f64 v[9:10], v[19:20], v[7:8], v[9:10]
	s_waitcnt vmcnt(57)
	v_fma_f64 v[21:22], v[21:22], v[1:2], -v[104:105]
	ds_read_b128 v[5:8], v29 offset:1216
	v_mul_f64 v[19:20], v[25:26], v[3:4]
	s_waitcnt vmcnt(51)
	v_fma_f64 v[25:26], v[25:26], v[32:33], -v[108:109]
	v_add_f64 v[17:18], v[17:18], 0
	v_fma_f64 v[23:24], v[23:24], v[1:2], v[97:98]
	v_add_f64 v[9:10], v[9:10], 0
	s_clause 0x4
	buffer_load_dword v98, off, s[0:3], 0 offset:636
	buffer_load_dword v110, off, s[0:3], 0 offset:648
	;; [unrolled: 1-line block ×5, first 2 shown]
	s_waitcnt lgkmcnt(0)
	v_mul_f64 v[113:114], v[5:6], v[13:14]
	v_mul_f64 v[13:14], v[7:8], v[13:14]
	ds_read_b128 v[1:4], v29 offset:1232
	v_fma_f64 v[27:28], v[27:28], v[32:33], v[19:20]
	v_add_f64 v[21:22], v[17:18], v[21:22]
	v_add_f64 v[9:10], v[9:10], v[23:24]
	s_clause 0x2
	buffer_load_dword v111, off, s[0:3], 0 offset:652
	buffer_load_dword v24, off, s[0:3], 0 offset:628
	;; [unrolled: 1-line block ×3, first 2 shown]
	s_waitcnt vmcnt(58) lgkmcnt(0)
	v_mul_f64 v[32:33], v[1:2], v[30:31]
	v_mul_f64 v[30:31], v[3:4], v[30:31]
	s_waitcnt vmcnt(56)
	v_fma_f64 v[13:14], v[5:6], v[34:35], -v[13:14]
	ds_read_b128 v[17:20], v29 offset:1248
	v_add_f64 v[21:22], v[21:22], v[25:26]
	v_fma_f64 v[25:26], v[7:8], v[34:35], v[113:114]
	v_add_f64 v[9:10], v[9:10], v[27:28]
	s_clause 0x4
	buffer_load_dword v28, off, s[0:3], 0 offset:668
	buffer_load_dword v34, off, s[0:3], 0 offset:680
	;; [unrolled: 1-line block ×5, first 2 shown]
	ds_read_b128 v[5:8], v29 offset:1264
	s_waitcnt vmcnt(57) lgkmcnt(1)
	v_mul_f64 v[114:115], v[17:18], v[36:37]
	v_mul_f64 v[36:37], v[19:20], v[36:37]
	s_waitcnt vmcnt(56)
	v_fma_f64 v[30:31], v[1:2], v[11:12], -v[30:31]
	v_fma_f64 v[11:12], v[3:4], v[11:12], v[32:33]
	v_add_f64 v[13:14], v[21:22], v[13:14]
	s_clause 0x2
	buffer_load_dword v35, off, s[0:3], 0 offset:684
	buffer_load_dword v22, off, s[0:3], 0 offset:660
	buffer_load_dword v21, off, s[0:3], 0 offset:656
	v_add_f64 v[9:10], v[9:10], v[25:26]
	s_waitcnt vmcnt(58) lgkmcnt(0)
	v_mul_f64 v[32:33], v[7:8], v[58:59]
	ds_read_b128 v[1:4], v29 offset:1280
	v_mul_f64 v[25:26], v[5:6], v[58:59]
	s_waitcnt vmcnt(56)
	v_fma_f64 v[17:18], v[17:18], v[63:64], -v[36:37]
	v_fma_f64 v[19:20], v[19:20], v[63:64], v[114:115]
	s_clause 0x4
	buffer_load_dword v37, off, s[0:3], 0 offset:700
	buffer_load_dword v58, off, s[0:3], 0 offset:712
	;; [unrolled: 1-line block ×5, first 2 shown]
	v_add_f64 v[13:14], v[13:14], v[30:31]
	v_add_f64 v[30:31], v[9:10], v[11:12]
	s_waitcnt vmcnt(57) lgkmcnt(0)
	v_mul_f64 v[114:115], v[1:2], v[65:66]
	v_mul_f64 v[64:65], v[3:4], v[65:66]
	s_waitcnt vmcnt(56)
	v_fma_f64 v[32:33], v[5:6], v[15:16], -v[32:33]
	ds_read_b128 v[9:12], v29 offset:1296
	v_fma_f64 v[15:16], v[7:8], v[15:16], v[25:26]
	v_add_f64 v[13:14], v[13:14], v[17:18]
	v_add_f64 v[17:18], v[30:31], v[19:20]
	s_clause 0x2
	buffer_load_dword v59, off, s[0:3], 0 offset:716
	buffer_load_dword v20, off, s[0:3], 0 offset:692
	buffer_load_dword v19, off, s[0:3], 0 offset:688
	s_waitcnt vmcnt(58) lgkmcnt(0)
	v_mul_f64 v[30:31], v[11:12], v[67:68]
	s_waitcnt vmcnt(56)
	v_fma_f64 v[65:66], v[1:2], v[71:72], -v[64:65]
	ds_read_b128 v[5:8], v29 offset:1312
	v_mul_f64 v[25:26], v[9:10], v[67:68]
	v_add_f64 v[13:14], v[13:14], v[32:33]
	v_fma_f64 v[32:33], v[3:4], v[71:72], v[114:115]
	v_add_f64 v[15:16], v[17:18], v[15:16]
	s_clause 0x4
	buffer_load_dword v18, off, s[0:3], 0 offset:732
	buffer_load_dword v67, off, s[0:3], 0 offset:744
	buffer_load_dword v71, off, s[0:3], 0 offset:736
	buffer_load_dword v17, off, s[0:3], 0 offset:728
	buffer_load_dword v64, off, s[0:3], 0 offset:708
	s_waitcnt vmcnt(57) lgkmcnt(0)
	v_mul_f64 v[114:115], v[5:6], v[73:74]
	v_mul_f64 v[72:73], v[7:8], v[73:74]
	s_waitcnt vmcnt(56)
	v_fma_f64 v[30:31], v[9:10], v[69:70], -v[30:31]
	ds_read_b128 v[1:4], v29 offset:1328
	v_fma_f64 v[25:26], v[11:12], v[69:70], v[25:26]
	v_add_f64 v[13:14], v[13:14], v[65:66]
	v_add_f64 v[15:16], v[15:16], v[32:33]
	s_clause 0x2
	buffer_load_dword v68, off, s[0:3], 0 offset:748
	buffer_load_dword v33, off, s[0:3], 0 offset:724
	buffer_load_dword v32, off, s[0:3], 0 offset:720
	ds_read_b128 v[9:12], v29 offset:1344
	s_waitcnt vmcnt(58) lgkmcnt(1)
	v_mul_f64 v[69:70], v[3:4], v[75:76]
	s_waitcnt vmcnt(56)
	v_fma_f64 v[73:74], v[5:6], v[79:80], -v[72:73]
	v_mul_f64 v[65:66], v[1:2], v[75:76]
	v_add_f64 v[13:14], v[13:14], v[30:31]
	v_fma_f64 v[30:31], v[7:8], v[79:80], v[114:115]
	v_add_f64 v[15:16], v[15:16], v[25:26]
	s_clause 0x4
	buffer_load_dword v26, off, s[0:3], 0 offset:764
	buffer_load_dword v75, off, s[0:3], 0 offset:776
	buffer_load_dword v79, off, s[0:3], 0 offset:768
	buffer_load_dword v25, off, s[0:3], 0 offset:760
	buffer_load_dword v72, off, s[0:3], 0 offset:740
	s_waitcnt vmcnt(57) lgkmcnt(0)
	v_mul_f64 v[114:115], v[9:10], v[81:82]
	v_mul_f64 v[80:81], v[11:12], v[81:82]
	s_waitcnt vmcnt(56)
	v_fma_f64 v[69:70], v[1:2], v[77:78], -v[69:70]
	ds_read_b128 v[5:8], v29 offset:1360
	v_fma_f64 v[65:66], v[3:4], v[77:78], v[65:66]
	v_add_f64 v[13:14], v[13:14], v[73:74]
	v_add_f64 v[15:16], v[15:16], v[30:31]
	s_clause 0x2
	buffer_load_dword v76, off, s[0:3], 0 offset:780
	buffer_load_dword v31, off, s[0:3], 0 offset:756
	buffer_load_dword v30, off, s[0:3], 0 offset:752
	ds_read_b128 v[1:4], v29 offset:1376
	s_waitcnt vmcnt(58) lgkmcnt(1)
	v_mul_f64 v[77:78], v[7:8], v[83:84]
	s_waitcnt vmcnt(56)
	v_fma_f64 v[81:82], v[9:10], v[87:88], -v[80:81]
	;; [unrolled: 28-line block ×4, first 2 shown]
	v_mul_f64 v[89:90], v[1:2], v[101:102]
	buffer_load_dword v96, off, s[0:3], 0 offset:836
	v_add_f64 v[13:14], v[13:14], v[85:86]
	v_fma_f64 v[85:86], v[7:8], v[106:107], v[114:115]
	v_add_f64 v[15:16], v[15:16], v[81:82]
	ds_read_b128 v[5:8], v29 offset:1456
	s_waitcnt vmcnt(53) lgkmcnt(1)
	v_mul_f64 v[81:82], v[9:10], v[97:98]
	v_mul_f64 v[97:98], v[11:12], v[97:98]
	s_waitcnt vmcnt(52)
	v_fma_f64 v[93:94], v[1:2], v[103:104], -v[93:94]
	v_fma_f64 v[89:90], v[3:4], v[103:104], v[89:90]
	ds_read_b128 v[1:4], v29 offset:1472
	v_add_f64 v[13:14], v[13:14], v[99:100]
	v_add_f64 v[15:16], v[15:16], v[85:86]
	s_waitcnt vmcnt(51) lgkmcnt(1)
	v_mul_f64 v[99:100], v[7:8], v[110:111]
	v_mul_f64 v[85:86], v[5:6], v[110:111]
	s_waitcnt vmcnt(49)
	v_fma_f64 v[97:98], v[9:10], v[23:24], -v[97:98]
	v_fma_f64 v[23:24], v[11:12], v[23:24], v[81:82]
	v_add_f64 v[13:14], v[13:14], v[93:94]
	v_add_f64 v[15:16], v[15:16], v[89:90]
	s_clause 0x3
	buffer_load_dword v81, off, s[0:3], 0 offset:336
	buffer_load_dword v82, off, s[0:3], 0 offset:340
	;; [unrolled: 1-line block ×4, first 2 shown]
	ds_read_b128 v[9:12], v29 offset:1488
	s_waitcnt vmcnt(49) lgkmcnt(1)
	v_mul_f64 v[93:94], v[1:2], v[27:28]
	v_mul_f64 v[27:28], v[3:4], v[27:28]
	s_waitcnt vmcnt(48)
	v_fma_f64 v[99:100], v[5:6], v[112:113], -v[99:100]
	v_fma_f64 v[85:86], v[7:8], v[112:113], v[85:86]
	ds_read_b128 v[5:8], v29 offset:1504
	v_add_f64 v[13:14], v[13:14], v[97:98]
	v_add_f64 v[15:16], v[15:16], v[23:24]
	s_waitcnt vmcnt(47) lgkmcnt(1)
	v_mul_f64 v[23:24], v[9:10], v[34:35]
	v_mul_f64 v[34:35], v[11:12], v[34:35]
	s_waitcnt vmcnt(45)
	v_fma_f64 v[27:28], v[1:2], v[21:22], -v[27:28]
	v_fma_f64 v[21:22], v[3:4], v[21:22], v[93:94]
	ds_read_b128 v[1:4], v29 offset:1520
	v_add_f64 v[13:14], v[13:14], v[99:100]
	v_add_f64 v[15:16], v[15:16], v[85:86]
	s_waitcnt vmcnt(41) lgkmcnt(1)
	v_mul_f64 v[85:86], v[5:6], v[36:37]
	v_mul_f64 v[36:37], v[7:8], v[36:37]
	s_waitcnt vmcnt(40)
	v_fma_f64 v[23:24], v[11:12], v[108:109], v[23:24]
	v_fma_f64 v[34:35], v[9:10], v[108:109], -v[34:35]
	ds_read_b128 v[9:12], v29 offset:1536
	v_add_f64 v[13:14], v[13:14], v[27:28]
	v_add_f64 v[15:16], v[15:16], v[21:22]
	s_waitcnt vmcnt(39) lgkmcnt(1)
	v_mul_f64 v[27:28], v[3:4], v[58:59]
	v_mul_f64 v[21:22], v[1:2], v[58:59]
	s_waitcnt vmcnt(37)
	v_fma_f64 v[36:37], v[5:6], v[19:20], -v[36:37]
	v_fma_f64 v[19:20], v[7:8], v[19:20], v[85:86]
	ds_read_b128 v[5:8], v29 offset:1552
	v_add_f64 v[13:14], v[13:14], v[34:35]
	v_add_f64 v[15:16], v[15:16], v[23:24]
	s_waitcnt vmcnt(33) lgkmcnt(1)
	v_mul_f64 v[23:24], v[9:10], v[17:18]
	v_mul_f64 v[17:18], v[11:12], v[17:18]
	s_waitcnt vmcnt(32)
	v_fma_f64 v[27:28], v[1:2], v[63:64], -v[27:28]
	v_fma_f64 v[21:22], v[3:4], v[63:64], v[21:22]
	;; [unrolled: 9-line block ×3, first 2 shown]
	ds_read_b128 v[9:12], v29 offset:1584
	v_add_f64 v[13:14], v[13:14], v[27:28]
	v_add_f64 v[15:16], v[15:16], v[21:22]
	s_waitcnt vmcnt(25) lgkmcnt(1)
	v_mul_f64 v[21:22], v[1:2], v[25:26]
	v_mul_f64 v[25:26], v[3:4], v[25:26]
	s_waitcnt vmcnt(24)
	v_fma_f64 v[27:28], v[5:6], v[71:72], -v[34:35]
	v_add_f64 v[13:14], v[13:14], v[17:18]
	v_fma_f64 v[17:18], v[7:8], v[71:72], v[19:20]
	v_add_f64 v[15:16], v[15:16], v[23:24]
	ds_read_b128 v[5:8], v29 offset:1600
	s_waitcnt vmcnt(23) lgkmcnt(1)
	v_mul_f64 v[23:24], v[11:12], v[75:76]
	v_mul_f64 v[19:20], v[9:10], v[75:76]
	s_waitcnt vmcnt(21)
	v_fma_f64 v[25:26], v[1:2], v[30:31], -v[25:26]
	v_fma_f64 v[21:22], v[3:4], v[30:31], v[21:22]
	ds_read_b128 v[1:4], v29 offset:1616
	v_add_f64 v[13:14], v[13:14], v[27:28]
	v_add_f64 v[15:16], v[15:16], v[17:18]
	s_waitcnt vmcnt(17) lgkmcnt(1)
	v_mul_f64 v[27:28], v[7:8], v[65:66]
	s_waitcnt vmcnt(16)
	v_fma_f64 v[23:24], v[9:10], v[79:80], -v[23:24]
	v_mul_f64 v[17:18], v[5:6], v[65:66]
	v_fma_f64 v[19:20], v[11:12], v[79:80], v[19:20]
	ds_read_b128 v[9:12], v29 offset:1632
	v_add_f64 v[13:14], v[13:14], v[25:26]
	v_add_f64 v[15:16], v[15:16], v[21:22]
	s_waitcnt vmcnt(15) lgkmcnt(1)
	v_mul_f64 v[25:26], v[3:4], v[83:84]
	v_mul_f64 v[21:22], v[1:2], v[83:84]
	s_waitcnt vmcnt(13)
	v_fma_f64 v[27:28], v[5:6], v[69:70], -v[27:28]
	v_fma_f64 v[17:18], v[7:8], v[69:70], v[17:18]
	ds_read_b128 v[5:8], v29 offset:1648
	v_add_f64 v[13:14], v[13:14], v[23:24]
	v_add_f64 v[15:16], v[15:16], v[19:20]
	s_waitcnt vmcnt(9) lgkmcnt(1)
	v_mul_f64 v[23:24], v[11:12], v[73:74]
	s_waitcnt vmcnt(8)
	v_fma_f64 v[1:2], v[1:2], v[87:88], -v[25:26]
	v_mul_f64 v[19:20], v[9:10], v[73:74]
	v_fma_f64 v[3:4], v[3:4], v[87:88], v[21:22]
	v_add_f64 v[13:14], v[13:14], v[27:28]
	v_add_f64 v[15:16], v[15:16], v[17:18]
	s_waitcnt vmcnt(7) lgkmcnt(0)
	v_mul_f64 v[21:22], v[7:8], v[91:92]
	v_mul_f64 v[17:18], v[5:6], v[91:92]
	s_waitcnt vmcnt(5)
	v_fma_f64 v[9:10], v[9:10], v[77:78], -v[23:24]
	v_fma_f64 v[11:12], v[11:12], v[77:78], v[19:20]
	v_add_f64 v[1:2], v[13:14], v[1:2]
	v_add_f64 v[3:4], v[15:16], v[3:4]
	s_waitcnt vmcnt(4)
	v_fma_f64 v[5:6], v[5:6], v[95:96], -v[21:22]
	v_fma_f64 v[7:8], v[7:8], v[95:96], v[17:18]
	v_add_f64 v[1:2], v[1:2], v[9:10]
	v_add_f64 v[3:4], v[3:4], v[11:12]
	;; [unrolled: 1-line block ×4, first 2 shown]
	s_waitcnt vmcnt(2)
	v_add_f64 v[1:2], v[81:82], -v[1:2]
	s_waitcnt vmcnt(0)
	v_add_f64 v[3:4], v[89:90], -v[3:4]
	buffer_store_dword v2, off, s[0:3], 0 offset:340
	buffer_store_dword v1, off, s[0:3], 0 offset:336
	buffer_store_dword v4, off, s[0:3], 0 offset:348
	buffer_store_dword v3, off, s[0:3], 0 offset:344
	v_cmpx_lt_u32_e32 19, v0
	s_cbranch_execz .LBB51_287
; %bb.286:
	v_mov_b32_e32 v4, s45
	s_clause 0x3
	buffer_load_dword v1, v4, s[0:3], 0 offen
	buffer_load_dword v2, v4, s[0:3], 0 offen offset:4
	buffer_load_dword v3, v4, s[0:3], 0 offen offset:8
	;; [unrolled: 1-line block ×3, first 2 shown]
	buffer_store_dword v29, off, s[0:3], 0 offset:320
	buffer_store_dword v29, off, s[0:3], 0 offset:324
	;; [unrolled: 1-line block ×4, first 2 shown]
	s_waitcnt vmcnt(0)
	ds_write_b128 v39, v[1:4]
.LBB51_287:
	s_or_b32 exec_lo, exec_lo, s4
	s_waitcnt lgkmcnt(0)
	s_waitcnt_vscnt null, 0x0
	s_barrier
	buffer_gl0_inv
	s_clause 0x37
	buffer_load_dword v9, off, s[0:3], 0 offset:344
	buffer_load_dword v10, off, s[0:3], 0 offset:348
	;; [unrolled: 1-line block ×56, first 2 shown]
	ds_read_b128 v[30:33], v29 offset:1152
	s_clause 0x2
	buffer_load_dword v92, off, s[0:3], 0 offset:572
	buffer_load_dword v96, off, s[0:3], 0 offset:548
	;; [unrolled: 1-line block ×3, first 2 shown]
	ds_read_b128 v[34:37], v29 offset:1168
	s_clause 0x4
	buffer_load_dword v100, off, s[0:3], 0 offset:588
	buffer_load_dword v101, off, s[0:3], 0 offset:600
	;; [unrolled: 1-line block ×5, first 2 shown]
	ds_read_b128 v[63:66], v29 offset:1184
	s_clause 0x2
	buffer_load_dword v102, off, s[0:3], 0 offset:604
	buffer_load_dword v107, off, s[0:3], 0 offset:580
	;; [unrolled: 1-line block ×3, first 2 shown]
	s_mov_b32 s4, exec_lo
	s_waitcnt vmcnt(62) lgkmcnt(2)
	v_mul_f64 v[97:98], v[32:33], v[9:10]
	v_mul_f64 v[9:10], v[30:31], v[9:10]
	s_waitcnt lgkmcnt(1)
	v_mul_f64 v[104:105], v[36:37], v[5:6]
	s_waitcnt vmcnt(59) lgkmcnt(0)
	v_mul_f64 v[108:109], v[65:66], v[3:4]
	v_fma_f64 v[30:31], v[30:31], v[7:8], -v[97:98]
	v_mul_f64 v[97:98], v[34:35], v[5:6]
	v_fma_f64 v[9:10], v[32:33], v[7:8], v[9:10]
	s_waitcnt vmcnt(57)
	v_fma_f64 v[34:35], v[34:35], v[1:2], -v[104:105]
	ds_read_b128 v[5:8], v29 offset:1200
	v_mul_f64 v[32:33], v[63:64], v[3:4]
	s_waitcnt vmcnt(51)
	v_fma_f64 v[63:64], v[63:64], v[25:26], -v[108:109]
	v_add_f64 v[30:31], v[30:31], 0
	v_fma_f64 v[36:37], v[36:37], v[1:2], v[97:98]
	v_add_f64 v[9:10], v[9:10], 0
	s_clause 0x4
	buffer_load_dword v98, off, s[0:3], 0 offset:620
	buffer_load_dword v110, off, s[0:3], 0 offset:632
	;; [unrolled: 1-line block ×5, first 2 shown]
	s_waitcnt lgkmcnt(0)
	v_mul_f64 v[113:114], v[5:6], v[13:14]
	v_mul_f64 v[13:14], v[7:8], v[13:14]
	ds_read_b128 v[1:4], v29 offset:1216
	v_fma_f64 v[25:26], v[65:66], v[25:26], v[32:33]
	v_add_f64 v[34:35], v[30:31], v[34:35]
	v_add_f64 v[9:10], v[9:10], v[36:37]
	s_clause 0x2
	buffer_load_dword v111, off, s[0:3], 0 offset:636
	buffer_load_dword v37, off, s[0:3], 0 offset:612
	;; [unrolled: 1-line block ×3, first 2 shown]
	s_waitcnt vmcnt(58) lgkmcnt(0)
	v_mul_f64 v[65:66], v[1:2], v[17:18]
	v_mul_f64 v[17:18], v[3:4], v[17:18]
	s_waitcnt vmcnt(56)
	v_fma_f64 v[13:14], v[5:6], v[19:20], -v[13:14]
	ds_read_b128 v[30:33], v29 offset:1232
	v_fma_f64 v[19:20], v[7:8], v[19:20], v[113:114]
	v_add_f64 v[34:35], v[34:35], v[63:64]
	v_add_f64 v[9:10], v[9:10], v[25:26]
	s_clause 0x4
	buffer_load_dword v26, off, s[0:3], 0 offset:652
	buffer_load_dword v63, off, s[0:3], 0 offset:664
	;; [unrolled: 1-line block ×5, first 2 shown]
	ds_read_b128 v[5:8], v29 offset:1248
	s_waitcnt vmcnt(57) lgkmcnt(1)
	v_mul_f64 v[114:115], v[30:31], v[21:22]
	v_mul_f64 v[21:22], v[32:33], v[21:22]
	s_waitcnt vmcnt(56)
	v_fma_f64 v[17:18], v[1:2], v[11:12], -v[17:18]
	v_fma_f64 v[11:12], v[3:4], v[11:12], v[65:66]
	v_add_f64 v[13:14], v[34:35], v[13:14]
	v_add_f64 v[9:10], v[9:10], v[19:20]
	s_clause 0x2
	buffer_load_dword v64, off, s[0:3], 0 offset:668
	buffer_load_dword v20, off, s[0:3], 0 offset:644
	;; [unrolled: 1-line block ×3, first 2 shown]
	s_waitcnt vmcnt(58) lgkmcnt(0)
	v_mul_f64 v[34:35], v[5:6], v[27:28]
	v_mul_f64 v[27:28], v[7:8], v[27:28]
	s_waitcnt vmcnt(56)
	v_fma_f64 v[21:22], v[30:31], v[58:59], -v[21:22]
	ds_read_b128 v[1:4], v29 offset:1264
	v_add_f64 v[13:14], v[13:14], v[17:18]
	v_fma_f64 v[17:18], v[32:33], v[58:59], v[114:115]
	v_add_f64 v[30:31], v[9:10], v[11:12]
	s_clause 0x4
	buffer_load_dword v33, off, s[0:3], 0 offset:684
	buffer_load_dword v58, off, s[0:3], 0 offset:696
	;; [unrolled: 1-line block ×5, first 2 shown]
	ds_read_b128 v[9:12], v29 offset:1280
	s_waitcnt vmcnt(57) lgkmcnt(1)
	v_mul_f64 v[114:115], v[1:2], v[67:68]
	v_mul_f64 v[66:67], v[3:4], v[67:68]
	s_waitcnt vmcnt(56)
	v_fma_f64 v[27:28], v[5:6], v[15:16], -v[27:28]
	v_fma_f64 v[15:16], v[7:8], v[15:16], v[34:35]
	v_add_f64 v[13:14], v[13:14], v[21:22]
	s_clause 0x2
	buffer_load_dword v59, off, s[0:3], 0 offset:700
	buffer_load_dword v22, off, s[0:3], 0 offset:676
	;; [unrolled: 1-line block ×3, first 2 shown]
	v_add_f64 v[17:18], v[30:31], v[17:18]
	s_waitcnt vmcnt(58) lgkmcnt(0)
	v_mul_f64 v[34:35], v[11:12], v[69:70]
	ds_read_b128 v[5:8], v29 offset:1296
	v_mul_f64 v[30:31], v[9:10], v[69:70]
	s_waitcnt vmcnt(56)
	v_fma_f64 v[67:68], v[1:2], v[71:72], -v[66:67]
	v_add_f64 v[13:14], v[13:14], v[27:28]
	v_fma_f64 v[27:28], v[3:4], v[71:72], v[114:115]
	v_add_f64 v[15:16], v[17:18], v[15:16]
	s_clause 0x4
	buffer_load_dword v18, off, s[0:3], 0 offset:716
	buffer_load_dword v69, off, s[0:3], 0 offset:728
	buffer_load_dword v71, off, s[0:3], 0 offset:720
	buffer_load_dword v17, off, s[0:3], 0 offset:712
	buffer_load_dword v66, off, s[0:3], 0 offset:692
	s_waitcnt vmcnt(57) lgkmcnt(0)
	v_mul_f64 v[114:115], v[5:6], v[73:74]
	v_mul_f64 v[72:73], v[7:8], v[73:74]
	s_waitcnt vmcnt(56)
	v_fma_f64 v[34:35], v[9:10], v[23:24], -v[34:35]
	ds_read_b128 v[1:4], v29 offset:1312
	v_fma_f64 v[23:24], v[11:12], v[23:24], v[30:31]
	v_add_f64 v[13:14], v[13:14], v[67:68]
	v_add_f64 v[15:16], v[15:16], v[27:28]
	s_clause 0x2
	buffer_load_dword v70, off, s[0:3], 0 offset:732
	buffer_load_dword v28, off, s[0:3], 0 offset:708
	buffer_load_dword v27, off, s[0:3], 0 offset:704
	ds_read_b128 v[9:12], v29 offset:1328
	s_waitcnt vmcnt(58) lgkmcnt(1)
	v_mul_f64 v[67:68], v[3:4], v[75:76]
	s_waitcnt vmcnt(56)
	v_fma_f64 v[73:74], v[5:6], v[79:80], -v[72:73]
	v_mul_f64 v[30:31], v[1:2], v[75:76]
	v_add_f64 v[13:14], v[13:14], v[34:35]
	v_fma_f64 v[34:35], v[7:8], v[79:80], v[114:115]
	v_add_f64 v[15:16], v[15:16], v[23:24]
	s_clause 0x4
	buffer_load_dword v24, off, s[0:3], 0 offset:748
	buffer_load_dword v75, off, s[0:3], 0 offset:760
	buffer_load_dword v79, off, s[0:3], 0 offset:752
	buffer_load_dword v23, off, s[0:3], 0 offset:744
	buffer_load_dword v72, off, s[0:3], 0 offset:724
	s_waitcnt vmcnt(57) lgkmcnt(0)
	v_mul_f64 v[114:115], v[9:10], v[81:82]
	v_mul_f64 v[80:81], v[11:12], v[81:82]
	s_waitcnt vmcnt(56)
	v_fma_f64 v[67:68], v[1:2], v[77:78], -v[67:68]
	ds_read_b128 v[5:8], v29 offset:1344
	v_fma_f64 v[30:31], v[3:4], v[77:78], v[30:31]
	v_add_f64 v[13:14], v[13:14], v[73:74]
	v_add_f64 v[15:16], v[15:16], v[34:35]
	s_clause 0x2
	buffer_load_dword v76, off, s[0:3], 0 offset:764
	buffer_load_dword v35, off, s[0:3], 0 offset:740
	buffer_load_dword v34, off, s[0:3], 0 offset:736
	ds_read_b128 v[1:4], v29 offset:1360
	s_waitcnt vmcnt(58) lgkmcnt(1)
	v_mul_f64 v[77:78], v[7:8], v[83:84]
	s_waitcnt vmcnt(56)
	v_fma_f64 v[81:82], v[9:10], v[87:88], -v[80:81]
	v_mul_f64 v[73:74], v[5:6], v[83:84]
	v_add_f64 v[13:14], v[13:14], v[67:68]
	v_fma_f64 v[67:68], v[11:12], v[87:88], v[114:115]
	v_add_f64 v[15:16], v[15:16], v[30:31]
	s_clause 0x4
	buffer_load_dword v31, off, s[0:3], 0 offset:780
	buffer_load_dword v83, off, s[0:3], 0 offset:792
	buffer_load_dword v87, off, s[0:3], 0 offset:784
	buffer_load_dword v30, off, s[0:3], 0 offset:776
	buffer_load_dword v80, off, s[0:3], 0 offset:756
	s_waitcnt vmcnt(57) lgkmcnt(0)
	v_mul_f64 v[114:115], v[1:2], v[89:90]
	v_mul_f64 v[88:89], v[3:4], v[89:90]
	s_waitcnt vmcnt(56)
	v_fma_f64 v[77:78], v[5:6], v[85:86], -v[77:78]
	ds_read_b128 v[9:12], v29 offset:1376
	v_fma_f64 v[73:74], v[7:8], v[85:86], v[73:74]
	v_add_f64 v[13:14], v[13:14], v[81:82]
	v_add_f64 v[15:16], v[15:16], v[67:68]
	s_clause 0x2
	buffer_load_dword v84, off, s[0:3], 0 offset:796
	buffer_load_dword v68, off, s[0:3], 0 offset:772
	buffer_load_dword v67, off, s[0:3], 0 offset:768
	ds_read_b128 v[5:8], v29 offset:1392
	s_waitcnt vmcnt(58) lgkmcnt(1)
	v_mul_f64 v[85:86], v[11:12], v[91:92]
	s_waitcnt vmcnt(56)
	v_fma_f64 v[89:90], v[1:2], v[95:96], -v[88:89]
	v_mul_f64 v[81:82], v[9:10], v[91:92]
	v_add_f64 v[13:14], v[13:14], v[77:78]
	v_fma_f64 v[77:78], v[3:4], v[95:96], v[114:115]
	v_add_f64 v[15:16], v[15:16], v[73:74]
	s_clause 0x4
	buffer_load_dword v74, off, s[0:3], 0 offset:812
	buffer_load_dword v91, off, s[0:3], 0 offset:824
	buffer_load_dword v95, off, s[0:3], 0 offset:816
	buffer_load_dword v73, off, s[0:3], 0 offset:808
	buffer_load_dword v88, off, s[0:3], 0 offset:788
	s_waitcnt vmcnt(57) lgkmcnt(0)
	v_mul_f64 v[114:115], v[5:6], v[99:100]
	v_mul_f64 v[99:100], v[7:8], v[99:100]
	s_waitcnt vmcnt(56)
	v_fma_f64 v[85:86], v[9:10], v[93:94], -v[85:86]
	ds_read_b128 v[1:4], v29 offset:1408
	v_fma_f64 v[81:82], v[11:12], v[93:94], v[81:82]
	v_add_f64 v[13:14], v[13:14], v[89:90]
	v_add_f64 v[15:16], v[15:16], v[77:78]
	s_clause 0x2
	buffer_load_dword v92, off, s[0:3], 0 offset:828
	buffer_load_dword v78, off, s[0:3], 0 offset:804
	buffer_load_dword v77, off, s[0:3], 0 offset:800
	ds_read_b128 v[9:12], v29 offset:1424
	s_waitcnt vmcnt(58) lgkmcnt(1)
	v_mul_f64 v[93:94], v[3:4], v[101:102]
	s_waitcnt vmcnt(56)
	v_fma_f64 v[99:100], v[5:6], v[106:107], -v[99:100]
	v_mul_f64 v[89:90], v[1:2], v[101:102]
	v_add_f64 v[13:14], v[13:14], v[85:86]
	v_fma_f64 v[85:86], v[7:8], v[106:107], v[114:115]
	v_add_f64 v[15:16], v[15:16], v[81:82]
	s_clause 0x2
	buffer_load_dword v82, off, s[0:3], 0 offset:844
	buffer_load_dword v81, off, s[0:3], 0 offset:840
	;; [unrolled: 1-line block ×3, first 2 shown]
	ds_read_b128 v[5:8], v29 offset:1440
	s_waitcnt vmcnt(55) lgkmcnt(1)
	v_mul_f64 v[101:102], v[9:10], v[97:98]
	v_mul_f64 v[97:98], v[11:12], v[97:98]
	s_waitcnt vmcnt(54)
	v_fma_f64 v[93:94], v[1:2], v[103:104], -v[93:94]
	v_fma_f64 v[89:90], v[3:4], v[103:104], v[89:90]
	v_add_f64 v[13:14], v[13:14], v[99:100]
	v_add_f64 v[15:16], v[15:16], v[85:86]
	s_clause 0x1
	buffer_load_dword v86, off, s[0:3], 0 offset:836
	buffer_load_dword v85, off, s[0:3], 0 offset:832
	ds_read_b128 v[1:4], v29 offset:1456
	s_waitcnt vmcnt(55) lgkmcnt(1)
	v_mul_f64 v[103:104], v[7:8], v[110:111]
	v_mul_f64 v[99:100], v[5:6], v[110:111]
	s_waitcnt vmcnt(53)
	v_fma_f64 v[97:98], v[9:10], v[36:37], -v[97:98]
	v_fma_f64 v[36:37], v[11:12], v[36:37], v[101:102]
	ds_read_b128 v[9:12], v29 offset:1472
	v_add_f64 v[13:14], v[13:14], v[93:94]
	v_add_f64 v[15:16], v[15:16], v[89:90]
	s_waitcnt vmcnt(49) lgkmcnt(1)
	v_mul_f64 v[89:90], v[1:2], v[25:26]
	v_mul_f64 v[25:26], v[3:4], v[25:26]
	s_waitcnt vmcnt(48)
	v_fma_f64 v[93:94], v[5:6], v[112:113], -v[103:104]
	v_add_f64 v[13:14], v[13:14], v[97:98]
	v_fma_f64 v[97:98], v[7:8], v[112:113], v[99:100]
	v_add_f64 v[15:16], v[15:16], v[36:37]
	s_clause 0x3
	buffer_load_dword v36, off, s[0:3], 0 offset:320
	buffer_load_dword v37, off, s[0:3], 0 offset:324
	;; [unrolled: 1-line block ×4, first 2 shown]
	ds_read_b128 v[5:8], v29 offset:1488
	s_waitcnt vmcnt(51) lgkmcnt(1)
	v_mul_f64 v[101:102], v[9:10], v[63:64]
	v_mul_f64 v[63:64], v[11:12], v[63:64]
	s_waitcnt vmcnt(49)
	v_fma_f64 v[25:26], v[1:2], v[19:20], -v[25:26]
	v_fma_f64 v[19:20], v[3:4], v[19:20], v[89:90]
	ds_read_b128 v[1:4], v29 offset:1504
	v_add_f64 v[13:14], v[13:14], v[93:94]
	v_add_f64 v[15:16], v[15:16], v[97:98]
	s_waitcnt vmcnt(45) lgkmcnt(1)
	v_mul_f64 v[89:90], v[5:6], v[32:33]
	v_mul_f64 v[32:33], v[7:8], v[32:33]
	s_waitcnt vmcnt(44)
	v_fma_f64 v[63:64], v[9:10], v[108:109], -v[63:64]
	v_add_f64 v[13:14], v[13:14], v[25:26]
	v_fma_f64 v[25:26], v[11:12], v[108:109], v[101:102]
	v_add_f64 v[15:16], v[15:16], v[19:20]
	ds_read_b128 v[9:12], v29 offset:1520
	s_waitcnt vmcnt(43) lgkmcnt(1)
	v_mul_f64 v[19:20], v[1:2], v[58:59]
	v_mul_f64 v[58:59], v[3:4], v[58:59]
	s_waitcnt vmcnt(41)
	v_fma_f64 v[32:33], v[5:6], v[21:22], -v[32:33]
	v_fma_f64 v[21:22], v[7:8], v[21:22], v[89:90]
	ds_read_b128 v[5:8], v29 offset:1536
	v_add_f64 v[13:14], v[13:14], v[63:64]
	v_add_f64 v[15:16], v[15:16], v[25:26]
	s_waitcnt vmcnt(37) lgkmcnt(1)
	v_mul_f64 v[25:26], v[9:10], v[17:18]
	v_mul_f64 v[17:18], v[11:12], v[17:18]
	s_waitcnt vmcnt(36)
	v_fma_f64 v[58:59], v[1:2], v[65:66], -v[58:59]
	v_fma_f64 v[19:20], v[3:4], v[65:66], v[19:20]
	ds_read_b128 v[1:4], v29 offset:1552
	v_add_f64 v[13:14], v[13:14], v[32:33]
	v_add_f64 v[15:16], v[15:16], v[21:22]
	;; [unrolled: 9-line block ×3, first 2 shown]
	s_waitcnt vmcnt(29) lgkmcnt(1)
	v_mul_f64 v[19:20], v[1:2], v[23:24]
	v_mul_f64 v[23:24], v[3:4], v[23:24]
	s_waitcnt vmcnt(28)
	v_fma_f64 v[27:28], v[5:6], v[71:72], -v[32:33]
	v_add_f64 v[13:14], v[13:14], v[17:18]
	v_fma_f64 v[17:18], v[7:8], v[71:72], v[21:22]
	v_add_f64 v[15:16], v[15:16], v[25:26]
	ds_read_b128 v[5:8], v29 offset:1584
	s_waitcnt vmcnt(27) lgkmcnt(1)
	v_mul_f64 v[25:26], v[11:12], v[75:76]
	v_mul_f64 v[21:22], v[9:10], v[75:76]
	s_waitcnt vmcnt(25)
	v_fma_f64 v[23:24], v[1:2], v[34:35], -v[23:24]
	v_fma_f64 v[19:20], v[3:4], v[34:35], v[19:20]
	ds_read_b128 v[1:4], v29 offset:1600
	v_add_f64 v[13:14], v[13:14], v[27:28]
	v_add_f64 v[15:16], v[15:16], v[17:18]
	s_waitcnt vmcnt(21) lgkmcnt(1)
	v_mul_f64 v[27:28], v[7:8], v[30:31]
	s_waitcnt vmcnt(20)
	v_fma_f64 v[25:26], v[9:10], v[79:80], -v[25:26]
	v_mul_f64 v[17:18], v[5:6], v[30:31]
	v_fma_f64 v[21:22], v[11:12], v[79:80], v[21:22]
	ds_read_b128 v[9:12], v29 offset:1616
	v_add_f64 v[13:14], v[13:14], v[23:24]
	v_add_f64 v[15:16], v[15:16], v[19:20]
	s_waitcnt vmcnt(19) lgkmcnt(1)
	v_mul_f64 v[23:24], v[3:4], v[83:84]
	v_mul_f64 v[19:20], v[1:2], v[83:84]
	s_waitcnt vmcnt(17)
	v_fma_f64 v[27:28], v[5:6], v[67:68], -v[27:28]
	v_fma_f64 v[17:18], v[7:8], v[67:68], v[17:18]
	ds_read_b128 v[5:8], v29 offset:1632
	v_add_f64 v[13:14], v[13:14], v[25:26]
	v_add_f64 v[15:16], v[15:16], v[21:22]
	s_waitcnt vmcnt(13) lgkmcnt(1)
	v_mul_f64 v[25:26], v[11:12], v[73:74]
	s_waitcnt vmcnt(12)
	v_fma_f64 v[23:24], v[1:2], v[87:88], -v[23:24]
	v_mul_f64 v[21:22], v[9:10], v[73:74]
	v_fma_f64 v[19:20], v[3:4], v[87:88], v[19:20]
	ds_read_b128 v[1:4], v29 offset:1648
	v_add_f64 v[13:14], v[13:14], v[27:28]
	v_add_f64 v[15:16], v[15:16], v[17:18]
	s_waitcnt vmcnt(11) lgkmcnt(1)
	v_mul_f64 v[27:28], v[7:8], v[91:92]
	v_mul_f64 v[17:18], v[5:6], v[91:92]
	s_waitcnt vmcnt(9)
	v_fma_f64 v[9:10], v[9:10], v[77:78], -v[25:26]
	v_fma_f64 v[11:12], v[11:12], v[77:78], v[21:22]
	v_add_f64 v[13:14], v[13:14], v[23:24]
	v_add_f64 v[15:16], v[15:16], v[19:20]
	s_waitcnt vmcnt(7) lgkmcnt(0)
	v_mul_f64 v[21:22], v[3:4], v[81:82]
	s_waitcnt vmcnt(6)
	v_fma_f64 v[5:6], v[5:6], v[95:96], -v[27:28]
	v_mul_f64 v[19:20], v[1:2], v[81:82]
	v_fma_f64 v[7:8], v[7:8], v[95:96], v[17:18]
	v_add_f64 v[9:10], v[13:14], v[9:10]
	v_add_f64 v[11:12], v[15:16], v[11:12]
	s_waitcnt vmcnt(4)
	v_fma_f64 v[1:2], v[1:2], v[85:86], -v[21:22]
	v_fma_f64 v[3:4], v[3:4], v[85:86], v[19:20]
	v_add_f64 v[5:6], v[9:10], v[5:6]
	v_add_f64 v[7:8], v[11:12], v[7:8]
	;; [unrolled: 1-line block ×4, first 2 shown]
	s_waitcnt vmcnt(2)
	v_add_f64 v[1:2], v[36:37], -v[1:2]
	s_waitcnt vmcnt(0)
	v_add_f64 v[3:4], v[99:100], -v[3:4]
	buffer_store_dword v2, off, s[0:3], 0 offset:324
	buffer_store_dword v1, off, s[0:3], 0 offset:320
	;; [unrolled: 1-line block ×4, first 2 shown]
	v_cmpx_lt_u32_e32 18, v0
	s_cbranch_execz .LBB51_289
; %bb.288:
	v_mov_b32_e32 v4, s46
	v_mov_b32_e32 v5, 0
	s_clause 0x3
	buffer_load_dword v1, v4, s[0:3], 0 offen
	buffer_load_dword v2, v4, s[0:3], 0 offen offset:4
	buffer_load_dword v3, v4, s[0:3], 0 offen offset:8
	;; [unrolled: 1-line block ×3, first 2 shown]
	buffer_store_dword v5, off, s[0:3], 0 offset:304
	buffer_store_dword v5, off, s[0:3], 0 offset:308
	;; [unrolled: 1-line block ×4, first 2 shown]
	s_waitcnt vmcnt(0)
	ds_write_b128 v39, v[1:4]
.LBB51_289:
	s_or_b32 exec_lo, exec_lo, s4
	s_waitcnt lgkmcnt(0)
	s_waitcnt_vscnt null, 0x0
	s_barrier
	buffer_gl0_inv
	s_clause 0x37
	buffer_load_dword v9, off, s[0:3], 0 offset:328
	buffer_load_dword v10, off, s[0:3], 0 offset:332
	;; [unrolled: 1-line block ×56, first 2 shown]
	v_mov_b32_e32 v60, 0
	s_mov_b32 s4, exec_lo
	ds_read_b128 v[63:66], v60 offset:1136
	s_clause 0x2
	buffer_load_dword v90, off, s[0:3], 0 offset:556
	buffer_load_dword v94, off, s[0:3], 0 offset:532
	;; [unrolled: 1-line block ×3, first 2 shown]
	ds_read_b128 v[67:70], v60 offset:1152
	s_clause 0x4
	buffer_load_dword v98, off, s[0:3], 0 offset:572
	buffer_load_dword v99, off, s[0:3], 0 offset:584
	;; [unrolled: 1-line block ×5, first 2 shown]
	ds_read_b128 v[71:74], v60 offset:1168
	s_clause 0x2
	buffer_load_dword v100, off, s[0:3], 0 offset:588
	buffer_load_dword v105, off, s[0:3], 0 offset:564
	;; [unrolled: 1-line block ×3, first 2 shown]
	s_waitcnt vmcnt(62) lgkmcnt(2)
	v_mul_f64 v[95:96], v[65:66], v[9:10]
	v_mul_f64 v[9:10], v[63:64], v[9:10]
	s_waitcnt lgkmcnt(1)
	v_mul_f64 v[102:103], v[69:70], v[5:6]
	s_waitcnt vmcnt(59) lgkmcnt(0)
	v_mul_f64 v[106:107], v[73:74], v[3:4]
	v_fma_f64 v[63:64], v[63:64], v[7:8], -v[95:96]
	v_mul_f64 v[95:96], v[67:68], v[5:6]
	v_fma_f64 v[9:10], v[65:66], v[7:8], v[9:10]
	s_waitcnt vmcnt(57)
	v_fma_f64 v[67:68], v[67:68], v[1:2], -v[102:103]
	ds_read_b128 v[5:8], v60 offset:1184
	v_mul_f64 v[65:66], v[71:72], v[3:4]
	s_waitcnt vmcnt(51)
	v_fma_f64 v[71:72], v[71:72], v[25:26], -v[106:107]
	v_add_f64 v[63:64], v[63:64], 0
	v_fma_f64 v[69:70], v[69:70], v[1:2], v[95:96]
	v_add_f64 v[9:10], v[9:10], 0
	s_clause 0x4
	buffer_load_dword v96, off, s[0:3], 0 offset:604
	buffer_load_dword v108, off, s[0:3], 0 offset:616
	;; [unrolled: 1-line block ×5, first 2 shown]
	s_waitcnt lgkmcnt(0)
	v_mul_f64 v[111:112], v[5:6], v[13:14]
	v_mul_f64 v[13:14], v[7:8], v[13:14]
	ds_read_b128 v[1:4], v60 offset:1200
	v_fma_f64 v[25:26], v[73:74], v[25:26], v[65:66]
	v_add_f64 v[67:68], v[63:64], v[67:68]
	v_add_f64 v[9:10], v[9:10], v[69:70]
	s_clause 0x2
	buffer_load_dword v109, off, s[0:3], 0 offset:620
	buffer_load_dword v70, off, s[0:3], 0 offset:596
	;; [unrolled: 1-line block ×3, first 2 shown]
	s_waitcnt vmcnt(58) lgkmcnt(0)
	v_mul_f64 v[73:74], v[1:2], v[17:18]
	v_mul_f64 v[17:18], v[3:4], v[17:18]
	s_waitcnt vmcnt(56)
	v_fma_f64 v[13:14], v[5:6], v[19:20], -v[13:14]
	ds_read_b128 v[63:66], v60 offset:1216
	v_fma_f64 v[19:20], v[7:8], v[19:20], v[111:112]
	v_add_f64 v[67:68], v[67:68], v[71:72]
	v_add_f64 v[9:10], v[9:10], v[25:26]
	s_clause 0x4
	buffer_load_dword v26, off, s[0:3], 0 offset:636
	buffer_load_dword v71, off, s[0:3], 0 offset:648
	;; [unrolled: 1-line block ×5, first 2 shown]
	ds_read_b128 v[5:8], v60 offset:1232
	s_waitcnt vmcnt(57) lgkmcnt(1)
	v_mul_f64 v[112:113], v[63:64], v[21:22]
	v_mul_f64 v[21:22], v[65:66], v[21:22]
	s_waitcnt vmcnt(56)
	v_fma_f64 v[17:18], v[1:2], v[11:12], -v[17:18]
	v_fma_f64 v[11:12], v[3:4], v[11:12], v[73:74]
	v_add_f64 v[13:14], v[67:68], v[13:14]
	v_add_f64 v[9:10], v[9:10], v[19:20]
	s_clause 0x2
	buffer_load_dword v72, off, s[0:3], 0 offset:652
	buffer_load_dword v20, off, s[0:3], 0 offset:628
	;; [unrolled: 1-line block ×3, first 2 shown]
	s_waitcnt vmcnt(58) lgkmcnt(0)
	v_mul_f64 v[67:68], v[5:6], v[27:28]
	v_mul_f64 v[27:28], v[7:8], v[27:28]
	s_waitcnt vmcnt(56)
	v_fma_f64 v[21:22], v[63:64], v[29:30], -v[21:22]
	ds_read_b128 v[1:4], v60 offset:1248
	v_add_f64 v[13:14], v[13:14], v[17:18]
	v_fma_f64 v[17:18], v[65:66], v[29:30], v[112:113]
	v_add_f64 v[29:30], v[9:10], v[11:12]
	s_clause 0x4
	buffer_load_dword v64, off, s[0:3], 0 offset:668
	buffer_load_dword v65, off, s[0:3], 0 offset:680
	;; [unrolled: 1-line block ×5, first 2 shown]
	ds_read_b128 v[9:12], v60 offset:1264
	s_waitcnt vmcnt(57) lgkmcnt(1)
	v_mul_f64 v[112:113], v[1:2], v[31:32]
	v_mul_f64 v[31:32], v[3:4], v[31:32]
	s_waitcnt vmcnt(56)
	v_fma_f64 v[27:28], v[5:6], v[15:16], -v[27:28]
	v_fma_f64 v[15:16], v[7:8], v[15:16], v[67:68]
	v_add_f64 v[13:14], v[13:14], v[21:22]
	s_clause 0x2
	buffer_load_dword v66, off, s[0:3], 0 offset:684
	buffer_load_dword v22, off, s[0:3], 0 offset:660
	;; [unrolled: 1-line block ×3, first 2 shown]
	v_add_f64 v[17:18], v[29:30], v[17:18]
	s_waitcnt vmcnt(58) lgkmcnt(0)
	v_mul_f64 v[29:30], v[9:10], v[35:36]
	v_mul_f64 v[35:36], v[11:12], v[35:36]
	ds_read_b128 v[5:8], v60 offset:1280
	s_waitcnt vmcnt(56)
	v_fma_f64 v[31:32], v[1:2], v[37:38], -v[31:32]
	v_add_f64 v[13:14], v[13:14], v[27:28]
	v_fma_f64 v[27:28], v[3:4], v[37:38], v[112:113]
	v_add_f64 v[15:16], v[17:18], v[15:16]
	s_clause 0x4
	buffer_load_dword v18, off, s[0:3], 0 offset:700
	buffer_load_dword v37, off, s[0:3], 0 offset:712
	;; [unrolled: 1-line block ×5, first 2 shown]
	s_waitcnt vmcnt(57) lgkmcnt(0)
	v_mul_f64 v[112:113], v[5:6], v[58:59]
	v_mul_f64 v[58:59], v[7:8], v[58:59]
	s_waitcnt vmcnt(56)
	v_fma_f64 v[35:36], v[9:10], v[23:24], -v[35:36]
	ds_read_b128 v[1:4], v60 offset:1296
	v_fma_f64 v[23:24], v[11:12], v[23:24], v[29:30]
	v_add_f64 v[13:14], v[13:14], v[31:32]
	v_add_f64 v[15:16], v[15:16], v[27:28]
	s_clause 0x2
	buffer_load_dword v38, off, s[0:3], 0 offset:716
	buffer_load_dword v28, off, s[0:3], 0 offset:692
	;; [unrolled: 1-line block ×3, first 2 shown]
	ds_read_b128 v[9:12], v60 offset:1312
	s_waitcnt vmcnt(58) lgkmcnt(1)
	v_mul_f64 v[31:32], v[3:4], v[75:76]
	s_waitcnt vmcnt(56)
	v_fma_f64 v[58:59], v[5:6], v[77:78], -v[58:59]
	v_mul_f64 v[29:30], v[1:2], v[75:76]
	v_add_f64 v[13:14], v[13:14], v[35:36]
	v_fma_f64 v[35:36], v[7:8], v[77:78], v[112:113]
	v_add_f64 v[15:16], v[15:16], v[23:24]
	s_clause 0x4
	buffer_load_dword v24, off, s[0:3], 0 offset:732
	buffer_load_dword v75, off, s[0:3], 0 offset:744
	;; [unrolled: 1-line block ×5, first 2 shown]
	s_waitcnt vmcnt(57) lgkmcnt(0)
	v_mul_f64 v[112:113], v[9:10], v[79:80]
	v_mul_f64 v[78:79], v[11:12], v[79:80]
	s_waitcnt vmcnt(56)
	v_fma_f64 v[31:32], v[1:2], v[33:34], -v[31:32]
	ds_read_b128 v[5:8], v60 offset:1328
	v_fma_f64 v[29:30], v[3:4], v[33:34], v[29:30]
	s_clause 0x2
	buffer_load_dword v76, off, s[0:3], 0 offset:748
	buffer_load_dword v34, off, s[0:3], 0 offset:724
	;; [unrolled: 1-line block ×3, first 2 shown]
	ds_read_b128 v[1:4], v60 offset:1344
	v_add_f64 v[13:14], v[13:14], v[58:59]
	v_add_f64 v[15:16], v[15:16], v[35:36]
	s_waitcnt vmcnt(58) lgkmcnt(1)
	v_mul_f64 v[58:59], v[7:8], v[81:82]
	s_waitcnt vmcnt(56)
	v_fma_f64 v[79:80], v[9:10], v[85:86], -v[78:79]
	v_mul_f64 v[35:36], v[5:6], v[81:82]
	v_add_f64 v[13:14], v[13:14], v[31:32]
	v_fma_f64 v[31:32], v[11:12], v[85:86], v[112:113]
	v_add_f64 v[15:16], v[15:16], v[29:30]
	s_clause 0x4
	buffer_load_dword v30, off, s[0:3], 0 offset:764
	buffer_load_dword v81, off, s[0:3], 0 offset:776
	;; [unrolled: 1-line block ×5, first 2 shown]
	s_waitcnt vmcnt(57) lgkmcnt(0)
	v_mul_f64 v[112:113], v[1:2], v[87:88]
	v_mul_f64 v[86:87], v[3:4], v[87:88]
	s_waitcnt vmcnt(56)
	v_fma_f64 v[58:59], v[5:6], v[83:84], -v[58:59]
	ds_read_b128 v[9:12], v60 offset:1360
	v_fma_f64 v[35:36], v[7:8], v[83:84], v[35:36]
	v_add_f64 v[13:14], v[13:14], v[79:80]
	v_add_f64 v[15:16], v[15:16], v[31:32]
	s_clause 0x2
	buffer_load_dword v82, off, s[0:3], 0 offset:780
	buffer_load_dword v32, off, s[0:3], 0 offset:756
	;; [unrolled: 1-line block ×3, first 2 shown]
	ds_read_b128 v[5:8], v60 offset:1376
	s_waitcnt vmcnt(58) lgkmcnt(1)
	v_mul_f64 v[83:84], v[11:12], v[89:90]
	s_waitcnt vmcnt(56)
	v_fma_f64 v[87:88], v[1:2], v[93:94], -v[86:87]
	v_mul_f64 v[79:80], v[9:10], v[89:90]
	v_add_f64 v[13:14], v[13:14], v[58:59]
	v_fma_f64 v[58:59], v[3:4], v[93:94], v[112:113]
	v_add_f64 v[15:16], v[15:16], v[35:36]
	s_clause 0x4
	buffer_load_dword v36, off, s[0:3], 0 offset:796
	buffer_load_dword v89, off, s[0:3], 0 offset:808
	;; [unrolled: 1-line block ×5, first 2 shown]
	s_waitcnt vmcnt(57) lgkmcnt(0)
	v_mul_f64 v[112:113], v[5:6], v[97:98]
	v_mul_f64 v[97:98], v[7:8], v[97:98]
	s_waitcnt vmcnt(56)
	v_fma_f64 v[83:84], v[9:10], v[91:92], -v[83:84]
	ds_read_b128 v[1:4], v60 offset:1392
	v_fma_f64 v[79:80], v[11:12], v[91:92], v[79:80]
	v_add_f64 v[13:14], v[13:14], v[87:88]
	v_add_f64 v[15:16], v[15:16], v[58:59]
	s_clause 0x2
	buffer_load_dword v90, off, s[0:3], 0 offset:812
	buffer_load_dword v59, off, s[0:3], 0 offset:788
	;; [unrolled: 1-line block ×3, first 2 shown]
	ds_read_b128 v[9:12], v60 offset:1408
	s_waitcnt vmcnt(58) lgkmcnt(1)
	v_mul_f64 v[91:92], v[3:4], v[99:100]
	s_waitcnt vmcnt(56)
	v_fma_f64 v[97:98], v[5:6], v[104:105], -v[97:98]
	v_mul_f64 v[87:88], v[1:2], v[99:100]
	v_add_f64 v[13:14], v[13:14], v[83:84]
	v_fma_f64 v[83:84], v[7:8], v[104:105], v[112:113]
	v_add_f64 v[15:16], v[15:16], v[79:80]
	s_clause 0x4
	buffer_load_dword v80, off, s[0:3], 0 offset:828
	buffer_load_dword v99, off, s[0:3], 0 offset:840
	;; [unrolled: 1-line block ×5, first 2 shown]
	ds_read_b128 v[5:8], v60 offset:1424
	s_waitcnt vmcnt(57) lgkmcnt(1)
	v_mul_f64 v[104:105], v[9:10], v[95:96]
	v_mul_f64 v[95:96], v[11:12], v[95:96]
	s_waitcnt vmcnt(56)
	v_fma_f64 v[91:92], v[1:2], v[101:102], -v[91:92]
	v_fma_f64 v[87:88], v[3:4], v[101:102], v[87:88]
	v_add_f64 v[13:14], v[13:14], v[97:98]
	v_add_f64 v[15:16], v[15:16], v[83:84]
	s_clause 0x2
	buffer_load_dword v100, off, s[0:3], 0 offset:844
	buffer_load_dword v84, off, s[0:3], 0 offset:820
	;; [unrolled: 1-line block ×3, first 2 shown]
	ds_read_b128 v[1:4], v60 offset:1440
	s_waitcnt vmcnt(58) lgkmcnt(1)
	v_mul_f64 v[101:102], v[7:8], v[108:109]
	v_mul_f64 v[97:98], v[5:6], v[108:109]
	s_waitcnt vmcnt(56)
	v_fma_f64 v[95:96], v[9:10], v[69:70], -v[95:96]
	v_fma_f64 v[69:70], v[11:12], v[69:70], v[104:105]
	buffer_load_dword v104, off, s[0:3], 0 offset:836
	ds_read_b128 v[9:12], v60 offset:1456
	v_add_f64 v[13:14], v[13:14], v[91:92]
	v_add_f64 v[15:16], v[15:16], v[87:88]
	s_waitcnt vmcnt(53) lgkmcnt(1)
	v_mul_f64 v[87:88], v[1:2], v[25:26]
	v_mul_f64 v[25:26], v[3:4], v[25:26]
	s_waitcnt vmcnt(52)
	v_fma_f64 v[91:92], v[5:6], v[110:111], -v[101:102]
	v_add_f64 v[13:14], v[13:14], v[95:96]
	v_fma_f64 v[95:96], v[7:8], v[110:111], v[97:98]
	v_add_f64 v[15:16], v[15:16], v[69:70]
	ds_read_b128 v[5:8], v60 offset:1472
	s_waitcnt vmcnt(51) lgkmcnt(1)
	v_mul_f64 v[69:70], v[9:10], v[71:72]
	v_mul_f64 v[71:72], v[11:12], v[71:72]
	s_waitcnt vmcnt(49)
	v_fma_f64 v[25:26], v[1:2], v[19:20], -v[25:26]
	v_fma_f64 v[19:20], v[3:4], v[19:20], v[87:88]
	v_add_f64 v[13:14], v[13:14], v[91:92]
	s_clause 0x3
	buffer_load_dword v87, off, s[0:3], 0 offset:304
	buffer_load_dword v88, off, s[0:3], 0 offset:308
	;; [unrolled: 1-line block ×4, first 2 shown]
	v_add_f64 v[15:16], v[15:16], v[95:96]
	ds_read_b128 v[1:4], v60 offset:1488
	s_waitcnt vmcnt(49) lgkmcnt(1)
	v_mul_f64 v[95:96], v[5:6], v[63:64]
	v_mul_f64 v[63:64], v[7:8], v[63:64]
	s_waitcnt vmcnt(48)
	v_fma_f64 v[71:72], v[9:10], v[106:107], -v[71:72]
	v_add_f64 v[13:14], v[13:14], v[25:26]
	v_fma_f64 v[25:26], v[11:12], v[106:107], v[69:70]
	v_add_f64 v[15:16], v[15:16], v[19:20]
	ds_read_b128 v[9:12], v60 offset:1504
	s_waitcnt vmcnt(47) lgkmcnt(1)
	v_mul_f64 v[19:20], v[1:2], v[65:66]
	v_mul_f64 v[65:66], v[3:4], v[65:66]
	s_waitcnt vmcnt(45)
	v_fma_f64 v[63:64], v[5:6], v[21:22], -v[63:64]
	v_fma_f64 v[21:22], v[7:8], v[21:22], v[95:96]
	ds_read_b128 v[5:8], v60 offset:1520
	v_add_f64 v[13:14], v[13:14], v[71:72]
	v_add_f64 v[15:16], v[15:16], v[25:26]
	s_waitcnt vmcnt(41) lgkmcnt(1)
	v_mul_f64 v[25:26], v[9:10], v[17:18]
	v_mul_f64 v[17:18], v[11:12], v[17:18]
	s_waitcnt vmcnt(40)
	v_fma_f64 v[65:66], v[1:2], v[73:74], -v[65:66]
	v_fma_f64 v[19:20], v[3:4], v[73:74], v[19:20]
	ds_read_b128 v[1:4], v60 offset:1536
	v_add_f64 v[13:14], v[13:14], v[63:64]
	v_add_f64 v[15:16], v[15:16], v[21:22]
	;; [unrolled: 9-line block ×3, first 2 shown]
	s_waitcnt vmcnt(33) lgkmcnt(1)
	v_mul_f64 v[19:20], v[1:2], v[23:24]
	v_mul_f64 v[23:24], v[3:4], v[23:24]
	s_waitcnt vmcnt(32)
	v_fma_f64 v[27:28], v[5:6], v[67:68], -v[37:38]
	v_add_f64 v[13:14], v[13:14], v[17:18]
	v_fma_f64 v[17:18], v[7:8], v[67:68], v[21:22]
	v_add_f64 v[15:16], v[15:16], v[25:26]
	ds_read_b128 v[5:8], v60 offset:1568
	s_waitcnt vmcnt(31) lgkmcnt(1)
	v_mul_f64 v[25:26], v[11:12], v[75:76]
	v_mul_f64 v[21:22], v[9:10], v[75:76]
	s_waitcnt vmcnt(29)
	v_fma_f64 v[19:20], v[3:4], v[33:34], v[19:20]
	v_fma_f64 v[23:24], v[1:2], v[33:34], -v[23:24]
	ds_read_b128 v[1:4], v60 offset:1584
	v_add_f64 v[13:14], v[13:14], v[27:28]
	v_add_f64 v[15:16], v[15:16], v[17:18]
	s_waitcnt vmcnt(25) lgkmcnt(1)
	v_mul_f64 v[27:28], v[7:8], v[29:30]
	s_waitcnt vmcnt(24)
	v_fma_f64 v[25:26], v[9:10], v[77:78], -v[25:26]
	v_mul_f64 v[17:18], v[5:6], v[29:30]
	v_fma_f64 v[21:22], v[11:12], v[77:78], v[21:22]
	ds_read_b128 v[9:12], v60 offset:1600
	v_add_f64 v[13:14], v[13:14], v[23:24]
	v_add_f64 v[15:16], v[15:16], v[19:20]
	s_waitcnt vmcnt(23) lgkmcnt(1)
	v_mul_f64 v[23:24], v[3:4], v[81:82]
	v_mul_f64 v[19:20], v[1:2], v[81:82]
	s_waitcnt vmcnt(21)
	v_fma_f64 v[27:28], v[5:6], v[31:32], -v[27:28]
	v_fma_f64 v[17:18], v[7:8], v[31:32], v[17:18]
	ds_read_b128 v[5:8], v60 offset:1616
	v_add_f64 v[13:14], v[13:14], v[25:26]
	v_add_f64 v[15:16], v[15:16], v[21:22]
	s_waitcnt vmcnt(17) lgkmcnt(1)
	v_mul_f64 v[25:26], v[11:12], v[35:36]
	s_waitcnt vmcnt(16)
	v_fma_f64 v[23:24], v[1:2], v[85:86], -v[23:24]
	v_mul_f64 v[21:22], v[9:10], v[35:36]
	v_fma_f64 v[19:20], v[3:4], v[85:86], v[19:20]
	ds_read_b128 v[1:4], v60 offset:1632
	v_add_f64 v[13:14], v[13:14], v[27:28]
	v_add_f64 v[15:16], v[15:16], v[17:18]
	s_waitcnt vmcnt(15) lgkmcnt(1)
	v_mul_f64 v[27:28], v[7:8], v[89:90]
	v_mul_f64 v[17:18], v[5:6], v[89:90]
	s_waitcnt vmcnt(13)
	v_fma_f64 v[25:26], v[9:10], v[58:59], -v[25:26]
	v_fma_f64 v[21:22], v[11:12], v[58:59], v[21:22]
	ds_read_b128 v[9:12], v60 offset:1648
	v_add_f64 v[13:14], v[13:14], v[23:24]
	v_add_f64 v[15:16], v[15:16], v[19:20]
	s_waitcnt vmcnt(9) lgkmcnt(1)
	v_mul_f64 v[23:24], v[3:4], v[79:80]
	s_waitcnt vmcnt(8)
	v_fma_f64 v[5:6], v[5:6], v[93:94], -v[27:28]
	v_mul_f64 v[19:20], v[1:2], v[79:80]
	v_fma_f64 v[7:8], v[7:8], v[93:94], v[17:18]
	v_add_f64 v[13:14], v[13:14], v[25:26]
	v_add_f64 v[15:16], v[15:16], v[21:22]
	s_waitcnt vmcnt(7) lgkmcnt(0)
	v_mul_f64 v[21:22], v[11:12], v[99:100]
	v_mul_f64 v[17:18], v[9:10], v[99:100]
	s_waitcnt vmcnt(5)
	v_fma_f64 v[1:2], v[1:2], v[83:84], -v[23:24]
	v_fma_f64 v[3:4], v[3:4], v[83:84], v[19:20]
	v_add_f64 v[5:6], v[13:14], v[5:6]
	v_add_f64 v[7:8], v[15:16], v[7:8]
	s_waitcnt vmcnt(4)
	v_fma_f64 v[9:10], v[9:10], v[103:104], -v[21:22]
	v_add_f64 v[1:2], v[5:6], v[1:2]
	v_fma_f64 v[5:6], v[11:12], v[103:104], v[17:18]
	v_add_f64 v[3:4], v[7:8], v[3:4]
	v_add_f64 v[1:2], v[1:2], v[9:10]
	;; [unrolled: 1-line block ×3, first 2 shown]
	s_waitcnt vmcnt(2)
	v_add_f64 v[1:2], v[87:88], -v[1:2]
	s_waitcnt vmcnt(0)
	v_add_f64 v[3:4], v[91:92], -v[3:4]
	buffer_store_dword v2, off, s[0:3], 0 offset:308
	buffer_store_dword v1, off, s[0:3], 0 offset:304
	buffer_store_dword v4, off, s[0:3], 0 offset:316
	buffer_store_dword v3, off, s[0:3], 0 offset:312
	v_cmpx_lt_u32_e32 17, v0
	s_cbranch_execz .LBB51_291
; %bb.290:
	v_mov_b32_e32 v4, s47
	s_clause 0x3
	buffer_load_dword v1, v4, s[0:3], 0 offen
	buffer_load_dword v2, v4, s[0:3], 0 offen offset:4
	buffer_load_dword v3, v4, s[0:3], 0 offen offset:8
	;; [unrolled: 1-line block ×3, first 2 shown]
	buffer_store_dword v60, off, s[0:3], 0 offset:288
	buffer_store_dword v60, off, s[0:3], 0 offset:292
	;; [unrolled: 1-line block ×4, first 2 shown]
	s_waitcnt vmcnt(0)
	ds_write_b128 v39, v[1:4]
.LBB51_291:
	s_or_b32 exec_lo, exec_lo, s4
	s_waitcnt lgkmcnt(0)
	s_waitcnt_vscnt null, 0x0
	s_barrier
	buffer_gl0_inv
	s_clause 0x37
	buffer_load_dword v9, off, s[0:3], 0 offset:312
	buffer_load_dword v10, off, s[0:3], 0 offset:316
	;; [unrolled: 1-line block ×56, first 2 shown]
	ds_read_b128 v[73:76], v60 offset:1120
	s_clause 0x2
	buffer_load_dword v92, off, s[0:3], 0 offset:540
	buffer_load_dword v94, off, s[0:3], 0 offset:516
	;; [unrolled: 1-line block ×3, first 2 shown]
	ds_read_b128 v[77:80], v60 offset:1136
	s_clause 0x4
	buffer_load_dword v98, off, s[0:3], 0 offset:556
	buffer_load_dword v99, off, s[0:3], 0 offset:568
	;; [unrolled: 1-line block ×5, first 2 shown]
	ds_read_b128 v[81:84], v60 offset:1152
	s_clause 0x2
	buffer_load_dword v100, off, s[0:3], 0 offset:572
	buffer_load_dword v105, off, s[0:3], 0 offset:548
	;; [unrolled: 1-line block ×3, first 2 shown]
	s_mov_b32 s4, exec_lo
	s_waitcnt vmcnt(62) lgkmcnt(2)
	v_mul_f64 v[95:96], v[75:76], v[9:10]
	v_mul_f64 v[9:10], v[73:74], v[9:10]
	s_waitcnt lgkmcnt(1)
	v_mul_f64 v[102:103], v[79:80], v[5:6]
	s_waitcnt vmcnt(59) lgkmcnt(0)
	v_mul_f64 v[106:107], v[83:84], v[3:4]
	v_fma_f64 v[73:74], v[73:74], v[7:8], -v[95:96]
	v_mul_f64 v[95:96], v[77:78], v[5:6]
	v_fma_f64 v[9:10], v[75:76], v[7:8], v[9:10]
	s_waitcnt vmcnt(57)
	v_fma_f64 v[77:78], v[77:78], v[1:2], -v[102:103]
	ds_read_b128 v[5:8], v60 offset:1168
	v_mul_f64 v[75:76], v[81:82], v[3:4]
	s_waitcnt vmcnt(51)
	v_fma_f64 v[81:82], v[81:82], v[25:26], -v[106:107]
	v_add_f64 v[73:74], v[73:74], 0
	v_fma_f64 v[79:80], v[79:80], v[1:2], v[95:96]
	v_add_f64 v[9:10], v[9:10], 0
	s_clause 0x4
	buffer_load_dword v96, off, s[0:3], 0 offset:588
	buffer_load_dword v108, off, s[0:3], 0 offset:600
	;; [unrolled: 1-line block ×5, first 2 shown]
	s_waitcnt lgkmcnt(0)
	v_mul_f64 v[111:112], v[5:6], v[13:14]
	v_mul_f64 v[13:14], v[7:8], v[13:14]
	ds_read_b128 v[1:4], v60 offset:1184
	v_fma_f64 v[25:26], v[83:84], v[25:26], v[75:76]
	v_add_f64 v[77:78], v[73:74], v[77:78]
	v_add_f64 v[9:10], v[9:10], v[79:80]
	s_clause 0x2
	buffer_load_dword v109, off, s[0:3], 0 offset:604
	buffer_load_dword v80, off, s[0:3], 0 offset:580
	;; [unrolled: 1-line block ×3, first 2 shown]
	s_waitcnt vmcnt(58) lgkmcnt(0)
	v_mul_f64 v[83:84], v[1:2], v[17:18]
	v_mul_f64 v[17:18], v[3:4], v[17:18]
	s_waitcnt vmcnt(56)
	v_fma_f64 v[13:14], v[5:6], v[19:20], -v[13:14]
	ds_read_b128 v[73:76], v60 offset:1200
	v_fma_f64 v[19:20], v[7:8], v[19:20], v[111:112]
	v_add_f64 v[77:78], v[77:78], v[81:82]
	v_add_f64 v[9:10], v[9:10], v[25:26]
	s_clause 0x4
	buffer_load_dword v26, off, s[0:3], 0 offset:620
	buffer_load_dword v81, off, s[0:3], 0 offset:632
	;; [unrolled: 1-line block ×5, first 2 shown]
	ds_read_b128 v[5:8], v60 offset:1216
	s_waitcnt vmcnt(57) lgkmcnt(1)
	v_mul_f64 v[112:113], v[73:74], v[21:22]
	v_mul_f64 v[21:22], v[75:76], v[21:22]
	s_waitcnt vmcnt(56)
	v_fma_f64 v[17:18], v[1:2], v[11:12], -v[17:18]
	v_fma_f64 v[11:12], v[3:4], v[11:12], v[83:84]
	v_add_f64 v[13:14], v[77:78], v[13:14]
	v_add_f64 v[9:10], v[9:10], v[19:20]
	s_clause 0x2
	buffer_load_dword v82, off, s[0:3], 0 offset:636
	buffer_load_dword v20, off, s[0:3], 0 offset:612
	;; [unrolled: 1-line block ×3, first 2 shown]
	s_waitcnt vmcnt(58) lgkmcnt(0)
	v_mul_f64 v[77:78], v[5:6], v[27:28]
	v_mul_f64 v[27:28], v[7:8], v[27:28]
	s_waitcnt vmcnt(56)
	v_fma_f64 v[21:22], v[73:74], v[29:30], -v[21:22]
	ds_read_b128 v[1:4], v60 offset:1232
	v_add_f64 v[13:14], v[13:14], v[17:18]
	v_fma_f64 v[17:18], v[75:76], v[29:30], v[112:113]
	v_add_f64 v[29:30], v[9:10], v[11:12]
	s_clause 0x4
	buffer_load_dword v74, off, s[0:3], 0 offset:652
	buffer_load_dword v75, off, s[0:3], 0 offset:664
	;; [unrolled: 1-line block ×5, first 2 shown]
	ds_read_b128 v[9:12], v60 offset:1248
	s_waitcnt vmcnt(57) lgkmcnt(1)
	v_mul_f64 v[112:113], v[1:2], v[31:32]
	v_mul_f64 v[31:32], v[3:4], v[31:32]
	s_waitcnt vmcnt(56)
	v_fma_f64 v[27:28], v[5:6], v[15:16], -v[27:28]
	v_fma_f64 v[15:16], v[7:8], v[15:16], v[77:78]
	v_add_f64 v[13:14], v[13:14], v[21:22]
	s_clause 0x2
	buffer_load_dword v76, off, s[0:3], 0 offset:668
	buffer_load_dword v22, off, s[0:3], 0 offset:644
	;; [unrolled: 1-line block ×3, first 2 shown]
	v_add_f64 v[17:18], v[29:30], v[17:18]
	s_waitcnt vmcnt(58) lgkmcnt(0)
	v_mul_f64 v[29:30], v[9:10], v[35:36]
	v_mul_f64 v[35:36], v[11:12], v[35:36]
	ds_read_b128 v[5:8], v60 offset:1264
	s_waitcnt vmcnt(56)
	v_fma_f64 v[31:32], v[1:2], v[37:38], -v[31:32]
	v_add_f64 v[13:14], v[13:14], v[27:28]
	v_fma_f64 v[27:28], v[3:4], v[37:38], v[112:113]
	v_add_f64 v[15:16], v[17:18], v[15:16]
	s_clause 0x4
	buffer_load_dword v18, off, s[0:3], 0 offset:684
	buffer_load_dword v37, off, s[0:3], 0 offset:696
	;; [unrolled: 1-line block ×5, first 2 shown]
	s_waitcnt vmcnt(57) lgkmcnt(0)
	v_mul_f64 v[112:113], v[5:6], v[58:59]
	v_mul_f64 v[58:59], v[7:8], v[58:59]
	s_waitcnt vmcnt(56)
	v_fma_f64 v[35:36], v[9:10], v[23:24], -v[35:36]
	ds_read_b128 v[1:4], v60 offset:1280
	v_fma_f64 v[23:24], v[11:12], v[23:24], v[29:30]
	v_add_f64 v[13:14], v[13:14], v[31:32]
	v_add_f64 v[15:16], v[15:16], v[27:28]
	s_clause 0x2
	buffer_load_dword v38, off, s[0:3], 0 offset:700
	buffer_load_dword v28, off, s[0:3], 0 offset:676
	;; [unrolled: 1-line block ×3, first 2 shown]
	ds_read_b128 v[9:12], v60 offset:1296
	s_waitcnt vmcnt(58) lgkmcnt(1)
	v_mul_f64 v[31:32], v[3:4], v[65:66]
	s_waitcnt vmcnt(56)
	v_fma_f64 v[58:59], v[5:6], v[67:68], -v[58:59]
	v_mul_f64 v[29:30], v[1:2], v[65:66]
	v_add_f64 v[13:14], v[13:14], v[35:36]
	v_fma_f64 v[35:36], v[7:8], v[67:68], v[112:113]
	v_add_f64 v[15:16], v[15:16], v[23:24]
	s_clause 0x4
	buffer_load_dword v24, off, s[0:3], 0 offset:716
	buffer_load_dword v65, off, s[0:3], 0 offset:728
	;; [unrolled: 1-line block ×5, first 2 shown]
	s_waitcnt vmcnt(57) lgkmcnt(0)
	v_mul_f64 v[112:113], v[9:10], v[69:70]
	v_mul_f64 v[68:69], v[11:12], v[69:70]
	s_waitcnt vmcnt(56)
	v_fma_f64 v[31:32], v[1:2], v[33:34], -v[31:32]
	ds_read_b128 v[5:8], v60 offset:1312
	v_fma_f64 v[29:30], v[3:4], v[33:34], v[29:30]
	s_clause 0x2
	buffer_load_dword v66, off, s[0:3], 0 offset:732
	buffer_load_dword v34, off, s[0:3], 0 offset:708
	;; [unrolled: 1-line block ×3, first 2 shown]
	ds_read_b128 v[1:4], v60 offset:1328
	v_add_f64 v[13:14], v[13:14], v[58:59]
	v_add_f64 v[15:16], v[15:16], v[35:36]
	s_waitcnt vmcnt(58) lgkmcnt(1)
	v_mul_f64 v[58:59], v[7:8], v[85:86]
	s_waitcnt vmcnt(56)
	v_fma_f64 v[69:70], v[9:10], v[87:88], -v[68:69]
	v_mul_f64 v[35:36], v[5:6], v[85:86]
	v_add_f64 v[13:14], v[13:14], v[31:32]
	v_fma_f64 v[31:32], v[11:12], v[87:88], v[112:113]
	v_add_f64 v[15:16], v[15:16], v[29:30]
	s_clause 0x4
	buffer_load_dword v30, off, s[0:3], 0 offset:748
	buffer_load_dword v85, off, s[0:3], 0 offset:760
	;; [unrolled: 1-line block ×5, first 2 shown]
	s_waitcnt vmcnt(57) lgkmcnt(0)
	v_mul_f64 v[112:113], v[1:2], v[89:90]
	v_mul_f64 v[88:89], v[3:4], v[89:90]
	s_waitcnt vmcnt(56)
	v_fma_f64 v[58:59], v[5:6], v[63:64], -v[58:59]
	ds_read_b128 v[9:12], v60 offset:1344
	v_fma_f64 v[35:36], v[7:8], v[63:64], v[35:36]
	v_add_f64 v[13:14], v[13:14], v[69:70]
	v_add_f64 v[15:16], v[15:16], v[31:32]
	s_clause 0x2
	buffer_load_dword v86, off, s[0:3], 0 offset:764
	buffer_load_dword v32, off, s[0:3], 0 offset:740
	;; [unrolled: 1-line block ×3, first 2 shown]
	ds_read_b128 v[5:8], v60 offset:1360
	s_waitcnt vmcnt(58) lgkmcnt(1)
	v_mul_f64 v[69:70], v[11:12], v[91:92]
	s_waitcnt vmcnt(56)
	v_fma_f64 v[89:90], v[1:2], v[93:94], -v[88:89]
	v_mul_f64 v[63:64], v[9:10], v[91:92]
	v_add_f64 v[13:14], v[13:14], v[58:59]
	v_fma_f64 v[58:59], v[3:4], v[93:94], v[112:113]
	v_add_f64 v[15:16], v[15:16], v[35:36]
	s_clause 0x4
	buffer_load_dword v36, off, s[0:3], 0 offset:780
	buffer_load_dword v91, off, s[0:3], 0 offset:792
	;; [unrolled: 1-line block ×5, first 2 shown]
	s_waitcnt vmcnt(57) lgkmcnt(0)
	v_mul_f64 v[112:113], v[5:6], v[97:98]
	v_mul_f64 v[97:98], v[7:8], v[97:98]
	s_waitcnt vmcnt(56)
	v_fma_f64 v[69:70], v[9:10], v[71:72], -v[69:70]
	ds_read_b128 v[1:4], v60 offset:1376
	v_fma_f64 v[63:64], v[11:12], v[71:72], v[63:64]
	v_add_f64 v[13:14], v[13:14], v[89:90]
	v_add_f64 v[15:16], v[15:16], v[58:59]
	s_clause 0x2
	buffer_load_dword v92, off, s[0:3], 0 offset:796
	buffer_load_dword v59, off, s[0:3], 0 offset:772
	;; [unrolled: 1-line block ×3, first 2 shown]
	ds_read_b128 v[9:12], v60 offset:1392
	s_waitcnt vmcnt(58) lgkmcnt(1)
	v_mul_f64 v[89:90], v[3:4], v[99:100]
	s_waitcnt vmcnt(56)
	v_fma_f64 v[97:98], v[5:6], v[104:105], -v[97:98]
	v_mul_f64 v[71:72], v[1:2], v[99:100]
	v_add_f64 v[13:14], v[13:14], v[69:70]
	v_fma_f64 v[69:70], v[7:8], v[104:105], v[112:113]
	v_add_f64 v[15:16], v[15:16], v[63:64]
	s_clause 0x4
	buffer_load_dword v64, off, s[0:3], 0 offset:812
	buffer_load_dword v99, off, s[0:3], 0 offset:824
	;; [unrolled: 1-line block ×5, first 2 shown]
	ds_read_b128 v[5:8], v60 offset:1408
	s_waitcnt vmcnt(57) lgkmcnt(1)
	v_mul_f64 v[104:105], v[9:10], v[95:96]
	v_mul_f64 v[95:96], v[11:12], v[95:96]
	s_waitcnt vmcnt(56)
	v_fma_f64 v[89:90], v[1:2], v[101:102], -v[89:90]
	v_fma_f64 v[71:72], v[3:4], v[101:102], v[71:72]
	v_add_f64 v[13:14], v[13:14], v[97:98]
	v_add_f64 v[15:16], v[15:16], v[69:70]
	s_clause 0x2
	buffer_load_dword v100, off, s[0:3], 0 offset:828
	buffer_load_dword v70, off, s[0:3], 0 offset:804
	;; [unrolled: 1-line block ×3, first 2 shown]
	ds_read_b128 v[1:4], v60 offset:1424
	s_waitcnt vmcnt(58) lgkmcnt(1)
	v_mul_f64 v[101:102], v[7:8], v[108:109]
	v_mul_f64 v[97:98], v[5:6], v[108:109]
	s_waitcnt vmcnt(56)
	v_fma_f64 v[95:96], v[9:10], v[79:80], -v[95:96]
	v_fma_f64 v[79:80], v[11:12], v[79:80], v[104:105]
	v_add_f64 v[13:14], v[13:14], v[89:90]
	v_add_f64 v[15:16], v[15:16], v[71:72]
	s_clause 0x2
	buffer_load_dword v72, off, s[0:3], 0 offset:844
	buffer_load_dword v71, off, s[0:3], 0 offset:840
	;; [unrolled: 1-line block ×3, first 2 shown]
	ds_read_b128 v[9:12], v60 offset:1440
	s_waitcnt vmcnt(55) lgkmcnt(1)
	v_mul_f64 v[89:90], v[1:2], v[25:26]
	v_mul_f64 v[25:26], v[3:4], v[25:26]
	s_waitcnt vmcnt(54)
	v_fma_f64 v[101:102], v[5:6], v[110:111], -v[101:102]
	v_add_f64 v[13:14], v[13:14], v[95:96]
	v_fma_f64 v[95:96], v[7:8], v[110:111], v[97:98]
	v_add_f64 v[15:16], v[15:16], v[79:80]
	s_clause 0x1
	buffer_load_dword v80, off, s[0:3], 0 offset:836
	buffer_load_dword v79, off, s[0:3], 0 offset:832
	ds_read_b128 v[5:8], v60 offset:1456
	s_waitcnt vmcnt(55) lgkmcnt(1)
	v_mul_f64 v[97:98], v[9:10], v[81:82]
	v_mul_f64 v[81:82], v[11:12], v[81:82]
	s_waitcnt vmcnt(53)
	v_fma_f64 v[25:26], v[1:2], v[19:20], -v[25:26]
	v_fma_f64 v[19:20], v[3:4], v[19:20], v[89:90]
	ds_read_b128 v[1:4], v60 offset:1472
	v_add_f64 v[13:14], v[13:14], v[101:102]
	v_add_f64 v[15:16], v[15:16], v[95:96]
	s_waitcnt vmcnt(49) lgkmcnt(1)
	v_mul_f64 v[89:90], v[5:6], v[73:74]
	v_mul_f64 v[73:74], v[7:8], v[73:74]
	s_waitcnt vmcnt(48)
	v_fma_f64 v[81:82], v[9:10], v[106:107], -v[81:82]
	v_add_f64 v[13:14], v[13:14], v[25:26]
	v_fma_f64 v[25:26], v[11:12], v[106:107], v[97:98]
	v_add_f64 v[15:16], v[15:16], v[19:20]
	s_clause 0x3
	buffer_load_dword v19, off, s[0:3], 0 offset:288
	buffer_load_dword v20, off, s[0:3], 0 offset:292
	;; [unrolled: 1-line block ×4, first 2 shown]
	ds_read_b128 v[9:12], v60 offset:1488
	s_waitcnt vmcnt(51) lgkmcnt(1)
	v_mul_f64 v[97:98], v[1:2], v[75:76]
	v_mul_f64 v[75:76], v[3:4], v[75:76]
	s_waitcnt vmcnt(49)
	v_fma_f64 v[73:74], v[5:6], v[21:22], -v[73:74]
	v_fma_f64 v[21:22], v[7:8], v[21:22], v[89:90]
	ds_read_b128 v[5:8], v60 offset:1504
	v_add_f64 v[13:14], v[13:14], v[81:82]
	v_add_f64 v[15:16], v[15:16], v[25:26]
	s_waitcnt vmcnt(45) lgkmcnt(1)
	v_mul_f64 v[25:26], v[9:10], v[17:18]
	v_mul_f64 v[17:18], v[11:12], v[17:18]
	s_waitcnt vmcnt(44)
	v_fma_f64 v[75:76], v[1:2], v[83:84], -v[75:76]
	v_add_f64 v[13:14], v[13:14], v[73:74]
	v_fma_f64 v[73:74], v[3:4], v[83:84], v[97:98]
	v_add_f64 v[15:16], v[15:16], v[21:22]
	ds_read_b128 v[1:4], v60 offset:1520
	s_waitcnt vmcnt(43) lgkmcnt(1)
	v_mul_f64 v[21:22], v[5:6], v[37:38]
	v_mul_f64 v[37:38], v[7:8], v[37:38]
	s_waitcnt vmcnt(41)
	v_fma_f64 v[17:18], v[9:10], v[27:28], -v[17:18]
	v_fma_f64 v[25:26], v[11:12], v[27:28], v[25:26]
	ds_read_b128 v[9:12], v60 offset:1536
	v_add_f64 v[13:14], v[13:14], v[75:76]
	v_add_f64 v[15:16], v[15:16], v[73:74]
	s_waitcnt vmcnt(37) lgkmcnt(1)
	v_mul_f64 v[27:28], v[1:2], v[23:24]
	v_mul_f64 v[23:24], v[3:4], v[23:24]
	s_waitcnt vmcnt(36)
	v_fma_f64 v[37:38], v[5:6], v[77:78], -v[37:38]
	v_add_f64 v[13:14], v[13:14], v[17:18]
	v_fma_f64 v[17:18], v[7:8], v[77:78], v[21:22]
	v_add_f64 v[15:16], v[15:16], v[25:26]
	s_waitcnt vmcnt(35) lgkmcnt(0)
	v_mul_f64 v[25:26], v[11:12], v[65:66]
	ds_read_b128 v[5:8], v60 offset:1552
	v_mul_f64 v[21:22], v[9:10], v[65:66]
	s_waitcnt vmcnt(33)
	v_fma_f64 v[27:28], v[3:4], v[33:34], v[27:28]
	v_fma_f64 v[23:24], v[1:2], v[33:34], -v[23:24]
	ds_read_b128 v[1:4], v60 offset:1568
	v_add_f64 v[13:14], v[13:14], v[37:38]
	v_add_f64 v[15:16], v[15:16], v[17:18]
	s_waitcnt vmcnt(29) lgkmcnt(1)
	v_mul_f64 v[17:18], v[5:6], v[29:30]
	v_mul_f64 v[29:30], v[7:8], v[29:30]
	s_waitcnt vmcnt(28)
	v_fma_f64 v[25:26], v[9:10], v[67:68], -v[25:26]
	v_fma_f64 v[21:22], v[11:12], v[67:68], v[21:22]
	ds_read_b128 v[9:12], v60 offset:1584
	v_add_f64 v[13:14], v[13:14], v[23:24]
	v_add_f64 v[15:16], v[15:16], v[27:28]
	s_waitcnt vmcnt(27) lgkmcnt(1)
	v_mul_f64 v[27:28], v[3:4], v[85:86]
	v_mul_f64 v[23:24], v[1:2], v[85:86]
	s_waitcnt vmcnt(25)
	v_fma_f64 v[29:30], v[5:6], v[31:32], -v[29:30]
	v_fma_f64 v[17:18], v[7:8], v[31:32], v[17:18]
	ds_read_b128 v[5:8], v60 offset:1600
	v_add_f64 v[13:14], v[13:14], v[25:26]
	v_add_f64 v[15:16], v[15:16], v[21:22]
	s_waitcnt vmcnt(21) lgkmcnt(1)
	v_mul_f64 v[25:26], v[11:12], v[35:36]
	s_waitcnt vmcnt(20)
	v_fma_f64 v[27:28], v[1:2], v[87:88], -v[27:28]
	v_mul_f64 v[21:22], v[9:10], v[35:36]
	v_fma_f64 v[23:24], v[3:4], v[87:88], v[23:24]
	ds_read_b128 v[1:4], v60 offset:1616
	v_add_f64 v[13:14], v[13:14], v[29:30]
	v_add_f64 v[15:16], v[15:16], v[17:18]
	s_waitcnt vmcnt(19) lgkmcnt(1)
	v_mul_f64 v[29:30], v[7:8], v[91:92]
	v_mul_f64 v[17:18], v[5:6], v[91:92]
	s_waitcnt vmcnt(17)
	v_fma_f64 v[25:26], v[9:10], v[58:59], -v[25:26]
	v_fma_f64 v[21:22], v[11:12], v[58:59], v[21:22]
	ds_read_b128 v[9:12], v60 offset:1632
	v_add_f64 v[13:14], v[13:14], v[27:28]
	v_add_f64 v[15:16], v[15:16], v[23:24]
	s_waitcnt vmcnt(13) lgkmcnt(1)
	v_mul_f64 v[27:28], v[3:4], v[63:64]
	s_waitcnt vmcnt(12)
	v_fma_f64 v[29:30], v[5:6], v[93:94], -v[29:30]
	v_mul_f64 v[23:24], v[1:2], v[63:64]
	v_fma_f64 v[17:18], v[7:8], v[93:94], v[17:18]
	ds_read_b128 v[5:8], v60 offset:1648
	v_add_f64 v[13:14], v[13:14], v[25:26]
	v_add_f64 v[15:16], v[15:16], v[21:22]
	s_waitcnt vmcnt(11) lgkmcnt(1)
	v_mul_f64 v[25:26], v[11:12], v[99:100]
	v_mul_f64 v[21:22], v[9:10], v[99:100]
	s_waitcnt vmcnt(9)
	v_fma_f64 v[1:2], v[1:2], v[69:70], -v[27:28]
	v_fma_f64 v[3:4], v[3:4], v[69:70], v[23:24]
	v_add_f64 v[13:14], v[13:14], v[29:30]
	v_add_f64 v[15:16], v[15:16], v[17:18]
	s_waitcnt vmcnt(7) lgkmcnt(0)
	v_mul_f64 v[23:24], v[7:8], v[71:72]
	s_waitcnt vmcnt(6)
	v_fma_f64 v[9:10], v[9:10], v[103:104], -v[25:26]
	v_mul_f64 v[17:18], v[5:6], v[71:72]
	v_fma_f64 v[11:12], v[11:12], v[103:104], v[21:22]
	v_add_f64 v[1:2], v[13:14], v[1:2]
	v_add_f64 v[3:4], v[15:16], v[3:4]
	s_waitcnt vmcnt(4)
	v_fma_f64 v[5:6], v[5:6], v[79:80], -v[23:24]
	v_fma_f64 v[7:8], v[7:8], v[79:80], v[17:18]
	v_add_f64 v[1:2], v[1:2], v[9:10]
	v_add_f64 v[3:4], v[3:4], v[11:12]
	;; [unrolled: 1-line block ×4, first 2 shown]
	s_waitcnt vmcnt(2)
	v_add_f64 v[1:2], v[19:20], -v[1:2]
	s_waitcnt vmcnt(0)
	v_add_f64 v[3:4], v[95:96], -v[3:4]
	buffer_store_dword v2, off, s[0:3], 0 offset:292
	buffer_store_dword v1, off, s[0:3], 0 offset:288
	;; [unrolled: 1-line block ×4, first 2 shown]
	v_cmpx_lt_u32_e32 16, v0
	s_cbranch_execz .LBB51_293
; %bb.292:
	v_mov_b32_e32 v4, s48
	v_mov_b32_e32 v5, 0
	s_clause 0x3
	buffer_load_dword v1, v4, s[0:3], 0 offen
	buffer_load_dword v2, v4, s[0:3], 0 offen offset:4
	buffer_load_dword v3, v4, s[0:3], 0 offen offset:8
	;; [unrolled: 1-line block ×3, first 2 shown]
	buffer_store_dword v5, off, s[0:3], 0 offset:272
	buffer_store_dword v5, off, s[0:3], 0 offset:276
	;; [unrolled: 1-line block ×4, first 2 shown]
	s_waitcnt vmcnt(0)
	ds_write_b128 v39, v[1:4]
.LBB51_293:
	s_or_b32 exec_lo, exec_lo, s4
	s_waitcnt lgkmcnt(0)
	s_waitcnt_vscnt null, 0x0
	s_barrier
	buffer_gl0_inv
	s_clause 0x37
	buffer_load_dword v9, off, s[0:3], 0 offset:296
	buffer_load_dword v10, off, s[0:3], 0 offset:300
	;; [unrolled: 1-line block ×56, first 2 shown]
	v_mov_b32_e32 v60, 0
	s_mov_b32 s4, exec_lo
	ds_read_b128 v[81:84], v60 offset:1104
	s_clause 0x2
	buffer_load_dword v80, off, s[0:3], 0 offset:524
	buffer_load_dword v94, off, s[0:3], 0 offset:500
	;; [unrolled: 1-line block ×3, first 2 shown]
	ds_read_b128 v[85:88], v60 offset:1120
	s_clause 0x4
	buffer_load_dword v98, off, s[0:3], 0 offset:540
	buffer_load_dword v99, off, s[0:3], 0 offset:552
	;; [unrolled: 1-line block ×5, first 2 shown]
	ds_read_b128 v[89:92], v60 offset:1136
	s_clause 0x2
	buffer_load_dword v100, off, s[0:3], 0 offset:556
	buffer_load_dword v105, off, s[0:3], 0 offset:532
	;; [unrolled: 1-line block ×3, first 2 shown]
	s_waitcnt vmcnt(62) lgkmcnt(2)
	v_mul_f64 v[95:96], v[83:84], v[9:10]
	v_mul_f64 v[9:10], v[81:82], v[9:10]
	s_waitcnt lgkmcnt(1)
	v_mul_f64 v[102:103], v[87:88], v[5:6]
	s_waitcnt vmcnt(59) lgkmcnt(0)
	v_mul_f64 v[106:107], v[91:92], v[3:4]
	v_fma_f64 v[81:82], v[81:82], v[7:8], -v[95:96]
	v_mul_f64 v[95:96], v[85:86], v[5:6]
	v_fma_f64 v[9:10], v[83:84], v[7:8], v[9:10]
	s_waitcnt vmcnt(57)
	v_fma_f64 v[85:86], v[85:86], v[1:2], -v[102:103]
	ds_read_b128 v[5:8], v60 offset:1152
	v_mul_f64 v[83:84], v[89:90], v[3:4]
	s_waitcnt vmcnt(51)
	v_fma_f64 v[89:90], v[89:90], v[25:26], -v[106:107]
	v_add_f64 v[81:82], v[81:82], 0
	v_fma_f64 v[87:88], v[87:88], v[1:2], v[95:96]
	v_add_f64 v[9:10], v[9:10], 0
	s_clause 0x4
	buffer_load_dword v96, off, s[0:3], 0 offset:572
	buffer_load_dword v108, off, s[0:3], 0 offset:584
	;; [unrolled: 1-line block ×5, first 2 shown]
	s_waitcnt lgkmcnt(0)
	v_mul_f64 v[111:112], v[5:6], v[13:14]
	v_mul_f64 v[13:14], v[7:8], v[13:14]
	ds_read_b128 v[1:4], v60 offset:1168
	v_fma_f64 v[25:26], v[91:92], v[25:26], v[83:84]
	v_add_f64 v[85:86], v[81:82], v[85:86]
	v_add_f64 v[9:10], v[9:10], v[87:88]
	s_clause 0x2
	buffer_load_dword v109, off, s[0:3], 0 offset:588
	buffer_load_dword v88, off, s[0:3], 0 offset:564
	;; [unrolled: 1-line block ×3, first 2 shown]
	s_waitcnt vmcnt(58) lgkmcnt(0)
	v_mul_f64 v[91:92], v[1:2], v[17:18]
	v_mul_f64 v[17:18], v[3:4], v[17:18]
	s_waitcnt vmcnt(56)
	v_fma_f64 v[13:14], v[5:6], v[19:20], -v[13:14]
	ds_read_b128 v[81:84], v60 offset:1184
	v_fma_f64 v[19:20], v[7:8], v[19:20], v[111:112]
	v_add_f64 v[85:86], v[85:86], v[89:90]
	v_add_f64 v[9:10], v[9:10], v[25:26]
	s_clause 0x4
	buffer_load_dword v26, off, s[0:3], 0 offset:604
	buffer_load_dword v89, off, s[0:3], 0 offset:616
	;; [unrolled: 1-line block ×5, first 2 shown]
	ds_read_b128 v[5:8], v60 offset:1200
	s_waitcnt vmcnt(57) lgkmcnt(1)
	v_mul_f64 v[112:113], v[81:82], v[21:22]
	v_mul_f64 v[21:22], v[83:84], v[21:22]
	s_waitcnt vmcnt(56)
	v_fma_f64 v[17:18], v[1:2], v[11:12], -v[17:18]
	v_fma_f64 v[11:12], v[3:4], v[11:12], v[91:92]
	v_add_f64 v[13:14], v[85:86], v[13:14]
	v_add_f64 v[9:10], v[9:10], v[19:20]
	s_clause 0x2
	buffer_load_dword v90, off, s[0:3], 0 offset:620
	buffer_load_dword v20, off, s[0:3], 0 offset:596
	;; [unrolled: 1-line block ×3, first 2 shown]
	s_waitcnt vmcnt(58) lgkmcnt(0)
	v_mul_f64 v[85:86], v[5:6], v[27:28]
	v_mul_f64 v[27:28], v[7:8], v[27:28]
	s_waitcnt vmcnt(56)
	v_fma_f64 v[21:22], v[81:82], v[29:30], -v[21:22]
	ds_read_b128 v[1:4], v60 offset:1216
	v_add_f64 v[13:14], v[13:14], v[17:18]
	v_fma_f64 v[17:18], v[83:84], v[29:30], v[112:113]
	v_add_f64 v[29:30], v[9:10], v[11:12]
	s_clause 0x4
	buffer_load_dword v82, off, s[0:3], 0 offset:636
	buffer_load_dword v83, off, s[0:3], 0 offset:648
	;; [unrolled: 1-line block ×5, first 2 shown]
	ds_read_b128 v[9:12], v60 offset:1232
	s_waitcnt vmcnt(57) lgkmcnt(1)
	v_mul_f64 v[112:113], v[1:2], v[31:32]
	v_mul_f64 v[31:32], v[3:4], v[31:32]
	s_waitcnt vmcnt(56)
	v_fma_f64 v[27:28], v[5:6], v[15:16], -v[27:28]
	v_fma_f64 v[15:16], v[7:8], v[15:16], v[85:86]
	v_add_f64 v[13:14], v[13:14], v[21:22]
	s_clause 0x2
	buffer_load_dword v84, off, s[0:3], 0 offset:652
	buffer_load_dword v22, off, s[0:3], 0 offset:628
	;; [unrolled: 1-line block ×3, first 2 shown]
	v_add_f64 v[17:18], v[29:30], v[17:18]
	s_waitcnt vmcnt(58) lgkmcnt(0)
	v_mul_f64 v[29:30], v[9:10], v[35:36]
	v_mul_f64 v[35:36], v[11:12], v[35:36]
	ds_read_b128 v[5:8], v60 offset:1248
	s_waitcnt vmcnt(56)
	v_fma_f64 v[31:32], v[1:2], v[37:38], -v[31:32]
	v_add_f64 v[13:14], v[13:14], v[27:28]
	v_fma_f64 v[27:28], v[3:4], v[37:38], v[112:113]
	v_add_f64 v[15:16], v[17:18], v[15:16]
	s_clause 0x4
	buffer_load_dword v18, off, s[0:3], 0 offset:668
	buffer_load_dword v37, off, s[0:3], 0 offset:680
	buffer_load_dword v85, off, s[0:3], 0 offset:672
	buffer_load_dword v17, off, s[0:3], 0 offset:664
	buffer_load_dword v92, off, s[0:3], 0 offset:644
	s_waitcnt vmcnt(57) lgkmcnt(0)
	v_mul_f64 v[112:113], v[5:6], v[58:59]
	v_mul_f64 v[58:59], v[7:8], v[58:59]
	s_waitcnt vmcnt(56)
	v_fma_f64 v[35:36], v[9:10], v[23:24], -v[35:36]
	ds_read_b128 v[1:4], v60 offset:1264
	v_fma_f64 v[23:24], v[11:12], v[23:24], v[29:30]
	v_add_f64 v[13:14], v[13:14], v[31:32]
	v_add_f64 v[15:16], v[15:16], v[27:28]
	s_clause 0x2
	buffer_load_dword v38, off, s[0:3], 0 offset:684
	buffer_load_dword v28, off, s[0:3], 0 offset:660
	;; [unrolled: 1-line block ×3, first 2 shown]
	ds_read_b128 v[9:12], v60 offset:1280
	s_waitcnt vmcnt(58) lgkmcnt(1)
	v_mul_f64 v[31:32], v[3:4], v[65:66]
	s_waitcnt vmcnt(56)
	v_fma_f64 v[58:59], v[5:6], v[67:68], -v[58:59]
	v_mul_f64 v[29:30], v[1:2], v[65:66]
	v_add_f64 v[13:14], v[13:14], v[35:36]
	v_fma_f64 v[35:36], v[7:8], v[67:68], v[112:113]
	v_add_f64 v[15:16], v[15:16], v[23:24]
	s_clause 0x4
	buffer_load_dword v24, off, s[0:3], 0 offset:700
	buffer_load_dword v65, off, s[0:3], 0 offset:712
	;; [unrolled: 1-line block ×5, first 2 shown]
	s_waitcnt vmcnt(57) lgkmcnt(0)
	v_mul_f64 v[112:113], v[9:10], v[69:70]
	v_mul_f64 v[68:69], v[11:12], v[69:70]
	s_waitcnt vmcnt(56)
	v_fma_f64 v[31:32], v[1:2], v[33:34], -v[31:32]
	ds_read_b128 v[5:8], v60 offset:1296
	v_fma_f64 v[29:30], v[3:4], v[33:34], v[29:30]
	s_clause 0x2
	buffer_load_dword v66, off, s[0:3], 0 offset:716
	buffer_load_dword v34, off, s[0:3], 0 offset:692
	buffer_load_dword v33, off, s[0:3], 0 offset:688
	ds_read_b128 v[1:4], v60 offset:1312
	v_add_f64 v[13:14], v[13:14], v[58:59]
	v_add_f64 v[15:16], v[15:16], v[35:36]
	s_waitcnt vmcnt(58) lgkmcnt(1)
	v_mul_f64 v[58:59], v[7:8], v[73:74]
	s_waitcnt vmcnt(56)
	v_fma_f64 v[69:70], v[9:10], v[75:76], -v[68:69]
	v_mul_f64 v[35:36], v[5:6], v[73:74]
	v_add_f64 v[13:14], v[13:14], v[31:32]
	v_fma_f64 v[31:32], v[11:12], v[75:76], v[112:113]
	v_add_f64 v[15:16], v[15:16], v[29:30]
	s_clause 0x4
	buffer_load_dword v30, off, s[0:3], 0 offset:732
	buffer_load_dword v73, off, s[0:3], 0 offset:744
	;; [unrolled: 1-line block ×5, first 2 shown]
	s_waitcnt vmcnt(57) lgkmcnt(0)
	v_mul_f64 v[112:113], v[1:2], v[77:78]
	v_mul_f64 v[76:77], v[3:4], v[77:78]
	s_waitcnt vmcnt(56)
	v_fma_f64 v[58:59], v[5:6], v[63:64], -v[58:59]
	ds_read_b128 v[9:12], v60 offset:1328
	v_fma_f64 v[35:36], v[7:8], v[63:64], v[35:36]
	v_add_f64 v[13:14], v[13:14], v[69:70]
	v_add_f64 v[15:16], v[15:16], v[31:32]
	s_clause 0x2
	buffer_load_dword v74, off, s[0:3], 0 offset:748
	buffer_load_dword v32, off, s[0:3], 0 offset:724
	;; [unrolled: 1-line block ×3, first 2 shown]
	ds_read_b128 v[5:8], v60 offset:1344
	s_waitcnt vmcnt(58) lgkmcnt(1)
	v_mul_f64 v[69:70], v[11:12], v[79:80]
	s_waitcnt vmcnt(56)
	v_fma_f64 v[77:78], v[1:2], v[93:94], -v[76:77]
	v_mul_f64 v[63:64], v[9:10], v[79:80]
	v_add_f64 v[13:14], v[13:14], v[58:59]
	v_fma_f64 v[58:59], v[3:4], v[93:94], v[112:113]
	v_add_f64 v[15:16], v[15:16], v[35:36]
	s_clause 0x4
	buffer_load_dword v36, off, s[0:3], 0 offset:764
	buffer_load_dword v79, off, s[0:3], 0 offset:776
	;; [unrolled: 1-line block ×5, first 2 shown]
	s_waitcnt vmcnt(57) lgkmcnt(0)
	v_mul_f64 v[112:113], v[5:6], v[97:98]
	v_mul_f64 v[97:98], v[7:8], v[97:98]
	s_waitcnt vmcnt(56)
	v_fma_f64 v[69:70], v[9:10], v[71:72], -v[69:70]
	ds_read_b128 v[1:4], v60 offset:1360
	v_fma_f64 v[63:64], v[11:12], v[71:72], v[63:64]
	v_add_f64 v[13:14], v[13:14], v[77:78]
	v_add_f64 v[15:16], v[15:16], v[58:59]
	s_clause 0x2
	buffer_load_dword v80, off, s[0:3], 0 offset:780
	buffer_load_dword v59, off, s[0:3], 0 offset:756
	;; [unrolled: 1-line block ×3, first 2 shown]
	ds_read_b128 v[9:12], v60 offset:1376
	s_waitcnt vmcnt(58) lgkmcnt(1)
	v_mul_f64 v[77:78], v[3:4], v[99:100]
	s_waitcnt vmcnt(56)
	v_fma_f64 v[97:98], v[5:6], v[104:105], -v[97:98]
	v_mul_f64 v[71:72], v[1:2], v[99:100]
	v_add_f64 v[13:14], v[13:14], v[69:70]
	v_fma_f64 v[69:70], v[7:8], v[104:105], v[112:113]
	v_add_f64 v[15:16], v[15:16], v[63:64]
	s_clause 0x4
	buffer_load_dword v64, off, s[0:3], 0 offset:796
	buffer_load_dword v99, off, s[0:3], 0 offset:808
	;; [unrolled: 1-line block ×5, first 2 shown]
	ds_read_b128 v[5:8], v60 offset:1392
	s_waitcnt vmcnt(57) lgkmcnt(1)
	v_mul_f64 v[104:105], v[9:10], v[95:96]
	v_mul_f64 v[95:96], v[11:12], v[95:96]
	s_waitcnt vmcnt(56)
	v_fma_f64 v[77:78], v[1:2], v[101:102], -v[77:78]
	v_fma_f64 v[71:72], v[3:4], v[101:102], v[71:72]
	v_add_f64 v[13:14], v[13:14], v[97:98]
	v_add_f64 v[15:16], v[15:16], v[69:70]
	s_clause 0x2
	buffer_load_dword v100, off, s[0:3], 0 offset:812
	buffer_load_dword v70, off, s[0:3], 0 offset:788
	;; [unrolled: 1-line block ×3, first 2 shown]
	ds_read_b128 v[1:4], v60 offset:1408
	s_waitcnt vmcnt(58) lgkmcnt(1)
	v_mul_f64 v[101:102], v[7:8], v[108:109]
	v_mul_f64 v[97:98], v[5:6], v[108:109]
	s_waitcnt vmcnt(56)
	v_fma_f64 v[95:96], v[9:10], v[87:88], -v[95:96]
	v_add_f64 v[13:14], v[13:14], v[77:78]
	v_fma_f64 v[77:78], v[11:12], v[87:88], v[104:105]
	v_add_f64 v[15:16], v[15:16], v[71:72]
	s_clause 0x4
	buffer_load_dword v72, off, s[0:3], 0 offset:828
	buffer_load_dword v87, off, s[0:3], 0 offset:840
	;; [unrolled: 1-line block ×5, first 2 shown]
	ds_read_b128 v[9:12], v60 offset:1424
	s_waitcnt vmcnt(57) lgkmcnt(1)
	v_mul_f64 v[112:113], v[1:2], v[25:26]
	v_mul_f64 v[25:26], v[3:4], v[25:26]
	s_waitcnt vmcnt(56)
	v_fma_f64 v[101:102], v[5:6], v[110:111], -v[101:102]
	v_add_f64 v[13:14], v[13:14], v[95:96]
	v_fma_f64 v[95:96], v[7:8], v[110:111], v[97:98]
	v_add_f64 v[15:16], v[15:16], v[77:78]
	s_clause 0x2
	buffer_load_dword v88, off, s[0:3], 0 offset:844
	buffer_load_dword v78, off, s[0:3], 0 offset:820
	;; [unrolled: 1-line block ×3, first 2 shown]
	ds_read_b128 v[5:8], v60 offset:1440
	buffer_load_dword v109, off, s[0:3], 0 offset:836
	s_waitcnt vmcnt(59) lgkmcnt(1)
	v_mul_f64 v[97:98], v[9:10], v[89:90]
	v_mul_f64 v[89:90], v[11:12], v[89:90]
	s_waitcnt vmcnt(57)
	v_fma_f64 v[25:26], v[1:2], v[19:20], -v[25:26]
	v_fma_f64 v[19:20], v[3:4], v[19:20], v[112:113]
	ds_read_b128 v[1:4], v60 offset:1456
	v_add_f64 v[13:14], v[13:14], v[101:102]
	v_add_f64 v[15:16], v[15:16], v[95:96]
	s_waitcnt vmcnt(53) lgkmcnt(1)
	v_mul_f64 v[95:96], v[5:6], v[81:82]
	v_mul_f64 v[81:82], v[7:8], v[81:82]
	s_waitcnt vmcnt(52)
	v_fma_f64 v[89:90], v[9:10], v[106:107], -v[89:90]
	v_add_f64 v[13:14], v[13:14], v[25:26]
	v_fma_f64 v[25:26], v[11:12], v[106:107], v[97:98]
	v_add_f64 v[15:16], v[15:16], v[19:20]
	ds_read_b128 v[9:12], v60 offset:1472
	s_waitcnt vmcnt(51) lgkmcnt(1)
	v_mul_f64 v[19:20], v[1:2], v[83:84]
	v_mul_f64 v[83:84], v[3:4], v[83:84]
	s_waitcnt vmcnt(49)
	v_fma_f64 v[81:82], v[5:6], v[21:22], -v[81:82]
	v_fma_f64 v[21:22], v[7:8], v[21:22], v[95:96]
	v_add_f64 v[13:14], v[13:14], v[89:90]
	v_add_f64 v[15:16], v[15:16], v[25:26]
	s_clause 0x3
	buffer_load_dword v25, off, s[0:3], 0 offset:272
	buffer_load_dword v26, off, s[0:3], 0 offset:276
	;; [unrolled: 1-line block ×4, first 2 shown]
	ds_read_b128 v[5:8], v60 offset:1488
	s_waitcnt vmcnt(49) lgkmcnt(1)
	v_mul_f64 v[95:96], v[9:10], v[17:18]
	v_mul_f64 v[17:18], v[11:12], v[17:18]
	s_waitcnt vmcnt(48)
	v_fma_f64 v[83:84], v[1:2], v[91:92], -v[83:84]
	v_fma_f64 v[19:20], v[3:4], v[91:92], v[19:20]
	ds_read_b128 v[1:4], v60 offset:1504
	v_add_f64 v[13:14], v[13:14], v[81:82]
	v_add_f64 v[15:16], v[15:16], v[21:22]
	s_waitcnt vmcnt(47) lgkmcnt(1)
	v_mul_f64 v[21:22], v[5:6], v[37:38]
	v_mul_f64 v[37:38], v[7:8], v[37:38]
	s_waitcnt vmcnt(45)
	v_fma_f64 v[17:18], v[9:10], v[27:28], -v[17:18]
	v_fma_f64 v[27:28], v[11:12], v[27:28], v[95:96]
	ds_read_b128 v[9:12], v60 offset:1520
	v_add_f64 v[13:14], v[13:14], v[83:84]
	v_add_f64 v[15:16], v[15:16], v[19:20]
	s_waitcnt vmcnt(41) lgkmcnt(1)
	v_mul_f64 v[19:20], v[1:2], v[23:24]
	v_mul_f64 v[23:24], v[3:4], v[23:24]
	s_waitcnt vmcnt(40)
	v_fma_f64 v[37:38], v[5:6], v[85:86], -v[37:38]
	v_add_f64 v[13:14], v[13:14], v[17:18]
	v_fma_f64 v[17:18], v[7:8], v[85:86], v[21:22]
	v_add_f64 v[15:16], v[15:16], v[27:28]
	ds_read_b128 v[5:8], v60 offset:1536
	s_waitcnt vmcnt(39) lgkmcnt(1)
	v_mul_f64 v[27:28], v[11:12], v[65:66]
	v_mul_f64 v[21:22], v[9:10], v[65:66]
	s_waitcnt vmcnt(37)
	v_fma_f64 v[19:20], v[3:4], v[33:34], v[19:20]
	v_fma_f64 v[23:24], v[1:2], v[33:34], -v[23:24]
	ds_read_b128 v[1:4], v60 offset:1552
	v_add_f64 v[13:14], v[13:14], v[37:38]
	v_add_f64 v[15:16], v[15:16], v[17:18]
	s_waitcnt vmcnt(33) lgkmcnt(1)
	v_mul_f64 v[17:18], v[5:6], v[29:30]
	v_mul_f64 v[29:30], v[7:8], v[29:30]
	s_waitcnt vmcnt(32)
	v_fma_f64 v[27:28], v[9:10], v[67:68], -v[27:28]
	v_fma_f64 v[21:22], v[11:12], v[67:68], v[21:22]
	ds_read_b128 v[9:12], v60 offset:1568
	v_add_f64 v[13:14], v[13:14], v[23:24]
	v_add_f64 v[15:16], v[15:16], v[19:20]
	s_waitcnt vmcnt(31) lgkmcnt(1)
	v_mul_f64 v[23:24], v[3:4], v[73:74]
	v_mul_f64 v[19:20], v[1:2], v[73:74]
	s_waitcnt vmcnt(29)
	v_fma_f64 v[29:30], v[5:6], v[31:32], -v[29:30]
	v_fma_f64 v[17:18], v[7:8], v[31:32], v[17:18]
	ds_read_b128 v[5:8], v60 offset:1584
	v_add_f64 v[13:14], v[13:14], v[27:28]
	v_add_f64 v[15:16], v[15:16], v[21:22]
	s_waitcnt vmcnt(25) lgkmcnt(1)
	v_mul_f64 v[27:28], v[11:12], v[35:36]
	s_waitcnt vmcnt(24)
	v_fma_f64 v[23:24], v[1:2], v[75:76], -v[23:24]
	v_mul_f64 v[21:22], v[9:10], v[35:36]
	v_fma_f64 v[19:20], v[3:4], v[75:76], v[19:20]
	ds_read_b128 v[1:4], v60 offset:1600
	v_add_f64 v[13:14], v[13:14], v[29:30]
	v_add_f64 v[15:16], v[15:16], v[17:18]
	s_waitcnt vmcnt(23) lgkmcnt(1)
	v_mul_f64 v[29:30], v[7:8], v[79:80]
	v_mul_f64 v[17:18], v[5:6], v[79:80]
	s_waitcnt vmcnt(21)
	v_fma_f64 v[27:28], v[9:10], v[58:59], -v[27:28]
	v_fma_f64 v[21:22], v[11:12], v[58:59], v[21:22]
	ds_read_b128 v[9:12], v60 offset:1616
	v_add_f64 v[13:14], v[13:14], v[23:24]
	v_add_f64 v[15:16], v[15:16], v[19:20]
	s_waitcnt vmcnt(17) lgkmcnt(1)
	v_mul_f64 v[23:24], v[3:4], v[63:64]
	s_waitcnt vmcnt(16)
	v_fma_f64 v[29:30], v[5:6], v[93:94], -v[29:30]
	v_mul_f64 v[19:20], v[1:2], v[63:64]
	;; [unrolled: 18-line block ×3, first 2 shown]
	v_fma_f64 v[11:12], v[11:12], v[103:104], v[21:22]
	v_add_f64 v[13:14], v[13:14], v[23:24]
	v_add_f64 v[15:16], v[15:16], v[19:20]
	s_waitcnt vmcnt(7) lgkmcnt(0)
	v_mul_f64 v[21:22], v[3:4], v[87:88]
	v_mul_f64 v[19:20], v[1:2], v[87:88]
	s_waitcnt vmcnt(5)
	v_fma_f64 v[5:6], v[5:6], v[77:78], -v[29:30]
	v_fma_f64 v[7:8], v[7:8], v[77:78], v[17:18]
	v_add_f64 v[9:10], v[13:14], v[9:10]
	v_add_f64 v[11:12], v[15:16], v[11:12]
	s_waitcnt vmcnt(4)
	v_fma_f64 v[1:2], v[1:2], v[108:109], -v[21:22]
	v_fma_f64 v[3:4], v[3:4], v[108:109], v[19:20]
	v_add_f64 v[5:6], v[9:10], v[5:6]
	v_add_f64 v[7:8], v[11:12], v[7:8]
	;; [unrolled: 1-line block ×4, first 2 shown]
	s_waitcnt vmcnt(2)
	v_add_f64 v[1:2], v[25:26], -v[1:2]
	s_waitcnt vmcnt(0)
	v_add_f64 v[3:4], v[89:90], -v[3:4]
	buffer_store_dword v2, off, s[0:3], 0 offset:276
	buffer_store_dword v1, off, s[0:3], 0 offset:272
	;; [unrolled: 1-line block ×4, first 2 shown]
	v_cmpx_lt_u32_e32 15, v0
	s_cbranch_execz .LBB51_295
; %bb.294:
	v_mov_b32_e32 v4, s49
	s_clause 0x3
	buffer_load_dword v1, v4, s[0:3], 0 offen
	buffer_load_dword v2, v4, s[0:3], 0 offen offset:4
	buffer_load_dword v3, v4, s[0:3], 0 offen offset:8
	buffer_load_dword v4, v4, s[0:3], 0 offen offset:12
	buffer_store_dword v60, off, s[0:3], 0 offset:256
	buffer_store_dword v60, off, s[0:3], 0 offset:260
	;; [unrolled: 1-line block ×4, first 2 shown]
	s_waitcnt vmcnt(0)
	ds_write_b128 v39, v[1:4]
.LBB51_295:
	s_or_b32 exec_lo, exec_lo, s4
	s_waitcnt lgkmcnt(0)
	s_waitcnt_vscnt null, 0x0
	s_barrier
	buffer_gl0_inv
	s_clause 0x37
	buffer_load_dword v9, off, s[0:3], 0 offset:280
	buffer_load_dword v10, off, s[0:3], 0 offset:284
	;; [unrolled: 1-line block ×56, first 2 shown]
	ds_read_b128 v[83:86], v60 offset:1088
	s_clause 0x2
	buffer_load_dword v80, off, s[0:3], 0 offset:508
	buffer_load_dword v82, off, s[0:3], 0 offset:484
	;; [unrolled: 1-line block ×3, first 2 shown]
	ds_read_b128 v[87:90], v60 offset:1104
	s_clause 0x4
	buffer_load_dword v98, off, s[0:3], 0 offset:524
	buffer_load_dword v99, off, s[0:3], 0 offset:536
	;; [unrolled: 1-line block ×5, first 2 shown]
	ds_read_b128 v[91:94], v60 offset:1120
	s_clause 0x2
	buffer_load_dword v100, off, s[0:3], 0 offset:540
	buffer_load_dword v105, off, s[0:3], 0 offset:516
	;; [unrolled: 1-line block ×3, first 2 shown]
	s_mov_b32 s4, exec_lo
	s_waitcnt vmcnt(62) lgkmcnt(2)
	v_mul_f64 v[95:96], v[85:86], v[9:10]
	v_mul_f64 v[9:10], v[83:84], v[9:10]
	s_waitcnt lgkmcnt(1)
	v_mul_f64 v[102:103], v[89:90], v[5:6]
	s_waitcnt vmcnt(59) lgkmcnt(0)
	v_mul_f64 v[106:107], v[93:94], v[3:4]
	v_fma_f64 v[83:84], v[83:84], v[7:8], -v[95:96]
	v_mul_f64 v[95:96], v[87:88], v[5:6]
	v_fma_f64 v[9:10], v[85:86], v[7:8], v[9:10]
	s_waitcnt vmcnt(57)
	v_fma_f64 v[87:88], v[87:88], v[1:2], -v[102:103]
	ds_read_b128 v[5:8], v60 offset:1136
	v_mul_f64 v[85:86], v[91:92], v[3:4]
	s_waitcnt vmcnt(51)
	v_fma_f64 v[91:92], v[91:92], v[25:26], -v[106:107]
	v_add_f64 v[83:84], v[83:84], 0
	v_fma_f64 v[89:90], v[89:90], v[1:2], v[95:96]
	v_add_f64 v[9:10], v[9:10], 0
	s_clause 0x4
	buffer_load_dword v96, off, s[0:3], 0 offset:556
	buffer_load_dword v108, off, s[0:3], 0 offset:568
	;; [unrolled: 1-line block ×5, first 2 shown]
	s_waitcnt lgkmcnt(0)
	v_mul_f64 v[111:112], v[5:6], v[13:14]
	v_mul_f64 v[13:14], v[7:8], v[13:14]
	ds_read_b128 v[1:4], v60 offset:1152
	v_fma_f64 v[25:26], v[93:94], v[25:26], v[85:86]
	v_add_f64 v[87:88], v[83:84], v[87:88]
	v_add_f64 v[9:10], v[9:10], v[89:90]
	s_clause 0x2
	buffer_load_dword v109, off, s[0:3], 0 offset:572
	buffer_load_dword v90, off, s[0:3], 0 offset:548
	buffer_load_dword v89, off, s[0:3], 0 offset:544
	s_waitcnt vmcnt(58) lgkmcnt(0)
	v_mul_f64 v[93:94], v[1:2], v[17:18]
	v_mul_f64 v[17:18], v[3:4], v[17:18]
	s_waitcnt vmcnt(56)
	v_fma_f64 v[13:14], v[5:6], v[19:20], -v[13:14]
	ds_read_b128 v[83:86], v60 offset:1168
	v_fma_f64 v[19:20], v[7:8], v[19:20], v[111:112]
	v_add_f64 v[87:88], v[87:88], v[91:92]
	v_add_f64 v[9:10], v[9:10], v[25:26]
	s_clause 0x4
	buffer_load_dword v26, off, s[0:3], 0 offset:588
	buffer_load_dword v91, off, s[0:3], 0 offset:600
	;; [unrolled: 1-line block ×5, first 2 shown]
	ds_read_b128 v[5:8], v60 offset:1184
	s_waitcnt vmcnt(57) lgkmcnt(1)
	v_mul_f64 v[112:113], v[83:84], v[21:22]
	v_mul_f64 v[21:22], v[85:86], v[21:22]
	s_waitcnt vmcnt(56)
	v_fma_f64 v[17:18], v[1:2], v[11:12], -v[17:18]
	v_fma_f64 v[11:12], v[3:4], v[11:12], v[93:94]
	v_add_f64 v[13:14], v[87:88], v[13:14]
	v_add_f64 v[9:10], v[9:10], v[19:20]
	s_clause 0x2
	buffer_load_dword v92, off, s[0:3], 0 offset:604
	buffer_load_dword v20, off, s[0:3], 0 offset:580
	;; [unrolled: 1-line block ×3, first 2 shown]
	s_waitcnt vmcnt(58) lgkmcnt(0)
	v_mul_f64 v[87:88], v[5:6], v[27:28]
	v_mul_f64 v[27:28], v[7:8], v[27:28]
	s_waitcnt vmcnt(56)
	v_fma_f64 v[21:22], v[83:84], v[29:30], -v[21:22]
	ds_read_b128 v[1:4], v60 offset:1200
	v_add_f64 v[13:14], v[13:14], v[17:18]
	v_fma_f64 v[17:18], v[85:86], v[29:30], v[112:113]
	v_add_f64 v[29:30], v[9:10], v[11:12]
	s_clause 0x4
	buffer_load_dword v84, off, s[0:3], 0 offset:620
	buffer_load_dword v85, off, s[0:3], 0 offset:632
	;; [unrolled: 1-line block ×5, first 2 shown]
	ds_read_b128 v[9:12], v60 offset:1216
	s_waitcnt vmcnt(57) lgkmcnt(1)
	v_mul_f64 v[112:113], v[1:2], v[31:32]
	v_mul_f64 v[31:32], v[3:4], v[31:32]
	s_waitcnt vmcnt(56)
	v_fma_f64 v[27:28], v[5:6], v[15:16], -v[27:28]
	v_fma_f64 v[15:16], v[7:8], v[15:16], v[87:88]
	v_add_f64 v[13:14], v[13:14], v[21:22]
	s_clause 0x2
	buffer_load_dword v86, off, s[0:3], 0 offset:636
	buffer_load_dword v22, off, s[0:3], 0 offset:612
	buffer_load_dword v21, off, s[0:3], 0 offset:608
	v_add_f64 v[17:18], v[29:30], v[17:18]
	s_waitcnt vmcnt(58) lgkmcnt(0)
	v_mul_f64 v[29:30], v[9:10], v[35:36]
	v_mul_f64 v[35:36], v[11:12], v[35:36]
	ds_read_b128 v[5:8], v60 offset:1232
	s_waitcnt vmcnt(56)
	v_fma_f64 v[31:32], v[1:2], v[37:38], -v[31:32]
	v_add_f64 v[13:14], v[13:14], v[27:28]
	v_fma_f64 v[27:28], v[3:4], v[37:38], v[112:113]
	v_add_f64 v[15:16], v[17:18], v[15:16]
	s_clause 0x4
	buffer_load_dword v18, off, s[0:3], 0 offset:652
	buffer_load_dword v37, off, s[0:3], 0 offset:664
	;; [unrolled: 1-line block ×5, first 2 shown]
	s_waitcnt vmcnt(57) lgkmcnt(0)
	v_mul_f64 v[112:113], v[5:6], v[58:59]
	v_mul_f64 v[58:59], v[7:8], v[58:59]
	s_waitcnt vmcnt(56)
	v_fma_f64 v[35:36], v[9:10], v[23:24], -v[35:36]
	ds_read_b128 v[1:4], v60 offset:1248
	v_fma_f64 v[23:24], v[11:12], v[23:24], v[29:30]
	v_add_f64 v[13:14], v[13:14], v[31:32]
	v_add_f64 v[15:16], v[15:16], v[27:28]
	s_clause 0x2
	buffer_load_dword v38, off, s[0:3], 0 offset:668
	buffer_load_dword v28, off, s[0:3], 0 offset:644
	;; [unrolled: 1-line block ×3, first 2 shown]
	ds_read_b128 v[9:12], v60 offset:1264
	s_waitcnt vmcnt(58) lgkmcnt(1)
	v_mul_f64 v[31:32], v[3:4], v[65:66]
	s_waitcnt vmcnt(56)
	v_fma_f64 v[58:59], v[5:6], v[67:68], -v[58:59]
	v_mul_f64 v[29:30], v[1:2], v[65:66]
	v_add_f64 v[13:14], v[13:14], v[35:36]
	v_fma_f64 v[35:36], v[7:8], v[67:68], v[112:113]
	v_add_f64 v[15:16], v[15:16], v[23:24]
	s_clause 0x4
	buffer_load_dword v24, off, s[0:3], 0 offset:684
	buffer_load_dword v65, off, s[0:3], 0 offset:696
	;; [unrolled: 1-line block ×5, first 2 shown]
	s_waitcnt vmcnt(57) lgkmcnt(0)
	v_mul_f64 v[112:113], v[9:10], v[69:70]
	v_mul_f64 v[68:69], v[11:12], v[69:70]
	s_waitcnt vmcnt(56)
	v_fma_f64 v[31:32], v[1:2], v[33:34], -v[31:32]
	ds_read_b128 v[5:8], v60 offset:1280
	v_fma_f64 v[29:30], v[3:4], v[33:34], v[29:30]
	s_clause 0x2
	buffer_load_dword v66, off, s[0:3], 0 offset:700
	buffer_load_dword v34, off, s[0:3], 0 offset:676
	;; [unrolled: 1-line block ×3, first 2 shown]
	ds_read_b128 v[1:4], v60 offset:1296
	v_add_f64 v[13:14], v[13:14], v[58:59]
	v_add_f64 v[15:16], v[15:16], v[35:36]
	s_waitcnt vmcnt(58) lgkmcnt(1)
	v_mul_f64 v[58:59], v[7:8], v[73:74]
	s_waitcnt vmcnt(56)
	v_fma_f64 v[69:70], v[9:10], v[75:76], -v[68:69]
	v_mul_f64 v[35:36], v[5:6], v[73:74]
	v_add_f64 v[13:14], v[13:14], v[31:32]
	v_fma_f64 v[31:32], v[11:12], v[75:76], v[112:113]
	v_add_f64 v[15:16], v[15:16], v[29:30]
	s_clause 0x4
	buffer_load_dword v30, off, s[0:3], 0 offset:716
	buffer_load_dword v73, off, s[0:3], 0 offset:728
	;; [unrolled: 1-line block ×5, first 2 shown]
	s_waitcnt vmcnt(57) lgkmcnt(0)
	v_mul_f64 v[112:113], v[1:2], v[77:78]
	v_mul_f64 v[76:77], v[3:4], v[77:78]
	s_waitcnt vmcnt(56)
	v_fma_f64 v[58:59], v[5:6], v[63:64], -v[58:59]
	ds_read_b128 v[9:12], v60 offset:1312
	v_fma_f64 v[35:36], v[7:8], v[63:64], v[35:36]
	v_add_f64 v[13:14], v[13:14], v[69:70]
	v_add_f64 v[15:16], v[15:16], v[31:32]
	s_clause 0x2
	buffer_load_dword v74, off, s[0:3], 0 offset:732
	buffer_load_dword v32, off, s[0:3], 0 offset:708
	;; [unrolled: 1-line block ×3, first 2 shown]
	ds_read_b128 v[5:8], v60 offset:1328
	s_waitcnt vmcnt(58) lgkmcnt(1)
	v_mul_f64 v[69:70], v[11:12], v[79:80]
	s_waitcnt vmcnt(56)
	v_fma_f64 v[77:78], v[1:2], v[81:82], -v[76:77]
	v_mul_f64 v[63:64], v[9:10], v[79:80]
	v_add_f64 v[13:14], v[13:14], v[58:59]
	v_fma_f64 v[58:59], v[3:4], v[81:82], v[112:113]
	v_add_f64 v[15:16], v[15:16], v[35:36]
	s_clause 0x4
	buffer_load_dword v36, off, s[0:3], 0 offset:748
	buffer_load_dword v79, off, s[0:3], 0 offset:760
	;; [unrolled: 1-line block ×5, first 2 shown]
	s_waitcnt vmcnt(57) lgkmcnt(0)
	v_mul_f64 v[112:113], v[5:6], v[97:98]
	v_mul_f64 v[97:98], v[7:8], v[97:98]
	s_waitcnt vmcnt(56)
	v_fma_f64 v[69:70], v[9:10], v[71:72], -v[69:70]
	ds_read_b128 v[1:4], v60 offset:1344
	v_fma_f64 v[63:64], v[11:12], v[71:72], v[63:64]
	v_add_f64 v[13:14], v[13:14], v[77:78]
	v_add_f64 v[15:16], v[15:16], v[58:59]
	s_clause 0x2
	buffer_load_dword v80, off, s[0:3], 0 offset:764
	buffer_load_dword v59, off, s[0:3], 0 offset:740
	;; [unrolled: 1-line block ×3, first 2 shown]
	ds_read_b128 v[9:12], v60 offset:1360
	s_waitcnt vmcnt(58) lgkmcnt(1)
	v_mul_f64 v[77:78], v[3:4], v[99:100]
	s_waitcnt vmcnt(56)
	v_fma_f64 v[97:98], v[5:6], v[104:105], -v[97:98]
	v_mul_f64 v[71:72], v[1:2], v[99:100]
	v_add_f64 v[13:14], v[13:14], v[69:70]
	v_fma_f64 v[69:70], v[7:8], v[104:105], v[112:113]
	v_add_f64 v[15:16], v[15:16], v[63:64]
	s_clause 0x4
	buffer_load_dword v64, off, s[0:3], 0 offset:780
	buffer_load_dword v99, off, s[0:3], 0 offset:792
	;; [unrolled: 1-line block ×5, first 2 shown]
	ds_read_b128 v[5:8], v60 offset:1376
	s_waitcnt vmcnt(57) lgkmcnt(1)
	v_mul_f64 v[104:105], v[9:10], v[95:96]
	v_mul_f64 v[95:96], v[11:12], v[95:96]
	s_waitcnt vmcnt(56)
	v_fma_f64 v[77:78], v[1:2], v[101:102], -v[77:78]
	v_fma_f64 v[71:72], v[3:4], v[101:102], v[71:72]
	v_add_f64 v[13:14], v[13:14], v[97:98]
	v_add_f64 v[15:16], v[15:16], v[69:70]
	s_clause 0x2
	buffer_load_dword v100, off, s[0:3], 0 offset:796
	buffer_load_dword v70, off, s[0:3], 0 offset:772
	;; [unrolled: 1-line block ×3, first 2 shown]
	ds_read_b128 v[1:4], v60 offset:1392
	s_waitcnt vmcnt(58) lgkmcnt(1)
	v_mul_f64 v[101:102], v[7:8], v[108:109]
	v_mul_f64 v[97:98], v[5:6], v[108:109]
	s_waitcnt vmcnt(56)
	v_fma_f64 v[95:96], v[9:10], v[89:90], -v[95:96]
	v_add_f64 v[13:14], v[13:14], v[77:78]
	v_fma_f64 v[77:78], v[11:12], v[89:90], v[104:105]
	v_add_f64 v[15:16], v[15:16], v[71:72]
	s_clause 0x4
	buffer_load_dword v72, off, s[0:3], 0 offset:812
	buffer_load_dword v89, off, s[0:3], 0 offset:824
	buffer_load_dword v108, off, s[0:3], 0 offset:816
	buffer_load_dword v71, off, s[0:3], 0 offset:808
	buffer_load_dword v104, off, s[0:3], 0 offset:788
	ds_read_b128 v[9:12], v60 offset:1408
	s_waitcnt vmcnt(57) lgkmcnt(1)
	v_mul_f64 v[112:113], v[1:2], v[25:26]
	v_mul_f64 v[25:26], v[3:4], v[25:26]
	s_waitcnt vmcnt(56)
	v_fma_f64 v[101:102], v[5:6], v[110:111], -v[101:102]
	v_add_f64 v[13:14], v[13:14], v[95:96]
	v_fma_f64 v[95:96], v[7:8], v[110:111], v[97:98]
	v_add_f64 v[15:16], v[15:16], v[77:78]
	s_clause 0x2
	buffer_load_dword v90, off, s[0:3], 0 offset:828
	buffer_load_dword v78, off, s[0:3], 0 offset:804
	;; [unrolled: 1-line block ×3, first 2 shown]
	ds_read_b128 v[5:8], v60 offset:1424
	s_waitcnt vmcnt(58) lgkmcnt(1)
	v_mul_f64 v[97:98], v[9:10], v[91:92]
	v_mul_f64 v[91:92], v[11:12], v[91:92]
	s_waitcnt vmcnt(56)
	v_fma_f64 v[25:26], v[1:2], v[19:20], -v[25:26]
	v_fma_f64 v[19:20], v[3:4], v[19:20], v[112:113]
	v_add_f64 v[13:14], v[13:14], v[101:102]
	v_add_f64 v[15:16], v[15:16], v[95:96]
	s_clause 0x2
	buffer_load_dword v96, off, s[0:3], 0 offset:844
	buffer_load_dword v95, off, s[0:3], 0 offset:840
	;; [unrolled: 1-line block ×3, first 2 shown]
	ds_read_b128 v[1:4], v60 offset:1440
	s_waitcnt vmcnt(55) lgkmcnt(1)
	v_mul_f64 v[101:102], v[5:6], v[83:84]
	v_mul_f64 v[83:84], v[7:8], v[83:84]
	s_waitcnt vmcnt(54)
	v_fma_f64 v[91:92], v[9:10], v[106:107], -v[91:92]
	v_add_f64 v[13:14], v[13:14], v[25:26]
	v_fma_f64 v[25:26], v[11:12], v[106:107], v[97:98]
	v_add_f64 v[15:16], v[15:16], v[19:20]
	s_clause 0x1
	buffer_load_dword v20, off, s[0:3], 0 offset:836
	buffer_load_dword v19, off, s[0:3], 0 offset:832
	ds_read_b128 v[9:12], v60 offset:1456
	s_waitcnt vmcnt(55) lgkmcnt(1)
	v_mul_f64 v[97:98], v[1:2], v[85:86]
	v_mul_f64 v[85:86], v[3:4], v[85:86]
	s_waitcnt vmcnt(53)
	v_fma_f64 v[83:84], v[5:6], v[21:22], -v[83:84]
	v_fma_f64 v[21:22], v[7:8], v[21:22], v[101:102]
	ds_read_b128 v[5:8], v60 offset:1472
	v_add_f64 v[13:14], v[13:14], v[91:92]
	v_add_f64 v[15:16], v[15:16], v[25:26]
	s_waitcnt vmcnt(49) lgkmcnt(1)
	v_mul_f64 v[25:26], v[9:10], v[17:18]
	v_mul_f64 v[17:18], v[11:12], v[17:18]
	s_waitcnt vmcnt(48)
	v_fma_f64 v[85:86], v[1:2], v[93:94], -v[85:86]
	v_add_f64 v[13:14], v[13:14], v[83:84]
	v_fma_f64 v[83:84], v[3:4], v[93:94], v[97:98]
	v_add_f64 v[15:16], v[15:16], v[21:22]
	s_clause 0x3
	buffer_load_dword v21, off, s[0:3], 0 offset:256
	buffer_load_dword v22, off, s[0:3], 0 offset:260
	;; [unrolled: 1-line block ×4, first 2 shown]
	ds_read_b128 v[1:4], v60 offset:1488
	s_waitcnt vmcnt(51) lgkmcnt(1)
	v_mul_f64 v[93:94], v[5:6], v[37:38]
	v_mul_f64 v[37:38], v[7:8], v[37:38]
	s_waitcnt vmcnt(49)
	v_fma_f64 v[17:18], v[9:10], v[27:28], -v[17:18]
	v_fma_f64 v[25:26], v[11:12], v[27:28], v[25:26]
	ds_read_b128 v[9:12], v60 offset:1504
	v_add_f64 v[13:14], v[13:14], v[85:86]
	v_add_f64 v[15:16], v[15:16], v[83:84]
	s_waitcnt vmcnt(45) lgkmcnt(1)
	v_mul_f64 v[27:28], v[1:2], v[23:24]
	v_mul_f64 v[23:24], v[3:4], v[23:24]
	s_waitcnt vmcnt(44)
	v_fma_f64 v[37:38], v[5:6], v[87:88], -v[37:38]
	v_add_f64 v[13:14], v[13:14], v[17:18]
	v_fma_f64 v[17:18], v[7:8], v[87:88], v[93:94]
	v_add_f64 v[15:16], v[15:16], v[25:26]
	s_waitcnt vmcnt(43) lgkmcnt(0)
	v_mul_f64 v[25:26], v[9:10], v[65:66]
	v_mul_f64 v[65:66], v[11:12], v[65:66]
	ds_read_b128 v[5:8], v60 offset:1520
	s_waitcnt vmcnt(41)
	v_fma_f64 v[27:28], v[3:4], v[33:34], v[27:28]
	v_fma_f64 v[23:24], v[1:2], v[33:34], -v[23:24]
	ds_read_b128 v[1:4], v60 offset:1536
	v_add_f64 v[13:14], v[13:14], v[37:38]
	v_add_f64 v[15:16], v[15:16], v[17:18]
	s_waitcnt vmcnt(37) lgkmcnt(1)
	v_mul_f64 v[17:18], v[5:6], v[29:30]
	v_mul_f64 v[29:30], v[7:8], v[29:30]
	s_waitcnt vmcnt(36)
	v_fma_f64 v[33:34], v[9:10], v[67:68], -v[65:66]
	v_add_f64 v[13:14], v[13:14], v[23:24]
	v_fma_f64 v[23:24], v[11:12], v[67:68], v[25:26]
	v_add_f64 v[15:16], v[15:16], v[27:28]
	ds_read_b128 v[9:12], v60 offset:1552
	s_waitcnt vmcnt(35) lgkmcnt(1)
	v_mul_f64 v[27:28], v[3:4], v[73:74]
	v_mul_f64 v[25:26], v[1:2], v[73:74]
	s_waitcnt vmcnt(33)
	v_fma_f64 v[29:30], v[5:6], v[31:32], -v[29:30]
	v_fma_f64 v[17:18], v[7:8], v[31:32], v[17:18]
	ds_read_b128 v[5:8], v60 offset:1568
	v_add_f64 v[13:14], v[13:14], v[33:34]
	v_add_f64 v[15:16], v[15:16], v[23:24]
	s_waitcnt vmcnt(29) lgkmcnt(1)
	v_mul_f64 v[31:32], v[11:12], v[35:36]
	s_waitcnt vmcnt(28)
	v_fma_f64 v[27:28], v[1:2], v[75:76], -v[27:28]
	v_mul_f64 v[23:24], v[9:10], v[35:36]
	v_fma_f64 v[25:26], v[3:4], v[75:76], v[25:26]
	ds_read_b128 v[1:4], v60 offset:1584
	v_add_f64 v[13:14], v[13:14], v[29:30]
	v_add_f64 v[15:16], v[15:16], v[17:18]
	s_waitcnt vmcnt(27) lgkmcnt(1)
	v_mul_f64 v[29:30], v[7:8], v[79:80]
	v_mul_f64 v[17:18], v[5:6], v[79:80]
	s_waitcnt vmcnt(25)
	v_fma_f64 v[31:32], v[9:10], v[58:59], -v[31:32]
	v_fma_f64 v[23:24], v[11:12], v[58:59], v[23:24]
	ds_read_b128 v[9:12], v60 offset:1600
	v_add_f64 v[13:14], v[13:14], v[27:28]
	v_add_f64 v[15:16], v[15:16], v[25:26]
	s_waitcnt vmcnt(21) lgkmcnt(1)
	v_mul_f64 v[27:28], v[3:4], v[63:64]
	s_waitcnt vmcnt(20)
	v_fma_f64 v[29:30], v[5:6], v[81:82], -v[29:30]
	v_mul_f64 v[25:26], v[1:2], v[63:64]
	v_fma_f64 v[17:18], v[7:8], v[81:82], v[17:18]
	ds_read_b128 v[5:8], v60 offset:1616
	v_add_f64 v[13:14], v[13:14], v[31:32]
	v_add_f64 v[15:16], v[15:16], v[23:24]
	;; [unrolled: 18-line block ×3, first 2 shown]
	s_waitcnt vmcnt(11) lgkmcnt(1)
	v_mul_f64 v[27:28], v[3:4], v[89:90]
	v_mul_f64 v[25:26], v[1:2], v[89:90]
	s_waitcnt vmcnt(9)
	v_fma_f64 v[5:6], v[5:6], v[77:78], -v[29:30]
	v_fma_f64 v[7:8], v[7:8], v[77:78], v[17:18]
	v_add_f64 v[13:14], v[13:14], v[31:32]
	v_add_f64 v[15:16], v[15:16], v[23:24]
	s_waitcnt vmcnt(7) lgkmcnt(0)
	v_mul_f64 v[23:24], v[11:12], v[95:96]
	s_waitcnt vmcnt(6)
	v_fma_f64 v[1:2], v[1:2], v[108:109], -v[27:28]
	v_mul_f64 v[17:18], v[9:10], v[95:96]
	v_fma_f64 v[3:4], v[3:4], v[108:109], v[25:26]
	v_add_f64 v[5:6], v[13:14], v[5:6]
	v_add_f64 v[7:8], v[15:16], v[7:8]
	s_waitcnt vmcnt(4)
	v_fma_f64 v[9:10], v[9:10], v[19:20], -v[23:24]
	v_add_f64 v[1:2], v[5:6], v[1:2]
	v_fma_f64 v[5:6], v[11:12], v[19:20], v[17:18]
	v_add_f64 v[3:4], v[7:8], v[3:4]
	v_add_f64 v[1:2], v[1:2], v[9:10]
	;; [unrolled: 1-line block ×3, first 2 shown]
	s_waitcnt vmcnt(2)
	v_add_f64 v[1:2], v[21:22], -v[1:2]
	s_waitcnt vmcnt(0)
	v_add_f64 v[3:4], v[91:92], -v[3:4]
	buffer_store_dword v2, off, s[0:3], 0 offset:260
	buffer_store_dword v1, off, s[0:3], 0 offset:256
	;; [unrolled: 1-line block ×4, first 2 shown]
	v_cmpx_lt_u32_e32 14, v0
	s_cbranch_execz .LBB51_297
; %bb.296:
	v_mov_b32_e32 v4, s50
	v_mov_b32_e32 v5, 0
	s_clause 0x3
	buffer_load_dword v1, v4, s[0:3], 0 offen
	buffer_load_dword v2, v4, s[0:3], 0 offen offset:4
	buffer_load_dword v3, v4, s[0:3], 0 offen offset:8
	;; [unrolled: 1-line block ×3, first 2 shown]
	buffer_store_dword v5, off, s[0:3], 0 offset:240
	buffer_store_dword v5, off, s[0:3], 0 offset:244
	;; [unrolled: 1-line block ×4, first 2 shown]
	s_waitcnt vmcnt(0)
	ds_write_b128 v39, v[1:4]
.LBB51_297:
	s_or_b32 exec_lo, exec_lo, s4
	s_waitcnt lgkmcnt(0)
	s_waitcnt_vscnt null, 0x0
	s_barrier
	buffer_gl0_inv
	s_clause 0x37
	buffer_load_dword v9, off, s[0:3], 0 offset:264
	buffer_load_dword v10, off, s[0:3], 0 offset:268
	;; [unrolled: 1-line block ×56, first 2 shown]
	v_mov_b32_e32 v60, 0
	s_mov_b32 s4, exec_lo
	ds_read_b128 v[83:86], v60 offset:1072
	s_clause 0x2
	buffer_load_dword v80, off, s[0:3], 0 offset:492
	buffer_load_dword v82, off, s[0:3], 0 offset:468
	;; [unrolled: 1-line block ×3, first 2 shown]
	ds_read_b128 v[87:90], v60 offset:1088
	s_clause 0x4
	buffer_load_dword v98, off, s[0:3], 0 offset:508
	buffer_load_dword v99, off, s[0:3], 0 offset:520
	;; [unrolled: 1-line block ×5, first 2 shown]
	ds_read_b128 v[91:94], v60 offset:1104
	s_clause 0x2
	buffer_load_dword v100, off, s[0:3], 0 offset:524
	buffer_load_dword v105, off, s[0:3], 0 offset:500
	;; [unrolled: 1-line block ×3, first 2 shown]
	s_waitcnt vmcnt(62) lgkmcnt(2)
	v_mul_f64 v[95:96], v[85:86], v[9:10]
	v_mul_f64 v[9:10], v[83:84], v[9:10]
	s_waitcnt lgkmcnt(1)
	v_mul_f64 v[102:103], v[89:90], v[5:6]
	s_waitcnt vmcnt(59) lgkmcnt(0)
	v_mul_f64 v[106:107], v[93:94], v[3:4]
	v_fma_f64 v[83:84], v[83:84], v[7:8], -v[95:96]
	v_mul_f64 v[95:96], v[87:88], v[5:6]
	v_fma_f64 v[9:10], v[85:86], v[7:8], v[9:10]
	s_waitcnt vmcnt(57)
	v_fma_f64 v[87:88], v[87:88], v[1:2], -v[102:103]
	ds_read_b128 v[5:8], v60 offset:1120
	v_mul_f64 v[85:86], v[91:92], v[3:4]
	s_waitcnt vmcnt(51)
	v_fma_f64 v[91:92], v[91:92], v[25:26], -v[106:107]
	v_add_f64 v[83:84], v[83:84], 0
	v_fma_f64 v[89:90], v[89:90], v[1:2], v[95:96]
	v_add_f64 v[9:10], v[9:10], 0
	s_clause 0x4
	buffer_load_dword v96, off, s[0:3], 0 offset:540
	buffer_load_dword v108, off, s[0:3], 0 offset:552
	;; [unrolled: 1-line block ×5, first 2 shown]
	s_waitcnt lgkmcnt(0)
	v_mul_f64 v[111:112], v[5:6], v[13:14]
	v_mul_f64 v[13:14], v[7:8], v[13:14]
	ds_read_b128 v[1:4], v60 offset:1136
	v_fma_f64 v[25:26], v[93:94], v[25:26], v[85:86]
	v_add_f64 v[87:88], v[83:84], v[87:88]
	v_add_f64 v[9:10], v[9:10], v[89:90]
	s_clause 0x2
	buffer_load_dword v109, off, s[0:3], 0 offset:556
	buffer_load_dword v90, off, s[0:3], 0 offset:532
	;; [unrolled: 1-line block ×3, first 2 shown]
	s_waitcnt vmcnt(58) lgkmcnt(0)
	v_mul_f64 v[93:94], v[1:2], v[17:18]
	v_mul_f64 v[17:18], v[3:4], v[17:18]
	s_waitcnt vmcnt(56)
	v_fma_f64 v[13:14], v[5:6], v[19:20], -v[13:14]
	ds_read_b128 v[83:86], v60 offset:1152
	v_fma_f64 v[19:20], v[7:8], v[19:20], v[111:112]
	v_add_f64 v[87:88], v[87:88], v[91:92]
	v_add_f64 v[9:10], v[9:10], v[25:26]
	s_clause 0x4
	buffer_load_dword v26, off, s[0:3], 0 offset:572
	buffer_load_dword v91, off, s[0:3], 0 offset:584
	;; [unrolled: 1-line block ×5, first 2 shown]
	ds_read_b128 v[5:8], v60 offset:1168
	s_waitcnt vmcnt(57) lgkmcnt(1)
	v_mul_f64 v[112:113], v[83:84], v[21:22]
	v_mul_f64 v[21:22], v[85:86], v[21:22]
	s_waitcnt vmcnt(56)
	v_fma_f64 v[17:18], v[1:2], v[11:12], -v[17:18]
	v_fma_f64 v[11:12], v[3:4], v[11:12], v[93:94]
	v_add_f64 v[13:14], v[87:88], v[13:14]
	v_add_f64 v[9:10], v[9:10], v[19:20]
	s_clause 0x2
	buffer_load_dword v92, off, s[0:3], 0 offset:588
	buffer_load_dword v20, off, s[0:3], 0 offset:564
	;; [unrolled: 1-line block ×3, first 2 shown]
	s_waitcnt vmcnt(58) lgkmcnt(0)
	v_mul_f64 v[87:88], v[5:6], v[27:28]
	v_mul_f64 v[27:28], v[7:8], v[27:28]
	s_waitcnt vmcnt(56)
	v_fma_f64 v[21:22], v[83:84], v[29:30], -v[21:22]
	ds_read_b128 v[1:4], v60 offset:1184
	v_add_f64 v[13:14], v[13:14], v[17:18]
	v_fma_f64 v[17:18], v[85:86], v[29:30], v[112:113]
	v_add_f64 v[29:30], v[9:10], v[11:12]
	s_clause 0x4
	buffer_load_dword v84, off, s[0:3], 0 offset:604
	buffer_load_dword v85, off, s[0:3], 0 offset:616
	;; [unrolled: 1-line block ×5, first 2 shown]
	ds_read_b128 v[9:12], v60 offset:1200
	s_waitcnt vmcnt(57) lgkmcnt(1)
	v_mul_f64 v[112:113], v[1:2], v[31:32]
	v_mul_f64 v[31:32], v[3:4], v[31:32]
	s_waitcnt vmcnt(56)
	v_fma_f64 v[27:28], v[5:6], v[15:16], -v[27:28]
	v_fma_f64 v[15:16], v[7:8], v[15:16], v[87:88]
	v_add_f64 v[13:14], v[13:14], v[21:22]
	s_clause 0x2
	buffer_load_dword v86, off, s[0:3], 0 offset:620
	buffer_load_dword v22, off, s[0:3], 0 offset:596
	;; [unrolled: 1-line block ×3, first 2 shown]
	v_add_f64 v[17:18], v[29:30], v[17:18]
	s_waitcnt vmcnt(58) lgkmcnt(0)
	v_mul_f64 v[29:30], v[9:10], v[35:36]
	v_mul_f64 v[35:36], v[11:12], v[35:36]
	ds_read_b128 v[5:8], v60 offset:1216
	s_waitcnt vmcnt(56)
	v_fma_f64 v[31:32], v[1:2], v[37:38], -v[31:32]
	v_add_f64 v[13:14], v[13:14], v[27:28]
	v_fma_f64 v[27:28], v[3:4], v[37:38], v[112:113]
	v_add_f64 v[15:16], v[17:18], v[15:16]
	s_clause 0x4
	buffer_load_dword v18, off, s[0:3], 0 offset:636
	buffer_load_dword v37, off, s[0:3], 0 offset:648
	;; [unrolled: 1-line block ×5, first 2 shown]
	s_waitcnt vmcnt(57) lgkmcnt(0)
	v_mul_f64 v[112:113], v[5:6], v[58:59]
	v_mul_f64 v[58:59], v[7:8], v[58:59]
	s_waitcnt vmcnt(56)
	v_fma_f64 v[35:36], v[9:10], v[23:24], -v[35:36]
	ds_read_b128 v[1:4], v60 offset:1232
	v_fma_f64 v[23:24], v[11:12], v[23:24], v[29:30]
	v_add_f64 v[13:14], v[13:14], v[31:32]
	v_add_f64 v[15:16], v[15:16], v[27:28]
	s_clause 0x2
	buffer_load_dword v38, off, s[0:3], 0 offset:652
	buffer_load_dword v28, off, s[0:3], 0 offset:628
	;; [unrolled: 1-line block ×3, first 2 shown]
	ds_read_b128 v[9:12], v60 offset:1248
	s_waitcnt vmcnt(58) lgkmcnt(1)
	v_mul_f64 v[31:32], v[3:4], v[65:66]
	s_waitcnt vmcnt(56)
	v_fma_f64 v[58:59], v[5:6], v[67:68], -v[58:59]
	v_mul_f64 v[29:30], v[1:2], v[65:66]
	v_add_f64 v[13:14], v[13:14], v[35:36]
	v_fma_f64 v[35:36], v[7:8], v[67:68], v[112:113]
	v_add_f64 v[15:16], v[15:16], v[23:24]
	s_clause 0x4
	buffer_load_dword v24, off, s[0:3], 0 offset:668
	buffer_load_dword v65, off, s[0:3], 0 offset:680
	;; [unrolled: 1-line block ×5, first 2 shown]
	s_waitcnt vmcnt(57) lgkmcnt(0)
	v_mul_f64 v[112:113], v[9:10], v[69:70]
	v_mul_f64 v[68:69], v[11:12], v[69:70]
	s_waitcnt vmcnt(56)
	v_fma_f64 v[31:32], v[1:2], v[33:34], -v[31:32]
	ds_read_b128 v[5:8], v60 offset:1264
	v_fma_f64 v[29:30], v[3:4], v[33:34], v[29:30]
	s_clause 0x2
	buffer_load_dword v66, off, s[0:3], 0 offset:684
	buffer_load_dword v34, off, s[0:3], 0 offset:660
	;; [unrolled: 1-line block ×3, first 2 shown]
	ds_read_b128 v[1:4], v60 offset:1280
	v_add_f64 v[13:14], v[13:14], v[58:59]
	v_add_f64 v[15:16], v[15:16], v[35:36]
	s_waitcnt vmcnt(58) lgkmcnt(1)
	v_mul_f64 v[58:59], v[7:8], v[73:74]
	s_waitcnt vmcnt(56)
	v_fma_f64 v[69:70], v[9:10], v[75:76], -v[68:69]
	v_mul_f64 v[35:36], v[5:6], v[73:74]
	v_add_f64 v[13:14], v[13:14], v[31:32]
	v_fma_f64 v[31:32], v[11:12], v[75:76], v[112:113]
	v_add_f64 v[15:16], v[15:16], v[29:30]
	s_clause 0x4
	buffer_load_dword v30, off, s[0:3], 0 offset:700
	buffer_load_dword v73, off, s[0:3], 0 offset:712
	;; [unrolled: 1-line block ×5, first 2 shown]
	s_waitcnt vmcnt(57) lgkmcnt(0)
	v_mul_f64 v[112:113], v[1:2], v[77:78]
	v_mul_f64 v[76:77], v[3:4], v[77:78]
	s_waitcnt vmcnt(56)
	v_fma_f64 v[58:59], v[5:6], v[63:64], -v[58:59]
	ds_read_b128 v[9:12], v60 offset:1296
	v_fma_f64 v[35:36], v[7:8], v[63:64], v[35:36]
	v_add_f64 v[13:14], v[13:14], v[69:70]
	v_add_f64 v[15:16], v[15:16], v[31:32]
	s_clause 0x2
	buffer_load_dword v74, off, s[0:3], 0 offset:716
	buffer_load_dword v32, off, s[0:3], 0 offset:692
	;; [unrolled: 1-line block ×3, first 2 shown]
	ds_read_b128 v[5:8], v60 offset:1312
	s_waitcnt vmcnt(58) lgkmcnt(1)
	v_mul_f64 v[69:70], v[11:12], v[79:80]
	s_waitcnt vmcnt(56)
	v_fma_f64 v[77:78], v[1:2], v[81:82], -v[76:77]
	v_mul_f64 v[63:64], v[9:10], v[79:80]
	v_add_f64 v[13:14], v[13:14], v[58:59]
	v_fma_f64 v[58:59], v[3:4], v[81:82], v[112:113]
	v_add_f64 v[15:16], v[15:16], v[35:36]
	s_clause 0x4
	buffer_load_dword v36, off, s[0:3], 0 offset:732
	buffer_load_dword v79, off, s[0:3], 0 offset:744
	;; [unrolled: 1-line block ×5, first 2 shown]
	s_waitcnt vmcnt(57) lgkmcnt(0)
	v_mul_f64 v[112:113], v[5:6], v[97:98]
	v_mul_f64 v[97:98], v[7:8], v[97:98]
	s_waitcnt vmcnt(56)
	v_fma_f64 v[69:70], v[9:10], v[71:72], -v[69:70]
	ds_read_b128 v[1:4], v60 offset:1328
	v_fma_f64 v[63:64], v[11:12], v[71:72], v[63:64]
	v_add_f64 v[13:14], v[13:14], v[77:78]
	v_add_f64 v[15:16], v[15:16], v[58:59]
	s_clause 0x2
	buffer_load_dword v80, off, s[0:3], 0 offset:748
	buffer_load_dword v59, off, s[0:3], 0 offset:724
	;; [unrolled: 1-line block ×3, first 2 shown]
	ds_read_b128 v[9:12], v60 offset:1344
	s_waitcnt vmcnt(58) lgkmcnt(1)
	v_mul_f64 v[77:78], v[3:4], v[99:100]
	s_waitcnt vmcnt(56)
	v_fma_f64 v[97:98], v[5:6], v[104:105], -v[97:98]
	v_mul_f64 v[71:72], v[1:2], v[99:100]
	v_add_f64 v[13:14], v[13:14], v[69:70]
	v_fma_f64 v[69:70], v[7:8], v[104:105], v[112:113]
	v_add_f64 v[15:16], v[15:16], v[63:64]
	s_clause 0x4
	buffer_load_dword v64, off, s[0:3], 0 offset:764
	buffer_load_dword v99, off, s[0:3], 0 offset:776
	;; [unrolled: 1-line block ×5, first 2 shown]
	ds_read_b128 v[5:8], v60 offset:1360
	s_waitcnt vmcnt(57) lgkmcnt(1)
	v_mul_f64 v[104:105], v[9:10], v[95:96]
	v_mul_f64 v[95:96], v[11:12], v[95:96]
	s_waitcnt vmcnt(56)
	v_fma_f64 v[77:78], v[1:2], v[101:102], -v[77:78]
	v_fma_f64 v[71:72], v[3:4], v[101:102], v[71:72]
	v_add_f64 v[13:14], v[13:14], v[97:98]
	v_add_f64 v[15:16], v[15:16], v[69:70]
	s_clause 0x2
	buffer_load_dword v100, off, s[0:3], 0 offset:780
	buffer_load_dword v70, off, s[0:3], 0 offset:756
	;; [unrolled: 1-line block ×3, first 2 shown]
	ds_read_b128 v[1:4], v60 offset:1376
	s_waitcnt vmcnt(58) lgkmcnt(1)
	v_mul_f64 v[101:102], v[7:8], v[108:109]
	v_mul_f64 v[97:98], v[5:6], v[108:109]
	s_waitcnt vmcnt(56)
	v_fma_f64 v[95:96], v[9:10], v[89:90], -v[95:96]
	v_add_f64 v[13:14], v[13:14], v[77:78]
	v_fma_f64 v[77:78], v[11:12], v[89:90], v[104:105]
	v_add_f64 v[15:16], v[15:16], v[71:72]
	s_clause 0x4
	buffer_load_dword v72, off, s[0:3], 0 offset:796
	buffer_load_dword v89, off, s[0:3], 0 offset:808
	buffer_load_dword v108, off, s[0:3], 0 offset:800
	buffer_load_dword v71, off, s[0:3], 0 offset:792
	buffer_load_dword v104, off, s[0:3], 0 offset:772
	ds_read_b128 v[9:12], v60 offset:1392
	s_waitcnt vmcnt(57) lgkmcnt(1)
	v_mul_f64 v[112:113], v[1:2], v[25:26]
	v_mul_f64 v[25:26], v[3:4], v[25:26]
	s_waitcnt vmcnt(56)
	v_fma_f64 v[101:102], v[5:6], v[110:111], -v[101:102]
	v_add_f64 v[13:14], v[13:14], v[95:96]
	v_fma_f64 v[95:96], v[7:8], v[110:111], v[97:98]
	v_add_f64 v[15:16], v[15:16], v[77:78]
	s_clause 0x2
	buffer_load_dword v90, off, s[0:3], 0 offset:812
	buffer_load_dword v78, off, s[0:3], 0 offset:788
	buffer_load_dword v77, off, s[0:3], 0 offset:784
	ds_read_b128 v[5:8], v60 offset:1408
	s_waitcnt vmcnt(58) lgkmcnt(1)
	v_mul_f64 v[97:98], v[9:10], v[91:92]
	v_mul_f64 v[91:92], v[11:12], v[91:92]
	s_waitcnt vmcnt(56)
	v_fma_f64 v[25:26], v[1:2], v[19:20], -v[25:26]
	v_fma_f64 v[19:20], v[3:4], v[19:20], v[112:113]
	v_add_f64 v[13:14], v[13:14], v[101:102]
	v_add_f64 v[15:16], v[15:16], v[95:96]
	s_clause 0x4
	buffer_load_dword v96, off, s[0:3], 0 offset:828
	buffer_load_dword v101, off, s[0:3], 0 offset:840
	;; [unrolled: 1-line block ×5, first 2 shown]
	ds_read_b128 v[1:4], v60 offset:1424
	s_waitcnt vmcnt(57) lgkmcnt(1)
	v_mul_f64 v[110:111], v[5:6], v[83:84]
	v_mul_f64 v[83:84], v[7:8], v[83:84]
	s_waitcnt vmcnt(56)
	v_fma_f64 v[91:92], v[9:10], v[106:107], -v[91:92]
	v_add_f64 v[13:14], v[13:14], v[25:26]
	v_fma_f64 v[25:26], v[11:12], v[106:107], v[97:98]
	v_add_f64 v[15:16], v[15:16], v[19:20]
	s_clause 0x2
	buffer_load_dword v102, off, s[0:3], 0 offset:844
	buffer_load_dword v20, off, s[0:3], 0 offset:820
	;; [unrolled: 1-line block ×3, first 2 shown]
	ds_read_b128 v[9:12], v60 offset:1440
	buffer_load_dword v106, off, s[0:3], 0 offset:836
	s_waitcnt vmcnt(59) lgkmcnt(1)
	v_mul_f64 v[97:98], v[1:2], v[85:86]
	v_mul_f64 v[85:86], v[3:4], v[85:86]
	s_waitcnt vmcnt(57)
	v_fma_f64 v[83:84], v[5:6], v[21:22], -v[83:84]
	v_fma_f64 v[21:22], v[7:8], v[21:22], v[110:111]
	ds_read_b128 v[5:8], v60 offset:1456
	v_add_f64 v[13:14], v[13:14], v[91:92]
	v_add_f64 v[15:16], v[15:16], v[25:26]
	s_waitcnt vmcnt(53) lgkmcnt(1)
	v_mul_f64 v[25:26], v[9:10], v[17:18]
	v_mul_f64 v[17:18], v[11:12], v[17:18]
	s_waitcnt vmcnt(52)
	v_fma_f64 v[85:86], v[1:2], v[93:94], -v[85:86]
	v_add_f64 v[13:14], v[13:14], v[83:84]
	v_fma_f64 v[83:84], v[3:4], v[93:94], v[97:98]
	v_add_f64 v[15:16], v[15:16], v[21:22]
	ds_read_b128 v[1:4], v60 offset:1472
	s_waitcnt vmcnt(51) lgkmcnt(1)
	v_mul_f64 v[21:22], v[5:6], v[37:38]
	v_mul_f64 v[37:38], v[7:8], v[37:38]
	s_waitcnt vmcnt(49)
	v_fma_f64 v[17:18], v[9:10], v[27:28], -v[17:18]
	v_fma_f64 v[25:26], v[11:12], v[27:28], v[25:26]
	v_add_f64 v[13:14], v[13:14], v[85:86]
	v_add_f64 v[15:16], v[15:16], v[83:84]
	s_clause 0x3
	buffer_load_dword v27, off, s[0:3], 0 offset:240
	buffer_load_dword v28, off, s[0:3], 0 offset:244
	buffer_load_dword v83, off, s[0:3], 0 offset:248
	buffer_load_dword v84, off, s[0:3], 0 offset:252
	ds_read_b128 v[9:12], v60 offset:1488
	s_waitcnt vmcnt(49) lgkmcnt(1)
	v_mul_f64 v[85:86], v[1:2], v[23:24]
	v_mul_f64 v[23:24], v[3:4], v[23:24]
	s_waitcnt vmcnt(48)
	v_fma_f64 v[37:38], v[5:6], v[87:88], -v[37:38]
	v_add_f64 v[13:14], v[13:14], v[17:18]
	v_fma_f64 v[17:18], v[7:8], v[87:88], v[21:22]
	v_add_f64 v[15:16], v[15:16], v[25:26]
	ds_read_b128 v[5:8], v60 offset:1504
	s_waitcnt vmcnt(47) lgkmcnt(1)
	v_mul_f64 v[25:26], v[11:12], v[65:66]
	v_mul_f64 v[21:22], v[9:10], v[65:66]
	s_waitcnt vmcnt(45)
	v_fma_f64 v[23:24], v[1:2], v[33:34], -v[23:24]
	v_fma_f64 v[33:34], v[3:4], v[33:34], v[85:86]
	ds_read_b128 v[1:4], v60 offset:1520
	v_add_f64 v[13:14], v[13:14], v[37:38]
	v_add_f64 v[15:16], v[15:16], v[17:18]
	s_waitcnt vmcnt(41) lgkmcnt(1)
	v_mul_f64 v[17:18], v[5:6], v[29:30]
	v_mul_f64 v[29:30], v[7:8], v[29:30]
	s_waitcnt vmcnt(40)
	v_fma_f64 v[25:26], v[9:10], v[67:68], -v[25:26]
	v_fma_f64 v[21:22], v[11:12], v[67:68], v[21:22]
	ds_read_b128 v[9:12], v60 offset:1536
	v_add_f64 v[13:14], v[13:14], v[23:24]
	v_add_f64 v[15:16], v[15:16], v[33:34]
	;; [unrolled: 9-line block ×3, first 2 shown]
	s_waitcnt vmcnt(33) lgkmcnt(1)
	v_mul_f64 v[25:26], v[11:12], v[35:36]
	s_waitcnt vmcnt(32)
	v_fma_f64 v[31:32], v[1:2], v[75:76], -v[33:34]
	v_mul_f64 v[21:22], v[9:10], v[35:36]
	v_fma_f64 v[23:24], v[3:4], v[75:76], v[23:24]
	ds_read_b128 v[1:4], v60 offset:1568
	v_add_f64 v[13:14], v[13:14], v[29:30]
	v_add_f64 v[15:16], v[15:16], v[17:18]
	s_waitcnt vmcnt(31) lgkmcnt(1)
	v_mul_f64 v[29:30], v[7:8], v[79:80]
	v_mul_f64 v[17:18], v[5:6], v[79:80]
	s_waitcnt vmcnt(29)
	v_fma_f64 v[25:26], v[9:10], v[58:59], -v[25:26]
	v_fma_f64 v[21:22], v[11:12], v[58:59], v[21:22]
	ds_read_b128 v[9:12], v60 offset:1584
	v_add_f64 v[13:14], v[13:14], v[31:32]
	v_add_f64 v[15:16], v[15:16], v[23:24]
	s_waitcnt vmcnt(25) lgkmcnt(1)
	v_mul_f64 v[31:32], v[3:4], v[63:64]
	s_waitcnt vmcnt(24)
	v_fma_f64 v[29:30], v[5:6], v[81:82], -v[29:30]
	v_mul_f64 v[23:24], v[1:2], v[63:64]
	v_fma_f64 v[17:18], v[7:8], v[81:82], v[17:18]
	ds_read_b128 v[5:8], v60 offset:1600
	v_add_f64 v[13:14], v[13:14], v[25:26]
	v_add_f64 v[15:16], v[15:16], v[21:22]
	s_waitcnt vmcnt(23) lgkmcnt(1)
	v_mul_f64 v[25:26], v[11:12], v[99:100]
	v_mul_f64 v[21:22], v[9:10], v[99:100]
	s_waitcnt vmcnt(21)
	v_fma_f64 v[31:32], v[1:2], v[69:70], -v[31:32]
	v_fma_f64 v[23:24], v[3:4], v[69:70], v[23:24]
	ds_read_b128 v[1:4], v60 offset:1616
	v_add_f64 v[13:14], v[13:14], v[29:30]
	v_add_f64 v[15:16], v[15:16], v[17:18]
	;; [unrolled: 18-line block ×3, first 2 shown]
	s_waitcnt vmcnt(9) lgkmcnt(1)
	v_mul_f64 v[25:26], v[11:12], v[95:96]
	s_waitcnt vmcnt(8)
	v_fma_f64 v[1:2], v[1:2], v[108:109], -v[31:32]
	v_mul_f64 v[21:22], v[9:10], v[95:96]
	v_fma_f64 v[3:4], v[3:4], v[108:109], v[23:24]
	v_add_f64 v[13:14], v[13:14], v[29:30]
	v_add_f64 v[15:16], v[15:16], v[17:18]
	s_waitcnt vmcnt(7) lgkmcnt(0)
	v_mul_f64 v[23:24], v[7:8], v[101:102]
	v_mul_f64 v[17:18], v[5:6], v[101:102]
	s_waitcnt vmcnt(5)
	v_fma_f64 v[9:10], v[9:10], v[19:20], -v[25:26]
	v_fma_f64 v[11:12], v[11:12], v[19:20], v[21:22]
	v_add_f64 v[1:2], v[13:14], v[1:2]
	v_add_f64 v[3:4], v[15:16], v[3:4]
	s_waitcnt vmcnt(4)
	v_fma_f64 v[5:6], v[5:6], v[105:106], -v[23:24]
	v_fma_f64 v[7:8], v[7:8], v[105:106], v[17:18]
	v_add_f64 v[1:2], v[1:2], v[9:10]
	v_add_f64 v[3:4], v[3:4], v[11:12]
	;; [unrolled: 1-line block ×4, first 2 shown]
	s_waitcnt vmcnt(2)
	v_add_f64 v[1:2], v[27:28], -v[1:2]
	s_waitcnt vmcnt(0)
	v_add_f64 v[3:4], v[83:84], -v[3:4]
	buffer_store_dword v2, off, s[0:3], 0 offset:244
	buffer_store_dword v1, off, s[0:3], 0 offset:240
	;; [unrolled: 1-line block ×4, first 2 shown]
	v_cmpx_lt_u32_e32 13, v0
	s_cbranch_execz .LBB51_299
; %bb.298:
	v_mov_b32_e32 v4, s51
	s_clause 0x3
	buffer_load_dword v1, v4, s[0:3], 0 offen
	buffer_load_dword v2, v4, s[0:3], 0 offen offset:4
	buffer_load_dword v3, v4, s[0:3], 0 offen offset:8
	;; [unrolled: 1-line block ×3, first 2 shown]
	buffer_store_dword v60, off, s[0:3], 0 offset:224
	buffer_store_dword v60, off, s[0:3], 0 offset:228
	;; [unrolled: 1-line block ×4, first 2 shown]
	s_waitcnt vmcnt(0)
	ds_write_b128 v39, v[1:4]
.LBB51_299:
	s_or_b32 exec_lo, exec_lo, s4
	s_waitcnt lgkmcnt(0)
	s_waitcnt_vscnt null, 0x0
	s_barrier
	buffer_gl0_inv
	s_clause 0x37
	buffer_load_dword v9, off, s[0:3], 0 offset:248
	buffer_load_dword v10, off, s[0:3], 0 offset:252
	;; [unrolled: 1-line block ×56, first 2 shown]
	ds_read_b128 v[83:86], v60 offset:1056
	s_clause 0x2
	buffer_load_dword v80, off, s[0:3], 0 offset:476
	buffer_load_dword v82, off, s[0:3], 0 offset:452
	;; [unrolled: 1-line block ×3, first 2 shown]
	ds_read_b128 v[87:90], v60 offset:1072
	s_clause 0x4
	buffer_load_dword v98, off, s[0:3], 0 offset:492
	buffer_load_dword v99, off, s[0:3], 0 offset:504
	;; [unrolled: 1-line block ×5, first 2 shown]
	ds_read_b128 v[91:94], v60 offset:1088
	s_clause 0x2
	buffer_load_dword v100, off, s[0:3], 0 offset:508
	buffer_load_dword v105, off, s[0:3], 0 offset:484
	;; [unrolled: 1-line block ×3, first 2 shown]
	s_mov_b32 s4, exec_lo
	s_waitcnt vmcnt(62) lgkmcnt(2)
	v_mul_f64 v[95:96], v[85:86], v[9:10]
	v_mul_f64 v[9:10], v[83:84], v[9:10]
	s_waitcnt lgkmcnt(1)
	v_mul_f64 v[102:103], v[89:90], v[5:6]
	s_waitcnt vmcnt(59) lgkmcnt(0)
	v_mul_f64 v[106:107], v[93:94], v[3:4]
	v_fma_f64 v[83:84], v[83:84], v[7:8], -v[95:96]
	v_mul_f64 v[95:96], v[87:88], v[5:6]
	v_fma_f64 v[9:10], v[85:86], v[7:8], v[9:10]
	s_waitcnt vmcnt(57)
	v_fma_f64 v[87:88], v[87:88], v[1:2], -v[102:103]
	ds_read_b128 v[5:8], v60 offset:1104
	v_mul_f64 v[85:86], v[91:92], v[3:4]
	s_waitcnt vmcnt(51)
	v_fma_f64 v[91:92], v[91:92], v[25:26], -v[106:107]
	v_add_f64 v[83:84], v[83:84], 0
	v_fma_f64 v[89:90], v[89:90], v[1:2], v[95:96]
	v_add_f64 v[9:10], v[9:10], 0
	s_clause 0x4
	buffer_load_dword v96, off, s[0:3], 0 offset:524
	buffer_load_dword v108, off, s[0:3], 0 offset:536
	;; [unrolled: 1-line block ×5, first 2 shown]
	s_waitcnt lgkmcnt(0)
	v_mul_f64 v[111:112], v[5:6], v[13:14]
	v_mul_f64 v[13:14], v[7:8], v[13:14]
	ds_read_b128 v[1:4], v60 offset:1120
	v_fma_f64 v[25:26], v[93:94], v[25:26], v[85:86]
	v_add_f64 v[87:88], v[83:84], v[87:88]
	v_add_f64 v[9:10], v[9:10], v[89:90]
	s_clause 0x2
	buffer_load_dword v109, off, s[0:3], 0 offset:540
	buffer_load_dword v90, off, s[0:3], 0 offset:516
	;; [unrolled: 1-line block ×3, first 2 shown]
	s_waitcnt vmcnt(58) lgkmcnt(0)
	v_mul_f64 v[93:94], v[1:2], v[17:18]
	v_mul_f64 v[17:18], v[3:4], v[17:18]
	s_waitcnt vmcnt(56)
	v_fma_f64 v[13:14], v[5:6], v[19:20], -v[13:14]
	ds_read_b128 v[83:86], v60 offset:1136
	v_fma_f64 v[19:20], v[7:8], v[19:20], v[111:112]
	v_add_f64 v[87:88], v[87:88], v[91:92]
	v_add_f64 v[9:10], v[9:10], v[25:26]
	s_clause 0x4
	buffer_load_dword v26, off, s[0:3], 0 offset:556
	buffer_load_dword v91, off, s[0:3], 0 offset:568
	;; [unrolled: 1-line block ×5, first 2 shown]
	ds_read_b128 v[5:8], v60 offset:1152
	s_waitcnt vmcnt(57) lgkmcnt(1)
	v_mul_f64 v[112:113], v[83:84], v[21:22]
	v_mul_f64 v[21:22], v[85:86], v[21:22]
	s_waitcnt vmcnt(56)
	v_fma_f64 v[17:18], v[1:2], v[11:12], -v[17:18]
	v_fma_f64 v[11:12], v[3:4], v[11:12], v[93:94]
	v_add_f64 v[13:14], v[87:88], v[13:14]
	v_add_f64 v[9:10], v[9:10], v[19:20]
	s_clause 0x2
	buffer_load_dword v92, off, s[0:3], 0 offset:572
	buffer_load_dword v20, off, s[0:3], 0 offset:548
	buffer_load_dword v19, off, s[0:3], 0 offset:544
	s_waitcnt vmcnt(58) lgkmcnt(0)
	v_mul_f64 v[87:88], v[5:6], v[27:28]
	v_mul_f64 v[27:28], v[7:8], v[27:28]
	s_waitcnt vmcnt(56)
	v_fma_f64 v[21:22], v[83:84], v[29:30], -v[21:22]
	ds_read_b128 v[1:4], v60 offset:1168
	v_add_f64 v[13:14], v[13:14], v[17:18]
	v_fma_f64 v[17:18], v[85:86], v[29:30], v[112:113]
	v_add_f64 v[29:30], v[9:10], v[11:12]
	s_clause 0x4
	buffer_load_dword v84, off, s[0:3], 0 offset:588
	buffer_load_dword v85, off, s[0:3], 0 offset:600
	buffer_load_dword v93, off, s[0:3], 0 offset:592
	buffer_load_dword v83, off, s[0:3], 0 offset:584
	buffer_load_dword v107, off, s[0:3], 0 offset:564
	ds_read_b128 v[9:12], v60 offset:1184
	s_waitcnt vmcnt(57) lgkmcnt(1)
	v_mul_f64 v[112:113], v[1:2], v[31:32]
	v_mul_f64 v[31:32], v[3:4], v[31:32]
	s_waitcnt vmcnt(56)
	v_fma_f64 v[27:28], v[5:6], v[15:16], -v[27:28]
	v_fma_f64 v[15:16], v[7:8], v[15:16], v[87:88]
	v_add_f64 v[13:14], v[13:14], v[21:22]
	s_clause 0x2
	buffer_load_dword v86, off, s[0:3], 0 offset:604
	buffer_load_dword v22, off, s[0:3], 0 offset:580
	;; [unrolled: 1-line block ×3, first 2 shown]
	v_add_f64 v[17:18], v[29:30], v[17:18]
	s_waitcnt vmcnt(58) lgkmcnt(0)
	v_mul_f64 v[29:30], v[9:10], v[35:36]
	v_mul_f64 v[35:36], v[11:12], v[35:36]
	ds_read_b128 v[5:8], v60 offset:1200
	s_waitcnt vmcnt(56)
	v_fma_f64 v[31:32], v[1:2], v[37:38], -v[31:32]
	v_add_f64 v[13:14], v[13:14], v[27:28]
	v_fma_f64 v[27:28], v[3:4], v[37:38], v[112:113]
	v_add_f64 v[15:16], v[17:18], v[15:16]
	s_clause 0x4
	buffer_load_dword v18, off, s[0:3], 0 offset:620
	buffer_load_dword v37, off, s[0:3], 0 offset:632
	;; [unrolled: 1-line block ×5, first 2 shown]
	s_waitcnt vmcnt(57) lgkmcnt(0)
	v_mul_f64 v[112:113], v[5:6], v[58:59]
	v_mul_f64 v[58:59], v[7:8], v[58:59]
	s_waitcnt vmcnt(56)
	v_fma_f64 v[35:36], v[9:10], v[23:24], -v[35:36]
	ds_read_b128 v[1:4], v60 offset:1216
	v_fma_f64 v[23:24], v[11:12], v[23:24], v[29:30]
	v_add_f64 v[13:14], v[13:14], v[31:32]
	v_add_f64 v[15:16], v[15:16], v[27:28]
	s_clause 0x2
	buffer_load_dword v38, off, s[0:3], 0 offset:636
	buffer_load_dword v28, off, s[0:3], 0 offset:612
	;; [unrolled: 1-line block ×3, first 2 shown]
	ds_read_b128 v[9:12], v60 offset:1232
	s_waitcnt vmcnt(58) lgkmcnt(1)
	v_mul_f64 v[31:32], v[3:4], v[65:66]
	s_waitcnt vmcnt(56)
	v_fma_f64 v[58:59], v[5:6], v[67:68], -v[58:59]
	v_mul_f64 v[29:30], v[1:2], v[65:66]
	v_add_f64 v[13:14], v[13:14], v[35:36]
	v_fma_f64 v[35:36], v[7:8], v[67:68], v[112:113]
	v_add_f64 v[15:16], v[15:16], v[23:24]
	s_clause 0x4
	buffer_load_dword v24, off, s[0:3], 0 offset:652
	buffer_load_dword v65, off, s[0:3], 0 offset:664
	;; [unrolled: 1-line block ×5, first 2 shown]
	s_waitcnt vmcnt(57) lgkmcnt(0)
	v_mul_f64 v[112:113], v[9:10], v[69:70]
	v_mul_f64 v[68:69], v[11:12], v[69:70]
	s_waitcnt vmcnt(56)
	v_fma_f64 v[31:32], v[1:2], v[33:34], -v[31:32]
	ds_read_b128 v[5:8], v60 offset:1248
	v_fma_f64 v[29:30], v[3:4], v[33:34], v[29:30]
	s_clause 0x2
	buffer_load_dword v66, off, s[0:3], 0 offset:668
	buffer_load_dword v34, off, s[0:3], 0 offset:644
	;; [unrolled: 1-line block ×3, first 2 shown]
	ds_read_b128 v[1:4], v60 offset:1264
	v_add_f64 v[13:14], v[13:14], v[58:59]
	v_add_f64 v[15:16], v[15:16], v[35:36]
	s_waitcnt vmcnt(58) lgkmcnt(1)
	v_mul_f64 v[58:59], v[7:8], v[73:74]
	s_waitcnt vmcnt(56)
	v_fma_f64 v[69:70], v[9:10], v[75:76], -v[68:69]
	v_mul_f64 v[35:36], v[5:6], v[73:74]
	v_add_f64 v[13:14], v[13:14], v[31:32]
	v_fma_f64 v[31:32], v[11:12], v[75:76], v[112:113]
	v_add_f64 v[15:16], v[15:16], v[29:30]
	s_clause 0x4
	buffer_load_dword v30, off, s[0:3], 0 offset:684
	buffer_load_dword v73, off, s[0:3], 0 offset:696
	;; [unrolled: 1-line block ×5, first 2 shown]
	s_waitcnt vmcnt(57) lgkmcnt(0)
	v_mul_f64 v[112:113], v[1:2], v[77:78]
	v_mul_f64 v[76:77], v[3:4], v[77:78]
	s_waitcnt vmcnt(56)
	v_fma_f64 v[58:59], v[5:6], v[63:64], -v[58:59]
	ds_read_b128 v[9:12], v60 offset:1280
	v_fma_f64 v[35:36], v[7:8], v[63:64], v[35:36]
	v_add_f64 v[13:14], v[13:14], v[69:70]
	v_add_f64 v[15:16], v[15:16], v[31:32]
	s_clause 0x2
	buffer_load_dword v74, off, s[0:3], 0 offset:700
	buffer_load_dword v32, off, s[0:3], 0 offset:676
	;; [unrolled: 1-line block ×3, first 2 shown]
	ds_read_b128 v[5:8], v60 offset:1296
	s_waitcnt vmcnt(58) lgkmcnt(1)
	v_mul_f64 v[69:70], v[11:12], v[79:80]
	s_waitcnt vmcnt(56)
	v_fma_f64 v[77:78], v[1:2], v[81:82], -v[76:77]
	v_mul_f64 v[63:64], v[9:10], v[79:80]
	v_add_f64 v[13:14], v[13:14], v[58:59]
	v_fma_f64 v[58:59], v[3:4], v[81:82], v[112:113]
	v_add_f64 v[15:16], v[15:16], v[35:36]
	s_clause 0x4
	buffer_load_dword v36, off, s[0:3], 0 offset:716
	buffer_load_dword v79, off, s[0:3], 0 offset:728
	;; [unrolled: 1-line block ×5, first 2 shown]
	s_waitcnt vmcnt(57) lgkmcnt(0)
	v_mul_f64 v[112:113], v[5:6], v[97:98]
	v_mul_f64 v[97:98], v[7:8], v[97:98]
	s_waitcnt vmcnt(56)
	v_fma_f64 v[69:70], v[9:10], v[71:72], -v[69:70]
	ds_read_b128 v[1:4], v60 offset:1312
	v_fma_f64 v[63:64], v[11:12], v[71:72], v[63:64]
	v_add_f64 v[13:14], v[13:14], v[77:78]
	v_add_f64 v[15:16], v[15:16], v[58:59]
	s_clause 0x2
	buffer_load_dword v80, off, s[0:3], 0 offset:732
	buffer_load_dword v59, off, s[0:3], 0 offset:708
	;; [unrolled: 1-line block ×3, first 2 shown]
	ds_read_b128 v[9:12], v60 offset:1328
	s_waitcnt vmcnt(58) lgkmcnt(1)
	v_mul_f64 v[77:78], v[3:4], v[99:100]
	s_waitcnt vmcnt(56)
	v_fma_f64 v[97:98], v[5:6], v[104:105], -v[97:98]
	v_mul_f64 v[71:72], v[1:2], v[99:100]
	v_add_f64 v[13:14], v[13:14], v[69:70]
	v_fma_f64 v[69:70], v[7:8], v[104:105], v[112:113]
	v_add_f64 v[15:16], v[15:16], v[63:64]
	s_clause 0x4
	buffer_load_dword v64, off, s[0:3], 0 offset:748
	buffer_load_dword v99, off, s[0:3], 0 offset:760
	;; [unrolled: 1-line block ×5, first 2 shown]
	ds_read_b128 v[5:8], v60 offset:1344
	s_waitcnt vmcnt(57) lgkmcnt(1)
	v_mul_f64 v[104:105], v[9:10], v[95:96]
	v_mul_f64 v[95:96], v[11:12], v[95:96]
	s_waitcnt vmcnt(56)
	v_fma_f64 v[77:78], v[1:2], v[101:102], -v[77:78]
	v_fma_f64 v[71:72], v[3:4], v[101:102], v[71:72]
	v_add_f64 v[13:14], v[13:14], v[97:98]
	v_add_f64 v[15:16], v[15:16], v[69:70]
	s_clause 0x2
	buffer_load_dword v100, off, s[0:3], 0 offset:764
	buffer_load_dword v70, off, s[0:3], 0 offset:740
	;; [unrolled: 1-line block ×3, first 2 shown]
	ds_read_b128 v[1:4], v60 offset:1360
	s_waitcnt vmcnt(58) lgkmcnt(1)
	v_mul_f64 v[101:102], v[7:8], v[108:109]
	v_mul_f64 v[97:98], v[5:6], v[108:109]
	s_waitcnt vmcnt(56)
	v_fma_f64 v[95:96], v[9:10], v[89:90], -v[95:96]
	v_add_f64 v[13:14], v[13:14], v[77:78]
	v_fma_f64 v[77:78], v[11:12], v[89:90], v[104:105]
	v_add_f64 v[15:16], v[15:16], v[71:72]
	s_clause 0x4
	buffer_load_dword v72, off, s[0:3], 0 offset:780
	buffer_load_dword v89, off, s[0:3], 0 offset:792
	;; [unrolled: 1-line block ×5, first 2 shown]
	ds_read_b128 v[9:12], v60 offset:1376
	s_waitcnt vmcnt(57) lgkmcnt(1)
	v_mul_f64 v[112:113], v[1:2], v[25:26]
	v_mul_f64 v[25:26], v[3:4], v[25:26]
	s_waitcnt vmcnt(56)
	v_fma_f64 v[101:102], v[5:6], v[110:111], -v[101:102]
	v_add_f64 v[13:14], v[13:14], v[95:96]
	v_fma_f64 v[95:96], v[7:8], v[110:111], v[97:98]
	v_add_f64 v[15:16], v[15:16], v[77:78]
	s_clause 0x2
	buffer_load_dword v90, off, s[0:3], 0 offset:796
	buffer_load_dword v78, off, s[0:3], 0 offset:772
	;; [unrolled: 1-line block ×3, first 2 shown]
	ds_read_b128 v[5:8], v60 offset:1392
	s_waitcnt vmcnt(58) lgkmcnt(1)
	v_mul_f64 v[97:98], v[9:10], v[91:92]
	v_mul_f64 v[91:92], v[11:12], v[91:92]
	s_waitcnt vmcnt(56)
	v_fma_f64 v[25:26], v[1:2], v[19:20], -v[25:26]
	v_fma_f64 v[19:20], v[3:4], v[19:20], v[112:113]
	v_add_f64 v[13:14], v[13:14], v[101:102]
	v_add_f64 v[15:16], v[15:16], v[95:96]
	s_clause 0x4
	buffer_load_dword v96, off, s[0:3], 0 offset:812
	buffer_load_dword v101, off, s[0:3], 0 offset:824
	;; [unrolled: 1-line block ×5, first 2 shown]
	ds_read_b128 v[1:4], v60 offset:1408
	s_waitcnt vmcnt(57) lgkmcnt(1)
	v_mul_f64 v[110:111], v[5:6], v[83:84]
	v_mul_f64 v[83:84], v[7:8], v[83:84]
	s_waitcnt vmcnt(56)
	v_fma_f64 v[91:92], v[9:10], v[106:107], -v[91:92]
	v_add_f64 v[13:14], v[13:14], v[25:26]
	v_fma_f64 v[25:26], v[11:12], v[106:107], v[97:98]
	v_add_f64 v[15:16], v[15:16], v[19:20]
	s_clause 0x2
	buffer_load_dword v102, off, s[0:3], 0 offset:828
	buffer_load_dword v20, off, s[0:3], 0 offset:804
	;; [unrolled: 1-line block ×3, first 2 shown]
	ds_read_b128 v[9:12], v60 offset:1424
	s_waitcnt vmcnt(58) lgkmcnt(1)
	v_mul_f64 v[97:98], v[1:2], v[85:86]
	v_mul_f64 v[85:86], v[3:4], v[85:86]
	s_waitcnt vmcnt(56)
	v_fma_f64 v[83:84], v[5:6], v[21:22], -v[83:84]
	v_fma_f64 v[21:22], v[7:8], v[21:22], v[110:111]
	v_add_f64 v[13:14], v[13:14], v[91:92]
	v_add_f64 v[15:16], v[15:16], v[25:26]
	s_clause 0x2
	buffer_load_dword v26, off, s[0:3], 0 offset:844
	buffer_load_dword v25, off, s[0:3], 0 offset:840
	;; [unrolled: 1-line block ×3, first 2 shown]
	ds_read_b128 v[5:8], v60 offset:1440
	s_waitcnt vmcnt(55) lgkmcnt(1)
	v_mul_f64 v[91:92], v[9:10], v[17:18]
	v_mul_f64 v[17:18], v[11:12], v[17:18]
	s_waitcnt vmcnt(54)
	v_fma_f64 v[85:86], v[1:2], v[93:94], -v[85:86]
	v_add_f64 v[13:14], v[13:14], v[83:84]
	v_fma_f64 v[83:84], v[3:4], v[93:94], v[97:98]
	v_add_f64 v[15:16], v[15:16], v[21:22]
	s_clause 0x1
	buffer_load_dword v22, off, s[0:3], 0 offset:836
	buffer_load_dword v21, off, s[0:3], 0 offset:832
	ds_read_b128 v[1:4], v60 offset:1456
	s_waitcnt vmcnt(55) lgkmcnt(1)
	v_mul_f64 v[93:94], v[5:6], v[37:38]
	v_mul_f64 v[37:38], v[7:8], v[37:38]
	s_waitcnt vmcnt(53)
	v_fma_f64 v[17:18], v[9:10], v[27:28], -v[17:18]
	v_fma_f64 v[27:28], v[11:12], v[27:28], v[91:92]
	ds_read_b128 v[9:12], v60 offset:1472
	v_add_f64 v[13:14], v[13:14], v[85:86]
	v_add_f64 v[15:16], v[15:16], v[83:84]
	s_waitcnt vmcnt(49) lgkmcnt(1)
	v_mul_f64 v[83:84], v[1:2], v[23:24]
	v_mul_f64 v[23:24], v[3:4], v[23:24]
	s_waitcnt vmcnt(48)
	v_fma_f64 v[37:38], v[5:6], v[87:88], -v[37:38]
	v_add_f64 v[13:14], v[13:14], v[17:18]
	v_fma_f64 v[17:18], v[7:8], v[87:88], v[93:94]
	v_add_f64 v[15:16], v[15:16], v[27:28]
	s_clause 0x3
	buffer_load_dword v27, off, s[0:3], 0 offset:224
	buffer_load_dword v28, off, s[0:3], 0 offset:228
	;; [unrolled: 1-line block ×4, first 2 shown]
	s_waitcnt vmcnt(51) lgkmcnt(0)
	v_mul_f64 v[87:88], v[9:10], v[65:66]
	v_mul_f64 v[65:66], v[11:12], v[65:66]
	ds_read_b128 v[5:8], v60 offset:1488
	s_waitcnt vmcnt(49)
	v_fma_f64 v[23:24], v[1:2], v[33:34], -v[23:24]
	v_fma_f64 v[33:34], v[3:4], v[33:34], v[83:84]
	ds_read_b128 v[1:4], v60 offset:1504
	v_add_f64 v[13:14], v[13:14], v[37:38]
	v_add_f64 v[15:16], v[15:16], v[17:18]
	s_waitcnt vmcnt(45) lgkmcnt(1)
	v_mul_f64 v[17:18], v[5:6], v[29:30]
	v_mul_f64 v[29:30], v[7:8], v[29:30]
	s_waitcnt vmcnt(44)
	v_fma_f64 v[37:38], v[9:10], v[67:68], -v[65:66]
	v_add_f64 v[13:14], v[13:14], v[23:24]
	v_fma_f64 v[23:24], v[11:12], v[67:68], v[87:88]
	v_add_f64 v[15:16], v[15:16], v[33:34]
	ds_read_b128 v[9:12], v60 offset:1520
	s_waitcnt vmcnt(43) lgkmcnt(1)
	v_mul_f64 v[65:66], v[3:4], v[73:74]
	v_mul_f64 v[33:34], v[1:2], v[73:74]
	s_waitcnt vmcnt(41)
	v_fma_f64 v[29:30], v[5:6], v[31:32], -v[29:30]
	v_fma_f64 v[17:18], v[7:8], v[31:32], v[17:18]
	ds_read_b128 v[5:8], v60 offset:1536
	v_add_f64 v[13:14], v[13:14], v[37:38]
	v_add_f64 v[15:16], v[15:16], v[23:24]
	s_waitcnt vmcnt(37) lgkmcnt(1)
	v_mul_f64 v[23:24], v[9:10], v[35:36]
	v_mul_f64 v[31:32], v[11:12], v[35:36]
	s_waitcnt vmcnt(36)
	v_fma_f64 v[35:36], v[1:2], v[75:76], -v[65:66]
	v_add_f64 v[13:14], v[13:14], v[29:30]
	v_fma_f64 v[29:30], v[3:4], v[75:76], v[33:34]
	v_add_f64 v[15:16], v[15:16], v[17:18]
	ds_read_b128 v[1:4], v60 offset:1552
	s_waitcnt vmcnt(35) lgkmcnt(1)
	v_mul_f64 v[33:34], v[7:8], v[79:80]
	v_mul_f64 v[17:18], v[5:6], v[79:80]
	s_waitcnt vmcnt(33)
	v_fma_f64 v[31:32], v[9:10], v[58:59], -v[31:32]
	v_fma_f64 v[23:24], v[11:12], v[58:59], v[23:24]
	ds_read_b128 v[9:12], v60 offset:1568
	v_add_f64 v[13:14], v[13:14], v[35:36]
	v_add_f64 v[15:16], v[15:16], v[29:30]
	s_waitcnt vmcnt(29) lgkmcnt(1)
	v_mul_f64 v[35:36], v[3:4], v[63:64]
	s_waitcnt vmcnt(28)
	v_fma_f64 v[33:34], v[5:6], v[81:82], -v[33:34]
	v_mul_f64 v[29:30], v[1:2], v[63:64]
	v_fma_f64 v[17:18], v[7:8], v[81:82], v[17:18]
	ds_read_b128 v[5:8], v60 offset:1584
	v_add_f64 v[13:14], v[13:14], v[31:32]
	v_add_f64 v[15:16], v[15:16], v[23:24]
	s_waitcnt vmcnt(27) lgkmcnt(1)
	v_mul_f64 v[31:32], v[11:12], v[99:100]
	v_mul_f64 v[23:24], v[9:10], v[99:100]
	s_waitcnt vmcnt(25)
	v_fma_f64 v[35:36], v[1:2], v[69:70], -v[35:36]
	v_fma_f64 v[29:30], v[3:4], v[69:70], v[29:30]
	ds_read_b128 v[1:4], v60 offset:1600
	v_add_f64 v[13:14], v[13:14], v[33:34]
	v_add_f64 v[15:16], v[15:16], v[17:18]
	s_waitcnt vmcnt(21) lgkmcnt(1)
	v_mul_f64 v[33:34], v[7:8], v[71:72]
	s_waitcnt vmcnt(20)
	v_fma_f64 v[31:32], v[9:10], v[103:104], -v[31:32]
	v_mul_f64 v[17:18], v[5:6], v[71:72]
	v_fma_f64 v[23:24], v[11:12], v[103:104], v[23:24]
	ds_read_b128 v[9:12], v60 offset:1616
	v_add_f64 v[13:14], v[13:14], v[35:36]
	v_add_f64 v[15:16], v[15:16], v[29:30]
	;; [unrolled: 18-line block ×3, first 2 shown]
	s_waitcnt vmcnt(11) lgkmcnt(1)
	v_mul_f64 v[33:34], v[7:8], v[101:102]
	v_mul_f64 v[17:18], v[5:6], v[101:102]
	s_waitcnt vmcnt(9)
	v_fma_f64 v[9:10], v[9:10], v[19:20], -v[31:32]
	v_fma_f64 v[11:12], v[11:12], v[19:20], v[23:24]
	v_add_f64 v[13:14], v[13:14], v[35:36]
	v_add_f64 v[15:16], v[15:16], v[29:30]
	s_waitcnt vmcnt(7) lgkmcnt(0)
	v_mul_f64 v[23:24], v[3:4], v[25:26]
	s_waitcnt vmcnt(6)
	v_fma_f64 v[5:6], v[5:6], v[105:106], -v[33:34]
	v_mul_f64 v[19:20], v[1:2], v[25:26]
	v_fma_f64 v[7:8], v[7:8], v[105:106], v[17:18]
	v_add_f64 v[9:10], v[13:14], v[9:10]
	v_add_f64 v[11:12], v[15:16], v[11:12]
	s_waitcnt vmcnt(4)
	v_fma_f64 v[1:2], v[1:2], v[21:22], -v[23:24]
	v_fma_f64 v[3:4], v[3:4], v[21:22], v[19:20]
	v_add_f64 v[5:6], v[9:10], v[5:6]
	v_add_f64 v[7:8], v[11:12], v[7:8]
	;; [unrolled: 1-line block ×4, first 2 shown]
	s_waitcnt vmcnt(2)
	v_add_f64 v[1:2], v[27:28], -v[1:2]
	s_waitcnt vmcnt(0)
	v_add_f64 v[3:4], v[85:86], -v[3:4]
	buffer_store_dword v2, off, s[0:3], 0 offset:228
	buffer_store_dword v1, off, s[0:3], 0 offset:224
	;; [unrolled: 1-line block ×4, first 2 shown]
	v_cmpx_lt_u32_e32 12, v0
	s_cbranch_execz .LBB51_301
; %bb.300:
	v_mov_b32_e32 v4, s52
	v_mov_b32_e32 v5, 0
	s_clause 0x3
	buffer_load_dword v1, v4, s[0:3], 0 offen
	buffer_load_dword v2, v4, s[0:3], 0 offen offset:4
	buffer_load_dword v3, v4, s[0:3], 0 offen offset:8
	;; [unrolled: 1-line block ×3, first 2 shown]
	buffer_store_dword v5, off, s[0:3], 0 offset:208
	buffer_store_dword v5, off, s[0:3], 0 offset:212
	buffer_store_dword v5, off, s[0:3], 0 offset:216
	buffer_store_dword v5, off, s[0:3], 0 offset:220
	s_waitcnt vmcnt(0)
	ds_write_b128 v39, v[1:4]
.LBB51_301:
	s_or_b32 exec_lo, exec_lo, s4
	s_waitcnt lgkmcnt(0)
	s_waitcnt_vscnt null, 0x0
	s_barrier
	buffer_gl0_inv
	s_clause 0x37
	buffer_load_dword v9, off, s[0:3], 0 offset:232
	buffer_load_dword v10, off, s[0:3], 0 offset:236
	;; [unrolled: 1-line block ×56, first 2 shown]
	v_mov_b32_e32 v60, 0
	s_mov_b32 s4, exec_lo
	ds_read_b128 v[83:86], v60 offset:1040
	s_clause 0x2
	buffer_load_dword v80, off, s[0:3], 0 offset:460
	buffer_load_dword v82, off, s[0:3], 0 offset:436
	;; [unrolled: 1-line block ×3, first 2 shown]
	ds_read_b128 v[87:90], v60 offset:1056
	s_clause 0x4
	buffer_load_dword v98, off, s[0:3], 0 offset:476
	buffer_load_dword v99, off, s[0:3], 0 offset:488
	;; [unrolled: 1-line block ×5, first 2 shown]
	ds_read_b128 v[91:94], v60 offset:1072
	s_clause 0x2
	buffer_load_dword v100, off, s[0:3], 0 offset:492
	buffer_load_dword v105, off, s[0:3], 0 offset:468
	;; [unrolled: 1-line block ×3, first 2 shown]
	s_waitcnt vmcnt(62) lgkmcnt(2)
	v_mul_f64 v[95:96], v[85:86], v[9:10]
	v_mul_f64 v[9:10], v[83:84], v[9:10]
	s_waitcnt lgkmcnt(1)
	v_mul_f64 v[102:103], v[89:90], v[5:6]
	s_waitcnt vmcnt(59) lgkmcnt(0)
	v_mul_f64 v[106:107], v[93:94], v[3:4]
	v_fma_f64 v[83:84], v[83:84], v[7:8], -v[95:96]
	v_mul_f64 v[95:96], v[87:88], v[5:6]
	v_fma_f64 v[9:10], v[85:86], v[7:8], v[9:10]
	s_waitcnt vmcnt(57)
	v_fma_f64 v[87:88], v[87:88], v[1:2], -v[102:103]
	ds_read_b128 v[5:8], v60 offset:1088
	v_mul_f64 v[85:86], v[91:92], v[3:4]
	s_waitcnt vmcnt(51)
	v_fma_f64 v[91:92], v[91:92], v[25:26], -v[106:107]
	v_add_f64 v[83:84], v[83:84], 0
	v_fma_f64 v[89:90], v[89:90], v[1:2], v[95:96]
	v_add_f64 v[9:10], v[9:10], 0
	s_clause 0x4
	buffer_load_dword v96, off, s[0:3], 0 offset:508
	buffer_load_dword v108, off, s[0:3], 0 offset:520
	;; [unrolled: 1-line block ×5, first 2 shown]
	s_waitcnt lgkmcnt(0)
	v_mul_f64 v[111:112], v[5:6], v[13:14]
	v_mul_f64 v[13:14], v[7:8], v[13:14]
	ds_read_b128 v[1:4], v60 offset:1104
	v_fma_f64 v[25:26], v[93:94], v[25:26], v[85:86]
	v_add_f64 v[87:88], v[83:84], v[87:88]
	v_add_f64 v[9:10], v[9:10], v[89:90]
	s_clause 0x2
	buffer_load_dword v109, off, s[0:3], 0 offset:524
	buffer_load_dword v90, off, s[0:3], 0 offset:500
	buffer_load_dword v89, off, s[0:3], 0 offset:496
	s_waitcnt vmcnt(58) lgkmcnt(0)
	v_mul_f64 v[93:94], v[1:2], v[17:18]
	v_mul_f64 v[17:18], v[3:4], v[17:18]
	s_waitcnt vmcnt(56)
	v_fma_f64 v[13:14], v[5:6], v[19:20], -v[13:14]
	ds_read_b128 v[83:86], v60 offset:1120
	v_fma_f64 v[19:20], v[7:8], v[19:20], v[111:112]
	v_add_f64 v[87:88], v[87:88], v[91:92]
	v_add_f64 v[9:10], v[9:10], v[25:26]
	s_clause 0x4
	buffer_load_dword v26, off, s[0:3], 0 offset:540
	buffer_load_dword v91, off, s[0:3], 0 offset:552
	;; [unrolled: 1-line block ×5, first 2 shown]
	ds_read_b128 v[5:8], v60 offset:1136
	s_waitcnt vmcnt(57) lgkmcnt(1)
	v_mul_f64 v[112:113], v[83:84], v[21:22]
	v_mul_f64 v[21:22], v[85:86], v[21:22]
	s_waitcnt vmcnt(56)
	v_fma_f64 v[17:18], v[1:2], v[11:12], -v[17:18]
	v_fma_f64 v[11:12], v[3:4], v[11:12], v[93:94]
	v_add_f64 v[13:14], v[87:88], v[13:14]
	v_add_f64 v[9:10], v[9:10], v[19:20]
	s_clause 0x2
	buffer_load_dword v92, off, s[0:3], 0 offset:556
	buffer_load_dword v20, off, s[0:3], 0 offset:532
	;; [unrolled: 1-line block ×3, first 2 shown]
	s_waitcnt vmcnt(58) lgkmcnt(0)
	v_mul_f64 v[87:88], v[5:6], v[27:28]
	v_mul_f64 v[27:28], v[7:8], v[27:28]
	s_waitcnt vmcnt(56)
	v_fma_f64 v[21:22], v[83:84], v[29:30], -v[21:22]
	ds_read_b128 v[1:4], v60 offset:1152
	v_add_f64 v[13:14], v[13:14], v[17:18]
	v_fma_f64 v[17:18], v[85:86], v[29:30], v[112:113]
	v_add_f64 v[29:30], v[9:10], v[11:12]
	s_clause 0x4
	buffer_load_dword v84, off, s[0:3], 0 offset:572
	buffer_load_dword v85, off, s[0:3], 0 offset:584
	;; [unrolled: 1-line block ×5, first 2 shown]
	ds_read_b128 v[9:12], v60 offset:1168
	s_waitcnt vmcnt(57) lgkmcnt(1)
	v_mul_f64 v[112:113], v[1:2], v[31:32]
	v_mul_f64 v[31:32], v[3:4], v[31:32]
	s_waitcnt vmcnt(56)
	v_fma_f64 v[27:28], v[5:6], v[15:16], -v[27:28]
	v_fma_f64 v[15:16], v[7:8], v[15:16], v[87:88]
	v_add_f64 v[13:14], v[13:14], v[21:22]
	s_clause 0x2
	buffer_load_dword v86, off, s[0:3], 0 offset:588
	buffer_load_dword v22, off, s[0:3], 0 offset:564
	;; [unrolled: 1-line block ×3, first 2 shown]
	v_add_f64 v[17:18], v[29:30], v[17:18]
	s_waitcnt vmcnt(58) lgkmcnt(0)
	v_mul_f64 v[29:30], v[9:10], v[35:36]
	v_mul_f64 v[35:36], v[11:12], v[35:36]
	ds_read_b128 v[5:8], v60 offset:1184
	s_waitcnt vmcnt(56)
	v_fma_f64 v[31:32], v[1:2], v[37:38], -v[31:32]
	v_add_f64 v[13:14], v[13:14], v[27:28]
	v_fma_f64 v[27:28], v[3:4], v[37:38], v[112:113]
	v_add_f64 v[15:16], v[17:18], v[15:16]
	s_clause 0x4
	buffer_load_dword v18, off, s[0:3], 0 offset:604
	buffer_load_dword v37, off, s[0:3], 0 offset:616
	;; [unrolled: 1-line block ×5, first 2 shown]
	s_waitcnt vmcnt(57) lgkmcnt(0)
	v_mul_f64 v[112:113], v[5:6], v[58:59]
	v_mul_f64 v[58:59], v[7:8], v[58:59]
	s_waitcnt vmcnt(56)
	v_fma_f64 v[35:36], v[9:10], v[23:24], -v[35:36]
	ds_read_b128 v[1:4], v60 offset:1200
	v_fma_f64 v[23:24], v[11:12], v[23:24], v[29:30]
	v_add_f64 v[13:14], v[13:14], v[31:32]
	v_add_f64 v[15:16], v[15:16], v[27:28]
	s_clause 0x2
	buffer_load_dword v38, off, s[0:3], 0 offset:620
	buffer_load_dword v28, off, s[0:3], 0 offset:596
	;; [unrolled: 1-line block ×3, first 2 shown]
	ds_read_b128 v[9:12], v60 offset:1216
	s_waitcnt vmcnt(58) lgkmcnt(1)
	v_mul_f64 v[31:32], v[3:4], v[65:66]
	s_waitcnt vmcnt(56)
	v_fma_f64 v[58:59], v[5:6], v[67:68], -v[58:59]
	v_mul_f64 v[29:30], v[1:2], v[65:66]
	v_add_f64 v[13:14], v[13:14], v[35:36]
	v_fma_f64 v[35:36], v[7:8], v[67:68], v[112:113]
	v_add_f64 v[15:16], v[15:16], v[23:24]
	s_clause 0x4
	buffer_load_dword v24, off, s[0:3], 0 offset:636
	buffer_load_dword v65, off, s[0:3], 0 offset:648
	;; [unrolled: 1-line block ×5, first 2 shown]
	s_waitcnt vmcnt(57) lgkmcnt(0)
	v_mul_f64 v[112:113], v[9:10], v[69:70]
	v_mul_f64 v[68:69], v[11:12], v[69:70]
	s_waitcnt vmcnt(56)
	v_fma_f64 v[31:32], v[1:2], v[33:34], -v[31:32]
	ds_read_b128 v[5:8], v60 offset:1232
	v_fma_f64 v[29:30], v[3:4], v[33:34], v[29:30]
	s_clause 0x2
	buffer_load_dword v66, off, s[0:3], 0 offset:652
	buffer_load_dword v34, off, s[0:3], 0 offset:628
	;; [unrolled: 1-line block ×3, first 2 shown]
	ds_read_b128 v[1:4], v60 offset:1248
	v_add_f64 v[13:14], v[13:14], v[58:59]
	v_add_f64 v[15:16], v[15:16], v[35:36]
	s_waitcnt vmcnt(58) lgkmcnt(1)
	v_mul_f64 v[58:59], v[7:8], v[73:74]
	s_waitcnt vmcnt(56)
	v_fma_f64 v[69:70], v[9:10], v[75:76], -v[68:69]
	v_mul_f64 v[35:36], v[5:6], v[73:74]
	v_add_f64 v[13:14], v[13:14], v[31:32]
	v_fma_f64 v[31:32], v[11:12], v[75:76], v[112:113]
	v_add_f64 v[15:16], v[15:16], v[29:30]
	s_clause 0x4
	buffer_load_dword v30, off, s[0:3], 0 offset:668
	buffer_load_dword v73, off, s[0:3], 0 offset:680
	;; [unrolled: 1-line block ×5, first 2 shown]
	s_waitcnt vmcnt(57) lgkmcnt(0)
	v_mul_f64 v[112:113], v[1:2], v[77:78]
	v_mul_f64 v[76:77], v[3:4], v[77:78]
	s_waitcnt vmcnt(56)
	v_fma_f64 v[58:59], v[5:6], v[63:64], -v[58:59]
	ds_read_b128 v[9:12], v60 offset:1264
	v_fma_f64 v[35:36], v[7:8], v[63:64], v[35:36]
	v_add_f64 v[13:14], v[13:14], v[69:70]
	v_add_f64 v[15:16], v[15:16], v[31:32]
	s_clause 0x2
	buffer_load_dword v74, off, s[0:3], 0 offset:684
	buffer_load_dword v32, off, s[0:3], 0 offset:660
	;; [unrolled: 1-line block ×3, first 2 shown]
	ds_read_b128 v[5:8], v60 offset:1280
	s_waitcnt vmcnt(58) lgkmcnt(1)
	v_mul_f64 v[69:70], v[11:12], v[79:80]
	s_waitcnt vmcnt(56)
	v_fma_f64 v[77:78], v[1:2], v[81:82], -v[76:77]
	v_mul_f64 v[63:64], v[9:10], v[79:80]
	v_add_f64 v[13:14], v[13:14], v[58:59]
	v_fma_f64 v[58:59], v[3:4], v[81:82], v[112:113]
	v_add_f64 v[15:16], v[15:16], v[35:36]
	s_clause 0x4
	buffer_load_dword v36, off, s[0:3], 0 offset:700
	buffer_load_dword v79, off, s[0:3], 0 offset:712
	;; [unrolled: 1-line block ×5, first 2 shown]
	s_waitcnt vmcnt(57) lgkmcnt(0)
	v_mul_f64 v[112:113], v[5:6], v[97:98]
	v_mul_f64 v[97:98], v[7:8], v[97:98]
	s_waitcnt vmcnt(56)
	v_fma_f64 v[69:70], v[9:10], v[71:72], -v[69:70]
	ds_read_b128 v[1:4], v60 offset:1296
	v_fma_f64 v[63:64], v[11:12], v[71:72], v[63:64]
	v_add_f64 v[13:14], v[13:14], v[77:78]
	v_add_f64 v[15:16], v[15:16], v[58:59]
	s_clause 0x2
	buffer_load_dword v80, off, s[0:3], 0 offset:716
	buffer_load_dword v59, off, s[0:3], 0 offset:692
	buffer_load_dword v58, off, s[0:3], 0 offset:688
	ds_read_b128 v[9:12], v60 offset:1312
	s_waitcnt vmcnt(58) lgkmcnt(1)
	v_mul_f64 v[77:78], v[3:4], v[99:100]
	s_waitcnt vmcnt(56)
	v_fma_f64 v[97:98], v[5:6], v[104:105], -v[97:98]
	v_mul_f64 v[71:72], v[1:2], v[99:100]
	v_add_f64 v[13:14], v[13:14], v[69:70]
	v_fma_f64 v[69:70], v[7:8], v[104:105], v[112:113]
	v_add_f64 v[15:16], v[15:16], v[63:64]
	s_clause 0x4
	buffer_load_dword v64, off, s[0:3], 0 offset:732
	buffer_load_dword v99, off, s[0:3], 0 offset:744
	;; [unrolled: 1-line block ×5, first 2 shown]
	ds_read_b128 v[5:8], v60 offset:1328
	s_waitcnt vmcnt(57) lgkmcnt(1)
	v_mul_f64 v[104:105], v[9:10], v[95:96]
	v_mul_f64 v[95:96], v[11:12], v[95:96]
	s_waitcnt vmcnt(56)
	v_fma_f64 v[77:78], v[1:2], v[101:102], -v[77:78]
	v_fma_f64 v[71:72], v[3:4], v[101:102], v[71:72]
	v_add_f64 v[13:14], v[13:14], v[97:98]
	v_add_f64 v[15:16], v[15:16], v[69:70]
	s_clause 0x2
	buffer_load_dword v100, off, s[0:3], 0 offset:748
	buffer_load_dword v70, off, s[0:3], 0 offset:724
	;; [unrolled: 1-line block ×3, first 2 shown]
	ds_read_b128 v[1:4], v60 offset:1344
	s_waitcnt vmcnt(58) lgkmcnt(1)
	v_mul_f64 v[101:102], v[7:8], v[108:109]
	v_mul_f64 v[97:98], v[5:6], v[108:109]
	s_waitcnt vmcnt(56)
	v_fma_f64 v[95:96], v[9:10], v[89:90], -v[95:96]
	v_add_f64 v[13:14], v[13:14], v[77:78]
	v_fma_f64 v[77:78], v[11:12], v[89:90], v[104:105]
	v_add_f64 v[15:16], v[15:16], v[71:72]
	s_clause 0x4
	buffer_load_dword v72, off, s[0:3], 0 offset:764
	buffer_load_dword v89, off, s[0:3], 0 offset:776
	;; [unrolled: 1-line block ×5, first 2 shown]
	ds_read_b128 v[9:12], v60 offset:1360
	s_waitcnt vmcnt(57) lgkmcnt(1)
	v_mul_f64 v[112:113], v[1:2], v[25:26]
	v_mul_f64 v[25:26], v[3:4], v[25:26]
	s_waitcnt vmcnt(56)
	v_fma_f64 v[101:102], v[5:6], v[110:111], -v[101:102]
	v_add_f64 v[13:14], v[13:14], v[95:96]
	v_fma_f64 v[95:96], v[7:8], v[110:111], v[97:98]
	v_add_f64 v[15:16], v[15:16], v[77:78]
	s_clause 0x2
	buffer_load_dword v90, off, s[0:3], 0 offset:780
	buffer_load_dword v78, off, s[0:3], 0 offset:756
	;; [unrolled: 1-line block ×3, first 2 shown]
	ds_read_b128 v[5:8], v60 offset:1376
	s_waitcnt vmcnt(58) lgkmcnt(1)
	v_mul_f64 v[97:98], v[9:10], v[91:92]
	v_mul_f64 v[91:92], v[11:12], v[91:92]
	s_waitcnt vmcnt(56)
	v_fma_f64 v[25:26], v[1:2], v[19:20], -v[25:26]
	v_fma_f64 v[19:20], v[3:4], v[19:20], v[112:113]
	v_add_f64 v[13:14], v[13:14], v[101:102]
	v_add_f64 v[15:16], v[15:16], v[95:96]
	s_clause 0x4
	buffer_load_dword v96, off, s[0:3], 0 offset:796
	buffer_load_dword v101, off, s[0:3], 0 offset:808
	;; [unrolled: 1-line block ×5, first 2 shown]
	ds_read_b128 v[1:4], v60 offset:1392
	s_waitcnt vmcnt(57) lgkmcnt(1)
	v_mul_f64 v[110:111], v[5:6], v[83:84]
	v_mul_f64 v[83:84], v[7:8], v[83:84]
	s_waitcnt vmcnt(56)
	v_fma_f64 v[91:92], v[9:10], v[106:107], -v[91:92]
	v_add_f64 v[13:14], v[13:14], v[25:26]
	v_fma_f64 v[25:26], v[11:12], v[106:107], v[97:98]
	v_add_f64 v[15:16], v[15:16], v[19:20]
	s_clause 0x2
	buffer_load_dword v102, off, s[0:3], 0 offset:812
	buffer_load_dword v20, off, s[0:3], 0 offset:788
	;; [unrolled: 1-line block ×3, first 2 shown]
	ds_read_b128 v[9:12], v60 offset:1408
	s_waitcnt vmcnt(58) lgkmcnt(1)
	v_mul_f64 v[97:98], v[1:2], v[85:86]
	v_mul_f64 v[85:86], v[3:4], v[85:86]
	s_waitcnt vmcnt(56)
	v_fma_f64 v[83:84], v[5:6], v[21:22], -v[83:84]
	v_fma_f64 v[21:22], v[7:8], v[21:22], v[110:111]
	v_add_f64 v[13:14], v[13:14], v[91:92]
	v_add_f64 v[15:16], v[15:16], v[25:26]
	s_clause 0x4
	buffer_load_dword v26, off, s[0:3], 0 offset:828
	buffer_load_dword v91, off, s[0:3], 0 offset:840
	;; [unrolled: 1-line block ×5, first 2 shown]
	ds_read_b128 v[5:8], v60 offset:1424
	s_waitcnt vmcnt(57) lgkmcnt(1)
	v_mul_f64 v[111:112], v[9:10], v[17:18]
	v_mul_f64 v[17:18], v[11:12], v[17:18]
	s_waitcnt vmcnt(56)
	v_fma_f64 v[85:86], v[1:2], v[93:94], -v[85:86]
	v_add_f64 v[13:14], v[13:14], v[83:84]
	v_fma_f64 v[83:84], v[3:4], v[93:94], v[97:98]
	v_add_f64 v[15:16], v[15:16], v[21:22]
	s_clause 0x2
	buffer_load_dword v92, off, s[0:3], 0 offset:844
	buffer_load_dword v22, off, s[0:3], 0 offset:820
	;; [unrolled: 1-line block ×3, first 2 shown]
	ds_read_b128 v[1:4], v60 offset:1440
	s_waitcnt vmcnt(58) lgkmcnt(1)
	v_mul_f64 v[93:94], v[5:6], v[37:38]
	v_mul_f64 v[37:38], v[7:8], v[37:38]
	s_waitcnt vmcnt(56)
	v_fma_f64 v[17:18], v[9:10], v[27:28], -v[17:18]
	v_fma_f64 v[27:28], v[11:12], v[27:28], v[111:112]
	buffer_load_dword v111, off, s[0:3], 0 offset:836
	ds_read_b128 v[9:12], v60 offset:1456
	v_add_f64 v[13:14], v[13:14], v[85:86]
	v_add_f64 v[15:16], v[15:16], v[83:84]
	s_waitcnt vmcnt(53) lgkmcnt(1)
	v_mul_f64 v[83:84], v[1:2], v[23:24]
	v_mul_f64 v[23:24], v[3:4], v[23:24]
	s_waitcnt vmcnt(52)
	v_fma_f64 v[37:38], v[5:6], v[87:88], -v[37:38]
	v_add_f64 v[13:14], v[13:14], v[17:18]
	v_fma_f64 v[17:18], v[7:8], v[87:88], v[93:94]
	v_add_f64 v[15:16], v[15:16], v[27:28]
	s_waitcnt vmcnt(51) lgkmcnt(0)
	v_mul_f64 v[27:28], v[9:10], v[65:66]
	v_mul_f64 v[65:66], v[11:12], v[65:66]
	ds_read_b128 v[5:8], v60 offset:1472
	s_waitcnt vmcnt(49)
	v_fma_f64 v[23:24], v[1:2], v[33:34], -v[23:24]
	v_fma_f64 v[33:34], v[3:4], v[33:34], v[83:84]
	v_add_f64 v[13:14], v[13:14], v[37:38]
	v_add_f64 v[15:16], v[15:16], v[17:18]
	s_clause 0x3
	buffer_load_dword v17, off, s[0:3], 0 offset:208
	buffer_load_dword v18, off, s[0:3], 0 offset:212
	buffer_load_dword v37, off, s[0:3], 0 offset:216
	buffer_load_dword v38, off, s[0:3], 0 offset:220
	ds_read_b128 v[1:4], v60 offset:1488
	s_waitcnt vmcnt(49) lgkmcnt(1)
	v_mul_f64 v[83:84], v[5:6], v[29:30]
	v_mul_f64 v[29:30], v[7:8], v[29:30]
	s_waitcnt vmcnt(48)
	v_fma_f64 v[65:66], v[9:10], v[67:68], -v[65:66]
	v_add_f64 v[13:14], v[13:14], v[23:24]
	v_fma_f64 v[23:24], v[11:12], v[67:68], v[27:28]
	v_add_f64 v[15:16], v[15:16], v[33:34]
	ds_read_b128 v[9:12], v60 offset:1504
	s_waitcnt vmcnt(47) lgkmcnt(1)
	v_mul_f64 v[33:34], v[3:4], v[73:74]
	v_mul_f64 v[27:28], v[1:2], v[73:74]
	s_waitcnt vmcnt(45)
	v_fma_f64 v[29:30], v[5:6], v[31:32], -v[29:30]
	v_fma_f64 v[31:32], v[7:8], v[31:32], v[83:84]
	ds_read_b128 v[5:8], v60 offset:1520
	v_add_f64 v[13:14], v[13:14], v[65:66]
	v_add_f64 v[15:16], v[15:16], v[23:24]
	s_waitcnt vmcnt(41) lgkmcnt(1)
	v_mul_f64 v[23:24], v[9:10], v[35:36]
	v_mul_f64 v[35:36], v[11:12], v[35:36]
	s_waitcnt vmcnt(40)
	v_fma_f64 v[33:34], v[1:2], v[75:76], -v[33:34]
	v_fma_f64 v[27:28], v[3:4], v[75:76], v[27:28]
	ds_read_b128 v[1:4], v60 offset:1536
	v_add_f64 v[13:14], v[13:14], v[29:30]
	v_add_f64 v[15:16], v[15:16], v[31:32]
	s_waitcnt vmcnt(39) lgkmcnt(1)
	v_mul_f64 v[31:32], v[7:8], v[79:80]
	v_mul_f64 v[29:30], v[5:6], v[79:80]
	s_waitcnt vmcnt(37)
	v_fma_f64 v[35:36], v[9:10], v[58:59], -v[35:36]
	v_fma_f64 v[23:24], v[11:12], v[58:59], v[23:24]
	ds_read_b128 v[9:12], v60 offset:1552
	v_add_f64 v[13:14], v[13:14], v[33:34]
	v_add_f64 v[15:16], v[15:16], v[27:28]
	s_waitcnt vmcnt(33) lgkmcnt(1)
	v_mul_f64 v[33:34], v[3:4], v[63:64]
	s_waitcnt vmcnt(32)
	v_fma_f64 v[31:32], v[5:6], v[81:82], -v[31:32]
	v_mul_f64 v[27:28], v[1:2], v[63:64]
	v_fma_f64 v[29:30], v[7:8], v[81:82], v[29:30]
	ds_read_b128 v[5:8], v60 offset:1568
	v_add_f64 v[13:14], v[13:14], v[35:36]
	v_add_f64 v[15:16], v[15:16], v[23:24]
	s_waitcnt vmcnt(31) lgkmcnt(1)
	v_mul_f64 v[35:36], v[11:12], v[99:100]
	v_mul_f64 v[23:24], v[9:10], v[99:100]
	s_waitcnt vmcnt(29)
	v_fma_f64 v[33:34], v[1:2], v[69:70], -v[33:34]
	v_fma_f64 v[27:28], v[3:4], v[69:70], v[27:28]
	ds_read_b128 v[1:4], v60 offset:1584
	v_add_f64 v[13:14], v[13:14], v[31:32]
	v_add_f64 v[15:16], v[15:16], v[29:30]
	s_waitcnt vmcnt(25) lgkmcnt(1)
	v_mul_f64 v[31:32], v[7:8], v[71:72]
	s_waitcnt vmcnt(24)
	v_fma_f64 v[35:36], v[9:10], v[103:104], -v[35:36]
	v_mul_f64 v[29:30], v[5:6], v[71:72]
	v_fma_f64 v[23:24], v[11:12], v[103:104], v[23:24]
	ds_read_b128 v[9:12], v60 offset:1600
	v_add_f64 v[13:14], v[13:14], v[33:34]
	v_add_f64 v[15:16], v[15:16], v[27:28]
	s_waitcnt vmcnt(23) lgkmcnt(1)
	v_mul_f64 v[33:34], v[3:4], v[89:90]
	v_mul_f64 v[27:28], v[1:2], v[89:90]
	s_waitcnt vmcnt(21)
	v_fma_f64 v[31:32], v[5:6], v[77:78], -v[31:32]
	v_fma_f64 v[29:30], v[7:8], v[77:78], v[29:30]
	ds_read_b128 v[5:8], v60 offset:1616
	v_add_f64 v[13:14], v[13:14], v[35:36]
	v_add_f64 v[15:16], v[15:16], v[23:24]
	s_waitcnt vmcnt(17) lgkmcnt(1)
	v_mul_f64 v[35:36], v[11:12], v[95:96]
	s_waitcnt vmcnt(16)
	v_fma_f64 v[33:34], v[1:2], v[108:109], -v[33:34]
	v_mul_f64 v[23:24], v[9:10], v[95:96]
	v_fma_f64 v[27:28], v[3:4], v[108:109], v[27:28]
	ds_read_b128 v[1:4], v60 offset:1632
	v_add_f64 v[13:14], v[13:14], v[31:32]
	v_add_f64 v[15:16], v[15:16], v[29:30]
	s_waitcnt vmcnt(15) lgkmcnt(1)
	v_mul_f64 v[31:32], v[7:8], v[101:102]
	v_mul_f64 v[29:30], v[5:6], v[101:102]
	s_waitcnt vmcnt(13)
	v_fma_f64 v[35:36], v[9:10], v[19:20], -v[35:36]
	v_fma_f64 v[19:20], v[11:12], v[19:20], v[23:24]
	ds_read_b128 v[9:12], v60 offset:1648
	v_add_f64 v[13:14], v[13:14], v[33:34]
	v_add_f64 v[15:16], v[15:16], v[27:28]
	s_waitcnt vmcnt(9) lgkmcnt(1)
	v_mul_f64 v[23:24], v[1:2], v[25:26]
	v_mul_f64 v[25:26], v[3:4], v[25:26]
	s_waitcnt vmcnt(8)
	v_fma_f64 v[5:6], v[5:6], v[105:106], -v[31:32]
	v_fma_f64 v[7:8], v[7:8], v[105:106], v[29:30]
	v_add_f64 v[13:14], v[13:14], v[35:36]
	v_add_f64 v[15:16], v[15:16], v[19:20]
	s_waitcnt vmcnt(7) lgkmcnt(0)
	v_mul_f64 v[27:28], v[11:12], v[91:92]
	v_mul_f64 v[19:20], v[9:10], v[91:92]
	s_waitcnt vmcnt(5)
	v_fma_f64 v[1:2], v[1:2], v[21:22], -v[25:26]
	v_fma_f64 v[3:4], v[3:4], v[21:22], v[23:24]
	v_add_f64 v[5:6], v[13:14], v[5:6]
	v_add_f64 v[7:8], v[15:16], v[7:8]
	s_waitcnt vmcnt(4)
	v_fma_f64 v[9:10], v[9:10], v[110:111], -v[27:28]
	v_add_f64 v[1:2], v[5:6], v[1:2]
	v_fma_f64 v[5:6], v[11:12], v[110:111], v[19:20]
	v_add_f64 v[3:4], v[7:8], v[3:4]
	v_add_f64 v[1:2], v[1:2], v[9:10]
	;; [unrolled: 1-line block ×3, first 2 shown]
	s_waitcnt vmcnt(2)
	v_add_f64 v[1:2], v[17:18], -v[1:2]
	s_waitcnt vmcnt(0)
	v_add_f64 v[3:4], v[37:38], -v[3:4]
	buffer_store_dword v2, off, s[0:3], 0 offset:212
	buffer_store_dword v1, off, s[0:3], 0 offset:208
	;; [unrolled: 1-line block ×4, first 2 shown]
	v_cmpx_lt_u32_e32 11, v0
	s_cbranch_execz .LBB51_303
; %bb.302:
	v_mov_b32_e32 v4, s53
	s_clause 0x3
	buffer_load_dword v1, v4, s[0:3], 0 offen
	buffer_load_dword v2, v4, s[0:3], 0 offen offset:4
	buffer_load_dword v3, v4, s[0:3], 0 offen offset:8
	;; [unrolled: 1-line block ×3, first 2 shown]
	buffer_store_dword v60, off, s[0:3], 0 offset:192
	buffer_store_dword v60, off, s[0:3], 0 offset:196
	;; [unrolled: 1-line block ×4, first 2 shown]
	s_waitcnt vmcnt(0)
	ds_write_b128 v39, v[1:4]
.LBB51_303:
	s_or_b32 exec_lo, exec_lo, s4
	s_waitcnt lgkmcnt(0)
	s_waitcnt_vscnt null, 0x0
	s_barrier
	buffer_gl0_inv
	s_clause 0x37
	buffer_load_dword v9, off, s[0:3], 0 offset:216
	buffer_load_dword v10, off, s[0:3], 0 offset:220
	;; [unrolled: 1-line block ×56, first 2 shown]
	ds_read_b128 v[83:86], v60 offset:1024
	s_clause 0x2
	buffer_load_dword v80, off, s[0:3], 0 offset:444
	buffer_load_dword v82, off, s[0:3], 0 offset:420
	;; [unrolled: 1-line block ×3, first 2 shown]
	ds_read_b128 v[87:90], v60 offset:1040
	s_clause 0x4
	buffer_load_dword v98, off, s[0:3], 0 offset:460
	buffer_load_dword v99, off, s[0:3], 0 offset:472
	buffer_load_dword v101, off, s[0:3], 0 offset:464
	buffer_load_dword v97, off, s[0:3], 0 offset:456
	buffer_load_dword v72, off, s[0:3], 0 offset:436
	ds_read_b128 v[91:94], v60 offset:1056
	s_clause 0x2
	buffer_load_dword v100, off, s[0:3], 0 offset:476
	buffer_load_dword v105, off, s[0:3], 0 offset:452
	;; [unrolled: 1-line block ×3, first 2 shown]
	s_mov_b32 s4, exec_lo
	s_waitcnt vmcnt(62) lgkmcnt(2)
	v_mul_f64 v[95:96], v[85:86], v[9:10]
	v_mul_f64 v[9:10], v[83:84], v[9:10]
	s_waitcnt lgkmcnt(1)
	v_mul_f64 v[102:103], v[89:90], v[5:6]
	s_waitcnt vmcnt(59) lgkmcnt(0)
	v_mul_f64 v[106:107], v[93:94], v[3:4]
	v_fma_f64 v[83:84], v[83:84], v[7:8], -v[95:96]
	v_mul_f64 v[95:96], v[87:88], v[5:6]
	v_fma_f64 v[9:10], v[85:86], v[7:8], v[9:10]
	s_waitcnt vmcnt(57)
	v_fma_f64 v[87:88], v[87:88], v[1:2], -v[102:103]
	ds_read_b128 v[5:8], v60 offset:1072
	v_mul_f64 v[85:86], v[91:92], v[3:4]
	s_waitcnt vmcnt(51)
	v_fma_f64 v[91:92], v[91:92], v[25:26], -v[106:107]
	v_add_f64 v[83:84], v[83:84], 0
	v_fma_f64 v[89:90], v[89:90], v[1:2], v[95:96]
	v_add_f64 v[9:10], v[9:10], 0
	s_clause 0x4
	buffer_load_dword v96, off, s[0:3], 0 offset:492
	buffer_load_dword v108, off, s[0:3], 0 offset:504
	;; [unrolled: 1-line block ×5, first 2 shown]
	s_waitcnt lgkmcnt(0)
	v_mul_f64 v[111:112], v[5:6], v[13:14]
	v_mul_f64 v[13:14], v[7:8], v[13:14]
	ds_read_b128 v[1:4], v60 offset:1088
	v_fma_f64 v[25:26], v[93:94], v[25:26], v[85:86]
	v_add_f64 v[87:88], v[83:84], v[87:88]
	v_add_f64 v[9:10], v[9:10], v[89:90]
	s_clause 0x2
	buffer_load_dword v109, off, s[0:3], 0 offset:508
	buffer_load_dword v90, off, s[0:3], 0 offset:484
	;; [unrolled: 1-line block ×3, first 2 shown]
	s_waitcnt vmcnt(58) lgkmcnt(0)
	v_mul_f64 v[93:94], v[1:2], v[17:18]
	v_mul_f64 v[17:18], v[3:4], v[17:18]
	s_waitcnt vmcnt(56)
	v_fma_f64 v[13:14], v[5:6], v[19:20], -v[13:14]
	ds_read_b128 v[83:86], v60 offset:1104
	v_fma_f64 v[19:20], v[7:8], v[19:20], v[111:112]
	v_add_f64 v[87:88], v[87:88], v[91:92]
	v_add_f64 v[9:10], v[9:10], v[25:26]
	s_clause 0x4
	buffer_load_dword v26, off, s[0:3], 0 offset:524
	buffer_load_dword v91, off, s[0:3], 0 offset:536
	;; [unrolled: 1-line block ×5, first 2 shown]
	ds_read_b128 v[5:8], v60 offset:1120
	s_waitcnt vmcnt(57) lgkmcnt(1)
	v_mul_f64 v[112:113], v[83:84], v[21:22]
	v_mul_f64 v[21:22], v[85:86], v[21:22]
	s_waitcnt vmcnt(56)
	v_fma_f64 v[17:18], v[1:2], v[11:12], -v[17:18]
	v_fma_f64 v[11:12], v[3:4], v[11:12], v[93:94]
	v_add_f64 v[13:14], v[87:88], v[13:14]
	v_add_f64 v[9:10], v[9:10], v[19:20]
	s_clause 0x2
	buffer_load_dword v92, off, s[0:3], 0 offset:540
	buffer_load_dword v20, off, s[0:3], 0 offset:516
	;; [unrolled: 1-line block ×3, first 2 shown]
	s_waitcnt vmcnt(58) lgkmcnt(0)
	v_mul_f64 v[87:88], v[5:6], v[27:28]
	v_mul_f64 v[27:28], v[7:8], v[27:28]
	s_waitcnt vmcnt(56)
	v_fma_f64 v[21:22], v[83:84], v[29:30], -v[21:22]
	ds_read_b128 v[1:4], v60 offset:1136
	v_add_f64 v[13:14], v[13:14], v[17:18]
	v_fma_f64 v[17:18], v[85:86], v[29:30], v[112:113]
	v_add_f64 v[29:30], v[9:10], v[11:12]
	s_clause 0x4
	buffer_load_dword v84, off, s[0:3], 0 offset:556
	buffer_load_dword v85, off, s[0:3], 0 offset:568
	;; [unrolled: 1-line block ×5, first 2 shown]
	ds_read_b128 v[9:12], v60 offset:1152
	s_waitcnt vmcnt(57) lgkmcnt(1)
	v_mul_f64 v[112:113], v[1:2], v[31:32]
	v_mul_f64 v[31:32], v[3:4], v[31:32]
	s_waitcnt vmcnt(56)
	v_fma_f64 v[27:28], v[5:6], v[15:16], -v[27:28]
	v_fma_f64 v[15:16], v[7:8], v[15:16], v[87:88]
	v_add_f64 v[13:14], v[13:14], v[21:22]
	s_clause 0x2
	buffer_load_dword v86, off, s[0:3], 0 offset:572
	buffer_load_dword v22, off, s[0:3], 0 offset:548
	;; [unrolled: 1-line block ×3, first 2 shown]
	v_add_f64 v[17:18], v[29:30], v[17:18]
	s_waitcnt vmcnt(58) lgkmcnt(0)
	v_mul_f64 v[29:30], v[9:10], v[35:36]
	v_mul_f64 v[35:36], v[11:12], v[35:36]
	ds_read_b128 v[5:8], v60 offset:1168
	s_waitcnt vmcnt(56)
	v_fma_f64 v[31:32], v[1:2], v[37:38], -v[31:32]
	v_add_f64 v[13:14], v[13:14], v[27:28]
	v_fma_f64 v[27:28], v[3:4], v[37:38], v[112:113]
	v_add_f64 v[15:16], v[17:18], v[15:16]
	s_clause 0x4
	buffer_load_dword v18, off, s[0:3], 0 offset:588
	buffer_load_dword v37, off, s[0:3], 0 offset:600
	;; [unrolled: 1-line block ×5, first 2 shown]
	s_waitcnt vmcnt(57) lgkmcnt(0)
	v_mul_f64 v[112:113], v[5:6], v[58:59]
	v_mul_f64 v[58:59], v[7:8], v[58:59]
	s_waitcnt vmcnt(56)
	v_fma_f64 v[35:36], v[9:10], v[23:24], -v[35:36]
	ds_read_b128 v[1:4], v60 offset:1184
	v_fma_f64 v[23:24], v[11:12], v[23:24], v[29:30]
	v_add_f64 v[13:14], v[13:14], v[31:32]
	v_add_f64 v[15:16], v[15:16], v[27:28]
	s_clause 0x2
	buffer_load_dword v38, off, s[0:3], 0 offset:604
	buffer_load_dword v28, off, s[0:3], 0 offset:580
	;; [unrolled: 1-line block ×3, first 2 shown]
	ds_read_b128 v[9:12], v60 offset:1200
	s_waitcnt vmcnt(58) lgkmcnt(1)
	v_mul_f64 v[31:32], v[3:4], v[65:66]
	s_waitcnt vmcnt(56)
	v_fma_f64 v[58:59], v[5:6], v[67:68], -v[58:59]
	v_mul_f64 v[29:30], v[1:2], v[65:66]
	v_add_f64 v[13:14], v[13:14], v[35:36]
	v_fma_f64 v[35:36], v[7:8], v[67:68], v[112:113]
	v_add_f64 v[15:16], v[15:16], v[23:24]
	s_clause 0x4
	buffer_load_dword v24, off, s[0:3], 0 offset:620
	buffer_load_dword v65, off, s[0:3], 0 offset:632
	;; [unrolled: 1-line block ×5, first 2 shown]
	s_waitcnt vmcnt(57) lgkmcnt(0)
	v_mul_f64 v[112:113], v[9:10], v[69:70]
	v_mul_f64 v[68:69], v[11:12], v[69:70]
	s_waitcnt vmcnt(56)
	v_fma_f64 v[31:32], v[1:2], v[33:34], -v[31:32]
	ds_read_b128 v[5:8], v60 offset:1216
	v_fma_f64 v[29:30], v[3:4], v[33:34], v[29:30]
	s_clause 0x2
	buffer_load_dword v66, off, s[0:3], 0 offset:636
	buffer_load_dword v34, off, s[0:3], 0 offset:612
	;; [unrolled: 1-line block ×3, first 2 shown]
	ds_read_b128 v[1:4], v60 offset:1232
	v_add_f64 v[13:14], v[13:14], v[58:59]
	v_add_f64 v[15:16], v[15:16], v[35:36]
	s_waitcnt vmcnt(58) lgkmcnt(1)
	v_mul_f64 v[58:59], v[7:8], v[73:74]
	s_waitcnt vmcnt(56)
	v_fma_f64 v[69:70], v[9:10], v[75:76], -v[68:69]
	v_mul_f64 v[35:36], v[5:6], v[73:74]
	v_add_f64 v[13:14], v[13:14], v[31:32]
	v_fma_f64 v[31:32], v[11:12], v[75:76], v[112:113]
	v_add_f64 v[15:16], v[15:16], v[29:30]
	s_clause 0x4
	buffer_load_dword v30, off, s[0:3], 0 offset:652
	buffer_load_dword v73, off, s[0:3], 0 offset:664
	;; [unrolled: 1-line block ×5, first 2 shown]
	s_waitcnt vmcnt(57) lgkmcnt(0)
	v_mul_f64 v[112:113], v[1:2], v[77:78]
	v_mul_f64 v[76:77], v[3:4], v[77:78]
	s_waitcnt vmcnt(56)
	v_fma_f64 v[58:59], v[5:6], v[63:64], -v[58:59]
	ds_read_b128 v[9:12], v60 offset:1248
	v_fma_f64 v[35:36], v[7:8], v[63:64], v[35:36]
	v_add_f64 v[13:14], v[13:14], v[69:70]
	v_add_f64 v[15:16], v[15:16], v[31:32]
	s_clause 0x2
	buffer_load_dword v74, off, s[0:3], 0 offset:668
	buffer_load_dword v32, off, s[0:3], 0 offset:644
	;; [unrolled: 1-line block ×3, first 2 shown]
	ds_read_b128 v[5:8], v60 offset:1264
	s_waitcnt vmcnt(58) lgkmcnt(1)
	v_mul_f64 v[69:70], v[11:12], v[79:80]
	s_waitcnt vmcnt(56)
	v_fma_f64 v[77:78], v[1:2], v[81:82], -v[76:77]
	v_mul_f64 v[63:64], v[9:10], v[79:80]
	v_add_f64 v[13:14], v[13:14], v[58:59]
	v_fma_f64 v[58:59], v[3:4], v[81:82], v[112:113]
	v_add_f64 v[15:16], v[15:16], v[35:36]
	s_clause 0x4
	buffer_load_dword v36, off, s[0:3], 0 offset:684
	buffer_load_dword v79, off, s[0:3], 0 offset:696
	;; [unrolled: 1-line block ×5, first 2 shown]
	s_waitcnt vmcnt(57) lgkmcnt(0)
	v_mul_f64 v[112:113], v[5:6], v[97:98]
	v_mul_f64 v[97:98], v[7:8], v[97:98]
	s_waitcnt vmcnt(56)
	v_fma_f64 v[69:70], v[9:10], v[71:72], -v[69:70]
	ds_read_b128 v[1:4], v60 offset:1280
	v_fma_f64 v[63:64], v[11:12], v[71:72], v[63:64]
	v_add_f64 v[13:14], v[13:14], v[77:78]
	v_add_f64 v[15:16], v[15:16], v[58:59]
	s_clause 0x2
	buffer_load_dword v80, off, s[0:3], 0 offset:700
	buffer_load_dword v59, off, s[0:3], 0 offset:676
	buffer_load_dword v58, off, s[0:3], 0 offset:672
	ds_read_b128 v[9:12], v60 offset:1296
	s_waitcnt vmcnt(58) lgkmcnt(1)
	v_mul_f64 v[77:78], v[3:4], v[99:100]
	s_waitcnt vmcnt(56)
	v_fma_f64 v[97:98], v[5:6], v[104:105], -v[97:98]
	v_mul_f64 v[71:72], v[1:2], v[99:100]
	v_add_f64 v[13:14], v[13:14], v[69:70]
	v_fma_f64 v[69:70], v[7:8], v[104:105], v[112:113]
	v_add_f64 v[15:16], v[15:16], v[63:64]
	s_clause 0x4
	buffer_load_dword v64, off, s[0:3], 0 offset:716
	buffer_load_dword v99, off, s[0:3], 0 offset:728
	;; [unrolled: 1-line block ×5, first 2 shown]
	ds_read_b128 v[5:8], v60 offset:1312
	s_waitcnt vmcnt(57) lgkmcnt(1)
	v_mul_f64 v[104:105], v[9:10], v[95:96]
	v_mul_f64 v[95:96], v[11:12], v[95:96]
	s_waitcnt vmcnt(56)
	v_fma_f64 v[77:78], v[1:2], v[101:102], -v[77:78]
	v_fma_f64 v[71:72], v[3:4], v[101:102], v[71:72]
	v_add_f64 v[13:14], v[13:14], v[97:98]
	v_add_f64 v[15:16], v[15:16], v[69:70]
	s_clause 0x2
	buffer_load_dword v100, off, s[0:3], 0 offset:732
	buffer_load_dword v70, off, s[0:3], 0 offset:708
	;; [unrolled: 1-line block ×3, first 2 shown]
	ds_read_b128 v[1:4], v60 offset:1328
	s_waitcnt vmcnt(58) lgkmcnt(1)
	v_mul_f64 v[101:102], v[7:8], v[108:109]
	v_mul_f64 v[97:98], v[5:6], v[108:109]
	s_waitcnt vmcnt(56)
	v_fma_f64 v[95:96], v[9:10], v[89:90], -v[95:96]
	v_add_f64 v[13:14], v[13:14], v[77:78]
	v_fma_f64 v[77:78], v[11:12], v[89:90], v[104:105]
	v_add_f64 v[15:16], v[15:16], v[71:72]
	s_clause 0x4
	buffer_load_dword v72, off, s[0:3], 0 offset:748
	buffer_load_dword v89, off, s[0:3], 0 offset:760
	buffer_load_dword v108, off, s[0:3], 0 offset:752
	buffer_load_dword v71, off, s[0:3], 0 offset:744
	buffer_load_dword v104, off, s[0:3], 0 offset:724
	ds_read_b128 v[9:12], v60 offset:1344
	s_waitcnt vmcnt(57) lgkmcnt(1)
	v_mul_f64 v[112:113], v[1:2], v[25:26]
	v_mul_f64 v[25:26], v[3:4], v[25:26]
	s_waitcnt vmcnt(56)
	v_fma_f64 v[101:102], v[5:6], v[110:111], -v[101:102]
	v_add_f64 v[13:14], v[13:14], v[95:96]
	v_fma_f64 v[95:96], v[7:8], v[110:111], v[97:98]
	v_add_f64 v[15:16], v[15:16], v[77:78]
	s_clause 0x2
	buffer_load_dword v90, off, s[0:3], 0 offset:764
	buffer_load_dword v78, off, s[0:3], 0 offset:740
	buffer_load_dword v77, off, s[0:3], 0 offset:736
	ds_read_b128 v[5:8], v60 offset:1360
	s_waitcnt vmcnt(58) lgkmcnt(1)
	v_mul_f64 v[97:98], v[9:10], v[91:92]
	v_mul_f64 v[91:92], v[11:12], v[91:92]
	s_waitcnt vmcnt(56)
	v_fma_f64 v[25:26], v[1:2], v[19:20], -v[25:26]
	v_fma_f64 v[19:20], v[3:4], v[19:20], v[112:113]
	v_add_f64 v[13:14], v[13:14], v[101:102]
	v_add_f64 v[15:16], v[15:16], v[95:96]
	s_clause 0x4
	buffer_load_dword v96, off, s[0:3], 0 offset:780
	buffer_load_dword v101, off, s[0:3], 0 offset:792
	buffer_load_dword v105, off, s[0:3], 0 offset:784
	buffer_load_dword v95, off, s[0:3], 0 offset:776
	buffer_load_dword v109, off, s[0:3], 0 offset:756
	ds_read_b128 v[1:4], v60 offset:1376
	s_waitcnt vmcnt(57) lgkmcnt(1)
	v_mul_f64 v[110:111], v[5:6], v[83:84]
	v_mul_f64 v[83:84], v[7:8], v[83:84]
	s_waitcnt vmcnt(56)
	v_fma_f64 v[91:92], v[9:10], v[106:107], -v[91:92]
	v_add_f64 v[13:14], v[13:14], v[25:26]
	v_fma_f64 v[25:26], v[11:12], v[106:107], v[97:98]
	v_add_f64 v[15:16], v[15:16], v[19:20]
	s_clause 0x2
	buffer_load_dword v102, off, s[0:3], 0 offset:796
	buffer_load_dword v20, off, s[0:3], 0 offset:772
	buffer_load_dword v19, off, s[0:3], 0 offset:768
	ds_read_b128 v[9:12], v60 offset:1392
	s_waitcnt vmcnt(58) lgkmcnt(1)
	v_mul_f64 v[97:98], v[1:2], v[85:86]
	v_mul_f64 v[85:86], v[3:4], v[85:86]
	s_waitcnt vmcnt(56)
	v_fma_f64 v[83:84], v[5:6], v[21:22], -v[83:84]
	v_fma_f64 v[21:22], v[7:8], v[21:22], v[110:111]
	v_add_f64 v[13:14], v[13:14], v[91:92]
	;; [unrolled: 28-line block ×3, first 2 shown]
	v_add_f64 v[15:16], v[15:16], v[83:84]
	s_clause 0x2
	buffer_load_dword v84, off, s[0:3], 0 offset:844
	buffer_load_dword v83, off, s[0:3], 0 offset:840
	;; [unrolled: 1-line block ×3, first 2 shown]
	ds_read_b128 v[9:12], v60 offset:1440
	s_waitcnt vmcnt(55) lgkmcnt(1)
	v_mul_f64 v[85:86], v[1:2], v[23:24]
	v_mul_f64 v[23:24], v[3:4], v[23:24]
	s_waitcnt vmcnt(54)
	v_fma_f64 v[37:38], v[5:6], v[87:88], -v[37:38]
	v_add_f64 v[13:14], v[13:14], v[17:18]
	v_fma_f64 v[17:18], v[7:8], v[87:88], v[93:94]
	v_add_f64 v[15:16], v[15:16], v[27:28]
	s_clause 0x1
	buffer_load_dword v28, off, s[0:3], 0 offset:836
	buffer_load_dword v27, off, s[0:3], 0 offset:832
	s_waitcnt vmcnt(55) lgkmcnt(0)
	v_mul_f64 v[87:88], v[9:10], v[65:66]
	v_mul_f64 v[65:66], v[11:12], v[65:66]
	ds_read_b128 v[5:8], v60 offset:1456
	s_waitcnt vmcnt(53)
	v_fma_f64 v[23:24], v[1:2], v[33:34], -v[23:24]
	v_fma_f64 v[33:34], v[3:4], v[33:34], v[85:86]
	ds_read_b128 v[1:4], v60 offset:1472
	v_add_f64 v[13:14], v[13:14], v[37:38]
	v_add_f64 v[15:16], v[15:16], v[17:18]
	s_waitcnt vmcnt(49) lgkmcnt(1)
	v_mul_f64 v[17:18], v[5:6], v[29:30]
	v_mul_f64 v[29:30], v[7:8], v[29:30]
	s_waitcnt vmcnt(48)
	v_fma_f64 v[37:38], v[9:10], v[67:68], -v[65:66]
	v_add_f64 v[13:14], v[13:14], v[23:24]
	v_fma_f64 v[23:24], v[11:12], v[67:68], v[87:88]
	v_add_f64 v[15:16], v[15:16], v[33:34]
	s_clause 0x3
	buffer_load_dword v33, off, s[0:3], 0 offset:192
	buffer_load_dword v34, off, s[0:3], 0 offset:196
	;; [unrolled: 1-line block ×4, first 2 shown]
	ds_read_b128 v[9:12], v60 offset:1488
	s_waitcnt vmcnt(51) lgkmcnt(1)
	v_mul_f64 v[67:68], v[1:2], v[73:74]
	v_mul_f64 v[73:74], v[3:4], v[73:74]
	s_waitcnt vmcnt(49)
	v_fma_f64 v[29:30], v[5:6], v[31:32], -v[29:30]
	v_fma_f64 v[17:18], v[7:8], v[31:32], v[17:18]
	ds_read_b128 v[5:8], v60 offset:1504
	v_add_f64 v[13:14], v[13:14], v[37:38]
	v_add_f64 v[15:16], v[15:16], v[23:24]
	s_waitcnt vmcnt(45) lgkmcnt(1)
	v_mul_f64 v[23:24], v[9:10], v[35:36]
	v_mul_f64 v[31:32], v[11:12], v[35:36]
	s_waitcnt vmcnt(44)
	v_fma_f64 v[35:36], v[1:2], v[75:76], -v[73:74]
	v_add_f64 v[13:14], v[13:14], v[29:30]
	v_fma_f64 v[29:30], v[3:4], v[75:76], v[67:68]
	v_add_f64 v[15:16], v[15:16], v[17:18]
	ds_read_b128 v[1:4], v60 offset:1520
	s_waitcnt vmcnt(43) lgkmcnt(1)
	v_mul_f64 v[37:38], v[7:8], v[79:80]
	v_mul_f64 v[17:18], v[5:6], v[79:80]
	s_waitcnt vmcnt(41)
	v_fma_f64 v[31:32], v[9:10], v[58:59], -v[31:32]
	v_fma_f64 v[23:24], v[11:12], v[58:59], v[23:24]
	ds_read_b128 v[9:12], v60 offset:1536
	v_add_f64 v[13:14], v[13:14], v[35:36]
	v_add_f64 v[15:16], v[15:16], v[29:30]
	s_waitcnt vmcnt(37) lgkmcnt(1)
	v_mul_f64 v[35:36], v[3:4], v[63:64]
	s_waitcnt vmcnt(36)
	v_fma_f64 v[37:38], v[5:6], v[81:82], -v[37:38]
	v_mul_f64 v[29:30], v[1:2], v[63:64]
	v_fma_f64 v[17:18], v[7:8], v[81:82], v[17:18]
	ds_read_b128 v[5:8], v60 offset:1552
	v_add_f64 v[13:14], v[13:14], v[31:32]
	v_add_f64 v[15:16], v[15:16], v[23:24]
	s_waitcnt vmcnt(35) lgkmcnt(1)
	v_mul_f64 v[31:32], v[11:12], v[99:100]
	v_mul_f64 v[23:24], v[9:10], v[99:100]
	s_waitcnt vmcnt(33)
	v_fma_f64 v[35:36], v[1:2], v[69:70], -v[35:36]
	v_fma_f64 v[29:30], v[3:4], v[69:70], v[29:30]
	ds_read_b128 v[1:4], v60 offset:1568
	v_add_f64 v[13:14], v[13:14], v[37:38]
	v_add_f64 v[15:16], v[15:16], v[17:18]
	s_waitcnt vmcnt(29) lgkmcnt(1)
	v_mul_f64 v[37:38], v[7:8], v[71:72]
	s_waitcnt vmcnt(28)
	v_fma_f64 v[31:32], v[9:10], v[103:104], -v[31:32]
	v_mul_f64 v[17:18], v[5:6], v[71:72]
	v_fma_f64 v[23:24], v[11:12], v[103:104], v[23:24]
	ds_read_b128 v[9:12], v60 offset:1584
	v_add_f64 v[13:14], v[13:14], v[35:36]
	v_add_f64 v[15:16], v[15:16], v[29:30]
	;; [unrolled: 18-line block ×3, first 2 shown]
	s_waitcnt vmcnt(19) lgkmcnt(1)
	v_mul_f64 v[37:38], v[7:8], v[101:102]
	v_mul_f64 v[17:18], v[5:6], v[101:102]
	s_waitcnt vmcnt(17)
	v_fma_f64 v[31:32], v[9:10], v[19:20], -v[31:32]
	v_fma_f64 v[19:20], v[11:12], v[19:20], v[23:24]
	ds_read_b128 v[9:12], v60 offset:1632
	v_add_f64 v[13:14], v[13:14], v[35:36]
	v_add_f64 v[15:16], v[15:16], v[29:30]
	s_waitcnt vmcnt(13) lgkmcnt(1)
	v_mul_f64 v[23:24], v[1:2], v[25:26]
	v_mul_f64 v[25:26], v[3:4], v[25:26]
	s_waitcnt vmcnt(12)
	v_fma_f64 v[29:30], v[5:6], v[105:106], -v[37:38]
	v_fma_f64 v[17:18], v[7:8], v[105:106], v[17:18]
	ds_read_b128 v[5:8], v60 offset:1648
	v_add_f64 v[13:14], v[13:14], v[31:32]
	v_add_f64 v[15:16], v[15:16], v[19:20]
	s_waitcnt vmcnt(11) lgkmcnt(1)
	v_mul_f64 v[31:32], v[11:12], v[91:92]
	v_mul_f64 v[19:20], v[9:10], v[91:92]
	s_waitcnt vmcnt(9)
	v_fma_f64 v[1:2], v[1:2], v[21:22], -v[25:26]
	v_fma_f64 v[3:4], v[3:4], v[21:22], v[23:24]
	v_add_f64 v[13:14], v[13:14], v[29:30]
	v_add_f64 v[15:16], v[15:16], v[17:18]
	s_waitcnt vmcnt(7) lgkmcnt(0)
	v_mul_f64 v[21:22], v[7:8], v[83:84]
	s_waitcnt vmcnt(6)
	v_fma_f64 v[9:10], v[9:10], v[110:111], -v[31:32]
	v_mul_f64 v[17:18], v[5:6], v[83:84]
	v_fma_f64 v[11:12], v[11:12], v[110:111], v[19:20]
	v_add_f64 v[1:2], v[13:14], v[1:2]
	v_add_f64 v[3:4], v[15:16], v[3:4]
	s_waitcnt vmcnt(4)
	v_fma_f64 v[5:6], v[5:6], v[27:28], -v[21:22]
	v_fma_f64 v[7:8], v[7:8], v[27:28], v[17:18]
	v_add_f64 v[1:2], v[1:2], v[9:10]
	v_add_f64 v[3:4], v[3:4], v[11:12]
	;; [unrolled: 1-line block ×4, first 2 shown]
	s_waitcnt vmcnt(2)
	v_add_f64 v[1:2], v[33:34], -v[1:2]
	s_waitcnt vmcnt(0)
	v_add_f64 v[3:4], v[65:66], -v[3:4]
	buffer_store_dword v2, off, s[0:3], 0 offset:196
	buffer_store_dword v1, off, s[0:3], 0 offset:192
	;; [unrolled: 1-line block ×4, first 2 shown]
	v_cmpx_lt_u32_e32 10, v0
	s_cbranch_execz .LBB51_305
; %bb.304:
	v_mov_b32_e32 v4, s54
	v_mov_b32_e32 v5, 0
	s_clause 0x3
	buffer_load_dword v1, v4, s[0:3], 0 offen
	buffer_load_dword v2, v4, s[0:3], 0 offen offset:4
	buffer_load_dword v3, v4, s[0:3], 0 offen offset:8
	;; [unrolled: 1-line block ×3, first 2 shown]
	buffer_store_dword v5, off, s[0:3], 0 offset:176
	buffer_store_dword v5, off, s[0:3], 0 offset:180
	;; [unrolled: 1-line block ×4, first 2 shown]
	s_waitcnt vmcnt(0)
	ds_write_b128 v39, v[1:4]
.LBB51_305:
	s_or_b32 exec_lo, exec_lo, s4
	s_waitcnt lgkmcnt(0)
	s_waitcnt_vscnt null, 0x0
	s_barrier
	buffer_gl0_inv
	s_clause 0x37
	buffer_load_dword v9, off, s[0:3], 0 offset:200
	buffer_load_dword v10, off, s[0:3], 0 offset:204
	;; [unrolled: 1-line block ×56, first 2 shown]
	v_mov_b32_e32 v60, 0
	s_mov_b32 s4, exec_lo
	ds_read_b128 v[83:86], v60 offset:1008
	s_clause 0x2
	buffer_load_dword v80, off, s[0:3], 0 offset:428
	buffer_load_dword v82, off, s[0:3], 0 offset:404
	;; [unrolled: 1-line block ×3, first 2 shown]
	ds_read_b128 v[87:90], v60 offset:1024
	s_clause 0x4
	buffer_load_dword v98, off, s[0:3], 0 offset:444
	buffer_load_dword v99, off, s[0:3], 0 offset:456
	;; [unrolled: 1-line block ×5, first 2 shown]
	ds_read_b128 v[91:94], v60 offset:1040
	s_clause 0x2
	buffer_load_dword v100, off, s[0:3], 0 offset:460
	buffer_load_dword v105, off, s[0:3], 0 offset:436
	;; [unrolled: 1-line block ×3, first 2 shown]
	s_waitcnt vmcnt(62) lgkmcnt(2)
	v_mul_f64 v[95:96], v[85:86], v[9:10]
	v_mul_f64 v[9:10], v[83:84], v[9:10]
	s_waitcnt lgkmcnt(1)
	v_mul_f64 v[102:103], v[89:90], v[5:6]
	s_waitcnt vmcnt(59) lgkmcnt(0)
	v_mul_f64 v[106:107], v[93:94], v[3:4]
	v_fma_f64 v[83:84], v[83:84], v[7:8], -v[95:96]
	v_mul_f64 v[95:96], v[87:88], v[5:6]
	v_fma_f64 v[9:10], v[85:86], v[7:8], v[9:10]
	s_waitcnt vmcnt(57)
	v_fma_f64 v[87:88], v[87:88], v[1:2], -v[102:103]
	ds_read_b128 v[5:8], v60 offset:1056
	v_mul_f64 v[85:86], v[91:92], v[3:4]
	s_waitcnt vmcnt(51)
	v_fma_f64 v[91:92], v[91:92], v[25:26], -v[106:107]
	v_add_f64 v[83:84], v[83:84], 0
	v_fma_f64 v[89:90], v[89:90], v[1:2], v[95:96]
	v_add_f64 v[9:10], v[9:10], 0
	s_clause 0x4
	buffer_load_dword v96, off, s[0:3], 0 offset:476
	buffer_load_dword v108, off, s[0:3], 0 offset:488
	;; [unrolled: 1-line block ×5, first 2 shown]
	s_waitcnt lgkmcnt(0)
	v_mul_f64 v[111:112], v[5:6], v[13:14]
	v_mul_f64 v[13:14], v[7:8], v[13:14]
	ds_read_b128 v[1:4], v60 offset:1072
	v_fma_f64 v[25:26], v[93:94], v[25:26], v[85:86]
	v_add_f64 v[87:88], v[83:84], v[87:88]
	v_add_f64 v[9:10], v[9:10], v[89:90]
	s_clause 0x2
	buffer_load_dword v109, off, s[0:3], 0 offset:492
	buffer_load_dword v90, off, s[0:3], 0 offset:468
	;; [unrolled: 1-line block ×3, first 2 shown]
	s_waitcnt vmcnt(58) lgkmcnt(0)
	v_mul_f64 v[93:94], v[1:2], v[17:18]
	v_mul_f64 v[17:18], v[3:4], v[17:18]
	s_waitcnt vmcnt(56)
	v_fma_f64 v[13:14], v[5:6], v[19:20], -v[13:14]
	ds_read_b128 v[83:86], v60 offset:1088
	v_fma_f64 v[19:20], v[7:8], v[19:20], v[111:112]
	v_add_f64 v[87:88], v[87:88], v[91:92]
	v_add_f64 v[9:10], v[9:10], v[25:26]
	s_clause 0x4
	buffer_load_dword v26, off, s[0:3], 0 offset:508
	buffer_load_dword v91, off, s[0:3], 0 offset:520
	;; [unrolled: 1-line block ×5, first 2 shown]
	ds_read_b128 v[5:8], v60 offset:1104
	s_waitcnt vmcnt(57) lgkmcnt(1)
	v_mul_f64 v[112:113], v[83:84], v[21:22]
	v_mul_f64 v[21:22], v[85:86], v[21:22]
	s_waitcnt vmcnt(56)
	v_fma_f64 v[17:18], v[1:2], v[11:12], -v[17:18]
	v_fma_f64 v[11:12], v[3:4], v[11:12], v[93:94]
	v_add_f64 v[13:14], v[87:88], v[13:14]
	v_add_f64 v[9:10], v[9:10], v[19:20]
	s_clause 0x2
	buffer_load_dword v92, off, s[0:3], 0 offset:524
	buffer_load_dword v20, off, s[0:3], 0 offset:500
	;; [unrolled: 1-line block ×3, first 2 shown]
	s_waitcnt vmcnt(58) lgkmcnt(0)
	v_mul_f64 v[87:88], v[5:6], v[27:28]
	v_mul_f64 v[27:28], v[7:8], v[27:28]
	s_waitcnt vmcnt(56)
	v_fma_f64 v[21:22], v[83:84], v[29:30], -v[21:22]
	ds_read_b128 v[1:4], v60 offset:1120
	v_add_f64 v[13:14], v[13:14], v[17:18]
	v_fma_f64 v[17:18], v[85:86], v[29:30], v[112:113]
	v_add_f64 v[29:30], v[9:10], v[11:12]
	s_clause 0x4
	buffer_load_dword v84, off, s[0:3], 0 offset:540
	buffer_load_dword v85, off, s[0:3], 0 offset:552
	;; [unrolled: 1-line block ×5, first 2 shown]
	ds_read_b128 v[9:12], v60 offset:1136
	s_waitcnt vmcnt(57) lgkmcnt(1)
	v_mul_f64 v[112:113], v[1:2], v[31:32]
	v_mul_f64 v[31:32], v[3:4], v[31:32]
	s_waitcnt vmcnt(56)
	v_fma_f64 v[27:28], v[5:6], v[15:16], -v[27:28]
	v_fma_f64 v[15:16], v[7:8], v[15:16], v[87:88]
	v_add_f64 v[13:14], v[13:14], v[21:22]
	s_clause 0x2
	buffer_load_dword v86, off, s[0:3], 0 offset:556
	buffer_load_dword v22, off, s[0:3], 0 offset:532
	buffer_load_dword v21, off, s[0:3], 0 offset:528
	v_add_f64 v[17:18], v[29:30], v[17:18]
	s_waitcnt vmcnt(58) lgkmcnt(0)
	v_mul_f64 v[29:30], v[9:10], v[35:36]
	v_mul_f64 v[35:36], v[11:12], v[35:36]
	ds_read_b128 v[5:8], v60 offset:1152
	s_waitcnt vmcnt(56)
	v_fma_f64 v[31:32], v[1:2], v[37:38], -v[31:32]
	v_add_f64 v[13:14], v[13:14], v[27:28]
	v_fma_f64 v[27:28], v[3:4], v[37:38], v[112:113]
	v_add_f64 v[15:16], v[17:18], v[15:16]
	s_clause 0x4
	buffer_load_dword v18, off, s[0:3], 0 offset:572
	buffer_load_dword v37, off, s[0:3], 0 offset:584
	buffer_load_dword v87, off, s[0:3], 0 offset:576
	buffer_load_dword v17, off, s[0:3], 0 offset:568
	buffer_load_dword v94, off, s[0:3], 0 offset:548
	s_waitcnt vmcnt(57) lgkmcnt(0)
	v_mul_f64 v[112:113], v[5:6], v[58:59]
	v_mul_f64 v[58:59], v[7:8], v[58:59]
	s_waitcnt vmcnt(56)
	v_fma_f64 v[35:36], v[9:10], v[23:24], -v[35:36]
	ds_read_b128 v[1:4], v60 offset:1168
	v_fma_f64 v[23:24], v[11:12], v[23:24], v[29:30]
	v_add_f64 v[13:14], v[13:14], v[31:32]
	v_add_f64 v[15:16], v[15:16], v[27:28]
	s_clause 0x2
	buffer_load_dword v38, off, s[0:3], 0 offset:588
	buffer_load_dword v28, off, s[0:3], 0 offset:564
	;; [unrolled: 1-line block ×3, first 2 shown]
	ds_read_b128 v[9:12], v60 offset:1184
	s_waitcnt vmcnt(58) lgkmcnt(1)
	v_mul_f64 v[31:32], v[3:4], v[65:66]
	s_waitcnt vmcnt(56)
	v_fma_f64 v[58:59], v[5:6], v[67:68], -v[58:59]
	v_mul_f64 v[29:30], v[1:2], v[65:66]
	v_add_f64 v[13:14], v[13:14], v[35:36]
	v_fma_f64 v[35:36], v[7:8], v[67:68], v[112:113]
	v_add_f64 v[15:16], v[15:16], v[23:24]
	s_clause 0x4
	buffer_load_dword v24, off, s[0:3], 0 offset:604
	buffer_load_dword v65, off, s[0:3], 0 offset:616
	;; [unrolled: 1-line block ×5, first 2 shown]
	s_waitcnt vmcnt(57) lgkmcnt(0)
	v_mul_f64 v[112:113], v[9:10], v[69:70]
	v_mul_f64 v[68:69], v[11:12], v[69:70]
	s_waitcnt vmcnt(56)
	v_fma_f64 v[31:32], v[1:2], v[33:34], -v[31:32]
	ds_read_b128 v[5:8], v60 offset:1200
	v_fma_f64 v[29:30], v[3:4], v[33:34], v[29:30]
	s_clause 0x2
	buffer_load_dword v66, off, s[0:3], 0 offset:620
	buffer_load_dword v34, off, s[0:3], 0 offset:596
	;; [unrolled: 1-line block ×3, first 2 shown]
	ds_read_b128 v[1:4], v60 offset:1216
	v_add_f64 v[13:14], v[13:14], v[58:59]
	v_add_f64 v[15:16], v[15:16], v[35:36]
	s_waitcnt vmcnt(58) lgkmcnt(1)
	v_mul_f64 v[58:59], v[7:8], v[73:74]
	s_waitcnt vmcnt(56)
	v_fma_f64 v[69:70], v[9:10], v[75:76], -v[68:69]
	v_mul_f64 v[35:36], v[5:6], v[73:74]
	v_add_f64 v[13:14], v[13:14], v[31:32]
	v_fma_f64 v[31:32], v[11:12], v[75:76], v[112:113]
	v_add_f64 v[15:16], v[15:16], v[29:30]
	s_clause 0x4
	buffer_load_dword v30, off, s[0:3], 0 offset:636
	buffer_load_dword v73, off, s[0:3], 0 offset:648
	;; [unrolled: 1-line block ×5, first 2 shown]
	s_waitcnt vmcnt(57) lgkmcnt(0)
	v_mul_f64 v[112:113], v[1:2], v[77:78]
	v_mul_f64 v[76:77], v[3:4], v[77:78]
	s_waitcnt vmcnt(56)
	v_fma_f64 v[58:59], v[5:6], v[63:64], -v[58:59]
	ds_read_b128 v[9:12], v60 offset:1232
	v_fma_f64 v[35:36], v[7:8], v[63:64], v[35:36]
	v_add_f64 v[13:14], v[13:14], v[69:70]
	v_add_f64 v[15:16], v[15:16], v[31:32]
	s_clause 0x2
	buffer_load_dword v74, off, s[0:3], 0 offset:652
	buffer_load_dword v32, off, s[0:3], 0 offset:628
	;; [unrolled: 1-line block ×3, first 2 shown]
	ds_read_b128 v[5:8], v60 offset:1248
	s_waitcnt vmcnt(58) lgkmcnt(1)
	v_mul_f64 v[69:70], v[11:12], v[79:80]
	s_waitcnt vmcnt(56)
	v_fma_f64 v[77:78], v[1:2], v[81:82], -v[76:77]
	v_mul_f64 v[63:64], v[9:10], v[79:80]
	v_add_f64 v[13:14], v[13:14], v[58:59]
	v_fma_f64 v[58:59], v[3:4], v[81:82], v[112:113]
	v_add_f64 v[15:16], v[15:16], v[35:36]
	s_clause 0x4
	buffer_load_dword v36, off, s[0:3], 0 offset:668
	buffer_load_dword v79, off, s[0:3], 0 offset:680
	;; [unrolled: 1-line block ×5, first 2 shown]
	s_waitcnt vmcnt(57) lgkmcnt(0)
	v_mul_f64 v[112:113], v[5:6], v[97:98]
	v_mul_f64 v[97:98], v[7:8], v[97:98]
	s_waitcnt vmcnt(56)
	v_fma_f64 v[69:70], v[9:10], v[71:72], -v[69:70]
	ds_read_b128 v[1:4], v60 offset:1264
	v_fma_f64 v[63:64], v[11:12], v[71:72], v[63:64]
	v_add_f64 v[13:14], v[13:14], v[77:78]
	v_add_f64 v[15:16], v[15:16], v[58:59]
	s_clause 0x2
	buffer_load_dword v80, off, s[0:3], 0 offset:684
	buffer_load_dword v59, off, s[0:3], 0 offset:660
	;; [unrolled: 1-line block ×3, first 2 shown]
	ds_read_b128 v[9:12], v60 offset:1280
	s_waitcnt vmcnt(58) lgkmcnt(1)
	v_mul_f64 v[77:78], v[3:4], v[99:100]
	s_waitcnt vmcnt(56)
	v_fma_f64 v[97:98], v[5:6], v[104:105], -v[97:98]
	v_mul_f64 v[71:72], v[1:2], v[99:100]
	v_add_f64 v[13:14], v[13:14], v[69:70]
	v_fma_f64 v[69:70], v[7:8], v[104:105], v[112:113]
	v_add_f64 v[15:16], v[15:16], v[63:64]
	s_clause 0x4
	buffer_load_dword v64, off, s[0:3], 0 offset:700
	buffer_load_dword v99, off, s[0:3], 0 offset:712
	;; [unrolled: 1-line block ×5, first 2 shown]
	ds_read_b128 v[5:8], v60 offset:1296
	s_waitcnt vmcnt(57) lgkmcnt(1)
	v_mul_f64 v[104:105], v[9:10], v[95:96]
	v_mul_f64 v[95:96], v[11:12], v[95:96]
	s_waitcnt vmcnt(56)
	v_fma_f64 v[77:78], v[1:2], v[101:102], -v[77:78]
	v_fma_f64 v[71:72], v[3:4], v[101:102], v[71:72]
	v_add_f64 v[13:14], v[13:14], v[97:98]
	v_add_f64 v[15:16], v[15:16], v[69:70]
	s_clause 0x2
	buffer_load_dword v100, off, s[0:3], 0 offset:716
	buffer_load_dword v70, off, s[0:3], 0 offset:692
	;; [unrolled: 1-line block ×3, first 2 shown]
	ds_read_b128 v[1:4], v60 offset:1312
	s_waitcnt vmcnt(58) lgkmcnt(1)
	v_mul_f64 v[101:102], v[7:8], v[108:109]
	v_mul_f64 v[97:98], v[5:6], v[108:109]
	s_waitcnt vmcnt(56)
	v_fma_f64 v[95:96], v[9:10], v[89:90], -v[95:96]
	v_add_f64 v[13:14], v[13:14], v[77:78]
	v_fma_f64 v[77:78], v[11:12], v[89:90], v[104:105]
	v_add_f64 v[15:16], v[15:16], v[71:72]
	s_clause 0x4
	buffer_load_dword v72, off, s[0:3], 0 offset:732
	buffer_load_dword v89, off, s[0:3], 0 offset:744
	buffer_load_dword v108, off, s[0:3], 0 offset:736
	buffer_load_dword v71, off, s[0:3], 0 offset:728
	buffer_load_dword v104, off, s[0:3], 0 offset:708
	ds_read_b128 v[9:12], v60 offset:1328
	s_waitcnt vmcnt(57) lgkmcnt(1)
	v_mul_f64 v[112:113], v[1:2], v[25:26]
	v_mul_f64 v[25:26], v[3:4], v[25:26]
	s_waitcnt vmcnt(56)
	v_fma_f64 v[101:102], v[5:6], v[110:111], -v[101:102]
	v_add_f64 v[13:14], v[13:14], v[95:96]
	v_fma_f64 v[95:96], v[7:8], v[110:111], v[97:98]
	v_add_f64 v[15:16], v[15:16], v[77:78]
	s_clause 0x2
	buffer_load_dword v90, off, s[0:3], 0 offset:748
	buffer_load_dword v78, off, s[0:3], 0 offset:724
	buffer_load_dword v77, off, s[0:3], 0 offset:720
	ds_read_b128 v[5:8], v60 offset:1344
	s_waitcnt vmcnt(58) lgkmcnt(1)
	v_mul_f64 v[97:98], v[9:10], v[91:92]
	v_mul_f64 v[91:92], v[11:12], v[91:92]
	s_waitcnt vmcnt(56)
	v_fma_f64 v[25:26], v[1:2], v[19:20], -v[25:26]
	v_fma_f64 v[19:20], v[3:4], v[19:20], v[112:113]
	v_add_f64 v[13:14], v[13:14], v[101:102]
	v_add_f64 v[15:16], v[15:16], v[95:96]
	s_clause 0x4
	buffer_load_dword v96, off, s[0:3], 0 offset:764
	buffer_load_dword v101, off, s[0:3], 0 offset:776
	buffer_load_dword v105, off, s[0:3], 0 offset:768
	buffer_load_dword v95, off, s[0:3], 0 offset:760
	buffer_load_dword v109, off, s[0:3], 0 offset:740
	ds_read_b128 v[1:4], v60 offset:1360
	s_waitcnt vmcnt(57) lgkmcnt(1)
	v_mul_f64 v[110:111], v[5:6], v[83:84]
	v_mul_f64 v[83:84], v[7:8], v[83:84]
	s_waitcnt vmcnt(56)
	v_fma_f64 v[91:92], v[9:10], v[106:107], -v[91:92]
	v_add_f64 v[13:14], v[13:14], v[25:26]
	v_fma_f64 v[25:26], v[11:12], v[106:107], v[97:98]
	v_add_f64 v[15:16], v[15:16], v[19:20]
	s_clause 0x2
	buffer_load_dword v102, off, s[0:3], 0 offset:780
	buffer_load_dword v20, off, s[0:3], 0 offset:756
	buffer_load_dword v19, off, s[0:3], 0 offset:752
	ds_read_b128 v[9:12], v60 offset:1376
	s_waitcnt vmcnt(58) lgkmcnt(1)
	v_mul_f64 v[97:98], v[1:2], v[85:86]
	v_mul_f64 v[85:86], v[3:4], v[85:86]
	s_waitcnt vmcnt(56)
	v_fma_f64 v[83:84], v[5:6], v[21:22], -v[83:84]
	v_fma_f64 v[21:22], v[7:8], v[21:22], v[110:111]
	v_add_f64 v[13:14], v[13:14], v[91:92]
	;; [unrolled: 28-line block ×3, first 2 shown]
	v_add_f64 v[15:16], v[15:16], v[83:84]
	s_clause 0x4
	buffer_load_dword v84, off, s[0:3], 0 offset:828
	buffer_load_dword v85, off, s[0:3], 0 offset:840
	;; [unrolled: 1-line block ×5, first 2 shown]
	ds_read_b128 v[9:12], v60 offset:1424
	s_waitcnt vmcnt(57) lgkmcnt(1)
	v_mul_f64 v[112:113], v[1:2], v[23:24]
	v_mul_f64 v[23:24], v[3:4], v[23:24]
	s_waitcnt vmcnt(56)
	v_fma_f64 v[37:38], v[5:6], v[87:88], -v[37:38]
	v_add_f64 v[13:14], v[13:14], v[17:18]
	v_fma_f64 v[17:18], v[7:8], v[87:88], v[93:94]
	v_add_f64 v[15:16], v[15:16], v[27:28]
	s_clause 0x2
	buffer_load_dword v86, off, s[0:3], 0 offset:844
	buffer_load_dword v28, off, s[0:3], 0 offset:820
	;; [unrolled: 1-line block ×3, first 2 shown]
	s_waitcnt vmcnt(58) lgkmcnt(0)
	v_mul_f64 v[87:88], v[9:10], v[65:66]
	v_mul_f64 v[65:66], v[11:12], v[65:66]
	ds_read_b128 v[5:8], v60 offset:1440
	buffer_load_dword v98, off, s[0:3], 0 offset:836
	s_waitcnt vmcnt(57)
	v_fma_f64 v[23:24], v[1:2], v[33:34], -v[23:24]
	v_fma_f64 v[33:34], v[3:4], v[33:34], v[112:113]
	ds_read_b128 v[1:4], v60 offset:1456
	v_add_f64 v[13:14], v[13:14], v[37:38]
	v_add_f64 v[15:16], v[15:16], v[17:18]
	s_waitcnt vmcnt(53) lgkmcnt(1)
	v_mul_f64 v[17:18], v[5:6], v[29:30]
	v_mul_f64 v[29:30], v[7:8], v[29:30]
	s_waitcnt vmcnt(52)
	v_fma_f64 v[37:38], v[9:10], v[67:68], -v[65:66]
	v_add_f64 v[13:14], v[13:14], v[23:24]
	v_fma_f64 v[23:24], v[11:12], v[67:68], v[87:88]
	v_add_f64 v[15:16], v[15:16], v[33:34]
	ds_read_b128 v[9:12], v60 offset:1472
	s_waitcnt vmcnt(51) lgkmcnt(1)
	v_mul_f64 v[65:66], v[3:4], v[73:74]
	v_mul_f64 v[33:34], v[1:2], v[73:74]
	s_waitcnt vmcnt(49)
	v_fma_f64 v[29:30], v[5:6], v[31:32], -v[29:30]
	v_fma_f64 v[17:18], v[7:8], v[31:32], v[17:18]
	v_add_f64 v[13:14], v[13:14], v[37:38]
	v_add_f64 v[15:16], v[15:16], v[23:24]
	s_clause 0x3
	buffer_load_dword v23, off, s[0:3], 0 offset:176
	buffer_load_dword v24, off, s[0:3], 0 offset:180
	;; [unrolled: 1-line block ×4, first 2 shown]
	ds_read_b128 v[5:8], v60 offset:1488
	s_waitcnt vmcnt(49) lgkmcnt(1)
	v_mul_f64 v[37:38], v[9:10], v[35:36]
	v_mul_f64 v[35:36], v[11:12], v[35:36]
	s_waitcnt vmcnt(48)
	v_fma_f64 v[65:66], v[1:2], v[75:76], -v[65:66]
	v_add_f64 v[13:14], v[13:14], v[29:30]
	v_fma_f64 v[29:30], v[3:4], v[75:76], v[33:34]
	v_add_f64 v[15:16], v[15:16], v[17:18]
	ds_read_b128 v[1:4], v60 offset:1504
	s_waitcnt vmcnt(47) lgkmcnt(1)
	v_mul_f64 v[33:34], v[7:8], v[79:80]
	v_mul_f64 v[17:18], v[5:6], v[79:80]
	s_waitcnt vmcnt(45)
	v_fma_f64 v[35:36], v[9:10], v[58:59], -v[35:36]
	v_fma_f64 v[37:38], v[11:12], v[58:59], v[37:38]
	ds_read_b128 v[9:12], v60 offset:1520
	v_add_f64 v[13:14], v[13:14], v[65:66]
	v_add_f64 v[15:16], v[15:16], v[29:30]
	s_waitcnt vmcnt(41) lgkmcnt(1)
	v_mul_f64 v[58:59], v[3:4], v[63:64]
	s_waitcnt vmcnt(40)
	v_fma_f64 v[33:34], v[5:6], v[81:82], -v[33:34]
	v_mul_f64 v[29:30], v[1:2], v[63:64]
	v_fma_f64 v[17:18], v[7:8], v[81:82], v[17:18]
	ds_read_b128 v[5:8], v60 offset:1536
	v_add_f64 v[13:14], v[13:14], v[35:36]
	v_add_f64 v[15:16], v[15:16], v[37:38]
	s_waitcnt vmcnt(39) lgkmcnt(1)
	v_mul_f64 v[37:38], v[11:12], v[99:100]
	v_mul_f64 v[35:36], v[9:10], v[99:100]
	s_waitcnt vmcnt(37)
	v_fma_f64 v[58:59], v[1:2], v[69:70], -v[58:59]
	v_fma_f64 v[29:30], v[3:4], v[69:70], v[29:30]
	ds_read_b128 v[1:4], v60 offset:1552
	v_add_f64 v[13:14], v[13:14], v[33:34]
	v_add_f64 v[15:16], v[15:16], v[17:18]
	s_waitcnt vmcnt(33) lgkmcnt(1)
	v_mul_f64 v[33:34], v[7:8], v[71:72]
	s_waitcnt vmcnt(32)
	v_fma_f64 v[37:38], v[9:10], v[103:104], -v[37:38]
	v_mul_f64 v[17:18], v[5:6], v[71:72]
	v_fma_f64 v[35:36], v[11:12], v[103:104], v[35:36]
	ds_read_b128 v[9:12], v60 offset:1568
	v_add_f64 v[13:14], v[13:14], v[58:59]
	v_add_f64 v[15:16], v[15:16], v[29:30]
	s_waitcnt vmcnt(31) lgkmcnt(1)
	v_mul_f64 v[58:59], v[3:4], v[89:90]
	v_mul_f64 v[29:30], v[1:2], v[89:90]
	s_waitcnt vmcnt(29)
	v_fma_f64 v[33:34], v[5:6], v[77:78], -v[33:34]
	v_fma_f64 v[17:18], v[7:8], v[77:78], v[17:18]
	ds_read_b128 v[5:8], v60 offset:1584
	v_add_f64 v[13:14], v[13:14], v[37:38]
	v_add_f64 v[15:16], v[15:16], v[35:36]
	s_waitcnt vmcnt(25) lgkmcnt(1)
	v_mul_f64 v[37:38], v[11:12], v[95:96]
	s_waitcnt vmcnt(24)
	v_fma_f64 v[58:59], v[1:2], v[108:109], -v[58:59]
	v_mul_f64 v[35:36], v[9:10], v[95:96]
	v_fma_f64 v[29:30], v[3:4], v[108:109], v[29:30]
	ds_read_b128 v[1:4], v60 offset:1600
	v_add_f64 v[13:14], v[13:14], v[33:34]
	v_add_f64 v[15:16], v[15:16], v[17:18]
	s_waitcnt vmcnt(23) lgkmcnt(1)
	v_mul_f64 v[33:34], v[7:8], v[101:102]
	v_mul_f64 v[17:18], v[5:6], v[101:102]
	s_waitcnt vmcnt(21)
	v_fma_f64 v[37:38], v[9:10], v[19:20], -v[37:38]
	v_fma_f64 v[19:20], v[11:12], v[19:20], v[35:36]
	ds_read_b128 v[9:12], v60 offset:1616
	v_add_f64 v[13:14], v[13:14], v[58:59]
	v_add_f64 v[15:16], v[15:16], v[29:30]
	s_waitcnt vmcnt(17) lgkmcnt(1)
	v_mul_f64 v[29:30], v[1:2], v[25:26]
	v_mul_f64 v[25:26], v[3:4], v[25:26]
	s_waitcnt vmcnt(16)
	v_fma_f64 v[33:34], v[5:6], v[105:106], -v[33:34]
	v_fma_f64 v[17:18], v[7:8], v[105:106], v[17:18]
	ds_read_b128 v[5:8], v60 offset:1632
	v_add_f64 v[13:14], v[13:14], v[37:38]
	v_add_f64 v[15:16], v[15:16], v[19:20]
	;; [unrolled: 9-line block ×3, first 2 shown]
	s_waitcnt vmcnt(9) lgkmcnt(1)
	v_mul_f64 v[29:30], v[7:8], v[83:84]
	s_waitcnt vmcnt(8)
	v_fma_f64 v[9:10], v[9:10], v[110:111], -v[35:36]
	v_mul_f64 v[17:18], v[5:6], v[83:84]
	v_fma_f64 v[11:12], v[11:12], v[110:111], v[19:20]
	v_add_f64 v[13:14], v[13:14], v[25:26]
	v_add_f64 v[15:16], v[15:16], v[21:22]
	s_waitcnt vmcnt(7) lgkmcnt(0)
	v_mul_f64 v[21:22], v[3:4], v[85:86]
	v_mul_f64 v[19:20], v[1:2], v[85:86]
	s_waitcnt vmcnt(5)
	v_fma_f64 v[5:6], v[5:6], v[27:28], -v[29:30]
	v_fma_f64 v[7:8], v[7:8], v[27:28], v[17:18]
	v_add_f64 v[9:10], v[13:14], v[9:10]
	v_add_f64 v[11:12], v[15:16], v[11:12]
	s_waitcnt vmcnt(4)
	v_fma_f64 v[1:2], v[1:2], v[97:98], -v[21:22]
	v_fma_f64 v[3:4], v[3:4], v[97:98], v[19:20]
	v_add_f64 v[5:6], v[9:10], v[5:6]
	v_add_f64 v[7:8], v[11:12], v[7:8]
	;; [unrolled: 1-line block ×4, first 2 shown]
	s_waitcnt vmcnt(2)
	v_add_f64 v[1:2], v[23:24], -v[1:2]
	s_waitcnt vmcnt(0)
	v_add_f64 v[3:4], v[31:32], -v[3:4]
	buffer_store_dword v2, off, s[0:3], 0 offset:180
	buffer_store_dword v1, off, s[0:3], 0 offset:176
	;; [unrolled: 1-line block ×4, first 2 shown]
	v_cmpx_lt_u32_e32 9, v0
	s_cbranch_execz .LBB51_307
; %bb.306:
	v_mov_b32_e32 v4, s55
	s_clause 0x3
	buffer_load_dword v1, v4, s[0:3], 0 offen
	buffer_load_dword v2, v4, s[0:3], 0 offen offset:4
	buffer_load_dword v3, v4, s[0:3], 0 offen offset:8
	;; [unrolled: 1-line block ×3, first 2 shown]
	buffer_store_dword v60, off, s[0:3], 0 offset:160
	buffer_store_dword v60, off, s[0:3], 0 offset:164
	;; [unrolled: 1-line block ×4, first 2 shown]
	s_waitcnt vmcnt(0)
	ds_write_b128 v39, v[1:4]
.LBB51_307:
	s_or_b32 exec_lo, exec_lo, s4
	s_waitcnt lgkmcnt(0)
	s_waitcnt_vscnt null, 0x0
	s_barrier
	buffer_gl0_inv
	s_clause 0x37
	buffer_load_dword v9, off, s[0:3], 0 offset:184
	buffer_load_dword v10, off, s[0:3], 0 offset:188
	;; [unrolled: 1-line block ×56, first 2 shown]
	ds_read_b128 v[83:86], v60 offset:992
	s_clause 0x2
	buffer_load_dword v80, off, s[0:3], 0 offset:412
	buffer_load_dword v82, off, s[0:3], 0 offset:388
	;; [unrolled: 1-line block ×3, first 2 shown]
	ds_read_b128 v[87:90], v60 offset:1008
	s_clause 0x4
	buffer_load_dword v98, off, s[0:3], 0 offset:428
	buffer_load_dword v99, off, s[0:3], 0 offset:440
	;; [unrolled: 1-line block ×5, first 2 shown]
	ds_read_b128 v[91:94], v60 offset:1024
	s_clause 0x2
	buffer_load_dword v100, off, s[0:3], 0 offset:444
	buffer_load_dword v105, off, s[0:3], 0 offset:420
	;; [unrolled: 1-line block ×3, first 2 shown]
	s_mov_b32 s4, exec_lo
	s_waitcnt vmcnt(62) lgkmcnt(2)
	v_mul_f64 v[95:96], v[85:86], v[9:10]
	v_mul_f64 v[9:10], v[83:84], v[9:10]
	s_waitcnt lgkmcnt(1)
	v_mul_f64 v[102:103], v[89:90], v[5:6]
	s_waitcnt vmcnt(59) lgkmcnt(0)
	v_mul_f64 v[106:107], v[93:94], v[3:4]
	v_fma_f64 v[83:84], v[83:84], v[7:8], -v[95:96]
	v_mul_f64 v[95:96], v[87:88], v[5:6]
	v_fma_f64 v[9:10], v[85:86], v[7:8], v[9:10]
	s_waitcnt vmcnt(57)
	v_fma_f64 v[87:88], v[87:88], v[1:2], -v[102:103]
	ds_read_b128 v[5:8], v60 offset:1040
	v_mul_f64 v[85:86], v[91:92], v[3:4]
	s_waitcnt vmcnt(51)
	v_fma_f64 v[91:92], v[91:92], v[25:26], -v[106:107]
	v_add_f64 v[83:84], v[83:84], 0
	v_fma_f64 v[89:90], v[89:90], v[1:2], v[95:96]
	v_add_f64 v[9:10], v[9:10], 0
	s_clause 0x4
	buffer_load_dword v96, off, s[0:3], 0 offset:460
	buffer_load_dword v108, off, s[0:3], 0 offset:472
	;; [unrolled: 1-line block ×5, first 2 shown]
	s_waitcnt lgkmcnt(0)
	v_mul_f64 v[111:112], v[5:6], v[13:14]
	v_mul_f64 v[13:14], v[7:8], v[13:14]
	ds_read_b128 v[1:4], v60 offset:1056
	v_fma_f64 v[25:26], v[93:94], v[25:26], v[85:86]
	v_add_f64 v[87:88], v[83:84], v[87:88]
	v_add_f64 v[9:10], v[9:10], v[89:90]
	s_clause 0x2
	buffer_load_dword v109, off, s[0:3], 0 offset:476
	buffer_load_dword v90, off, s[0:3], 0 offset:452
	;; [unrolled: 1-line block ×3, first 2 shown]
	s_waitcnt vmcnt(58) lgkmcnt(0)
	v_mul_f64 v[93:94], v[1:2], v[17:18]
	v_mul_f64 v[17:18], v[3:4], v[17:18]
	s_waitcnt vmcnt(56)
	v_fma_f64 v[13:14], v[5:6], v[19:20], -v[13:14]
	ds_read_b128 v[83:86], v60 offset:1072
	v_fma_f64 v[19:20], v[7:8], v[19:20], v[111:112]
	v_add_f64 v[87:88], v[87:88], v[91:92]
	v_add_f64 v[9:10], v[9:10], v[25:26]
	s_clause 0x4
	buffer_load_dword v26, off, s[0:3], 0 offset:492
	buffer_load_dword v91, off, s[0:3], 0 offset:504
	;; [unrolled: 1-line block ×5, first 2 shown]
	ds_read_b128 v[5:8], v60 offset:1088
	s_waitcnt vmcnt(57) lgkmcnt(1)
	v_mul_f64 v[112:113], v[83:84], v[21:22]
	v_mul_f64 v[21:22], v[85:86], v[21:22]
	s_waitcnt vmcnt(56)
	v_fma_f64 v[17:18], v[1:2], v[11:12], -v[17:18]
	v_fma_f64 v[11:12], v[3:4], v[11:12], v[93:94]
	v_add_f64 v[13:14], v[87:88], v[13:14]
	v_add_f64 v[9:10], v[9:10], v[19:20]
	s_clause 0x2
	buffer_load_dword v92, off, s[0:3], 0 offset:508
	buffer_load_dword v20, off, s[0:3], 0 offset:484
	;; [unrolled: 1-line block ×3, first 2 shown]
	s_waitcnt vmcnt(58) lgkmcnt(0)
	v_mul_f64 v[87:88], v[5:6], v[27:28]
	v_mul_f64 v[27:28], v[7:8], v[27:28]
	s_waitcnt vmcnt(56)
	v_fma_f64 v[21:22], v[83:84], v[29:30], -v[21:22]
	ds_read_b128 v[1:4], v60 offset:1104
	v_add_f64 v[13:14], v[13:14], v[17:18]
	v_fma_f64 v[17:18], v[85:86], v[29:30], v[112:113]
	v_add_f64 v[29:30], v[9:10], v[11:12]
	s_clause 0x4
	buffer_load_dword v84, off, s[0:3], 0 offset:524
	buffer_load_dword v85, off, s[0:3], 0 offset:536
	;; [unrolled: 1-line block ×5, first 2 shown]
	ds_read_b128 v[9:12], v60 offset:1120
	s_waitcnt vmcnt(57) lgkmcnt(1)
	v_mul_f64 v[112:113], v[1:2], v[31:32]
	v_mul_f64 v[31:32], v[3:4], v[31:32]
	s_waitcnt vmcnt(56)
	v_fma_f64 v[27:28], v[5:6], v[15:16], -v[27:28]
	v_fma_f64 v[15:16], v[7:8], v[15:16], v[87:88]
	v_add_f64 v[13:14], v[13:14], v[21:22]
	s_clause 0x2
	buffer_load_dword v86, off, s[0:3], 0 offset:540
	buffer_load_dword v22, off, s[0:3], 0 offset:516
	;; [unrolled: 1-line block ×3, first 2 shown]
	v_add_f64 v[17:18], v[29:30], v[17:18]
	s_waitcnt vmcnt(58) lgkmcnt(0)
	v_mul_f64 v[29:30], v[9:10], v[35:36]
	v_mul_f64 v[35:36], v[11:12], v[35:36]
	ds_read_b128 v[5:8], v60 offset:1136
	s_waitcnt vmcnt(56)
	v_fma_f64 v[31:32], v[1:2], v[37:38], -v[31:32]
	v_add_f64 v[13:14], v[13:14], v[27:28]
	v_fma_f64 v[27:28], v[3:4], v[37:38], v[112:113]
	v_add_f64 v[15:16], v[17:18], v[15:16]
	s_clause 0x4
	buffer_load_dword v18, off, s[0:3], 0 offset:556
	buffer_load_dword v37, off, s[0:3], 0 offset:568
	;; [unrolled: 1-line block ×5, first 2 shown]
	s_waitcnt vmcnt(57) lgkmcnt(0)
	v_mul_f64 v[112:113], v[5:6], v[58:59]
	v_mul_f64 v[58:59], v[7:8], v[58:59]
	s_waitcnt vmcnt(56)
	v_fma_f64 v[35:36], v[9:10], v[23:24], -v[35:36]
	ds_read_b128 v[1:4], v60 offset:1152
	v_fma_f64 v[23:24], v[11:12], v[23:24], v[29:30]
	v_add_f64 v[13:14], v[13:14], v[31:32]
	v_add_f64 v[15:16], v[15:16], v[27:28]
	s_clause 0x2
	buffer_load_dword v38, off, s[0:3], 0 offset:572
	buffer_load_dword v28, off, s[0:3], 0 offset:548
	buffer_load_dword v27, off, s[0:3], 0 offset:544
	ds_read_b128 v[9:12], v60 offset:1168
	s_waitcnt vmcnt(58) lgkmcnt(1)
	v_mul_f64 v[31:32], v[3:4], v[65:66]
	s_waitcnt vmcnt(56)
	v_fma_f64 v[58:59], v[5:6], v[67:68], -v[58:59]
	v_mul_f64 v[29:30], v[1:2], v[65:66]
	v_add_f64 v[13:14], v[13:14], v[35:36]
	v_fma_f64 v[35:36], v[7:8], v[67:68], v[112:113]
	v_add_f64 v[15:16], v[15:16], v[23:24]
	s_clause 0x4
	buffer_load_dword v24, off, s[0:3], 0 offset:588
	buffer_load_dword v65, off, s[0:3], 0 offset:600
	;; [unrolled: 1-line block ×5, first 2 shown]
	s_waitcnt vmcnt(57) lgkmcnt(0)
	v_mul_f64 v[112:113], v[9:10], v[69:70]
	v_mul_f64 v[68:69], v[11:12], v[69:70]
	s_waitcnt vmcnt(56)
	v_fma_f64 v[31:32], v[1:2], v[33:34], -v[31:32]
	ds_read_b128 v[5:8], v60 offset:1184
	v_fma_f64 v[29:30], v[3:4], v[33:34], v[29:30]
	s_clause 0x2
	buffer_load_dword v66, off, s[0:3], 0 offset:604
	buffer_load_dword v34, off, s[0:3], 0 offset:580
	;; [unrolled: 1-line block ×3, first 2 shown]
	ds_read_b128 v[1:4], v60 offset:1200
	v_add_f64 v[13:14], v[13:14], v[58:59]
	v_add_f64 v[15:16], v[15:16], v[35:36]
	s_waitcnt vmcnt(58) lgkmcnt(1)
	v_mul_f64 v[58:59], v[7:8], v[73:74]
	s_waitcnt vmcnt(56)
	v_fma_f64 v[69:70], v[9:10], v[75:76], -v[68:69]
	v_mul_f64 v[35:36], v[5:6], v[73:74]
	v_add_f64 v[13:14], v[13:14], v[31:32]
	v_fma_f64 v[31:32], v[11:12], v[75:76], v[112:113]
	v_add_f64 v[15:16], v[15:16], v[29:30]
	s_clause 0x4
	buffer_load_dword v30, off, s[0:3], 0 offset:620
	buffer_load_dword v73, off, s[0:3], 0 offset:632
	;; [unrolled: 1-line block ×5, first 2 shown]
	s_waitcnt vmcnt(57) lgkmcnt(0)
	v_mul_f64 v[112:113], v[1:2], v[77:78]
	v_mul_f64 v[76:77], v[3:4], v[77:78]
	s_waitcnt vmcnt(56)
	v_fma_f64 v[58:59], v[5:6], v[63:64], -v[58:59]
	ds_read_b128 v[9:12], v60 offset:1216
	v_fma_f64 v[35:36], v[7:8], v[63:64], v[35:36]
	v_add_f64 v[13:14], v[13:14], v[69:70]
	v_add_f64 v[15:16], v[15:16], v[31:32]
	s_clause 0x2
	buffer_load_dword v74, off, s[0:3], 0 offset:636
	buffer_load_dword v32, off, s[0:3], 0 offset:612
	buffer_load_dword v31, off, s[0:3], 0 offset:608
	ds_read_b128 v[5:8], v60 offset:1232
	s_waitcnt vmcnt(58) lgkmcnt(1)
	v_mul_f64 v[69:70], v[11:12], v[79:80]
	s_waitcnt vmcnt(56)
	v_fma_f64 v[77:78], v[1:2], v[81:82], -v[76:77]
	v_mul_f64 v[63:64], v[9:10], v[79:80]
	v_add_f64 v[13:14], v[13:14], v[58:59]
	v_fma_f64 v[58:59], v[3:4], v[81:82], v[112:113]
	v_add_f64 v[15:16], v[15:16], v[35:36]
	s_clause 0x4
	buffer_load_dword v36, off, s[0:3], 0 offset:652
	buffer_load_dword v79, off, s[0:3], 0 offset:664
	;; [unrolled: 1-line block ×5, first 2 shown]
	s_waitcnt vmcnt(57) lgkmcnt(0)
	v_mul_f64 v[112:113], v[5:6], v[97:98]
	v_mul_f64 v[97:98], v[7:8], v[97:98]
	s_waitcnt vmcnt(56)
	v_fma_f64 v[69:70], v[9:10], v[71:72], -v[69:70]
	ds_read_b128 v[1:4], v60 offset:1248
	v_fma_f64 v[63:64], v[11:12], v[71:72], v[63:64]
	v_add_f64 v[13:14], v[13:14], v[77:78]
	v_add_f64 v[15:16], v[15:16], v[58:59]
	s_clause 0x2
	buffer_load_dword v80, off, s[0:3], 0 offset:668
	buffer_load_dword v59, off, s[0:3], 0 offset:644
	;; [unrolled: 1-line block ×3, first 2 shown]
	ds_read_b128 v[9:12], v60 offset:1264
	s_waitcnt vmcnt(58) lgkmcnt(1)
	v_mul_f64 v[77:78], v[3:4], v[99:100]
	s_waitcnt vmcnt(56)
	v_fma_f64 v[97:98], v[5:6], v[104:105], -v[97:98]
	v_mul_f64 v[71:72], v[1:2], v[99:100]
	v_add_f64 v[13:14], v[13:14], v[69:70]
	v_fma_f64 v[69:70], v[7:8], v[104:105], v[112:113]
	v_add_f64 v[15:16], v[15:16], v[63:64]
	s_clause 0x4
	buffer_load_dword v64, off, s[0:3], 0 offset:684
	buffer_load_dword v99, off, s[0:3], 0 offset:696
	buffer_load_dword v103, off, s[0:3], 0 offset:688
	buffer_load_dword v63, off, s[0:3], 0 offset:680
	buffer_load_dword v82, off, s[0:3], 0 offset:660
	ds_read_b128 v[5:8], v60 offset:1280
	s_waitcnt vmcnt(57) lgkmcnt(1)
	v_mul_f64 v[104:105], v[9:10], v[95:96]
	v_mul_f64 v[95:96], v[11:12], v[95:96]
	s_waitcnt vmcnt(56)
	v_fma_f64 v[77:78], v[1:2], v[101:102], -v[77:78]
	v_fma_f64 v[71:72], v[3:4], v[101:102], v[71:72]
	v_add_f64 v[13:14], v[13:14], v[97:98]
	v_add_f64 v[15:16], v[15:16], v[69:70]
	s_clause 0x2
	buffer_load_dword v100, off, s[0:3], 0 offset:700
	buffer_load_dword v70, off, s[0:3], 0 offset:676
	;; [unrolled: 1-line block ×3, first 2 shown]
	ds_read_b128 v[1:4], v60 offset:1296
	s_waitcnt vmcnt(58) lgkmcnt(1)
	v_mul_f64 v[101:102], v[7:8], v[108:109]
	v_mul_f64 v[97:98], v[5:6], v[108:109]
	s_waitcnt vmcnt(56)
	v_fma_f64 v[95:96], v[9:10], v[89:90], -v[95:96]
	v_add_f64 v[13:14], v[13:14], v[77:78]
	v_fma_f64 v[77:78], v[11:12], v[89:90], v[104:105]
	v_add_f64 v[15:16], v[15:16], v[71:72]
	s_clause 0x4
	buffer_load_dword v72, off, s[0:3], 0 offset:716
	buffer_load_dword v89, off, s[0:3], 0 offset:728
	buffer_load_dword v108, off, s[0:3], 0 offset:720
	buffer_load_dword v71, off, s[0:3], 0 offset:712
	buffer_load_dword v104, off, s[0:3], 0 offset:692
	ds_read_b128 v[9:12], v60 offset:1312
	s_waitcnt vmcnt(57) lgkmcnt(1)
	v_mul_f64 v[112:113], v[1:2], v[25:26]
	v_mul_f64 v[25:26], v[3:4], v[25:26]
	s_waitcnt vmcnt(56)
	v_fma_f64 v[101:102], v[5:6], v[110:111], -v[101:102]
	v_add_f64 v[13:14], v[13:14], v[95:96]
	v_fma_f64 v[95:96], v[7:8], v[110:111], v[97:98]
	v_add_f64 v[15:16], v[15:16], v[77:78]
	s_clause 0x2
	buffer_load_dword v90, off, s[0:3], 0 offset:732
	buffer_load_dword v78, off, s[0:3], 0 offset:708
	buffer_load_dword v77, off, s[0:3], 0 offset:704
	ds_read_b128 v[5:8], v60 offset:1328
	s_waitcnt vmcnt(58) lgkmcnt(1)
	v_mul_f64 v[97:98], v[9:10], v[91:92]
	v_mul_f64 v[91:92], v[11:12], v[91:92]
	s_waitcnt vmcnt(56)
	v_fma_f64 v[25:26], v[1:2], v[19:20], -v[25:26]
	v_fma_f64 v[19:20], v[3:4], v[19:20], v[112:113]
	v_add_f64 v[13:14], v[13:14], v[101:102]
	v_add_f64 v[15:16], v[15:16], v[95:96]
	s_clause 0x4
	buffer_load_dword v96, off, s[0:3], 0 offset:748
	buffer_load_dword v101, off, s[0:3], 0 offset:760
	buffer_load_dword v105, off, s[0:3], 0 offset:752
	buffer_load_dword v95, off, s[0:3], 0 offset:744
	buffer_load_dword v109, off, s[0:3], 0 offset:724
	ds_read_b128 v[1:4], v60 offset:1344
	s_waitcnt vmcnt(57) lgkmcnt(1)
	v_mul_f64 v[110:111], v[5:6], v[83:84]
	v_mul_f64 v[83:84], v[7:8], v[83:84]
	s_waitcnt vmcnt(56)
	v_fma_f64 v[91:92], v[9:10], v[106:107], -v[91:92]
	v_add_f64 v[13:14], v[13:14], v[25:26]
	v_fma_f64 v[25:26], v[11:12], v[106:107], v[97:98]
	v_add_f64 v[15:16], v[15:16], v[19:20]
	s_clause 0x2
	buffer_load_dword v102, off, s[0:3], 0 offset:764
	buffer_load_dword v20, off, s[0:3], 0 offset:740
	buffer_load_dword v19, off, s[0:3], 0 offset:736
	ds_read_b128 v[9:12], v60 offset:1360
	s_waitcnt vmcnt(58) lgkmcnt(1)
	v_mul_f64 v[97:98], v[1:2], v[85:86]
	v_mul_f64 v[85:86], v[3:4], v[85:86]
	s_waitcnt vmcnt(56)
	v_fma_f64 v[83:84], v[5:6], v[21:22], -v[83:84]
	v_fma_f64 v[21:22], v[7:8], v[21:22], v[110:111]
	v_add_f64 v[13:14], v[13:14], v[91:92]
	;; [unrolled: 28-line block ×3, first 2 shown]
	v_add_f64 v[15:16], v[15:16], v[83:84]
	s_clause 0x4
	buffer_load_dword v84, off, s[0:3], 0 offset:812
	buffer_load_dword v85, off, s[0:3], 0 offset:824
	;; [unrolled: 1-line block ×5, first 2 shown]
	ds_read_b128 v[9:12], v60 offset:1408
	s_waitcnt vmcnt(57) lgkmcnt(1)
	v_mul_f64 v[112:113], v[1:2], v[23:24]
	v_mul_f64 v[23:24], v[3:4], v[23:24]
	s_waitcnt vmcnt(56)
	v_fma_f64 v[37:38], v[5:6], v[87:88], -v[37:38]
	v_add_f64 v[13:14], v[13:14], v[17:18]
	v_fma_f64 v[17:18], v[7:8], v[87:88], v[93:94]
	v_add_f64 v[15:16], v[15:16], v[27:28]
	s_clause 0x2
	buffer_load_dword v86, off, s[0:3], 0 offset:828
	buffer_load_dword v28, off, s[0:3], 0 offset:804
	;; [unrolled: 1-line block ×3, first 2 shown]
	s_waitcnt vmcnt(58) lgkmcnt(0)
	v_mul_f64 v[87:88], v[9:10], v[65:66]
	v_mul_f64 v[65:66], v[11:12], v[65:66]
	ds_read_b128 v[5:8], v60 offset:1424
	s_waitcnt vmcnt(56)
	v_fma_f64 v[23:24], v[1:2], v[33:34], -v[23:24]
	v_fma_f64 v[33:34], v[3:4], v[33:34], v[112:113]
	v_add_f64 v[13:14], v[13:14], v[37:38]
	v_add_f64 v[15:16], v[15:16], v[17:18]
	s_clause 0x2
	buffer_load_dword v18, off, s[0:3], 0 offset:844
	buffer_load_dword v17, off, s[0:3], 0 offset:840
	;; [unrolled: 1-line block ×3, first 2 shown]
	ds_read_b128 v[1:4], v60 offset:1440
	s_waitcnt vmcnt(55) lgkmcnt(1)
	v_mul_f64 v[37:38], v[5:6], v[29:30]
	v_mul_f64 v[29:30], v[7:8], v[29:30]
	s_waitcnt vmcnt(54)
	v_fma_f64 v[65:66], v[9:10], v[67:68], -v[65:66]
	v_add_f64 v[13:14], v[13:14], v[23:24]
	v_fma_f64 v[23:24], v[11:12], v[67:68], v[87:88]
	v_add_f64 v[15:16], v[15:16], v[33:34]
	s_clause 0x1
	buffer_load_dword v34, off, s[0:3], 0 offset:836
	buffer_load_dword v33, off, s[0:3], 0 offset:832
	ds_read_b128 v[9:12], v60 offset:1456
	s_waitcnt vmcnt(55) lgkmcnt(1)
	v_mul_f64 v[67:68], v[1:2], v[73:74]
	v_mul_f64 v[73:74], v[3:4], v[73:74]
	s_waitcnt vmcnt(53)
	v_fma_f64 v[29:30], v[5:6], v[31:32], -v[29:30]
	v_fma_f64 v[31:32], v[7:8], v[31:32], v[37:38]
	ds_read_b128 v[5:8], v60 offset:1472
	v_add_f64 v[13:14], v[13:14], v[65:66]
	v_add_f64 v[15:16], v[15:16], v[23:24]
	s_waitcnt vmcnt(49) lgkmcnt(1)
	v_mul_f64 v[23:24], v[9:10], v[35:36]
	v_mul_f64 v[35:36], v[11:12], v[35:36]
	s_waitcnt vmcnt(48)
	v_fma_f64 v[37:38], v[1:2], v[75:76], -v[73:74]
	v_add_f64 v[13:14], v[13:14], v[29:30]
	v_fma_f64 v[29:30], v[3:4], v[75:76], v[67:68]
	v_add_f64 v[15:16], v[15:16], v[31:32]
	s_clause 0x3
	buffer_load_dword v31, off, s[0:3], 0 offset:160
	buffer_load_dword v32, off, s[0:3], 0 offset:164
	;; [unrolled: 1-line block ×4, first 2 shown]
	ds_read_b128 v[1:4], v60 offset:1488
	s_waitcnt vmcnt(51) lgkmcnt(1)
	v_mul_f64 v[73:74], v[7:8], v[79:80]
	v_mul_f64 v[67:68], v[5:6], v[79:80]
	s_waitcnt vmcnt(49)
	v_fma_f64 v[35:36], v[9:10], v[58:59], -v[35:36]
	v_fma_f64 v[23:24], v[11:12], v[58:59], v[23:24]
	ds_read_b128 v[9:12], v60 offset:1504
	v_add_f64 v[13:14], v[13:14], v[37:38]
	v_add_f64 v[15:16], v[15:16], v[29:30]
	s_waitcnt vmcnt(45) lgkmcnt(1)
	v_mul_f64 v[37:38], v[3:4], v[63:64]
	s_waitcnt vmcnt(44)
	v_fma_f64 v[58:59], v[5:6], v[81:82], -v[73:74]
	v_mul_f64 v[29:30], v[1:2], v[63:64]
	v_add_f64 v[13:14], v[13:14], v[35:36]
	v_fma_f64 v[35:36], v[7:8], v[81:82], v[67:68]
	v_add_f64 v[15:16], v[15:16], v[23:24]
	ds_read_b128 v[5:8], v60 offset:1520
	s_waitcnt vmcnt(43) lgkmcnt(1)
	v_mul_f64 v[63:64], v[11:12], v[99:100]
	v_mul_f64 v[23:24], v[9:10], v[99:100]
	s_waitcnt vmcnt(41)
	v_fma_f64 v[37:38], v[1:2], v[69:70], -v[37:38]
	v_fma_f64 v[29:30], v[3:4], v[69:70], v[29:30]
	ds_read_b128 v[1:4], v60 offset:1536
	v_add_f64 v[13:14], v[13:14], v[58:59]
	v_add_f64 v[15:16], v[15:16], v[35:36]
	s_waitcnt vmcnt(37) lgkmcnt(1)
	v_mul_f64 v[58:59], v[7:8], v[71:72]
	s_waitcnt vmcnt(36)
	v_fma_f64 v[63:64], v[9:10], v[103:104], -v[63:64]
	v_mul_f64 v[35:36], v[5:6], v[71:72]
	v_fma_f64 v[23:24], v[11:12], v[103:104], v[23:24]
	ds_read_b128 v[9:12], v60 offset:1552
	v_add_f64 v[13:14], v[13:14], v[37:38]
	v_add_f64 v[15:16], v[15:16], v[29:30]
	s_waitcnt vmcnt(35) lgkmcnt(1)
	v_mul_f64 v[37:38], v[3:4], v[89:90]
	v_mul_f64 v[29:30], v[1:2], v[89:90]
	s_waitcnt vmcnt(33)
	v_fma_f64 v[58:59], v[5:6], v[77:78], -v[58:59]
	v_fma_f64 v[35:36], v[7:8], v[77:78], v[35:36]
	ds_read_b128 v[5:8], v60 offset:1568
	v_add_f64 v[13:14], v[13:14], v[63:64]
	v_add_f64 v[15:16], v[15:16], v[23:24]
	s_waitcnt vmcnt(29) lgkmcnt(1)
	v_mul_f64 v[63:64], v[11:12], v[95:96]
	s_waitcnt vmcnt(28)
	v_fma_f64 v[37:38], v[1:2], v[108:109], -v[37:38]
	v_mul_f64 v[23:24], v[9:10], v[95:96]
	v_fma_f64 v[29:30], v[3:4], v[108:109], v[29:30]
	ds_read_b128 v[1:4], v60 offset:1584
	v_add_f64 v[13:14], v[13:14], v[58:59]
	v_add_f64 v[15:16], v[15:16], v[35:36]
	s_waitcnt vmcnt(27) lgkmcnt(1)
	v_mul_f64 v[58:59], v[7:8], v[101:102]
	v_mul_f64 v[35:36], v[5:6], v[101:102]
	s_waitcnt vmcnt(25)
	v_fma_f64 v[63:64], v[9:10], v[19:20], -v[63:64]
	v_fma_f64 v[19:20], v[11:12], v[19:20], v[23:24]
	ds_read_b128 v[9:12], v60 offset:1600
	v_add_f64 v[13:14], v[13:14], v[37:38]
	v_add_f64 v[15:16], v[15:16], v[29:30]
	s_waitcnt vmcnt(21) lgkmcnt(1)
	v_mul_f64 v[23:24], v[1:2], v[25:26]
	v_mul_f64 v[25:26], v[3:4], v[25:26]
	s_waitcnt vmcnt(20)
	v_fma_f64 v[29:30], v[5:6], v[105:106], -v[58:59]
	;; [unrolled: 9-line block ×3, first 2 shown]
	v_fma_f64 v[21:22], v[3:4], v[21:22], v[23:24]
	ds_read_b128 v[1:4], v60 offset:1632
	v_add_f64 v[13:14], v[13:14], v[29:30]
	v_add_f64 v[15:16], v[15:16], v[35:36]
	s_waitcnt vmcnt(13) lgkmcnt(1)
	v_mul_f64 v[29:30], v[7:8], v[83:84]
	s_waitcnt vmcnt(12)
	v_fma_f64 v[35:36], v[9:10], v[110:111], -v[37:38]
	v_mul_f64 v[23:24], v[5:6], v[83:84]
	v_fma_f64 v[19:20], v[11:12], v[110:111], v[19:20]
	ds_read_b128 v[9:12], v60 offset:1648
	v_add_f64 v[13:14], v[13:14], v[25:26]
	v_add_f64 v[15:16], v[15:16], v[21:22]
	s_waitcnt vmcnt(11) lgkmcnt(1)
	v_mul_f64 v[25:26], v[3:4], v[85:86]
	v_mul_f64 v[21:22], v[1:2], v[85:86]
	s_waitcnt vmcnt(9)
	v_fma_f64 v[5:6], v[5:6], v[27:28], -v[29:30]
	v_fma_f64 v[7:8], v[7:8], v[27:28], v[23:24]
	v_add_f64 v[13:14], v[13:14], v[35:36]
	v_add_f64 v[15:16], v[15:16], v[19:20]
	s_waitcnt vmcnt(7) lgkmcnt(0)
	v_mul_f64 v[19:20], v[9:10], v[17:18]
	v_mul_f64 v[17:18], v[11:12], v[17:18]
	s_waitcnt vmcnt(6)
	v_fma_f64 v[1:2], v[1:2], v[97:98], -v[25:26]
	v_fma_f64 v[3:4], v[3:4], v[97:98], v[21:22]
	v_add_f64 v[5:6], v[13:14], v[5:6]
	v_add_f64 v[7:8], v[15:16], v[7:8]
	s_waitcnt vmcnt(4)
	v_fma_f64 v[9:10], v[9:10], v[33:34], -v[17:18]
	v_add_f64 v[1:2], v[5:6], v[1:2]
	v_fma_f64 v[5:6], v[11:12], v[33:34], v[19:20]
	v_add_f64 v[3:4], v[7:8], v[3:4]
	v_add_f64 v[1:2], v[1:2], v[9:10]
	;; [unrolled: 1-line block ×3, first 2 shown]
	s_waitcnt vmcnt(2)
	v_add_f64 v[1:2], v[31:32], -v[1:2]
	s_waitcnt vmcnt(0)
	v_add_f64 v[3:4], v[65:66], -v[3:4]
	buffer_store_dword v2, off, s[0:3], 0 offset:164
	buffer_store_dword v1, off, s[0:3], 0 offset:160
	;; [unrolled: 1-line block ×4, first 2 shown]
	v_cmpx_lt_u32_e32 8, v0
	s_cbranch_execz .LBB51_309
; %bb.308:
	v_mov_b32_e32 v4, s56
	v_mov_b32_e32 v5, 0
	s_clause 0x3
	buffer_load_dword v1, v4, s[0:3], 0 offen
	buffer_load_dword v2, v4, s[0:3], 0 offen offset:4
	buffer_load_dword v3, v4, s[0:3], 0 offen offset:8
	;; [unrolled: 1-line block ×3, first 2 shown]
	buffer_store_dword v5, off, s[0:3], 0 offset:144
	buffer_store_dword v5, off, s[0:3], 0 offset:148
	;; [unrolled: 1-line block ×4, first 2 shown]
	s_waitcnt vmcnt(0)
	ds_write_b128 v39, v[1:4]
.LBB51_309:
	s_or_b32 exec_lo, exec_lo, s4
	s_waitcnt lgkmcnt(0)
	s_waitcnt_vscnt null, 0x0
	s_barrier
	buffer_gl0_inv
	s_clause 0x37
	buffer_load_dword v9, off, s[0:3], 0 offset:168
	buffer_load_dword v10, off, s[0:3], 0 offset:172
	;; [unrolled: 1-line block ×56, first 2 shown]
	v_mov_b32_e32 v60, 0
	s_mov_b32 s4, exec_lo
	ds_read_b128 v[83:86], v60 offset:976
	s_clause 0x2
	buffer_load_dword v80, off, s[0:3], 0 offset:396
	buffer_load_dword v82, off, s[0:3], 0 offset:372
	;; [unrolled: 1-line block ×3, first 2 shown]
	ds_read_b128 v[87:90], v60 offset:992
	s_clause 0x4
	buffer_load_dword v98, off, s[0:3], 0 offset:412
	buffer_load_dword v99, off, s[0:3], 0 offset:424
	;; [unrolled: 1-line block ×5, first 2 shown]
	ds_read_b128 v[91:94], v60 offset:1008
	s_clause 0x2
	buffer_load_dword v100, off, s[0:3], 0 offset:428
	buffer_load_dword v105, off, s[0:3], 0 offset:404
	;; [unrolled: 1-line block ×3, first 2 shown]
	s_waitcnt vmcnt(62) lgkmcnt(2)
	v_mul_f64 v[95:96], v[85:86], v[9:10]
	v_mul_f64 v[9:10], v[83:84], v[9:10]
	s_waitcnt lgkmcnt(1)
	v_mul_f64 v[102:103], v[89:90], v[5:6]
	s_waitcnt vmcnt(59) lgkmcnt(0)
	v_mul_f64 v[106:107], v[93:94], v[3:4]
	v_fma_f64 v[83:84], v[83:84], v[7:8], -v[95:96]
	v_mul_f64 v[95:96], v[87:88], v[5:6]
	v_fma_f64 v[9:10], v[85:86], v[7:8], v[9:10]
	s_waitcnt vmcnt(57)
	v_fma_f64 v[87:88], v[87:88], v[1:2], -v[102:103]
	ds_read_b128 v[5:8], v60 offset:1024
	v_mul_f64 v[85:86], v[91:92], v[3:4]
	s_waitcnt vmcnt(51)
	v_fma_f64 v[91:92], v[91:92], v[25:26], -v[106:107]
	v_add_f64 v[83:84], v[83:84], 0
	v_fma_f64 v[89:90], v[89:90], v[1:2], v[95:96]
	v_add_f64 v[9:10], v[9:10], 0
	s_clause 0x4
	buffer_load_dword v96, off, s[0:3], 0 offset:444
	buffer_load_dword v108, off, s[0:3], 0 offset:456
	;; [unrolled: 1-line block ×5, first 2 shown]
	s_waitcnt lgkmcnt(0)
	v_mul_f64 v[111:112], v[5:6], v[13:14]
	v_mul_f64 v[13:14], v[7:8], v[13:14]
	ds_read_b128 v[1:4], v60 offset:1040
	v_fma_f64 v[25:26], v[93:94], v[25:26], v[85:86]
	v_add_f64 v[87:88], v[83:84], v[87:88]
	v_add_f64 v[9:10], v[9:10], v[89:90]
	s_clause 0x2
	buffer_load_dword v109, off, s[0:3], 0 offset:460
	buffer_load_dword v90, off, s[0:3], 0 offset:436
	buffer_load_dword v89, off, s[0:3], 0 offset:432
	s_waitcnt vmcnt(58) lgkmcnt(0)
	v_mul_f64 v[93:94], v[1:2], v[17:18]
	v_mul_f64 v[17:18], v[3:4], v[17:18]
	s_waitcnt vmcnt(56)
	v_fma_f64 v[13:14], v[5:6], v[19:20], -v[13:14]
	ds_read_b128 v[83:86], v60 offset:1056
	v_fma_f64 v[19:20], v[7:8], v[19:20], v[111:112]
	v_add_f64 v[87:88], v[87:88], v[91:92]
	v_add_f64 v[9:10], v[9:10], v[25:26]
	s_clause 0x4
	buffer_load_dword v26, off, s[0:3], 0 offset:476
	buffer_load_dword v91, off, s[0:3], 0 offset:488
	;; [unrolled: 1-line block ×5, first 2 shown]
	ds_read_b128 v[5:8], v60 offset:1072
	s_waitcnt vmcnt(57) lgkmcnt(1)
	v_mul_f64 v[112:113], v[83:84], v[21:22]
	v_mul_f64 v[21:22], v[85:86], v[21:22]
	s_waitcnt vmcnt(56)
	v_fma_f64 v[17:18], v[1:2], v[11:12], -v[17:18]
	v_fma_f64 v[11:12], v[3:4], v[11:12], v[93:94]
	v_add_f64 v[13:14], v[87:88], v[13:14]
	v_add_f64 v[9:10], v[9:10], v[19:20]
	s_clause 0x2
	buffer_load_dword v92, off, s[0:3], 0 offset:492
	buffer_load_dword v20, off, s[0:3], 0 offset:468
	;; [unrolled: 1-line block ×3, first 2 shown]
	s_waitcnt vmcnt(58) lgkmcnt(0)
	v_mul_f64 v[87:88], v[5:6], v[27:28]
	v_mul_f64 v[27:28], v[7:8], v[27:28]
	s_waitcnt vmcnt(56)
	v_fma_f64 v[21:22], v[83:84], v[29:30], -v[21:22]
	ds_read_b128 v[1:4], v60 offset:1088
	v_add_f64 v[13:14], v[13:14], v[17:18]
	v_fma_f64 v[17:18], v[85:86], v[29:30], v[112:113]
	v_add_f64 v[29:30], v[9:10], v[11:12]
	s_clause 0x4
	buffer_load_dword v84, off, s[0:3], 0 offset:508
	buffer_load_dword v85, off, s[0:3], 0 offset:520
	;; [unrolled: 1-line block ×5, first 2 shown]
	ds_read_b128 v[9:12], v60 offset:1104
	s_waitcnt vmcnt(57) lgkmcnt(1)
	v_mul_f64 v[112:113], v[1:2], v[31:32]
	v_mul_f64 v[31:32], v[3:4], v[31:32]
	s_waitcnt vmcnt(56)
	v_fma_f64 v[27:28], v[5:6], v[15:16], -v[27:28]
	v_fma_f64 v[15:16], v[7:8], v[15:16], v[87:88]
	v_add_f64 v[13:14], v[13:14], v[21:22]
	s_clause 0x2
	buffer_load_dword v86, off, s[0:3], 0 offset:524
	buffer_load_dword v22, off, s[0:3], 0 offset:500
	;; [unrolled: 1-line block ×3, first 2 shown]
	v_add_f64 v[17:18], v[29:30], v[17:18]
	s_waitcnt vmcnt(58) lgkmcnt(0)
	v_mul_f64 v[29:30], v[9:10], v[35:36]
	v_mul_f64 v[35:36], v[11:12], v[35:36]
	ds_read_b128 v[5:8], v60 offset:1120
	s_waitcnt vmcnt(56)
	v_fma_f64 v[31:32], v[1:2], v[37:38], -v[31:32]
	v_add_f64 v[13:14], v[13:14], v[27:28]
	v_fma_f64 v[27:28], v[3:4], v[37:38], v[112:113]
	v_add_f64 v[15:16], v[17:18], v[15:16]
	s_clause 0x4
	buffer_load_dword v18, off, s[0:3], 0 offset:540
	buffer_load_dword v37, off, s[0:3], 0 offset:552
	;; [unrolled: 1-line block ×5, first 2 shown]
	s_waitcnt vmcnt(57) lgkmcnt(0)
	v_mul_f64 v[112:113], v[5:6], v[58:59]
	v_mul_f64 v[58:59], v[7:8], v[58:59]
	s_waitcnt vmcnt(56)
	v_fma_f64 v[35:36], v[9:10], v[23:24], -v[35:36]
	ds_read_b128 v[1:4], v60 offset:1136
	v_fma_f64 v[23:24], v[11:12], v[23:24], v[29:30]
	v_add_f64 v[13:14], v[13:14], v[31:32]
	v_add_f64 v[15:16], v[15:16], v[27:28]
	s_clause 0x2
	buffer_load_dword v38, off, s[0:3], 0 offset:556
	buffer_load_dword v28, off, s[0:3], 0 offset:532
	;; [unrolled: 1-line block ×3, first 2 shown]
	ds_read_b128 v[9:12], v60 offset:1152
	s_waitcnt vmcnt(58) lgkmcnt(1)
	v_mul_f64 v[31:32], v[3:4], v[65:66]
	s_waitcnt vmcnt(56)
	v_fma_f64 v[58:59], v[5:6], v[67:68], -v[58:59]
	v_mul_f64 v[29:30], v[1:2], v[65:66]
	v_add_f64 v[13:14], v[13:14], v[35:36]
	v_fma_f64 v[35:36], v[7:8], v[67:68], v[112:113]
	v_add_f64 v[15:16], v[15:16], v[23:24]
	s_clause 0x4
	buffer_load_dword v24, off, s[0:3], 0 offset:572
	buffer_load_dword v65, off, s[0:3], 0 offset:584
	;; [unrolled: 1-line block ×5, first 2 shown]
	s_waitcnt vmcnt(57) lgkmcnt(0)
	v_mul_f64 v[112:113], v[9:10], v[69:70]
	v_mul_f64 v[68:69], v[11:12], v[69:70]
	s_waitcnt vmcnt(56)
	v_fma_f64 v[31:32], v[1:2], v[33:34], -v[31:32]
	ds_read_b128 v[5:8], v60 offset:1168
	v_fma_f64 v[29:30], v[3:4], v[33:34], v[29:30]
	s_clause 0x2
	buffer_load_dword v66, off, s[0:3], 0 offset:588
	buffer_load_dword v34, off, s[0:3], 0 offset:564
	;; [unrolled: 1-line block ×3, first 2 shown]
	ds_read_b128 v[1:4], v60 offset:1184
	v_add_f64 v[13:14], v[13:14], v[58:59]
	v_add_f64 v[15:16], v[15:16], v[35:36]
	s_waitcnt vmcnt(58) lgkmcnt(1)
	v_mul_f64 v[58:59], v[7:8], v[73:74]
	s_waitcnt vmcnt(56)
	v_fma_f64 v[69:70], v[9:10], v[75:76], -v[68:69]
	v_mul_f64 v[35:36], v[5:6], v[73:74]
	v_add_f64 v[13:14], v[13:14], v[31:32]
	v_fma_f64 v[31:32], v[11:12], v[75:76], v[112:113]
	v_add_f64 v[15:16], v[15:16], v[29:30]
	s_clause 0x4
	buffer_load_dword v30, off, s[0:3], 0 offset:604
	buffer_load_dword v73, off, s[0:3], 0 offset:616
	;; [unrolled: 1-line block ×5, first 2 shown]
	s_waitcnt vmcnt(57) lgkmcnt(0)
	v_mul_f64 v[112:113], v[1:2], v[77:78]
	v_mul_f64 v[76:77], v[3:4], v[77:78]
	s_waitcnt vmcnt(56)
	v_fma_f64 v[58:59], v[5:6], v[63:64], -v[58:59]
	ds_read_b128 v[9:12], v60 offset:1200
	v_fma_f64 v[35:36], v[7:8], v[63:64], v[35:36]
	v_add_f64 v[13:14], v[13:14], v[69:70]
	v_add_f64 v[15:16], v[15:16], v[31:32]
	s_clause 0x2
	buffer_load_dword v74, off, s[0:3], 0 offset:620
	buffer_load_dword v32, off, s[0:3], 0 offset:596
	;; [unrolled: 1-line block ×3, first 2 shown]
	ds_read_b128 v[5:8], v60 offset:1216
	s_waitcnt vmcnt(58) lgkmcnt(1)
	v_mul_f64 v[69:70], v[11:12], v[79:80]
	s_waitcnt vmcnt(56)
	v_fma_f64 v[77:78], v[1:2], v[81:82], -v[76:77]
	v_mul_f64 v[63:64], v[9:10], v[79:80]
	v_add_f64 v[13:14], v[13:14], v[58:59]
	v_fma_f64 v[58:59], v[3:4], v[81:82], v[112:113]
	v_add_f64 v[15:16], v[15:16], v[35:36]
	s_clause 0x4
	buffer_load_dword v36, off, s[0:3], 0 offset:636
	buffer_load_dword v79, off, s[0:3], 0 offset:648
	buffer_load_dword v81, off, s[0:3], 0 offset:640
	buffer_load_dword v35, off, s[0:3], 0 offset:632
	buffer_load_dword v76, off, s[0:3], 0 offset:612
	s_waitcnt vmcnt(57) lgkmcnt(0)
	v_mul_f64 v[112:113], v[5:6], v[97:98]
	v_mul_f64 v[97:98], v[7:8], v[97:98]
	s_waitcnt vmcnt(56)
	v_fma_f64 v[69:70], v[9:10], v[71:72], -v[69:70]
	ds_read_b128 v[1:4], v60 offset:1232
	v_fma_f64 v[63:64], v[11:12], v[71:72], v[63:64]
	v_add_f64 v[13:14], v[13:14], v[77:78]
	v_add_f64 v[15:16], v[15:16], v[58:59]
	s_clause 0x2
	buffer_load_dword v80, off, s[0:3], 0 offset:652
	buffer_load_dword v59, off, s[0:3], 0 offset:628
	;; [unrolled: 1-line block ×3, first 2 shown]
	ds_read_b128 v[9:12], v60 offset:1248
	s_waitcnt vmcnt(58) lgkmcnt(1)
	v_mul_f64 v[77:78], v[3:4], v[99:100]
	s_waitcnt vmcnt(56)
	v_fma_f64 v[97:98], v[5:6], v[104:105], -v[97:98]
	v_mul_f64 v[71:72], v[1:2], v[99:100]
	v_add_f64 v[13:14], v[13:14], v[69:70]
	v_fma_f64 v[69:70], v[7:8], v[104:105], v[112:113]
	v_add_f64 v[15:16], v[15:16], v[63:64]
	s_clause 0x4
	buffer_load_dword v64, off, s[0:3], 0 offset:668
	buffer_load_dword v99, off, s[0:3], 0 offset:680
	;; [unrolled: 1-line block ×5, first 2 shown]
	ds_read_b128 v[5:8], v60 offset:1264
	s_waitcnt vmcnt(57) lgkmcnt(1)
	v_mul_f64 v[104:105], v[9:10], v[95:96]
	v_mul_f64 v[95:96], v[11:12], v[95:96]
	s_waitcnt vmcnt(56)
	v_fma_f64 v[77:78], v[1:2], v[101:102], -v[77:78]
	v_fma_f64 v[71:72], v[3:4], v[101:102], v[71:72]
	v_add_f64 v[13:14], v[13:14], v[97:98]
	v_add_f64 v[15:16], v[15:16], v[69:70]
	s_clause 0x2
	buffer_load_dword v100, off, s[0:3], 0 offset:684
	buffer_load_dword v70, off, s[0:3], 0 offset:660
	;; [unrolled: 1-line block ×3, first 2 shown]
	ds_read_b128 v[1:4], v60 offset:1280
	s_waitcnt vmcnt(58) lgkmcnt(1)
	v_mul_f64 v[101:102], v[7:8], v[108:109]
	v_mul_f64 v[97:98], v[5:6], v[108:109]
	s_waitcnt vmcnt(56)
	v_fma_f64 v[95:96], v[9:10], v[89:90], -v[95:96]
	v_add_f64 v[13:14], v[13:14], v[77:78]
	v_fma_f64 v[77:78], v[11:12], v[89:90], v[104:105]
	v_add_f64 v[15:16], v[15:16], v[71:72]
	s_clause 0x4
	buffer_load_dword v72, off, s[0:3], 0 offset:700
	buffer_load_dword v89, off, s[0:3], 0 offset:712
	buffer_load_dword v108, off, s[0:3], 0 offset:704
	buffer_load_dword v71, off, s[0:3], 0 offset:696
	buffer_load_dword v104, off, s[0:3], 0 offset:676
	ds_read_b128 v[9:12], v60 offset:1296
	s_waitcnt vmcnt(57) lgkmcnt(1)
	v_mul_f64 v[112:113], v[1:2], v[25:26]
	v_mul_f64 v[25:26], v[3:4], v[25:26]
	s_waitcnt vmcnt(56)
	v_fma_f64 v[101:102], v[5:6], v[110:111], -v[101:102]
	v_add_f64 v[13:14], v[13:14], v[95:96]
	v_fma_f64 v[95:96], v[7:8], v[110:111], v[97:98]
	v_add_f64 v[15:16], v[15:16], v[77:78]
	s_clause 0x2
	buffer_load_dword v90, off, s[0:3], 0 offset:716
	buffer_load_dword v78, off, s[0:3], 0 offset:692
	buffer_load_dword v77, off, s[0:3], 0 offset:688
	ds_read_b128 v[5:8], v60 offset:1312
	s_waitcnt vmcnt(58) lgkmcnt(1)
	v_mul_f64 v[97:98], v[9:10], v[91:92]
	v_mul_f64 v[91:92], v[11:12], v[91:92]
	s_waitcnt vmcnt(56)
	v_fma_f64 v[25:26], v[1:2], v[19:20], -v[25:26]
	v_fma_f64 v[19:20], v[3:4], v[19:20], v[112:113]
	v_add_f64 v[13:14], v[13:14], v[101:102]
	v_add_f64 v[15:16], v[15:16], v[95:96]
	s_clause 0x4
	buffer_load_dword v96, off, s[0:3], 0 offset:732
	buffer_load_dword v101, off, s[0:3], 0 offset:744
	buffer_load_dword v105, off, s[0:3], 0 offset:736
	buffer_load_dword v95, off, s[0:3], 0 offset:728
	buffer_load_dword v109, off, s[0:3], 0 offset:708
	ds_read_b128 v[1:4], v60 offset:1328
	s_waitcnt vmcnt(57) lgkmcnt(1)
	v_mul_f64 v[110:111], v[5:6], v[83:84]
	v_mul_f64 v[83:84], v[7:8], v[83:84]
	s_waitcnt vmcnt(56)
	v_fma_f64 v[91:92], v[9:10], v[106:107], -v[91:92]
	v_add_f64 v[13:14], v[13:14], v[25:26]
	v_fma_f64 v[25:26], v[11:12], v[106:107], v[97:98]
	v_add_f64 v[15:16], v[15:16], v[19:20]
	s_clause 0x2
	buffer_load_dword v102, off, s[0:3], 0 offset:748
	buffer_load_dword v20, off, s[0:3], 0 offset:724
	buffer_load_dword v19, off, s[0:3], 0 offset:720
	ds_read_b128 v[9:12], v60 offset:1344
	s_waitcnt vmcnt(58) lgkmcnt(1)
	v_mul_f64 v[97:98], v[1:2], v[85:86]
	v_mul_f64 v[85:86], v[3:4], v[85:86]
	s_waitcnt vmcnt(56)
	v_fma_f64 v[83:84], v[5:6], v[21:22], -v[83:84]
	v_fma_f64 v[21:22], v[7:8], v[21:22], v[110:111]
	v_add_f64 v[13:14], v[13:14], v[91:92]
	;; [unrolled: 28-line block ×3, first 2 shown]
	v_add_f64 v[15:16], v[15:16], v[83:84]
	s_clause 0x4
	buffer_load_dword v84, off, s[0:3], 0 offset:796
	buffer_load_dword v85, off, s[0:3], 0 offset:808
	;; [unrolled: 1-line block ×5, first 2 shown]
	ds_read_b128 v[9:12], v60 offset:1392
	s_waitcnt vmcnt(57) lgkmcnt(1)
	v_mul_f64 v[112:113], v[1:2], v[23:24]
	v_mul_f64 v[23:24], v[3:4], v[23:24]
	s_waitcnt vmcnt(56)
	v_fma_f64 v[37:38], v[5:6], v[87:88], -v[37:38]
	v_add_f64 v[13:14], v[13:14], v[17:18]
	v_fma_f64 v[17:18], v[7:8], v[87:88], v[93:94]
	v_add_f64 v[15:16], v[15:16], v[27:28]
	s_clause 0x2
	buffer_load_dword v86, off, s[0:3], 0 offset:812
	buffer_load_dword v28, off, s[0:3], 0 offset:788
	;; [unrolled: 1-line block ×3, first 2 shown]
	s_waitcnt vmcnt(58) lgkmcnt(0)
	v_mul_f64 v[87:88], v[9:10], v[65:66]
	v_mul_f64 v[65:66], v[11:12], v[65:66]
	ds_read_b128 v[5:8], v60 offset:1408
	s_waitcnt vmcnt(56)
	v_fma_f64 v[23:24], v[1:2], v[33:34], -v[23:24]
	v_fma_f64 v[33:34], v[3:4], v[33:34], v[112:113]
	v_add_f64 v[13:14], v[13:14], v[37:38]
	v_add_f64 v[15:16], v[15:16], v[17:18]
	s_clause 0x4
	buffer_load_dword v18, off, s[0:3], 0 offset:828
	buffer_load_dword v37, off, s[0:3], 0 offset:840
	;; [unrolled: 1-line block ×5, first 2 shown]
	ds_read_b128 v[1:4], v60 offset:1424
	s_waitcnt vmcnt(57) lgkmcnt(1)
	v_mul_f64 v[112:113], v[5:6], v[29:30]
	v_mul_f64 v[29:30], v[7:8], v[29:30]
	s_waitcnt vmcnt(56)
	v_fma_f64 v[65:66], v[9:10], v[67:68], -v[65:66]
	v_add_f64 v[13:14], v[13:14], v[23:24]
	v_fma_f64 v[23:24], v[11:12], v[67:68], v[87:88]
	v_add_f64 v[15:16], v[15:16], v[33:34]
	s_clause 0x2
	buffer_load_dword v38, off, s[0:3], 0 offset:844
	buffer_load_dword v34, off, s[0:3], 0 offset:820
	;; [unrolled: 1-line block ×3, first 2 shown]
	ds_read_b128 v[9:12], v60 offset:1440
	buffer_load_dword v94, off, s[0:3], 0 offset:836
	s_waitcnt vmcnt(59) lgkmcnt(1)
	v_mul_f64 v[67:68], v[1:2], v[73:74]
	v_mul_f64 v[73:74], v[3:4], v[73:74]
	s_waitcnt vmcnt(57)
	v_fma_f64 v[29:30], v[5:6], v[31:32], -v[29:30]
	v_fma_f64 v[31:32], v[7:8], v[31:32], v[112:113]
	ds_read_b128 v[5:8], v60 offset:1456
	v_add_f64 v[13:14], v[13:14], v[65:66]
	v_add_f64 v[15:16], v[15:16], v[23:24]
	s_waitcnt vmcnt(53) lgkmcnt(1)
	v_mul_f64 v[23:24], v[9:10], v[35:36]
	v_mul_f64 v[35:36], v[11:12], v[35:36]
	s_waitcnt vmcnt(52)
	v_fma_f64 v[65:66], v[1:2], v[75:76], -v[73:74]
	v_add_f64 v[13:14], v[13:14], v[29:30]
	v_fma_f64 v[29:30], v[3:4], v[75:76], v[67:68]
	v_add_f64 v[15:16], v[15:16], v[31:32]
	ds_read_b128 v[1:4], v60 offset:1472
	s_waitcnt vmcnt(51) lgkmcnt(1)
	v_mul_f64 v[67:68], v[7:8], v[79:80]
	v_mul_f64 v[31:32], v[5:6], v[79:80]
	s_waitcnt vmcnt(49)
	v_fma_f64 v[35:36], v[9:10], v[58:59], -v[35:36]
	v_fma_f64 v[23:24], v[11:12], v[58:59], v[23:24]
	v_add_f64 v[13:14], v[13:14], v[65:66]
	v_add_f64 v[15:16], v[15:16], v[29:30]
	s_clause 0x3
	buffer_load_dword v29, off, s[0:3], 0 offset:144
	buffer_load_dword v30, off, s[0:3], 0 offset:148
	;; [unrolled: 1-line block ×4, first 2 shown]
	ds_read_b128 v[9:12], v60 offset:1488
	s_waitcnt vmcnt(49) lgkmcnt(1)
	v_mul_f64 v[65:66], v[1:2], v[63:64]
	v_mul_f64 v[63:64], v[3:4], v[63:64]
	s_waitcnt vmcnt(48)
	v_fma_f64 v[67:68], v[5:6], v[81:82], -v[67:68]
	v_fma_f64 v[31:32], v[7:8], v[81:82], v[31:32]
	ds_read_b128 v[5:8], v60 offset:1504
	v_add_f64 v[13:14], v[13:14], v[35:36]
	v_add_f64 v[15:16], v[15:16], v[23:24]
	s_waitcnt vmcnt(47) lgkmcnt(1)
	v_mul_f64 v[35:36], v[11:12], v[99:100]
	v_mul_f64 v[23:24], v[9:10], v[99:100]
	s_waitcnt vmcnt(45)
	v_fma_f64 v[63:64], v[1:2], v[69:70], -v[63:64]
	v_fma_f64 v[65:66], v[3:4], v[69:70], v[65:66]
	ds_read_b128 v[1:4], v60 offset:1520
	v_add_f64 v[13:14], v[13:14], v[67:68]
	v_add_f64 v[15:16], v[15:16], v[31:32]
	s_waitcnt vmcnt(41) lgkmcnt(1)
	v_mul_f64 v[67:68], v[7:8], v[71:72]
	s_waitcnt vmcnt(40)
	v_fma_f64 v[35:36], v[9:10], v[103:104], -v[35:36]
	v_mul_f64 v[31:32], v[5:6], v[71:72]
	v_fma_f64 v[23:24], v[11:12], v[103:104], v[23:24]
	ds_read_b128 v[9:12], v60 offset:1536
	v_add_f64 v[13:14], v[13:14], v[63:64]
	v_add_f64 v[15:16], v[15:16], v[65:66]
	s_waitcnt vmcnt(39) lgkmcnt(1)
	v_mul_f64 v[65:66], v[3:4], v[89:90]
	v_mul_f64 v[63:64], v[1:2], v[89:90]
	s_waitcnt vmcnt(37)
	v_fma_f64 v[67:68], v[5:6], v[77:78], -v[67:68]
	v_fma_f64 v[31:32], v[7:8], v[77:78], v[31:32]
	ds_read_b128 v[5:8], v60 offset:1552
	v_add_f64 v[13:14], v[13:14], v[35:36]
	v_add_f64 v[15:16], v[15:16], v[23:24]
	s_waitcnt vmcnt(33) lgkmcnt(1)
	v_mul_f64 v[35:36], v[11:12], v[95:96]
	s_waitcnt vmcnt(32)
	v_fma_f64 v[65:66], v[1:2], v[108:109], -v[65:66]
	v_mul_f64 v[23:24], v[9:10], v[95:96]
	v_fma_f64 v[63:64], v[3:4], v[108:109], v[63:64]
	ds_read_b128 v[1:4], v60 offset:1568
	v_add_f64 v[13:14], v[13:14], v[67:68]
	v_add_f64 v[15:16], v[15:16], v[31:32]
	s_waitcnt vmcnt(31) lgkmcnt(1)
	v_mul_f64 v[67:68], v[7:8], v[101:102]
	v_mul_f64 v[31:32], v[5:6], v[101:102]
	s_waitcnt vmcnt(29)
	v_fma_f64 v[35:36], v[9:10], v[19:20], -v[35:36]
	v_fma_f64 v[19:20], v[11:12], v[19:20], v[23:24]
	ds_read_b128 v[9:12], v60 offset:1584
	v_add_f64 v[13:14], v[13:14], v[65:66]
	v_add_f64 v[15:16], v[15:16], v[63:64]
	s_waitcnt vmcnt(25) lgkmcnt(1)
	v_mul_f64 v[23:24], v[1:2], v[25:26]
	v_mul_f64 v[25:26], v[3:4], v[25:26]
	s_waitcnt vmcnt(24)
	v_fma_f64 v[63:64], v[5:6], v[105:106], -v[67:68]
	;; [unrolled: 9-line block ×3, first 2 shown]
	v_fma_f64 v[21:22], v[3:4], v[21:22], v[23:24]
	ds_read_b128 v[1:4], v60 offset:1616
	v_add_f64 v[13:14], v[13:14], v[63:64]
	v_add_f64 v[15:16], v[15:16], v[31:32]
	s_waitcnt vmcnt(17) lgkmcnt(1)
	v_mul_f64 v[31:32], v[7:8], v[83:84]
	s_waitcnt vmcnt(16)
	v_fma_f64 v[35:36], v[9:10], v[110:111], -v[35:36]
	v_mul_f64 v[23:24], v[5:6], v[83:84]
	v_fma_f64 v[19:20], v[11:12], v[110:111], v[19:20]
	ds_read_b128 v[9:12], v60 offset:1632
	v_add_f64 v[13:14], v[13:14], v[25:26]
	v_add_f64 v[15:16], v[15:16], v[21:22]
	s_waitcnt vmcnt(15) lgkmcnt(1)
	v_mul_f64 v[25:26], v[3:4], v[85:86]
	v_mul_f64 v[21:22], v[1:2], v[85:86]
	s_waitcnt vmcnt(13)
	v_fma_f64 v[31:32], v[5:6], v[27:28], -v[31:32]
	v_fma_f64 v[23:24], v[7:8], v[27:28], v[23:24]
	ds_read_b128 v[5:8], v60 offset:1648
	v_add_f64 v[13:14], v[13:14], v[35:36]
	v_add_f64 v[15:16], v[15:16], v[19:20]
	s_waitcnt vmcnt(9) lgkmcnt(1)
	v_mul_f64 v[19:20], v[9:10], v[17:18]
	v_mul_f64 v[17:18], v[11:12], v[17:18]
	s_waitcnt vmcnt(8)
	v_fma_f64 v[1:2], v[1:2], v[97:98], -v[25:26]
	v_fma_f64 v[3:4], v[3:4], v[97:98], v[21:22]
	v_add_f64 v[13:14], v[13:14], v[31:32]
	v_add_f64 v[15:16], v[15:16], v[23:24]
	s_waitcnt vmcnt(7) lgkmcnt(0)
	v_mul_f64 v[23:24], v[7:8], v[37:38]
	v_mul_f64 v[21:22], v[5:6], v[37:38]
	s_waitcnt vmcnt(5)
	v_fma_f64 v[9:10], v[9:10], v[33:34], -v[17:18]
	v_fma_f64 v[11:12], v[11:12], v[33:34], v[19:20]
	v_add_f64 v[1:2], v[13:14], v[1:2]
	v_add_f64 v[3:4], v[15:16], v[3:4]
	s_waitcnt vmcnt(4)
	v_fma_f64 v[5:6], v[5:6], v[93:94], -v[23:24]
	v_fma_f64 v[7:8], v[7:8], v[93:94], v[21:22]
	v_add_f64 v[1:2], v[1:2], v[9:10]
	v_add_f64 v[3:4], v[3:4], v[11:12]
	;; [unrolled: 1-line block ×4, first 2 shown]
	s_waitcnt vmcnt(2)
	v_add_f64 v[1:2], v[29:30], -v[1:2]
	s_waitcnt vmcnt(0)
	v_add_f64 v[3:4], v[58:59], -v[3:4]
	buffer_store_dword v2, off, s[0:3], 0 offset:148
	buffer_store_dword v1, off, s[0:3], 0 offset:144
	;; [unrolled: 1-line block ×4, first 2 shown]
	v_cmpx_lt_u32_e32 7, v0
	s_cbranch_execz .LBB51_311
; %bb.310:
	v_mov_b32_e32 v4, s57
	s_clause 0x3
	buffer_load_dword v1, v4, s[0:3], 0 offen
	buffer_load_dword v2, v4, s[0:3], 0 offen offset:4
	buffer_load_dword v3, v4, s[0:3], 0 offen offset:8
	;; [unrolled: 1-line block ×3, first 2 shown]
	buffer_store_dword v60, off, s[0:3], 0 offset:128
	buffer_store_dword v60, off, s[0:3], 0 offset:132
	buffer_store_dword v60, off, s[0:3], 0 offset:136
	buffer_store_dword v60, off, s[0:3], 0 offset:140
	s_waitcnt vmcnt(0)
	ds_write_b128 v39, v[1:4]
.LBB51_311:
	s_or_b32 exec_lo, exec_lo, s4
	s_waitcnt lgkmcnt(0)
	s_waitcnt_vscnt null, 0x0
	s_barrier
	buffer_gl0_inv
	s_clause 0x37
	buffer_load_dword v9, off, s[0:3], 0 offset:152
	buffer_load_dword v10, off, s[0:3], 0 offset:156
	;; [unrolled: 1-line block ×56, first 2 shown]
	ds_read_b128 v[83:86], v60 offset:960
	s_clause 0x2
	buffer_load_dword v80, off, s[0:3], 0 offset:380
	buffer_load_dword v82, off, s[0:3], 0 offset:356
	;; [unrolled: 1-line block ×3, first 2 shown]
	ds_read_b128 v[87:90], v60 offset:976
	s_clause 0x4
	buffer_load_dword v98, off, s[0:3], 0 offset:396
	buffer_load_dword v99, off, s[0:3], 0 offset:408
	;; [unrolled: 1-line block ×5, first 2 shown]
	ds_read_b128 v[91:94], v60 offset:992
	s_clause 0x2
	buffer_load_dword v100, off, s[0:3], 0 offset:412
	buffer_load_dword v105, off, s[0:3], 0 offset:388
	buffer_load_dword v104, off, s[0:3], 0 offset:384
	s_mov_b32 s4, exec_lo
	s_waitcnt vmcnt(62) lgkmcnt(2)
	v_mul_f64 v[95:96], v[85:86], v[9:10]
	v_mul_f64 v[9:10], v[83:84], v[9:10]
	s_waitcnt lgkmcnt(1)
	v_mul_f64 v[102:103], v[89:90], v[5:6]
	s_waitcnt vmcnt(59) lgkmcnt(0)
	v_mul_f64 v[106:107], v[93:94], v[3:4]
	v_fma_f64 v[83:84], v[83:84], v[7:8], -v[95:96]
	v_mul_f64 v[95:96], v[87:88], v[5:6]
	v_fma_f64 v[9:10], v[85:86], v[7:8], v[9:10]
	s_waitcnt vmcnt(57)
	v_fma_f64 v[87:88], v[87:88], v[1:2], -v[102:103]
	ds_read_b128 v[5:8], v60 offset:1008
	v_mul_f64 v[85:86], v[91:92], v[3:4]
	s_waitcnt vmcnt(51)
	v_fma_f64 v[91:92], v[91:92], v[25:26], -v[106:107]
	v_add_f64 v[83:84], v[83:84], 0
	v_fma_f64 v[89:90], v[89:90], v[1:2], v[95:96]
	v_add_f64 v[9:10], v[9:10], 0
	s_clause 0x4
	buffer_load_dword v96, off, s[0:3], 0 offset:428
	buffer_load_dword v108, off, s[0:3], 0 offset:440
	;; [unrolled: 1-line block ×5, first 2 shown]
	s_waitcnt lgkmcnt(0)
	v_mul_f64 v[111:112], v[5:6], v[13:14]
	v_mul_f64 v[13:14], v[7:8], v[13:14]
	ds_read_b128 v[1:4], v60 offset:1024
	v_fma_f64 v[25:26], v[93:94], v[25:26], v[85:86]
	v_add_f64 v[87:88], v[83:84], v[87:88]
	v_add_f64 v[9:10], v[9:10], v[89:90]
	s_clause 0x2
	buffer_load_dword v109, off, s[0:3], 0 offset:444
	buffer_load_dword v90, off, s[0:3], 0 offset:420
	;; [unrolled: 1-line block ×3, first 2 shown]
	s_waitcnt vmcnt(58) lgkmcnt(0)
	v_mul_f64 v[93:94], v[1:2], v[17:18]
	v_mul_f64 v[17:18], v[3:4], v[17:18]
	s_waitcnt vmcnt(56)
	v_fma_f64 v[13:14], v[5:6], v[19:20], -v[13:14]
	ds_read_b128 v[83:86], v60 offset:1040
	v_fma_f64 v[19:20], v[7:8], v[19:20], v[111:112]
	v_add_f64 v[87:88], v[87:88], v[91:92]
	v_add_f64 v[9:10], v[9:10], v[25:26]
	s_clause 0x4
	buffer_load_dword v26, off, s[0:3], 0 offset:460
	buffer_load_dword v91, off, s[0:3], 0 offset:472
	;; [unrolled: 1-line block ×5, first 2 shown]
	ds_read_b128 v[5:8], v60 offset:1056
	s_waitcnt vmcnt(57) lgkmcnt(1)
	v_mul_f64 v[112:113], v[83:84], v[21:22]
	v_mul_f64 v[21:22], v[85:86], v[21:22]
	s_waitcnt vmcnt(56)
	v_fma_f64 v[17:18], v[1:2], v[11:12], -v[17:18]
	v_fma_f64 v[11:12], v[3:4], v[11:12], v[93:94]
	v_add_f64 v[13:14], v[87:88], v[13:14]
	v_add_f64 v[9:10], v[9:10], v[19:20]
	s_clause 0x2
	buffer_load_dword v92, off, s[0:3], 0 offset:476
	buffer_load_dword v20, off, s[0:3], 0 offset:452
	;; [unrolled: 1-line block ×3, first 2 shown]
	s_waitcnt vmcnt(58) lgkmcnt(0)
	v_mul_f64 v[87:88], v[5:6], v[27:28]
	v_mul_f64 v[27:28], v[7:8], v[27:28]
	s_waitcnt vmcnt(56)
	v_fma_f64 v[21:22], v[83:84], v[29:30], -v[21:22]
	ds_read_b128 v[1:4], v60 offset:1072
	v_add_f64 v[13:14], v[13:14], v[17:18]
	v_fma_f64 v[17:18], v[85:86], v[29:30], v[112:113]
	v_add_f64 v[29:30], v[9:10], v[11:12]
	s_clause 0x4
	buffer_load_dword v84, off, s[0:3], 0 offset:492
	buffer_load_dword v85, off, s[0:3], 0 offset:504
	;; [unrolled: 1-line block ×5, first 2 shown]
	ds_read_b128 v[9:12], v60 offset:1088
	s_waitcnt vmcnt(57) lgkmcnt(1)
	v_mul_f64 v[112:113], v[1:2], v[31:32]
	v_mul_f64 v[31:32], v[3:4], v[31:32]
	s_waitcnt vmcnt(56)
	v_fma_f64 v[27:28], v[5:6], v[15:16], -v[27:28]
	v_fma_f64 v[15:16], v[7:8], v[15:16], v[87:88]
	v_add_f64 v[13:14], v[13:14], v[21:22]
	s_clause 0x2
	buffer_load_dword v86, off, s[0:3], 0 offset:508
	buffer_load_dword v22, off, s[0:3], 0 offset:484
	;; [unrolled: 1-line block ×3, first 2 shown]
	v_add_f64 v[17:18], v[29:30], v[17:18]
	s_waitcnt vmcnt(58) lgkmcnt(0)
	v_mul_f64 v[29:30], v[9:10], v[35:36]
	v_mul_f64 v[35:36], v[11:12], v[35:36]
	ds_read_b128 v[5:8], v60 offset:1104
	s_waitcnt vmcnt(56)
	v_fma_f64 v[31:32], v[1:2], v[37:38], -v[31:32]
	v_add_f64 v[13:14], v[13:14], v[27:28]
	v_fma_f64 v[27:28], v[3:4], v[37:38], v[112:113]
	v_add_f64 v[15:16], v[17:18], v[15:16]
	s_clause 0x4
	buffer_load_dword v18, off, s[0:3], 0 offset:524
	buffer_load_dword v37, off, s[0:3], 0 offset:536
	;; [unrolled: 1-line block ×5, first 2 shown]
	s_waitcnt vmcnt(57) lgkmcnt(0)
	v_mul_f64 v[112:113], v[5:6], v[58:59]
	v_mul_f64 v[58:59], v[7:8], v[58:59]
	s_waitcnt vmcnt(56)
	v_fma_f64 v[35:36], v[9:10], v[23:24], -v[35:36]
	ds_read_b128 v[1:4], v60 offset:1120
	v_fma_f64 v[23:24], v[11:12], v[23:24], v[29:30]
	v_add_f64 v[13:14], v[13:14], v[31:32]
	v_add_f64 v[15:16], v[15:16], v[27:28]
	s_clause 0x2
	buffer_load_dword v38, off, s[0:3], 0 offset:540
	buffer_load_dword v28, off, s[0:3], 0 offset:516
	;; [unrolled: 1-line block ×3, first 2 shown]
	ds_read_b128 v[9:12], v60 offset:1136
	s_waitcnt vmcnt(58) lgkmcnt(1)
	v_mul_f64 v[31:32], v[3:4], v[65:66]
	s_waitcnt vmcnt(56)
	v_fma_f64 v[58:59], v[5:6], v[67:68], -v[58:59]
	v_mul_f64 v[29:30], v[1:2], v[65:66]
	v_add_f64 v[13:14], v[13:14], v[35:36]
	v_fma_f64 v[35:36], v[7:8], v[67:68], v[112:113]
	v_add_f64 v[15:16], v[15:16], v[23:24]
	s_clause 0x4
	buffer_load_dword v24, off, s[0:3], 0 offset:556
	buffer_load_dword v65, off, s[0:3], 0 offset:568
	;; [unrolled: 1-line block ×5, first 2 shown]
	s_waitcnt vmcnt(57) lgkmcnt(0)
	v_mul_f64 v[112:113], v[9:10], v[69:70]
	v_mul_f64 v[68:69], v[11:12], v[69:70]
	s_waitcnt vmcnt(56)
	v_fma_f64 v[31:32], v[1:2], v[33:34], -v[31:32]
	ds_read_b128 v[5:8], v60 offset:1152
	v_fma_f64 v[29:30], v[3:4], v[33:34], v[29:30]
	s_clause 0x2
	buffer_load_dword v66, off, s[0:3], 0 offset:572
	buffer_load_dword v34, off, s[0:3], 0 offset:548
	;; [unrolled: 1-line block ×3, first 2 shown]
	ds_read_b128 v[1:4], v60 offset:1168
	v_add_f64 v[13:14], v[13:14], v[58:59]
	v_add_f64 v[15:16], v[15:16], v[35:36]
	s_waitcnt vmcnt(58) lgkmcnt(1)
	v_mul_f64 v[58:59], v[7:8], v[73:74]
	s_waitcnt vmcnt(56)
	v_fma_f64 v[69:70], v[9:10], v[75:76], -v[68:69]
	v_mul_f64 v[35:36], v[5:6], v[73:74]
	v_add_f64 v[13:14], v[13:14], v[31:32]
	v_fma_f64 v[31:32], v[11:12], v[75:76], v[112:113]
	v_add_f64 v[15:16], v[15:16], v[29:30]
	s_clause 0x4
	buffer_load_dword v30, off, s[0:3], 0 offset:588
	buffer_load_dword v73, off, s[0:3], 0 offset:600
	;; [unrolled: 1-line block ×5, first 2 shown]
	s_waitcnt vmcnt(57) lgkmcnt(0)
	v_mul_f64 v[112:113], v[1:2], v[77:78]
	v_mul_f64 v[76:77], v[3:4], v[77:78]
	s_waitcnt vmcnt(56)
	v_fma_f64 v[58:59], v[5:6], v[63:64], -v[58:59]
	ds_read_b128 v[9:12], v60 offset:1184
	v_fma_f64 v[35:36], v[7:8], v[63:64], v[35:36]
	v_add_f64 v[13:14], v[13:14], v[69:70]
	v_add_f64 v[15:16], v[15:16], v[31:32]
	s_clause 0x2
	buffer_load_dword v74, off, s[0:3], 0 offset:604
	buffer_load_dword v32, off, s[0:3], 0 offset:580
	;; [unrolled: 1-line block ×3, first 2 shown]
	ds_read_b128 v[5:8], v60 offset:1200
	s_waitcnt vmcnt(58) lgkmcnt(1)
	v_mul_f64 v[69:70], v[11:12], v[79:80]
	s_waitcnt vmcnt(56)
	v_fma_f64 v[77:78], v[1:2], v[81:82], -v[76:77]
	v_mul_f64 v[63:64], v[9:10], v[79:80]
	v_add_f64 v[13:14], v[13:14], v[58:59]
	v_fma_f64 v[58:59], v[3:4], v[81:82], v[112:113]
	v_add_f64 v[15:16], v[15:16], v[35:36]
	s_clause 0x4
	buffer_load_dword v36, off, s[0:3], 0 offset:620
	buffer_load_dword v79, off, s[0:3], 0 offset:632
	;; [unrolled: 1-line block ×5, first 2 shown]
	s_waitcnt vmcnt(57) lgkmcnt(0)
	v_mul_f64 v[112:113], v[5:6], v[97:98]
	v_mul_f64 v[97:98], v[7:8], v[97:98]
	s_waitcnt vmcnt(56)
	v_fma_f64 v[69:70], v[9:10], v[71:72], -v[69:70]
	ds_read_b128 v[1:4], v60 offset:1216
	v_fma_f64 v[63:64], v[11:12], v[71:72], v[63:64]
	v_add_f64 v[13:14], v[13:14], v[77:78]
	v_add_f64 v[15:16], v[15:16], v[58:59]
	s_clause 0x2
	buffer_load_dword v80, off, s[0:3], 0 offset:636
	buffer_load_dword v59, off, s[0:3], 0 offset:612
	buffer_load_dword v58, off, s[0:3], 0 offset:608
	ds_read_b128 v[9:12], v60 offset:1232
	s_waitcnt vmcnt(58) lgkmcnt(1)
	v_mul_f64 v[77:78], v[3:4], v[99:100]
	s_waitcnt vmcnt(56)
	v_fma_f64 v[97:98], v[5:6], v[104:105], -v[97:98]
	v_mul_f64 v[71:72], v[1:2], v[99:100]
	v_add_f64 v[13:14], v[13:14], v[69:70]
	v_fma_f64 v[69:70], v[7:8], v[104:105], v[112:113]
	v_add_f64 v[15:16], v[15:16], v[63:64]
	s_clause 0x4
	buffer_load_dword v64, off, s[0:3], 0 offset:652
	buffer_load_dword v99, off, s[0:3], 0 offset:664
	;; [unrolled: 1-line block ×5, first 2 shown]
	ds_read_b128 v[5:8], v60 offset:1248
	s_waitcnt vmcnt(57) lgkmcnt(1)
	v_mul_f64 v[104:105], v[9:10], v[95:96]
	v_mul_f64 v[95:96], v[11:12], v[95:96]
	s_waitcnt vmcnt(56)
	v_fma_f64 v[77:78], v[1:2], v[101:102], -v[77:78]
	v_fma_f64 v[71:72], v[3:4], v[101:102], v[71:72]
	v_add_f64 v[13:14], v[13:14], v[97:98]
	v_add_f64 v[15:16], v[15:16], v[69:70]
	s_clause 0x2
	buffer_load_dword v100, off, s[0:3], 0 offset:668
	buffer_load_dword v70, off, s[0:3], 0 offset:644
	;; [unrolled: 1-line block ×3, first 2 shown]
	ds_read_b128 v[1:4], v60 offset:1264
	s_waitcnt vmcnt(58) lgkmcnt(1)
	v_mul_f64 v[101:102], v[7:8], v[108:109]
	v_mul_f64 v[97:98], v[5:6], v[108:109]
	s_waitcnt vmcnt(56)
	v_fma_f64 v[95:96], v[9:10], v[89:90], -v[95:96]
	v_add_f64 v[13:14], v[13:14], v[77:78]
	v_fma_f64 v[77:78], v[11:12], v[89:90], v[104:105]
	v_add_f64 v[15:16], v[15:16], v[71:72]
	s_clause 0x4
	buffer_load_dword v72, off, s[0:3], 0 offset:684
	buffer_load_dword v89, off, s[0:3], 0 offset:696
	buffer_load_dword v108, off, s[0:3], 0 offset:688
	buffer_load_dword v71, off, s[0:3], 0 offset:680
	buffer_load_dword v104, off, s[0:3], 0 offset:660
	ds_read_b128 v[9:12], v60 offset:1280
	s_waitcnt vmcnt(57) lgkmcnt(1)
	v_mul_f64 v[112:113], v[1:2], v[25:26]
	v_mul_f64 v[25:26], v[3:4], v[25:26]
	s_waitcnt vmcnt(56)
	v_fma_f64 v[101:102], v[5:6], v[110:111], -v[101:102]
	v_add_f64 v[13:14], v[13:14], v[95:96]
	v_fma_f64 v[95:96], v[7:8], v[110:111], v[97:98]
	v_add_f64 v[15:16], v[15:16], v[77:78]
	s_clause 0x2
	buffer_load_dword v90, off, s[0:3], 0 offset:700
	buffer_load_dword v78, off, s[0:3], 0 offset:676
	buffer_load_dword v77, off, s[0:3], 0 offset:672
	ds_read_b128 v[5:8], v60 offset:1296
	s_waitcnt vmcnt(58) lgkmcnt(1)
	v_mul_f64 v[97:98], v[9:10], v[91:92]
	v_mul_f64 v[91:92], v[11:12], v[91:92]
	s_waitcnt vmcnt(56)
	v_fma_f64 v[25:26], v[1:2], v[19:20], -v[25:26]
	v_fma_f64 v[19:20], v[3:4], v[19:20], v[112:113]
	v_add_f64 v[13:14], v[13:14], v[101:102]
	v_add_f64 v[15:16], v[15:16], v[95:96]
	s_clause 0x4
	buffer_load_dword v96, off, s[0:3], 0 offset:716
	buffer_load_dword v101, off, s[0:3], 0 offset:728
	buffer_load_dword v105, off, s[0:3], 0 offset:720
	buffer_load_dword v95, off, s[0:3], 0 offset:712
	buffer_load_dword v109, off, s[0:3], 0 offset:692
	ds_read_b128 v[1:4], v60 offset:1312
	s_waitcnt vmcnt(57) lgkmcnt(1)
	v_mul_f64 v[110:111], v[5:6], v[83:84]
	v_mul_f64 v[83:84], v[7:8], v[83:84]
	s_waitcnt vmcnt(56)
	v_fma_f64 v[91:92], v[9:10], v[106:107], -v[91:92]
	v_add_f64 v[13:14], v[13:14], v[25:26]
	v_fma_f64 v[25:26], v[11:12], v[106:107], v[97:98]
	v_add_f64 v[15:16], v[15:16], v[19:20]
	s_clause 0x2
	buffer_load_dword v102, off, s[0:3], 0 offset:732
	buffer_load_dword v20, off, s[0:3], 0 offset:708
	buffer_load_dword v19, off, s[0:3], 0 offset:704
	ds_read_b128 v[9:12], v60 offset:1328
	s_waitcnt vmcnt(58) lgkmcnt(1)
	v_mul_f64 v[97:98], v[1:2], v[85:86]
	v_mul_f64 v[85:86], v[3:4], v[85:86]
	s_waitcnt vmcnt(56)
	v_fma_f64 v[83:84], v[5:6], v[21:22], -v[83:84]
	v_fma_f64 v[21:22], v[7:8], v[21:22], v[110:111]
	v_add_f64 v[13:14], v[13:14], v[91:92]
	;; [unrolled: 28-line block ×3, first 2 shown]
	v_add_f64 v[15:16], v[15:16], v[83:84]
	s_clause 0x4
	buffer_load_dword v84, off, s[0:3], 0 offset:780
	buffer_load_dword v85, off, s[0:3], 0 offset:792
	;; [unrolled: 1-line block ×5, first 2 shown]
	ds_read_b128 v[9:12], v60 offset:1376
	s_waitcnt vmcnt(57) lgkmcnt(1)
	v_mul_f64 v[112:113], v[1:2], v[23:24]
	v_mul_f64 v[23:24], v[3:4], v[23:24]
	s_waitcnt vmcnt(56)
	v_fma_f64 v[37:38], v[5:6], v[87:88], -v[37:38]
	v_add_f64 v[13:14], v[13:14], v[17:18]
	v_fma_f64 v[17:18], v[7:8], v[87:88], v[93:94]
	v_add_f64 v[15:16], v[15:16], v[27:28]
	s_clause 0x2
	buffer_load_dword v86, off, s[0:3], 0 offset:796
	buffer_load_dword v28, off, s[0:3], 0 offset:772
	;; [unrolled: 1-line block ×3, first 2 shown]
	s_waitcnt vmcnt(58) lgkmcnt(0)
	v_mul_f64 v[87:88], v[9:10], v[65:66]
	v_mul_f64 v[65:66], v[11:12], v[65:66]
	ds_read_b128 v[5:8], v60 offset:1392
	s_waitcnt vmcnt(56)
	v_fma_f64 v[23:24], v[1:2], v[33:34], -v[23:24]
	v_fma_f64 v[33:34], v[3:4], v[33:34], v[112:113]
	v_add_f64 v[13:14], v[13:14], v[37:38]
	v_add_f64 v[15:16], v[15:16], v[17:18]
	s_clause 0x4
	buffer_load_dword v18, off, s[0:3], 0 offset:812
	buffer_load_dword v37, off, s[0:3], 0 offset:824
	;; [unrolled: 1-line block ×5, first 2 shown]
	ds_read_b128 v[1:4], v60 offset:1408
	s_waitcnt vmcnt(57) lgkmcnt(1)
	v_mul_f64 v[112:113], v[5:6], v[29:30]
	v_mul_f64 v[29:30], v[7:8], v[29:30]
	s_waitcnt vmcnt(56)
	v_fma_f64 v[65:66], v[9:10], v[67:68], -v[65:66]
	v_add_f64 v[13:14], v[13:14], v[23:24]
	v_fma_f64 v[23:24], v[11:12], v[67:68], v[87:88]
	v_add_f64 v[15:16], v[15:16], v[33:34]
	s_clause 0x2
	buffer_load_dword v38, off, s[0:3], 0 offset:828
	buffer_load_dword v34, off, s[0:3], 0 offset:804
	;; [unrolled: 1-line block ×3, first 2 shown]
	ds_read_b128 v[9:12], v60 offset:1424
	s_waitcnt vmcnt(58) lgkmcnt(1)
	v_mul_f64 v[67:68], v[1:2], v[73:74]
	v_mul_f64 v[73:74], v[3:4], v[73:74]
	s_waitcnt vmcnt(56)
	v_fma_f64 v[29:30], v[5:6], v[31:32], -v[29:30]
	v_fma_f64 v[31:32], v[7:8], v[31:32], v[112:113]
	v_add_f64 v[13:14], v[13:14], v[65:66]
	v_add_f64 v[15:16], v[15:16], v[23:24]
	s_clause 0x2
	buffer_load_dword v24, off, s[0:3], 0 offset:844
	buffer_load_dword v23, off, s[0:3], 0 offset:840
	;; [unrolled: 1-line block ×3, first 2 shown]
	ds_read_b128 v[5:8], v60 offset:1440
	s_waitcnt vmcnt(55) lgkmcnt(1)
	v_mul_f64 v[65:66], v[9:10], v[35:36]
	v_mul_f64 v[35:36], v[11:12], v[35:36]
	s_waitcnt vmcnt(54)
	v_fma_f64 v[73:74], v[1:2], v[75:76], -v[73:74]
	v_add_f64 v[13:14], v[13:14], v[29:30]
	v_fma_f64 v[29:30], v[3:4], v[75:76], v[67:68]
	v_add_f64 v[15:16], v[15:16], v[31:32]
	s_clause 0x1
	buffer_load_dword v32, off, s[0:3], 0 offset:836
	buffer_load_dword v31, off, s[0:3], 0 offset:832
	ds_read_b128 v[1:4], v60 offset:1456
	s_waitcnt vmcnt(55) lgkmcnt(1)
	v_mul_f64 v[75:76], v[7:8], v[79:80]
	v_mul_f64 v[67:68], v[5:6], v[79:80]
	s_waitcnt vmcnt(53)
	v_fma_f64 v[35:36], v[9:10], v[58:59], -v[35:36]
	v_fma_f64 v[58:59], v[11:12], v[58:59], v[65:66]
	ds_read_b128 v[9:12], v60 offset:1472
	v_add_f64 v[13:14], v[13:14], v[73:74]
	v_add_f64 v[15:16], v[15:16], v[29:30]
	s_waitcnt vmcnt(49) lgkmcnt(1)
	v_mul_f64 v[29:30], v[1:2], v[63:64]
	v_mul_f64 v[63:64], v[3:4], v[63:64]
	s_waitcnt vmcnt(48)
	v_fma_f64 v[65:66], v[5:6], v[81:82], -v[75:76]
	v_add_f64 v[13:14], v[13:14], v[35:36]
	v_fma_f64 v[35:36], v[7:8], v[81:82], v[67:68]
	v_add_f64 v[15:16], v[15:16], v[58:59]
	s_clause 0x3
	buffer_load_dword v58, off, s[0:3], 0 offset:128
	buffer_load_dword v59, off, s[0:3], 0 offset:132
	;; [unrolled: 1-line block ×4, first 2 shown]
	ds_read_b128 v[5:8], v60 offset:1488
	s_waitcnt vmcnt(51) lgkmcnt(1)
	v_mul_f64 v[75:76], v[11:12], v[99:100]
	v_mul_f64 v[73:74], v[9:10], v[99:100]
	s_waitcnt vmcnt(49)
	v_fma_f64 v[63:64], v[1:2], v[69:70], -v[63:64]
	v_fma_f64 v[29:30], v[3:4], v[69:70], v[29:30]
	ds_read_b128 v[1:4], v60 offset:1504
	v_add_f64 v[13:14], v[13:14], v[65:66]
	v_add_f64 v[15:16], v[15:16], v[35:36]
	s_waitcnt vmcnt(45) lgkmcnt(1)
	v_mul_f64 v[65:66], v[7:8], v[71:72]
	s_waitcnt vmcnt(44)
	v_fma_f64 v[69:70], v[9:10], v[103:104], -v[75:76]
	v_mul_f64 v[35:36], v[5:6], v[71:72]
	v_add_f64 v[13:14], v[13:14], v[63:64]
	v_fma_f64 v[63:64], v[11:12], v[103:104], v[73:74]
	v_add_f64 v[15:16], v[15:16], v[29:30]
	ds_read_b128 v[9:12], v60 offset:1520
	s_waitcnt vmcnt(43) lgkmcnt(1)
	v_mul_f64 v[71:72], v[3:4], v[89:90]
	v_mul_f64 v[29:30], v[1:2], v[89:90]
	s_waitcnt vmcnt(41)
	v_fma_f64 v[65:66], v[5:6], v[77:78], -v[65:66]
	v_fma_f64 v[35:36], v[7:8], v[77:78], v[35:36]
	ds_read_b128 v[5:8], v60 offset:1536
	v_add_f64 v[13:14], v[13:14], v[69:70]
	v_add_f64 v[15:16], v[15:16], v[63:64]
	s_waitcnt vmcnt(37) lgkmcnt(1)
	v_mul_f64 v[69:70], v[11:12], v[95:96]
	s_waitcnt vmcnt(36)
	v_fma_f64 v[71:72], v[1:2], v[108:109], -v[71:72]
	v_mul_f64 v[63:64], v[9:10], v[95:96]
	v_fma_f64 v[29:30], v[3:4], v[108:109], v[29:30]
	ds_read_b128 v[1:4], v60 offset:1552
	v_add_f64 v[13:14], v[13:14], v[65:66]
	v_add_f64 v[15:16], v[15:16], v[35:36]
	s_waitcnt vmcnt(35) lgkmcnt(1)
	v_mul_f64 v[65:66], v[7:8], v[101:102]
	v_mul_f64 v[35:36], v[5:6], v[101:102]
	s_waitcnt vmcnt(33)
	v_fma_f64 v[69:70], v[9:10], v[19:20], -v[69:70]
	v_fma_f64 v[19:20], v[11:12], v[19:20], v[63:64]
	ds_read_b128 v[9:12], v60 offset:1568
	v_add_f64 v[13:14], v[13:14], v[71:72]
	v_add_f64 v[15:16], v[15:16], v[29:30]
	s_waitcnt vmcnt(29) lgkmcnt(1)
	v_mul_f64 v[29:30], v[1:2], v[25:26]
	v_mul_f64 v[25:26], v[3:4], v[25:26]
	s_waitcnt vmcnt(28)
	v_fma_f64 v[63:64], v[5:6], v[105:106], -v[65:66]
	;; [unrolled: 9-line block ×3, first 2 shown]
	v_fma_f64 v[21:22], v[3:4], v[21:22], v[29:30]
	ds_read_b128 v[1:4], v60 offset:1600
	v_add_f64 v[13:14], v[13:14], v[63:64]
	v_add_f64 v[15:16], v[15:16], v[35:36]
	s_waitcnt vmcnt(21) lgkmcnt(1)
	v_mul_f64 v[35:36], v[7:8], v[83:84]
	s_waitcnt vmcnt(20)
	v_fma_f64 v[63:64], v[9:10], v[110:111], -v[65:66]
	v_mul_f64 v[29:30], v[5:6], v[83:84]
	v_fma_f64 v[19:20], v[11:12], v[110:111], v[19:20]
	ds_read_b128 v[9:12], v60 offset:1616
	v_add_f64 v[13:14], v[13:14], v[25:26]
	v_add_f64 v[15:16], v[15:16], v[21:22]
	s_waitcnt vmcnt(19) lgkmcnt(1)
	v_mul_f64 v[25:26], v[3:4], v[85:86]
	v_mul_f64 v[21:22], v[1:2], v[85:86]
	s_waitcnt vmcnt(17)
	v_fma_f64 v[35:36], v[5:6], v[27:28], -v[35:36]
	v_fma_f64 v[27:28], v[7:8], v[27:28], v[29:30]
	ds_read_b128 v[5:8], v60 offset:1632
	v_add_f64 v[13:14], v[13:14], v[63:64]
	v_add_f64 v[15:16], v[15:16], v[19:20]
	s_waitcnt vmcnt(13) lgkmcnt(1)
	v_mul_f64 v[19:20], v[9:10], v[17:18]
	v_mul_f64 v[17:18], v[11:12], v[17:18]
	s_waitcnt vmcnt(12)
	v_fma_f64 v[25:26], v[1:2], v[97:98], -v[25:26]
	v_fma_f64 v[21:22], v[3:4], v[97:98], v[21:22]
	ds_read_b128 v[1:4], v60 offset:1648
	v_add_f64 v[13:14], v[13:14], v[35:36]
	v_add_f64 v[15:16], v[15:16], v[27:28]
	s_waitcnt vmcnt(11) lgkmcnt(1)
	v_mul_f64 v[29:30], v[7:8], v[37:38]
	v_mul_f64 v[27:28], v[5:6], v[37:38]
	s_waitcnt vmcnt(9)
	v_fma_f64 v[9:10], v[9:10], v[33:34], -v[17:18]
	v_fma_f64 v[11:12], v[11:12], v[33:34], v[19:20]
	v_add_f64 v[13:14], v[13:14], v[25:26]
	v_add_f64 v[15:16], v[15:16], v[21:22]
	s_waitcnt vmcnt(7) lgkmcnt(0)
	v_mul_f64 v[19:20], v[3:4], v[23:24]
	s_waitcnt vmcnt(6)
	v_fma_f64 v[5:6], v[5:6], v[93:94], -v[29:30]
	v_mul_f64 v[17:18], v[1:2], v[23:24]
	v_fma_f64 v[7:8], v[7:8], v[93:94], v[27:28]
	v_add_f64 v[9:10], v[13:14], v[9:10]
	v_add_f64 v[11:12], v[15:16], v[11:12]
	s_waitcnt vmcnt(4)
	v_fma_f64 v[1:2], v[1:2], v[31:32], -v[19:20]
	v_fma_f64 v[3:4], v[3:4], v[31:32], v[17:18]
	v_add_f64 v[5:6], v[9:10], v[5:6]
	v_add_f64 v[7:8], v[11:12], v[7:8]
	;; [unrolled: 1-line block ×4, first 2 shown]
	s_waitcnt vmcnt(2)
	v_add_f64 v[1:2], v[58:59], -v[1:2]
	s_waitcnt vmcnt(0)
	v_add_f64 v[3:4], v[67:68], -v[3:4]
	buffer_store_dword v2, off, s[0:3], 0 offset:132
	buffer_store_dword v1, off, s[0:3], 0 offset:128
	;; [unrolled: 1-line block ×4, first 2 shown]
	v_cmpx_lt_u32_e32 6, v0
	s_cbranch_execz .LBB51_313
; %bb.312:
	v_mov_b32_e32 v4, s58
	v_mov_b32_e32 v5, 0
	s_clause 0x3
	buffer_load_dword v1, v4, s[0:3], 0 offen
	buffer_load_dword v2, v4, s[0:3], 0 offen offset:4
	buffer_load_dword v3, v4, s[0:3], 0 offen offset:8
	;; [unrolled: 1-line block ×3, first 2 shown]
	buffer_store_dword v5, off, s[0:3], 0 offset:112
	buffer_store_dword v5, off, s[0:3], 0 offset:116
	;; [unrolled: 1-line block ×4, first 2 shown]
	s_waitcnt vmcnt(0)
	ds_write_b128 v39, v[1:4]
.LBB51_313:
	s_or_b32 exec_lo, exec_lo, s4
	s_waitcnt lgkmcnt(0)
	s_waitcnt_vscnt null, 0x0
	s_barrier
	buffer_gl0_inv
	s_clause 0x37
	buffer_load_dword v13, off, s[0:3], 0 offset:136
	buffer_load_dword v14, off, s[0:3], 0 offset:140
	;; [unrolled: 1-line block ×56, first 2 shown]
	v_mov_b32_e32 v60, 0
	s_mov_b32 s4, exec_lo
	ds_read_b128 v[87:90], v60 offset:944
	s_clause 0x2
	buffer_load_dword v84, off, s[0:3], 0 offset:364
	buffer_load_dword v86, off, s[0:3], 0 offset:340
	;; [unrolled: 1-line block ×3, first 2 shown]
	ds_read_b128 v[1:4], v60 offset:960
	s_clause 0x4
	buffer_load_dword v98, off, s[0:3], 0 offset:380
	buffer_load_dword v99, off, s[0:3], 0 offset:392
	buffer_load_dword v101, off, s[0:3], 0 offset:384
	buffer_load_dword v97, off, s[0:3], 0 offset:376
	buffer_load_dword v76, off, s[0:3], 0 offset:356
	ds_read_b128 v[91:94], v60 offset:976
	s_waitcnt vmcnt(62) lgkmcnt(2)
	v_mul_f64 v[95:96], v[89:90], v[13:14]
	v_mul_f64 v[13:14], v[87:88], v[13:14]
	s_waitcnt vmcnt(60) lgkmcnt(1)
	v_mul_f64 v[102:103], v[3:4], v[9:10]
	s_waitcnt vmcnt(56) lgkmcnt(0)
	v_mul_f64 v[104:105], v[91:92], v[7:8]
	v_mul_f64 v[7:8], v[93:94], v[7:8]
	v_fma_f64 v[87:88], v[87:88], v[11:12], -v[95:96]
	v_mul_f64 v[95:96], v[1:2], v[9:10]
	v_fma_f64 v[13:14], v[89:90], v[11:12], v[13:14]
	s_clause 0x2
	buffer_load_dword v100, off, s[0:3], 0 offset:396
	buffer_load_dword v90, off, s[0:3], 0 offset:372
	;; [unrolled: 1-line block ×3, first 2 shown]
	s_waitcnt vmcnt(57)
	v_fma_f64 v[106:107], v[1:2], v[5:6], -v[102:103]
	ds_read_b128 v[9:12], v60 offset:992
	s_waitcnt vmcnt(51)
	v_fma_f64 v[91:92], v[91:92], v[29:30], -v[7:8]
	v_fma_f64 v[29:30], v[93:94], v[29:30], v[104:105]
	v_add_f64 v[87:88], v[87:88], 0
	v_fma_f64 v[5:6], v[3:4], v[5:6], v[95:96]
	v_add_f64 v[13:14], v[13:14], 0
	s_clause 0x4
	buffer_load_dword v96, off, s[0:3], 0 offset:412
	buffer_load_dword v103, off, s[0:3], 0 offset:424
	;; [unrolled: 1-line block ×5, first 2 shown]
	s_waitcnt lgkmcnt(0)
	v_mul_f64 v[109:110], v[9:10], v[17:18]
	v_mul_f64 v[17:18], v[11:12], v[17:18]
	ds_read_b128 v[1:4], v60 offset:1008
	s_clause 0x2
	buffer_load_dword v104, off, s[0:3], 0 offset:428
	buffer_load_dword v94, off, s[0:3], 0 offset:404
	;; [unrolled: 1-line block ×3, first 2 shown]
	v_add_f64 v[87:88], v[87:88], v[106:107]
	v_add_f64 v[13:14], v[13:14], v[5:6]
	ds_read_b128 v[5:8], v60 offset:1024
	s_waitcnt vmcnt(58) lgkmcnt(1)
	v_mul_f64 v[105:106], v[1:2], v[21:22]
	v_mul_f64 v[21:22], v[3:4], v[21:22]
	s_waitcnt vmcnt(56)
	v_fma_f64 v[17:18], v[9:10], v[23:24], -v[17:18]
	v_fma_f64 v[23:24], v[11:12], v[23:24], v[109:110]
	v_add_f64 v[87:88], v[87:88], v[91:92]
	s_waitcnt vmcnt(52) lgkmcnt(0)
	v_mul_f64 v[111:112], v[5:6], v[25:26]
	v_add_f64 v[13:14], v[13:14], v[29:30]
	s_clause 0x4
	buffer_load_dword v30, off, s[0:3], 0 offset:444
	buffer_load_dword v91, off, s[0:3], 0 offset:456
	;; [unrolled: 1-line block ×5, first 2 shown]
	v_mul_f64 v[25:26], v[7:8], v[25:26]
	s_waitcnt vmcnt(56)
	v_fma_f64 v[21:22], v[1:2], v[15:16], -v[21:22]
	ds_read_b128 v[9:12], v60 offset:1040
	v_fma_f64 v[15:16], v[3:4], v[15:16], v[105:106]
	v_add_f64 v[17:18], v[87:88], v[17:18]
	v_add_f64 v[13:14], v[13:14], v[23:24]
	s_clause 0x2
	buffer_load_dword v92, off, s[0:3], 0 offset:460
	buffer_load_dword v24, off, s[0:3], 0 offset:436
	;; [unrolled: 1-line block ×3, first 2 shown]
	s_waitcnt vmcnt(58) lgkmcnt(0)
	v_mul_f64 v[87:88], v[9:10], v[31:32]
	v_mul_f64 v[31:32], v[11:12], v[31:32]
	s_waitcnt vmcnt(56)
	v_fma_f64 v[25:26], v[5:6], v[33:34], -v[25:26]
	ds_read_b128 v[1:4], v60 offset:1056
	v_add_f64 v[17:18], v[17:18], v[21:22]
	v_fma_f64 v[21:22], v[7:8], v[33:34], v[111:112]
	v_add_f64 v[13:14], v[13:14], v[15:16]
	s_clause 0x4
	buffer_load_dword v16, off, s[0:3], 0 offset:476
	buffer_load_dword v33, off, s[0:3], 0 offset:488
	;; [unrolled: 1-line block ×5, first 2 shown]
	ds_read_b128 v[5:8], v60 offset:1072
	s_waitcnt vmcnt(57) lgkmcnt(1)
	v_mul_f64 v[106:107], v[1:2], v[35:36]
	v_mul_f64 v[35:36], v[3:4], v[35:36]
	s_waitcnt vmcnt(56)
	v_fma_f64 v[31:32], v[9:10], v[19:20], -v[31:32]
	v_fma_f64 v[19:20], v[11:12], v[19:20], v[87:88]
	v_add_f64 v[17:18], v[17:18], v[25:26]
	v_add_f64 v[13:14], v[13:14], v[21:22]
	s_clause 0x2
	buffer_load_dword v34, off, s[0:3], 0 offset:492
	buffer_load_dword v22, off, s[0:3], 0 offset:468
	;; [unrolled: 1-line block ×3, first 2 shown]
	s_waitcnt vmcnt(58) lgkmcnt(0)
	v_mul_f64 v[25:26], v[5:6], v[58:59]
	v_mul_f64 v[58:59], v[7:8], v[58:59]
	s_waitcnt vmcnt(56)
	v_fma_f64 v[35:36], v[1:2], v[63:64], -v[35:36]
	ds_read_b128 v[9:12], v60 offset:1088
	v_add_f64 v[17:18], v[17:18], v[31:32]
	v_fma_f64 v[31:32], v[3:4], v[63:64], v[106:107]
	v_add_f64 v[13:14], v[13:14], v[19:20]
	s_clause 0x4
	buffer_load_dword v20, off, s[0:3], 0 offset:508
	buffer_load_dword v63, off, s[0:3], 0 offset:520
	;; [unrolled: 1-line block ×5, first 2 shown]
	ds_read_b128 v[1:4], v60 offset:1104
	s_waitcnt vmcnt(57) lgkmcnt(1)
	v_mul_f64 v[112:113], v[9:10], v[65:66]
	v_mul_f64 v[65:66], v[11:12], v[65:66]
	s_waitcnt vmcnt(56)
	v_fma_f64 v[58:59], v[5:6], v[27:28], -v[58:59]
	v_fma_f64 v[25:26], v[7:8], v[27:28], v[25:26]
	s_clause 0x2
	buffer_load_dword v64, off, s[0:3], 0 offset:524
	buffer_load_dword v28, off, s[0:3], 0 offset:500
	;; [unrolled: 1-line block ×3, first 2 shown]
	ds_read_b128 v[5:8], v60 offset:1120
	v_add_f64 v[17:18], v[17:18], v[35:36]
	v_add_f64 v[13:14], v[13:14], v[31:32]
	s_waitcnt vmcnt(58) lgkmcnt(1)
	v_mul_f64 v[35:36], v[3:4], v[69:70]
	v_mul_f64 v[31:32], v[1:2], v[69:70]
	s_waitcnt vmcnt(56)
	v_fma_f64 v[65:66], v[9:10], v[71:72], -v[65:66]
	v_add_f64 v[17:18], v[17:18], v[58:59]
	v_fma_f64 v[58:59], v[11:12], v[71:72], v[112:113]
	v_add_f64 v[13:14], v[13:14], v[25:26]
	s_clause 0x4
	buffer_load_dword v26, off, s[0:3], 0 offset:540
	buffer_load_dword v69, off, s[0:3], 0 offset:552
	;; [unrolled: 1-line block ×5, first 2 shown]
	s_waitcnt vmcnt(57) lgkmcnt(0)
	v_mul_f64 v[112:113], v[5:6], v[73:74]
	v_mul_f64 v[72:73], v[7:8], v[73:74]
	s_waitcnt vmcnt(56)
	v_fma_f64 v[35:36], v[1:2], v[37:38], -v[35:36]
	ds_read_b128 v[9:12], v60 offset:1136
	v_fma_f64 v[31:32], v[3:4], v[37:38], v[31:32]
	s_clause 0x2
	buffer_load_dword v70, off, s[0:3], 0 offset:556
	buffer_load_dword v38, off, s[0:3], 0 offset:532
	;; [unrolled: 1-line block ×3, first 2 shown]
	ds_read_b128 v[1:4], v60 offset:1152
	v_add_f64 v[17:18], v[17:18], v[65:66]
	v_add_f64 v[13:14], v[13:14], v[58:59]
	s_waitcnt vmcnt(58) lgkmcnt(1)
	v_mul_f64 v[65:66], v[11:12], v[77:78]
	s_waitcnt vmcnt(56)
	v_fma_f64 v[73:74], v[5:6], v[79:80], -v[72:73]
	v_mul_f64 v[58:59], v[9:10], v[77:78]
	v_add_f64 v[17:18], v[17:18], v[35:36]
	v_fma_f64 v[35:36], v[7:8], v[79:80], v[112:113]
	v_add_f64 v[13:14], v[13:14], v[31:32]
	s_clause 0x4
	buffer_load_dword v32, off, s[0:3], 0 offset:572
	buffer_load_dword v77, off, s[0:3], 0 offset:584
	buffer_load_dword v79, off, s[0:3], 0 offset:576
	buffer_load_dword v31, off, s[0:3], 0 offset:568
	buffer_load_dword v72, off, s[0:3], 0 offset:548
	s_waitcnt vmcnt(57) lgkmcnt(0)
	v_mul_f64 v[112:113], v[1:2], v[81:82]
	v_mul_f64 v[80:81], v[3:4], v[81:82]
	s_waitcnt vmcnt(56)
	v_fma_f64 v[65:66], v[9:10], v[67:68], -v[65:66]
	ds_read_b128 v[5:8], v60 offset:1168
	v_fma_f64 v[58:59], v[11:12], v[67:68], v[58:59]
	v_add_f64 v[17:18], v[17:18], v[73:74]
	v_add_f64 v[13:14], v[13:14], v[35:36]
	s_clause 0x2
	buffer_load_dword v78, off, s[0:3], 0 offset:588
	buffer_load_dword v36, off, s[0:3], 0 offset:564
	;; [unrolled: 1-line block ×3, first 2 shown]
	ds_read_b128 v[9:12], v60 offset:1184
	s_waitcnt vmcnt(58) lgkmcnt(1)
	v_mul_f64 v[73:74], v[7:8], v[83:84]
	s_waitcnt vmcnt(56)
	v_fma_f64 v[81:82], v[1:2], v[85:86], -v[80:81]
	v_mul_f64 v[67:68], v[5:6], v[83:84]
	v_add_f64 v[17:18], v[17:18], v[65:66]
	v_fma_f64 v[65:66], v[3:4], v[85:86], v[112:113]
	v_add_f64 v[13:14], v[13:14], v[58:59]
	s_clause 0x4
	buffer_load_dword v59, off, s[0:3], 0 offset:604
	buffer_load_dword v83, off, s[0:3], 0 offset:616
	;; [unrolled: 1-line block ×5, first 2 shown]
	s_waitcnt vmcnt(57) lgkmcnt(0)
	v_mul_f64 v[112:113], v[9:10], v[97:98]
	v_mul_f64 v[97:98], v[11:12], v[97:98]
	s_waitcnt vmcnt(56)
	v_fma_f64 v[73:74], v[5:6], v[75:76], -v[73:74]
	ds_read_b128 v[1:4], v60 offset:1200
	v_fma_f64 v[67:68], v[7:8], v[75:76], v[67:68]
	v_add_f64 v[17:18], v[17:18], v[81:82]
	v_add_f64 v[13:14], v[13:14], v[65:66]
	s_clause 0x2
	buffer_load_dword v84, off, s[0:3], 0 offset:620
	buffer_load_dword v66, off, s[0:3], 0 offset:596
	;; [unrolled: 1-line block ×3, first 2 shown]
	ds_read_b128 v[5:8], v60 offset:1216
	s_waitcnt vmcnt(58) lgkmcnt(1)
	v_mul_f64 v[81:82], v[3:4], v[99:100]
	v_mul_f64 v[75:76], v[1:2], v[99:100]
	s_waitcnt vmcnt(56)
	v_fma_f64 v[97:98], v[9:10], v[89:90], -v[97:98]
	v_add_f64 v[17:18], v[17:18], v[73:74]
	v_fma_f64 v[73:74], v[11:12], v[89:90], v[112:113]
	v_add_f64 v[13:14], v[13:14], v[67:68]
	s_clause 0x4
	buffer_load_dword v68, off, s[0:3], 0 offset:636
	buffer_load_dword v89, off, s[0:3], 0 offset:648
	;; [unrolled: 1-line block ×5, first 2 shown]
	ds_read_b128 v[9:12], v60 offset:1232
	s_waitcnt vmcnt(57) lgkmcnt(1)
	v_mul_f64 v[112:113], v[5:6], v[95:96]
	v_mul_f64 v[95:96], v[7:8], v[95:96]
	s_waitcnt vmcnt(56)
	v_fma_f64 v[81:82], v[1:2], v[101:102], -v[81:82]
	v_fma_f64 v[75:76], v[3:4], v[101:102], v[75:76]
	v_add_f64 v[17:18], v[17:18], v[97:98]
	v_add_f64 v[13:14], v[13:14], v[73:74]
	s_clause 0x2
	buffer_load_dword v90, off, s[0:3], 0 offset:652
	buffer_load_dword v74, off, s[0:3], 0 offset:628
	;; [unrolled: 1-line block ×3, first 2 shown]
	s_waitcnt vmcnt(58) lgkmcnt(0)
	v_mul_f64 v[101:102], v[11:12], v[103:104]
	ds_read_b128 v[1:4], v60 offset:1248
	v_mul_f64 v[97:98], v[9:10], v[103:104]
	s_waitcnt vmcnt(56)
	v_fma_f64 v[95:96], v[5:6], v[93:94], -v[95:96]
	v_add_f64 v[17:18], v[17:18], v[81:82]
	v_fma_f64 v[81:82], v[7:8], v[93:94], v[112:113]
	v_add_f64 v[13:14], v[13:14], v[75:76]
	s_clause 0x4
	buffer_load_dword v76, off, s[0:3], 0 offset:668
	buffer_load_dword v93, off, s[0:3], 0 offset:680
	;; [unrolled: 1-line block ×5, first 2 shown]
	ds_read_b128 v[5:8], v60 offset:1264
	s_waitcnt vmcnt(57) lgkmcnt(1)
	v_mul_f64 v[112:113], v[1:2], v[29:30]
	v_mul_f64 v[29:30], v[3:4], v[29:30]
	s_waitcnt vmcnt(56)
	v_fma_f64 v[101:102], v[9:10], v[108:109], -v[101:102]
	v_add_f64 v[17:18], v[17:18], v[95:96]
	v_fma_f64 v[95:96], v[11:12], v[108:109], v[97:98]
	v_add_f64 v[13:14], v[13:14], v[81:82]
	s_clause 0x2
	buffer_load_dword v94, off, s[0:3], 0 offset:684
	buffer_load_dword v82, off, s[0:3], 0 offset:660
	;; [unrolled: 1-line block ×3, first 2 shown]
	ds_read_b128 v[9:12], v60 offset:1280
	s_waitcnt vmcnt(58) lgkmcnt(1)
	v_mul_f64 v[97:98], v[5:6], v[91:92]
	v_mul_f64 v[91:92], v[7:8], v[91:92]
	s_waitcnt vmcnt(56)
	v_fma_f64 v[29:30], v[1:2], v[23:24], -v[29:30]
	v_fma_f64 v[23:24], v[3:4], v[23:24], v[112:113]
	v_add_f64 v[17:18], v[17:18], v[101:102]
	v_add_f64 v[13:14], v[13:14], v[95:96]
	s_clause 0x4
	buffer_load_dword v96, off, s[0:3], 0 offset:700
	buffer_load_dword v101, off, s[0:3], 0 offset:712
	buffer_load_dword v107, off, s[0:3], 0 offset:704
	buffer_load_dword v95, off, s[0:3], 0 offset:696
	buffer_load_dword v104, off, s[0:3], 0 offset:676
	ds_read_b128 v[1:4], v60 offset:1296
	s_waitcnt vmcnt(57) lgkmcnt(1)
	v_mul_f64 v[108:109], v[9:10], v[15:16]
	v_mul_f64 v[15:16], v[11:12], v[15:16]
	s_waitcnt vmcnt(56)
	v_fma_f64 v[91:92], v[5:6], v[110:111], -v[91:92]
	v_add_f64 v[17:18], v[17:18], v[29:30]
	v_fma_f64 v[29:30], v[7:8], v[110:111], v[97:98]
	v_add_f64 v[13:14], v[13:14], v[23:24]
	s_clause 0x2
	buffer_load_dword v102, off, s[0:3], 0 offset:716
	buffer_load_dword v24, off, s[0:3], 0 offset:692
	;; [unrolled: 1-line block ×3, first 2 shown]
	ds_read_b128 v[5:8], v60 offset:1312
	s_waitcnt vmcnt(58) lgkmcnt(1)
	v_mul_f64 v[97:98], v[1:2], v[33:34]
	v_mul_f64 v[33:34], v[3:4], v[33:34]
	s_waitcnt vmcnt(56)
	v_fma_f64 v[15:16], v[9:10], v[21:22], -v[15:16]
	v_fma_f64 v[21:22], v[11:12], v[21:22], v[108:109]
	v_add_f64 v[17:18], v[17:18], v[91:92]
	v_add_f64 v[13:14], v[13:14], v[29:30]
	s_clause 0x4
	buffer_load_dword v30, off, s[0:3], 0 offset:732
	buffer_load_dword v91, off, s[0:3], 0 offset:744
	;; [unrolled: 1-line block ×5, first 2 shown]
	ds_read_b128 v[9:12], v60 offset:1328
	s_waitcnt vmcnt(57) lgkmcnt(1)
	v_mul_f64 v[110:111], v[5:6], v[19:20]
	v_mul_f64 v[19:20], v[7:8], v[19:20]
	s_waitcnt vmcnt(56)
	v_fma_f64 v[33:34], v[1:2], v[105:106], -v[33:34]
	v_add_f64 v[15:16], v[17:18], v[15:16]
	v_fma_f64 v[17:18], v[3:4], v[105:106], v[97:98]
	v_add_f64 v[13:14], v[13:14], v[21:22]
	s_clause 0x2
	buffer_load_dword v92, off, s[0:3], 0 offset:748
	buffer_load_dword v22, off, s[0:3], 0 offset:724
	;; [unrolled: 1-line block ×3, first 2 shown]
	s_waitcnt vmcnt(58) lgkmcnt(0)
	v_mul_f64 v[97:98], v[9:10], v[63:64]
	v_mul_f64 v[63:64], v[11:12], v[63:64]
	ds_read_b128 v[1:4], v60 offset:1344
	s_waitcnt vmcnt(56)
	v_fma_f64 v[19:20], v[5:6], v[27:28], -v[19:20]
	v_fma_f64 v[27:28], v[7:8], v[27:28], v[110:111]
	v_add_f64 v[15:16], v[15:16], v[33:34]
	v_add_f64 v[13:14], v[13:14], v[17:18]
	s_clause 0x4
	buffer_load_dword v18, off, s[0:3], 0 offset:764
	buffer_load_dword v33, off, s[0:3], 0 offset:776
	;; [unrolled: 1-line block ×5, first 2 shown]
	ds_read_b128 v[5:8], v60 offset:1360
	s_waitcnt vmcnt(57) lgkmcnt(1)
	v_mul_f64 v[111:112], v[1:2], v[25:26]
	v_mul_f64 v[25:26], v[3:4], v[25:26]
	s_waitcnt vmcnt(56)
	v_fma_f64 v[63:64], v[9:10], v[87:88], -v[63:64]
	v_add_f64 v[15:16], v[15:16], v[19:20]
	v_fma_f64 v[19:20], v[11:12], v[87:88], v[97:98]
	v_add_f64 v[13:14], v[13:14], v[27:28]
	s_clause 0x2
	buffer_load_dword v34, off, s[0:3], 0 offset:780
	buffer_load_dword v28, off, s[0:3], 0 offset:756
	;; [unrolled: 1-line block ×3, first 2 shown]
	s_waitcnt vmcnt(58) lgkmcnt(0)
	v_mul_f64 v[87:88], v[5:6], v[69:70]
	v_mul_f64 v[69:70], v[7:8], v[69:70]
	ds_read_b128 v[9:12], v60 offset:1376
	s_waitcnt vmcnt(56)
	v_fma_f64 v[25:26], v[1:2], v[37:38], -v[25:26]
	v_fma_f64 v[37:38], v[3:4], v[37:38], v[111:112]
	v_add_f64 v[15:16], v[15:16], v[63:64]
	v_add_f64 v[13:14], v[13:14], v[19:20]
	s_clause 0x4
	buffer_load_dword v20, off, s[0:3], 0 offset:796
	buffer_load_dword v63, off, s[0:3], 0 offset:808
	;; [unrolled: 1-line block ×5, first 2 shown]
	ds_read_b128 v[1:4], v60 offset:1392
	s_waitcnt vmcnt(57) lgkmcnt(1)
	v_mul_f64 v[111:112], v[9:10], v[31:32]
	v_mul_f64 v[31:32], v[11:12], v[31:32]
	s_waitcnt vmcnt(56)
	v_fma_f64 v[69:70], v[5:6], v[71:72], -v[69:70]
	v_add_f64 v[15:16], v[15:16], v[25:26]
	v_fma_f64 v[25:26], v[7:8], v[71:72], v[87:88]
	v_add_f64 v[13:14], v[13:14], v[37:38]
	s_clause 0x2
	buffer_load_dword v64, off, s[0:3], 0 offset:812
	buffer_load_dword v38, off, s[0:3], 0 offset:788
	;; [unrolled: 1-line block ×3, first 2 shown]
	ds_read_b128 v[5:8], v60 offset:1408
	s_waitcnt vmcnt(58) lgkmcnt(1)
	v_mul_f64 v[71:72], v[1:2], v[77:78]
	v_mul_f64 v[77:78], v[3:4], v[77:78]
	s_waitcnt vmcnt(56)
	v_fma_f64 v[31:32], v[9:10], v[35:36], -v[31:32]
	v_fma_f64 v[35:36], v[11:12], v[35:36], v[111:112]
	v_add_f64 v[15:16], v[15:16], v[69:70]
	v_add_f64 v[13:14], v[13:14], v[25:26]
	s_clause 0x4
	buffer_load_dword v26, off, s[0:3], 0 offset:828
	buffer_load_dword v69, off, s[0:3], 0 offset:840
	;; [unrolled: 1-line block ×5, first 2 shown]
	ds_read_b128 v[9:12], v60 offset:1424
	s_waitcnt vmcnt(57) lgkmcnt(1)
	v_mul_f64 v[111:112], v[5:6], v[58:59]
	v_mul_f64 v[58:59], v[7:8], v[58:59]
	s_waitcnt vmcnt(56)
	v_fma_f64 v[77:78], v[1:2], v[79:80], -v[77:78]
	v_add_f64 v[15:16], v[15:16], v[31:32]
	v_fma_f64 v[31:32], v[3:4], v[79:80], v[71:72]
	v_add_f64 v[13:14], v[13:14], v[35:36]
	s_clause 0x2
	buffer_load_dword v70, off, s[0:3], 0 offset:844
	buffer_load_dword v36, off, s[0:3], 0 offset:820
	;; [unrolled: 1-line block ×3, first 2 shown]
	ds_read_b128 v[1:4], v60 offset:1440
	buffer_load_dword v88, off, s[0:3], 0 offset:836
	s_waitcnt vmcnt(59) lgkmcnt(1)
	v_mul_f64 v[79:80], v[11:12], v[83:84]
	v_mul_f64 v[71:72], v[9:10], v[83:84]
	s_waitcnt vmcnt(57)
	v_fma_f64 v[58:59], v[5:6], v[65:66], -v[58:59]
	v_fma_f64 v[65:66], v[7:8], v[65:66], v[111:112]
	ds_read_b128 v[5:8], v60 offset:1456
	v_add_f64 v[15:16], v[15:16], v[77:78]
	v_add_f64 v[13:14], v[13:14], v[31:32]
	s_waitcnt vmcnt(53) lgkmcnt(1)
	v_mul_f64 v[31:32], v[1:2], v[67:68]
	v_mul_f64 v[67:68], v[3:4], v[67:68]
	s_waitcnt vmcnt(52)
	v_fma_f64 v[77:78], v[9:10], v[85:86], -v[79:80]
	v_add_f64 v[15:16], v[15:16], v[58:59]
	v_fma_f64 v[58:59], v[11:12], v[85:86], v[71:72]
	v_add_f64 v[13:14], v[13:14], v[65:66]
	ds_read_b128 v[9:12], v60 offset:1472
	s_waitcnt vmcnt(51) lgkmcnt(1)
	v_mul_f64 v[71:72], v[7:8], v[89:90]
	v_mul_f64 v[65:66], v[5:6], v[89:90]
	s_waitcnt vmcnt(49)
	v_fma_f64 v[67:68], v[1:2], v[73:74], -v[67:68]
	v_fma_f64 v[31:32], v[3:4], v[73:74], v[31:32]
	v_add_f64 v[15:16], v[15:16], v[77:78]
	v_add_f64 v[13:14], v[13:14], v[58:59]
	s_clause 0x3
	buffer_load_dword v58, off, s[0:3], 0 offset:112
	buffer_load_dword v59, off, s[0:3], 0 offset:116
	;; [unrolled: 1-line block ×4, first 2 shown]
	ds_read_b128 v[1:4], v60 offset:1488
	s_waitcnt vmcnt(49) lgkmcnt(1)
	v_mul_f64 v[77:78], v[9:10], v[75:76]
	v_mul_f64 v[75:76], v[11:12], v[75:76]
	s_waitcnt vmcnt(48)
	v_fma_f64 v[71:72], v[5:6], v[99:100], -v[71:72]
	v_fma_f64 v[65:66], v[7:8], v[99:100], v[65:66]
	ds_read_b128 v[5:8], v60 offset:1504
	v_add_f64 v[15:16], v[15:16], v[67:68]
	v_add_f64 v[13:14], v[13:14], v[31:32]
	s_waitcnt vmcnt(47) lgkmcnt(1)
	v_mul_f64 v[67:68], v[3:4], v[93:94]
	v_mul_f64 v[31:32], v[1:2], v[93:94]
	s_waitcnt vmcnt(45)
	v_fma_f64 v[75:76], v[9:10], v[81:82], -v[75:76]
	v_add_f64 v[15:16], v[15:16], v[71:72]
	v_fma_f64 v[71:72], v[11:12], v[81:82], v[77:78]
	v_add_f64 v[13:14], v[13:14], v[65:66]
	ds_read_b128 v[9:12], v60 offset:1520
	s_waitcnt vmcnt(41) lgkmcnt(1)
	v_mul_f64 v[77:78], v[7:8], v[95:96]
	s_waitcnt vmcnt(40)
	v_fma_f64 v[67:68], v[1:2], v[103:104], -v[67:68]
	v_mul_f64 v[65:66], v[5:6], v[95:96]
	v_fma_f64 v[31:32], v[3:4], v[103:104], v[31:32]
	ds_read_b128 v[1:4], v60 offset:1536
	v_add_f64 v[15:16], v[15:16], v[75:76]
	v_add_f64 v[13:14], v[13:14], v[71:72]
	s_waitcnt vmcnt(39) lgkmcnt(1)
	v_mul_f64 v[75:76], v[11:12], v[101:102]
	v_mul_f64 v[71:72], v[9:10], v[101:102]
	s_waitcnt vmcnt(37)
	v_fma_f64 v[77:78], v[5:6], v[23:24], -v[77:78]
	v_fma_f64 v[23:24], v[7:8], v[23:24], v[65:66]
	ds_read_b128 v[5:8], v60 offset:1552
	v_add_f64 v[15:16], v[15:16], v[67:68]
	v_add_f64 v[13:14], v[13:14], v[31:32]
	s_waitcnt vmcnt(33) lgkmcnt(1)
	v_mul_f64 v[31:32], v[1:2], v[29:30]
	v_mul_f64 v[29:30], v[3:4], v[29:30]
	s_waitcnt vmcnt(32)
	v_fma_f64 v[65:66], v[9:10], v[107:108], -v[75:76]
	;; [unrolled: 9-line block ×6, first 2 shown]
	v_add_f64 v[15:16], v[15:16], v[17:18]
	v_fma_f64 v[17:18], v[3:4], v[105:106], v[21:22]
	v_add_f64 v[13:14], v[13:14], v[27:28]
	ds_read_b128 v[1:4], v60 offset:1632
	s_waitcnt vmcnt(15) lgkmcnt(1)
	v_mul_f64 v[27:28], v[11:12], v[63:64]
	v_mul_f64 v[21:22], v[9:10], v[63:64]
	s_waitcnt vmcnt(13)
	v_fma_f64 v[19:20], v[5:6], v[37:38], -v[19:20]
	v_fma_f64 v[23:24], v[7:8], v[37:38], v[23:24]
	ds_read_b128 v[5:8], v60 offset:1648
	v_add_f64 v[15:16], v[15:16], v[29:30]
	v_add_f64 v[13:14], v[13:14], v[17:18]
	s_waitcnt vmcnt(9) lgkmcnt(1)
	v_mul_f64 v[17:18], v[1:2], v[25:26]
	v_mul_f64 v[25:26], v[3:4], v[25:26]
	s_waitcnt vmcnt(8)
	v_fma_f64 v[9:10], v[9:10], v[97:98], -v[27:28]
	v_fma_f64 v[11:12], v[11:12], v[97:98], v[21:22]
	v_add_f64 v[15:16], v[15:16], v[19:20]
	v_add_f64 v[13:14], v[13:14], v[23:24]
	s_waitcnt vmcnt(7) lgkmcnt(0)
	v_mul_f64 v[21:22], v[7:8], v[69:70]
	v_mul_f64 v[19:20], v[5:6], v[69:70]
	s_waitcnt vmcnt(5)
	v_fma_f64 v[1:2], v[1:2], v[35:36], -v[25:26]
	v_fma_f64 v[3:4], v[3:4], v[35:36], v[17:18]
	v_add_f64 v[9:10], v[15:16], v[9:10]
	v_add_f64 v[11:12], v[13:14], v[11:12]
	s_waitcnt vmcnt(4)
	v_fma_f64 v[5:6], v[5:6], v[87:88], -v[21:22]
	v_fma_f64 v[7:8], v[7:8], v[87:88], v[19:20]
	v_add_f64 v[1:2], v[9:10], v[1:2]
	v_add_f64 v[3:4], v[11:12], v[3:4]
	;; [unrolled: 1-line block ×4, first 2 shown]
	s_waitcnt vmcnt(2)
	v_add_f64 v[1:2], v[58:59], -v[1:2]
	s_waitcnt vmcnt(0)
	v_add_f64 v[3:4], v[73:74], -v[3:4]
	buffer_store_dword v2, off, s[0:3], 0 offset:116
	buffer_store_dword v1, off, s[0:3], 0 offset:112
	;; [unrolled: 1-line block ×4, first 2 shown]
	v_cmpx_lt_u32_e32 5, v0
	s_cbranch_execz .LBB51_315
; %bb.314:
	v_mov_b32_e32 v4, s59
	s_clause 0x3
	buffer_load_dword v1, v4, s[0:3], 0 offen
	buffer_load_dword v2, v4, s[0:3], 0 offen offset:4
	buffer_load_dword v3, v4, s[0:3], 0 offen offset:8
	;; [unrolled: 1-line block ×3, first 2 shown]
	buffer_store_dword v60, off, s[0:3], 0 offset:96
	buffer_store_dword v60, off, s[0:3], 0 offset:100
	;; [unrolled: 1-line block ×4, first 2 shown]
	s_waitcnt vmcnt(0)
	ds_write_b128 v39, v[1:4]
.LBB51_315:
	s_or_b32 exec_lo, exec_lo, s4
	s_waitcnt lgkmcnt(0)
	s_waitcnt_vscnt null, 0x0
	s_barrier
	buffer_gl0_inv
	s_clause 0x37
	buffer_load_dword v17, off, s[0:3], 0 offset:120
	buffer_load_dword v18, off, s[0:3], 0 offset:124
	;; [unrolled: 1-line block ×56, first 2 shown]
	ds_read_b128 v[5:8], v60 offset:928
	s_clause 0x2
	buffer_load_dword v88, off, s[0:3], 0 offset:348
	buffer_load_dword v90, off, s[0:3], 0 offset:324
	;; [unrolled: 1-line block ×3, first 2 shown]
	ds_read_b128 v[1:4], v60 offset:944
	s_clause 0x4
	buffer_load_dword v98, off, s[0:3], 0 offset:364
	buffer_load_dword v99, off, s[0:3], 0 offset:376
	;; [unrolled: 1-line block ×5, first 2 shown]
	ds_read_b128 v[91:94], v60 offset:960
	s_mov_b32 s4, exec_lo
	s_waitcnt vmcnt(62) lgkmcnt(2)
	v_mul_f64 v[95:96], v[7:8], v[17:18]
	v_mul_f64 v[17:18], v[5:6], v[17:18]
	s_waitcnt vmcnt(60) lgkmcnt(1)
	v_mul_f64 v[102:103], v[3:4], v[13:14]
	v_mul_f64 v[13:14], v[1:2], v[13:14]
	;; [unrolled: 3-line block ×3, first 2 shown]
	v_fma_f64 v[95:96], v[5:6], v[15:16], -v[95:96]
	v_fma_f64 v[15:16], v[7:8], v[15:16], v[17:18]
	s_clause 0x2
	buffer_load_dword v100, off, s[0:3], 0 offset:380
	buffer_load_dword v18, off, s[0:3], 0 offset:356
	;; [unrolled: 1-line block ×3, first 2 shown]
	s_waitcnt vmcnt(57)
	v_fma_f64 v[106:107], v[1:2], v[9:10], -v[102:103]
	ds_read_b128 v[5:8], v60 offset:976
	v_fma_f64 v[9:10], v[3:4], v[9:10], v[13:14]
	s_waitcnt vmcnt(51)
	v_fma_f64 v[91:92], v[91:92], v[33:34], -v[11:12]
	v_fma_f64 v[33:34], v[93:94], v[33:34], v[104:105]
	v_add_f64 v[95:96], v[95:96], 0
	v_add_f64 v[13:14], v[15:16], 0
	s_clause 0x4
	buffer_load_dword v16, off, s[0:3], 0 offset:396
	buffer_load_dword v103, off, s[0:3], 0 offset:408
	;; [unrolled: 1-line block ×5, first 2 shown]
	s_waitcnt lgkmcnt(0)
	v_mul_f64 v[109:110], v[5:6], v[21:22]
	v_mul_f64 v[21:22], v[7:8], v[21:22]
	ds_read_b128 v[1:4], v60 offset:992
	s_clause 0x2
	buffer_load_dword v104, off, s[0:3], 0 offset:412
	buffer_load_dword v94, off, s[0:3], 0 offset:388
	;; [unrolled: 1-line block ×3, first 2 shown]
	v_add_f64 v[95:96], v[95:96], v[106:107]
	v_add_f64 v[13:14], v[13:14], v[9:10]
	ds_read_b128 v[9:12], v60 offset:1008
	s_waitcnt vmcnt(58) lgkmcnt(1)
	v_mul_f64 v[105:106], v[1:2], v[25:26]
	v_mul_f64 v[25:26], v[3:4], v[25:26]
	s_waitcnt vmcnt(56)
	v_fma_f64 v[21:22], v[5:6], v[27:28], -v[21:22]
	v_fma_f64 v[27:28], v[7:8], v[27:28], v[109:110]
	s_waitcnt vmcnt(52) lgkmcnt(0)
	v_mul_f64 v[111:112], v[9:10], v[29:30]
	v_add_f64 v[91:92], v[95:96], v[91:92]
	v_add_f64 v[13:14], v[13:14], v[33:34]
	s_clause 0x4
	buffer_load_dword v34, off, s[0:3], 0 offset:428
	buffer_load_dword v95, off, s[0:3], 0 offset:440
	buffer_load_dword v110, off, s[0:3], 0 offset:432
	buffer_load_dword v33, off, s[0:3], 0 offset:424
	buffer_load_dword v109, off, s[0:3], 0 offset:404
	v_mul_f64 v[29:30], v[11:12], v[29:30]
	s_waitcnt vmcnt(56)
	v_fma_f64 v[25:26], v[1:2], v[19:20], -v[25:26]
	ds_read_b128 v[5:8], v60 offset:1024
	v_fma_f64 v[19:20], v[3:4], v[19:20], v[105:106]
	v_add_f64 v[21:22], v[91:92], v[21:22]
	v_add_f64 v[13:14], v[13:14], v[27:28]
	s_clause 0x2
	buffer_load_dword v96, off, s[0:3], 0 offset:444
	buffer_load_dword v28, off, s[0:3], 0 offset:420
	;; [unrolled: 1-line block ×3, first 2 shown]
	s_waitcnt vmcnt(58) lgkmcnt(0)
	v_mul_f64 v[91:92], v[5:6], v[35:36]
	v_mul_f64 v[35:36], v[7:8], v[35:36]
	s_waitcnt vmcnt(56)
	v_fma_f64 v[29:30], v[9:10], v[37:38], -v[29:30]
	ds_read_b128 v[1:4], v60 offset:1040
	v_add_f64 v[21:22], v[21:22], v[25:26]
	v_fma_f64 v[25:26], v[11:12], v[37:38], v[111:112]
	v_add_f64 v[13:14], v[13:14], v[19:20]
	s_clause 0x4
	buffer_load_dword v20, off, s[0:3], 0 offset:460
	buffer_load_dword v37, off, s[0:3], 0 offset:472
	;; [unrolled: 1-line block ×5, first 2 shown]
	s_waitcnt vmcnt(57) lgkmcnt(0)
	v_mul_f64 v[106:107], v[1:2], v[58:59]
	v_mul_f64 v[58:59], v[3:4], v[58:59]
	s_waitcnt vmcnt(56)
	v_fma_f64 v[35:36], v[5:6], v[23:24], -v[35:36]
	ds_read_b128 v[9:12], v60 offset:1056
	v_fma_f64 v[23:24], v[7:8], v[23:24], v[91:92]
	v_add_f64 v[21:22], v[21:22], v[29:30]
	v_add_f64 v[13:14], v[13:14], v[25:26]
	s_clause 0x2
	buffer_load_dword v38, off, s[0:3], 0 offset:476
	buffer_load_dword v26, off, s[0:3], 0 offset:452
	;; [unrolled: 1-line block ×3, first 2 shown]
	ds_read_b128 v[5:8], v60 offset:1072
	s_waitcnt vmcnt(58) lgkmcnt(1)
	v_mul_f64 v[29:30], v[9:10], v[65:66]
	v_mul_f64 v[65:66], v[11:12], v[65:66]
	s_waitcnt vmcnt(56)
	v_fma_f64 v[58:59], v[1:2], v[67:68], -v[58:59]
	v_add_f64 v[21:22], v[21:22], v[35:36]
	v_fma_f64 v[35:36], v[3:4], v[67:68], v[106:107]
	v_add_f64 v[13:14], v[13:14], v[23:24]
	s_clause 0x4
	buffer_load_dword v24, off, s[0:3], 0 offset:492
	buffer_load_dword v67, off, s[0:3], 0 offset:504
	;; [unrolled: 1-line block ×5, first 2 shown]
	s_waitcnt vmcnt(57) lgkmcnt(0)
	v_mul_f64 v[112:113], v[5:6], v[69:70]
	v_mul_f64 v[69:70], v[7:8], v[69:70]
	s_waitcnt vmcnt(56)
	v_fma_f64 v[65:66], v[9:10], v[31:32], -v[65:66]
	ds_read_b128 v[1:4], v60 offset:1088
	v_fma_f64 v[29:30], v[11:12], v[31:32], v[29:30]
	s_clause 0x2
	buffer_load_dword v68, off, s[0:3], 0 offset:508
	buffer_load_dword v32, off, s[0:3], 0 offset:484
	;; [unrolled: 1-line block ×3, first 2 shown]
	ds_read_b128 v[9:12], v60 offset:1104
	v_add_f64 v[21:22], v[21:22], v[58:59]
	v_add_f64 v[13:14], v[13:14], v[35:36]
	s_waitcnt vmcnt(58) lgkmcnt(1)
	v_mul_f64 v[58:59], v[3:4], v[73:74]
	s_waitcnt vmcnt(56)
	v_fma_f64 v[69:70], v[5:6], v[75:76], -v[69:70]
	v_mul_f64 v[35:36], v[1:2], v[73:74]
	v_add_f64 v[21:22], v[21:22], v[65:66]
	v_fma_f64 v[65:66], v[7:8], v[75:76], v[112:113]
	v_add_f64 v[13:14], v[13:14], v[29:30]
	s_clause 0x4
	buffer_load_dword v30, off, s[0:3], 0 offset:524
	buffer_load_dword v73, off, s[0:3], 0 offset:536
	;; [unrolled: 1-line block ×5, first 2 shown]
	s_waitcnt vmcnt(57) lgkmcnt(0)
	v_mul_f64 v[112:113], v[9:10], v[77:78]
	v_mul_f64 v[76:77], v[11:12], v[77:78]
	s_waitcnt vmcnt(56)
	v_fma_f64 v[58:59], v[1:2], v[63:64], -v[58:59]
	ds_read_b128 v[5:8], v60 offset:1120
	v_fma_f64 v[35:36], v[3:4], v[63:64], v[35:36]
	s_clause 0x2
	buffer_load_dword v74, off, s[0:3], 0 offset:540
	buffer_load_dword v64, off, s[0:3], 0 offset:516
	;; [unrolled: 1-line block ×3, first 2 shown]
	ds_read_b128 v[1:4], v60 offset:1136
	v_add_f64 v[21:22], v[21:22], v[69:70]
	v_add_f64 v[13:14], v[13:14], v[65:66]
	s_waitcnt vmcnt(58) lgkmcnt(1)
	v_mul_f64 v[69:70], v[7:8], v[81:82]
	s_waitcnt vmcnt(56)
	v_fma_f64 v[77:78], v[9:10], v[83:84], -v[76:77]
	v_mul_f64 v[65:66], v[5:6], v[81:82]
	v_add_f64 v[21:22], v[21:22], v[58:59]
	v_fma_f64 v[58:59], v[11:12], v[83:84], v[112:113]
	v_add_f64 v[13:14], v[13:14], v[35:36]
	s_clause 0x4
	buffer_load_dword v36, off, s[0:3], 0 offset:556
	buffer_load_dword v81, off, s[0:3], 0 offset:568
	;; [unrolled: 1-line block ×5, first 2 shown]
	s_waitcnt vmcnt(57) lgkmcnt(0)
	v_mul_f64 v[112:113], v[1:2], v[85:86]
	v_mul_f64 v[84:85], v[3:4], v[85:86]
	s_waitcnt vmcnt(56)
	v_fma_f64 v[69:70], v[5:6], v[71:72], -v[69:70]
	ds_read_b128 v[9:12], v60 offset:1152
	v_fma_f64 v[65:66], v[7:8], v[71:72], v[65:66]
	v_add_f64 v[21:22], v[21:22], v[77:78]
	v_add_f64 v[13:14], v[13:14], v[58:59]
	s_clause 0x2
	buffer_load_dword v82, off, s[0:3], 0 offset:572
	buffer_load_dword v59, off, s[0:3], 0 offset:548
	;; [unrolled: 1-line block ×3, first 2 shown]
	ds_read_b128 v[5:8], v60 offset:1168
	s_waitcnt vmcnt(58) lgkmcnt(1)
	v_mul_f64 v[77:78], v[11:12], v[87:88]
	s_waitcnt vmcnt(56)
	v_fma_f64 v[85:86], v[1:2], v[89:90], -v[84:85]
	v_mul_f64 v[71:72], v[9:10], v[87:88]
	v_add_f64 v[21:22], v[21:22], v[69:70]
	v_fma_f64 v[69:70], v[3:4], v[89:90], v[112:113]
	v_add_f64 v[13:14], v[13:14], v[65:66]
	s_clause 0x4
	buffer_load_dword v66, off, s[0:3], 0 offset:588
	buffer_load_dword v87, off, s[0:3], 0 offset:600
	;; [unrolled: 1-line block ×5, first 2 shown]
	s_waitcnt vmcnt(57) lgkmcnt(0)
	v_mul_f64 v[112:113], v[5:6], v[97:98]
	v_mul_f64 v[97:98], v[7:8], v[97:98]
	s_waitcnt vmcnt(56)
	v_fma_f64 v[77:78], v[9:10], v[79:80], -v[77:78]
	ds_read_b128 v[1:4], v60 offset:1184
	v_fma_f64 v[71:72], v[11:12], v[79:80], v[71:72]
	v_add_f64 v[21:22], v[21:22], v[85:86]
	v_add_f64 v[13:14], v[13:14], v[69:70]
	s_clause 0x2
	buffer_load_dword v88, off, s[0:3], 0 offset:604
	buffer_load_dword v70, off, s[0:3], 0 offset:580
	;; [unrolled: 1-line block ×3, first 2 shown]
	ds_read_b128 v[9:12], v60 offset:1200
	s_waitcnt vmcnt(58) lgkmcnt(1)
	v_mul_f64 v[85:86], v[3:4], v[99:100]
	v_mul_f64 v[79:80], v[1:2], v[99:100]
	s_waitcnt vmcnt(56)
	v_fma_f64 v[97:98], v[5:6], v[17:18], -v[97:98]
	v_fma_f64 v[17:18], v[7:8], v[17:18], v[112:113]
	v_add_f64 v[21:22], v[21:22], v[77:78]
	v_add_f64 v[13:14], v[13:14], v[71:72]
	s_clause 0x4
	buffer_load_dword v72, off, s[0:3], 0 offset:620
	buffer_load_dword v77, off, s[0:3], 0 offset:632
	;; [unrolled: 1-line block ×5, first 2 shown]
	ds_read_b128 v[5:8], v60 offset:1216
	s_waitcnt vmcnt(57) lgkmcnt(1)
	v_mul_f64 v[112:113], v[9:10], v[15:16]
	v_mul_f64 v[15:16], v[11:12], v[15:16]
	s_waitcnt vmcnt(56)
	v_fma_f64 v[85:86], v[1:2], v[101:102], -v[85:86]
	v_fma_f64 v[79:80], v[3:4], v[101:102], v[79:80]
	v_add_f64 v[21:22], v[21:22], v[97:98]
	v_add_f64 v[13:14], v[13:14], v[17:18]
	s_clause 0x2
	buffer_load_dword v78, off, s[0:3], 0 offset:636
	buffer_load_dword v18, off, s[0:3], 0 offset:612
	;; [unrolled: 1-line block ×3, first 2 shown]
	s_waitcnt vmcnt(58) lgkmcnt(0)
	v_mul_f64 v[101:102], v[7:8], v[103:104]
	ds_read_b128 v[1:4], v60 offset:1232
	v_mul_f64 v[97:98], v[5:6], v[103:104]
	s_waitcnt vmcnt(56)
	v_fma_f64 v[15:16], v[9:10], v[93:94], -v[15:16]
	v_add_f64 v[21:22], v[21:22], v[85:86]
	v_fma_f64 v[85:86], v[11:12], v[93:94], v[112:113]
	v_add_f64 v[13:14], v[13:14], v[79:80]
	s_clause 0x4
	buffer_load_dword v80, off, s[0:3], 0 offset:652
	buffer_load_dword v93, off, s[0:3], 0 offset:664
	;; [unrolled: 1-line block ×5, first 2 shown]
	ds_read_b128 v[9:12], v60 offset:1248
	s_waitcnt vmcnt(57) lgkmcnt(1)
	v_mul_f64 v[112:113], v[1:2], v[33:34]
	v_mul_f64 v[33:34], v[3:4], v[33:34]
	s_waitcnt vmcnt(56)
	v_fma_f64 v[101:102], v[5:6], v[108:109], -v[101:102]
	v_add_f64 v[15:16], v[21:22], v[15:16]
	v_fma_f64 v[21:22], v[7:8], v[108:109], v[97:98]
	v_add_f64 v[13:14], v[13:14], v[85:86]
	s_clause 0x2
	buffer_load_dword v94, off, s[0:3], 0 offset:668
	buffer_load_dword v86, off, s[0:3], 0 offset:644
	;; [unrolled: 1-line block ×3, first 2 shown]
	ds_read_b128 v[5:8], v60 offset:1264
	s_waitcnt vmcnt(58) lgkmcnt(1)
	v_mul_f64 v[97:98], v[9:10], v[95:96]
	v_mul_f64 v[95:96], v[11:12], v[95:96]
	s_waitcnt vmcnt(56)
	v_fma_f64 v[33:34], v[1:2], v[27:28], -v[33:34]
	v_fma_f64 v[27:28], v[3:4], v[27:28], v[112:113]
	v_add_f64 v[15:16], v[15:16], v[101:102]
	v_add_f64 v[13:14], v[13:14], v[21:22]
	s_clause 0x4
	buffer_load_dword v22, off, s[0:3], 0 offset:684
	buffer_load_dword v101, off, s[0:3], 0 offset:696
	;; [unrolled: 1-line block ×5, first 2 shown]
	ds_read_b128 v[1:4], v60 offset:1280
	s_waitcnt vmcnt(57) lgkmcnt(1)
	v_mul_f64 v[108:109], v[5:6], v[19:20]
	v_mul_f64 v[19:20], v[7:8], v[19:20]
	s_waitcnt vmcnt(56)
	v_fma_f64 v[95:96], v[9:10], v[110:111], -v[95:96]
	v_add_f64 v[15:16], v[15:16], v[33:34]
	v_fma_f64 v[33:34], v[11:12], v[110:111], v[97:98]
	v_add_f64 v[13:14], v[13:14], v[27:28]
	s_clause 0x2
	buffer_load_dword v102, off, s[0:3], 0 offset:700
	buffer_load_dword v28, off, s[0:3], 0 offset:676
	;; [unrolled: 1-line block ×3, first 2 shown]
	ds_read_b128 v[9:12], v60 offset:1296
	s_waitcnt vmcnt(58) lgkmcnt(1)
	v_mul_f64 v[97:98], v[1:2], v[37:38]
	v_mul_f64 v[37:38], v[3:4], v[37:38]
	s_waitcnt vmcnt(56)
	v_fma_f64 v[19:20], v[5:6], v[25:26], -v[19:20]
	v_fma_f64 v[25:26], v[7:8], v[25:26], v[108:109]
	v_add_f64 v[15:16], v[15:16], v[95:96]
	v_add_f64 v[13:14], v[13:14], v[33:34]
	s_clause 0x4
	buffer_load_dword v34, off, s[0:3], 0 offset:716
	buffer_load_dword v95, off, s[0:3], 0 offset:728
	;; [unrolled: 1-line block ×5, first 2 shown]
	ds_read_b128 v[5:8], v60 offset:1312
	s_waitcnt vmcnt(57) lgkmcnt(1)
	v_mul_f64 v[110:111], v[9:10], v[23:24]
	v_mul_f64 v[23:24], v[11:12], v[23:24]
	s_waitcnt vmcnt(56)
	v_fma_f64 v[37:38], v[1:2], v[105:106], -v[37:38]
	v_add_f64 v[15:16], v[15:16], v[19:20]
	v_fma_f64 v[19:20], v[3:4], v[105:106], v[97:98]
	v_add_f64 v[13:14], v[13:14], v[25:26]
	s_clause 0x2
	buffer_load_dword v96, off, s[0:3], 0 offset:732
	buffer_load_dword v26, off, s[0:3], 0 offset:708
	;; [unrolled: 1-line block ×3, first 2 shown]
	s_waitcnt vmcnt(58) lgkmcnt(0)
	v_mul_f64 v[97:98], v[5:6], v[67:68]
	v_mul_f64 v[67:68], v[7:8], v[67:68]
	ds_read_b128 v[1:4], v60 offset:1328
	s_waitcnt vmcnt(56)
	v_fma_f64 v[23:24], v[9:10], v[31:32], -v[23:24]
	v_fma_f64 v[31:32], v[11:12], v[31:32], v[110:111]
	v_add_f64 v[15:16], v[15:16], v[37:38]
	v_add_f64 v[13:14], v[13:14], v[19:20]
	s_clause 0x4
	buffer_load_dword v20, off, s[0:3], 0 offset:748
	buffer_load_dword v37, off, s[0:3], 0 offset:760
	;; [unrolled: 1-line block ×5, first 2 shown]
	ds_read_b128 v[9:12], v60 offset:1344
	s_waitcnt vmcnt(57) lgkmcnt(1)
	v_mul_f64 v[111:112], v[1:2], v[29:30]
	v_mul_f64 v[29:30], v[3:4], v[29:30]
	s_waitcnt vmcnt(56)
	v_fma_f64 v[67:68], v[5:6], v[91:92], -v[67:68]
	v_add_f64 v[15:16], v[15:16], v[23:24]
	v_fma_f64 v[23:24], v[7:8], v[91:92], v[97:98]
	v_add_f64 v[13:14], v[13:14], v[31:32]
	s_clause 0x2
	buffer_load_dword v38, off, s[0:3], 0 offset:764
	buffer_load_dword v32, off, s[0:3], 0 offset:740
	;; [unrolled: 1-line block ×3, first 2 shown]
	s_waitcnt vmcnt(58) lgkmcnt(0)
	v_mul_f64 v[91:92], v[9:10], v[73:74]
	v_mul_f64 v[73:74], v[11:12], v[73:74]
	ds_read_b128 v[5:8], v60 offset:1360
	s_waitcnt vmcnt(56)
	v_fma_f64 v[29:30], v[1:2], v[63:64], -v[29:30]
	v_fma_f64 v[63:64], v[3:4], v[63:64], v[111:112]
	v_add_f64 v[15:16], v[15:16], v[67:68]
	v_add_f64 v[13:14], v[13:14], v[23:24]
	s_clause 0x4
	buffer_load_dword v24, off, s[0:3], 0 offset:780
	buffer_load_dword v67, off, s[0:3], 0 offset:792
	;; [unrolled: 1-line block ×5, first 2 shown]
	ds_read_b128 v[1:4], v60 offset:1376
	s_waitcnt vmcnt(57) lgkmcnt(1)
	v_mul_f64 v[111:112], v[5:6], v[35:36]
	v_mul_f64 v[35:36], v[7:8], v[35:36]
	s_waitcnt vmcnt(56)
	v_fma_f64 v[73:74], v[9:10], v[75:76], -v[73:74]
	v_add_f64 v[15:16], v[15:16], v[29:30]
	v_fma_f64 v[29:30], v[11:12], v[75:76], v[91:92]
	v_add_f64 v[13:14], v[13:14], v[63:64]
	s_clause 0x2
	buffer_load_dword v68, off, s[0:3], 0 offset:796
	buffer_load_dword v64, off, s[0:3], 0 offset:772
	;; [unrolled: 1-line block ×3, first 2 shown]
	ds_read_b128 v[9:12], v60 offset:1392
	s_waitcnt vmcnt(58) lgkmcnt(1)
	v_mul_f64 v[75:76], v[1:2], v[81:82]
	v_mul_f64 v[81:82], v[3:4], v[81:82]
	s_waitcnt vmcnt(56)
	v_fma_f64 v[35:36], v[5:6], v[58:59], -v[35:36]
	v_fma_f64 v[58:59], v[7:8], v[58:59], v[111:112]
	v_add_f64 v[15:16], v[15:16], v[73:74]
	v_add_f64 v[13:14], v[13:14], v[29:30]
	s_clause 0x4
	buffer_load_dword v30, off, s[0:3], 0 offset:812
	buffer_load_dword v73, off, s[0:3], 0 offset:824
	;; [unrolled: 1-line block ×5, first 2 shown]
	ds_read_b128 v[5:8], v60 offset:1408
	s_waitcnt vmcnt(57) lgkmcnt(1)
	v_mul_f64 v[111:112], v[9:10], v[65:66]
	v_mul_f64 v[65:66], v[11:12], v[65:66]
	s_waitcnt vmcnt(56)
	v_fma_f64 v[81:82], v[1:2], v[83:84], -v[81:82]
	v_add_f64 v[15:16], v[15:16], v[35:36]
	v_fma_f64 v[35:36], v[3:4], v[83:84], v[75:76]
	v_add_f64 v[13:14], v[13:14], v[58:59]
	s_clause 0x2
	buffer_load_dword v74, off, s[0:3], 0 offset:828
	buffer_load_dword v59, off, s[0:3], 0 offset:804
	;; [unrolled: 1-line block ×3, first 2 shown]
	ds_read_b128 v[1:4], v60 offset:1424
	s_waitcnt vmcnt(58) lgkmcnt(1)
	v_mul_f64 v[83:84], v[7:8], v[87:88]
	v_mul_f64 v[75:76], v[5:6], v[87:88]
	s_waitcnt vmcnt(56)
	v_fma_f64 v[65:66], v[9:10], v[69:70], -v[65:66]
	v_fma_f64 v[69:70], v[11:12], v[69:70], v[111:112]
	v_add_f64 v[15:16], v[15:16], v[81:82]
	v_add_f64 v[13:14], v[13:14], v[35:36]
	s_clause 0x2
	buffer_load_dword v36, off, s[0:3], 0 offset:844
	buffer_load_dword v35, off, s[0:3], 0 offset:840
	;; [unrolled: 1-line block ×3, first 2 shown]
	ds_read_b128 v[9:12], v60 offset:1440
	s_waitcnt vmcnt(55) lgkmcnt(1)
	v_mul_f64 v[81:82], v[1:2], v[71:72]
	v_mul_f64 v[71:72], v[3:4], v[71:72]
	s_waitcnt vmcnt(54)
	v_fma_f64 v[83:84], v[5:6], v[89:90], -v[83:84]
	v_add_f64 v[15:16], v[15:16], v[65:66]
	v_fma_f64 v[65:66], v[7:8], v[89:90], v[75:76]
	v_add_f64 v[13:14], v[13:14], v[69:70]
	s_clause 0x1
	buffer_load_dword v70, off, s[0:3], 0 offset:836
	buffer_load_dword v69, off, s[0:3], 0 offset:832
	ds_read_b128 v[5:8], v60 offset:1456
	s_waitcnt vmcnt(55) lgkmcnt(1)
	v_mul_f64 v[75:76], v[9:10], v[77:78]
	v_mul_f64 v[77:78], v[11:12], v[77:78]
	s_waitcnt vmcnt(53)
	v_fma_f64 v[71:72], v[1:2], v[17:18], -v[71:72]
	v_fma_f64 v[17:18], v[3:4], v[17:18], v[81:82]
	ds_read_b128 v[1:4], v60 offset:1472
	v_add_f64 v[15:16], v[15:16], v[83:84]
	v_add_f64 v[13:14], v[13:14], v[65:66]
	s_waitcnt vmcnt(49) lgkmcnt(1)
	v_mul_f64 v[65:66], v[5:6], v[79:80]
	v_mul_f64 v[79:80], v[7:8], v[79:80]
	s_waitcnt vmcnt(48)
	v_fma_f64 v[77:78], v[9:10], v[99:100], -v[77:78]
	v_add_f64 v[15:16], v[15:16], v[71:72]
	v_fma_f64 v[71:72], v[11:12], v[99:100], v[75:76]
	v_add_f64 v[13:14], v[13:14], v[17:18]
	s_clause 0x3
	buffer_load_dword v17, off, s[0:3], 0 offset:96
	buffer_load_dword v18, off, s[0:3], 0 offset:100
	;; [unrolled: 1-line block ×4, first 2 shown]
	ds_read_b128 v[9:12], v60 offset:1488
	s_waitcnt vmcnt(51) lgkmcnt(1)
	v_mul_f64 v[83:84], v[3:4], v[93:94]
	v_mul_f64 v[81:82], v[1:2], v[93:94]
	s_waitcnt vmcnt(49)
	v_fma_f64 v[79:80], v[5:6], v[85:86], -v[79:80]
	v_fma_f64 v[65:66], v[7:8], v[85:86], v[65:66]
	ds_read_b128 v[5:8], v60 offset:1504
	v_add_f64 v[15:16], v[15:16], v[77:78]
	v_add_f64 v[13:14], v[13:14], v[71:72]
	s_waitcnt vmcnt(45) lgkmcnt(1)
	v_mul_f64 v[71:72], v[9:10], v[21:22]
	v_mul_f64 v[21:22], v[11:12], v[21:22]
	s_waitcnt vmcnt(44)
	v_fma_f64 v[77:78], v[1:2], v[103:104], -v[83:84]
	v_add_f64 v[15:16], v[15:16], v[79:80]
	v_fma_f64 v[79:80], v[3:4], v[103:104], v[81:82]
	v_add_f64 v[13:14], v[13:14], v[65:66]
	ds_read_b128 v[1:4], v60 offset:1520
	s_waitcnt vmcnt(43) lgkmcnt(1)
	v_mul_f64 v[81:82], v[7:8], v[101:102]
	v_mul_f64 v[65:66], v[5:6], v[101:102]
	s_waitcnt vmcnt(41)
	v_fma_f64 v[21:22], v[9:10], v[27:28], -v[21:22]
	v_fma_f64 v[27:28], v[11:12], v[27:28], v[71:72]
	ds_read_b128 v[9:12], v60 offset:1536
	v_add_f64 v[15:16], v[15:16], v[77:78]
	v_add_f64 v[13:14], v[13:14], v[79:80]
	s_waitcnt vmcnt(37) lgkmcnt(1)
	v_mul_f64 v[71:72], v[1:2], v[33:34]
	v_mul_f64 v[33:34], v[3:4], v[33:34]
	s_waitcnt vmcnt(36)
	v_fma_f64 v[77:78], v[5:6], v[107:108], -v[81:82]
	v_add_f64 v[15:16], v[15:16], v[21:22]
	v_fma_f64 v[21:22], v[7:8], v[107:108], v[65:66]
	v_add_f64 v[13:14], v[13:14], v[27:28]
	ds_read_b128 v[5:8], v60 offset:1552
	s_waitcnt vmcnt(35) lgkmcnt(1)
	v_mul_f64 v[65:66], v[11:12], v[95:96]
	v_mul_f64 v[27:28], v[9:10], v[95:96]
	s_waitcnt vmcnt(33)
	v_fma_f64 v[33:34], v[1:2], v[25:26], -v[33:34]
	v_fma_f64 v[25:26], v[3:4], v[25:26], v[71:72]
	ds_read_b128 v[1:4], v60 offset:1568
	v_add_f64 v[15:16], v[15:16], v[77:78]
	v_add_f64 v[13:14], v[13:14], v[21:22]
	s_waitcnt vmcnt(29) lgkmcnt(1)
	v_mul_f64 v[21:22], v[5:6], v[19:20]
	v_mul_f64 v[19:20], v[7:8], v[19:20]
	s_waitcnt vmcnt(28)
	v_fma_f64 v[65:66], v[9:10], v[109:110], -v[65:66]
	v_fma_f64 v[27:28], v[11:12], v[109:110], v[27:28]
	ds_read_b128 v[9:12], v60 offset:1584
	v_add_f64 v[15:16], v[15:16], v[33:34]
	v_add_f64 v[13:14], v[13:14], v[25:26]
	;; [unrolled: 9-line block ×3, first 2 shown]
	s_waitcnt vmcnt(21) lgkmcnt(1)
	v_mul_f64 v[27:28], v[9:10], v[23:24]
	v_mul_f64 v[23:24], v[11:12], v[23:24]
	s_waitcnt vmcnt(20)
	v_fma_f64 v[31:32], v[1:2], v[105:106], -v[33:34]
	v_add_f64 v[15:16], v[15:16], v[19:20]
	v_fma_f64 v[19:20], v[3:4], v[105:106], v[25:26]
	v_add_f64 v[13:14], v[13:14], v[21:22]
	ds_read_b128 v[1:4], v60 offset:1616
	s_waitcnt vmcnt(19) lgkmcnt(1)
	v_mul_f64 v[25:26], v[7:8], v[67:68]
	v_mul_f64 v[21:22], v[5:6], v[67:68]
	s_waitcnt vmcnt(17)
	v_fma_f64 v[23:24], v[9:10], v[63:64], -v[23:24]
	v_fma_f64 v[27:28], v[11:12], v[63:64], v[27:28]
	ds_read_b128 v[9:12], v60 offset:1632
	v_add_f64 v[15:16], v[15:16], v[31:32]
	v_add_f64 v[13:14], v[13:14], v[19:20]
	s_waitcnt vmcnt(13) lgkmcnt(1)
	v_mul_f64 v[19:20], v[1:2], v[29:30]
	v_mul_f64 v[29:30], v[3:4], v[29:30]
	s_waitcnt vmcnt(12)
	v_fma_f64 v[25:26], v[5:6], v[97:98], -v[25:26]
	v_fma_f64 v[21:22], v[7:8], v[97:98], v[21:22]
	ds_read_b128 v[5:8], v60 offset:1648
	v_add_f64 v[15:16], v[15:16], v[23:24]
	v_add_f64 v[13:14], v[13:14], v[27:28]
	s_waitcnt vmcnt(11) lgkmcnt(1)
	v_mul_f64 v[27:28], v[11:12], v[73:74]
	v_mul_f64 v[23:24], v[9:10], v[73:74]
	s_waitcnt vmcnt(9)
	v_fma_f64 v[1:2], v[1:2], v[58:59], -v[29:30]
	v_fma_f64 v[3:4], v[3:4], v[58:59], v[19:20]
	v_add_f64 v[15:16], v[15:16], v[25:26]
	v_add_f64 v[13:14], v[13:14], v[21:22]
	s_waitcnt vmcnt(7) lgkmcnt(0)
	v_mul_f64 v[21:22], v[7:8], v[35:36]
	s_waitcnt vmcnt(6)
	v_fma_f64 v[9:10], v[9:10], v[91:92], -v[27:28]
	v_mul_f64 v[19:20], v[5:6], v[35:36]
	v_fma_f64 v[11:12], v[11:12], v[91:92], v[23:24]
	v_add_f64 v[1:2], v[15:16], v[1:2]
	v_add_f64 v[3:4], v[13:14], v[3:4]
	s_waitcnt vmcnt(4)
	v_fma_f64 v[5:6], v[5:6], v[69:70], -v[21:22]
	v_fma_f64 v[7:8], v[7:8], v[69:70], v[19:20]
	v_add_f64 v[1:2], v[1:2], v[9:10]
	v_add_f64 v[3:4], v[3:4], v[11:12]
	;; [unrolled: 1-line block ×4, first 2 shown]
	s_waitcnt vmcnt(2)
	v_add_f64 v[1:2], v[17:18], -v[1:2]
	s_waitcnt vmcnt(0)
	v_add_f64 v[3:4], v[75:76], -v[3:4]
	buffer_store_dword v2, off, s[0:3], 0 offset:100
	buffer_store_dword v1, off, s[0:3], 0 offset:96
	;; [unrolled: 1-line block ×4, first 2 shown]
	v_cmpx_lt_u32_e32 4, v0
	s_cbranch_execz .LBB51_317
; %bb.316:
	v_mov_b32_e32 v4, s60
	v_mov_b32_e32 v5, 0
	s_clause 0x3
	buffer_load_dword v1, v4, s[0:3], 0 offen
	buffer_load_dword v2, v4, s[0:3], 0 offen offset:4
	buffer_load_dword v3, v4, s[0:3], 0 offen offset:8
	;; [unrolled: 1-line block ×3, first 2 shown]
	buffer_store_dword v5, off, s[0:3], 0 offset:80
	buffer_store_dword v5, off, s[0:3], 0 offset:84
	;; [unrolled: 1-line block ×4, first 2 shown]
	s_waitcnt vmcnt(0)
	ds_write_b128 v39, v[1:4]
.LBB51_317:
	s_or_b32 exec_lo, exec_lo, s4
	s_waitcnt lgkmcnt(0)
	s_waitcnt_vscnt null, 0x0
	s_barrier
	buffer_gl0_inv
	s_clause 0x37
	buffer_load_dword v17, off, s[0:3], 0 offset:104
	buffer_load_dword v18, off, s[0:3], 0 offset:108
	;; [unrolled: 1-line block ×56, first 2 shown]
	v_mov_b32_e32 v60, 0
	s_mov_b32 s4, exec_lo
	ds_read_b128 v[5:8], v60 offset:912
	s_clause 0x2
	buffer_load_dword v88, off, s[0:3], 0 offset:332
	buffer_load_dword v90, off, s[0:3], 0 offset:308
	;; [unrolled: 1-line block ×3, first 2 shown]
	ds_read_b128 v[1:4], v60 offset:928
	s_clause 0x4
	buffer_load_dword v98, off, s[0:3], 0 offset:348
	buffer_load_dword v99, off, s[0:3], 0 offset:360
	;; [unrolled: 1-line block ×5, first 2 shown]
	ds_read_b128 v[91:94], v60 offset:944
	s_waitcnt vmcnt(62) lgkmcnt(2)
	v_mul_f64 v[95:96], v[7:8], v[17:18]
	v_mul_f64 v[17:18], v[5:6], v[17:18]
	s_waitcnt vmcnt(60) lgkmcnt(1)
	v_mul_f64 v[102:103], v[3:4], v[13:14]
	v_mul_f64 v[13:14], v[1:2], v[13:14]
	;; [unrolled: 3-line block ×3, first 2 shown]
	v_fma_f64 v[95:96], v[5:6], v[15:16], -v[95:96]
	v_fma_f64 v[15:16], v[7:8], v[15:16], v[17:18]
	s_clause 0x2
	buffer_load_dword v100, off, s[0:3], 0 offset:364
	buffer_load_dword v18, off, s[0:3], 0 offset:340
	;; [unrolled: 1-line block ×3, first 2 shown]
	s_waitcnt vmcnt(57)
	v_fma_f64 v[106:107], v[1:2], v[9:10], -v[102:103]
	ds_read_b128 v[5:8], v60 offset:960
	v_fma_f64 v[9:10], v[3:4], v[9:10], v[13:14]
	s_waitcnt vmcnt(51)
	v_fma_f64 v[91:92], v[91:92], v[33:34], -v[11:12]
	v_fma_f64 v[33:34], v[93:94], v[33:34], v[104:105]
	v_add_f64 v[95:96], v[95:96], 0
	v_add_f64 v[13:14], v[15:16], 0
	s_clause 0x4
	buffer_load_dword v16, off, s[0:3], 0 offset:380
	buffer_load_dword v103, off, s[0:3], 0 offset:392
	;; [unrolled: 1-line block ×5, first 2 shown]
	s_waitcnt lgkmcnt(0)
	v_mul_f64 v[109:110], v[5:6], v[21:22]
	v_mul_f64 v[21:22], v[7:8], v[21:22]
	ds_read_b128 v[1:4], v60 offset:976
	s_clause 0x2
	buffer_load_dword v104, off, s[0:3], 0 offset:396
	buffer_load_dword v94, off, s[0:3], 0 offset:372
	;; [unrolled: 1-line block ×3, first 2 shown]
	v_add_f64 v[95:96], v[95:96], v[106:107]
	v_add_f64 v[13:14], v[13:14], v[9:10]
	ds_read_b128 v[9:12], v60 offset:992
	s_waitcnt vmcnt(58) lgkmcnt(1)
	v_mul_f64 v[105:106], v[1:2], v[25:26]
	v_mul_f64 v[25:26], v[3:4], v[25:26]
	s_waitcnt vmcnt(56)
	v_fma_f64 v[21:22], v[5:6], v[27:28], -v[21:22]
	v_fma_f64 v[27:28], v[7:8], v[27:28], v[109:110]
	s_waitcnt vmcnt(52) lgkmcnt(0)
	v_mul_f64 v[111:112], v[9:10], v[29:30]
	v_add_f64 v[91:92], v[95:96], v[91:92]
	v_add_f64 v[13:14], v[13:14], v[33:34]
	s_clause 0x4
	buffer_load_dword v34, off, s[0:3], 0 offset:412
	buffer_load_dword v95, off, s[0:3], 0 offset:424
	;; [unrolled: 1-line block ×5, first 2 shown]
	v_mul_f64 v[29:30], v[11:12], v[29:30]
	s_waitcnt vmcnt(56)
	v_fma_f64 v[25:26], v[1:2], v[19:20], -v[25:26]
	ds_read_b128 v[5:8], v60 offset:1008
	v_fma_f64 v[19:20], v[3:4], v[19:20], v[105:106]
	v_add_f64 v[21:22], v[91:92], v[21:22]
	v_add_f64 v[13:14], v[13:14], v[27:28]
	s_clause 0x2
	buffer_load_dword v96, off, s[0:3], 0 offset:428
	buffer_load_dword v28, off, s[0:3], 0 offset:404
	;; [unrolled: 1-line block ×3, first 2 shown]
	s_waitcnt vmcnt(58) lgkmcnt(0)
	v_mul_f64 v[91:92], v[5:6], v[35:36]
	v_mul_f64 v[35:36], v[7:8], v[35:36]
	s_waitcnt vmcnt(56)
	v_fma_f64 v[29:30], v[9:10], v[37:38], -v[29:30]
	ds_read_b128 v[1:4], v60 offset:1024
	v_add_f64 v[21:22], v[21:22], v[25:26]
	v_fma_f64 v[25:26], v[11:12], v[37:38], v[111:112]
	v_add_f64 v[13:14], v[13:14], v[19:20]
	s_clause 0x4
	buffer_load_dword v20, off, s[0:3], 0 offset:444
	buffer_load_dword v37, off, s[0:3], 0 offset:456
	;; [unrolled: 1-line block ×5, first 2 shown]
	s_waitcnt vmcnt(57) lgkmcnt(0)
	v_mul_f64 v[106:107], v[1:2], v[58:59]
	v_mul_f64 v[58:59], v[3:4], v[58:59]
	s_waitcnt vmcnt(56)
	v_fma_f64 v[35:36], v[5:6], v[23:24], -v[35:36]
	ds_read_b128 v[9:12], v60 offset:1040
	v_fma_f64 v[23:24], v[7:8], v[23:24], v[91:92]
	v_add_f64 v[21:22], v[21:22], v[29:30]
	v_add_f64 v[13:14], v[13:14], v[25:26]
	s_clause 0x2
	buffer_load_dword v38, off, s[0:3], 0 offset:460
	buffer_load_dword v26, off, s[0:3], 0 offset:436
	;; [unrolled: 1-line block ×3, first 2 shown]
	ds_read_b128 v[5:8], v60 offset:1056
	s_waitcnt vmcnt(58) lgkmcnt(1)
	v_mul_f64 v[29:30], v[9:10], v[65:66]
	v_mul_f64 v[65:66], v[11:12], v[65:66]
	s_waitcnt vmcnt(56)
	v_fma_f64 v[58:59], v[1:2], v[67:68], -v[58:59]
	v_add_f64 v[21:22], v[21:22], v[35:36]
	v_fma_f64 v[35:36], v[3:4], v[67:68], v[106:107]
	v_add_f64 v[13:14], v[13:14], v[23:24]
	s_clause 0x4
	buffer_load_dword v24, off, s[0:3], 0 offset:476
	buffer_load_dword v67, off, s[0:3], 0 offset:488
	;; [unrolled: 1-line block ×5, first 2 shown]
	s_waitcnt vmcnt(57) lgkmcnt(0)
	v_mul_f64 v[112:113], v[5:6], v[69:70]
	v_mul_f64 v[69:70], v[7:8], v[69:70]
	s_waitcnt vmcnt(56)
	v_fma_f64 v[65:66], v[9:10], v[31:32], -v[65:66]
	ds_read_b128 v[1:4], v60 offset:1072
	v_fma_f64 v[29:30], v[11:12], v[31:32], v[29:30]
	s_clause 0x2
	buffer_load_dword v68, off, s[0:3], 0 offset:492
	buffer_load_dword v32, off, s[0:3], 0 offset:468
	;; [unrolled: 1-line block ×3, first 2 shown]
	ds_read_b128 v[9:12], v60 offset:1088
	v_add_f64 v[21:22], v[21:22], v[58:59]
	v_add_f64 v[13:14], v[13:14], v[35:36]
	s_waitcnt vmcnt(58) lgkmcnt(1)
	v_mul_f64 v[58:59], v[3:4], v[73:74]
	s_waitcnt vmcnt(56)
	v_fma_f64 v[69:70], v[5:6], v[75:76], -v[69:70]
	v_mul_f64 v[35:36], v[1:2], v[73:74]
	v_add_f64 v[21:22], v[21:22], v[65:66]
	v_fma_f64 v[65:66], v[7:8], v[75:76], v[112:113]
	v_add_f64 v[13:14], v[13:14], v[29:30]
	s_clause 0x4
	buffer_load_dword v30, off, s[0:3], 0 offset:508
	buffer_load_dword v73, off, s[0:3], 0 offset:520
	;; [unrolled: 1-line block ×5, first 2 shown]
	s_waitcnt vmcnt(57) lgkmcnt(0)
	v_mul_f64 v[112:113], v[9:10], v[77:78]
	v_mul_f64 v[76:77], v[11:12], v[77:78]
	s_waitcnt vmcnt(56)
	v_fma_f64 v[58:59], v[1:2], v[63:64], -v[58:59]
	ds_read_b128 v[5:8], v60 offset:1104
	v_fma_f64 v[35:36], v[3:4], v[63:64], v[35:36]
	s_clause 0x2
	buffer_load_dword v74, off, s[0:3], 0 offset:524
	buffer_load_dword v64, off, s[0:3], 0 offset:500
	;; [unrolled: 1-line block ×3, first 2 shown]
	ds_read_b128 v[1:4], v60 offset:1120
	v_add_f64 v[21:22], v[21:22], v[69:70]
	v_add_f64 v[13:14], v[13:14], v[65:66]
	s_waitcnt vmcnt(58) lgkmcnt(1)
	v_mul_f64 v[69:70], v[7:8], v[81:82]
	s_waitcnt vmcnt(56)
	v_fma_f64 v[77:78], v[9:10], v[83:84], -v[76:77]
	v_mul_f64 v[65:66], v[5:6], v[81:82]
	v_add_f64 v[21:22], v[21:22], v[58:59]
	v_fma_f64 v[58:59], v[11:12], v[83:84], v[112:113]
	v_add_f64 v[13:14], v[13:14], v[35:36]
	s_clause 0x4
	buffer_load_dword v36, off, s[0:3], 0 offset:540
	buffer_load_dword v81, off, s[0:3], 0 offset:552
	;; [unrolled: 1-line block ×5, first 2 shown]
	s_waitcnt vmcnt(57) lgkmcnt(0)
	v_mul_f64 v[112:113], v[1:2], v[85:86]
	v_mul_f64 v[84:85], v[3:4], v[85:86]
	s_waitcnt vmcnt(56)
	v_fma_f64 v[69:70], v[5:6], v[71:72], -v[69:70]
	ds_read_b128 v[9:12], v60 offset:1136
	v_fma_f64 v[65:66], v[7:8], v[71:72], v[65:66]
	v_add_f64 v[21:22], v[21:22], v[77:78]
	v_add_f64 v[13:14], v[13:14], v[58:59]
	s_clause 0x2
	buffer_load_dword v82, off, s[0:3], 0 offset:556
	buffer_load_dword v59, off, s[0:3], 0 offset:532
	;; [unrolled: 1-line block ×3, first 2 shown]
	ds_read_b128 v[5:8], v60 offset:1152
	s_waitcnt vmcnt(58) lgkmcnt(1)
	v_mul_f64 v[77:78], v[11:12], v[87:88]
	s_waitcnt vmcnt(56)
	v_fma_f64 v[85:86], v[1:2], v[89:90], -v[84:85]
	v_mul_f64 v[71:72], v[9:10], v[87:88]
	v_add_f64 v[21:22], v[21:22], v[69:70]
	v_fma_f64 v[69:70], v[3:4], v[89:90], v[112:113]
	v_add_f64 v[13:14], v[13:14], v[65:66]
	s_clause 0x4
	buffer_load_dword v66, off, s[0:3], 0 offset:572
	buffer_load_dword v87, off, s[0:3], 0 offset:584
	;; [unrolled: 1-line block ×5, first 2 shown]
	s_waitcnt vmcnt(57) lgkmcnt(0)
	v_mul_f64 v[112:113], v[5:6], v[97:98]
	v_mul_f64 v[97:98], v[7:8], v[97:98]
	s_waitcnt vmcnt(56)
	v_fma_f64 v[77:78], v[9:10], v[79:80], -v[77:78]
	ds_read_b128 v[1:4], v60 offset:1168
	v_fma_f64 v[71:72], v[11:12], v[79:80], v[71:72]
	v_add_f64 v[21:22], v[21:22], v[85:86]
	v_add_f64 v[13:14], v[13:14], v[69:70]
	s_clause 0x2
	buffer_load_dword v88, off, s[0:3], 0 offset:588
	buffer_load_dword v70, off, s[0:3], 0 offset:564
	;; [unrolled: 1-line block ×3, first 2 shown]
	ds_read_b128 v[9:12], v60 offset:1184
	s_waitcnt vmcnt(58) lgkmcnt(1)
	v_mul_f64 v[85:86], v[3:4], v[99:100]
	v_mul_f64 v[79:80], v[1:2], v[99:100]
	s_waitcnt vmcnt(56)
	v_fma_f64 v[97:98], v[5:6], v[17:18], -v[97:98]
	v_fma_f64 v[17:18], v[7:8], v[17:18], v[112:113]
	v_add_f64 v[21:22], v[21:22], v[77:78]
	v_add_f64 v[13:14], v[13:14], v[71:72]
	s_clause 0x4
	buffer_load_dword v72, off, s[0:3], 0 offset:604
	buffer_load_dword v77, off, s[0:3], 0 offset:616
	;; [unrolled: 1-line block ×5, first 2 shown]
	ds_read_b128 v[5:8], v60 offset:1200
	s_waitcnt vmcnt(57) lgkmcnt(1)
	v_mul_f64 v[112:113], v[9:10], v[15:16]
	v_mul_f64 v[15:16], v[11:12], v[15:16]
	s_waitcnt vmcnt(56)
	v_fma_f64 v[85:86], v[1:2], v[101:102], -v[85:86]
	v_fma_f64 v[79:80], v[3:4], v[101:102], v[79:80]
	v_add_f64 v[21:22], v[21:22], v[97:98]
	v_add_f64 v[13:14], v[13:14], v[17:18]
	s_clause 0x2
	buffer_load_dword v78, off, s[0:3], 0 offset:620
	buffer_load_dword v18, off, s[0:3], 0 offset:596
	;; [unrolled: 1-line block ×3, first 2 shown]
	s_waitcnt vmcnt(58) lgkmcnt(0)
	v_mul_f64 v[101:102], v[7:8], v[103:104]
	ds_read_b128 v[1:4], v60 offset:1216
	v_mul_f64 v[97:98], v[5:6], v[103:104]
	s_waitcnt vmcnt(56)
	v_fma_f64 v[15:16], v[9:10], v[93:94], -v[15:16]
	v_add_f64 v[21:22], v[21:22], v[85:86]
	v_fma_f64 v[85:86], v[11:12], v[93:94], v[112:113]
	v_add_f64 v[13:14], v[13:14], v[79:80]
	s_clause 0x4
	buffer_load_dword v80, off, s[0:3], 0 offset:636
	buffer_load_dword v93, off, s[0:3], 0 offset:648
	;; [unrolled: 1-line block ×5, first 2 shown]
	ds_read_b128 v[9:12], v60 offset:1232
	s_waitcnt vmcnt(57) lgkmcnt(1)
	v_mul_f64 v[112:113], v[1:2], v[33:34]
	v_mul_f64 v[33:34], v[3:4], v[33:34]
	s_waitcnt vmcnt(56)
	v_fma_f64 v[101:102], v[5:6], v[108:109], -v[101:102]
	v_add_f64 v[15:16], v[21:22], v[15:16]
	v_fma_f64 v[21:22], v[7:8], v[108:109], v[97:98]
	v_add_f64 v[13:14], v[13:14], v[85:86]
	s_clause 0x2
	buffer_load_dword v94, off, s[0:3], 0 offset:652
	buffer_load_dword v86, off, s[0:3], 0 offset:628
	;; [unrolled: 1-line block ×3, first 2 shown]
	ds_read_b128 v[5:8], v60 offset:1248
	s_waitcnt vmcnt(58) lgkmcnt(1)
	v_mul_f64 v[97:98], v[9:10], v[95:96]
	v_mul_f64 v[95:96], v[11:12], v[95:96]
	s_waitcnt vmcnt(56)
	v_fma_f64 v[33:34], v[1:2], v[27:28], -v[33:34]
	v_fma_f64 v[27:28], v[3:4], v[27:28], v[112:113]
	v_add_f64 v[15:16], v[15:16], v[101:102]
	v_add_f64 v[13:14], v[13:14], v[21:22]
	s_clause 0x4
	buffer_load_dword v22, off, s[0:3], 0 offset:668
	buffer_load_dword v101, off, s[0:3], 0 offset:680
	;; [unrolled: 1-line block ×5, first 2 shown]
	ds_read_b128 v[1:4], v60 offset:1264
	s_waitcnt vmcnt(57) lgkmcnt(1)
	v_mul_f64 v[108:109], v[5:6], v[19:20]
	v_mul_f64 v[19:20], v[7:8], v[19:20]
	s_waitcnt vmcnt(56)
	v_fma_f64 v[95:96], v[9:10], v[110:111], -v[95:96]
	v_add_f64 v[15:16], v[15:16], v[33:34]
	v_fma_f64 v[33:34], v[11:12], v[110:111], v[97:98]
	v_add_f64 v[13:14], v[13:14], v[27:28]
	s_clause 0x2
	buffer_load_dword v102, off, s[0:3], 0 offset:684
	buffer_load_dword v28, off, s[0:3], 0 offset:660
	;; [unrolled: 1-line block ×3, first 2 shown]
	ds_read_b128 v[9:12], v60 offset:1280
	s_waitcnt vmcnt(58) lgkmcnt(1)
	v_mul_f64 v[97:98], v[1:2], v[37:38]
	v_mul_f64 v[37:38], v[3:4], v[37:38]
	s_waitcnt vmcnt(56)
	v_fma_f64 v[19:20], v[5:6], v[25:26], -v[19:20]
	v_fma_f64 v[25:26], v[7:8], v[25:26], v[108:109]
	v_add_f64 v[15:16], v[15:16], v[95:96]
	v_add_f64 v[13:14], v[13:14], v[33:34]
	s_clause 0x4
	buffer_load_dword v34, off, s[0:3], 0 offset:700
	buffer_load_dword v95, off, s[0:3], 0 offset:712
	;; [unrolled: 1-line block ×5, first 2 shown]
	ds_read_b128 v[5:8], v60 offset:1296
	s_waitcnt vmcnt(57) lgkmcnt(1)
	v_mul_f64 v[110:111], v[9:10], v[23:24]
	v_mul_f64 v[23:24], v[11:12], v[23:24]
	s_waitcnt vmcnt(56)
	v_fma_f64 v[37:38], v[1:2], v[105:106], -v[37:38]
	v_add_f64 v[15:16], v[15:16], v[19:20]
	v_fma_f64 v[19:20], v[3:4], v[105:106], v[97:98]
	v_add_f64 v[13:14], v[13:14], v[25:26]
	s_clause 0x2
	buffer_load_dword v96, off, s[0:3], 0 offset:716
	buffer_load_dword v26, off, s[0:3], 0 offset:692
	;; [unrolled: 1-line block ×3, first 2 shown]
	s_waitcnt vmcnt(58) lgkmcnt(0)
	v_mul_f64 v[97:98], v[5:6], v[67:68]
	v_mul_f64 v[67:68], v[7:8], v[67:68]
	ds_read_b128 v[1:4], v60 offset:1312
	s_waitcnt vmcnt(56)
	v_fma_f64 v[23:24], v[9:10], v[31:32], -v[23:24]
	v_fma_f64 v[31:32], v[11:12], v[31:32], v[110:111]
	v_add_f64 v[15:16], v[15:16], v[37:38]
	v_add_f64 v[13:14], v[13:14], v[19:20]
	s_clause 0x4
	buffer_load_dword v20, off, s[0:3], 0 offset:732
	buffer_load_dword v37, off, s[0:3], 0 offset:744
	;; [unrolled: 1-line block ×5, first 2 shown]
	ds_read_b128 v[9:12], v60 offset:1328
	s_waitcnt vmcnt(57) lgkmcnt(1)
	v_mul_f64 v[111:112], v[1:2], v[29:30]
	v_mul_f64 v[29:30], v[3:4], v[29:30]
	s_waitcnt vmcnt(56)
	v_fma_f64 v[67:68], v[5:6], v[91:92], -v[67:68]
	v_add_f64 v[15:16], v[15:16], v[23:24]
	v_fma_f64 v[23:24], v[7:8], v[91:92], v[97:98]
	v_add_f64 v[13:14], v[13:14], v[31:32]
	s_clause 0x2
	buffer_load_dword v38, off, s[0:3], 0 offset:748
	buffer_load_dword v32, off, s[0:3], 0 offset:724
	;; [unrolled: 1-line block ×3, first 2 shown]
	s_waitcnt vmcnt(58) lgkmcnt(0)
	v_mul_f64 v[91:92], v[9:10], v[73:74]
	v_mul_f64 v[73:74], v[11:12], v[73:74]
	ds_read_b128 v[5:8], v60 offset:1344
	s_waitcnt vmcnt(56)
	v_fma_f64 v[29:30], v[1:2], v[63:64], -v[29:30]
	v_fma_f64 v[63:64], v[3:4], v[63:64], v[111:112]
	v_add_f64 v[15:16], v[15:16], v[67:68]
	v_add_f64 v[13:14], v[13:14], v[23:24]
	s_clause 0x4
	buffer_load_dword v24, off, s[0:3], 0 offset:764
	buffer_load_dword v67, off, s[0:3], 0 offset:776
	;; [unrolled: 1-line block ×5, first 2 shown]
	ds_read_b128 v[1:4], v60 offset:1360
	s_waitcnt vmcnt(57) lgkmcnt(1)
	v_mul_f64 v[111:112], v[5:6], v[35:36]
	v_mul_f64 v[35:36], v[7:8], v[35:36]
	s_waitcnt vmcnt(56)
	v_fma_f64 v[73:74], v[9:10], v[75:76], -v[73:74]
	v_add_f64 v[15:16], v[15:16], v[29:30]
	v_fma_f64 v[29:30], v[11:12], v[75:76], v[91:92]
	v_add_f64 v[13:14], v[13:14], v[63:64]
	s_clause 0x2
	buffer_load_dword v68, off, s[0:3], 0 offset:780
	buffer_load_dword v64, off, s[0:3], 0 offset:756
	;; [unrolled: 1-line block ×3, first 2 shown]
	ds_read_b128 v[9:12], v60 offset:1376
	s_waitcnt vmcnt(58) lgkmcnt(1)
	v_mul_f64 v[75:76], v[1:2], v[81:82]
	v_mul_f64 v[81:82], v[3:4], v[81:82]
	s_waitcnt vmcnt(56)
	v_fma_f64 v[35:36], v[5:6], v[58:59], -v[35:36]
	v_fma_f64 v[58:59], v[7:8], v[58:59], v[111:112]
	v_add_f64 v[15:16], v[15:16], v[73:74]
	v_add_f64 v[13:14], v[13:14], v[29:30]
	s_clause 0x4
	buffer_load_dword v30, off, s[0:3], 0 offset:796
	buffer_load_dword v73, off, s[0:3], 0 offset:808
	;; [unrolled: 1-line block ×5, first 2 shown]
	ds_read_b128 v[5:8], v60 offset:1392
	s_waitcnt vmcnt(57) lgkmcnt(1)
	v_mul_f64 v[111:112], v[9:10], v[65:66]
	v_mul_f64 v[65:66], v[11:12], v[65:66]
	s_waitcnt vmcnt(56)
	v_fma_f64 v[81:82], v[1:2], v[83:84], -v[81:82]
	v_add_f64 v[15:16], v[15:16], v[35:36]
	v_fma_f64 v[35:36], v[3:4], v[83:84], v[75:76]
	v_add_f64 v[13:14], v[13:14], v[58:59]
	s_clause 0x2
	buffer_load_dword v74, off, s[0:3], 0 offset:812
	buffer_load_dword v59, off, s[0:3], 0 offset:788
	;; [unrolled: 1-line block ×3, first 2 shown]
	ds_read_b128 v[1:4], v60 offset:1408
	s_waitcnt vmcnt(58) lgkmcnt(1)
	v_mul_f64 v[83:84], v[7:8], v[87:88]
	v_mul_f64 v[75:76], v[5:6], v[87:88]
	s_waitcnt vmcnt(56)
	v_fma_f64 v[65:66], v[9:10], v[69:70], -v[65:66]
	v_fma_f64 v[69:70], v[11:12], v[69:70], v[111:112]
	v_add_f64 v[15:16], v[15:16], v[81:82]
	v_add_f64 v[13:14], v[13:14], v[35:36]
	s_clause 0x4
	buffer_load_dword v36, off, s[0:3], 0 offset:828
	buffer_load_dword v81, off, s[0:3], 0 offset:840
	;; [unrolled: 1-line block ×5, first 2 shown]
	ds_read_b128 v[9:12], v60 offset:1424
	s_waitcnt vmcnt(57) lgkmcnt(1)
	v_mul_f64 v[111:112], v[1:2], v[71:72]
	v_mul_f64 v[71:72], v[3:4], v[71:72]
	s_waitcnt vmcnt(56)
	v_fma_f64 v[83:84], v[5:6], v[89:90], -v[83:84]
	v_add_f64 v[15:16], v[15:16], v[65:66]
	v_fma_f64 v[65:66], v[7:8], v[89:90], v[75:76]
	v_add_f64 v[13:14], v[13:14], v[69:70]
	s_clause 0x2
	buffer_load_dword v82, off, s[0:3], 0 offset:844
	buffer_load_dword v70, off, s[0:3], 0 offset:820
	;; [unrolled: 1-line block ×3, first 2 shown]
	ds_read_b128 v[5:8], v60 offset:1440
	buffer_load_dword v88, off, s[0:3], 0 offset:836
	s_waitcnt vmcnt(59) lgkmcnt(1)
	v_mul_f64 v[75:76], v[9:10], v[77:78]
	v_mul_f64 v[77:78], v[11:12], v[77:78]
	s_waitcnt vmcnt(57)
	v_fma_f64 v[71:72], v[1:2], v[17:18], -v[71:72]
	v_fma_f64 v[17:18], v[3:4], v[17:18], v[111:112]
	ds_read_b128 v[1:4], v60 offset:1456
	v_add_f64 v[15:16], v[15:16], v[83:84]
	v_add_f64 v[13:14], v[13:14], v[65:66]
	s_waitcnt vmcnt(53) lgkmcnt(1)
	v_mul_f64 v[65:66], v[5:6], v[79:80]
	v_mul_f64 v[79:80], v[7:8], v[79:80]
	s_waitcnt vmcnt(52)
	v_fma_f64 v[77:78], v[9:10], v[99:100], -v[77:78]
	v_add_f64 v[15:16], v[15:16], v[71:72]
	v_fma_f64 v[71:72], v[11:12], v[99:100], v[75:76]
	v_add_f64 v[13:14], v[13:14], v[17:18]
	ds_read_b128 v[9:12], v60 offset:1472
	s_waitcnt vmcnt(51) lgkmcnt(1)
	v_mul_f64 v[75:76], v[3:4], v[93:94]
	v_mul_f64 v[17:18], v[1:2], v[93:94]
	s_waitcnt vmcnt(49)
	v_fma_f64 v[79:80], v[5:6], v[85:86], -v[79:80]
	v_fma_f64 v[65:66], v[7:8], v[85:86], v[65:66]
	v_add_f64 v[15:16], v[15:16], v[77:78]
	v_add_f64 v[13:14], v[13:14], v[71:72]
	s_clause 0x3
	buffer_load_dword v71, off, s[0:3], 0 offset:80
	buffer_load_dword v72, off, s[0:3], 0 offset:84
	;; [unrolled: 1-line block ×4, first 2 shown]
	ds_read_b128 v[5:8], v60 offset:1488
	s_waitcnt vmcnt(49) lgkmcnt(1)
	v_mul_f64 v[83:84], v[9:10], v[21:22]
	v_mul_f64 v[21:22], v[11:12], v[21:22]
	s_waitcnt vmcnt(48)
	v_fma_f64 v[75:76], v[1:2], v[103:104], -v[75:76]
	v_fma_f64 v[17:18], v[3:4], v[103:104], v[17:18]
	ds_read_b128 v[1:4], v60 offset:1504
	v_add_f64 v[15:16], v[15:16], v[79:80]
	v_add_f64 v[13:14], v[13:14], v[65:66]
	s_waitcnt vmcnt(47) lgkmcnt(1)
	v_mul_f64 v[79:80], v[7:8], v[101:102]
	v_mul_f64 v[65:66], v[5:6], v[101:102]
	s_waitcnt vmcnt(45)
	v_fma_f64 v[21:22], v[9:10], v[27:28], -v[21:22]
	v_fma_f64 v[27:28], v[11:12], v[27:28], v[83:84]
	ds_read_b128 v[9:12], v60 offset:1520
	v_add_f64 v[15:16], v[15:16], v[75:76]
	v_add_f64 v[13:14], v[13:14], v[17:18]
	s_waitcnt vmcnt(41) lgkmcnt(1)
	v_mul_f64 v[17:18], v[1:2], v[33:34]
	v_mul_f64 v[33:34], v[3:4], v[33:34]
	s_waitcnt vmcnt(40)
	v_fma_f64 v[75:76], v[5:6], v[107:108], -v[79:80]
	v_add_f64 v[15:16], v[15:16], v[21:22]
	v_fma_f64 v[21:22], v[7:8], v[107:108], v[65:66]
	v_add_f64 v[13:14], v[13:14], v[27:28]
	ds_read_b128 v[5:8], v60 offset:1536
	s_waitcnt vmcnt(39) lgkmcnt(1)
	v_mul_f64 v[65:66], v[11:12], v[95:96]
	v_mul_f64 v[27:28], v[9:10], v[95:96]
	s_waitcnt vmcnt(37)
	v_fma_f64 v[33:34], v[1:2], v[25:26], -v[33:34]
	v_fma_f64 v[17:18], v[3:4], v[25:26], v[17:18]
	ds_read_b128 v[1:4], v60 offset:1552
	v_add_f64 v[15:16], v[15:16], v[75:76]
	v_add_f64 v[13:14], v[13:14], v[21:22]
	s_waitcnt vmcnt(33) lgkmcnt(1)
	v_mul_f64 v[21:22], v[5:6], v[19:20]
	v_mul_f64 v[19:20], v[7:8], v[19:20]
	s_waitcnt vmcnt(32)
	v_fma_f64 v[25:26], v[9:10], v[109:110], -v[65:66]
	v_fma_f64 v[27:28], v[11:12], v[109:110], v[27:28]
	ds_read_b128 v[9:12], v60 offset:1568
	v_add_f64 v[15:16], v[15:16], v[33:34]
	v_add_f64 v[13:14], v[13:14], v[17:18]
	;; [unrolled: 9-line block ×5, first 2 shown]
	s_waitcnt vmcnt(17) lgkmcnt(1)
	v_mul_f64 v[27:28], v[3:4], v[29:30]
	s_waitcnt vmcnt(16)
	v_fma_f64 v[21:22], v[5:6], v[97:98], -v[21:22]
	v_mul_f64 v[17:18], v[1:2], v[29:30]
	v_fma_f64 v[19:20], v[7:8], v[97:98], v[19:20]
	ds_read_b128 v[5:8], v60 offset:1632
	v_add_f64 v[15:16], v[15:16], v[23:24]
	v_add_f64 v[13:14], v[13:14], v[25:26]
	s_waitcnt vmcnt(15) lgkmcnt(1)
	v_mul_f64 v[25:26], v[11:12], v[73:74]
	v_mul_f64 v[23:24], v[9:10], v[73:74]
	s_waitcnt vmcnt(13)
	v_fma_f64 v[27:28], v[1:2], v[58:59], -v[27:28]
	v_fma_f64 v[17:18], v[3:4], v[58:59], v[17:18]
	ds_read_b128 v[1:4], v60 offset:1648
	v_add_f64 v[15:16], v[15:16], v[21:22]
	v_add_f64 v[13:14], v[13:14], v[19:20]
	s_waitcnt vmcnt(9) lgkmcnt(1)
	v_mul_f64 v[21:22], v[7:8], v[35:36]
	s_waitcnt vmcnt(8)
	v_fma_f64 v[9:10], v[9:10], v[91:92], -v[25:26]
	v_mul_f64 v[19:20], v[5:6], v[35:36]
	v_fma_f64 v[11:12], v[11:12], v[91:92], v[23:24]
	v_add_f64 v[15:16], v[15:16], v[27:28]
	v_add_f64 v[13:14], v[13:14], v[17:18]
	s_waitcnt vmcnt(7) lgkmcnt(0)
	v_mul_f64 v[23:24], v[3:4], v[81:82]
	v_mul_f64 v[17:18], v[1:2], v[81:82]
	s_waitcnt vmcnt(5)
	v_fma_f64 v[5:6], v[5:6], v[69:70], -v[21:22]
	v_fma_f64 v[7:8], v[7:8], v[69:70], v[19:20]
	v_add_f64 v[9:10], v[15:16], v[9:10]
	v_add_f64 v[11:12], v[13:14], v[11:12]
	s_waitcnt vmcnt(4)
	v_fma_f64 v[1:2], v[1:2], v[87:88], -v[23:24]
	v_fma_f64 v[3:4], v[3:4], v[87:88], v[17:18]
	v_add_f64 v[5:6], v[9:10], v[5:6]
	v_add_f64 v[7:8], v[11:12], v[7:8]
	;; [unrolled: 1-line block ×4, first 2 shown]
	s_waitcnt vmcnt(2)
	v_add_f64 v[1:2], v[71:72], -v[1:2]
	s_waitcnt vmcnt(0)
	v_add_f64 v[3:4], v[77:78], -v[3:4]
	buffer_store_dword v2, off, s[0:3], 0 offset:84
	buffer_store_dword v1, off, s[0:3], 0 offset:80
	;; [unrolled: 1-line block ×4, first 2 shown]
	v_cmpx_lt_u32_e32 3, v0
	s_cbranch_execz .LBB51_319
; %bb.318:
	v_mov_b32_e32 v4, s61
	s_clause 0x3
	buffer_load_dword v1, v4, s[0:3], 0 offen
	buffer_load_dword v2, v4, s[0:3], 0 offen offset:4
	buffer_load_dword v3, v4, s[0:3], 0 offen offset:8
	;; [unrolled: 1-line block ×3, first 2 shown]
	buffer_store_dword v60, off, s[0:3], 0 offset:64
	buffer_store_dword v60, off, s[0:3], 0 offset:68
	;; [unrolled: 1-line block ×4, first 2 shown]
	s_waitcnt vmcnt(0)
	ds_write_b128 v39, v[1:4]
.LBB51_319:
	s_or_b32 exec_lo, exec_lo, s4
	s_waitcnt lgkmcnt(0)
	s_waitcnt_vscnt null, 0x0
	s_barrier
	buffer_gl0_inv
	s_clause 0x37
	buffer_load_dword v17, off, s[0:3], 0 offset:88
	buffer_load_dword v18, off, s[0:3], 0 offset:92
	;; [unrolled: 1-line block ×56, first 2 shown]
	ds_read_b128 v[5:8], v60 offset:896
	s_clause 0x2
	buffer_load_dword v88, off, s[0:3], 0 offset:316
	buffer_load_dword v90, off, s[0:3], 0 offset:292
	;; [unrolled: 1-line block ×3, first 2 shown]
	ds_read_b128 v[1:4], v60 offset:912
	s_clause 0x4
	buffer_load_dword v98, off, s[0:3], 0 offset:332
	buffer_load_dword v99, off, s[0:3], 0 offset:344
	;; [unrolled: 1-line block ×5, first 2 shown]
	ds_read_b128 v[91:94], v60 offset:928
	s_mov_b32 s4, exec_lo
	s_waitcnt vmcnt(62) lgkmcnt(2)
	v_mul_f64 v[95:96], v[7:8], v[17:18]
	v_mul_f64 v[17:18], v[5:6], v[17:18]
	s_waitcnt vmcnt(60) lgkmcnt(1)
	v_mul_f64 v[102:103], v[3:4], v[13:14]
	v_mul_f64 v[13:14], v[1:2], v[13:14]
	;; [unrolled: 3-line block ×3, first 2 shown]
	v_fma_f64 v[95:96], v[5:6], v[15:16], -v[95:96]
	v_fma_f64 v[15:16], v[7:8], v[15:16], v[17:18]
	s_clause 0x2
	buffer_load_dword v100, off, s[0:3], 0 offset:348
	buffer_load_dword v18, off, s[0:3], 0 offset:324
	;; [unrolled: 1-line block ×3, first 2 shown]
	s_waitcnt vmcnt(57)
	v_fma_f64 v[106:107], v[1:2], v[9:10], -v[102:103]
	ds_read_b128 v[5:8], v60 offset:944
	v_fma_f64 v[9:10], v[3:4], v[9:10], v[13:14]
	s_waitcnt vmcnt(51)
	v_fma_f64 v[91:92], v[91:92], v[33:34], -v[11:12]
	v_fma_f64 v[33:34], v[93:94], v[33:34], v[104:105]
	v_add_f64 v[95:96], v[95:96], 0
	v_add_f64 v[13:14], v[15:16], 0
	s_clause 0x4
	buffer_load_dword v16, off, s[0:3], 0 offset:364
	buffer_load_dword v103, off, s[0:3], 0 offset:376
	;; [unrolled: 1-line block ×5, first 2 shown]
	s_waitcnt lgkmcnt(0)
	v_mul_f64 v[109:110], v[5:6], v[21:22]
	v_mul_f64 v[21:22], v[7:8], v[21:22]
	ds_read_b128 v[1:4], v60 offset:960
	s_clause 0x2
	buffer_load_dword v104, off, s[0:3], 0 offset:380
	buffer_load_dword v94, off, s[0:3], 0 offset:356
	;; [unrolled: 1-line block ×3, first 2 shown]
	v_add_f64 v[95:96], v[95:96], v[106:107]
	v_add_f64 v[13:14], v[13:14], v[9:10]
	ds_read_b128 v[9:12], v60 offset:976
	s_waitcnt vmcnt(58) lgkmcnt(1)
	v_mul_f64 v[105:106], v[1:2], v[25:26]
	v_mul_f64 v[25:26], v[3:4], v[25:26]
	s_waitcnt vmcnt(56)
	v_fma_f64 v[21:22], v[5:6], v[27:28], -v[21:22]
	v_fma_f64 v[27:28], v[7:8], v[27:28], v[109:110]
	s_waitcnt vmcnt(52) lgkmcnt(0)
	v_mul_f64 v[111:112], v[9:10], v[29:30]
	v_add_f64 v[91:92], v[95:96], v[91:92]
	v_add_f64 v[13:14], v[13:14], v[33:34]
	s_clause 0x4
	buffer_load_dword v34, off, s[0:3], 0 offset:396
	buffer_load_dword v95, off, s[0:3], 0 offset:408
	;; [unrolled: 1-line block ×5, first 2 shown]
	v_mul_f64 v[29:30], v[11:12], v[29:30]
	s_waitcnt vmcnt(56)
	v_fma_f64 v[25:26], v[1:2], v[19:20], -v[25:26]
	ds_read_b128 v[5:8], v60 offset:992
	v_fma_f64 v[19:20], v[3:4], v[19:20], v[105:106]
	v_add_f64 v[21:22], v[91:92], v[21:22]
	v_add_f64 v[13:14], v[13:14], v[27:28]
	s_clause 0x2
	buffer_load_dword v96, off, s[0:3], 0 offset:412
	buffer_load_dword v28, off, s[0:3], 0 offset:388
	;; [unrolled: 1-line block ×3, first 2 shown]
	s_waitcnt vmcnt(58) lgkmcnt(0)
	v_mul_f64 v[91:92], v[5:6], v[35:36]
	v_mul_f64 v[35:36], v[7:8], v[35:36]
	s_waitcnt vmcnt(56)
	v_fma_f64 v[29:30], v[9:10], v[37:38], -v[29:30]
	ds_read_b128 v[1:4], v60 offset:1008
	v_add_f64 v[21:22], v[21:22], v[25:26]
	v_fma_f64 v[25:26], v[11:12], v[37:38], v[111:112]
	v_add_f64 v[13:14], v[13:14], v[19:20]
	s_clause 0x4
	buffer_load_dword v20, off, s[0:3], 0 offset:428
	buffer_load_dword v37, off, s[0:3], 0 offset:440
	;; [unrolled: 1-line block ×5, first 2 shown]
	s_waitcnt vmcnt(57) lgkmcnt(0)
	v_mul_f64 v[106:107], v[1:2], v[58:59]
	v_mul_f64 v[58:59], v[3:4], v[58:59]
	s_waitcnt vmcnt(56)
	v_fma_f64 v[35:36], v[5:6], v[23:24], -v[35:36]
	ds_read_b128 v[9:12], v60 offset:1024
	v_fma_f64 v[23:24], v[7:8], v[23:24], v[91:92]
	v_add_f64 v[21:22], v[21:22], v[29:30]
	v_add_f64 v[13:14], v[13:14], v[25:26]
	s_clause 0x2
	buffer_load_dword v38, off, s[0:3], 0 offset:444
	buffer_load_dword v26, off, s[0:3], 0 offset:420
	buffer_load_dword v25, off, s[0:3], 0 offset:416
	ds_read_b128 v[5:8], v60 offset:1040
	s_waitcnt vmcnt(58) lgkmcnt(1)
	v_mul_f64 v[29:30], v[9:10], v[65:66]
	v_mul_f64 v[65:66], v[11:12], v[65:66]
	s_waitcnt vmcnt(56)
	v_fma_f64 v[58:59], v[1:2], v[67:68], -v[58:59]
	v_add_f64 v[21:22], v[21:22], v[35:36]
	v_fma_f64 v[35:36], v[3:4], v[67:68], v[106:107]
	v_add_f64 v[13:14], v[13:14], v[23:24]
	s_clause 0x4
	buffer_load_dword v24, off, s[0:3], 0 offset:460
	buffer_load_dword v67, off, s[0:3], 0 offset:472
	;; [unrolled: 1-line block ×5, first 2 shown]
	s_waitcnt vmcnt(57) lgkmcnt(0)
	v_mul_f64 v[112:113], v[5:6], v[69:70]
	v_mul_f64 v[69:70], v[7:8], v[69:70]
	s_waitcnt vmcnt(56)
	v_fma_f64 v[65:66], v[9:10], v[31:32], -v[65:66]
	ds_read_b128 v[1:4], v60 offset:1056
	v_fma_f64 v[29:30], v[11:12], v[31:32], v[29:30]
	s_clause 0x2
	buffer_load_dword v68, off, s[0:3], 0 offset:476
	buffer_load_dword v32, off, s[0:3], 0 offset:452
	;; [unrolled: 1-line block ×3, first 2 shown]
	ds_read_b128 v[9:12], v60 offset:1072
	v_add_f64 v[21:22], v[21:22], v[58:59]
	v_add_f64 v[13:14], v[13:14], v[35:36]
	s_waitcnt vmcnt(58) lgkmcnt(1)
	v_mul_f64 v[58:59], v[3:4], v[73:74]
	s_waitcnt vmcnt(56)
	v_fma_f64 v[69:70], v[5:6], v[75:76], -v[69:70]
	v_mul_f64 v[35:36], v[1:2], v[73:74]
	v_add_f64 v[21:22], v[21:22], v[65:66]
	v_fma_f64 v[65:66], v[7:8], v[75:76], v[112:113]
	v_add_f64 v[13:14], v[13:14], v[29:30]
	s_clause 0x4
	buffer_load_dword v30, off, s[0:3], 0 offset:492
	buffer_load_dword v73, off, s[0:3], 0 offset:504
	;; [unrolled: 1-line block ×5, first 2 shown]
	s_waitcnt vmcnt(57) lgkmcnt(0)
	v_mul_f64 v[112:113], v[9:10], v[77:78]
	v_mul_f64 v[76:77], v[11:12], v[77:78]
	s_waitcnt vmcnt(56)
	v_fma_f64 v[58:59], v[1:2], v[63:64], -v[58:59]
	ds_read_b128 v[5:8], v60 offset:1088
	v_fma_f64 v[35:36], v[3:4], v[63:64], v[35:36]
	s_clause 0x2
	buffer_load_dword v74, off, s[0:3], 0 offset:508
	buffer_load_dword v64, off, s[0:3], 0 offset:484
	;; [unrolled: 1-line block ×3, first 2 shown]
	ds_read_b128 v[1:4], v60 offset:1104
	v_add_f64 v[21:22], v[21:22], v[69:70]
	v_add_f64 v[13:14], v[13:14], v[65:66]
	s_waitcnt vmcnt(58) lgkmcnt(1)
	v_mul_f64 v[69:70], v[7:8], v[81:82]
	s_waitcnt vmcnt(56)
	v_fma_f64 v[77:78], v[9:10], v[83:84], -v[76:77]
	v_mul_f64 v[65:66], v[5:6], v[81:82]
	v_add_f64 v[21:22], v[21:22], v[58:59]
	v_fma_f64 v[58:59], v[11:12], v[83:84], v[112:113]
	v_add_f64 v[13:14], v[13:14], v[35:36]
	s_clause 0x4
	buffer_load_dword v36, off, s[0:3], 0 offset:524
	buffer_load_dword v81, off, s[0:3], 0 offset:536
	buffer_load_dword v83, off, s[0:3], 0 offset:528
	buffer_load_dword v35, off, s[0:3], 0 offset:520
	buffer_load_dword v76, off, s[0:3], 0 offset:500
	s_waitcnt vmcnt(57) lgkmcnt(0)
	v_mul_f64 v[112:113], v[1:2], v[85:86]
	v_mul_f64 v[84:85], v[3:4], v[85:86]
	s_waitcnt vmcnt(56)
	v_fma_f64 v[69:70], v[5:6], v[71:72], -v[69:70]
	ds_read_b128 v[9:12], v60 offset:1120
	v_fma_f64 v[65:66], v[7:8], v[71:72], v[65:66]
	v_add_f64 v[21:22], v[21:22], v[77:78]
	v_add_f64 v[13:14], v[13:14], v[58:59]
	s_clause 0x2
	buffer_load_dword v82, off, s[0:3], 0 offset:540
	buffer_load_dword v59, off, s[0:3], 0 offset:516
	;; [unrolled: 1-line block ×3, first 2 shown]
	ds_read_b128 v[5:8], v60 offset:1136
	s_waitcnt vmcnt(58) lgkmcnt(1)
	v_mul_f64 v[77:78], v[11:12], v[87:88]
	s_waitcnt vmcnt(56)
	v_fma_f64 v[85:86], v[1:2], v[89:90], -v[84:85]
	v_mul_f64 v[71:72], v[9:10], v[87:88]
	v_add_f64 v[21:22], v[21:22], v[69:70]
	v_fma_f64 v[69:70], v[3:4], v[89:90], v[112:113]
	v_add_f64 v[13:14], v[13:14], v[65:66]
	s_clause 0x4
	buffer_load_dword v66, off, s[0:3], 0 offset:556
	buffer_load_dword v87, off, s[0:3], 0 offset:568
	buffer_load_dword v89, off, s[0:3], 0 offset:560
	buffer_load_dword v65, off, s[0:3], 0 offset:552
	buffer_load_dword v84, off, s[0:3], 0 offset:532
	s_waitcnt vmcnt(57) lgkmcnt(0)
	v_mul_f64 v[112:113], v[5:6], v[97:98]
	v_mul_f64 v[97:98], v[7:8], v[97:98]
	s_waitcnt vmcnt(56)
	v_fma_f64 v[77:78], v[9:10], v[79:80], -v[77:78]
	ds_read_b128 v[1:4], v60 offset:1152
	v_fma_f64 v[71:72], v[11:12], v[79:80], v[71:72]
	v_add_f64 v[21:22], v[21:22], v[85:86]
	v_add_f64 v[13:14], v[13:14], v[69:70]
	s_clause 0x2
	buffer_load_dword v88, off, s[0:3], 0 offset:572
	buffer_load_dword v70, off, s[0:3], 0 offset:548
	;; [unrolled: 1-line block ×3, first 2 shown]
	ds_read_b128 v[9:12], v60 offset:1168
	s_waitcnt vmcnt(58) lgkmcnt(1)
	v_mul_f64 v[85:86], v[3:4], v[99:100]
	v_mul_f64 v[79:80], v[1:2], v[99:100]
	s_waitcnt vmcnt(56)
	v_fma_f64 v[97:98], v[5:6], v[17:18], -v[97:98]
	v_fma_f64 v[17:18], v[7:8], v[17:18], v[112:113]
	v_add_f64 v[21:22], v[21:22], v[77:78]
	v_add_f64 v[13:14], v[13:14], v[71:72]
	s_clause 0x4
	buffer_load_dword v72, off, s[0:3], 0 offset:588
	buffer_load_dword v77, off, s[0:3], 0 offset:600
	;; [unrolled: 1-line block ×5, first 2 shown]
	ds_read_b128 v[5:8], v60 offset:1184
	s_waitcnt vmcnt(57) lgkmcnt(1)
	v_mul_f64 v[112:113], v[9:10], v[15:16]
	v_mul_f64 v[15:16], v[11:12], v[15:16]
	s_waitcnt vmcnt(56)
	v_fma_f64 v[85:86], v[1:2], v[101:102], -v[85:86]
	v_fma_f64 v[79:80], v[3:4], v[101:102], v[79:80]
	v_add_f64 v[21:22], v[21:22], v[97:98]
	v_add_f64 v[13:14], v[13:14], v[17:18]
	s_clause 0x2
	buffer_load_dword v78, off, s[0:3], 0 offset:604
	buffer_load_dword v18, off, s[0:3], 0 offset:580
	;; [unrolled: 1-line block ×3, first 2 shown]
	s_waitcnt vmcnt(58) lgkmcnt(0)
	v_mul_f64 v[101:102], v[7:8], v[103:104]
	ds_read_b128 v[1:4], v60 offset:1200
	v_mul_f64 v[97:98], v[5:6], v[103:104]
	s_waitcnt vmcnt(56)
	v_fma_f64 v[15:16], v[9:10], v[93:94], -v[15:16]
	v_add_f64 v[21:22], v[21:22], v[85:86]
	v_fma_f64 v[85:86], v[11:12], v[93:94], v[112:113]
	v_add_f64 v[13:14], v[13:14], v[79:80]
	s_clause 0x4
	buffer_load_dword v80, off, s[0:3], 0 offset:620
	buffer_load_dword v93, off, s[0:3], 0 offset:632
	;; [unrolled: 1-line block ×5, first 2 shown]
	ds_read_b128 v[9:12], v60 offset:1216
	s_waitcnt vmcnt(57) lgkmcnt(1)
	v_mul_f64 v[112:113], v[1:2], v[33:34]
	v_mul_f64 v[33:34], v[3:4], v[33:34]
	s_waitcnt vmcnt(56)
	v_fma_f64 v[101:102], v[5:6], v[108:109], -v[101:102]
	v_add_f64 v[15:16], v[21:22], v[15:16]
	v_fma_f64 v[21:22], v[7:8], v[108:109], v[97:98]
	v_add_f64 v[13:14], v[13:14], v[85:86]
	s_clause 0x2
	buffer_load_dword v94, off, s[0:3], 0 offset:636
	buffer_load_dword v86, off, s[0:3], 0 offset:612
	buffer_load_dword v85, off, s[0:3], 0 offset:608
	ds_read_b128 v[5:8], v60 offset:1232
	s_waitcnt vmcnt(58) lgkmcnt(1)
	v_mul_f64 v[97:98], v[9:10], v[95:96]
	v_mul_f64 v[95:96], v[11:12], v[95:96]
	s_waitcnt vmcnt(56)
	v_fma_f64 v[33:34], v[1:2], v[27:28], -v[33:34]
	v_fma_f64 v[27:28], v[3:4], v[27:28], v[112:113]
	v_add_f64 v[15:16], v[15:16], v[101:102]
	v_add_f64 v[13:14], v[13:14], v[21:22]
	s_clause 0x4
	buffer_load_dword v22, off, s[0:3], 0 offset:652
	buffer_load_dword v101, off, s[0:3], 0 offset:664
	;; [unrolled: 1-line block ×5, first 2 shown]
	ds_read_b128 v[1:4], v60 offset:1248
	s_waitcnt vmcnt(57) lgkmcnt(1)
	v_mul_f64 v[108:109], v[5:6], v[19:20]
	v_mul_f64 v[19:20], v[7:8], v[19:20]
	s_waitcnt vmcnt(56)
	v_fma_f64 v[95:96], v[9:10], v[110:111], -v[95:96]
	v_add_f64 v[15:16], v[15:16], v[33:34]
	v_fma_f64 v[33:34], v[11:12], v[110:111], v[97:98]
	v_add_f64 v[13:14], v[13:14], v[27:28]
	s_clause 0x2
	buffer_load_dword v102, off, s[0:3], 0 offset:668
	buffer_load_dword v28, off, s[0:3], 0 offset:644
	;; [unrolled: 1-line block ×3, first 2 shown]
	ds_read_b128 v[9:12], v60 offset:1264
	s_waitcnt vmcnt(58) lgkmcnt(1)
	v_mul_f64 v[97:98], v[1:2], v[37:38]
	v_mul_f64 v[37:38], v[3:4], v[37:38]
	s_waitcnt vmcnt(56)
	v_fma_f64 v[19:20], v[5:6], v[25:26], -v[19:20]
	v_fma_f64 v[25:26], v[7:8], v[25:26], v[108:109]
	v_add_f64 v[15:16], v[15:16], v[95:96]
	v_add_f64 v[13:14], v[13:14], v[33:34]
	s_clause 0x4
	buffer_load_dword v34, off, s[0:3], 0 offset:684
	buffer_load_dword v95, off, s[0:3], 0 offset:696
	;; [unrolled: 1-line block ×5, first 2 shown]
	ds_read_b128 v[5:8], v60 offset:1280
	s_waitcnt vmcnt(57) lgkmcnt(1)
	v_mul_f64 v[110:111], v[9:10], v[23:24]
	v_mul_f64 v[23:24], v[11:12], v[23:24]
	s_waitcnt vmcnt(56)
	v_fma_f64 v[37:38], v[1:2], v[105:106], -v[37:38]
	v_add_f64 v[15:16], v[15:16], v[19:20]
	v_fma_f64 v[19:20], v[3:4], v[105:106], v[97:98]
	v_add_f64 v[13:14], v[13:14], v[25:26]
	s_clause 0x2
	buffer_load_dword v96, off, s[0:3], 0 offset:700
	buffer_load_dword v26, off, s[0:3], 0 offset:676
	;; [unrolled: 1-line block ×3, first 2 shown]
	s_waitcnt vmcnt(58) lgkmcnt(0)
	v_mul_f64 v[97:98], v[5:6], v[67:68]
	v_mul_f64 v[67:68], v[7:8], v[67:68]
	ds_read_b128 v[1:4], v60 offset:1296
	s_waitcnt vmcnt(56)
	v_fma_f64 v[23:24], v[9:10], v[31:32], -v[23:24]
	v_fma_f64 v[31:32], v[11:12], v[31:32], v[110:111]
	v_add_f64 v[15:16], v[15:16], v[37:38]
	v_add_f64 v[13:14], v[13:14], v[19:20]
	s_clause 0x4
	buffer_load_dword v20, off, s[0:3], 0 offset:716
	buffer_load_dword v37, off, s[0:3], 0 offset:728
	;; [unrolled: 1-line block ×5, first 2 shown]
	ds_read_b128 v[9:12], v60 offset:1312
	s_waitcnt vmcnt(57) lgkmcnt(1)
	v_mul_f64 v[111:112], v[1:2], v[29:30]
	v_mul_f64 v[29:30], v[3:4], v[29:30]
	s_waitcnt vmcnt(56)
	v_fma_f64 v[67:68], v[5:6], v[91:92], -v[67:68]
	v_add_f64 v[15:16], v[15:16], v[23:24]
	v_fma_f64 v[23:24], v[7:8], v[91:92], v[97:98]
	v_add_f64 v[13:14], v[13:14], v[31:32]
	s_clause 0x2
	buffer_load_dword v38, off, s[0:3], 0 offset:732
	buffer_load_dword v32, off, s[0:3], 0 offset:708
	;; [unrolled: 1-line block ×3, first 2 shown]
	s_waitcnt vmcnt(58) lgkmcnt(0)
	v_mul_f64 v[91:92], v[9:10], v[73:74]
	v_mul_f64 v[73:74], v[11:12], v[73:74]
	ds_read_b128 v[5:8], v60 offset:1328
	s_waitcnt vmcnt(56)
	v_fma_f64 v[29:30], v[1:2], v[63:64], -v[29:30]
	v_fma_f64 v[63:64], v[3:4], v[63:64], v[111:112]
	v_add_f64 v[15:16], v[15:16], v[67:68]
	v_add_f64 v[13:14], v[13:14], v[23:24]
	s_clause 0x4
	buffer_load_dword v24, off, s[0:3], 0 offset:748
	buffer_load_dword v67, off, s[0:3], 0 offset:760
	buffer_load_dword v97, off, s[0:3], 0 offset:752
	buffer_load_dword v23, off, s[0:3], 0 offset:744
	buffer_load_dword v106, off, s[0:3], 0 offset:724
	ds_read_b128 v[1:4], v60 offset:1344
	s_waitcnt vmcnt(57) lgkmcnt(1)
	v_mul_f64 v[111:112], v[5:6], v[35:36]
	v_mul_f64 v[35:36], v[7:8], v[35:36]
	s_waitcnt vmcnt(56)
	v_fma_f64 v[73:74], v[9:10], v[75:76], -v[73:74]
	v_add_f64 v[15:16], v[15:16], v[29:30]
	v_fma_f64 v[29:30], v[11:12], v[75:76], v[91:92]
	v_add_f64 v[13:14], v[13:14], v[63:64]
	s_clause 0x2
	buffer_load_dword v68, off, s[0:3], 0 offset:764
	buffer_load_dword v64, off, s[0:3], 0 offset:740
	buffer_load_dword v63, off, s[0:3], 0 offset:736
	ds_read_b128 v[9:12], v60 offset:1360
	s_waitcnt vmcnt(58) lgkmcnt(1)
	v_mul_f64 v[75:76], v[1:2], v[81:82]
	v_mul_f64 v[81:82], v[3:4], v[81:82]
	s_waitcnt vmcnt(56)
	v_fma_f64 v[35:36], v[5:6], v[58:59], -v[35:36]
	v_fma_f64 v[58:59], v[7:8], v[58:59], v[111:112]
	v_add_f64 v[15:16], v[15:16], v[73:74]
	v_add_f64 v[13:14], v[13:14], v[29:30]
	s_clause 0x4
	buffer_load_dword v30, off, s[0:3], 0 offset:780
	buffer_load_dword v73, off, s[0:3], 0 offset:792
	buffer_load_dword v91, off, s[0:3], 0 offset:784
	buffer_load_dword v29, off, s[0:3], 0 offset:776
	buffer_load_dword v98, off, s[0:3], 0 offset:756
	ds_read_b128 v[5:8], v60 offset:1376
	s_waitcnt vmcnt(57) lgkmcnt(1)
	v_mul_f64 v[111:112], v[9:10], v[65:66]
	v_mul_f64 v[65:66], v[11:12], v[65:66]
	s_waitcnt vmcnt(56)
	v_fma_f64 v[81:82], v[1:2], v[83:84], -v[81:82]
	v_add_f64 v[15:16], v[15:16], v[35:36]
	v_fma_f64 v[35:36], v[3:4], v[83:84], v[75:76]
	v_add_f64 v[13:14], v[13:14], v[58:59]
	s_clause 0x2
	buffer_load_dword v74, off, s[0:3], 0 offset:796
	buffer_load_dword v59, off, s[0:3], 0 offset:772
	buffer_load_dword v58, off, s[0:3], 0 offset:768
	ds_read_b128 v[1:4], v60 offset:1392
	s_waitcnt vmcnt(58) lgkmcnt(1)
	v_mul_f64 v[83:84], v[7:8], v[87:88]
	v_mul_f64 v[75:76], v[5:6], v[87:88]
	;; [unrolled: 28-line block ×3, first 2 shown]
	s_waitcnt vmcnt(56)
	v_fma_f64 v[71:72], v[1:2], v[17:18], -v[71:72]
	v_fma_f64 v[17:18], v[3:4], v[17:18], v[111:112]
	v_add_f64 v[15:16], v[15:16], v[83:84]
	v_add_f64 v[13:14], v[13:14], v[65:66]
	s_clause 0x2
	buffer_load_dword v66, off, s[0:3], 0 offset:844
	buffer_load_dword v65, off, s[0:3], 0 offset:840
	;; [unrolled: 1-line block ×3, first 2 shown]
	ds_read_b128 v[1:4], v60 offset:1440
	s_waitcnt vmcnt(55) lgkmcnt(1)
	v_mul_f64 v[83:84], v[5:6], v[79:80]
	v_mul_f64 v[79:80], v[7:8], v[79:80]
	s_waitcnt vmcnt(54)
	v_fma_f64 v[77:78], v[9:10], v[99:100], -v[77:78]
	v_add_f64 v[15:16], v[15:16], v[71:72]
	v_fma_f64 v[71:72], v[11:12], v[99:100], v[75:76]
	v_add_f64 v[13:14], v[13:14], v[17:18]
	s_clause 0x1
	buffer_load_dword v18, off, s[0:3], 0 offset:836
	buffer_load_dword v17, off, s[0:3], 0 offset:832
	ds_read_b128 v[9:12], v60 offset:1456
	s_waitcnt vmcnt(55) lgkmcnt(1)
	v_mul_f64 v[89:90], v[3:4], v[93:94]
	v_mul_f64 v[75:76], v[1:2], v[93:94]
	s_waitcnt vmcnt(53)
	v_fma_f64 v[79:80], v[5:6], v[85:86], -v[79:80]
	v_add_f64 v[15:16], v[15:16], v[77:78]
	v_fma_f64 v[77:78], v[7:8], v[85:86], v[83:84]
	v_add_f64 v[13:14], v[13:14], v[71:72]
	ds_read_b128 v[5:8], v60 offset:1472
	s_waitcnt vmcnt(49) lgkmcnt(1)
	v_mul_f64 v[71:72], v[9:10], v[21:22]
	v_mul_f64 v[21:22], v[11:12], v[21:22]
	s_waitcnt vmcnt(48)
	v_fma_f64 v[83:84], v[1:2], v[103:104], -v[89:90]
	v_fma_f64 v[75:76], v[3:4], v[103:104], v[75:76]
	v_add_f64 v[15:16], v[15:16], v[79:80]
	v_add_f64 v[13:14], v[13:14], v[77:78]
	s_clause 0x3
	buffer_load_dword v77, off, s[0:3], 0 offset:64
	buffer_load_dword v78, off, s[0:3], 0 offset:68
	;; [unrolled: 1-line block ×4, first 2 shown]
	ds_read_b128 v[1:4], v60 offset:1488
	s_waitcnt vmcnt(51) lgkmcnt(1)
	v_mul_f64 v[89:90], v[7:8], v[101:102]
	v_mul_f64 v[85:86], v[5:6], v[101:102]
	s_waitcnt vmcnt(49)
	v_fma_f64 v[21:22], v[9:10], v[27:28], -v[21:22]
	v_fma_f64 v[27:28], v[11:12], v[27:28], v[71:72]
	ds_read_b128 v[9:12], v60 offset:1504
	v_add_f64 v[15:16], v[15:16], v[83:84]
	v_add_f64 v[13:14], v[13:14], v[75:76]
	s_waitcnt vmcnt(45) lgkmcnt(1)
	v_mul_f64 v[71:72], v[1:2], v[33:34]
	v_mul_f64 v[33:34], v[3:4], v[33:34]
	s_waitcnt vmcnt(44)
	v_fma_f64 v[75:76], v[5:6], v[107:108], -v[89:90]
	v_add_f64 v[15:16], v[15:16], v[21:22]
	v_fma_f64 v[21:22], v[7:8], v[107:108], v[85:86]
	v_add_f64 v[13:14], v[13:14], v[27:28]
	ds_read_b128 v[5:8], v60 offset:1520
	s_waitcnt vmcnt(43) lgkmcnt(1)
	v_mul_f64 v[83:84], v[11:12], v[95:96]
	v_mul_f64 v[27:28], v[9:10], v[95:96]
	s_waitcnt vmcnt(41)
	v_fma_f64 v[33:34], v[1:2], v[25:26], -v[33:34]
	v_fma_f64 v[25:26], v[3:4], v[25:26], v[71:72]
	ds_read_b128 v[1:4], v60 offset:1536
	v_add_f64 v[15:16], v[15:16], v[75:76]
	v_add_f64 v[13:14], v[13:14], v[21:22]
	s_waitcnt vmcnt(37) lgkmcnt(1)
	v_mul_f64 v[21:22], v[5:6], v[19:20]
	v_mul_f64 v[19:20], v[7:8], v[19:20]
	s_waitcnt vmcnt(36)
	v_fma_f64 v[71:72], v[9:10], v[109:110], -v[83:84]
	v_fma_f64 v[27:28], v[11:12], v[109:110], v[27:28]
	ds_read_b128 v[9:12], v60 offset:1552
	v_add_f64 v[15:16], v[15:16], v[33:34]
	v_add_f64 v[13:14], v[13:14], v[25:26]
	;; [unrolled: 9-line block ×3, first 2 shown]
	s_waitcnt vmcnt(29) lgkmcnt(1)
	v_mul_f64 v[27:28], v[9:10], v[23:24]
	v_mul_f64 v[23:24], v[11:12], v[23:24]
	s_waitcnt vmcnt(28)
	v_fma_f64 v[31:32], v[1:2], v[105:106], -v[33:34]
	v_add_f64 v[15:16], v[15:16], v[19:20]
	v_fma_f64 v[19:20], v[3:4], v[105:106], v[25:26]
	v_add_f64 v[13:14], v[13:14], v[21:22]
	ds_read_b128 v[1:4], v60 offset:1584
	s_waitcnt vmcnt(27) lgkmcnt(1)
	v_mul_f64 v[25:26], v[7:8], v[67:68]
	v_mul_f64 v[21:22], v[5:6], v[67:68]
	s_waitcnt vmcnt(25)
	v_fma_f64 v[23:24], v[9:10], v[63:64], -v[23:24]
	v_fma_f64 v[27:28], v[11:12], v[63:64], v[27:28]
	ds_read_b128 v[9:12], v60 offset:1600
	v_add_f64 v[15:16], v[15:16], v[31:32]
	v_add_f64 v[13:14], v[13:14], v[19:20]
	s_waitcnt vmcnt(21) lgkmcnt(1)
	v_mul_f64 v[19:20], v[1:2], v[29:30]
	v_mul_f64 v[29:30], v[3:4], v[29:30]
	s_waitcnt vmcnt(20)
	v_fma_f64 v[25:26], v[5:6], v[97:98], -v[25:26]
	v_fma_f64 v[21:22], v[7:8], v[97:98], v[21:22]
	ds_read_b128 v[5:8], v60 offset:1616
	v_add_f64 v[15:16], v[15:16], v[23:24]
	v_add_f64 v[13:14], v[13:14], v[27:28]
	;; [unrolled: 9-line block ×3, first 2 shown]
	s_waitcnt vmcnt(13) lgkmcnt(1)
	v_mul_f64 v[25:26], v[7:8], v[35:36]
	s_waitcnt vmcnt(12)
	v_fma_f64 v[27:28], v[9:10], v[91:92], -v[27:28]
	v_mul_f64 v[21:22], v[5:6], v[35:36]
	v_fma_f64 v[23:24], v[11:12], v[91:92], v[23:24]
	ds_read_b128 v[9:12], v60 offset:1648
	v_add_f64 v[15:16], v[15:16], v[29:30]
	v_add_f64 v[13:14], v[13:14], v[19:20]
	s_waitcnt vmcnt(11) lgkmcnt(1)
	v_mul_f64 v[29:30], v[3:4], v[81:82]
	v_mul_f64 v[19:20], v[1:2], v[81:82]
	s_waitcnt vmcnt(9)
	v_fma_f64 v[5:6], v[5:6], v[69:70], -v[25:26]
	v_fma_f64 v[7:8], v[7:8], v[69:70], v[21:22]
	v_add_f64 v[15:16], v[15:16], v[27:28]
	v_add_f64 v[13:14], v[13:14], v[23:24]
	s_waitcnt vmcnt(7) lgkmcnt(0)
	v_mul_f64 v[23:24], v[11:12], v[65:66]
	s_waitcnt vmcnt(6)
	v_fma_f64 v[1:2], v[1:2], v[87:88], -v[29:30]
	v_mul_f64 v[21:22], v[9:10], v[65:66]
	v_fma_f64 v[3:4], v[3:4], v[87:88], v[19:20]
	v_add_f64 v[5:6], v[15:16], v[5:6]
	v_add_f64 v[7:8], v[13:14], v[7:8]
	s_waitcnt vmcnt(4)
	v_fma_f64 v[9:10], v[9:10], v[17:18], -v[23:24]
	v_add_f64 v[1:2], v[5:6], v[1:2]
	v_fma_f64 v[5:6], v[11:12], v[17:18], v[21:22]
	v_add_f64 v[3:4], v[7:8], v[3:4]
	v_add_f64 v[1:2], v[1:2], v[9:10]
	;; [unrolled: 1-line block ×3, first 2 shown]
	s_waitcnt vmcnt(2)
	v_add_f64 v[1:2], v[77:78], -v[1:2]
	s_waitcnt vmcnt(0)
	v_add_f64 v[3:4], v[79:80], -v[3:4]
	buffer_store_dword v2, off, s[0:3], 0 offset:68
	buffer_store_dword v1, off, s[0:3], 0 offset:64
	;; [unrolled: 1-line block ×4, first 2 shown]
	v_cmpx_lt_u32_e32 2, v0
	s_cbranch_execz .LBB51_321
; %bb.320:
	v_mov_b32_e32 v4, s62
	v_mov_b32_e32 v5, 0
	s_clause 0x3
	buffer_load_dword v1, v4, s[0:3], 0 offen
	buffer_load_dword v2, v4, s[0:3], 0 offen offset:4
	buffer_load_dword v3, v4, s[0:3], 0 offen offset:8
	;; [unrolled: 1-line block ×3, first 2 shown]
	buffer_store_dword v5, off, s[0:3], 0 offset:48
	buffer_store_dword v5, off, s[0:3], 0 offset:52
	;; [unrolled: 1-line block ×4, first 2 shown]
	s_waitcnt vmcnt(0)
	ds_write_b128 v39, v[1:4]
.LBB51_321:
	s_or_b32 exec_lo, exec_lo, s4
	s_waitcnt lgkmcnt(0)
	s_waitcnt_vscnt null, 0x0
	s_barrier
	buffer_gl0_inv
	s_clause 0x37
	buffer_load_dword v17, off, s[0:3], 0 offset:72
	buffer_load_dword v18, off, s[0:3], 0 offset:76
	;; [unrolled: 1-line block ×56, first 2 shown]
	v_mov_b32_e32 v60, 0
	s_mov_b32 s4, exec_lo
	ds_read_b128 v[5:8], v60 offset:880
	s_clause 0x2
	buffer_load_dword v88, off, s[0:3], 0 offset:300
	buffer_load_dword v90, off, s[0:3], 0 offset:276
	;; [unrolled: 1-line block ×3, first 2 shown]
	ds_read_b128 v[1:4], v60 offset:896
	s_clause 0x4
	buffer_load_dword v98, off, s[0:3], 0 offset:316
	buffer_load_dword v99, off, s[0:3], 0 offset:328
	;; [unrolled: 1-line block ×5, first 2 shown]
	ds_read_b128 v[91:94], v60 offset:912
	s_waitcnt vmcnt(62) lgkmcnt(2)
	v_mul_f64 v[95:96], v[7:8], v[17:18]
	v_mul_f64 v[17:18], v[5:6], v[17:18]
	s_waitcnt vmcnt(60) lgkmcnt(1)
	v_mul_f64 v[102:103], v[3:4], v[13:14]
	v_mul_f64 v[13:14], v[1:2], v[13:14]
	;; [unrolled: 3-line block ×3, first 2 shown]
	v_fma_f64 v[95:96], v[5:6], v[15:16], -v[95:96]
	v_fma_f64 v[15:16], v[7:8], v[15:16], v[17:18]
	s_clause 0x2
	buffer_load_dword v100, off, s[0:3], 0 offset:332
	buffer_load_dword v18, off, s[0:3], 0 offset:308
	;; [unrolled: 1-line block ×3, first 2 shown]
	s_waitcnt vmcnt(57)
	v_fma_f64 v[106:107], v[1:2], v[9:10], -v[102:103]
	ds_read_b128 v[5:8], v60 offset:928
	v_fma_f64 v[9:10], v[3:4], v[9:10], v[13:14]
	s_waitcnt vmcnt(51)
	v_fma_f64 v[91:92], v[91:92], v[33:34], -v[11:12]
	v_fma_f64 v[33:34], v[93:94], v[33:34], v[104:105]
	v_add_f64 v[95:96], v[95:96], 0
	v_add_f64 v[13:14], v[15:16], 0
	s_clause 0x4
	buffer_load_dword v16, off, s[0:3], 0 offset:348
	buffer_load_dword v103, off, s[0:3], 0 offset:360
	;; [unrolled: 1-line block ×5, first 2 shown]
	s_waitcnt lgkmcnt(0)
	v_mul_f64 v[109:110], v[5:6], v[21:22]
	v_mul_f64 v[21:22], v[7:8], v[21:22]
	ds_read_b128 v[1:4], v60 offset:944
	s_clause 0x2
	buffer_load_dword v104, off, s[0:3], 0 offset:364
	buffer_load_dword v94, off, s[0:3], 0 offset:340
	;; [unrolled: 1-line block ×3, first 2 shown]
	v_add_f64 v[95:96], v[95:96], v[106:107]
	v_add_f64 v[13:14], v[13:14], v[9:10]
	ds_read_b128 v[9:12], v60 offset:960
	s_waitcnt vmcnt(58) lgkmcnt(1)
	v_mul_f64 v[105:106], v[1:2], v[25:26]
	v_mul_f64 v[25:26], v[3:4], v[25:26]
	s_waitcnt vmcnt(56)
	v_fma_f64 v[21:22], v[5:6], v[27:28], -v[21:22]
	v_fma_f64 v[27:28], v[7:8], v[27:28], v[109:110]
	s_waitcnt vmcnt(52) lgkmcnt(0)
	v_mul_f64 v[111:112], v[9:10], v[29:30]
	v_add_f64 v[91:92], v[95:96], v[91:92]
	v_add_f64 v[13:14], v[13:14], v[33:34]
	s_clause 0x4
	buffer_load_dword v34, off, s[0:3], 0 offset:380
	buffer_load_dword v95, off, s[0:3], 0 offset:392
	;; [unrolled: 1-line block ×5, first 2 shown]
	v_mul_f64 v[29:30], v[11:12], v[29:30]
	s_waitcnt vmcnt(56)
	v_fma_f64 v[25:26], v[1:2], v[19:20], -v[25:26]
	ds_read_b128 v[5:8], v60 offset:976
	v_fma_f64 v[19:20], v[3:4], v[19:20], v[105:106]
	v_add_f64 v[21:22], v[91:92], v[21:22]
	v_add_f64 v[13:14], v[13:14], v[27:28]
	s_clause 0x2
	buffer_load_dword v96, off, s[0:3], 0 offset:396
	buffer_load_dword v28, off, s[0:3], 0 offset:372
	buffer_load_dword v27, off, s[0:3], 0 offset:368
	s_waitcnt vmcnt(58) lgkmcnt(0)
	v_mul_f64 v[91:92], v[5:6], v[35:36]
	v_mul_f64 v[35:36], v[7:8], v[35:36]
	s_waitcnt vmcnt(56)
	v_fma_f64 v[29:30], v[9:10], v[37:38], -v[29:30]
	ds_read_b128 v[1:4], v60 offset:992
	v_add_f64 v[21:22], v[21:22], v[25:26]
	v_fma_f64 v[25:26], v[11:12], v[37:38], v[111:112]
	v_add_f64 v[13:14], v[13:14], v[19:20]
	s_clause 0x4
	buffer_load_dword v20, off, s[0:3], 0 offset:412
	buffer_load_dword v37, off, s[0:3], 0 offset:424
	;; [unrolled: 1-line block ×5, first 2 shown]
	s_waitcnt vmcnt(57) lgkmcnt(0)
	v_mul_f64 v[106:107], v[1:2], v[58:59]
	v_mul_f64 v[58:59], v[3:4], v[58:59]
	s_waitcnt vmcnt(56)
	v_fma_f64 v[35:36], v[5:6], v[23:24], -v[35:36]
	ds_read_b128 v[9:12], v60 offset:1008
	v_fma_f64 v[23:24], v[7:8], v[23:24], v[91:92]
	v_add_f64 v[21:22], v[21:22], v[29:30]
	v_add_f64 v[13:14], v[13:14], v[25:26]
	s_clause 0x2
	buffer_load_dword v38, off, s[0:3], 0 offset:428
	buffer_load_dword v26, off, s[0:3], 0 offset:404
	buffer_load_dword v25, off, s[0:3], 0 offset:400
	ds_read_b128 v[5:8], v60 offset:1024
	s_waitcnt vmcnt(58) lgkmcnt(1)
	v_mul_f64 v[29:30], v[9:10], v[65:66]
	v_mul_f64 v[65:66], v[11:12], v[65:66]
	s_waitcnt vmcnt(56)
	v_fma_f64 v[58:59], v[1:2], v[67:68], -v[58:59]
	v_add_f64 v[21:22], v[21:22], v[35:36]
	v_fma_f64 v[35:36], v[3:4], v[67:68], v[106:107]
	v_add_f64 v[13:14], v[13:14], v[23:24]
	s_clause 0x4
	buffer_load_dword v24, off, s[0:3], 0 offset:444
	buffer_load_dword v67, off, s[0:3], 0 offset:456
	;; [unrolled: 1-line block ×5, first 2 shown]
	s_waitcnt vmcnt(57) lgkmcnt(0)
	v_mul_f64 v[112:113], v[5:6], v[69:70]
	v_mul_f64 v[69:70], v[7:8], v[69:70]
	s_waitcnt vmcnt(56)
	v_fma_f64 v[65:66], v[9:10], v[31:32], -v[65:66]
	ds_read_b128 v[1:4], v60 offset:1040
	v_fma_f64 v[29:30], v[11:12], v[31:32], v[29:30]
	s_clause 0x2
	buffer_load_dword v68, off, s[0:3], 0 offset:460
	buffer_load_dword v32, off, s[0:3], 0 offset:436
	;; [unrolled: 1-line block ×3, first 2 shown]
	ds_read_b128 v[9:12], v60 offset:1056
	v_add_f64 v[21:22], v[21:22], v[58:59]
	v_add_f64 v[13:14], v[13:14], v[35:36]
	s_waitcnt vmcnt(58) lgkmcnt(1)
	v_mul_f64 v[58:59], v[3:4], v[73:74]
	s_waitcnt vmcnt(56)
	v_fma_f64 v[69:70], v[5:6], v[75:76], -v[69:70]
	v_mul_f64 v[35:36], v[1:2], v[73:74]
	v_add_f64 v[21:22], v[21:22], v[65:66]
	v_fma_f64 v[65:66], v[7:8], v[75:76], v[112:113]
	v_add_f64 v[13:14], v[13:14], v[29:30]
	s_clause 0x4
	buffer_load_dword v30, off, s[0:3], 0 offset:476
	buffer_load_dword v73, off, s[0:3], 0 offset:488
	;; [unrolled: 1-line block ×5, first 2 shown]
	s_waitcnt vmcnt(57) lgkmcnt(0)
	v_mul_f64 v[112:113], v[9:10], v[77:78]
	v_mul_f64 v[76:77], v[11:12], v[77:78]
	s_waitcnt vmcnt(56)
	v_fma_f64 v[58:59], v[1:2], v[63:64], -v[58:59]
	ds_read_b128 v[5:8], v60 offset:1072
	v_fma_f64 v[35:36], v[3:4], v[63:64], v[35:36]
	s_clause 0x2
	buffer_load_dword v74, off, s[0:3], 0 offset:492
	buffer_load_dword v64, off, s[0:3], 0 offset:468
	buffer_load_dword v63, off, s[0:3], 0 offset:464
	ds_read_b128 v[1:4], v60 offset:1088
	v_add_f64 v[21:22], v[21:22], v[69:70]
	v_add_f64 v[13:14], v[13:14], v[65:66]
	s_waitcnt vmcnt(58) lgkmcnt(1)
	v_mul_f64 v[69:70], v[7:8], v[81:82]
	s_waitcnt vmcnt(56)
	v_fma_f64 v[77:78], v[9:10], v[83:84], -v[76:77]
	v_mul_f64 v[65:66], v[5:6], v[81:82]
	v_add_f64 v[21:22], v[21:22], v[58:59]
	v_fma_f64 v[58:59], v[11:12], v[83:84], v[112:113]
	v_add_f64 v[13:14], v[13:14], v[35:36]
	s_clause 0x4
	buffer_load_dword v36, off, s[0:3], 0 offset:508
	buffer_load_dword v81, off, s[0:3], 0 offset:520
	;; [unrolled: 1-line block ×5, first 2 shown]
	s_waitcnt vmcnt(57) lgkmcnt(0)
	v_mul_f64 v[112:113], v[1:2], v[85:86]
	v_mul_f64 v[84:85], v[3:4], v[85:86]
	s_waitcnt vmcnt(56)
	v_fma_f64 v[69:70], v[5:6], v[71:72], -v[69:70]
	ds_read_b128 v[9:12], v60 offset:1104
	v_fma_f64 v[65:66], v[7:8], v[71:72], v[65:66]
	v_add_f64 v[21:22], v[21:22], v[77:78]
	v_add_f64 v[13:14], v[13:14], v[58:59]
	s_clause 0x2
	buffer_load_dword v82, off, s[0:3], 0 offset:524
	buffer_load_dword v59, off, s[0:3], 0 offset:500
	;; [unrolled: 1-line block ×3, first 2 shown]
	ds_read_b128 v[5:8], v60 offset:1120
	s_waitcnt vmcnt(58) lgkmcnt(1)
	v_mul_f64 v[77:78], v[11:12], v[87:88]
	s_waitcnt vmcnt(56)
	v_fma_f64 v[85:86], v[1:2], v[89:90], -v[84:85]
	v_mul_f64 v[71:72], v[9:10], v[87:88]
	v_add_f64 v[21:22], v[21:22], v[69:70]
	v_fma_f64 v[69:70], v[3:4], v[89:90], v[112:113]
	v_add_f64 v[13:14], v[13:14], v[65:66]
	s_clause 0x4
	buffer_load_dword v66, off, s[0:3], 0 offset:540
	buffer_load_dword v87, off, s[0:3], 0 offset:552
	;; [unrolled: 1-line block ×5, first 2 shown]
	s_waitcnt vmcnt(57) lgkmcnt(0)
	v_mul_f64 v[112:113], v[5:6], v[97:98]
	v_mul_f64 v[97:98], v[7:8], v[97:98]
	s_waitcnt vmcnt(56)
	v_fma_f64 v[77:78], v[9:10], v[79:80], -v[77:78]
	ds_read_b128 v[1:4], v60 offset:1136
	v_fma_f64 v[71:72], v[11:12], v[79:80], v[71:72]
	v_add_f64 v[21:22], v[21:22], v[85:86]
	v_add_f64 v[13:14], v[13:14], v[69:70]
	s_clause 0x2
	buffer_load_dword v88, off, s[0:3], 0 offset:556
	buffer_load_dword v70, off, s[0:3], 0 offset:532
	;; [unrolled: 1-line block ×3, first 2 shown]
	ds_read_b128 v[9:12], v60 offset:1152
	s_waitcnt vmcnt(58) lgkmcnt(1)
	v_mul_f64 v[85:86], v[3:4], v[99:100]
	v_mul_f64 v[79:80], v[1:2], v[99:100]
	s_waitcnt vmcnt(56)
	v_fma_f64 v[97:98], v[5:6], v[17:18], -v[97:98]
	v_fma_f64 v[17:18], v[7:8], v[17:18], v[112:113]
	v_add_f64 v[21:22], v[21:22], v[77:78]
	v_add_f64 v[13:14], v[13:14], v[71:72]
	s_clause 0x4
	buffer_load_dword v72, off, s[0:3], 0 offset:572
	buffer_load_dword v77, off, s[0:3], 0 offset:584
	;; [unrolled: 1-line block ×5, first 2 shown]
	ds_read_b128 v[5:8], v60 offset:1168
	s_waitcnt vmcnt(57) lgkmcnt(1)
	v_mul_f64 v[112:113], v[9:10], v[15:16]
	v_mul_f64 v[15:16], v[11:12], v[15:16]
	s_waitcnt vmcnt(56)
	v_fma_f64 v[85:86], v[1:2], v[101:102], -v[85:86]
	v_fma_f64 v[79:80], v[3:4], v[101:102], v[79:80]
	v_add_f64 v[21:22], v[21:22], v[97:98]
	v_add_f64 v[13:14], v[13:14], v[17:18]
	s_clause 0x2
	buffer_load_dword v78, off, s[0:3], 0 offset:588
	buffer_load_dword v18, off, s[0:3], 0 offset:564
	;; [unrolled: 1-line block ×3, first 2 shown]
	s_waitcnt vmcnt(58) lgkmcnt(0)
	v_mul_f64 v[101:102], v[7:8], v[103:104]
	ds_read_b128 v[1:4], v60 offset:1184
	v_mul_f64 v[97:98], v[5:6], v[103:104]
	s_waitcnt vmcnt(56)
	v_fma_f64 v[15:16], v[9:10], v[93:94], -v[15:16]
	v_add_f64 v[21:22], v[21:22], v[85:86]
	v_fma_f64 v[85:86], v[11:12], v[93:94], v[112:113]
	v_add_f64 v[13:14], v[13:14], v[79:80]
	s_clause 0x4
	buffer_load_dword v80, off, s[0:3], 0 offset:604
	buffer_load_dword v93, off, s[0:3], 0 offset:616
	;; [unrolled: 1-line block ×5, first 2 shown]
	ds_read_b128 v[9:12], v60 offset:1200
	s_waitcnt vmcnt(57) lgkmcnt(1)
	v_mul_f64 v[112:113], v[1:2], v[33:34]
	v_mul_f64 v[33:34], v[3:4], v[33:34]
	s_waitcnt vmcnt(56)
	v_fma_f64 v[101:102], v[5:6], v[108:109], -v[101:102]
	v_add_f64 v[15:16], v[21:22], v[15:16]
	v_fma_f64 v[21:22], v[7:8], v[108:109], v[97:98]
	v_add_f64 v[13:14], v[13:14], v[85:86]
	s_clause 0x2
	buffer_load_dword v94, off, s[0:3], 0 offset:620
	buffer_load_dword v86, off, s[0:3], 0 offset:596
	buffer_load_dword v85, off, s[0:3], 0 offset:592
	ds_read_b128 v[5:8], v60 offset:1216
	s_waitcnt vmcnt(58) lgkmcnt(1)
	v_mul_f64 v[97:98], v[9:10], v[95:96]
	v_mul_f64 v[95:96], v[11:12], v[95:96]
	s_waitcnt vmcnt(56)
	v_fma_f64 v[33:34], v[1:2], v[27:28], -v[33:34]
	v_fma_f64 v[27:28], v[3:4], v[27:28], v[112:113]
	v_add_f64 v[15:16], v[15:16], v[101:102]
	v_add_f64 v[13:14], v[13:14], v[21:22]
	s_clause 0x4
	buffer_load_dword v22, off, s[0:3], 0 offset:636
	buffer_load_dword v101, off, s[0:3], 0 offset:648
	;; [unrolled: 1-line block ×5, first 2 shown]
	ds_read_b128 v[1:4], v60 offset:1232
	s_waitcnt vmcnt(57) lgkmcnt(1)
	v_mul_f64 v[108:109], v[5:6], v[19:20]
	v_mul_f64 v[19:20], v[7:8], v[19:20]
	s_waitcnt vmcnt(56)
	v_fma_f64 v[95:96], v[9:10], v[110:111], -v[95:96]
	v_add_f64 v[15:16], v[15:16], v[33:34]
	v_fma_f64 v[33:34], v[11:12], v[110:111], v[97:98]
	v_add_f64 v[13:14], v[13:14], v[27:28]
	s_clause 0x2
	buffer_load_dword v102, off, s[0:3], 0 offset:652
	buffer_load_dword v28, off, s[0:3], 0 offset:628
	;; [unrolled: 1-line block ×3, first 2 shown]
	ds_read_b128 v[9:12], v60 offset:1248
	s_waitcnt vmcnt(58) lgkmcnt(1)
	v_mul_f64 v[97:98], v[1:2], v[37:38]
	v_mul_f64 v[37:38], v[3:4], v[37:38]
	s_waitcnt vmcnt(56)
	v_fma_f64 v[19:20], v[5:6], v[25:26], -v[19:20]
	v_fma_f64 v[25:26], v[7:8], v[25:26], v[108:109]
	v_add_f64 v[15:16], v[15:16], v[95:96]
	v_add_f64 v[13:14], v[13:14], v[33:34]
	s_clause 0x4
	buffer_load_dword v34, off, s[0:3], 0 offset:668
	buffer_load_dword v95, off, s[0:3], 0 offset:680
	;; [unrolled: 1-line block ×5, first 2 shown]
	ds_read_b128 v[5:8], v60 offset:1264
	s_waitcnt vmcnt(57) lgkmcnt(1)
	v_mul_f64 v[110:111], v[9:10], v[23:24]
	v_mul_f64 v[23:24], v[11:12], v[23:24]
	s_waitcnt vmcnt(56)
	v_fma_f64 v[37:38], v[1:2], v[105:106], -v[37:38]
	v_add_f64 v[15:16], v[15:16], v[19:20]
	v_fma_f64 v[19:20], v[3:4], v[105:106], v[97:98]
	v_add_f64 v[13:14], v[13:14], v[25:26]
	s_clause 0x2
	buffer_load_dword v96, off, s[0:3], 0 offset:684
	buffer_load_dword v26, off, s[0:3], 0 offset:660
	;; [unrolled: 1-line block ×3, first 2 shown]
	s_waitcnt vmcnt(58) lgkmcnt(0)
	v_mul_f64 v[97:98], v[5:6], v[67:68]
	v_mul_f64 v[67:68], v[7:8], v[67:68]
	ds_read_b128 v[1:4], v60 offset:1280
	s_waitcnt vmcnt(56)
	v_fma_f64 v[23:24], v[9:10], v[31:32], -v[23:24]
	v_fma_f64 v[31:32], v[11:12], v[31:32], v[110:111]
	v_add_f64 v[15:16], v[15:16], v[37:38]
	v_add_f64 v[13:14], v[13:14], v[19:20]
	s_clause 0x4
	buffer_load_dword v20, off, s[0:3], 0 offset:700
	buffer_load_dword v37, off, s[0:3], 0 offset:712
	;; [unrolled: 1-line block ×5, first 2 shown]
	ds_read_b128 v[9:12], v60 offset:1296
	s_waitcnt vmcnt(57) lgkmcnt(1)
	v_mul_f64 v[111:112], v[1:2], v[29:30]
	v_mul_f64 v[29:30], v[3:4], v[29:30]
	s_waitcnt vmcnt(56)
	v_fma_f64 v[67:68], v[5:6], v[91:92], -v[67:68]
	v_add_f64 v[15:16], v[15:16], v[23:24]
	v_fma_f64 v[23:24], v[7:8], v[91:92], v[97:98]
	v_add_f64 v[13:14], v[13:14], v[31:32]
	s_clause 0x2
	buffer_load_dword v38, off, s[0:3], 0 offset:716
	buffer_load_dword v32, off, s[0:3], 0 offset:692
	;; [unrolled: 1-line block ×3, first 2 shown]
	s_waitcnt vmcnt(58) lgkmcnt(0)
	v_mul_f64 v[91:92], v[9:10], v[73:74]
	v_mul_f64 v[73:74], v[11:12], v[73:74]
	ds_read_b128 v[5:8], v60 offset:1312
	s_waitcnt vmcnt(56)
	v_fma_f64 v[29:30], v[1:2], v[63:64], -v[29:30]
	v_fma_f64 v[63:64], v[3:4], v[63:64], v[111:112]
	v_add_f64 v[15:16], v[15:16], v[67:68]
	v_add_f64 v[13:14], v[13:14], v[23:24]
	s_clause 0x4
	buffer_load_dword v24, off, s[0:3], 0 offset:732
	buffer_load_dword v67, off, s[0:3], 0 offset:744
	buffer_load_dword v97, off, s[0:3], 0 offset:736
	buffer_load_dword v23, off, s[0:3], 0 offset:728
	buffer_load_dword v106, off, s[0:3], 0 offset:708
	ds_read_b128 v[1:4], v60 offset:1328
	s_waitcnt vmcnt(57) lgkmcnt(1)
	v_mul_f64 v[111:112], v[5:6], v[35:36]
	v_mul_f64 v[35:36], v[7:8], v[35:36]
	s_waitcnt vmcnt(56)
	v_fma_f64 v[73:74], v[9:10], v[75:76], -v[73:74]
	v_add_f64 v[15:16], v[15:16], v[29:30]
	v_fma_f64 v[29:30], v[11:12], v[75:76], v[91:92]
	v_add_f64 v[13:14], v[13:14], v[63:64]
	s_clause 0x2
	buffer_load_dword v68, off, s[0:3], 0 offset:748
	buffer_load_dword v64, off, s[0:3], 0 offset:724
	buffer_load_dword v63, off, s[0:3], 0 offset:720
	ds_read_b128 v[9:12], v60 offset:1344
	s_waitcnt vmcnt(58) lgkmcnt(1)
	v_mul_f64 v[75:76], v[1:2], v[81:82]
	v_mul_f64 v[81:82], v[3:4], v[81:82]
	s_waitcnt vmcnt(56)
	v_fma_f64 v[35:36], v[5:6], v[58:59], -v[35:36]
	v_fma_f64 v[58:59], v[7:8], v[58:59], v[111:112]
	v_add_f64 v[15:16], v[15:16], v[73:74]
	v_add_f64 v[13:14], v[13:14], v[29:30]
	s_clause 0x4
	buffer_load_dword v30, off, s[0:3], 0 offset:764
	buffer_load_dword v73, off, s[0:3], 0 offset:776
	buffer_load_dword v91, off, s[0:3], 0 offset:768
	buffer_load_dword v29, off, s[0:3], 0 offset:760
	buffer_load_dword v98, off, s[0:3], 0 offset:740
	ds_read_b128 v[5:8], v60 offset:1360
	s_waitcnt vmcnt(57) lgkmcnt(1)
	v_mul_f64 v[111:112], v[9:10], v[65:66]
	v_mul_f64 v[65:66], v[11:12], v[65:66]
	s_waitcnt vmcnt(56)
	v_fma_f64 v[81:82], v[1:2], v[83:84], -v[81:82]
	v_add_f64 v[15:16], v[15:16], v[35:36]
	v_fma_f64 v[35:36], v[3:4], v[83:84], v[75:76]
	v_add_f64 v[13:14], v[13:14], v[58:59]
	s_clause 0x2
	buffer_load_dword v74, off, s[0:3], 0 offset:780
	buffer_load_dword v59, off, s[0:3], 0 offset:756
	buffer_load_dword v58, off, s[0:3], 0 offset:752
	ds_read_b128 v[1:4], v60 offset:1376
	s_waitcnt vmcnt(58) lgkmcnt(1)
	v_mul_f64 v[83:84], v[7:8], v[87:88]
	v_mul_f64 v[75:76], v[5:6], v[87:88]
	;; [unrolled: 28-line block ×3, first 2 shown]
	s_waitcnt vmcnt(56)
	v_fma_f64 v[71:72], v[1:2], v[17:18], -v[71:72]
	v_fma_f64 v[17:18], v[3:4], v[17:18], v[111:112]
	v_add_f64 v[15:16], v[15:16], v[83:84]
	v_add_f64 v[13:14], v[13:14], v[65:66]
	s_clause 0x4
	buffer_load_dword v66, off, s[0:3], 0 offset:828
	buffer_load_dword v83, off, s[0:3], 0 offset:840
	;; [unrolled: 1-line block ×5, first 2 shown]
	ds_read_b128 v[1:4], v60 offset:1424
	s_waitcnt vmcnt(57) lgkmcnt(1)
	v_mul_f64 v[111:112], v[5:6], v[79:80]
	v_mul_f64 v[79:80], v[7:8], v[79:80]
	s_waitcnt vmcnt(56)
	v_fma_f64 v[77:78], v[9:10], v[99:100], -v[77:78]
	v_add_f64 v[15:16], v[15:16], v[71:72]
	v_fma_f64 v[71:72], v[11:12], v[99:100], v[75:76]
	v_add_f64 v[13:14], v[13:14], v[17:18]
	s_clause 0x2
	buffer_load_dword v84, off, s[0:3], 0 offset:844
	buffer_load_dword v18, off, s[0:3], 0 offset:820
	;; [unrolled: 1-line block ×3, first 2 shown]
	ds_read_b128 v[9:12], v60 offset:1440
	buffer_load_dword v90, off, s[0:3], 0 offset:836
	s_waitcnt vmcnt(59) lgkmcnt(1)
	v_mul_f64 v[75:76], v[1:2], v[93:94]
	v_mul_f64 v[93:94], v[3:4], v[93:94]
	s_waitcnt vmcnt(57)
	v_fma_f64 v[79:80], v[5:6], v[85:86], -v[79:80]
	v_add_f64 v[15:16], v[15:16], v[77:78]
	v_fma_f64 v[77:78], v[7:8], v[85:86], v[111:112]
	v_add_f64 v[13:14], v[13:14], v[71:72]
	ds_read_b128 v[5:8], v60 offset:1456
	s_waitcnt vmcnt(53) lgkmcnt(1)
	v_mul_f64 v[71:72], v[9:10], v[21:22]
	v_mul_f64 v[21:22], v[11:12], v[21:22]
	s_waitcnt vmcnt(52)
	v_fma_f64 v[85:86], v[1:2], v[103:104], -v[93:94]
	v_fma_f64 v[75:76], v[3:4], v[103:104], v[75:76]
	ds_read_b128 v[1:4], v60 offset:1472
	v_add_f64 v[15:16], v[15:16], v[79:80]
	v_add_f64 v[13:14], v[13:14], v[77:78]
	s_waitcnt vmcnt(51) lgkmcnt(1)
	v_mul_f64 v[79:80], v[7:8], v[101:102]
	v_mul_f64 v[77:78], v[5:6], v[101:102]
	s_waitcnt vmcnt(49)
	v_fma_f64 v[21:22], v[9:10], v[27:28], -v[21:22]
	v_fma_f64 v[27:28], v[11:12], v[27:28], v[71:72]
	v_add_f64 v[15:16], v[15:16], v[85:86]
	v_add_f64 v[13:14], v[13:14], v[75:76]
	s_clause 0x3
	buffer_load_dword v71, off, s[0:3], 0 offset:48
	buffer_load_dword v72, off, s[0:3], 0 offset:52
	;; [unrolled: 1-line block ×4, first 2 shown]
	ds_read_b128 v[9:12], v60 offset:1488
	s_waitcnt vmcnt(49) lgkmcnt(1)
	v_mul_f64 v[85:86], v[1:2], v[33:34]
	v_mul_f64 v[33:34], v[3:4], v[33:34]
	s_waitcnt vmcnt(48)
	v_fma_f64 v[79:80], v[5:6], v[107:108], -v[79:80]
	v_add_f64 v[15:16], v[15:16], v[21:22]
	v_fma_f64 v[21:22], v[7:8], v[107:108], v[77:78]
	v_add_f64 v[13:14], v[13:14], v[27:28]
	ds_read_b128 v[5:8], v60 offset:1504
	s_waitcnt vmcnt(47) lgkmcnt(1)
	v_mul_f64 v[77:78], v[11:12], v[95:96]
	v_mul_f64 v[27:28], v[9:10], v[95:96]
	s_waitcnt vmcnt(45)
	v_fma_f64 v[33:34], v[1:2], v[25:26], -v[33:34]
	v_fma_f64 v[25:26], v[3:4], v[25:26], v[85:86]
	ds_read_b128 v[1:4], v60 offset:1520
	v_add_f64 v[15:16], v[15:16], v[79:80]
	v_add_f64 v[13:14], v[13:14], v[21:22]
	s_waitcnt vmcnt(41) lgkmcnt(1)
	v_mul_f64 v[21:22], v[5:6], v[19:20]
	v_mul_f64 v[19:20], v[7:8], v[19:20]
	s_waitcnt vmcnt(40)
	v_fma_f64 v[77:78], v[9:10], v[109:110], -v[77:78]
	v_fma_f64 v[27:28], v[11:12], v[109:110], v[27:28]
	ds_read_b128 v[9:12], v60 offset:1536
	v_add_f64 v[15:16], v[15:16], v[33:34]
	v_add_f64 v[13:14], v[13:14], v[25:26]
	;; [unrolled: 9-line block ×3, first 2 shown]
	s_waitcnt vmcnt(33) lgkmcnt(1)
	v_mul_f64 v[27:28], v[9:10], v[23:24]
	v_mul_f64 v[23:24], v[11:12], v[23:24]
	s_waitcnt vmcnt(32)
	v_fma_f64 v[31:32], v[1:2], v[105:106], -v[33:34]
	v_add_f64 v[15:16], v[15:16], v[19:20]
	v_fma_f64 v[19:20], v[3:4], v[105:106], v[25:26]
	v_add_f64 v[13:14], v[13:14], v[21:22]
	ds_read_b128 v[1:4], v60 offset:1568
	s_waitcnt vmcnt(31) lgkmcnt(1)
	v_mul_f64 v[25:26], v[7:8], v[67:68]
	v_mul_f64 v[21:22], v[5:6], v[67:68]
	s_waitcnt vmcnt(29)
	v_fma_f64 v[23:24], v[9:10], v[63:64], -v[23:24]
	v_fma_f64 v[27:28], v[11:12], v[63:64], v[27:28]
	ds_read_b128 v[9:12], v60 offset:1584
	v_add_f64 v[15:16], v[15:16], v[31:32]
	v_add_f64 v[13:14], v[13:14], v[19:20]
	s_waitcnt vmcnt(25) lgkmcnt(1)
	v_mul_f64 v[19:20], v[1:2], v[29:30]
	v_mul_f64 v[29:30], v[3:4], v[29:30]
	s_waitcnt vmcnt(24)
	v_fma_f64 v[25:26], v[5:6], v[97:98], -v[25:26]
	v_fma_f64 v[21:22], v[7:8], v[97:98], v[21:22]
	ds_read_b128 v[5:8], v60 offset:1600
	v_add_f64 v[15:16], v[15:16], v[23:24]
	v_add_f64 v[13:14], v[13:14], v[27:28]
	;; [unrolled: 9-line block ×3, first 2 shown]
	s_waitcnt vmcnt(17) lgkmcnt(1)
	v_mul_f64 v[25:26], v[7:8], v[35:36]
	s_waitcnt vmcnt(16)
	v_fma_f64 v[27:28], v[9:10], v[91:92], -v[27:28]
	v_mul_f64 v[21:22], v[5:6], v[35:36]
	v_fma_f64 v[23:24], v[11:12], v[91:92], v[23:24]
	ds_read_b128 v[9:12], v60 offset:1632
	v_add_f64 v[15:16], v[15:16], v[29:30]
	v_add_f64 v[13:14], v[13:14], v[19:20]
	s_waitcnt vmcnt(15) lgkmcnt(1)
	v_mul_f64 v[29:30], v[3:4], v[81:82]
	v_mul_f64 v[19:20], v[1:2], v[81:82]
	s_waitcnt vmcnt(13)
	v_fma_f64 v[25:26], v[5:6], v[69:70], -v[25:26]
	v_fma_f64 v[21:22], v[7:8], v[69:70], v[21:22]
	ds_read_b128 v[5:8], v60 offset:1648
	v_add_f64 v[15:16], v[15:16], v[27:28]
	v_add_f64 v[13:14], v[13:14], v[23:24]
	s_waitcnt vmcnt(9) lgkmcnt(1)
	v_mul_f64 v[27:28], v[11:12], v[65:66]
	s_waitcnt vmcnt(8)
	v_fma_f64 v[1:2], v[1:2], v[87:88], -v[29:30]
	v_mul_f64 v[23:24], v[9:10], v[65:66]
	v_fma_f64 v[3:4], v[3:4], v[87:88], v[19:20]
	v_add_f64 v[15:16], v[15:16], v[25:26]
	v_add_f64 v[13:14], v[13:14], v[21:22]
	s_waitcnt vmcnt(7) lgkmcnt(0)
	v_mul_f64 v[21:22], v[7:8], v[83:84]
	v_mul_f64 v[19:20], v[5:6], v[83:84]
	s_waitcnt vmcnt(5)
	v_fma_f64 v[9:10], v[9:10], v[17:18], -v[27:28]
	v_fma_f64 v[11:12], v[11:12], v[17:18], v[23:24]
	v_add_f64 v[1:2], v[15:16], v[1:2]
	v_add_f64 v[3:4], v[13:14], v[3:4]
	s_waitcnt vmcnt(4)
	v_fma_f64 v[5:6], v[5:6], v[89:90], -v[21:22]
	v_fma_f64 v[7:8], v[7:8], v[89:90], v[19:20]
	v_add_f64 v[1:2], v[1:2], v[9:10]
	v_add_f64 v[3:4], v[3:4], v[11:12]
	v_add_f64 v[1:2], v[1:2], v[5:6]
	v_add_f64 v[3:4], v[3:4], v[7:8]
	s_waitcnt vmcnt(2)
	v_add_f64 v[1:2], v[71:72], -v[1:2]
	s_waitcnt vmcnt(0)
	v_add_f64 v[3:4], v[75:76], -v[3:4]
	buffer_store_dword v2, off, s[0:3], 0 offset:52
	buffer_store_dword v1, off, s[0:3], 0 offset:48
	;; [unrolled: 1-line block ×4, first 2 shown]
	v_cmpx_lt_u32_e32 1, v0
	s_cbranch_execz .LBB51_323
; %bb.322:
	v_mov_b32_e32 v4, s63
	s_clause 0x3
	buffer_load_dword v1, v4, s[0:3], 0 offen
	buffer_load_dword v2, v4, s[0:3], 0 offen offset:4
	buffer_load_dword v3, v4, s[0:3], 0 offen offset:8
	;; [unrolled: 1-line block ×3, first 2 shown]
	buffer_store_dword v60, off, s[0:3], 0 offset:32
	buffer_store_dword v60, off, s[0:3], 0 offset:36
	;; [unrolled: 1-line block ×4, first 2 shown]
	s_waitcnt vmcnt(0)
	ds_write_b128 v39, v[1:4]
.LBB51_323:
	s_or_b32 exec_lo, exec_lo, s4
	s_waitcnt lgkmcnt(0)
	s_waitcnt_vscnt null, 0x0
	s_barrier
	buffer_gl0_inv
	s_clause 0x37
	buffer_load_dword v17, off, s[0:3], 0 offset:56
	buffer_load_dword v18, off, s[0:3], 0 offset:60
	;; [unrolled: 1-line block ×56, first 2 shown]
	ds_read_b128 v[5:8], v60 offset:864
	s_clause 0x2
	buffer_load_dword v88, off, s[0:3], 0 offset:284
	buffer_load_dword v90, off, s[0:3], 0 offset:260
	;; [unrolled: 1-line block ×3, first 2 shown]
	ds_read_b128 v[1:4], v60 offset:880
	s_clause 0x4
	buffer_load_dword v98, off, s[0:3], 0 offset:300
	buffer_load_dword v99, off, s[0:3], 0 offset:312
	;; [unrolled: 1-line block ×5, first 2 shown]
	ds_read_b128 v[91:94], v60 offset:896
	s_mov_b32 s4, exec_lo
	s_waitcnt vmcnt(62) lgkmcnt(2)
	v_mul_f64 v[95:96], v[7:8], v[17:18]
	v_mul_f64 v[17:18], v[5:6], v[17:18]
	s_waitcnt vmcnt(60) lgkmcnt(1)
	v_mul_f64 v[102:103], v[3:4], v[13:14]
	v_mul_f64 v[13:14], v[1:2], v[13:14]
	;; [unrolled: 3-line block ×3, first 2 shown]
	v_fma_f64 v[95:96], v[5:6], v[15:16], -v[95:96]
	v_fma_f64 v[15:16], v[7:8], v[15:16], v[17:18]
	s_clause 0x2
	buffer_load_dword v100, off, s[0:3], 0 offset:316
	buffer_load_dword v18, off, s[0:3], 0 offset:292
	;; [unrolled: 1-line block ×3, first 2 shown]
	s_waitcnt vmcnt(57)
	v_fma_f64 v[106:107], v[1:2], v[9:10], -v[102:103]
	ds_read_b128 v[5:8], v60 offset:912
	v_fma_f64 v[9:10], v[3:4], v[9:10], v[13:14]
	s_waitcnt vmcnt(51)
	v_fma_f64 v[91:92], v[91:92], v[33:34], -v[11:12]
	v_fma_f64 v[33:34], v[93:94], v[33:34], v[104:105]
	v_add_f64 v[95:96], v[95:96], 0
	v_add_f64 v[13:14], v[15:16], 0
	s_clause 0x4
	buffer_load_dword v16, off, s[0:3], 0 offset:332
	buffer_load_dword v103, off, s[0:3], 0 offset:344
	;; [unrolled: 1-line block ×5, first 2 shown]
	s_waitcnt lgkmcnt(0)
	v_mul_f64 v[109:110], v[5:6], v[21:22]
	v_mul_f64 v[21:22], v[7:8], v[21:22]
	ds_read_b128 v[1:4], v60 offset:928
	s_clause 0x2
	buffer_load_dword v104, off, s[0:3], 0 offset:348
	buffer_load_dword v94, off, s[0:3], 0 offset:324
	;; [unrolled: 1-line block ×3, first 2 shown]
	v_add_f64 v[95:96], v[95:96], v[106:107]
	v_add_f64 v[13:14], v[13:14], v[9:10]
	ds_read_b128 v[9:12], v60 offset:944
	s_waitcnt vmcnt(58) lgkmcnt(1)
	v_mul_f64 v[105:106], v[1:2], v[25:26]
	v_mul_f64 v[25:26], v[3:4], v[25:26]
	s_waitcnt vmcnt(56)
	v_fma_f64 v[21:22], v[5:6], v[27:28], -v[21:22]
	v_fma_f64 v[27:28], v[7:8], v[27:28], v[109:110]
	s_waitcnt vmcnt(52) lgkmcnt(0)
	v_mul_f64 v[111:112], v[9:10], v[29:30]
	v_add_f64 v[91:92], v[95:96], v[91:92]
	v_add_f64 v[13:14], v[13:14], v[33:34]
	s_clause 0x4
	buffer_load_dword v34, off, s[0:3], 0 offset:364
	buffer_load_dword v95, off, s[0:3], 0 offset:376
	;; [unrolled: 1-line block ×5, first 2 shown]
	v_mul_f64 v[29:30], v[11:12], v[29:30]
	s_waitcnt vmcnt(56)
	v_fma_f64 v[25:26], v[1:2], v[19:20], -v[25:26]
	ds_read_b128 v[5:8], v60 offset:960
	v_fma_f64 v[19:20], v[3:4], v[19:20], v[105:106]
	v_add_f64 v[21:22], v[91:92], v[21:22]
	v_add_f64 v[13:14], v[13:14], v[27:28]
	s_clause 0x2
	buffer_load_dword v96, off, s[0:3], 0 offset:380
	buffer_load_dword v28, off, s[0:3], 0 offset:356
	;; [unrolled: 1-line block ×3, first 2 shown]
	s_waitcnt vmcnt(58) lgkmcnt(0)
	v_mul_f64 v[91:92], v[5:6], v[35:36]
	v_mul_f64 v[35:36], v[7:8], v[35:36]
	s_waitcnt vmcnt(56)
	v_fma_f64 v[29:30], v[9:10], v[37:38], -v[29:30]
	ds_read_b128 v[1:4], v60 offset:976
	v_add_f64 v[21:22], v[21:22], v[25:26]
	v_fma_f64 v[25:26], v[11:12], v[37:38], v[111:112]
	v_add_f64 v[13:14], v[13:14], v[19:20]
	s_clause 0x4
	buffer_load_dword v20, off, s[0:3], 0 offset:396
	buffer_load_dword v37, off, s[0:3], 0 offset:408
	;; [unrolled: 1-line block ×5, first 2 shown]
	s_waitcnt vmcnt(57) lgkmcnt(0)
	v_mul_f64 v[106:107], v[1:2], v[58:59]
	v_mul_f64 v[58:59], v[3:4], v[58:59]
	s_waitcnt vmcnt(56)
	v_fma_f64 v[35:36], v[5:6], v[23:24], -v[35:36]
	ds_read_b128 v[9:12], v60 offset:992
	v_fma_f64 v[23:24], v[7:8], v[23:24], v[91:92]
	v_add_f64 v[21:22], v[21:22], v[29:30]
	v_add_f64 v[13:14], v[13:14], v[25:26]
	s_clause 0x2
	buffer_load_dword v38, off, s[0:3], 0 offset:412
	buffer_load_dword v26, off, s[0:3], 0 offset:388
	;; [unrolled: 1-line block ×3, first 2 shown]
	ds_read_b128 v[5:8], v60 offset:1008
	s_waitcnt vmcnt(58) lgkmcnt(1)
	v_mul_f64 v[29:30], v[9:10], v[65:66]
	v_mul_f64 v[65:66], v[11:12], v[65:66]
	s_waitcnt vmcnt(56)
	v_fma_f64 v[58:59], v[1:2], v[67:68], -v[58:59]
	v_add_f64 v[21:22], v[21:22], v[35:36]
	v_fma_f64 v[35:36], v[3:4], v[67:68], v[106:107]
	v_add_f64 v[13:14], v[13:14], v[23:24]
	s_clause 0x4
	buffer_load_dword v24, off, s[0:3], 0 offset:428
	buffer_load_dword v67, off, s[0:3], 0 offset:440
	buffer_load_dword v91, off, s[0:3], 0 offset:432
	buffer_load_dword v23, off, s[0:3], 0 offset:424
	buffer_load_dword v106, off, s[0:3], 0 offset:404
	s_waitcnt vmcnt(57) lgkmcnt(0)
	v_mul_f64 v[112:113], v[5:6], v[69:70]
	v_mul_f64 v[69:70], v[7:8], v[69:70]
	s_waitcnt vmcnt(56)
	v_fma_f64 v[65:66], v[9:10], v[31:32], -v[65:66]
	ds_read_b128 v[1:4], v60 offset:1024
	v_fma_f64 v[29:30], v[11:12], v[31:32], v[29:30]
	s_clause 0x2
	buffer_load_dword v68, off, s[0:3], 0 offset:444
	buffer_load_dword v32, off, s[0:3], 0 offset:420
	;; [unrolled: 1-line block ×3, first 2 shown]
	ds_read_b128 v[9:12], v60 offset:1040
	v_add_f64 v[21:22], v[21:22], v[58:59]
	v_add_f64 v[13:14], v[13:14], v[35:36]
	s_waitcnt vmcnt(58) lgkmcnt(1)
	v_mul_f64 v[58:59], v[3:4], v[73:74]
	s_waitcnt vmcnt(56)
	v_fma_f64 v[69:70], v[5:6], v[75:76], -v[69:70]
	v_mul_f64 v[35:36], v[1:2], v[73:74]
	v_add_f64 v[21:22], v[21:22], v[65:66]
	v_fma_f64 v[65:66], v[7:8], v[75:76], v[112:113]
	v_add_f64 v[13:14], v[13:14], v[29:30]
	s_clause 0x4
	buffer_load_dword v30, off, s[0:3], 0 offset:460
	buffer_load_dword v73, off, s[0:3], 0 offset:472
	buffer_load_dword v75, off, s[0:3], 0 offset:464
	buffer_load_dword v29, off, s[0:3], 0 offset:456
	buffer_load_dword v92, off, s[0:3], 0 offset:436
	s_waitcnt vmcnt(57) lgkmcnt(0)
	v_mul_f64 v[112:113], v[9:10], v[77:78]
	v_mul_f64 v[76:77], v[11:12], v[77:78]
	s_waitcnt vmcnt(56)
	v_fma_f64 v[58:59], v[1:2], v[63:64], -v[58:59]
	ds_read_b128 v[5:8], v60 offset:1056
	v_fma_f64 v[35:36], v[3:4], v[63:64], v[35:36]
	s_clause 0x2
	buffer_load_dword v74, off, s[0:3], 0 offset:476
	buffer_load_dword v64, off, s[0:3], 0 offset:452
	;; [unrolled: 1-line block ×3, first 2 shown]
	ds_read_b128 v[1:4], v60 offset:1072
	v_add_f64 v[21:22], v[21:22], v[69:70]
	v_add_f64 v[13:14], v[13:14], v[65:66]
	s_waitcnt vmcnt(58) lgkmcnt(1)
	v_mul_f64 v[69:70], v[7:8], v[81:82]
	s_waitcnt vmcnt(56)
	v_fma_f64 v[77:78], v[9:10], v[83:84], -v[76:77]
	v_mul_f64 v[65:66], v[5:6], v[81:82]
	v_add_f64 v[21:22], v[21:22], v[58:59]
	v_fma_f64 v[58:59], v[11:12], v[83:84], v[112:113]
	v_add_f64 v[13:14], v[13:14], v[35:36]
	s_clause 0x4
	buffer_load_dword v36, off, s[0:3], 0 offset:492
	buffer_load_dword v81, off, s[0:3], 0 offset:504
	;; [unrolled: 1-line block ×5, first 2 shown]
	s_waitcnt vmcnt(57) lgkmcnt(0)
	v_mul_f64 v[112:113], v[1:2], v[85:86]
	v_mul_f64 v[84:85], v[3:4], v[85:86]
	s_waitcnt vmcnt(56)
	v_fma_f64 v[69:70], v[5:6], v[71:72], -v[69:70]
	ds_read_b128 v[9:12], v60 offset:1088
	v_fma_f64 v[65:66], v[7:8], v[71:72], v[65:66]
	v_add_f64 v[21:22], v[21:22], v[77:78]
	v_add_f64 v[13:14], v[13:14], v[58:59]
	s_clause 0x2
	buffer_load_dword v82, off, s[0:3], 0 offset:508
	buffer_load_dword v59, off, s[0:3], 0 offset:484
	;; [unrolled: 1-line block ×3, first 2 shown]
	ds_read_b128 v[5:8], v60 offset:1104
	s_waitcnt vmcnt(58) lgkmcnt(1)
	v_mul_f64 v[77:78], v[11:12], v[87:88]
	s_waitcnt vmcnt(56)
	v_fma_f64 v[85:86], v[1:2], v[89:90], -v[84:85]
	v_mul_f64 v[71:72], v[9:10], v[87:88]
	v_add_f64 v[21:22], v[21:22], v[69:70]
	v_fma_f64 v[69:70], v[3:4], v[89:90], v[112:113]
	v_add_f64 v[13:14], v[13:14], v[65:66]
	s_clause 0x4
	buffer_load_dword v66, off, s[0:3], 0 offset:524
	buffer_load_dword v87, off, s[0:3], 0 offset:536
	;; [unrolled: 1-line block ×5, first 2 shown]
	s_waitcnt vmcnt(57) lgkmcnt(0)
	v_mul_f64 v[112:113], v[5:6], v[97:98]
	v_mul_f64 v[97:98], v[7:8], v[97:98]
	s_waitcnt vmcnt(56)
	v_fma_f64 v[77:78], v[9:10], v[79:80], -v[77:78]
	ds_read_b128 v[1:4], v60 offset:1120
	v_fma_f64 v[71:72], v[11:12], v[79:80], v[71:72]
	v_add_f64 v[21:22], v[21:22], v[85:86]
	v_add_f64 v[13:14], v[13:14], v[69:70]
	s_clause 0x2
	buffer_load_dword v88, off, s[0:3], 0 offset:540
	buffer_load_dword v70, off, s[0:3], 0 offset:516
	;; [unrolled: 1-line block ×3, first 2 shown]
	ds_read_b128 v[9:12], v60 offset:1136
	s_waitcnt vmcnt(58) lgkmcnt(1)
	v_mul_f64 v[85:86], v[3:4], v[99:100]
	v_mul_f64 v[79:80], v[1:2], v[99:100]
	s_waitcnt vmcnt(56)
	v_fma_f64 v[97:98], v[5:6], v[17:18], -v[97:98]
	v_fma_f64 v[17:18], v[7:8], v[17:18], v[112:113]
	v_add_f64 v[21:22], v[21:22], v[77:78]
	v_add_f64 v[13:14], v[13:14], v[71:72]
	s_clause 0x4
	buffer_load_dword v72, off, s[0:3], 0 offset:556
	buffer_load_dword v77, off, s[0:3], 0 offset:568
	;; [unrolled: 1-line block ×5, first 2 shown]
	ds_read_b128 v[5:8], v60 offset:1152
	s_waitcnt vmcnt(57) lgkmcnt(1)
	v_mul_f64 v[112:113], v[9:10], v[15:16]
	v_mul_f64 v[15:16], v[11:12], v[15:16]
	s_waitcnt vmcnt(56)
	v_fma_f64 v[85:86], v[1:2], v[101:102], -v[85:86]
	v_fma_f64 v[79:80], v[3:4], v[101:102], v[79:80]
	v_add_f64 v[21:22], v[21:22], v[97:98]
	v_add_f64 v[13:14], v[13:14], v[17:18]
	s_clause 0x2
	buffer_load_dword v78, off, s[0:3], 0 offset:572
	buffer_load_dword v18, off, s[0:3], 0 offset:548
	;; [unrolled: 1-line block ×3, first 2 shown]
	s_waitcnt vmcnt(58) lgkmcnt(0)
	v_mul_f64 v[101:102], v[7:8], v[103:104]
	ds_read_b128 v[1:4], v60 offset:1168
	v_mul_f64 v[97:98], v[5:6], v[103:104]
	s_waitcnt vmcnt(56)
	v_fma_f64 v[15:16], v[9:10], v[93:94], -v[15:16]
	v_add_f64 v[21:22], v[21:22], v[85:86]
	v_fma_f64 v[85:86], v[11:12], v[93:94], v[112:113]
	v_add_f64 v[13:14], v[13:14], v[79:80]
	s_clause 0x4
	buffer_load_dword v80, off, s[0:3], 0 offset:588
	buffer_load_dword v93, off, s[0:3], 0 offset:600
	buffer_load_dword v103, off, s[0:3], 0 offset:592
	buffer_load_dword v79, off, s[0:3], 0 offset:584
	buffer_load_dword v100, off, s[0:3], 0 offset:564
	ds_read_b128 v[9:12], v60 offset:1184
	s_waitcnt vmcnt(57) lgkmcnt(1)
	v_mul_f64 v[112:113], v[1:2], v[33:34]
	v_mul_f64 v[33:34], v[3:4], v[33:34]
	s_waitcnt vmcnt(56)
	v_fma_f64 v[101:102], v[5:6], v[108:109], -v[101:102]
	v_add_f64 v[15:16], v[21:22], v[15:16]
	v_fma_f64 v[21:22], v[7:8], v[108:109], v[97:98]
	v_add_f64 v[13:14], v[13:14], v[85:86]
	s_clause 0x2
	buffer_load_dword v94, off, s[0:3], 0 offset:604
	buffer_load_dword v86, off, s[0:3], 0 offset:580
	;; [unrolled: 1-line block ×3, first 2 shown]
	ds_read_b128 v[5:8], v60 offset:1200
	s_waitcnt vmcnt(58) lgkmcnt(1)
	v_mul_f64 v[97:98], v[9:10], v[95:96]
	v_mul_f64 v[95:96], v[11:12], v[95:96]
	s_waitcnt vmcnt(56)
	v_fma_f64 v[33:34], v[1:2], v[27:28], -v[33:34]
	v_fma_f64 v[27:28], v[3:4], v[27:28], v[112:113]
	v_add_f64 v[15:16], v[15:16], v[101:102]
	v_add_f64 v[13:14], v[13:14], v[21:22]
	s_clause 0x4
	buffer_load_dword v22, off, s[0:3], 0 offset:620
	buffer_load_dword v101, off, s[0:3], 0 offset:632
	;; [unrolled: 1-line block ×5, first 2 shown]
	ds_read_b128 v[1:4], v60 offset:1216
	s_waitcnt vmcnt(57) lgkmcnt(1)
	v_mul_f64 v[108:109], v[5:6], v[19:20]
	v_mul_f64 v[19:20], v[7:8], v[19:20]
	s_waitcnt vmcnt(56)
	v_fma_f64 v[95:96], v[9:10], v[110:111], -v[95:96]
	v_add_f64 v[15:16], v[15:16], v[33:34]
	v_fma_f64 v[33:34], v[11:12], v[110:111], v[97:98]
	v_add_f64 v[13:14], v[13:14], v[27:28]
	s_clause 0x2
	buffer_load_dword v102, off, s[0:3], 0 offset:636
	buffer_load_dword v28, off, s[0:3], 0 offset:612
	;; [unrolled: 1-line block ×3, first 2 shown]
	ds_read_b128 v[9:12], v60 offset:1232
	s_waitcnt vmcnt(58) lgkmcnt(1)
	v_mul_f64 v[97:98], v[1:2], v[37:38]
	v_mul_f64 v[37:38], v[3:4], v[37:38]
	s_waitcnt vmcnt(56)
	v_fma_f64 v[19:20], v[5:6], v[25:26], -v[19:20]
	v_fma_f64 v[25:26], v[7:8], v[25:26], v[108:109]
	v_add_f64 v[15:16], v[15:16], v[95:96]
	v_add_f64 v[13:14], v[13:14], v[33:34]
	s_clause 0x4
	buffer_load_dword v34, off, s[0:3], 0 offset:652
	buffer_load_dword v95, off, s[0:3], 0 offset:664
	;; [unrolled: 1-line block ×5, first 2 shown]
	ds_read_b128 v[5:8], v60 offset:1248
	s_waitcnt vmcnt(57) lgkmcnt(1)
	v_mul_f64 v[110:111], v[9:10], v[23:24]
	v_mul_f64 v[23:24], v[11:12], v[23:24]
	s_waitcnt vmcnt(56)
	v_fma_f64 v[37:38], v[1:2], v[105:106], -v[37:38]
	v_add_f64 v[15:16], v[15:16], v[19:20]
	v_fma_f64 v[19:20], v[3:4], v[105:106], v[97:98]
	v_add_f64 v[13:14], v[13:14], v[25:26]
	s_clause 0x2
	buffer_load_dword v96, off, s[0:3], 0 offset:668
	buffer_load_dword v26, off, s[0:3], 0 offset:644
	;; [unrolled: 1-line block ×3, first 2 shown]
	s_waitcnt vmcnt(58) lgkmcnt(0)
	v_mul_f64 v[97:98], v[5:6], v[67:68]
	v_mul_f64 v[67:68], v[7:8], v[67:68]
	ds_read_b128 v[1:4], v60 offset:1264
	s_waitcnt vmcnt(56)
	v_fma_f64 v[23:24], v[9:10], v[31:32], -v[23:24]
	v_fma_f64 v[31:32], v[11:12], v[31:32], v[110:111]
	v_add_f64 v[15:16], v[15:16], v[37:38]
	v_add_f64 v[13:14], v[13:14], v[19:20]
	s_clause 0x4
	buffer_load_dword v20, off, s[0:3], 0 offset:684
	buffer_load_dword v37, off, s[0:3], 0 offset:696
	;; [unrolled: 1-line block ×5, first 2 shown]
	ds_read_b128 v[9:12], v60 offset:1280
	s_waitcnt vmcnt(57) lgkmcnt(1)
	v_mul_f64 v[111:112], v[1:2], v[29:30]
	v_mul_f64 v[29:30], v[3:4], v[29:30]
	s_waitcnt vmcnt(56)
	v_fma_f64 v[67:68], v[5:6], v[91:92], -v[67:68]
	v_add_f64 v[15:16], v[15:16], v[23:24]
	v_fma_f64 v[23:24], v[7:8], v[91:92], v[97:98]
	v_add_f64 v[13:14], v[13:14], v[31:32]
	s_clause 0x2
	buffer_load_dword v38, off, s[0:3], 0 offset:700
	buffer_load_dword v32, off, s[0:3], 0 offset:676
	;; [unrolled: 1-line block ×3, first 2 shown]
	s_waitcnt vmcnt(58) lgkmcnt(0)
	v_mul_f64 v[91:92], v[9:10], v[73:74]
	v_mul_f64 v[73:74], v[11:12], v[73:74]
	ds_read_b128 v[5:8], v60 offset:1296
	s_waitcnt vmcnt(56)
	v_fma_f64 v[29:30], v[1:2], v[63:64], -v[29:30]
	v_fma_f64 v[63:64], v[3:4], v[63:64], v[111:112]
	v_add_f64 v[15:16], v[15:16], v[67:68]
	v_add_f64 v[13:14], v[13:14], v[23:24]
	s_clause 0x4
	buffer_load_dword v24, off, s[0:3], 0 offset:716
	buffer_load_dword v67, off, s[0:3], 0 offset:728
	buffer_load_dword v97, off, s[0:3], 0 offset:720
	buffer_load_dword v23, off, s[0:3], 0 offset:712
	buffer_load_dword v106, off, s[0:3], 0 offset:692
	ds_read_b128 v[1:4], v60 offset:1312
	s_waitcnt vmcnt(57) lgkmcnt(1)
	v_mul_f64 v[111:112], v[5:6], v[35:36]
	v_mul_f64 v[35:36], v[7:8], v[35:36]
	s_waitcnt vmcnt(56)
	v_fma_f64 v[73:74], v[9:10], v[75:76], -v[73:74]
	v_add_f64 v[15:16], v[15:16], v[29:30]
	v_fma_f64 v[29:30], v[11:12], v[75:76], v[91:92]
	v_add_f64 v[13:14], v[13:14], v[63:64]
	s_clause 0x2
	buffer_load_dword v68, off, s[0:3], 0 offset:732
	buffer_load_dword v64, off, s[0:3], 0 offset:708
	buffer_load_dword v63, off, s[0:3], 0 offset:704
	ds_read_b128 v[9:12], v60 offset:1328
	s_waitcnt vmcnt(58) lgkmcnt(1)
	v_mul_f64 v[75:76], v[1:2], v[81:82]
	v_mul_f64 v[81:82], v[3:4], v[81:82]
	s_waitcnt vmcnt(56)
	v_fma_f64 v[35:36], v[5:6], v[58:59], -v[35:36]
	v_fma_f64 v[58:59], v[7:8], v[58:59], v[111:112]
	v_add_f64 v[15:16], v[15:16], v[73:74]
	v_add_f64 v[13:14], v[13:14], v[29:30]
	s_clause 0x4
	buffer_load_dword v30, off, s[0:3], 0 offset:748
	buffer_load_dword v73, off, s[0:3], 0 offset:760
	buffer_load_dword v91, off, s[0:3], 0 offset:752
	buffer_load_dword v29, off, s[0:3], 0 offset:744
	buffer_load_dword v98, off, s[0:3], 0 offset:724
	ds_read_b128 v[5:8], v60 offset:1344
	s_waitcnt vmcnt(57) lgkmcnt(1)
	v_mul_f64 v[111:112], v[9:10], v[65:66]
	v_mul_f64 v[65:66], v[11:12], v[65:66]
	s_waitcnt vmcnt(56)
	v_fma_f64 v[81:82], v[1:2], v[83:84], -v[81:82]
	v_add_f64 v[15:16], v[15:16], v[35:36]
	v_fma_f64 v[35:36], v[3:4], v[83:84], v[75:76]
	v_add_f64 v[13:14], v[13:14], v[58:59]
	s_clause 0x2
	buffer_load_dword v74, off, s[0:3], 0 offset:764
	buffer_load_dword v59, off, s[0:3], 0 offset:740
	buffer_load_dword v58, off, s[0:3], 0 offset:736
	ds_read_b128 v[1:4], v60 offset:1360
	s_waitcnt vmcnt(58) lgkmcnt(1)
	v_mul_f64 v[83:84], v[7:8], v[87:88]
	v_mul_f64 v[75:76], v[5:6], v[87:88]
	;; [unrolled: 28-line block ×4, first 2 shown]
	s_waitcnt vmcnt(56)
	v_fma_f64 v[79:80], v[5:6], v[85:86], -v[79:80]
	v_add_f64 v[15:16], v[15:16], v[77:78]
	v_fma_f64 v[77:78], v[7:8], v[85:86], v[111:112]
	v_add_f64 v[13:14], v[13:14], v[71:72]
	s_clause 0x2
	buffer_load_dword v72, off, s[0:3], 0 offset:844
	buffer_load_dword v71, off, s[0:3], 0 offset:840
	;; [unrolled: 1-line block ×3, first 2 shown]
	ds_read_b128 v[5:8], v60 offset:1440
	s_waitcnt vmcnt(55) lgkmcnt(1)
	v_mul_f64 v[85:86], v[9:10], v[21:22]
	v_mul_f64 v[21:22], v[11:12], v[21:22]
	s_waitcnt vmcnt(54)
	v_fma_f64 v[93:94], v[1:2], v[103:104], -v[93:94]
	v_fma_f64 v[75:76], v[3:4], v[103:104], v[75:76]
	v_add_f64 v[15:16], v[15:16], v[79:80]
	v_add_f64 v[13:14], v[13:14], v[77:78]
	s_clause 0x1
	buffer_load_dword v78, off, s[0:3], 0 offset:836
	buffer_load_dword v77, off, s[0:3], 0 offset:832
	ds_read_b128 v[1:4], v60 offset:1456
	s_waitcnt vmcnt(55) lgkmcnt(1)
	v_mul_f64 v[99:100], v[7:8], v[101:102]
	v_mul_f64 v[79:80], v[5:6], v[101:102]
	s_waitcnt vmcnt(53)
	v_fma_f64 v[21:22], v[9:10], v[27:28], -v[21:22]
	v_fma_f64 v[27:28], v[11:12], v[27:28], v[85:86]
	ds_read_b128 v[9:12], v60 offset:1472
	v_add_f64 v[15:16], v[15:16], v[93:94]
	v_add_f64 v[13:14], v[13:14], v[75:76]
	s_waitcnt vmcnt(49) lgkmcnt(1)
	v_mul_f64 v[75:76], v[1:2], v[33:34]
	v_mul_f64 v[33:34], v[3:4], v[33:34]
	s_waitcnt vmcnt(48)
	v_fma_f64 v[85:86], v[5:6], v[107:108], -v[99:100]
	v_add_f64 v[15:16], v[15:16], v[21:22]
	v_fma_f64 v[21:22], v[7:8], v[107:108], v[79:80]
	v_add_f64 v[13:14], v[13:14], v[27:28]
	s_clause 0x3
	buffer_load_dword v27, off, s[0:3], 0 offset:32
	buffer_load_dword v28, off, s[0:3], 0 offset:36
	buffer_load_dword v79, off, s[0:3], 0 offset:40
	buffer_load_dword v80, off, s[0:3], 0 offset:44
	ds_read_b128 v[5:8], v60 offset:1488
	s_waitcnt vmcnt(51) lgkmcnt(1)
	v_mul_f64 v[93:94], v[9:10], v[95:96]
	v_mul_f64 v[95:96], v[11:12], v[95:96]
	s_waitcnt vmcnt(49)
	v_fma_f64 v[33:34], v[1:2], v[25:26], -v[33:34]
	v_fma_f64 v[25:26], v[3:4], v[25:26], v[75:76]
	ds_read_b128 v[1:4], v60 offset:1504
	v_add_f64 v[15:16], v[15:16], v[85:86]
	v_add_f64 v[13:14], v[13:14], v[21:22]
	s_waitcnt vmcnt(45) lgkmcnt(1)
	v_mul_f64 v[21:22], v[5:6], v[19:20]
	v_mul_f64 v[19:20], v[7:8], v[19:20]
	s_waitcnt vmcnt(44)
	v_fma_f64 v[75:76], v[9:10], v[109:110], -v[95:96]
	v_add_f64 v[15:16], v[15:16], v[33:34]
	v_fma_f64 v[33:34], v[11:12], v[109:110], v[93:94]
	v_add_f64 v[13:14], v[13:14], v[25:26]
	ds_read_b128 v[9:12], v60 offset:1520
	s_waitcnt vmcnt(43) lgkmcnt(1)
	v_mul_f64 v[25:26], v[1:2], v[37:38]
	v_mul_f64 v[37:38], v[3:4], v[37:38]
	s_waitcnt vmcnt(41)
	v_fma_f64 v[19:20], v[5:6], v[31:32], -v[19:20]
	v_fma_f64 v[21:22], v[7:8], v[31:32], v[21:22]
	ds_read_b128 v[5:8], v60 offset:1536
	v_add_f64 v[15:16], v[15:16], v[75:76]
	v_add_f64 v[13:14], v[13:14], v[33:34]
	s_waitcnt vmcnt(37) lgkmcnt(1)
	v_mul_f64 v[31:32], v[9:10], v[23:24]
	v_mul_f64 v[23:24], v[11:12], v[23:24]
	s_waitcnt vmcnt(36)
	v_fma_f64 v[33:34], v[1:2], v[105:106], -v[37:38]
	v_add_f64 v[15:16], v[15:16], v[19:20]
	v_fma_f64 v[19:20], v[3:4], v[105:106], v[25:26]
	v_add_f64 v[13:14], v[13:14], v[21:22]
	ds_read_b128 v[1:4], v60 offset:1552
	s_waitcnt vmcnt(35) lgkmcnt(1)
	v_mul_f64 v[25:26], v[7:8], v[67:68]
	v_mul_f64 v[21:22], v[5:6], v[67:68]
	s_waitcnt vmcnt(33)
	v_fma_f64 v[23:24], v[9:10], v[63:64], -v[23:24]
	v_fma_f64 v[31:32], v[11:12], v[63:64], v[31:32]
	ds_read_b128 v[9:12], v60 offset:1568
	v_add_f64 v[15:16], v[15:16], v[33:34]
	v_add_f64 v[13:14], v[13:14], v[19:20]
	s_waitcnt vmcnt(29) lgkmcnt(1)
	v_mul_f64 v[19:20], v[1:2], v[29:30]
	v_mul_f64 v[29:30], v[3:4], v[29:30]
	s_waitcnt vmcnt(28)
	v_fma_f64 v[25:26], v[5:6], v[97:98], -v[25:26]
	v_fma_f64 v[21:22], v[7:8], v[97:98], v[21:22]
	ds_read_b128 v[5:8], v60 offset:1584
	v_add_f64 v[15:16], v[15:16], v[23:24]
	v_add_f64 v[13:14], v[13:14], v[31:32]
	;; [unrolled: 9-line block ×3, first 2 shown]
	s_waitcnt vmcnt(21) lgkmcnt(1)
	v_mul_f64 v[25:26], v[7:8], v[35:36]
	s_waitcnt vmcnt(20)
	v_fma_f64 v[31:32], v[9:10], v[91:92], -v[31:32]
	v_mul_f64 v[21:22], v[5:6], v[35:36]
	v_fma_f64 v[23:24], v[11:12], v[91:92], v[23:24]
	ds_read_b128 v[9:12], v60 offset:1616
	v_add_f64 v[15:16], v[15:16], v[29:30]
	v_add_f64 v[13:14], v[13:14], v[19:20]
	s_waitcnt vmcnt(19) lgkmcnt(1)
	v_mul_f64 v[29:30], v[3:4], v[81:82]
	v_mul_f64 v[19:20], v[1:2], v[81:82]
	s_waitcnt vmcnt(17)
	v_fma_f64 v[25:26], v[5:6], v[69:70], -v[25:26]
	v_fma_f64 v[21:22], v[7:8], v[69:70], v[21:22]
	ds_read_b128 v[5:8], v60 offset:1632
	v_add_f64 v[15:16], v[15:16], v[31:32]
	v_add_f64 v[13:14], v[13:14], v[23:24]
	s_waitcnt vmcnt(13) lgkmcnt(1)
	v_mul_f64 v[31:32], v[11:12], v[65:66]
	s_waitcnt vmcnt(12)
	v_fma_f64 v[29:30], v[1:2], v[87:88], -v[29:30]
	v_mul_f64 v[23:24], v[9:10], v[65:66]
	v_fma_f64 v[19:20], v[3:4], v[87:88], v[19:20]
	ds_read_b128 v[1:4], v60 offset:1648
	v_add_f64 v[15:16], v[15:16], v[25:26]
	v_add_f64 v[13:14], v[13:14], v[21:22]
	s_waitcnt vmcnt(11) lgkmcnt(1)
	v_mul_f64 v[25:26], v[7:8], v[83:84]
	v_mul_f64 v[21:22], v[5:6], v[83:84]
	s_waitcnt vmcnt(9)
	v_fma_f64 v[9:10], v[9:10], v[17:18], -v[31:32]
	v_fma_f64 v[11:12], v[11:12], v[17:18], v[23:24]
	v_add_f64 v[15:16], v[15:16], v[29:30]
	v_add_f64 v[13:14], v[13:14], v[19:20]
	s_waitcnt vmcnt(7) lgkmcnt(0)
	v_mul_f64 v[19:20], v[3:4], v[71:72]
	s_waitcnt vmcnt(6)
	v_fma_f64 v[5:6], v[5:6], v[89:90], -v[25:26]
	v_mul_f64 v[17:18], v[1:2], v[71:72]
	v_fma_f64 v[7:8], v[7:8], v[89:90], v[21:22]
	v_add_f64 v[9:10], v[15:16], v[9:10]
	v_add_f64 v[11:12], v[13:14], v[11:12]
	s_waitcnt vmcnt(4)
	v_fma_f64 v[1:2], v[1:2], v[77:78], -v[19:20]
	v_fma_f64 v[3:4], v[3:4], v[77:78], v[17:18]
	v_add_f64 v[5:6], v[9:10], v[5:6]
	v_add_f64 v[7:8], v[11:12], v[7:8]
	;; [unrolled: 1-line block ×4, first 2 shown]
	s_waitcnt vmcnt(2)
	v_add_f64 v[1:2], v[27:28], -v[1:2]
	s_waitcnt vmcnt(0)
	v_add_f64 v[3:4], v[79:80], -v[3:4]
	buffer_store_dword v2, off, s[0:3], 0 offset:36
	buffer_store_dword v1, off, s[0:3], 0 offset:32
	;; [unrolled: 1-line block ×4, first 2 shown]
	v_cmpx_ne_u32_e32 0, v0
	s_cbranch_execz .LBB51_325
; %bb.324:
	s_clause 0x3
	buffer_load_dword v0, off, s[0:3], 0 offset:16
	buffer_load_dword v1, off, s[0:3], 0 offset:20
	;; [unrolled: 1-line block ×4, first 2 shown]
	v_mov_b32_e32 v4, 0
	buffer_store_dword v4, off, s[0:3], 0 offset:16
	buffer_store_dword v4, off, s[0:3], 0 offset:20
	;; [unrolled: 1-line block ×4, first 2 shown]
	s_waitcnt vmcnt(0)
	ds_write_b128 v39, v[0:3]
.LBB51_325:
	s_or_b32 exec_lo, exec_lo, s4
	s_waitcnt lgkmcnt(0)
	s_waitcnt_vscnt null, 0x0
	s_barrier
	buffer_gl0_inv
	s_clause 0x37
	buffer_load_dword v16, off, s[0:3], 0 offset:40
	buffer_load_dword v17, off, s[0:3], 0 offset:44
	;; [unrolled: 1-line block ×56, first 2 shown]
	v_mov_b32_e32 v60, 0
	v_mov_b32_e32 v243, v144
	;; [unrolled: 1-line block ×5, first 2 shown]
	ds_read_b128 v[4:7], v60 offset:848
	s_clause 0x2
	buffer_load_dword v86, off, s[0:3], 0 offset:268
	buffer_load_dword v88, off, s[0:3], 0 offset:244
	;; [unrolled: 1-line block ×3, first 2 shown]
	ds_read_b128 v[0:3], v60 offset:864
	s_clause 0x4
	buffer_load_dword v96, off, s[0:3], 0 offset:284
	buffer_load_dword v97, off, s[0:3], 0 offset:296
	;; [unrolled: 1-line block ×5, first 2 shown]
	ds_read_b128 v[89:92], v60 offset:880
	s_and_b32 vcc_lo, exec_lo, s64
	s_waitcnt vmcnt(62) lgkmcnt(2)
	v_mul_f64 v[93:94], v[6:7], v[16:17]
	v_mul_f64 v[16:17], v[4:5], v[16:17]
	s_waitcnt vmcnt(60) lgkmcnt(1)
	v_mul_f64 v[100:101], v[2:3], v[12:13]
	v_mul_f64 v[12:13], v[0:1], v[12:13]
	;; [unrolled: 3-line block ×3, first 2 shown]
	v_fma_f64 v[93:94], v[4:5], v[14:15], -v[93:94]
	v_fma_f64 v[14:15], v[6:7], v[14:15], v[16:17]
	s_clause 0x2
	buffer_load_dword v98, off, s[0:3], 0 offset:300
	buffer_load_dword v17, off, s[0:3], 0 offset:276
	;; [unrolled: 1-line block ×3, first 2 shown]
	s_waitcnt vmcnt(57)
	v_fma_f64 v[104:105], v[0:1], v[8:9], -v[100:101]
	ds_read_b128 v[4:7], v60 offset:896
	v_fma_f64 v[8:9], v[2:3], v[8:9], v[12:13]
	s_waitcnt vmcnt(51)
	v_fma_f64 v[89:90], v[89:90], v[32:33], -v[10:11]
	v_fma_f64 v[32:33], v[91:92], v[32:33], v[102:103]
	v_add_f64 v[93:94], v[93:94], 0
	v_add_f64 v[12:13], v[14:15], 0
	s_clause 0x4
	buffer_load_dword v15, off, s[0:3], 0 offset:316
	buffer_load_dword v101, off, s[0:3], 0 offset:328
	;; [unrolled: 1-line block ×5, first 2 shown]
	s_waitcnt lgkmcnt(0)
	v_mul_f64 v[107:108], v[4:5], v[20:21]
	v_mul_f64 v[20:21], v[6:7], v[20:21]
	ds_read_b128 v[0:3], v60 offset:912
	s_clause 0x2
	buffer_load_dword v102, off, s[0:3], 0 offset:332
	buffer_load_dword v92, off, s[0:3], 0 offset:308
	;; [unrolled: 1-line block ×3, first 2 shown]
	v_add_f64 v[93:94], v[93:94], v[104:105]
	v_add_f64 v[12:13], v[12:13], v[8:9]
	ds_read_b128 v[8:11], v60 offset:928
	s_waitcnt vmcnt(58) lgkmcnt(1)
	v_mul_f64 v[103:104], v[0:1], v[24:25]
	v_mul_f64 v[24:25], v[2:3], v[24:25]
	s_waitcnt vmcnt(56)
	v_fma_f64 v[20:21], v[4:5], v[26:27], -v[20:21]
	v_fma_f64 v[26:27], v[6:7], v[26:27], v[107:108]
	s_waitcnt vmcnt(52) lgkmcnt(0)
	v_mul_f64 v[109:110], v[8:9], v[28:29]
	v_add_f64 v[89:90], v[93:94], v[89:90]
	v_add_f64 v[12:13], v[12:13], v[32:33]
	s_clause 0x4
	buffer_load_dword v33, off, s[0:3], 0 offset:348
	buffer_load_dword v93, off, s[0:3], 0 offset:360
	;; [unrolled: 1-line block ×5, first 2 shown]
	v_mul_f64 v[28:29], v[10:11], v[28:29]
	s_waitcnt vmcnt(56)
	v_fma_f64 v[24:25], v[0:1], v[18:19], -v[24:25]
	ds_read_b128 v[4:7], v60 offset:944
	v_fma_f64 v[18:19], v[2:3], v[18:19], v[103:104]
	v_add_f64 v[20:21], v[89:90], v[20:21]
	v_add_f64 v[12:13], v[12:13], v[26:27]
	s_clause 0x2
	buffer_load_dword v94, off, s[0:3], 0 offset:364
	buffer_load_dword v27, off, s[0:3], 0 offset:340
	;; [unrolled: 1-line block ×3, first 2 shown]
	s_waitcnt vmcnt(58) lgkmcnt(0)
	v_mul_f64 v[89:90], v[4:5], v[34:35]
	v_mul_f64 v[34:35], v[6:7], v[34:35]
	s_waitcnt vmcnt(56)
	v_fma_f64 v[28:29], v[8:9], v[36:37], -v[28:29]
	ds_read_b128 v[0:3], v60 offset:960
	v_add_f64 v[20:21], v[20:21], v[24:25]
	v_fma_f64 v[24:25], v[10:11], v[36:37], v[109:110]
	v_add_f64 v[12:13], v[12:13], v[18:19]
	s_clause 0x4
	buffer_load_dword v19, off, s[0:3], 0 offset:380
	buffer_load_dword v36, off, s[0:3], 0 offset:392
	;; [unrolled: 1-line block ×5, first 2 shown]
	s_waitcnt vmcnt(57) lgkmcnt(0)
	v_mul_f64 v[104:105], v[0:1], v[38:39]
	v_mul_f64 v[38:39], v[2:3], v[38:39]
	s_waitcnt vmcnt(56)
	v_fma_f64 v[34:35], v[4:5], v[22:23], -v[34:35]
	ds_read_b128 v[8:11], v60 offset:976
	v_fma_f64 v[22:23], v[6:7], v[22:23], v[89:90]
	v_add_f64 v[20:21], v[20:21], v[28:29]
	v_add_f64 v[12:13], v[12:13], v[24:25]
	s_clause 0x2
	buffer_load_dword v37, off, s[0:3], 0 offset:396
	buffer_load_dword v25, off, s[0:3], 0 offset:372
	;; [unrolled: 1-line block ×3, first 2 shown]
	ds_read_b128 v[4:7], v60 offset:992
	s_waitcnt vmcnt(58) lgkmcnt(1)
	v_mul_f64 v[28:29], v[8:9], v[63:64]
	v_mul_f64 v[63:64], v[10:11], v[63:64]
	s_waitcnt vmcnt(56)
	v_fma_f64 v[38:39], v[0:1], v[65:66], -v[38:39]
	v_add_f64 v[20:21], v[20:21], v[34:35]
	v_fma_f64 v[34:35], v[2:3], v[65:66], v[104:105]
	v_add_f64 v[12:13], v[12:13], v[22:23]
	s_clause 0x4
	buffer_load_dword v23, off, s[0:3], 0 offset:412
	buffer_load_dword v65, off, s[0:3], 0 offset:424
	;; [unrolled: 1-line block ×5, first 2 shown]
	s_waitcnt vmcnt(57) lgkmcnt(0)
	v_mul_f64 v[110:111], v[4:5], v[67:68]
	v_mul_f64 v[67:68], v[6:7], v[67:68]
	s_waitcnt vmcnt(56)
	v_fma_f64 v[63:64], v[8:9], v[30:31], -v[63:64]
	ds_read_b128 v[0:3], v60 offset:1008
	v_fma_f64 v[28:29], v[10:11], v[30:31], v[28:29]
	s_clause 0x2
	buffer_load_dword v66, off, s[0:3], 0 offset:428
	buffer_load_dword v31, off, s[0:3], 0 offset:404
	;; [unrolled: 1-line block ×3, first 2 shown]
	ds_read_b128 v[8:11], v60 offset:1024
	v_add_f64 v[20:21], v[20:21], v[38:39]
	v_add_f64 v[12:13], v[12:13], v[34:35]
	s_waitcnt vmcnt(58) lgkmcnt(1)
	v_mul_f64 v[38:39], v[2:3], v[71:72]
	s_waitcnt vmcnt(56)
	v_fma_f64 v[67:68], v[4:5], v[73:74], -v[67:68]
	v_mul_f64 v[34:35], v[0:1], v[71:72]
	v_add_f64 v[20:21], v[20:21], v[63:64]
	v_fma_f64 v[63:64], v[6:7], v[73:74], v[110:111]
	v_add_f64 v[12:13], v[12:13], v[28:29]
	s_clause 0x4
	buffer_load_dword v29, off, s[0:3], 0 offset:444
	buffer_load_dword v71, off, s[0:3], 0 offset:456
	;; [unrolled: 1-line block ×5, first 2 shown]
	s_waitcnt vmcnt(57) lgkmcnt(0)
	v_mul_f64 v[110:111], v[8:9], v[75:76]
	v_mul_f64 v[74:75], v[10:11], v[75:76]
	s_waitcnt vmcnt(56)
	v_fma_f64 v[38:39], v[0:1], v[58:59], -v[38:39]
	ds_read_b128 v[4:7], v60 offset:1040
	v_fma_f64 v[34:35], v[2:3], v[58:59], v[34:35]
	s_clause 0x2
	buffer_load_dword v72, off, s[0:3], 0 offset:460
	buffer_load_dword v59, off, s[0:3], 0 offset:436
	;; [unrolled: 1-line block ×3, first 2 shown]
	ds_read_b128 v[0:3], v60 offset:1056
	v_add_f64 v[20:21], v[20:21], v[67:68]
	v_add_f64 v[12:13], v[12:13], v[63:64]
	s_waitcnt vmcnt(58) lgkmcnt(1)
	v_mul_f64 v[67:68], v[6:7], v[79:80]
	s_waitcnt vmcnt(56)
	v_fma_f64 v[75:76], v[8:9], v[81:82], -v[74:75]
	v_mul_f64 v[63:64], v[4:5], v[79:80]
	v_add_f64 v[20:21], v[20:21], v[38:39]
	v_fma_f64 v[38:39], v[10:11], v[81:82], v[110:111]
	v_add_f64 v[12:13], v[12:13], v[34:35]
	s_clause 0x4
	buffer_load_dword v35, off, s[0:3], 0 offset:476
	buffer_load_dword v79, off, s[0:3], 0 offset:488
	;; [unrolled: 1-line block ×5, first 2 shown]
	s_waitcnt vmcnt(57) lgkmcnt(0)
	v_mul_f64 v[110:111], v[0:1], v[83:84]
	v_mul_f64 v[82:83], v[2:3], v[83:84]
	s_waitcnt vmcnt(56)
	v_fma_f64 v[67:68], v[4:5], v[69:70], -v[67:68]
	ds_read_b128 v[8:11], v60 offset:1072
	v_fma_f64 v[63:64], v[6:7], v[69:70], v[63:64]
	v_add_f64 v[20:21], v[20:21], v[75:76]
	v_add_f64 v[12:13], v[12:13], v[38:39]
	s_clause 0x2
	buffer_load_dword v80, off, s[0:3], 0 offset:492
	buffer_load_dword v39, off, s[0:3], 0 offset:468
	;; [unrolled: 1-line block ×3, first 2 shown]
	ds_read_b128 v[4:7], v60 offset:1088
	s_waitcnt vmcnt(58) lgkmcnt(1)
	v_mul_f64 v[75:76], v[10:11], v[85:86]
	s_waitcnt vmcnt(56)
	v_fma_f64 v[83:84], v[0:1], v[87:88], -v[82:83]
	v_mul_f64 v[69:70], v[8:9], v[85:86]
	v_add_f64 v[20:21], v[20:21], v[67:68]
	v_fma_f64 v[67:68], v[2:3], v[87:88], v[110:111]
	v_add_f64 v[12:13], v[12:13], v[63:64]
	s_clause 0x4
	buffer_load_dword v64, off, s[0:3], 0 offset:508
	buffer_load_dword v85, off, s[0:3], 0 offset:520
	;; [unrolled: 1-line block ×5, first 2 shown]
	s_waitcnt vmcnt(57) lgkmcnt(0)
	v_mul_f64 v[110:111], v[4:5], v[95:96]
	v_mul_f64 v[95:96], v[6:7], v[95:96]
	s_waitcnt vmcnt(56)
	v_fma_f64 v[75:76], v[8:9], v[77:78], -v[75:76]
	ds_read_b128 v[0:3], v60 offset:1104
	v_fma_f64 v[69:70], v[10:11], v[77:78], v[69:70]
	v_add_f64 v[20:21], v[20:21], v[83:84]
	v_add_f64 v[12:13], v[12:13], v[67:68]
	s_clause 0x2
	buffer_load_dword v86, off, s[0:3], 0 offset:524
	buffer_load_dword v68, off, s[0:3], 0 offset:500
	;; [unrolled: 1-line block ×3, first 2 shown]
	ds_read_b128 v[8:11], v60 offset:1120
	s_waitcnt vmcnt(58) lgkmcnt(1)
	v_mul_f64 v[83:84], v[2:3], v[97:98]
	v_mul_f64 v[77:78], v[0:1], v[97:98]
	s_waitcnt vmcnt(56)
	v_fma_f64 v[95:96], v[4:5], v[16:17], -v[95:96]
	v_fma_f64 v[16:17], v[6:7], v[16:17], v[110:111]
	v_add_f64 v[20:21], v[20:21], v[75:76]
	v_add_f64 v[12:13], v[12:13], v[69:70]
	s_clause 0x4
	buffer_load_dword v70, off, s[0:3], 0 offset:540
	buffer_load_dword v75, off, s[0:3], 0 offset:552
	;; [unrolled: 1-line block ×5, first 2 shown]
	ds_read_b128 v[4:7], v60 offset:1136
	s_waitcnt vmcnt(57) lgkmcnt(1)
	v_mul_f64 v[110:111], v[8:9], v[14:15]
	v_mul_f64 v[14:15], v[10:11], v[14:15]
	s_waitcnt vmcnt(56)
	v_fma_f64 v[83:84], v[0:1], v[99:100], -v[83:84]
	v_fma_f64 v[77:78], v[2:3], v[99:100], v[77:78]
	v_add_f64 v[20:21], v[20:21], v[95:96]
	v_add_f64 v[12:13], v[12:13], v[16:17]
	s_clause 0x2
	buffer_load_dword v76, off, s[0:3], 0 offset:556
	buffer_load_dword v17, off, s[0:3], 0 offset:532
	;; [unrolled: 1-line block ×3, first 2 shown]
	s_waitcnt vmcnt(58) lgkmcnt(0)
	v_mul_f64 v[99:100], v[6:7], v[101:102]
	ds_read_b128 v[0:3], v60 offset:1152
	v_mul_f64 v[95:96], v[4:5], v[101:102]
	s_waitcnt vmcnt(56)
	v_fma_f64 v[14:15], v[8:9], v[91:92], -v[14:15]
	v_add_f64 v[20:21], v[20:21], v[83:84]
	v_fma_f64 v[83:84], v[10:11], v[91:92], v[110:111]
	v_add_f64 v[12:13], v[12:13], v[77:78]
	s_clause 0x4
	buffer_load_dword v78, off, s[0:3], 0 offset:572
	buffer_load_dword v91, off, s[0:3], 0 offset:584
	buffer_load_dword v101, off, s[0:3], 0 offset:576
	buffer_load_dword v77, off, s[0:3], 0 offset:568
	buffer_load_dword v98, off, s[0:3], 0 offset:548
	ds_read_b128 v[8:11], v60 offset:1168
	s_waitcnt vmcnt(57) lgkmcnt(1)
	v_mul_f64 v[110:111], v[0:1], v[32:33]
	v_mul_f64 v[32:33], v[2:3], v[32:33]
	s_waitcnt vmcnt(56)
	v_fma_f64 v[99:100], v[4:5], v[106:107], -v[99:100]
	v_add_f64 v[14:15], v[20:21], v[14:15]
	v_fma_f64 v[20:21], v[6:7], v[106:107], v[95:96]
	v_add_f64 v[12:13], v[12:13], v[83:84]
	s_clause 0x2
	buffer_load_dword v92, off, s[0:3], 0 offset:588
	buffer_load_dword v84, off, s[0:3], 0 offset:564
	;; [unrolled: 1-line block ×3, first 2 shown]
	ds_read_b128 v[4:7], v60 offset:1184
	s_waitcnt vmcnt(58) lgkmcnt(1)
	v_mul_f64 v[95:96], v[8:9], v[93:94]
	v_mul_f64 v[93:94], v[10:11], v[93:94]
	s_waitcnt vmcnt(56)
	v_fma_f64 v[32:33], v[0:1], v[26:27], -v[32:33]
	v_fma_f64 v[26:27], v[2:3], v[26:27], v[110:111]
	v_add_f64 v[14:15], v[14:15], v[99:100]
	v_add_f64 v[12:13], v[12:13], v[20:21]
	s_clause 0x4
	buffer_load_dword v21, off, s[0:3], 0 offset:604
	buffer_load_dword v99, off, s[0:3], 0 offset:616
	;; [unrolled: 1-line block ×5, first 2 shown]
	ds_read_b128 v[0:3], v60 offset:1200
	s_waitcnt vmcnt(57) lgkmcnt(1)
	v_mul_f64 v[106:107], v[4:5], v[18:19]
	v_mul_f64 v[18:19], v[6:7], v[18:19]
	s_waitcnt vmcnt(56)
	v_fma_f64 v[93:94], v[8:9], v[108:109], -v[93:94]
	v_add_f64 v[14:15], v[14:15], v[32:33]
	v_fma_f64 v[32:33], v[10:11], v[108:109], v[95:96]
	v_add_f64 v[12:13], v[12:13], v[26:27]
	s_clause 0x2
	buffer_load_dword v100, off, s[0:3], 0 offset:620
	buffer_load_dword v27, off, s[0:3], 0 offset:596
	;; [unrolled: 1-line block ×3, first 2 shown]
	ds_read_b128 v[8:11], v60 offset:1216
	s_waitcnt vmcnt(58) lgkmcnt(1)
	v_mul_f64 v[95:96], v[0:1], v[36:37]
	v_mul_f64 v[36:37], v[2:3], v[36:37]
	s_waitcnt vmcnt(56)
	v_fma_f64 v[18:19], v[4:5], v[24:25], -v[18:19]
	v_fma_f64 v[24:25], v[6:7], v[24:25], v[106:107]
	v_add_f64 v[14:15], v[14:15], v[93:94]
	v_add_f64 v[12:13], v[12:13], v[32:33]
	s_clause 0x4
	buffer_load_dword v33, off, s[0:3], 0 offset:636
	buffer_load_dword v93, off, s[0:3], 0 offset:648
	buffer_load_dword v107, off, s[0:3], 0 offset:640
	buffer_load_dword v32, off, s[0:3], 0 offset:632
	buffer_load_dword v106, off, s[0:3], 0 offset:612
	ds_read_b128 v[4:7], v60 offset:1232
	s_waitcnt vmcnt(57) lgkmcnt(1)
	v_mul_f64 v[108:109], v[8:9], v[22:23]
	v_mul_f64 v[22:23], v[10:11], v[22:23]
	s_waitcnt vmcnt(56)
	v_fma_f64 v[36:37], v[0:1], v[103:104], -v[36:37]
	v_add_f64 v[14:15], v[14:15], v[18:19]
	v_fma_f64 v[18:19], v[2:3], v[103:104], v[95:96]
	v_add_f64 v[12:13], v[12:13], v[24:25]
	s_clause 0x2
	buffer_load_dword v94, off, s[0:3], 0 offset:652
	buffer_load_dword v25, off, s[0:3], 0 offset:628
	;; [unrolled: 1-line block ×3, first 2 shown]
	s_waitcnt vmcnt(58) lgkmcnt(0)
	v_mul_f64 v[95:96], v[4:5], v[65:66]
	v_mul_f64 v[65:66], v[6:7], v[65:66]
	ds_read_b128 v[0:3], v60 offset:1248
	s_waitcnt vmcnt(56)
	v_fma_f64 v[22:23], v[8:9], v[30:31], -v[22:23]
	v_fma_f64 v[30:31], v[10:11], v[30:31], v[108:109]
	v_add_f64 v[14:15], v[14:15], v[36:37]
	v_add_f64 v[12:13], v[12:13], v[18:19]
	s_clause 0x4
	buffer_load_dword v19, off, s[0:3], 0 offset:668
	buffer_load_dword v36, off, s[0:3], 0 offset:680
	;; [unrolled: 1-line block ×5, first 2 shown]
	ds_read_b128 v[8:11], v60 offset:1264
	s_waitcnt vmcnt(57) lgkmcnt(1)
	v_mul_f64 v[109:110], v[0:1], v[28:29]
	v_mul_f64 v[28:29], v[2:3], v[28:29]
	s_waitcnt vmcnt(56)
	v_fma_f64 v[65:66], v[4:5], v[89:90], -v[65:66]
	v_add_f64 v[14:15], v[14:15], v[22:23]
	v_fma_f64 v[22:23], v[6:7], v[89:90], v[95:96]
	v_add_f64 v[12:13], v[12:13], v[30:31]
	s_clause 0x2
	buffer_load_dword v37, off, s[0:3], 0 offset:684
	buffer_load_dword v31, off, s[0:3], 0 offset:660
	;; [unrolled: 1-line block ×3, first 2 shown]
	s_waitcnt vmcnt(58) lgkmcnt(0)
	v_mul_f64 v[89:90], v[8:9], v[71:72]
	v_mul_f64 v[71:72], v[10:11], v[71:72]
	ds_read_b128 v[4:7], v60 offset:1280
	s_waitcnt vmcnt(56)
	v_fma_f64 v[28:29], v[0:1], v[58:59], -v[28:29]
	v_fma_f64 v[58:59], v[2:3], v[58:59], v[109:110]
	v_add_f64 v[14:15], v[14:15], v[65:66]
	v_add_f64 v[12:13], v[12:13], v[22:23]
	s_clause 0x4
	buffer_load_dword v23, off, s[0:3], 0 offset:700
	buffer_load_dword v65, off, s[0:3], 0 offset:712
	buffer_load_dword v95, off, s[0:3], 0 offset:704
	buffer_load_dword v22, off, s[0:3], 0 offset:696
	buffer_load_dword v104, off, s[0:3], 0 offset:676
	ds_read_b128 v[0:3], v60 offset:1296
	s_waitcnt vmcnt(57) lgkmcnt(1)
	v_mul_f64 v[109:110], v[4:5], v[34:35]
	v_mul_f64 v[34:35], v[6:7], v[34:35]
	s_waitcnt vmcnt(56)
	v_fma_f64 v[71:72], v[8:9], v[73:74], -v[71:72]
	v_add_f64 v[14:15], v[14:15], v[28:29]
	v_fma_f64 v[28:29], v[10:11], v[73:74], v[89:90]
	v_add_f64 v[12:13], v[12:13], v[58:59]
	s_clause 0x2
	buffer_load_dword v66, off, s[0:3], 0 offset:716
	buffer_load_dword v59, off, s[0:3], 0 offset:692
	buffer_load_dword v58, off, s[0:3], 0 offset:688
	ds_read_b128 v[8:11], v60 offset:1312
	s_waitcnt vmcnt(58) lgkmcnt(1)
	v_mul_f64 v[73:74], v[0:1], v[79:80]
	v_mul_f64 v[79:80], v[2:3], v[79:80]
	s_waitcnt vmcnt(56)
	v_fma_f64 v[34:35], v[4:5], v[38:39], -v[34:35]
	v_fma_f64 v[38:39], v[6:7], v[38:39], v[109:110]
	v_add_f64 v[14:15], v[14:15], v[71:72]
	v_add_f64 v[12:13], v[12:13], v[28:29]
	s_clause 0x4
	buffer_load_dword v29, off, s[0:3], 0 offset:732
	buffer_load_dword v71, off, s[0:3], 0 offset:744
	buffer_load_dword v89, off, s[0:3], 0 offset:736
	buffer_load_dword v28, off, s[0:3], 0 offset:728
	buffer_load_dword v96, off, s[0:3], 0 offset:708
	ds_read_b128 v[4:7], v60 offset:1328
	s_waitcnt vmcnt(57) lgkmcnt(1)
	v_mul_f64 v[109:110], v[8:9], v[63:64]
	v_mul_f64 v[63:64], v[10:11], v[63:64]
	s_waitcnt vmcnt(56)
	v_fma_f64 v[79:80], v[0:1], v[81:82], -v[79:80]
	v_add_f64 v[14:15], v[14:15], v[34:35]
	v_fma_f64 v[34:35], v[2:3], v[81:82], v[73:74]
	v_add_f64 v[12:13], v[12:13], v[38:39]
	s_clause 0x2
	buffer_load_dword v72, off, s[0:3], 0 offset:748
	buffer_load_dword v39, off, s[0:3], 0 offset:724
	buffer_load_dword v38, off, s[0:3], 0 offset:720
	ds_read_b128 v[0:3], v60 offset:1344
	s_waitcnt vmcnt(58) lgkmcnt(1)
	v_mul_f64 v[81:82], v[6:7], v[85:86]
	v_mul_f64 v[73:74], v[4:5], v[85:86]
	;; [unrolled: 28-line block ×4, first 2 shown]
	s_waitcnt vmcnt(56)
	v_fma_f64 v[77:78], v[4:5], v[83:84], -v[77:78]
	v_add_f64 v[14:15], v[14:15], v[75:76]
	v_fma_f64 v[75:76], v[6:7], v[83:84], v[109:110]
	v_add_f64 v[12:13], v[12:13], v[69:70]
	s_clause 0x4
	buffer_load_dword v70, off, s[0:3], 0 offset:828
	buffer_load_dword v83, off, s[0:3], 0 offset:840
	;; [unrolled: 1-line block ×5, first 2 shown]
	ds_read_b128 v[4:7], v60 offset:1424
	s_waitcnt vmcnt(57) lgkmcnt(1)
	v_mul_f64 v[109:110], v[8:9], v[20:21]
	v_mul_f64 v[20:21], v[10:11], v[20:21]
	s_waitcnt vmcnt(56)
	v_fma_f64 v[91:92], v[0:1], v[101:102], -v[91:92]
	v_fma_f64 v[73:74], v[2:3], v[101:102], v[73:74]
	v_add_f64 v[14:15], v[14:15], v[77:78]
	v_add_f64 v[12:13], v[12:13], v[75:76]
	s_clause 0x2
	buffer_load_dword v84, off, s[0:3], 0 offset:844
	buffer_load_dword v76, off, s[0:3], 0 offset:820
	;; [unrolled: 1-line block ×3, first 2 shown]
	ds_read_b128 v[0:3], v60 offset:1440
	buffer_load_dword v98, off, s[0:3], 0 offset:836
	s_waitcnt vmcnt(59) lgkmcnt(1)
	v_mul_f64 v[77:78], v[4:5], v[99:100]
	v_mul_f64 v[99:100], v[6:7], v[99:100]
	s_waitcnt vmcnt(57)
	v_fma_f64 v[20:21], v[8:9], v[26:27], -v[20:21]
	v_fma_f64 v[26:27], v[10:11], v[26:27], v[109:110]
	ds_read_b128 v[8:11], v60 offset:1456
	v_add_f64 v[14:15], v[14:15], v[91:92]
	v_add_f64 v[12:13], v[12:13], v[73:74]
	s_waitcnt vmcnt(53) lgkmcnt(1)
	v_mul_f64 v[73:74], v[0:1], v[32:33]
	v_mul_f64 v[32:33], v[2:3], v[32:33]
	s_waitcnt vmcnt(52)
	v_fma_f64 v[91:92], v[4:5], v[105:106], -v[99:100]
	v_add_f64 v[14:15], v[14:15], v[20:21]
	v_fma_f64 v[20:21], v[6:7], v[105:106], v[77:78]
	v_add_f64 v[12:13], v[12:13], v[26:27]
	ds_read_b128 v[4:7], v60 offset:1472
	s_waitcnt vmcnt(51) lgkmcnt(1)
	v_mul_f64 v[77:78], v[10:11], v[93:94]
	v_mul_f64 v[26:27], v[8:9], v[93:94]
	s_waitcnt vmcnt(49)
	v_fma_f64 v[32:33], v[0:1], v[24:25], -v[32:33]
	v_fma_f64 v[24:25], v[2:3], v[24:25], v[73:74]
	v_add_f64 v[14:15], v[14:15], v[91:92]
	v_add_f64 v[12:13], v[12:13], v[20:21]
	s_clause 0x3
	buffer_load_dword v20, off, s[0:3], 0 offset:16
	buffer_load_dword v21, off, s[0:3], 0 offset:20
	;; [unrolled: 1-line block ×4, first 2 shown]
	ds_read_b128 v[0:3], v60 offset:1488
	s_waitcnt vmcnt(49) lgkmcnt(1)
	v_mul_f64 v[91:92], v[4:5], v[18:19]
	v_mul_f64 v[18:19], v[6:7], v[18:19]
	s_waitcnt vmcnt(48)
	v_fma_f64 v[77:78], v[8:9], v[107:108], -v[77:78]
	v_fma_f64 v[26:27], v[10:11], v[107:108], v[26:27]
	ds_read_b128 v[8:11], v60 offset:1504
	v_add_f64 v[14:15], v[14:15], v[32:33]
	v_add_f64 v[12:13], v[12:13], v[24:25]
	s_waitcnt vmcnt(47) lgkmcnt(1)
	v_mul_f64 v[32:33], v[2:3], v[36:37]
	v_mul_f64 v[24:25], v[0:1], v[36:37]
	s_waitcnt vmcnt(45)
	v_fma_f64 v[18:19], v[4:5], v[30:31], -v[18:19]
	v_fma_f64 v[30:31], v[6:7], v[30:31], v[91:92]
	ds_read_b128 v[4:7], v60 offset:1520
	v_add_f64 v[14:15], v[14:15], v[77:78]
	v_add_f64 v[12:13], v[12:13], v[26:27]
	s_waitcnt vmcnt(41) lgkmcnt(1)
	v_mul_f64 v[26:27], v[8:9], v[22:23]
	v_mul_f64 v[22:23], v[10:11], v[22:23]
	s_waitcnt vmcnt(40)
	v_fma_f64 v[32:33], v[0:1], v[103:104], -v[32:33]
	v_add_f64 v[14:15], v[14:15], v[18:19]
	v_fma_f64 v[18:19], v[2:3], v[103:104], v[24:25]
	v_add_f64 v[12:13], v[12:13], v[30:31]
	ds_read_b128 v[0:3], v60 offset:1536
	s_waitcnt vmcnt(39) lgkmcnt(1)
	v_mul_f64 v[30:31], v[6:7], v[65:66]
	v_mul_f64 v[24:25], v[4:5], v[65:66]
	s_waitcnt vmcnt(37)
	v_fma_f64 v[22:23], v[8:9], v[58:59], -v[22:23]
	v_fma_f64 v[26:27], v[10:11], v[58:59], v[26:27]
	ds_read_b128 v[8:11], v60 offset:1552
	v_add_f64 v[14:15], v[14:15], v[32:33]
	v_add_f64 v[12:13], v[12:13], v[18:19]
	s_waitcnt vmcnt(33) lgkmcnt(1)
	v_mul_f64 v[18:19], v[0:1], v[28:29]
	v_mul_f64 v[28:29], v[2:3], v[28:29]
	s_waitcnt vmcnt(32)
	v_fma_f64 v[30:31], v[4:5], v[95:96], -v[30:31]
	v_add_f64 v[14:15], v[14:15], v[22:23]
	v_fma_f64 v[22:23], v[6:7], v[95:96], v[24:25]
	v_add_f64 v[12:13], v[12:13], v[26:27]
	ds_read_b128 v[4:7], v60 offset:1568
	s_waitcnt vmcnt(31) lgkmcnt(1)
	v_mul_f64 v[26:27], v[10:11], v[71:72]
	v_mul_f64 v[24:25], v[8:9], v[71:72]
	s_waitcnt vmcnt(29)
	v_fma_f64 v[28:29], v[0:1], v[38:39], -v[28:29]
	v_fma_f64 v[18:19], v[2:3], v[38:39], v[18:19]
	ds_read_b128 v[0:3], v60 offset:1584
	v_add_f64 v[14:15], v[14:15], v[30:31]
	v_add_f64 v[12:13], v[12:13], v[22:23]
	s_waitcnt vmcnt(25) lgkmcnt(1)
	v_mul_f64 v[30:31], v[6:7], v[34:35]
	s_waitcnt vmcnt(24)
	v_fma_f64 v[26:27], v[8:9], v[89:90], -v[26:27]
	v_mul_f64 v[22:23], v[4:5], v[34:35]
	v_fma_f64 v[24:25], v[10:11], v[89:90], v[24:25]
	ds_read_b128 v[8:11], v60 offset:1600
	v_add_f64 v[14:15], v[14:15], v[28:29]
	v_add_f64 v[12:13], v[12:13], v[18:19]
	s_waitcnt vmcnt(23) lgkmcnt(1)
	v_mul_f64 v[28:29], v[2:3], v[79:80]
	v_mul_f64 v[18:19], v[0:1], v[79:80]
	s_waitcnt vmcnt(21)
	v_fma_f64 v[30:31], v[4:5], v[67:68], -v[30:31]
	v_fma_f64 v[22:23], v[6:7], v[67:68], v[22:23]
	ds_read_b128 v[4:7], v60 offset:1616
	v_add_f64 v[14:15], v[14:15], v[26:27]
	v_add_f64 v[12:13], v[12:13], v[24:25]
	s_waitcnt vmcnt(17) lgkmcnt(1)
	v_mul_f64 v[26:27], v[10:11], v[63:64]
	s_waitcnt vmcnt(16)
	v_fma_f64 v[28:29], v[0:1], v[85:86], -v[28:29]
	v_mul_f64 v[24:25], v[8:9], v[63:64]
	v_fma_f64 v[18:19], v[2:3], v[85:86], v[18:19]
	ds_read_b128 v[0:3], v60 offset:1632
	v_add_f64 v[14:15], v[14:15], v[30:31]
	v_add_f64 v[12:13], v[12:13], v[22:23]
	s_waitcnt vmcnt(15) lgkmcnt(1)
	v_mul_f64 v[30:31], v[6:7], v[81:82]
	v_mul_f64 v[22:23], v[4:5], v[81:82]
	s_waitcnt vmcnt(13)
	v_fma_f64 v[26:27], v[8:9], v[16:17], -v[26:27]
	v_fma_f64 v[16:17], v[10:11], v[16:17], v[24:25]
	ds_read_b128 v[8:11], v60 offset:1648
	v_add_f64 v[14:15], v[14:15], v[28:29]
	v_add_f64 v[12:13], v[12:13], v[18:19]
	s_waitcnt vmcnt(9) lgkmcnt(1)
	v_mul_f64 v[24:25], v[2:3], v[69:70]
	s_waitcnt vmcnt(8)
	v_fma_f64 v[4:5], v[4:5], v[87:88], -v[30:31]
	v_mul_f64 v[18:19], v[0:1], v[69:70]
	v_fma_f64 v[6:7], v[6:7], v[87:88], v[22:23]
	v_add_f64 v[14:15], v[14:15], v[26:27]
	v_add_f64 v[12:13], v[12:13], v[16:17]
	s_waitcnt vmcnt(7) lgkmcnt(0)
	v_mul_f64 v[22:23], v[10:11], v[83:84]
	v_mul_f64 v[16:17], v[8:9], v[83:84]
	s_waitcnt vmcnt(5)
	v_fma_f64 v[0:1], v[0:1], v[75:76], -v[24:25]
	v_fma_f64 v[2:3], v[2:3], v[75:76], v[18:19]
	v_add_f64 v[4:5], v[14:15], v[4:5]
	v_add_f64 v[6:7], v[12:13], v[6:7]
	s_waitcnt vmcnt(4)
	v_fma_f64 v[8:9], v[8:9], v[97:98], -v[22:23]
	v_add_f64 v[0:1], v[4:5], v[0:1]
	v_fma_f64 v[4:5], v[10:11], v[97:98], v[16:17]
	v_add_f64 v[2:3], v[6:7], v[2:3]
	v_add_f64 v[0:1], v[0:1], v[8:9]
	;; [unrolled: 1-line block ×3, first 2 shown]
	s_waitcnt vmcnt(2)
	v_add_f64 v[0:1], v[20:21], -v[0:1]
	s_waitcnt vmcnt(0)
	v_add_f64 v[2:3], v[73:74], -v[2:3]
	buffer_store_dword v1, off, s[0:3], 0 offset:20
	buffer_store_dword v0, off, s[0:3], 0 offset:16
	;; [unrolled: 1-line block ×4, first 2 shown]
	s_cbranch_vccz .LBB51_428
; %bb.326:
	global_load_dword v0, v60, s[20:21] offset:200
	s_waitcnt vmcnt(0)
	v_add_nc_u32_e32 v0, -1, v0
	v_cmp_ne_u32_e32 vcc_lo, 50, v0
	s_cbranch_vccz .LBB51_328
; %bb.327:
	v_lshlrev_b32_e32 v0, 4, v0
	v_mov_b32_e32 v1, s9
	v_add_nc_u32_e32 v0, 16, v0
	s_clause 0x7
	buffer_load_dword v2, v0, s[0:3], 0 offen
	buffer_load_dword v3, v0, s[0:3], 0 offen offset:4
	buffer_load_dword v4, v0, s[0:3], 0 offen offset:8
	buffer_load_dword v5, v0, s[0:3], 0 offen offset:12
	buffer_load_dword v6, v1, s[0:3], 0 offen offset:12
	buffer_load_dword v7, v1, s[0:3], 0 offen offset:8
	buffer_load_dword v8, v1, s[0:3], 0 offen offset:4
	buffer_load_dword v9, v1, s[0:3], 0 offen
	s_waitcnt vmcnt(7)
	buffer_store_dword v2, v1, s[0:3], 0 offen
	s_waitcnt vmcnt(6)
	buffer_store_dword v3, v1, s[0:3], 0 offen offset:4
	s_waitcnt vmcnt(5)
	buffer_store_dword v4, v1, s[0:3], 0 offen offset:8
	;; [unrolled: 2-line block ×6, first 2 shown]
	s_waitcnt vmcnt(0)
	buffer_store_dword v9, v0, s[0:3], 0 offen
.LBB51_328:
	v_mov_b32_e32 v0, 0
	global_load_dword v1, v0, s[20:21] offset:196
	s_waitcnt vmcnt(0)
	v_add_nc_u32_e32 v1, -1, v1
	v_cmp_eq_u32_e32 vcc_lo, 49, v1
	s_cbranch_vccnz .LBB51_330
; %bb.329:
	v_lshlrev_b32_e32 v1, 4, v1
	v_mov_b32_e32 v2, s12
	v_add_nc_u32_e32 v1, 16, v1
	s_clause 0x7
	buffer_load_dword v3, v1, s[0:3], 0 offen
	buffer_load_dword v4, v1, s[0:3], 0 offen offset:4
	buffer_load_dword v5, v1, s[0:3], 0 offen offset:8
	;; [unrolled: 1-line block ×6, first 2 shown]
	buffer_load_dword v10, v2, s[0:3], 0 offen
	s_waitcnt vmcnt(7)
	buffer_store_dword v3, v2, s[0:3], 0 offen
	s_waitcnt vmcnt(6)
	buffer_store_dword v4, v2, s[0:3], 0 offen offset:4
	s_waitcnt vmcnt(5)
	buffer_store_dword v5, v2, s[0:3], 0 offen offset:8
	;; [unrolled: 2-line block ×6, first 2 shown]
	s_waitcnt vmcnt(0)
	buffer_store_dword v10, v1, s[0:3], 0 offen
.LBB51_330:
	global_load_dword v0, v0, s[20:21] offset:192
	s_waitcnt vmcnt(0)
	v_add_nc_u32_e32 v0, -1, v0
	v_cmp_eq_u32_e32 vcc_lo, 48, v0
	s_cbranch_vccnz .LBB51_332
; %bb.331:
	v_lshlrev_b32_e32 v0, 4, v0
	v_mov_b32_e32 v1, s13
	v_add_nc_u32_e32 v0, 16, v0
	s_clause 0x7
	buffer_load_dword v2, v0, s[0:3], 0 offen
	buffer_load_dword v3, v0, s[0:3], 0 offen offset:4
	buffer_load_dword v4, v0, s[0:3], 0 offen offset:8
	;; [unrolled: 1-line block ×6, first 2 shown]
	buffer_load_dword v9, v1, s[0:3], 0 offen
	s_waitcnt vmcnt(7)
	buffer_store_dword v2, v1, s[0:3], 0 offen
	s_waitcnt vmcnt(6)
	buffer_store_dword v3, v1, s[0:3], 0 offen offset:4
	s_waitcnt vmcnt(5)
	buffer_store_dword v4, v1, s[0:3], 0 offen offset:8
	;; [unrolled: 2-line block ×6, first 2 shown]
	s_waitcnt vmcnt(0)
	buffer_store_dword v9, v0, s[0:3], 0 offen
.LBB51_332:
	v_mov_b32_e32 v0, 0
	global_load_dword v1, v0, s[20:21] offset:188
	s_waitcnt vmcnt(0)
	v_add_nc_u32_e32 v1, -1, v1
	v_cmp_eq_u32_e32 vcc_lo, 47, v1
	s_cbranch_vccnz .LBB51_334
; %bb.333:
	v_lshlrev_b32_e32 v1, 4, v1
	v_mov_b32_e32 v2, s14
	v_add_nc_u32_e32 v1, 16, v1
	s_clause 0x7
	buffer_load_dword v3, v1, s[0:3], 0 offen
	buffer_load_dword v4, v1, s[0:3], 0 offen offset:4
	buffer_load_dword v5, v1, s[0:3], 0 offen offset:8
	;; [unrolled: 1-line block ×6, first 2 shown]
	buffer_load_dword v10, v2, s[0:3], 0 offen
	s_waitcnt vmcnt(7)
	buffer_store_dword v3, v2, s[0:3], 0 offen
	s_waitcnt vmcnt(6)
	buffer_store_dword v4, v2, s[0:3], 0 offen offset:4
	s_waitcnt vmcnt(5)
	buffer_store_dword v5, v2, s[0:3], 0 offen offset:8
	;; [unrolled: 2-line block ×6, first 2 shown]
	s_waitcnt vmcnt(0)
	buffer_store_dword v10, v1, s[0:3], 0 offen
.LBB51_334:
	global_load_dword v0, v0, s[20:21] offset:184
	s_waitcnt vmcnt(0)
	v_add_nc_u32_e32 v0, -1, v0
	v_cmp_eq_u32_e32 vcc_lo, 46, v0
	s_cbranch_vccnz .LBB51_336
; %bb.335:
	v_lshlrev_b32_e32 v0, 4, v0
	v_mov_b32_e32 v1, s15
	v_add_nc_u32_e32 v0, 16, v0
	s_clause 0x7
	buffer_load_dword v2, v0, s[0:3], 0 offen
	buffer_load_dword v3, v0, s[0:3], 0 offen offset:4
	buffer_load_dword v4, v0, s[0:3], 0 offen offset:8
	;; [unrolled: 1-line block ×6, first 2 shown]
	buffer_load_dword v9, v1, s[0:3], 0 offen
	s_waitcnt vmcnt(7)
	buffer_store_dword v2, v1, s[0:3], 0 offen
	s_waitcnt vmcnt(6)
	buffer_store_dword v3, v1, s[0:3], 0 offen offset:4
	s_waitcnt vmcnt(5)
	buffer_store_dword v4, v1, s[0:3], 0 offen offset:8
	;; [unrolled: 2-line block ×6, first 2 shown]
	s_waitcnt vmcnt(0)
	buffer_store_dword v9, v0, s[0:3], 0 offen
.LBB51_336:
	v_mov_b32_e32 v0, 0
	global_load_dword v1, v0, s[20:21] offset:180
	s_waitcnt vmcnt(0)
	v_add_nc_u32_e32 v1, -1, v1
	v_cmp_eq_u32_e32 vcc_lo, 45, v1
	s_cbranch_vccnz .LBB51_338
; %bb.337:
	v_lshlrev_b32_e32 v1, 4, v1
	v_mov_b32_e32 v2, s16
	v_add_nc_u32_e32 v1, 16, v1
	s_clause 0x7
	buffer_load_dword v3, v1, s[0:3], 0 offen
	buffer_load_dword v4, v1, s[0:3], 0 offen offset:4
	buffer_load_dword v5, v1, s[0:3], 0 offen offset:8
	buffer_load_dword v6, v1, s[0:3], 0 offen offset:12
	buffer_load_dword v7, v2, s[0:3], 0 offen offset:12
	buffer_load_dword v8, v2, s[0:3], 0 offen offset:8
	buffer_load_dword v9, v2, s[0:3], 0 offen offset:4
	buffer_load_dword v10, v2, s[0:3], 0 offen
	s_waitcnt vmcnt(7)
	buffer_store_dword v3, v2, s[0:3], 0 offen
	s_waitcnt vmcnt(6)
	buffer_store_dword v4, v2, s[0:3], 0 offen offset:4
	s_waitcnt vmcnt(5)
	buffer_store_dword v5, v2, s[0:3], 0 offen offset:8
	;; [unrolled: 2-line block ×6, first 2 shown]
	s_waitcnt vmcnt(0)
	buffer_store_dword v10, v1, s[0:3], 0 offen
.LBB51_338:
	global_load_dword v0, v0, s[20:21] offset:176
	s_waitcnt vmcnt(0)
	v_add_nc_u32_e32 v0, -1, v0
	v_cmp_eq_u32_e32 vcc_lo, 44, v0
	s_cbranch_vccnz .LBB51_340
; %bb.339:
	v_lshlrev_b32_e32 v0, 4, v0
	v_mov_b32_e32 v1, s17
	v_add_nc_u32_e32 v0, 16, v0
	s_clause 0x7
	buffer_load_dword v2, v0, s[0:3], 0 offen
	buffer_load_dword v3, v0, s[0:3], 0 offen offset:4
	buffer_load_dword v4, v0, s[0:3], 0 offen offset:8
	;; [unrolled: 1-line block ×6, first 2 shown]
	buffer_load_dword v9, v1, s[0:3], 0 offen
	s_waitcnt vmcnt(7)
	buffer_store_dword v2, v1, s[0:3], 0 offen
	s_waitcnt vmcnt(6)
	buffer_store_dword v3, v1, s[0:3], 0 offen offset:4
	s_waitcnt vmcnt(5)
	buffer_store_dword v4, v1, s[0:3], 0 offen offset:8
	;; [unrolled: 2-line block ×6, first 2 shown]
	s_waitcnt vmcnt(0)
	buffer_store_dword v9, v0, s[0:3], 0 offen
.LBB51_340:
	v_mov_b32_e32 v0, 0
	global_load_dword v1, v0, s[20:21] offset:172
	s_waitcnt vmcnt(0)
	v_add_nc_u32_e32 v1, -1, v1
	v_cmp_eq_u32_e32 vcc_lo, 43, v1
	s_cbranch_vccnz .LBB51_342
; %bb.341:
	v_lshlrev_b32_e32 v1, 4, v1
	v_mov_b32_e32 v2, s18
	v_add_nc_u32_e32 v1, 16, v1
	s_clause 0x7
	buffer_load_dword v3, v1, s[0:3], 0 offen
	buffer_load_dword v4, v1, s[0:3], 0 offen offset:4
	buffer_load_dword v5, v1, s[0:3], 0 offen offset:8
	;; [unrolled: 1-line block ×6, first 2 shown]
	buffer_load_dword v10, v2, s[0:3], 0 offen
	s_waitcnt vmcnt(7)
	buffer_store_dword v3, v2, s[0:3], 0 offen
	s_waitcnt vmcnt(6)
	buffer_store_dword v4, v2, s[0:3], 0 offen offset:4
	s_waitcnt vmcnt(5)
	buffer_store_dword v5, v2, s[0:3], 0 offen offset:8
	;; [unrolled: 2-line block ×6, first 2 shown]
	s_waitcnt vmcnt(0)
	buffer_store_dword v10, v1, s[0:3], 0 offen
.LBB51_342:
	global_load_dword v0, v0, s[20:21] offset:168
	s_waitcnt vmcnt(0)
	v_add_nc_u32_e32 v0, -1, v0
	v_cmp_eq_u32_e32 vcc_lo, 42, v0
	s_cbranch_vccnz .LBB51_344
; %bb.343:
	v_lshlrev_b32_e32 v0, 4, v0
	v_mov_b32_e32 v1, s19
	v_add_nc_u32_e32 v0, 16, v0
	s_clause 0x7
	buffer_load_dword v2, v0, s[0:3], 0 offen
	buffer_load_dword v3, v0, s[0:3], 0 offen offset:4
	buffer_load_dword v4, v0, s[0:3], 0 offen offset:8
	buffer_load_dword v5, v0, s[0:3], 0 offen offset:12
	buffer_load_dword v6, v1, s[0:3], 0 offen offset:12
	buffer_load_dword v7, v1, s[0:3], 0 offen offset:8
	buffer_load_dword v8, v1, s[0:3], 0 offen offset:4
	buffer_load_dword v9, v1, s[0:3], 0 offen
	s_waitcnt vmcnt(7)
	buffer_store_dword v2, v1, s[0:3], 0 offen
	s_waitcnt vmcnt(6)
	buffer_store_dword v3, v1, s[0:3], 0 offen offset:4
	s_waitcnt vmcnt(5)
	buffer_store_dword v4, v1, s[0:3], 0 offen offset:8
	;; [unrolled: 2-line block ×6, first 2 shown]
	s_waitcnt vmcnt(0)
	buffer_store_dword v9, v0, s[0:3], 0 offen
.LBB51_344:
	v_mov_b32_e32 v0, 0
	global_load_dword v1, v0, s[20:21] offset:164
	s_waitcnt vmcnt(0)
	v_add_nc_u32_e32 v1, -1, v1
	v_cmp_eq_u32_e32 vcc_lo, 41, v1
	s_cbranch_vccnz .LBB51_346
; %bb.345:
	v_lshlrev_b32_e32 v1, 4, v1
	v_mov_b32_e32 v2, s22
	v_add_nc_u32_e32 v1, 16, v1
	s_clause 0x7
	buffer_load_dword v3, v1, s[0:3], 0 offen
	buffer_load_dword v4, v1, s[0:3], 0 offen offset:4
	buffer_load_dword v5, v1, s[0:3], 0 offen offset:8
	;; [unrolled: 1-line block ×6, first 2 shown]
	buffer_load_dword v10, v2, s[0:3], 0 offen
	s_waitcnt vmcnt(7)
	buffer_store_dword v3, v2, s[0:3], 0 offen
	s_waitcnt vmcnt(6)
	buffer_store_dword v4, v2, s[0:3], 0 offen offset:4
	s_waitcnt vmcnt(5)
	buffer_store_dword v5, v2, s[0:3], 0 offen offset:8
	s_waitcnt vmcnt(4)
	buffer_store_dword v6, v2, s[0:3], 0 offen offset:12
	s_waitcnt vmcnt(3)
	buffer_store_dword v7, v1, s[0:3], 0 offen offset:12
	s_waitcnt vmcnt(2)
	buffer_store_dword v8, v1, s[0:3], 0 offen offset:8
	s_waitcnt vmcnt(1)
	buffer_store_dword v9, v1, s[0:3], 0 offen offset:4
	s_waitcnt vmcnt(0)
	buffer_store_dword v10, v1, s[0:3], 0 offen
.LBB51_346:
	global_load_dword v0, v0, s[20:21] offset:160
	s_waitcnt vmcnt(0)
	v_add_nc_u32_e32 v0, -1, v0
	v_cmp_eq_u32_e32 vcc_lo, 40, v0
	s_cbranch_vccnz .LBB51_348
; %bb.347:
	v_lshlrev_b32_e32 v0, 4, v0
	v_mov_b32_e32 v1, s23
	v_add_nc_u32_e32 v0, 16, v0
	s_clause 0x7
	buffer_load_dword v2, v0, s[0:3], 0 offen
	buffer_load_dword v3, v0, s[0:3], 0 offen offset:4
	buffer_load_dword v4, v0, s[0:3], 0 offen offset:8
	;; [unrolled: 1-line block ×6, first 2 shown]
	buffer_load_dword v9, v1, s[0:3], 0 offen
	s_waitcnt vmcnt(7)
	buffer_store_dword v2, v1, s[0:3], 0 offen
	s_waitcnt vmcnt(6)
	buffer_store_dword v3, v1, s[0:3], 0 offen offset:4
	s_waitcnt vmcnt(5)
	buffer_store_dword v4, v1, s[0:3], 0 offen offset:8
	;; [unrolled: 2-line block ×6, first 2 shown]
	s_waitcnt vmcnt(0)
	buffer_store_dword v9, v0, s[0:3], 0 offen
.LBB51_348:
	v_mov_b32_e32 v0, 0
	global_load_dword v1, v0, s[20:21] offset:156
	s_waitcnt vmcnt(0)
	v_add_nc_u32_e32 v1, -1, v1
	v_cmp_eq_u32_e32 vcc_lo, 39, v1
	s_cbranch_vccnz .LBB51_350
; %bb.349:
	v_lshlrev_b32_e32 v1, 4, v1
	v_mov_b32_e32 v2, s24
	v_add_nc_u32_e32 v1, 16, v1
	s_clause 0x7
	buffer_load_dword v3, v1, s[0:3], 0 offen
	buffer_load_dword v4, v1, s[0:3], 0 offen offset:4
	buffer_load_dword v5, v1, s[0:3], 0 offen offset:8
	;; [unrolled: 1-line block ×6, first 2 shown]
	buffer_load_dword v10, v2, s[0:3], 0 offen
	s_waitcnt vmcnt(7)
	buffer_store_dword v3, v2, s[0:3], 0 offen
	s_waitcnt vmcnt(6)
	buffer_store_dword v4, v2, s[0:3], 0 offen offset:4
	s_waitcnt vmcnt(5)
	buffer_store_dword v5, v2, s[0:3], 0 offen offset:8
	;; [unrolled: 2-line block ×6, first 2 shown]
	s_waitcnt vmcnt(0)
	buffer_store_dword v10, v1, s[0:3], 0 offen
.LBB51_350:
	global_load_dword v0, v0, s[20:21] offset:152
	s_waitcnt vmcnt(0)
	v_add_nc_u32_e32 v0, -1, v0
	v_cmp_eq_u32_e32 vcc_lo, 38, v0
	s_cbranch_vccnz .LBB51_352
; %bb.351:
	v_lshlrev_b32_e32 v0, 4, v0
	v_mov_b32_e32 v1, s25
	v_add_nc_u32_e32 v0, 16, v0
	s_clause 0x7
	buffer_load_dword v2, v0, s[0:3], 0 offen
	buffer_load_dword v3, v0, s[0:3], 0 offen offset:4
	buffer_load_dword v4, v0, s[0:3], 0 offen offset:8
	;; [unrolled: 1-line block ×6, first 2 shown]
	buffer_load_dword v9, v1, s[0:3], 0 offen
	s_waitcnt vmcnt(7)
	buffer_store_dword v2, v1, s[0:3], 0 offen
	s_waitcnt vmcnt(6)
	buffer_store_dword v3, v1, s[0:3], 0 offen offset:4
	s_waitcnt vmcnt(5)
	buffer_store_dword v4, v1, s[0:3], 0 offen offset:8
	;; [unrolled: 2-line block ×6, first 2 shown]
	s_waitcnt vmcnt(0)
	buffer_store_dword v9, v0, s[0:3], 0 offen
.LBB51_352:
	v_mov_b32_e32 v0, 0
	global_load_dword v1, v0, s[20:21] offset:148
	s_waitcnt vmcnt(0)
	v_add_nc_u32_e32 v1, -1, v1
	v_cmp_eq_u32_e32 vcc_lo, 37, v1
	s_cbranch_vccnz .LBB51_354
; %bb.353:
	v_lshlrev_b32_e32 v1, 4, v1
	v_mov_b32_e32 v2, s26
	v_add_nc_u32_e32 v1, 16, v1
	s_clause 0x7
	buffer_load_dword v3, v1, s[0:3], 0 offen
	buffer_load_dword v4, v1, s[0:3], 0 offen offset:4
	buffer_load_dword v5, v1, s[0:3], 0 offen offset:8
	;; [unrolled: 1-line block ×6, first 2 shown]
	buffer_load_dword v10, v2, s[0:3], 0 offen
	s_waitcnt vmcnt(7)
	buffer_store_dword v3, v2, s[0:3], 0 offen
	s_waitcnt vmcnt(6)
	buffer_store_dword v4, v2, s[0:3], 0 offen offset:4
	s_waitcnt vmcnt(5)
	buffer_store_dword v5, v2, s[0:3], 0 offen offset:8
	;; [unrolled: 2-line block ×6, first 2 shown]
	s_waitcnt vmcnt(0)
	buffer_store_dword v10, v1, s[0:3], 0 offen
.LBB51_354:
	global_load_dword v0, v0, s[20:21] offset:144
	s_waitcnt vmcnt(0)
	v_add_nc_u32_e32 v0, -1, v0
	v_cmp_eq_u32_e32 vcc_lo, 36, v0
	s_cbranch_vccnz .LBB51_356
; %bb.355:
	v_lshlrev_b32_e32 v0, 4, v0
	v_mov_b32_e32 v1, s27
	v_add_nc_u32_e32 v0, 16, v0
	s_clause 0x7
	buffer_load_dword v2, v0, s[0:3], 0 offen
	buffer_load_dword v3, v0, s[0:3], 0 offen offset:4
	buffer_load_dword v4, v0, s[0:3], 0 offen offset:8
	;; [unrolled: 1-line block ×6, first 2 shown]
	buffer_load_dword v9, v1, s[0:3], 0 offen
	s_waitcnt vmcnt(7)
	buffer_store_dword v2, v1, s[0:3], 0 offen
	s_waitcnt vmcnt(6)
	buffer_store_dword v3, v1, s[0:3], 0 offen offset:4
	s_waitcnt vmcnt(5)
	buffer_store_dword v4, v1, s[0:3], 0 offen offset:8
	;; [unrolled: 2-line block ×6, first 2 shown]
	s_waitcnt vmcnt(0)
	buffer_store_dword v9, v0, s[0:3], 0 offen
.LBB51_356:
	v_mov_b32_e32 v0, 0
	global_load_dword v1, v0, s[20:21] offset:140
	s_waitcnt vmcnt(0)
	v_add_nc_u32_e32 v1, -1, v1
	v_cmp_eq_u32_e32 vcc_lo, 35, v1
	s_cbranch_vccnz .LBB51_358
; %bb.357:
	v_lshlrev_b32_e32 v1, 4, v1
	v_mov_b32_e32 v2, s28
	v_add_nc_u32_e32 v1, 16, v1
	s_clause 0x7
	buffer_load_dword v3, v1, s[0:3], 0 offen
	buffer_load_dword v4, v1, s[0:3], 0 offen offset:4
	buffer_load_dword v5, v1, s[0:3], 0 offen offset:8
	;; [unrolled: 1-line block ×6, first 2 shown]
	buffer_load_dword v10, v2, s[0:3], 0 offen
	s_waitcnt vmcnt(7)
	buffer_store_dword v3, v2, s[0:3], 0 offen
	s_waitcnt vmcnt(6)
	buffer_store_dword v4, v2, s[0:3], 0 offen offset:4
	s_waitcnt vmcnt(5)
	buffer_store_dword v5, v2, s[0:3], 0 offen offset:8
	;; [unrolled: 2-line block ×6, first 2 shown]
	s_waitcnt vmcnt(0)
	buffer_store_dword v10, v1, s[0:3], 0 offen
.LBB51_358:
	global_load_dword v0, v0, s[20:21] offset:136
	s_waitcnt vmcnt(0)
	v_add_nc_u32_e32 v0, -1, v0
	v_cmp_eq_u32_e32 vcc_lo, 34, v0
	s_cbranch_vccnz .LBB51_360
; %bb.359:
	v_lshlrev_b32_e32 v0, 4, v0
	v_mov_b32_e32 v1, s29
	v_add_nc_u32_e32 v0, 16, v0
	s_clause 0x7
	buffer_load_dword v2, v0, s[0:3], 0 offen
	buffer_load_dword v3, v0, s[0:3], 0 offen offset:4
	buffer_load_dword v4, v0, s[0:3], 0 offen offset:8
	;; [unrolled: 1-line block ×6, first 2 shown]
	buffer_load_dword v9, v1, s[0:3], 0 offen
	s_waitcnt vmcnt(7)
	buffer_store_dword v2, v1, s[0:3], 0 offen
	s_waitcnt vmcnt(6)
	buffer_store_dword v3, v1, s[0:3], 0 offen offset:4
	s_waitcnt vmcnt(5)
	buffer_store_dword v4, v1, s[0:3], 0 offen offset:8
	;; [unrolled: 2-line block ×6, first 2 shown]
	s_waitcnt vmcnt(0)
	buffer_store_dword v9, v0, s[0:3], 0 offen
.LBB51_360:
	v_mov_b32_e32 v0, 0
	global_load_dword v1, v0, s[20:21] offset:132
	s_waitcnt vmcnt(0)
	v_add_nc_u32_e32 v1, -1, v1
	v_cmp_eq_u32_e32 vcc_lo, 33, v1
	s_cbranch_vccnz .LBB51_362
; %bb.361:
	v_lshlrev_b32_e32 v1, 4, v1
	v_mov_b32_e32 v2, s30
	v_add_nc_u32_e32 v1, 16, v1
	s_clause 0x7
	buffer_load_dword v3, v1, s[0:3], 0 offen
	buffer_load_dword v4, v1, s[0:3], 0 offen offset:4
	buffer_load_dword v5, v1, s[0:3], 0 offen offset:8
	;; [unrolled: 1-line block ×6, first 2 shown]
	buffer_load_dword v10, v2, s[0:3], 0 offen
	s_waitcnt vmcnt(7)
	buffer_store_dword v3, v2, s[0:3], 0 offen
	s_waitcnt vmcnt(6)
	buffer_store_dword v4, v2, s[0:3], 0 offen offset:4
	s_waitcnt vmcnt(5)
	buffer_store_dword v5, v2, s[0:3], 0 offen offset:8
	;; [unrolled: 2-line block ×6, first 2 shown]
	s_waitcnt vmcnt(0)
	buffer_store_dword v10, v1, s[0:3], 0 offen
.LBB51_362:
	global_load_dword v0, v0, s[20:21] offset:128
	s_waitcnt vmcnt(0)
	v_add_nc_u32_e32 v0, -1, v0
	v_cmp_eq_u32_e32 vcc_lo, 32, v0
	s_cbranch_vccnz .LBB51_364
; %bb.363:
	v_lshlrev_b32_e32 v0, 4, v0
	v_mov_b32_e32 v1, s31
	v_add_nc_u32_e32 v0, 16, v0
	s_clause 0x7
	buffer_load_dword v2, v0, s[0:3], 0 offen
	buffer_load_dword v3, v0, s[0:3], 0 offen offset:4
	buffer_load_dword v4, v0, s[0:3], 0 offen offset:8
	;; [unrolled: 1-line block ×6, first 2 shown]
	buffer_load_dword v9, v1, s[0:3], 0 offen
	s_waitcnt vmcnt(7)
	buffer_store_dword v2, v1, s[0:3], 0 offen
	s_waitcnt vmcnt(6)
	buffer_store_dword v3, v1, s[0:3], 0 offen offset:4
	s_waitcnt vmcnt(5)
	buffer_store_dword v4, v1, s[0:3], 0 offen offset:8
	s_waitcnt vmcnt(4)
	buffer_store_dword v5, v1, s[0:3], 0 offen offset:12
	s_waitcnt vmcnt(3)
	buffer_store_dword v6, v0, s[0:3], 0 offen offset:12
	s_waitcnt vmcnt(2)
	buffer_store_dword v7, v0, s[0:3], 0 offen offset:8
	s_waitcnt vmcnt(1)
	buffer_store_dword v8, v0, s[0:3], 0 offen offset:4
	s_waitcnt vmcnt(0)
	buffer_store_dword v9, v0, s[0:3], 0 offen
.LBB51_364:
	v_mov_b32_e32 v0, 0
	global_load_dword v1, v0, s[20:21] offset:124
	s_waitcnt vmcnt(0)
	v_add_nc_u32_e32 v1, -1, v1
	v_cmp_eq_u32_e32 vcc_lo, 31, v1
	s_cbranch_vccnz .LBB51_366
; %bb.365:
	v_lshlrev_b32_e32 v1, 4, v1
	v_mov_b32_e32 v2, s33
	v_add_nc_u32_e32 v1, 16, v1
	s_clause 0x7
	buffer_load_dword v3, v1, s[0:3], 0 offen
	buffer_load_dword v4, v1, s[0:3], 0 offen offset:4
	buffer_load_dword v5, v1, s[0:3], 0 offen offset:8
	;; [unrolled: 1-line block ×6, first 2 shown]
	buffer_load_dword v10, v2, s[0:3], 0 offen
	s_waitcnt vmcnt(7)
	buffer_store_dword v3, v2, s[0:3], 0 offen
	s_waitcnt vmcnt(6)
	buffer_store_dword v4, v2, s[0:3], 0 offen offset:4
	s_waitcnt vmcnt(5)
	buffer_store_dword v5, v2, s[0:3], 0 offen offset:8
	;; [unrolled: 2-line block ×6, first 2 shown]
	s_waitcnt vmcnt(0)
	buffer_store_dword v10, v1, s[0:3], 0 offen
.LBB51_366:
	global_load_dword v0, v0, s[20:21] offset:120
	s_waitcnt vmcnt(0)
	v_add_nc_u32_e32 v0, -1, v0
	v_cmp_eq_u32_e32 vcc_lo, 30, v0
	s_cbranch_vccnz .LBB51_368
; %bb.367:
	v_lshlrev_b32_e32 v0, 4, v0
	v_mov_b32_e32 v1, s34
	v_add_nc_u32_e32 v0, 16, v0
	s_clause 0x7
	buffer_load_dword v2, v0, s[0:3], 0 offen
	buffer_load_dword v3, v0, s[0:3], 0 offen offset:4
	buffer_load_dword v4, v0, s[0:3], 0 offen offset:8
	;; [unrolled: 1-line block ×6, first 2 shown]
	buffer_load_dword v9, v1, s[0:3], 0 offen
	s_waitcnt vmcnt(7)
	buffer_store_dword v2, v1, s[0:3], 0 offen
	s_waitcnt vmcnt(6)
	buffer_store_dword v3, v1, s[0:3], 0 offen offset:4
	s_waitcnt vmcnt(5)
	buffer_store_dword v4, v1, s[0:3], 0 offen offset:8
	;; [unrolled: 2-line block ×6, first 2 shown]
	s_waitcnt vmcnt(0)
	buffer_store_dword v9, v0, s[0:3], 0 offen
.LBB51_368:
	v_mov_b32_e32 v0, 0
	global_load_dword v1, v0, s[20:21] offset:116
	s_waitcnt vmcnt(0)
	v_add_nc_u32_e32 v1, -1, v1
	v_cmp_eq_u32_e32 vcc_lo, 29, v1
	s_cbranch_vccnz .LBB51_370
; %bb.369:
	v_lshlrev_b32_e32 v1, 4, v1
	v_mov_b32_e32 v2, s35
	v_add_nc_u32_e32 v1, 16, v1
	s_clause 0x7
	buffer_load_dword v3, v1, s[0:3], 0 offen
	buffer_load_dword v4, v1, s[0:3], 0 offen offset:4
	buffer_load_dword v5, v1, s[0:3], 0 offen offset:8
	;; [unrolled: 1-line block ×6, first 2 shown]
	buffer_load_dword v10, v2, s[0:3], 0 offen
	s_waitcnt vmcnt(7)
	buffer_store_dword v3, v2, s[0:3], 0 offen
	s_waitcnt vmcnt(6)
	buffer_store_dword v4, v2, s[0:3], 0 offen offset:4
	s_waitcnt vmcnt(5)
	buffer_store_dword v5, v2, s[0:3], 0 offen offset:8
	;; [unrolled: 2-line block ×6, first 2 shown]
	s_waitcnt vmcnt(0)
	buffer_store_dword v10, v1, s[0:3], 0 offen
.LBB51_370:
	global_load_dword v0, v0, s[20:21] offset:112
	s_waitcnt vmcnt(0)
	v_add_nc_u32_e32 v0, -1, v0
	v_cmp_eq_u32_e32 vcc_lo, 28, v0
	s_cbranch_vccnz .LBB51_372
; %bb.371:
	v_lshlrev_b32_e32 v0, 4, v0
	v_mov_b32_e32 v1, s36
	v_add_nc_u32_e32 v0, 16, v0
	s_clause 0x7
	buffer_load_dword v2, v0, s[0:3], 0 offen
	buffer_load_dword v3, v0, s[0:3], 0 offen offset:4
	buffer_load_dword v4, v0, s[0:3], 0 offen offset:8
	;; [unrolled: 1-line block ×6, first 2 shown]
	buffer_load_dword v9, v1, s[0:3], 0 offen
	s_waitcnt vmcnt(7)
	buffer_store_dword v2, v1, s[0:3], 0 offen
	s_waitcnt vmcnt(6)
	buffer_store_dword v3, v1, s[0:3], 0 offen offset:4
	s_waitcnt vmcnt(5)
	buffer_store_dword v4, v1, s[0:3], 0 offen offset:8
	;; [unrolled: 2-line block ×6, first 2 shown]
	s_waitcnt vmcnt(0)
	buffer_store_dword v9, v0, s[0:3], 0 offen
.LBB51_372:
	v_mov_b32_e32 v0, 0
	global_load_dword v1, v0, s[20:21] offset:108
	s_waitcnt vmcnt(0)
	v_add_nc_u32_e32 v1, -1, v1
	v_cmp_eq_u32_e32 vcc_lo, 27, v1
	s_cbranch_vccnz .LBB51_374
; %bb.373:
	v_lshlrev_b32_e32 v1, 4, v1
	v_mov_b32_e32 v2, s37
	v_add_nc_u32_e32 v1, 16, v1
	s_clause 0x7
	buffer_load_dword v3, v1, s[0:3], 0 offen
	buffer_load_dword v4, v1, s[0:3], 0 offen offset:4
	buffer_load_dword v5, v1, s[0:3], 0 offen offset:8
	;; [unrolled: 1-line block ×6, first 2 shown]
	buffer_load_dword v10, v2, s[0:3], 0 offen
	s_waitcnt vmcnt(7)
	buffer_store_dword v3, v2, s[0:3], 0 offen
	s_waitcnt vmcnt(6)
	buffer_store_dword v4, v2, s[0:3], 0 offen offset:4
	s_waitcnt vmcnt(5)
	buffer_store_dword v5, v2, s[0:3], 0 offen offset:8
	;; [unrolled: 2-line block ×6, first 2 shown]
	s_waitcnt vmcnt(0)
	buffer_store_dword v10, v1, s[0:3], 0 offen
.LBB51_374:
	global_load_dword v0, v0, s[20:21] offset:104
	s_waitcnt vmcnt(0)
	v_add_nc_u32_e32 v0, -1, v0
	v_cmp_eq_u32_e32 vcc_lo, 26, v0
	s_cbranch_vccnz .LBB51_376
; %bb.375:
	v_lshlrev_b32_e32 v0, 4, v0
	v_mov_b32_e32 v1, s38
	v_add_nc_u32_e32 v0, 16, v0
	s_clause 0x7
	buffer_load_dword v2, v0, s[0:3], 0 offen
	buffer_load_dword v3, v0, s[0:3], 0 offen offset:4
	buffer_load_dword v4, v0, s[0:3], 0 offen offset:8
	;; [unrolled: 1-line block ×6, first 2 shown]
	buffer_load_dword v9, v1, s[0:3], 0 offen
	s_waitcnt vmcnt(7)
	buffer_store_dword v2, v1, s[0:3], 0 offen
	s_waitcnt vmcnt(6)
	buffer_store_dword v3, v1, s[0:3], 0 offen offset:4
	s_waitcnt vmcnt(5)
	buffer_store_dword v4, v1, s[0:3], 0 offen offset:8
	;; [unrolled: 2-line block ×6, first 2 shown]
	s_waitcnt vmcnt(0)
	buffer_store_dword v9, v0, s[0:3], 0 offen
.LBB51_376:
	v_mov_b32_e32 v0, 0
	global_load_dword v1, v0, s[20:21] offset:100
	s_waitcnt vmcnt(0)
	v_add_nc_u32_e32 v1, -1, v1
	v_cmp_eq_u32_e32 vcc_lo, 25, v1
	s_cbranch_vccnz .LBB51_378
; %bb.377:
	v_lshlrev_b32_e32 v1, 4, v1
	v_mov_b32_e32 v2, s39
	v_add_nc_u32_e32 v1, 16, v1
	s_clause 0x7
	buffer_load_dword v3, v1, s[0:3], 0 offen
	buffer_load_dword v4, v1, s[0:3], 0 offen offset:4
	buffer_load_dword v5, v1, s[0:3], 0 offen offset:8
	;; [unrolled: 1-line block ×6, first 2 shown]
	buffer_load_dword v10, v2, s[0:3], 0 offen
	s_waitcnt vmcnt(7)
	buffer_store_dword v3, v2, s[0:3], 0 offen
	s_waitcnt vmcnt(6)
	buffer_store_dword v4, v2, s[0:3], 0 offen offset:4
	s_waitcnt vmcnt(5)
	buffer_store_dword v5, v2, s[0:3], 0 offen offset:8
	s_waitcnt vmcnt(4)
	buffer_store_dword v6, v2, s[0:3], 0 offen offset:12
	s_waitcnt vmcnt(3)
	buffer_store_dword v7, v1, s[0:3], 0 offen offset:12
	s_waitcnt vmcnt(2)
	buffer_store_dword v8, v1, s[0:3], 0 offen offset:8
	s_waitcnt vmcnt(1)
	buffer_store_dword v9, v1, s[0:3], 0 offen offset:4
	s_waitcnt vmcnt(0)
	buffer_store_dword v10, v1, s[0:3], 0 offen
.LBB51_378:
	global_load_dword v0, v0, s[20:21] offset:96
	s_waitcnt vmcnt(0)
	v_add_nc_u32_e32 v0, -1, v0
	v_cmp_eq_u32_e32 vcc_lo, 24, v0
	s_cbranch_vccnz .LBB51_380
; %bb.379:
	v_lshlrev_b32_e32 v0, 4, v0
	v_mov_b32_e32 v1, s40
	v_add_nc_u32_e32 v0, 16, v0
	s_clause 0x7
	buffer_load_dword v2, v0, s[0:3], 0 offen
	buffer_load_dword v3, v0, s[0:3], 0 offen offset:4
	buffer_load_dword v4, v0, s[0:3], 0 offen offset:8
	buffer_load_dword v5, v0, s[0:3], 0 offen offset:12
	buffer_load_dword v6, v1, s[0:3], 0 offen offset:12
	buffer_load_dword v7, v1, s[0:3], 0 offen offset:8
	buffer_load_dword v8, v1, s[0:3], 0 offen offset:4
	buffer_load_dword v9, v1, s[0:3], 0 offen
	s_waitcnt vmcnt(7)
	buffer_store_dword v2, v1, s[0:3], 0 offen
	s_waitcnt vmcnt(6)
	buffer_store_dword v3, v1, s[0:3], 0 offen offset:4
	s_waitcnt vmcnt(5)
	buffer_store_dword v4, v1, s[0:3], 0 offen offset:8
	;; [unrolled: 2-line block ×6, first 2 shown]
	s_waitcnt vmcnt(0)
	buffer_store_dword v9, v0, s[0:3], 0 offen
.LBB51_380:
	v_mov_b32_e32 v0, 0
	global_load_dword v1, v0, s[20:21] offset:92
	s_waitcnt vmcnt(0)
	v_add_nc_u32_e32 v1, -1, v1
	v_cmp_eq_u32_e32 vcc_lo, 23, v1
	s_cbranch_vccnz .LBB51_382
; %bb.381:
	v_lshlrev_b32_e32 v1, 4, v1
	v_mov_b32_e32 v2, s41
	v_add_nc_u32_e32 v1, 16, v1
	s_clause 0x7
	buffer_load_dword v3, v1, s[0:3], 0 offen
	buffer_load_dword v4, v1, s[0:3], 0 offen offset:4
	buffer_load_dword v5, v1, s[0:3], 0 offen offset:8
	;; [unrolled: 1-line block ×6, first 2 shown]
	buffer_load_dword v10, v2, s[0:3], 0 offen
	s_waitcnt vmcnt(7)
	buffer_store_dword v3, v2, s[0:3], 0 offen
	s_waitcnt vmcnt(6)
	buffer_store_dword v4, v2, s[0:3], 0 offen offset:4
	s_waitcnt vmcnt(5)
	buffer_store_dword v5, v2, s[0:3], 0 offen offset:8
	;; [unrolled: 2-line block ×6, first 2 shown]
	s_waitcnt vmcnt(0)
	buffer_store_dword v10, v1, s[0:3], 0 offen
.LBB51_382:
	global_load_dword v0, v0, s[20:21] offset:88
	s_waitcnt vmcnt(0)
	v_add_nc_u32_e32 v0, -1, v0
	v_cmp_eq_u32_e32 vcc_lo, 22, v0
	s_cbranch_vccnz .LBB51_384
; %bb.383:
	v_lshlrev_b32_e32 v0, 4, v0
	v_mov_b32_e32 v1, s42
	v_add_nc_u32_e32 v0, 16, v0
	s_clause 0x7
	buffer_load_dword v2, v0, s[0:3], 0 offen
	buffer_load_dword v3, v0, s[0:3], 0 offen offset:4
	buffer_load_dword v4, v0, s[0:3], 0 offen offset:8
	;; [unrolled: 1-line block ×6, first 2 shown]
	buffer_load_dword v9, v1, s[0:3], 0 offen
	s_waitcnt vmcnt(7)
	buffer_store_dword v2, v1, s[0:3], 0 offen
	s_waitcnt vmcnt(6)
	buffer_store_dword v3, v1, s[0:3], 0 offen offset:4
	s_waitcnt vmcnt(5)
	buffer_store_dword v4, v1, s[0:3], 0 offen offset:8
	;; [unrolled: 2-line block ×6, first 2 shown]
	s_waitcnt vmcnt(0)
	buffer_store_dword v9, v0, s[0:3], 0 offen
.LBB51_384:
	v_mov_b32_e32 v0, 0
	global_load_dword v1, v0, s[20:21] offset:84
	s_waitcnt vmcnt(0)
	v_add_nc_u32_e32 v1, -1, v1
	v_cmp_eq_u32_e32 vcc_lo, 21, v1
	s_cbranch_vccnz .LBB51_386
; %bb.385:
	v_lshlrev_b32_e32 v1, 4, v1
	v_mov_b32_e32 v2, s43
	v_add_nc_u32_e32 v1, 16, v1
	s_clause 0x7
	buffer_load_dword v3, v1, s[0:3], 0 offen
	buffer_load_dword v4, v1, s[0:3], 0 offen offset:4
	buffer_load_dword v5, v1, s[0:3], 0 offen offset:8
	;; [unrolled: 1-line block ×6, first 2 shown]
	buffer_load_dword v10, v2, s[0:3], 0 offen
	s_waitcnt vmcnt(7)
	buffer_store_dword v3, v2, s[0:3], 0 offen
	s_waitcnt vmcnt(6)
	buffer_store_dword v4, v2, s[0:3], 0 offen offset:4
	s_waitcnt vmcnt(5)
	buffer_store_dword v5, v2, s[0:3], 0 offen offset:8
	;; [unrolled: 2-line block ×6, first 2 shown]
	s_waitcnt vmcnt(0)
	buffer_store_dword v10, v1, s[0:3], 0 offen
.LBB51_386:
	global_load_dword v0, v0, s[20:21] offset:80
	s_waitcnt vmcnt(0)
	v_add_nc_u32_e32 v0, -1, v0
	v_cmp_eq_u32_e32 vcc_lo, 20, v0
	s_cbranch_vccnz .LBB51_388
; %bb.387:
	v_lshlrev_b32_e32 v0, 4, v0
	v_mov_b32_e32 v1, s44
	v_add_nc_u32_e32 v0, 16, v0
	s_clause 0x7
	buffer_load_dword v2, v0, s[0:3], 0 offen
	buffer_load_dword v3, v0, s[0:3], 0 offen offset:4
	buffer_load_dword v4, v0, s[0:3], 0 offen offset:8
	;; [unrolled: 1-line block ×6, first 2 shown]
	buffer_load_dword v9, v1, s[0:3], 0 offen
	s_waitcnt vmcnt(7)
	buffer_store_dword v2, v1, s[0:3], 0 offen
	s_waitcnt vmcnt(6)
	buffer_store_dword v3, v1, s[0:3], 0 offen offset:4
	s_waitcnt vmcnt(5)
	buffer_store_dword v4, v1, s[0:3], 0 offen offset:8
	;; [unrolled: 2-line block ×6, first 2 shown]
	s_waitcnt vmcnt(0)
	buffer_store_dword v9, v0, s[0:3], 0 offen
.LBB51_388:
	v_mov_b32_e32 v0, 0
	global_load_dword v1, v0, s[20:21] offset:76
	s_waitcnt vmcnt(0)
	v_add_nc_u32_e32 v1, -1, v1
	v_cmp_eq_u32_e32 vcc_lo, 19, v1
	s_cbranch_vccnz .LBB51_390
; %bb.389:
	v_lshlrev_b32_e32 v1, 4, v1
	v_mov_b32_e32 v2, s45
	v_add_nc_u32_e32 v1, 16, v1
	s_clause 0x7
	buffer_load_dword v3, v1, s[0:3], 0 offen
	buffer_load_dword v4, v1, s[0:3], 0 offen offset:4
	buffer_load_dword v5, v1, s[0:3], 0 offen offset:8
	;; [unrolled: 1-line block ×6, first 2 shown]
	buffer_load_dword v10, v2, s[0:3], 0 offen
	s_waitcnt vmcnt(7)
	buffer_store_dword v3, v2, s[0:3], 0 offen
	s_waitcnt vmcnt(6)
	buffer_store_dword v4, v2, s[0:3], 0 offen offset:4
	s_waitcnt vmcnt(5)
	buffer_store_dword v5, v2, s[0:3], 0 offen offset:8
	;; [unrolled: 2-line block ×6, first 2 shown]
	s_waitcnt vmcnt(0)
	buffer_store_dword v10, v1, s[0:3], 0 offen
.LBB51_390:
	global_load_dword v0, v0, s[20:21] offset:72
	s_waitcnt vmcnt(0)
	v_add_nc_u32_e32 v0, -1, v0
	v_cmp_eq_u32_e32 vcc_lo, 18, v0
	s_cbranch_vccnz .LBB51_392
; %bb.391:
	v_lshlrev_b32_e32 v0, 4, v0
	v_mov_b32_e32 v1, s46
	v_add_nc_u32_e32 v0, 16, v0
	s_clause 0x7
	buffer_load_dword v2, v0, s[0:3], 0 offen
	buffer_load_dword v3, v0, s[0:3], 0 offen offset:4
	buffer_load_dword v4, v0, s[0:3], 0 offen offset:8
	;; [unrolled: 1-line block ×6, first 2 shown]
	buffer_load_dword v9, v1, s[0:3], 0 offen
	s_waitcnt vmcnt(7)
	buffer_store_dword v2, v1, s[0:3], 0 offen
	s_waitcnt vmcnt(6)
	buffer_store_dword v3, v1, s[0:3], 0 offen offset:4
	s_waitcnt vmcnt(5)
	buffer_store_dword v4, v1, s[0:3], 0 offen offset:8
	;; [unrolled: 2-line block ×6, first 2 shown]
	s_waitcnt vmcnt(0)
	buffer_store_dword v9, v0, s[0:3], 0 offen
.LBB51_392:
	v_mov_b32_e32 v0, 0
	global_load_dword v1, v0, s[20:21] offset:68
	s_waitcnt vmcnt(0)
	v_add_nc_u32_e32 v1, -1, v1
	v_cmp_eq_u32_e32 vcc_lo, 17, v1
	s_cbranch_vccnz .LBB51_394
; %bb.393:
	v_lshlrev_b32_e32 v1, 4, v1
	v_mov_b32_e32 v2, s47
	v_add_nc_u32_e32 v1, 16, v1
	s_clause 0x7
	buffer_load_dword v3, v1, s[0:3], 0 offen
	buffer_load_dword v4, v1, s[0:3], 0 offen offset:4
	buffer_load_dword v5, v1, s[0:3], 0 offen offset:8
	;; [unrolled: 1-line block ×6, first 2 shown]
	buffer_load_dword v10, v2, s[0:3], 0 offen
	s_waitcnt vmcnt(7)
	buffer_store_dword v3, v2, s[0:3], 0 offen
	s_waitcnt vmcnt(6)
	buffer_store_dword v4, v2, s[0:3], 0 offen offset:4
	s_waitcnt vmcnt(5)
	buffer_store_dword v5, v2, s[0:3], 0 offen offset:8
	s_waitcnt vmcnt(4)
	buffer_store_dword v6, v2, s[0:3], 0 offen offset:12
	s_waitcnt vmcnt(3)
	buffer_store_dword v7, v1, s[0:3], 0 offen offset:12
	s_waitcnt vmcnt(2)
	buffer_store_dword v8, v1, s[0:3], 0 offen offset:8
	s_waitcnt vmcnt(1)
	buffer_store_dword v9, v1, s[0:3], 0 offen offset:4
	s_waitcnt vmcnt(0)
	buffer_store_dword v10, v1, s[0:3], 0 offen
.LBB51_394:
	global_load_dword v0, v0, s[20:21] offset:64
	s_waitcnt vmcnt(0)
	v_add_nc_u32_e32 v0, -1, v0
	v_cmp_eq_u32_e32 vcc_lo, 16, v0
	s_cbranch_vccnz .LBB51_396
; %bb.395:
	v_lshlrev_b32_e32 v0, 4, v0
	v_mov_b32_e32 v1, s48
	v_add_nc_u32_e32 v0, 16, v0
	s_clause 0x7
	buffer_load_dword v2, v0, s[0:3], 0 offen
	buffer_load_dword v3, v0, s[0:3], 0 offen offset:4
	buffer_load_dword v4, v0, s[0:3], 0 offen offset:8
	;; [unrolled: 1-line block ×6, first 2 shown]
	buffer_load_dword v9, v1, s[0:3], 0 offen
	s_waitcnt vmcnt(7)
	buffer_store_dword v2, v1, s[0:3], 0 offen
	s_waitcnt vmcnt(6)
	buffer_store_dword v3, v1, s[0:3], 0 offen offset:4
	s_waitcnt vmcnt(5)
	buffer_store_dword v4, v1, s[0:3], 0 offen offset:8
	s_waitcnt vmcnt(4)
	buffer_store_dword v5, v1, s[0:3], 0 offen offset:12
	s_waitcnt vmcnt(3)
	buffer_store_dword v6, v0, s[0:3], 0 offen offset:12
	s_waitcnt vmcnt(2)
	buffer_store_dword v7, v0, s[0:3], 0 offen offset:8
	s_waitcnt vmcnt(1)
	buffer_store_dword v8, v0, s[0:3], 0 offen offset:4
	s_waitcnt vmcnt(0)
	buffer_store_dword v9, v0, s[0:3], 0 offen
.LBB51_396:
	v_mov_b32_e32 v0, 0
	global_load_dword v1, v0, s[20:21] offset:60
	s_waitcnt vmcnt(0)
	v_add_nc_u32_e32 v1, -1, v1
	v_cmp_eq_u32_e32 vcc_lo, 15, v1
	s_cbranch_vccnz .LBB51_398
; %bb.397:
	v_lshlrev_b32_e32 v1, 4, v1
	v_mov_b32_e32 v2, s49
	v_add_nc_u32_e32 v1, 16, v1
	s_clause 0x7
	buffer_load_dword v3, v1, s[0:3], 0 offen
	buffer_load_dword v4, v1, s[0:3], 0 offen offset:4
	buffer_load_dword v5, v1, s[0:3], 0 offen offset:8
	;; [unrolled: 1-line block ×6, first 2 shown]
	buffer_load_dword v10, v2, s[0:3], 0 offen
	s_waitcnt vmcnt(7)
	buffer_store_dword v3, v2, s[0:3], 0 offen
	s_waitcnt vmcnt(6)
	buffer_store_dword v4, v2, s[0:3], 0 offen offset:4
	s_waitcnt vmcnt(5)
	buffer_store_dword v5, v2, s[0:3], 0 offen offset:8
	;; [unrolled: 2-line block ×6, first 2 shown]
	s_waitcnt vmcnt(0)
	buffer_store_dword v10, v1, s[0:3], 0 offen
.LBB51_398:
	global_load_dword v0, v0, s[20:21] offset:56
	s_waitcnt vmcnt(0)
	v_add_nc_u32_e32 v0, -1, v0
	v_cmp_eq_u32_e32 vcc_lo, 14, v0
	s_cbranch_vccnz .LBB51_400
; %bb.399:
	v_lshlrev_b32_e32 v0, 4, v0
	v_mov_b32_e32 v1, s50
	v_add_nc_u32_e32 v0, 16, v0
	s_clause 0x7
	buffer_load_dword v2, v0, s[0:3], 0 offen
	buffer_load_dword v3, v0, s[0:3], 0 offen offset:4
	buffer_load_dword v4, v0, s[0:3], 0 offen offset:8
	;; [unrolled: 1-line block ×6, first 2 shown]
	buffer_load_dword v9, v1, s[0:3], 0 offen
	s_waitcnt vmcnt(7)
	buffer_store_dword v2, v1, s[0:3], 0 offen
	s_waitcnt vmcnt(6)
	buffer_store_dword v3, v1, s[0:3], 0 offen offset:4
	s_waitcnt vmcnt(5)
	buffer_store_dword v4, v1, s[0:3], 0 offen offset:8
	;; [unrolled: 2-line block ×6, first 2 shown]
	s_waitcnt vmcnt(0)
	buffer_store_dword v9, v0, s[0:3], 0 offen
.LBB51_400:
	v_mov_b32_e32 v0, 0
	global_load_dword v1, v0, s[20:21] offset:52
	s_waitcnt vmcnt(0)
	v_add_nc_u32_e32 v1, -1, v1
	v_cmp_eq_u32_e32 vcc_lo, 13, v1
	s_cbranch_vccnz .LBB51_402
; %bb.401:
	v_lshlrev_b32_e32 v1, 4, v1
	v_mov_b32_e32 v2, s51
	v_add_nc_u32_e32 v1, 16, v1
	s_clause 0x7
	buffer_load_dword v3, v1, s[0:3], 0 offen
	buffer_load_dword v4, v1, s[0:3], 0 offen offset:4
	buffer_load_dword v5, v1, s[0:3], 0 offen offset:8
	;; [unrolled: 1-line block ×6, first 2 shown]
	buffer_load_dword v10, v2, s[0:3], 0 offen
	s_waitcnt vmcnt(7)
	buffer_store_dword v3, v2, s[0:3], 0 offen
	s_waitcnt vmcnt(6)
	buffer_store_dword v4, v2, s[0:3], 0 offen offset:4
	s_waitcnt vmcnt(5)
	buffer_store_dword v5, v2, s[0:3], 0 offen offset:8
	;; [unrolled: 2-line block ×6, first 2 shown]
	s_waitcnt vmcnt(0)
	buffer_store_dword v10, v1, s[0:3], 0 offen
.LBB51_402:
	global_load_dword v0, v0, s[20:21] offset:48
	s_waitcnt vmcnt(0)
	v_add_nc_u32_e32 v0, -1, v0
	v_cmp_eq_u32_e32 vcc_lo, 12, v0
	s_cbranch_vccnz .LBB51_404
; %bb.403:
	v_lshlrev_b32_e32 v0, 4, v0
	v_mov_b32_e32 v1, s52
	v_add_nc_u32_e32 v0, 16, v0
	s_clause 0x7
	buffer_load_dword v2, v0, s[0:3], 0 offen
	buffer_load_dword v3, v0, s[0:3], 0 offen offset:4
	buffer_load_dword v4, v0, s[0:3], 0 offen offset:8
	;; [unrolled: 1-line block ×6, first 2 shown]
	buffer_load_dword v9, v1, s[0:3], 0 offen
	s_waitcnt vmcnt(7)
	buffer_store_dword v2, v1, s[0:3], 0 offen
	s_waitcnt vmcnt(6)
	buffer_store_dword v3, v1, s[0:3], 0 offen offset:4
	s_waitcnt vmcnt(5)
	buffer_store_dword v4, v1, s[0:3], 0 offen offset:8
	;; [unrolled: 2-line block ×6, first 2 shown]
	s_waitcnt vmcnt(0)
	buffer_store_dword v9, v0, s[0:3], 0 offen
.LBB51_404:
	v_mov_b32_e32 v0, 0
	global_load_dword v1, v0, s[20:21] offset:44
	s_waitcnt vmcnt(0)
	v_add_nc_u32_e32 v1, -1, v1
	v_cmp_eq_u32_e32 vcc_lo, 11, v1
	s_cbranch_vccnz .LBB51_406
; %bb.405:
	v_lshlrev_b32_e32 v1, 4, v1
	v_mov_b32_e32 v2, s53
	v_add_nc_u32_e32 v1, 16, v1
	s_clause 0x7
	buffer_load_dword v3, v1, s[0:3], 0 offen
	buffer_load_dword v4, v1, s[0:3], 0 offen offset:4
	buffer_load_dword v5, v1, s[0:3], 0 offen offset:8
	;; [unrolled: 1-line block ×6, first 2 shown]
	buffer_load_dword v10, v2, s[0:3], 0 offen
	s_waitcnt vmcnt(7)
	buffer_store_dword v3, v2, s[0:3], 0 offen
	s_waitcnt vmcnt(6)
	buffer_store_dword v4, v2, s[0:3], 0 offen offset:4
	s_waitcnt vmcnt(5)
	buffer_store_dword v5, v2, s[0:3], 0 offen offset:8
	;; [unrolled: 2-line block ×6, first 2 shown]
	s_waitcnt vmcnt(0)
	buffer_store_dword v10, v1, s[0:3], 0 offen
.LBB51_406:
	global_load_dword v0, v0, s[20:21] offset:40
	s_waitcnt vmcnt(0)
	v_add_nc_u32_e32 v0, -1, v0
	v_cmp_eq_u32_e32 vcc_lo, 10, v0
	s_cbranch_vccnz .LBB51_408
; %bb.407:
	v_lshlrev_b32_e32 v0, 4, v0
	v_mov_b32_e32 v1, s54
	v_add_nc_u32_e32 v0, 16, v0
	s_clause 0x7
	buffer_load_dword v2, v0, s[0:3], 0 offen
	buffer_load_dword v3, v0, s[0:3], 0 offen offset:4
	buffer_load_dword v4, v0, s[0:3], 0 offen offset:8
	;; [unrolled: 1-line block ×6, first 2 shown]
	buffer_load_dword v9, v1, s[0:3], 0 offen
	s_waitcnt vmcnt(7)
	buffer_store_dword v2, v1, s[0:3], 0 offen
	s_waitcnt vmcnt(6)
	buffer_store_dword v3, v1, s[0:3], 0 offen offset:4
	s_waitcnt vmcnt(5)
	buffer_store_dword v4, v1, s[0:3], 0 offen offset:8
	;; [unrolled: 2-line block ×6, first 2 shown]
	s_waitcnt vmcnt(0)
	buffer_store_dword v9, v0, s[0:3], 0 offen
.LBB51_408:
	v_mov_b32_e32 v0, 0
	global_load_dword v1, v0, s[20:21] offset:36
	s_waitcnt vmcnt(0)
	v_add_nc_u32_e32 v1, -1, v1
	v_cmp_eq_u32_e32 vcc_lo, 9, v1
	s_cbranch_vccnz .LBB51_410
; %bb.409:
	v_lshlrev_b32_e32 v1, 4, v1
	v_mov_b32_e32 v2, s55
	v_add_nc_u32_e32 v1, 16, v1
	s_clause 0x7
	buffer_load_dword v3, v1, s[0:3], 0 offen
	buffer_load_dword v4, v1, s[0:3], 0 offen offset:4
	buffer_load_dword v5, v1, s[0:3], 0 offen offset:8
	;; [unrolled: 1-line block ×6, first 2 shown]
	buffer_load_dword v10, v2, s[0:3], 0 offen
	s_waitcnt vmcnt(7)
	buffer_store_dword v3, v2, s[0:3], 0 offen
	s_waitcnt vmcnt(6)
	buffer_store_dword v4, v2, s[0:3], 0 offen offset:4
	s_waitcnt vmcnt(5)
	buffer_store_dword v5, v2, s[0:3], 0 offen offset:8
	;; [unrolled: 2-line block ×6, first 2 shown]
	s_waitcnt vmcnt(0)
	buffer_store_dword v10, v1, s[0:3], 0 offen
.LBB51_410:
	global_load_dword v0, v0, s[20:21] offset:32
	s_waitcnt vmcnt(0)
	v_add_nc_u32_e32 v0, -1, v0
	v_cmp_eq_u32_e32 vcc_lo, 8, v0
	s_cbranch_vccnz .LBB51_412
; %bb.411:
	v_lshlrev_b32_e32 v0, 4, v0
	v_mov_b32_e32 v1, s56
	v_add_nc_u32_e32 v0, 16, v0
	s_clause 0x7
	buffer_load_dword v2, v0, s[0:3], 0 offen
	buffer_load_dword v3, v0, s[0:3], 0 offen offset:4
	buffer_load_dword v4, v0, s[0:3], 0 offen offset:8
	;; [unrolled: 1-line block ×6, first 2 shown]
	buffer_load_dword v9, v1, s[0:3], 0 offen
	s_waitcnt vmcnt(7)
	buffer_store_dword v2, v1, s[0:3], 0 offen
	s_waitcnt vmcnt(6)
	buffer_store_dword v3, v1, s[0:3], 0 offen offset:4
	s_waitcnt vmcnt(5)
	buffer_store_dword v4, v1, s[0:3], 0 offen offset:8
	;; [unrolled: 2-line block ×6, first 2 shown]
	s_waitcnt vmcnt(0)
	buffer_store_dword v9, v0, s[0:3], 0 offen
.LBB51_412:
	v_mov_b32_e32 v0, 0
	global_load_dword v1, v0, s[20:21] offset:28
	s_waitcnt vmcnt(0)
	v_add_nc_u32_e32 v1, -1, v1
	v_cmp_eq_u32_e32 vcc_lo, 7, v1
	s_cbranch_vccnz .LBB51_414
; %bb.413:
	v_lshlrev_b32_e32 v1, 4, v1
	v_mov_b32_e32 v2, s57
	v_add_nc_u32_e32 v1, 16, v1
	s_clause 0x7
	buffer_load_dword v3, v1, s[0:3], 0 offen
	buffer_load_dword v4, v1, s[0:3], 0 offen offset:4
	buffer_load_dword v5, v1, s[0:3], 0 offen offset:8
	;; [unrolled: 1-line block ×6, first 2 shown]
	buffer_load_dword v10, v2, s[0:3], 0 offen
	s_waitcnt vmcnt(7)
	buffer_store_dword v3, v2, s[0:3], 0 offen
	s_waitcnt vmcnt(6)
	buffer_store_dword v4, v2, s[0:3], 0 offen offset:4
	s_waitcnt vmcnt(5)
	buffer_store_dword v5, v2, s[0:3], 0 offen offset:8
	;; [unrolled: 2-line block ×6, first 2 shown]
	s_waitcnt vmcnt(0)
	buffer_store_dword v10, v1, s[0:3], 0 offen
.LBB51_414:
	global_load_dword v0, v0, s[20:21] offset:24
	s_waitcnt vmcnt(0)
	v_add_nc_u32_e32 v0, -1, v0
	v_cmp_eq_u32_e32 vcc_lo, 6, v0
	s_cbranch_vccnz .LBB51_416
; %bb.415:
	v_lshlrev_b32_e32 v0, 4, v0
	v_mov_b32_e32 v1, s58
	v_add_nc_u32_e32 v0, 16, v0
	s_clause 0x7
	buffer_load_dword v2, v0, s[0:3], 0 offen
	buffer_load_dword v3, v0, s[0:3], 0 offen offset:4
	buffer_load_dword v4, v0, s[0:3], 0 offen offset:8
	;; [unrolled: 1-line block ×6, first 2 shown]
	buffer_load_dword v9, v1, s[0:3], 0 offen
	s_waitcnt vmcnt(7)
	buffer_store_dword v2, v1, s[0:3], 0 offen
	s_waitcnt vmcnt(6)
	buffer_store_dword v3, v1, s[0:3], 0 offen offset:4
	s_waitcnt vmcnt(5)
	buffer_store_dword v4, v1, s[0:3], 0 offen offset:8
	s_waitcnt vmcnt(4)
	buffer_store_dword v5, v1, s[0:3], 0 offen offset:12
	s_waitcnt vmcnt(3)
	buffer_store_dword v6, v0, s[0:3], 0 offen offset:12
	s_waitcnt vmcnt(2)
	buffer_store_dword v7, v0, s[0:3], 0 offen offset:8
	s_waitcnt vmcnt(1)
	buffer_store_dword v8, v0, s[0:3], 0 offen offset:4
	s_waitcnt vmcnt(0)
	buffer_store_dword v9, v0, s[0:3], 0 offen
.LBB51_416:
	v_mov_b32_e32 v0, 0
	global_load_dword v1, v0, s[20:21] offset:20
	s_waitcnt vmcnt(0)
	v_add_nc_u32_e32 v1, -1, v1
	v_cmp_eq_u32_e32 vcc_lo, 5, v1
	s_cbranch_vccnz .LBB51_418
; %bb.417:
	v_lshlrev_b32_e32 v1, 4, v1
	v_mov_b32_e32 v2, s59
	v_add_nc_u32_e32 v1, 16, v1
	s_clause 0x7
	buffer_load_dword v3, v1, s[0:3], 0 offen
	buffer_load_dword v4, v1, s[0:3], 0 offen offset:4
	buffer_load_dword v5, v1, s[0:3], 0 offen offset:8
	;; [unrolled: 1-line block ×6, first 2 shown]
	buffer_load_dword v10, v2, s[0:3], 0 offen
	s_waitcnt vmcnt(7)
	buffer_store_dword v3, v2, s[0:3], 0 offen
	s_waitcnt vmcnt(6)
	buffer_store_dword v4, v2, s[0:3], 0 offen offset:4
	s_waitcnt vmcnt(5)
	buffer_store_dword v5, v2, s[0:3], 0 offen offset:8
	;; [unrolled: 2-line block ×6, first 2 shown]
	s_waitcnt vmcnt(0)
	buffer_store_dword v10, v1, s[0:3], 0 offen
.LBB51_418:
	global_load_dword v0, v0, s[20:21] offset:16
	s_waitcnt vmcnt(0)
	v_add_nc_u32_e32 v0, -1, v0
	v_cmp_eq_u32_e32 vcc_lo, 4, v0
	s_cbranch_vccnz .LBB51_420
; %bb.419:
	v_lshlrev_b32_e32 v0, 4, v0
	v_mov_b32_e32 v1, s60
	v_add_nc_u32_e32 v0, 16, v0
	s_clause 0x7
	buffer_load_dword v2, v0, s[0:3], 0 offen
	buffer_load_dword v3, v0, s[0:3], 0 offen offset:4
	buffer_load_dword v4, v0, s[0:3], 0 offen offset:8
	;; [unrolled: 1-line block ×6, first 2 shown]
	buffer_load_dword v9, v1, s[0:3], 0 offen
	s_waitcnt vmcnt(7)
	buffer_store_dword v2, v1, s[0:3], 0 offen
	s_waitcnt vmcnt(6)
	buffer_store_dword v3, v1, s[0:3], 0 offen offset:4
	s_waitcnt vmcnt(5)
	buffer_store_dword v4, v1, s[0:3], 0 offen offset:8
	;; [unrolled: 2-line block ×6, first 2 shown]
	s_waitcnt vmcnt(0)
	buffer_store_dword v9, v0, s[0:3], 0 offen
.LBB51_420:
	v_mov_b32_e32 v0, 0
	global_load_dword v1, v0, s[20:21] offset:12
	s_waitcnt vmcnt(0)
	v_add_nc_u32_e32 v1, -1, v1
	v_cmp_eq_u32_e32 vcc_lo, 3, v1
	s_cbranch_vccnz .LBB51_422
; %bb.421:
	v_lshlrev_b32_e32 v1, 4, v1
	v_mov_b32_e32 v2, s61
	v_add_nc_u32_e32 v1, 16, v1
	s_clause 0x7
	buffer_load_dword v3, v1, s[0:3], 0 offen
	buffer_load_dword v4, v1, s[0:3], 0 offen offset:4
	buffer_load_dword v5, v1, s[0:3], 0 offen offset:8
	;; [unrolled: 1-line block ×6, first 2 shown]
	buffer_load_dword v10, v2, s[0:3], 0 offen
	s_waitcnt vmcnt(7)
	buffer_store_dword v3, v2, s[0:3], 0 offen
	s_waitcnt vmcnt(6)
	buffer_store_dword v4, v2, s[0:3], 0 offen offset:4
	s_waitcnt vmcnt(5)
	buffer_store_dword v5, v2, s[0:3], 0 offen offset:8
	;; [unrolled: 2-line block ×6, first 2 shown]
	s_waitcnt vmcnt(0)
	buffer_store_dword v10, v1, s[0:3], 0 offen
.LBB51_422:
	global_load_dword v0, v0, s[20:21] offset:8
	s_waitcnt vmcnt(0)
	v_add_nc_u32_e32 v0, -1, v0
	v_cmp_eq_u32_e32 vcc_lo, 2, v0
	s_cbranch_vccnz .LBB51_424
; %bb.423:
	v_lshlrev_b32_e32 v0, 4, v0
	v_mov_b32_e32 v1, s62
	v_add_nc_u32_e32 v0, 16, v0
	s_clause 0x7
	buffer_load_dword v2, v0, s[0:3], 0 offen
	buffer_load_dword v3, v0, s[0:3], 0 offen offset:4
	buffer_load_dword v4, v0, s[0:3], 0 offen offset:8
	;; [unrolled: 1-line block ×6, first 2 shown]
	buffer_load_dword v9, v1, s[0:3], 0 offen
	s_waitcnt vmcnt(7)
	buffer_store_dword v2, v1, s[0:3], 0 offen
	s_waitcnt vmcnt(6)
	buffer_store_dword v3, v1, s[0:3], 0 offen offset:4
	s_waitcnt vmcnt(5)
	buffer_store_dword v4, v1, s[0:3], 0 offen offset:8
	s_waitcnt vmcnt(4)
	buffer_store_dword v5, v1, s[0:3], 0 offen offset:12
	s_waitcnt vmcnt(3)
	buffer_store_dword v6, v0, s[0:3], 0 offen offset:12
	s_waitcnt vmcnt(2)
	buffer_store_dword v7, v0, s[0:3], 0 offen offset:8
	s_waitcnt vmcnt(1)
	buffer_store_dword v8, v0, s[0:3], 0 offen offset:4
	s_waitcnt vmcnt(0)
	buffer_store_dword v9, v0, s[0:3], 0 offen
.LBB51_424:
	v_mov_b32_e32 v0, 0
	global_load_dword v1, v0, s[20:21] offset:4
	s_waitcnt vmcnt(0)
	v_add_nc_u32_e32 v1, -1, v1
	v_cmp_eq_u32_e32 vcc_lo, 1, v1
	s_cbranch_vccnz .LBB51_426
; %bb.425:
	v_lshlrev_b32_e32 v1, 4, v1
	v_mov_b32_e32 v2, s63
	v_add_nc_u32_e32 v1, 16, v1
	s_clause 0x7
	buffer_load_dword v3, v1, s[0:3], 0 offen
	buffer_load_dword v4, v1, s[0:3], 0 offen offset:4
	buffer_load_dword v5, v1, s[0:3], 0 offen offset:8
	;; [unrolled: 1-line block ×6, first 2 shown]
	buffer_load_dword v10, v2, s[0:3], 0 offen
	s_waitcnt vmcnt(7)
	buffer_store_dword v3, v2, s[0:3], 0 offen
	s_waitcnt vmcnt(6)
	buffer_store_dword v4, v2, s[0:3], 0 offen offset:4
	s_waitcnt vmcnt(5)
	buffer_store_dword v5, v2, s[0:3], 0 offen offset:8
	;; [unrolled: 2-line block ×6, first 2 shown]
	s_waitcnt vmcnt(0)
	buffer_store_dword v10, v1, s[0:3], 0 offen
.LBB51_426:
	global_load_dword v0, v0, s[20:21]
	s_waitcnt vmcnt(0)
	v_add_nc_u32_e32 v0, -1, v0
	v_cmp_eq_u32_e32 vcc_lo, 0, v0
	s_cbranch_vccnz .LBB51_428
; %bb.427:
	v_lshlrev_b32_e32 v0, 4, v0
	v_add_nc_u32_e32 v0, 16, v0
	s_clause 0x7
	buffer_load_dword v1, v0, s[0:3], 0 offen
	buffer_load_dword v2, v0, s[0:3], 0 offen offset:4
	buffer_load_dword v3, v0, s[0:3], 0 offen offset:8
	;; [unrolled: 1-line block ×3, first 2 shown]
	buffer_load_dword v5, off, s[0:3], 0 offset:28
	buffer_load_dword v6, off, s[0:3], 0 offset:24
	buffer_load_dword v7, off, s[0:3], 0 offset:20
	buffer_load_dword v8, off, s[0:3], 0 offset:16
	s_waitcnt vmcnt(7)
	buffer_store_dword v1, off, s[0:3], 0 offset:16
	s_waitcnt vmcnt(6)
	buffer_store_dword v2, off, s[0:3], 0 offset:20
	;; [unrolled: 2-line block ×4, first 2 shown]
	s_waitcnt vmcnt(3)
	buffer_store_dword v5, v0, s[0:3], 0 offen offset:12
	s_waitcnt vmcnt(2)
	buffer_store_dword v6, v0, s[0:3], 0 offen offset:8
	;; [unrolled: 2-line block ×3, first 2 shown]
	s_waitcnt vmcnt(0)
	buffer_store_dword v8, v0, s[0:3], 0 offen
.LBB51_428:
	v_mov_b32_e32 v0, s63
	s_clause 0x3
	buffer_load_dword v4, off, s[0:3], 0 offset:16
	buffer_load_dword v5, off, s[0:3], 0 offset:20
	;; [unrolled: 1-line block ×4, first 2 shown]
	v_mov_b32_e32 v3, s55
	v_mov_b32_e32 v58, s54
	;; [unrolled: 1-line block ×3, first 2 shown]
	s_clause 0x3
	buffer_load_dword v8, v0, s[0:3], 0 offen
	buffer_load_dword v9, v0, s[0:3], 0 offen offset:4
	buffer_load_dword v10, v0, s[0:3], 0 offen offset:8
	;; [unrolled: 1-line block ×3, first 2 shown]
	v_mov_b32_e32 v0, s62
	v_mov_b32_e32 v235, s29
	;; [unrolled: 1-line block ×4, first 2 shown]
	s_clause 0x3
	buffer_load_dword v12, v0, s[0:3], 0 offen
	buffer_load_dword v13, v0, s[0:3], 0 offen offset:4
	buffer_load_dword v14, v0, s[0:3], 0 offen offset:8
	;; [unrolled: 1-line block ×3, first 2 shown]
	v_mov_b32_e32 v0, s61
	v_mov_b32_e32 v78, s51
	;; [unrolled: 1-line block ×3, first 2 shown]
	s_clause 0x3
	buffer_load_dword v16, v0, s[0:3], 0 offen
	buffer_load_dword v17, v0, s[0:3], 0 offen offset:4
	buffer_load_dword v18, v0, s[0:3], 0 offen offset:8
	;; [unrolled: 1-line block ×3, first 2 shown]
	v_mov_b32_e32 v0, s60
	v_mov_b32_e32 v86, s49
	s_clause 0x3
	buffer_load_dword v20, v0, s[0:3], 0 offen
	buffer_load_dword v21, v0, s[0:3], 0 offen offset:4
	buffer_load_dword v22, v0, s[0:3], 0 offen offset:8
	buffer_load_dword v23, v0, s[0:3], 0 offen offset:12
	v_mov_b32_e32 v0, s59
	s_clause 0x3
	buffer_load_dword v24, v0, s[0:3], 0 offen
	buffer_load_dword v25, v0, s[0:3], 0 offen offset:4
	buffer_load_dword v26, v0, s[0:3], 0 offen offset:8
	buffer_load_dword v27, v0, s[0:3], 0 offen offset:12
	;; [unrolled: 6-line block ×5, first 2 shown]
	v_mov_b32_e32 v90, s48
	v_mov_b32_e32 v94, s47
	;; [unrolled: 1-line block ×15, first 2 shown]
	s_clause 0x3
	buffer_load_dword v0, v3, s[0:3], 0 offen
	buffer_load_dword v1, v3, s[0:3], 0 offen offset:4
	buffer_load_dword v2, v3, s[0:3], 0 offen offset:8
	;; [unrolled: 1-line block ×3, first 2 shown]
	v_mov_b32_e32 v60, s52
	v_mov_b32_e32 v123, s39
	;; [unrolled: 1-line block ×5, first 2 shown]
	s_clause 0x3e
	buffer_load_dword v63, v58, s[0:3], 0 offen
	buffer_load_dword v64, v58, s[0:3], 0 offen offset:4
	buffer_load_dword v65, v58, s[0:3], 0 offen offset:8
	buffer_load_dword v66, v58, s[0:3], 0 offen offset:12
	buffer_load_dword v67, v59, s[0:3], 0 offen
	buffer_load_dword v68, v59, s[0:3], 0 offen offset:4
	buffer_load_dword v69, v59, s[0:3], 0 offen offset:8
	buffer_load_dword v70, v59, s[0:3], 0 offen offset:12
	;; [unrolled: 4-line block ×15, first 2 shown]
	buffer_load_dword v127, v123, s[0:3], 0 offen
	buffer_load_dword v128, v123, s[0:3], 0 offen offset:4
	buffer_load_dword v129, v123, s[0:3], 0 offen offset:8
	s_clause 0x18
	buffer_load_dword v130, v123, s[0:3], 0 offen offset:12
	buffer_load_dword v209, v124, s[0:3], 0 offen
	buffer_load_dword v210, v124, s[0:3], 0 offen offset:4
	buffer_load_dword v211, v124, s[0:3], 0 offen offset:8
	buffer_load_dword v212, v124, s[0:3], 0 offen offset:12
	buffer_load_dword v213, v216, s[0:3], 0 offen
	buffer_load_dword v214, v216, s[0:3], 0 offen offset:4
	buffer_load_dword v215, v216, s[0:3], 0 offen offset:8
	;; [unrolled: 4-line block ×6, first 2 shown]
	buffer_load_dword v232, v232, s[0:3], 0 offen offset:12
	v_mov_b32_e32 v236, s28
	v_mov_b32_e32 v247, s19
	;; [unrolled: 1-line block ×14, first 2 shown]
	s_waitcnt vmcnt(62)
	global_store_dwordx4 v[125:126], v[4:7], off
	s_clause 0x7
	buffer_load_dword v4, v233, s[0:3], 0 offen
	buffer_load_dword v5, v233, s[0:3], 0 offen offset:4
	buffer_load_dword v6, v233, s[0:3], 0 offen offset:8
	buffer_load_dword v7, v233, s[0:3], 0 offen offset:12
	buffer_load_dword v123, v234, s[0:3], 0 offen
	buffer_load_dword v124, v234, s[0:3], 0 offen offset:4
	buffer_load_dword v125, v234, s[0:3], 0 offen offset:8
	buffer_load_dword v126, v234, s[0:3], 0 offen offset:12
	global_store_dwordx4 v[238:239], v[8:11], off
	s_clause 0x7
	buffer_load_dword v8, v235, s[0:3], 0 offen
	buffer_load_dword v9, v235, s[0:3], 0 offen offset:4
	buffer_load_dword v10, v235, s[0:3], 0 offen offset:8
	buffer_load_dword v11, v235, s[0:3], 0 offen offset:12
	buffer_load_dword v233, v236, s[0:3], 0 offen
	buffer_load_dword v234, v236, s[0:3], 0 offen offset:4
	buffer_load_dword v235, v236, s[0:3], 0 offen offset:8
	buffer_load_dword v236, v236, s[0:3], 0 offen offset:12
	;; [unrolled: 10-line block ×9, first 2 shown]
	buffer_load_dword v59, off, s[0:3], 0 offset:848
	buffer_load_dword v60, off, s[0:3], 0 offset:852
	s_waitcnt vmcnt(0)
	global_store_dwordx4 v[59:60], v[0:3], off
	s_clause 0x7
	buffer_load_dword v0, v143, s[0:3], 0 offen
	buffer_load_dword v1, v143, s[0:3], 0 offen offset:4
	buffer_load_dword v2, v143, s[0:3], 0 offen offset:8
	;; [unrolled: 1-line block ×3, first 2 shown]
	buffer_load_dword v143, v58, s[0:3], 0 offen
	buffer_load_dword v144, v58, s[0:3], 0 offen offset:4
	buffer_load_dword v145, v58, s[0:3], 0 offen offset:8
	;; [unrolled: 1-line block ×3, first 2 shown]
	global_store_dwordx4 v[254:255], v[63:66], off
	global_store_dwordx4 v[147:148], v[67:70], off
	global_store_dwordx4 v[149:150], v[71:74], off
	global_store_dwordx4 v[151:152], v[75:78], off
	global_store_dwordx4 v[153:154], v[79:82], off
	global_store_dwordx4 v[155:156], v[83:86], off
	global_store_dwordx4 v[157:158], v[87:90], off
	global_store_dwordx4 v[159:160], v[91:94], off
	global_store_dwordx4 v[161:162], v[95:98], off
	global_store_dwordx4 v[163:164], v[99:102], off
	global_store_dwordx4 v[165:166], v[103:106], off
	global_store_dwordx4 v[167:168], v[107:110], off
	global_store_dwordx4 v[169:170], v[111:114], off
	global_store_dwordx4 v[171:172], v[115:118], off
	global_store_dwordx4 v[173:174], v[119:122], off
	global_store_dwordx4 v[175:176], v[127:130], off
	global_store_dwordx4 v[177:178], v[209:212], off
	global_store_dwordx4 v[179:180], v[213:216], off
	global_store_dwordx4 v[181:182], v[217:220], off
	global_store_dwordx4 v[183:184], v[221:224], off
	global_store_dwordx4 v[185:186], v[225:228], off
	global_store_dwordx4 v[187:188], v[229:232], off
	global_store_dwordx4 v[189:190], v[4:7], off
	global_store_dwordx4 v[191:192], v[123:126], off
	global_store_dwordx4 v[193:194], v[8:11], off
	global_store_dwordx4 v[195:196], v[233:236], off
	global_store_dwordx4 v[197:198], v[12:15], off
	global_store_dwordx4 v[199:200], v[237:240], off
	global_store_dwordx4 v[201:202], v[16:19], off
	global_store_dwordx4 v[203:204], v[241:244], off
	global_store_dwordx4 v[205:206], v[20:23], off
	global_store_dwordx4 v[207:208], v[131:134], off
	global_store_dwordx4 v[61:62], v[24:27], off
	global_store_dwordx4 v[40:41], v[245:248], off
	global_store_dwordx4 v[42:43], v[28:31], off
	global_store_dwordx4 v[44:45], v[135:138], off
	global_store_dwordx4 v[46:47], v[32:35], off
	global_store_dwordx4 v[48:49], v[249:252], off
	global_store_dwordx4 v[50:51], v[36:39], off
	global_store_dwordx4 v[52:53], v[139:142], off
	s_waitcnt vmcnt(4)
	global_store_dwordx4 v[56:57], v[0:3], off
	s_waitcnt vmcnt(0)
	global_store_dwordx4 v[54:55], v[143:146], off
	s_endpgm
	.section	.rodata,"a",@progbits
	.p2align	6, 0x0
	.amdhsa_kernel _ZN9rocsolver6v33100L18getri_kernel_smallILi52E19rocblas_complex_numIdEPS3_EEvT1_iilPiilS6_bb
		.amdhsa_group_segment_fixed_size 1672
		.amdhsa_private_segment_fixed_size 864
		.amdhsa_kernarg_size 60
		.amdhsa_user_sgpr_count 6
		.amdhsa_user_sgpr_private_segment_buffer 1
		.amdhsa_user_sgpr_dispatch_ptr 0
		.amdhsa_user_sgpr_queue_ptr 0
		.amdhsa_user_sgpr_kernarg_segment_ptr 1
		.amdhsa_user_sgpr_dispatch_id 0
		.amdhsa_user_sgpr_flat_scratch_init 0
		.amdhsa_user_sgpr_private_segment_size 0
		.amdhsa_wavefront_size32 1
		.amdhsa_uses_dynamic_stack 0
		.amdhsa_system_sgpr_private_segment_wavefront_offset 1
		.amdhsa_system_sgpr_workgroup_id_x 1
		.amdhsa_system_sgpr_workgroup_id_y 0
		.amdhsa_system_sgpr_workgroup_id_z 0
		.amdhsa_system_sgpr_workgroup_info 0
		.amdhsa_system_vgpr_workitem_id 0
		.amdhsa_next_free_vgpr 256
		.amdhsa_next_free_sgpr 68
		.amdhsa_reserve_vcc 1
		.amdhsa_reserve_flat_scratch 0
		.amdhsa_float_round_mode_32 0
		.amdhsa_float_round_mode_16_64 0
		.amdhsa_float_denorm_mode_32 3
		.amdhsa_float_denorm_mode_16_64 3
		.amdhsa_dx10_clamp 1
		.amdhsa_ieee_mode 1
		.amdhsa_fp16_overflow 0
		.amdhsa_workgroup_processor_mode 1
		.amdhsa_memory_ordered 1
		.amdhsa_forward_progress 1
		.amdhsa_shared_vgpr_count 0
		.amdhsa_exception_fp_ieee_invalid_op 0
		.amdhsa_exception_fp_denorm_src 0
		.amdhsa_exception_fp_ieee_div_zero 0
		.amdhsa_exception_fp_ieee_overflow 0
		.amdhsa_exception_fp_ieee_underflow 0
		.amdhsa_exception_fp_ieee_inexact 0
		.amdhsa_exception_int_div_zero 0
	.end_amdhsa_kernel
	.section	.text._ZN9rocsolver6v33100L18getri_kernel_smallILi52E19rocblas_complex_numIdEPS3_EEvT1_iilPiilS6_bb,"axG",@progbits,_ZN9rocsolver6v33100L18getri_kernel_smallILi52E19rocblas_complex_numIdEPS3_EEvT1_iilPiilS6_bb,comdat
.Lfunc_end51:
	.size	_ZN9rocsolver6v33100L18getri_kernel_smallILi52E19rocblas_complex_numIdEPS3_EEvT1_iilPiilS6_bb, .Lfunc_end51-_ZN9rocsolver6v33100L18getri_kernel_smallILi52E19rocblas_complex_numIdEPS3_EEvT1_iilPiilS6_bb
                                        ; -- End function
	.set _ZN9rocsolver6v33100L18getri_kernel_smallILi52E19rocblas_complex_numIdEPS3_EEvT1_iilPiilS6_bb.num_vgpr, 256
	.set _ZN9rocsolver6v33100L18getri_kernel_smallILi52E19rocblas_complex_numIdEPS3_EEvT1_iilPiilS6_bb.num_agpr, 0
	.set _ZN9rocsolver6v33100L18getri_kernel_smallILi52E19rocblas_complex_numIdEPS3_EEvT1_iilPiilS6_bb.numbered_sgpr, 68
	.set _ZN9rocsolver6v33100L18getri_kernel_smallILi52E19rocblas_complex_numIdEPS3_EEvT1_iilPiilS6_bb.num_named_barrier, 0
	.set _ZN9rocsolver6v33100L18getri_kernel_smallILi52E19rocblas_complex_numIdEPS3_EEvT1_iilPiilS6_bb.private_seg_size, 864
	.set _ZN9rocsolver6v33100L18getri_kernel_smallILi52E19rocblas_complex_numIdEPS3_EEvT1_iilPiilS6_bb.uses_vcc, 1
	.set _ZN9rocsolver6v33100L18getri_kernel_smallILi52E19rocblas_complex_numIdEPS3_EEvT1_iilPiilS6_bb.uses_flat_scratch, 0
	.set _ZN9rocsolver6v33100L18getri_kernel_smallILi52E19rocblas_complex_numIdEPS3_EEvT1_iilPiilS6_bb.has_dyn_sized_stack, 0
	.set _ZN9rocsolver6v33100L18getri_kernel_smallILi52E19rocblas_complex_numIdEPS3_EEvT1_iilPiilS6_bb.has_recursion, 0
	.set _ZN9rocsolver6v33100L18getri_kernel_smallILi52E19rocblas_complex_numIdEPS3_EEvT1_iilPiilS6_bb.has_indirect_call, 0
	.section	.AMDGPU.csdata,"",@progbits
; Kernel info:
; codeLenInByte = 178996
; TotalNumSgprs: 70
; NumVgprs: 256
; ScratchSize: 864
; MemoryBound: 0
; FloatMode: 240
; IeeeMode: 1
; LDSByteSize: 1672 bytes/workgroup (compile time only)
; SGPRBlocks: 0
; VGPRBlocks: 31
; NumSGPRsForWavesPerEU: 70
; NumVGPRsForWavesPerEU: 256
; Occupancy: 4
; WaveLimiterHint : 1
; COMPUTE_PGM_RSRC2:SCRATCH_EN: 1
; COMPUTE_PGM_RSRC2:USER_SGPR: 6
; COMPUTE_PGM_RSRC2:TRAP_HANDLER: 0
; COMPUTE_PGM_RSRC2:TGID_X_EN: 1
; COMPUTE_PGM_RSRC2:TGID_Y_EN: 0
; COMPUTE_PGM_RSRC2:TGID_Z_EN: 0
; COMPUTE_PGM_RSRC2:TIDIG_COMP_CNT: 0
	.section	.text._ZN9rocsolver6v33100L18getri_kernel_smallILi53E19rocblas_complex_numIdEPS3_EEvT1_iilPiilS6_bb,"axG",@progbits,_ZN9rocsolver6v33100L18getri_kernel_smallILi53E19rocblas_complex_numIdEPS3_EEvT1_iilPiilS6_bb,comdat
	.globl	_ZN9rocsolver6v33100L18getri_kernel_smallILi53E19rocblas_complex_numIdEPS3_EEvT1_iilPiilS6_bb ; -- Begin function _ZN9rocsolver6v33100L18getri_kernel_smallILi53E19rocblas_complex_numIdEPS3_EEvT1_iilPiilS6_bb
	.p2align	8
	.type	_ZN9rocsolver6v33100L18getri_kernel_smallILi53E19rocblas_complex_numIdEPS3_EEvT1_iilPiilS6_bb,@function
_ZN9rocsolver6v33100L18getri_kernel_smallILi53E19rocblas_complex_numIdEPS3_EEvT1_iilPiilS6_bb: ; @_ZN9rocsolver6v33100L18getri_kernel_smallILi53E19rocblas_complex_numIdEPS3_EEvT1_iilPiilS6_bb
; %bb.0:
	s_add_u32 s0, s0, s7
	s_addc_u32 s1, s1, 0
	s_mov_b32 s7, exec_lo
	v_cmpx_gt_u32_e32 53, v0
	s_cbranch_execz .LBB52_226
; %bb.1:
	s_clause 0x2
	s_load_dword s7, s[4:5], 0x38
	s_load_dwordx4 s[16:19], s[4:5], 0x10
	s_load_dwordx4 s[8:11], s[4:5], 0x28
                                        ; implicit-def: $sgpr20_sgpr21
	s_waitcnt lgkmcnt(0)
	s_bitcmp1_b32 s7, 8
	s_cselect_b32 s65, -1, 0
	s_bfe_u32 s12, s7, 0x10008
	s_ashr_i32 s7, s6, 31
	s_cmp_eq_u32 s12, 0
	s_cbranch_scc1 .LBB52_3
; %bb.2:
	s_load_dword s12, s[4:5], 0x20
	s_mul_i32 s13, s8, s7
	s_mul_hi_u32 s14, s8, s6
	s_mul_i32 s9, s9, s6
	s_add_i32 s13, s14, s13
	s_mul_i32 s8, s8, s6
	s_add_i32 s9, s13, s9
	s_lshl_b64 s[8:9], s[8:9], 2
	s_waitcnt lgkmcnt(0)
	s_ashr_i32 s13, s12, 31
	s_add_u32 s14, s18, s8
	s_addc_u32 s15, s19, s9
	s_lshl_b64 s[8:9], s[12:13], 2
	s_add_u32 s20, s14, s8
	s_addc_u32 s21, s15, s9
.LBB52_3:
	s_clause 0x1
	s_load_dwordx4 s[12:15], s[4:5], 0x0
	s_load_dword s66, s[4:5], 0x38
	s_mul_i32 s4, s16, s7
	s_mul_hi_u32 s5, s16, s6
	s_mul_i32 s8, s17, s6
	s_add_i32 s5, s5, s4
	s_mul_i32 s4, s16, s6
	s_add_i32 s5, s5, s8
	v_lshlrev_b32_e32 v217, 4, v0
	s_lshl_b64 s[4:5], s[4:5], 4
	s_mov_b32 s64, 32
	s_mov_b32 s63, 48
	;; [unrolled: 1-line block ×3, first 2 shown]
	s_movk_i32 s61, 0x50
	s_waitcnt lgkmcnt(0)
	v_add3_u32 v5, s15, s15, v0
	s_ashr_i32 s9, s14, 31
	s_mov_b32 s8, s14
	s_add_u32 s12, s12, s4
	s_addc_u32 s13, s13, s5
	s_lshl_b64 s[4:5], s[8:9], 4
	v_ashrrev_i32_e32 v6, 31, v5
	s_add_u32 s4, s12, s4
	s_addc_u32 s5, s13, s5
	v_add_co_u32 v133, s12, s4, v217
	s_mov_b32 s8, s15
	s_ashr_i32 s9, s15, 31
	v_add_nc_u32_e32 v7, s15, v5
	v_lshlrev_b64 v[5:6], 4, v[5:6]
	v_add_co_ci_u32_e64 v134, null, s5, 0, s12
	s_lshl_b64 s[8:9], s[8:9], 4
	global_load_dwordx4 v[1:4], v217, s[4:5]
	v_add_co_u32 v254, vcc_lo, v133, s8
	v_add_co_ci_u32_e64 v255, null, s9, v134, vcc_lo
	v_add_co_u32 v13, vcc_lo, s4, v5
	v_add_co_ci_u32_e64 v14, null, s5, v6, vcc_lo
	global_load_dwordx4 v[57:60], v[254:255], off
	buffer_store_dword v13, off, s[0:3], 0 offset:864 ; 4-byte Folded Spill
	buffer_store_dword v14, off, s[0:3], 0 offset:868 ; 4-byte Folded Spill
	v_add_nc_u32_e32 v9, s15, v7
	v_ashrrev_i32_e32 v8, 31, v7
	v_ashrrev_i32_e32 v10, 31, v9
	v_add_nc_u32_e32 v11, s15, v9
	v_lshlrev_b64 v[7:8], 4, v[7:8]
	v_lshlrev_b64 v[5:6], 4, v[9:10]
	v_ashrrev_i32_e32 v12, 31, v11
	v_add_nc_u32_e32 v9, s15, v11
	v_add_co_u32 v139, vcc_lo, s4, v7
	v_add_co_ci_u32_e64 v140, null, s5, v8, vcc_lo
	v_lshlrev_b64 v[7:8], 4, v[11:12]
	v_ashrrev_i32_e32 v10, 31, v9
	v_add_nc_u32_e32 v11, s15, v9
	v_add_co_u32 v141, vcc_lo, s4, v5
	v_add_co_ci_u32_e64 v142, null, s5, v6, vcc_lo
	;; [unrolled: 5-line block ×10, first 2 shown]
	v_lshlrev_b64 v[5:6], 4, v[9:10]
	v_add_nc_u32_e32 v9, s15, v11
	v_ashrrev_i32_e32 v12, 31, v11
	v_add_co_u32 v159, vcc_lo, s4, v7
	v_add_co_ci_u32_e64 v160, null, s5, v8, vcc_lo
	v_ashrrev_i32_e32 v10, 31, v9
	v_lshlrev_b64 v[7:8], 4, v[11:12]
	v_add_co_u32 v161, vcc_lo, s4, v5
	v_add_co_ci_u32_e64 v162, null, s5, v6, vcc_lo
	v_lshlrev_b64 v[5:6], 4, v[9:10]
	v_add_co_u32 v163, vcc_lo, s4, v7
	v_add_co_ci_u32_e64 v164, null, s5, v8, vcc_lo
	v_add_nc_u32_e32 v9, s15, v9
	v_add_co_u32 v165, vcc_lo, s4, v5
	v_add_co_ci_u32_e64 v166, null, s5, v6, vcc_lo
	v_add_nc_u32_e32 v11, s15, v9
	v_ashrrev_i32_e32 v10, 31, v9
	global_load_dwordx4 v[37:40], v[139:140], off
	v_ashrrev_i32_e32 v12, 31, v11
	v_lshlrev_b64 v[9:10], 4, v[9:10]
	v_add_co_u32 v167, vcc_lo, s4, v9
	v_add_co_ci_u32_e64 v168, null, s5, v10, vcc_lo
	s_clause 0xd
	global_load_dwordx4 v[33:36], v[13:14], off
	global_load_dwordx4 v[41:44], v[141:142], off
	;; [unrolled: 1-line block ×14, first 2 shown]
	v_add_nc_u32_e32 v13, s15, v11
	v_lshlrev_b64 v[11:12], 4, v[11:12]
	v_add_nc_u32_e32 v15, s15, v13
	v_ashrrev_i32_e32 v14, 31, v13
	v_add_co_u32 v169, vcc_lo, s4, v11
	v_add_co_ci_u32_e64 v170, null, s5, v12, vcc_lo
	v_add_nc_u32_e32 v17, s15, v15
	v_ashrrev_i32_e32 v16, 31, v15
	v_lshlrev_b64 v[9:10], 4, v[13:14]
	v_add_nc_u32_e32 v21, s15, v17
	v_ashrrev_i32_e32 v18, 31, v17
	v_lshlrev_b64 v[19:20], 4, v[15:16]
	v_add_co_u32 v171, vcc_lo, s4, v9
	v_add_nc_u32_e32 v25, s15, v21
	v_ashrrev_i32_e32 v22, 31, v21
	v_lshlrev_b64 v[17:18], 4, v[17:18]
	v_add_co_ci_u32_e64 v172, null, s5, v10, vcc_lo
	v_add_nc_u32_e32 v29, s15, v25
	v_ashrrev_i32_e32 v26, 31, v25
	v_lshlrev_b64 v[27:28], 4, v[21:22]
	v_add_co_u32 v173, vcc_lo, s4, v19
	v_add_nc_u32_e32 v49, s15, v29
	v_ashrrev_i32_e32 v30, 31, v29
	v_lshlrev_b64 v[25:26], 4, v[25:26]
	v_add_co_ci_u32_e64 v174, null, s5, v20, vcc_lo
	v_add_nc_u32_e32 v65, s15, v49
	v_ashrrev_i32_e32 v50, 31, v49
	v_add_co_u32 v175, vcc_lo, s4, v17
	v_lshlrev_b64 v[51:52], 4, v[29:30]
	v_add_nc_u32_e32 v103, s15, v65
	v_ashrrev_i32_e32 v66, 31, v65
	v_add_co_ci_u32_e64 v176, null, s5, v18, vcc_lo
	v_add_co_u32 v177, vcc_lo, s4, v27
	v_add_nc_u32_e32 v107, s15, v103
	v_ashrrev_i32_e32 v104, 31, v103
	v_lshlrev_b64 v[101:102], 4, v[49:50]
	v_add_co_ci_u32_e64 v178, null, s5, v28, vcc_lo
	v_add_nc_u32_e32 v111, s15, v107
	v_ashrrev_i32_e32 v108, 31, v107
	v_add_co_u32 v179, vcc_lo, s4, v25
	v_lshlrev_b64 v[105:106], 4, v[65:66]
	v_add_nc_u32_e32 v115, s15, v111
	v_ashrrev_i32_e32 v112, 31, v111
	v_add_co_ci_u32_e64 v180, null, s5, v26, vcc_lo
	v_add_co_u32 v181, vcc_lo, s4, v51
	v_add_nc_u32_e32 v119, s15, v115
	v_lshlrev_b64 v[109:110], 4, v[103:104]
	v_ashrrev_i32_e32 v116, 31, v115
	v_add_co_ci_u32_e64 v182, null, s5, v52, vcc_lo
	v_add_nc_u32_e32 v123, s15, v119
	v_add_co_u32 v183, vcc_lo, s4, v101
	v_lshlrev_b64 v[113:114], 4, v[107:108]
	v_ashrrev_i32_e32 v120, 31, v119
	v_add_nc_u32_e32 v127, s15, v123
	v_add_co_ci_u32_e64 v184, null, s5, v102, vcc_lo
	v_add_co_u32 v185, vcc_lo, s4, v105
	v_lshlrev_b64 v[117:118], 4, v[111:112]
	v_ashrrev_i32_e32 v124, 31, v123
	v_add_nc_u32_e32 v131, s15, v127
	v_add_co_ci_u32_e64 v186, null, s5, v106, vcc_lo
	v_add_co_u32 v187, vcc_lo, s4, v109
	v_lshlrev_b64 v[121:122], 4, v[115:116]
	v_ashrrev_i32_e32 v128, 31, v127
	v_add_co_ci_u32_e64 v188, null, s5, v110, vcc_lo
	v_add_co_u32 v189, vcc_lo, s4, v113
	v_lshlrev_b64 v[125:126], 4, v[119:120]
	v_add_co_ci_u32_e64 v190, null, s5, v114, vcc_lo
	v_add_co_u32 v191, vcc_lo, s4, v117
	v_lshlrev_b64 v[129:130], 4, v[123:124]
	v_add_nc_u32_e32 v137, s15, v131
	v_add_co_ci_u32_e64 v192, null, s5, v118, vcc_lo
	v_add_co_u32 v193, vcc_lo, s4, v121
	v_lshlrev_b64 v[135:136], 4, v[127:128]
	v_add_co_ci_u32_e64 v194, null, s5, v122, vcc_lo
	v_add_co_u32 v195, vcc_lo, s4, v125
	v_ashrrev_i32_e32 v132, 31, v131
	v_ashrrev_i32_e32 v138, 31, v137
	v_add_nc_u32_e32 v203, s15, v137
	v_add_co_ci_u32_e64 v196, null, s5, v126, vcc_lo
	v_add_co_u32 v197, vcc_lo, s4, v129
	v_add_co_ci_u32_e64 v198, null, s5, v130, vcc_lo
	v_add_co_u32 v199, vcc_lo, s4, v135
	v_lshlrev_b64 v[201:202], 4, v[131:132]
	v_add_co_ci_u32_e64 v200, null, s5, v136, vcc_lo
	v_lshlrev_b64 v[135:136], 4, v[137:138]
	v_add_nc_u32_e32 v137, s15, v203
	v_ashrrev_i32_e32 v204, 31, v203
	v_add_co_u32 v201, vcc_lo, s4, v201
	v_add_co_ci_u32_e64 v202, null, s5, v202, vcc_lo
	v_ashrrev_i32_e32 v138, 31, v137
	v_add_nc_u32_e32 v207, s15, v137
	v_lshlrev_b64 v[205:206], 4, v[203:204]
	v_add_co_u32 v203, vcc_lo, s4, v135
	v_add_co_ci_u32_e64 v204, null, s5, v136, vcc_lo
	v_lshlrev_b64 v[135:136], 4, v[137:138]
	v_add_nc_u32_e32 v137, s15, v207
	v_ashrrev_i32_e32 v208, 31, v207
	v_add_co_u32 v205, vcc_lo, s4, v205
	v_add_co_ci_u32_e64 v206, null, s5, v206, vcc_lo
	v_ashrrev_i32_e32 v138, 31, v137
	v_add_nc_u32_e32 v211, s15, v137
	v_lshlrev_b64 v[209:210], 4, v[207:208]
	v_add_co_u32 v207, vcc_lo, s4, v135
	v_add_co_ci_u32_e64 v208, null, s5, v136, vcc_lo
	v_lshlrev_b64 v[135:136], 4, v[137:138]
	v_add_nc_u32_e32 v137, s15, v211
	v_ashrrev_i32_e32 v212, 31, v211
	v_add_co_u32 v209, vcc_lo, s4, v209
	v_add_co_ci_u32_e64 v210, null, s5, v210, vcc_lo
	v_ashrrev_i32_e32 v138, 31, v137
	v_add_nc_u32_e32 v215, s15, v137
	v_lshlrev_b64 v[213:214], 4, v[211:212]
	v_add_co_u32 v211, vcc_lo, s4, v135
	v_add_co_ci_u32_e64 v212, null, s5, v136, vcc_lo
	v_lshlrev_b64 v[135:136], 4, v[137:138]
	v_add_nc_u32_e32 v137, s15, v215
	v_ashrrev_i32_e32 v216, 31, v215
	v_add_co_u32 v213, vcc_lo, s4, v213
	v_add_co_ci_u32_e64 v214, null, s5, v214, vcc_lo
	v_ashrrev_i32_e32 v138, 31, v137
	v_add_nc_u32_e32 v248, s15, v137
	v_lshlrev_b64 v[246:247], 4, v[215:216]
	v_add_co_u32 v215, vcc_lo, s4, v135
	v_add_co_ci_u32_e64 v216, null, s5, v136, vcc_lo
	v_lshlrev_b64 v[135:136], 4, v[137:138]
	v_add_nc_u32_e32 v137, s15, v248
	s_clause 0x15
	global_load_dwordx4 v[9:12], v[167:168], off
	global_load_dwordx4 v[13:16], v[169:170], off
	;; [unrolled: 1-line block ×22, first 2 shown]
	s_waitcnt vmcnt(38)
	buffer_store_dword v4, off, s[0:3], 0 offset:28
	buffer_store_dword v3, off, s[0:3], 0 offset:24
	;; [unrolled: 1-line block ×4, first 2 shown]
	s_clause 0x1
	global_load_dwordx4 v[1:4], v[211:212], off
	global_load_dwordx4 v[242:245], v[213:214], off
	s_waitcnt vmcnt(39)
	buffer_store_dword v60, off, s[0:3], 0 offset:44
	buffer_store_dword v59, off, s[0:3], 0 offset:40
	;; [unrolled: 1-line block ×4, first 2 shown]
	v_ashrrev_i32_e32 v249, 31, v248
	v_ashrrev_i32_e32 v138, 31, v137
	v_add_co_u32 v57, vcc_lo, s4, v246
	v_add_co_ci_u32_e64 v58, null, s5, v247, vcc_lo
	v_lshlrev_b64 v[246:247], 4, v[248:249]
	v_add_co_u32 v59, vcc_lo, s4, v135
	v_add_co_ci_u32_e64 v60, null, s5, v136, vcc_lo
	s_waitcnt vmcnt(37)
	buffer_store_dword v36, off, s[0:3], 0 offset:60
	buffer_store_dword v35, off, s[0:3], 0 offset:56
	;; [unrolled: 1-line block ×8, first 2 shown]
	s_waitcnt vmcnt(36)
	buffer_store_dword v44, off, s[0:3], 0 offset:92
	buffer_store_dword v43, off, s[0:3], 0 offset:88
	buffer_store_dword v42, off, s[0:3], 0 offset:84
	buffer_store_dword v41, off, s[0:3], 0 offset:80
	s_waitcnt vmcnt(35)
	buffer_store_dword v48, off, s[0:3], 0 offset:108
	buffer_store_dword v47, off, s[0:3], 0 offset:104
	buffer_store_dword v46, off, s[0:3], 0 offset:100
	buffer_store_dword v45, off, s[0:3], 0 offset:96
	;; [unrolled: 5-line block ×7, first 2 shown]
	buffer_store_dword v81, off, s[0:3], 0 offset:192
	buffer_store_dword v82, off, s[0:3], 0 offset:196
	buffer_store_dword v83, off, s[0:3], 0 offset:200
	buffer_store_dword v84, off, s[0:3], 0 offset:204
	s_waitcnt vmcnt(28)
	buffer_store_dword v88, off, s[0:3], 0 offset:220
	buffer_store_dword v87, off, s[0:3], 0 offset:216
	buffer_store_dword v86, off, s[0:3], 0 offset:212
	buffer_store_dword v85, off, s[0:3], 0 offset:208
	s_waitcnt vmcnt(27)
	;; [unrolled: 5-line block ×5, first 2 shown]
	buffer_store_dword v8, off, s[0:3], 0 offset:284
	v_add_nc_u32_e32 v41, s15, v137
	v_lshlrev_b64 v[46:47], 4, v[137:138]
	v_add_co_u32 v44, vcc_lo, s4, v246
	v_add_co_ci_u32_e64 v45, null, s5, v247, vcc_lo
	v_ashrrev_i32_e32 v42, 31, v41
	v_add_nc_u32_e32 v55, s15, v41
	v_add_co_u32 v46, vcc_lo, s4, v46
	v_add_co_ci_u32_e64 v47, null, s5, v47, vcc_lo
	v_lshlrev_b64 v[42:43], 4, v[41:42]
	v_add_nc_u32_e32 v41, s15, v55
	v_ashrrev_i32_e32 v56, 31, v55
	s_clause 0x3
	global_load_dwordx4 v[33:36], v[215:216], off
	global_load_dwordx4 v[37:40], v[57:58], off
	;; [unrolled: 1-line block ×4, first 2 shown]
	v_add_nc_u32_e32 v61, s15, v41
	v_add_co_u32 v53, vcc_lo, s4, v42
	v_ashrrev_i32_e32 v42, 31, v41
	v_lshlrev_b64 v[55:56], 4, v[55:56]
	v_add_nc_u32_e32 v63, s15, v61
	v_ashrrev_i32_e32 v62, 31, v61
	v_add_co_ci_u32_e64 v54, null, s5, v43, vcc_lo
	v_lshlrev_b64 v[41:42], 4, v[41:42]
	v_ashrrev_i32_e32 v64, 31, v63
	v_add_nc_u32_e32 v71, s15, v63
	v_add_co_u32 v55, vcc_lo, s4, v55
	v_add_co_ci_u32_e64 v56, null, s5, v56, vcc_lo
	v_lshlrev_b64 v[69:70], 4, v[61:62]
	v_add_co_u32 v61, vcc_lo, s4, v41
	v_add_co_ci_u32_e64 v62, null, s5, v42, vcc_lo
	v_lshlrev_b64 v[41:42], 4, v[63:64]
	v_add_nc_u32_e32 v73, s15, v71
	v_ashrrev_i32_e32 v72, 31, v71
	v_add_co_u32 v63, vcc_lo, s4, v69
	v_add_co_ci_u32_e64 v64, null, s5, v70, vcc_lo
	v_ashrrev_i32_e32 v74, 31, v73
	v_add_co_u32 v69, vcc_lo, s4, v41
	v_add_co_ci_u32_e64 v70, null, s5, v42, vcc_lo
	v_lshlrev_b64 v[41:42], 4, v[71:72]
	v_lshlrev_b64 v[71:72], 4, v[73:74]
	s_clause 0x5
	global_load_dwordx4 v[83:86], v[46:47], off
	global_load_dwordx4 v[87:90], v[53:54], off
	;; [unrolled: 1-line block ×6, first 2 shown]
	v_add_co_u32 v73, vcc_lo, s4, v41
	v_add_co_ci_u32_e64 v74, null, s5, v42, vcc_lo
	v_add_co_u32 v71, vcc_lo, s4, v71
	v_add_co_ci_u32_e64 v72, null, s5, v72, vcc_lo
	global_load_dwordx4 v[135:138], v[73:74], off
	buffer_store_dword v7, off, s[0:3], 0 offset:280
	buffer_store_dword v6, off, s[0:3], 0 offset:276
	;; [unrolled: 1-line block ×3, first 2 shown]
	s_movk_i32 s4, 0x50
	global_load_dwordx4 v[5:8], v[71:72], off
	s_movk_i32 s5, 0x60
	s_add_i32 s60, s4, 16
	s_add_i32 s59, s5, 16
	s_movk_i32 s4, 0x70
	s_movk_i32 s5, 0x80
	s_add_i32 s58, s4, 16
	s_add_i32 s57, s5, 16
	s_movk_i32 s4, 0x90
	;; [unrolled: 4-line block ×23, first 2 shown]
	s_movk_i32 s5, 0x340
	s_add_i32 s9, s4, 16
	s_add_i32 s8, s5, 16
	s_bitcmp0_b32 s66, 0
	s_mov_b32 s5, -1
	s_waitcnt vmcnt(35)
	buffer_store_dword v12, off, s[0:3], 0 offset:300
	buffer_store_dword v11, off, s[0:3], 0 offset:296
	buffer_store_dword v10, off, s[0:3], 0 offset:292
	buffer_store_dword v9, off, s[0:3], 0 offset:288
	s_waitcnt vmcnt(34)
	buffer_store_dword v16, off, s[0:3], 0 offset:316
	buffer_store_dword v15, off, s[0:3], 0 offset:312
	buffer_store_dword v14, off, s[0:3], 0 offset:308
	buffer_store_dword v13, off, s[0:3], 0 offset:304
	s_waitcnt vmcnt(33)
	buffer_store_dword v24, off, s[0:3], 0 offset:332
	buffer_store_dword v23, off, s[0:3], 0 offset:328
	buffer_store_dword v22, off, s[0:3], 0 offset:324
	buffer_store_dword v21, off, s[0:3], 0 offset:320
	s_waitcnt vmcnt(32)
	buffer_store_dword v20, off, s[0:3], 0 offset:348
	buffer_store_dword v19, off, s[0:3], 0 offset:344
	buffer_store_dword v18, off, s[0:3], 0 offset:340
	buffer_store_dword v17, off, s[0:3], 0 offset:336
	s_waitcnt vmcnt(31)
	buffer_store_dword v32, off, s[0:3], 0 offset:364
	buffer_store_dword v31, off, s[0:3], 0 offset:360
	buffer_store_dword v30, off, s[0:3], 0 offset:356
	buffer_store_dword v29, off, s[0:3], 0 offset:352
	s_waitcnt vmcnt(30)
	buffer_store_dword v28, off, s[0:3], 0 offset:380
	buffer_store_dword v27, off, s[0:3], 0 offset:376
	buffer_store_dword v26, off, s[0:3], 0 offset:372
	buffer_store_dword v25, off, s[0:3], 0 offset:368
	s_waitcnt vmcnt(29)
	buffer_store_dword v68, off, s[0:3], 0 offset:396
	buffer_store_dword v67, off, s[0:3], 0 offset:392
	buffer_store_dword v66, off, s[0:3], 0 offset:388
	buffer_store_dword v65, off, s[0:3], 0 offset:384
	s_waitcnt vmcnt(28)
	buffer_store_dword v52, off, s[0:3], 0 offset:412
	buffer_store_dword v51, off, s[0:3], 0 offset:408
	buffer_store_dword v50, off, s[0:3], 0 offset:404
	buffer_store_dword v49, off, s[0:3], 0 offset:400
	s_waitcnt vmcnt(27)
	buffer_store_dword v108, off, s[0:3], 0 offset:428
	buffer_store_dword v107, off, s[0:3], 0 offset:424
	buffer_store_dword v106, off, s[0:3], 0 offset:420
	buffer_store_dword v105, off, s[0:3], 0 offset:416
	s_waitcnt vmcnt(26)
	buffer_store_dword v104, off, s[0:3], 0 offset:444
	buffer_store_dword v103, off, s[0:3], 0 offset:440
	buffer_store_dword v102, off, s[0:3], 0 offset:436
	buffer_store_dword v101, off, s[0:3], 0 offset:432
	s_waitcnt vmcnt(25)
	buffer_store_dword v116, off, s[0:3], 0 offset:460
	buffer_store_dword v115, off, s[0:3], 0 offset:456
	buffer_store_dword v114, off, s[0:3], 0 offset:452
	buffer_store_dword v113, off, s[0:3], 0 offset:448
	s_waitcnt vmcnt(24)
	buffer_store_dword v112, off, s[0:3], 0 offset:476
	buffer_store_dword v111, off, s[0:3], 0 offset:472
	buffer_store_dword v110, off, s[0:3], 0 offset:468
	buffer_store_dword v109, off, s[0:3], 0 offset:464
	s_waitcnt vmcnt(23)
	buffer_store_dword v124, off, s[0:3], 0 offset:492
	buffer_store_dword v123, off, s[0:3], 0 offset:488
	buffer_store_dword v122, off, s[0:3], 0 offset:484
	buffer_store_dword v121, off, s[0:3], 0 offset:480
	s_waitcnt vmcnt(22)
	buffer_store_dword v120, off, s[0:3], 0 offset:508
	buffer_store_dword v119, off, s[0:3], 0 offset:504
	buffer_store_dword v118, off, s[0:3], 0 offset:500
	buffer_store_dword v117, off, s[0:3], 0 offset:496
	s_waitcnt vmcnt(21)
	buffer_store_dword v132, off, s[0:3], 0 offset:524
	buffer_store_dword v131, off, s[0:3], 0 offset:520
	buffer_store_dword v130, off, s[0:3], 0 offset:516
	buffer_store_dword v129, off, s[0:3], 0 offset:512
	s_waitcnt vmcnt(20)
	buffer_store_dword v128, off, s[0:3], 0 offset:540
	buffer_store_dword v127, off, s[0:3], 0 offset:536
	buffer_store_dword v126, off, s[0:3], 0 offset:532
	buffer_store_dword v125, off, s[0:3], 0 offset:528
	s_waitcnt vmcnt(19)
	buffer_store_dword v221, off, s[0:3], 0 offset:556
	buffer_store_dword v220, off, s[0:3], 0 offset:552
	buffer_store_dword v219, off, s[0:3], 0 offset:548
	buffer_store_dword v218, off, s[0:3], 0 offset:544
	s_waitcnt vmcnt(18)
	buffer_store_dword v225, off, s[0:3], 0 offset:572
	buffer_store_dword v224, off, s[0:3], 0 offset:568
	buffer_store_dword v223, off, s[0:3], 0 offset:564
	buffer_store_dword v222, off, s[0:3], 0 offset:560
	s_waitcnt vmcnt(17)
	buffer_store_dword v229, off, s[0:3], 0 offset:588
	buffer_store_dword v228, off, s[0:3], 0 offset:584
	buffer_store_dword v227, off, s[0:3], 0 offset:580
	buffer_store_dword v226, off, s[0:3], 0 offset:576
	s_waitcnt vmcnt(16)
	buffer_store_dword v233, off, s[0:3], 0 offset:604
	buffer_store_dword v232, off, s[0:3], 0 offset:600
	buffer_store_dword v231, off, s[0:3], 0 offset:596
	buffer_store_dword v230, off, s[0:3], 0 offset:592
	s_waitcnt vmcnt(15)
	buffer_store_dword v237, off, s[0:3], 0 offset:620
	buffer_store_dword v236, off, s[0:3], 0 offset:616
	buffer_store_dword v235, off, s[0:3], 0 offset:612
	buffer_store_dword v234, off, s[0:3], 0 offset:608
	s_waitcnt vmcnt(14)
	buffer_store_dword v241, off, s[0:3], 0 offset:636
	buffer_store_dword v240, off, s[0:3], 0 offset:632
	buffer_store_dword v239, off, s[0:3], 0 offset:628
	buffer_store_dword v238, off, s[0:3], 0 offset:624
	s_waitcnt vmcnt(13)
	buffer_store_dword v4, off, s[0:3], 0 offset:652
	buffer_store_dword v3, off, s[0:3], 0 offset:648
	buffer_store_dword v2, off, s[0:3], 0 offset:644
	buffer_store_dword v1, off, s[0:3], 0 offset:640
	s_waitcnt vmcnt(12)
	buffer_store_dword v245, off, s[0:3], 0 offset:668
	buffer_store_dword v244, off, s[0:3], 0 offset:664
	buffer_store_dword v243, off, s[0:3], 0 offset:660
	buffer_store_dword v242, off, s[0:3], 0 offset:656
	s_waitcnt vmcnt(11)
	buffer_store_dword v36, off, s[0:3], 0 offset:684
	buffer_store_dword v35, off, s[0:3], 0 offset:680
	buffer_store_dword v34, off, s[0:3], 0 offset:676
	buffer_store_dword v33, off, s[0:3], 0 offset:672
	s_waitcnt vmcnt(10)
	buffer_store_dword v40, off, s[0:3], 0 offset:700
	buffer_store_dword v39, off, s[0:3], 0 offset:696
	buffer_store_dword v38, off, s[0:3], 0 offset:692
	buffer_store_dword v37, off, s[0:3], 0 offset:688
	s_waitcnt vmcnt(9)
	buffer_store_dword v78, off, s[0:3], 0 offset:716
	buffer_store_dword v77, off, s[0:3], 0 offset:712
	buffer_store_dword v76, off, s[0:3], 0 offset:708
	buffer_store_dword v75, off, s[0:3], 0 offset:704
	s_waitcnt vmcnt(8)
	buffer_store_dword v82, off, s[0:3], 0 offset:732
	buffer_store_dword v81, off, s[0:3], 0 offset:728
	buffer_store_dword v80, off, s[0:3], 0 offset:724
	buffer_store_dword v79, off, s[0:3], 0 offset:720
	s_waitcnt vmcnt(7)
	buffer_store_dword v86, off, s[0:3], 0 offset:748
	buffer_store_dword v85, off, s[0:3], 0 offset:744
	buffer_store_dword v84, off, s[0:3], 0 offset:740
	buffer_store_dword v83, off, s[0:3], 0 offset:736
	s_waitcnt vmcnt(6)
	buffer_store_dword v90, off, s[0:3], 0 offset:764
	buffer_store_dword v89, off, s[0:3], 0 offset:760
	buffer_store_dword v88, off, s[0:3], 0 offset:756
	buffer_store_dword v87, off, s[0:3], 0 offset:752
	s_waitcnt vmcnt(5)
	buffer_store_dword v94, off, s[0:3], 0 offset:780
	buffer_store_dword v93, off, s[0:3], 0 offset:776
	buffer_store_dword v92, off, s[0:3], 0 offset:772
	buffer_store_dword v91, off, s[0:3], 0 offset:768
	s_waitcnt vmcnt(4)
	buffer_store_dword v98, off, s[0:3], 0 offset:796
	buffer_store_dword v97, off, s[0:3], 0 offset:792
	buffer_store_dword v96, off, s[0:3], 0 offset:788
	buffer_store_dword v95, off, s[0:3], 0 offset:784
	s_waitcnt vmcnt(3)
	buffer_store_dword v249, off, s[0:3], 0 offset:812
	buffer_store_dword v248, off, s[0:3], 0 offset:808
	buffer_store_dword v247, off, s[0:3], 0 offset:804
	buffer_store_dword v246, off, s[0:3], 0 offset:800
	s_waitcnt vmcnt(2)
	buffer_store_dword v253, off, s[0:3], 0 offset:828
	buffer_store_dword v252, off, s[0:3], 0 offset:824
	buffer_store_dword v251, off, s[0:3], 0 offset:820
	buffer_store_dword v250, off, s[0:3], 0 offset:816
	s_waitcnt vmcnt(1)
	buffer_store_dword v138, off, s[0:3], 0 offset:844
	buffer_store_dword v137, off, s[0:3], 0 offset:840
	buffer_store_dword v136, off, s[0:3], 0 offset:836
	buffer_store_dword v135, off, s[0:3], 0 offset:832
	s_waitcnt vmcnt(0)
	buffer_store_dword v8, off, s[0:3], 0 offset:860
	buffer_store_dword v7, off, s[0:3], 0 offset:856
	buffer_store_dword v6, off, s[0:3], 0 offset:852
	buffer_store_dword v5, off, s[0:3], 0 offset:848
	s_cbranch_scc1 .LBB52_224
; %bb.4:
	v_cmp_eq_u32_e64 s4, 0, v0
	s_and_saveexec_b32 s5, s4
; %bb.5:
	v_mov_b32_e32 v1, 0
	ds_write_b32 v1, v1 offset:1696
; %bb.6:
	s_or_b32 exec_lo, exec_lo, s5
	v_lshl_add_u32 v11, v0, 4, 16
	s_waitcnt lgkmcnt(0)
	s_waitcnt_vscnt null, 0x0
	s_barrier
	buffer_gl0_inv
	s_clause 0x3
	buffer_load_dword v1, v11, s[0:3], 0 offen
	buffer_load_dword v2, v11, s[0:3], 0 offen offset:4
	buffer_load_dword v3, v11, s[0:3], 0 offen offset:8
	;; [unrolled: 1-line block ×3, first 2 shown]
	s_waitcnt vmcnt(2)
	v_cmp_eq_f64_e32 vcc_lo, 0, v[1:2]
	s_waitcnt vmcnt(0)
	v_cmp_eq_f64_e64 s5, 0, v[3:4]
	s_and_b32 s5, vcc_lo, s5
	s_and_saveexec_b32 s66, s5
	s_cbranch_execz .LBB52_10
; %bb.7:
	v_mov_b32_e32 v1, 0
	s_mov_b32 s67, 0
	ds_read_b32 v2, v1 offset:1696
	s_waitcnt lgkmcnt(0)
	v_readfirstlane_b32 s5, v2
	v_add_nc_u32_e32 v2, 1, v0
	s_cmp_eq_u32 s5, 0
	v_cmp_gt_i32_e32 vcc_lo, s5, v2
	s_cselect_b32 s68, -1, 0
	s_or_b32 s68, s68, vcc_lo
	s_and_b32 exec_lo, exec_lo, s68
	s_cbranch_execz .LBB52_10
; %bb.8:
	v_mov_b32_e32 v3, s5
.LBB52_9:                               ; =>This Inner Loop Header: Depth=1
	ds_cmpst_rtn_b32 v3, v1, v3, v2 offset:1696
	s_waitcnt lgkmcnt(0)
	v_cmp_ne_u32_e32 vcc_lo, 0, v3
	v_cmp_le_i32_e64 s5, v3, v2
	s_and_b32 s5, vcc_lo, s5
	s_and_b32 s5, exec_lo, s5
	s_or_b32 s67, s5, s67
	s_andn2_b32 exec_lo, exec_lo, s67
	s_cbranch_execnz .LBB52_9
.LBB52_10:
	s_or_b32 exec_lo, exec_lo, s66
	v_mov_b32_e32 v1, 0
	s_barrier
	buffer_gl0_inv
	ds_read_b32 v2, v1 offset:1696
	s_and_saveexec_b32 s5, s4
	s_cbranch_execz .LBB52_12
; %bb.11:
	s_lshl_b64 s[66:67], s[6:7], 2
	s_add_u32 s66, s10, s66
	s_addc_u32 s67, s11, s67
	s_waitcnt lgkmcnt(0)
	global_store_dword v1, v2, s[66:67]
.LBB52_12:
	s_or_b32 exec_lo, exec_lo, s5
	s_waitcnt lgkmcnt(0)
	v_cmp_ne_u32_e32 vcc_lo, 0, v2
	s_mov_b32 s5, 0
	s_cbranch_vccnz .LBB52_224
; %bb.13:
	s_clause 0x3
	buffer_load_dword v7, v11, s[0:3], 0 offen
	buffer_load_dword v8, v11, s[0:3], 0 offen offset:4
	buffer_load_dword v9, v11, s[0:3], 0 offen offset:8
	buffer_load_dword v10, v11, s[0:3], 0 offen offset:12
                                        ; implicit-def: $vgpr5_vgpr6
                                        ; implicit-def: $vgpr3_vgpr4
	s_waitcnt vmcnt(0)
	v_cmp_ngt_f64_e64 s5, |v[7:8]|, |v[9:10]|
	s_and_saveexec_b32 s66, s5
	s_xor_b32 s5, exec_lo, s66
	s_cbranch_execz .LBB52_15
; %bb.14:
	v_div_scale_f64 v[1:2], null, v[9:10], v[9:10], v[7:8]
	v_div_scale_f64 v[12:13], vcc_lo, v[7:8], v[9:10], v[7:8]
	v_rcp_f64_e32 v[3:4], v[1:2]
	v_fma_f64 v[5:6], -v[1:2], v[3:4], 1.0
	v_fma_f64 v[3:4], v[3:4], v[5:6], v[3:4]
	v_fma_f64 v[5:6], -v[1:2], v[3:4], 1.0
	v_fma_f64 v[3:4], v[3:4], v[5:6], v[3:4]
	v_mul_f64 v[5:6], v[12:13], v[3:4]
	v_fma_f64 v[1:2], -v[1:2], v[5:6], v[12:13]
	v_div_fmas_f64 v[1:2], v[1:2], v[3:4], v[5:6]
	v_div_fixup_f64 v[1:2], v[1:2], v[9:10], v[7:8]
	v_fma_f64 v[3:4], v[7:8], v[1:2], v[9:10]
	v_div_scale_f64 v[5:6], null, v[3:4], v[3:4], 1.0
	v_div_scale_f64 v[12:13], vcc_lo, 1.0, v[3:4], 1.0
	v_rcp_f64_e32 v[7:8], v[5:6]
	v_fma_f64 v[9:10], -v[5:6], v[7:8], 1.0
	v_fma_f64 v[7:8], v[7:8], v[9:10], v[7:8]
	v_fma_f64 v[9:10], -v[5:6], v[7:8], 1.0
	v_fma_f64 v[7:8], v[7:8], v[9:10], v[7:8]
	v_mul_f64 v[9:10], v[12:13], v[7:8]
	v_fma_f64 v[5:6], -v[5:6], v[9:10], v[12:13]
	v_div_fmas_f64 v[5:6], v[5:6], v[7:8], v[9:10]
                                        ; implicit-def: $vgpr7_vgpr8
                                        ; implicit-def: $vgpr9_vgpr10
	v_div_fixup_f64 v[3:4], v[5:6], v[3:4], 1.0
	v_mul_f64 v[5:6], v[1:2], v[3:4]
	v_xor_b32_e32 v4, 0x80000000, v4
	v_xor_b32_e32 v2, 0x80000000, v6
	v_mov_b32_e32 v1, v5
.LBB52_15:
	s_andn2_saveexec_b32 s5, s5
	s_cbranch_execz .LBB52_17
; %bb.16:
	v_div_scale_f64 v[1:2], null, v[7:8], v[7:8], v[9:10]
	v_div_scale_f64 v[12:13], vcc_lo, v[9:10], v[7:8], v[9:10]
	v_rcp_f64_e32 v[3:4], v[1:2]
	v_fma_f64 v[5:6], -v[1:2], v[3:4], 1.0
	v_fma_f64 v[3:4], v[3:4], v[5:6], v[3:4]
	v_fma_f64 v[5:6], -v[1:2], v[3:4], 1.0
	v_fma_f64 v[3:4], v[3:4], v[5:6], v[3:4]
	v_mul_f64 v[5:6], v[12:13], v[3:4]
	v_fma_f64 v[1:2], -v[1:2], v[5:6], v[12:13]
	v_div_fmas_f64 v[1:2], v[1:2], v[3:4], v[5:6]
	v_div_fixup_f64 v[1:2], v[1:2], v[7:8], v[9:10]
	v_fma_f64 v[3:4], v[9:10], v[1:2], v[7:8]
	v_div_scale_f64 v[5:6], null, v[3:4], v[3:4], 1.0
	v_rcp_f64_e32 v[7:8], v[5:6]
	v_fma_f64 v[9:10], -v[5:6], v[7:8], 1.0
	v_fma_f64 v[7:8], v[7:8], v[9:10], v[7:8]
	v_fma_f64 v[9:10], -v[5:6], v[7:8], 1.0
	v_fma_f64 v[7:8], v[7:8], v[9:10], v[7:8]
	v_div_scale_f64 v[9:10], vcc_lo, 1.0, v[3:4], 1.0
	v_mul_f64 v[12:13], v[9:10], v[7:8]
	v_fma_f64 v[5:6], -v[5:6], v[12:13], v[9:10]
	v_div_fmas_f64 v[5:6], v[5:6], v[7:8], v[12:13]
	v_div_fixup_f64 v[5:6], v[5:6], v[3:4], 1.0
	v_mul_f64 v[3:4], v[1:2], -v[5:6]
	v_xor_b32_e32 v2, 0x80000000, v6
	v_mov_b32_e32 v1, v5
.LBB52_17:
	s_or_b32 exec_lo, exec_lo, s5
	v_mov_b32_e32 v10, s64
	buffer_store_dword v6, v11, s[0:3], 0 offen offset:4
	buffer_store_dword v5, v11, s[0:3], 0 offen
	buffer_store_dword v4, v11, s[0:3], 0 offen offset:12
	buffer_store_dword v3, v11, s[0:3], 0 offen offset:8
	v_xor_b32_e32 v4, 0x80000000, v4
	v_add_nc_u32_e32 v5, 0x350, v217
	s_clause 0x3
	buffer_load_dword v9, v10, s[0:3], 0 offen offset:12
	buffer_load_dword v8, v10, s[0:3], 0 offen offset:8
	;; [unrolled: 1-line block ×3, first 2 shown]
	buffer_load_dword v6, v10, s[0:3], 0 offen
	ds_write_b128 v217, v[1:4]
	s_waitcnt vmcnt(0)
	ds_write_b128 v217, v[6:9] offset:848
	s_waitcnt lgkmcnt(0)
	s_waitcnt_vscnt null, 0x0
	s_barrier
	buffer_gl0_inv
	s_and_saveexec_b32 s5, s4
	s_cbranch_execz .LBB52_19
; %bb.18:
	s_clause 0x3
	buffer_load_dword v12, v11, s[0:3], 0 offen offset:8
	buffer_load_dword v13, v11, s[0:3], 0 offen offset:12
	buffer_load_dword v14, v11, s[0:3], 0 offen
	buffer_load_dword v15, v11, s[0:3], 0 offen offset:4
	ds_read_b128 v[1:4], v5
	v_mov_b32_e32 v6, 0
	ds_read_b128 v[6:9], v6 offset:16
	s_waitcnt vmcnt(2) lgkmcnt(1)
	v_mul_f64 v[16:17], v[1:2], v[12:13]
	v_mul_f64 v[12:13], v[3:4], v[12:13]
	s_waitcnt vmcnt(0)
	v_fma_f64 v[3:4], v[3:4], v[14:15], v[16:17]
	v_fma_f64 v[1:2], v[1:2], v[14:15], -v[12:13]
	v_add_f64 v[3:4], v[3:4], 0
	v_add_f64 v[1:2], v[1:2], 0
	s_waitcnt lgkmcnt(0)
	v_mul_f64 v[12:13], v[3:4], v[8:9]
	v_mul_f64 v[8:9], v[1:2], v[8:9]
	v_fma_f64 v[1:2], v[1:2], v[6:7], -v[12:13]
	v_fma_f64 v[3:4], v[3:4], v[6:7], v[8:9]
	buffer_store_dword v1, off, s[0:3], 0 offset:32
	buffer_store_dword v2, off, s[0:3], 0 offset:36
	;; [unrolled: 1-line block ×4, first 2 shown]
.LBB52_19:
	s_or_b32 exec_lo, exec_lo, s5
	v_mov_b32_e32 v4, s63
	s_waitcnt_vscnt null, 0x0
	s_barrier
	buffer_gl0_inv
	s_mov_b32 s5, exec_lo
	s_clause 0x3
	buffer_load_dword v1, v4, s[0:3], 0 offen
	buffer_load_dword v2, v4, s[0:3], 0 offen offset:4
	buffer_load_dword v3, v4, s[0:3], 0 offen offset:8
	;; [unrolled: 1-line block ×3, first 2 shown]
	s_waitcnt vmcnt(0)
	ds_write_b128 v5, v[1:4]
	s_waitcnt lgkmcnt(0)
	s_barrier
	buffer_gl0_inv
	v_cmpx_gt_u32_e32 2, v0
	s_cbranch_execz .LBB52_23
; %bb.20:
	s_clause 0x3
	buffer_load_dword v6, v11, s[0:3], 0 offen offset:8
	buffer_load_dword v7, v11, s[0:3], 0 offen offset:12
	buffer_load_dword v8, v11, s[0:3], 0 offen
	buffer_load_dword v9, v11, s[0:3], 0 offen offset:4
	ds_read_b128 v[1:4], v5
	s_waitcnt vmcnt(2) lgkmcnt(0)
	v_mul_f64 v[10:11], v[3:4], v[6:7]
	v_mul_f64 v[6:7], v[1:2], v[6:7]
	s_waitcnt vmcnt(0)
	v_fma_f64 v[1:2], v[1:2], v[8:9], -v[10:11]
	v_fma_f64 v[3:4], v[3:4], v[8:9], v[6:7]
	v_add_f64 v[1:2], v[1:2], 0
	v_add_f64 v[3:4], v[3:4], 0
	s_and_saveexec_b32 s66, s4
	s_cbranch_execz .LBB52_22
; %bb.21:
	s_clause 0x3
	buffer_load_dword v10, off, s[0:3], 0 offset:40
	buffer_load_dword v11, off, s[0:3], 0 offset:44
	;; [unrolled: 1-line block ×4, first 2 shown]
	v_mov_b32_e32 v6, 0
	ds_read_b128 v[6:9], v6 offset:864
	s_waitcnt vmcnt(2) lgkmcnt(0)
	v_mul_f64 v[14:15], v[6:7], v[10:11]
	v_mul_f64 v[10:11], v[8:9], v[10:11]
	s_waitcnt vmcnt(0)
	v_fma_f64 v[8:9], v[8:9], v[12:13], v[14:15]
	v_fma_f64 v[6:7], v[6:7], v[12:13], -v[10:11]
	v_add_f64 v[3:4], v[3:4], v[8:9]
	v_add_f64 v[1:2], v[1:2], v[6:7]
.LBB52_22:
	s_or_b32 exec_lo, exec_lo, s66
	v_mov_b32_e32 v6, 0
	ds_read_b128 v[6:9], v6 offset:32
	s_waitcnt lgkmcnt(0)
	v_mul_f64 v[10:11], v[3:4], v[8:9]
	v_mul_f64 v[8:9], v[1:2], v[8:9]
	v_fma_f64 v[1:2], v[1:2], v[6:7], -v[10:11]
	v_fma_f64 v[3:4], v[3:4], v[6:7], v[8:9]
	buffer_store_dword v2, off, s[0:3], 0 offset:52
	buffer_store_dword v1, off, s[0:3], 0 offset:48
	;; [unrolled: 1-line block ×4, first 2 shown]
.LBB52_23:
	s_or_b32 exec_lo, exec_lo, s5
	v_mov_b32_e32 v4, s62
	s_waitcnt_vscnt null, 0x0
	s_barrier
	buffer_gl0_inv
	v_add_nc_u32_e32 v6, -1, v0
	s_clause 0x3
	buffer_load_dword v1, v4, s[0:3], 0 offen
	buffer_load_dword v2, v4, s[0:3], 0 offen offset:4
	buffer_load_dword v3, v4, s[0:3], 0 offen offset:8
	;; [unrolled: 1-line block ×3, first 2 shown]
	s_mov_b32 s4, exec_lo
	s_waitcnt vmcnt(0)
	ds_write_b128 v5, v[1:4]
	s_waitcnt lgkmcnt(0)
	s_barrier
	buffer_gl0_inv
	v_cmpx_gt_u32_e32 3, v0
	s_cbranch_execz .LBB52_27
; %bb.24:
	v_mov_b32_e32 v1, 0
	v_mov_b32_e32 v3, 0
	v_add_nc_u32_e32 v7, -1, v0
	v_add_nc_u32_e32 v8, 0x350, v217
	v_mov_b32_e32 v2, 0
	v_mov_b32_e32 v4, 0
	v_add_nc_u32_e32 v9, 16, v217
	s_mov_b32 s5, 0
	.p2align	6
.LBB52_25:                              ; =>This Inner Loop Header: Depth=1
	s_clause 0x3
	buffer_load_dword v14, v9, s[0:3], 0 offen offset:8
	buffer_load_dword v15, v9, s[0:3], 0 offen offset:12
	buffer_load_dword v16, v9, s[0:3], 0 offen
	buffer_load_dword v17, v9, s[0:3], 0 offen offset:4
	ds_read_b128 v[10:13], v8
	v_add_nc_u32_e32 v7, 1, v7
	v_add_nc_u32_e32 v8, 16, v8
	v_add_nc_u32_e32 v9, 16, v9
	v_cmp_lt_u32_e32 vcc_lo, 1, v7
	s_or_b32 s5, vcc_lo, s5
	s_waitcnt vmcnt(2) lgkmcnt(0)
	v_mul_f64 v[18:19], v[12:13], v[14:15]
	v_mul_f64 v[14:15], v[10:11], v[14:15]
	s_waitcnt vmcnt(0)
	v_fma_f64 v[10:11], v[10:11], v[16:17], -v[18:19]
	v_fma_f64 v[12:13], v[12:13], v[16:17], v[14:15]
	v_add_f64 v[3:4], v[3:4], v[10:11]
	v_add_f64 v[1:2], v[1:2], v[12:13]
	s_andn2_b32 exec_lo, exec_lo, s5
	s_cbranch_execnz .LBB52_25
; %bb.26:
	s_or_b32 exec_lo, exec_lo, s5
	v_mov_b32_e32 v7, 0
	ds_read_b128 v[7:10], v7 offset:48
	s_waitcnt lgkmcnt(0)
	v_mul_f64 v[11:12], v[1:2], v[9:10]
	v_mul_f64 v[9:10], v[3:4], v[9:10]
	v_fma_f64 v[3:4], v[3:4], v[7:8], -v[11:12]
	v_fma_f64 v[1:2], v[1:2], v[7:8], v[9:10]
	buffer_store_dword v4, off, s[0:3], 0 offset:68
	buffer_store_dword v3, off, s[0:3], 0 offset:64
	;; [unrolled: 1-line block ×4, first 2 shown]
.LBB52_27:
	s_or_b32 exec_lo, exec_lo, s4
	v_mov_b32_e32 v4, s61
	s_waitcnt_vscnt null, 0x0
	s_barrier
	buffer_gl0_inv
	s_mov_b32 s4, exec_lo
	s_clause 0x3
	buffer_load_dword v1, v4, s[0:3], 0 offen
	buffer_load_dword v2, v4, s[0:3], 0 offen offset:4
	buffer_load_dword v3, v4, s[0:3], 0 offen offset:8
	;; [unrolled: 1-line block ×3, first 2 shown]
	s_waitcnt vmcnt(0)
	ds_write_b128 v5, v[1:4]
	s_waitcnt lgkmcnt(0)
	s_barrier
	buffer_gl0_inv
	v_cmpx_gt_u32_e32 4, v0
	s_cbranch_execz .LBB52_31
; %bb.28:
	v_mov_b32_e32 v1, 0
	v_mov_b32_e32 v3, 0
	v_add_nc_u32_e32 v7, -1, v0
	v_add_nc_u32_e32 v8, 0x350, v217
	v_mov_b32_e32 v2, 0
	v_mov_b32_e32 v4, 0
	v_add_nc_u32_e32 v9, 16, v217
	s_mov_b32 s5, 0
	.p2align	6
.LBB52_29:                              ; =>This Inner Loop Header: Depth=1
	s_clause 0x3
	buffer_load_dword v14, v9, s[0:3], 0 offen offset:8
	buffer_load_dword v15, v9, s[0:3], 0 offen offset:12
	buffer_load_dword v16, v9, s[0:3], 0 offen
	buffer_load_dword v17, v9, s[0:3], 0 offen offset:4
	ds_read_b128 v[10:13], v8
	v_add_nc_u32_e32 v7, 1, v7
	v_add_nc_u32_e32 v8, 16, v8
	;; [unrolled: 1-line block ×3, first 2 shown]
	v_cmp_lt_u32_e32 vcc_lo, 2, v7
	s_or_b32 s5, vcc_lo, s5
	s_waitcnt vmcnt(2) lgkmcnt(0)
	v_mul_f64 v[18:19], v[12:13], v[14:15]
	v_mul_f64 v[14:15], v[10:11], v[14:15]
	s_waitcnt vmcnt(0)
	v_fma_f64 v[10:11], v[10:11], v[16:17], -v[18:19]
	v_fma_f64 v[12:13], v[12:13], v[16:17], v[14:15]
	v_add_f64 v[3:4], v[3:4], v[10:11]
	v_add_f64 v[1:2], v[1:2], v[12:13]
	s_andn2_b32 exec_lo, exec_lo, s5
	s_cbranch_execnz .LBB52_29
; %bb.30:
	s_or_b32 exec_lo, exec_lo, s5
	v_mov_b32_e32 v7, 0
	ds_read_b128 v[7:10], v7 offset:64
	s_waitcnt lgkmcnt(0)
	v_mul_f64 v[11:12], v[1:2], v[9:10]
	v_mul_f64 v[9:10], v[3:4], v[9:10]
	v_fma_f64 v[3:4], v[3:4], v[7:8], -v[11:12]
	v_fma_f64 v[1:2], v[1:2], v[7:8], v[9:10]
	buffer_store_dword v4, off, s[0:3], 0 offset:84
	buffer_store_dword v3, off, s[0:3], 0 offset:80
	buffer_store_dword v2, off, s[0:3], 0 offset:92
	buffer_store_dword v1, off, s[0:3], 0 offset:88
.LBB52_31:
	s_or_b32 exec_lo, exec_lo, s4
	v_mov_b32_e32 v4, s60
	s_waitcnt_vscnt null, 0x0
	s_barrier
	buffer_gl0_inv
	s_mov_b32 s4, exec_lo
	s_clause 0x3
	buffer_load_dword v1, v4, s[0:3], 0 offen
	buffer_load_dword v2, v4, s[0:3], 0 offen offset:4
	buffer_load_dword v3, v4, s[0:3], 0 offen offset:8
	buffer_load_dword v4, v4, s[0:3], 0 offen offset:12
	s_waitcnt vmcnt(0)
	ds_write_b128 v5, v[1:4]
	s_waitcnt lgkmcnt(0)
	s_barrier
	buffer_gl0_inv
	v_cmpx_gt_u32_e32 5, v0
	s_cbranch_execz .LBB52_35
; %bb.32:
	v_mov_b32_e32 v1, 0
	v_mov_b32_e32 v3, 0
	v_add_nc_u32_e32 v7, -1, v0
	v_add_nc_u32_e32 v8, 0x350, v217
	v_mov_b32_e32 v2, 0
	v_mov_b32_e32 v4, 0
	v_add_nc_u32_e32 v9, 16, v217
	s_mov_b32 s5, 0
	.p2align	6
.LBB52_33:                              ; =>This Inner Loop Header: Depth=1
	s_clause 0x3
	buffer_load_dword v14, v9, s[0:3], 0 offen offset:8
	buffer_load_dword v15, v9, s[0:3], 0 offen offset:12
	buffer_load_dword v16, v9, s[0:3], 0 offen
	buffer_load_dword v17, v9, s[0:3], 0 offen offset:4
	ds_read_b128 v[10:13], v8
	v_add_nc_u32_e32 v7, 1, v7
	v_add_nc_u32_e32 v8, 16, v8
	;; [unrolled: 1-line block ×3, first 2 shown]
	v_cmp_lt_u32_e32 vcc_lo, 3, v7
	s_or_b32 s5, vcc_lo, s5
	s_waitcnt vmcnt(2) lgkmcnt(0)
	v_mul_f64 v[18:19], v[12:13], v[14:15]
	v_mul_f64 v[14:15], v[10:11], v[14:15]
	s_waitcnt vmcnt(0)
	v_fma_f64 v[10:11], v[10:11], v[16:17], -v[18:19]
	v_fma_f64 v[12:13], v[12:13], v[16:17], v[14:15]
	v_add_f64 v[3:4], v[3:4], v[10:11]
	v_add_f64 v[1:2], v[1:2], v[12:13]
	s_andn2_b32 exec_lo, exec_lo, s5
	s_cbranch_execnz .LBB52_33
; %bb.34:
	s_or_b32 exec_lo, exec_lo, s5
	v_mov_b32_e32 v7, 0
	ds_read_b128 v[7:10], v7 offset:80
	s_waitcnt lgkmcnt(0)
	v_mul_f64 v[11:12], v[1:2], v[9:10]
	v_mul_f64 v[9:10], v[3:4], v[9:10]
	v_fma_f64 v[3:4], v[3:4], v[7:8], -v[11:12]
	v_fma_f64 v[1:2], v[1:2], v[7:8], v[9:10]
	buffer_store_dword v4, off, s[0:3], 0 offset:100
	buffer_store_dword v3, off, s[0:3], 0 offset:96
	;; [unrolled: 1-line block ×4, first 2 shown]
.LBB52_35:
	s_or_b32 exec_lo, exec_lo, s4
	v_mov_b32_e32 v4, s59
	s_waitcnt_vscnt null, 0x0
	s_barrier
	buffer_gl0_inv
	s_mov_b32 s4, exec_lo
	s_clause 0x3
	buffer_load_dword v1, v4, s[0:3], 0 offen
	buffer_load_dword v2, v4, s[0:3], 0 offen offset:4
	buffer_load_dword v3, v4, s[0:3], 0 offen offset:8
	;; [unrolled: 1-line block ×3, first 2 shown]
	s_waitcnt vmcnt(0)
	ds_write_b128 v5, v[1:4]
	s_waitcnt lgkmcnt(0)
	s_barrier
	buffer_gl0_inv
	v_cmpx_gt_u32_e32 6, v0
	s_cbranch_execz .LBB52_39
; %bb.36:
	v_mov_b32_e32 v1, 0
	v_mov_b32_e32 v3, 0
	v_add_nc_u32_e32 v7, -1, v0
	v_add_nc_u32_e32 v8, 0x350, v217
	v_mov_b32_e32 v2, 0
	v_mov_b32_e32 v4, 0
	v_add_nc_u32_e32 v9, 16, v217
	s_mov_b32 s5, 0
	.p2align	6
.LBB52_37:                              ; =>This Inner Loop Header: Depth=1
	s_clause 0x3
	buffer_load_dword v14, v9, s[0:3], 0 offen offset:8
	buffer_load_dword v15, v9, s[0:3], 0 offen offset:12
	buffer_load_dword v16, v9, s[0:3], 0 offen
	buffer_load_dword v17, v9, s[0:3], 0 offen offset:4
	ds_read_b128 v[10:13], v8
	v_add_nc_u32_e32 v7, 1, v7
	v_add_nc_u32_e32 v8, 16, v8
	;; [unrolled: 1-line block ×3, first 2 shown]
	v_cmp_lt_u32_e32 vcc_lo, 4, v7
	s_or_b32 s5, vcc_lo, s5
	s_waitcnt vmcnt(2) lgkmcnt(0)
	v_mul_f64 v[18:19], v[12:13], v[14:15]
	v_mul_f64 v[14:15], v[10:11], v[14:15]
	s_waitcnt vmcnt(0)
	v_fma_f64 v[10:11], v[10:11], v[16:17], -v[18:19]
	v_fma_f64 v[12:13], v[12:13], v[16:17], v[14:15]
	v_add_f64 v[3:4], v[3:4], v[10:11]
	v_add_f64 v[1:2], v[1:2], v[12:13]
	s_andn2_b32 exec_lo, exec_lo, s5
	s_cbranch_execnz .LBB52_37
; %bb.38:
	s_or_b32 exec_lo, exec_lo, s5
	v_mov_b32_e32 v7, 0
	ds_read_b128 v[7:10], v7 offset:96
	s_waitcnt lgkmcnt(0)
	v_mul_f64 v[11:12], v[1:2], v[9:10]
	v_mul_f64 v[9:10], v[3:4], v[9:10]
	v_fma_f64 v[3:4], v[3:4], v[7:8], -v[11:12]
	v_fma_f64 v[1:2], v[1:2], v[7:8], v[9:10]
	buffer_store_dword v4, off, s[0:3], 0 offset:116
	buffer_store_dword v3, off, s[0:3], 0 offset:112
	;; [unrolled: 1-line block ×4, first 2 shown]
.LBB52_39:
	s_or_b32 exec_lo, exec_lo, s4
	v_mov_b32_e32 v4, s58
	s_waitcnt_vscnt null, 0x0
	s_barrier
	buffer_gl0_inv
	s_mov_b32 s4, exec_lo
	s_clause 0x3
	buffer_load_dword v1, v4, s[0:3], 0 offen
	buffer_load_dword v2, v4, s[0:3], 0 offen offset:4
	buffer_load_dword v3, v4, s[0:3], 0 offen offset:8
	buffer_load_dword v4, v4, s[0:3], 0 offen offset:12
	s_waitcnt vmcnt(0)
	ds_write_b128 v5, v[1:4]
	s_waitcnt lgkmcnt(0)
	s_barrier
	buffer_gl0_inv
	v_cmpx_gt_u32_e32 7, v0
	s_cbranch_execz .LBB52_43
; %bb.40:
	v_mov_b32_e32 v1, 0
	v_mov_b32_e32 v3, 0
	v_add_nc_u32_e32 v7, -1, v0
	v_add_nc_u32_e32 v8, 0x350, v217
	v_mov_b32_e32 v2, 0
	v_mov_b32_e32 v4, 0
	v_add_nc_u32_e32 v9, 16, v217
	s_mov_b32 s5, 0
	.p2align	6
.LBB52_41:                              ; =>This Inner Loop Header: Depth=1
	s_clause 0x3
	buffer_load_dword v14, v9, s[0:3], 0 offen offset:8
	buffer_load_dword v15, v9, s[0:3], 0 offen offset:12
	buffer_load_dword v16, v9, s[0:3], 0 offen
	buffer_load_dword v17, v9, s[0:3], 0 offen offset:4
	ds_read_b128 v[10:13], v8
	v_add_nc_u32_e32 v7, 1, v7
	v_add_nc_u32_e32 v8, 16, v8
	;; [unrolled: 1-line block ×3, first 2 shown]
	v_cmp_lt_u32_e32 vcc_lo, 5, v7
	s_or_b32 s5, vcc_lo, s5
	s_waitcnt vmcnt(2) lgkmcnt(0)
	v_mul_f64 v[18:19], v[12:13], v[14:15]
	v_mul_f64 v[14:15], v[10:11], v[14:15]
	s_waitcnt vmcnt(0)
	v_fma_f64 v[10:11], v[10:11], v[16:17], -v[18:19]
	v_fma_f64 v[12:13], v[12:13], v[16:17], v[14:15]
	v_add_f64 v[3:4], v[3:4], v[10:11]
	v_add_f64 v[1:2], v[1:2], v[12:13]
	s_andn2_b32 exec_lo, exec_lo, s5
	s_cbranch_execnz .LBB52_41
; %bb.42:
	s_or_b32 exec_lo, exec_lo, s5
	v_mov_b32_e32 v7, 0
	ds_read_b128 v[7:10], v7 offset:112
	s_waitcnt lgkmcnt(0)
	v_mul_f64 v[11:12], v[1:2], v[9:10]
	v_mul_f64 v[9:10], v[3:4], v[9:10]
	v_fma_f64 v[3:4], v[3:4], v[7:8], -v[11:12]
	v_fma_f64 v[1:2], v[1:2], v[7:8], v[9:10]
	buffer_store_dword v4, off, s[0:3], 0 offset:132
	buffer_store_dword v3, off, s[0:3], 0 offset:128
	;; [unrolled: 1-line block ×4, first 2 shown]
.LBB52_43:
	s_or_b32 exec_lo, exec_lo, s4
	v_mov_b32_e32 v4, s57
	s_waitcnt_vscnt null, 0x0
	s_barrier
	buffer_gl0_inv
	s_mov_b32 s4, exec_lo
	s_clause 0x3
	buffer_load_dword v1, v4, s[0:3], 0 offen
	buffer_load_dword v2, v4, s[0:3], 0 offen offset:4
	buffer_load_dword v3, v4, s[0:3], 0 offen offset:8
	;; [unrolled: 1-line block ×3, first 2 shown]
	s_waitcnt vmcnt(0)
	ds_write_b128 v5, v[1:4]
	s_waitcnt lgkmcnt(0)
	s_barrier
	buffer_gl0_inv
	v_cmpx_gt_u32_e32 8, v0
	s_cbranch_execz .LBB52_47
; %bb.44:
	v_mov_b32_e32 v1, 0
	v_mov_b32_e32 v3, 0
	v_add_nc_u32_e32 v7, -1, v0
	v_add_nc_u32_e32 v8, 0x350, v217
	v_mov_b32_e32 v2, 0
	v_mov_b32_e32 v4, 0
	v_add_nc_u32_e32 v9, 16, v217
	s_mov_b32 s5, 0
	.p2align	6
.LBB52_45:                              ; =>This Inner Loop Header: Depth=1
	s_clause 0x3
	buffer_load_dword v14, v9, s[0:3], 0 offen offset:8
	buffer_load_dword v15, v9, s[0:3], 0 offen offset:12
	buffer_load_dword v16, v9, s[0:3], 0 offen
	buffer_load_dword v17, v9, s[0:3], 0 offen offset:4
	ds_read_b128 v[10:13], v8
	v_add_nc_u32_e32 v7, 1, v7
	v_add_nc_u32_e32 v8, 16, v8
	;; [unrolled: 1-line block ×3, first 2 shown]
	v_cmp_lt_u32_e32 vcc_lo, 6, v7
	s_or_b32 s5, vcc_lo, s5
	s_waitcnt vmcnt(2) lgkmcnt(0)
	v_mul_f64 v[18:19], v[12:13], v[14:15]
	v_mul_f64 v[14:15], v[10:11], v[14:15]
	s_waitcnt vmcnt(0)
	v_fma_f64 v[10:11], v[10:11], v[16:17], -v[18:19]
	v_fma_f64 v[12:13], v[12:13], v[16:17], v[14:15]
	v_add_f64 v[3:4], v[3:4], v[10:11]
	v_add_f64 v[1:2], v[1:2], v[12:13]
	s_andn2_b32 exec_lo, exec_lo, s5
	s_cbranch_execnz .LBB52_45
; %bb.46:
	s_or_b32 exec_lo, exec_lo, s5
	v_mov_b32_e32 v7, 0
	ds_read_b128 v[7:10], v7 offset:128
	s_waitcnt lgkmcnt(0)
	v_mul_f64 v[11:12], v[1:2], v[9:10]
	v_mul_f64 v[9:10], v[3:4], v[9:10]
	v_fma_f64 v[3:4], v[3:4], v[7:8], -v[11:12]
	v_fma_f64 v[1:2], v[1:2], v[7:8], v[9:10]
	buffer_store_dword v4, off, s[0:3], 0 offset:148
	buffer_store_dword v3, off, s[0:3], 0 offset:144
	;; [unrolled: 1-line block ×4, first 2 shown]
.LBB52_47:
	s_or_b32 exec_lo, exec_lo, s4
	v_mov_b32_e32 v4, s56
	s_waitcnt_vscnt null, 0x0
	s_barrier
	buffer_gl0_inv
	s_mov_b32 s4, exec_lo
	s_clause 0x3
	buffer_load_dword v1, v4, s[0:3], 0 offen
	buffer_load_dword v2, v4, s[0:3], 0 offen offset:4
	buffer_load_dword v3, v4, s[0:3], 0 offen offset:8
	;; [unrolled: 1-line block ×3, first 2 shown]
	s_waitcnt vmcnt(0)
	ds_write_b128 v5, v[1:4]
	s_waitcnt lgkmcnt(0)
	s_barrier
	buffer_gl0_inv
	v_cmpx_gt_u32_e32 9, v0
	s_cbranch_execz .LBB52_51
; %bb.48:
	v_mov_b32_e32 v1, 0
	v_mov_b32_e32 v3, 0
	v_add_nc_u32_e32 v7, -1, v0
	v_add_nc_u32_e32 v8, 0x350, v217
	v_mov_b32_e32 v2, 0
	v_mov_b32_e32 v4, 0
	v_add_nc_u32_e32 v9, 16, v217
	s_mov_b32 s5, 0
	.p2align	6
.LBB52_49:                              ; =>This Inner Loop Header: Depth=1
	s_clause 0x3
	buffer_load_dword v14, v9, s[0:3], 0 offen offset:8
	buffer_load_dword v15, v9, s[0:3], 0 offen offset:12
	buffer_load_dword v16, v9, s[0:3], 0 offen
	buffer_load_dword v17, v9, s[0:3], 0 offen offset:4
	ds_read_b128 v[10:13], v8
	v_add_nc_u32_e32 v7, 1, v7
	v_add_nc_u32_e32 v8, 16, v8
	;; [unrolled: 1-line block ×3, first 2 shown]
	v_cmp_lt_u32_e32 vcc_lo, 7, v7
	s_or_b32 s5, vcc_lo, s5
	s_waitcnt vmcnt(2) lgkmcnt(0)
	v_mul_f64 v[18:19], v[12:13], v[14:15]
	v_mul_f64 v[14:15], v[10:11], v[14:15]
	s_waitcnt vmcnt(0)
	v_fma_f64 v[10:11], v[10:11], v[16:17], -v[18:19]
	v_fma_f64 v[12:13], v[12:13], v[16:17], v[14:15]
	v_add_f64 v[3:4], v[3:4], v[10:11]
	v_add_f64 v[1:2], v[1:2], v[12:13]
	s_andn2_b32 exec_lo, exec_lo, s5
	s_cbranch_execnz .LBB52_49
; %bb.50:
	s_or_b32 exec_lo, exec_lo, s5
	v_mov_b32_e32 v7, 0
	ds_read_b128 v[7:10], v7 offset:144
	s_waitcnt lgkmcnt(0)
	v_mul_f64 v[11:12], v[1:2], v[9:10]
	v_mul_f64 v[9:10], v[3:4], v[9:10]
	v_fma_f64 v[3:4], v[3:4], v[7:8], -v[11:12]
	v_fma_f64 v[1:2], v[1:2], v[7:8], v[9:10]
	buffer_store_dword v4, off, s[0:3], 0 offset:164
	buffer_store_dword v3, off, s[0:3], 0 offset:160
	;; [unrolled: 1-line block ×4, first 2 shown]
.LBB52_51:
	s_or_b32 exec_lo, exec_lo, s4
	v_mov_b32_e32 v4, s55
	s_waitcnt_vscnt null, 0x0
	s_barrier
	buffer_gl0_inv
	s_mov_b32 s4, exec_lo
	s_clause 0x3
	buffer_load_dword v1, v4, s[0:3], 0 offen
	buffer_load_dword v2, v4, s[0:3], 0 offen offset:4
	buffer_load_dword v3, v4, s[0:3], 0 offen offset:8
	;; [unrolled: 1-line block ×3, first 2 shown]
	s_waitcnt vmcnt(0)
	ds_write_b128 v5, v[1:4]
	s_waitcnt lgkmcnt(0)
	s_barrier
	buffer_gl0_inv
	v_cmpx_gt_u32_e32 10, v0
	s_cbranch_execz .LBB52_55
; %bb.52:
	v_mov_b32_e32 v1, 0
	v_mov_b32_e32 v3, 0
	v_add_nc_u32_e32 v7, -1, v0
	v_add_nc_u32_e32 v8, 0x350, v217
	v_mov_b32_e32 v2, 0
	v_mov_b32_e32 v4, 0
	v_add_nc_u32_e32 v9, 16, v217
	s_mov_b32 s5, 0
	.p2align	6
.LBB52_53:                              ; =>This Inner Loop Header: Depth=1
	s_clause 0x3
	buffer_load_dword v14, v9, s[0:3], 0 offen offset:8
	buffer_load_dword v15, v9, s[0:3], 0 offen offset:12
	buffer_load_dword v16, v9, s[0:3], 0 offen
	buffer_load_dword v17, v9, s[0:3], 0 offen offset:4
	ds_read_b128 v[10:13], v8
	v_add_nc_u32_e32 v7, 1, v7
	v_add_nc_u32_e32 v8, 16, v8
	;; [unrolled: 1-line block ×3, first 2 shown]
	v_cmp_lt_u32_e32 vcc_lo, 8, v7
	s_or_b32 s5, vcc_lo, s5
	s_waitcnt vmcnt(2) lgkmcnt(0)
	v_mul_f64 v[18:19], v[12:13], v[14:15]
	v_mul_f64 v[14:15], v[10:11], v[14:15]
	s_waitcnt vmcnt(0)
	v_fma_f64 v[10:11], v[10:11], v[16:17], -v[18:19]
	v_fma_f64 v[12:13], v[12:13], v[16:17], v[14:15]
	v_add_f64 v[3:4], v[3:4], v[10:11]
	v_add_f64 v[1:2], v[1:2], v[12:13]
	s_andn2_b32 exec_lo, exec_lo, s5
	s_cbranch_execnz .LBB52_53
; %bb.54:
	s_or_b32 exec_lo, exec_lo, s5
	v_mov_b32_e32 v7, 0
	ds_read_b128 v[7:10], v7 offset:160
	s_waitcnt lgkmcnt(0)
	v_mul_f64 v[11:12], v[1:2], v[9:10]
	v_mul_f64 v[9:10], v[3:4], v[9:10]
	v_fma_f64 v[3:4], v[3:4], v[7:8], -v[11:12]
	v_fma_f64 v[1:2], v[1:2], v[7:8], v[9:10]
	buffer_store_dword v4, off, s[0:3], 0 offset:180
	buffer_store_dword v3, off, s[0:3], 0 offset:176
	;; [unrolled: 1-line block ×4, first 2 shown]
.LBB52_55:
	s_or_b32 exec_lo, exec_lo, s4
	v_mov_b32_e32 v4, s54
	s_waitcnt_vscnt null, 0x0
	s_barrier
	buffer_gl0_inv
	s_mov_b32 s4, exec_lo
	s_clause 0x3
	buffer_load_dword v1, v4, s[0:3], 0 offen
	buffer_load_dword v2, v4, s[0:3], 0 offen offset:4
	buffer_load_dword v3, v4, s[0:3], 0 offen offset:8
	;; [unrolled: 1-line block ×3, first 2 shown]
	s_waitcnt vmcnt(0)
	ds_write_b128 v5, v[1:4]
	s_waitcnt lgkmcnt(0)
	s_barrier
	buffer_gl0_inv
	v_cmpx_gt_u32_e32 11, v0
	s_cbranch_execz .LBB52_59
; %bb.56:
	v_mov_b32_e32 v1, 0
	v_mov_b32_e32 v3, 0
	v_add_nc_u32_e32 v7, -1, v0
	v_add_nc_u32_e32 v8, 0x350, v217
	v_mov_b32_e32 v2, 0
	v_mov_b32_e32 v4, 0
	v_add_nc_u32_e32 v9, 16, v217
	s_mov_b32 s5, 0
	.p2align	6
.LBB52_57:                              ; =>This Inner Loop Header: Depth=1
	s_clause 0x3
	buffer_load_dword v14, v9, s[0:3], 0 offen offset:8
	buffer_load_dword v15, v9, s[0:3], 0 offen offset:12
	buffer_load_dword v16, v9, s[0:3], 0 offen
	buffer_load_dword v17, v9, s[0:3], 0 offen offset:4
	ds_read_b128 v[10:13], v8
	v_add_nc_u32_e32 v7, 1, v7
	v_add_nc_u32_e32 v8, 16, v8
	;; [unrolled: 1-line block ×3, first 2 shown]
	v_cmp_lt_u32_e32 vcc_lo, 9, v7
	s_or_b32 s5, vcc_lo, s5
	s_waitcnt vmcnt(2) lgkmcnt(0)
	v_mul_f64 v[18:19], v[12:13], v[14:15]
	v_mul_f64 v[14:15], v[10:11], v[14:15]
	s_waitcnt vmcnt(0)
	v_fma_f64 v[10:11], v[10:11], v[16:17], -v[18:19]
	v_fma_f64 v[12:13], v[12:13], v[16:17], v[14:15]
	v_add_f64 v[3:4], v[3:4], v[10:11]
	v_add_f64 v[1:2], v[1:2], v[12:13]
	s_andn2_b32 exec_lo, exec_lo, s5
	s_cbranch_execnz .LBB52_57
; %bb.58:
	s_or_b32 exec_lo, exec_lo, s5
	v_mov_b32_e32 v7, 0
	ds_read_b128 v[7:10], v7 offset:176
	s_waitcnt lgkmcnt(0)
	v_mul_f64 v[11:12], v[1:2], v[9:10]
	v_mul_f64 v[9:10], v[3:4], v[9:10]
	v_fma_f64 v[3:4], v[3:4], v[7:8], -v[11:12]
	v_fma_f64 v[1:2], v[1:2], v[7:8], v[9:10]
	buffer_store_dword v4, off, s[0:3], 0 offset:196
	buffer_store_dword v3, off, s[0:3], 0 offset:192
	;; [unrolled: 1-line block ×4, first 2 shown]
.LBB52_59:
	s_or_b32 exec_lo, exec_lo, s4
	v_mov_b32_e32 v4, s53
	s_waitcnt_vscnt null, 0x0
	s_barrier
	buffer_gl0_inv
	s_mov_b32 s4, exec_lo
	s_clause 0x3
	buffer_load_dword v1, v4, s[0:3], 0 offen
	buffer_load_dword v2, v4, s[0:3], 0 offen offset:4
	buffer_load_dword v3, v4, s[0:3], 0 offen offset:8
	;; [unrolled: 1-line block ×3, first 2 shown]
	s_waitcnt vmcnt(0)
	ds_write_b128 v5, v[1:4]
	s_waitcnt lgkmcnt(0)
	s_barrier
	buffer_gl0_inv
	v_cmpx_gt_u32_e32 12, v0
	s_cbranch_execz .LBB52_63
; %bb.60:
	v_mov_b32_e32 v1, 0
	v_mov_b32_e32 v3, 0
	v_add_nc_u32_e32 v7, -1, v0
	v_add_nc_u32_e32 v8, 0x350, v217
	v_mov_b32_e32 v2, 0
	v_mov_b32_e32 v4, 0
	v_add_nc_u32_e32 v9, 16, v217
	s_mov_b32 s5, 0
	.p2align	6
.LBB52_61:                              ; =>This Inner Loop Header: Depth=1
	s_clause 0x3
	buffer_load_dword v14, v9, s[0:3], 0 offen offset:8
	buffer_load_dword v15, v9, s[0:3], 0 offen offset:12
	buffer_load_dword v16, v9, s[0:3], 0 offen
	buffer_load_dword v17, v9, s[0:3], 0 offen offset:4
	ds_read_b128 v[10:13], v8
	v_add_nc_u32_e32 v7, 1, v7
	v_add_nc_u32_e32 v8, 16, v8
	;; [unrolled: 1-line block ×3, first 2 shown]
	v_cmp_lt_u32_e32 vcc_lo, 10, v7
	s_or_b32 s5, vcc_lo, s5
	s_waitcnt vmcnt(2) lgkmcnt(0)
	v_mul_f64 v[18:19], v[12:13], v[14:15]
	v_mul_f64 v[14:15], v[10:11], v[14:15]
	s_waitcnt vmcnt(0)
	v_fma_f64 v[10:11], v[10:11], v[16:17], -v[18:19]
	v_fma_f64 v[12:13], v[12:13], v[16:17], v[14:15]
	v_add_f64 v[3:4], v[3:4], v[10:11]
	v_add_f64 v[1:2], v[1:2], v[12:13]
	s_andn2_b32 exec_lo, exec_lo, s5
	s_cbranch_execnz .LBB52_61
; %bb.62:
	s_or_b32 exec_lo, exec_lo, s5
	v_mov_b32_e32 v7, 0
	ds_read_b128 v[7:10], v7 offset:192
	s_waitcnt lgkmcnt(0)
	v_mul_f64 v[11:12], v[1:2], v[9:10]
	v_mul_f64 v[9:10], v[3:4], v[9:10]
	v_fma_f64 v[3:4], v[3:4], v[7:8], -v[11:12]
	v_fma_f64 v[1:2], v[1:2], v[7:8], v[9:10]
	buffer_store_dword v4, off, s[0:3], 0 offset:212
	buffer_store_dword v3, off, s[0:3], 0 offset:208
	;; [unrolled: 1-line block ×4, first 2 shown]
.LBB52_63:
	s_or_b32 exec_lo, exec_lo, s4
	v_mov_b32_e32 v4, s52
	s_waitcnt_vscnt null, 0x0
	s_barrier
	buffer_gl0_inv
	s_mov_b32 s4, exec_lo
	s_clause 0x3
	buffer_load_dword v1, v4, s[0:3], 0 offen
	buffer_load_dword v2, v4, s[0:3], 0 offen offset:4
	buffer_load_dword v3, v4, s[0:3], 0 offen offset:8
	;; [unrolled: 1-line block ×3, first 2 shown]
	s_waitcnt vmcnt(0)
	ds_write_b128 v5, v[1:4]
	s_waitcnt lgkmcnt(0)
	s_barrier
	buffer_gl0_inv
	v_cmpx_gt_u32_e32 13, v0
	s_cbranch_execz .LBB52_67
; %bb.64:
	v_mov_b32_e32 v1, 0
	v_mov_b32_e32 v3, 0
	v_add_nc_u32_e32 v7, -1, v0
	v_add_nc_u32_e32 v8, 0x350, v217
	v_mov_b32_e32 v2, 0
	v_mov_b32_e32 v4, 0
	v_add_nc_u32_e32 v9, 16, v217
	s_mov_b32 s5, 0
	.p2align	6
.LBB52_65:                              ; =>This Inner Loop Header: Depth=1
	s_clause 0x3
	buffer_load_dword v14, v9, s[0:3], 0 offen offset:8
	buffer_load_dword v15, v9, s[0:3], 0 offen offset:12
	buffer_load_dword v16, v9, s[0:3], 0 offen
	buffer_load_dword v17, v9, s[0:3], 0 offen offset:4
	ds_read_b128 v[10:13], v8
	v_add_nc_u32_e32 v7, 1, v7
	v_add_nc_u32_e32 v8, 16, v8
	;; [unrolled: 1-line block ×3, first 2 shown]
	v_cmp_lt_u32_e32 vcc_lo, 11, v7
	s_or_b32 s5, vcc_lo, s5
	s_waitcnt vmcnt(2) lgkmcnt(0)
	v_mul_f64 v[18:19], v[12:13], v[14:15]
	v_mul_f64 v[14:15], v[10:11], v[14:15]
	s_waitcnt vmcnt(0)
	v_fma_f64 v[10:11], v[10:11], v[16:17], -v[18:19]
	v_fma_f64 v[12:13], v[12:13], v[16:17], v[14:15]
	v_add_f64 v[3:4], v[3:4], v[10:11]
	v_add_f64 v[1:2], v[1:2], v[12:13]
	s_andn2_b32 exec_lo, exec_lo, s5
	s_cbranch_execnz .LBB52_65
; %bb.66:
	s_or_b32 exec_lo, exec_lo, s5
	v_mov_b32_e32 v7, 0
	ds_read_b128 v[7:10], v7 offset:208
	s_waitcnt lgkmcnt(0)
	v_mul_f64 v[11:12], v[1:2], v[9:10]
	v_mul_f64 v[9:10], v[3:4], v[9:10]
	v_fma_f64 v[3:4], v[3:4], v[7:8], -v[11:12]
	v_fma_f64 v[1:2], v[1:2], v[7:8], v[9:10]
	buffer_store_dword v4, off, s[0:3], 0 offset:228
	buffer_store_dword v3, off, s[0:3], 0 offset:224
	;; [unrolled: 1-line block ×4, first 2 shown]
.LBB52_67:
	s_or_b32 exec_lo, exec_lo, s4
	v_mov_b32_e32 v4, s51
	s_waitcnt_vscnt null, 0x0
	s_barrier
	buffer_gl0_inv
	s_mov_b32 s4, exec_lo
	s_clause 0x3
	buffer_load_dword v1, v4, s[0:3], 0 offen
	buffer_load_dword v2, v4, s[0:3], 0 offen offset:4
	buffer_load_dword v3, v4, s[0:3], 0 offen offset:8
	;; [unrolled: 1-line block ×3, first 2 shown]
	s_waitcnt vmcnt(0)
	ds_write_b128 v5, v[1:4]
	s_waitcnt lgkmcnt(0)
	s_barrier
	buffer_gl0_inv
	v_cmpx_gt_u32_e32 14, v0
	s_cbranch_execz .LBB52_71
; %bb.68:
	v_mov_b32_e32 v1, 0
	v_mov_b32_e32 v3, 0
	v_add_nc_u32_e32 v7, -1, v0
	v_add_nc_u32_e32 v8, 0x350, v217
	v_mov_b32_e32 v2, 0
	v_mov_b32_e32 v4, 0
	v_add_nc_u32_e32 v9, 16, v217
	s_mov_b32 s5, 0
	.p2align	6
.LBB52_69:                              ; =>This Inner Loop Header: Depth=1
	s_clause 0x3
	buffer_load_dword v14, v9, s[0:3], 0 offen offset:8
	buffer_load_dword v15, v9, s[0:3], 0 offen offset:12
	buffer_load_dword v16, v9, s[0:3], 0 offen
	buffer_load_dword v17, v9, s[0:3], 0 offen offset:4
	ds_read_b128 v[10:13], v8
	v_add_nc_u32_e32 v7, 1, v7
	v_add_nc_u32_e32 v8, 16, v8
	;; [unrolled: 1-line block ×3, first 2 shown]
	v_cmp_lt_u32_e32 vcc_lo, 12, v7
	s_or_b32 s5, vcc_lo, s5
	s_waitcnt vmcnt(2) lgkmcnt(0)
	v_mul_f64 v[18:19], v[12:13], v[14:15]
	v_mul_f64 v[14:15], v[10:11], v[14:15]
	s_waitcnt vmcnt(0)
	v_fma_f64 v[10:11], v[10:11], v[16:17], -v[18:19]
	v_fma_f64 v[12:13], v[12:13], v[16:17], v[14:15]
	v_add_f64 v[3:4], v[3:4], v[10:11]
	v_add_f64 v[1:2], v[1:2], v[12:13]
	s_andn2_b32 exec_lo, exec_lo, s5
	s_cbranch_execnz .LBB52_69
; %bb.70:
	s_or_b32 exec_lo, exec_lo, s5
	v_mov_b32_e32 v7, 0
	ds_read_b128 v[7:10], v7 offset:224
	s_waitcnt lgkmcnt(0)
	v_mul_f64 v[11:12], v[1:2], v[9:10]
	v_mul_f64 v[9:10], v[3:4], v[9:10]
	v_fma_f64 v[3:4], v[3:4], v[7:8], -v[11:12]
	v_fma_f64 v[1:2], v[1:2], v[7:8], v[9:10]
	buffer_store_dword v4, off, s[0:3], 0 offset:244
	buffer_store_dword v3, off, s[0:3], 0 offset:240
	;; [unrolled: 1-line block ×4, first 2 shown]
.LBB52_71:
	s_or_b32 exec_lo, exec_lo, s4
	v_mov_b32_e32 v4, s50
	s_waitcnt_vscnt null, 0x0
	s_barrier
	buffer_gl0_inv
	s_mov_b32 s4, exec_lo
	s_clause 0x3
	buffer_load_dword v1, v4, s[0:3], 0 offen
	buffer_load_dword v2, v4, s[0:3], 0 offen offset:4
	buffer_load_dword v3, v4, s[0:3], 0 offen offset:8
	;; [unrolled: 1-line block ×3, first 2 shown]
	s_waitcnt vmcnt(0)
	ds_write_b128 v5, v[1:4]
	s_waitcnt lgkmcnt(0)
	s_barrier
	buffer_gl0_inv
	v_cmpx_gt_u32_e32 15, v0
	s_cbranch_execz .LBB52_75
; %bb.72:
	v_mov_b32_e32 v1, 0
	v_mov_b32_e32 v3, 0
	v_add_nc_u32_e32 v7, -1, v0
	v_add_nc_u32_e32 v8, 0x350, v217
	v_mov_b32_e32 v2, 0
	v_mov_b32_e32 v4, 0
	v_add_nc_u32_e32 v9, 16, v217
	s_mov_b32 s5, 0
	.p2align	6
.LBB52_73:                              ; =>This Inner Loop Header: Depth=1
	s_clause 0x3
	buffer_load_dword v14, v9, s[0:3], 0 offen offset:8
	buffer_load_dword v15, v9, s[0:3], 0 offen offset:12
	buffer_load_dword v16, v9, s[0:3], 0 offen
	buffer_load_dword v17, v9, s[0:3], 0 offen offset:4
	ds_read_b128 v[10:13], v8
	v_add_nc_u32_e32 v7, 1, v7
	v_add_nc_u32_e32 v8, 16, v8
	;; [unrolled: 1-line block ×3, first 2 shown]
	v_cmp_lt_u32_e32 vcc_lo, 13, v7
	s_or_b32 s5, vcc_lo, s5
	s_waitcnt vmcnt(2) lgkmcnt(0)
	v_mul_f64 v[18:19], v[12:13], v[14:15]
	v_mul_f64 v[14:15], v[10:11], v[14:15]
	s_waitcnt vmcnt(0)
	v_fma_f64 v[10:11], v[10:11], v[16:17], -v[18:19]
	v_fma_f64 v[12:13], v[12:13], v[16:17], v[14:15]
	v_add_f64 v[3:4], v[3:4], v[10:11]
	v_add_f64 v[1:2], v[1:2], v[12:13]
	s_andn2_b32 exec_lo, exec_lo, s5
	s_cbranch_execnz .LBB52_73
; %bb.74:
	s_or_b32 exec_lo, exec_lo, s5
	v_mov_b32_e32 v7, 0
	ds_read_b128 v[7:10], v7 offset:240
	s_waitcnt lgkmcnt(0)
	v_mul_f64 v[11:12], v[1:2], v[9:10]
	v_mul_f64 v[9:10], v[3:4], v[9:10]
	v_fma_f64 v[3:4], v[3:4], v[7:8], -v[11:12]
	v_fma_f64 v[1:2], v[1:2], v[7:8], v[9:10]
	buffer_store_dword v4, off, s[0:3], 0 offset:260
	buffer_store_dword v3, off, s[0:3], 0 offset:256
	;; [unrolled: 1-line block ×4, first 2 shown]
.LBB52_75:
	s_or_b32 exec_lo, exec_lo, s4
	v_mov_b32_e32 v4, s49
	s_waitcnt_vscnt null, 0x0
	s_barrier
	buffer_gl0_inv
	s_mov_b32 s4, exec_lo
	s_clause 0x3
	buffer_load_dword v1, v4, s[0:3], 0 offen
	buffer_load_dword v2, v4, s[0:3], 0 offen offset:4
	buffer_load_dword v3, v4, s[0:3], 0 offen offset:8
	;; [unrolled: 1-line block ×3, first 2 shown]
	s_waitcnt vmcnt(0)
	ds_write_b128 v5, v[1:4]
	s_waitcnt lgkmcnt(0)
	s_barrier
	buffer_gl0_inv
	v_cmpx_gt_u32_e32 16, v0
	s_cbranch_execz .LBB52_79
; %bb.76:
	v_mov_b32_e32 v1, 0
	v_mov_b32_e32 v3, 0
	v_add_nc_u32_e32 v7, -1, v0
	v_add_nc_u32_e32 v8, 0x350, v217
	v_mov_b32_e32 v2, 0
	v_mov_b32_e32 v4, 0
	v_add_nc_u32_e32 v9, 16, v217
	s_mov_b32 s5, 0
	.p2align	6
.LBB52_77:                              ; =>This Inner Loop Header: Depth=1
	s_clause 0x3
	buffer_load_dword v14, v9, s[0:3], 0 offen offset:8
	buffer_load_dword v15, v9, s[0:3], 0 offen offset:12
	buffer_load_dword v16, v9, s[0:3], 0 offen
	buffer_load_dword v17, v9, s[0:3], 0 offen offset:4
	ds_read_b128 v[10:13], v8
	v_add_nc_u32_e32 v7, 1, v7
	v_add_nc_u32_e32 v8, 16, v8
	;; [unrolled: 1-line block ×3, first 2 shown]
	v_cmp_lt_u32_e32 vcc_lo, 14, v7
	s_or_b32 s5, vcc_lo, s5
	s_waitcnt vmcnt(2) lgkmcnt(0)
	v_mul_f64 v[18:19], v[12:13], v[14:15]
	v_mul_f64 v[14:15], v[10:11], v[14:15]
	s_waitcnt vmcnt(0)
	v_fma_f64 v[10:11], v[10:11], v[16:17], -v[18:19]
	v_fma_f64 v[12:13], v[12:13], v[16:17], v[14:15]
	v_add_f64 v[3:4], v[3:4], v[10:11]
	v_add_f64 v[1:2], v[1:2], v[12:13]
	s_andn2_b32 exec_lo, exec_lo, s5
	s_cbranch_execnz .LBB52_77
; %bb.78:
	s_or_b32 exec_lo, exec_lo, s5
	v_mov_b32_e32 v7, 0
	ds_read_b128 v[7:10], v7 offset:256
	s_waitcnt lgkmcnt(0)
	v_mul_f64 v[11:12], v[1:2], v[9:10]
	v_mul_f64 v[9:10], v[3:4], v[9:10]
	v_fma_f64 v[3:4], v[3:4], v[7:8], -v[11:12]
	v_fma_f64 v[1:2], v[1:2], v[7:8], v[9:10]
	buffer_store_dword v4, off, s[0:3], 0 offset:276
	buffer_store_dword v3, off, s[0:3], 0 offset:272
	;; [unrolled: 1-line block ×4, first 2 shown]
.LBB52_79:
	s_or_b32 exec_lo, exec_lo, s4
	v_mov_b32_e32 v4, s48
	s_waitcnt_vscnt null, 0x0
	s_barrier
	buffer_gl0_inv
	s_mov_b32 s4, exec_lo
	s_clause 0x3
	buffer_load_dword v1, v4, s[0:3], 0 offen
	buffer_load_dword v2, v4, s[0:3], 0 offen offset:4
	buffer_load_dword v3, v4, s[0:3], 0 offen offset:8
	;; [unrolled: 1-line block ×3, first 2 shown]
	s_waitcnt vmcnt(0)
	ds_write_b128 v5, v[1:4]
	s_waitcnt lgkmcnt(0)
	s_barrier
	buffer_gl0_inv
	v_cmpx_gt_u32_e32 17, v0
	s_cbranch_execz .LBB52_83
; %bb.80:
	v_mov_b32_e32 v1, 0
	v_mov_b32_e32 v3, 0
	v_add_nc_u32_e32 v7, -1, v0
	v_add_nc_u32_e32 v8, 0x350, v217
	v_mov_b32_e32 v2, 0
	v_mov_b32_e32 v4, 0
	v_add_nc_u32_e32 v9, 16, v217
	s_mov_b32 s5, 0
	.p2align	6
.LBB52_81:                              ; =>This Inner Loop Header: Depth=1
	s_clause 0x3
	buffer_load_dword v14, v9, s[0:3], 0 offen offset:8
	buffer_load_dword v15, v9, s[0:3], 0 offen offset:12
	buffer_load_dword v16, v9, s[0:3], 0 offen
	buffer_load_dword v17, v9, s[0:3], 0 offen offset:4
	ds_read_b128 v[10:13], v8
	v_add_nc_u32_e32 v7, 1, v7
	v_add_nc_u32_e32 v8, 16, v8
	;; [unrolled: 1-line block ×3, first 2 shown]
	v_cmp_lt_u32_e32 vcc_lo, 15, v7
	s_or_b32 s5, vcc_lo, s5
	s_waitcnt vmcnt(2) lgkmcnt(0)
	v_mul_f64 v[18:19], v[12:13], v[14:15]
	v_mul_f64 v[14:15], v[10:11], v[14:15]
	s_waitcnt vmcnt(0)
	v_fma_f64 v[10:11], v[10:11], v[16:17], -v[18:19]
	v_fma_f64 v[12:13], v[12:13], v[16:17], v[14:15]
	v_add_f64 v[3:4], v[3:4], v[10:11]
	v_add_f64 v[1:2], v[1:2], v[12:13]
	s_andn2_b32 exec_lo, exec_lo, s5
	s_cbranch_execnz .LBB52_81
; %bb.82:
	s_or_b32 exec_lo, exec_lo, s5
	v_mov_b32_e32 v7, 0
	ds_read_b128 v[7:10], v7 offset:272
	s_waitcnt lgkmcnt(0)
	v_mul_f64 v[11:12], v[1:2], v[9:10]
	v_mul_f64 v[9:10], v[3:4], v[9:10]
	v_fma_f64 v[3:4], v[3:4], v[7:8], -v[11:12]
	v_fma_f64 v[1:2], v[1:2], v[7:8], v[9:10]
	buffer_store_dword v4, off, s[0:3], 0 offset:292
	buffer_store_dword v3, off, s[0:3], 0 offset:288
	;; [unrolled: 1-line block ×4, first 2 shown]
.LBB52_83:
	s_or_b32 exec_lo, exec_lo, s4
	v_mov_b32_e32 v4, s47
	s_waitcnt_vscnt null, 0x0
	s_barrier
	buffer_gl0_inv
	s_mov_b32 s4, exec_lo
	s_clause 0x3
	buffer_load_dword v1, v4, s[0:3], 0 offen
	buffer_load_dword v2, v4, s[0:3], 0 offen offset:4
	buffer_load_dword v3, v4, s[0:3], 0 offen offset:8
	;; [unrolled: 1-line block ×3, first 2 shown]
	s_waitcnt vmcnt(0)
	ds_write_b128 v5, v[1:4]
	s_waitcnt lgkmcnt(0)
	s_barrier
	buffer_gl0_inv
	v_cmpx_gt_u32_e32 18, v0
	s_cbranch_execz .LBB52_87
; %bb.84:
	v_mov_b32_e32 v1, 0
	v_mov_b32_e32 v3, 0
	v_add_nc_u32_e32 v7, -1, v0
	v_add_nc_u32_e32 v8, 0x350, v217
	v_mov_b32_e32 v2, 0
	v_mov_b32_e32 v4, 0
	v_add_nc_u32_e32 v9, 16, v217
	s_mov_b32 s5, 0
	.p2align	6
.LBB52_85:                              ; =>This Inner Loop Header: Depth=1
	s_clause 0x3
	buffer_load_dword v14, v9, s[0:3], 0 offen offset:8
	buffer_load_dword v15, v9, s[0:3], 0 offen offset:12
	buffer_load_dword v16, v9, s[0:3], 0 offen
	buffer_load_dword v17, v9, s[0:3], 0 offen offset:4
	ds_read_b128 v[10:13], v8
	v_add_nc_u32_e32 v7, 1, v7
	v_add_nc_u32_e32 v8, 16, v8
	;; [unrolled: 1-line block ×3, first 2 shown]
	v_cmp_lt_u32_e32 vcc_lo, 16, v7
	s_or_b32 s5, vcc_lo, s5
	s_waitcnt vmcnt(2) lgkmcnt(0)
	v_mul_f64 v[18:19], v[12:13], v[14:15]
	v_mul_f64 v[14:15], v[10:11], v[14:15]
	s_waitcnt vmcnt(0)
	v_fma_f64 v[10:11], v[10:11], v[16:17], -v[18:19]
	v_fma_f64 v[12:13], v[12:13], v[16:17], v[14:15]
	v_add_f64 v[3:4], v[3:4], v[10:11]
	v_add_f64 v[1:2], v[1:2], v[12:13]
	s_andn2_b32 exec_lo, exec_lo, s5
	s_cbranch_execnz .LBB52_85
; %bb.86:
	s_or_b32 exec_lo, exec_lo, s5
	v_mov_b32_e32 v7, 0
	ds_read_b128 v[7:10], v7 offset:288
	s_waitcnt lgkmcnt(0)
	v_mul_f64 v[11:12], v[1:2], v[9:10]
	v_mul_f64 v[9:10], v[3:4], v[9:10]
	v_fma_f64 v[3:4], v[3:4], v[7:8], -v[11:12]
	v_fma_f64 v[1:2], v[1:2], v[7:8], v[9:10]
	buffer_store_dword v4, off, s[0:3], 0 offset:308
	buffer_store_dword v3, off, s[0:3], 0 offset:304
	;; [unrolled: 1-line block ×4, first 2 shown]
.LBB52_87:
	s_or_b32 exec_lo, exec_lo, s4
	v_mov_b32_e32 v4, s46
	s_waitcnt_vscnt null, 0x0
	s_barrier
	buffer_gl0_inv
	s_mov_b32 s4, exec_lo
	s_clause 0x3
	buffer_load_dword v1, v4, s[0:3], 0 offen
	buffer_load_dword v2, v4, s[0:3], 0 offen offset:4
	buffer_load_dword v3, v4, s[0:3], 0 offen offset:8
	;; [unrolled: 1-line block ×3, first 2 shown]
	s_waitcnt vmcnt(0)
	ds_write_b128 v5, v[1:4]
	s_waitcnt lgkmcnt(0)
	s_barrier
	buffer_gl0_inv
	v_cmpx_gt_u32_e32 19, v0
	s_cbranch_execz .LBB52_91
; %bb.88:
	v_mov_b32_e32 v1, 0
	v_mov_b32_e32 v3, 0
	v_add_nc_u32_e32 v7, -1, v0
	v_add_nc_u32_e32 v8, 0x350, v217
	v_mov_b32_e32 v2, 0
	v_mov_b32_e32 v4, 0
	v_add_nc_u32_e32 v9, 16, v217
	s_mov_b32 s5, 0
	.p2align	6
.LBB52_89:                              ; =>This Inner Loop Header: Depth=1
	s_clause 0x3
	buffer_load_dword v14, v9, s[0:3], 0 offen offset:8
	buffer_load_dword v15, v9, s[0:3], 0 offen offset:12
	buffer_load_dword v16, v9, s[0:3], 0 offen
	buffer_load_dword v17, v9, s[0:3], 0 offen offset:4
	ds_read_b128 v[10:13], v8
	v_add_nc_u32_e32 v7, 1, v7
	v_add_nc_u32_e32 v8, 16, v8
	;; [unrolled: 1-line block ×3, first 2 shown]
	v_cmp_lt_u32_e32 vcc_lo, 17, v7
	s_or_b32 s5, vcc_lo, s5
	s_waitcnt vmcnt(2) lgkmcnt(0)
	v_mul_f64 v[18:19], v[12:13], v[14:15]
	v_mul_f64 v[14:15], v[10:11], v[14:15]
	s_waitcnt vmcnt(0)
	v_fma_f64 v[10:11], v[10:11], v[16:17], -v[18:19]
	v_fma_f64 v[12:13], v[12:13], v[16:17], v[14:15]
	v_add_f64 v[3:4], v[3:4], v[10:11]
	v_add_f64 v[1:2], v[1:2], v[12:13]
	s_andn2_b32 exec_lo, exec_lo, s5
	s_cbranch_execnz .LBB52_89
; %bb.90:
	s_or_b32 exec_lo, exec_lo, s5
	v_mov_b32_e32 v7, 0
	ds_read_b128 v[7:10], v7 offset:304
	s_waitcnt lgkmcnt(0)
	v_mul_f64 v[11:12], v[1:2], v[9:10]
	v_mul_f64 v[9:10], v[3:4], v[9:10]
	v_fma_f64 v[3:4], v[3:4], v[7:8], -v[11:12]
	v_fma_f64 v[1:2], v[1:2], v[7:8], v[9:10]
	buffer_store_dword v4, off, s[0:3], 0 offset:324
	buffer_store_dword v3, off, s[0:3], 0 offset:320
	;; [unrolled: 1-line block ×4, first 2 shown]
.LBB52_91:
	s_or_b32 exec_lo, exec_lo, s4
	v_mov_b32_e32 v4, s45
	s_waitcnt_vscnt null, 0x0
	s_barrier
	buffer_gl0_inv
	s_mov_b32 s4, exec_lo
	s_clause 0x3
	buffer_load_dword v1, v4, s[0:3], 0 offen
	buffer_load_dword v2, v4, s[0:3], 0 offen offset:4
	buffer_load_dword v3, v4, s[0:3], 0 offen offset:8
	;; [unrolled: 1-line block ×3, first 2 shown]
	s_waitcnt vmcnt(0)
	ds_write_b128 v5, v[1:4]
	s_waitcnt lgkmcnt(0)
	s_barrier
	buffer_gl0_inv
	v_cmpx_gt_u32_e32 20, v0
	s_cbranch_execz .LBB52_95
; %bb.92:
	v_mov_b32_e32 v1, 0
	v_mov_b32_e32 v3, 0
	v_add_nc_u32_e32 v7, -1, v0
	v_add_nc_u32_e32 v8, 0x350, v217
	v_mov_b32_e32 v2, 0
	v_mov_b32_e32 v4, 0
	v_add_nc_u32_e32 v9, 16, v217
	s_mov_b32 s5, 0
	.p2align	6
.LBB52_93:                              ; =>This Inner Loop Header: Depth=1
	s_clause 0x3
	buffer_load_dword v14, v9, s[0:3], 0 offen offset:8
	buffer_load_dword v15, v9, s[0:3], 0 offen offset:12
	buffer_load_dword v16, v9, s[0:3], 0 offen
	buffer_load_dword v17, v9, s[0:3], 0 offen offset:4
	ds_read_b128 v[10:13], v8
	v_add_nc_u32_e32 v7, 1, v7
	v_add_nc_u32_e32 v8, 16, v8
	;; [unrolled: 1-line block ×3, first 2 shown]
	v_cmp_lt_u32_e32 vcc_lo, 18, v7
	s_or_b32 s5, vcc_lo, s5
	s_waitcnt vmcnt(2) lgkmcnt(0)
	v_mul_f64 v[18:19], v[12:13], v[14:15]
	v_mul_f64 v[14:15], v[10:11], v[14:15]
	s_waitcnt vmcnt(0)
	v_fma_f64 v[10:11], v[10:11], v[16:17], -v[18:19]
	v_fma_f64 v[12:13], v[12:13], v[16:17], v[14:15]
	v_add_f64 v[3:4], v[3:4], v[10:11]
	v_add_f64 v[1:2], v[1:2], v[12:13]
	s_andn2_b32 exec_lo, exec_lo, s5
	s_cbranch_execnz .LBB52_93
; %bb.94:
	s_or_b32 exec_lo, exec_lo, s5
	v_mov_b32_e32 v7, 0
	ds_read_b128 v[7:10], v7 offset:320
	s_waitcnt lgkmcnt(0)
	v_mul_f64 v[11:12], v[1:2], v[9:10]
	v_mul_f64 v[9:10], v[3:4], v[9:10]
	v_fma_f64 v[3:4], v[3:4], v[7:8], -v[11:12]
	v_fma_f64 v[1:2], v[1:2], v[7:8], v[9:10]
	buffer_store_dword v4, off, s[0:3], 0 offset:340
	buffer_store_dword v3, off, s[0:3], 0 offset:336
	;; [unrolled: 1-line block ×4, first 2 shown]
.LBB52_95:
	s_or_b32 exec_lo, exec_lo, s4
	v_mov_b32_e32 v4, s44
	s_waitcnt_vscnt null, 0x0
	s_barrier
	buffer_gl0_inv
	s_mov_b32 s4, exec_lo
	s_clause 0x3
	buffer_load_dword v1, v4, s[0:3], 0 offen
	buffer_load_dword v2, v4, s[0:3], 0 offen offset:4
	buffer_load_dword v3, v4, s[0:3], 0 offen offset:8
	;; [unrolled: 1-line block ×3, first 2 shown]
	s_waitcnt vmcnt(0)
	ds_write_b128 v5, v[1:4]
	s_waitcnt lgkmcnt(0)
	s_barrier
	buffer_gl0_inv
	v_cmpx_gt_u32_e32 21, v0
	s_cbranch_execz .LBB52_99
; %bb.96:
	v_mov_b32_e32 v1, 0
	v_mov_b32_e32 v3, 0
	v_add_nc_u32_e32 v7, -1, v0
	v_add_nc_u32_e32 v8, 0x350, v217
	v_mov_b32_e32 v2, 0
	v_mov_b32_e32 v4, 0
	v_add_nc_u32_e32 v9, 16, v217
	s_mov_b32 s5, 0
	.p2align	6
.LBB52_97:                              ; =>This Inner Loop Header: Depth=1
	s_clause 0x3
	buffer_load_dword v14, v9, s[0:3], 0 offen offset:8
	buffer_load_dword v15, v9, s[0:3], 0 offen offset:12
	buffer_load_dword v16, v9, s[0:3], 0 offen
	buffer_load_dword v17, v9, s[0:3], 0 offen offset:4
	ds_read_b128 v[10:13], v8
	v_add_nc_u32_e32 v7, 1, v7
	v_add_nc_u32_e32 v8, 16, v8
	;; [unrolled: 1-line block ×3, first 2 shown]
	v_cmp_lt_u32_e32 vcc_lo, 19, v7
	s_or_b32 s5, vcc_lo, s5
	s_waitcnt vmcnt(2) lgkmcnt(0)
	v_mul_f64 v[18:19], v[12:13], v[14:15]
	v_mul_f64 v[14:15], v[10:11], v[14:15]
	s_waitcnt vmcnt(0)
	v_fma_f64 v[10:11], v[10:11], v[16:17], -v[18:19]
	v_fma_f64 v[12:13], v[12:13], v[16:17], v[14:15]
	v_add_f64 v[3:4], v[3:4], v[10:11]
	v_add_f64 v[1:2], v[1:2], v[12:13]
	s_andn2_b32 exec_lo, exec_lo, s5
	s_cbranch_execnz .LBB52_97
; %bb.98:
	s_or_b32 exec_lo, exec_lo, s5
	v_mov_b32_e32 v7, 0
	ds_read_b128 v[7:10], v7 offset:336
	s_waitcnt lgkmcnt(0)
	v_mul_f64 v[11:12], v[1:2], v[9:10]
	v_mul_f64 v[9:10], v[3:4], v[9:10]
	v_fma_f64 v[3:4], v[3:4], v[7:8], -v[11:12]
	v_fma_f64 v[1:2], v[1:2], v[7:8], v[9:10]
	buffer_store_dword v4, off, s[0:3], 0 offset:356
	buffer_store_dword v3, off, s[0:3], 0 offset:352
	;; [unrolled: 1-line block ×4, first 2 shown]
.LBB52_99:
	s_or_b32 exec_lo, exec_lo, s4
	v_mov_b32_e32 v4, s43
	s_waitcnt_vscnt null, 0x0
	s_barrier
	buffer_gl0_inv
	s_mov_b32 s4, exec_lo
	s_clause 0x3
	buffer_load_dword v1, v4, s[0:3], 0 offen
	buffer_load_dword v2, v4, s[0:3], 0 offen offset:4
	buffer_load_dword v3, v4, s[0:3], 0 offen offset:8
	;; [unrolled: 1-line block ×3, first 2 shown]
	s_waitcnt vmcnt(0)
	ds_write_b128 v5, v[1:4]
	s_waitcnt lgkmcnt(0)
	s_barrier
	buffer_gl0_inv
	v_cmpx_gt_u32_e32 22, v0
	s_cbranch_execz .LBB52_103
; %bb.100:
	v_mov_b32_e32 v1, 0
	v_mov_b32_e32 v3, 0
	v_add_nc_u32_e32 v7, -1, v0
	v_add_nc_u32_e32 v8, 0x350, v217
	v_mov_b32_e32 v2, 0
	v_mov_b32_e32 v4, 0
	v_add_nc_u32_e32 v9, 16, v217
	s_mov_b32 s5, 0
	.p2align	6
.LBB52_101:                             ; =>This Inner Loop Header: Depth=1
	s_clause 0x3
	buffer_load_dword v14, v9, s[0:3], 0 offen offset:8
	buffer_load_dword v15, v9, s[0:3], 0 offen offset:12
	buffer_load_dword v16, v9, s[0:3], 0 offen
	buffer_load_dword v17, v9, s[0:3], 0 offen offset:4
	ds_read_b128 v[10:13], v8
	v_add_nc_u32_e32 v7, 1, v7
	v_add_nc_u32_e32 v8, 16, v8
	;; [unrolled: 1-line block ×3, first 2 shown]
	v_cmp_lt_u32_e32 vcc_lo, 20, v7
	s_or_b32 s5, vcc_lo, s5
	s_waitcnt vmcnt(2) lgkmcnt(0)
	v_mul_f64 v[18:19], v[12:13], v[14:15]
	v_mul_f64 v[14:15], v[10:11], v[14:15]
	s_waitcnt vmcnt(0)
	v_fma_f64 v[10:11], v[10:11], v[16:17], -v[18:19]
	v_fma_f64 v[12:13], v[12:13], v[16:17], v[14:15]
	v_add_f64 v[3:4], v[3:4], v[10:11]
	v_add_f64 v[1:2], v[1:2], v[12:13]
	s_andn2_b32 exec_lo, exec_lo, s5
	s_cbranch_execnz .LBB52_101
; %bb.102:
	s_or_b32 exec_lo, exec_lo, s5
	v_mov_b32_e32 v7, 0
	ds_read_b128 v[7:10], v7 offset:352
	s_waitcnt lgkmcnt(0)
	v_mul_f64 v[11:12], v[1:2], v[9:10]
	v_mul_f64 v[9:10], v[3:4], v[9:10]
	v_fma_f64 v[3:4], v[3:4], v[7:8], -v[11:12]
	v_fma_f64 v[1:2], v[1:2], v[7:8], v[9:10]
	buffer_store_dword v4, off, s[0:3], 0 offset:372
	buffer_store_dword v3, off, s[0:3], 0 offset:368
	;; [unrolled: 1-line block ×4, first 2 shown]
.LBB52_103:
	s_or_b32 exec_lo, exec_lo, s4
	v_mov_b32_e32 v4, s42
	s_waitcnt_vscnt null, 0x0
	s_barrier
	buffer_gl0_inv
	s_mov_b32 s4, exec_lo
	s_clause 0x3
	buffer_load_dword v1, v4, s[0:3], 0 offen
	buffer_load_dword v2, v4, s[0:3], 0 offen offset:4
	buffer_load_dword v3, v4, s[0:3], 0 offen offset:8
	;; [unrolled: 1-line block ×3, first 2 shown]
	s_waitcnt vmcnt(0)
	ds_write_b128 v5, v[1:4]
	s_waitcnt lgkmcnt(0)
	s_barrier
	buffer_gl0_inv
	v_cmpx_gt_u32_e32 23, v0
	s_cbranch_execz .LBB52_107
; %bb.104:
	v_mov_b32_e32 v1, 0
	v_mov_b32_e32 v3, 0
	v_add_nc_u32_e32 v7, -1, v0
	v_add_nc_u32_e32 v8, 0x350, v217
	v_mov_b32_e32 v2, 0
	v_mov_b32_e32 v4, 0
	v_add_nc_u32_e32 v9, 16, v217
	s_mov_b32 s5, 0
	.p2align	6
.LBB52_105:                             ; =>This Inner Loop Header: Depth=1
	s_clause 0x3
	buffer_load_dword v14, v9, s[0:3], 0 offen offset:8
	buffer_load_dword v15, v9, s[0:3], 0 offen offset:12
	buffer_load_dword v16, v9, s[0:3], 0 offen
	buffer_load_dword v17, v9, s[0:3], 0 offen offset:4
	ds_read_b128 v[10:13], v8
	v_add_nc_u32_e32 v7, 1, v7
	v_add_nc_u32_e32 v8, 16, v8
	;; [unrolled: 1-line block ×3, first 2 shown]
	v_cmp_lt_u32_e32 vcc_lo, 21, v7
	s_or_b32 s5, vcc_lo, s5
	s_waitcnt vmcnt(2) lgkmcnt(0)
	v_mul_f64 v[18:19], v[12:13], v[14:15]
	v_mul_f64 v[14:15], v[10:11], v[14:15]
	s_waitcnt vmcnt(0)
	v_fma_f64 v[10:11], v[10:11], v[16:17], -v[18:19]
	v_fma_f64 v[12:13], v[12:13], v[16:17], v[14:15]
	v_add_f64 v[3:4], v[3:4], v[10:11]
	v_add_f64 v[1:2], v[1:2], v[12:13]
	s_andn2_b32 exec_lo, exec_lo, s5
	s_cbranch_execnz .LBB52_105
; %bb.106:
	s_or_b32 exec_lo, exec_lo, s5
	v_mov_b32_e32 v7, 0
	ds_read_b128 v[7:10], v7 offset:368
	s_waitcnt lgkmcnt(0)
	v_mul_f64 v[11:12], v[1:2], v[9:10]
	v_mul_f64 v[9:10], v[3:4], v[9:10]
	v_fma_f64 v[3:4], v[3:4], v[7:8], -v[11:12]
	v_fma_f64 v[1:2], v[1:2], v[7:8], v[9:10]
	buffer_store_dword v4, off, s[0:3], 0 offset:388
	buffer_store_dword v3, off, s[0:3], 0 offset:384
	;; [unrolled: 1-line block ×4, first 2 shown]
.LBB52_107:
	s_or_b32 exec_lo, exec_lo, s4
	v_mov_b32_e32 v4, s41
	s_waitcnt_vscnt null, 0x0
	s_barrier
	buffer_gl0_inv
	s_mov_b32 s4, exec_lo
	s_clause 0x3
	buffer_load_dword v1, v4, s[0:3], 0 offen
	buffer_load_dword v2, v4, s[0:3], 0 offen offset:4
	buffer_load_dword v3, v4, s[0:3], 0 offen offset:8
	;; [unrolled: 1-line block ×3, first 2 shown]
	s_waitcnt vmcnt(0)
	ds_write_b128 v5, v[1:4]
	s_waitcnt lgkmcnt(0)
	s_barrier
	buffer_gl0_inv
	v_cmpx_gt_u32_e32 24, v0
	s_cbranch_execz .LBB52_111
; %bb.108:
	v_mov_b32_e32 v1, 0
	v_mov_b32_e32 v3, 0
	v_add_nc_u32_e32 v7, -1, v0
	v_add_nc_u32_e32 v8, 0x350, v217
	v_mov_b32_e32 v2, 0
	v_mov_b32_e32 v4, 0
	v_add_nc_u32_e32 v9, 16, v217
	s_mov_b32 s5, 0
	.p2align	6
.LBB52_109:                             ; =>This Inner Loop Header: Depth=1
	s_clause 0x3
	buffer_load_dword v14, v9, s[0:3], 0 offen offset:8
	buffer_load_dword v15, v9, s[0:3], 0 offen offset:12
	buffer_load_dword v16, v9, s[0:3], 0 offen
	buffer_load_dword v17, v9, s[0:3], 0 offen offset:4
	ds_read_b128 v[10:13], v8
	v_add_nc_u32_e32 v7, 1, v7
	v_add_nc_u32_e32 v8, 16, v8
	;; [unrolled: 1-line block ×3, first 2 shown]
	v_cmp_lt_u32_e32 vcc_lo, 22, v7
	s_or_b32 s5, vcc_lo, s5
	s_waitcnt vmcnt(2) lgkmcnt(0)
	v_mul_f64 v[18:19], v[12:13], v[14:15]
	v_mul_f64 v[14:15], v[10:11], v[14:15]
	s_waitcnt vmcnt(0)
	v_fma_f64 v[10:11], v[10:11], v[16:17], -v[18:19]
	v_fma_f64 v[12:13], v[12:13], v[16:17], v[14:15]
	v_add_f64 v[3:4], v[3:4], v[10:11]
	v_add_f64 v[1:2], v[1:2], v[12:13]
	s_andn2_b32 exec_lo, exec_lo, s5
	s_cbranch_execnz .LBB52_109
; %bb.110:
	s_or_b32 exec_lo, exec_lo, s5
	v_mov_b32_e32 v7, 0
	ds_read_b128 v[7:10], v7 offset:384
	s_waitcnt lgkmcnt(0)
	v_mul_f64 v[11:12], v[1:2], v[9:10]
	v_mul_f64 v[9:10], v[3:4], v[9:10]
	v_fma_f64 v[3:4], v[3:4], v[7:8], -v[11:12]
	v_fma_f64 v[1:2], v[1:2], v[7:8], v[9:10]
	buffer_store_dword v4, off, s[0:3], 0 offset:404
	buffer_store_dword v3, off, s[0:3], 0 offset:400
	;; [unrolled: 1-line block ×4, first 2 shown]
.LBB52_111:
	s_or_b32 exec_lo, exec_lo, s4
	v_mov_b32_e32 v4, s40
	s_waitcnt_vscnt null, 0x0
	s_barrier
	buffer_gl0_inv
	s_mov_b32 s4, exec_lo
	s_clause 0x3
	buffer_load_dword v1, v4, s[0:3], 0 offen
	buffer_load_dword v2, v4, s[0:3], 0 offen offset:4
	buffer_load_dword v3, v4, s[0:3], 0 offen offset:8
	;; [unrolled: 1-line block ×3, first 2 shown]
	s_waitcnt vmcnt(0)
	ds_write_b128 v5, v[1:4]
	s_waitcnt lgkmcnt(0)
	s_barrier
	buffer_gl0_inv
	v_cmpx_gt_u32_e32 25, v0
	s_cbranch_execz .LBB52_115
; %bb.112:
	v_mov_b32_e32 v1, 0
	v_mov_b32_e32 v3, 0
	v_add_nc_u32_e32 v7, -1, v0
	v_add_nc_u32_e32 v8, 0x350, v217
	v_mov_b32_e32 v2, 0
	v_mov_b32_e32 v4, 0
	v_add_nc_u32_e32 v9, 16, v217
	s_mov_b32 s5, 0
	.p2align	6
.LBB52_113:                             ; =>This Inner Loop Header: Depth=1
	s_clause 0x3
	buffer_load_dword v14, v9, s[0:3], 0 offen offset:8
	buffer_load_dword v15, v9, s[0:3], 0 offen offset:12
	buffer_load_dword v16, v9, s[0:3], 0 offen
	buffer_load_dword v17, v9, s[0:3], 0 offen offset:4
	ds_read_b128 v[10:13], v8
	v_add_nc_u32_e32 v7, 1, v7
	v_add_nc_u32_e32 v8, 16, v8
	;; [unrolled: 1-line block ×3, first 2 shown]
	v_cmp_lt_u32_e32 vcc_lo, 23, v7
	s_or_b32 s5, vcc_lo, s5
	s_waitcnt vmcnt(2) lgkmcnt(0)
	v_mul_f64 v[18:19], v[12:13], v[14:15]
	v_mul_f64 v[14:15], v[10:11], v[14:15]
	s_waitcnt vmcnt(0)
	v_fma_f64 v[10:11], v[10:11], v[16:17], -v[18:19]
	v_fma_f64 v[12:13], v[12:13], v[16:17], v[14:15]
	v_add_f64 v[3:4], v[3:4], v[10:11]
	v_add_f64 v[1:2], v[1:2], v[12:13]
	s_andn2_b32 exec_lo, exec_lo, s5
	s_cbranch_execnz .LBB52_113
; %bb.114:
	s_or_b32 exec_lo, exec_lo, s5
	v_mov_b32_e32 v7, 0
	ds_read_b128 v[7:10], v7 offset:400
	s_waitcnt lgkmcnt(0)
	v_mul_f64 v[11:12], v[1:2], v[9:10]
	v_mul_f64 v[9:10], v[3:4], v[9:10]
	v_fma_f64 v[3:4], v[3:4], v[7:8], -v[11:12]
	v_fma_f64 v[1:2], v[1:2], v[7:8], v[9:10]
	buffer_store_dword v4, off, s[0:3], 0 offset:420
	buffer_store_dword v3, off, s[0:3], 0 offset:416
	;; [unrolled: 1-line block ×4, first 2 shown]
.LBB52_115:
	s_or_b32 exec_lo, exec_lo, s4
	v_mov_b32_e32 v4, s39
	s_waitcnt_vscnt null, 0x0
	s_barrier
	buffer_gl0_inv
	s_mov_b32 s4, exec_lo
	s_clause 0x3
	buffer_load_dword v1, v4, s[0:3], 0 offen
	buffer_load_dword v2, v4, s[0:3], 0 offen offset:4
	buffer_load_dword v3, v4, s[0:3], 0 offen offset:8
	;; [unrolled: 1-line block ×3, first 2 shown]
	s_waitcnt vmcnt(0)
	ds_write_b128 v5, v[1:4]
	s_waitcnt lgkmcnt(0)
	s_barrier
	buffer_gl0_inv
	v_cmpx_gt_u32_e32 26, v0
	s_cbranch_execz .LBB52_119
; %bb.116:
	v_mov_b32_e32 v1, 0
	v_mov_b32_e32 v3, 0
	v_add_nc_u32_e32 v7, -1, v0
	v_add_nc_u32_e32 v8, 0x350, v217
	v_mov_b32_e32 v2, 0
	v_mov_b32_e32 v4, 0
	v_add_nc_u32_e32 v9, 16, v217
	s_mov_b32 s5, 0
	.p2align	6
.LBB52_117:                             ; =>This Inner Loop Header: Depth=1
	s_clause 0x3
	buffer_load_dword v14, v9, s[0:3], 0 offen offset:8
	buffer_load_dword v15, v9, s[0:3], 0 offen offset:12
	buffer_load_dword v16, v9, s[0:3], 0 offen
	buffer_load_dword v17, v9, s[0:3], 0 offen offset:4
	ds_read_b128 v[10:13], v8
	v_add_nc_u32_e32 v7, 1, v7
	v_add_nc_u32_e32 v8, 16, v8
	v_add_nc_u32_e32 v9, 16, v9
	v_cmp_lt_u32_e32 vcc_lo, 24, v7
	s_or_b32 s5, vcc_lo, s5
	s_waitcnt vmcnt(2) lgkmcnt(0)
	v_mul_f64 v[18:19], v[12:13], v[14:15]
	v_mul_f64 v[14:15], v[10:11], v[14:15]
	s_waitcnt vmcnt(0)
	v_fma_f64 v[10:11], v[10:11], v[16:17], -v[18:19]
	v_fma_f64 v[12:13], v[12:13], v[16:17], v[14:15]
	v_add_f64 v[3:4], v[3:4], v[10:11]
	v_add_f64 v[1:2], v[1:2], v[12:13]
	s_andn2_b32 exec_lo, exec_lo, s5
	s_cbranch_execnz .LBB52_117
; %bb.118:
	s_or_b32 exec_lo, exec_lo, s5
	v_mov_b32_e32 v7, 0
	ds_read_b128 v[7:10], v7 offset:416
	s_waitcnt lgkmcnt(0)
	v_mul_f64 v[11:12], v[1:2], v[9:10]
	v_mul_f64 v[9:10], v[3:4], v[9:10]
	v_fma_f64 v[3:4], v[3:4], v[7:8], -v[11:12]
	v_fma_f64 v[1:2], v[1:2], v[7:8], v[9:10]
	buffer_store_dword v4, off, s[0:3], 0 offset:436
	buffer_store_dword v3, off, s[0:3], 0 offset:432
	;; [unrolled: 1-line block ×4, first 2 shown]
.LBB52_119:
	s_or_b32 exec_lo, exec_lo, s4
	v_mov_b32_e32 v4, s38
	s_waitcnt_vscnt null, 0x0
	s_barrier
	buffer_gl0_inv
	s_mov_b32 s4, exec_lo
	s_clause 0x3
	buffer_load_dword v1, v4, s[0:3], 0 offen
	buffer_load_dword v2, v4, s[0:3], 0 offen offset:4
	buffer_load_dword v3, v4, s[0:3], 0 offen offset:8
	;; [unrolled: 1-line block ×3, first 2 shown]
	s_waitcnt vmcnt(0)
	ds_write_b128 v5, v[1:4]
	s_waitcnt lgkmcnt(0)
	s_barrier
	buffer_gl0_inv
	v_cmpx_gt_u32_e32 27, v0
	s_cbranch_execz .LBB52_123
; %bb.120:
	v_mov_b32_e32 v1, 0
	v_mov_b32_e32 v3, 0
	v_add_nc_u32_e32 v7, -1, v0
	v_add_nc_u32_e32 v8, 0x350, v217
	v_mov_b32_e32 v2, 0
	v_mov_b32_e32 v4, 0
	v_add_nc_u32_e32 v9, 16, v217
	s_mov_b32 s5, 0
	.p2align	6
.LBB52_121:                             ; =>This Inner Loop Header: Depth=1
	s_clause 0x3
	buffer_load_dword v14, v9, s[0:3], 0 offen offset:8
	buffer_load_dword v15, v9, s[0:3], 0 offen offset:12
	buffer_load_dword v16, v9, s[0:3], 0 offen
	buffer_load_dword v17, v9, s[0:3], 0 offen offset:4
	ds_read_b128 v[10:13], v8
	v_add_nc_u32_e32 v7, 1, v7
	v_add_nc_u32_e32 v8, 16, v8
	;; [unrolled: 1-line block ×3, first 2 shown]
	v_cmp_lt_u32_e32 vcc_lo, 25, v7
	s_or_b32 s5, vcc_lo, s5
	s_waitcnt vmcnt(2) lgkmcnt(0)
	v_mul_f64 v[18:19], v[12:13], v[14:15]
	v_mul_f64 v[14:15], v[10:11], v[14:15]
	s_waitcnt vmcnt(0)
	v_fma_f64 v[10:11], v[10:11], v[16:17], -v[18:19]
	v_fma_f64 v[12:13], v[12:13], v[16:17], v[14:15]
	v_add_f64 v[3:4], v[3:4], v[10:11]
	v_add_f64 v[1:2], v[1:2], v[12:13]
	s_andn2_b32 exec_lo, exec_lo, s5
	s_cbranch_execnz .LBB52_121
; %bb.122:
	s_or_b32 exec_lo, exec_lo, s5
	v_mov_b32_e32 v7, 0
	ds_read_b128 v[7:10], v7 offset:432
	s_waitcnt lgkmcnt(0)
	v_mul_f64 v[11:12], v[1:2], v[9:10]
	v_mul_f64 v[9:10], v[3:4], v[9:10]
	v_fma_f64 v[3:4], v[3:4], v[7:8], -v[11:12]
	v_fma_f64 v[1:2], v[1:2], v[7:8], v[9:10]
	buffer_store_dword v4, off, s[0:3], 0 offset:452
	buffer_store_dword v3, off, s[0:3], 0 offset:448
	;; [unrolled: 1-line block ×4, first 2 shown]
.LBB52_123:
	s_or_b32 exec_lo, exec_lo, s4
	v_mov_b32_e32 v4, s37
	s_waitcnt_vscnt null, 0x0
	s_barrier
	buffer_gl0_inv
	s_mov_b32 s4, exec_lo
	s_clause 0x3
	buffer_load_dword v1, v4, s[0:3], 0 offen
	buffer_load_dword v2, v4, s[0:3], 0 offen offset:4
	buffer_load_dword v3, v4, s[0:3], 0 offen offset:8
	;; [unrolled: 1-line block ×3, first 2 shown]
	s_waitcnt vmcnt(0)
	ds_write_b128 v5, v[1:4]
	s_waitcnt lgkmcnt(0)
	s_barrier
	buffer_gl0_inv
	v_cmpx_gt_u32_e32 28, v0
	s_cbranch_execz .LBB52_127
; %bb.124:
	v_mov_b32_e32 v1, 0
	v_mov_b32_e32 v3, 0
	v_add_nc_u32_e32 v7, -1, v0
	v_add_nc_u32_e32 v8, 0x350, v217
	v_mov_b32_e32 v2, 0
	v_mov_b32_e32 v4, 0
	v_add_nc_u32_e32 v9, 16, v217
	s_mov_b32 s5, 0
	.p2align	6
.LBB52_125:                             ; =>This Inner Loop Header: Depth=1
	s_clause 0x3
	buffer_load_dword v14, v9, s[0:3], 0 offen offset:8
	buffer_load_dword v15, v9, s[0:3], 0 offen offset:12
	buffer_load_dword v16, v9, s[0:3], 0 offen
	buffer_load_dword v17, v9, s[0:3], 0 offen offset:4
	ds_read_b128 v[10:13], v8
	v_add_nc_u32_e32 v7, 1, v7
	v_add_nc_u32_e32 v8, 16, v8
	;; [unrolled: 1-line block ×3, first 2 shown]
	v_cmp_lt_u32_e32 vcc_lo, 26, v7
	s_or_b32 s5, vcc_lo, s5
	s_waitcnt vmcnt(2) lgkmcnt(0)
	v_mul_f64 v[18:19], v[12:13], v[14:15]
	v_mul_f64 v[14:15], v[10:11], v[14:15]
	s_waitcnt vmcnt(0)
	v_fma_f64 v[10:11], v[10:11], v[16:17], -v[18:19]
	v_fma_f64 v[12:13], v[12:13], v[16:17], v[14:15]
	v_add_f64 v[3:4], v[3:4], v[10:11]
	v_add_f64 v[1:2], v[1:2], v[12:13]
	s_andn2_b32 exec_lo, exec_lo, s5
	s_cbranch_execnz .LBB52_125
; %bb.126:
	s_or_b32 exec_lo, exec_lo, s5
	v_mov_b32_e32 v7, 0
	ds_read_b128 v[7:10], v7 offset:448
	s_waitcnt lgkmcnt(0)
	v_mul_f64 v[11:12], v[1:2], v[9:10]
	v_mul_f64 v[9:10], v[3:4], v[9:10]
	v_fma_f64 v[3:4], v[3:4], v[7:8], -v[11:12]
	v_fma_f64 v[1:2], v[1:2], v[7:8], v[9:10]
	buffer_store_dword v4, off, s[0:3], 0 offset:468
	buffer_store_dword v3, off, s[0:3], 0 offset:464
	;; [unrolled: 1-line block ×4, first 2 shown]
.LBB52_127:
	s_or_b32 exec_lo, exec_lo, s4
	v_mov_b32_e32 v4, s36
	s_waitcnt_vscnt null, 0x0
	s_barrier
	buffer_gl0_inv
	s_mov_b32 s4, exec_lo
	s_clause 0x3
	buffer_load_dword v1, v4, s[0:3], 0 offen
	buffer_load_dword v2, v4, s[0:3], 0 offen offset:4
	buffer_load_dword v3, v4, s[0:3], 0 offen offset:8
	;; [unrolled: 1-line block ×3, first 2 shown]
	s_waitcnt vmcnt(0)
	ds_write_b128 v5, v[1:4]
	s_waitcnt lgkmcnt(0)
	s_barrier
	buffer_gl0_inv
	v_cmpx_gt_u32_e32 29, v0
	s_cbranch_execz .LBB52_131
; %bb.128:
	v_mov_b32_e32 v1, 0
	v_mov_b32_e32 v3, 0
	v_add_nc_u32_e32 v7, -1, v0
	v_add_nc_u32_e32 v8, 0x350, v217
	v_mov_b32_e32 v2, 0
	v_mov_b32_e32 v4, 0
	v_add_nc_u32_e32 v9, 16, v217
	s_mov_b32 s5, 0
	.p2align	6
.LBB52_129:                             ; =>This Inner Loop Header: Depth=1
	s_clause 0x3
	buffer_load_dword v14, v9, s[0:3], 0 offen offset:8
	buffer_load_dword v15, v9, s[0:3], 0 offen offset:12
	buffer_load_dword v16, v9, s[0:3], 0 offen
	buffer_load_dword v17, v9, s[0:3], 0 offen offset:4
	ds_read_b128 v[10:13], v8
	v_add_nc_u32_e32 v7, 1, v7
	v_add_nc_u32_e32 v8, 16, v8
	;; [unrolled: 1-line block ×3, first 2 shown]
	v_cmp_lt_u32_e32 vcc_lo, 27, v7
	s_or_b32 s5, vcc_lo, s5
	s_waitcnt vmcnt(2) lgkmcnt(0)
	v_mul_f64 v[18:19], v[12:13], v[14:15]
	v_mul_f64 v[14:15], v[10:11], v[14:15]
	s_waitcnt vmcnt(0)
	v_fma_f64 v[10:11], v[10:11], v[16:17], -v[18:19]
	v_fma_f64 v[12:13], v[12:13], v[16:17], v[14:15]
	v_add_f64 v[3:4], v[3:4], v[10:11]
	v_add_f64 v[1:2], v[1:2], v[12:13]
	s_andn2_b32 exec_lo, exec_lo, s5
	s_cbranch_execnz .LBB52_129
; %bb.130:
	s_or_b32 exec_lo, exec_lo, s5
	v_mov_b32_e32 v7, 0
	ds_read_b128 v[7:10], v7 offset:464
	s_waitcnt lgkmcnt(0)
	v_mul_f64 v[11:12], v[1:2], v[9:10]
	v_mul_f64 v[9:10], v[3:4], v[9:10]
	v_fma_f64 v[3:4], v[3:4], v[7:8], -v[11:12]
	v_fma_f64 v[1:2], v[1:2], v[7:8], v[9:10]
	buffer_store_dword v4, off, s[0:3], 0 offset:484
	buffer_store_dword v3, off, s[0:3], 0 offset:480
	;; [unrolled: 1-line block ×4, first 2 shown]
.LBB52_131:
	s_or_b32 exec_lo, exec_lo, s4
	v_mov_b32_e32 v4, s35
	s_waitcnt_vscnt null, 0x0
	s_barrier
	buffer_gl0_inv
	s_mov_b32 s4, exec_lo
	s_clause 0x3
	buffer_load_dword v1, v4, s[0:3], 0 offen
	buffer_load_dword v2, v4, s[0:3], 0 offen offset:4
	buffer_load_dword v3, v4, s[0:3], 0 offen offset:8
	;; [unrolled: 1-line block ×3, first 2 shown]
	s_waitcnt vmcnt(0)
	ds_write_b128 v5, v[1:4]
	s_waitcnt lgkmcnt(0)
	s_barrier
	buffer_gl0_inv
	v_cmpx_gt_u32_e32 30, v0
	s_cbranch_execz .LBB52_135
; %bb.132:
	v_mov_b32_e32 v1, 0
	v_mov_b32_e32 v3, 0
	v_add_nc_u32_e32 v7, -1, v0
	v_add_nc_u32_e32 v8, 0x350, v217
	v_mov_b32_e32 v2, 0
	v_mov_b32_e32 v4, 0
	v_add_nc_u32_e32 v9, 16, v217
	s_mov_b32 s5, 0
	.p2align	6
.LBB52_133:                             ; =>This Inner Loop Header: Depth=1
	s_clause 0x3
	buffer_load_dword v14, v9, s[0:3], 0 offen offset:8
	buffer_load_dword v15, v9, s[0:3], 0 offen offset:12
	buffer_load_dword v16, v9, s[0:3], 0 offen
	buffer_load_dword v17, v9, s[0:3], 0 offen offset:4
	ds_read_b128 v[10:13], v8
	v_add_nc_u32_e32 v7, 1, v7
	v_add_nc_u32_e32 v8, 16, v8
	;; [unrolled: 1-line block ×3, first 2 shown]
	v_cmp_lt_u32_e32 vcc_lo, 28, v7
	s_or_b32 s5, vcc_lo, s5
	s_waitcnt vmcnt(2) lgkmcnt(0)
	v_mul_f64 v[18:19], v[12:13], v[14:15]
	v_mul_f64 v[14:15], v[10:11], v[14:15]
	s_waitcnt vmcnt(0)
	v_fma_f64 v[10:11], v[10:11], v[16:17], -v[18:19]
	v_fma_f64 v[12:13], v[12:13], v[16:17], v[14:15]
	v_add_f64 v[3:4], v[3:4], v[10:11]
	v_add_f64 v[1:2], v[1:2], v[12:13]
	s_andn2_b32 exec_lo, exec_lo, s5
	s_cbranch_execnz .LBB52_133
; %bb.134:
	s_or_b32 exec_lo, exec_lo, s5
	v_mov_b32_e32 v7, 0
	ds_read_b128 v[7:10], v7 offset:480
	s_waitcnt lgkmcnt(0)
	v_mul_f64 v[11:12], v[1:2], v[9:10]
	v_mul_f64 v[9:10], v[3:4], v[9:10]
	v_fma_f64 v[3:4], v[3:4], v[7:8], -v[11:12]
	v_fma_f64 v[1:2], v[1:2], v[7:8], v[9:10]
	buffer_store_dword v4, off, s[0:3], 0 offset:500
	buffer_store_dword v3, off, s[0:3], 0 offset:496
	buffer_store_dword v2, off, s[0:3], 0 offset:508
	buffer_store_dword v1, off, s[0:3], 0 offset:504
.LBB52_135:
	s_or_b32 exec_lo, exec_lo, s4
	v_mov_b32_e32 v4, s34
	s_waitcnt_vscnt null, 0x0
	s_barrier
	buffer_gl0_inv
	s_mov_b32 s4, exec_lo
	s_clause 0x3
	buffer_load_dword v1, v4, s[0:3], 0 offen
	buffer_load_dword v2, v4, s[0:3], 0 offen offset:4
	buffer_load_dword v3, v4, s[0:3], 0 offen offset:8
	;; [unrolled: 1-line block ×3, first 2 shown]
	s_waitcnt vmcnt(0)
	ds_write_b128 v5, v[1:4]
	s_waitcnt lgkmcnt(0)
	s_barrier
	buffer_gl0_inv
	v_cmpx_gt_u32_e32 31, v0
	s_cbranch_execz .LBB52_139
; %bb.136:
	v_mov_b32_e32 v1, 0
	v_mov_b32_e32 v3, 0
	v_add_nc_u32_e32 v7, -1, v0
	v_add_nc_u32_e32 v8, 0x350, v217
	v_mov_b32_e32 v2, 0
	v_mov_b32_e32 v4, 0
	v_add_nc_u32_e32 v9, 16, v217
	s_mov_b32 s5, 0
	.p2align	6
.LBB52_137:                             ; =>This Inner Loop Header: Depth=1
	s_clause 0x3
	buffer_load_dword v14, v9, s[0:3], 0 offen offset:8
	buffer_load_dword v15, v9, s[0:3], 0 offen offset:12
	buffer_load_dword v16, v9, s[0:3], 0 offen
	buffer_load_dword v17, v9, s[0:3], 0 offen offset:4
	ds_read_b128 v[10:13], v8
	v_add_nc_u32_e32 v7, 1, v7
	v_add_nc_u32_e32 v8, 16, v8
	;; [unrolled: 1-line block ×3, first 2 shown]
	v_cmp_lt_u32_e32 vcc_lo, 29, v7
	s_or_b32 s5, vcc_lo, s5
	s_waitcnt vmcnt(2) lgkmcnt(0)
	v_mul_f64 v[18:19], v[12:13], v[14:15]
	v_mul_f64 v[14:15], v[10:11], v[14:15]
	s_waitcnt vmcnt(0)
	v_fma_f64 v[10:11], v[10:11], v[16:17], -v[18:19]
	v_fma_f64 v[12:13], v[12:13], v[16:17], v[14:15]
	v_add_f64 v[3:4], v[3:4], v[10:11]
	v_add_f64 v[1:2], v[1:2], v[12:13]
	s_andn2_b32 exec_lo, exec_lo, s5
	s_cbranch_execnz .LBB52_137
; %bb.138:
	s_or_b32 exec_lo, exec_lo, s5
	v_mov_b32_e32 v7, 0
	ds_read_b128 v[7:10], v7 offset:496
	s_waitcnt lgkmcnt(0)
	v_mul_f64 v[11:12], v[1:2], v[9:10]
	v_mul_f64 v[9:10], v[3:4], v[9:10]
	v_fma_f64 v[3:4], v[3:4], v[7:8], -v[11:12]
	v_fma_f64 v[1:2], v[1:2], v[7:8], v[9:10]
	buffer_store_dword v4, off, s[0:3], 0 offset:516
	buffer_store_dword v3, off, s[0:3], 0 offset:512
	;; [unrolled: 1-line block ×4, first 2 shown]
.LBB52_139:
	s_or_b32 exec_lo, exec_lo, s4
	v_mov_b32_e32 v4, s33
	s_waitcnt_vscnt null, 0x0
	s_barrier
	buffer_gl0_inv
	s_mov_b32 s4, exec_lo
	s_clause 0x3
	buffer_load_dword v1, v4, s[0:3], 0 offen
	buffer_load_dword v2, v4, s[0:3], 0 offen offset:4
	buffer_load_dword v3, v4, s[0:3], 0 offen offset:8
	;; [unrolled: 1-line block ×3, first 2 shown]
	s_waitcnt vmcnt(0)
	ds_write_b128 v5, v[1:4]
	s_waitcnt lgkmcnt(0)
	s_barrier
	buffer_gl0_inv
	v_cmpx_gt_u32_e32 32, v0
	s_cbranch_execz .LBB52_143
; %bb.140:
	v_mov_b32_e32 v1, 0
	v_mov_b32_e32 v3, 0
	v_add_nc_u32_e32 v7, -1, v0
	v_add_nc_u32_e32 v8, 0x350, v217
	v_mov_b32_e32 v2, 0
	v_mov_b32_e32 v4, 0
	v_add_nc_u32_e32 v9, 16, v217
	s_mov_b32 s5, 0
	.p2align	6
.LBB52_141:                             ; =>This Inner Loop Header: Depth=1
	s_clause 0x3
	buffer_load_dword v14, v9, s[0:3], 0 offen offset:8
	buffer_load_dword v15, v9, s[0:3], 0 offen offset:12
	buffer_load_dword v16, v9, s[0:3], 0 offen
	buffer_load_dword v17, v9, s[0:3], 0 offen offset:4
	ds_read_b128 v[10:13], v8
	v_add_nc_u32_e32 v7, 1, v7
	v_add_nc_u32_e32 v8, 16, v8
	v_add_nc_u32_e32 v9, 16, v9
	v_cmp_lt_u32_e32 vcc_lo, 30, v7
	s_or_b32 s5, vcc_lo, s5
	s_waitcnt vmcnt(2) lgkmcnt(0)
	v_mul_f64 v[18:19], v[12:13], v[14:15]
	v_mul_f64 v[14:15], v[10:11], v[14:15]
	s_waitcnt vmcnt(0)
	v_fma_f64 v[10:11], v[10:11], v[16:17], -v[18:19]
	v_fma_f64 v[12:13], v[12:13], v[16:17], v[14:15]
	v_add_f64 v[3:4], v[3:4], v[10:11]
	v_add_f64 v[1:2], v[1:2], v[12:13]
	s_andn2_b32 exec_lo, exec_lo, s5
	s_cbranch_execnz .LBB52_141
; %bb.142:
	s_or_b32 exec_lo, exec_lo, s5
	v_mov_b32_e32 v7, 0
	ds_read_b128 v[7:10], v7 offset:512
	s_waitcnt lgkmcnt(0)
	v_mul_f64 v[11:12], v[1:2], v[9:10]
	v_mul_f64 v[9:10], v[3:4], v[9:10]
	v_fma_f64 v[3:4], v[3:4], v[7:8], -v[11:12]
	v_fma_f64 v[1:2], v[1:2], v[7:8], v[9:10]
	buffer_store_dword v4, off, s[0:3], 0 offset:532
	buffer_store_dword v3, off, s[0:3], 0 offset:528
	;; [unrolled: 1-line block ×4, first 2 shown]
.LBB52_143:
	s_or_b32 exec_lo, exec_lo, s4
	v_mov_b32_e32 v4, s31
	s_waitcnt_vscnt null, 0x0
	s_barrier
	buffer_gl0_inv
	s_mov_b32 s4, exec_lo
	s_clause 0x3
	buffer_load_dword v1, v4, s[0:3], 0 offen
	buffer_load_dword v2, v4, s[0:3], 0 offen offset:4
	buffer_load_dword v3, v4, s[0:3], 0 offen offset:8
	;; [unrolled: 1-line block ×3, first 2 shown]
	s_waitcnt vmcnt(0)
	ds_write_b128 v5, v[1:4]
	s_waitcnt lgkmcnt(0)
	s_barrier
	buffer_gl0_inv
	v_cmpx_gt_u32_e32 33, v0
	s_cbranch_execz .LBB52_147
; %bb.144:
	v_mov_b32_e32 v1, 0
	v_mov_b32_e32 v3, 0
	v_add_nc_u32_e32 v7, -1, v0
	v_add_nc_u32_e32 v8, 0x350, v217
	v_mov_b32_e32 v2, 0
	v_mov_b32_e32 v4, 0
	v_add_nc_u32_e32 v9, 16, v217
	s_mov_b32 s5, 0
	.p2align	6
.LBB52_145:                             ; =>This Inner Loop Header: Depth=1
	s_clause 0x3
	buffer_load_dword v14, v9, s[0:3], 0 offen offset:8
	buffer_load_dword v15, v9, s[0:3], 0 offen offset:12
	buffer_load_dword v16, v9, s[0:3], 0 offen
	buffer_load_dword v17, v9, s[0:3], 0 offen offset:4
	ds_read_b128 v[10:13], v8
	v_add_nc_u32_e32 v7, 1, v7
	v_add_nc_u32_e32 v8, 16, v8
	;; [unrolled: 1-line block ×3, first 2 shown]
	v_cmp_lt_u32_e32 vcc_lo, 31, v7
	s_or_b32 s5, vcc_lo, s5
	s_waitcnt vmcnt(2) lgkmcnt(0)
	v_mul_f64 v[18:19], v[12:13], v[14:15]
	v_mul_f64 v[14:15], v[10:11], v[14:15]
	s_waitcnt vmcnt(0)
	v_fma_f64 v[10:11], v[10:11], v[16:17], -v[18:19]
	v_fma_f64 v[12:13], v[12:13], v[16:17], v[14:15]
	v_add_f64 v[3:4], v[3:4], v[10:11]
	v_add_f64 v[1:2], v[1:2], v[12:13]
	s_andn2_b32 exec_lo, exec_lo, s5
	s_cbranch_execnz .LBB52_145
; %bb.146:
	s_or_b32 exec_lo, exec_lo, s5
	v_mov_b32_e32 v7, 0
	ds_read_b128 v[7:10], v7 offset:528
	s_waitcnt lgkmcnt(0)
	v_mul_f64 v[11:12], v[1:2], v[9:10]
	v_mul_f64 v[9:10], v[3:4], v[9:10]
	v_fma_f64 v[3:4], v[3:4], v[7:8], -v[11:12]
	v_fma_f64 v[1:2], v[1:2], v[7:8], v[9:10]
	buffer_store_dword v4, off, s[0:3], 0 offset:548
	buffer_store_dword v3, off, s[0:3], 0 offset:544
	;; [unrolled: 1-line block ×4, first 2 shown]
.LBB52_147:
	s_or_b32 exec_lo, exec_lo, s4
	v_mov_b32_e32 v4, s30
	s_waitcnt_vscnt null, 0x0
	s_barrier
	buffer_gl0_inv
	s_mov_b32 s4, exec_lo
	s_clause 0x3
	buffer_load_dword v1, v4, s[0:3], 0 offen
	buffer_load_dword v2, v4, s[0:3], 0 offen offset:4
	buffer_load_dword v3, v4, s[0:3], 0 offen offset:8
	;; [unrolled: 1-line block ×3, first 2 shown]
	s_waitcnt vmcnt(0)
	ds_write_b128 v5, v[1:4]
	s_waitcnt lgkmcnt(0)
	s_barrier
	buffer_gl0_inv
	v_cmpx_gt_u32_e32 34, v0
	s_cbranch_execz .LBB52_151
; %bb.148:
	v_mov_b32_e32 v1, 0
	v_mov_b32_e32 v3, 0
	v_add_nc_u32_e32 v7, -1, v0
	v_add_nc_u32_e32 v8, 0x350, v217
	v_mov_b32_e32 v2, 0
	v_mov_b32_e32 v4, 0
	v_add_nc_u32_e32 v9, 16, v217
	s_mov_b32 s5, 0
	.p2align	6
.LBB52_149:                             ; =>This Inner Loop Header: Depth=1
	s_clause 0x3
	buffer_load_dword v14, v9, s[0:3], 0 offen offset:8
	buffer_load_dword v15, v9, s[0:3], 0 offen offset:12
	buffer_load_dword v16, v9, s[0:3], 0 offen
	buffer_load_dword v17, v9, s[0:3], 0 offen offset:4
	ds_read_b128 v[10:13], v8
	v_add_nc_u32_e32 v7, 1, v7
	v_add_nc_u32_e32 v8, 16, v8
	;; [unrolled: 1-line block ×3, first 2 shown]
	v_cmp_lt_u32_e32 vcc_lo, 32, v7
	s_or_b32 s5, vcc_lo, s5
	s_waitcnt vmcnt(2) lgkmcnt(0)
	v_mul_f64 v[18:19], v[12:13], v[14:15]
	v_mul_f64 v[14:15], v[10:11], v[14:15]
	s_waitcnt vmcnt(0)
	v_fma_f64 v[10:11], v[10:11], v[16:17], -v[18:19]
	v_fma_f64 v[12:13], v[12:13], v[16:17], v[14:15]
	v_add_f64 v[3:4], v[3:4], v[10:11]
	v_add_f64 v[1:2], v[1:2], v[12:13]
	s_andn2_b32 exec_lo, exec_lo, s5
	s_cbranch_execnz .LBB52_149
; %bb.150:
	s_or_b32 exec_lo, exec_lo, s5
	v_mov_b32_e32 v7, 0
	ds_read_b128 v[7:10], v7 offset:544
	s_waitcnt lgkmcnt(0)
	v_mul_f64 v[11:12], v[1:2], v[9:10]
	v_mul_f64 v[9:10], v[3:4], v[9:10]
	v_fma_f64 v[3:4], v[3:4], v[7:8], -v[11:12]
	v_fma_f64 v[1:2], v[1:2], v[7:8], v[9:10]
	buffer_store_dword v4, off, s[0:3], 0 offset:564
	buffer_store_dword v3, off, s[0:3], 0 offset:560
	;; [unrolled: 1-line block ×4, first 2 shown]
.LBB52_151:
	s_or_b32 exec_lo, exec_lo, s4
	v_mov_b32_e32 v4, s29
	s_waitcnt_vscnt null, 0x0
	s_barrier
	buffer_gl0_inv
	s_mov_b32 s4, exec_lo
	s_clause 0x3
	buffer_load_dword v1, v4, s[0:3], 0 offen
	buffer_load_dword v2, v4, s[0:3], 0 offen offset:4
	buffer_load_dword v3, v4, s[0:3], 0 offen offset:8
	buffer_load_dword v4, v4, s[0:3], 0 offen offset:12
	s_waitcnt vmcnt(0)
	ds_write_b128 v5, v[1:4]
	s_waitcnt lgkmcnt(0)
	s_barrier
	buffer_gl0_inv
	v_cmpx_gt_u32_e32 35, v0
	s_cbranch_execz .LBB52_155
; %bb.152:
	v_mov_b32_e32 v1, 0
	v_mov_b32_e32 v3, 0
	v_add_nc_u32_e32 v7, -1, v0
	v_add_nc_u32_e32 v8, 0x350, v217
	v_mov_b32_e32 v2, 0
	v_mov_b32_e32 v4, 0
	v_add_nc_u32_e32 v9, 16, v217
	s_mov_b32 s5, 0
	.p2align	6
.LBB52_153:                             ; =>This Inner Loop Header: Depth=1
	s_clause 0x3
	buffer_load_dword v14, v9, s[0:3], 0 offen offset:8
	buffer_load_dword v15, v9, s[0:3], 0 offen offset:12
	buffer_load_dword v16, v9, s[0:3], 0 offen
	buffer_load_dword v17, v9, s[0:3], 0 offen offset:4
	ds_read_b128 v[10:13], v8
	v_add_nc_u32_e32 v7, 1, v7
	v_add_nc_u32_e32 v8, 16, v8
	;; [unrolled: 1-line block ×3, first 2 shown]
	v_cmp_lt_u32_e32 vcc_lo, 33, v7
	s_or_b32 s5, vcc_lo, s5
	s_waitcnt vmcnt(2) lgkmcnt(0)
	v_mul_f64 v[18:19], v[12:13], v[14:15]
	v_mul_f64 v[14:15], v[10:11], v[14:15]
	s_waitcnt vmcnt(0)
	v_fma_f64 v[10:11], v[10:11], v[16:17], -v[18:19]
	v_fma_f64 v[12:13], v[12:13], v[16:17], v[14:15]
	v_add_f64 v[3:4], v[3:4], v[10:11]
	v_add_f64 v[1:2], v[1:2], v[12:13]
	s_andn2_b32 exec_lo, exec_lo, s5
	s_cbranch_execnz .LBB52_153
; %bb.154:
	s_or_b32 exec_lo, exec_lo, s5
	v_mov_b32_e32 v7, 0
	ds_read_b128 v[7:10], v7 offset:560
	s_waitcnt lgkmcnt(0)
	v_mul_f64 v[11:12], v[1:2], v[9:10]
	v_mul_f64 v[9:10], v[3:4], v[9:10]
	v_fma_f64 v[3:4], v[3:4], v[7:8], -v[11:12]
	v_fma_f64 v[1:2], v[1:2], v[7:8], v[9:10]
	buffer_store_dword v4, off, s[0:3], 0 offset:580
	buffer_store_dword v3, off, s[0:3], 0 offset:576
	;; [unrolled: 1-line block ×4, first 2 shown]
.LBB52_155:
	s_or_b32 exec_lo, exec_lo, s4
	v_mov_b32_e32 v4, s28
	s_waitcnt_vscnt null, 0x0
	s_barrier
	buffer_gl0_inv
	s_mov_b32 s4, exec_lo
	s_clause 0x3
	buffer_load_dword v1, v4, s[0:3], 0 offen
	buffer_load_dword v2, v4, s[0:3], 0 offen offset:4
	buffer_load_dword v3, v4, s[0:3], 0 offen offset:8
	;; [unrolled: 1-line block ×3, first 2 shown]
	s_waitcnt vmcnt(0)
	ds_write_b128 v5, v[1:4]
	s_waitcnt lgkmcnt(0)
	s_barrier
	buffer_gl0_inv
	v_cmpx_gt_u32_e32 36, v0
	s_cbranch_execz .LBB52_159
; %bb.156:
	v_mov_b32_e32 v1, 0
	v_mov_b32_e32 v3, 0
	v_add_nc_u32_e32 v7, -1, v0
	v_add_nc_u32_e32 v8, 0x350, v217
	v_mov_b32_e32 v2, 0
	v_mov_b32_e32 v4, 0
	v_add_nc_u32_e32 v9, 16, v217
	s_mov_b32 s5, 0
	.p2align	6
.LBB52_157:                             ; =>This Inner Loop Header: Depth=1
	s_clause 0x3
	buffer_load_dword v14, v9, s[0:3], 0 offen offset:8
	buffer_load_dword v15, v9, s[0:3], 0 offen offset:12
	buffer_load_dword v16, v9, s[0:3], 0 offen
	buffer_load_dword v17, v9, s[0:3], 0 offen offset:4
	ds_read_b128 v[10:13], v8
	v_add_nc_u32_e32 v7, 1, v7
	v_add_nc_u32_e32 v8, 16, v8
	v_add_nc_u32_e32 v9, 16, v9
	v_cmp_lt_u32_e32 vcc_lo, 34, v7
	s_or_b32 s5, vcc_lo, s5
	s_waitcnt vmcnt(2) lgkmcnt(0)
	v_mul_f64 v[18:19], v[12:13], v[14:15]
	v_mul_f64 v[14:15], v[10:11], v[14:15]
	s_waitcnt vmcnt(0)
	v_fma_f64 v[10:11], v[10:11], v[16:17], -v[18:19]
	v_fma_f64 v[12:13], v[12:13], v[16:17], v[14:15]
	v_add_f64 v[3:4], v[3:4], v[10:11]
	v_add_f64 v[1:2], v[1:2], v[12:13]
	s_andn2_b32 exec_lo, exec_lo, s5
	s_cbranch_execnz .LBB52_157
; %bb.158:
	s_or_b32 exec_lo, exec_lo, s5
	v_mov_b32_e32 v7, 0
	ds_read_b128 v[7:10], v7 offset:576
	s_waitcnt lgkmcnt(0)
	v_mul_f64 v[11:12], v[1:2], v[9:10]
	v_mul_f64 v[9:10], v[3:4], v[9:10]
	v_fma_f64 v[3:4], v[3:4], v[7:8], -v[11:12]
	v_fma_f64 v[1:2], v[1:2], v[7:8], v[9:10]
	buffer_store_dword v4, off, s[0:3], 0 offset:596
	buffer_store_dword v3, off, s[0:3], 0 offset:592
	;; [unrolled: 1-line block ×4, first 2 shown]
.LBB52_159:
	s_or_b32 exec_lo, exec_lo, s4
	v_mov_b32_e32 v4, s27
	s_waitcnt_vscnt null, 0x0
	s_barrier
	buffer_gl0_inv
	s_mov_b32 s4, exec_lo
	s_clause 0x3
	buffer_load_dword v1, v4, s[0:3], 0 offen
	buffer_load_dword v2, v4, s[0:3], 0 offen offset:4
	buffer_load_dword v3, v4, s[0:3], 0 offen offset:8
	;; [unrolled: 1-line block ×3, first 2 shown]
	s_waitcnt vmcnt(0)
	ds_write_b128 v5, v[1:4]
	s_waitcnt lgkmcnt(0)
	s_barrier
	buffer_gl0_inv
	v_cmpx_gt_u32_e32 37, v0
	s_cbranch_execz .LBB52_163
; %bb.160:
	v_mov_b32_e32 v1, 0
	v_mov_b32_e32 v3, 0
	v_add_nc_u32_e32 v7, -1, v0
	v_add_nc_u32_e32 v8, 0x350, v217
	v_mov_b32_e32 v2, 0
	v_mov_b32_e32 v4, 0
	v_add_nc_u32_e32 v9, 16, v217
	s_mov_b32 s5, 0
	.p2align	6
.LBB52_161:                             ; =>This Inner Loop Header: Depth=1
	s_clause 0x3
	buffer_load_dword v14, v9, s[0:3], 0 offen offset:8
	buffer_load_dword v15, v9, s[0:3], 0 offen offset:12
	buffer_load_dword v16, v9, s[0:3], 0 offen
	buffer_load_dword v17, v9, s[0:3], 0 offen offset:4
	ds_read_b128 v[10:13], v8
	v_add_nc_u32_e32 v7, 1, v7
	v_add_nc_u32_e32 v8, 16, v8
	;; [unrolled: 1-line block ×3, first 2 shown]
	v_cmp_lt_u32_e32 vcc_lo, 35, v7
	s_or_b32 s5, vcc_lo, s5
	s_waitcnt vmcnt(2) lgkmcnt(0)
	v_mul_f64 v[18:19], v[12:13], v[14:15]
	v_mul_f64 v[14:15], v[10:11], v[14:15]
	s_waitcnt vmcnt(0)
	v_fma_f64 v[10:11], v[10:11], v[16:17], -v[18:19]
	v_fma_f64 v[12:13], v[12:13], v[16:17], v[14:15]
	v_add_f64 v[3:4], v[3:4], v[10:11]
	v_add_f64 v[1:2], v[1:2], v[12:13]
	s_andn2_b32 exec_lo, exec_lo, s5
	s_cbranch_execnz .LBB52_161
; %bb.162:
	s_or_b32 exec_lo, exec_lo, s5
	v_mov_b32_e32 v7, 0
	ds_read_b128 v[7:10], v7 offset:592
	s_waitcnt lgkmcnt(0)
	v_mul_f64 v[11:12], v[1:2], v[9:10]
	v_mul_f64 v[9:10], v[3:4], v[9:10]
	v_fma_f64 v[3:4], v[3:4], v[7:8], -v[11:12]
	v_fma_f64 v[1:2], v[1:2], v[7:8], v[9:10]
	buffer_store_dword v4, off, s[0:3], 0 offset:612
	buffer_store_dword v3, off, s[0:3], 0 offset:608
	;; [unrolled: 1-line block ×4, first 2 shown]
.LBB52_163:
	s_or_b32 exec_lo, exec_lo, s4
	v_mov_b32_e32 v4, s26
	s_waitcnt_vscnt null, 0x0
	s_barrier
	buffer_gl0_inv
	s_mov_b32 s4, exec_lo
	s_clause 0x3
	buffer_load_dword v1, v4, s[0:3], 0 offen
	buffer_load_dword v2, v4, s[0:3], 0 offen offset:4
	buffer_load_dword v3, v4, s[0:3], 0 offen offset:8
	;; [unrolled: 1-line block ×3, first 2 shown]
	s_waitcnt vmcnt(0)
	ds_write_b128 v5, v[1:4]
	s_waitcnt lgkmcnt(0)
	s_barrier
	buffer_gl0_inv
	v_cmpx_gt_u32_e32 38, v0
	s_cbranch_execz .LBB52_167
; %bb.164:
	v_mov_b32_e32 v1, 0
	v_mov_b32_e32 v3, 0
	v_add_nc_u32_e32 v7, -1, v0
	v_add_nc_u32_e32 v8, 0x350, v217
	v_mov_b32_e32 v2, 0
	v_mov_b32_e32 v4, 0
	v_add_nc_u32_e32 v9, 16, v217
	s_mov_b32 s5, 0
	.p2align	6
.LBB52_165:                             ; =>This Inner Loop Header: Depth=1
	s_clause 0x3
	buffer_load_dword v14, v9, s[0:3], 0 offen offset:8
	buffer_load_dword v15, v9, s[0:3], 0 offen offset:12
	buffer_load_dword v16, v9, s[0:3], 0 offen
	buffer_load_dword v17, v9, s[0:3], 0 offen offset:4
	ds_read_b128 v[10:13], v8
	v_add_nc_u32_e32 v7, 1, v7
	v_add_nc_u32_e32 v8, 16, v8
	;; [unrolled: 1-line block ×3, first 2 shown]
	v_cmp_lt_u32_e32 vcc_lo, 36, v7
	s_or_b32 s5, vcc_lo, s5
	s_waitcnt vmcnt(2) lgkmcnt(0)
	v_mul_f64 v[18:19], v[12:13], v[14:15]
	v_mul_f64 v[14:15], v[10:11], v[14:15]
	s_waitcnt vmcnt(0)
	v_fma_f64 v[10:11], v[10:11], v[16:17], -v[18:19]
	v_fma_f64 v[12:13], v[12:13], v[16:17], v[14:15]
	v_add_f64 v[3:4], v[3:4], v[10:11]
	v_add_f64 v[1:2], v[1:2], v[12:13]
	s_andn2_b32 exec_lo, exec_lo, s5
	s_cbranch_execnz .LBB52_165
; %bb.166:
	s_or_b32 exec_lo, exec_lo, s5
	v_mov_b32_e32 v7, 0
	ds_read_b128 v[7:10], v7 offset:608
	s_waitcnt lgkmcnt(0)
	v_mul_f64 v[11:12], v[1:2], v[9:10]
	v_mul_f64 v[9:10], v[3:4], v[9:10]
	v_fma_f64 v[3:4], v[3:4], v[7:8], -v[11:12]
	v_fma_f64 v[1:2], v[1:2], v[7:8], v[9:10]
	buffer_store_dword v4, off, s[0:3], 0 offset:628
	buffer_store_dword v3, off, s[0:3], 0 offset:624
	;; [unrolled: 1-line block ×4, first 2 shown]
.LBB52_167:
	s_or_b32 exec_lo, exec_lo, s4
	v_mov_b32_e32 v4, s25
	s_waitcnt_vscnt null, 0x0
	s_barrier
	buffer_gl0_inv
	s_mov_b32 s4, exec_lo
	s_clause 0x3
	buffer_load_dword v1, v4, s[0:3], 0 offen
	buffer_load_dword v2, v4, s[0:3], 0 offen offset:4
	buffer_load_dword v3, v4, s[0:3], 0 offen offset:8
	buffer_load_dword v4, v4, s[0:3], 0 offen offset:12
	s_waitcnt vmcnt(0)
	ds_write_b128 v5, v[1:4]
	s_waitcnt lgkmcnt(0)
	s_barrier
	buffer_gl0_inv
	v_cmpx_gt_u32_e32 39, v0
	s_cbranch_execz .LBB52_171
; %bb.168:
	v_mov_b32_e32 v1, 0
	v_mov_b32_e32 v3, 0
	v_add_nc_u32_e32 v7, -1, v0
	v_add_nc_u32_e32 v8, 0x350, v217
	v_mov_b32_e32 v2, 0
	v_mov_b32_e32 v4, 0
	v_add_nc_u32_e32 v9, 16, v217
	s_mov_b32 s5, 0
	.p2align	6
.LBB52_169:                             ; =>This Inner Loop Header: Depth=1
	s_clause 0x3
	buffer_load_dword v14, v9, s[0:3], 0 offen offset:8
	buffer_load_dword v15, v9, s[0:3], 0 offen offset:12
	buffer_load_dword v16, v9, s[0:3], 0 offen
	buffer_load_dword v17, v9, s[0:3], 0 offen offset:4
	ds_read_b128 v[10:13], v8
	v_add_nc_u32_e32 v7, 1, v7
	v_add_nc_u32_e32 v8, 16, v8
	v_add_nc_u32_e32 v9, 16, v9
	v_cmp_lt_u32_e32 vcc_lo, 37, v7
	s_or_b32 s5, vcc_lo, s5
	s_waitcnt vmcnt(2) lgkmcnt(0)
	v_mul_f64 v[18:19], v[12:13], v[14:15]
	v_mul_f64 v[14:15], v[10:11], v[14:15]
	s_waitcnt vmcnt(0)
	v_fma_f64 v[10:11], v[10:11], v[16:17], -v[18:19]
	v_fma_f64 v[12:13], v[12:13], v[16:17], v[14:15]
	v_add_f64 v[3:4], v[3:4], v[10:11]
	v_add_f64 v[1:2], v[1:2], v[12:13]
	s_andn2_b32 exec_lo, exec_lo, s5
	s_cbranch_execnz .LBB52_169
; %bb.170:
	s_or_b32 exec_lo, exec_lo, s5
	v_mov_b32_e32 v7, 0
	ds_read_b128 v[7:10], v7 offset:624
	s_waitcnt lgkmcnt(0)
	v_mul_f64 v[11:12], v[1:2], v[9:10]
	v_mul_f64 v[9:10], v[3:4], v[9:10]
	v_fma_f64 v[3:4], v[3:4], v[7:8], -v[11:12]
	v_fma_f64 v[1:2], v[1:2], v[7:8], v[9:10]
	buffer_store_dword v4, off, s[0:3], 0 offset:644
	buffer_store_dword v3, off, s[0:3], 0 offset:640
	;; [unrolled: 1-line block ×4, first 2 shown]
.LBB52_171:
	s_or_b32 exec_lo, exec_lo, s4
	v_mov_b32_e32 v4, s24
	s_waitcnt_vscnt null, 0x0
	s_barrier
	buffer_gl0_inv
	s_mov_b32 s4, exec_lo
	s_clause 0x3
	buffer_load_dword v1, v4, s[0:3], 0 offen
	buffer_load_dword v2, v4, s[0:3], 0 offen offset:4
	buffer_load_dword v3, v4, s[0:3], 0 offen offset:8
	buffer_load_dword v4, v4, s[0:3], 0 offen offset:12
	s_waitcnt vmcnt(0)
	ds_write_b128 v5, v[1:4]
	s_waitcnt lgkmcnt(0)
	s_barrier
	buffer_gl0_inv
	v_cmpx_gt_u32_e32 40, v0
	s_cbranch_execz .LBB52_175
; %bb.172:
	v_mov_b32_e32 v1, 0
	v_mov_b32_e32 v3, 0
	v_add_nc_u32_e32 v7, -1, v0
	v_add_nc_u32_e32 v8, 0x350, v217
	v_mov_b32_e32 v2, 0
	v_mov_b32_e32 v4, 0
	v_add_nc_u32_e32 v9, 16, v217
	s_mov_b32 s5, 0
	.p2align	6
.LBB52_173:                             ; =>This Inner Loop Header: Depth=1
	s_clause 0x3
	buffer_load_dword v14, v9, s[0:3], 0 offen offset:8
	buffer_load_dword v15, v9, s[0:3], 0 offen offset:12
	buffer_load_dword v16, v9, s[0:3], 0 offen
	buffer_load_dword v17, v9, s[0:3], 0 offen offset:4
	ds_read_b128 v[10:13], v8
	v_add_nc_u32_e32 v7, 1, v7
	v_add_nc_u32_e32 v8, 16, v8
	;; [unrolled: 1-line block ×3, first 2 shown]
	v_cmp_lt_u32_e32 vcc_lo, 38, v7
	s_or_b32 s5, vcc_lo, s5
	s_waitcnt vmcnt(2) lgkmcnt(0)
	v_mul_f64 v[18:19], v[12:13], v[14:15]
	v_mul_f64 v[14:15], v[10:11], v[14:15]
	s_waitcnt vmcnt(0)
	v_fma_f64 v[10:11], v[10:11], v[16:17], -v[18:19]
	v_fma_f64 v[12:13], v[12:13], v[16:17], v[14:15]
	v_add_f64 v[3:4], v[3:4], v[10:11]
	v_add_f64 v[1:2], v[1:2], v[12:13]
	s_andn2_b32 exec_lo, exec_lo, s5
	s_cbranch_execnz .LBB52_173
; %bb.174:
	s_or_b32 exec_lo, exec_lo, s5
	v_mov_b32_e32 v7, 0
	ds_read_b128 v[7:10], v7 offset:640
	s_waitcnt lgkmcnt(0)
	v_mul_f64 v[11:12], v[1:2], v[9:10]
	v_mul_f64 v[9:10], v[3:4], v[9:10]
	v_fma_f64 v[3:4], v[3:4], v[7:8], -v[11:12]
	v_fma_f64 v[1:2], v[1:2], v[7:8], v[9:10]
	buffer_store_dword v4, off, s[0:3], 0 offset:660
	buffer_store_dword v3, off, s[0:3], 0 offset:656
	;; [unrolled: 1-line block ×4, first 2 shown]
.LBB52_175:
	s_or_b32 exec_lo, exec_lo, s4
	v_mov_b32_e32 v4, s23
	s_waitcnt_vscnt null, 0x0
	s_barrier
	buffer_gl0_inv
	s_mov_b32 s4, exec_lo
	s_clause 0x3
	buffer_load_dword v1, v4, s[0:3], 0 offen
	buffer_load_dword v2, v4, s[0:3], 0 offen offset:4
	buffer_load_dword v3, v4, s[0:3], 0 offen offset:8
	buffer_load_dword v4, v4, s[0:3], 0 offen offset:12
	s_waitcnt vmcnt(0)
	ds_write_b128 v5, v[1:4]
	s_waitcnt lgkmcnt(0)
	s_barrier
	buffer_gl0_inv
	v_cmpx_gt_u32_e32 41, v0
	s_cbranch_execz .LBB52_179
; %bb.176:
	v_mov_b32_e32 v1, 0
	v_mov_b32_e32 v3, 0
	v_add_nc_u32_e32 v7, -1, v0
	v_add_nc_u32_e32 v8, 0x350, v217
	v_mov_b32_e32 v2, 0
	v_mov_b32_e32 v4, 0
	v_add_nc_u32_e32 v9, 16, v217
	s_mov_b32 s5, 0
	.p2align	6
.LBB52_177:                             ; =>This Inner Loop Header: Depth=1
	s_clause 0x3
	buffer_load_dword v14, v9, s[0:3], 0 offen offset:8
	buffer_load_dword v15, v9, s[0:3], 0 offen offset:12
	buffer_load_dword v16, v9, s[0:3], 0 offen
	buffer_load_dword v17, v9, s[0:3], 0 offen offset:4
	ds_read_b128 v[10:13], v8
	v_add_nc_u32_e32 v7, 1, v7
	v_add_nc_u32_e32 v8, 16, v8
	;; [unrolled: 1-line block ×3, first 2 shown]
	v_cmp_lt_u32_e32 vcc_lo, 39, v7
	s_or_b32 s5, vcc_lo, s5
	s_waitcnt vmcnt(2) lgkmcnt(0)
	v_mul_f64 v[18:19], v[12:13], v[14:15]
	v_mul_f64 v[14:15], v[10:11], v[14:15]
	s_waitcnt vmcnt(0)
	v_fma_f64 v[10:11], v[10:11], v[16:17], -v[18:19]
	v_fma_f64 v[12:13], v[12:13], v[16:17], v[14:15]
	v_add_f64 v[3:4], v[3:4], v[10:11]
	v_add_f64 v[1:2], v[1:2], v[12:13]
	s_andn2_b32 exec_lo, exec_lo, s5
	s_cbranch_execnz .LBB52_177
; %bb.178:
	s_or_b32 exec_lo, exec_lo, s5
	v_mov_b32_e32 v7, 0
	ds_read_b128 v[7:10], v7 offset:656
	s_waitcnt lgkmcnt(0)
	v_mul_f64 v[11:12], v[1:2], v[9:10]
	v_mul_f64 v[9:10], v[3:4], v[9:10]
	v_fma_f64 v[3:4], v[3:4], v[7:8], -v[11:12]
	v_fma_f64 v[1:2], v[1:2], v[7:8], v[9:10]
	buffer_store_dword v4, off, s[0:3], 0 offset:676
	buffer_store_dword v3, off, s[0:3], 0 offset:672
	;; [unrolled: 1-line block ×4, first 2 shown]
.LBB52_179:
	s_or_b32 exec_lo, exec_lo, s4
	v_mov_b32_e32 v4, s22
	s_waitcnt_vscnt null, 0x0
	s_barrier
	buffer_gl0_inv
	s_mov_b32 s4, exec_lo
	s_clause 0x3
	buffer_load_dword v1, v4, s[0:3], 0 offen
	buffer_load_dword v2, v4, s[0:3], 0 offen offset:4
	buffer_load_dword v3, v4, s[0:3], 0 offen offset:8
	;; [unrolled: 1-line block ×3, first 2 shown]
	s_waitcnt vmcnt(0)
	ds_write_b128 v5, v[1:4]
	s_waitcnt lgkmcnt(0)
	s_barrier
	buffer_gl0_inv
	v_cmpx_gt_u32_e32 42, v0
	s_cbranch_execz .LBB52_183
; %bb.180:
	v_mov_b32_e32 v1, 0
	v_mov_b32_e32 v3, 0
	v_add_nc_u32_e32 v7, -1, v0
	v_add_nc_u32_e32 v8, 0x350, v217
	v_mov_b32_e32 v2, 0
	v_mov_b32_e32 v4, 0
	v_add_nc_u32_e32 v9, 16, v217
	s_mov_b32 s5, 0
	.p2align	6
.LBB52_181:                             ; =>This Inner Loop Header: Depth=1
	s_clause 0x3
	buffer_load_dword v14, v9, s[0:3], 0 offen offset:8
	buffer_load_dword v15, v9, s[0:3], 0 offen offset:12
	buffer_load_dword v16, v9, s[0:3], 0 offen
	buffer_load_dword v17, v9, s[0:3], 0 offen offset:4
	ds_read_b128 v[10:13], v8
	v_add_nc_u32_e32 v7, 1, v7
	v_add_nc_u32_e32 v8, 16, v8
	;; [unrolled: 1-line block ×3, first 2 shown]
	v_cmp_lt_u32_e32 vcc_lo, 40, v7
	s_or_b32 s5, vcc_lo, s5
	s_waitcnt vmcnt(2) lgkmcnt(0)
	v_mul_f64 v[18:19], v[12:13], v[14:15]
	v_mul_f64 v[14:15], v[10:11], v[14:15]
	s_waitcnt vmcnt(0)
	v_fma_f64 v[10:11], v[10:11], v[16:17], -v[18:19]
	v_fma_f64 v[12:13], v[12:13], v[16:17], v[14:15]
	v_add_f64 v[3:4], v[3:4], v[10:11]
	v_add_f64 v[1:2], v[1:2], v[12:13]
	s_andn2_b32 exec_lo, exec_lo, s5
	s_cbranch_execnz .LBB52_181
; %bb.182:
	s_or_b32 exec_lo, exec_lo, s5
	v_mov_b32_e32 v7, 0
	ds_read_b128 v[7:10], v7 offset:672
	s_waitcnt lgkmcnt(0)
	v_mul_f64 v[11:12], v[1:2], v[9:10]
	v_mul_f64 v[9:10], v[3:4], v[9:10]
	v_fma_f64 v[3:4], v[3:4], v[7:8], -v[11:12]
	v_fma_f64 v[1:2], v[1:2], v[7:8], v[9:10]
	buffer_store_dword v4, off, s[0:3], 0 offset:692
	buffer_store_dword v3, off, s[0:3], 0 offset:688
	;; [unrolled: 1-line block ×4, first 2 shown]
.LBB52_183:
	s_or_b32 exec_lo, exec_lo, s4
	v_mov_b32_e32 v4, s19
	s_waitcnt_vscnt null, 0x0
	s_barrier
	buffer_gl0_inv
	s_mov_b32 s4, exec_lo
	s_clause 0x3
	buffer_load_dword v1, v4, s[0:3], 0 offen
	buffer_load_dword v2, v4, s[0:3], 0 offen offset:4
	buffer_load_dword v3, v4, s[0:3], 0 offen offset:8
	;; [unrolled: 1-line block ×3, first 2 shown]
	s_waitcnt vmcnt(0)
	ds_write_b128 v5, v[1:4]
	s_waitcnt lgkmcnt(0)
	s_barrier
	buffer_gl0_inv
	v_cmpx_gt_u32_e32 43, v0
	s_cbranch_execz .LBB52_187
; %bb.184:
	v_mov_b32_e32 v1, 0
	v_mov_b32_e32 v3, 0
	v_add_nc_u32_e32 v7, -1, v0
	v_add_nc_u32_e32 v8, 0x350, v217
	v_mov_b32_e32 v2, 0
	v_mov_b32_e32 v4, 0
	v_add_nc_u32_e32 v9, 16, v217
	s_mov_b32 s5, 0
	.p2align	6
.LBB52_185:                             ; =>This Inner Loop Header: Depth=1
	s_clause 0x3
	buffer_load_dword v14, v9, s[0:3], 0 offen offset:8
	buffer_load_dword v15, v9, s[0:3], 0 offen offset:12
	buffer_load_dword v16, v9, s[0:3], 0 offen
	buffer_load_dword v17, v9, s[0:3], 0 offen offset:4
	ds_read_b128 v[10:13], v8
	v_add_nc_u32_e32 v7, 1, v7
	v_add_nc_u32_e32 v8, 16, v8
	;; [unrolled: 1-line block ×3, first 2 shown]
	v_cmp_lt_u32_e32 vcc_lo, 41, v7
	s_or_b32 s5, vcc_lo, s5
	s_waitcnt vmcnt(2) lgkmcnt(0)
	v_mul_f64 v[18:19], v[12:13], v[14:15]
	v_mul_f64 v[14:15], v[10:11], v[14:15]
	s_waitcnt vmcnt(0)
	v_fma_f64 v[10:11], v[10:11], v[16:17], -v[18:19]
	v_fma_f64 v[12:13], v[12:13], v[16:17], v[14:15]
	v_add_f64 v[3:4], v[3:4], v[10:11]
	v_add_f64 v[1:2], v[1:2], v[12:13]
	s_andn2_b32 exec_lo, exec_lo, s5
	s_cbranch_execnz .LBB52_185
; %bb.186:
	s_or_b32 exec_lo, exec_lo, s5
	v_mov_b32_e32 v7, 0
	ds_read_b128 v[7:10], v7 offset:688
	s_waitcnt lgkmcnt(0)
	v_mul_f64 v[11:12], v[1:2], v[9:10]
	v_mul_f64 v[9:10], v[3:4], v[9:10]
	v_fma_f64 v[3:4], v[3:4], v[7:8], -v[11:12]
	v_fma_f64 v[1:2], v[1:2], v[7:8], v[9:10]
	buffer_store_dword v4, off, s[0:3], 0 offset:708
	buffer_store_dword v3, off, s[0:3], 0 offset:704
	;; [unrolled: 1-line block ×4, first 2 shown]
.LBB52_187:
	s_or_b32 exec_lo, exec_lo, s4
	v_mov_b32_e32 v4, s18
	s_waitcnt_vscnt null, 0x0
	s_barrier
	buffer_gl0_inv
	s_mov_b32 s4, exec_lo
	s_clause 0x3
	buffer_load_dword v1, v4, s[0:3], 0 offen
	buffer_load_dword v2, v4, s[0:3], 0 offen offset:4
	buffer_load_dword v3, v4, s[0:3], 0 offen offset:8
	;; [unrolled: 1-line block ×3, first 2 shown]
	s_waitcnt vmcnt(0)
	ds_write_b128 v5, v[1:4]
	s_waitcnt lgkmcnt(0)
	s_barrier
	buffer_gl0_inv
	v_cmpx_gt_u32_e32 44, v0
	s_cbranch_execz .LBB52_191
; %bb.188:
	v_mov_b32_e32 v1, 0
	v_mov_b32_e32 v3, 0
	v_add_nc_u32_e32 v7, -1, v0
	v_add_nc_u32_e32 v8, 0x350, v217
	v_mov_b32_e32 v2, 0
	v_mov_b32_e32 v4, 0
	v_add_nc_u32_e32 v9, 16, v217
	s_mov_b32 s5, 0
	.p2align	6
.LBB52_189:                             ; =>This Inner Loop Header: Depth=1
	s_clause 0x3
	buffer_load_dword v14, v9, s[0:3], 0 offen offset:8
	buffer_load_dword v15, v9, s[0:3], 0 offen offset:12
	buffer_load_dword v16, v9, s[0:3], 0 offen
	buffer_load_dword v17, v9, s[0:3], 0 offen offset:4
	ds_read_b128 v[10:13], v8
	v_add_nc_u32_e32 v7, 1, v7
	v_add_nc_u32_e32 v8, 16, v8
	v_add_nc_u32_e32 v9, 16, v9
	v_cmp_lt_u32_e32 vcc_lo, 42, v7
	s_or_b32 s5, vcc_lo, s5
	s_waitcnt vmcnt(2) lgkmcnt(0)
	v_mul_f64 v[18:19], v[12:13], v[14:15]
	v_mul_f64 v[14:15], v[10:11], v[14:15]
	s_waitcnt vmcnt(0)
	v_fma_f64 v[10:11], v[10:11], v[16:17], -v[18:19]
	v_fma_f64 v[12:13], v[12:13], v[16:17], v[14:15]
	v_add_f64 v[3:4], v[3:4], v[10:11]
	v_add_f64 v[1:2], v[1:2], v[12:13]
	s_andn2_b32 exec_lo, exec_lo, s5
	s_cbranch_execnz .LBB52_189
; %bb.190:
	s_or_b32 exec_lo, exec_lo, s5
	v_mov_b32_e32 v7, 0
	ds_read_b128 v[7:10], v7 offset:704
	s_waitcnt lgkmcnt(0)
	v_mul_f64 v[11:12], v[1:2], v[9:10]
	v_mul_f64 v[9:10], v[3:4], v[9:10]
	v_fma_f64 v[3:4], v[3:4], v[7:8], -v[11:12]
	v_fma_f64 v[1:2], v[1:2], v[7:8], v[9:10]
	buffer_store_dword v4, off, s[0:3], 0 offset:724
	buffer_store_dword v3, off, s[0:3], 0 offset:720
	;; [unrolled: 1-line block ×4, first 2 shown]
.LBB52_191:
	s_or_b32 exec_lo, exec_lo, s4
	v_mov_b32_e32 v4, s17
	s_waitcnt_vscnt null, 0x0
	s_barrier
	buffer_gl0_inv
	s_mov_b32 s4, exec_lo
	s_clause 0x3
	buffer_load_dword v1, v4, s[0:3], 0 offen
	buffer_load_dword v2, v4, s[0:3], 0 offen offset:4
	buffer_load_dword v3, v4, s[0:3], 0 offen offset:8
	;; [unrolled: 1-line block ×3, first 2 shown]
	s_waitcnt vmcnt(0)
	ds_write_b128 v5, v[1:4]
	s_waitcnt lgkmcnt(0)
	s_barrier
	buffer_gl0_inv
	v_cmpx_gt_u32_e32 45, v0
	s_cbranch_execz .LBB52_195
; %bb.192:
	v_mov_b32_e32 v1, 0
	v_mov_b32_e32 v3, 0
	v_add_nc_u32_e32 v7, -1, v0
	v_add_nc_u32_e32 v8, 0x350, v217
	v_mov_b32_e32 v2, 0
	v_mov_b32_e32 v4, 0
	v_add_nc_u32_e32 v9, 16, v217
	s_mov_b32 s5, 0
	.p2align	6
.LBB52_193:                             ; =>This Inner Loop Header: Depth=1
	s_clause 0x3
	buffer_load_dword v14, v9, s[0:3], 0 offen offset:8
	buffer_load_dword v15, v9, s[0:3], 0 offen offset:12
	buffer_load_dword v16, v9, s[0:3], 0 offen
	buffer_load_dword v17, v9, s[0:3], 0 offen offset:4
	ds_read_b128 v[10:13], v8
	v_add_nc_u32_e32 v7, 1, v7
	v_add_nc_u32_e32 v8, 16, v8
	;; [unrolled: 1-line block ×3, first 2 shown]
	v_cmp_lt_u32_e32 vcc_lo, 43, v7
	s_or_b32 s5, vcc_lo, s5
	s_waitcnt vmcnt(2) lgkmcnt(0)
	v_mul_f64 v[18:19], v[12:13], v[14:15]
	v_mul_f64 v[14:15], v[10:11], v[14:15]
	s_waitcnt vmcnt(0)
	v_fma_f64 v[10:11], v[10:11], v[16:17], -v[18:19]
	v_fma_f64 v[12:13], v[12:13], v[16:17], v[14:15]
	v_add_f64 v[3:4], v[3:4], v[10:11]
	v_add_f64 v[1:2], v[1:2], v[12:13]
	s_andn2_b32 exec_lo, exec_lo, s5
	s_cbranch_execnz .LBB52_193
; %bb.194:
	s_or_b32 exec_lo, exec_lo, s5
	v_mov_b32_e32 v7, 0
	ds_read_b128 v[7:10], v7 offset:720
	s_waitcnt lgkmcnt(0)
	v_mul_f64 v[11:12], v[1:2], v[9:10]
	v_mul_f64 v[9:10], v[3:4], v[9:10]
	v_fma_f64 v[3:4], v[3:4], v[7:8], -v[11:12]
	v_fma_f64 v[1:2], v[1:2], v[7:8], v[9:10]
	buffer_store_dword v4, off, s[0:3], 0 offset:740
	buffer_store_dword v3, off, s[0:3], 0 offset:736
	;; [unrolled: 1-line block ×4, first 2 shown]
.LBB52_195:
	s_or_b32 exec_lo, exec_lo, s4
	v_mov_b32_e32 v4, s16
	s_waitcnt_vscnt null, 0x0
	s_barrier
	buffer_gl0_inv
	s_mov_b32 s4, exec_lo
	s_clause 0x3
	buffer_load_dword v1, v4, s[0:3], 0 offen
	buffer_load_dword v2, v4, s[0:3], 0 offen offset:4
	buffer_load_dword v3, v4, s[0:3], 0 offen offset:8
	;; [unrolled: 1-line block ×3, first 2 shown]
	s_waitcnt vmcnt(0)
	ds_write_b128 v5, v[1:4]
	s_waitcnt lgkmcnt(0)
	s_barrier
	buffer_gl0_inv
	v_cmpx_gt_u32_e32 46, v0
	s_cbranch_execz .LBB52_199
; %bb.196:
	v_mov_b32_e32 v1, 0
	v_mov_b32_e32 v3, 0
	v_add_nc_u32_e32 v7, -1, v0
	v_add_nc_u32_e32 v8, 0x350, v217
	v_mov_b32_e32 v2, 0
	v_mov_b32_e32 v4, 0
	v_add_nc_u32_e32 v9, 16, v217
	s_mov_b32 s5, 0
	.p2align	6
.LBB52_197:                             ; =>This Inner Loop Header: Depth=1
	s_clause 0x3
	buffer_load_dword v14, v9, s[0:3], 0 offen offset:8
	buffer_load_dword v15, v9, s[0:3], 0 offen offset:12
	buffer_load_dword v16, v9, s[0:3], 0 offen
	buffer_load_dword v17, v9, s[0:3], 0 offen offset:4
	ds_read_b128 v[10:13], v8
	v_add_nc_u32_e32 v7, 1, v7
	v_add_nc_u32_e32 v8, 16, v8
	;; [unrolled: 1-line block ×3, first 2 shown]
	v_cmp_lt_u32_e32 vcc_lo, 44, v7
	s_or_b32 s5, vcc_lo, s5
	s_waitcnt vmcnt(2) lgkmcnt(0)
	v_mul_f64 v[18:19], v[12:13], v[14:15]
	v_mul_f64 v[14:15], v[10:11], v[14:15]
	s_waitcnt vmcnt(0)
	v_fma_f64 v[10:11], v[10:11], v[16:17], -v[18:19]
	v_fma_f64 v[12:13], v[12:13], v[16:17], v[14:15]
	v_add_f64 v[3:4], v[3:4], v[10:11]
	v_add_f64 v[1:2], v[1:2], v[12:13]
	s_andn2_b32 exec_lo, exec_lo, s5
	s_cbranch_execnz .LBB52_197
; %bb.198:
	s_or_b32 exec_lo, exec_lo, s5
	v_mov_b32_e32 v7, 0
	ds_read_b128 v[7:10], v7 offset:736
	s_waitcnt lgkmcnt(0)
	v_mul_f64 v[11:12], v[1:2], v[9:10]
	v_mul_f64 v[9:10], v[3:4], v[9:10]
	v_fma_f64 v[3:4], v[3:4], v[7:8], -v[11:12]
	v_fma_f64 v[1:2], v[1:2], v[7:8], v[9:10]
	buffer_store_dword v4, off, s[0:3], 0 offset:756
	buffer_store_dword v3, off, s[0:3], 0 offset:752
	;; [unrolled: 1-line block ×4, first 2 shown]
.LBB52_199:
	s_or_b32 exec_lo, exec_lo, s4
	v_mov_b32_e32 v4, s15
	s_waitcnt_vscnt null, 0x0
	s_barrier
	buffer_gl0_inv
	s_mov_b32 s4, exec_lo
	s_clause 0x3
	buffer_load_dword v1, v4, s[0:3], 0 offen
	buffer_load_dword v2, v4, s[0:3], 0 offen offset:4
	buffer_load_dword v3, v4, s[0:3], 0 offen offset:8
	;; [unrolled: 1-line block ×3, first 2 shown]
	s_waitcnt vmcnt(0)
	ds_write_b128 v5, v[1:4]
	s_waitcnt lgkmcnt(0)
	s_barrier
	buffer_gl0_inv
	v_cmpx_gt_u32_e32 47, v0
	s_cbranch_execz .LBB52_203
; %bb.200:
	v_mov_b32_e32 v1, 0
	v_mov_b32_e32 v3, 0
	v_add_nc_u32_e32 v7, -1, v0
	v_add_nc_u32_e32 v8, 0x350, v217
	v_mov_b32_e32 v2, 0
	v_mov_b32_e32 v4, 0
	v_add_nc_u32_e32 v9, 16, v217
	s_mov_b32 s5, 0
	.p2align	6
.LBB52_201:                             ; =>This Inner Loop Header: Depth=1
	s_clause 0x3
	buffer_load_dword v14, v9, s[0:3], 0 offen offset:8
	buffer_load_dword v15, v9, s[0:3], 0 offen offset:12
	buffer_load_dword v16, v9, s[0:3], 0 offen
	buffer_load_dword v17, v9, s[0:3], 0 offen offset:4
	ds_read_b128 v[10:13], v8
	v_add_nc_u32_e32 v7, 1, v7
	v_add_nc_u32_e32 v8, 16, v8
	;; [unrolled: 1-line block ×3, first 2 shown]
	v_cmp_lt_u32_e32 vcc_lo, 45, v7
	s_or_b32 s5, vcc_lo, s5
	s_waitcnt vmcnt(2) lgkmcnt(0)
	v_mul_f64 v[18:19], v[12:13], v[14:15]
	v_mul_f64 v[14:15], v[10:11], v[14:15]
	s_waitcnt vmcnt(0)
	v_fma_f64 v[10:11], v[10:11], v[16:17], -v[18:19]
	v_fma_f64 v[12:13], v[12:13], v[16:17], v[14:15]
	v_add_f64 v[3:4], v[3:4], v[10:11]
	v_add_f64 v[1:2], v[1:2], v[12:13]
	s_andn2_b32 exec_lo, exec_lo, s5
	s_cbranch_execnz .LBB52_201
; %bb.202:
	s_or_b32 exec_lo, exec_lo, s5
	v_mov_b32_e32 v7, 0
	ds_read_b128 v[7:10], v7 offset:752
	s_waitcnt lgkmcnt(0)
	v_mul_f64 v[11:12], v[1:2], v[9:10]
	v_mul_f64 v[9:10], v[3:4], v[9:10]
	v_fma_f64 v[3:4], v[3:4], v[7:8], -v[11:12]
	v_fma_f64 v[1:2], v[1:2], v[7:8], v[9:10]
	buffer_store_dword v4, off, s[0:3], 0 offset:772
	buffer_store_dword v3, off, s[0:3], 0 offset:768
	;; [unrolled: 1-line block ×4, first 2 shown]
.LBB52_203:
	s_or_b32 exec_lo, exec_lo, s4
	v_mov_b32_e32 v4, s14
	s_waitcnt_vscnt null, 0x0
	s_barrier
	buffer_gl0_inv
	s_mov_b32 s4, exec_lo
	s_clause 0x3
	buffer_load_dword v1, v4, s[0:3], 0 offen
	buffer_load_dword v2, v4, s[0:3], 0 offen offset:4
	buffer_load_dword v3, v4, s[0:3], 0 offen offset:8
	;; [unrolled: 1-line block ×3, first 2 shown]
	s_waitcnt vmcnt(0)
	ds_write_b128 v5, v[1:4]
	s_waitcnt lgkmcnt(0)
	s_barrier
	buffer_gl0_inv
	v_cmpx_gt_u32_e32 48, v0
	s_cbranch_execz .LBB52_207
; %bb.204:
	v_mov_b32_e32 v1, 0
	v_mov_b32_e32 v3, 0
	v_add_nc_u32_e32 v7, -1, v0
	v_add_nc_u32_e32 v8, 0x350, v217
	v_mov_b32_e32 v2, 0
	v_mov_b32_e32 v4, 0
	v_add_nc_u32_e32 v9, 16, v217
	s_mov_b32 s5, 0
	.p2align	6
.LBB52_205:                             ; =>This Inner Loop Header: Depth=1
	s_clause 0x3
	buffer_load_dword v14, v9, s[0:3], 0 offen offset:8
	buffer_load_dword v15, v9, s[0:3], 0 offen offset:12
	buffer_load_dword v16, v9, s[0:3], 0 offen
	buffer_load_dword v17, v9, s[0:3], 0 offen offset:4
	ds_read_b128 v[10:13], v8
	v_add_nc_u32_e32 v7, 1, v7
	v_add_nc_u32_e32 v8, 16, v8
	;; [unrolled: 1-line block ×3, first 2 shown]
	v_cmp_lt_u32_e32 vcc_lo, 46, v7
	s_or_b32 s5, vcc_lo, s5
	s_waitcnt vmcnt(2) lgkmcnt(0)
	v_mul_f64 v[18:19], v[12:13], v[14:15]
	v_mul_f64 v[14:15], v[10:11], v[14:15]
	s_waitcnt vmcnt(0)
	v_fma_f64 v[10:11], v[10:11], v[16:17], -v[18:19]
	v_fma_f64 v[12:13], v[12:13], v[16:17], v[14:15]
	v_add_f64 v[3:4], v[3:4], v[10:11]
	v_add_f64 v[1:2], v[1:2], v[12:13]
	s_andn2_b32 exec_lo, exec_lo, s5
	s_cbranch_execnz .LBB52_205
; %bb.206:
	s_or_b32 exec_lo, exec_lo, s5
	v_mov_b32_e32 v7, 0
	ds_read_b128 v[7:10], v7 offset:768
	s_waitcnt lgkmcnt(0)
	v_mul_f64 v[11:12], v[1:2], v[9:10]
	v_mul_f64 v[9:10], v[3:4], v[9:10]
	v_fma_f64 v[3:4], v[3:4], v[7:8], -v[11:12]
	v_fma_f64 v[1:2], v[1:2], v[7:8], v[9:10]
	buffer_store_dword v4, off, s[0:3], 0 offset:788
	buffer_store_dword v3, off, s[0:3], 0 offset:784
	;; [unrolled: 1-line block ×4, first 2 shown]
.LBB52_207:
	s_or_b32 exec_lo, exec_lo, s4
	v_mov_b32_e32 v4, s13
	s_waitcnt_vscnt null, 0x0
	s_barrier
	buffer_gl0_inv
	s_mov_b32 s4, exec_lo
	s_clause 0x3
	buffer_load_dword v1, v4, s[0:3], 0 offen
	buffer_load_dword v2, v4, s[0:3], 0 offen offset:4
	buffer_load_dword v3, v4, s[0:3], 0 offen offset:8
	;; [unrolled: 1-line block ×3, first 2 shown]
	s_waitcnt vmcnt(0)
	ds_write_b128 v5, v[1:4]
	s_waitcnt lgkmcnt(0)
	s_barrier
	buffer_gl0_inv
	v_cmpx_gt_u32_e32 49, v0
	s_cbranch_execz .LBB52_211
; %bb.208:
	v_mov_b32_e32 v1, 0
	v_mov_b32_e32 v3, 0
	v_add_nc_u32_e32 v7, -1, v0
	v_add_nc_u32_e32 v8, 0x350, v217
	v_mov_b32_e32 v2, 0
	v_mov_b32_e32 v4, 0
	v_add_nc_u32_e32 v9, 16, v217
	s_mov_b32 s5, 0
	.p2align	6
.LBB52_209:                             ; =>This Inner Loop Header: Depth=1
	s_clause 0x3
	buffer_load_dword v14, v9, s[0:3], 0 offen offset:8
	buffer_load_dword v15, v9, s[0:3], 0 offen offset:12
	buffer_load_dword v16, v9, s[0:3], 0 offen
	buffer_load_dword v17, v9, s[0:3], 0 offen offset:4
	ds_read_b128 v[10:13], v8
	v_add_nc_u32_e32 v7, 1, v7
	v_add_nc_u32_e32 v8, 16, v8
	;; [unrolled: 1-line block ×3, first 2 shown]
	v_cmp_lt_u32_e32 vcc_lo, 47, v7
	s_or_b32 s5, vcc_lo, s5
	s_waitcnt vmcnt(2) lgkmcnt(0)
	v_mul_f64 v[18:19], v[12:13], v[14:15]
	v_mul_f64 v[14:15], v[10:11], v[14:15]
	s_waitcnt vmcnt(0)
	v_fma_f64 v[10:11], v[10:11], v[16:17], -v[18:19]
	v_fma_f64 v[12:13], v[12:13], v[16:17], v[14:15]
	v_add_f64 v[3:4], v[3:4], v[10:11]
	v_add_f64 v[1:2], v[1:2], v[12:13]
	s_andn2_b32 exec_lo, exec_lo, s5
	s_cbranch_execnz .LBB52_209
; %bb.210:
	s_or_b32 exec_lo, exec_lo, s5
	v_mov_b32_e32 v7, 0
	ds_read_b128 v[7:10], v7 offset:784
	s_waitcnt lgkmcnt(0)
	v_mul_f64 v[11:12], v[1:2], v[9:10]
	v_mul_f64 v[9:10], v[3:4], v[9:10]
	v_fma_f64 v[3:4], v[3:4], v[7:8], -v[11:12]
	v_fma_f64 v[1:2], v[1:2], v[7:8], v[9:10]
	buffer_store_dword v4, off, s[0:3], 0 offset:804
	buffer_store_dword v3, off, s[0:3], 0 offset:800
	;; [unrolled: 1-line block ×4, first 2 shown]
.LBB52_211:
	s_or_b32 exec_lo, exec_lo, s4
	v_mov_b32_e32 v4, s12
	s_waitcnt_vscnt null, 0x0
	s_barrier
	buffer_gl0_inv
	s_mov_b32 s4, exec_lo
	s_clause 0x3
	buffer_load_dword v1, v4, s[0:3], 0 offen
	buffer_load_dword v2, v4, s[0:3], 0 offen offset:4
	buffer_load_dword v3, v4, s[0:3], 0 offen offset:8
	;; [unrolled: 1-line block ×3, first 2 shown]
	s_waitcnt vmcnt(0)
	ds_write_b128 v5, v[1:4]
	s_waitcnt lgkmcnt(0)
	s_barrier
	buffer_gl0_inv
	v_cmpx_gt_u32_e32 50, v0
	s_cbranch_execz .LBB52_215
; %bb.212:
	v_mov_b32_e32 v1, 0
	v_mov_b32_e32 v3, 0
	v_add_nc_u32_e32 v7, -1, v0
	v_add_nc_u32_e32 v8, 0x350, v217
	v_mov_b32_e32 v2, 0
	v_mov_b32_e32 v4, 0
	v_add_nc_u32_e32 v9, 16, v217
	s_mov_b32 s5, 0
	.p2align	6
.LBB52_213:                             ; =>This Inner Loop Header: Depth=1
	s_clause 0x3
	buffer_load_dword v14, v9, s[0:3], 0 offen offset:8
	buffer_load_dword v15, v9, s[0:3], 0 offen offset:12
	buffer_load_dword v16, v9, s[0:3], 0 offen
	buffer_load_dword v17, v9, s[0:3], 0 offen offset:4
	ds_read_b128 v[10:13], v8
	v_add_nc_u32_e32 v7, 1, v7
	v_add_nc_u32_e32 v8, 16, v8
	;; [unrolled: 1-line block ×3, first 2 shown]
	v_cmp_lt_u32_e32 vcc_lo, 48, v7
	s_or_b32 s5, vcc_lo, s5
	s_waitcnt vmcnt(2) lgkmcnt(0)
	v_mul_f64 v[18:19], v[12:13], v[14:15]
	v_mul_f64 v[14:15], v[10:11], v[14:15]
	s_waitcnt vmcnt(0)
	v_fma_f64 v[10:11], v[10:11], v[16:17], -v[18:19]
	v_fma_f64 v[12:13], v[12:13], v[16:17], v[14:15]
	v_add_f64 v[3:4], v[3:4], v[10:11]
	v_add_f64 v[1:2], v[1:2], v[12:13]
	s_andn2_b32 exec_lo, exec_lo, s5
	s_cbranch_execnz .LBB52_213
; %bb.214:
	s_or_b32 exec_lo, exec_lo, s5
	v_mov_b32_e32 v7, 0
	ds_read_b128 v[7:10], v7 offset:800
	s_waitcnt lgkmcnt(0)
	v_mul_f64 v[11:12], v[1:2], v[9:10]
	v_mul_f64 v[9:10], v[3:4], v[9:10]
	v_fma_f64 v[3:4], v[3:4], v[7:8], -v[11:12]
	v_fma_f64 v[1:2], v[1:2], v[7:8], v[9:10]
	buffer_store_dword v4, off, s[0:3], 0 offset:820
	buffer_store_dword v3, off, s[0:3], 0 offset:816
	;; [unrolled: 1-line block ×4, first 2 shown]
.LBB52_215:
	s_or_b32 exec_lo, exec_lo, s4
	v_mov_b32_e32 v4, s9
	s_waitcnt_vscnt null, 0x0
	s_barrier
	buffer_gl0_inv
	s_mov_b32 s4, exec_lo
	s_clause 0x3
	buffer_load_dword v1, v4, s[0:3], 0 offen
	buffer_load_dword v2, v4, s[0:3], 0 offen offset:4
	buffer_load_dword v3, v4, s[0:3], 0 offen offset:8
	;; [unrolled: 1-line block ×3, first 2 shown]
	s_waitcnt vmcnt(0)
	ds_write_b128 v5, v[1:4]
	s_waitcnt lgkmcnt(0)
	s_barrier
	buffer_gl0_inv
	v_cmpx_gt_u32_e32 51, v0
	s_cbranch_execz .LBB52_219
; %bb.216:
	v_mov_b32_e32 v1, 0
	v_mov_b32_e32 v3, 0
	v_add_nc_u32_e32 v7, -1, v0
	v_add_nc_u32_e32 v8, 0x350, v217
	v_mov_b32_e32 v2, 0
	v_mov_b32_e32 v4, 0
	v_add_nc_u32_e32 v9, 16, v217
	s_mov_b32 s5, 0
	.p2align	6
.LBB52_217:                             ; =>This Inner Loop Header: Depth=1
	s_clause 0x3
	buffer_load_dword v14, v9, s[0:3], 0 offen offset:8
	buffer_load_dword v15, v9, s[0:3], 0 offen offset:12
	buffer_load_dword v16, v9, s[0:3], 0 offen
	buffer_load_dword v17, v9, s[0:3], 0 offen offset:4
	ds_read_b128 v[10:13], v8
	v_add_nc_u32_e32 v7, 1, v7
	v_add_nc_u32_e32 v8, 16, v8
	;; [unrolled: 1-line block ×3, first 2 shown]
	v_cmp_lt_u32_e32 vcc_lo, 49, v7
	s_or_b32 s5, vcc_lo, s5
	s_waitcnt vmcnt(2) lgkmcnt(0)
	v_mul_f64 v[18:19], v[12:13], v[14:15]
	v_mul_f64 v[14:15], v[10:11], v[14:15]
	s_waitcnt vmcnt(0)
	v_fma_f64 v[10:11], v[10:11], v[16:17], -v[18:19]
	v_fma_f64 v[12:13], v[12:13], v[16:17], v[14:15]
	v_add_f64 v[3:4], v[3:4], v[10:11]
	v_add_f64 v[1:2], v[1:2], v[12:13]
	s_andn2_b32 exec_lo, exec_lo, s5
	s_cbranch_execnz .LBB52_217
; %bb.218:
	s_or_b32 exec_lo, exec_lo, s5
	v_mov_b32_e32 v7, 0
	ds_read_b128 v[7:10], v7 offset:816
	s_waitcnt lgkmcnt(0)
	v_mul_f64 v[11:12], v[1:2], v[9:10]
	v_mul_f64 v[9:10], v[3:4], v[9:10]
	v_fma_f64 v[3:4], v[3:4], v[7:8], -v[11:12]
	v_fma_f64 v[1:2], v[1:2], v[7:8], v[9:10]
	buffer_store_dword v4, off, s[0:3], 0 offset:836
	buffer_store_dword v3, off, s[0:3], 0 offset:832
	;; [unrolled: 1-line block ×4, first 2 shown]
.LBB52_219:
	s_or_b32 exec_lo, exec_lo, s4
	v_mov_b32_e32 v4, s8
	s_waitcnt_vscnt null, 0x0
	s_barrier
	buffer_gl0_inv
	s_mov_b32 s4, exec_lo
	s_clause 0x3
	buffer_load_dword v1, v4, s[0:3], 0 offen
	buffer_load_dword v2, v4, s[0:3], 0 offen offset:4
	buffer_load_dword v3, v4, s[0:3], 0 offen offset:8
	;; [unrolled: 1-line block ×3, first 2 shown]
	s_waitcnt vmcnt(0)
	ds_write_b128 v5, v[1:4]
	s_waitcnt lgkmcnt(0)
	s_barrier
	buffer_gl0_inv
	v_cmpx_ne_u32_e32 52, v0
	s_cbranch_execz .LBB52_223
; %bb.220:
	v_mov_b32_e32 v1, 0
	v_mov_b32_e32 v3, 0
	;; [unrolled: 1-line block ×4, first 2 shown]
	v_add_nc_u32_e32 v7, 16, v217
	s_mov_b32 s5, 0
	.p2align	6
.LBB52_221:                             ; =>This Inner Loop Header: Depth=1
	s_clause 0x3
	buffer_load_dword v12, v7, s[0:3], 0 offen offset:8
	buffer_load_dword v13, v7, s[0:3], 0 offen offset:12
	buffer_load_dword v14, v7, s[0:3], 0 offen
	buffer_load_dword v15, v7, s[0:3], 0 offen offset:4
	ds_read_b128 v[8:11], v5
	v_add_nc_u32_e32 v6, 1, v6
	v_add_nc_u32_e32 v5, 16, v5
	;; [unrolled: 1-line block ×3, first 2 shown]
	v_cmp_lt_u32_e32 vcc_lo, 50, v6
	s_or_b32 s5, vcc_lo, s5
	s_waitcnt vmcnt(2) lgkmcnt(0)
	v_mul_f64 v[16:17], v[10:11], v[12:13]
	v_mul_f64 v[12:13], v[8:9], v[12:13]
	s_waitcnt vmcnt(0)
	v_fma_f64 v[8:9], v[8:9], v[14:15], -v[16:17]
	v_fma_f64 v[10:11], v[10:11], v[14:15], v[12:13]
	v_add_f64 v[3:4], v[3:4], v[8:9]
	v_add_f64 v[1:2], v[1:2], v[10:11]
	s_andn2_b32 exec_lo, exec_lo, s5
	s_cbranch_execnz .LBB52_221
; %bb.222:
	s_or_b32 exec_lo, exec_lo, s5
	v_mov_b32_e32 v5, 0
	ds_read_b128 v[5:8], v5 offset:832
	s_waitcnt lgkmcnt(0)
	v_mul_f64 v[9:10], v[1:2], v[7:8]
	v_mul_f64 v[7:8], v[3:4], v[7:8]
	v_fma_f64 v[3:4], v[3:4], v[5:6], -v[9:10]
	v_fma_f64 v[1:2], v[1:2], v[5:6], v[7:8]
	buffer_store_dword v4, off, s[0:3], 0 offset:852
	buffer_store_dword v3, off, s[0:3], 0 offset:848
	buffer_store_dword v2, off, s[0:3], 0 offset:860
	buffer_store_dword v1, off, s[0:3], 0 offset:856
.LBB52_223:
	s_or_b32 exec_lo, exec_lo, s4
	s_mov_b32 s5, -1
	s_waitcnt_vscnt null, 0x0
	s_barrier
	buffer_gl0_inv
.LBB52_224:
	s_and_b32 vcc_lo, exec_lo, s5
	s_cbranch_vccz .LBB52_226
; %bb.225:
	s_lshl_b64 s[4:5], s[6:7], 2
	v_mov_b32_e32 v1, 0
	s_add_u32 s4, s10, s4
	s_addc_u32 s5, s11, s5
	global_load_dword v1, v1, s[4:5]
	s_waitcnt vmcnt(0)
	v_cmp_ne_u32_e32 vcc_lo, 0, v1
	s_cbranch_vccz .LBB52_227
.LBB52_226:
	s_endpgm
.LBB52_227:
	v_lshl_add_u32 v43, v0, 4, 0x350
	s_mov_b32 s4, exec_lo
	v_cmpx_eq_u32_e32 52, v0
	s_cbranch_execz .LBB52_229
; %bb.228:
	v_mov_b32_e32 v4, s9
	v_mov_b32_e32 v5, 0
	s_clause 0x3
	buffer_load_dword v1, v4, s[0:3], 0 offen
	buffer_load_dword v2, v4, s[0:3], 0 offen offset:4
	buffer_load_dword v3, v4, s[0:3], 0 offen offset:8
	;; [unrolled: 1-line block ×3, first 2 shown]
	buffer_store_dword v5, off, s[0:3], 0 offset:832
	buffer_store_dword v5, off, s[0:3], 0 offset:836
	;; [unrolled: 1-line block ×4, first 2 shown]
	s_waitcnt vmcnt(0)
	ds_write_b128 v43, v[1:4]
.LBB52_229:
	s_or_b32 exec_lo, exec_lo, s4
	s_waitcnt lgkmcnt(0)
	s_waitcnt_vscnt null, 0x0
	s_barrier
	buffer_gl0_inv
	s_clause 0x7
	buffer_load_dword v6, off, s[0:3], 0 offset:856
	buffer_load_dword v7, off, s[0:3], 0 offset:860
	;; [unrolled: 1-line block ×8, first 2 shown]
	v_mov_b32_e32 v1, 0
	s_mov_b32 s4, exec_lo
	ds_read_b128 v[2:5], v1 offset:1680
	s_waitcnt vmcnt(6) lgkmcnt(0)
	v_mul_f64 v[14:15], v[4:5], v[6:7]
	v_mul_f64 v[6:7], v[2:3], v[6:7]
	s_waitcnt vmcnt(4)
	v_fma_f64 v[2:3], v[2:3], v[8:9], -v[14:15]
	v_fma_f64 v[4:5], v[4:5], v[8:9], v[6:7]
	v_add_f64 v[2:3], v[2:3], 0
	v_add_f64 v[4:5], v[4:5], 0
	s_waitcnt vmcnt(2)
	v_add_f64 v[2:3], v[10:11], -v[2:3]
	s_waitcnt vmcnt(0)
	v_add_f64 v[4:5], v[12:13], -v[4:5]
	buffer_store_dword v2, off, s[0:3], 0 offset:832
	buffer_store_dword v3, off, s[0:3], 0 offset:836
	;; [unrolled: 1-line block ×4, first 2 shown]
	v_cmpx_lt_u32_e32 50, v0
	s_cbranch_execz .LBB52_231
; %bb.230:
	v_mov_b32_e32 v5, s12
	s_clause 0x3
	buffer_load_dword v2, v5, s[0:3], 0 offen
	buffer_load_dword v3, v5, s[0:3], 0 offen offset:4
	buffer_load_dword v4, v5, s[0:3], 0 offen offset:8
	;; [unrolled: 1-line block ×3, first 2 shown]
	buffer_store_dword v1, off, s[0:3], 0 offset:816
	buffer_store_dword v1, off, s[0:3], 0 offset:820
	;; [unrolled: 1-line block ×4, first 2 shown]
	s_waitcnt vmcnt(0)
	ds_write_b128 v43, v[2:5]
.LBB52_231:
	s_or_b32 exec_lo, exec_lo, s4
	s_waitcnt lgkmcnt(0)
	s_waitcnt_vscnt null, 0x0
	s_barrier
	buffer_gl0_inv
	s_clause 0xb
	buffer_load_dword v10, off, s[0:3], 0 offset:840
	buffer_load_dword v11, off, s[0:3], 0 offset:844
	;; [unrolled: 1-line block ×12, first 2 shown]
	ds_read_b128 v[2:5], v1 offset:1664
	ds_read_b128 v[6:9], v1 offset:1680
	s_mov_b32 s4, exec_lo
	s_waitcnt vmcnt(10) lgkmcnt(1)
	v_mul_f64 v[22:23], v[4:5], v[10:11]
	v_mul_f64 v[10:11], v[2:3], v[10:11]
	s_waitcnt vmcnt(8) lgkmcnt(0)
	v_mul_f64 v[24:25], v[8:9], v[12:13]
	v_mul_f64 v[12:13], v[6:7], v[12:13]
	s_waitcnt vmcnt(6)
	v_fma_f64 v[1:2], v[2:3], v[14:15], -v[22:23]
	v_fma_f64 v[3:4], v[4:5], v[14:15], v[10:11]
	s_waitcnt vmcnt(4)
	v_fma_f64 v[5:6], v[6:7], v[16:17], -v[24:25]
	v_fma_f64 v[7:8], v[8:9], v[16:17], v[12:13]
	v_add_f64 v[1:2], v[1:2], 0
	v_add_f64 v[3:4], v[3:4], 0
	;; [unrolled: 1-line block ×4, first 2 shown]
	s_waitcnt vmcnt(2)
	v_add_f64 v[1:2], v[18:19], -v[1:2]
	s_waitcnt vmcnt(0)
	v_add_f64 v[3:4], v[20:21], -v[3:4]
	buffer_store_dword v1, off, s[0:3], 0 offset:816
	buffer_store_dword v2, off, s[0:3], 0 offset:820
	;; [unrolled: 1-line block ×4, first 2 shown]
	v_cmpx_lt_u32_e32 49, v0
	s_cbranch_execz .LBB52_233
; %bb.232:
	v_mov_b32_e32 v4, s13
	v_mov_b32_e32 v5, 0
	s_clause 0x3
	buffer_load_dword v1, v4, s[0:3], 0 offen
	buffer_load_dword v2, v4, s[0:3], 0 offen offset:4
	buffer_load_dword v3, v4, s[0:3], 0 offen offset:8
	;; [unrolled: 1-line block ×3, first 2 shown]
	buffer_store_dword v5, off, s[0:3], 0 offset:800
	buffer_store_dword v5, off, s[0:3], 0 offset:804
	;; [unrolled: 1-line block ×4, first 2 shown]
	s_waitcnt vmcnt(0)
	ds_write_b128 v43, v[1:4]
.LBB52_233:
	s_or_b32 exec_lo, exec_lo, s4
	s_waitcnt lgkmcnt(0)
	s_waitcnt_vscnt null, 0x0
	s_barrier
	buffer_gl0_inv
	s_clause 0xf
	buffer_load_dword v10, off, s[0:3], 0 offset:824
	buffer_load_dword v11, off, s[0:3], 0 offset:828
	;; [unrolled: 1-line block ×16, first 2 shown]
	v_mov_b32_e32 v1, 0
	ds_read_b128 v[2:5], v1 offset:1648
	ds_read_b128 v[6:9], v1 offset:1664
	s_mov_b32 s4, exec_lo
	s_waitcnt vmcnt(14) lgkmcnt(1)
	v_mul_f64 v[28:29], v[4:5], v[10:11]
	v_mul_f64 v[30:31], v[2:3], v[10:11]
	s_waitcnt vmcnt(12) lgkmcnt(0)
	v_mul_f64 v[32:33], v[8:9], v[14:15]
	ds_read_b128 v[10:13], v1 offset:1680
	v_mul_f64 v[14:15], v[6:7], v[14:15]
	s_waitcnt vmcnt(10)
	v_fma_f64 v[2:3], v[2:3], v[16:17], -v[28:29]
	v_fma_f64 v[4:5], v[4:5], v[16:17], v[30:31]
	s_waitcnt vmcnt(8) lgkmcnt(0)
	v_mul_f64 v[16:17], v[10:11], v[18:19]
	v_mul_f64 v[18:19], v[12:13], v[18:19]
	s_waitcnt vmcnt(6)
	v_fma_f64 v[6:7], v[6:7], v[20:21], -v[32:33]
	v_fma_f64 v[8:9], v[8:9], v[20:21], v[14:15]
	v_add_f64 v[2:3], v[2:3], 0
	v_add_f64 v[4:5], v[4:5], 0
	s_waitcnt vmcnt(4)
	v_fma_f64 v[10:11], v[10:11], v[22:23], -v[18:19]
	v_add_f64 v[2:3], v[2:3], v[6:7]
	v_fma_f64 v[6:7], v[12:13], v[22:23], v[16:17]
	v_add_f64 v[4:5], v[4:5], v[8:9]
	v_add_f64 v[2:3], v[2:3], v[10:11]
	;; [unrolled: 1-line block ×3, first 2 shown]
	s_waitcnt vmcnt(2)
	v_add_f64 v[2:3], v[24:25], -v[2:3]
	s_waitcnt vmcnt(0)
	v_add_f64 v[4:5], v[26:27], -v[4:5]
	buffer_store_dword v2, off, s[0:3], 0 offset:800
	buffer_store_dword v3, off, s[0:3], 0 offset:804
	;; [unrolled: 1-line block ×4, first 2 shown]
	v_cmpx_lt_u32_e32 48, v0
	s_cbranch_execz .LBB52_235
; %bb.234:
	v_mov_b32_e32 v5, s14
	s_clause 0x3
	buffer_load_dword v2, v5, s[0:3], 0 offen
	buffer_load_dword v3, v5, s[0:3], 0 offen offset:4
	buffer_load_dword v4, v5, s[0:3], 0 offen offset:8
	;; [unrolled: 1-line block ×3, first 2 shown]
	buffer_store_dword v1, off, s[0:3], 0 offset:784
	buffer_store_dword v1, off, s[0:3], 0 offset:788
	;; [unrolled: 1-line block ×4, first 2 shown]
	s_waitcnt vmcnt(0)
	ds_write_b128 v43, v[2:5]
.LBB52_235:
	s_or_b32 exec_lo, exec_lo, s4
	s_waitcnt lgkmcnt(0)
	s_waitcnt_vscnt null, 0x0
	s_barrier
	buffer_gl0_inv
	s_clause 0x13
	buffer_load_dword v10, off, s[0:3], 0 offset:808
	buffer_load_dword v11, off, s[0:3], 0 offset:812
	buffer_load_dword v14, off, s[0:3], 0 offset:824
	buffer_load_dword v15, off, s[0:3], 0 offset:828
	buffer_load_dword v16, off, s[0:3], 0 offset:800
	buffer_load_dword v17, off, s[0:3], 0 offset:804
	buffer_load_dword v18, off, s[0:3], 0 offset:840
	buffer_load_dword v19, off, s[0:3], 0 offset:844
	buffer_load_dword v20, off, s[0:3], 0 offset:816
	buffer_load_dword v21, off, s[0:3], 0 offset:820
	buffer_load_dword v23, off, s[0:3], 0 offset:860
	buffer_load_dword v22, off, s[0:3], 0 offset:856
	buffer_load_dword v24, off, s[0:3], 0 offset:832
	buffer_load_dword v25, off, s[0:3], 0 offset:836
	buffer_load_dword v27, off, s[0:3], 0 offset:852
	buffer_load_dword v26, off, s[0:3], 0 offset:848
	buffer_load_dword v28, off, s[0:3], 0 offset:784
	buffer_load_dword v29, off, s[0:3], 0 offset:788
	buffer_load_dword v30, off, s[0:3], 0 offset:792
	buffer_load_dword v31, off, s[0:3], 0 offset:796
	ds_read_b128 v[2:5], v1 offset:1632
	ds_read_b128 v[6:9], v1 offset:1648
	s_mov_b32 s4, exec_lo
	s_waitcnt vmcnt(18) lgkmcnt(1)
	v_mul_f64 v[32:33], v[4:5], v[10:11]
	v_mul_f64 v[34:35], v[2:3], v[10:11]
	s_waitcnt vmcnt(16) lgkmcnt(0)
	v_mul_f64 v[36:37], v[8:9], v[14:15]
	ds_read_b128 v[10:13], v1 offset:1664
	v_mul_f64 v[14:15], v[6:7], v[14:15]
	s_waitcnt vmcnt(14)
	v_fma_f64 v[32:33], v[2:3], v[16:17], -v[32:33]
	v_fma_f64 v[16:17], v[4:5], v[16:17], v[34:35]
	s_waitcnt vmcnt(12) lgkmcnt(0)
	v_mul_f64 v[34:35], v[10:11], v[18:19]
	v_mul_f64 v[18:19], v[12:13], v[18:19]
	s_waitcnt vmcnt(10)
	v_fma_f64 v[5:6], v[6:7], v[20:21], -v[36:37]
	ds_read_b128 v[1:4], v1 offset:1680
	v_fma_f64 v[7:8], v[8:9], v[20:21], v[14:15]
	v_add_f64 v[32:33], v[32:33], 0
	v_add_f64 v[14:15], v[16:17], 0
	s_waitcnt vmcnt(8) lgkmcnt(0)
	v_mul_f64 v[20:21], v[3:4], v[22:23]
	s_waitcnt vmcnt(6)
	v_fma_f64 v[9:10], v[10:11], v[24:25], -v[18:19]
	v_mul_f64 v[16:17], v[1:2], v[22:23]
	v_fma_f64 v[11:12], v[12:13], v[24:25], v[34:35]
	v_add_f64 v[5:6], v[32:33], v[5:6]
	v_add_f64 v[7:8], v[14:15], v[7:8]
	s_waitcnt vmcnt(4)
	v_fma_f64 v[1:2], v[1:2], v[26:27], -v[20:21]
	v_fma_f64 v[3:4], v[3:4], v[26:27], v[16:17]
	v_add_f64 v[5:6], v[5:6], v[9:10]
	v_add_f64 v[7:8], v[7:8], v[11:12]
	v_add_f64 v[1:2], v[5:6], v[1:2]
	v_add_f64 v[3:4], v[7:8], v[3:4]
	s_waitcnt vmcnt(2)
	v_add_f64 v[1:2], v[28:29], -v[1:2]
	s_waitcnt vmcnt(0)
	v_add_f64 v[3:4], v[30:31], -v[3:4]
	buffer_store_dword v1, off, s[0:3], 0 offset:784
	buffer_store_dword v2, off, s[0:3], 0 offset:788
	;; [unrolled: 1-line block ×4, first 2 shown]
	v_cmpx_lt_u32_e32 47, v0
	s_cbranch_execz .LBB52_237
; %bb.236:
	v_mov_b32_e32 v4, s15
	v_mov_b32_e32 v5, 0
	s_clause 0x3
	buffer_load_dword v1, v4, s[0:3], 0 offen
	buffer_load_dword v2, v4, s[0:3], 0 offen offset:4
	buffer_load_dword v3, v4, s[0:3], 0 offen offset:8
	;; [unrolled: 1-line block ×3, first 2 shown]
	buffer_store_dword v5, off, s[0:3], 0 offset:768
	buffer_store_dword v5, off, s[0:3], 0 offset:772
	;; [unrolled: 1-line block ×4, first 2 shown]
	s_waitcnt vmcnt(0)
	ds_write_b128 v43, v[1:4]
.LBB52_237:
	s_or_b32 exec_lo, exec_lo, s4
	s_waitcnt lgkmcnt(0)
	s_waitcnt_vscnt null, 0x0
	s_barrier
	buffer_gl0_inv
	s_clause 0x17
	buffer_load_dword v10, off, s[0:3], 0 offset:792
	buffer_load_dword v11, off, s[0:3], 0 offset:796
	buffer_load_dword v14, off, s[0:3], 0 offset:808
	buffer_load_dword v15, off, s[0:3], 0 offset:812
	buffer_load_dword v16, off, s[0:3], 0 offset:784
	buffer_load_dword v17, off, s[0:3], 0 offset:788
	buffer_load_dword v18, off, s[0:3], 0 offset:824
	buffer_load_dword v19, off, s[0:3], 0 offset:828
	buffer_load_dword v20, off, s[0:3], 0 offset:800
	buffer_load_dword v21, off, s[0:3], 0 offset:804
	buffer_load_dword v23, off, s[0:3], 0 offset:844
	buffer_load_dword v24, off, s[0:3], 0 offset:856
	buffer_load_dword v26, off, s[0:3], 0 offset:848
	buffer_load_dword v22, off, s[0:3], 0 offset:840
	buffer_load_dword v28, off, s[0:3], 0 offset:816
	buffer_load_dword v29, off, s[0:3], 0 offset:820
	buffer_load_dword v25, off, s[0:3], 0 offset:860
	buffer_load_dword v31, off, s[0:3], 0 offset:836
	buffer_load_dword v30, off, s[0:3], 0 offset:832
	buffer_load_dword v27, off, s[0:3], 0 offset:852
	buffer_load_dword v32, off, s[0:3], 0 offset:768
	buffer_load_dword v33, off, s[0:3], 0 offset:772
	buffer_load_dword v34, off, s[0:3], 0 offset:776
	buffer_load_dword v35, off, s[0:3], 0 offset:780
	v_mov_b32_e32 v1, 0
	ds_read_b128 v[2:5], v1 offset:1616
	ds_read_b128 v[6:9], v1 offset:1632
	s_mov_b32 s4, exec_lo
	s_waitcnt vmcnt(22) lgkmcnt(1)
	v_mul_f64 v[36:37], v[4:5], v[10:11]
	v_mul_f64 v[38:39], v[2:3], v[10:11]
	s_waitcnt vmcnt(20) lgkmcnt(0)
	v_mul_f64 v[40:41], v[8:9], v[14:15]
	ds_read_b128 v[10:13], v1 offset:1648
	v_mul_f64 v[14:15], v[6:7], v[14:15]
	s_waitcnt vmcnt(18)
	v_fma_f64 v[36:37], v[2:3], v[16:17], -v[36:37]
	v_fma_f64 v[16:17], v[4:5], v[16:17], v[38:39]
	ds_read_b128 v[2:5], v1 offset:1664
	s_waitcnt vmcnt(16) lgkmcnt(1)
	v_mul_f64 v[38:39], v[10:11], v[18:19]
	v_mul_f64 v[18:19], v[12:13], v[18:19]
	s_waitcnt vmcnt(14)
	v_fma_f64 v[40:41], v[6:7], v[20:21], -v[40:41]
	v_fma_f64 v[14:15], v[8:9], v[20:21], v[14:15]
	ds_read_b128 v[6:9], v1 offset:1680
	s_waitcnt vmcnt(10) lgkmcnt(1)
	v_mul_f64 v[20:21], v[2:3], v[22:23]
	v_add_f64 v[36:37], v[36:37], 0
	v_add_f64 v[16:17], v[16:17], 0
	v_mul_f64 v[22:23], v[4:5], v[22:23]
	s_waitcnt vmcnt(8)
	v_fma_f64 v[10:11], v[10:11], v[28:29], -v[18:19]
	v_fma_f64 v[12:13], v[12:13], v[28:29], v[38:39]
	s_waitcnt vmcnt(5)
	v_fma_f64 v[4:5], v[4:5], v[30:31], v[20:21]
	v_add_f64 v[18:19], v[36:37], v[40:41]
	v_add_f64 v[14:15], v[16:17], v[14:15]
	s_waitcnt lgkmcnt(0)
	v_mul_f64 v[16:17], v[6:7], v[24:25]
	v_mul_f64 v[24:25], v[8:9], v[24:25]
	v_fma_f64 v[2:3], v[2:3], v[30:31], -v[22:23]
	v_add_f64 v[10:11], v[18:19], v[10:11]
	v_add_f64 v[12:13], v[14:15], v[12:13]
	s_waitcnt vmcnt(4)
	v_fma_f64 v[8:9], v[8:9], v[26:27], v[16:17]
	v_fma_f64 v[6:7], v[6:7], v[26:27], -v[24:25]
	v_add_f64 v[2:3], v[10:11], v[2:3]
	v_add_f64 v[4:5], v[12:13], v[4:5]
	;; [unrolled: 1-line block ×4, first 2 shown]
	s_waitcnt vmcnt(2)
	v_add_f64 v[2:3], v[32:33], -v[2:3]
	s_waitcnt vmcnt(0)
	v_add_f64 v[4:5], v[34:35], -v[4:5]
	buffer_store_dword v3, off, s[0:3], 0 offset:772
	buffer_store_dword v2, off, s[0:3], 0 offset:768
	;; [unrolled: 1-line block ×4, first 2 shown]
	v_cmpx_lt_u32_e32 46, v0
	s_cbranch_execz .LBB52_239
; %bb.238:
	v_mov_b32_e32 v5, s16
	s_clause 0x3
	buffer_load_dword v2, v5, s[0:3], 0 offen
	buffer_load_dword v3, v5, s[0:3], 0 offen offset:4
	buffer_load_dword v4, v5, s[0:3], 0 offen offset:8
	;; [unrolled: 1-line block ×3, first 2 shown]
	buffer_store_dword v1, off, s[0:3], 0 offset:752
	buffer_store_dword v1, off, s[0:3], 0 offset:756
	;; [unrolled: 1-line block ×4, first 2 shown]
	s_waitcnt vmcnt(0)
	ds_write_b128 v43, v[2:5]
.LBB52_239:
	s_or_b32 exec_lo, exec_lo, s4
	s_waitcnt lgkmcnt(0)
	s_waitcnt_vscnt null, 0x0
	s_barrier
	buffer_gl0_inv
	s_clause 0x1b
	buffer_load_dword v10, off, s[0:3], 0 offset:776
	buffer_load_dword v11, off, s[0:3], 0 offset:780
	;; [unrolled: 1-line block ×28, first 2 shown]
	ds_read_b128 v[2:5], v1 offset:1600
	ds_read_b128 v[6:9], v1 offset:1616
	s_mov_b32 s4, exec_lo
	s_waitcnt vmcnt(26) lgkmcnt(1)
	v_mul_f64 v[40:41], v[4:5], v[10:11]
	v_mul_f64 v[48:49], v[2:3], v[10:11]
	s_waitcnt vmcnt(24) lgkmcnt(0)
	v_mul_f64 v[50:51], v[8:9], v[14:15]
	ds_read_b128 v[10:13], v1 offset:1632
	v_mul_f64 v[14:15], v[6:7], v[14:15]
	s_waitcnt vmcnt(22)
	v_fma_f64 v[40:41], v[2:3], v[16:17], -v[40:41]
	v_fma_f64 v[16:17], v[4:5], v[16:17], v[48:49]
	ds_read_b128 v[2:5], v1 offset:1648
	s_waitcnt vmcnt(20) lgkmcnt(1)
	v_mul_f64 v[48:49], v[10:11], v[18:19]
	v_mul_f64 v[18:19], v[12:13], v[18:19]
	s_waitcnt vmcnt(18)
	v_fma_f64 v[50:51], v[6:7], v[20:21], -v[50:51]
	v_fma_f64 v[14:15], v[8:9], v[20:21], v[14:15]
	ds_read_b128 v[6:9], v1 offset:1664
	s_waitcnt vmcnt(14) lgkmcnt(1)
	v_mul_f64 v[20:21], v[2:3], v[22:23]
	v_add_f64 v[40:41], v[40:41], 0
	v_add_f64 v[16:17], v[16:17], 0
	v_mul_f64 v[22:23], v[4:5], v[22:23]
	s_waitcnt vmcnt(12)
	v_fma_f64 v[18:19], v[10:11], v[28:29], -v[18:19]
	v_fma_f64 v[28:29], v[12:13], v[28:29], v[48:49]
	ds_read_b128 v[10:13], v1 offset:1680
	v_add_f64 v[40:41], v[40:41], v[50:51]
	v_add_f64 v[14:15], v[16:17], v[14:15]
	s_waitcnt vmcnt(11) lgkmcnt(1)
	v_mul_f64 v[16:17], v[6:7], v[24:25]
	v_mul_f64 v[24:25], v[8:9], v[24:25]
	s_waitcnt vmcnt(9)
	v_fma_f64 v[1:2], v[2:3], v[30:31], -v[22:23]
	v_fma_f64 v[3:4], v[4:5], v[30:31], v[20:21]
	s_waitcnt vmcnt(7) lgkmcnt(0)
	v_mul_f64 v[22:23], v[12:13], v[32:33]
	v_mul_f64 v[20:21], v[10:11], v[32:33]
	v_add_f64 v[18:19], v[40:41], v[18:19]
	v_add_f64 v[14:15], v[14:15], v[28:29]
	s_waitcnt vmcnt(6)
	v_fma_f64 v[5:6], v[6:7], v[26:27], -v[24:25]
	v_fma_f64 v[7:8], v[8:9], v[26:27], v[16:17]
	s_waitcnt vmcnt(4)
	v_fma_f64 v[9:10], v[10:11], v[34:35], -v[22:23]
	v_add_f64 v[1:2], v[18:19], v[1:2]
	v_add_f64 v[3:4], v[14:15], v[3:4]
	;; [unrolled: 1-line block ×3, first 2 shown]
	v_fma_f64 v[5:6], v[12:13], v[34:35], v[20:21]
	v_add_f64 v[3:4], v[3:4], v[7:8]
	v_add_f64 v[1:2], v[1:2], v[9:10]
	;; [unrolled: 1-line block ×3, first 2 shown]
	s_waitcnt vmcnt(2)
	v_add_f64 v[1:2], v[36:37], -v[1:2]
	s_waitcnt vmcnt(0)
	v_add_f64 v[3:4], v[38:39], -v[3:4]
	buffer_store_dword v2, off, s[0:3], 0 offset:756
	buffer_store_dword v1, off, s[0:3], 0 offset:752
	;; [unrolled: 1-line block ×4, first 2 shown]
	v_cmpx_lt_u32_e32 45, v0
	s_cbranch_execz .LBB52_241
; %bb.240:
	v_mov_b32_e32 v4, s17
	v_mov_b32_e32 v5, 0
	s_clause 0x3
	buffer_load_dword v1, v4, s[0:3], 0 offen
	buffer_load_dword v2, v4, s[0:3], 0 offen offset:4
	buffer_load_dword v3, v4, s[0:3], 0 offen offset:8
	;; [unrolled: 1-line block ×3, first 2 shown]
	buffer_store_dword v5, off, s[0:3], 0 offset:736
	buffer_store_dword v5, off, s[0:3], 0 offset:740
	;; [unrolled: 1-line block ×4, first 2 shown]
	s_waitcnt vmcnt(0)
	ds_write_b128 v43, v[1:4]
.LBB52_241:
	s_or_b32 exec_lo, exec_lo, s4
	s_waitcnt lgkmcnt(0)
	s_waitcnt_vscnt null, 0x0
	s_barrier
	buffer_gl0_inv
	s_clause 0x1f
	buffer_load_dword v10, off, s[0:3], 0 offset:760
	buffer_load_dword v11, off, s[0:3], 0 offset:764
	;; [unrolled: 1-line block ×32, first 2 shown]
	v_mov_b32_e32 v1, 0
	ds_read_b128 v[2:5], v1 offset:1584
	ds_read_b128 v[6:9], v1 offset:1600
	s_mov_b32 s4, exec_lo
	s_waitcnt vmcnt(30) lgkmcnt(1)
	v_mul_f64 v[50:51], v[4:5], v[10:11]
	v_mul_f64 v[65:66], v[2:3], v[10:11]
	s_waitcnt vmcnt(28) lgkmcnt(0)
	v_mul_f64 v[67:68], v[8:9], v[14:15]
	ds_read_b128 v[10:13], v1 offset:1616
	v_mul_f64 v[14:15], v[6:7], v[14:15]
	s_waitcnt vmcnt(26)
	v_fma_f64 v[50:51], v[2:3], v[16:17], -v[50:51]
	v_fma_f64 v[16:17], v[4:5], v[16:17], v[65:66]
	ds_read_b128 v[2:5], v1 offset:1632
	s_waitcnt vmcnt(24) lgkmcnt(1)
	v_mul_f64 v[65:66], v[10:11], v[18:19]
	v_mul_f64 v[18:19], v[12:13], v[18:19]
	s_waitcnt vmcnt(22)
	v_fma_f64 v[67:68], v[6:7], v[20:21], -v[67:68]
	v_fma_f64 v[14:15], v[8:9], v[20:21], v[14:15]
	ds_read_b128 v[6:9], v1 offset:1648
	s_waitcnt vmcnt(18) lgkmcnt(1)
	v_mul_f64 v[20:21], v[2:3], v[22:23]
	v_add_f64 v[50:51], v[50:51], 0
	v_add_f64 v[16:17], v[16:17], 0
	v_mul_f64 v[22:23], v[4:5], v[22:23]
	s_waitcnt vmcnt(16)
	v_fma_f64 v[18:19], v[10:11], v[28:29], -v[18:19]
	v_fma_f64 v[28:29], v[12:13], v[28:29], v[65:66]
	ds_read_b128 v[10:13], v1 offset:1664
	s_waitcnt vmcnt(13)
	v_fma_f64 v[20:21], v[4:5], v[30:31], v[20:21]
	v_add_f64 v[50:51], v[50:51], v[67:68]
	v_add_f64 v[14:15], v[16:17], v[14:15]
	s_waitcnt lgkmcnt(1)
	v_mul_f64 v[16:17], v[6:7], v[24:25]
	v_mul_f64 v[24:25], v[8:9], v[24:25]
	v_fma_f64 v[22:23], v[2:3], v[30:31], -v[22:23]
	s_waitcnt vmcnt(9) lgkmcnt(0)
	v_mul_f64 v[30:31], v[12:13], v[32:33]
	ds_read_b128 v[2:5], v1 offset:1680
	v_add_f64 v[18:19], v[50:51], v[18:19]
	v_add_f64 v[14:15], v[14:15], v[28:29]
	v_mul_f64 v[28:29], v[10:11], v[32:33]
	s_waitcnt vmcnt(8)
	v_fma_f64 v[6:7], v[6:7], v[26:27], -v[24:25]
	v_fma_f64 v[8:9], v[8:9], v[26:27], v[16:17]
	s_waitcnt vmcnt(5)
	v_fma_f64 v[10:11], v[10:11], v[38:39], -v[30:31]
	s_waitcnt lgkmcnt(0)
	v_mul_f64 v[16:17], v[2:3], v[34:35]
	v_add_f64 v[18:19], v[18:19], v[22:23]
	v_add_f64 v[14:15], v[14:15], v[20:21]
	v_mul_f64 v[20:21], v[4:5], v[34:35]
	v_fma_f64 v[12:13], v[12:13], v[38:39], v[28:29]
	s_waitcnt vmcnt(4)
	v_fma_f64 v[4:5], v[4:5], v[36:37], v[16:17]
	v_add_f64 v[6:7], v[18:19], v[6:7]
	v_add_f64 v[8:9], v[14:15], v[8:9]
	v_fma_f64 v[2:3], v[2:3], v[36:37], -v[20:21]
	v_add_f64 v[6:7], v[6:7], v[10:11]
	v_add_f64 v[8:9], v[8:9], v[12:13]
	;; [unrolled: 1-line block ×4, first 2 shown]
	s_waitcnt vmcnt(2)
	v_add_f64 v[2:3], v[40:41], -v[2:3]
	s_waitcnt vmcnt(0)
	v_add_f64 v[4:5], v[48:49], -v[4:5]
	buffer_store_dword v3, off, s[0:3], 0 offset:740
	buffer_store_dword v2, off, s[0:3], 0 offset:736
	;; [unrolled: 1-line block ×4, first 2 shown]
	v_cmpx_lt_u32_e32 44, v0
	s_cbranch_execz .LBB52_243
; %bb.242:
	v_mov_b32_e32 v5, s18
	s_clause 0x3
	buffer_load_dword v2, v5, s[0:3], 0 offen
	buffer_load_dword v3, v5, s[0:3], 0 offen offset:4
	buffer_load_dword v4, v5, s[0:3], 0 offen offset:8
	;; [unrolled: 1-line block ×3, first 2 shown]
	buffer_store_dword v1, off, s[0:3], 0 offset:720
	buffer_store_dword v1, off, s[0:3], 0 offset:724
	;; [unrolled: 1-line block ×4, first 2 shown]
	s_waitcnt vmcnt(0)
	ds_write_b128 v43, v[2:5]
.LBB52_243:
	s_or_b32 exec_lo, exec_lo, s4
	s_waitcnt lgkmcnt(0)
	s_waitcnt_vscnt null, 0x0
	s_barrier
	buffer_gl0_inv
	s_clause 0x23
	buffer_load_dword v10, off, s[0:3], 0 offset:744
	buffer_load_dword v11, off, s[0:3], 0 offset:748
	;; [unrolled: 1-line block ×36, first 2 shown]
	ds_read_b128 v[2:5], v1 offset:1568
	ds_read_b128 v[6:9], v1 offset:1584
	s_mov_b32 s4, exec_lo
	s_waitcnt vmcnt(34) lgkmcnt(1)
	v_mul_f64 v[67:68], v[4:5], v[10:11]
	v_mul_f64 v[75:76], v[2:3], v[10:11]
	s_waitcnt vmcnt(32) lgkmcnt(0)
	v_mul_f64 v[77:78], v[8:9], v[14:15]
	ds_read_b128 v[10:13], v1 offset:1600
	v_mul_f64 v[14:15], v[6:7], v[14:15]
	s_waitcnt vmcnt(30)
	v_fma_f64 v[67:68], v[2:3], v[16:17], -v[67:68]
	v_fma_f64 v[16:17], v[4:5], v[16:17], v[75:76]
	ds_read_b128 v[2:5], v1 offset:1616
	s_waitcnt vmcnt(28) lgkmcnt(1)
	v_mul_f64 v[75:76], v[10:11], v[18:19]
	v_mul_f64 v[18:19], v[12:13], v[18:19]
	s_waitcnt vmcnt(26)
	v_fma_f64 v[77:78], v[6:7], v[20:21], -v[77:78]
	v_fma_f64 v[14:15], v[8:9], v[20:21], v[14:15]
	ds_read_b128 v[6:9], v1 offset:1632
	s_waitcnt vmcnt(22) lgkmcnt(1)
	v_mul_f64 v[20:21], v[2:3], v[22:23]
	v_add_f64 v[67:68], v[67:68], 0
	v_add_f64 v[16:17], v[16:17], 0
	v_mul_f64 v[22:23], v[4:5], v[22:23]
	s_waitcnt vmcnt(20)
	v_fma_f64 v[18:19], v[10:11], v[28:29], -v[18:19]
	v_fma_f64 v[28:29], v[12:13], v[28:29], v[75:76]
	ds_read_b128 v[10:13], v1 offset:1648
	s_waitcnt vmcnt(17)
	v_fma_f64 v[20:21], v[4:5], v[30:31], v[20:21]
	v_add_f64 v[67:68], v[67:68], v[77:78]
	v_add_f64 v[14:15], v[16:17], v[14:15]
	s_waitcnt lgkmcnt(1)
	v_mul_f64 v[16:17], v[6:7], v[24:25]
	v_mul_f64 v[24:25], v[8:9], v[24:25]
	v_fma_f64 v[22:23], v[2:3], v[30:31], -v[22:23]
	s_waitcnt vmcnt(13) lgkmcnt(0)
	v_mul_f64 v[30:31], v[12:13], v[32:33]
	ds_read_b128 v[2:5], v1 offset:1664
	v_add_f64 v[18:19], v[67:68], v[18:19]
	v_add_f64 v[14:15], v[14:15], v[28:29]
	v_mul_f64 v[28:29], v[10:11], v[32:33]
	s_waitcnt vmcnt(12)
	v_fma_f64 v[24:25], v[6:7], v[26:27], -v[24:25]
	v_fma_f64 v[16:17], v[8:9], v[26:27], v[16:17]
	ds_read_b128 v[6:9], v1 offset:1680
	s_waitcnt vmcnt(9)
	v_fma_f64 v[10:11], v[10:11], v[38:39], -v[30:31]
	v_add_f64 v[18:19], v[18:19], v[22:23]
	v_add_f64 v[14:15], v[14:15], v[20:21]
	s_waitcnt lgkmcnt(1)
	v_mul_f64 v[22:23], v[4:5], v[34:35]
	v_mul_f64 v[20:21], v[2:3], v[34:35]
	v_fma_f64 v[12:13], v[12:13], v[38:39], v[28:29]
	v_add_f64 v[18:19], v[18:19], v[24:25]
	v_add_f64 v[14:15], v[14:15], v[16:17]
	s_waitcnt vmcnt(7) lgkmcnt(0)
	v_mul_f64 v[24:25], v[8:9], v[40:41]
	s_waitcnt vmcnt(6)
	v_fma_f64 v[1:2], v[2:3], v[36:37], -v[22:23]
	v_mul_f64 v[16:17], v[6:7], v[40:41]
	v_fma_f64 v[3:4], v[4:5], v[36:37], v[20:21]
	v_add_f64 v[10:11], v[18:19], v[10:11]
	v_add_f64 v[12:13], v[14:15], v[12:13]
	s_waitcnt vmcnt(4)
	v_fma_f64 v[5:6], v[6:7], v[48:49], -v[24:25]
	v_fma_f64 v[7:8], v[8:9], v[48:49], v[16:17]
	v_add_f64 v[1:2], v[10:11], v[1:2]
	v_add_f64 v[3:4], v[12:13], v[3:4]
	;; [unrolled: 1-line block ×4, first 2 shown]
	s_waitcnt vmcnt(2)
	v_add_f64 v[1:2], v[50:51], -v[1:2]
	s_waitcnt vmcnt(0)
	v_add_f64 v[3:4], v[65:66], -v[3:4]
	buffer_store_dword v2, off, s[0:3], 0 offset:724
	buffer_store_dword v1, off, s[0:3], 0 offset:720
	;; [unrolled: 1-line block ×4, first 2 shown]
	v_cmpx_lt_u32_e32 43, v0
	s_cbranch_execz .LBB52_245
; %bb.244:
	v_mov_b32_e32 v4, s19
	v_mov_b32_e32 v5, 0
	s_clause 0x3
	buffer_load_dword v1, v4, s[0:3], 0 offen
	buffer_load_dword v2, v4, s[0:3], 0 offen offset:4
	buffer_load_dword v3, v4, s[0:3], 0 offen offset:8
	;; [unrolled: 1-line block ×3, first 2 shown]
	buffer_store_dword v5, off, s[0:3], 0 offset:704
	buffer_store_dword v5, off, s[0:3], 0 offset:708
	;; [unrolled: 1-line block ×4, first 2 shown]
	s_waitcnt vmcnt(0)
	ds_write_b128 v43, v[1:4]
.LBB52_245:
	s_or_b32 exec_lo, exec_lo, s4
	s_waitcnt lgkmcnt(0)
	s_waitcnt_vscnt null, 0x0
	s_barrier
	buffer_gl0_inv
	s_clause 0x27
	buffer_load_dword v10, off, s[0:3], 0 offset:728
	buffer_load_dword v11, off, s[0:3], 0 offset:732
	;; [unrolled: 1-line block ×40, first 2 shown]
	v_mov_b32_e32 v1, 0
	ds_read_b128 v[2:5], v1 offset:1552
	ds_read_b128 v[6:9], v1 offset:1568
	s_mov_b32 s4, exec_lo
	s_waitcnt vmcnt(38) lgkmcnt(1)
	v_mul_f64 v[77:78], v[4:5], v[10:11]
	v_mul_f64 v[79:80], v[2:3], v[10:11]
	s_waitcnt vmcnt(36) lgkmcnt(0)
	v_mul_f64 v[81:82], v[8:9], v[14:15]
	ds_read_b128 v[10:13], v1 offset:1584
	v_mul_f64 v[14:15], v[6:7], v[14:15]
	s_waitcnt vmcnt(34)
	v_fma_f64 v[77:78], v[2:3], v[16:17], -v[77:78]
	v_fma_f64 v[16:17], v[4:5], v[16:17], v[79:80]
	ds_read_b128 v[2:5], v1 offset:1600
	s_waitcnt vmcnt(32) lgkmcnt(1)
	v_mul_f64 v[79:80], v[10:11], v[18:19]
	v_mul_f64 v[18:19], v[12:13], v[18:19]
	s_waitcnt vmcnt(30)
	v_fma_f64 v[81:82], v[6:7], v[20:21], -v[81:82]
	v_fma_f64 v[14:15], v[8:9], v[20:21], v[14:15]
	ds_read_b128 v[6:9], v1 offset:1616
	s_waitcnt vmcnt(26) lgkmcnt(1)
	v_mul_f64 v[20:21], v[2:3], v[22:23]
	v_add_f64 v[77:78], v[77:78], 0
	v_add_f64 v[16:17], v[16:17], 0
	v_mul_f64 v[22:23], v[4:5], v[22:23]
	s_waitcnt vmcnt(24)
	v_fma_f64 v[18:19], v[10:11], v[28:29], -v[18:19]
	v_fma_f64 v[28:29], v[12:13], v[28:29], v[79:80]
	ds_read_b128 v[10:13], v1 offset:1632
	s_waitcnt vmcnt(21)
	v_fma_f64 v[20:21], v[4:5], v[30:31], v[20:21]
	v_add_f64 v[77:78], v[77:78], v[81:82]
	v_add_f64 v[14:15], v[16:17], v[14:15]
	s_waitcnt lgkmcnt(1)
	v_mul_f64 v[16:17], v[6:7], v[24:25]
	v_mul_f64 v[24:25], v[8:9], v[24:25]
	v_fma_f64 v[22:23], v[2:3], v[30:31], -v[22:23]
	s_waitcnt vmcnt(17) lgkmcnt(0)
	v_mul_f64 v[30:31], v[12:13], v[32:33]
	ds_read_b128 v[2:5], v1 offset:1648
	v_add_f64 v[18:19], v[77:78], v[18:19]
	v_add_f64 v[14:15], v[14:15], v[28:29]
	v_mul_f64 v[28:29], v[10:11], v[32:33]
	s_waitcnt vmcnt(16)
	v_fma_f64 v[24:25], v[6:7], v[26:27], -v[24:25]
	v_fma_f64 v[16:17], v[8:9], v[26:27], v[16:17]
	ds_read_b128 v[6:9], v1 offset:1664
	s_waitcnt vmcnt(13)
	v_fma_f64 v[26:27], v[10:11], v[38:39], -v[30:31]
	v_add_f64 v[18:19], v[18:19], v[22:23]
	v_add_f64 v[14:15], v[14:15], v[20:21]
	s_waitcnt lgkmcnt(1)
	v_mul_f64 v[22:23], v[4:5], v[34:35]
	v_mul_f64 v[20:21], v[2:3], v[34:35]
	v_add_f64 v[18:19], v[18:19], v[24:25]
	v_fma_f64 v[24:25], v[12:13], v[38:39], v[28:29]
	v_add_f64 v[14:15], v[14:15], v[16:17]
	s_waitcnt vmcnt(9) lgkmcnt(0)
	v_mul_f64 v[28:29], v[8:9], v[40:41]
	s_waitcnt vmcnt(8)
	v_fma_f64 v[2:3], v[2:3], v[36:37], -v[22:23]
	ds_read_b128 v[10:13], v1 offset:1680
	v_mul_f64 v[16:17], v[6:7], v[40:41]
	v_fma_f64 v[4:5], v[4:5], v[36:37], v[20:21]
	v_add_f64 v[18:19], v[18:19], v[26:27]
	v_add_f64 v[14:15], v[14:15], v[24:25]
	s_waitcnt vmcnt(7) lgkmcnt(0)
	v_mul_f64 v[22:23], v[12:13], v[48:49]
	s_waitcnt vmcnt(5)
	v_fma_f64 v[6:7], v[6:7], v[65:66], -v[28:29]
	v_mul_f64 v[20:21], v[10:11], v[48:49]
	v_fma_f64 v[8:9], v[8:9], v[65:66], v[16:17]
	v_add_f64 v[2:3], v[18:19], v[2:3]
	v_add_f64 v[4:5], v[14:15], v[4:5]
	s_waitcnt vmcnt(4)
	v_fma_f64 v[10:11], v[10:11], v[50:51], -v[22:23]
	v_add_f64 v[2:3], v[2:3], v[6:7]
	v_fma_f64 v[6:7], v[12:13], v[50:51], v[20:21]
	v_add_f64 v[4:5], v[4:5], v[8:9]
	v_add_f64 v[2:3], v[2:3], v[10:11]
	;; [unrolled: 1-line block ×3, first 2 shown]
	s_waitcnt vmcnt(2)
	v_add_f64 v[2:3], v[67:68], -v[2:3]
	s_waitcnt vmcnt(0)
	v_add_f64 v[4:5], v[75:76], -v[4:5]
	buffer_store_dword v3, off, s[0:3], 0 offset:708
	buffer_store_dword v2, off, s[0:3], 0 offset:704
	;; [unrolled: 1-line block ×4, first 2 shown]
	v_cmpx_lt_u32_e32 42, v0
	s_cbranch_execz .LBB52_247
; %bb.246:
	v_mov_b32_e32 v5, s22
	s_clause 0x3
	buffer_load_dword v2, v5, s[0:3], 0 offen
	buffer_load_dword v3, v5, s[0:3], 0 offen offset:4
	buffer_load_dword v4, v5, s[0:3], 0 offen offset:8
	buffer_load_dword v5, v5, s[0:3], 0 offen offset:12
	buffer_store_dword v1, off, s[0:3], 0 offset:688
	buffer_store_dword v1, off, s[0:3], 0 offset:692
	;; [unrolled: 1-line block ×4, first 2 shown]
	s_waitcnt vmcnt(0)
	ds_write_b128 v43, v[2:5]
.LBB52_247:
	s_or_b32 exec_lo, exec_lo, s4
	s_waitcnt lgkmcnt(0)
	s_waitcnt_vscnt null, 0x0
	s_barrier
	buffer_gl0_inv
	s_clause 0x2b
	buffer_load_dword v10, off, s[0:3], 0 offset:712
	buffer_load_dword v11, off, s[0:3], 0 offset:716
	;; [unrolled: 1-line block ×44, first 2 shown]
	ds_read_b128 v[2:5], v1 offset:1536
	ds_read_b128 v[6:9], v1 offset:1552
	s_mov_b32 s4, exec_lo
	s_waitcnt vmcnt(42) lgkmcnt(1)
	v_mul_f64 v[81:82], v[4:5], v[10:11]
	v_mul_f64 v[83:84], v[2:3], v[10:11]
	s_waitcnt vmcnt(40) lgkmcnt(0)
	v_mul_f64 v[85:86], v[8:9], v[14:15]
	ds_read_b128 v[10:13], v1 offset:1568
	v_mul_f64 v[14:15], v[6:7], v[14:15]
	s_waitcnt vmcnt(38)
	v_fma_f64 v[81:82], v[2:3], v[16:17], -v[81:82]
	v_fma_f64 v[16:17], v[4:5], v[16:17], v[83:84]
	ds_read_b128 v[2:5], v1 offset:1584
	s_waitcnt vmcnt(36) lgkmcnt(1)
	v_mul_f64 v[83:84], v[10:11], v[18:19]
	v_mul_f64 v[18:19], v[12:13], v[18:19]
	s_waitcnt vmcnt(34)
	v_fma_f64 v[85:86], v[6:7], v[20:21], -v[85:86]
	v_fma_f64 v[14:15], v[8:9], v[20:21], v[14:15]
	ds_read_b128 v[6:9], v1 offset:1600
	s_waitcnt vmcnt(30) lgkmcnt(1)
	v_mul_f64 v[20:21], v[2:3], v[22:23]
	v_add_f64 v[81:82], v[81:82], 0
	v_add_f64 v[16:17], v[16:17], 0
	v_mul_f64 v[22:23], v[4:5], v[22:23]
	s_waitcnt vmcnt(28)
	v_fma_f64 v[18:19], v[10:11], v[28:29], -v[18:19]
	v_fma_f64 v[28:29], v[12:13], v[28:29], v[83:84]
	ds_read_b128 v[10:13], v1 offset:1616
	s_waitcnt vmcnt(25)
	v_fma_f64 v[20:21], v[4:5], v[30:31], v[20:21]
	v_add_f64 v[81:82], v[81:82], v[85:86]
	v_add_f64 v[14:15], v[16:17], v[14:15]
	s_waitcnt lgkmcnt(1)
	v_mul_f64 v[16:17], v[6:7], v[24:25]
	v_mul_f64 v[24:25], v[8:9], v[24:25]
	v_fma_f64 v[22:23], v[2:3], v[30:31], -v[22:23]
	s_waitcnt vmcnt(21) lgkmcnt(0)
	v_mul_f64 v[30:31], v[12:13], v[32:33]
	ds_read_b128 v[2:5], v1 offset:1632
	v_add_f64 v[18:19], v[81:82], v[18:19]
	v_add_f64 v[14:15], v[14:15], v[28:29]
	v_mul_f64 v[28:29], v[10:11], v[32:33]
	s_waitcnt vmcnt(20)
	v_fma_f64 v[24:25], v[6:7], v[26:27], -v[24:25]
	v_fma_f64 v[16:17], v[8:9], v[26:27], v[16:17]
	ds_read_b128 v[6:9], v1 offset:1648
	s_waitcnt vmcnt(17)
	v_fma_f64 v[26:27], v[10:11], v[38:39], -v[30:31]
	v_add_f64 v[18:19], v[18:19], v[22:23]
	v_add_f64 v[14:15], v[14:15], v[20:21]
	s_waitcnt lgkmcnt(1)
	v_mul_f64 v[22:23], v[4:5], v[34:35]
	v_mul_f64 v[20:21], v[2:3], v[34:35]
	v_add_f64 v[18:19], v[18:19], v[24:25]
	v_fma_f64 v[24:25], v[12:13], v[38:39], v[28:29]
	v_add_f64 v[14:15], v[14:15], v[16:17]
	s_waitcnt vmcnt(13) lgkmcnt(0)
	v_mul_f64 v[28:29], v[8:9], v[40:41]
	s_waitcnt vmcnt(12)
	v_fma_f64 v[22:23], v[2:3], v[36:37], -v[22:23]
	ds_read_b128 v[10:13], v1 offset:1664
	v_mul_f64 v[16:17], v[6:7], v[40:41]
	v_fma_f64 v[20:21], v[4:5], v[36:37], v[20:21]
	ds_read_b128 v[1:4], v1 offset:1680
	v_add_f64 v[18:19], v[18:19], v[26:27]
	v_add_f64 v[14:15], v[14:15], v[24:25]
	s_waitcnt vmcnt(11) lgkmcnt(1)
	v_mul_f64 v[26:27], v[12:13], v[48:49]
	s_waitcnt vmcnt(9)
	v_fma_f64 v[5:6], v[6:7], v[65:66], -v[28:29]
	v_mul_f64 v[24:25], v[10:11], v[48:49]
	v_fma_f64 v[7:8], v[8:9], v[65:66], v[16:17]
	s_waitcnt vmcnt(7) lgkmcnt(0)
	v_mul_f64 v[16:17], v[1:2], v[67:68]
	v_add_f64 v[18:19], v[18:19], v[22:23]
	v_add_f64 v[14:15], v[14:15], v[20:21]
	v_mul_f64 v[20:21], v[3:4], v[67:68]
	s_waitcnt vmcnt(6)
	v_fma_f64 v[9:10], v[10:11], v[50:51], -v[26:27]
	v_fma_f64 v[11:12], v[12:13], v[50:51], v[24:25]
	s_waitcnt vmcnt(4)
	v_fma_f64 v[3:4], v[3:4], v[75:76], v[16:17]
	v_add_f64 v[5:6], v[18:19], v[5:6]
	v_add_f64 v[7:8], v[14:15], v[7:8]
	v_fma_f64 v[1:2], v[1:2], v[75:76], -v[20:21]
	v_add_f64 v[5:6], v[5:6], v[9:10]
	v_add_f64 v[7:8], v[7:8], v[11:12]
	;; [unrolled: 1-line block ×4, first 2 shown]
	s_waitcnt vmcnt(2)
	v_add_f64 v[1:2], v[77:78], -v[1:2]
	s_waitcnt vmcnt(0)
	v_add_f64 v[3:4], v[79:80], -v[3:4]
	buffer_store_dword v2, off, s[0:3], 0 offset:692
	buffer_store_dword v1, off, s[0:3], 0 offset:688
	;; [unrolled: 1-line block ×4, first 2 shown]
	v_cmpx_lt_u32_e32 41, v0
	s_cbranch_execz .LBB52_249
; %bb.248:
	v_mov_b32_e32 v4, s23
	v_mov_b32_e32 v5, 0
	s_clause 0x3
	buffer_load_dword v1, v4, s[0:3], 0 offen
	buffer_load_dword v2, v4, s[0:3], 0 offen offset:4
	buffer_load_dword v3, v4, s[0:3], 0 offen offset:8
	;; [unrolled: 1-line block ×3, first 2 shown]
	buffer_store_dword v5, off, s[0:3], 0 offset:672
	buffer_store_dword v5, off, s[0:3], 0 offset:676
	;; [unrolled: 1-line block ×4, first 2 shown]
	s_waitcnt vmcnt(0)
	ds_write_b128 v43, v[1:4]
.LBB52_249:
	s_or_b32 exec_lo, exec_lo, s4
	s_waitcnt lgkmcnt(0)
	s_waitcnt_vscnt null, 0x0
	s_barrier
	buffer_gl0_inv
	s_clause 0x2f
	buffer_load_dword v10, off, s[0:3], 0 offset:696
	buffer_load_dword v11, off, s[0:3], 0 offset:700
	buffer_load_dword v14, off, s[0:3], 0 offset:712
	buffer_load_dword v15, off, s[0:3], 0 offset:716
	buffer_load_dword v16, off, s[0:3], 0 offset:688
	buffer_load_dword v17, off, s[0:3], 0 offset:692
	buffer_load_dword v18, off, s[0:3], 0 offset:728
	buffer_load_dword v19, off, s[0:3], 0 offset:732
	buffer_load_dword v20, off, s[0:3], 0 offset:704
	buffer_load_dword v21, off, s[0:3], 0 offset:708
	buffer_load_dword v23, off, s[0:3], 0 offset:748
	buffer_load_dword v24, off, s[0:3], 0 offset:760
	buffer_load_dword v26, off, s[0:3], 0 offset:752
	buffer_load_dword v22, off, s[0:3], 0 offset:744
	buffer_load_dword v28, off, s[0:3], 0 offset:720
	buffer_load_dword v29, off, s[0:3], 0 offset:724
	buffer_load_dword v25, off, s[0:3], 0 offset:764
	buffer_load_dword v31, off, s[0:3], 0 offset:740
	buffer_load_dword v30, off, s[0:3], 0 offset:736
	buffer_load_dword v33, off, s[0:3], 0 offset:780
	buffer_load_dword v34, off, s[0:3], 0 offset:792
	buffer_load_dword v36, off, s[0:3], 0 offset:784
	buffer_load_dword v32, off, s[0:3], 0 offset:776
	buffer_load_dword v27, off, s[0:3], 0 offset:756
	buffer_load_dword v35, off, s[0:3], 0 offset:796
	buffer_load_dword v39, off, s[0:3], 0 offset:772
	buffer_load_dword v38, off, s[0:3], 0 offset:768
	buffer_load_dword v41, off, s[0:3], 0 offset:812
	buffer_load_dword v48, off, s[0:3], 0 offset:824
	buffer_load_dword v50, off, s[0:3], 0 offset:816
	buffer_load_dword v40, off, s[0:3], 0 offset:808
	buffer_load_dword v37, off, s[0:3], 0 offset:788
	buffer_load_dword v49, off, s[0:3], 0 offset:828
	buffer_load_dword v66, off, s[0:3], 0 offset:804
	buffer_load_dword v65, off, s[0:3], 0 offset:800
	buffer_load_dword v68, off, s[0:3], 0 offset:844
	buffer_load_dword v75, off, s[0:3], 0 offset:856
	buffer_load_dword v77, off, s[0:3], 0 offset:848
	buffer_load_dword v67, off, s[0:3], 0 offset:840
	buffer_load_dword v51, off, s[0:3], 0 offset:820
	buffer_load_dword v76, off, s[0:3], 0 offset:860
	buffer_load_dword v80, off, s[0:3], 0 offset:836
	buffer_load_dword v79, off, s[0:3], 0 offset:832
	buffer_load_dword v78, off, s[0:3], 0 offset:852
	buffer_load_dword v81, off, s[0:3], 0 offset:672
	buffer_load_dword v82, off, s[0:3], 0 offset:676
	buffer_load_dword v83, off, s[0:3], 0 offset:680
	buffer_load_dword v84, off, s[0:3], 0 offset:684
	v_mov_b32_e32 v1, 0
	ds_read_b128 v[2:5], v1 offset:1520
	ds_read_b128 v[6:9], v1 offset:1536
	s_mov_b32 s4, exec_lo
	s_waitcnt vmcnt(46) lgkmcnt(1)
	v_mul_f64 v[85:86], v[4:5], v[10:11]
	v_mul_f64 v[87:88], v[2:3], v[10:11]
	s_waitcnt vmcnt(44) lgkmcnt(0)
	v_mul_f64 v[89:90], v[8:9], v[14:15]
	ds_read_b128 v[10:13], v1 offset:1552
	v_mul_f64 v[14:15], v[6:7], v[14:15]
	s_waitcnt vmcnt(42)
	v_fma_f64 v[85:86], v[2:3], v[16:17], -v[85:86]
	v_fma_f64 v[16:17], v[4:5], v[16:17], v[87:88]
	ds_read_b128 v[2:5], v1 offset:1568
	s_waitcnt vmcnt(40) lgkmcnt(1)
	v_mul_f64 v[87:88], v[10:11], v[18:19]
	v_mul_f64 v[18:19], v[12:13], v[18:19]
	s_waitcnt vmcnt(38)
	v_fma_f64 v[89:90], v[6:7], v[20:21], -v[89:90]
	v_fma_f64 v[14:15], v[8:9], v[20:21], v[14:15]
	ds_read_b128 v[6:9], v1 offset:1584
	s_waitcnt vmcnt(34) lgkmcnt(1)
	v_mul_f64 v[20:21], v[2:3], v[22:23]
	v_add_f64 v[85:86], v[85:86], 0
	v_add_f64 v[16:17], v[16:17], 0
	v_mul_f64 v[22:23], v[4:5], v[22:23]
	s_waitcnt vmcnt(32)
	v_fma_f64 v[18:19], v[10:11], v[28:29], -v[18:19]
	v_fma_f64 v[28:29], v[12:13], v[28:29], v[87:88]
	ds_read_b128 v[10:13], v1 offset:1600
	s_waitcnt vmcnt(29)
	v_fma_f64 v[20:21], v[4:5], v[30:31], v[20:21]
	v_add_f64 v[85:86], v[85:86], v[89:90]
	v_add_f64 v[14:15], v[16:17], v[14:15]
	s_waitcnt lgkmcnt(1)
	v_mul_f64 v[16:17], v[6:7], v[24:25]
	v_mul_f64 v[24:25], v[8:9], v[24:25]
	v_fma_f64 v[22:23], v[2:3], v[30:31], -v[22:23]
	s_waitcnt vmcnt(25) lgkmcnt(0)
	v_mul_f64 v[30:31], v[12:13], v[32:33]
	ds_read_b128 v[2:5], v1 offset:1616
	v_add_f64 v[18:19], v[85:86], v[18:19]
	v_add_f64 v[14:15], v[14:15], v[28:29]
	v_mul_f64 v[28:29], v[10:11], v[32:33]
	s_waitcnt vmcnt(24)
	v_fma_f64 v[24:25], v[6:7], v[26:27], -v[24:25]
	v_fma_f64 v[16:17], v[8:9], v[26:27], v[16:17]
	ds_read_b128 v[6:9], v1 offset:1632
	s_waitcnt vmcnt(21)
	v_fma_f64 v[26:27], v[10:11], v[38:39], -v[30:31]
	v_add_f64 v[18:19], v[18:19], v[22:23]
	v_add_f64 v[14:15], v[14:15], v[20:21]
	s_waitcnt lgkmcnt(1)
	v_mul_f64 v[22:23], v[4:5], v[34:35]
	v_mul_f64 v[20:21], v[2:3], v[34:35]
	v_add_f64 v[18:19], v[18:19], v[24:25]
	v_fma_f64 v[24:25], v[12:13], v[38:39], v[28:29]
	v_add_f64 v[14:15], v[14:15], v[16:17]
	s_waitcnt vmcnt(17) lgkmcnt(0)
	v_mul_f64 v[28:29], v[8:9], v[40:41]
	s_waitcnt vmcnt(16)
	v_fma_f64 v[22:23], v[2:3], v[36:37], -v[22:23]
	ds_read_b128 v[10:13], v1 offset:1648
	v_mul_f64 v[16:17], v[6:7], v[40:41]
	v_fma_f64 v[20:21], v[4:5], v[36:37], v[20:21]
	ds_read_b128 v[2:5], v1 offset:1664
	v_add_f64 v[18:19], v[18:19], v[26:27]
	v_add_f64 v[14:15], v[14:15], v[24:25]
	s_waitcnt vmcnt(15) lgkmcnt(1)
	v_mul_f64 v[26:27], v[12:13], v[48:49]
	s_waitcnt vmcnt(13)
	v_fma_f64 v[28:29], v[6:7], v[65:66], -v[28:29]
	v_mul_f64 v[24:25], v[10:11], v[48:49]
	v_fma_f64 v[16:17], v[8:9], v[65:66], v[16:17]
	ds_read_b128 v[6:9], v1 offset:1680
	v_add_f64 v[18:19], v[18:19], v[22:23]
	s_waitcnt vmcnt(9) lgkmcnt(1)
	v_mul_f64 v[22:23], v[4:5], v[67:68]
	v_add_f64 v[14:15], v[14:15], v[20:21]
	s_waitcnt vmcnt(8)
	v_fma_f64 v[10:11], v[10:11], v[50:51], -v[26:27]
	v_mul_f64 v[20:21], v[2:3], v[67:68]
	v_fma_f64 v[12:13], v[12:13], v[50:51], v[24:25]
	s_waitcnt vmcnt(7) lgkmcnt(0)
	v_mul_f64 v[24:25], v[8:9], v[75:76]
	v_add_f64 v[18:19], v[18:19], v[28:29]
	s_waitcnt vmcnt(5)
	v_fma_f64 v[2:3], v[2:3], v[79:80], -v[22:23]
	v_add_f64 v[14:15], v[14:15], v[16:17]
	v_mul_f64 v[16:17], v[6:7], v[75:76]
	v_fma_f64 v[4:5], v[4:5], v[79:80], v[20:21]
	s_waitcnt vmcnt(4)
	v_fma_f64 v[6:7], v[6:7], v[77:78], -v[24:25]
	v_add_f64 v[10:11], v[18:19], v[10:11]
	v_add_f64 v[12:13], v[14:15], v[12:13]
	v_fma_f64 v[8:9], v[8:9], v[77:78], v[16:17]
	v_add_f64 v[2:3], v[10:11], v[2:3]
	v_add_f64 v[4:5], v[12:13], v[4:5]
	;; [unrolled: 1-line block ×4, first 2 shown]
	s_waitcnt vmcnt(2)
	v_add_f64 v[2:3], v[81:82], -v[2:3]
	s_waitcnt vmcnt(0)
	v_add_f64 v[4:5], v[83:84], -v[4:5]
	buffer_store_dword v3, off, s[0:3], 0 offset:676
	buffer_store_dword v2, off, s[0:3], 0 offset:672
	;; [unrolled: 1-line block ×4, first 2 shown]
	v_cmpx_lt_u32_e32 40, v0
	s_cbranch_execz .LBB52_251
; %bb.250:
	v_mov_b32_e32 v5, s24
	s_clause 0x3
	buffer_load_dword v2, v5, s[0:3], 0 offen
	buffer_load_dword v3, v5, s[0:3], 0 offen offset:4
	buffer_load_dword v4, v5, s[0:3], 0 offen offset:8
	;; [unrolled: 1-line block ×3, first 2 shown]
	buffer_store_dword v1, off, s[0:3], 0 offset:656
	buffer_store_dword v1, off, s[0:3], 0 offset:660
	;; [unrolled: 1-line block ×4, first 2 shown]
	s_waitcnt vmcnt(0)
	ds_write_b128 v43, v[2:5]
.LBB52_251:
	s_or_b32 exec_lo, exec_lo, s4
	s_waitcnt lgkmcnt(0)
	s_waitcnt_vscnt null, 0x0
	s_barrier
	buffer_gl0_inv
	s_clause 0x2f
	buffer_load_dword v10, off, s[0:3], 0 offset:680
	buffer_load_dword v11, off, s[0:3], 0 offset:684
	;; [unrolled: 1-line block ×48, first 2 shown]
	ds_read_b128 v[2:5], v1 offset:1504
	s_clause 0x3
	buffer_load_dword v85, off, s[0:3], 0 offset:656
	buffer_load_dword v86, off, s[0:3], 0 offset:660
	;; [unrolled: 1-line block ×4, first 2 shown]
	ds_read_b128 v[6:9], v1 offset:1520
	s_mov_b32 s4, exec_lo
	s_waitcnt vmcnt(50) lgkmcnt(1)
	v_mul_f64 v[89:90], v[4:5], v[10:11]
	v_mul_f64 v[91:92], v[2:3], v[10:11]
	ds_read_b128 v[10:13], v1 offset:1536
	s_waitcnt vmcnt(48) lgkmcnt(1)
	v_mul_f64 v[93:94], v[8:9], v[14:15]
	v_mul_f64 v[14:15], v[6:7], v[14:15]
	s_waitcnt vmcnt(46)
	v_fma_f64 v[89:90], v[2:3], v[16:17], -v[89:90]
	v_fma_f64 v[16:17], v[4:5], v[16:17], v[91:92]
	s_waitcnt vmcnt(44) lgkmcnt(0)
	v_mul_f64 v[91:92], v[10:11], v[18:19]
	v_mul_f64 v[18:19], v[12:13], v[18:19]
	s_waitcnt vmcnt(42)
	v_fma_f64 v[93:94], v[6:7], v[20:21], -v[93:94]
	ds_read_b128 v[2:5], v1 offset:1552
	v_fma_f64 v[14:15], v[8:9], v[20:21], v[14:15]
	ds_read_b128 v[6:9], v1 offset:1568
	v_add_f64 v[89:90], v[89:90], 0
	v_add_f64 v[16:17], v[16:17], 0
	s_waitcnt vmcnt(38) lgkmcnt(1)
	v_mul_f64 v[20:21], v[2:3], v[22:23]
	v_mul_f64 v[22:23], v[4:5], v[22:23]
	s_waitcnt vmcnt(36)
	v_fma_f64 v[18:19], v[10:11], v[28:29], -v[18:19]
	v_fma_f64 v[28:29], v[12:13], v[28:29], v[91:92]
	ds_read_b128 v[10:13], v1 offset:1584
	v_add_f64 v[89:90], v[89:90], v[93:94]
	v_add_f64 v[14:15], v[16:17], v[14:15]
	s_waitcnt vmcnt(35) lgkmcnt(1)
	v_mul_f64 v[16:17], v[6:7], v[24:25]
	v_mul_f64 v[24:25], v[8:9], v[24:25]
	s_waitcnt vmcnt(33)
	v_fma_f64 v[22:23], v[2:3], v[30:31], -v[22:23]
	v_fma_f64 v[20:21], v[4:5], v[30:31], v[20:21]
	ds_read_b128 v[2:5], v1 offset:1600
	s_waitcnt vmcnt(29) lgkmcnt(1)
	v_mul_f64 v[30:31], v[12:13], v[32:33]
	v_add_f64 v[18:19], v[89:90], v[18:19]
	v_add_f64 v[14:15], v[14:15], v[28:29]
	v_mul_f64 v[28:29], v[10:11], v[32:33]
	s_waitcnt vmcnt(28)
	v_fma_f64 v[24:25], v[6:7], v[26:27], -v[24:25]
	v_fma_f64 v[16:17], v[8:9], v[26:27], v[16:17]
	ds_read_b128 v[6:9], v1 offset:1616
	s_waitcnt vmcnt(25)
	v_fma_f64 v[26:27], v[10:11], v[38:39], -v[30:31]
	v_add_f64 v[18:19], v[18:19], v[22:23]
	v_add_f64 v[14:15], v[14:15], v[20:21]
	s_waitcnt lgkmcnt(1)
	v_mul_f64 v[22:23], v[4:5], v[34:35]
	v_mul_f64 v[20:21], v[2:3], v[34:35]
	v_add_f64 v[18:19], v[18:19], v[24:25]
	v_fma_f64 v[24:25], v[12:13], v[38:39], v[28:29]
	v_add_f64 v[14:15], v[14:15], v[16:17]
	ds_read_b128 v[10:13], v1 offset:1632
	s_waitcnt vmcnt(21) lgkmcnt(1)
	v_mul_f64 v[28:29], v[8:9], v[40:41]
	s_waitcnt vmcnt(20)
	v_fma_f64 v[22:23], v[2:3], v[36:37], -v[22:23]
	v_mul_f64 v[16:17], v[6:7], v[40:41]
	v_fma_f64 v[20:21], v[4:5], v[36:37], v[20:21]
	ds_read_b128 v[2:5], v1 offset:1648
	v_add_f64 v[18:19], v[18:19], v[26:27]
	s_waitcnt vmcnt(19) lgkmcnt(1)
	v_mul_f64 v[26:27], v[12:13], v[48:49]
	v_add_f64 v[14:15], v[14:15], v[24:25]
	v_mul_f64 v[24:25], v[10:11], v[48:49]
	s_waitcnt vmcnt(17)
	v_fma_f64 v[28:29], v[6:7], v[65:66], -v[28:29]
	v_fma_f64 v[16:17], v[8:9], v[65:66], v[16:17]
	ds_read_b128 v[6:9], v1 offset:1664
	v_add_f64 v[18:19], v[18:19], v[22:23]
	s_waitcnt vmcnt(13) lgkmcnt(1)
	v_mul_f64 v[22:23], v[4:5], v[67:68]
	v_add_f64 v[14:15], v[14:15], v[20:21]
	s_waitcnt vmcnt(12)
	v_fma_f64 v[26:27], v[10:11], v[50:51], -v[26:27]
	v_mul_f64 v[20:21], v[2:3], v[67:68]
	v_fma_f64 v[24:25], v[12:13], v[50:51], v[24:25]
	ds_read_b128 v[10:13], v1 offset:1680
	v_add_f64 v[18:19], v[18:19], v[28:29]
	s_waitcnt vmcnt(11) lgkmcnt(1)
	v_mul_f64 v[28:29], v[8:9], v[75:76]
	v_add_f64 v[14:15], v[14:15], v[16:17]
	s_waitcnt vmcnt(9)
	v_fma_f64 v[1:2], v[2:3], v[79:80], -v[22:23]
	v_mul_f64 v[16:17], v[6:7], v[75:76]
	v_fma_f64 v[3:4], v[4:5], v[79:80], v[20:21]
	s_waitcnt vmcnt(7) lgkmcnt(0)
	v_mul_f64 v[22:23], v[12:13], v[81:82]
	v_mul_f64 v[20:21], v[10:11], v[81:82]
	v_add_f64 v[18:19], v[18:19], v[26:27]
	s_waitcnt vmcnt(6)
	v_fma_f64 v[5:6], v[6:7], v[77:78], -v[28:29]
	v_add_f64 v[14:15], v[14:15], v[24:25]
	v_fma_f64 v[7:8], v[8:9], v[77:78], v[16:17]
	s_waitcnt vmcnt(4)
	v_fma_f64 v[9:10], v[10:11], v[83:84], -v[22:23]
	v_add_f64 v[1:2], v[18:19], v[1:2]
	v_add_f64 v[3:4], v[14:15], v[3:4]
	v_add_f64 v[1:2], v[1:2], v[5:6]
	v_fma_f64 v[5:6], v[12:13], v[83:84], v[20:21]
	v_add_f64 v[3:4], v[3:4], v[7:8]
	v_add_f64 v[1:2], v[1:2], v[9:10]
	;; [unrolled: 1-line block ×3, first 2 shown]
	s_waitcnt vmcnt(2)
	v_add_f64 v[1:2], v[85:86], -v[1:2]
	s_waitcnt vmcnt(0)
	v_add_f64 v[3:4], v[87:88], -v[3:4]
	buffer_store_dword v2, off, s[0:3], 0 offset:660
	buffer_store_dword v1, off, s[0:3], 0 offset:656
	;; [unrolled: 1-line block ×4, first 2 shown]
	v_cmpx_lt_u32_e32 39, v0
	s_cbranch_execz .LBB52_253
; %bb.252:
	v_mov_b32_e32 v4, s25
	v_mov_b32_e32 v5, 0
	s_clause 0x3
	buffer_load_dword v1, v4, s[0:3], 0 offen
	buffer_load_dword v2, v4, s[0:3], 0 offen offset:4
	buffer_load_dword v3, v4, s[0:3], 0 offen offset:8
	;; [unrolled: 1-line block ×3, first 2 shown]
	buffer_store_dword v5, off, s[0:3], 0 offset:640
	buffer_store_dword v5, off, s[0:3], 0 offset:644
	;; [unrolled: 1-line block ×4, first 2 shown]
	s_waitcnt vmcnt(0)
	ds_write_b128 v43, v[1:4]
.LBB52_253:
	s_or_b32 exec_lo, exec_lo, s4
	s_waitcnt lgkmcnt(0)
	s_waitcnt_vscnt null, 0x0
	s_barrier
	buffer_gl0_inv
	s_clause 0x33
	buffer_load_dword v10, off, s[0:3], 0 offset:664
	buffer_load_dword v11, off, s[0:3], 0 offset:668
	;; [unrolled: 1-line block ×52, first 2 shown]
	v_mov_b32_e32 v1, 0
	ds_read_b128 v[2:5], v1 offset:1488
	ds_read_b128 v[6:9], v1 offset:1504
	s_clause 0x3
	buffer_load_dword v93, off, s[0:3], 0 offset:640
	buffer_load_dword v94, off, s[0:3], 0 offset:644
	;; [unrolled: 1-line block ×4, first 2 shown]
	s_mov_b32 s4, exec_lo
	s_waitcnt vmcnt(54) lgkmcnt(1)
	v_mul_f64 v[89:90], v[4:5], v[10:11]
	v_mul_f64 v[91:92], v[2:3], v[10:11]
	s_waitcnt vmcnt(52) lgkmcnt(0)
	v_mul_f64 v[97:98], v[8:9], v[14:15]
	ds_read_b128 v[10:13], v1 offset:1520
	v_mul_f64 v[14:15], v[6:7], v[14:15]
	s_waitcnt vmcnt(50)
	v_fma_f64 v[89:90], v[2:3], v[16:17], -v[89:90]
	v_fma_f64 v[16:17], v[4:5], v[16:17], v[91:92]
	ds_read_b128 v[2:5], v1 offset:1536
	s_waitcnt vmcnt(48) lgkmcnt(1)
	v_mul_f64 v[91:92], v[10:11], v[18:19]
	v_mul_f64 v[18:19], v[12:13], v[18:19]
	s_waitcnt vmcnt(46)
	v_fma_f64 v[97:98], v[6:7], v[20:21], -v[97:98]
	v_fma_f64 v[14:15], v[8:9], v[20:21], v[14:15]
	ds_read_b128 v[6:9], v1 offset:1552
	s_waitcnt vmcnt(42) lgkmcnt(1)
	v_mul_f64 v[20:21], v[2:3], v[22:23]
	v_add_f64 v[89:90], v[89:90], 0
	v_add_f64 v[16:17], v[16:17], 0
	v_mul_f64 v[22:23], v[4:5], v[22:23]
	s_waitcnt vmcnt(40)
	v_fma_f64 v[18:19], v[10:11], v[28:29], -v[18:19]
	v_fma_f64 v[28:29], v[12:13], v[28:29], v[91:92]
	ds_read_b128 v[10:13], v1 offset:1568
	s_waitcnt vmcnt(37)
	v_fma_f64 v[20:21], v[4:5], v[30:31], v[20:21]
	v_add_f64 v[89:90], v[89:90], v[97:98]
	v_add_f64 v[14:15], v[16:17], v[14:15]
	s_waitcnt lgkmcnt(1)
	v_mul_f64 v[16:17], v[6:7], v[24:25]
	v_mul_f64 v[24:25], v[8:9], v[24:25]
	v_fma_f64 v[22:23], v[2:3], v[30:31], -v[22:23]
	s_waitcnt vmcnt(33) lgkmcnt(0)
	v_mul_f64 v[30:31], v[12:13], v[32:33]
	ds_read_b128 v[2:5], v1 offset:1584
	v_add_f64 v[18:19], v[89:90], v[18:19]
	v_add_f64 v[14:15], v[14:15], v[28:29]
	v_mul_f64 v[28:29], v[10:11], v[32:33]
	s_waitcnt vmcnt(32)
	v_fma_f64 v[24:25], v[6:7], v[26:27], -v[24:25]
	v_fma_f64 v[16:17], v[8:9], v[26:27], v[16:17]
	ds_read_b128 v[6:9], v1 offset:1600
	s_waitcnt vmcnt(29)
	v_fma_f64 v[26:27], v[10:11], v[38:39], -v[30:31]
	v_add_f64 v[18:19], v[18:19], v[22:23]
	v_add_f64 v[14:15], v[14:15], v[20:21]
	s_waitcnt lgkmcnt(1)
	v_mul_f64 v[22:23], v[4:5], v[34:35]
	v_mul_f64 v[20:21], v[2:3], v[34:35]
	v_add_f64 v[18:19], v[18:19], v[24:25]
	v_fma_f64 v[24:25], v[12:13], v[38:39], v[28:29]
	v_add_f64 v[14:15], v[14:15], v[16:17]
	s_waitcnt vmcnt(25) lgkmcnt(0)
	v_mul_f64 v[28:29], v[8:9], v[40:41]
	s_waitcnt vmcnt(24)
	v_fma_f64 v[22:23], v[2:3], v[36:37], -v[22:23]
	ds_read_b128 v[10:13], v1 offset:1616
	v_mul_f64 v[16:17], v[6:7], v[40:41]
	v_fma_f64 v[20:21], v[4:5], v[36:37], v[20:21]
	ds_read_b128 v[2:5], v1 offset:1632
	v_add_f64 v[18:19], v[18:19], v[26:27]
	v_add_f64 v[14:15], v[14:15], v[24:25]
	s_waitcnt vmcnt(23) lgkmcnt(1)
	v_mul_f64 v[26:27], v[12:13], v[48:49]
	s_waitcnt vmcnt(21)
	v_fma_f64 v[28:29], v[6:7], v[65:66], -v[28:29]
	v_mul_f64 v[24:25], v[10:11], v[48:49]
	v_fma_f64 v[16:17], v[8:9], v[65:66], v[16:17]
	ds_read_b128 v[6:9], v1 offset:1648
	v_add_f64 v[18:19], v[18:19], v[22:23]
	s_waitcnt vmcnt(17) lgkmcnt(1)
	v_mul_f64 v[22:23], v[4:5], v[67:68]
	v_add_f64 v[14:15], v[14:15], v[20:21]
	s_waitcnt vmcnt(16)
	v_fma_f64 v[26:27], v[10:11], v[50:51], -v[26:27]
	v_mul_f64 v[20:21], v[2:3], v[67:68]
	v_fma_f64 v[24:25], v[12:13], v[50:51], v[24:25]
	ds_read_b128 v[10:13], v1 offset:1664
	v_add_f64 v[18:19], v[18:19], v[28:29]
	s_waitcnt vmcnt(15) lgkmcnt(1)
	v_mul_f64 v[28:29], v[8:9], v[75:76]
	v_add_f64 v[14:15], v[14:15], v[16:17]
	s_waitcnt vmcnt(13)
	v_fma_f64 v[22:23], v[2:3], v[79:80], -v[22:23]
	v_mul_f64 v[16:17], v[6:7], v[75:76]
	v_fma_f64 v[20:21], v[4:5], v[79:80], v[20:21]
	ds_read_b128 v[2:5], v1 offset:1680
	v_add_f64 v[18:19], v[18:19], v[26:27]
	s_waitcnt vmcnt(9) lgkmcnt(1)
	v_mul_f64 v[26:27], v[12:13], v[81:82]
	v_add_f64 v[14:15], v[14:15], v[24:25]
	s_waitcnt vmcnt(8)
	v_fma_f64 v[6:7], v[6:7], v[77:78], -v[28:29]
	v_mul_f64 v[24:25], v[10:11], v[81:82]
	v_fma_f64 v[8:9], v[8:9], v[77:78], v[16:17]
	s_waitcnt vmcnt(7) lgkmcnt(0)
	v_mul_f64 v[16:17], v[2:3], v[83:84]
	v_add_f64 v[18:19], v[18:19], v[22:23]
	s_waitcnt vmcnt(5)
	v_fma_f64 v[10:11], v[10:11], v[87:88], -v[26:27]
	v_add_f64 v[14:15], v[14:15], v[20:21]
	v_mul_f64 v[20:21], v[4:5], v[83:84]
	v_fma_f64 v[12:13], v[12:13], v[87:88], v[24:25]
	s_waitcnt vmcnt(4)
	v_fma_f64 v[4:5], v[4:5], v[85:86], v[16:17]
	v_add_f64 v[6:7], v[18:19], v[6:7]
	v_add_f64 v[8:9], v[14:15], v[8:9]
	v_fma_f64 v[2:3], v[2:3], v[85:86], -v[20:21]
	v_add_f64 v[6:7], v[6:7], v[10:11]
	v_add_f64 v[8:9], v[8:9], v[12:13]
	;; [unrolled: 1-line block ×4, first 2 shown]
	s_waitcnt vmcnt(2)
	v_add_f64 v[2:3], v[93:94], -v[2:3]
	s_waitcnt vmcnt(0)
	v_add_f64 v[4:5], v[95:96], -v[4:5]
	buffer_store_dword v3, off, s[0:3], 0 offset:644
	buffer_store_dword v2, off, s[0:3], 0 offset:640
	;; [unrolled: 1-line block ×4, first 2 shown]
	v_cmpx_lt_u32_e32 38, v0
	s_cbranch_execz .LBB52_255
; %bb.254:
	v_mov_b32_e32 v5, s26
	s_clause 0x3
	buffer_load_dword v2, v5, s[0:3], 0 offen
	buffer_load_dword v3, v5, s[0:3], 0 offen offset:4
	buffer_load_dword v4, v5, s[0:3], 0 offen offset:8
	;; [unrolled: 1-line block ×3, first 2 shown]
	buffer_store_dword v1, off, s[0:3], 0 offset:624
	buffer_store_dword v1, off, s[0:3], 0 offset:628
	buffer_store_dword v1, off, s[0:3], 0 offset:632
	buffer_store_dword v1, off, s[0:3], 0 offset:636
	s_waitcnt vmcnt(0)
	ds_write_b128 v43, v[2:5]
.LBB52_255:
	s_or_b32 exec_lo, exec_lo, s4
	s_waitcnt lgkmcnt(0)
	s_waitcnt_vscnt null, 0x0
	s_barrier
	buffer_gl0_inv
	s_clause 0x35
	buffer_load_dword v10, off, s[0:3], 0 offset:648
	buffer_load_dword v11, off, s[0:3], 0 offset:652
	;; [unrolled: 1-line block ×54, first 2 shown]
	ds_read_b128 v[2:5], v1 offset:1472
	s_clause 0x1
	buffer_load_dword v92, off, s[0:3], 0 offset:852
	buffer_load_dword v91, off, s[0:3], 0 offset:848
	ds_read_b128 v[6:9], v1 offset:1488
	s_mov_b32 s4, exec_lo
	s_waitcnt vmcnt(54) lgkmcnt(1)
	v_mul_f64 v[93:94], v[4:5], v[10:11]
	v_mul_f64 v[95:96], v[2:3], v[10:11]
	ds_read_b128 v[10:13], v1 offset:1504
	s_waitcnt vmcnt(52) lgkmcnt(1)
	v_mul_f64 v[97:98], v[8:9], v[14:15]
	v_mul_f64 v[14:15], v[6:7], v[14:15]
	s_waitcnt vmcnt(48) lgkmcnt(0)
	v_mul_f64 v[101:102], v[10:11], v[18:19]
	v_fma_f64 v[93:94], v[2:3], v[16:17], -v[93:94]
	v_fma_f64 v[16:17], v[4:5], v[16:17], v[95:96]
	s_clause 0x3
	buffer_load_dword v95, off, s[0:3], 0 offset:624
	buffer_load_dword v96, off, s[0:3], 0 offset:628
	;; [unrolled: 1-line block ×4, first 2 shown]
	v_mul_f64 v[18:19], v[12:13], v[18:19]
	s_waitcnt vmcnt(50)
	v_fma_f64 v[97:98], v[6:7], v[20:21], -v[97:98]
	ds_read_b128 v[2:5], v1 offset:1520
	v_fma_f64 v[14:15], v[8:9], v[20:21], v[14:15]
	ds_read_b128 v[6:9], v1 offset:1536
	v_add_f64 v[93:94], v[93:94], 0
	v_add_f64 v[16:17], v[16:17], 0
	s_waitcnt vmcnt(46) lgkmcnt(1)
	v_mul_f64 v[20:21], v[2:3], v[22:23]
	v_mul_f64 v[22:23], v[4:5], v[22:23]
	s_waitcnt vmcnt(44)
	v_fma_f64 v[18:19], v[10:11], v[28:29], -v[18:19]
	v_fma_f64 v[28:29], v[12:13], v[28:29], v[101:102]
	ds_read_b128 v[10:13], v1 offset:1552
	v_add_f64 v[93:94], v[93:94], v[97:98]
	v_add_f64 v[14:15], v[16:17], v[14:15]
	s_waitcnt vmcnt(43) lgkmcnt(1)
	v_mul_f64 v[16:17], v[6:7], v[24:25]
	v_mul_f64 v[24:25], v[8:9], v[24:25]
	s_waitcnt vmcnt(41)
	v_fma_f64 v[22:23], v[2:3], v[30:31], -v[22:23]
	v_fma_f64 v[20:21], v[4:5], v[30:31], v[20:21]
	ds_read_b128 v[2:5], v1 offset:1568
	s_waitcnt vmcnt(37) lgkmcnt(1)
	v_mul_f64 v[30:31], v[12:13], v[32:33]
	v_add_f64 v[18:19], v[93:94], v[18:19]
	v_add_f64 v[14:15], v[14:15], v[28:29]
	v_mul_f64 v[28:29], v[10:11], v[32:33]
	s_waitcnt vmcnt(36)
	v_fma_f64 v[24:25], v[6:7], v[26:27], -v[24:25]
	v_fma_f64 v[16:17], v[8:9], v[26:27], v[16:17]
	ds_read_b128 v[6:9], v1 offset:1584
	s_waitcnt vmcnt(33)
	v_fma_f64 v[26:27], v[10:11], v[38:39], -v[30:31]
	v_add_f64 v[18:19], v[18:19], v[22:23]
	v_add_f64 v[14:15], v[14:15], v[20:21]
	s_waitcnt lgkmcnt(1)
	v_mul_f64 v[22:23], v[4:5], v[34:35]
	v_mul_f64 v[20:21], v[2:3], v[34:35]
	v_add_f64 v[18:19], v[18:19], v[24:25]
	v_fma_f64 v[24:25], v[12:13], v[38:39], v[28:29]
	v_add_f64 v[14:15], v[14:15], v[16:17]
	ds_read_b128 v[10:13], v1 offset:1600
	s_waitcnt vmcnt(29) lgkmcnt(1)
	v_mul_f64 v[28:29], v[8:9], v[40:41]
	s_waitcnt vmcnt(28)
	v_fma_f64 v[22:23], v[2:3], v[36:37], -v[22:23]
	v_mul_f64 v[16:17], v[6:7], v[40:41]
	v_fma_f64 v[20:21], v[4:5], v[36:37], v[20:21]
	ds_read_b128 v[2:5], v1 offset:1616
	v_add_f64 v[18:19], v[18:19], v[26:27]
	s_waitcnt vmcnt(27) lgkmcnt(1)
	v_mul_f64 v[26:27], v[12:13], v[48:49]
	v_add_f64 v[14:15], v[14:15], v[24:25]
	v_mul_f64 v[24:25], v[10:11], v[48:49]
	s_waitcnt vmcnt(25)
	v_fma_f64 v[28:29], v[6:7], v[65:66], -v[28:29]
	v_fma_f64 v[16:17], v[8:9], v[65:66], v[16:17]
	ds_read_b128 v[6:9], v1 offset:1632
	v_add_f64 v[18:19], v[18:19], v[22:23]
	s_waitcnt vmcnt(21) lgkmcnt(1)
	v_mul_f64 v[22:23], v[4:5], v[67:68]
	v_add_f64 v[14:15], v[14:15], v[20:21]
	s_waitcnt vmcnt(20)
	v_fma_f64 v[26:27], v[10:11], v[50:51], -v[26:27]
	v_mul_f64 v[20:21], v[2:3], v[67:68]
	v_fma_f64 v[24:25], v[12:13], v[50:51], v[24:25]
	ds_read_b128 v[10:13], v1 offset:1648
	v_add_f64 v[18:19], v[18:19], v[28:29]
	s_waitcnt vmcnt(19) lgkmcnt(1)
	v_mul_f64 v[28:29], v[8:9], v[75:76]
	v_add_f64 v[14:15], v[14:15], v[16:17]
	s_waitcnt vmcnt(17)
	v_fma_f64 v[22:23], v[2:3], v[79:80], -v[22:23]
	v_mul_f64 v[16:17], v[6:7], v[75:76]
	;; [unrolled: 9-line block ×4, first 2 shown]
	v_fma_f64 v[12:13], v[12:13], v[87:88], v[24:25]
	s_waitcnt vmcnt(7) lgkmcnt(0)
	v_mul_f64 v[24:25], v[8:9], v[89:90]
	v_add_f64 v[18:19], v[18:19], v[28:29]
	s_waitcnt vmcnt(6)
	v_fma_f64 v[1:2], v[2:3], v[85:86], -v[22:23]
	v_add_f64 v[14:15], v[14:15], v[16:17]
	v_mul_f64 v[16:17], v[6:7], v[89:90]
	v_fma_f64 v[3:4], v[4:5], v[85:86], v[20:21]
	s_waitcnt vmcnt(4)
	v_fma_f64 v[5:6], v[6:7], v[91:92], -v[24:25]
	v_add_f64 v[10:11], v[18:19], v[10:11]
	v_add_f64 v[12:13], v[14:15], v[12:13]
	v_fma_f64 v[7:8], v[8:9], v[91:92], v[16:17]
	v_add_f64 v[1:2], v[10:11], v[1:2]
	v_add_f64 v[3:4], v[12:13], v[3:4]
	;; [unrolled: 1-line block ×4, first 2 shown]
	s_waitcnt vmcnt(2)
	v_add_f64 v[1:2], v[95:96], -v[1:2]
	s_waitcnt vmcnt(0)
	v_add_f64 v[3:4], v[99:100], -v[3:4]
	buffer_store_dword v2, off, s[0:3], 0 offset:628
	buffer_store_dword v1, off, s[0:3], 0 offset:624
	;; [unrolled: 1-line block ×4, first 2 shown]
	v_cmpx_lt_u32_e32 37, v0
	s_cbranch_execz .LBB52_257
; %bb.256:
	v_mov_b32_e32 v4, s27
	v_mov_b32_e32 v5, 0
	s_clause 0x3
	buffer_load_dword v1, v4, s[0:3], 0 offen
	buffer_load_dword v2, v4, s[0:3], 0 offen offset:4
	buffer_load_dword v3, v4, s[0:3], 0 offen offset:8
	;; [unrolled: 1-line block ×3, first 2 shown]
	buffer_store_dword v5, off, s[0:3], 0 offset:608
	buffer_store_dword v5, off, s[0:3], 0 offset:612
	;; [unrolled: 1-line block ×4, first 2 shown]
	s_waitcnt vmcnt(0)
	ds_write_b128 v43, v[1:4]
.LBB52_257:
	s_or_b32 exec_lo, exec_lo, s4
	s_waitcnt lgkmcnt(0)
	s_waitcnt_vscnt null, 0x0
	s_barrier
	buffer_gl0_inv
	s_clause 0x37
	buffer_load_dword v10, off, s[0:3], 0 offset:632
	buffer_load_dword v11, off, s[0:3], 0 offset:636
	;; [unrolled: 1-line block ×56, first 2 shown]
	v_mov_b32_e32 v1, 0
	s_mov_b32 s4, exec_lo
	ds_read_b128 v[2:5], v1 offset:1456
	s_clause 0x2
	buffer_load_dword v92, off, s[0:3], 0 offset:860
	buffer_load_dword v96, off, s[0:3], 0 offset:836
	;; [unrolled: 1-line block ×3, first 2 shown]
	ds_read_b128 v[6:9], v1 offset:1472
	buffer_load_dword v94, off, s[0:3], 0 offset:852
	s_waitcnt vmcnt(58) lgkmcnt(1)
	v_mul_f64 v[97:98], v[4:5], v[10:11]
	v_mul_f64 v[99:100], v[2:3], v[10:11]
	ds_read_b128 v[10:13], v1 offset:1488
	s_waitcnt vmcnt(56) lgkmcnt(1)
	v_mul_f64 v[101:102], v[8:9], v[14:15]
	v_mul_f64 v[14:15], v[6:7], v[14:15]
	s_waitcnt vmcnt(54)
	v_fma_f64 v[97:98], v[2:3], v[16:17], -v[97:98]
	v_fma_f64 v[16:17], v[4:5], v[16:17], v[99:100]
	s_waitcnt vmcnt(52) lgkmcnt(0)
	v_mul_f64 v[99:100], v[10:11], v[18:19]
	v_mul_f64 v[18:19], v[12:13], v[18:19]
	s_waitcnt vmcnt(50)
	v_fma_f64 v[101:102], v[6:7], v[20:21], -v[101:102]
	ds_read_b128 v[2:5], v1 offset:1504
	v_fma_f64 v[14:15], v[8:9], v[20:21], v[14:15]
	s_clause 0x3
	buffer_load_dword v20, off, s[0:3], 0 offset:608
	buffer_load_dword v21, off, s[0:3], 0 offset:612
	;; [unrolled: 1-line block ×4, first 2 shown]
	ds_read_b128 v[6:9], v1 offset:1520
	v_add_f64 v[97:98], v[97:98], 0
	v_add_f64 v[16:17], v[16:17], 0
	s_waitcnt vmcnt(50) lgkmcnt(1)
	v_mul_f64 v[105:106], v[2:3], v[22:23]
	v_mul_f64 v[22:23], v[4:5], v[22:23]
	s_waitcnt vmcnt(48)
	v_fma_f64 v[18:19], v[10:11], v[28:29], -v[18:19]
	v_fma_f64 v[28:29], v[12:13], v[28:29], v[99:100]
	ds_read_b128 v[10:13], v1 offset:1536
	v_add_f64 v[97:98], v[97:98], v[101:102]
	v_add_f64 v[14:15], v[16:17], v[14:15]
	s_waitcnt vmcnt(47) lgkmcnt(1)
	v_mul_f64 v[16:17], v[6:7], v[24:25]
	v_mul_f64 v[24:25], v[8:9], v[24:25]
	s_waitcnt vmcnt(45)
	v_fma_f64 v[22:23], v[2:3], v[30:31], -v[22:23]
	v_fma_f64 v[30:31], v[4:5], v[30:31], v[105:106]
	;; [unrolled: 9-line block ×3, first 2 shown]
	ds_read_b128 v[6:9], v1 offset:1568
	s_waitcnt vmcnt(39) lgkmcnt(1)
	v_mul_f64 v[26:27], v[4:5], v[34:35]
	v_add_f64 v[18:19], v[18:19], v[22:23]
	v_add_f64 v[14:15], v[14:15], v[30:31]
	v_mul_f64 v[22:23], v[2:3], v[34:35]
	s_waitcnt vmcnt(37)
	v_fma_f64 v[30:31], v[10:11], v[38:39], -v[32:33]
	s_waitcnt vmcnt(32)
	v_fma_f64 v[26:27], v[2:3], v[36:37], -v[26:27]
	v_add_f64 v[18:19], v[18:19], v[24:25]
	v_fma_f64 v[24:25], v[12:13], v[38:39], v[28:29]
	v_add_f64 v[14:15], v[14:15], v[16:17]
	s_waitcnt lgkmcnt(0)
	v_mul_f64 v[28:29], v[8:9], v[40:41]
	ds_read_b128 v[10:13], v1 offset:1584
	v_mul_f64 v[16:17], v[6:7], v[40:41]
	v_fma_f64 v[22:23], v[4:5], v[36:37], v[22:23]
	ds_read_b128 v[2:5], v1 offset:1600
	v_add_f64 v[18:19], v[18:19], v[30:31]
	v_add_f64 v[14:15], v[14:15], v[24:25]
	s_waitcnt vmcnt(31) lgkmcnt(1)
	v_mul_f64 v[30:31], v[12:13], v[48:49]
	s_waitcnt vmcnt(29)
	v_fma_f64 v[28:29], v[6:7], v[65:66], -v[28:29]
	v_mul_f64 v[24:25], v[10:11], v[48:49]
	v_fma_f64 v[16:17], v[8:9], v[65:66], v[16:17]
	ds_read_b128 v[6:9], v1 offset:1616
	v_add_f64 v[18:19], v[18:19], v[26:27]
	s_waitcnt vmcnt(25) lgkmcnt(1)
	v_mul_f64 v[26:27], v[4:5], v[67:68]
	v_add_f64 v[14:15], v[14:15], v[22:23]
	s_waitcnt vmcnt(24)
	v_fma_f64 v[30:31], v[10:11], v[50:51], -v[30:31]
	v_mul_f64 v[22:23], v[2:3], v[67:68]
	v_fma_f64 v[24:25], v[12:13], v[50:51], v[24:25]
	ds_read_b128 v[10:13], v1 offset:1632
	v_add_f64 v[18:19], v[18:19], v[28:29]
	s_waitcnt vmcnt(23) lgkmcnt(1)
	v_mul_f64 v[28:29], v[8:9], v[75:76]
	v_add_f64 v[14:15], v[14:15], v[16:17]
	;; [unrolled: 9-line block ×5, first 2 shown]
	s_waitcnt vmcnt(8)
	v_fma_f64 v[2:3], v[2:3], v[85:86], -v[26:27]
	v_mul_f64 v[16:17], v[6:7], v[89:90]
	v_fma_f64 v[4:5], v[4:5], v[85:86], v[22:23]
	s_waitcnt vmcnt(7) lgkmcnt(0)
	v_mul_f64 v[22:23], v[10:11], v[91:92]
	v_add_f64 v[18:19], v[18:19], v[30:31]
	s_waitcnt vmcnt(5)
	v_fma_f64 v[6:7], v[6:7], v[95:96], -v[28:29]
	v_add_f64 v[14:15], v[14:15], v[24:25]
	v_mul_f64 v[24:25], v[12:13], v[91:92]
	v_fma_f64 v[8:9], v[8:9], v[95:96], v[16:17]
	v_add_f64 v[2:3], v[18:19], v[2:3]
	v_add_f64 v[4:5], v[14:15], v[4:5]
	s_waitcnt vmcnt(4)
	v_fma_f64 v[10:11], v[10:11], v[93:94], -v[24:25]
	v_add_f64 v[2:3], v[2:3], v[6:7]
	v_fma_f64 v[6:7], v[12:13], v[93:94], v[22:23]
	v_add_f64 v[4:5], v[4:5], v[8:9]
	v_add_f64 v[2:3], v[2:3], v[10:11]
	;; [unrolled: 1-line block ×3, first 2 shown]
	s_waitcnt vmcnt(2)
	v_add_f64 v[2:3], v[20:21], -v[2:3]
	s_waitcnt vmcnt(0)
	v_add_f64 v[4:5], v[103:104], -v[4:5]
	buffer_store_dword v3, off, s[0:3], 0 offset:612
	buffer_store_dword v2, off, s[0:3], 0 offset:608
	;; [unrolled: 1-line block ×4, first 2 shown]
	v_cmpx_lt_u32_e32 36, v0
	s_cbranch_execz .LBB52_259
; %bb.258:
	v_mov_b32_e32 v5, s28
	s_clause 0x3
	buffer_load_dword v2, v5, s[0:3], 0 offen
	buffer_load_dword v3, v5, s[0:3], 0 offen offset:4
	buffer_load_dword v4, v5, s[0:3], 0 offen offset:8
	;; [unrolled: 1-line block ×3, first 2 shown]
	buffer_store_dword v1, off, s[0:3], 0 offset:592
	buffer_store_dword v1, off, s[0:3], 0 offset:596
	;; [unrolled: 1-line block ×4, first 2 shown]
	s_waitcnt vmcnt(0)
	ds_write_b128 v43, v[2:5]
.LBB52_259:
	s_or_b32 exec_lo, exec_lo, s4
	s_waitcnt lgkmcnt(0)
	s_waitcnt_vscnt null, 0x0
	s_barrier
	buffer_gl0_inv
	s_clause 0x37
	buffer_load_dword v10, off, s[0:3], 0 offset:616
	buffer_load_dword v11, off, s[0:3], 0 offset:620
	;; [unrolled: 1-line block ×56, first 2 shown]
	ds_read_b128 v[2:5], v1 offset:1440
	s_clause 0x2
	buffer_load_dword v92, off, s[0:3], 0 offset:844
	buffer_load_dword v96, off, s[0:3], 0 offset:820
	;; [unrolled: 1-line block ×3, first 2 shown]
	ds_read_b128 v[6:9], v1 offset:1456
	s_clause 0x2
	buffer_load_dword v102, off, s[0:3], 0 offset:860
	buffer_load_dword v101, off, s[0:3], 0 offset:856
	;; [unrolled: 1-line block ×3, first 2 shown]
	s_mov_b32 s4, exec_lo
	s_waitcnt vmcnt(60) lgkmcnt(1)
	v_mul_f64 v[97:98], v[4:5], v[10:11]
	v_mul_f64 v[99:100], v[2:3], v[10:11]
	s_waitcnt vmcnt(58) lgkmcnt(0)
	v_mul_f64 v[103:104], v[8:9], v[14:15]
	ds_read_b128 v[10:13], v1 offset:1472
	v_mul_f64 v[14:15], v[6:7], v[14:15]
	s_waitcnt vmcnt(56)
	v_fma_f64 v[97:98], v[2:3], v[16:17], -v[97:98]
	v_fma_f64 v[16:17], v[4:5], v[16:17], v[99:100]
	s_clause 0x1
	buffer_load_dword v100, off, s[0:3], 0 offset:852
	buffer_load_dword v99, off, s[0:3], 0 offset:848
	s_waitcnt vmcnt(56) lgkmcnt(0)
	v_mul_f64 v[105:106], v[10:11], v[18:19]
	v_mul_f64 v[18:19], v[12:13], v[18:19]
	s_waitcnt vmcnt(54)
	v_fma_f64 v[103:104], v[6:7], v[20:21], -v[103:104]
	ds_read_b128 v[2:5], v1 offset:1488
	v_fma_f64 v[14:15], v[8:9], v[20:21], v[14:15]
	ds_read_b128 v[6:9], v1 offset:1504
	v_add_f64 v[97:98], v[97:98], 0
	v_add_f64 v[16:17], v[16:17], 0
	s_waitcnt vmcnt(50) lgkmcnt(1)
	v_mul_f64 v[20:21], v[2:3], v[22:23]
	v_mul_f64 v[22:23], v[4:5], v[22:23]
	s_waitcnt vmcnt(48)
	v_fma_f64 v[18:19], v[10:11], v[28:29], -v[18:19]
	v_fma_f64 v[28:29], v[12:13], v[28:29], v[105:106]
	s_waitcnt vmcnt(47) lgkmcnt(0)
	v_mul_f64 v[105:106], v[6:7], v[24:25]
	v_mul_f64 v[24:25], v[8:9], v[24:25]
	v_add_f64 v[97:98], v[97:98], v[103:104]
	v_add_f64 v[14:15], v[16:17], v[14:15]
	s_clause 0x3
	buffer_load_dword v16, off, s[0:3], 0 offset:592
	buffer_load_dword v17, off, s[0:3], 0 offset:596
	;; [unrolled: 1-line block ×4, first 2 shown]
	ds_read_b128 v[10:13], v1 offset:1520
	s_waitcnt vmcnt(49)
	v_fma_f64 v[20:21], v[4:5], v[30:31], v[20:21]
	v_fma_f64 v[22:23], v[2:3], v[30:31], -v[22:23]
	ds_read_b128 v[2:5], v1 offset:1536
	s_waitcnt vmcnt(44)
	v_fma_f64 v[24:25], v[6:7], v[26:27], -v[24:25]
	v_add_f64 v[18:19], v[97:98], v[18:19]
	v_add_f64 v[14:15], v[14:15], v[28:29]
	s_waitcnt lgkmcnt(1)
	v_mul_f64 v[30:31], v[12:13], v[32:33]
	v_mul_f64 v[28:29], v[10:11], v[32:33]
	v_add_f64 v[18:19], v[18:19], v[22:23]
	v_fma_f64 v[22:23], v[8:9], v[26:27], v[105:106]
	v_add_f64 v[14:15], v[14:15], v[20:21]
	s_waitcnt vmcnt(43) lgkmcnt(0)
	v_mul_f64 v[26:27], v[4:5], v[34:35]
	s_waitcnt vmcnt(41)
	v_fma_f64 v[30:31], v[10:11], v[38:39], -v[30:31]
	ds_read_b128 v[6:9], v1 offset:1552
	v_mul_f64 v[20:21], v[2:3], v[34:35]
	v_add_f64 v[18:19], v[18:19], v[24:25]
	v_fma_f64 v[24:25], v[12:13], v[38:39], v[28:29]
	v_add_f64 v[14:15], v[14:15], v[22:23]
	ds_read_b128 v[10:13], v1 offset:1568
	s_waitcnt vmcnt(37) lgkmcnt(1)
	v_mul_f64 v[28:29], v[8:9], v[40:41]
	s_waitcnt vmcnt(36)
	v_fma_f64 v[26:27], v[2:3], v[36:37], -v[26:27]
	v_mul_f64 v[22:23], v[6:7], v[40:41]
	v_fma_f64 v[20:21], v[4:5], v[36:37], v[20:21]
	ds_read_b128 v[2:5], v1 offset:1584
	v_add_f64 v[18:19], v[18:19], v[30:31]
	s_waitcnt vmcnt(35) lgkmcnt(1)
	v_mul_f64 v[30:31], v[12:13], v[48:49]
	v_add_f64 v[14:15], v[14:15], v[24:25]
	v_mul_f64 v[24:25], v[10:11], v[48:49]
	s_waitcnt vmcnt(33)
	v_fma_f64 v[28:29], v[6:7], v[65:66], -v[28:29]
	v_fma_f64 v[22:23], v[8:9], v[65:66], v[22:23]
	ds_read_b128 v[6:9], v1 offset:1600
	v_add_f64 v[18:19], v[18:19], v[26:27]
	s_waitcnt vmcnt(29) lgkmcnt(1)
	v_mul_f64 v[26:27], v[4:5], v[67:68]
	v_add_f64 v[14:15], v[14:15], v[20:21]
	s_waitcnt vmcnt(28)
	v_fma_f64 v[30:31], v[10:11], v[50:51], -v[30:31]
	v_mul_f64 v[20:21], v[2:3], v[67:68]
	v_fma_f64 v[24:25], v[12:13], v[50:51], v[24:25]
	ds_read_b128 v[10:13], v1 offset:1616
	v_add_f64 v[18:19], v[18:19], v[28:29]
	s_waitcnt vmcnt(27) lgkmcnt(1)
	v_mul_f64 v[28:29], v[8:9], v[75:76]
	v_add_f64 v[14:15], v[14:15], v[22:23]
	s_waitcnt vmcnt(25)
	v_fma_f64 v[26:27], v[2:3], v[79:80], -v[26:27]
	v_mul_f64 v[22:23], v[6:7], v[75:76]
	;; [unrolled: 9-line block ×6, first 2 shown]
	v_fma_f64 v[7:8], v[8:9], v[95:96], v[22:23]
	s_waitcnt vmcnt(7) lgkmcnt(0)
	v_mul_f64 v[22:23], v[3:4], v[101:102]
	v_add_f64 v[18:19], v[18:19], v[26:27]
	s_waitcnt vmcnt(6)
	v_fma_f64 v[9:10], v[10:11], v[93:94], -v[30:31]
	v_add_f64 v[14:15], v[14:15], v[20:21]
	v_mul_f64 v[20:21], v[1:2], v[101:102]
	v_fma_f64 v[11:12], v[12:13], v[93:94], v[24:25]
	v_add_f64 v[5:6], v[18:19], v[5:6]
	v_add_f64 v[7:8], v[14:15], v[7:8]
	s_waitcnt vmcnt(4)
	v_fma_f64 v[1:2], v[1:2], v[99:100], -v[22:23]
	v_fma_f64 v[3:4], v[3:4], v[99:100], v[20:21]
	v_add_f64 v[5:6], v[5:6], v[9:10]
	v_add_f64 v[7:8], v[7:8], v[11:12]
	;; [unrolled: 1-line block ×4, first 2 shown]
	s_waitcnt vmcnt(2)
	v_add_f64 v[1:2], v[16:17], -v[1:2]
	s_waitcnt vmcnt(0)
	v_add_f64 v[3:4], v[103:104], -v[3:4]
	buffer_store_dword v2, off, s[0:3], 0 offset:596
	buffer_store_dword v1, off, s[0:3], 0 offset:592
	;; [unrolled: 1-line block ×4, first 2 shown]
	v_cmpx_lt_u32_e32 35, v0
	s_cbranch_execz .LBB52_261
; %bb.260:
	v_mov_b32_e32 v4, s29
	v_mov_b32_e32 v5, 0
	s_clause 0x3
	buffer_load_dword v1, v4, s[0:3], 0 offen
	buffer_load_dword v2, v4, s[0:3], 0 offen offset:4
	buffer_load_dword v3, v4, s[0:3], 0 offen offset:8
	;; [unrolled: 1-line block ×3, first 2 shown]
	buffer_store_dword v5, off, s[0:3], 0 offset:576
	buffer_store_dword v5, off, s[0:3], 0 offset:580
	;; [unrolled: 1-line block ×4, first 2 shown]
	s_waitcnt vmcnt(0)
	ds_write_b128 v43, v[1:4]
.LBB52_261:
	s_or_b32 exec_lo, exec_lo, s4
	s_waitcnt lgkmcnt(0)
	s_waitcnt_vscnt null, 0x0
	s_barrier
	buffer_gl0_inv
	s_clause 0x35
	buffer_load_dword v10, off, s[0:3], 0 offset:600
	buffer_load_dword v11, off, s[0:3], 0 offset:604
	;; [unrolled: 1-line block ×54, first 2 shown]
	v_mov_b32_e32 v1, 0
	s_mov_b32 s4, exec_lo
	ds_read_b128 v[2:5], v1 offset:1424
	s_clause 0x3
	buffer_load_dword v91, off, s[0:3], 0 offset:824
	buffer_load_dword v92, off, s[0:3], 0 offset:828
	;; [unrolled: 1-line block ×4, first 2 shown]
	ds_read_b128 v[6:9], v1 offset:1440
	s_clause 0x3
	buffer_load_dword v100, off, s[0:3], 0 offset:844
	buffer_load_dword v99, off, s[0:3], 0 offset:840
	buffer_load_dword v101, off, s[0:3], 0 offset:816
	buffer_load_dword v102, off, s[0:3], 0 offset:820
	s_waitcnt vmcnt(60) lgkmcnt(1)
	v_mul_f64 v[95:96], v[4:5], v[10:11]
	v_mul_f64 v[97:98], v[2:3], v[10:11]
	s_waitcnt vmcnt(58) lgkmcnt(0)
	v_mul_f64 v[103:104], v[8:9], v[14:15]
	ds_read_b128 v[10:13], v1 offset:1456
	v_mul_f64 v[14:15], v[6:7], v[14:15]
	s_waitcnt vmcnt(56)
	v_fma_f64 v[95:96], v[2:3], v[16:17], -v[95:96]
	v_fma_f64 v[16:17], v[4:5], v[16:17], v[97:98]
	s_clause 0x3
	buffer_load_dword v97, off, s[0:3], 0 offset:856
	buffer_load_dword v98, off, s[0:3], 0 offset:860
	;; [unrolled: 1-line block ×4, first 2 shown]
	s_waitcnt vmcnt(58) lgkmcnt(0)
	v_mul_f64 v[107:108], v[10:11], v[18:19]
	v_mul_f64 v[18:19], v[12:13], v[18:19]
	s_waitcnt vmcnt(56)
	v_fma_f64 v[103:104], v[6:7], v[20:21], -v[103:104]
	ds_read_b128 v[2:5], v1 offset:1472
	v_fma_f64 v[14:15], v[8:9], v[20:21], v[14:15]
	s_clause 0x1
	buffer_load_dword v20, off, s[0:3], 0 offset:848
	buffer_load_dword v21, off, s[0:3], 0 offset:852
	ds_read_b128 v[6:9], v1 offset:1488
	v_add_f64 v[95:96], v[95:96], 0
	v_add_f64 v[16:17], v[16:17], 0
	s_waitcnt vmcnt(56) lgkmcnt(1)
	v_mul_f64 v[109:110], v[2:3], v[22:23]
	v_mul_f64 v[22:23], v[4:5], v[22:23]
	s_waitcnt vmcnt(54)
	v_fma_f64 v[18:19], v[10:11], v[24:25], -v[18:19]
	v_fma_f64 v[24:25], v[12:13], v[24:25], v[107:108]
	ds_read_b128 v[10:13], v1 offset:1504
	v_add_f64 v[95:96], v[95:96], v[103:104]
	v_add_f64 v[14:15], v[16:17], v[14:15]
	s_waitcnt vmcnt(52) lgkmcnt(1)
	v_mul_f64 v[16:17], v[6:7], v[26:27]
	v_mul_f64 v[26:27], v[8:9], v[26:27]
	s_waitcnt vmcnt(50)
	v_fma_f64 v[22:23], v[2:3], v[28:29], -v[22:23]
	v_fma_f64 v[28:29], v[4:5], v[28:29], v[109:110]
	s_waitcnt vmcnt(48) lgkmcnt(0)
	v_mul_f64 v[103:104], v[10:11], v[30:31]
	v_mul_f64 v[30:31], v[12:13], v[30:31]
	v_add_f64 v[18:19], v[95:96], v[18:19]
	v_add_f64 v[14:15], v[14:15], v[24:25]
	s_clause 0x3
	buffer_load_dword v24, off, s[0:3], 0 offset:576
	buffer_load_dword v25, off, s[0:3], 0 offset:580
	;; [unrolled: 1-line block ×4, first 2 shown]
	s_waitcnt vmcnt(50)
	v_fma_f64 v[26:27], v[6:7], v[32:33], -v[26:27]
	ds_read_b128 v[2:5], v1 offset:1520
	v_fma_f64 v[16:17], v[8:9], v[32:33], v[16:17]
	ds_read_b128 v[6:9], v1 offset:1536
	s_waitcnt vmcnt(46)
	v_fma_f64 v[30:31], v[10:11], v[36:37], -v[30:31]
	v_add_f64 v[18:19], v[18:19], v[22:23]
	v_add_f64 v[14:15], v[14:15], v[28:29]
	s_waitcnt lgkmcnt(1)
	v_mul_f64 v[28:29], v[4:5], v[34:35]
	v_mul_f64 v[22:23], v[2:3], v[34:35]
	s_waitcnt vmcnt(44) lgkmcnt(0)
	v_mul_f64 v[32:33], v[8:9], v[38:39]
	v_add_f64 v[18:19], v[18:19], v[26:27]
	v_fma_f64 v[26:27], v[12:13], v[36:37], v[103:104]
	v_add_f64 v[14:15], v[14:15], v[16:17]
	s_waitcnt vmcnt(42)
	v_fma_f64 v[28:29], v[2:3], v[40:41], -v[28:29]
	ds_read_b128 v[10:13], v1 offset:1552
	v_mul_f64 v[16:17], v[6:7], v[38:39]
	v_fma_f64 v[22:23], v[4:5], v[40:41], v[22:23]
	ds_read_b128 v[2:5], v1 offset:1568
	s_waitcnt vmcnt(38)
	v_fma_f64 v[32:33], v[6:7], v[50:51], -v[32:33]
	v_add_f64 v[18:19], v[18:19], v[30:31]
	v_add_f64 v[14:15], v[14:15], v[26:27]
	s_waitcnt lgkmcnt(1)
	v_mul_f64 v[30:31], v[12:13], v[48:49]
	v_mul_f64 v[26:27], v[10:11], v[48:49]
	v_fma_f64 v[16:17], v[8:9], v[50:51], v[16:17]
	ds_read_b128 v[6:9], v1 offset:1584
	v_add_f64 v[18:19], v[18:19], v[28:29]
	s_waitcnt vmcnt(36) lgkmcnt(1)
	v_mul_f64 v[28:29], v[4:5], v[65:66]
	v_add_f64 v[14:15], v[14:15], v[22:23]
	s_waitcnt vmcnt(34)
	v_fma_f64 v[30:31], v[10:11], v[67:68], -v[30:31]
	v_mul_f64 v[22:23], v[2:3], v[65:66]
	v_fma_f64 v[26:27], v[12:13], v[67:68], v[26:27]
	ds_read_b128 v[10:13], v1 offset:1600
	v_add_f64 v[18:19], v[18:19], v[32:33]
	s_waitcnt vmcnt(32) lgkmcnt(1)
	v_mul_f64 v[32:33], v[8:9], v[75:76]
	v_add_f64 v[14:15], v[14:15], v[16:17]
	s_waitcnt vmcnt(30)
	v_fma_f64 v[28:29], v[2:3], v[77:78], -v[28:29]
	;; [unrolled: 9-line block ×7, first 2 shown]
	v_mul_f64 v[22:23], v[2:3], v[99:100]
	v_fma_f64 v[12:13], v[12:13], v[101:102], v[26:27]
	v_add_f64 v[18:19], v[18:19], v[32:33]
	v_add_f64 v[14:15], v[14:15], v[16:17]
	s_waitcnt vmcnt(8) lgkmcnt(0)
	v_mul_f64 v[26:27], v[8:9], v[97:98]
	v_mul_f64 v[16:17], v[6:7], v[97:98]
	s_waitcnt vmcnt(6)
	v_fma_f64 v[2:3], v[2:3], v[105:106], -v[28:29]
	v_fma_f64 v[4:5], v[4:5], v[105:106], v[22:23]
	v_add_f64 v[10:11], v[18:19], v[10:11]
	v_add_f64 v[12:13], v[14:15], v[12:13]
	s_waitcnt vmcnt(4)
	v_fma_f64 v[6:7], v[6:7], v[20:21], -v[26:27]
	v_fma_f64 v[8:9], v[8:9], v[20:21], v[16:17]
	v_add_f64 v[2:3], v[10:11], v[2:3]
	v_add_f64 v[4:5], v[12:13], v[4:5]
	;; [unrolled: 1-line block ×4, first 2 shown]
	s_waitcnt vmcnt(2)
	v_add_f64 v[2:3], v[24:25], -v[2:3]
	s_waitcnt vmcnt(0)
	v_add_f64 v[4:5], v[95:96], -v[4:5]
	buffer_store_dword v3, off, s[0:3], 0 offset:580
	buffer_store_dword v2, off, s[0:3], 0 offset:576
	;; [unrolled: 1-line block ×4, first 2 shown]
	v_cmpx_lt_u32_e32 34, v0
	s_cbranch_execz .LBB52_263
; %bb.262:
	v_mov_b32_e32 v5, s30
	s_clause 0x3
	buffer_load_dword v2, v5, s[0:3], 0 offen
	buffer_load_dword v3, v5, s[0:3], 0 offen offset:4
	buffer_load_dword v4, v5, s[0:3], 0 offen offset:8
	;; [unrolled: 1-line block ×3, first 2 shown]
	buffer_store_dword v1, off, s[0:3], 0 offset:560
	buffer_store_dword v1, off, s[0:3], 0 offset:564
	;; [unrolled: 1-line block ×4, first 2 shown]
	s_waitcnt vmcnt(0)
	ds_write_b128 v43, v[2:5]
.LBB52_263:
	s_or_b32 exec_lo, exec_lo, s4
	s_waitcnt lgkmcnt(0)
	s_waitcnt_vscnt null, 0x0
	s_barrier
	buffer_gl0_inv
	s_clause 0x37
	buffer_load_dword v10, off, s[0:3], 0 offset:584
	buffer_load_dword v11, off, s[0:3], 0 offset:588
	;; [unrolled: 1-line block ×56, first 2 shown]
	ds_read_b128 v[2:5], v1 offset:1408
	s_clause 0x2
	buffer_load_dword v92, off, s[0:3], 0 offset:812
	buffer_load_dword v96, off, s[0:3], 0 offset:788
	;; [unrolled: 1-line block ×3, first 2 shown]
	ds_read_b128 v[6:9], v1 offset:1424
	s_clause 0x4
	buffer_load_dword v102, off, s[0:3], 0 offset:828
	buffer_load_dword v103, off, s[0:3], 0 offset:840
	;; [unrolled: 1-line block ×5, first 2 shown]
	s_mov_b32 s4, exec_lo
	s_waitcnt vmcnt(62) lgkmcnt(1)
	v_mul_f64 v[97:98], v[4:5], v[10:11]
	v_mul_f64 v[99:100], v[2:3], v[10:11]
	s_waitcnt vmcnt(60) lgkmcnt(0)
	v_mul_f64 v[106:107], v[8:9], v[14:15]
	ds_read_b128 v[10:13], v1 offset:1440
	v_mul_f64 v[14:15], v[6:7], v[14:15]
	s_waitcnt vmcnt(58)
	v_fma_f64 v[97:98], v[2:3], v[16:17], -v[97:98]
	v_fma_f64 v[16:17], v[4:5], v[16:17], v[99:100]
	s_clause 0x2
	buffer_load_dword v104, off, s[0:3], 0 offset:844
	buffer_load_dword v100, off, s[0:3], 0 offset:820
	;; [unrolled: 1-line block ×3, first 2 shown]
	s_waitcnt vmcnt(59) lgkmcnt(0)
	v_mul_f64 v[108:109], v[10:11], v[18:19]
	v_mul_f64 v[18:19], v[12:13], v[18:19]
	s_waitcnt vmcnt(57)
	v_fma_f64 v[110:111], v[6:7], v[20:21], -v[106:107]
	ds_read_b128 v[2:5], v1 offset:1456
	v_fma_f64 v[14:15], v[8:9], v[20:21], v[14:15]
	s_clause 0x2
	buffer_load_dword v21, off, s[0:3], 0 offset:860
	buffer_load_dword v20, off, s[0:3], 0 offset:856
	;; [unrolled: 1-line block ×3, first 2 shown]
	ds_read_b128 v[6:9], v1 offset:1472
	v_add_f64 v[97:98], v[97:98], 0
	v_add_f64 v[16:17], v[16:17], 0
	s_waitcnt vmcnt(56) lgkmcnt(1)
	v_mul_f64 v[112:113], v[2:3], v[22:23]
	v_mul_f64 v[22:23], v[4:5], v[22:23]
	s_waitcnt vmcnt(54)
	v_fma_f64 v[18:19], v[10:11], v[28:29], -v[18:19]
	v_fma_f64 v[28:29], v[12:13], v[28:29], v[108:109]
	s_waitcnt vmcnt(53) lgkmcnt(0)
	v_mul_f64 v[107:108], v[6:7], v[24:25]
	v_mul_f64 v[24:25], v[8:9], v[24:25]
	v_add_f64 v[97:98], v[97:98], v[110:111]
	v_add_f64 v[14:15], v[16:17], v[14:15]
	s_clause 0x1
	buffer_load_dword v17, off, s[0:3], 0 offset:852
	buffer_load_dword v16, off, s[0:3], 0 offset:848
	ds_read_b128 v[10:13], v1 offset:1488
	s_waitcnt vmcnt(53)
	v_fma_f64 v[22:23], v[2:3], v[30:31], -v[22:23]
	v_fma_f64 v[30:31], v[4:5], v[30:31], v[112:113]
	ds_read_b128 v[2:5], v1 offset:1504
	s_waitcnt vmcnt(48)
	v_fma_f64 v[24:25], v[6:7], v[26:27], -v[24:25]
	v_add_f64 v[18:19], v[97:98], v[18:19]
	v_add_f64 v[14:15], v[14:15], v[28:29]
	s_waitcnt lgkmcnt(1)
	v_mul_f64 v[28:29], v[10:11], v[32:33]
	v_mul_f64 v[32:33], v[12:13], v[32:33]
	s_waitcnt vmcnt(47) lgkmcnt(0)
	v_mul_f64 v[97:98], v[2:3], v[34:35]
	v_mul_f64 v[34:35], v[4:5], v[34:35]
	v_add_f64 v[18:19], v[18:19], v[22:23]
	v_fma_f64 v[22:23], v[8:9], v[26:27], v[107:108]
	v_add_f64 v[14:15], v[14:15], v[30:31]
	s_clause 0x3
	buffer_load_dword v26, off, s[0:3], 0 offset:560
	buffer_load_dword v27, off, s[0:3], 0 offset:564
	;; [unrolled: 1-line block ×4, first 2 shown]
	s_waitcnt vmcnt(49)
	v_fma_f64 v[32:33], v[10:11], v[38:39], -v[32:33]
	ds_read_b128 v[6:9], v1 offset:1520
	s_waitcnt vmcnt(44)
	v_fma_f64 v[34:35], v[2:3], v[36:37], -v[34:35]
	v_add_f64 v[18:19], v[18:19], v[24:25]
	v_fma_f64 v[24:25], v[12:13], v[38:39], v[28:29]
	v_add_f64 v[14:15], v[14:15], v[22:23]
	ds_read_b128 v[10:13], v1 offset:1536
	s_waitcnt lgkmcnt(1)
	v_mul_f64 v[28:29], v[8:9], v[40:41]
	v_mul_f64 v[22:23], v[6:7], v[40:41]
	v_add_f64 v[18:19], v[18:19], v[32:33]
	v_fma_f64 v[32:33], v[4:5], v[36:37], v[97:98]
	v_add_f64 v[14:15], v[14:15], v[24:25]
	s_waitcnt vmcnt(43) lgkmcnt(0)
	v_mul_f64 v[36:37], v[12:13], v[48:49]
	s_waitcnt vmcnt(41)
	v_fma_f64 v[28:29], v[6:7], v[65:66], -v[28:29]
	ds_read_b128 v[2:5], v1 offset:1552
	v_mul_f64 v[24:25], v[10:11], v[48:49]
	v_fma_f64 v[22:23], v[8:9], v[65:66], v[22:23]
	ds_read_b128 v[6:9], v1 offset:1568
	v_add_f64 v[18:19], v[18:19], v[34:35]
	v_add_f64 v[14:15], v[14:15], v[32:33]
	s_waitcnt vmcnt(37) lgkmcnt(1)
	v_mul_f64 v[34:35], v[4:5], v[67:68]
	s_waitcnt vmcnt(36)
	v_fma_f64 v[36:37], v[10:11], v[50:51], -v[36:37]
	v_mul_f64 v[32:33], v[2:3], v[67:68]
	v_fma_f64 v[24:25], v[12:13], v[50:51], v[24:25]
	ds_read_b128 v[10:13], v1 offset:1584
	v_add_f64 v[18:19], v[18:19], v[28:29]
	s_waitcnt vmcnt(35) lgkmcnt(1)
	v_mul_f64 v[28:29], v[8:9], v[75:76]
	v_add_f64 v[14:15], v[14:15], v[22:23]
	s_waitcnt vmcnt(33)
	v_fma_f64 v[34:35], v[2:3], v[79:80], -v[34:35]
	v_mul_f64 v[22:23], v[6:7], v[75:76]
	v_fma_f64 v[32:33], v[4:5], v[79:80], v[32:33]
	ds_read_b128 v[2:5], v1 offset:1600
	v_add_f64 v[18:19], v[18:19], v[36:37]
	s_waitcnt vmcnt(29) lgkmcnt(1)
	v_mul_f64 v[36:37], v[12:13], v[81:82]
	v_add_f64 v[14:15], v[14:15], v[24:25]
	;; [unrolled: 9-line block ×6, first 2 shown]
	s_waitcnt vmcnt(12)
	v_fma_f64 v[36:37], v[10:11], v[93:94], -v[36:37]
	v_mul_f64 v[32:33], v[2:3], v[101:102]
	v_fma_f64 v[24:25], v[12:13], v[93:94], v[24:25]
	ds_read_b128 v[10:13], v1 offset:1680
	v_add_f64 v[18:19], v[18:19], v[28:29]
	v_add_f64 v[14:15], v[14:15], v[22:23]
	s_waitcnt vmcnt(11) lgkmcnt(1)
	v_mul_f64 v[28:29], v[8:9], v[103:104]
	v_mul_f64 v[22:23], v[6:7], v[103:104]
	s_waitcnt vmcnt(9)
	v_fma_f64 v[1:2], v[2:3], v[99:100], -v[34:35]
	v_fma_f64 v[3:4], v[4:5], v[99:100], v[32:33]
	v_add_f64 v[18:19], v[18:19], v[36:37]
	v_add_f64 v[14:15], v[14:15], v[24:25]
	s_waitcnt vmcnt(7) lgkmcnt(0)
	v_mul_f64 v[24:25], v[10:11], v[20:21]
	v_mul_f64 v[20:21], v[12:13], v[20:21]
	s_waitcnt vmcnt(6)
	v_fma_f64 v[5:6], v[6:7], v[105:106], -v[28:29]
	v_fma_f64 v[7:8], v[8:9], v[105:106], v[22:23]
	v_add_f64 v[1:2], v[18:19], v[1:2]
	v_add_f64 v[3:4], v[14:15], v[3:4]
	s_waitcnt vmcnt(4)
	v_fma_f64 v[9:10], v[10:11], v[16:17], -v[20:21]
	v_add_f64 v[1:2], v[1:2], v[5:6]
	v_fma_f64 v[5:6], v[12:13], v[16:17], v[24:25]
	v_add_f64 v[3:4], v[3:4], v[7:8]
	v_add_f64 v[1:2], v[1:2], v[9:10]
	;; [unrolled: 1-line block ×3, first 2 shown]
	s_waitcnt vmcnt(2)
	v_add_f64 v[1:2], v[26:27], -v[1:2]
	s_waitcnt vmcnt(0)
	v_add_f64 v[3:4], v[30:31], -v[3:4]
	buffer_store_dword v2, off, s[0:3], 0 offset:564
	buffer_store_dword v1, off, s[0:3], 0 offset:560
	;; [unrolled: 1-line block ×4, first 2 shown]
	v_cmpx_lt_u32_e32 33, v0
	s_cbranch_execz .LBB52_265
; %bb.264:
	v_mov_b32_e32 v4, s31
	v_mov_b32_e32 v5, 0
	s_clause 0x3
	buffer_load_dword v1, v4, s[0:3], 0 offen
	buffer_load_dword v2, v4, s[0:3], 0 offen offset:4
	buffer_load_dword v3, v4, s[0:3], 0 offen offset:8
	;; [unrolled: 1-line block ×3, first 2 shown]
	buffer_store_dword v5, off, s[0:3], 0 offset:544
	buffer_store_dword v5, off, s[0:3], 0 offset:548
	;; [unrolled: 1-line block ×4, first 2 shown]
	s_waitcnt vmcnt(0)
	ds_write_b128 v43, v[1:4]
.LBB52_265:
	s_or_b32 exec_lo, exec_lo, s4
	s_waitcnt lgkmcnt(0)
	s_waitcnt_vscnt null, 0x0
	s_barrier
	buffer_gl0_inv
	s_clause 0x37
	buffer_load_dword v10, off, s[0:3], 0 offset:568
	buffer_load_dword v11, off, s[0:3], 0 offset:572
	;; [unrolled: 1-line block ×56, first 2 shown]
	v_mov_b32_e32 v1, 0
	s_mov_b32 s4, exec_lo
	ds_read_b128 v[2:5], v1 offset:1392
	s_clause 0x2
	buffer_load_dword v92, off, s[0:3], 0 offset:796
	buffer_load_dword v96, off, s[0:3], 0 offset:772
	;; [unrolled: 1-line block ×3, first 2 shown]
	ds_read_b128 v[6:9], v1 offset:1408
	s_clause 0x4
	buffer_load_dword v102, off, s[0:3], 0 offset:812
	buffer_load_dword v103, off, s[0:3], 0 offset:824
	;; [unrolled: 1-line block ×5, first 2 shown]
	s_waitcnt vmcnt(62) lgkmcnt(1)
	v_mul_f64 v[97:98], v[4:5], v[10:11]
	v_mul_f64 v[99:100], v[2:3], v[10:11]
	s_waitcnt vmcnt(60) lgkmcnt(0)
	v_mul_f64 v[106:107], v[8:9], v[14:15]
	ds_read_b128 v[10:13], v1 offset:1424
	v_mul_f64 v[14:15], v[6:7], v[14:15]
	s_waitcnt vmcnt(58)
	v_fma_f64 v[97:98], v[2:3], v[16:17], -v[97:98]
	v_fma_f64 v[16:17], v[4:5], v[16:17], v[99:100]
	s_clause 0x2
	buffer_load_dword v104, off, s[0:3], 0 offset:828
	buffer_load_dword v100, off, s[0:3], 0 offset:804
	;; [unrolled: 1-line block ×3, first 2 shown]
	s_waitcnt vmcnt(59) lgkmcnt(0)
	v_mul_f64 v[108:109], v[10:11], v[18:19]
	v_mul_f64 v[18:19], v[12:13], v[18:19]
	s_waitcnt vmcnt(57)
	v_fma_f64 v[110:111], v[6:7], v[20:21], -v[106:107]
	ds_read_b128 v[2:5], v1 offset:1440
	v_fma_f64 v[14:15], v[8:9], v[20:21], v[14:15]
	s_clause 0x4
	buffer_load_dword v21, off, s[0:3], 0 offset:844
	buffer_load_dword v107, off, s[0:3], 0 offset:856
	;; [unrolled: 1-line block ×5, first 2 shown]
	ds_read_b128 v[6:9], v1 offset:1456
	v_add_f64 v[97:98], v[97:98], 0
	v_add_f64 v[16:17], v[16:17], 0
	s_waitcnt vmcnt(58) lgkmcnt(1)
	v_mul_f64 v[113:114], v[2:3], v[22:23]
	v_mul_f64 v[22:23], v[4:5], v[22:23]
	s_waitcnt vmcnt(56)
	v_fma_f64 v[18:19], v[10:11], v[28:29], -v[18:19]
	v_fma_f64 v[28:29], v[12:13], v[28:29], v[108:109]
	v_add_f64 v[97:98], v[97:98], v[110:111]
	v_add_f64 v[14:15], v[16:17], v[14:15]
	s_clause 0x2
	buffer_load_dword v108, off, s[0:3], 0 offset:860
	buffer_load_dword v17, off, s[0:3], 0 offset:836
	;; [unrolled: 1-line block ×3, first 2 shown]
	s_waitcnt vmcnt(58) lgkmcnt(0)
	v_mul_f64 v[109:110], v[6:7], v[24:25]
	v_mul_f64 v[24:25], v[8:9], v[24:25]
	s_waitcnt vmcnt(56)
	v_fma_f64 v[22:23], v[2:3], v[30:31], -v[22:23]
	ds_read_b128 v[10:13], v1 offset:1472
	v_fma_f64 v[30:31], v[4:5], v[30:31], v[113:114]
	buffer_load_dword v113, off, s[0:3], 0 offset:852
	ds_read_b128 v[2:5], v1 offset:1488
	v_add_f64 v[18:19], v[97:98], v[18:19]
	v_add_f64 v[14:15], v[14:15], v[28:29]
	s_waitcnt vmcnt(53) lgkmcnt(1)
	v_mul_f64 v[28:29], v[10:11], v[32:33]
	v_mul_f64 v[32:33], v[12:13], v[32:33]
	s_waitcnt vmcnt(52)
	v_fma_f64 v[24:25], v[6:7], v[26:27], -v[24:25]
	v_add_f64 v[18:19], v[18:19], v[22:23]
	v_fma_f64 v[22:23], v[8:9], v[26:27], v[109:110]
	v_add_f64 v[14:15], v[14:15], v[30:31]
	s_waitcnt vmcnt(51) lgkmcnt(0)
	v_mul_f64 v[30:31], v[4:5], v[34:35]
	ds_read_b128 v[6:9], v1 offset:1504
	s_waitcnt vmcnt(49)
	v_fma_f64 v[32:33], v[10:11], v[38:39], -v[32:33]
	v_mul_f64 v[26:27], v[2:3], v[34:35]
	v_add_f64 v[18:19], v[18:19], v[24:25]
	v_fma_f64 v[24:25], v[12:13], v[38:39], v[28:29]
	v_add_f64 v[14:15], v[14:15], v[22:23]
	s_clause 0x3
	buffer_load_dword v22, off, s[0:3], 0 offset:544
	buffer_load_dword v23, off, s[0:3], 0 offset:548
	;; [unrolled: 1-line block ×4, first 2 shown]
	s_waitcnt vmcnt(49) lgkmcnt(0)
	v_mul_f64 v[38:39], v[8:9], v[40:41]
	s_waitcnt vmcnt(48)
	v_fma_f64 v[30:31], v[2:3], v[36:37], -v[30:31]
	ds_read_b128 v[10:13], v1 offset:1520
	v_mul_f64 v[34:35], v[6:7], v[40:41]
	v_fma_f64 v[26:27], v[4:5], v[36:37], v[26:27]
	ds_read_b128 v[2:5], v1 offset:1536
	v_add_f64 v[18:19], v[18:19], v[32:33]
	v_add_f64 v[14:15], v[14:15], v[24:25]
	s_waitcnt vmcnt(47) lgkmcnt(1)
	v_mul_f64 v[32:33], v[12:13], v[48:49]
	s_waitcnt vmcnt(45)
	v_fma_f64 v[36:37], v[6:7], v[65:66], -v[38:39]
	v_mul_f64 v[24:25], v[10:11], v[48:49]
	v_add_f64 v[18:19], v[18:19], v[30:31]
	v_fma_f64 v[30:31], v[8:9], v[65:66], v[34:35]
	v_add_f64 v[14:15], v[14:15], v[26:27]
	s_waitcnt vmcnt(41) lgkmcnt(0)
	v_mul_f64 v[34:35], v[4:5], v[67:68]
	s_waitcnt vmcnt(40)
	v_fma_f64 v[32:33], v[10:11], v[50:51], -v[32:33]
	ds_read_b128 v[6:9], v1 offset:1552
	v_mul_f64 v[26:27], v[2:3], v[67:68]
	v_fma_f64 v[24:25], v[12:13], v[50:51], v[24:25]
	ds_read_b128 v[10:13], v1 offset:1568
	v_add_f64 v[18:19], v[18:19], v[36:37]
	v_add_f64 v[14:15], v[14:15], v[30:31]
	s_waitcnt vmcnt(39) lgkmcnt(1)
	v_mul_f64 v[36:37], v[8:9], v[75:76]
	s_waitcnt vmcnt(37)
	v_fma_f64 v[34:35], v[2:3], v[79:80], -v[34:35]
	v_mul_f64 v[30:31], v[6:7], v[75:76]
	v_fma_f64 v[26:27], v[4:5], v[79:80], v[26:27]
	ds_read_b128 v[2:5], v1 offset:1584
	v_add_f64 v[18:19], v[18:19], v[32:33]
	s_waitcnt vmcnt(33) lgkmcnt(1)
	v_mul_f64 v[32:33], v[12:13], v[81:82]
	v_add_f64 v[14:15], v[14:15], v[24:25]
	s_waitcnt vmcnt(32)
	v_fma_f64 v[36:37], v[6:7], v[77:78], -v[36:37]
	v_mul_f64 v[24:25], v[10:11], v[81:82]
	v_fma_f64 v[30:31], v[8:9], v[77:78], v[30:31]
	ds_read_b128 v[6:9], v1 offset:1600
	v_add_f64 v[18:19], v[18:19], v[34:35]
	s_waitcnt vmcnt(31) lgkmcnt(1)
	v_mul_f64 v[34:35], v[4:5], v[83:84]
	v_add_f64 v[14:15], v[14:15], v[26:27]
	;; [unrolled: 9-line block ×5, first 2 shown]
	s_waitcnt vmcnt(16)
	v_fma_f64 v[32:33], v[10:11], v[93:94], -v[32:33]
	v_mul_f64 v[26:27], v[2:3], v[101:102]
	v_fma_f64 v[24:25], v[12:13], v[93:94], v[24:25]
	ds_read_b128 v[10:13], v1 offset:1664
	v_add_f64 v[18:19], v[18:19], v[36:37]
	v_add_f64 v[14:15], v[14:15], v[30:31]
	s_waitcnt vmcnt(15) lgkmcnt(1)
	v_mul_f64 v[36:37], v[8:9], v[103:104]
	v_mul_f64 v[30:31], v[6:7], v[103:104]
	s_waitcnt vmcnt(13)
	v_fma_f64 v[34:35], v[2:3], v[99:100], -v[34:35]
	v_fma_f64 v[26:27], v[4:5], v[99:100], v[26:27]
	ds_read_b128 v[2:5], v1 offset:1680
	v_add_f64 v[18:19], v[18:19], v[32:33]
	v_add_f64 v[14:15], v[14:15], v[24:25]
	s_waitcnt vmcnt(9) lgkmcnt(1)
	v_mul_f64 v[24:25], v[10:11], v[20:21]
	v_mul_f64 v[20:21], v[12:13], v[20:21]
	s_waitcnt vmcnt(8)
	v_fma_f64 v[6:7], v[6:7], v[105:106], -v[36:37]
	v_fma_f64 v[8:9], v[8:9], v[105:106], v[30:31]
	v_add_f64 v[18:19], v[18:19], v[34:35]
	v_add_f64 v[14:15], v[14:15], v[26:27]
	s_waitcnt vmcnt(7) lgkmcnt(0)
	v_mul_f64 v[30:31], v[4:5], v[107:108]
	v_mul_f64 v[26:27], v[2:3], v[107:108]
	s_waitcnt vmcnt(5)
	v_fma_f64 v[10:11], v[10:11], v[16:17], -v[20:21]
	v_fma_f64 v[12:13], v[12:13], v[16:17], v[24:25]
	v_add_f64 v[6:7], v[18:19], v[6:7]
	v_add_f64 v[8:9], v[14:15], v[8:9]
	s_waitcnt vmcnt(4)
	v_fma_f64 v[2:3], v[2:3], v[112:113], -v[30:31]
	v_fma_f64 v[4:5], v[4:5], v[112:113], v[26:27]
	v_add_f64 v[6:7], v[6:7], v[10:11]
	v_add_f64 v[8:9], v[8:9], v[12:13]
	;; [unrolled: 1-line block ×4, first 2 shown]
	s_waitcnt vmcnt(2)
	v_add_f64 v[2:3], v[22:23], -v[2:3]
	s_waitcnt vmcnt(0)
	v_add_f64 v[4:5], v[28:29], -v[4:5]
	buffer_store_dword v3, off, s[0:3], 0 offset:548
	buffer_store_dword v2, off, s[0:3], 0 offset:544
	;; [unrolled: 1-line block ×4, first 2 shown]
	v_cmpx_lt_u32_e32 32, v0
	s_cbranch_execz .LBB52_267
; %bb.266:
	v_mov_b32_e32 v5, s33
	s_clause 0x3
	buffer_load_dword v2, v5, s[0:3], 0 offen
	buffer_load_dword v3, v5, s[0:3], 0 offen offset:4
	buffer_load_dword v4, v5, s[0:3], 0 offen offset:8
	;; [unrolled: 1-line block ×3, first 2 shown]
	buffer_store_dword v1, off, s[0:3], 0 offset:528
	buffer_store_dword v1, off, s[0:3], 0 offset:532
	;; [unrolled: 1-line block ×4, first 2 shown]
	s_waitcnt vmcnt(0)
	ds_write_b128 v43, v[2:5]
.LBB52_267:
	s_or_b32 exec_lo, exec_lo, s4
	s_waitcnt lgkmcnt(0)
	s_waitcnt_vscnt null, 0x0
	s_barrier
	buffer_gl0_inv
	s_clause 0x37
	buffer_load_dword v10, off, s[0:3], 0 offset:552
	buffer_load_dword v11, off, s[0:3], 0 offset:556
	;; [unrolled: 1-line block ×56, first 2 shown]
	ds_read_b128 v[2:5], v1 offset:1376
	s_clause 0x2
	buffer_load_dword v92, off, s[0:3], 0 offset:780
	buffer_load_dword v96, off, s[0:3], 0 offset:756
	;; [unrolled: 1-line block ×3, first 2 shown]
	ds_read_b128 v[6:9], v1 offset:1392
	s_clause 0x4
	buffer_load_dword v102, off, s[0:3], 0 offset:796
	buffer_load_dword v103, off, s[0:3], 0 offset:808
	;; [unrolled: 1-line block ×5, first 2 shown]
	s_mov_b32 s4, exec_lo
	s_waitcnt vmcnt(62) lgkmcnt(1)
	v_mul_f64 v[97:98], v[4:5], v[10:11]
	v_mul_f64 v[99:100], v[2:3], v[10:11]
	s_waitcnt vmcnt(60) lgkmcnt(0)
	v_mul_f64 v[106:107], v[8:9], v[14:15]
	ds_read_b128 v[10:13], v1 offset:1408
	v_mul_f64 v[14:15], v[6:7], v[14:15]
	s_waitcnt vmcnt(58)
	v_fma_f64 v[97:98], v[2:3], v[16:17], -v[97:98]
	v_fma_f64 v[16:17], v[4:5], v[16:17], v[99:100]
	s_clause 0x2
	buffer_load_dword v104, off, s[0:3], 0 offset:812
	buffer_load_dword v100, off, s[0:3], 0 offset:788
	;; [unrolled: 1-line block ×3, first 2 shown]
	s_waitcnt vmcnt(59) lgkmcnt(0)
	v_mul_f64 v[108:109], v[10:11], v[18:19]
	v_mul_f64 v[18:19], v[12:13], v[18:19]
	s_waitcnt vmcnt(57)
	v_fma_f64 v[110:111], v[6:7], v[20:21], -v[106:107]
	ds_read_b128 v[2:5], v1 offset:1424
	v_fma_f64 v[14:15], v[8:9], v[20:21], v[14:15]
	s_clause 0x4
	buffer_load_dword v21, off, s[0:3], 0 offset:828
	buffer_load_dword v107, off, s[0:3], 0 offset:840
	;; [unrolled: 1-line block ×5, first 2 shown]
	ds_read_b128 v[6:9], v1 offset:1440
	v_add_f64 v[97:98], v[97:98], 0
	v_add_f64 v[16:17], v[16:17], 0
	s_waitcnt vmcnt(58) lgkmcnt(1)
	v_mul_f64 v[113:114], v[2:3], v[22:23]
	v_mul_f64 v[22:23], v[4:5], v[22:23]
	s_waitcnt vmcnt(56)
	v_fma_f64 v[18:19], v[10:11], v[28:29], -v[18:19]
	v_fma_f64 v[28:29], v[12:13], v[28:29], v[108:109]
	v_add_f64 v[97:98], v[97:98], v[110:111]
	v_add_f64 v[14:15], v[16:17], v[14:15]
	s_clause 0x2
	buffer_load_dword v108, off, s[0:3], 0 offset:844
	buffer_load_dword v17, off, s[0:3], 0 offset:820
	;; [unrolled: 1-line block ×3, first 2 shown]
	s_waitcnt vmcnt(58) lgkmcnt(0)
	v_mul_f64 v[109:110], v[6:7], v[24:25]
	v_mul_f64 v[24:25], v[8:9], v[24:25]
	s_waitcnt vmcnt(56)
	v_fma_f64 v[22:23], v[2:3], v[30:31], -v[22:23]
	ds_read_b128 v[10:13], v1 offset:1456
	v_fma_f64 v[30:31], v[4:5], v[30:31], v[113:114]
	v_add_f64 v[18:19], v[97:98], v[18:19]
	v_add_f64 v[14:15], v[14:15], v[28:29]
	s_clause 0x2
	buffer_load_dword v29, off, s[0:3], 0 offset:860
	buffer_load_dword v28, off, s[0:3], 0 offset:856
	;; [unrolled: 1-line block ×3, first 2 shown]
	ds_read_b128 v[2:5], v1 offset:1472
	s_waitcnt vmcnt(55) lgkmcnt(1)
	v_mul_f64 v[97:98], v[10:11], v[32:33]
	v_mul_f64 v[32:33], v[12:13], v[32:33]
	s_waitcnt vmcnt(54)
	v_fma_f64 v[24:25], v[6:7], v[26:27], -v[24:25]
	v_add_f64 v[18:19], v[18:19], v[22:23]
	v_fma_f64 v[22:23], v[8:9], v[26:27], v[109:110]
	v_add_f64 v[14:15], v[14:15], v[30:31]
	s_clause 0x1
	buffer_load_dword v27, off, s[0:3], 0 offset:852
	buffer_load_dword v26, off, s[0:3], 0 offset:848
	s_waitcnt vmcnt(55) lgkmcnt(0)
	v_mul_f64 v[30:31], v[2:3], v[34:35]
	v_mul_f64 v[34:35], v[4:5], v[34:35]
	s_waitcnt vmcnt(53)
	v_fma_f64 v[32:33], v[10:11], v[38:39], -v[32:33]
	ds_read_b128 v[6:9], v1 offset:1488
	v_add_f64 v[18:19], v[18:19], v[24:25]
	v_fma_f64 v[24:25], v[12:13], v[38:39], v[97:98]
	v_add_f64 v[14:15], v[14:15], v[22:23]
	ds_read_b128 v[10:13], v1 offset:1504
	s_waitcnt vmcnt(48)
	v_fma_f64 v[30:31], v[4:5], v[36:37], v[30:31]
	s_waitcnt lgkmcnt(1)
	v_mul_f64 v[38:39], v[8:9], v[40:41]
	v_fma_f64 v[34:35], v[2:3], v[36:37], -v[34:35]
	v_mul_f64 v[22:23], v[6:7], v[40:41]
	v_add_f64 v[18:19], v[18:19], v[32:33]
	s_waitcnt vmcnt(47) lgkmcnt(0)
	v_mul_f64 v[40:41], v[12:13], v[48:49]
	v_add_f64 v[14:15], v[14:15], v[24:25]
	s_clause 0x3
	buffer_load_dword v24, off, s[0:3], 0 offset:528
	buffer_load_dword v25, off, s[0:3], 0 offset:532
	;; [unrolled: 1-line block ×4, first 2 shown]
	ds_read_b128 v[2:5], v1 offset:1520
	s_waitcnt vmcnt(49)
	v_fma_f64 v[38:39], v[6:7], v[65:66], -v[38:39]
	v_mul_f64 v[36:37], v[10:11], v[48:49]
	v_fma_f64 v[22:23], v[8:9], v[65:66], v[22:23]
	ds_read_b128 v[6:9], v1 offset:1536
	v_add_f64 v[18:19], v[18:19], v[34:35]
	s_waitcnt vmcnt(44)
	v_fma_f64 v[40:41], v[10:11], v[50:51], -v[40:41]
	v_add_f64 v[14:15], v[14:15], v[30:31]
	s_waitcnt lgkmcnt(1)
	v_mul_f64 v[34:35], v[4:5], v[67:68]
	v_mul_f64 v[30:31], v[2:3], v[67:68]
	v_fma_f64 v[36:37], v[12:13], v[50:51], v[36:37]
	ds_read_b128 v[10:13], v1 offset:1552
	v_add_f64 v[18:19], v[18:19], v[38:39]
	s_waitcnt vmcnt(43) lgkmcnt(1)
	v_mul_f64 v[38:39], v[8:9], v[75:76]
	v_add_f64 v[14:15], v[14:15], v[22:23]
	s_waitcnt vmcnt(41)
	v_fma_f64 v[34:35], v[2:3], v[79:80], -v[34:35]
	v_mul_f64 v[22:23], v[6:7], v[75:76]
	v_fma_f64 v[30:31], v[4:5], v[79:80], v[30:31]
	ds_read_b128 v[2:5], v1 offset:1568
	v_add_f64 v[18:19], v[18:19], v[40:41]
	s_waitcnt vmcnt(37) lgkmcnt(1)
	v_mul_f64 v[40:41], v[12:13], v[81:82]
	v_add_f64 v[14:15], v[14:15], v[36:37]
	s_waitcnt vmcnt(36)
	v_fma_f64 v[38:39], v[6:7], v[77:78], -v[38:39]
	;; [unrolled: 9-line block ×6, first 2 shown]
	v_mul_f64 v[30:31], v[2:3], v[101:102]
	v_fma_f64 v[36:37], v[12:13], v[93:94], v[36:37]
	ds_read_b128 v[10:13], v1 offset:1648
	v_add_f64 v[18:19], v[18:19], v[38:39]
	v_add_f64 v[14:15], v[14:15], v[22:23]
	s_waitcnt vmcnt(19) lgkmcnt(1)
	v_mul_f64 v[38:39], v[8:9], v[103:104]
	v_mul_f64 v[22:23], v[6:7], v[103:104]
	s_waitcnt vmcnt(17)
	v_fma_f64 v[34:35], v[2:3], v[99:100], -v[34:35]
	v_fma_f64 v[30:31], v[4:5], v[99:100], v[30:31]
	ds_read_b128 v[2:5], v1 offset:1664
	v_add_f64 v[18:19], v[18:19], v[40:41]
	v_add_f64 v[14:15], v[14:15], v[36:37]
	s_waitcnt vmcnt(13) lgkmcnt(1)
	v_mul_f64 v[36:37], v[10:11], v[20:21]
	v_mul_f64 v[20:21], v[12:13], v[20:21]
	s_waitcnt vmcnt(12)
	v_fma_f64 v[38:39], v[6:7], v[105:106], -v[38:39]
	;; [unrolled: 9-line block ×3, first 2 shown]
	v_fma_f64 v[12:13], v[12:13], v[16:17], v[36:37]
	v_add_f64 v[18:19], v[18:19], v[38:39]
	v_add_f64 v[14:15], v[14:15], v[22:23]
	s_waitcnt vmcnt(7) lgkmcnt(0)
	v_mul_f64 v[20:21], v[8:9], v[28:29]
	s_waitcnt vmcnt(6)
	v_fma_f64 v[1:2], v[2:3], v[112:113], -v[34:35]
	v_mul_f64 v[16:17], v[6:7], v[28:29]
	v_fma_f64 v[3:4], v[4:5], v[112:113], v[30:31]
	v_add_f64 v[10:11], v[18:19], v[10:11]
	v_add_f64 v[12:13], v[14:15], v[12:13]
	s_waitcnt vmcnt(4)
	v_fma_f64 v[5:6], v[6:7], v[26:27], -v[20:21]
	v_fma_f64 v[7:8], v[8:9], v[26:27], v[16:17]
	v_add_f64 v[1:2], v[10:11], v[1:2]
	v_add_f64 v[3:4], v[12:13], v[3:4]
	;; [unrolled: 1-line block ×4, first 2 shown]
	s_waitcnt vmcnt(2)
	v_add_f64 v[1:2], v[24:25], -v[1:2]
	s_waitcnt vmcnt(0)
	v_add_f64 v[3:4], v[32:33], -v[3:4]
	buffer_store_dword v2, off, s[0:3], 0 offset:532
	buffer_store_dword v1, off, s[0:3], 0 offset:528
	;; [unrolled: 1-line block ×4, first 2 shown]
	v_cmpx_lt_u32_e32 31, v0
	s_cbranch_execz .LBB52_269
; %bb.268:
	v_mov_b32_e32 v4, s34
	v_mov_b32_e32 v5, 0
	s_clause 0x3
	buffer_load_dword v1, v4, s[0:3], 0 offen
	buffer_load_dword v2, v4, s[0:3], 0 offen offset:4
	buffer_load_dword v3, v4, s[0:3], 0 offen offset:8
	;; [unrolled: 1-line block ×3, first 2 shown]
	buffer_store_dword v5, off, s[0:3], 0 offset:512
	buffer_store_dword v5, off, s[0:3], 0 offset:516
	;; [unrolled: 1-line block ×4, first 2 shown]
	s_waitcnt vmcnt(0)
	ds_write_b128 v43, v[1:4]
.LBB52_269:
	s_or_b32 exec_lo, exec_lo, s4
	s_waitcnt lgkmcnt(0)
	s_waitcnt_vscnt null, 0x0
	s_barrier
	buffer_gl0_inv
	s_clause 0x37
	buffer_load_dword v10, off, s[0:3], 0 offset:536
	buffer_load_dword v11, off, s[0:3], 0 offset:540
	;; [unrolled: 1-line block ×56, first 2 shown]
	v_mov_b32_e32 v1, 0
	s_mov_b32 s4, exec_lo
	ds_read_b128 v[2:5], v1 offset:1360
	s_clause 0x2
	buffer_load_dword v92, off, s[0:3], 0 offset:764
	buffer_load_dword v96, off, s[0:3], 0 offset:740
	;; [unrolled: 1-line block ×3, first 2 shown]
	ds_read_b128 v[6:9], v1 offset:1376
	s_clause 0x4
	buffer_load_dword v102, off, s[0:3], 0 offset:780
	buffer_load_dword v103, off, s[0:3], 0 offset:792
	;; [unrolled: 1-line block ×5, first 2 shown]
	s_waitcnt vmcnt(62) lgkmcnt(1)
	v_mul_f64 v[97:98], v[4:5], v[10:11]
	v_mul_f64 v[99:100], v[2:3], v[10:11]
	s_waitcnt vmcnt(60) lgkmcnt(0)
	v_mul_f64 v[106:107], v[8:9], v[14:15]
	ds_read_b128 v[10:13], v1 offset:1392
	v_mul_f64 v[14:15], v[6:7], v[14:15]
	s_waitcnt vmcnt(58)
	v_fma_f64 v[97:98], v[2:3], v[16:17], -v[97:98]
	v_fma_f64 v[16:17], v[4:5], v[16:17], v[99:100]
	s_clause 0x2
	buffer_load_dword v104, off, s[0:3], 0 offset:796
	buffer_load_dword v100, off, s[0:3], 0 offset:772
	;; [unrolled: 1-line block ×3, first 2 shown]
	s_waitcnt vmcnt(59) lgkmcnt(0)
	v_mul_f64 v[108:109], v[10:11], v[18:19]
	v_mul_f64 v[18:19], v[12:13], v[18:19]
	s_waitcnt vmcnt(57)
	v_fma_f64 v[110:111], v[6:7], v[20:21], -v[106:107]
	ds_read_b128 v[2:5], v1 offset:1408
	v_fma_f64 v[14:15], v[8:9], v[20:21], v[14:15]
	s_clause 0x4
	buffer_load_dword v21, off, s[0:3], 0 offset:812
	buffer_load_dword v107, off, s[0:3], 0 offset:824
	;; [unrolled: 1-line block ×5, first 2 shown]
	ds_read_b128 v[6:9], v1 offset:1424
	v_add_f64 v[97:98], v[97:98], 0
	v_add_f64 v[16:17], v[16:17], 0
	s_waitcnt vmcnt(58) lgkmcnt(1)
	v_mul_f64 v[113:114], v[2:3], v[22:23]
	v_mul_f64 v[22:23], v[4:5], v[22:23]
	s_waitcnt vmcnt(56)
	v_fma_f64 v[18:19], v[10:11], v[28:29], -v[18:19]
	v_fma_f64 v[28:29], v[12:13], v[28:29], v[108:109]
	v_add_f64 v[97:98], v[97:98], v[110:111]
	v_add_f64 v[14:15], v[16:17], v[14:15]
	s_clause 0x2
	buffer_load_dword v108, off, s[0:3], 0 offset:828
	buffer_load_dword v17, off, s[0:3], 0 offset:804
	;; [unrolled: 1-line block ×3, first 2 shown]
	s_waitcnt vmcnt(58) lgkmcnt(0)
	v_mul_f64 v[109:110], v[6:7], v[24:25]
	v_mul_f64 v[24:25], v[8:9], v[24:25]
	s_waitcnt vmcnt(56)
	v_fma_f64 v[22:23], v[2:3], v[30:31], -v[22:23]
	ds_read_b128 v[10:13], v1 offset:1440
	v_fma_f64 v[30:31], v[4:5], v[30:31], v[113:114]
	v_add_f64 v[18:19], v[97:98], v[18:19]
	v_add_f64 v[14:15], v[14:15], v[28:29]
	s_clause 0x4
	buffer_load_dword v29, off, s[0:3], 0 offset:844
	buffer_load_dword v97, off, s[0:3], 0 offset:856
	;; [unrolled: 1-line block ×5, first 2 shown]
	ds_read_b128 v[2:5], v1 offset:1456
	s_waitcnt vmcnt(57) lgkmcnt(1)
	v_mul_f64 v[115:116], v[10:11], v[32:33]
	v_mul_f64 v[32:33], v[12:13], v[32:33]
	s_waitcnt vmcnt(56)
	v_fma_f64 v[24:25], v[6:7], v[26:27], -v[24:25]
	v_add_f64 v[18:19], v[18:19], v[22:23]
	v_fma_f64 v[22:23], v[8:9], v[26:27], v[109:110]
	v_add_f64 v[14:15], v[14:15], v[30:31]
	s_clause 0x2
	buffer_load_dword v98, off, s[0:3], 0 offset:860
	buffer_load_dword v27, off, s[0:3], 0 offset:836
	;; [unrolled: 1-line block ×3, first 2 shown]
	s_waitcnt vmcnt(58) lgkmcnt(0)
	v_mul_f64 v[30:31], v[2:3], v[34:35]
	v_mul_f64 v[34:35], v[4:5], v[34:35]
	s_waitcnt vmcnt(56)
	v_fma_f64 v[32:33], v[10:11], v[38:39], -v[32:33]
	ds_read_b128 v[6:9], v1 offset:1472
	v_add_f64 v[18:19], v[18:19], v[24:25]
	v_fma_f64 v[24:25], v[12:13], v[38:39], v[115:116]
	v_add_f64 v[14:15], v[14:15], v[22:23]
	buffer_load_dword v115, off, s[0:3], 0 offset:852
	ds_read_b128 v[10:13], v1 offset:1488
	s_waitcnt vmcnt(53) lgkmcnt(1)
	v_mul_f64 v[38:39], v[8:9], v[40:41]
	s_waitcnt vmcnt(52)
	v_fma_f64 v[34:35], v[2:3], v[36:37], -v[34:35]
	v_mul_f64 v[22:23], v[6:7], v[40:41]
	v_fma_f64 v[30:31], v[4:5], v[36:37], v[30:31]
	ds_read_b128 v[2:5], v1 offset:1504
	v_add_f64 v[18:19], v[18:19], v[32:33]
	v_add_f64 v[14:15], v[14:15], v[24:25]
	s_waitcnt vmcnt(51) lgkmcnt(1)
	v_mul_f64 v[32:33], v[12:13], v[48:49]
	v_mul_f64 v[24:25], v[10:11], v[48:49]
	s_waitcnt vmcnt(49)
	v_fma_f64 v[36:37], v[6:7], v[65:66], -v[38:39]
	v_fma_f64 v[22:23], v[8:9], v[65:66], v[22:23]
	s_waitcnt vmcnt(45) lgkmcnt(0)
	v_mul_f64 v[40:41], v[4:5], v[67:68]
	v_mul_f64 v[38:39], v[2:3], v[67:68]
	v_add_f64 v[18:19], v[18:19], v[34:35]
	v_add_f64 v[14:15], v[14:15], v[30:31]
	s_clause 0x3
	buffer_load_dword v30, off, s[0:3], 0 offset:512
	buffer_load_dword v31, off, s[0:3], 0 offset:516
	;; [unrolled: 1-line block ×4, first 2 shown]
	s_waitcnt vmcnt(48)
	v_fma_f64 v[32:33], v[10:11], v[50:51], -v[32:33]
	ds_read_b128 v[6:9], v1 offset:1520
	v_fma_f64 v[24:25], v[12:13], v[50:51], v[24:25]
	ds_read_b128 v[10:13], v1 offset:1536
	s_waitcnt vmcnt(45)
	v_fma_f64 v[40:41], v[2:3], v[79:80], -v[40:41]
	v_add_f64 v[18:19], v[18:19], v[36:37]
	v_add_f64 v[14:15], v[14:15], v[22:23]
	s_waitcnt lgkmcnt(1)
	v_mul_f64 v[36:37], v[8:9], v[75:76]
	v_mul_f64 v[22:23], v[6:7], v[75:76]
	v_add_f64 v[18:19], v[18:19], v[32:33]
	v_fma_f64 v[32:33], v[4:5], v[79:80], v[38:39]
	v_add_f64 v[14:15], v[14:15], v[24:25]
	s_waitcnt vmcnt(41) lgkmcnt(0)
	v_mul_f64 v[38:39], v[12:13], v[81:82]
	s_waitcnt vmcnt(40)
	v_fma_f64 v[36:37], v[6:7], v[77:78], -v[36:37]
	ds_read_b128 v[2:5], v1 offset:1552
	v_mul_f64 v[24:25], v[10:11], v[81:82]
	v_fma_f64 v[22:23], v[8:9], v[77:78], v[22:23]
	ds_read_b128 v[6:9], v1 offset:1568
	v_add_f64 v[18:19], v[18:19], v[40:41]
	v_add_f64 v[14:15], v[14:15], v[32:33]
	s_waitcnt vmcnt(39) lgkmcnt(1)
	v_mul_f64 v[40:41], v[4:5], v[83:84]
	s_waitcnt vmcnt(37)
	v_fma_f64 v[38:39], v[10:11], v[87:88], -v[38:39]
	v_mul_f64 v[32:33], v[2:3], v[83:84]
	v_fma_f64 v[24:25], v[12:13], v[87:88], v[24:25]
	ds_read_b128 v[10:13], v1 offset:1584
	v_add_f64 v[18:19], v[18:19], v[36:37]
	s_waitcnt vmcnt(33) lgkmcnt(1)
	v_mul_f64 v[36:37], v[8:9], v[89:90]
	v_add_f64 v[14:15], v[14:15], v[22:23]
	s_waitcnt vmcnt(32)
	v_fma_f64 v[40:41], v[2:3], v[85:86], -v[40:41]
	v_mul_f64 v[22:23], v[6:7], v[89:90]
	v_fma_f64 v[32:33], v[4:5], v[85:86], v[32:33]
	ds_read_b128 v[2:5], v1 offset:1600
	v_add_f64 v[18:19], v[18:19], v[38:39]
	s_waitcnt vmcnt(31) lgkmcnt(1)
	v_mul_f64 v[38:39], v[12:13], v[91:92]
	v_add_f64 v[14:15], v[14:15], v[24:25]
	;; [unrolled: 9-line block ×3, first 2 shown]
	s_waitcnt vmcnt(24)
	v_fma_f64 v[38:39], v[10:11], v[93:94], -v[38:39]
	v_mul_f64 v[32:33], v[2:3], v[101:102]
	v_fma_f64 v[24:25], v[12:13], v[93:94], v[24:25]
	ds_read_b128 v[10:13], v1 offset:1632
	v_add_f64 v[18:19], v[18:19], v[36:37]
	v_add_f64 v[14:15], v[14:15], v[22:23]
	s_waitcnt vmcnt(23) lgkmcnt(1)
	v_mul_f64 v[36:37], v[8:9], v[103:104]
	v_mul_f64 v[22:23], v[6:7], v[103:104]
	s_waitcnt vmcnt(21)
	v_fma_f64 v[40:41], v[2:3], v[99:100], -v[40:41]
	v_fma_f64 v[32:33], v[4:5], v[99:100], v[32:33]
	ds_read_b128 v[2:5], v1 offset:1648
	v_add_f64 v[18:19], v[18:19], v[38:39]
	v_add_f64 v[14:15], v[14:15], v[24:25]
	s_waitcnt vmcnt(17) lgkmcnt(1)
	v_mul_f64 v[24:25], v[10:11], v[20:21]
	v_mul_f64 v[20:21], v[12:13], v[20:21]
	s_waitcnt vmcnt(16)
	v_fma_f64 v[36:37], v[6:7], v[105:106], -v[36:37]
	;; [unrolled: 9-line block ×3, first 2 shown]
	v_fma_f64 v[16:17], v[12:13], v[16:17], v[24:25]
	ds_read_b128 v[10:13], v1 offset:1680
	v_add_f64 v[18:19], v[18:19], v[36:37]
	v_add_f64 v[14:15], v[14:15], v[22:23]
	s_waitcnt vmcnt(9) lgkmcnt(1)
	v_mul_f64 v[24:25], v[8:9], v[28:29]
	s_waitcnt vmcnt(8)
	v_fma_f64 v[2:3], v[2:3], v[112:113], -v[38:39]
	v_mul_f64 v[22:23], v[6:7], v[28:29]
	v_fma_f64 v[4:5], v[4:5], v[112:113], v[32:33]
	v_add_f64 v[18:19], v[18:19], v[20:21]
	v_add_f64 v[14:15], v[14:15], v[16:17]
	s_waitcnt vmcnt(7) lgkmcnt(0)
	v_mul_f64 v[20:21], v[12:13], v[97:98]
	v_mul_f64 v[16:17], v[10:11], v[97:98]
	s_waitcnt vmcnt(5)
	v_fma_f64 v[6:7], v[6:7], v[26:27], -v[24:25]
	v_fma_f64 v[8:9], v[8:9], v[26:27], v[22:23]
	v_add_f64 v[2:3], v[18:19], v[2:3]
	v_add_f64 v[4:5], v[14:15], v[4:5]
	s_waitcnt vmcnt(4)
	v_fma_f64 v[10:11], v[10:11], v[114:115], -v[20:21]
	v_add_f64 v[2:3], v[2:3], v[6:7]
	v_fma_f64 v[6:7], v[12:13], v[114:115], v[16:17]
	v_add_f64 v[4:5], v[4:5], v[8:9]
	v_add_f64 v[2:3], v[2:3], v[10:11]
	;; [unrolled: 1-line block ×3, first 2 shown]
	s_waitcnt vmcnt(2)
	v_add_f64 v[2:3], v[30:31], -v[2:3]
	s_waitcnt vmcnt(0)
	v_add_f64 v[4:5], v[34:35], -v[4:5]
	buffer_store_dword v3, off, s[0:3], 0 offset:516
	buffer_store_dword v2, off, s[0:3], 0 offset:512
	;; [unrolled: 1-line block ×4, first 2 shown]
	v_cmpx_lt_u32_e32 30, v0
	s_cbranch_execz .LBB52_271
; %bb.270:
	v_mov_b32_e32 v5, s35
	s_clause 0x3
	buffer_load_dword v2, v5, s[0:3], 0 offen
	buffer_load_dword v3, v5, s[0:3], 0 offen offset:4
	buffer_load_dword v4, v5, s[0:3], 0 offen offset:8
	;; [unrolled: 1-line block ×3, first 2 shown]
	buffer_store_dword v1, off, s[0:3], 0 offset:496
	buffer_store_dword v1, off, s[0:3], 0 offset:500
	buffer_store_dword v1, off, s[0:3], 0 offset:504
	buffer_store_dword v1, off, s[0:3], 0 offset:508
	s_waitcnt vmcnt(0)
	ds_write_b128 v43, v[2:5]
.LBB52_271:
	s_or_b32 exec_lo, exec_lo, s4
	s_waitcnt lgkmcnt(0)
	s_waitcnt_vscnt null, 0x0
	s_barrier
	buffer_gl0_inv
	s_clause 0x37
	buffer_load_dword v10, off, s[0:3], 0 offset:520
	buffer_load_dword v11, off, s[0:3], 0 offset:524
	;; [unrolled: 1-line block ×56, first 2 shown]
	ds_read_b128 v[2:5], v1 offset:1344
	s_clause 0x2
	buffer_load_dword v92, off, s[0:3], 0 offset:748
	buffer_load_dword v96, off, s[0:3], 0 offset:724
	;; [unrolled: 1-line block ×3, first 2 shown]
	ds_read_b128 v[6:9], v1 offset:1360
	s_clause 0x4
	buffer_load_dword v102, off, s[0:3], 0 offset:764
	buffer_load_dword v103, off, s[0:3], 0 offset:776
	;; [unrolled: 1-line block ×5, first 2 shown]
	s_mov_b32 s4, exec_lo
	s_waitcnt vmcnt(62) lgkmcnt(1)
	v_mul_f64 v[97:98], v[4:5], v[10:11]
	v_mul_f64 v[99:100], v[2:3], v[10:11]
	s_waitcnt vmcnt(60) lgkmcnt(0)
	v_mul_f64 v[106:107], v[8:9], v[14:15]
	ds_read_b128 v[10:13], v1 offset:1376
	v_mul_f64 v[14:15], v[6:7], v[14:15]
	s_waitcnt vmcnt(58)
	v_fma_f64 v[97:98], v[2:3], v[16:17], -v[97:98]
	v_fma_f64 v[16:17], v[4:5], v[16:17], v[99:100]
	s_clause 0x2
	buffer_load_dword v104, off, s[0:3], 0 offset:780
	buffer_load_dword v100, off, s[0:3], 0 offset:756
	;; [unrolled: 1-line block ×3, first 2 shown]
	s_waitcnt vmcnt(59) lgkmcnt(0)
	v_mul_f64 v[108:109], v[10:11], v[18:19]
	v_mul_f64 v[18:19], v[12:13], v[18:19]
	s_waitcnt vmcnt(57)
	v_fma_f64 v[110:111], v[6:7], v[20:21], -v[106:107]
	ds_read_b128 v[2:5], v1 offset:1392
	v_fma_f64 v[14:15], v[8:9], v[20:21], v[14:15]
	s_clause 0x4
	buffer_load_dword v21, off, s[0:3], 0 offset:796
	buffer_load_dword v107, off, s[0:3], 0 offset:808
	;; [unrolled: 1-line block ×5, first 2 shown]
	ds_read_b128 v[6:9], v1 offset:1408
	v_add_f64 v[97:98], v[97:98], 0
	v_add_f64 v[16:17], v[16:17], 0
	s_waitcnt vmcnt(58) lgkmcnt(1)
	v_mul_f64 v[113:114], v[2:3], v[22:23]
	v_mul_f64 v[22:23], v[4:5], v[22:23]
	s_waitcnt vmcnt(56)
	v_fma_f64 v[18:19], v[10:11], v[28:29], -v[18:19]
	v_fma_f64 v[28:29], v[12:13], v[28:29], v[108:109]
	v_add_f64 v[97:98], v[97:98], v[110:111]
	v_add_f64 v[14:15], v[16:17], v[14:15]
	s_clause 0x2
	buffer_load_dword v108, off, s[0:3], 0 offset:812
	buffer_load_dword v17, off, s[0:3], 0 offset:788
	buffer_load_dword v16, off, s[0:3], 0 offset:784
	s_waitcnt vmcnt(58) lgkmcnt(0)
	v_mul_f64 v[109:110], v[6:7], v[24:25]
	v_mul_f64 v[24:25], v[8:9], v[24:25]
	s_waitcnt vmcnt(56)
	v_fma_f64 v[22:23], v[2:3], v[30:31], -v[22:23]
	ds_read_b128 v[10:13], v1 offset:1424
	v_fma_f64 v[30:31], v[4:5], v[30:31], v[113:114]
	v_add_f64 v[18:19], v[97:98], v[18:19]
	v_add_f64 v[14:15], v[14:15], v[28:29]
	s_clause 0x4
	buffer_load_dword v29, off, s[0:3], 0 offset:828
	buffer_load_dword v97, off, s[0:3], 0 offset:840
	;; [unrolled: 1-line block ×5, first 2 shown]
	ds_read_b128 v[2:5], v1 offset:1440
	s_waitcnt vmcnt(57) lgkmcnt(1)
	v_mul_f64 v[115:116], v[10:11], v[32:33]
	v_mul_f64 v[32:33], v[12:13], v[32:33]
	s_waitcnt vmcnt(56)
	v_fma_f64 v[24:25], v[6:7], v[26:27], -v[24:25]
	v_add_f64 v[18:19], v[18:19], v[22:23]
	v_fma_f64 v[22:23], v[8:9], v[26:27], v[109:110]
	v_add_f64 v[14:15], v[14:15], v[30:31]
	s_clause 0x2
	buffer_load_dword v98, off, s[0:3], 0 offset:844
	buffer_load_dword v27, off, s[0:3], 0 offset:820
	;; [unrolled: 1-line block ×3, first 2 shown]
	s_waitcnt vmcnt(58) lgkmcnt(0)
	v_mul_f64 v[30:31], v[2:3], v[34:35]
	v_mul_f64 v[34:35], v[4:5], v[34:35]
	s_waitcnt vmcnt(56)
	v_fma_f64 v[32:33], v[10:11], v[38:39], -v[32:33]
	ds_read_b128 v[6:9], v1 offset:1456
	v_add_f64 v[18:19], v[18:19], v[24:25]
	v_fma_f64 v[24:25], v[12:13], v[38:39], v[115:116]
	v_add_f64 v[14:15], v[14:15], v[22:23]
	s_clause 0x2
	buffer_load_dword v23, off, s[0:3], 0 offset:860
	buffer_load_dword v22, off, s[0:3], 0 offset:856
	;; [unrolled: 1-line block ×3, first 2 shown]
	ds_read_b128 v[10:13], v1 offset:1472
	s_waitcnt vmcnt(55) lgkmcnt(1)
	v_mul_f64 v[38:39], v[6:7], v[40:41]
	v_mul_f64 v[40:41], v[8:9], v[40:41]
	s_waitcnt vmcnt(54)
	v_fma_f64 v[34:35], v[2:3], v[36:37], -v[34:35]
	v_fma_f64 v[30:31], v[4:5], v[36:37], v[30:31]
	v_add_f64 v[18:19], v[18:19], v[32:33]
	v_add_f64 v[14:15], v[14:15], v[24:25]
	s_clause 0x1
	buffer_load_dword v25, off, s[0:3], 0 offset:852
	buffer_load_dword v24, off, s[0:3], 0 offset:848
	s_waitcnt vmcnt(55) lgkmcnt(0)
	v_mul_f64 v[36:37], v[12:13], v[48:49]
	ds_read_b128 v[2:5], v1 offset:1488
	s_waitcnt vmcnt(53)
	v_fma_f64 v[40:41], v[6:7], v[65:66], -v[40:41]
	v_mul_f64 v[32:33], v[10:11], v[48:49]
	v_add_f64 v[18:19], v[18:19], v[34:35]
	v_fma_f64 v[34:35], v[8:9], v[65:66], v[38:39]
	v_add_f64 v[14:15], v[14:15], v[30:31]
	ds_read_b128 v[6:9], v1 offset:1504
	s_waitcnt vmcnt(49) lgkmcnt(1)
	v_mul_f64 v[38:39], v[4:5], v[67:68]
	s_waitcnt vmcnt(48)
	v_fma_f64 v[36:37], v[10:11], v[50:51], -v[36:37]
	v_mul_f64 v[30:31], v[2:3], v[67:68]
	v_fma_f64 v[32:33], v[12:13], v[50:51], v[32:33]
	v_add_f64 v[18:19], v[18:19], v[40:41]
	s_waitcnt vmcnt(47) lgkmcnt(0)
	v_mul_f64 v[50:51], v[8:9], v[75:76]
	v_add_f64 v[14:15], v[14:15], v[34:35]
	s_clause 0x3
	buffer_load_dword v34, off, s[0:3], 0 offset:496
	buffer_load_dword v35, off, s[0:3], 0 offset:500
	;; [unrolled: 1-line block ×4, first 2 shown]
	s_waitcnt vmcnt(49)
	v_fma_f64 v[38:39], v[2:3], v[79:80], -v[38:39]
	ds_read_b128 v[10:13], v1 offset:1520
	v_mul_f64 v[48:49], v[6:7], v[75:76]
	v_fma_f64 v[30:31], v[4:5], v[79:80], v[30:31]
	ds_read_b128 v[2:5], v1 offset:1536
	v_add_f64 v[18:19], v[18:19], v[36:37]
	s_waitcnt vmcnt(44)
	v_fma_f64 v[50:51], v[6:7], v[77:78], -v[50:51]
	v_add_f64 v[14:15], v[14:15], v[32:33]
	s_waitcnt lgkmcnt(1)
	v_mul_f64 v[36:37], v[12:13], v[81:82]
	v_mul_f64 v[32:33], v[10:11], v[81:82]
	v_add_f64 v[18:19], v[18:19], v[38:39]
	v_fma_f64 v[38:39], v[8:9], v[77:78], v[48:49]
	v_add_f64 v[14:15], v[14:15], v[30:31]
	s_waitcnt vmcnt(43) lgkmcnt(0)
	v_mul_f64 v[48:49], v[4:5], v[83:84]
	s_waitcnt vmcnt(41)
	v_fma_f64 v[36:37], v[10:11], v[87:88], -v[36:37]
	ds_read_b128 v[6:9], v1 offset:1552
	v_mul_f64 v[30:31], v[2:3], v[83:84]
	v_fma_f64 v[32:33], v[12:13], v[87:88], v[32:33]
	ds_read_b128 v[10:13], v1 offset:1568
	v_add_f64 v[18:19], v[18:19], v[50:51]
	v_add_f64 v[14:15], v[14:15], v[38:39]
	s_waitcnt vmcnt(37) lgkmcnt(1)
	v_mul_f64 v[50:51], v[8:9], v[89:90]
	s_waitcnt vmcnt(36)
	v_fma_f64 v[48:49], v[2:3], v[85:86], -v[48:49]
	v_mul_f64 v[38:39], v[6:7], v[89:90]
	v_fma_f64 v[30:31], v[4:5], v[85:86], v[30:31]
	ds_read_b128 v[2:5], v1 offset:1584
	v_add_f64 v[18:19], v[18:19], v[36:37]
	s_waitcnt vmcnt(35) lgkmcnt(1)
	v_mul_f64 v[36:37], v[12:13], v[91:92]
	v_add_f64 v[14:15], v[14:15], v[32:33]
	s_waitcnt vmcnt(33)
	v_fma_f64 v[50:51], v[6:7], v[95:96], -v[50:51]
	v_mul_f64 v[32:33], v[10:11], v[91:92]
	v_fma_f64 v[38:39], v[8:9], v[95:96], v[38:39]
	ds_read_b128 v[6:9], v1 offset:1600
	v_add_f64 v[18:19], v[18:19], v[48:49]
	s_waitcnt vmcnt(29) lgkmcnt(1)
	v_mul_f64 v[48:49], v[4:5], v[101:102]
	v_add_f64 v[14:15], v[14:15], v[30:31]
	s_waitcnt vmcnt(28)
	v_fma_f64 v[36:37], v[10:11], v[93:94], -v[36:37]
	v_mul_f64 v[30:31], v[2:3], v[101:102]
	v_fma_f64 v[32:33], v[12:13], v[93:94], v[32:33]
	ds_read_b128 v[10:13], v1 offset:1616
	v_add_f64 v[18:19], v[18:19], v[50:51]
	v_add_f64 v[14:15], v[14:15], v[38:39]
	s_waitcnt vmcnt(27) lgkmcnt(1)
	v_mul_f64 v[50:51], v[8:9], v[103:104]
	v_mul_f64 v[38:39], v[6:7], v[103:104]
	s_waitcnt vmcnt(25)
	v_fma_f64 v[48:49], v[2:3], v[99:100], -v[48:49]
	v_fma_f64 v[30:31], v[4:5], v[99:100], v[30:31]
	ds_read_b128 v[2:5], v1 offset:1632
	v_add_f64 v[18:19], v[18:19], v[36:37]
	v_add_f64 v[14:15], v[14:15], v[32:33]
	s_waitcnt vmcnt(21) lgkmcnt(1)
	v_mul_f64 v[32:33], v[10:11], v[20:21]
	v_mul_f64 v[20:21], v[12:13], v[20:21]
	s_waitcnt vmcnt(20)
	v_fma_f64 v[36:37], v[6:7], v[105:106], -v[50:51]
	;; [unrolled: 9-line block ×4, first 2 shown]
	v_add_f64 v[18:19], v[18:19], v[20:21]
	v_fma_f64 v[20:21], v[4:5], v[112:113], v[30:31]
	v_add_f64 v[14:15], v[14:15], v[16:17]
	ds_read_b128 v[1:4], v1 offset:1680
	s_waitcnt vmcnt(11) lgkmcnt(1)
	v_mul_f64 v[30:31], v[12:13], v[97:98]
	v_mul_f64 v[16:17], v[10:11], v[97:98]
	s_waitcnt vmcnt(9)
	v_fma_f64 v[5:6], v[6:7], v[26:27], -v[28:29]
	v_fma_f64 v[7:8], v[8:9], v[26:27], v[32:33]
	v_add_f64 v[18:19], v[18:19], v[36:37]
	v_add_f64 v[14:15], v[14:15], v[20:21]
	s_waitcnt vmcnt(7) lgkmcnt(0)
	v_mul_f64 v[20:21], v[1:2], v[22:23]
	v_mul_f64 v[22:23], v[3:4], v[22:23]
	s_waitcnt vmcnt(6)
	v_fma_f64 v[9:10], v[10:11], v[114:115], -v[30:31]
	v_fma_f64 v[11:12], v[12:13], v[114:115], v[16:17]
	v_add_f64 v[5:6], v[18:19], v[5:6]
	v_add_f64 v[7:8], v[14:15], v[7:8]
	s_waitcnt vmcnt(4)
	v_fma_f64 v[1:2], v[1:2], v[24:25], -v[22:23]
	v_fma_f64 v[3:4], v[3:4], v[24:25], v[20:21]
	v_add_f64 v[5:6], v[5:6], v[9:10]
	v_add_f64 v[7:8], v[7:8], v[11:12]
	;; [unrolled: 1-line block ×4, first 2 shown]
	s_waitcnt vmcnt(2)
	v_add_f64 v[1:2], v[34:35], -v[1:2]
	s_waitcnt vmcnt(0)
	v_add_f64 v[3:4], v[40:41], -v[3:4]
	buffer_store_dword v2, off, s[0:3], 0 offset:500
	buffer_store_dword v1, off, s[0:3], 0 offset:496
	;; [unrolled: 1-line block ×4, first 2 shown]
	v_cmpx_lt_u32_e32 29, v0
	s_cbranch_execz .LBB52_273
; %bb.272:
	v_mov_b32_e32 v4, s36
	v_mov_b32_e32 v5, 0
	s_clause 0x3
	buffer_load_dword v1, v4, s[0:3], 0 offen
	buffer_load_dword v2, v4, s[0:3], 0 offen offset:4
	buffer_load_dword v3, v4, s[0:3], 0 offen offset:8
	;; [unrolled: 1-line block ×3, first 2 shown]
	buffer_store_dword v5, off, s[0:3], 0 offset:480
	buffer_store_dword v5, off, s[0:3], 0 offset:484
	;; [unrolled: 1-line block ×4, first 2 shown]
	s_waitcnt vmcnt(0)
	ds_write_b128 v43, v[1:4]
.LBB52_273:
	s_or_b32 exec_lo, exec_lo, s4
	s_waitcnt lgkmcnt(0)
	s_waitcnt_vscnt null, 0x0
	s_barrier
	buffer_gl0_inv
	s_clause 0x37
	buffer_load_dword v10, off, s[0:3], 0 offset:504
	buffer_load_dword v11, off, s[0:3], 0 offset:508
	;; [unrolled: 1-line block ×56, first 2 shown]
	v_mov_b32_e32 v1, 0
	s_mov_b32 s4, exec_lo
	ds_read_b128 v[2:5], v1 offset:1328
	s_clause 0x2
	buffer_load_dword v92, off, s[0:3], 0 offset:732
	buffer_load_dword v96, off, s[0:3], 0 offset:708
	;; [unrolled: 1-line block ×3, first 2 shown]
	ds_read_b128 v[6:9], v1 offset:1344
	s_clause 0x4
	buffer_load_dword v102, off, s[0:3], 0 offset:748
	buffer_load_dword v103, off, s[0:3], 0 offset:760
	;; [unrolled: 1-line block ×5, first 2 shown]
	s_waitcnt vmcnt(62) lgkmcnt(1)
	v_mul_f64 v[97:98], v[4:5], v[10:11]
	v_mul_f64 v[99:100], v[2:3], v[10:11]
	s_waitcnt vmcnt(60) lgkmcnt(0)
	v_mul_f64 v[106:107], v[8:9], v[14:15]
	ds_read_b128 v[10:13], v1 offset:1360
	v_mul_f64 v[14:15], v[6:7], v[14:15]
	s_waitcnt vmcnt(58)
	v_fma_f64 v[97:98], v[2:3], v[16:17], -v[97:98]
	v_fma_f64 v[16:17], v[4:5], v[16:17], v[99:100]
	s_clause 0x2
	buffer_load_dword v104, off, s[0:3], 0 offset:764
	buffer_load_dword v100, off, s[0:3], 0 offset:740
	;; [unrolled: 1-line block ×3, first 2 shown]
	s_waitcnt vmcnt(59) lgkmcnt(0)
	v_mul_f64 v[108:109], v[10:11], v[18:19]
	v_mul_f64 v[18:19], v[12:13], v[18:19]
	s_waitcnt vmcnt(57)
	v_fma_f64 v[110:111], v[6:7], v[20:21], -v[106:107]
	ds_read_b128 v[2:5], v1 offset:1376
	v_fma_f64 v[14:15], v[8:9], v[20:21], v[14:15]
	s_clause 0x4
	buffer_load_dword v21, off, s[0:3], 0 offset:780
	buffer_load_dword v107, off, s[0:3], 0 offset:792
	;; [unrolled: 1-line block ×5, first 2 shown]
	ds_read_b128 v[6:9], v1 offset:1392
	v_add_f64 v[97:98], v[97:98], 0
	v_add_f64 v[16:17], v[16:17], 0
	s_waitcnt vmcnt(58) lgkmcnt(1)
	v_mul_f64 v[113:114], v[2:3], v[22:23]
	v_mul_f64 v[22:23], v[4:5], v[22:23]
	s_waitcnt vmcnt(56)
	v_fma_f64 v[18:19], v[10:11], v[28:29], -v[18:19]
	v_fma_f64 v[28:29], v[12:13], v[28:29], v[108:109]
	v_add_f64 v[97:98], v[97:98], v[110:111]
	v_add_f64 v[14:15], v[16:17], v[14:15]
	s_clause 0x2
	buffer_load_dword v108, off, s[0:3], 0 offset:796
	buffer_load_dword v17, off, s[0:3], 0 offset:772
	;; [unrolled: 1-line block ×3, first 2 shown]
	s_waitcnt vmcnt(58) lgkmcnt(0)
	v_mul_f64 v[109:110], v[6:7], v[24:25]
	v_mul_f64 v[24:25], v[8:9], v[24:25]
	s_waitcnt vmcnt(56)
	v_fma_f64 v[22:23], v[2:3], v[30:31], -v[22:23]
	ds_read_b128 v[10:13], v1 offset:1408
	v_fma_f64 v[30:31], v[4:5], v[30:31], v[113:114]
	v_add_f64 v[18:19], v[97:98], v[18:19]
	v_add_f64 v[14:15], v[14:15], v[28:29]
	s_clause 0x4
	buffer_load_dword v29, off, s[0:3], 0 offset:812
	buffer_load_dword v97, off, s[0:3], 0 offset:824
	;; [unrolled: 1-line block ×5, first 2 shown]
	ds_read_b128 v[2:5], v1 offset:1424
	s_waitcnt vmcnt(57) lgkmcnt(1)
	v_mul_f64 v[115:116], v[10:11], v[32:33]
	v_mul_f64 v[32:33], v[12:13], v[32:33]
	s_waitcnt vmcnt(56)
	v_fma_f64 v[24:25], v[6:7], v[26:27], -v[24:25]
	v_add_f64 v[18:19], v[18:19], v[22:23]
	v_fma_f64 v[22:23], v[8:9], v[26:27], v[109:110]
	v_add_f64 v[14:15], v[14:15], v[30:31]
	s_clause 0x2
	buffer_load_dword v98, off, s[0:3], 0 offset:828
	buffer_load_dword v27, off, s[0:3], 0 offset:804
	;; [unrolled: 1-line block ×3, first 2 shown]
	s_waitcnt vmcnt(58) lgkmcnt(0)
	v_mul_f64 v[30:31], v[2:3], v[34:35]
	v_mul_f64 v[34:35], v[4:5], v[34:35]
	s_waitcnt vmcnt(56)
	v_fma_f64 v[32:33], v[10:11], v[38:39], -v[32:33]
	ds_read_b128 v[6:9], v1 offset:1440
	v_add_f64 v[18:19], v[18:19], v[24:25]
	v_fma_f64 v[24:25], v[12:13], v[38:39], v[115:116]
	v_add_f64 v[14:15], v[14:15], v[22:23]
	s_clause 0x4
	buffer_load_dword v23, off, s[0:3], 0 offset:844
	buffer_load_dword v38, off, s[0:3], 0 offset:856
	;; [unrolled: 1-line block ×5, first 2 shown]
	ds_read_b128 v[10:13], v1 offset:1456
	s_waitcnt vmcnt(57) lgkmcnt(1)
	v_mul_f64 v[110:111], v[6:7], v[40:41]
	v_mul_f64 v[40:41], v[8:9], v[40:41]
	s_waitcnt vmcnt(56)
	v_fma_f64 v[34:35], v[2:3], v[36:37], -v[34:35]
	v_fma_f64 v[30:31], v[4:5], v[36:37], v[30:31]
	v_add_f64 v[18:19], v[18:19], v[32:33]
	v_add_f64 v[14:15], v[14:15], v[24:25]
	s_clause 0x2
	buffer_load_dword v39, off, s[0:3], 0 offset:860
	buffer_load_dword v25, off, s[0:3], 0 offset:836
	;; [unrolled: 1-line block ×3, first 2 shown]
	s_waitcnt vmcnt(58) lgkmcnt(0)
	v_mul_f64 v[36:37], v[12:13], v[48:49]
	ds_read_b128 v[2:5], v1 offset:1472
	s_waitcnt vmcnt(56)
	v_fma_f64 v[40:41], v[6:7], v[65:66], -v[40:41]
	v_mul_f64 v[32:33], v[10:11], v[48:49]
	v_add_f64 v[18:19], v[18:19], v[34:35]
	v_fma_f64 v[34:35], v[8:9], v[65:66], v[110:111]
	v_add_f64 v[14:15], v[14:15], v[30:31]
	buffer_load_dword v110, off, s[0:3], 0 offset:852
	ds_read_b128 v[6:9], v1 offset:1488
	s_waitcnt vmcnt(53) lgkmcnt(1)
	v_mul_f64 v[48:49], v[4:5], v[67:68]
	s_waitcnt vmcnt(52)
	v_fma_f64 v[36:37], v[10:11], v[50:51], -v[36:37]
	v_mul_f64 v[30:31], v[2:3], v[67:68]
	v_fma_f64 v[32:33], v[12:13], v[50:51], v[32:33]
	ds_read_b128 v[10:13], v1 offset:1504
	v_add_f64 v[18:19], v[18:19], v[40:41]
	v_add_f64 v[14:15], v[14:15], v[34:35]
	s_waitcnt vmcnt(51) lgkmcnt(1)
	v_mul_f64 v[40:41], v[8:9], v[75:76]
	v_mul_f64 v[34:35], v[6:7], v[75:76]
	s_waitcnt vmcnt(49)
	v_fma_f64 v[48:49], v[2:3], v[79:80], -v[48:49]
	v_fma_f64 v[30:31], v[4:5], v[79:80], v[30:31]
	s_waitcnt vmcnt(45) lgkmcnt(0)
	v_mul_f64 v[65:66], v[12:13], v[81:82]
	v_mul_f64 v[50:51], v[10:11], v[81:82]
	v_add_f64 v[18:19], v[18:19], v[36:37]
	v_add_f64 v[14:15], v[14:15], v[32:33]
	s_clause 0x3
	buffer_load_dword v32, off, s[0:3], 0 offset:480
	buffer_load_dword v33, off, s[0:3], 0 offset:484
	;; [unrolled: 1-line block ×4, first 2 shown]
	s_waitcnt vmcnt(48)
	v_fma_f64 v[40:41], v[6:7], v[77:78], -v[40:41]
	ds_read_b128 v[2:5], v1 offset:1520
	v_fma_f64 v[34:35], v[8:9], v[77:78], v[34:35]
	ds_read_b128 v[6:9], v1 offset:1536
	s_waitcnt vmcnt(45)
	v_fma_f64 v[65:66], v[10:11], v[87:88], -v[65:66]
	v_add_f64 v[18:19], v[18:19], v[48:49]
	v_add_f64 v[14:15], v[14:15], v[30:31]
	s_waitcnt lgkmcnt(1)
	v_mul_f64 v[48:49], v[4:5], v[83:84]
	v_mul_f64 v[30:31], v[2:3], v[83:84]
	v_add_f64 v[18:19], v[18:19], v[40:41]
	v_fma_f64 v[40:41], v[12:13], v[87:88], v[50:51]
	v_add_f64 v[14:15], v[14:15], v[34:35]
	s_waitcnt vmcnt(41) lgkmcnt(0)
	v_mul_f64 v[50:51], v[8:9], v[89:90]
	s_waitcnt vmcnt(40)
	v_fma_f64 v[48:49], v[2:3], v[85:86], -v[48:49]
	ds_read_b128 v[10:13], v1 offset:1552
	v_mul_f64 v[34:35], v[6:7], v[89:90]
	v_fma_f64 v[30:31], v[4:5], v[85:86], v[30:31]
	ds_read_b128 v[2:5], v1 offset:1568
	v_add_f64 v[18:19], v[18:19], v[65:66]
	v_add_f64 v[14:15], v[14:15], v[40:41]
	s_waitcnt vmcnt(39) lgkmcnt(1)
	v_mul_f64 v[65:66], v[12:13], v[91:92]
	s_waitcnt vmcnt(37)
	v_fma_f64 v[50:51], v[6:7], v[95:96], -v[50:51]
	v_mul_f64 v[40:41], v[10:11], v[91:92]
	v_fma_f64 v[34:35], v[8:9], v[95:96], v[34:35]
	ds_read_b128 v[6:9], v1 offset:1584
	v_add_f64 v[18:19], v[18:19], v[48:49]
	s_waitcnt vmcnt(33) lgkmcnt(1)
	v_mul_f64 v[48:49], v[4:5], v[101:102]
	v_add_f64 v[14:15], v[14:15], v[30:31]
	s_waitcnt vmcnt(32)
	v_fma_f64 v[65:66], v[10:11], v[93:94], -v[65:66]
	v_mul_f64 v[30:31], v[2:3], v[101:102]
	v_fma_f64 v[40:41], v[12:13], v[93:94], v[40:41]
	ds_read_b128 v[10:13], v1 offset:1600
	v_add_f64 v[18:19], v[18:19], v[50:51]
	v_add_f64 v[14:15], v[14:15], v[34:35]
	s_waitcnt vmcnt(31) lgkmcnt(1)
	v_mul_f64 v[50:51], v[8:9], v[103:104]
	v_mul_f64 v[34:35], v[6:7], v[103:104]
	s_waitcnt vmcnt(29)
	v_fma_f64 v[48:49], v[2:3], v[99:100], -v[48:49]
	v_fma_f64 v[30:31], v[4:5], v[99:100], v[30:31]
	ds_read_b128 v[2:5], v1 offset:1616
	v_add_f64 v[18:19], v[18:19], v[65:66]
	v_add_f64 v[14:15], v[14:15], v[40:41]
	s_waitcnt vmcnt(25) lgkmcnt(1)
	v_mul_f64 v[40:41], v[10:11], v[20:21]
	v_mul_f64 v[20:21], v[12:13], v[20:21]
	s_waitcnt vmcnt(24)
	v_fma_f64 v[50:51], v[6:7], v[105:106], -v[50:51]
	;; [unrolled: 9-line block ×4, first 2 shown]
	v_add_f64 v[18:19], v[18:19], v[20:21]
	v_fma_f64 v[20:21], v[4:5], v[112:113], v[30:31]
	v_add_f64 v[14:15], v[14:15], v[16:17]
	ds_read_b128 v[2:5], v1 offset:1664
	s_waitcnt vmcnt(15) lgkmcnt(1)
	v_mul_f64 v[30:31], v[12:13], v[97:98]
	v_mul_f64 v[16:17], v[10:11], v[97:98]
	s_waitcnt vmcnt(13)
	v_fma_f64 v[28:29], v[6:7], v[26:27], -v[28:29]
	v_fma_f64 v[26:27], v[8:9], v[26:27], v[34:35]
	ds_read_b128 v[6:9], v1 offset:1680
	v_add_f64 v[18:19], v[18:19], v[40:41]
	v_add_f64 v[14:15], v[14:15], v[20:21]
	s_waitcnt vmcnt(9) lgkmcnt(1)
	v_mul_f64 v[20:21], v[2:3], v[22:23]
	v_mul_f64 v[22:23], v[4:5], v[22:23]
	s_waitcnt vmcnt(8)
	v_fma_f64 v[10:11], v[10:11], v[114:115], -v[30:31]
	v_fma_f64 v[12:13], v[12:13], v[114:115], v[16:17]
	v_add_f64 v[18:19], v[18:19], v[28:29]
	v_add_f64 v[14:15], v[14:15], v[26:27]
	s_waitcnt vmcnt(7) lgkmcnt(0)
	v_mul_f64 v[26:27], v[8:9], v[38:39]
	v_mul_f64 v[16:17], v[6:7], v[38:39]
	s_waitcnt vmcnt(5)
	v_fma_f64 v[2:3], v[2:3], v[24:25], -v[22:23]
	v_fma_f64 v[4:5], v[4:5], v[24:25], v[20:21]
	v_add_f64 v[10:11], v[18:19], v[10:11]
	v_add_f64 v[12:13], v[14:15], v[12:13]
	s_waitcnt vmcnt(4)
	v_fma_f64 v[6:7], v[6:7], v[109:110], -v[26:27]
	v_fma_f64 v[8:9], v[8:9], v[109:110], v[16:17]
	v_add_f64 v[2:3], v[10:11], v[2:3]
	v_add_f64 v[4:5], v[12:13], v[4:5]
	v_add_f64 v[2:3], v[2:3], v[6:7]
	v_add_f64 v[4:5], v[4:5], v[8:9]
	s_waitcnt vmcnt(2)
	v_add_f64 v[2:3], v[32:33], -v[2:3]
	s_waitcnt vmcnt(0)
	v_add_f64 v[4:5], v[36:37], -v[4:5]
	buffer_store_dword v3, off, s[0:3], 0 offset:484
	buffer_store_dword v2, off, s[0:3], 0 offset:480
	;; [unrolled: 1-line block ×4, first 2 shown]
	v_cmpx_lt_u32_e32 28, v0
	s_cbranch_execz .LBB52_275
; %bb.274:
	v_mov_b32_e32 v5, s37
	s_clause 0x3
	buffer_load_dword v2, v5, s[0:3], 0 offen
	buffer_load_dword v3, v5, s[0:3], 0 offen offset:4
	buffer_load_dword v4, v5, s[0:3], 0 offen offset:8
	buffer_load_dword v5, v5, s[0:3], 0 offen offset:12
	buffer_store_dword v1, off, s[0:3], 0 offset:464
	buffer_store_dword v1, off, s[0:3], 0 offset:468
	;; [unrolled: 1-line block ×4, first 2 shown]
	s_waitcnt vmcnt(0)
	ds_write_b128 v43, v[2:5]
.LBB52_275:
	s_or_b32 exec_lo, exec_lo, s4
	s_waitcnt lgkmcnt(0)
	s_waitcnt_vscnt null, 0x0
	s_barrier
	buffer_gl0_inv
	s_clause 0x37
	buffer_load_dword v10, off, s[0:3], 0 offset:488
	buffer_load_dword v11, off, s[0:3], 0 offset:492
	;; [unrolled: 1-line block ×56, first 2 shown]
	ds_read_b128 v[2:5], v1 offset:1312
	s_clause 0x2
	buffer_load_dword v92, off, s[0:3], 0 offset:716
	buffer_load_dword v96, off, s[0:3], 0 offset:692
	;; [unrolled: 1-line block ×3, first 2 shown]
	ds_read_b128 v[6:9], v1 offset:1328
	s_clause 0x4
	buffer_load_dword v102, off, s[0:3], 0 offset:732
	buffer_load_dword v103, off, s[0:3], 0 offset:744
	;; [unrolled: 1-line block ×5, first 2 shown]
	s_mov_b32 s4, exec_lo
	s_waitcnt vmcnt(62) lgkmcnt(1)
	v_mul_f64 v[97:98], v[4:5], v[10:11]
	v_mul_f64 v[99:100], v[2:3], v[10:11]
	s_waitcnt vmcnt(60) lgkmcnt(0)
	v_mul_f64 v[106:107], v[8:9], v[14:15]
	ds_read_b128 v[10:13], v1 offset:1344
	v_mul_f64 v[14:15], v[6:7], v[14:15]
	s_waitcnt vmcnt(58)
	v_fma_f64 v[97:98], v[2:3], v[16:17], -v[97:98]
	v_fma_f64 v[16:17], v[4:5], v[16:17], v[99:100]
	s_clause 0x2
	buffer_load_dword v104, off, s[0:3], 0 offset:748
	buffer_load_dword v100, off, s[0:3], 0 offset:724
	;; [unrolled: 1-line block ×3, first 2 shown]
	s_waitcnt vmcnt(59) lgkmcnt(0)
	v_mul_f64 v[108:109], v[10:11], v[18:19]
	v_mul_f64 v[18:19], v[12:13], v[18:19]
	s_waitcnt vmcnt(57)
	v_fma_f64 v[110:111], v[6:7], v[20:21], -v[106:107]
	ds_read_b128 v[2:5], v1 offset:1360
	v_fma_f64 v[14:15], v[8:9], v[20:21], v[14:15]
	s_clause 0x4
	buffer_load_dword v21, off, s[0:3], 0 offset:764
	buffer_load_dword v107, off, s[0:3], 0 offset:776
	;; [unrolled: 1-line block ×5, first 2 shown]
	ds_read_b128 v[6:9], v1 offset:1376
	v_add_f64 v[97:98], v[97:98], 0
	v_add_f64 v[16:17], v[16:17], 0
	s_waitcnt vmcnt(58) lgkmcnt(1)
	v_mul_f64 v[113:114], v[2:3], v[22:23]
	v_mul_f64 v[22:23], v[4:5], v[22:23]
	s_waitcnt vmcnt(56)
	v_fma_f64 v[18:19], v[10:11], v[28:29], -v[18:19]
	v_fma_f64 v[28:29], v[12:13], v[28:29], v[108:109]
	v_add_f64 v[97:98], v[97:98], v[110:111]
	v_add_f64 v[14:15], v[16:17], v[14:15]
	s_clause 0x2
	buffer_load_dword v108, off, s[0:3], 0 offset:780
	buffer_load_dword v17, off, s[0:3], 0 offset:756
	;; [unrolled: 1-line block ×3, first 2 shown]
	s_waitcnt vmcnt(58) lgkmcnt(0)
	v_mul_f64 v[109:110], v[6:7], v[24:25]
	v_mul_f64 v[24:25], v[8:9], v[24:25]
	s_waitcnt vmcnt(56)
	v_fma_f64 v[22:23], v[2:3], v[30:31], -v[22:23]
	ds_read_b128 v[10:13], v1 offset:1392
	v_fma_f64 v[30:31], v[4:5], v[30:31], v[113:114]
	v_add_f64 v[18:19], v[97:98], v[18:19]
	v_add_f64 v[14:15], v[14:15], v[28:29]
	s_clause 0x4
	buffer_load_dword v29, off, s[0:3], 0 offset:796
	buffer_load_dword v97, off, s[0:3], 0 offset:808
	buffer_load_dword v114, off, s[0:3], 0 offset:800
	buffer_load_dword v28, off, s[0:3], 0 offset:792
	buffer_load_dword v113, off, s[0:3], 0 offset:772
	ds_read_b128 v[2:5], v1 offset:1408
	s_waitcnt vmcnt(57) lgkmcnt(1)
	v_mul_f64 v[115:116], v[10:11], v[32:33]
	v_mul_f64 v[32:33], v[12:13], v[32:33]
	s_waitcnt vmcnt(56)
	v_fma_f64 v[24:25], v[6:7], v[26:27], -v[24:25]
	v_add_f64 v[18:19], v[18:19], v[22:23]
	v_fma_f64 v[22:23], v[8:9], v[26:27], v[109:110]
	v_add_f64 v[14:15], v[14:15], v[30:31]
	s_clause 0x2
	buffer_load_dword v98, off, s[0:3], 0 offset:812
	buffer_load_dword v27, off, s[0:3], 0 offset:788
	;; [unrolled: 1-line block ×3, first 2 shown]
	s_waitcnt vmcnt(58) lgkmcnt(0)
	v_mul_f64 v[30:31], v[2:3], v[34:35]
	v_mul_f64 v[34:35], v[4:5], v[34:35]
	s_waitcnt vmcnt(56)
	v_fma_f64 v[32:33], v[10:11], v[38:39], -v[32:33]
	ds_read_b128 v[6:9], v1 offset:1424
	v_add_f64 v[18:19], v[18:19], v[24:25]
	v_fma_f64 v[24:25], v[12:13], v[38:39], v[115:116]
	v_add_f64 v[14:15], v[14:15], v[22:23]
	s_clause 0x4
	buffer_load_dword v23, off, s[0:3], 0 offset:828
	buffer_load_dword v38, off, s[0:3], 0 offset:840
	;; [unrolled: 1-line block ×5, first 2 shown]
	ds_read_b128 v[10:13], v1 offset:1440
	s_waitcnt vmcnt(57) lgkmcnt(1)
	v_mul_f64 v[110:111], v[6:7], v[40:41]
	v_mul_f64 v[40:41], v[8:9], v[40:41]
	s_waitcnt vmcnt(56)
	v_fma_f64 v[34:35], v[2:3], v[36:37], -v[34:35]
	v_fma_f64 v[30:31], v[4:5], v[36:37], v[30:31]
	v_add_f64 v[18:19], v[18:19], v[32:33]
	v_add_f64 v[14:15], v[14:15], v[24:25]
	s_clause 0x2
	buffer_load_dword v39, off, s[0:3], 0 offset:844
	buffer_load_dword v25, off, s[0:3], 0 offset:820
	;; [unrolled: 1-line block ×3, first 2 shown]
	s_waitcnt vmcnt(58) lgkmcnt(0)
	v_mul_f64 v[36:37], v[12:13], v[48:49]
	ds_read_b128 v[2:5], v1 offset:1456
	s_waitcnt vmcnt(56)
	v_fma_f64 v[40:41], v[6:7], v[65:66], -v[40:41]
	v_mul_f64 v[32:33], v[10:11], v[48:49]
	v_add_f64 v[18:19], v[18:19], v[34:35]
	v_fma_f64 v[34:35], v[8:9], v[65:66], v[110:111]
	v_add_f64 v[14:15], v[14:15], v[30:31]
	s_clause 0x2
	buffer_load_dword v31, off, s[0:3], 0 offset:860
	buffer_load_dword v30, off, s[0:3], 0 offset:856
	;; [unrolled: 1-line block ×3, first 2 shown]
	s_waitcnt vmcnt(55) lgkmcnt(0)
	v_mul_f64 v[65:66], v[4:5], v[67:68]
	s_waitcnt vmcnt(54)
	v_fma_f64 v[36:37], v[10:11], v[50:51], -v[36:37]
	ds_read_b128 v[6:9], v1 offset:1472
	v_mul_f64 v[48:49], v[2:3], v[67:68]
	v_fma_f64 v[32:33], v[12:13], v[50:51], v[32:33]
	v_add_f64 v[18:19], v[18:19], v[40:41]
	v_add_f64 v[14:15], v[14:15], v[34:35]
	s_clause 0x1
	buffer_load_dword v35, off, s[0:3], 0 offset:852
	buffer_load_dword v34, off, s[0:3], 0 offset:848
	s_waitcnt vmcnt(55) lgkmcnt(0)
	v_mul_f64 v[50:51], v[8:9], v[75:76]
	s_waitcnt vmcnt(53)
	v_fma_f64 v[65:66], v[2:3], v[79:80], -v[65:66]
	ds_read_b128 v[10:13], v1 offset:1488
	v_mul_f64 v[40:41], v[6:7], v[75:76]
	v_add_f64 v[18:19], v[18:19], v[36:37]
	v_fma_f64 v[36:37], v[4:5], v[79:80], v[48:49]
	v_add_f64 v[14:15], v[14:15], v[32:33]
	ds_read_b128 v[2:5], v1 offset:1504
	s_waitcnt vmcnt(49) lgkmcnt(1)
	v_mul_f64 v[48:49], v[12:13], v[81:82]
	s_waitcnt vmcnt(48)
	v_fma_f64 v[50:51], v[6:7], v[77:78], -v[50:51]
	v_mul_f64 v[32:33], v[10:11], v[81:82]
	v_fma_f64 v[40:41], v[8:9], v[77:78], v[40:41]
	v_add_f64 v[18:19], v[18:19], v[65:66]
	s_waitcnt vmcnt(47) lgkmcnt(0)
	v_mul_f64 v[75:76], v[4:5], v[83:84]
	v_add_f64 v[14:15], v[14:15], v[36:37]
	s_clause 0x3
	buffer_load_dword v36, off, s[0:3], 0 offset:464
	buffer_load_dword v37, off, s[0:3], 0 offset:468
	;; [unrolled: 1-line block ×4, first 2 shown]
	s_waitcnt vmcnt(49)
	v_fma_f64 v[48:49], v[10:11], v[87:88], -v[48:49]
	ds_read_b128 v[6:9], v1 offset:1520
	v_mul_f64 v[67:68], v[2:3], v[83:84]
	v_fma_f64 v[32:33], v[12:13], v[87:88], v[32:33]
	ds_read_b128 v[10:13], v1 offset:1536
	v_add_f64 v[18:19], v[18:19], v[50:51]
	s_waitcnt vmcnt(44)
	v_fma_f64 v[75:76], v[2:3], v[85:86], -v[75:76]
	v_add_f64 v[14:15], v[14:15], v[40:41]
	s_waitcnt lgkmcnt(1)
	v_mul_f64 v[50:51], v[8:9], v[89:90]
	v_mul_f64 v[40:41], v[6:7], v[89:90]
	v_add_f64 v[18:19], v[18:19], v[48:49]
	v_fma_f64 v[48:49], v[4:5], v[85:86], v[67:68]
	v_add_f64 v[14:15], v[14:15], v[32:33]
	s_waitcnt vmcnt(43) lgkmcnt(0)
	v_mul_f64 v[67:68], v[12:13], v[91:92]
	s_waitcnt vmcnt(41)
	v_fma_f64 v[50:51], v[6:7], v[95:96], -v[50:51]
	ds_read_b128 v[2:5], v1 offset:1552
	v_mul_f64 v[32:33], v[10:11], v[91:92]
	v_fma_f64 v[40:41], v[8:9], v[95:96], v[40:41]
	ds_read_b128 v[6:9], v1 offset:1568
	v_add_f64 v[18:19], v[18:19], v[75:76]
	v_add_f64 v[14:15], v[14:15], v[48:49]
	s_waitcnt vmcnt(37) lgkmcnt(1)
	v_mul_f64 v[75:76], v[4:5], v[101:102]
	s_waitcnt vmcnt(36)
	v_fma_f64 v[67:68], v[10:11], v[93:94], -v[67:68]
	v_mul_f64 v[48:49], v[2:3], v[101:102]
	v_fma_f64 v[32:33], v[12:13], v[93:94], v[32:33]
	ds_read_b128 v[10:13], v1 offset:1584
	v_add_f64 v[18:19], v[18:19], v[50:51]
	v_add_f64 v[14:15], v[14:15], v[40:41]
	s_waitcnt vmcnt(35) lgkmcnt(1)
	v_mul_f64 v[50:51], v[8:9], v[103:104]
	v_mul_f64 v[40:41], v[6:7], v[103:104]
	s_waitcnt vmcnt(33)
	v_fma_f64 v[75:76], v[2:3], v[99:100], -v[75:76]
	v_fma_f64 v[48:49], v[4:5], v[99:100], v[48:49]
	ds_read_b128 v[2:5], v1 offset:1600
	v_add_f64 v[18:19], v[18:19], v[67:68]
	v_add_f64 v[14:15], v[14:15], v[32:33]
	s_waitcnt vmcnt(29) lgkmcnt(1)
	v_mul_f64 v[32:33], v[10:11], v[20:21]
	v_mul_f64 v[20:21], v[12:13], v[20:21]
	s_waitcnt vmcnt(28)
	v_fma_f64 v[50:51], v[6:7], v[105:106], -v[50:51]
	;; [unrolled: 9-line block ×4, first 2 shown]
	v_add_f64 v[18:19], v[18:19], v[20:21]
	v_fma_f64 v[20:21], v[4:5], v[112:113], v[48:49]
	v_add_f64 v[14:15], v[14:15], v[16:17]
	ds_read_b128 v[2:5], v1 offset:1648
	s_waitcnt vmcnt(19) lgkmcnt(1)
	v_mul_f64 v[48:49], v[12:13], v[97:98]
	v_mul_f64 v[16:17], v[10:11], v[97:98]
	s_waitcnt vmcnt(17)
	v_fma_f64 v[28:29], v[6:7], v[26:27], -v[28:29]
	v_fma_f64 v[26:27], v[8:9], v[26:27], v[32:33]
	ds_read_b128 v[6:9], v1 offset:1664
	v_add_f64 v[18:19], v[18:19], v[40:41]
	v_add_f64 v[14:15], v[14:15], v[20:21]
	s_waitcnt vmcnt(13) lgkmcnt(1)
	v_mul_f64 v[20:21], v[2:3], v[22:23]
	v_mul_f64 v[22:23], v[4:5], v[22:23]
	s_waitcnt vmcnt(12)
	v_fma_f64 v[32:33], v[10:11], v[114:115], -v[48:49]
	v_fma_f64 v[16:17], v[12:13], v[114:115], v[16:17]
	ds_read_b128 v[10:13], v1 offset:1680
	v_add_f64 v[18:19], v[18:19], v[28:29]
	v_add_f64 v[14:15], v[14:15], v[26:27]
	s_waitcnt vmcnt(11) lgkmcnt(1)
	v_mul_f64 v[28:29], v[8:9], v[38:39]
	v_mul_f64 v[26:27], v[6:7], v[38:39]
	s_waitcnt vmcnt(9)
	v_fma_f64 v[1:2], v[2:3], v[24:25], -v[22:23]
	v_fma_f64 v[3:4], v[4:5], v[24:25], v[20:21]
	v_add_f64 v[18:19], v[18:19], v[32:33]
	v_add_f64 v[14:15], v[14:15], v[16:17]
	s_waitcnt vmcnt(7) lgkmcnt(0)
	v_mul_f64 v[20:21], v[12:13], v[30:31]
	s_waitcnt vmcnt(6)
	v_fma_f64 v[5:6], v[6:7], v[109:110], -v[28:29]
	v_mul_f64 v[16:17], v[10:11], v[30:31]
	v_fma_f64 v[7:8], v[8:9], v[109:110], v[26:27]
	v_add_f64 v[1:2], v[18:19], v[1:2]
	v_add_f64 v[3:4], v[14:15], v[3:4]
	s_waitcnt vmcnt(4)
	v_fma_f64 v[9:10], v[10:11], v[34:35], -v[20:21]
	v_add_f64 v[1:2], v[1:2], v[5:6]
	v_fma_f64 v[5:6], v[12:13], v[34:35], v[16:17]
	v_add_f64 v[3:4], v[3:4], v[7:8]
	v_add_f64 v[1:2], v[1:2], v[9:10]
	;; [unrolled: 1-line block ×3, first 2 shown]
	s_waitcnt vmcnt(2)
	v_add_f64 v[1:2], v[36:37], -v[1:2]
	s_waitcnt vmcnt(0)
	v_add_f64 v[3:4], v[65:66], -v[3:4]
	buffer_store_dword v2, off, s[0:3], 0 offset:468
	buffer_store_dword v1, off, s[0:3], 0 offset:464
	;; [unrolled: 1-line block ×4, first 2 shown]
	v_cmpx_lt_u32_e32 27, v0
	s_cbranch_execz .LBB52_277
; %bb.276:
	v_mov_b32_e32 v4, s38
	v_mov_b32_e32 v5, 0
	s_clause 0x3
	buffer_load_dword v1, v4, s[0:3], 0 offen
	buffer_load_dword v2, v4, s[0:3], 0 offen offset:4
	buffer_load_dword v3, v4, s[0:3], 0 offen offset:8
	;; [unrolled: 1-line block ×3, first 2 shown]
	buffer_store_dword v5, off, s[0:3], 0 offset:448
	buffer_store_dword v5, off, s[0:3], 0 offset:452
	;; [unrolled: 1-line block ×4, first 2 shown]
	s_waitcnt vmcnt(0)
	ds_write_b128 v43, v[1:4]
.LBB52_277:
	s_or_b32 exec_lo, exec_lo, s4
	s_waitcnt lgkmcnt(0)
	s_waitcnt_vscnt null, 0x0
	s_barrier
	buffer_gl0_inv
	s_clause 0x37
	buffer_load_dword v10, off, s[0:3], 0 offset:472
	buffer_load_dword v11, off, s[0:3], 0 offset:476
	;; [unrolled: 1-line block ×56, first 2 shown]
	v_mov_b32_e32 v1, 0
	s_mov_b32 s4, exec_lo
	ds_read_b128 v[2:5], v1 offset:1296
	s_clause 0x2
	buffer_load_dword v92, off, s[0:3], 0 offset:700
	buffer_load_dword v96, off, s[0:3], 0 offset:676
	;; [unrolled: 1-line block ×3, first 2 shown]
	ds_read_b128 v[6:9], v1 offset:1312
	s_clause 0x4
	buffer_load_dword v102, off, s[0:3], 0 offset:716
	buffer_load_dword v103, off, s[0:3], 0 offset:728
	;; [unrolled: 1-line block ×5, first 2 shown]
	s_waitcnt vmcnt(62) lgkmcnt(1)
	v_mul_f64 v[97:98], v[4:5], v[10:11]
	v_mul_f64 v[99:100], v[2:3], v[10:11]
	s_waitcnt vmcnt(60) lgkmcnt(0)
	v_mul_f64 v[106:107], v[8:9], v[14:15]
	ds_read_b128 v[10:13], v1 offset:1328
	v_mul_f64 v[14:15], v[6:7], v[14:15]
	s_waitcnt vmcnt(58)
	v_fma_f64 v[97:98], v[2:3], v[16:17], -v[97:98]
	v_fma_f64 v[16:17], v[4:5], v[16:17], v[99:100]
	s_clause 0x2
	buffer_load_dword v104, off, s[0:3], 0 offset:732
	buffer_load_dword v100, off, s[0:3], 0 offset:708
	;; [unrolled: 1-line block ×3, first 2 shown]
	s_waitcnt vmcnt(59) lgkmcnt(0)
	v_mul_f64 v[108:109], v[10:11], v[18:19]
	v_mul_f64 v[18:19], v[12:13], v[18:19]
	s_waitcnt vmcnt(57)
	v_fma_f64 v[110:111], v[6:7], v[20:21], -v[106:107]
	ds_read_b128 v[2:5], v1 offset:1344
	v_fma_f64 v[14:15], v[8:9], v[20:21], v[14:15]
	s_clause 0x4
	buffer_load_dword v21, off, s[0:3], 0 offset:748
	buffer_load_dword v107, off, s[0:3], 0 offset:760
	;; [unrolled: 1-line block ×5, first 2 shown]
	ds_read_b128 v[6:9], v1 offset:1360
	v_add_f64 v[97:98], v[97:98], 0
	v_add_f64 v[16:17], v[16:17], 0
	s_waitcnt vmcnt(58) lgkmcnt(1)
	v_mul_f64 v[113:114], v[2:3], v[22:23]
	v_mul_f64 v[22:23], v[4:5], v[22:23]
	s_waitcnt vmcnt(56)
	v_fma_f64 v[18:19], v[10:11], v[28:29], -v[18:19]
	v_fma_f64 v[28:29], v[12:13], v[28:29], v[108:109]
	v_add_f64 v[97:98], v[97:98], v[110:111]
	v_add_f64 v[14:15], v[16:17], v[14:15]
	s_clause 0x2
	buffer_load_dword v108, off, s[0:3], 0 offset:764
	buffer_load_dword v17, off, s[0:3], 0 offset:740
	;; [unrolled: 1-line block ×3, first 2 shown]
	s_waitcnt vmcnt(58) lgkmcnt(0)
	v_mul_f64 v[109:110], v[6:7], v[24:25]
	v_mul_f64 v[24:25], v[8:9], v[24:25]
	s_waitcnt vmcnt(56)
	v_fma_f64 v[22:23], v[2:3], v[30:31], -v[22:23]
	ds_read_b128 v[10:13], v1 offset:1376
	v_fma_f64 v[30:31], v[4:5], v[30:31], v[113:114]
	v_add_f64 v[18:19], v[97:98], v[18:19]
	v_add_f64 v[14:15], v[14:15], v[28:29]
	s_clause 0x4
	buffer_load_dword v29, off, s[0:3], 0 offset:780
	buffer_load_dword v97, off, s[0:3], 0 offset:792
	;; [unrolled: 1-line block ×5, first 2 shown]
	ds_read_b128 v[2:5], v1 offset:1392
	s_waitcnt vmcnt(57) lgkmcnt(1)
	v_mul_f64 v[115:116], v[10:11], v[32:33]
	v_mul_f64 v[32:33], v[12:13], v[32:33]
	s_waitcnt vmcnt(56)
	v_fma_f64 v[24:25], v[6:7], v[26:27], -v[24:25]
	v_add_f64 v[18:19], v[18:19], v[22:23]
	v_fma_f64 v[22:23], v[8:9], v[26:27], v[109:110]
	v_add_f64 v[14:15], v[14:15], v[30:31]
	s_clause 0x2
	buffer_load_dword v98, off, s[0:3], 0 offset:796
	buffer_load_dword v27, off, s[0:3], 0 offset:772
	;; [unrolled: 1-line block ×3, first 2 shown]
	s_waitcnt vmcnt(58) lgkmcnt(0)
	v_mul_f64 v[30:31], v[2:3], v[34:35]
	v_mul_f64 v[34:35], v[4:5], v[34:35]
	s_waitcnt vmcnt(56)
	v_fma_f64 v[32:33], v[10:11], v[38:39], -v[32:33]
	ds_read_b128 v[6:9], v1 offset:1408
	v_add_f64 v[18:19], v[18:19], v[24:25]
	v_fma_f64 v[24:25], v[12:13], v[38:39], v[115:116]
	v_add_f64 v[14:15], v[14:15], v[22:23]
	s_clause 0x4
	buffer_load_dword v23, off, s[0:3], 0 offset:812
	buffer_load_dword v38, off, s[0:3], 0 offset:824
	;; [unrolled: 1-line block ×5, first 2 shown]
	ds_read_b128 v[10:13], v1 offset:1424
	s_waitcnt vmcnt(57) lgkmcnt(1)
	v_mul_f64 v[110:111], v[6:7], v[40:41]
	v_mul_f64 v[40:41], v[8:9], v[40:41]
	s_waitcnt vmcnt(56)
	v_fma_f64 v[34:35], v[2:3], v[36:37], -v[34:35]
	v_fma_f64 v[30:31], v[4:5], v[36:37], v[30:31]
	v_add_f64 v[18:19], v[18:19], v[32:33]
	v_add_f64 v[14:15], v[14:15], v[24:25]
	s_clause 0x2
	buffer_load_dword v39, off, s[0:3], 0 offset:828
	buffer_load_dword v25, off, s[0:3], 0 offset:804
	buffer_load_dword v24, off, s[0:3], 0 offset:800
	s_waitcnt vmcnt(58) lgkmcnt(0)
	v_mul_f64 v[36:37], v[12:13], v[48:49]
	ds_read_b128 v[2:5], v1 offset:1440
	s_waitcnt vmcnt(56)
	v_fma_f64 v[40:41], v[6:7], v[65:66], -v[40:41]
	v_mul_f64 v[32:33], v[10:11], v[48:49]
	v_add_f64 v[18:19], v[18:19], v[34:35]
	v_fma_f64 v[34:35], v[8:9], v[65:66], v[110:111]
	v_add_f64 v[14:15], v[14:15], v[30:31]
	s_clause 0x4
	buffer_load_dword v31, off, s[0:3], 0 offset:844
	buffer_load_dword v48, off, s[0:3], 0 offset:856
	;; [unrolled: 1-line block ×5, first 2 shown]
	s_waitcnt vmcnt(57) lgkmcnt(0)
	v_mul_f64 v[116:117], v[2:3], v[67:68]
	v_mul_f64 v[66:67], v[4:5], v[67:68]
	s_waitcnt vmcnt(56)
	v_fma_f64 v[36:37], v[10:11], v[50:51], -v[36:37]
	ds_read_b128 v[6:9], v1 offset:1456
	v_fma_f64 v[32:33], v[12:13], v[50:51], v[32:33]
	v_add_f64 v[18:19], v[18:19], v[40:41]
	v_add_f64 v[14:15], v[14:15], v[34:35]
	s_clause 0x2
	buffer_load_dword v49, off, s[0:3], 0 offset:860
	buffer_load_dword v35, off, s[0:3], 0 offset:836
	;; [unrolled: 1-line block ×3, first 2 shown]
	ds_read_b128 v[10:13], v1 offset:1472
	s_waitcnt vmcnt(58) lgkmcnt(1)
	v_mul_f64 v[50:51], v[8:9], v[75:76]
	s_waitcnt vmcnt(56)
	v_fma_f64 v[67:68], v[2:3], v[79:80], -v[66:67]
	v_mul_f64 v[40:41], v[6:7], v[75:76]
	buffer_load_dword v66, off, s[0:3], 0 offset:852
	v_add_f64 v[18:19], v[18:19], v[36:37]
	v_fma_f64 v[36:37], v[4:5], v[79:80], v[116:117]
	v_add_f64 v[14:15], v[14:15], v[32:33]
	ds_read_b128 v[2:5], v1 offset:1488
	s_waitcnt vmcnt(53) lgkmcnt(1)
	v_mul_f64 v[75:76], v[12:13], v[81:82]
	s_waitcnt vmcnt(52)
	v_fma_f64 v[50:51], v[6:7], v[77:78], -v[50:51]
	v_mul_f64 v[32:33], v[10:11], v[81:82]
	v_fma_f64 v[40:41], v[8:9], v[77:78], v[40:41]
	ds_read_b128 v[6:9], v1 offset:1504
	v_add_f64 v[18:19], v[18:19], v[67:68]
	s_waitcnt vmcnt(51) lgkmcnt(1)
	v_mul_f64 v[67:68], v[4:5], v[83:84]
	v_add_f64 v[14:15], v[14:15], v[36:37]
	v_mul_f64 v[36:37], v[2:3], v[83:84]
	s_waitcnt vmcnt(49)
	v_fma_f64 v[75:76], v[10:11], v[87:88], -v[75:76]
	v_fma_f64 v[32:33], v[12:13], v[87:88], v[32:33]
	s_waitcnt vmcnt(45) lgkmcnt(0)
	v_mul_f64 v[79:80], v[8:9], v[89:90]
	v_mul_f64 v[77:78], v[6:7], v[89:90]
	v_add_f64 v[18:19], v[18:19], v[50:51]
	s_waitcnt vmcnt(44)
	v_fma_f64 v[67:68], v[2:3], v[85:86], -v[67:68]
	v_add_f64 v[14:15], v[14:15], v[40:41]
	s_clause 0x3
	buffer_load_dword v40, off, s[0:3], 0 offset:448
	buffer_load_dword v41, off, s[0:3], 0 offset:452
	;; [unrolled: 1-line block ×4, first 2 shown]
	ds_read_b128 v[10:13], v1 offset:1520
	v_fma_f64 v[36:37], v[4:5], v[85:86], v[36:37]
	ds_read_b128 v[2:5], v1 offset:1536
	s_waitcnt vmcnt(45)
	v_fma_f64 v[79:80], v[6:7], v[95:96], -v[79:80]
	v_add_f64 v[18:19], v[18:19], v[75:76]
	v_add_f64 v[14:15], v[14:15], v[32:33]
	s_waitcnt lgkmcnt(1)
	v_mul_f64 v[75:76], v[12:13], v[91:92]
	v_mul_f64 v[32:33], v[10:11], v[91:92]
	v_add_f64 v[18:19], v[18:19], v[67:68]
	v_fma_f64 v[67:68], v[8:9], v[95:96], v[77:78]
	v_add_f64 v[14:15], v[14:15], v[36:37]
	s_waitcnt vmcnt(41) lgkmcnt(0)
	v_mul_f64 v[77:78], v[4:5], v[101:102]
	s_waitcnt vmcnt(40)
	v_fma_f64 v[75:76], v[10:11], v[93:94], -v[75:76]
	ds_read_b128 v[6:9], v1 offset:1552
	v_mul_f64 v[36:37], v[2:3], v[101:102]
	v_fma_f64 v[32:33], v[12:13], v[93:94], v[32:33]
	ds_read_b128 v[10:13], v1 offset:1568
	v_add_f64 v[18:19], v[18:19], v[79:80]
	v_add_f64 v[14:15], v[14:15], v[67:68]
	s_waitcnt vmcnt(39) lgkmcnt(1)
	v_mul_f64 v[79:80], v[8:9], v[103:104]
	v_mul_f64 v[67:68], v[6:7], v[103:104]
	s_waitcnt vmcnt(37)
	v_fma_f64 v[77:78], v[2:3], v[99:100], -v[77:78]
	v_fma_f64 v[36:37], v[4:5], v[99:100], v[36:37]
	ds_read_b128 v[2:5], v1 offset:1584
	v_add_f64 v[18:19], v[18:19], v[75:76]
	v_add_f64 v[14:15], v[14:15], v[32:33]
	s_waitcnt vmcnt(33) lgkmcnt(1)
	v_mul_f64 v[32:33], v[10:11], v[20:21]
	v_mul_f64 v[20:21], v[12:13], v[20:21]
	s_waitcnt vmcnt(32)
	v_fma_f64 v[75:76], v[6:7], v[105:106], -v[79:80]
	;; [unrolled: 9-line block ×4, first 2 shown]
	v_add_f64 v[18:19], v[18:19], v[20:21]
	v_fma_f64 v[20:21], v[4:5], v[112:113], v[36:37]
	v_add_f64 v[14:15], v[14:15], v[16:17]
	ds_read_b128 v[2:5], v1 offset:1632
	s_waitcnt vmcnt(23) lgkmcnt(1)
	v_mul_f64 v[36:37], v[12:13], v[97:98]
	v_mul_f64 v[16:17], v[10:11], v[97:98]
	s_waitcnt vmcnt(21)
	v_fma_f64 v[28:29], v[6:7], v[26:27], -v[28:29]
	v_fma_f64 v[26:27], v[8:9], v[26:27], v[32:33]
	ds_read_b128 v[6:9], v1 offset:1648
	v_add_f64 v[18:19], v[18:19], v[67:68]
	v_add_f64 v[14:15], v[14:15], v[20:21]
	s_waitcnt vmcnt(17) lgkmcnt(1)
	v_mul_f64 v[20:21], v[2:3], v[22:23]
	v_mul_f64 v[22:23], v[4:5], v[22:23]
	s_waitcnt vmcnt(16)
	v_fma_f64 v[32:33], v[10:11], v[114:115], -v[36:37]
	v_fma_f64 v[16:17], v[12:13], v[114:115], v[16:17]
	ds_read_b128 v[10:13], v1 offset:1664
	v_add_f64 v[18:19], v[18:19], v[28:29]
	v_add_f64 v[14:15], v[14:15], v[26:27]
	s_waitcnt vmcnt(15) lgkmcnt(1)
	v_mul_f64 v[28:29], v[8:9], v[38:39]
	v_mul_f64 v[26:27], v[6:7], v[38:39]
	s_waitcnt vmcnt(13)
	v_fma_f64 v[22:23], v[2:3], v[24:25], -v[22:23]
	v_fma_f64 v[20:21], v[4:5], v[24:25], v[20:21]
	ds_read_b128 v[2:5], v1 offset:1680
	v_add_f64 v[18:19], v[18:19], v[32:33]
	v_add_f64 v[14:15], v[14:15], v[16:17]
	s_waitcnt vmcnt(9) lgkmcnt(1)
	v_mul_f64 v[24:25], v[12:13], v[30:31]
	s_waitcnt vmcnt(8)
	v_fma_f64 v[6:7], v[6:7], v[109:110], -v[28:29]
	v_mul_f64 v[16:17], v[10:11], v[30:31]
	v_fma_f64 v[8:9], v[8:9], v[109:110], v[26:27]
	v_add_f64 v[18:19], v[18:19], v[22:23]
	v_add_f64 v[14:15], v[14:15], v[20:21]
	s_waitcnt vmcnt(7) lgkmcnt(0)
	v_mul_f64 v[22:23], v[4:5], v[48:49]
	v_mul_f64 v[20:21], v[2:3], v[48:49]
	s_waitcnt vmcnt(5)
	v_fma_f64 v[10:11], v[10:11], v[34:35], -v[24:25]
	v_fma_f64 v[12:13], v[12:13], v[34:35], v[16:17]
	v_add_f64 v[6:7], v[18:19], v[6:7]
	v_add_f64 v[8:9], v[14:15], v[8:9]
	s_waitcnt vmcnt(4)
	v_fma_f64 v[2:3], v[2:3], v[65:66], -v[22:23]
	v_fma_f64 v[4:5], v[4:5], v[65:66], v[20:21]
	v_add_f64 v[6:7], v[6:7], v[10:11]
	v_add_f64 v[8:9], v[8:9], v[12:13]
	;; [unrolled: 1-line block ×4, first 2 shown]
	s_waitcnt vmcnt(2)
	v_add_f64 v[2:3], v[40:41], -v[2:3]
	s_waitcnt vmcnt(0)
	v_add_f64 v[4:5], v[50:51], -v[4:5]
	buffer_store_dword v3, off, s[0:3], 0 offset:452
	buffer_store_dword v2, off, s[0:3], 0 offset:448
	;; [unrolled: 1-line block ×4, first 2 shown]
	v_cmpx_lt_u32_e32 26, v0
	s_cbranch_execz .LBB52_279
; %bb.278:
	v_mov_b32_e32 v5, s39
	s_clause 0x3
	buffer_load_dword v2, v5, s[0:3], 0 offen
	buffer_load_dword v3, v5, s[0:3], 0 offen offset:4
	buffer_load_dword v4, v5, s[0:3], 0 offen offset:8
	;; [unrolled: 1-line block ×3, first 2 shown]
	buffer_store_dword v1, off, s[0:3], 0 offset:432
	buffer_store_dword v1, off, s[0:3], 0 offset:436
	;; [unrolled: 1-line block ×4, first 2 shown]
	s_waitcnt vmcnt(0)
	ds_write_b128 v43, v[2:5]
.LBB52_279:
	s_or_b32 exec_lo, exec_lo, s4
	s_waitcnt lgkmcnt(0)
	s_waitcnt_vscnt null, 0x0
	s_barrier
	buffer_gl0_inv
	s_clause 0x37
	buffer_load_dword v10, off, s[0:3], 0 offset:456
	buffer_load_dword v11, off, s[0:3], 0 offset:460
	;; [unrolled: 1-line block ×56, first 2 shown]
	ds_read_b128 v[2:5], v1 offset:1280
	s_clause 0x2
	buffer_load_dword v92, off, s[0:3], 0 offset:684
	buffer_load_dword v96, off, s[0:3], 0 offset:660
	;; [unrolled: 1-line block ×3, first 2 shown]
	ds_read_b128 v[6:9], v1 offset:1296
	s_clause 0x4
	buffer_load_dword v102, off, s[0:3], 0 offset:700
	buffer_load_dword v103, off, s[0:3], 0 offset:712
	buffer_load_dword v105, off, s[0:3], 0 offset:704
	buffer_load_dword v101, off, s[0:3], 0 offset:696
	buffer_load_dword v94, off, s[0:3], 0 offset:676
	s_mov_b32 s4, exec_lo
	s_waitcnt vmcnt(62) lgkmcnt(1)
	v_mul_f64 v[97:98], v[4:5], v[10:11]
	v_mul_f64 v[99:100], v[2:3], v[10:11]
	s_waitcnt vmcnt(60) lgkmcnt(0)
	v_mul_f64 v[106:107], v[8:9], v[14:15]
	ds_read_b128 v[10:13], v1 offset:1312
	v_mul_f64 v[14:15], v[6:7], v[14:15]
	s_waitcnt vmcnt(58)
	v_fma_f64 v[97:98], v[2:3], v[16:17], -v[97:98]
	v_fma_f64 v[16:17], v[4:5], v[16:17], v[99:100]
	s_clause 0x2
	buffer_load_dword v104, off, s[0:3], 0 offset:716
	buffer_load_dword v100, off, s[0:3], 0 offset:692
	;; [unrolled: 1-line block ×3, first 2 shown]
	s_waitcnt vmcnt(59) lgkmcnt(0)
	v_mul_f64 v[108:109], v[10:11], v[18:19]
	v_mul_f64 v[18:19], v[12:13], v[18:19]
	s_waitcnt vmcnt(57)
	v_fma_f64 v[110:111], v[6:7], v[20:21], -v[106:107]
	ds_read_b128 v[2:5], v1 offset:1328
	v_fma_f64 v[14:15], v[8:9], v[20:21], v[14:15]
	s_clause 0x4
	buffer_load_dword v21, off, s[0:3], 0 offset:732
	buffer_load_dword v107, off, s[0:3], 0 offset:744
	;; [unrolled: 1-line block ×5, first 2 shown]
	ds_read_b128 v[6:9], v1 offset:1344
	v_add_f64 v[97:98], v[97:98], 0
	v_add_f64 v[16:17], v[16:17], 0
	s_waitcnt vmcnt(58) lgkmcnt(1)
	v_mul_f64 v[113:114], v[2:3], v[22:23]
	v_mul_f64 v[22:23], v[4:5], v[22:23]
	s_waitcnt vmcnt(56)
	v_fma_f64 v[18:19], v[10:11], v[28:29], -v[18:19]
	v_fma_f64 v[28:29], v[12:13], v[28:29], v[108:109]
	v_add_f64 v[97:98], v[97:98], v[110:111]
	v_add_f64 v[14:15], v[16:17], v[14:15]
	s_clause 0x2
	buffer_load_dword v108, off, s[0:3], 0 offset:748
	buffer_load_dword v17, off, s[0:3], 0 offset:724
	;; [unrolled: 1-line block ×3, first 2 shown]
	s_waitcnt vmcnt(58) lgkmcnt(0)
	v_mul_f64 v[109:110], v[6:7], v[24:25]
	v_mul_f64 v[24:25], v[8:9], v[24:25]
	s_waitcnt vmcnt(56)
	v_fma_f64 v[22:23], v[2:3], v[30:31], -v[22:23]
	ds_read_b128 v[10:13], v1 offset:1360
	v_fma_f64 v[30:31], v[4:5], v[30:31], v[113:114]
	v_add_f64 v[18:19], v[97:98], v[18:19]
	v_add_f64 v[14:15], v[14:15], v[28:29]
	s_clause 0x4
	buffer_load_dword v29, off, s[0:3], 0 offset:764
	buffer_load_dword v97, off, s[0:3], 0 offset:776
	buffer_load_dword v114, off, s[0:3], 0 offset:768
	buffer_load_dword v28, off, s[0:3], 0 offset:760
	buffer_load_dword v113, off, s[0:3], 0 offset:740
	ds_read_b128 v[2:5], v1 offset:1376
	s_waitcnt vmcnt(57) lgkmcnt(1)
	v_mul_f64 v[115:116], v[10:11], v[32:33]
	v_mul_f64 v[32:33], v[12:13], v[32:33]
	s_waitcnt vmcnt(56)
	v_fma_f64 v[24:25], v[6:7], v[26:27], -v[24:25]
	v_add_f64 v[18:19], v[18:19], v[22:23]
	v_fma_f64 v[22:23], v[8:9], v[26:27], v[109:110]
	v_add_f64 v[14:15], v[14:15], v[30:31]
	s_clause 0x2
	buffer_load_dword v98, off, s[0:3], 0 offset:780
	buffer_load_dword v27, off, s[0:3], 0 offset:756
	;; [unrolled: 1-line block ×3, first 2 shown]
	s_waitcnt vmcnt(58) lgkmcnt(0)
	v_mul_f64 v[30:31], v[2:3], v[34:35]
	v_mul_f64 v[34:35], v[4:5], v[34:35]
	s_waitcnt vmcnt(56)
	v_fma_f64 v[32:33], v[10:11], v[38:39], -v[32:33]
	ds_read_b128 v[6:9], v1 offset:1392
	v_add_f64 v[18:19], v[18:19], v[24:25]
	v_fma_f64 v[24:25], v[12:13], v[38:39], v[115:116]
	v_add_f64 v[14:15], v[14:15], v[22:23]
	s_clause 0x4
	buffer_load_dword v23, off, s[0:3], 0 offset:796
	buffer_load_dword v38, off, s[0:3], 0 offset:808
	;; [unrolled: 1-line block ×5, first 2 shown]
	ds_read_b128 v[10:13], v1 offset:1408
	s_waitcnt vmcnt(57) lgkmcnt(1)
	v_mul_f64 v[110:111], v[6:7], v[40:41]
	v_mul_f64 v[40:41], v[8:9], v[40:41]
	s_waitcnt vmcnt(56)
	v_fma_f64 v[34:35], v[2:3], v[36:37], -v[34:35]
	v_fma_f64 v[30:31], v[4:5], v[36:37], v[30:31]
	v_add_f64 v[18:19], v[18:19], v[32:33]
	v_add_f64 v[14:15], v[14:15], v[24:25]
	s_clause 0x2
	buffer_load_dword v39, off, s[0:3], 0 offset:812
	buffer_load_dword v25, off, s[0:3], 0 offset:788
	;; [unrolled: 1-line block ×3, first 2 shown]
	s_waitcnt vmcnt(58) lgkmcnt(0)
	v_mul_f64 v[36:37], v[12:13], v[48:49]
	ds_read_b128 v[2:5], v1 offset:1424
	s_waitcnt vmcnt(56)
	v_fma_f64 v[40:41], v[6:7], v[65:66], -v[40:41]
	v_mul_f64 v[32:33], v[10:11], v[48:49]
	v_add_f64 v[18:19], v[18:19], v[34:35]
	v_fma_f64 v[34:35], v[8:9], v[65:66], v[110:111]
	v_add_f64 v[14:15], v[14:15], v[30:31]
	s_clause 0x4
	buffer_load_dword v31, off, s[0:3], 0 offset:828
	buffer_load_dword v48, off, s[0:3], 0 offset:840
	;; [unrolled: 1-line block ×5, first 2 shown]
	s_waitcnt vmcnt(57) lgkmcnt(0)
	v_mul_f64 v[116:117], v[2:3], v[67:68]
	v_mul_f64 v[66:67], v[4:5], v[67:68]
	s_waitcnt vmcnt(56)
	v_fma_f64 v[36:37], v[10:11], v[50:51], -v[36:37]
	ds_read_b128 v[6:9], v1 offset:1440
	v_fma_f64 v[32:33], v[12:13], v[50:51], v[32:33]
	v_add_f64 v[18:19], v[18:19], v[40:41]
	v_add_f64 v[14:15], v[14:15], v[34:35]
	s_clause 0x2
	buffer_load_dword v49, off, s[0:3], 0 offset:844
	buffer_load_dword v35, off, s[0:3], 0 offset:820
	;; [unrolled: 1-line block ×3, first 2 shown]
	ds_read_b128 v[10:13], v1 offset:1456
	s_waitcnt vmcnt(58) lgkmcnt(1)
	v_mul_f64 v[50:51], v[8:9], v[75:76]
	s_waitcnt vmcnt(56)
	v_fma_f64 v[67:68], v[2:3], v[79:80], -v[66:67]
	v_mul_f64 v[40:41], v[6:7], v[75:76]
	v_add_f64 v[18:19], v[18:19], v[36:37]
	v_fma_f64 v[36:37], v[4:5], v[79:80], v[116:117]
	v_add_f64 v[14:15], v[14:15], v[32:33]
	s_clause 0x2
	buffer_load_dword v33, off, s[0:3], 0 offset:860
	buffer_load_dword v32, off, s[0:3], 0 offset:856
	;; [unrolled: 1-line block ×3, first 2 shown]
	s_waitcnt vmcnt(55) lgkmcnt(0)
	v_mul_f64 v[79:80], v[12:13], v[81:82]
	s_waitcnt vmcnt(54)
	v_fma_f64 v[50:51], v[6:7], v[77:78], -v[50:51]
	ds_read_b128 v[2:5], v1 offset:1472
	v_mul_f64 v[75:76], v[10:11], v[81:82]
	v_fma_f64 v[40:41], v[8:9], v[77:78], v[40:41]
	v_add_f64 v[18:19], v[18:19], v[67:68]
	v_add_f64 v[14:15], v[14:15], v[36:37]
	s_clause 0x1
	buffer_load_dword v37, off, s[0:3], 0 offset:852
	buffer_load_dword v36, off, s[0:3], 0 offset:848
	s_waitcnt vmcnt(55) lgkmcnt(0)
	v_mul_f64 v[77:78], v[4:5], v[83:84]
	s_waitcnt vmcnt(53)
	v_fma_f64 v[79:80], v[10:11], v[87:88], -v[79:80]
	ds_read_b128 v[6:9], v1 offset:1488
	v_mul_f64 v[67:68], v[2:3], v[83:84]
	v_add_f64 v[18:19], v[18:19], v[50:51]
	v_fma_f64 v[50:51], v[12:13], v[87:88], v[75:76]
	v_add_f64 v[14:15], v[14:15], v[40:41]
	ds_read_b128 v[10:13], v1 offset:1504
	s_waitcnt vmcnt(49) lgkmcnt(1)
	v_mul_f64 v[75:76], v[8:9], v[89:90]
	s_waitcnt vmcnt(48)
	v_fma_f64 v[77:78], v[2:3], v[85:86], -v[77:78]
	v_mul_f64 v[40:41], v[6:7], v[89:90]
	v_fma_f64 v[67:68], v[4:5], v[85:86], v[67:68]
	v_add_f64 v[18:19], v[18:19], v[79:80]
	s_waitcnt vmcnt(47) lgkmcnt(0)
	v_mul_f64 v[83:84], v[12:13], v[91:92]
	v_add_f64 v[14:15], v[14:15], v[50:51]
	s_clause 0x3
	buffer_load_dword v50, off, s[0:3], 0 offset:432
	buffer_load_dword v51, off, s[0:3], 0 offset:436
	;; [unrolled: 1-line block ×4, first 2 shown]
	s_waitcnt vmcnt(49)
	v_fma_f64 v[75:76], v[6:7], v[95:96], -v[75:76]
	ds_read_b128 v[2:5], v1 offset:1520
	v_mul_f64 v[81:82], v[10:11], v[91:92]
	v_fma_f64 v[40:41], v[8:9], v[95:96], v[40:41]
	ds_read_b128 v[6:9], v1 offset:1536
	v_add_f64 v[18:19], v[18:19], v[77:78]
	s_waitcnt vmcnt(44)
	v_fma_f64 v[83:84], v[10:11], v[93:94], -v[83:84]
	v_add_f64 v[14:15], v[14:15], v[67:68]
	s_waitcnt lgkmcnt(1)
	v_mul_f64 v[77:78], v[4:5], v[101:102]
	v_mul_f64 v[67:68], v[2:3], v[101:102]
	v_add_f64 v[18:19], v[18:19], v[75:76]
	v_fma_f64 v[75:76], v[12:13], v[93:94], v[81:82]
	v_add_f64 v[14:15], v[14:15], v[40:41]
	ds_read_b128 v[10:13], v1 offset:1552
	s_waitcnt vmcnt(43) lgkmcnt(1)
	v_mul_f64 v[81:82], v[8:9], v[103:104]
	v_mul_f64 v[40:41], v[6:7], v[103:104]
	s_waitcnt vmcnt(41)
	v_fma_f64 v[77:78], v[2:3], v[99:100], -v[77:78]
	v_fma_f64 v[67:68], v[4:5], v[99:100], v[67:68]
	ds_read_b128 v[2:5], v1 offset:1568
	v_add_f64 v[18:19], v[18:19], v[83:84]
	v_add_f64 v[14:15], v[14:15], v[75:76]
	s_waitcnt vmcnt(37) lgkmcnt(1)
	v_mul_f64 v[75:76], v[10:11], v[20:21]
	v_mul_f64 v[20:21], v[12:13], v[20:21]
	s_waitcnt vmcnt(36)
	v_fma_f64 v[81:82], v[6:7], v[105:106], -v[81:82]
	v_fma_f64 v[40:41], v[8:9], v[105:106], v[40:41]
	ds_read_b128 v[6:9], v1 offset:1584
	v_add_f64 v[18:19], v[18:19], v[77:78]
	v_add_f64 v[14:15], v[14:15], v[67:68]
	;; [unrolled: 9-line block ×3, first 2 shown]
	s_waitcnt vmcnt(29) lgkmcnt(1)
	v_mul_f64 v[40:41], v[6:7], v[28:29]
	v_mul_f64 v[28:29], v[8:9], v[28:29]
	s_waitcnt vmcnt(28)
	v_fma_f64 v[75:76], v[2:3], v[112:113], -v[77:78]
	v_add_f64 v[18:19], v[18:19], v[20:21]
	v_fma_f64 v[20:21], v[4:5], v[112:113], v[67:68]
	v_add_f64 v[14:15], v[14:15], v[16:17]
	ds_read_b128 v[2:5], v1 offset:1616
	s_waitcnt vmcnt(27) lgkmcnt(1)
	v_mul_f64 v[67:68], v[12:13], v[97:98]
	v_mul_f64 v[16:17], v[10:11], v[97:98]
	s_waitcnt vmcnt(25)
	v_fma_f64 v[28:29], v[6:7], v[26:27], -v[28:29]
	v_fma_f64 v[26:27], v[8:9], v[26:27], v[40:41]
	ds_read_b128 v[6:9], v1 offset:1632
	v_add_f64 v[18:19], v[18:19], v[75:76]
	v_add_f64 v[14:15], v[14:15], v[20:21]
	s_waitcnt vmcnt(21) lgkmcnt(1)
	v_mul_f64 v[20:21], v[2:3], v[22:23]
	v_mul_f64 v[22:23], v[4:5], v[22:23]
	s_waitcnt vmcnt(20)
	v_fma_f64 v[40:41], v[10:11], v[114:115], -v[67:68]
	v_fma_f64 v[16:17], v[12:13], v[114:115], v[16:17]
	ds_read_b128 v[10:13], v1 offset:1648
	v_add_f64 v[18:19], v[18:19], v[28:29]
	v_add_f64 v[14:15], v[14:15], v[26:27]
	s_waitcnt vmcnt(19) lgkmcnt(1)
	v_mul_f64 v[28:29], v[8:9], v[38:39]
	v_mul_f64 v[26:27], v[6:7], v[38:39]
	s_waitcnt vmcnt(17)
	v_fma_f64 v[22:23], v[2:3], v[24:25], -v[22:23]
	v_fma_f64 v[20:21], v[4:5], v[24:25], v[20:21]
	ds_read_b128 v[2:5], v1 offset:1664
	v_add_f64 v[18:19], v[18:19], v[40:41]
	v_add_f64 v[14:15], v[14:15], v[16:17]
	s_waitcnt vmcnt(13) lgkmcnt(1)
	v_mul_f64 v[24:25], v[12:13], v[30:31]
	s_waitcnt vmcnt(12)
	v_fma_f64 v[28:29], v[6:7], v[109:110], -v[28:29]
	v_mul_f64 v[16:17], v[10:11], v[30:31]
	v_add_f64 v[18:19], v[18:19], v[22:23]
	v_fma_f64 v[22:23], v[8:9], v[109:110], v[26:27]
	v_add_f64 v[14:15], v[14:15], v[20:21]
	ds_read_b128 v[6:9], v1 offset:1680
	s_waitcnt vmcnt(11) lgkmcnt(1)
	v_mul_f64 v[26:27], v[4:5], v[48:49]
	v_mul_f64 v[20:21], v[2:3], v[48:49]
	s_waitcnt vmcnt(9)
	v_fma_f64 v[10:11], v[10:11], v[34:35], -v[24:25]
	v_fma_f64 v[12:13], v[12:13], v[34:35], v[16:17]
	v_add_f64 v[18:19], v[18:19], v[28:29]
	v_add_f64 v[14:15], v[14:15], v[22:23]
	s_waitcnt vmcnt(7) lgkmcnt(0)
	v_mul_f64 v[22:23], v[8:9], v[32:33]
	s_waitcnt vmcnt(6)
	v_fma_f64 v[1:2], v[2:3], v[65:66], -v[26:27]
	v_mul_f64 v[16:17], v[6:7], v[32:33]
	v_fma_f64 v[3:4], v[4:5], v[65:66], v[20:21]
	v_add_f64 v[10:11], v[18:19], v[10:11]
	v_add_f64 v[12:13], v[14:15], v[12:13]
	s_waitcnt vmcnt(4)
	v_fma_f64 v[5:6], v[6:7], v[36:37], -v[22:23]
	v_fma_f64 v[7:8], v[8:9], v[36:37], v[16:17]
	v_add_f64 v[1:2], v[10:11], v[1:2]
	v_add_f64 v[3:4], v[12:13], v[3:4]
	;; [unrolled: 1-line block ×4, first 2 shown]
	s_waitcnt vmcnt(2)
	v_add_f64 v[1:2], v[50:51], -v[1:2]
	s_waitcnt vmcnt(0)
	v_add_f64 v[3:4], v[79:80], -v[3:4]
	buffer_store_dword v2, off, s[0:3], 0 offset:436
	buffer_store_dword v1, off, s[0:3], 0 offset:432
	;; [unrolled: 1-line block ×4, first 2 shown]
	v_cmpx_lt_u32_e32 25, v0
	s_cbranch_execz .LBB52_281
; %bb.280:
	v_mov_b32_e32 v4, s40
	v_mov_b32_e32 v5, 0
	s_clause 0x3
	buffer_load_dword v1, v4, s[0:3], 0 offen
	buffer_load_dword v2, v4, s[0:3], 0 offen offset:4
	buffer_load_dword v3, v4, s[0:3], 0 offen offset:8
	;; [unrolled: 1-line block ×3, first 2 shown]
	buffer_store_dword v5, off, s[0:3], 0 offset:416
	buffer_store_dword v5, off, s[0:3], 0 offset:420
	;; [unrolled: 1-line block ×4, first 2 shown]
	s_waitcnt vmcnt(0)
	ds_write_b128 v43, v[1:4]
.LBB52_281:
	s_or_b32 exec_lo, exec_lo, s4
	s_waitcnt lgkmcnt(0)
	s_waitcnt_vscnt null, 0x0
	s_barrier
	buffer_gl0_inv
	s_clause 0x37
	buffer_load_dword v10, off, s[0:3], 0 offset:440
	buffer_load_dword v11, off, s[0:3], 0 offset:444
	;; [unrolled: 1-line block ×56, first 2 shown]
	v_mov_b32_e32 v1, 0
	s_mov_b32 s4, exec_lo
	ds_read_b128 v[2:5], v1 offset:1264
	s_clause 0x2
	buffer_load_dword v92, off, s[0:3], 0 offset:668
	buffer_load_dword v96, off, s[0:3], 0 offset:644
	;; [unrolled: 1-line block ×3, first 2 shown]
	ds_read_b128 v[6:9], v1 offset:1280
	s_clause 0x4
	buffer_load_dword v102, off, s[0:3], 0 offset:684
	buffer_load_dword v103, off, s[0:3], 0 offset:696
	;; [unrolled: 1-line block ×5, first 2 shown]
	s_waitcnt vmcnt(62) lgkmcnt(1)
	v_mul_f64 v[97:98], v[4:5], v[10:11]
	v_mul_f64 v[99:100], v[2:3], v[10:11]
	s_waitcnt vmcnt(60) lgkmcnt(0)
	v_mul_f64 v[106:107], v[8:9], v[14:15]
	ds_read_b128 v[10:13], v1 offset:1296
	v_mul_f64 v[14:15], v[6:7], v[14:15]
	s_waitcnt vmcnt(58)
	v_fma_f64 v[97:98], v[2:3], v[16:17], -v[97:98]
	v_fma_f64 v[16:17], v[4:5], v[16:17], v[99:100]
	s_clause 0x2
	buffer_load_dword v104, off, s[0:3], 0 offset:700
	buffer_load_dword v100, off, s[0:3], 0 offset:676
	;; [unrolled: 1-line block ×3, first 2 shown]
	s_waitcnt vmcnt(59) lgkmcnt(0)
	v_mul_f64 v[108:109], v[10:11], v[18:19]
	v_mul_f64 v[18:19], v[12:13], v[18:19]
	s_waitcnt vmcnt(57)
	v_fma_f64 v[110:111], v[6:7], v[20:21], -v[106:107]
	ds_read_b128 v[2:5], v1 offset:1312
	v_fma_f64 v[14:15], v[8:9], v[20:21], v[14:15]
	s_clause 0x4
	buffer_load_dword v21, off, s[0:3], 0 offset:716
	buffer_load_dword v107, off, s[0:3], 0 offset:728
	;; [unrolled: 1-line block ×5, first 2 shown]
	ds_read_b128 v[6:9], v1 offset:1328
	v_add_f64 v[97:98], v[97:98], 0
	v_add_f64 v[16:17], v[16:17], 0
	s_waitcnt vmcnt(58) lgkmcnt(1)
	v_mul_f64 v[113:114], v[2:3], v[22:23]
	v_mul_f64 v[22:23], v[4:5], v[22:23]
	s_waitcnt vmcnt(56)
	v_fma_f64 v[18:19], v[10:11], v[28:29], -v[18:19]
	v_fma_f64 v[28:29], v[12:13], v[28:29], v[108:109]
	v_add_f64 v[97:98], v[97:98], v[110:111]
	v_add_f64 v[14:15], v[16:17], v[14:15]
	s_clause 0x2
	buffer_load_dword v108, off, s[0:3], 0 offset:732
	buffer_load_dword v17, off, s[0:3], 0 offset:708
	;; [unrolled: 1-line block ×3, first 2 shown]
	s_waitcnt vmcnt(58) lgkmcnt(0)
	v_mul_f64 v[109:110], v[6:7], v[24:25]
	v_mul_f64 v[24:25], v[8:9], v[24:25]
	s_waitcnt vmcnt(56)
	v_fma_f64 v[22:23], v[2:3], v[30:31], -v[22:23]
	ds_read_b128 v[10:13], v1 offset:1344
	v_fma_f64 v[30:31], v[4:5], v[30:31], v[113:114]
	v_add_f64 v[18:19], v[97:98], v[18:19]
	v_add_f64 v[14:15], v[14:15], v[28:29]
	s_clause 0x4
	buffer_load_dword v29, off, s[0:3], 0 offset:748
	buffer_load_dword v97, off, s[0:3], 0 offset:760
	;; [unrolled: 1-line block ×5, first 2 shown]
	ds_read_b128 v[2:5], v1 offset:1360
	s_waitcnt vmcnt(57) lgkmcnt(1)
	v_mul_f64 v[115:116], v[10:11], v[32:33]
	v_mul_f64 v[32:33], v[12:13], v[32:33]
	s_waitcnt vmcnt(56)
	v_fma_f64 v[24:25], v[6:7], v[26:27], -v[24:25]
	v_add_f64 v[18:19], v[18:19], v[22:23]
	v_fma_f64 v[22:23], v[8:9], v[26:27], v[109:110]
	v_add_f64 v[14:15], v[14:15], v[30:31]
	s_clause 0x2
	buffer_load_dword v98, off, s[0:3], 0 offset:764
	buffer_load_dword v27, off, s[0:3], 0 offset:740
	;; [unrolled: 1-line block ×3, first 2 shown]
	s_waitcnt vmcnt(58) lgkmcnt(0)
	v_mul_f64 v[30:31], v[2:3], v[34:35]
	v_mul_f64 v[34:35], v[4:5], v[34:35]
	s_waitcnt vmcnt(56)
	v_fma_f64 v[32:33], v[10:11], v[38:39], -v[32:33]
	ds_read_b128 v[6:9], v1 offset:1376
	v_add_f64 v[18:19], v[18:19], v[24:25]
	v_fma_f64 v[24:25], v[12:13], v[38:39], v[115:116]
	v_add_f64 v[14:15], v[14:15], v[22:23]
	s_clause 0x4
	buffer_load_dword v23, off, s[0:3], 0 offset:780
	buffer_load_dword v38, off, s[0:3], 0 offset:792
	;; [unrolled: 1-line block ×5, first 2 shown]
	ds_read_b128 v[10:13], v1 offset:1392
	s_waitcnt vmcnt(57) lgkmcnt(1)
	v_mul_f64 v[110:111], v[6:7], v[40:41]
	v_mul_f64 v[40:41], v[8:9], v[40:41]
	s_waitcnt vmcnt(56)
	v_fma_f64 v[34:35], v[2:3], v[36:37], -v[34:35]
	v_fma_f64 v[30:31], v[4:5], v[36:37], v[30:31]
	v_add_f64 v[18:19], v[18:19], v[32:33]
	v_add_f64 v[14:15], v[14:15], v[24:25]
	s_clause 0x2
	buffer_load_dword v39, off, s[0:3], 0 offset:796
	buffer_load_dword v25, off, s[0:3], 0 offset:772
	;; [unrolled: 1-line block ×3, first 2 shown]
	s_waitcnt vmcnt(58) lgkmcnt(0)
	v_mul_f64 v[36:37], v[12:13], v[48:49]
	ds_read_b128 v[2:5], v1 offset:1408
	s_waitcnt vmcnt(56)
	v_fma_f64 v[40:41], v[6:7], v[65:66], -v[40:41]
	v_mul_f64 v[32:33], v[10:11], v[48:49]
	v_add_f64 v[18:19], v[18:19], v[34:35]
	v_fma_f64 v[34:35], v[8:9], v[65:66], v[110:111]
	v_add_f64 v[14:15], v[14:15], v[30:31]
	s_clause 0x4
	buffer_load_dword v31, off, s[0:3], 0 offset:812
	buffer_load_dword v48, off, s[0:3], 0 offset:824
	;; [unrolled: 1-line block ×5, first 2 shown]
	s_waitcnt vmcnt(57) lgkmcnt(0)
	v_mul_f64 v[116:117], v[2:3], v[67:68]
	v_mul_f64 v[66:67], v[4:5], v[67:68]
	s_waitcnt vmcnt(56)
	v_fma_f64 v[36:37], v[10:11], v[50:51], -v[36:37]
	ds_read_b128 v[6:9], v1 offset:1424
	v_fma_f64 v[32:33], v[12:13], v[50:51], v[32:33]
	v_add_f64 v[18:19], v[18:19], v[40:41]
	v_add_f64 v[14:15], v[14:15], v[34:35]
	s_clause 0x2
	buffer_load_dword v49, off, s[0:3], 0 offset:828
	buffer_load_dword v35, off, s[0:3], 0 offset:804
	;; [unrolled: 1-line block ×3, first 2 shown]
	ds_read_b128 v[10:13], v1 offset:1440
	s_waitcnt vmcnt(58) lgkmcnt(1)
	v_mul_f64 v[50:51], v[8:9], v[75:76]
	s_waitcnt vmcnt(56)
	v_fma_f64 v[67:68], v[2:3], v[79:80], -v[66:67]
	v_mul_f64 v[40:41], v[6:7], v[75:76]
	v_add_f64 v[18:19], v[18:19], v[36:37]
	v_fma_f64 v[36:37], v[4:5], v[79:80], v[116:117]
	v_add_f64 v[14:15], v[14:15], v[32:33]
	s_clause 0x4
	buffer_load_dword v33, off, s[0:3], 0 offset:844
	buffer_load_dword v75, off, s[0:3], 0 offset:856
	;; [unrolled: 1-line block ×5, first 2 shown]
	s_waitcnt vmcnt(57) lgkmcnt(0)
	v_mul_f64 v[116:117], v[10:11], v[81:82]
	v_mul_f64 v[80:81], v[12:13], v[81:82]
	s_waitcnt vmcnt(56)
	v_fma_f64 v[50:51], v[6:7], v[77:78], -v[50:51]
	ds_read_b128 v[2:5], v1 offset:1456
	v_fma_f64 v[40:41], v[8:9], v[77:78], v[40:41]
	v_add_f64 v[18:19], v[18:19], v[67:68]
	v_add_f64 v[14:15], v[14:15], v[36:37]
	s_clause 0x2
	buffer_load_dword v76, off, s[0:3], 0 offset:860
	buffer_load_dword v37, off, s[0:3], 0 offset:836
	;; [unrolled: 1-line block ×3, first 2 shown]
	ds_read_b128 v[6:9], v1 offset:1472
	s_waitcnt vmcnt(58) lgkmcnt(1)
	v_mul_f64 v[77:78], v[4:5], v[83:84]
	s_waitcnt vmcnt(56)
	v_fma_f64 v[81:82], v[10:11], v[87:88], -v[80:81]
	v_mul_f64 v[67:68], v[2:3], v[83:84]
	buffer_load_dword v80, off, s[0:3], 0 offset:852
	v_add_f64 v[18:19], v[18:19], v[50:51]
	v_fma_f64 v[50:51], v[12:13], v[87:88], v[116:117]
	v_add_f64 v[14:15], v[14:15], v[40:41]
	ds_read_b128 v[10:13], v1 offset:1488
	s_waitcnt vmcnt(53) lgkmcnt(1)
	v_mul_f64 v[83:84], v[8:9], v[89:90]
	s_waitcnt vmcnt(52)
	v_fma_f64 v[77:78], v[2:3], v[85:86], -v[77:78]
	v_mul_f64 v[40:41], v[6:7], v[89:90]
	v_fma_f64 v[67:68], v[4:5], v[85:86], v[67:68]
	ds_read_b128 v[2:5], v1 offset:1504
	v_add_f64 v[18:19], v[18:19], v[81:82]
	s_waitcnt vmcnt(51) lgkmcnt(1)
	v_mul_f64 v[81:82], v[12:13], v[91:92]
	v_add_f64 v[14:15], v[14:15], v[50:51]
	v_mul_f64 v[50:51], v[10:11], v[91:92]
	s_waitcnt vmcnt(49)
	v_fma_f64 v[83:84], v[6:7], v[95:96], -v[83:84]
	v_fma_f64 v[40:41], v[8:9], v[95:96], v[40:41]
	s_waitcnt vmcnt(45) lgkmcnt(0)
	v_mul_f64 v[87:88], v[4:5], v[101:102]
	v_mul_f64 v[85:86], v[2:3], v[101:102]
	v_add_f64 v[18:19], v[18:19], v[77:78]
	s_waitcnt vmcnt(44)
	v_fma_f64 v[81:82], v[10:11], v[93:94], -v[81:82]
	v_add_f64 v[14:15], v[14:15], v[67:68]
	s_clause 0x3
	buffer_load_dword v67, off, s[0:3], 0 offset:416
	buffer_load_dword v68, off, s[0:3], 0 offset:420
	;; [unrolled: 1-line block ×4, first 2 shown]
	ds_read_b128 v[6:9], v1 offset:1520
	v_fma_f64 v[50:51], v[12:13], v[93:94], v[50:51]
	ds_read_b128 v[10:13], v1 offset:1536
	v_add_f64 v[18:19], v[18:19], v[83:84]
	v_add_f64 v[14:15], v[14:15], v[40:41]
	s_waitcnt vmcnt(47) lgkmcnt(1)
	v_mul_f64 v[83:84], v[8:9], v[103:104]
	v_mul_f64 v[40:41], v[6:7], v[103:104]
	s_waitcnt vmcnt(45)
	v_fma_f64 v[87:88], v[2:3], v[99:100], -v[87:88]
	v_add_f64 v[18:19], v[18:19], v[81:82]
	v_fma_f64 v[81:82], v[4:5], v[99:100], v[85:86]
	v_add_f64 v[14:15], v[14:15], v[50:51]
	s_waitcnt vmcnt(41) lgkmcnt(0)
	v_mul_f64 v[50:51], v[10:11], v[20:21]
	v_mul_f64 v[20:21], v[12:13], v[20:21]
	ds_read_b128 v[2:5], v1 offset:1552
	s_waitcnt vmcnt(40)
	v_fma_f64 v[83:84], v[6:7], v[105:106], -v[83:84]
	v_fma_f64 v[40:41], v[8:9], v[105:106], v[40:41]
	ds_read_b128 v[6:9], v1 offset:1568
	v_add_f64 v[18:19], v[18:19], v[87:88]
	v_add_f64 v[14:15], v[14:15], v[81:82]
	s_waitcnt vmcnt(39) lgkmcnt(1)
	v_mul_f64 v[85:86], v[4:5], v[107:108]
	v_mul_f64 v[81:82], v[2:3], v[107:108]
	s_waitcnt vmcnt(37)
	v_fma_f64 v[20:21], v[10:11], v[16:17], -v[20:21]
	v_fma_f64 v[16:17], v[12:13], v[16:17], v[50:51]
	ds_read_b128 v[10:13], v1 offset:1584
	v_add_f64 v[18:19], v[18:19], v[83:84]
	v_add_f64 v[14:15], v[14:15], v[40:41]
	s_waitcnt vmcnt(33) lgkmcnt(1)
	v_mul_f64 v[40:41], v[6:7], v[28:29]
	v_mul_f64 v[28:29], v[8:9], v[28:29]
	s_waitcnt vmcnt(32)
	v_fma_f64 v[50:51], v[2:3], v[112:113], -v[85:86]
	v_add_f64 v[18:19], v[18:19], v[20:21]
	v_fma_f64 v[20:21], v[4:5], v[112:113], v[81:82]
	v_add_f64 v[14:15], v[14:15], v[16:17]
	ds_read_b128 v[2:5], v1 offset:1600
	s_waitcnt vmcnt(31) lgkmcnt(1)
	v_mul_f64 v[81:82], v[12:13], v[97:98]
	v_mul_f64 v[16:17], v[10:11], v[97:98]
	s_waitcnt vmcnt(29)
	v_fma_f64 v[28:29], v[6:7], v[26:27], -v[28:29]
	v_fma_f64 v[26:27], v[8:9], v[26:27], v[40:41]
	ds_read_b128 v[6:9], v1 offset:1616
	v_add_f64 v[18:19], v[18:19], v[50:51]
	v_add_f64 v[14:15], v[14:15], v[20:21]
	s_waitcnt vmcnt(25) lgkmcnt(1)
	v_mul_f64 v[20:21], v[2:3], v[22:23]
	v_mul_f64 v[22:23], v[4:5], v[22:23]
	s_waitcnt vmcnt(24)
	v_fma_f64 v[40:41], v[10:11], v[114:115], -v[81:82]
	v_fma_f64 v[16:17], v[12:13], v[114:115], v[16:17]
	ds_read_b128 v[10:13], v1 offset:1632
	v_add_f64 v[18:19], v[18:19], v[28:29]
	v_add_f64 v[14:15], v[14:15], v[26:27]
	;; [unrolled: 9-line block ×3, first 2 shown]
	s_waitcnt vmcnt(17) lgkmcnt(1)
	v_mul_f64 v[24:25], v[12:13], v[30:31]
	s_waitcnt vmcnt(16)
	v_fma_f64 v[28:29], v[6:7], v[109:110], -v[28:29]
	v_mul_f64 v[16:17], v[10:11], v[30:31]
	v_add_f64 v[18:19], v[18:19], v[22:23]
	v_fma_f64 v[22:23], v[8:9], v[109:110], v[26:27]
	v_add_f64 v[14:15], v[14:15], v[20:21]
	ds_read_b128 v[6:9], v1 offset:1664
	s_waitcnt vmcnt(15) lgkmcnt(1)
	v_mul_f64 v[26:27], v[4:5], v[48:49]
	v_mul_f64 v[20:21], v[2:3], v[48:49]
	s_waitcnt vmcnt(13)
	v_fma_f64 v[24:25], v[10:11], v[34:35], -v[24:25]
	v_fma_f64 v[16:17], v[12:13], v[34:35], v[16:17]
	ds_read_b128 v[10:13], v1 offset:1680
	v_add_f64 v[18:19], v[18:19], v[28:29]
	v_add_f64 v[14:15], v[14:15], v[22:23]
	s_waitcnt vmcnt(9) lgkmcnt(1)
	v_mul_f64 v[28:29], v[8:9], v[32:33]
	s_waitcnt vmcnt(8)
	v_fma_f64 v[2:3], v[2:3], v[65:66], -v[26:27]
	v_mul_f64 v[22:23], v[6:7], v[32:33]
	v_fma_f64 v[4:5], v[4:5], v[65:66], v[20:21]
	v_add_f64 v[18:19], v[18:19], v[24:25]
	v_add_f64 v[14:15], v[14:15], v[16:17]
	s_waitcnt vmcnt(7) lgkmcnt(0)
	v_mul_f64 v[20:21], v[12:13], v[75:76]
	v_mul_f64 v[16:17], v[10:11], v[75:76]
	s_waitcnt vmcnt(5)
	v_fma_f64 v[6:7], v[6:7], v[36:37], -v[28:29]
	v_fma_f64 v[8:9], v[8:9], v[36:37], v[22:23]
	v_add_f64 v[2:3], v[18:19], v[2:3]
	v_add_f64 v[4:5], v[14:15], v[4:5]
	s_waitcnt vmcnt(4)
	v_fma_f64 v[10:11], v[10:11], v[79:80], -v[20:21]
	v_add_f64 v[2:3], v[2:3], v[6:7]
	v_fma_f64 v[6:7], v[12:13], v[79:80], v[16:17]
	v_add_f64 v[4:5], v[4:5], v[8:9]
	v_add_f64 v[2:3], v[2:3], v[10:11]
	v_add_f64 v[4:5], v[4:5], v[6:7]
	s_waitcnt vmcnt(2)
	v_add_f64 v[2:3], v[67:68], -v[2:3]
	s_waitcnt vmcnt(0)
	v_add_f64 v[4:5], v[77:78], -v[4:5]
	buffer_store_dword v3, off, s[0:3], 0 offset:420
	buffer_store_dword v2, off, s[0:3], 0 offset:416
	buffer_store_dword v5, off, s[0:3], 0 offset:428
	buffer_store_dword v4, off, s[0:3], 0 offset:424
	v_cmpx_lt_u32_e32 24, v0
	s_cbranch_execz .LBB52_283
; %bb.282:
	v_mov_b32_e32 v5, s41
	s_clause 0x3
	buffer_load_dword v2, v5, s[0:3], 0 offen
	buffer_load_dword v3, v5, s[0:3], 0 offen offset:4
	buffer_load_dword v4, v5, s[0:3], 0 offen offset:8
	buffer_load_dword v5, v5, s[0:3], 0 offen offset:12
	buffer_store_dword v1, off, s[0:3], 0 offset:400
	buffer_store_dword v1, off, s[0:3], 0 offset:404
	;; [unrolled: 1-line block ×4, first 2 shown]
	s_waitcnt vmcnt(0)
	ds_write_b128 v43, v[2:5]
.LBB52_283:
	s_or_b32 exec_lo, exec_lo, s4
	s_waitcnt lgkmcnt(0)
	s_waitcnt_vscnt null, 0x0
	s_barrier
	buffer_gl0_inv
	s_clause 0x37
	buffer_load_dword v10, off, s[0:3], 0 offset:424
	buffer_load_dword v11, off, s[0:3], 0 offset:428
	;; [unrolled: 1-line block ×56, first 2 shown]
	ds_read_b128 v[2:5], v1 offset:1248
	s_clause 0x2
	buffer_load_dword v92, off, s[0:3], 0 offset:652
	buffer_load_dword v96, off, s[0:3], 0 offset:628
	;; [unrolled: 1-line block ×3, first 2 shown]
	ds_read_b128 v[6:9], v1 offset:1264
	s_clause 0x4
	buffer_load_dword v102, off, s[0:3], 0 offset:668
	buffer_load_dword v103, off, s[0:3], 0 offset:680
	;; [unrolled: 1-line block ×5, first 2 shown]
	s_mov_b32 s4, exec_lo
	s_waitcnt vmcnt(62) lgkmcnt(1)
	v_mul_f64 v[97:98], v[4:5], v[10:11]
	v_mul_f64 v[99:100], v[2:3], v[10:11]
	s_waitcnt vmcnt(60) lgkmcnt(0)
	v_mul_f64 v[106:107], v[8:9], v[14:15]
	ds_read_b128 v[10:13], v1 offset:1280
	v_mul_f64 v[14:15], v[6:7], v[14:15]
	s_waitcnt vmcnt(58)
	v_fma_f64 v[97:98], v[2:3], v[16:17], -v[97:98]
	v_fma_f64 v[16:17], v[4:5], v[16:17], v[99:100]
	s_clause 0x2
	buffer_load_dword v104, off, s[0:3], 0 offset:684
	buffer_load_dword v100, off, s[0:3], 0 offset:660
	buffer_load_dword v99, off, s[0:3], 0 offset:656
	s_waitcnt vmcnt(59) lgkmcnt(0)
	v_mul_f64 v[108:109], v[10:11], v[18:19]
	v_mul_f64 v[18:19], v[12:13], v[18:19]
	s_waitcnt vmcnt(57)
	v_fma_f64 v[110:111], v[6:7], v[20:21], -v[106:107]
	ds_read_b128 v[2:5], v1 offset:1296
	v_fma_f64 v[14:15], v[8:9], v[20:21], v[14:15]
	s_clause 0x4
	buffer_load_dword v21, off, s[0:3], 0 offset:700
	buffer_load_dword v107, off, s[0:3], 0 offset:712
	;; [unrolled: 1-line block ×5, first 2 shown]
	ds_read_b128 v[6:9], v1 offset:1312
	v_add_f64 v[97:98], v[97:98], 0
	v_add_f64 v[16:17], v[16:17], 0
	s_waitcnt vmcnt(58) lgkmcnt(1)
	v_mul_f64 v[113:114], v[2:3], v[22:23]
	v_mul_f64 v[22:23], v[4:5], v[22:23]
	s_waitcnt vmcnt(56)
	v_fma_f64 v[18:19], v[10:11], v[28:29], -v[18:19]
	v_fma_f64 v[28:29], v[12:13], v[28:29], v[108:109]
	v_add_f64 v[97:98], v[97:98], v[110:111]
	v_add_f64 v[14:15], v[16:17], v[14:15]
	s_clause 0x2
	buffer_load_dword v108, off, s[0:3], 0 offset:716
	buffer_load_dword v17, off, s[0:3], 0 offset:692
	;; [unrolled: 1-line block ×3, first 2 shown]
	s_waitcnt vmcnt(58) lgkmcnt(0)
	v_mul_f64 v[109:110], v[6:7], v[24:25]
	v_mul_f64 v[24:25], v[8:9], v[24:25]
	s_waitcnt vmcnt(56)
	v_fma_f64 v[22:23], v[2:3], v[30:31], -v[22:23]
	ds_read_b128 v[10:13], v1 offset:1328
	v_fma_f64 v[30:31], v[4:5], v[30:31], v[113:114]
	v_add_f64 v[18:19], v[97:98], v[18:19]
	v_add_f64 v[14:15], v[14:15], v[28:29]
	s_clause 0x4
	buffer_load_dword v29, off, s[0:3], 0 offset:732
	buffer_load_dword v97, off, s[0:3], 0 offset:744
	;; [unrolled: 1-line block ×5, first 2 shown]
	ds_read_b128 v[2:5], v1 offset:1344
	s_waitcnt vmcnt(57) lgkmcnt(1)
	v_mul_f64 v[115:116], v[10:11], v[32:33]
	v_mul_f64 v[32:33], v[12:13], v[32:33]
	s_waitcnt vmcnt(56)
	v_fma_f64 v[24:25], v[6:7], v[26:27], -v[24:25]
	v_add_f64 v[18:19], v[18:19], v[22:23]
	v_fma_f64 v[22:23], v[8:9], v[26:27], v[109:110]
	v_add_f64 v[14:15], v[14:15], v[30:31]
	s_clause 0x2
	buffer_load_dword v98, off, s[0:3], 0 offset:748
	buffer_load_dword v27, off, s[0:3], 0 offset:724
	;; [unrolled: 1-line block ×3, first 2 shown]
	s_waitcnt vmcnt(58) lgkmcnt(0)
	v_mul_f64 v[30:31], v[2:3], v[34:35]
	v_mul_f64 v[34:35], v[4:5], v[34:35]
	s_waitcnt vmcnt(56)
	v_fma_f64 v[32:33], v[10:11], v[38:39], -v[32:33]
	ds_read_b128 v[6:9], v1 offset:1360
	v_add_f64 v[18:19], v[18:19], v[24:25]
	v_fma_f64 v[24:25], v[12:13], v[38:39], v[115:116]
	v_add_f64 v[14:15], v[14:15], v[22:23]
	s_clause 0x4
	buffer_load_dword v23, off, s[0:3], 0 offset:764
	buffer_load_dword v38, off, s[0:3], 0 offset:776
	;; [unrolled: 1-line block ×5, first 2 shown]
	ds_read_b128 v[10:13], v1 offset:1376
	s_waitcnt vmcnt(57) lgkmcnt(1)
	v_mul_f64 v[110:111], v[6:7], v[40:41]
	v_mul_f64 v[40:41], v[8:9], v[40:41]
	s_waitcnt vmcnt(56)
	v_fma_f64 v[34:35], v[2:3], v[36:37], -v[34:35]
	v_fma_f64 v[30:31], v[4:5], v[36:37], v[30:31]
	v_add_f64 v[18:19], v[18:19], v[32:33]
	v_add_f64 v[14:15], v[14:15], v[24:25]
	s_clause 0x2
	buffer_load_dword v39, off, s[0:3], 0 offset:780
	buffer_load_dword v25, off, s[0:3], 0 offset:756
	;; [unrolled: 1-line block ×3, first 2 shown]
	s_waitcnt vmcnt(58) lgkmcnt(0)
	v_mul_f64 v[36:37], v[12:13], v[48:49]
	ds_read_b128 v[2:5], v1 offset:1392
	s_waitcnt vmcnt(56)
	v_fma_f64 v[40:41], v[6:7], v[65:66], -v[40:41]
	v_mul_f64 v[32:33], v[10:11], v[48:49]
	v_add_f64 v[18:19], v[18:19], v[34:35]
	v_fma_f64 v[34:35], v[8:9], v[65:66], v[110:111]
	v_add_f64 v[14:15], v[14:15], v[30:31]
	s_clause 0x4
	buffer_load_dword v31, off, s[0:3], 0 offset:796
	buffer_load_dword v48, off, s[0:3], 0 offset:808
	buffer_load_dword v65, off, s[0:3], 0 offset:800
	buffer_load_dword v30, off, s[0:3], 0 offset:792
	buffer_load_dword v110, off, s[0:3], 0 offset:772
	s_waitcnt vmcnt(57) lgkmcnt(0)
	v_mul_f64 v[116:117], v[2:3], v[67:68]
	v_mul_f64 v[66:67], v[4:5], v[67:68]
	s_waitcnt vmcnt(56)
	v_fma_f64 v[36:37], v[10:11], v[50:51], -v[36:37]
	ds_read_b128 v[6:9], v1 offset:1408
	v_fma_f64 v[32:33], v[12:13], v[50:51], v[32:33]
	v_add_f64 v[18:19], v[18:19], v[40:41]
	v_add_f64 v[14:15], v[14:15], v[34:35]
	s_clause 0x2
	buffer_load_dword v49, off, s[0:3], 0 offset:812
	buffer_load_dword v35, off, s[0:3], 0 offset:788
	;; [unrolled: 1-line block ×3, first 2 shown]
	ds_read_b128 v[10:13], v1 offset:1424
	s_waitcnt vmcnt(58) lgkmcnt(1)
	v_mul_f64 v[50:51], v[8:9], v[75:76]
	s_waitcnt vmcnt(56)
	v_fma_f64 v[67:68], v[2:3], v[79:80], -v[66:67]
	v_mul_f64 v[40:41], v[6:7], v[75:76]
	v_add_f64 v[18:19], v[18:19], v[36:37]
	v_fma_f64 v[36:37], v[4:5], v[79:80], v[116:117]
	v_add_f64 v[14:15], v[14:15], v[32:33]
	s_clause 0x4
	buffer_load_dword v33, off, s[0:3], 0 offset:828
	buffer_load_dword v75, off, s[0:3], 0 offset:840
	;; [unrolled: 1-line block ×5, first 2 shown]
	s_waitcnt vmcnt(57) lgkmcnt(0)
	v_mul_f64 v[116:117], v[10:11], v[81:82]
	v_mul_f64 v[80:81], v[12:13], v[81:82]
	s_waitcnt vmcnt(56)
	v_fma_f64 v[50:51], v[6:7], v[77:78], -v[50:51]
	ds_read_b128 v[2:5], v1 offset:1440
	v_fma_f64 v[40:41], v[8:9], v[77:78], v[40:41]
	v_add_f64 v[18:19], v[18:19], v[67:68]
	v_add_f64 v[14:15], v[14:15], v[36:37]
	s_clause 0x2
	buffer_load_dword v76, off, s[0:3], 0 offset:844
	buffer_load_dword v37, off, s[0:3], 0 offset:820
	;; [unrolled: 1-line block ×3, first 2 shown]
	ds_read_b128 v[6:9], v1 offset:1456
	s_waitcnt vmcnt(58) lgkmcnt(1)
	v_mul_f64 v[77:78], v[4:5], v[83:84]
	s_waitcnt vmcnt(56)
	v_fma_f64 v[81:82], v[10:11], v[87:88], -v[80:81]
	v_mul_f64 v[67:68], v[2:3], v[83:84]
	v_add_f64 v[18:19], v[18:19], v[50:51]
	v_fma_f64 v[50:51], v[12:13], v[87:88], v[116:117]
	v_add_f64 v[14:15], v[14:15], v[40:41]
	s_clause 0x2
	buffer_load_dword v41, off, s[0:3], 0 offset:860
	buffer_load_dword v40, off, s[0:3], 0 offset:856
	;; [unrolled: 1-line block ×3, first 2 shown]
	s_waitcnt vmcnt(55) lgkmcnt(0)
	v_mul_f64 v[87:88], v[8:9], v[89:90]
	s_waitcnt vmcnt(54)
	v_fma_f64 v[77:78], v[2:3], v[85:86], -v[77:78]
	ds_read_b128 v[10:13], v1 offset:1472
	v_mul_f64 v[83:84], v[6:7], v[89:90]
	v_fma_f64 v[67:68], v[4:5], v[85:86], v[67:68]
	v_add_f64 v[18:19], v[18:19], v[81:82]
	v_add_f64 v[14:15], v[14:15], v[50:51]
	s_clause 0x1
	buffer_load_dword v51, off, s[0:3], 0 offset:852
	buffer_load_dword v50, off, s[0:3], 0 offset:848
	s_waitcnt vmcnt(55) lgkmcnt(0)
	v_mul_f64 v[85:86], v[12:13], v[91:92]
	s_waitcnt vmcnt(53)
	v_fma_f64 v[87:88], v[6:7], v[95:96], -v[87:88]
	ds_read_b128 v[2:5], v1 offset:1488
	v_mul_f64 v[81:82], v[10:11], v[91:92]
	v_add_f64 v[18:19], v[18:19], v[77:78]
	v_fma_f64 v[77:78], v[8:9], v[95:96], v[83:84]
	v_add_f64 v[14:15], v[14:15], v[67:68]
	ds_read_b128 v[6:9], v1 offset:1504
	s_waitcnt vmcnt(49) lgkmcnt(1)
	v_mul_f64 v[83:84], v[4:5], v[101:102]
	s_waitcnt vmcnt(48)
	v_fma_f64 v[85:86], v[10:11], v[93:94], -v[85:86]
	v_mul_f64 v[67:68], v[2:3], v[101:102]
	v_fma_f64 v[81:82], v[12:13], v[93:94], v[81:82]
	v_add_f64 v[18:19], v[18:19], v[87:88]
	v_add_f64 v[14:15], v[14:15], v[77:78]
	s_clause 0x3
	buffer_load_dword v77, off, s[0:3], 0 offset:400
	buffer_load_dword v78, off, s[0:3], 0 offset:404
	;; [unrolled: 1-line block ×4, first 2 shown]
	ds_read_b128 v[10:13], v1 offset:1520
	s_waitcnt vmcnt(51) lgkmcnt(1)
	v_mul_f64 v[91:92], v[8:9], v[103:104]
	v_mul_f64 v[89:90], v[6:7], v[103:104]
	s_waitcnt vmcnt(49)
	v_fma_f64 v[83:84], v[2:3], v[99:100], -v[83:84]
	v_fma_f64 v[67:68], v[4:5], v[99:100], v[67:68]
	ds_read_b128 v[2:5], v1 offset:1536
	v_add_f64 v[18:19], v[18:19], v[85:86]
	v_add_f64 v[14:15], v[14:15], v[81:82]
	s_waitcnt vmcnt(45) lgkmcnt(1)
	v_mul_f64 v[81:82], v[10:11], v[20:21]
	v_mul_f64 v[20:21], v[12:13], v[20:21]
	s_waitcnt vmcnt(44)
	v_fma_f64 v[85:86], v[6:7], v[105:106], -v[91:92]
	v_add_f64 v[18:19], v[18:19], v[83:84]
	v_fma_f64 v[83:84], v[8:9], v[105:106], v[89:90]
	v_add_f64 v[14:15], v[14:15], v[67:68]
	ds_read_b128 v[6:9], v1 offset:1552
	s_waitcnt vmcnt(43) lgkmcnt(1)
	v_mul_f64 v[89:90], v[4:5], v[107:108]
	v_mul_f64 v[67:68], v[2:3], v[107:108]
	s_waitcnt vmcnt(41)
	v_fma_f64 v[20:21], v[10:11], v[16:17], -v[20:21]
	v_fma_f64 v[16:17], v[12:13], v[16:17], v[81:82]
	ds_read_b128 v[10:13], v1 offset:1568
	v_add_f64 v[18:19], v[18:19], v[85:86]
	v_add_f64 v[14:15], v[14:15], v[83:84]
	s_waitcnt vmcnt(37) lgkmcnt(1)
	v_mul_f64 v[81:82], v[6:7], v[28:29]
	v_mul_f64 v[28:29], v[8:9], v[28:29]
	s_waitcnt vmcnt(36)
	v_fma_f64 v[83:84], v[2:3], v[112:113], -v[89:90]
	v_add_f64 v[18:19], v[18:19], v[20:21]
	v_fma_f64 v[20:21], v[4:5], v[112:113], v[67:68]
	v_add_f64 v[14:15], v[14:15], v[16:17]
	ds_read_b128 v[2:5], v1 offset:1584
	s_waitcnt vmcnt(35) lgkmcnt(1)
	v_mul_f64 v[67:68], v[12:13], v[97:98]
	v_mul_f64 v[16:17], v[10:11], v[97:98]
	s_waitcnt vmcnt(33)
	v_fma_f64 v[28:29], v[6:7], v[26:27], -v[28:29]
	v_fma_f64 v[26:27], v[8:9], v[26:27], v[81:82]
	ds_read_b128 v[6:9], v1 offset:1600
	v_add_f64 v[18:19], v[18:19], v[83:84]
	v_add_f64 v[14:15], v[14:15], v[20:21]
	s_waitcnt vmcnt(29) lgkmcnt(1)
	v_mul_f64 v[20:21], v[2:3], v[22:23]
	v_mul_f64 v[22:23], v[4:5], v[22:23]
	s_waitcnt vmcnt(28)
	v_fma_f64 v[67:68], v[10:11], v[114:115], -v[67:68]
	v_fma_f64 v[16:17], v[12:13], v[114:115], v[16:17]
	ds_read_b128 v[10:13], v1 offset:1616
	v_add_f64 v[18:19], v[18:19], v[28:29]
	v_add_f64 v[14:15], v[14:15], v[26:27]
	;; [unrolled: 9-line block ×3, first 2 shown]
	s_waitcnt vmcnt(21) lgkmcnt(1)
	v_mul_f64 v[24:25], v[12:13], v[30:31]
	s_waitcnt vmcnt(20)
	v_fma_f64 v[28:29], v[6:7], v[109:110], -v[28:29]
	v_mul_f64 v[16:17], v[10:11], v[30:31]
	v_add_f64 v[18:19], v[18:19], v[22:23]
	v_fma_f64 v[22:23], v[8:9], v[109:110], v[26:27]
	v_add_f64 v[14:15], v[14:15], v[20:21]
	ds_read_b128 v[6:9], v1 offset:1648
	s_waitcnt vmcnt(19) lgkmcnt(1)
	v_mul_f64 v[26:27], v[4:5], v[48:49]
	v_mul_f64 v[20:21], v[2:3], v[48:49]
	s_waitcnt vmcnt(17)
	v_fma_f64 v[24:25], v[10:11], v[34:35], -v[24:25]
	v_fma_f64 v[16:17], v[12:13], v[34:35], v[16:17]
	ds_read_b128 v[10:13], v1 offset:1664
	v_add_f64 v[18:19], v[18:19], v[28:29]
	v_add_f64 v[14:15], v[14:15], v[22:23]
	s_waitcnt vmcnt(13) lgkmcnt(1)
	v_mul_f64 v[28:29], v[8:9], v[32:33]
	s_waitcnt vmcnt(12)
	v_fma_f64 v[26:27], v[2:3], v[65:66], -v[26:27]
	v_mul_f64 v[22:23], v[6:7], v[32:33]
	v_fma_f64 v[20:21], v[4:5], v[65:66], v[20:21]
	ds_read_b128 v[1:4], v1 offset:1680
	v_add_f64 v[18:19], v[18:19], v[24:25]
	v_add_f64 v[14:15], v[14:15], v[16:17]
	s_waitcnt vmcnt(11) lgkmcnt(1)
	v_mul_f64 v[24:25], v[12:13], v[75:76]
	v_mul_f64 v[16:17], v[10:11], v[75:76]
	s_waitcnt vmcnt(9)
	v_fma_f64 v[5:6], v[6:7], v[36:37], -v[28:29]
	v_fma_f64 v[7:8], v[8:9], v[36:37], v[22:23]
	v_add_f64 v[18:19], v[18:19], v[26:27]
	v_add_f64 v[14:15], v[14:15], v[20:21]
	s_waitcnt vmcnt(7) lgkmcnt(0)
	v_mul_f64 v[22:23], v[3:4], v[40:41]
	s_waitcnt vmcnt(6)
	v_fma_f64 v[9:10], v[10:11], v[79:80], -v[24:25]
	v_mul_f64 v[20:21], v[1:2], v[40:41]
	v_fma_f64 v[11:12], v[12:13], v[79:80], v[16:17]
	v_add_f64 v[5:6], v[18:19], v[5:6]
	v_add_f64 v[7:8], v[14:15], v[7:8]
	s_waitcnt vmcnt(4)
	v_fma_f64 v[1:2], v[1:2], v[50:51], -v[22:23]
	v_fma_f64 v[3:4], v[3:4], v[50:51], v[20:21]
	v_add_f64 v[5:6], v[5:6], v[9:10]
	v_add_f64 v[7:8], v[7:8], v[11:12]
	;; [unrolled: 1-line block ×4, first 2 shown]
	s_waitcnt vmcnt(2)
	v_add_f64 v[1:2], v[77:78], -v[1:2]
	s_waitcnt vmcnt(0)
	v_add_f64 v[3:4], v[87:88], -v[3:4]
	buffer_store_dword v2, off, s[0:3], 0 offset:404
	buffer_store_dword v1, off, s[0:3], 0 offset:400
	;; [unrolled: 1-line block ×4, first 2 shown]
	v_cmpx_lt_u32_e32 23, v0
	s_cbranch_execz .LBB52_285
; %bb.284:
	v_mov_b32_e32 v4, s42
	v_mov_b32_e32 v5, 0
	s_clause 0x3
	buffer_load_dword v1, v4, s[0:3], 0 offen
	buffer_load_dword v2, v4, s[0:3], 0 offen offset:4
	buffer_load_dword v3, v4, s[0:3], 0 offen offset:8
	;; [unrolled: 1-line block ×3, first 2 shown]
	buffer_store_dword v5, off, s[0:3], 0 offset:384
	buffer_store_dword v5, off, s[0:3], 0 offset:388
	;; [unrolled: 1-line block ×4, first 2 shown]
	s_waitcnt vmcnt(0)
	ds_write_b128 v43, v[1:4]
.LBB52_285:
	s_or_b32 exec_lo, exec_lo, s4
	s_waitcnt lgkmcnt(0)
	s_waitcnt_vscnt null, 0x0
	s_barrier
	buffer_gl0_inv
	s_clause 0x37
	buffer_load_dword v9, off, s[0:3], 0 offset:408
	buffer_load_dword v10, off, s[0:3], 0 offset:412
	;; [unrolled: 1-line block ×56, first 2 shown]
	v_mov_b32_e32 v11, 0
	s_mov_b32 s4, exec_lo
	ds_read_b128 v[5:8], v11 offset:1232
	s_clause 0x2
	buffer_load_dword v94, off, s[0:3], 0 offset:636
	buffer_load_dword v98, off, s[0:3], 0 offset:612
	;; [unrolled: 1-line block ×3, first 2 shown]
	ds_read_b128 v[12:15], v11 offset:1248
	s_clause 0x4
	buffer_load_dword v102, off, s[0:3], 0 offset:652
	buffer_load_dword v103, off, s[0:3], 0 offset:664
	;; [unrolled: 1-line block ×5, first 2 shown]
	ds_read_b128 v[16:19], v11 offset:1264
	s_waitcnt vmcnt(62) lgkmcnt(2)
	v_mul_f64 v[99:100], v[7:8], v[9:10]
	v_mul_f64 v[9:10], v[5:6], v[9:10]
	s_waitcnt vmcnt(60) lgkmcnt(1)
	v_mul_f64 v[106:107], v[14:15], v[20:21]
	v_mul_f64 v[20:21], v[12:13], v[20:21]
	s_waitcnt vmcnt(56) lgkmcnt(0)
	v_mul_f64 v[110:111], v[18:19], v[3:4]
	v_mul_f64 v[108:109], v[16:17], v[3:4]
	v_fma_f64 v[99:100], v[5:6], v[22:23], -v[99:100]
	v_fma_f64 v[9:10], v[7:8], v[22:23], v[9:10]
	s_clause 0x2
	buffer_load_dword v104, off, s[0:3], 0 offset:668
	buffer_load_dword v23, off, s[0:3], 0 offset:644
	;; [unrolled: 1-line block ×3, first 2 shown]
	s_waitcnt vmcnt(57)
	v_fma_f64 v[12:13], v[12:13], v[1:2], -v[106:107]
	ds_read_b128 v[5:8], v11 offset:1280
	v_fma_f64 v[14:15], v[14:15], v[1:2], v[20:21]
	s_clause 0x4
	buffer_load_dword v21, off, s[0:3], 0 offset:684
	buffer_load_dword v107, off, s[0:3], 0 offset:696
	;; [unrolled: 1-line block ×5, first 2 shown]
	s_waitcnt vmcnt(56)
	v_fma_f64 v[16:17], v[16:17], v[30:31], -v[110:111]
	ds_read_b128 v[1:4], v11 offset:1296
	v_fma_f64 v[18:19], v[18:19], v[30:31], v[108:109]
	s_clause 0x2
	buffer_load_dword v108, off, s[0:3], 0 offset:700
	buffer_load_dword v31, off, s[0:3], 0 offset:676
	;; [unrolled: 1-line block ×3, first 2 shown]
	v_add_f64 v[99:100], v[99:100], 0
	v_add_f64 v[9:10], v[9:10], 0
	s_waitcnt lgkmcnt(1)
	v_mul_f64 v[113:114], v[5:6], v[24:25]
	v_mul_f64 v[24:25], v[7:8], v[24:25]
	s_waitcnt vmcnt(58) lgkmcnt(0)
	v_mul_f64 v[109:110], v[1:2], v[26:27]
	v_mul_f64 v[26:27], v[3:4], v[26:27]
	v_add_f64 v[99:100], v[99:100], v[12:13]
	v_add_f64 v[9:10], v[9:10], v[14:15]
	ds_read_b128 v[12:15], v11 offset:1312
	s_waitcnt vmcnt(56)
	v_fma_f64 v[24:25], v[5:6], v[32:33], -v[24:25]
	v_fma_f64 v[32:33], v[7:8], v[32:33], v[113:114]
	s_waitcnt vmcnt(51)
	v_fma_f64 v[26:27], v[1:2], v[28:29], -v[26:27]
	s_waitcnt lgkmcnt(0)
	v_mul_f64 v[115:116], v[12:13], v[34:35]
	v_add_f64 v[16:17], v[99:100], v[16:17]
	v_add_f64 v[9:10], v[9:10], v[18:19]
	s_clause 0x4
	buffer_load_dword v19, off, s[0:3], 0 offset:716
	buffer_load_dword v99, off, s[0:3], 0 offset:728
	;; [unrolled: 1-line block ×5, first 2 shown]
	v_mul_f64 v[34:35], v[14:15], v[34:35]
	ds_read_b128 v[5:8], v11 offset:1328
	v_add_f64 v[16:17], v[16:17], v[24:25]
	v_fma_f64 v[24:25], v[3:4], v[28:29], v[109:110]
	v_add_f64 v[9:10], v[9:10], v[32:33]
	s_clause 0x2
	buffer_load_dword v100, off, s[0:3], 0 offset:732
	buffer_load_dword v29, off, s[0:3], 0 offset:708
	;; [unrolled: 1-line block ×3, first 2 shown]
	s_waitcnt vmcnt(58) lgkmcnt(0)
	v_mul_f64 v[32:33], v[5:6], v[36:37]
	v_mul_f64 v[36:37], v[7:8], v[36:37]
	s_waitcnt vmcnt(56)
	v_fma_f64 v[34:35], v[12:13], v[40:41], -v[34:35]
	ds_read_b128 v[1:4], v11 offset:1344
	v_add_f64 v[16:17], v[16:17], v[26:27]
	v_fma_f64 v[26:27], v[14:15], v[40:41], v[115:116]
	v_add_f64 v[9:10], v[9:10], v[24:25]
	s_clause 0x4
	buffer_load_dword v25, off, s[0:3], 0 offset:748
	buffer_load_dword v40, off, s[0:3], 0 offset:760
	;; [unrolled: 1-line block ×5, first 2 shown]
	ds_read_b128 v[12:15], v11 offset:1360
	s_waitcnt vmcnt(57) lgkmcnt(1)
	v_mul_f64 v[110:111], v[1:2], v[48:49]
	v_mul_f64 v[48:49], v[3:4], v[48:49]
	s_waitcnt vmcnt(56)
	v_fma_f64 v[36:37], v[5:6], v[38:39], -v[36:37]
	v_fma_f64 v[32:33], v[7:8], v[38:39], v[32:33]
	v_add_f64 v[16:17], v[16:17], v[34:35]
	v_add_f64 v[9:10], v[9:10], v[26:27]
	s_clause 0x2
	buffer_load_dword v41, off, s[0:3], 0 offset:764
	buffer_load_dword v27, off, s[0:3], 0 offset:740
	;; [unrolled: 1-line block ×3, first 2 shown]
	s_waitcnt vmcnt(58) lgkmcnt(0)
	v_mul_f64 v[38:39], v[14:15], v[50:51]
	ds_read_b128 v[5:8], v11 offset:1376
	s_waitcnt vmcnt(56)
	v_fma_f64 v[48:49], v[1:2], v[67:68], -v[48:49]
	v_mul_f64 v[34:35], v[12:13], v[50:51]
	v_add_f64 v[16:17], v[16:17], v[36:37]
	v_fma_f64 v[36:37], v[3:4], v[67:68], v[110:111]
	v_add_f64 v[9:10], v[9:10], v[32:33]
	s_clause 0x4
	buffer_load_dword v33, off, s[0:3], 0 offset:780
	buffer_load_dword v50, off, s[0:3], 0 offset:792
	buffer_load_dword v67, off, s[0:3], 0 offset:784
	buffer_load_dword v32, off, s[0:3], 0 offset:776
	buffer_load_dword v110, off, s[0:3], 0 offset:756
	s_waitcnt vmcnt(57) lgkmcnt(0)
	v_mul_f64 v[116:117], v[5:6], v[75:76]
	v_mul_f64 v[75:76], v[7:8], v[75:76]
	s_waitcnt vmcnt(56)
	v_fma_f64 v[38:39], v[12:13], v[65:66], -v[38:39]
	ds_read_b128 v[1:4], v11 offset:1392
	v_fma_f64 v[34:35], v[14:15], v[65:66], v[34:35]
	v_add_f64 v[16:17], v[16:17], v[48:49]
	v_add_f64 v[9:10], v[9:10], v[36:37]
	s_clause 0x2
	buffer_load_dword v51, off, s[0:3], 0 offset:796
	buffer_load_dword v37, off, s[0:3], 0 offset:772
	buffer_load_dword v36, off, s[0:3], 0 offset:768
	ds_read_b128 v[12:15], v11 offset:1408
	s_waitcnt vmcnt(58) lgkmcnt(1)
	v_mul_f64 v[65:66], v[3:4], v[77:78]
	s_waitcnt vmcnt(56)
	v_fma_f64 v[75:76], v[5:6], v[81:82], -v[75:76]
	v_mul_f64 v[48:49], v[1:2], v[77:78]
	v_add_f64 v[16:17], v[16:17], v[38:39]
	v_fma_f64 v[38:39], v[7:8], v[81:82], v[116:117]
	v_add_f64 v[9:10], v[9:10], v[34:35]
	s_clause 0x4
	buffer_load_dword v35, off, s[0:3], 0 offset:812
	buffer_load_dword v77, off, s[0:3], 0 offset:824
	buffer_load_dword v81, off, s[0:3], 0 offset:816
	buffer_load_dword v34, off, s[0:3], 0 offset:808
	buffer_load_dword v68, off, s[0:3], 0 offset:788
	s_waitcnt vmcnt(57) lgkmcnt(0)
	v_mul_f64 v[116:117], v[12:13], v[83:84]
	v_mul_f64 v[82:83], v[14:15], v[83:84]
	s_waitcnt vmcnt(56)
	v_fma_f64 v[65:66], v[1:2], v[79:80], -v[65:66]
	ds_read_b128 v[5:8], v11 offset:1424
	v_fma_f64 v[48:49], v[3:4], v[79:80], v[48:49]
	v_add_f64 v[16:17], v[16:17], v[75:76]
	v_add_f64 v[9:10], v[9:10], v[38:39]
	s_clause 0x2
	buffer_load_dword v78, off, s[0:3], 0 offset:828
	buffer_load_dword v39, off, s[0:3], 0 offset:804
	buffer_load_dword v38, off, s[0:3], 0 offset:800
	ds_read_b128 v[1:4], v11 offset:1440
	s_waitcnt vmcnt(58) lgkmcnt(1)
	v_mul_f64 v[79:80], v[7:8], v[85:86]
	;; [unrolled: 28-line block ×3, first 2 shown]
	s_waitcnt vmcnt(56)
	v_fma_f64 v[91:92], v[1:2], v[97:98], -v[90:91]
	v_mul_f64 v[83:84], v[12:13], v[93:94]
	buffer_load_dword v90, off, s[0:3], 0 offset:852
	v_add_f64 v[16:17], v[16:17], v[79:80]
	v_fma_f64 v[79:80], v[3:4], v[97:98], v[116:117]
	v_add_f64 v[9:10], v[9:10], v[75:76]
	ds_read_b128 v[1:4], v11 offset:1488
	s_waitcnt vmcnt(53) lgkmcnt(1)
	v_mul_f64 v[93:94], v[7:8], v[101:102]
	s_waitcnt vmcnt(52)
	v_fma_f64 v[87:88], v[12:13], v[95:96], -v[87:88]
	v_mul_f64 v[75:76], v[5:6], v[101:102]
	v_fma_f64 v[83:84], v[14:15], v[95:96], v[83:84]
	ds_read_b128 v[12:15], v11 offset:1504
	v_add_f64 v[16:17], v[16:17], v[91:92]
	v_add_f64 v[9:10], v[9:10], v[79:80]
	s_waitcnt vmcnt(51) lgkmcnt(1)
	v_mul_f64 v[91:92], v[3:4], v[103:104]
	v_mul_f64 v[79:80], v[1:2], v[103:104]
	s_waitcnt vmcnt(49)
	v_fma_f64 v[93:94], v[5:6], v[22:23], -v[93:94]
	v_fma_f64 v[22:23], v[7:8], v[22:23], v[75:76]
	v_add_f64 v[16:17], v[16:17], v[87:88]
	s_waitcnt vmcnt(45) lgkmcnt(0)
	v_mul_f64 v[87:88], v[12:13], v[20:21]
	v_add_f64 v[9:10], v[9:10], v[83:84]
	s_clause 0x3
	buffer_load_dword v75, off, s[0:3], 0 offset:384
	buffer_load_dword v76, off, s[0:3], 0 offset:388
	;; [unrolled: 1-line block ×4, first 2 shown]
	v_mul_f64 v[20:21], v[14:15], v[20:21]
	ds_read_b128 v[5:8], v11 offset:1520
	s_waitcnt vmcnt(48)
	v_fma_f64 v[91:92], v[1:2], v[105:106], -v[91:92]
	v_fma_f64 v[79:80], v[3:4], v[105:106], v[79:80]
	ds_read_b128 v[1:4], v11 offset:1536
	v_add_f64 v[16:17], v[16:17], v[93:94]
	v_add_f64 v[9:10], v[9:10], v[22:23]
	s_waitcnt vmcnt(47) lgkmcnt(1)
	v_mul_f64 v[93:94], v[7:8], v[107:108]
	s_waitcnt vmcnt(45)
	v_fma_f64 v[20:21], v[12:13], v[30:31], -v[20:21]
	v_mul_f64 v[22:23], v[5:6], v[107:108]
	v_fma_f64 v[30:31], v[14:15], v[30:31], v[87:88]
	ds_read_b128 v[12:15], v11 offset:1552
	v_add_f64 v[16:17], v[16:17], v[91:92]
	v_add_f64 v[9:10], v[9:10], v[79:80]
	s_waitcnt vmcnt(41) lgkmcnt(1)
	v_mul_f64 v[79:80], v[1:2], v[18:19]
	v_mul_f64 v[18:19], v[3:4], v[18:19]
	s_waitcnt vmcnt(40)
	v_fma_f64 v[87:88], v[5:6], v[112:113], -v[93:94]
	v_add_f64 v[16:17], v[16:17], v[20:21]
	v_fma_f64 v[20:21], v[7:8], v[112:113], v[22:23]
	v_add_f64 v[9:10], v[9:10], v[30:31]
	ds_read_b128 v[5:8], v11 offset:1568
	s_waitcnt vmcnt(39) lgkmcnt(1)
	v_mul_f64 v[30:31], v[14:15], v[99:100]
	v_mul_f64 v[22:23], v[12:13], v[99:100]
	s_waitcnt vmcnt(37)
	v_fma_f64 v[18:19], v[1:2], v[28:29], -v[18:19]
	v_fma_f64 v[28:29], v[3:4], v[28:29], v[79:80]
	ds_read_b128 v[1:4], v11 offset:1584
	v_add_f64 v[16:17], v[16:17], v[87:88]
	v_add_f64 v[9:10], v[9:10], v[20:21]
	s_waitcnt vmcnt(33) lgkmcnt(1)
	v_mul_f64 v[20:21], v[5:6], v[24:25]
	v_mul_f64 v[24:25], v[7:8], v[24:25]
	s_waitcnt vmcnt(32)
	v_fma_f64 v[30:31], v[12:13], v[114:115], -v[30:31]
	v_add_f64 v[16:17], v[16:17], v[18:19]
	v_fma_f64 v[18:19], v[14:15], v[114:115], v[22:23]
	v_add_f64 v[9:10], v[9:10], v[28:29]
	ds_read_b128 v[12:15], v11 offset:1600
	s_waitcnt vmcnt(31) lgkmcnt(1)
	v_mul_f64 v[28:29], v[3:4], v[40:41]
	v_mul_f64 v[22:23], v[1:2], v[40:41]
	s_waitcnt vmcnt(29)
	v_fma_f64 v[24:25], v[5:6], v[26:27], -v[24:25]
	v_fma_f64 v[20:21], v[7:8], v[26:27], v[20:21]
	ds_read_b128 v[5:8], v11 offset:1616
	v_add_f64 v[16:17], v[16:17], v[30:31]
	v_add_f64 v[9:10], v[9:10], v[18:19]
	s_waitcnt vmcnt(25) lgkmcnt(1)
	v_mul_f64 v[26:27], v[14:15], v[32:33]
	s_waitcnt vmcnt(24)
	v_fma_f64 v[28:29], v[1:2], v[109:110], -v[28:29]
	v_mul_f64 v[18:19], v[12:13], v[32:33]
	v_fma_f64 v[22:23], v[3:4], v[109:110], v[22:23]
	ds_read_b128 v[1:4], v11 offset:1632
	v_add_f64 v[16:17], v[16:17], v[24:25]
	v_add_f64 v[9:10], v[9:10], v[20:21]
	s_waitcnt vmcnt(23) lgkmcnt(1)
	v_mul_f64 v[24:25], v[7:8], v[50:51]
	v_mul_f64 v[20:21], v[5:6], v[50:51]
	s_waitcnt vmcnt(21)
	v_fma_f64 v[26:27], v[12:13], v[36:37], -v[26:27]
	v_fma_f64 v[18:19], v[14:15], v[36:37], v[18:19]
	ds_read_b128 v[12:15], v11 offset:1648
	v_add_f64 v[16:17], v[16:17], v[28:29]
	v_add_f64 v[9:10], v[9:10], v[22:23]
	s_waitcnt vmcnt(17) lgkmcnt(1)
	v_mul_f64 v[28:29], v[3:4], v[34:35]
	s_waitcnt vmcnt(16)
	v_fma_f64 v[24:25], v[5:6], v[67:68], -v[24:25]
	v_mul_f64 v[22:23], v[1:2], v[34:35]
	v_fma_f64 v[20:21], v[7:8], v[67:68], v[20:21]
	ds_read_b128 v[5:8], v11 offset:1664
	v_add_f64 v[16:17], v[16:17], v[26:27]
	v_add_f64 v[9:10], v[9:10], v[18:19]
	s_waitcnt vmcnt(15) lgkmcnt(1)
	v_mul_f64 v[26:27], v[14:15], v[77:78]
	v_mul_f64 v[18:19], v[12:13], v[77:78]
	s_waitcnt vmcnt(13)
	v_fma_f64 v[28:29], v[1:2], v[38:39], -v[28:29]
	v_fma_f64 v[22:23], v[3:4], v[38:39], v[22:23]
	ds_read_b128 v[1:4], v11 offset:1680
	v_add_f64 v[16:17], v[16:17], v[24:25]
	v_add_f64 v[9:10], v[9:10], v[20:21]
	s_waitcnt vmcnt(9) lgkmcnt(1)
	v_mul_f64 v[24:25], v[7:8], v[48:49]
	s_waitcnt vmcnt(8)
	v_fma_f64 v[12:13], v[12:13], v[81:82], -v[26:27]
	v_mul_f64 v[20:21], v[5:6], v[48:49]
	v_fma_f64 v[14:15], v[14:15], v[81:82], v[18:19]
	v_add_f64 v[16:17], v[16:17], v[28:29]
	v_add_f64 v[9:10], v[9:10], v[22:23]
	s_waitcnt vmcnt(7) lgkmcnt(0)
	v_mul_f64 v[22:23], v[3:4], v[85:86]
	v_mul_f64 v[18:19], v[1:2], v[85:86]
	s_waitcnt vmcnt(5)
	v_fma_f64 v[5:6], v[5:6], v[65:66], -v[24:25]
	v_fma_f64 v[7:8], v[7:8], v[65:66], v[20:21]
	v_add_f64 v[12:13], v[16:17], v[12:13]
	v_add_f64 v[9:10], v[9:10], v[14:15]
	s_waitcnt vmcnt(4)
	v_fma_f64 v[1:2], v[1:2], v[89:90], -v[22:23]
	v_fma_f64 v[3:4], v[3:4], v[89:90], v[18:19]
	v_add_f64 v[5:6], v[12:13], v[5:6]
	v_add_f64 v[7:8], v[9:10], v[7:8]
	;; [unrolled: 1-line block ×4, first 2 shown]
	s_waitcnt vmcnt(2)
	v_add_f64 v[1:2], v[75:76], -v[1:2]
	s_waitcnt vmcnt(0)
	v_add_f64 v[3:4], v[83:84], -v[3:4]
	buffer_store_dword v2, off, s[0:3], 0 offset:388
	buffer_store_dword v1, off, s[0:3], 0 offset:384
	;; [unrolled: 1-line block ×4, first 2 shown]
	v_cmpx_lt_u32_e32 22, v0
	s_cbranch_execz .LBB52_287
; %bb.286:
	v_mov_b32_e32 v4, s43
	s_clause 0x3
	buffer_load_dword v1, v4, s[0:3], 0 offen
	buffer_load_dword v2, v4, s[0:3], 0 offen offset:4
	buffer_load_dword v3, v4, s[0:3], 0 offen offset:8
	;; [unrolled: 1-line block ×3, first 2 shown]
	buffer_store_dword v11, off, s[0:3], 0 offset:368
	buffer_store_dword v11, off, s[0:3], 0 offset:372
	;; [unrolled: 1-line block ×4, first 2 shown]
	s_waitcnt vmcnt(0)
	ds_write_b128 v43, v[1:4]
.LBB52_287:
	s_or_b32 exec_lo, exec_lo, s4
	s_waitcnt lgkmcnt(0)
	s_waitcnt_vscnt null, 0x0
	s_barrier
	buffer_gl0_inv
	s_clause 0x37
	buffer_load_dword v9, off, s[0:3], 0 offset:392
	buffer_load_dword v10, off, s[0:3], 0 offset:396
	;; [unrolled: 1-line block ×56, first 2 shown]
	ds_read_b128 v[12:15], v11 offset:1216
	s_clause 0x2
	buffer_load_dword v94, off, s[0:3], 0 offset:620
	buffer_load_dword v98, off, s[0:3], 0 offset:596
	;; [unrolled: 1-line block ×3, first 2 shown]
	ds_read_b128 v[16:19], v11 offset:1232
	s_clause 0x4
	buffer_load_dword v102, off, s[0:3], 0 offset:636
	buffer_load_dword v103, off, s[0:3], 0 offset:648
	;; [unrolled: 1-line block ×5, first 2 shown]
	ds_read_b128 v[20:23], v11 offset:1248
	s_clause 0x2
	buffer_load_dword v104, off, s[0:3], 0 offset:652
	buffer_load_dword v109, off, s[0:3], 0 offset:628
	buffer_load_dword v108, off, s[0:3], 0 offset:624
	s_mov_b32 s4, exec_lo
	s_waitcnt vmcnt(62) lgkmcnt(2)
	v_mul_f64 v[99:100], v[14:15], v[9:10]
	v_mul_f64 v[9:10], v[12:13], v[9:10]
	s_waitcnt lgkmcnt(1)
	v_mul_f64 v[106:107], v[18:19], v[5:6]
	s_waitcnt vmcnt(59) lgkmcnt(0)
	v_mul_f64 v[110:111], v[22:23], v[3:4]
	v_fma_f64 v[12:13], v[12:13], v[7:8], -v[99:100]
	v_mul_f64 v[99:100], v[16:17], v[5:6]
	v_fma_f64 v[9:10], v[14:15], v[7:8], v[9:10]
	s_waitcnt vmcnt(57)
	v_fma_f64 v[16:17], v[16:17], v[1:2], -v[106:107]
	ds_read_b128 v[5:8], v11 offset:1264
	v_mul_f64 v[14:15], v[20:21], v[3:4]
	s_waitcnt vmcnt(51)
	v_fma_f64 v[20:21], v[20:21], v[30:31], -v[110:111]
	v_add_f64 v[12:13], v[12:13], 0
	v_fma_f64 v[18:19], v[18:19], v[1:2], v[99:100]
	v_add_f64 v[9:10], v[9:10], 0
	s_clause 0x4
	buffer_load_dword v100, off, s[0:3], 0 offset:668
	buffer_load_dword v112, off, s[0:3], 0 offset:680
	;; [unrolled: 1-line block ×5, first 2 shown]
	s_waitcnt lgkmcnt(0)
	v_mul_f64 v[115:116], v[5:6], v[24:25]
	v_mul_f64 v[24:25], v[7:8], v[24:25]
	ds_read_b128 v[1:4], v11 offset:1280
	v_fma_f64 v[22:23], v[22:23], v[30:31], v[14:15]
	v_add_f64 v[16:17], v[12:13], v[16:17]
	v_add_f64 v[9:10], v[9:10], v[18:19]
	s_clause 0x2
	buffer_load_dword v113, off, s[0:3], 0 offset:684
	buffer_load_dword v19, off, s[0:3], 0 offset:660
	;; [unrolled: 1-line block ×3, first 2 shown]
	s_waitcnt vmcnt(58) lgkmcnt(0)
	v_mul_f64 v[30:31], v[1:2], v[26:27]
	v_mul_f64 v[26:27], v[3:4], v[26:27]
	s_waitcnt vmcnt(56)
	v_fma_f64 v[24:25], v[5:6], v[32:33], -v[24:25]
	ds_read_b128 v[12:15], v11 offset:1296
	v_add_f64 v[16:17], v[16:17], v[20:21]
	v_fma_f64 v[20:21], v[7:8], v[32:33], v[115:116]
	v_add_f64 v[9:10], v[9:10], v[22:23]
	s_clause 0x4
	buffer_load_dword v23, off, s[0:3], 0 offset:700
	buffer_load_dword v32, off, s[0:3], 0 offset:712
	;; [unrolled: 1-line block ×5, first 2 shown]
	ds_read_b128 v[5:8], v11 offset:1312
	s_waitcnt vmcnt(57) lgkmcnt(1)
	v_mul_f64 v[116:117], v[12:13], v[34:35]
	v_mul_f64 v[34:35], v[14:15], v[34:35]
	s_waitcnt vmcnt(56)
	v_fma_f64 v[26:27], v[1:2], v[28:29], -v[26:27]
	v_add_f64 v[16:17], v[16:17], v[24:25]
	v_fma_f64 v[24:25], v[3:4], v[28:29], v[30:31]
	v_add_f64 v[9:10], v[9:10], v[20:21]
	s_clause 0x2
	buffer_load_dword v33, off, s[0:3], 0 offset:716
	buffer_load_dword v21, off, s[0:3], 0 offset:692
	;; [unrolled: 1-line block ×3, first 2 shown]
	s_waitcnt vmcnt(58) lgkmcnt(0)
	v_mul_f64 v[30:31], v[7:8], v[36:37]
	ds_read_b128 v[1:4], v11 offset:1328
	s_waitcnt vmcnt(56)
	v_fma_f64 v[34:35], v[12:13], v[40:41], -v[34:35]
	v_mul_f64 v[28:29], v[5:6], v[36:37]
	v_add_f64 v[16:17], v[16:17], v[26:27]
	v_fma_f64 v[26:27], v[14:15], v[40:41], v[116:117]
	v_add_f64 v[9:10], v[9:10], v[24:25]
	s_clause 0x4
	buffer_load_dword v25, off, s[0:3], 0 offset:732
	buffer_load_dword v36, off, s[0:3], 0 offset:744
	buffer_load_dword v40, off, s[0:3], 0 offset:736
	buffer_load_dword v24, off, s[0:3], 0 offset:728
	buffer_load_dword v111, off, s[0:3], 0 offset:708
	s_waitcnt vmcnt(57) lgkmcnt(0)
	v_mul_f64 v[41:42], v[1:2], v[48:49]
	v_mul_f64 v[48:49], v[3:4], v[48:49]
	s_waitcnt vmcnt(56)
	v_fma_f64 v[30:31], v[5:6], v[38:39], -v[30:31]
	ds_read_b128 v[12:15], v11 offset:1344
	v_fma_f64 v[28:29], v[7:8], v[38:39], v[28:29]
	v_add_f64 v[16:17], v[16:17], v[34:35]
	v_add_f64 v[9:10], v[9:10], v[26:27]
	s_clause 0x2
	buffer_load_dword v37, off, s[0:3], 0 offset:748
	buffer_load_dword v27, off, s[0:3], 0 offset:724
	buffer_load_dword v26, off, s[0:3], 0 offset:720
	ds_read_b128 v[5:8], v11 offset:1360
	s_waitcnt vmcnt(58) lgkmcnt(1)
	v_mul_f64 v[38:39], v[14:15], v[50:51]
	s_waitcnt vmcnt(56)
	v_fma_f64 v[48:49], v[1:2], v[67:68], -v[48:49]
	v_mul_f64 v[34:35], v[12:13], v[50:51]
	v_add_f64 v[16:17], v[16:17], v[30:31]
	v_fma_f64 v[30:31], v[3:4], v[67:68], v[41:42]
	v_add_f64 v[9:10], v[9:10], v[28:29]
	s_clause 0x4
	buffer_load_dword v29, off, s[0:3], 0 offset:764
	buffer_load_dword v50, off, s[0:3], 0 offset:776
	buffer_load_dword v67, off, s[0:3], 0 offset:768
	buffer_load_dword v28, off, s[0:3], 0 offset:760
	buffer_load_dword v41, off, s[0:3], 0 offset:740
	s_waitcnt vmcnt(57) lgkmcnt(0)
	v_mul_f64 v[116:117], v[5:6], v[75:76]
	v_mul_f64 v[75:76], v[7:8], v[75:76]
	s_waitcnt vmcnt(56)
	v_fma_f64 v[38:39], v[12:13], v[65:66], -v[38:39]
	ds_read_b128 v[1:4], v11 offset:1376
	v_fma_f64 v[34:35], v[14:15], v[65:66], v[34:35]
	v_add_f64 v[16:17], v[16:17], v[48:49]
	v_add_f64 v[9:10], v[9:10], v[30:31]
	s_clause 0x2
	buffer_load_dword v51, off, s[0:3], 0 offset:780
	buffer_load_dword v31, off, s[0:3], 0 offset:756
	buffer_load_dword v30, off, s[0:3], 0 offset:752
	ds_read_b128 v[12:15], v11 offset:1392
	s_waitcnt vmcnt(58) lgkmcnt(1)
	v_mul_f64 v[65:66], v[3:4], v[77:78]
	;; [unrolled: 28-line block ×4, first 2 shown]
	s_waitcnt vmcnt(56)
	v_fma_f64 v[91:92], v[1:2], v[97:98], -v[90:91]
	v_mul_f64 v[83:84], v[12:13], v[93:94]
	v_add_f64 v[16:17], v[16:17], v[79:80]
	v_fma_f64 v[79:80], v[3:4], v[97:98], v[116:117]
	v_add_f64 v[9:10], v[9:10], v[75:76]
	s_clause 0x2
	buffer_load_dword v76, off, s[0:3], 0 offset:860
	buffer_load_dword v75, off, s[0:3], 0 offset:856
	;; [unrolled: 1-line block ×3, first 2 shown]
	s_waitcnt vmcnt(55) lgkmcnt(0)
	v_mul_f64 v[97:98], v[7:8], v[101:102]
	s_waitcnt vmcnt(54)
	v_fma_f64 v[87:88], v[12:13], v[95:96], -v[87:88]
	ds_read_b128 v[1:4], v11 offset:1472
	v_mul_f64 v[93:94], v[5:6], v[101:102]
	v_fma_f64 v[83:84], v[14:15], v[95:96], v[83:84]
	v_add_f64 v[16:17], v[16:17], v[91:92]
	v_add_f64 v[9:10], v[9:10], v[79:80]
	s_clause 0x1
	buffer_load_dword v80, off, s[0:3], 0 offset:852
	buffer_load_dword v79, off, s[0:3], 0 offset:848
	s_waitcnt vmcnt(55) lgkmcnt(0)
	v_mul_f64 v[95:96], v[3:4], v[103:104]
	s_waitcnt vmcnt(53)
	v_fma_f64 v[97:98], v[5:6], v[108:109], -v[97:98]
	ds_read_b128 v[12:15], v11 offset:1488
	v_mul_f64 v[91:92], v[1:2], v[103:104]
	v_add_f64 v[16:17], v[16:17], v[87:88]
	v_fma_f64 v[87:88], v[7:8], v[108:109], v[93:94]
	v_add_f64 v[9:10], v[9:10], v[83:84]
	ds_read_b128 v[5:8], v11 offset:1504
	s_waitcnt vmcnt(49) lgkmcnt(1)
	v_mul_f64 v[93:94], v[14:15], v[99:100]
	s_waitcnt vmcnt(48)
	v_fma_f64 v[95:96], v[1:2], v[105:106], -v[95:96]
	v_mul_f64 v[83:84], v[12:13], v[99:100]
	v_fma_f64 v[91:92], v[3:4], v[105:106], v[91:92]
	v_add_f64 v[16:17], v[16:17], v[97:98]
	v_add_f64 v[9:10], v[9:10], v[87:88]
	s_clause 0x3
	buffer_load_dword v87, off, s[0:3], 0 offset:368
	buffer_load_dword v88, off, s[0:3], 0 offset:372
	;; [unrolled: 1-line block ×4, first 2 shown]
	ds_read_b128 v[1:4], v11 offset:1520
	s_waitcnt vmcnt(51) lgkmcnt(1)
	v_mul_f64 v[101:102], v[7:8], v[112:113]
	v_mul_f64 v[99:100], v[5:6], v[112:113]
	s_waitcnt vmcnt(49)
	v_fma_f64 v[93:94], v[12:13], v[18:19], -v[93:94]
	v_fma_f64 v[18:19], v[14:15], v[18:19], v[83:84]
	ds_read_b128 v[12:15], v11 offset:1536
	v_add_f64 v[16:17], v[16:17], v[95:96]
	v_add_f64 v[9:10], v[9:10], v[91:92]
	s_waitcnt vmcnt(45) lgkmcnt(1)
	v_mul_f64 v[83:84], v[1:2], v[22:23]
	v_mul_f64 v[22:23], v[3:4], v[22:23]
	s_waitcnt vmcnt(44)
	v_fma_f64 v[91:92], v[5:6], v[114:115], -v[101:102]
	v_add_f64 v[16:17], v[16:17], v[93:94]
	v_fma_f64 v[93:94], v[7:8], v[114:115], v[99:100]
	v_add_f64 v[9:10], v[9:10], v[18:19]
	ds_read_b128 v[5:8], v11 offset:1552
	s_waitcnt vmcnt(43) lgkmcnt(1)
	v_mul_f64 v[18:19], v[12:13], v[32:33]
	v_mul_f64 v[32:33], v[14:15], v[32:33]
	s_waitcnt vmcnt(41)
	v_fma_f64 v[22:23], v[1:2], v[20:21], -v[22:23]
	v_fma_f64 v[20:21], v[3:4], v[20:21], v[83:84]
	ds_read_b128 v[1:4], v11 offset:1568
	v_add_f64 v[16:17], v[16:17], v[91:92]
	v_add_f64 v[9:10], v[9:10], v[93:94]
	s_waitcnt vmcnt(37) lgkmcnt(1)
	v_mul_f64 v[83:84], v[5:6], v[24:25]
	v_mul_f64 v[24:25], v[7:8], v[24:25]
	s_waitcnt vmcnt(36)
	v_fma_f64 v[32:33], v[12:13], v[110:111], -v[32:33]
	v_fma_f64 v[18:19], v[14:15], v[110:111], v[18:19]
	ds_read_b128 v[12:15], v11 offset:1584
	v_add_f64 v[16:17], v[16:17], v[22:23]
	v_add_f64 v[9:10], v[9:10], v[20:21]
	;; [unrolled: 9-line block ×5, first 2 shown]
	s_waitcnt vmcnt(21) lgkmcnt(1)
	v_mul_f64 v[22:23], v[3:4], v[34:35]
	s_waitcnt vmcnt(20)
	v_fma_f64 v[26:27], v[5:6], v[67:68], -v[26:27]
	v_mul_f64 v[20:21], v[1:2], v[34:35]
	v_fma_f64 v[24:25], v[7:8], v[67:68], v[24:25]
	ds_read_b128 v[5:8], v11 offset:1648
	v_add_f64 v[16:17], v[16:17], v[28:29]
	v_add_f64 v[9:10], v[9:10], v[18:19]
	s_waitcnt vmcnt(19) lgkmcnt(1)
	v_mul_f64 v[28:29], v[14:15], v[77:78]
	v_mul_f64 v[18:19], v[12:13], v[77:78]
	s_waitcnt vmcnt(17)
	v_fma_f64 v[22:23], v[1:2], v[38:39], -v[22:23]
	v_fma_f64 v[20:21], v[3:4], v[38:39], v[20:21]
	ds_read_b128 v[1:4], v11 offset:1664
	v_add_f64 v[16:17], v[16:17], v[26:27]
	v_add_f64 v[9:10], v[9:10], v[24:25]
	s_waitcnt vmcnt(13) lgkmcnt(1)
	v_mul_f64 v[26:27], v[7:8], v[48:49]
	s_waitcnt vmcnt(12)
	v_fma_f64 v[28:29], v[12:13], v[81:82], -v[28:29]
	v_mul_f64 v[24:25], v[5:6], v[48:49]
	v_fma_f64 v[13:14], v[14:15], v[81:82], v[18:19]
	v_add_f64 v[16:17], v[16:17], v[22:23]
	v_add_f64 v[18:19], v[9:10], v[20:21]
	ds_read_b128 v[9:12], v11 offset:1680
	s_waitcnt vmcnt(11) lgkmcnt(1)
	v_mul_f64 v[22:23], v[3:4], v[85:86]
	v_mul_f64 v[20:21], v[1:2], v[85:86]
	s_waitcnt vmcnt(9)
	v_fma_f64 v[5:6], v[5:6], v[65:66], -v[26:27]
	v_fma_f64 v[7:8], v[7:8], v[65:66], v[24:25]
	v_add_f64 v[15:16], v[16:17], v[28:29]
	v_add_f64 v[13:14], v[18:19], v[13:14]
	s_waitcnt vmcnt(7) lgkmcnt(0)
	v_mul_f64 v[24:25], v[11:12], v[75:76]
	s_waitcnt vmcnt(6)
	v_fma_f64 v[1:2], v[1:2], v[89:90], -v[22:23]
	v_mul_f64 v[17:18], v[9:10], v[75:76]
	v_fma_f64 v[3:4], v[3:4], v[89:90], v[20:21]
	v_add_f64 v[5:6], v[15:16], v[5:6]
	v_add_f64 v[7:8], v[13:14], v[7:8]
	s_waitcnt vmcnt(4)
	v_fma_f64 v[9:10], v[9:10], v[79:80], -v[24:25]
	v_add_f64 v[1:2], v[5:6], v[1:2]
	v_fma_f64 v[5:6], v[11:12], v[79:80], v[17:18]
	v_add_f64 v[3:4], v[7:8], v[3:4]
	v_add_f64 v[1:2], v[1:2], v[9:10]
	;; [unrolled: 1-line block ×3, first 2 shown]
	s_waitcnt vmcnt(2)
	v_add_f64 v[1:2], v[87:88], -v[1:2]
	s_waitcnt vmcnt(0)
	v_add_f64 v[3:4], v[97:98], -v[3:4]
	buffer_store_dword v2, off, s[0:3], 0 offset:372
	buffer_store_dword v1, off, s[0:3], 0 offset:368
	;; [unrolled: 1-line block ×4, first 2 shown]
	v_cmpx_lt_u32_e32 21, v0
	s_cbranch_execz .LBB52_289
; %bb.288:
	v_mov_b32_e32 v4, s44
	v_mov_b32_e32 v5, 0
	s_clause 0x3
	buffer_load_dword v1, v4, s[0:3], 0 offen
	buffer_load_dword v2, v4, s[0:3], 0 offen offset:4
	buffer_load_dword v3, v4, s[0:3], 0 offen offset:8
	;; [unrolled: 1-line block ×3, first 2 shown]
	buffer_store_dword v5, off, s[0:3], 0 offset:352
	buffer_store_dword v5, off, s[0:3], 0 offset:356
	;; [unrolled: 1-line block ×4, first 2 shown]
	s_waitcnt vmcnt(0)
	ds_write_b128 v43, v[1:4]
.LBB52_289:
	s_or_b32 exec_lo, exec_lo, s4
	s_waitcnt lgkmcnt(0)
	s_waitcnt_vscnt null, 0x0
	s_barrier
	buffer_gl0_inv
	s_clause 0x37
	buffer_load_dword v9, off, s[0:3], 0 offset:376
	buffer_load_dword v10, off, s[0:3], 0 offset:380
	;; [unrolled: 1-line block ×56, first 2 shown]
	v_mov_b32_e32 v29, 0
	s_mov_b32 s4, exec_lo
	ds_read_b128 v[17:20], v29 offset:1200
	s_clause 0x2
	buffer_load_dword v94, off, s[0:3], 0 offset:604
	buffer_load_dword v98, off, s[0:3], 0 offset:580
	;; [unrolled: 1-line block ×3, first 2 shown]
	ds_read_b128 v[21:24], v29 offset:1216
	s_clause 0x4
	buffer_load_dword v102, off, s[0:3], 0 offset:620
	buffer_load_dword v103, off, s[0:3], 0 offset:632
	buffer_load_dword v105, off, s[0:3], 0 offset:624
	buffer_load_dword v101, off, s[0:3], 0 offset:616
	buffer_load_dword v96, off, s[0:3], 0 offset:596
	ds_read_b128 v[25:28], v29 offset:1232
	s_clause 0x2
	buffer_load_dword v104, off, s[0:3], 0 offset:636
	buffer_load_dword v109, off, s[0:3], 0 offset:612
	;; [unrolled: 1-line block ×3, first 2 shown]
	s_waitcnt vmcnt(62) lgkmcnt(2)
	v_mul_f64 v[99:100], v[19:20], v[9:10]
	v_mul_f64 v[9:10], v[17:18], v[9:10]
	s_waitcnt lgkmcnt(1)
	v_mul_f64 v[106:107], v[23:24], v[5:6]
	s_waitcnt vmcnt(59) lgkmcnt(0)
	v_mul_f64 v[110:111], v[27:28], v[3:4]
	v_fma_f64 v[17:18], v[17:18], v[7:8], -v[99:100]
	v_mul_f64 v[99:100], v[21:22], v[5:6]
	v_fma_f64 v[9:10], v[19:20], v[7:8], v[9:10]
	s_waitcnt vmcnt(57)
	v_fma_f64 v[21:22], v[21:22], v[1:2], -v[106:107]
	ds_read_b128 v[5:8], v29 offset:1248
	v_mul_f64 v[19:20], v[25:26], v[3:4]
	s_waitcnt vmcnt(51)
	v_fma_f64 v[25:26], v[25:26], v[32:33], -v[110:111]
	v_add_f64 v[17:18], v[17:18], 0
	v_fma_f64 v[23:24], v[23:24], v[1:2], v[99:100]
	v_add_f64 v[9:10], v[9:10], 0
	s_clause 0x4
	buffer_load_dword v100, off, s[0:3], 0 offset:652
	buffer_load_dword v112, off, s[0:3], 0 offset:664
	;; [unrolled: 1-line block ×5, first 2 shown]
	s_waitcnt lgkmcnt(0)
	v_mul_f64 v[115:116], v[5:6], v[13:14]
	v_mul_f64 v[13:14], v[7:8], v[13:14]
	ds_read_b128 v[1:4], v29 offset:1264
	v_fma_f64 v[27:28], v[27:28], v[32:33], v[19:20]
	v_add_f64 v[21:22], v[17:18], v[21:22]
	v_add_f64 v[9:10], v[9:10], v[23:24]
	s_clause 0x2
	buffer_load_dword v113, off, s[0:3], 0 offset:668
	buffer_load_dword v24, off, s[0:3], 0 offset:644
	buffer_load_dword v23, off, s[0:3], 0 offset:640
	s_waitcnt vmcnt(58) lgkmcnt(0)
	v_mul_f64 v[32:33], v[1:2], v[30:31]
	v_mul_f64 v[30:31], v[3:4], v[30:31]
	s_waitcnt vmcnt(56)
	v_fma_f64 v[13:14], v[5:6], v[34:35], -v[13:14]
	ds_read_b128 v[17:20], v29 offset:1280
	v_add_f64 v[21:22], v[21:22], v[25:26]
	v_fma_f64 v[25:26], v[7:8], v[34:35], v[115:116]
	v_add_f64 v[9:10], v[9:10], v[27:28]
	s_clause 0x4
	buffer_load_dword v28, off, s[0:3], 0 offset:684
	buffer_load_dword v34, off, s[0:3], 0 offset:696
	;; [unrolled: 1-line block ×5, first 2 shown]
	ds_read_b128 v[5:8], v29 offset:1296
	s_waitcnt vmcnt(57) lgkmcnt(1)
	v_mul_f64 v[116:117], v[17:18], v[36:37]
	v_mul_f64 v[36:37], v[19:20], v[36:37]
	s_waitcnt vmcnt(56)
	v_fma_f64 v[30:31], v[1:2], v[11:12], -v[30:31]
	v_fma_f64 v[11:12], v[3:4], v[11:12], v[32:33]
	v_add_f64 v[13:14], v[21:22], v[13:14]
	s_clause 0x2
	buffer_load_dword v35, off, s[0:3], 0 offset:700
	buffer_load_dword v22, off, s[0:3], 0 offset:676
	;; [unrolled: 1-line block ×3, first 2 shown]
	v_add_f64 v[9:10], v[9:10], v[25:26]
	s_waitcnt vmcnt(58) lgkmcnt(0)
	v_mul_f64 v[32:33], v[7:8], v[38:39]
	ds_read_b128 v[1:4], v29 offset:1312
	v_mul_f64 v[25:26], v[5:6], v[38:39]
	s_waitcnt vmcnt(56)
	v_fma_f64 v[17:18], v[17:18], v[40:41], -v[36:37]
	v_fma_f64 v[19:20], v[19:20], v[40:41], v[116:117]
	s_clause 0x4
	buffer_load_dword v37, off, s[0:3], 0 offset:716
	buffer_load_dword v38, off, s[0:3], 0 offset:728
	;; [unrolled: 1-line block ×5, first 2 shown]
	v_add_f64 v[13:14], v[13:14], v[30:31]
	v_add_f64 v[30:31], v[9:10], v[11:12]
	s_waitcnt vmcnt(57) lgkmcnt(0)
	v_mul_f64 v[41:42], v[1:2], v[48:49]
	v_mul_f64 v[48:49], v[3:4], v[48:49]
	s_waitcnt vmcnt(56)
	v_fma_f64 v[32:33], v[5:6], v[15:16], -v[32:33]
	ds_read_b128 v[9:12], v29 offset:1328
	v_fma_f64 v[15:16], v[7:8], v[15:16], v[25:26]
	v_add_f64 v[13:14], v[13:14], v[17:18]
	v_add_f64 v[17:18], v[30:31], v[19:20]
	s_clause 0x2
	buffer_load_dword v39, off, s[0:3], 0 offset:732
	buffer_load_dword v20, off, s[0:3], 0 offset:708
	;; [unrolled: 1-line block ×3, first 2 shown]
	s_waitcnt vmcnt(58) lgkmcnt(0)
	v_mul_f64 v[30:31], v[11:12], v[50:51]
	s_waitcnt vmcnt(56)
	v_fma_f64 v[48:49], v[1:2], v[67:68], -v[48:49]
	ds_read_b128 v[5:8], v29 offset:1344
	v_mul_f64 v[25:26], v[9:10], v[50:51]
	v_add_f64 v[13:14], v[13:14], v[32:33]
	v_fma_f64 v[32:33], v[3:4], v[67:68], v[41:42]
	v_add_f64 v[15:16], v[17:18], v[15:16]
	s_clause 0x4
	buffer_load_dword v18, off, s[0:3], 0 offset:748
	buffer_load_dword v50, off, s[0:3], 0 offset:760
	buffer_load_dword v67, off, s[0:3], 0 offset:752
	buffer_load_dword v17, off, s[0:3], 0 offset:744
	buffer_load_dword v41, off, s[0:3], 0 offset:724
	s_waitcnt vmcnt(57) lgkmcnt(0)
	v_mul_f64 v[116:117], v[5:6], v[75:76]
	v_mul_f64 v[75:76], v[7:8], v[75:76]
	s_waitcnt vmcnt(56)
	v_fma_f64 v[30:31], v[9:10], v[65:66], -v[30:31]
	ds_read_b128 v[1:4], v29 offset:1360
	v_fma_f64 v[25:26], v[11:12], v[65:66], v[25:26]
	v_add_f64 v[13:14], v[13:14], v[48:49]
	v_add_f64 v[15:16], v[15:16], v[32:33]
	s_clause 0x2
	buffer_load_dword v51, off, s[0:3], 0 offset:764
	buffer_load_dword v33, off, s[0:3], 0 offset:740
	buffer_load_dword v32, off, s[0:3], 0 offset:736
	ds_read_b128 v[9:12], v29 offset:1376
	s_waitcnt vmcnt(58) lgkmcnt(1)
	v_mul_f64 v[65:66], v[3:4], v[77:78]
	s_waitcnt vmcnt(56)
	v_fma_f64 v[75:76], v[5:6], v[81:82], -v[75:76]
	v_mul_f64 v[48:49], v[1:2], v[77:78]
	v_add_f64 v[13:14], v[13:14], v[30:31]
	v_fma_f64 v[30:31], v[7:8], v[81:82], v[116:117]
	v_add_f64 v[15:16], v[15:16], v[25:26]
	s_clause 0x4
	buffer_load_dword v26, off, s[0:3], 0 offset:780
	buffer_load_dword v77, off, s[0:3], 0 offset:792
	buffer_load_dword v81, off, s[0:3], 0 offset:784
	buffer_load_dword v25, off, s[0:3], 0 offset:776
	buffer_load_dword v68, off, s[0:3], 0 offset:756
	s_waitcnt vmcnt(57) lgkmcnt(0)
	v_mul_f64 v[116:117], v[9:10], v[83:84]
	v_mul_f64 v[82:83], v[11:12], v[83:84]
	s_waitcnt vmcnt(56)
	v_fma_f64 v[65:66], v[1:2], v[79:80], -v[65:66]
	ds_read_b128 v[5:8], v29 offset:1392
	v_fma_f64 v[48:49], v[3:4], v[79:80], v[48:49]
	v_add_f64 v[13:14], v[13:14], v[75:76]
	v_add_f64 v[15:16], v[15:16], v[30:31]
	s_clause 0x2
	buffer_load_dword v78, off, s[0:3], 0 offset:796
	buffer_load_dword v31, off, s[0:3], 0 offset:772
	buffer_load_dword v30, off, s[0:3], 0 offset:768
	ds_read_b128 v[1:4], v29 offset:1408
	s_waitcnt vmcnt(58) lgkmcnt(1)
	v_mul_f64 v[79:80], v[7:8], v[85:86]
	s_waitcnt vmcnt(56)
	v_fma_f64 v[83:84], v[9:10], v[89:90], -v[82:83]
	;; [unrolled: 28-line block ×4, first 2 shown]
	v_mul_f64 v[91:92], v[1:2], v[103:104]
	buffer_load_dword v98, off, s[0:3], 0 offset:852
	v_add_f64 v[13:14], v[13:14], v[87:88]
	v_fma_f64 v[87:88], v[7:8], v[108:109], v[116:117]
	v_add_f64 v[15:16], v[15:16], v[83:84]
	ds_read_b128 v[5:8], v29 offset:1488
	s_waitcnt vmcnt(53) lgkmcnt(1)
	v_mul_f64 v[83:84], v[9:10], v[99:100]
	v_mul_f64 v[99:100], v[11:12], v[99:100]
	s_waitcnt vmcnt(52)
	v_fma_f64 v[95:96], v[1:2], v[105:106], -v[95:96]
	v_fma_f64 v[91:92], v[3:4], v[105:106], v[91:92]
	ds_read_b128 v[1:4], v29 offset:1504
	v_add_f64 v[13:14], v[13:14], v[101:102]
	v_add_f64 v[15:16], v[15:16], v[87:88]
	s_waitcnt vmcnt(51) lgkmcnt(1)
	v_mul_f64 v[101:102], v[7:8], v[112:113]
	v_mul_f64 v[87:88], v[5:6], v[112:113]
	s_waitcnt vmcnt(49)
	v_fma_f64 v[99:100], v[9:10], v[23:24], -v[99:100]
	v_fma_f64 v[23:24], v[11:12], v[23:24], v[83:84]
	v_add_f64 v[13:14], v[13:14], v[95:96]
	v_add_f64 v[15:16], v[15:16], v[91:92]
	s_clause 0x3
	buffer_load_dword v83, off, s[0:3], 0 offset:352
	buffer_load_dword v84, off, s[0:3], 0 offset:356
	buffer_load_dword v91, off, s[0:3], 0 offset:360
	buffer_load_dword v92, off, s[0:3], 0 offset:364
	ds_read_b128 v[9:12], v29 offset:1520
	s_waitcnt vmcnt(49) lgkmcnt(1)
	v_mul_f64 v[95:96], v[1:2], v[27:28]
	v_mul_f64 v[27:28], v[3:4], v[27:28]
	s_waitcnt vmcnt(48)
	v_fma_f64 v[101:102], v[5:6], v[114:115], -v[101:102]
	v_fma_f64 v[87:88], v[7:8], v[114:115], v[87:88]
	ds_read_b128 v[5:8], v29 offset:1536
	v_add_f64 v[13:14], v[13:14], v[99:100]
	v_add_f64 v[15:16], v[15:16], v[23:24]
	s_waitcnt vmcnt(47) lgkmcnt(1)
	v_mul_f64 v[23:24], v[9:10], v[34:35]
	v_mul_f64 v[34:35], v[11:12], v[34:35]
	s_waitcnt vmcnt(45)
	v_fma_f64 v[27:28], v[1:2], v[21:22], -v[27:28]
	v_fma_f64 v[21:22], v[3:4], v[21:22], v[95:96]
	ds_read_b128 v[1:4], v29 offset:1552
	v_add_f64 v[13:14], v[13:14], v[101:102]
	v_add_f64 v[15:16], v[15:16], v[87:88]
	s_waitcnt vmcnt(41) lgkmcnt(1)
	v_mul_f64 v[87:88], v[5:6], v[36:37]
	v_mul_f64 v[36:37], v[7:8], v[36:37]
	s_waitcnt vmcnt(40)
	v_fma_f64 v[23:24], v[11:12], v[110:111], v[23:24]
	v_fma_f64 v[34:35], v[9:10], v[110:111], -v[34:35]
	ds_read_b128 v[9:12], v29 offset:1568
	v_add_f64 v[13:14], v[13:14], v[27:28]
	v_add_f64 v[15:16], v[15:16], v[21:22]
	s_waitcnt vmcnt(39) lgkmcnt(1)
	v_mul_f64 v[27:28], v[3:4], v[38:39]
	v_mul_f64 v[21:22], v[1:2], v[38:39]
	s_waitcnt vmcnt(37)
	v_fma_f64 v[36:37], v[5:6], v[19:20], -v[36:37]
	v_fma_f64 v[19:20], v[7:8], v[19:20], v[87:88]
	ds_read_b128 v[5:8], v29 offset:1584
	v_add_f64 v[13:14], v[13:14], v[34:35]
	v_add_f64 v[15:16], v[15:16], v[23:24]
	s_waitcnt vmcnt(33) lgkmcnt(1)
	v_mul_f64 v[23:24], v[9:10], v[17:18]
	v_mul_f64 v[17:18], v[11:12], v[17:18]
	s_waitcnt vmcnt(32)
	v_fma_f64 v[27:28], v[1:2], v[40:41], -v[27:28]
	v_fma_f64 v[21:22], v[3:4], v[40:41], v[21:22]
	;; [unrolled: 9-line block ×3, first 2 shown]
	ds_read_b128 v[9:12], v29 offset:1616
	v_add_f64 v[13:14], v[13:14], v[27:28]
	v_add_f64 v[15:16], v[15:16], v[21:22]
	s_waitcnt vmcnt(25) lgkmcnt(1)
	v_mul_f64 v[21:22], v[1:2], v[25:26]
	v_mul_f64 v[25:26], v[3:4], v[25:26]
	s_waitcnt vmcnt(24)
	v_fma_f64 v[27:28], v[5:6], v[67:68], -v[34:35]
	v_add_f64 v[13:14], v[13:14], v[17:18]
	v_fma_f64 v[17:18], v[7:8], v[67:68], v[19:20]
	v_add_f64 v[15:16], v[15:16], v[23:24]
	ds_read_b128 v[5:8], v29 offset:1632
	s_waitcnt vmcnt(23) lgkmcnt(1)
	v_mul_f64 v[23:24], v[11:12], v[77:78]
	v_mul_f64 v[19:20], v[9:10], v[77:78]
	s_waitcnt vmcnt(21)
	v_fma_f64 v[25:26], v[1:2], v[30:31], -v[25:26]
	v_fma_f64 v[21:22], v[3:4], v[30:31], v[21:22]
	ds_read_b128 v[1:4], v29 offset:1648
	v_add_f64 v[13:14], v[13:14], v[27:28]
	v_add_f64 v[15:16], v[15:16], v[17:18]
	s_waitcnt vmcnt(17) lgkmcnt(1)
	v_mul_f64 v[27:28], v[7:8], v[48:49]
	s_waitcnt vmcnt(16)
	v_fma_f64 v[23:24], v[9:10], v[81:82], -v[23:24]
	v_mul_f64 v[17:18], v[5:6], v[48:49]
	v_fma_f64 v[19:20], v[11:12], v[81:82], v[19:20]
	ds_read_b128 v[9:12], v29 offset:1664
	v_add_f64 v[13:14], v[13:14], v[25:26]
	v_add_f64 v[15:16], v[15:16], v[21:22]
	s_waitcnt vmcnt(15) lgkmcnt(1)
	v_mul_f64 v[25:26], v[3:4], v[85:86]
	v_mul_f64 v[21:22], v[1:2], v[85:86]
	s_waitcnt vmcnt(13)
	v_fma_f64 v[27:28], v[5:6], v[65:66], -v[27:28]
	v_fma_f64 v[17:18], v[7:8], v[65:66], v[17:18]
	ds_read_b128 v[5:8], v29 offset:1680
	v_add_f64 v[13:14], v[13:14], v[23:24]
	v_add_f64 v[15:16], v[15:16], v[19:20]
	s_waitcnt vmcnt(9) lgkmcnt(1)
	v_mul_f64 v[23:24], v[11:12], v[75:76]
	s_waitcnt vmcnt(8)
	v_fma_f64 v[1:2], v[1:2], v[89:90], -v[25:26]
	v_mul_f64 v[19:20], v[9:10], v[75:76]
	v_fma_f64 v[3:4], v[3:4], v[89:90], v[21:22]
	v_add_f64 v[13:14], v[13:14], v[27:28]
	v_add_f64 v[15:16], v[15:16], v[17:18]
	s_waitcnt vmcnt(7) lgkmcnt(0)
	v_mul_f64 v[21:22], v[7:8], v[93:94]
	v_mul_f64 v[17:18], v[5:6], v[93:94]
	s_waitcnt vmcnt(5)
	v_fma_f64 v[9:10], v[9:10], v[79:80], -v[23:24]
	v_fma_f64 v[11:12], v[11:12], v[79:80], v[19:20]
	v_add_f64 v[1:2], v[13:14], v[1:2]
	v_add_f64 v[3:4], v[15:16], v[3:4]
	s_waitcnt vmcnt(4)
	v_fma_f64 v[5:6], v[5:6], v[97:98], -v[21:22]
	v_fma_f64 v[7:8], v[7:8], v[97:98], v[17:18]
	v_add_f64 v[1:2], v[1:2], v[9:10]
	v_add_f64 v[3:4], v[3:4], v[11:12]
	;; [unrolled: 1-line block ×4, first 2 shown]
	s_waitcnt vmcnt(2)
	v_add_f64 v[1:2], v[83:84], -v[1:2]
	s_waitcnt vmcnt(0)
	v_add_f64 v[3:4], v[91:92], -v[3:4]
	buffer_store_dword v2, off, s[0:3], 0 offset:356
	buffer_store_dword v1, off, s[0:3], 0 offset:352
	;; [unrolled: 1-line block ×4, first 2 shown]
	v_cmpx_lt_u32_e32 20, v0
	s_cbranch_execz .LBB52_291
; %bb.290:
	v_mov_b32_e32 v4, s45
	s_clause 0x3
	buffer_load_dword v1, v4, s[0:3], 0 offen
	buffer_load_dword v2, v4, s[0:3], 0 offen offset:4
	buffer_load_dword v3, v4, s[0:3], 0 offen offset:8
	;; [unrolled: 1-line block ×3, first 2 shown]
	buffer_store_dword v29, off, s[0:3], 0 offset:336
	buffer_store_dword v29, off, s[0:3], 0 offset:340
	;; [unrolled: 1-line block ×4, first 2 shown]
	s_waitcnt vmcnt(0)
	ds_write_b128 v43, v[1:4]
.LBB52_291:
	s_or_b32 exec_lo, exec_lo, s4
	s_waitcnt lgkmcnt(0)
	s_waitcnt_vscnt null, 0x0
	s_barrier
	buffer_gl0_inv
	s_clause 0x37
	buffer_load_dword v9, off, s[0:3], 0 offset:360
	buffer_load_dword v10, off, s[0:3], 0 offset:364
	;; [unrolled: 1-line block ×56, first 2 shown]
	ds_read_b128 v[30:33], v29 offset:1184
	s_clause 0x2
	buffer_load_dword v94, off, s[0:3], 0 offset:588
	buffer_load_dword v98, off, s[0:3], 0 offset:564
	;; [unrolled: 1-line block ×3, first 2 shown]
	ds_read_b128 v[34:37], v29 offset:1200
	s_clause 0x4
	buffer_load_dword v102, off, s[0:3], 0 offset:604
	buffer_load_dword v103, off, s[0:3], 0 offset:616
	buffer_load_dword v105, off, s[0:3], 0 offset:608
	buffer_load_dword v101, off, s[0:3], 0 offset:600
	buffer_load_dword v96, off, s[0:3], 0 offset:580
	ds_read_b128 v[38:41], v29 offset:1216
	s_clause 0x2
	buffer_load_dword v104, off, s[0:3], 0 offset:620
	buffer_load_dword v109, off, s[0:3], 0 offset:596
	;; [unrolled: 1-line block ×3, first 2 shown]
	s_mov_b32 s4, exec_lo
	s_waitcnt vmcnt(62) lgkmcnt(2)
	v_mul_f64 v[99:100], v[32:33], v[9:10]
	v_mul_f64 v[9:10], v[30:31], v[9:10]
	s_waitcnt lgkmcnt(1)
	v_mul_f64 v[106:107], v[36:37], v[5:6]
	s_waitcnt vmcnt(59) lgkmcnt(0)
	v_mul_f64 v[110:111], v[40:41], v[3:4]
	v_fma_f64 v[30:31], v[30:31], v[7:8], -v[99:100]
	v_mul_f64 v[99:100], v[34:35], v[5:6]
	v_fma_f64 v[9:10], v[32:33], v[7:8], v[9:10]
	s_waitcnt vmcnt(57)
	v_fma_f64 v[34:35], v[34:35], v[1:2], -v[106:107]
	ds_read_b128 v[5:8], v29 offset:1232
	v_mul_f64 v[32:33], v[38:39], v[3:4]
	s_waitcnt vmcnt(51)
	v_fma_f64 v[38:39], v[38:39], v[25:26], -v[110:111]
	v_add_f64 v[30:31], v[30:31], 0
	v_fma_f64 v[36:37], v[36:37], v[1:2], v[99:100]
	v_add_f64 v[9:10], v[9:10], 0
	s_clause 0x4
	buffer_load_dword v100, off, s[0:3], 0 offset:636
	buffer_load_dword v112, off, s[0:3], 0 offset:648
	;; [unrolled: 1-line block ×5, first 2 shown]
	s_waitcnt lgkmcnt(0)
	v_mul_f64 v[115:116], v[5:6], v[13:14]
	v_mul_f64 v[13:14], v[7:8], v[13:14]
	ds_read_b128 v[1:4], v29 offset:1248
	v_fma_f64 v[25:26], v[40:41], v[25:26], v[32:33]
	v_add_f64 v[34:35], v[30:31], v[34:35]
	v_add_f64 v[9:10], v[9:10], v[36:37]
	s_clause 0x2
	buffer_load_dword v113, off, s[0:3], 0 offset:652
	buffer_load_dword v37, off, s[0:3], 0 offset:628
	;; [unrolled: 1-line block ×3, first 2 shown]
	s_waitcnt vmcnt(58) lgkmcnt(0)
	v_mul_f64 v[40:41], v[1:2], v[17:18]
	v_mul_f64 v[17:18], v[3:4], v[17:18]
	s_waitcnt vmcnt(56)
	v_fma_f64 v[13:14], v[5:6], v[19:20], -v[13:14]
	ds_read_b128 v[30:33], v29 offset:1264
	v_fma_f64 v[19:20], v[7:8], v[19:20], v[115:116]
	v_add_f64 v[34:35], v[34:35], v[38:39]
	v_add_f64 v[9:10], v[9:10], v[25:26]
	s_clause 0x4
	buffer_load_dword v26, off, s[0:3], 0 offset:668
	buffer_load_dword v38, off, s[0:3], 0 offset:680
	;; [unrolled: 1-line block ×5, first 2 shown]
	ds_read_b128 v[5:8], v29 offset:1280
	s_waitcnt vmcnt(57) lgkmcnt(1)
	v_mul_f64 v[116:117], v[30:31], v[21:22]
	v_mul_f64 v[21:22], v[32:33], v[21:22]
	s_waitcnt vmcnt(56)
	v_fma_f64 v[17:18], v[1:2], v[11:12], -v[17:18]
	v_fma_f64 v[11:12], v[3:4], v[11:12], v[40:41]
	v_add_f64 v[13:14], v[34:35], v[13:14]
	v_add_f64 v[9:10], v[9:10], v[19:20]
	s_clause 0x2
	buffer_load_dword v39, off, s[0:3], 0 offset:684
	buffer_load_dword v20, off, s[0:3], 0 offset:660
	;; [unrolled: 1-line block ×3, first 2 shown]
	s_waitcnt vmcnt(58) lgkmcnt(0)
	v_mul_f64 v[34:35], v[5:6], v[27:28]
	v_mul_f64 v[27:28], v[7:8], v[27:28]
	s_waitcnt vmcnt(56)
	v_fma_f64 v[21:22], v[30:31], v[48:49], -v[21:22]
	ds_read_b128 v[1:4], v29 offset:1296
	v_add_f64 v[13:14], v[13:14], v[17:18]
	v_fma_f64 v[17:18], v[32:33], v[48:49], v[116:117]
	v_add_f64 v[30:31], v[9:10], v[11:12]
	s_clause 0x4
	buffer_load_dword v33, off, s[0:3], 0 offset:700
	buffer_load_dword v40, off, s[0:3], 0 offset:712
	;; [unrolled: 1-line block ×5, first 2 shown]
	ds_read_b128 v[9:12], v29 offset:1312
	s_waitcnt vmcnt(57) lgkmcnt(1)
	v_mul_f64 v[116:117], v[1:2], v[50:51]
	v_mul_f64 v[49:50], v[3:4], v[50:51]
	s_waitcnt vmcnt(56)
	v_fma_f64 v[27:28], v[5:6], v[15:16], -v[27:28]
	v_fma_f64 v[15:16], v[7:8], v[15:16], v[34:35]
	v_add_f64 v[13:14], v[13:14], v[21:22]
	s_clause 0x2
	buffer_load_dword v41, off, s[0:3], 0 offset:716
	buffer_load_dword v22, off, s[0:3], 0 offset:692
	;; [unrolled: 1-line block ×3, first 2 shown]
	v_add_f64 v[17:18], v[30:31], v[17:18]
	s_waitcnt vmcnt(58) lgkmcnt(0)
	v_mul_f64 v[34:35], v[11:12], v[65:66]
	ds_read_b128 v[5:8], v29 offset:1328
	v_mul_f64 v[30:31], v[9:10], v[65:66]
	s_waitcnt vmcnt(56)
	v_fma_f64 v[50:51], v[1:2], v[67:68], -v[49:50]
	v_add_f64 v[13:14], v[13:14], v[27:28]
	v_fma_f64 v[27:28], v[3:4], v[67:68], v[116:117]
	v_add_f64 v[15:16], v[17:18], v[15:16]
	s_clause 0x4
	buffer_load_dword v18, off, s[0:3], 0 offset:732
	buffer_load_dword v65, off, s[0:3], 0 offset:744
	buffer_load_dword v67, off, s[0:3], 0 offset:736
	buffer_load_dword v17, off, s[0:3], 0 offset:728
	buffer_load_dword v49, off, s[0:3], 0 offset:708
	s_waitcnt vmcnt(57) lgkmcnt(0)
	v_mul_f64 v[116:117], v[5:6], v[75:76]
	v_mul_f64 v[75:76], v[7:8], v[75:76]
	s_waitcnt vmcnt(56)
	v_fma_f64 v[34:35], v[9:10], v[23:24], -v[34:35]
	ds_read_b128 v[1:4], v29 offset:1344
	v_fma_f64 v[23:24], v[11:12], v[23:24], v[30:31]
	v_add_f64 v[13:14], v[13:14], v[50:51]
	v_add_f64 v[15:16], v[15:16], v[27:28]
	s_clause 0x2
	buffer_load_dword v66, off, s[0:3], 0 offset:748
	buffer_load_dword v28, off, s[0:3], 0 offset:724
	buffer_load_dword v27, off, s[0:3], 0 offset:720
	ds_read_b128 v[9:12], v29 offset:1360
	s_waitcnt vmcnt(58) lgkmcnt(1)
	v_mul_f64 v[50:51], v[3:4], v[77:78]
	s_waitcnt vmcnt(56)
	v_fma_f64 v[75:76], v[5:6], v[81:82], -v[75:76]
	v_mul_f64 v[30:31], v[1:2], v[77:78]
	v_add_f64 v[13:14], v[13:14], v[34:35]
	v_fma_f64 v[34:35], v[7:8], v[81:82], v[116:117]
	v_add_f64 v[15:16], v[15:16], v[23:24]
	s_clause 0x4
	buffer_load_dword v24, off, s[0:3], 0 offset:764
	buffer_load_dword v77, off, s[0:3], 0 offset:776
	buffer_load_dword v81, off, s[0:3], 0 offset:768
	buffer_load_dword v23, off, s[0:3], 0 offset:760
	buffer_load_dword v68, off, s[0:3], 0 offset:740
	s_waitcnt vmcnt(57) lgkmcnt(0)
	v_mul_f64 v[116:117], v[9:10], v[83:84]
	v_mul_f64 v[82:83], v[11:12], v[83:84]
	s_waitcnt vmcnt(56)
	v_fma_f64 v[50:51], v[1:2], v[79:80], -v[50:51]
	ds_read_b128 v[5:8], v29 offset:1376
	v_fma_f64 v[30:31], v[3:4], v[79:80], v[30:31]
	v_add_f64 v[13:14], v[13:14], v[75:76]
	v_add_f64 v[15:16], v[15:16], v[34:35]
	s_clause 0x2
	buffer_load_dword v78, off, s[0:3], 0 offset:780
	buffer_load_dword v35, off, s[0:3], 0 offset:756
	buffer_load_dword v34, off, s[0:3], 0 offset:752
	ds_read_b128 v[1:4], v29 offset:1392
	s_waitcnt vmcnt(58) lgkmcnt(1)
	v_mul_f64 v[79:80], v[7:8], v[85:86]
	s_waitcnt vmcnt(56)
	v_fma_f64 v[83:84], v[9:10], v[89:90], -v[82:83]
	v_mul_f64 v[75:76], v[5:6], v[85:86]
	;; [unrolled: 28-line block ×4, first 2 shown]
	v_add_f64 v[13:14], v[13:14], v[87:88]
	v_fma_f64 v[87:88], v[7:8], v[108:109], v[116:117]
	v_add_f64 v[15:16], v[15:16], v[83:84]
	s_clause 0x2
	buffer_load_dword v84, off, s[0:3], 0 offset:860
	buffer_load_dword v83, off, s[0:3], 0 offset:856
	;; [unrolled: 1-line block ×3, first 2 shown]
	ds_read_b128 v[5:8], v29 offset:1472
	s_waitcnt vmcnt(55) lgkmcnt(1)
	v_mul_f64 v[103:104], v[9:10], v[99:100]
	v_mul_f64 v[99:100], v[11:12], v[99:100]
	s_waitcnt vmcnt(54)
	v_fma_f64 v[95:96], v[1:2], v[105:106], -v[95:96]
	v_fma_f64 v[91:92], v[3:4], v[105:106], v[91:92]
	v_add_f64 v[13:14], v[13:14], v[101:102]
	v_add_f64 v[15:16], v[15:16], v[87:88]
	s_clause 0x1
	buffer_load_dword v88, off, s[0:3], 0 offset:852
	buffer_load_dword v87, off, s[0:3], 0 offset:848
	ds_read_b128 v[1:4], v29 offset:1488
	s_waitcnt vmcnt(55) lgkmcnt(1)
	v_mul_f64 v[105:106], v[7:8], v[112:113]
	v_mul_f64 v[101:102], v[5:6], v[112:113]
	s_waitcnt vmcnt(53)
	v_fma_f64 v[99:100], v[9:10], v[36:37], -v[99:100]
	v_fma_f64 v[36:37], v[11:12], v[36:37], v[103:104]
	ds_read_b128 v[9:12], v29 offset:1504
	v_add_f64 v[13:14], v[13:14], v[95:96]
	v_add_f64 v[15:16], v[15:16], v[91:92]
	s_waitcnt vmcnt(49) lgkmcnt(1)
	v_mul_f64 v[91:92], v[1:2], v[25:26]
	v_mul_f64 v[25:26], v[3:4], v[25:26]
	s_waitcnt vmcnt(48)
	v_fma_f64 v[95:96], v[5:6], v[114:115], -v[105:106]
	v_add_f64 v[13:14], v[13:14], v[99:100]
	v_fma_f64 v[99:100], v[7:8], v[114:115], v[101:102]
	v_add_f64 v[15:16], v[15:16], v[36:37]
	s_clause 0x3
	buffer_load_dword v36, off, s[0:3], 0 offset:336
	buffer_load_dword v37, off, s[0:3], 0 offset:340
	;; [unrolled: 1-line block ×4, first 2 shown]
	ds_read_b128 v[5:8], v29 offset:1520
	s_waitcnt vmcnt(51) lgkmcnt(1)
	v_mul_f64 v[103:104], v[9:10], v[38:39]
	v_mul_f64 v[38:39], v[11:12], v[38:39]
	s_waitcnt vmcnt(49)
	v_fma_f64 v[25:26], v[1:2], v[19:20], -v[25:26]
	v_fma_f64 v[19:20], v[3:4], v[19:20], v[91:92]
	ds_read_b128 v[1:4], v29 offset:1536
	v_add_f64 v[13:14], v[13:14], v[95:96]
	v_add_f64 v[15:16], v[15:16], v[99:100]
	s_waitcnt vmcnt(45) lgkmcnt(1)
	v_mul_f64 v[91:92], v[5:6], v[32:33]
	v_mul_f64 v[32:33], v[7:8], v[32:33]
	s_waitcnt vmcnt(44)
	v_fma_f64 v[38:39], v[9:10], v[110:111], -v[38:39]
	v_add_f64 v[13:14], v[13:14], v[25:26]
	v_fma_f64 v[25:26], v[11:12], v[110:111], v[103:104]
	v_add_f64 v[15:16], v[15:16], v[19:20]
	ds_read_b128 v[9:12], v29 offset:1552
	s_waitcnt vmcnt(43) lgkmcnt(1)
	v_mul_f64 v[19:20], v[1:2], v[40:41]
	v_mul_f64 v[40:41], v[3:4], v[40:41]
	s_waitcnt vmcnt(41)
	v_fma_f64 v[32:33], v[5:6], v[21:22], -v[32:33]
	v_fma_f64 v[21:22], v[7:8], v[21:22], v[91:92]
	ds_read_b128 v[5:8], v29 offset:1568
	v_add_f64 v[13:14], v[13:14], v[38:39]
	v_add_f64 v[15:16], v[15:16], v[25:26]
	s_waitcnt vmcnt(37) lgkmcnt(1)
	v_mul_f64 v[25:26], v[9:10], v[17:18]
	v_mul_f64 v[17:18], v[11:12], v[17:18]
	s_waitcnt vmcnt(36)
	v_fma_f64 v[38:39], v[1:2], v[48:49], -v[40:41]
	v_fma_f64 v[19:20], v[3:4], v[48:49], v[19:20]
	ds_read_b128 v[1:4], v29 offset:1584
	v_add_f64 v[13:14], v[13:14], v[32:33]
	v_add_f64 v[15:16], v[15:16], v[21:22]
	;; [unrolled: 9-line block ×3, first 2 shown]
	s_waitcnt vmcnt(29) lgkmcnt(1)
	v_mul_f64 v[19:20], v[1:2], v[23:24]
	v_mul_f64 v[23:24], v[3:4], v[23:24]
	s_waitcnt vmcnt(28)
	v_fma_f64 v[27:28], v[5:6], v[67:68], -v[32:33]
	v_add_f64 v[13:14], v[13:14], v[17:18]
	v_fma_f64 v[17:18], v[7:8], v[67:68], v[21:22]
	v_add_f64 v[15:16], v[15:16], v[25:26]
	ds_read_b128 v[5:8], v29 offset:1616
	s_waitcnt vmcnt(27) lgkmcnt(1)
	v_mul_f64 v[25:26], v[11:12], v[77:78]
	v_mul_f64 v[21:22], v[9:10], v[77:78]
	s_waitcnt vmcnt(25)
	v_fma_f64 v[23:24], v[1:2], v[34:35], -v[23:24]
	v_fma_f64 v[19:20], v[3:4], v[34:35], v[19:20]
	ds_read_b128 v[1:4], v29 offset:1632
	v_add_f64 v[13:14], v[13:14], v[27:28]
	v_add_f64 v[15:16], v[15:16], v[17:18]
	s_waitcnt vmcnt(21) lgkmcnt(1)
	v_mul_f64 v[27:28], v[7:8], v[30:31]
	s_waitcnt vmcnt(20)
	v_fma_f64 v[25:26], v[9:10], v[81:82], -v[25:26]
	v_mul_f64 v[17:18], v[5:6], v[30:31]
	v_fma_f64 v[21:22], v[11:12], v[81:82], v[21:22]
	ds_read_b128 v[9:12], v29 offset:1648
	v_add_f64 v[13:14], v[13:14], v[23:24]
	v_add_f64 v[15:16], v[15:16], v[19:20]
	s_waitcnt vmcnt(19) lgkmcnt(1)
	v_mul_f64 v[23:24], v[3:4], v[85:86]
	v_mul_f64 v[19:20], v[1:2], v[85:86]
	s_waitcnt vmcnt(17)
	v_fma_f64 v[27:28], v[5:6], v[50:51], -v[27:28]
	v_fma_f64 v[17:18], v[7:8], v[50:51], v[17:18]
	ds_read_b128 v[5:8], v29 offset:1664
	v_add_f64 v[13:14], v[13:14], v[25:26]
	v_add_f64 v[15:16], v[15:16], v[21:22]
	s_waitcnt vmcnt(13) lgkmcnt(1)
	v_mul_f64 v[25:26], v[11:12], v[75:76]
	s_waitcnt vmcnt(12)
	v_fma_f64 v[23:24], v[1:2], v[89:90], -v[23:24]
	v_mul_f64 v[21:22], v[9:10], v[75:76]
	v_fma_f64 v[19:20], v[3:4], v[89:90], v[19:20]
	ds_read_b128 v[1:4], v29 offset:1680
	v_add_f64 v[13:14], v[13:14], v[27:28]
	v_add_f64 v[15:16], v[15:16], v[17:18]
	s_waitcnt vmcnt(11) lgkmcnt(1)
	v_mul_f64 v[27:28], v[7:8], v[93:94]
	v_mul_f64 v[17:18], v[5:6], v[93:94]
	s_waitcnt vmcnt(9)
	v_fma_f64 v[9:10], v[9:10], v[79:80], -v[25:26]
	v_fma_f64 v[11:12], v[11:12], v[79:80], v[21:22]
	v_add_f64 v[13:14], v[13:14], v[23:24]
	v_add_f64 v[15:16], v[15:16], v[19:20]
	s_waitcnt vmcnt(7) lgkmcnt(0)
	v_mul_f64 v[21:22], v[3:4], v[83:84]
	s_waitcnt vmcnt(6)
	v_fma_f64 v[5:6], v[5:6], v[97:98], -v[27:28]
	v_mul_f64 v[19:20], v[1:2], v[83:84]
	v_fma_f64 v[7:8], v[7:8], v[97:98], v[17:18]
	v_add_f64 v[9:10], v[13:14], v[9:10]
	v_add_f64 v[11:12], v[15:16], v[11:12]
	s_waitcnt vmcnt(4)
	v_fma_f64 v[1:2], v[1:2], v[87:88], -v[21:22]
	v_fma_f64 v[3:4], v[3:4], v[87:88], v[19:20]
	v_add_f64 v[5:6], v[9:10], v[5:6]
	v_add_f64 v[7:8], v[11:12], v[7:8]
	;; [unrolled: 1-line block ×4, first 2 shown]
	s_waitcnt vmcnt(2)
	v_add_f64 v[1:2], v[36:37], -v[1:2]
	s_waitcnt vmcnt(0)
	v_add_f64 v[3:4], v[101:102], -v[3:4]
	buffer_store_dword v2, off, s[0:3], 0 offset:340
	buffer_store_dword v1, off, s[0:3], 0 offset:336
	;; [unrolled: 1-line block ×4, first 2 shown]
	v_cmpx_lt_u32_e32 19, v0
	s_cbranch_execz .LBB52_293
; %bb.292:
	v_mov_b32_e32 v4, s46
	v_mov_b32_e32 v5, 0
	s_clause 0x3
	buffer_load_dword v1, v4, s[0:3], 0 offen
	buffer_load_dword v2, v4, s[0:3], 0 offen offset:4
	buffer_load_dword v3, v4, s[0:3], 0 offen offset:8
	;; [unrolled: 1-line block ×3, first 2 shown]
	buffer_store_dword v5, off, s[0:3], 0 offset:320
	buffer_store_dword v5, off, s[0:3], 0 offset:324
	;; [unrolled: 1-line block ×4, first 2 shown]
	s_waitcnt vmcnt(0)
	ds_write_b128 v43, v[1:4]
.LBB52_293:
	s_or_b32 exec_lo, exec_lo, s4
	s_waitcnt lgkmcnt(0)
	s_waitcnt_vscnt null, 0x0
	s_barrier
	buffer_gl0_inv
	s_clause 0x37
	buffer_load_dword v9, off, s[0:3], 0 offset:344
	buffer_load_dword v10, off, s[0:3], 0 offset:348
	;; [unrolled: 1-line block ×56, first 2 shown]
	v_mov_b32_e32 v52, 0
	s_mov_b32 s4, exec_lo
	ds_read_b128 v[39:42], v52 offset:1168
	s_clause 0x2
	buffer_load_dword v92, off, s[0:3], 0 offset:572
	buffer_load_dword v96, off, s[0:3], 0 offset:548
	;; [unrolled: 1-line block ×3, first 2 shown]
	ds_read_b128 v[48:51], v52 offset:1184
	s_clause 0x4
	buffer_load_dword v100, off, s[0:3], 0 offset:588
	buffer_load_dword v101, off, s[0:3], 0 offset:600
	;; [unrolled: 1-line block ×5, first 2 shown]
	ds_read_b128 v[65:68], v52 offset:1200
	s_clause 0x2
	buffer_load_dword v102, off, s[0:3], 0 offset:604
	buffer_load_dword v107, off, s[0:3], 0 offset:580
	;; [unrolled: 1-line block ×3, first 2 shown]
	s_waitcnt vmcnt(62) lgkmcnt(2)
	v_mul_f64 v[97:98], v[41:42], v[9:10]
	v_mul_f64 v[9:10], v[39:40], v[9:10]
	s_waitcnt lgkmcnt(1)
	v_mul_f64 v[104:105], v[50:51], v[5:6]
	s_waitcnt vmcnt(59) lgkmcnt(0)
	v_mul_f64 v[108:109], v[67:68], v[3:4]
	v_fma_f64 v[39:40], v[39:40], v[7:8], -v[97:98]
	v_mul_f64 v[97:98], v[48:49], v[5:6]
	v_fma_f64 v[9:10], v[41:42], v[7:8], v[9:10]
	s_waitcnt vmcnt(57)
	v_fma_f64 v[48:49], v[48:49], v[1:2], -v[104:105]
	ds_read_b128 v[5:8], v52 offset:1216
	v_mul_f64 v[41:42], v[65:66], v[3:4]
	s_waitcnt vmcnt(51)
	v_fma_f64 v[65:66], v[65:66], v[25:26], -v[108:109]
	v_add_f64 v[39:40], v[39:40], 0
	v_fma_f64 v[50:51], v[50:51], v[1:2], v[97:98]
	v_add_f64 v[9:10], v[9:10], 0
	s_clause 0x4
	buffer_load_dword v98, off, s[0:3], 0 offset:620
	buffer_load_dword v110, off, s[0:3], 0 offset:632
	;; [unrolled: 1-line block ×5, first 2 shown]
	s_waitcnt lgkmcnt(0)
	v_mul_f64 v[113:114], v[5:6], v[13:14]
	v_mul_f64 v[13:14], v[7:8], v[13:14]
	ds_read_b128 v[1:4], v52 offset:1232
	v_fma_f64 v[25:26], v[67:68], v[25:26], v[41:42]
	v_add_f64 v[48:49], v[39:40], v[48:49]
	v_add_f64 v[9:10], v[9:10], v[50:51]
	s_clause 0x2
	buffer_load_dword v111, off, s[0:3], 0 offset:636
	buffer_load_dword v51, off, s[0:3], 0 offset:612
	;; [unrolled: 1-line block ×3, first 2 shown]
	s_waitcnt vmcnt(58) lgkmcnt(0)
	v_mul_f64 v[67:68], v[1:2], v[17:18]
	v_mul_f64 v[17:18], v[3:4], v[17:18]
	s_waitcnt vmcnt(56)
	v_fma_f64 v[13:14], v[5:6], v[19:20], -v[13:14]
	ds_read_b128 v[39:42], v52 offset:1248
	v_fma_f64 v[19:20], v[7:8], v[19:20], v[113:114]
	v_add_f64 v[48:49], v[48:49], v[65:66]
	v_add_f64 v[9:10], v[9:10], v[25:26]
	s_clause 0x4
	buffer_load_dword v26, off, s[0:3], 0 offset:652
	buffer_load_dword v65, off, s[0:3], 0 offset:664
	;; [unrolled: 1-line block ×5, first 2 shown]
	ds_read_b128 v[5:8], v52 offset:1264
	s_waitcnt vmcnt(57) lgkmcnt(1)
	v_mul_f64 v[114:115], v[39:40], v[21:22]
	v_mul_f64 v[21:22], v[41:42], v[21:22]
	s_waitcnt vmcnt(56)
	v_fma_f64 v[17:18], v[1:2], v[11:12], -v[17:18]
	v_fma_f64 v[11:12], v[3:4], v[11:12], v[67:68]
	v_add_f64 v[13:14], v[48:49], v[13:14]
	v_add_f64 v[9:10], v[9:10], v[19:20]
	s_clause 0x2
	buffer_load_dword v66, off, s[0:3], 0 offset:668
	buffer_load_dword v20, off, s[0:3], 0 offset:644
	;; [unrolled: 1-line block ×3, first 2 shown]
	s_waitcnt vmcnt(58) lgkmcnt(0)
	v_mul_f64 v[48:49], v[5:6], v[27:28]
	v_mul_f64 v[27:28], v[7:8], v[27:28]
	s_waitcnt vmcnt(56)
	v_fma_f64 v[21:22], v[39:40], v[29:30], -v[21:22]
	ds_read_b128 v[1:4], v52 offset:1280
	v_add_f64 v[13:14], v[13:14], v[17:18]
	v_fma_f64 v[17:18], v[41:42], v[29:30], v[114:115]
	v_add_f64 v[29:30], v[9:10], v[11:12]
	s_clause 0x4
	buffer_load_dword v40, off, s[0:3], 0 offset:684
	buffer_load_dword v41, off, s[0:3], 0 offset:696
	;; [unrolled: 1-line block ×5, first 2 shown]
	ds_read_b128 v[9:12], v52 offset:1296
	s_waitcnt vmcnt(57) lgkmcnt(1)
	v_mul_f64 v[114:115], v[1:2], v[31:32]
	v_mul_f64 v[31:32], v[3:4], v[31:32]
	s_waitcnt vmcnt(56)
	v_fma_f64 v[27:28], v[5:6], v[15:16], -v[27:28]
	v_fma_f64 v[15:16], v[7:8], v[15:16], v[48:49]
	v_add_f64 v[13:14], v[13:14], v[21:22]
	s_clause 0x2
	buffer_load_dword v42, off, s[0:3], 0 offset:700
	buffer_load_dword v22, off, s[0:3], 0 offset:676
	;; [unrolled: 1-line block ×3, first 2 shown]
	v_add_f64 v[17:18], v[29:30], v[17:18]
	s_waitcnt vmcnt(58) lgkmcnt(0)
	v_mul_f64 v[29:30], v[9:10], v[35:36]
	v_mul_f64 v[35:36], v[11:12], v[35:36]
	ds_read_b128 v[5:8], v52 offset:1312
	s_waitcnt vmcnt(56)
	v_fma_f64 v[31:32], v[1:2], v[37:38], -v[31:32]
	v_add_f64 v[13:14], v[13:14], v[27:28]
	v_fma_f64 v[27:28], v[3:4], v[37:38], v[114:115]
	v_add_f64 v[15:16], v[17:18], v[15:16]
	s_clause 0x4
	buffer_load_dword v18, off, s[0:3], 0 offset:716
	buffer_load_dword v37, off, s[0:3], 0 offset:728
	;; [unrolled: 1-line block ×5, first 2 shown]
	s_waitcnt vmcnt(57) lgkmcnt(0)
	v_mul_f64 v[114:115], v[5:6], v[75:76]
	v_mul_f64 v[75:76], v[7:8], v[75:76]
	s_waitcnt vmcnt(56)
	v_fma_f64 v[35:36], v[9:10], v[23:24], -v[35:36]
	ds_read_b128 v[1:4], v52 offset:1328
	v_fma_f64 v[23:24], v[11:12], v[23:24], v[29:30]
	v_add_f64 v[13:14], v[13:14], v[31:32]
	v_add_f64 v[15:16], v[15:16], v[27:28]
	s_clause 0x2
	buffer_load_dword v38, off, s[0:3], 0 offset:732
	buffer_load_dword v28, off, s[0:3], 0 offset:708
	;; [unrolled: 1-line block ×3, first 2 shown]
	ds_read_b128 v[9:12], v52 offset:1344
	s_waitcnt vmcnt(58) lgkmcnt(1)
	v_mul_f64 v[31:32], v[3:4], v[77:78]
	s_waitcnt vmcnt(56)
	v_fma_f64 v[75:76], v[5:6], v[79:80], -v[75:76]
	v_mul_f64 v[29:30], v[1:2], v[77:78]
	v_add_f64 v[13:14], v[13:14], v[35:36]
	v_fma_f64 v[35:36], v[7:8], v[79:80], v[114:115]
	v_add_f64 v[15:16], v[15:16], v[23:24]
	s_clause 0x4
	buffer_load_dword v24, off, s[0:3], 0 offset:748
	buffer_load_dword v77, off, s[0:3], 0 offset:760
	;; [unrolled: 1-line block ×5, first 2 shown]
	s_waitcnt vmcnt(57) lgkmcnt(0)
	v_mul_f64 v[114:115], v[9:10], v[81:82]
	v_mul_f64 v[80:81], v[11:12], v[81:82]
	s_waitcnt vmcnt(56)
	v_fma_f64 v[31:32], v[1:2], v[33:34], -v[31:32]
	ds_read_b128 v[5:8], v52 offset:1360
	v_fma_f64 v[29:30], v[3:4], v[33:34], v[29:30]
	s_clause 0x2
	buffer_load_dword v78, off, s[0:3], 0 offset:764
	buffer_load_dword v34, off, s[0:3], 0 offset:740
	;; [unrolled: 1-line block ×3, first 2 shown]
	ds_read_b128 v[1:4], v52 offset:1376
	v_add_f64 v[13:14], v[13:14], v[75:76]
	v_add_f64 v[15:16], v[15:16], v[35:36]
	s_waitcnt vmcnt(58) lgkmcnt(1)
	v_mul_f64 v[75:76], v[7:8], v[83:84]
	s_waitcnt vmcnt(56)
	v_fma_f64 v[81:82], v[9:10], v[87:88], -v[80:81]
	v_mul_f64 v[35:36], v[5:6], v[83:84]
	v_add_f64 v[13:14], v[13:14], v[31:32]
	v_fma_f64 v[31:32], v[11:12], v[87:88], v[114:115]
	v_add_f64 v[15:16], v[15:16], v[29:30]
	s_clause 0x4
	buffer_load_dword v30, off, s[0:3], 0 offset:780
	buffer_load_dword v83, off, s[0:3], 0 offset:792
	;; [unrolled: 1-line block ×5, first 2 shown]
	s_waitcnt vmcnt(57) lgkmcnt(0)
	v_mul_f64 v[114:115], v[1:2], v[89:90]
	v_mul_f64 v[88:89], v[3:4], v[89:90]
	s_waitcnt vmcnt(56)
	v_fma_f64 v[75:76], v[5:6], v[85:86], -v[75:76]
	ds_read_b128 v[9:12], v52 offset:1392
	v_fma_f64 v[35:36], v[7:8], v[85:86], v[35:36]
	v_add_f64 v[13:14], v[13:14], v[81:82]
	v_add_f64 v[15:16], v[15:16], v[31:32]
	s_clause 0x2
	buffer_load_dword v84, off, s[0:3], 0 offset:796
	buffer_load_dword v32, off, s[0:3], 0 offset:772
	;; [unrolled: 1-line block ×3, first 2 shown]
	ds_read_b128 v[5:8], v52 offset:1408
	s_waitcnt vmcnt(58) lgkmcnt(1)
	v_mul_f64 v[85:86], v[11:12], v[91:92]
	s_waitcnt vmcnt(56)
	v_fma_f64 v[89:90], v[1:2], v[95:96], -v[88:89]
	v_mul_f64 v[81:82], v[9:10], v[91:92]
	v_add_f64 v[13:14], v[13:14], v[75:76]
	v_fma_f64 v[75:76], v[3:4], v[95:96], v[114:115]
	v_add_f64 v[15:16], v[15:16], v[35:36]
	s_clause 0x4
	buffer_load_dword v36, off, s[0:3], 0 offset:812
	buffer_load_dword v91, off, s[0:3], 0 offset:824
	;; [unrolled: 1-line block ×5, first 2 shown]
	s_waitcnt vmcnt(57) lgkmcnt(0)
	v_mul_f64 v[114:115], v[5:6], v[99:100]
	v_mul_f64 v[99:100], v[7:8], v[99:100]
	s_waitcnt vmcnt(56)
	v_fma_f64 v[85:86], v[9:10], v[93:94], -v[85:86]
	ds_read_b128 v[1:4], v52 offset:1424
	v_fma_f64 v[81:82], v[11:12], v[93:94], v[81:82]
	v_add_f64 v[13:14], v[13:14], v[89:90]
	v_add_f64 v[15:16], v[15:16], v[75:76]
	s_clause 0x2
	buffer_load_dword v92, off, s[0:3], 0 offset:828
	buffer_load_dword v76, off, s[0:3], 0 offset:804
	;; [unrolled: 1-line block ×3, first 2 shown]
	ds_read_b128 v[9:12], v52 offset:1440
	s_waitcnt vmcnt(58) lgkmcnt(1)
	v_mul_f64 v[93:94], v[3:4], v[101:102]
	s_waitcnt vmcnt(56)
	v_fma_f64 v[99:100], v[5:6], v[106:107], -v[99:100]
	v_mul_f64 v[89:90], v[1:2], v[101:102]
	v_add_f64 v[13:14], v[13:14], v[85:86]
	v_fma_f64 v[85:86], v[7:8], v[106:107], v[114:115]
	v_add_f64 v[15:16], v[15:16], v[81:82]
	s_clause 0x4
	buffer_load_dword v82, off, s[0:3], 0 offset:844
	buffer_load_dword v101, off, s[0:3], 0 offset:856
	;; [unrolled: 1-line block ×5, first 2 shown]
	ds_read_b128 v[5:8], v52 offset:1456
	s_waitcnt vmcnt(57) lgkmcnt(1)
	v_mul_f64 v[106:107], v[9:10], v[97:98]
	v_mul_f64 v[97:98], v[11:12], v[97:98]
	s_waitcnt vmcnt(56)
	v_fma_f64 v[93:94], v[1:2], v[103:104], -v[93:94]
	v_fma_f64 v[89:90], v[3:4], v[103:104], v[89:90]
	v_add_f64 v[13:14], v[13:14], v[99:100]
	v_add_f64 v[15:16], v[15:16], v[85:86]
	s_clause 0x2
	buffer_load_dword v102, off, s[0:3], 0 offset:860
	buffer_load_dword v86, off, s[0:3], 0 offset:836
	buffer_load_dword v85, off, s[0:3], 0 offset:832
	ds_read_b128 v[1:4], v52 offset:1472
	s_waitcnt vmcnt(58) lgkmcnt(1)
	v_mul_f64 v[103:104], v[7:8], v[110:111]
	v_mul_f64 v[99:100], v[5:6], v[110:111]
	s_waitcnt vmcnt(56)
	v_fma_f64 v[97:98], v[9:10], v[50:51], -v[97:98]
	v_fma_f64 v[50:51], v[11:12], v[50:51], v[106:107]
	buffer_load_dword v106, off, s[0:3], 0 offset:852
	ds_read_b128 v[9:12], v52 offset:1488
	v_add_f64 v[13:14], v[13:14], v[93:94]
	v_add_f64 v[15:16], v[15:16], v[89:90]
	s_waitcnt vmcnt(53) lgkmcnt(1)
	v_mul_f64 v[89:90], v[1:2], v[25:26]
	v_mul_f64 v[25:26], v[3:4], v[25:26]
	s_waitcnt vmcnt(52)
	v_fma_f64 v[93:94], v[5:6], v[112:113], -v[103:104]
	v_add_f64 v[13:14], v[13:14], v[97:98]
	v_fma_f64 v[97:98], v[7:8], v[112:113], v[99:100]
	v_add_f64 v[15:16], v[15:16], v[50:51]
	ds_read_b128 v[5:8], v52 offset:1504
	s_waitcnt vmcnt(51) lgkmcnt(1)
	v_mul_f64 v[50:51], v[9:10], v[65:66]
	v_mul_f64 v[65:66], v[11:12], v[65:66]
	s_waitcnt vmcnt(49)
	v_fma_f64 v[25:26], v[1:2], v[19:20], -v[25:26]
	v_fma_f64 v[19:20], v[3:4], v[19:20], v[89:90]
	v_add_f64 v[13:14], v[13:14], v[93:94]
	s_clause 0x3
	buffer_load_dword v89, off, s[0:3], 0 offset:320
	buffer_load_dword v90, off, s[0:3], 0 offset:324
	;; [unrolled: 1-line block ×4, first 2 shown]
	v_add_f64 v[15:16], v[15:16], v[97:98]
	ds_read_b128 v[1:4], v52 offset:1520
	s_waitcnt vmcnt(49) lgkmcnt(1)
	v_mul_f64 v[97:98], v[5:6], v[39:40]
	v_mul_f64 v[39:40], v[7:8], v[39:40]
	s_waitcnt vmcnt(48)
	v_fma_f64 v[65:66], v[9:10], v[108:109], -v[65:66]
	v_add_f64 v[13:14], v[13:14], v[25:26]
	v_fma_f64 v[25:26], v[11:12], v[108:109], v[50:51]
	v_add_f64 v[15:16], v[15:16], v[19:20]
	ds_read_b128 v[9:12], v52 offset:1536
	s_waitcnt vmcnt(47) lgkmcnt(1)
	v_mul_f64 v[19:20], v[1:2], v[41:42]
	v_mul_f64 v[41:42], v[3:4], v[41:42]
	s_waitcnt vmcnt(45)
	v_fma_f64 v[39:40], v[5:6], v[21:22], -v[39:40]
	v_fma_f64 v[21:22], v[7:8], v[21:22], v[97:98]
	ds_read_b128 v[5:8], v52 offset:1552
	v_add_f64 v[13:14], v[13:14], v[65:66]
	v_add_f64 v[15:16], v[15:16], v[25:26]
	s_waitcnt vmcnt(41) lgkmcnt(1)
	v_mul_f64 v[25:26], v[9:10], v[17:18]
	v_mul_f64 v[17:18], v[11:12], v[17:18]
	s_waitcnt vmcnt(40)
	v_fma_f64 v[41:42], v[1:2], v[67:68], -v[41:42]
	v_fma_f64 v[19:20], v[3:4], v[67:68], v[19:20]
	ds_read_b128 v[1:4], v52 offset:1568
	v_add_f64 v[13:14], v[13:14], v[39:40]
	v_add_f64 v[15:16], v[15:16], v[21:22]
	;; [unrolled: 9-line block ×3, first 2 shown]
	s_waitcnt vmcnt(33) lgkmcnt(1)
	v_mul_f64 v[19:20], v[1:2], v[23:24]
	v_mul_f64 v[23:24], v[3:4], v[23:24]
	s_waitcnt vmcnt(32)
	v_fma_f64 v[27:28], v[5:6], v[48:49], -v[37:38]
	v_add_f64 v[13:14], v[13:14], v[17:18]
	v_fma_f64 v[17:18], v[7:8], v[48:49], v[21:22]
	v_add_f64 v[15:16], v[15:16], v[25:26]
	ds_read_b128 v[5:8], v52 offset:1600
	s_waitcnt vmcnt(31) lgkmcnt(1)
	v_mul_f64 v[25:26], v[11:12], v[77:78]
	v_mul_f64 v[21:22], v[9:10], v[77:78]
	s_waitcnt vmcnt(29)
	v_fma_f64 v[19:20], v[3:4], v[33:34], v[19:20]
	v_fma_f64 v[23:24], v[1:2], v[33:34], -v[23:24]
	ds_read_b128 v[1:4], v52 offset:1616
	v_add_f64 v[13:14], v[13:14], v[27:28]
	v_add_f64 v[15:16], v[15:16], v[17:18]
	s_waitcnt vmcnt(25) lgkmcnt(1)
	v_mul_f64 v[27:28], v[7:8], v[29:30]
	s_waitcnt vmcnt(24)
	v_fma_f64 v[25:26], v[9:10], v[79:80], -v[25:26]
	v_mul_f64 v[17:18], v[5:6], v[29:30]
	v_fma_f64 v[21:22], v[11:12], v[79:80], v[21:22]
	ds_read_b128 v[9:12], v52 offset:1632
	v_add_f64 v[13:14], v[13:14], v[23:24]
	v_add_f64 v[15:16], v[15:16], v[19:20]
	s_waitcnt vmcnt(23) lgkmcnt(1)
	v_mul_f64 v[23:24], v[3:4], v[83:84]
	v_mul_f64 v[19:20], v[1:2], v[83:84]
	s_waitcnt vmcnt(21)
	v_fma_f64 v[27:28], v[5:6], v[31:32], -v[27:28]
	v_fma_f64 v[17:18], v[7:8], v[31:32], v[17:18]
	ds_read_b128 v[5:8], v52 offset:1648
	v_add_f64 v[13:14], v[13:14], v[25:26]
	v_add_f64 v[15:16], v[15:16], v[21:22]
	s_waitcnt vmcnt(17) lgkmcnt(1)
	v_mul_f64 v[25:26], v[11:12], v[35:36]
	s_waitcnt vmcnt(16)
	v_fma_f64 v[23:24], v[1:2], v[87:88], -v[23:24]
	v_mul_f64 v[21:22], v[9:10], v[35:36]
	v_fma_f64 v[19:20], v[3:4], v[87:88], v[19:20]
	ds_read_b128 v[1:4], v52 offset:1664
	v_add_f64 v[13:14], v[13:14], v[27:28]
	v_add_f64 v[15:16], v[15:16], v[17:18]
	s_waitcnt vmcnt(15) lgkmcnt(1)
	v_mul_f64 v[27:28], v[7:8], v[91:92]
	v_mul_f64 v[17:18], v[5:6], v[91:92]
	s_waitcnt vmcnt(13)
	v_fma_f64 v[25:26], v[9:10], v[75:76], -v[25:26]
	v_fma_f64 v[21:22], v[11:12], v[75:76], v[21:22]
	ds_read_b128 v[9:12], v52 offset:1680
	v_add_f64 v[13:14], v[13:14], v[23:24]
	v_add_f64 v[15:16], v[15:16], v[19:20]
	s_waitcnt vmcnt(9) lgkmcnt(1)
	v_mul_f64 v[23:24], v[3:4], v[81:82]
	s_waitcnt vmcnt(8)
	v_fma_f64 v[5:6], v[5:6], v[95:96], -v[27:28]
	v_mul_f64 v[19:20], v[1:2], v[81:82]
	v_fma_f64 v[7:8], v[7:8], v[95:96], v[17:18]
	v_add_f64 v[13:14], v[13:14], v[25:26]
	v_add_f64 v[15:16], v[15:16], v[21:22]
	s_waitcnt vmcnt(7) lgkmcnt(0)
	v_mul_f64 v[21:22], v[11:12], v[101:102]
	v_mul_f64 v[17:18], v[9:10], v[101:102]
	s_waitcnt vmcnt(5)
	v_fma_f64 v[1:2], v[1:2], v[85:86], -v[23:24]
	v_fma_f64 v[3:4], v[3:4], v[85:86], v[19:20]
	v_add_f64 v[5:6], v[13:14], v[5:6]
	v_add_f64 v[7:8], v[15:16], v[7:8]
	s_waitcnt vmcnt(4)
	v_fma_f64 v[9:10], v[9:10], v[105:106], -v[21:22]
	v_add_f64 v[1:2], v[5:6], v[1:2]
	v_fma_f64 v[5:6], v[11:12], v[105:106], v[17:18]
	v_add_f64 v[3:4], v[7:8], v[3:4]
	v_add_f64 v[1:2], v[1:2], v[9:10]
	;; [unrolled: 1-line block ×3, first 2 shown]
	s_waitcnt vmcnt(2)
	v_add_f64 v[1:2], v[89:90], -v[1:2]
	s_waitcnt vmcnt(0)
	v_add_f64 v[3:4], v[93:94], -v[3:4]
	buffer_store_dword v2, off, s[0:3], 0 offset:324
	buffer_store_dword v1, off, s[0:3], 0 offset:320
	;; [unrolled: 1-line block ×4, first 2 shown]
	v_cmpx_lt_u32_e32 18, v0
	s_cbranch_execz .LBB52_295
; %bb.294:
	v_mov_b32_e32 v4, s47
	s_clause 0x3
	buffer_load_dword v1, v4, s[0:3], 0 offen
	buffer_load_dword v2, v4, s[0:3], 0 offen offset:4
	buffer_load_dword v3, v4, s[0:3], 0 offen offset:8
	;; [unrolled: 1-line block ×3, first 2 shown]
	buffer_store_dword v52, off, s[0:3], 0 offset:304
	buffer_store_dword v52, off, s[0:3], 0 offset:308
	;; [unrolled: 1-line block ×4, first 2 shown]
	s_waitcnt vmcnt(0)
	ds_write_b128 v43, v[1:4]
.LBB52_295:
	s_or_b32 exec_lo, exec_lo, s4
	s_waitcnt lgkmcnt(0)
	s_waitcnt_vscnt null, 0x0
	s_barrier
	buffer_gl0_inv
	s_clause 0x37
	buffer_load_dword v9, off, s[0:3], 0 offset:328
	buffer_load_dword v10, off, s[0:3], 0 offset:332
	;; [unrolled: 1-line block ×56, first 2 shown]
	ds_read_b128 v[75:78], v52 offset:1152
	s_clause 0x2
	buffer_load_dword v94, off, s[0:3], 0 offset:556
	buffer_load_dword v96, off, s[0:3], 0 offset:532
	;; [unrolled: 1-line block ×3, first 2 shown]
	ds_read_b128 v[79:82], v52 offset:1168
	s_clause 0x4
	buffer_load_dword v100, off, s[0:3], 0 offset:572
	buffer_load_dword v101, off, s[0:3], 0 offset:584
	;; [unrolled: 1-line block ×5, first 2 shown]
	ds_read_b128 v[83:86], v52 offset:1184
	s_clause 0x2
	buffer_load_dword v102, off, s[0:3], 0 offset:588
	buffer_load_dword v107, off, s[0:3], 0 offset:564
	;; [unrolled: 1-line block ×3, first 2 shown]
	s_mov_b32 s4, exec_lo
	s_waitcnt vmcnt(62) lgkmcnt(2)
	v_mul_f64 v[97:98], v[77:78], v[9:10]
	v_mul_f64 v[9:10], v[75:76], v[9:10]
	s_waitcnt lgkmcnt(1)
	v_mul_f64 v[104:105], v[81:82], v[5:6]
	s_waitcnt vmcnt(59) lgkmcnt(0)
	v_mul_f64 v[108:109], v[85:86], v[3:4]
	v_fma_f64 v[75:76], v[75:76], v[7:8], -v[97:98]
	v_mul_f64 v[97:98], v[79:80], v[5:6]
	v_fma_f64 v[9:10], v[77:78], v[7:8], v[9:10]
	s_waitcnt vmcnt(57)
	v_fma_f64 v[79:80], v[79:80], v[1:2], -v[104:105]
	ds_read_b128 v[5:8], v52 offset:1200
	v_mul_f64 v[77:78], v[83:84], v[3:4]
	s_waitcnt vmcnt(51)
	v_fma_f64 v[83:84], v[83:84], v[25:26], -v[108:109]
	v_add_f64 v[75:76], v[75:76], 0
	v_fma_f64 v[81:82], v[81:82], v[1:2], v[97:98]
	v_add_f64 v[9:10], v[9:10], 0
	s_clause 0x4
	buffer_load_dword v98, off, s[0:3], 0 offset:604
	buffer_load_dword v110, off, s[0:3], 0 offset:616
	;; [unrolled: 1-line block ×5, first 2 shown]
	s_waitcnt lgkmcnt(0)
	v_mul_f64 v[113:114], v[5:6], v[13:14]
	v_mul_f64 v[13:14], v[7:8], v[13:14]
	ds_read_b128 v[1:4], v52 offset:1216
	v_fma_f64 v[25:26], v[85:86], v[25:26], v[77:78]
	v_add_f64 v[79:80], v[75:76], v[79:80]
	v_add_f64 v[9:10], v[9:10], v[81:82]
	s_clause 0x2
	buffer_load_dword v111, off, s[0:3], 0 offset:620
	buffer_load_dword v82, off, s[0:3], 0 offset:596
	;; [unrolled: 1-line block ×3, first 2 shown]
	s_waitcnt vmcnt(58) lgkmcnt(0)
	v_mul_f64 v[85:86], v[1:2], v[17:18]
	v_mul_f64 v[17:18], v[3:4], v[17:18]
	s_waitcnt vmcnt(56)
	v_fma_f64 v[13:14], v[5:6], v[19:20], -v[13:14]
	ds_read_b128 v[75:78], v52 offset:1232
	v_fma_f64 v[19:20], v[7:8], v[19:20], v[113:114]
	v_add_f64 v[79:80], v[79:80], v[83:84]
	v_add_f64 v[9:10], v[9:10], v[25:26]
	s_clause 0x4
	buffer_load_dword v26, off, s[0:3], 0 offset:636
	buffer_load_dword v83, off, s[0:3], 0 offset:648
	;; [unrolled: 1-line block ×5, first 2 shown]
	ds_read_b128 v[5:8], v52 offset:1248
	s_waitcnt vmcnt(57) lgkmcnt(1)
	v_mul_f64 v[114:115], v[75:76], v[21:22]
	v_mul_f64 v[21:22], v[77:78], v[21:22]
	s_waitcnt vmcnt(56)
	v_fma_f64 v[17:18], v[1:2], v[11:12], -v[17:18]
	v_fma_f64 v[11:12], v[3:4], v[11:12], v[85:86]
	v_add_f64 v[13:14], v[79:80], v[13:14]
	v_add_f64 v[9:10], v[9:10], v[19:20]
	s_clause 0x2
	buffer_load_dword v84, off, s[0:3], 0 offset:652
	buffer_load_dword v20, off, s[0:3], 0 offset:628
	;; [unrolled: 1-line block ×3, first 2 shown]
	s_waitcnt vmcnt(58) lgkmcnt(0)
	v_mul_f64 v[79:80], v[5:6], v[27:28]
	v_mul_f64 v[27:28], v[7:8], v[27:28]
	s_waitcnt vmcnt(56)
	v_fma_f64 v[21:22], v[75:76], v[29:30], -v[21:22]
	ds_read_b128 v[1:4], v52 offset:1264
	v_add_f64 v[13:14], v[13:14], v[17:18]
	v_fma_f64 v[17:18], v[77:78], v[29:30], v[114:115]
	v_add_f64 v[29:30], v[9:10], v[11:12]
	s_clause 0x4
	buffer_load_dword v76, off, s[0:3], 0 offset:668
	buffer_load_dword v77, off, s[0:3], 0 offset:680
	;; [unrolled: 1-line block ×5, first 2 shown]
	ds_read_b128 v[9:12], v52 offset:1280
	s_waitcnt vmcnt(57) lgkmcnt(1)
	v_mul_f64 v[114:115], v[1:2], v[31:32]
	v_mul_f64 v[31:32], v[3:4], v[31:32]
	s_waitcnt vmcnt(56)
	v_fma_f64 v[27:28], v[5:6], v[15:16], -v[27:28]
	v_fma_f64 v[15:16], v[7:8], v[15:16], v[79:80]
	v_add_f64 v[13:14], v[13:14], v[21:22]
	s_clause 0x2
	buffer_load_dword v78, off, s[0:3], 0 offset:684
	buffer_load_dword v22, off, s[0:3], 0 offset:660
	;; [unrolled: 1-line block ×3, first 2 shown]
	v_add_f64 v[17:18], v[29:30], v[17:18]
	s_waitcnt vmcnt(58) lgkmcnt(0)
	v_mul_f64 v[29:30], v[9:10], v[35:36]
	v_mul_f64 v[35:36], v[11:12], v[35:36]
	ds_read_b128 v[5:8], v52 offset:1296
	s_waitcnt vmcnt(56)
	v_fma_f64 v[31:32], v[1:2], v[37:38], -v[31:32]
	v_add_f64 v[13:14], v[13:14], v[27:28]
	v_fma_f64 v[27:28], v[3:4], v[37:38], v[114:115]
	v_add_f64 v[15:16], v[17:18], v[15:16]
	s_clause 0x4
	buffer_load_dword v18, off, s[0:3], 0 offset:700
	buffer_load_dword v37, off, s[0:3], 0 offset:712
	;; [unrolled: 1-line block ×5, first 2 shown]
	s_waitcnt vmcnt(57) lgkmcnt(0)
	v_mul_f64 v[114:115], v[5:6], v[39:40]
	v_mul_f64 v[39:40], v[7:8], v[39:40]
	s_waitcnt vmcnt(56)
	v_fma_f64 v[35:36], v[9:10], v[23:24], -v[35:36]
	ds_read_b128 v[1:4], v52 offset:1312
	v_fma_f64 v[23:24], v[11:12], v[23:24], v[29:30]
	v_add_f64 v[13:14], v[13:14], v[31:32]
	v_add_f64 v[15:16], v[15:16], v[27:28]
	s_clause 0x2
	buffer_load_dword v38, off, s[0:3], 0 offset:716
	buffer_load_dword v28, off, s[0:3], 0 offset:692
	;; [unrolled: 1-line block ×3, first 2 shown]
	ds_read_b128 v[9:12], v52 offset:1328
	s_waitcnt vmcnt(58) lgkmcnt(1)
	v_mul_f64 v[31:32], v[3:4], v[48:49]
	s_waitcnt vmcnt(56)
	v_fma_f64 v[39:40], v[5:6], v[50:51], -v[39:40]
	v_mul_f64 v[29:30], v[1:2], v[48:49]
	v_add_f64 v[13:14], v[13:14], v[35:36]
	v_fma_f64 v[35:36], v[7:8], v[50:51], v[114:115]
	v_add_f64 v[15:16], v[15:16], v[23:24]
	s_clause 0x4
	buffer_load_dword v24, off, s[0:3], 0 offset:732
	buffer_load_dword v48, off, s[0:3], 0 offset:744
	;; [unrolled: 1-line block ×5, first 2 shown]
	s_waitcnt vmcnt(57) lgkmcnt(0)
	v_mul_f64 v[114:115], v[9:10], v[65:66]
	v_mul_f64 v[65:66], v[11:12], v[65:66]
	s_waitcnt vmcnt(56)
	v_fma_f64 v[31:32], v[1:2], v[33:34], -v[31:32]
	ds_read_b128 v[5:8], v52 offset:1344
	v_fma_f64 v[29:30], v[3:4], v[33:34], v[29:30]
	s_clause 0x2
	buffer_load_dword v49, off, s[0:3], 0 offset:748
	buffer_load_dword v34, off, s[0:3], 0 offset:724
	;; [unrolled: 1-line block ×3, first 2 shown]
	ds_read_b128 v[1:4], v52 offset:1360
	v_add_f64 v[13:14], v[13:14], v[39:40]
	v_add_f64 v[15:16], v[15:16], v[35:36]
	s_waitcnt vmcnt(58) lgkmcnt(1)
	v_mul_f64 v[39:40], v[7:8], v[87:88]
	s_waitcnt vmcnt(56)
	v_fma_f64 v[65:66], v[9:10], v[89:90], -v[65:66]
	v_mul_f64 v[35:36], v[5:6], v[87:88]
	v_add_f64 v[13:14], v[13:14], v[31:32]
	v_fma_f64 v[31:32], v[11:12], v[89:90], v[114:115]
	v_add_f64 v[15:16], v[15:16], v[29:30]
	s_clause 0x4
	buffer_load_dword v30, off, s[0:3], 0 offset:764
	buffer_load_dword v87, off, s[0:3], 0 offset:776
	;; [unrolled: 1-line block ×5, first 2 shown]
	s_waitcnt vmcnt(57) lgkmcnt(0)
	v_mul_f64 v[114:115], v[1:2], v[91:92]
	v_mul_f64 v[90:91], v[3:4], v[91:92]
	s_waitcnt vmcnt(56)
	v_fma_f64 v[39:40], v[5:6], v[41:42], -v[39:40]
	ds_read_b128 v[9:12], v52 offset:1376
	v_fma_f64 v[35:36], v[7:8], v[41:42], v[35:36]
	v_add_f64 v[13:14], v[13:14], v[65:66]
	v_add_f64 v[15:16], v[15:16], v[31:32]
	s_clause 0x2
	buffer_load_dword v88, off, s[0:3], 0 offset:780
	buffer_load_dword v32, off, s[0:3], 0 offset:756
	;; [unrolled: 1-line block ×3, first 2 shown]
	ds_read_b128 v[5:8], v52 offset:1392
	s_waitcnt vmcnt(58) lgkmcnt(1)
	v_mul_f64 v[65:66], v[11:12], v[93:94]
	s_waitcnt vmcnt(56)
	v_fma_f64 v[91:92], v[1:2], v[95:96], -v[90:91]
	v_mul_f64 v[41:42], v[9:10], v[93:94]
	v_add_f64 v[13:14], v[13:14], v[39:40]
	v_fma_f64 v[39:40], v[3:4], v[95:96], v[114:115]
	v_add_f64 v[15:16], v[15:16], v[35:36]
	s_clause 0x4
	buffer_load_dword v36, off, s[0:3], 0 offset:796
	buffer_load_dword v93, off, s[0:3], 0 offset:808
	;; [unrolled: 1-line block ×5, first 2 shown]
	s_waitcnt vmcnt(57) lgkmcnt(0)
	v_mul_f64 v[114:115], v[5:6], v[99:100]
	v_mul_f64 v[99:100], v[7:8], v[99:100]
	s_waitcnt vmcnt(56)
	v_fma_f64 v[65:66], v[9:10], v[67:68], -v[65:66]
	ds_read_b128 v[1:4], v52 offset:1408
	v_fma_f64 v[41:42], v[11:12], v[67:68], v[41:42]
	v_add_f64 v[13:14], v[13:14], v[91:92]
	v_add_f64 v[15:16], v[15:16], v[39:40]
	s_clause 0x2
	buffer_load_dword v94, off, s[0:3], 0 offset:812
	buffer_load_dword v40, off, s[0:3], 0 offset:788
	buffer_load_dword v39, off, s[0:3], 0 offset:784
	ds_read_b128 v[9:12], v52 offset:1424
	s_waitcnt vmcnt(58) lgkmcnt(1)
	v_mul_f64 v[91:92], v[3:4], v[101:102]
	s_waitcnt vmcnt(56)
	v_fma_f64 v[99:100], v[5:6], v[106:107], -v[99:100]
	v_mul_f64 v[67:68], v[1:2], v[101:102]
	v_add_f64 v[13:14], v[13:14], v[65:66]
	v_fma_f64 v[65:66], v[7:8], v[106:107], v[114:115]
	v_add_f64 v[15:16], v[15:16], v[41:42]
	s_clause 0x4
	buffer_load_dword v42, off, s[0:3], 0 offset:828
	buffer_load_dword v101, off, s[0:3], 0 offset:840
	;; [unrolled: 1-line block ×5, first 2 shown]
	ds_read_b128 v[5:8], v52 offset:1440
	s_waitcnt vmcnt(57) lgkmcnt(1)
	v_mul_f64 v[106:107], v[9:10], v[97:98]
	v_mul_f64 v[97:98], v[11:12], v[97:98]
	s_waitcnt vmcnt(56)
	v_fma_f64 v[91:92], v[1:2], v[103:104], -v[91:92]
	v_fma_f64 v[67:68], v[3:4], v[103:104], v[67:68]
	v_add_f64 v[13:14], v[13:14], v[99:100]
	v_add_f64 v[15:16], v[15:16], v[65:66]
	s_clause 0x2
	buffer_load_dword v102, off, s[0:3], 0 offset:844
	buffer_load_dword v66, off, s[0:3], 0 offset:820
	;; [unrolled: 1-line block ×3, first 2 shown]
	ds_read_b128 v[1:4], v52 offset:1456
	s_waitcnt vmcnt(58) lgkmcnt(1)
	v_mul_f64 v[103:104], v[7:8], v[110:111]
	v_mul_f64 v[99:100], v[5:6], v[110:111]
	s_waitcnt vmcnt(56)
	v_fma_f64 v[97:98], v[9:10], v[81:82], -v[97:98]
	v_fma_f64 v[81:82], v[11:12], v[81:82], v[106:107]
	v_add_f64 v[13:14], v[13:14], v[91:92]
	v_add_f64 v[15:16], v[15:16], v[67:68]
	s_clause 0x2
	buffer_load_dword v68, off, s[0:3], 0 offset:860
	buffer_load_dword v67, off, s[0:3], 0 offset:856
	buffer_load_dword v106, off, s[0:3], 0 offset:836
	ds_read_b128 v[9:12], v52 offset:1472
	s_waitcnt vmcnt(55) lgkmcnt(1)
	v_mul_f64 v[91:92], v[1:2], v[25:26]
	v_mul_f64 v[25:26], v[3:4], v[25:26]
	s_waitcnt vmcnt(54)
	v_fma_f64 v[103:104], v[5:6], v[112:113], -v[103:104]
	v_add_f64 v[13:14], v[13:14], v[97:98]
	v_fma_f64 v[97:98], v[7:8], v[112:113], v[99:100]
	v_add_f64 v[15:16], v[15:16], v[81:82]
	s_clause 0x1
	buffer_load_dword v82, off, s[0:3], 0 offset:852
	buffer_load_dword v81, off, s[0:3], 0 offset:848
	ds_read_b128 v[5:8], v52 offset:1488
	s_waitcnt vmcnt(55) lgkmcnt(1)
	v_mul_f64 v[99:100], v[9:10], v[83:84]
	v_mul_f64 v[83:84], v[11:12], v[83:84]
	s_waitcnt vmcnt(53)
	v_fma_f64 v[25:26], v[1:2], v[19:20], -v[25:26]
	v_fma_f64 v[19:20], v[3:4], v[19:20], v[91:92]
	ds_read_b128 v[1:4], v52 offset:1504
	v_add_f64 v[13:14], v[13:14], v[103:104]
	v_add_f64 v[15:16], v[15:16], v[97:98]
	s_waitcnt vmcnt(49) lgkmcnt(1)
	v_mul_f64 v[91:92], v[5:6], v[75:76]
	v_mul_f64 v[75:76], v[7:8], v[75:76]
	s_waitcnt vmcnt(48)
	v_fma_f64 v[83:84], v[9:10], v[108:109], -v[83:84]
	v_add_f64 v[13:14], v[13:14], v[25:26]
	v_fma_f64 v[25:26], v[11:12], v[108:109], v[99:100]
	v_add_f64 v[15:16], v[15:16], v[19:20]
	s_clause 0x3
	buffer_load_dword v19, off, s[0:3], 0 offset:304
	buffer_load_dword v20, off, s[0:3], 0 offset:308
	;; [unrolled: 1-line block ×4, first 2 shown]
	ds_read_b128 v[9:12], v52 offset:1520
	s_waitcnt vmcnt(51) lgkmcnt(1)
	v_mul_f64 v[99:100], v[1:2], v[77:78]
	v_mul_f64 v[77:78], v[3:4], v[77:78]
	s_waitcnt vmcnt(49)
	v_fma_f64 v[75:76], v[5:6], v[21:22], -v[75:76]
	v_fma_f64 v[21:22], v[7:8], v[21:22], v[91:92]
	ds_read_b128 v[5:8], v52 offset:1536
	v_add_f64 v[13:14], v[13:14], v[83:84]
	v_add_f64 v[15:16], v[15:16], v[25:26]
	s_waitcnt vmcnt(45) lgkmcnt(1)
	v_mul_f64 v[25:26], v[9:10], v[17:18]
	v_mul_f64 v[17:18], v[11:12], v[17:18]
	s_waitcnt vmcnt(44)
	v_fma_f64 v[77:78], v[1:2], v[85:86], -v[77:78]
	v_add_f64 v[13:14], v[13:14], v[75:76]
	v_fma_f64 v[75:76], v[3:4], v[85:86], v[99:100]
	v_add_f64 v[15:16], v[15:16], v[21:22]
	ds_read_b128 v[1:4], v52 offset:1552
	s_waitcnt vmcnt(43) lgkmcnt(1)
	v_mul_f64 v[21:22], v[5:6], v[37:38]
	v_mul_f64 v[37:38], v[7:8], v[37:38]
	s_waitcnt vmcnt(41)
	v_fma_f64 v[17:18], v[9:10], v[27:28], -v[17:18]
	v_fma_f64 v[25:26], v[11:12], v[27:28], v[25:26]
	ds_read_b128 v[9:12], v52 offset:1568
	v_add_f64 v[13:14], v[13:14], v[77:78]
	v_add_f64 v[15:16], v[15:16], v[75:76]
	s_waitcnt vmcnt(37) lgkmcnt(1)
	v_mul_f64 v[27:28], v[1:2], v[23:24]
	v_mul_f64 v[23:24], v[3:4], v[23:24]
	s_waitcnt vmcnt(36)
	v_fma_f64 v[37:38], v[5:6], v[79:80], -v[37:38]
	v_add_f64 v[13:14], v[13:14], v[17:18]
	v_fma_f64 v[17:18], v[7:8], v[79:80], v[21:22]
	v_add_f64 v[15:16], v[15:16], v[25:26]
	s_waitcnt vmcnt(35) lgkmcnt(0)
	v_mul_f64 v[25:26], v[11:12], v[48:49]
	ds_read_b128 v[5:8], v52 offset:1584
	v_mul_f64 v[21:22], v[9:10], v[48:49]
	s_waitcnt vmcnt(33)
	v_fma_f64 v[27:28], v[3:4], v[33:34], v[27:28]
	v_fma_f64 v[23:24], v[1:2], v[33:34], -v[23:24]
	ds_read_b128 v[1:4], v52 offset:1600
	v_add_f64 v[13:14], v[13:14], v[37:38]
	v_add_f64 v[15:16], v[15:16], v[17:18]
	s_waitcnt vmcnt(29) lgkmcnt(1)
	v_mul_f64 v[17:18], v[5:6], v[29:30]
	v_mul_f64 v[29:30], v[7:8], v[29:30]
	s_waitcnt vmcnt(28)
	v_fma_f64 v[25:26], v[9:10], v[50:51], -v[25:26]
	v_fma_f64 v[21:22], v[11:12], v[50:51], v[21:22]
	ds_read_b128 v[9:12], v52 offset:1616
	v_add_f64 v[13:14], v[13:14], v[23:24]
	v_add_f64 v[15:16], v[15:16], v[27:28]
	s_waitcnt vmcnt(27) lgkmcnt(1)
	v_mul_f64 v[27:28], v[3:4], v[87:88]
	v_mul_f64 v[23:24], v[1:2], v[87:88]
	s_waitcnt vmcnt(25)
	v_fma_f64 v[29:30], v[5:6], v[31:32], -v[29:30]
	v_fma_f64 v[17:18], v[7:8], v[31:32], v[17:18]
	ds_read_b128 v[5:8], v52 offset:1632
	v_add_f64 v[13:14], v[13:14], v[25:26]
	v_add_f64 v[15:16], v[15:16], v[21:22]
	s_waitcnt vmcnt(21) lgkmcnt(1)
	v_mul_f64 v[25:26], v[11:12], v[35:36]
	s_waitcnt vmcnt(20)
	v_fma_f64 v[27:28], v[1:2], v[89:90], -v[27:28]
	v_mul_f64 v[21:22], v[9:10], v[35:36]
	v_fma_f64 v[23:24], v[3:4], v[89:90], v[23:24]
	ds_read_b128 v[1:4], v52 offset:1648
	v_add_f64 v[13:14], v[13:14], v[29:30]
	v_add_f64 v[15:16], v[15:16], v[17:18]
	s_waitcnt vmcnt(19) lgkmcnt(1)
	v_mul_f64 v[29:30], v[7:8], v[93:94]
	v_mul_f64 v[17:18], v[5:6], v[93:94]
	s_waitcnt vmcnt(17)
	v_fma_f64 v[25:26], v[9:10], v[39:40], -v[25:26]
	v_fma_f64 v[21:22], v[11:12], v[39:40], v[21:22]
	ds_read_b128 v[9:12], v52 offset:1664
	v_add_f64 v[13:14], v[13:14], v[27:28]
	v_add_f64 v[15:16], v[15:16], v[23:24]
	s_waitcnt vmcnt(13) lgkmcnt(1)
	v_mul_f64 v[27:28], v[3:4], v[41:42]
	s_waitcnt vmcnt(12)
	v_fma_f64 v[29:30], v[5:6], v[95:96], -v[29:30]
	v_mul_f64 v[23:24], v[1:2], v[41:42]
	v_fma_f64 v[17:18], v[7:8], v[95:96], v[17:18]
	ds_read_b128 v[5:8], v52 offset:1680
	v_add_f64 v[13:14], v[13:14], v[25:26]
	v_add_f64 v[15:16], v[15:16], v[21:22]
	s_waitcnt vmcnt(11) lgkmcnt(1)
	v_mul_f64 v[25:26], v[11:12], v[101:102]
	v_mul_f64 v[21:22], v[9:10], v[101:102]
	s_waitcnt vmcnt(9)
	v_fma_f64 v[1:2], v[1:2], v[65:66], -v[27:28]
	v_fma_f64 v[3:4], v[3:4], v[65:66], v[23:24]
	v_add_f64 v[13:14], v[13:14], v[29:30]
	v_add_f64 v[15:16], v[15:16], v[17:18]
	s_waitcnt vmcnt(7) lgkmcnt(0)
	v_mul_f64 v[23:24], v[7:8], v[67:68]
	s_waitcnt vmcnt(6)
	v_fma_f64 v[9:10], v[9:10], v[105:106], -v[25:26]
	v_mul_f64 v[17:18], v[5:6], v[67:68]
	v_fma_f64 v[11:12], v[11:12], v[105:106], v[21:22]
	v_add_f64 v[1:2], v[13:14], v[1:2]
	v_add_f64 v[3:4], v[15:16], v[3:4]
	s_waitcnt vmcnt(4)
	v_fma_f64 v[5:6], v[5:6], v[81:82], -v[23:24]
	v_fma_f64 v[7:8], v[7:8], v[81:82], v[17:18]
	v_add_f64 v[1:2], v[1:2], v[9:10]
	v_add_f64 v[3:4], v[3:4], v[11:12]
	;; [unrolled: 1-line block ×4, first 2 shown]
	s_waitcnt vmcnt(2)
	v_add_f64 v[1:2], v[19:20], -v[1:2]
	s_waitcnt vmcnt(0)
	v_add_f64 v[3:4], v[97:98], -v[3:4]
	buffer_store_dword v2, off, s[0:3], 0 offset:308
	buffer_store_dword v1, off, s[0:3], 0 offset:304
	;; [unrolled: 1-line block ×4, first 2 shown]
	v_cmpx_lt_u32_e32 17, v0
	s_cbranch_execz .LBB52_297
; %bb.296:
	v_mov_b32_e32 v4, s48
	v_mov_b32_e32 v5, 0
	s_clause 0x3
	buffer_load_dword v1, v4, s[0:3], 0 offen
	buffer_load_dword v2, v4, s[0:3], 0 offen offset:4
	buffer_load_dword v3, v4, s[0:3], 0 offen offset:8
	;; [unrolled: 1-line block ×3, first 2 shown]
	buffer_store_dword v5, off, s[0:3], 0 offset:288
	buffer_store_dword v5, off, s[0:3], 0 offset:292
	;; [unrolled: 1-line block ×4, first 2 shown]
	s_waitcnt vmcnt(0)
	ds_write_b128 v43, v[1:4]
.LBB52_297:
	s_or_b32 exec_lo, exec_lo, s4
	s_waitcnt lgkmcnt(0)
	s_waitcnt_vscnt null, 0x0
	s_barrier
	buffer_gl0_inv
	s_clause 0x37
	buffer_load_dword v9, off, s[0:3], 0 offset:312
	buffer_load_dword v10, off, s[0:3], 0 offset:316
	;; [unrolled: 1-line block ×56, first 2 shown]
	v_mov_b32_e32 v52, 0
	s_mov_b32 s4, exec_lo
	ds_read_b128 v[83:86], v52 offset:1136
	s_clause 0x2
	buffer_load_dword v82, off, s[0:3], 0 offset:540
	buffer_load_dword v96, off, s[0:3], 0 offset:516
	;; [unrolled: 1-line block ×3, first 2 shown]
	ds_read_b128 v[87:90], v52 offset:1152
	s_clause 0x4
	buffer_load_dword v100, off, s[0:3], 0 offset:556
	buffer_load_dword v101, off, s[0:3], 0 offset:568
	;; [unrolled: 1-line block ×5, first 2 shown]
	ds_read_b128 v[91:94], v52 offset:1168
	s_clause 0x2
	buffer_load_dword v102, off, s[0:3], 0 offset:572
	buffer_load_dword v107, off, s[0:3], 0 offset:548
	;; [unrolled: 1-line block ×3, first 2 shown]
	s_waitcnt vmcnt(62) lgkmcnt(2)
	v_mul_f64 v[97:98], v[85:86], v[9:10]
	v_mul_f64 v[9:10], v[83:84], v[9:10]
	s_waitcnt lgkmcnt(1)
	v_mul_f64 v[104:105], v[89:90], v[5:6]
	s_waitcnt vmcnt(59) lgkmcnt(0)
	v_mul_f64 v[108:109], v[93:94], v[3:4]
	v_fma_f64 v[83:84], v[83:84], v[7:8], -v[97:98]
	v_mul_f64 v[97:98], v[87:88], v[5:6]
	v_fma_f64 v[9:10], v[85:86], v[7:8], v[9:10]
	s_waitcnt vmcnt(57)
	v_fma_f64 v[87:88], v[87:88], v[1:2], -v[104:105]
	ds_read_b128 v[5:8], v52 offset:1184
	v_mul_f64 v[85:86], v[91:92], v[3:4]
	s_waitcnt vmcnt(51)
	v_fma_f64 v[91:92], v[91:92], v[25:26], -v[108:109]
	v_add_f64 v[83:84], v[83:84], 0
	v_fma_f64 v[89:90], v[89:90], v[1:2], v[97:98]
	v_add_f64 v[9:10], v[9:10], 0
	s_clause 0x4
	buffer_load_dword v98, off, s[0:3], 0 offset:588
	buffer_load_dword v110, off, s[0:3], 0 offset:600
	;; [unrolled: 1-line block ×5, first 2 shown]
	s_waitcnt lgkmcnt(0)
	v_mul_f64 v[113:114], v[5:6], v[13:14]
	v_mul_f64 v[13:14], v[7:8], v[13:14]
	ds_read_b128 v[1:4], v52 offset:1200
	v_fma_f64 v[25:26], v[93:94], v[25:26], v[85:86]
	v_add_f64 v[87:88], v[83:84], v[87:88]
	v_add_f64 v[9:10], v[9:10], v[89:90]
	s_clause 0x2
	buffer_load_dword v111, off, s[0:3], 0 offset:604
	buffer_load_dword v90, off, s[0:3], 0 offset:580
	buffer_load_dword v89, off, s[0:3], 0 offset:576
	s_waitcnt vmcnt(58) lgkmcnt(0)
	v_mul_f64 v[93:94], v[1:2], v[17:18]
	v_mul_f64 v[17:18], v[3:4], v[17:18]
	s_waitcnt vmcnt(56)
	v_fma_f64 v[13:14], v[5:6], v[19:20], -v[13:14]
	ds_read_b128 v[83:86], v52 offset:1216
	v_fma_f64 v[19:20], v[7:8], v[19:20], v[113:114]
	v_add_f64 v[87:88], v[87:88], v[91:92]
	v_add_f64 v[9:10], v[9:10], v[25:26]
	s_clause 0x4
	buffer_load_dword v26, off, s[0:3], 0 offset:620
	buffer_load_dword v91, off, s[0:3], 0 offset:632
	buffer_load_dword v108, off, s[0:3], 0 offset:624
	buffer_load_dword v25, off, s[0:3], 0 offset:616
	buffer_load_dword v113, off, s[0:3], 0 offset:596
	ds_read_b128 v[5:8], v52 offset:1232
	s_waitcnt vmcnt(57) lgkmcnt(1)
	v_mul_f64 v[114:115], v[83:84], v[21:22]
	v_mul_f64 v[21:22], v[85:86], v[21:22]
	s_waitcnt vmcnt(56)
	v_fma_f64 v[17:18], v[1:2], v[11:12], -v[17:18]
	v_fma_f64 v[11:12], v[3:4], v[11:12], v[93:94]
	v_add_f64 v[13:14], v[87:88], v[13:14]
	v_add_f64 v[9:10], v[9:10], v[19:20]
	s_clause 0x2
	buffer_load_dword v92, off, s[0:3], 0 offset:636
	buffer_load_dword v20, off, s[0:3], 0 offset:612
	;; [unrolled: 1-line block ×3, first 2 shown]
	s_waitcnt vmcnt(58) lgkmcnt(0)
	v_mul_f64 v[87:88], v[5:6], v[27:28]
	v_mul_f64 v[27:28], v[7:8], v[27:28]
	s_waitcnt vmcnt(56)
	v_fma_f64 v[21:22], v[83:84], v[29:30], -v[21:22]
	ds_read_b128 v[1:4], v52 offset:1248
	v_add_f64 v[13:14], v[13:14], v[17:18]
	v_fma_f64 v[17:18], v[85:86], v[29:30], v[114:115]
	v_add_f64 v[29:30], v[9:10], v[11:12]
	s_clause 0x4
	buffer_load_dword v84, off, s[0:3], 0 offset:652
	buffer_load_dword v85, off, s[0:3], 0 offset:664
	;; [unrolled: 1-line block ×5, first 2 shown]
	ds_read_b128 v[9:12], v52 offset:1264
	s_waitcnt vmcnt(57) lgkmcnt(1)
	v_mul_f64 v[114:115], v[1:2], v[31:32]
	v_mul_f64 v[31:32], v[3:4], v[31:32]
	s_waitcnt vmcnt(56)
	v_fma_f64 v[27:28], v[5:6], v[15:16], -v[27:28]
	v_fma_f64 v[15:16], v[7:8], v[15:16], v[87:88]
	v_add_f64 v[13:14], v[13:14], v[21:22]
	s_clause 0x2
	buffer_load_dword v86, off, s[0:3], 0 offset:668
	buffer_load_dword v22, off, s[0:3], 0 offset:644
	;; [unrolled: 1-line block ×3, first 2 shown]
	v_add_f64 v[17:18], v[29:30], v[17:18]
	s_waitcnt vmcnt(58) lgkmcnt(0)
	v_mul_f64 v[29:30], v[9:10], v[35:36]
	v_mul_f64 v[35:36], v[11:12], v[35:36]
	ds_read_b128 v[5:8], v52 offset:1280
	s_waitcnt vmcnt(56)
	v_fma_f64 v[31:32], v[1:2], v[37:38], -v[31:32]
	v_add_f64 v[13:14], v[13:14], v[27:28]
	v_fma_f64 v[27:28], v[3:4], v[37:38], v[114:115]
	v_add_f64 v[15:16], v[17:18], v[15:16]
	s_clause 0x4
	buffer_load_dword v18, off, s[0:3], 0 offset:684
	buffer_load_dword v37, off, s[0:3], 0 offset:696
	buffer_load_dword v87, off, s[0:3], 0 offset:688
	buffer_load_dword v17, off, s[0:3], 0 offset:680
	buffer_load_dword v94, off, s[0:3], 0 offset:660
	s_waitcnt vmcnt(57) lgkmcnt(0)
	v_mul_f64 v[114:115], v[5:6], v[39:40]
	v_mul_f64 v[39:40], v[7:8], v[39:40]
	s_waitcnt vmcnt(56)
	v_fma_f64 v[35:36], v[9:10], v[23:24], -v[35:36]
	ds_read_b128 v[1:4], v52 offset:1296
	v_fma_f64 v[23:24], v[11:12], v[23:24], v[29:30]
	v_add_f64 v[13:14], v[13:14], v[31:32]
	v_add_f64 v[15:16], v[15:16], v[27:28]
	s_clause 0x2
	buffer_load_dword v38, off, s[0:3], 0 offset:700
	buffer_load_dword v28, off, s[0:3], 0 offset:676
	;; [unrolled: 1-line block ×3, first 2 shown]
	ds_read_b128 v[9:12], v52 offset:1312
	s_waitcnt vmcnt(58) lgkmcnt(1)
	v_mul_f64 v[31:32], v[3:4], v[48:49]
	s_waitcnt vmcnt(56)
	v_fma_f64 v[39:40], v[5:6], v[50:51], -v[39:40]
	v_mul_f64 v[29:30], v[1:2], v[48:49]
	v_add_f64 v[13:14], v[13:14], v[35:36]
	v_fma_f64 v[35:36], v[7:8], v[50:51], v[114:115]
	v_add_f64 v[15:16], v[15:16], v[23:24]
	s_clause 0x4
	buffer_load_dword v24, off, s[0:3], 0 offset:716
	buffer_load_dword v48, off, s[0:3], 0 offset:728
	;; [unrolled: 1-line block ×5, first 2 shown]
	s_waitcnt vmcnt(57) lgkmcnt(0)
	v_mul_f64 v[114:115], v[9:10], v[65:66]
	v_mul_f64 v[65:66], v[11:12], v[65:66]
	s_waitcnt vmcnt(56)
	v_fma_f64 v[31:32], v[1:2], v[33:34], -v[31:32]
	ds_read_b128 v[5:8], v52 offset:1328
	v_fma_f64 v[29:30], v[3:4], v[33:34], v[29:30]
	s_clause 0x2
	buffer_load_dword v49, off, s[0:3], 0 offset:732
	buffer_load_dword v34, off, s[0:3], 0 offset:708
	;; [unrolled: 1-line block ×3, first 2 shown]
	ds_read_b128 v[1:4], v52 offset:1344
	v_add_f64 v[13:14], v[13:14], v[39:40]
	v_add_f64 v[15:16], v[15:16], v[35:36]
	s_waitcnt vmcnt(58) lgkmcnt(1)
	v_mul_f64 v[39:40], v[7:8], v[75:76]
	s_waitcnt vmcnt(56)
	v_fma_f64 v[65:66], v[9:10], v[77:78], -v[65:66]
	v_mul_f64 v[35:36], v[5:6], v[75:76]
	v_add_f64 v[13:14], v[13:14], v[31:32]
	v_fma_f64 v[31:32], v[11:12], v[77:78], v[114:115]
	v_add_f64 v[15:16], v[15:16], v[29:30]
	s_clause 0x4
	buffer_load_dword v30, off, s[0:3], 0 offset:748
	buffer_load_dword v75, off, s[0:3], 0 offset:760
	;; [unrolled: 1-line block ×5, first 2 shown]
	s_waitcnt vmcnt(57) lgkmcnt(0)
	v_mul_f64 v[114:115], v[1:2], v[79:80]
	v_mul_f64 v[78:79], v[3:4], v[79:80]
	s_waitcnt vmcnt(56)
	v_fma_f64 v[39:40], v[5:6], v[41:42], -v[39:40]
	ds_read_b128 v[9:12], v52 offset:1360
	v_fma_f64 v[35:36], v[7:8], v[41:42], v[35:36]
	v_add_f64 v[13:14], v[13:14], v[65:66]
	v_add_f64 v[15:16], v[15:16], v[31:32]
	s_clause 0x2
	buffer_load_dword v76, off, s[0:3], 0 offset:764
	buffer_load_dword v32, off, s[0:3], 0 offset:740
	;; [unrolled: 1-line block ×3, first 2 shown]
	ds_read_b128 v[5:8], v52 offset:1376
	s_waitcnt vmcnt(58) lgkmcnt(1)
	v_mul_f64 v[65:66], v[11:12], v[81:82]
	s_waitcnt vmcnt(56)
	v_fma_f64 v[79:80], v[1:2], v[95:96], -v[78:79]
	v_mul_f64 v[41:42], v[9:10], v[81:82]
	v_add_f64 v[13:14], v[13:14], v[39:40]
	v_fma_f64 v[39:40], v[3:4], v[95:96], v[114:115]
	v_add_f64 v[15:16], v[15:16], v[35:36]
	s_clause 0x4
	buffer_load_dword v36, off, s[0:3], 0 offset:780
	buffer_load_dword v81, off, s[0:3], 0 offset:792
	;; [unrolled: 1-line block ×5, first 2 shown]
	s_waitcnt vmcnt(57) lgkmcnt(0)
	v_mul_f64 v[114:115], v[5:6], v[99:100]
	v_mul_f64 v[99:100], v[7:8], v[99:100]
	s_waitcnt vmcnt(56)
	v_fma_f64 v[65:66], v[9:10], v[67:68], -v[65:66]
	ds_read_b128 v[1:4], v52 offset:1392
	v_fma_f64 v[41:42], v[11:12], v[67:68], v[41:42]
	v_add_f64 v[13:14], v[13:14], v[79:80]
	v_add_f64 v[15:16], v[15:16], v[39:40]
	s_clause 0x2
	buffer_load_dword v82, off, s[0:3], 0 offset:796
	buffer_load_dword v40, off, s[0:3], 0 offset:772
	buffer_load_dword v39, off, s[0:3], 0 offset:768
	ds_read_b128 v[9:12], v52 offset:1408
	s_waitcnt vmcnt(58) lgkmcnt(1)
	v_mul_f64 v[79:80], v[3:4], v[101:102]
	s_waitcnt vmcnt(56)
	v_fma_f64 v[99:100], v[5:6], v[106:107], -v[99:100]
	v_mul_f64 v[67:68], v[1:2], v[101:102]
	v_add_f64 v[13:14], v[13:14], v[65:66]
	v_fma_f64 v[65:66], v[7:8], v[106:107], v[114:115]
	v_add_f64 v[15:16], v[15:16], v[41:42]
	s_clause 0x4
	buffer_load_dword v42, off, s[0:3], 0 offset:812
	buffer_load_dword v101, off, s[0:3], 0 offset:824
	;; [unrolled: 1-line block ×5, first 2 shown]
	ds_read_b128 v[5:8], v52 offset:1424
	s_waitcnt vmcnt(57) lgkmcnt(1)
	v_mul_f64 v[106:107], v[9:10], v[97:98]
	v_mul_f64 v[97:98], v[11:12], v[97:98]
	s_waitcnt vmcnt(56)
	v_fma_f64 v[79:80], v[1:2], v[103:104], -v[79:80]
	v_fma_f64 v[67:68], v[3:4], v[103:104], v[67:68]
	v_add_f64 v[13:14], v[13:14], v[99:100]
	v_add_f64 v[15:16], v[15:16], v[65:66]
	s_clause 0x2
	buffer_load_dword v102, off, s[0:3], 0 offset:828
	buffer_load_dword v66, off, s[0:3], 0 offset:804
	;; [unrolled: 1-line block ×3, first 2 shown]
	ds_read_b128 v[1:4], v52 offset:1440
	s_waitcnt vmcnt(58) lgkmcnt(1)
	v_mul_f64 v[103:104], v[7:8], v[110:111]
	v_mul_f64 v[99:100], v[5:6], v[110:111]
	s_waitcnt vmcnt(56)
	v_fma_f64 v[97:98], v[9:10], v[89:90], -v[97:98]
	v_add_f64 v[13:14], v[13:14], v[79:80]
	v_fma_f64 v[79:80], v[11:12], v[89:90], v[106:107]
	v_add_f64 v[15:16], v[15:16], v[67:68]
	s_clause 0x4
	buffer_load_dword v68, off, s[0:3], 0 offset:844
	buffer_load_dword v89, off, s[0:3], 0 offset:856
	;; [unrolled: 1-line block ×5, first 2 shown]
	ds_read_b128 v[9:12], v52 offset:1456
	s_waitcnt vmcnt(57) lgkmcnt(1)
	v_mul_f64 v[114:115], v[1:2], v[25:26]
	v_mul_f64 v[25:26], v[3:4], v[25:26]
	s_waitcnt vmcnt(56)
	v_fma_f64 v[103:104], v[5:6], v[112:113], -v[103:104]
	v_add_f64 v[13:14], v[13:14], v[97:98]
	v_fma_f64 v[97:98], v[7:8], v[112:113], v[99:100]
	v_add_f64 v[15:16], v[15:16], v[79:80]
	s_clause 0x2
	buffer_load_dword v90, off, s[0:3], 0 offset:860
	buffer_load_dword v80, off, s[0:3], 0 offset:836
	;; [unrolled: 1-line block ×3, first 2 shown]
	ds_read_b128 v[5:8], v52 offset:1472
	buffer_load_dword v111, off, s[0:3], 0 offset:852
	s_waitcnt vmcnt(59) lgkmcnt(1)
	v_mul_f64 v[99:100], v[9:10], v[91:92]
	v_mul_f64 v[91:92], v[11:12], v[91:92]
	s_waitcnt vmcnt(57)
	v_fma_f64 v[25:26], v[1:2], v[19:20], -v[25:26]
	v_fma_f64 v[19:20], v[3:4], v[19:20], v[114:115]
	ds_read_b128 v[1:4], v52 offset:1488
	v_add_f64 v[13:14], v[13:14], v[103:104]
	v_add_f64 v[15:16], v[15:16], v[97:98]
	s_waitcnt vmcnt(53) lgkmcnt(1)
	v_mul_f64 v[97:98], v[5:6], v[83:84]
	v_mul_f64 v[83:84], v[7:8], v[83:84]
	s_waitcnt vmcnt(52)
	v_fma_f64 v[91:92], v[9:10], v[108:109], -v[91:92]
	v_add_f64 v[13:14], v[13:14], v[25:26]
	v_fma_f64 v[25:26], v[11:12], v[108:109], v[99:100]
	v_add_f64 v[15:16], v[15:16], v[19:20]
	ds_read_b128 v[9:12], v52 offset:1504
	s_waitcnt vmcnt(51) lgkmcnt(1)
	v_mul_f64 v[19:20], v[1:2], v[85:86]
	v_mul_f64 v[85:86], v[3:4], v[85:86]
	s_waitcnt vmcnt(49)
	v_fma_f64 v[83:84], v[5:6], v[21:22], -v[83:84]
	v_fma_f64 v[21:22], v[7:8], v[21:22], v[97:98]
	v_add_f64 v[13:14], v[13:14], v[91:92]
	v_add_f64 v[15:16], v[15:16], v[25:26]
	s_clause 0x3
	buffer_load_dword v25, off, s[0:3], 0 offset:288
	buffer_load_dword v26, off, s[0:3], 0 offset:292
	;; [unrolled: 1-line block ×4, first 2 shown]
	ds_read_b128 v[5:8], v52 offset:1520
	s_waitcnt vmcnt(49) lgkmcnt(1)
	v_mul_f64 v[97:98], v[9:10], v[17:18]
	v_mul_f64 v[17:18], v[11:12], v[17:18]
	s_waitcnt vmcnt(48)
	v_fma_f64 v[85:86], v[1:2], v[93:94], -v[85:86]
	v_fma_f64 v[19:20], v[3:4], v[93:94], v[19:20]
	ds_read_b128 v[1:4], v52 offset:1536
	v_add_f64 v[13:14], v[13:14], v[83:84]
	v_add_f64 v[15:16], v[15:16], v[21:22]
	s_waitcnt vmcnt(47) lgkmcnt(1)
	v_mul_f64 v[21:22], v[5:6], v[37:38]
	v_mul_f64 v[37:38], v[7:8], v[37:38]
	s_waitcnt vmcnt(45)
	v_fma_f64 v[17:18], v[9:10], v[27:28], -v[17:18]
	v_fma_f64 v[27:28], v[11:12], v[27:28], v[97:98]
	ds_read_b128 v[9:12], v52 offset:1552
	v_add_f64 v[13:14], v[13:14], v[85:86]
	v_add_f64 v[15:16], v[15:16], v[19:20]
	s_waitcnt vmcnt(41) lgkmcnt(1)
	v_mul_f64 v[19:20], v[1:2], v[23:24]
	v_mul_f64 v[23:24], v[3:4], v[23:24]
	s_waitcnt vmcnt(40)
	v_fma_f64 v[37:38], v[5:6], v[87:88], -v[37:38]
	v_add_f64 v[13:14], v[13:14], v[17:18]
	v_fma_f64 v[17:18], v[7:8], v[87:88], v[21:22]
	v_add_f64 v[15:16], v[15:16], v[27:28]
	ds_read_b128 v[5:8], v52 offset:1568
	s_waitcnt vmcnt(39) lgkmcnt(1)
	v_mul_f64 v[27:28], v[11:12], v[48:49]
	v_mul_f64 v[21:22], v[9:10], v[48:49]
	s_waitcnt vmcnt(37)
	v_fma_f64 v[19:20], v[3:4], v[33:34], v[19:20]
	v_fma_f64 v[23:24], v[1:2], v[33:34], -v[23:24]
	ds_read_b128 v[1:4], v52 offset:1584
	v_add_f64 v[13:14], v[13:14], v[37:38]
	v_add_f64 v[15:16], v[15:16], v[17:18]
	s_waitcnt vmcnt(33) lgkmcnt(1)
	v_mul_f64 v[17:18], v[5:6], v[29:30]
	v_mul_f64 v[29:30], v[7:8], v[29:30]
	s_waitcnt vmcnt(32)
	v_fma_f64 v[27:28], v[9:10], v[50:51], -v[27:28]
	v_fma_f64 v[21:22], v[11:12], v[50:51], v[21:22]
	ds_read_b128 v[9:12], v52 offset:1600
	v_add_f64 v[13:14], v[13:14], v[23:24]
	v_add_f64 v[15:16], v[15:16], v[19:20]
	s_waitcnt vmcnt(31) lgkmcnt(1)
	v_mul_f64 v[23:24], v[3:4], v[75:76]
	v_mul_f64 v[19:20], v[1:2], v[75:76]
	s_waitcnt vmcnt(29)
	v_fma_f64 v[29:30], v[5:6], v[31:32], -v[29:30]
	v_fma_f64 v[17:18], v[7:8], v[31:32], v[17:18]
	ds_read_b128 v[5:8], v52 offset:1616
	v_add_f64 v[13:14], v[13:14], v[27:28]
	v_add_f64 v[15:16], v[15:16], v[21:22]
	s_waitcnt vmcnt(25) lgkmcnt(1)
	v_mul_f64 v[27:28], v[11:12], v[35:36]
	s_waitcnt vmcnt(24)
	v_fma_f64 v[23:24], v[1:2], v[77:78], -v[23:24]
	v_mul_f64 v[21:22], v[9:10], v[35:36]
	v_fma_f64 v[19:20], v[3:4], v[77:78], v[19:20]
	ds_read_b128 v[1:4], v52 offset:1632
	v_add_f64 v[13:14], v[13:14], v[29:30]
	v_add_f64 v[15:16], v[15:16], v[17:18]
	s_waitcnt vmcnt(23) lgkmcnt(1)
	v_mul_f64 v[29:30], v[7:8], v[81:82]
	v_mul_f64 v[17:18], v[5:6], v[81:82]
	s_waitcnt vmcnt(21)
	v_fma_f64 v[27:28], v[9:10], v[39:40], -v[27:28]
	v_fma_f64 v[21:22], v[11:12], v[39:40], v[21:22]
	ds_read_b128 v[9:12], v52 offset:1648
	v_add_f64 v[13:14], v[13:14], v[23:24]
	v_add_f64 v[15:16], v[15:16], v[19:20]
	s_waitcnt vmcnt(17) lgkmcnt(1)
	v_mul_f64 v[23:24], v[3:4], v[41:42]
	s_waitcnt vmcnt(16)
	v_fma_f64 v[29:30], v[5:6], v[95:96], -v[29:30]
	v_mul_f64 v[19:20], v[1:2], v[41:42]
	;; [unrolled: 18-line block ×3, first 2 shown]
	v_fma_f64 v[11:12], v[11:12], v[105:106], v[21:22]
	v_add_f64 v[13:14], v[13:14], v[23:24]
	v_add_f64 v[15:16], v[15:16], v[19:20]
	s_waitcnt vmcnt(7) lgkmcnt(0)
	v_mul_f64 v[21:22], v[3:4], v[89:90]
	v_mul_f64 v[19:20], v[1:2], v[89:90]
	s_waitcnt vmcnt(5)
	v_fma_f64 v[5:6], v[5:6], v[79:80], -v[29:30]
	v_fma_f64 v[7:8], v[7:8], v[79:80], v[17:18]
	v_add_f64 v[9:10], v[13:14], v[9:10]
	v_add_f64 v[11:12], v[15:16], v[11:12]
	s_waitcnt vmcnt(4)
	v_fma_f64 v[1:2], v[1:2], v[110:111], -v[21:22]
	v_fma_f64 v[3:4], v[3:4], v[110:111], v[19:20]
	v_add_f64 v[5:6], v[9:10], v[5:6]
	v_add_f64 v[7:8], v[11:12], v[7:8]
	;; [unrolled: 1-line block ×4, first 2 shown]
	s_waitcnt vmcnt(2)
	v_add_f64 v[1:2], v[25:26], -v[1:2]
	s_waitcnt vmcnt(0)
	v_add_f64 v[3:4], v[91:92], -v[3:4]
	buffer_store_dword v2, off, s[0:3], 0 offset:292
	buffer_store_dword v1, off, s[0:3], 0 offset:288
	;; [unrolled: 1-line block ×4, first 2 shown]
	v_cmpx_lt_u32_e32 16, v0
	s_cbranch_execz .LBB52_299
; %bb.298:
	v_mov_b32_e32 v4, s49
	s_clause 0x3
	buffer_load_dword v1, v4, s[0:3], 0 offen
	buffer_load_dword v2, v4, s[0:3], 0 offen offset:4
	buffer_load_dword v3, v4, s[0:3], 0 offen offset:8
	;; [unrolled: 1-line block ×3, first 2 shown]
	buffer_store_dword v52, off, s[0:3], 0 offset:272
	buffer_store_dword v52, off, s[0:3], 0 offset:276
	;; [unrolled: 1-line block ×4, first 2 shown]
	s_waitcnt vmcnt(0)
	ds_write_b128 v43, v[1:4]
.LBB52_299:
	s_or_b32 exec_lo, exec_lo, s4
	s_waitcnt lgkmcnt(0)
	s_waitcnt_vscnt null, 0x0
	s_barrier
	buffer_gl0_inv
	s_clause 0x37
	buffer_load_dword v9, off, s[0:3], 0 offset:296
	buffer_load_dword v10, off, s[0:3], 0 offset:300
	;; [unrolled: 1-line block ×56, first 2 shown]
	ds_read_b128 v[85:88], v52 offset:1120
	s_clause 0x2
	buffer_load_dword v82, off, s[0:3], 0 offset:524
	buffer_load_dword v84, off, s[0:3], 0 offset:500
	;; [unrolled: 1-line block ×3, first 2 shown]
	ds_read_b128 v[89:92], v52 offset:1136
	s_clause 0x4
	buffer_load_dword v100, off, s[0:3], 0 offset:540
	buffer_load_dword v101, off, s[0:3], 0 offset:552
	;; [unrolled: 1-line block ×5, first 2 shown]
	ds_read_b128 v[93:96], v52 offset:1152
	s_clause 0x2
	buffer_load_dword v102, off, s[0:3], 0 offset:556
	buffer_load_dword v107, off, s[0:3], 0 offset:532
	;; [unrolled: 1-line block ×3, first 2 shown]
	s_mov_b32 s4, exec_lo
	s_waitcnt vmcnt(62) lgkmcnt(2)
	v_mul_f64 v[97:98], v[87:88], v[9:10]
	v_mul_f64 v[9:10], v[85:86], v[9:10]
	s_waitcnt lgkmcnt(1)
	v_mul_f64 v[104:105], v[91:92], v[5:6]
	s_waitcnt vmcnt(59) lgkmcnt(0)
	v_mul_f64 v[108:109], v[95:96], v[3:4]
	v_fma_f64 v[85:86], v[85:86], v[7:8], -v[97:98]
	v_mul_f64 v[97:98], v[89:90], v[5:6]
	v_fma_f64 v[9:10], v[87:88], v[7:8], v[9:10]
	s_waitcnt vmcnt(57)
	v_fma_f64 v[89:90], v[89:90], v[1:2], -v[104:105]
	ds_read_b128 v[5:8], v52 offset:1168
	v_mul_f64 v[87:88], v[93:94], v[3:4]
	s_waitcnt vmcnt(51)
	v_fma_f64 v[93:94], v[93:94], v[25:26], -v[108:109]
	v_add_f64 v[85:86], v[85:86], 0
	v_fma_f64 v[91:92], v[91:92], v[1:2], v[97:98]
	v_add_f64 v[9:10], v[9:10], 0
	s_clause 0x4
	buffer_load_dword v98, off, s[0:3], 0 offset:572
	buffer_load_dword v110, off, s[0:3], 0 offset:584
	;; [unrolled: 1-line block ×5, first 2 shown]
	s_waitcnt lgkmcnt(0)
	v_mul_f64 v[113:114], v[5:6], v[13:14]
	v_mul_f64 v[13:14], v[7:8], v[13:14]
	ds_read_b128 v[1:4], v52 offset:1184
	v_fma_f64 v[25:26], v[95:96], v[25:26], v[87:88]
	v_add_f64 v[89:90], v[85:86], v[89:90]
	v_add_f64 v[9:10], v[9:10], v[91:92]
	s_clause 0x2
	buffer_load_dword v111, off, s[0:3], 0 offset:588
	buffer_load_dword v92, off, s[0:3], 0 offset:564
	;; [unrolled: 1-line block ×3, first 2 shown]
	s_waitcnt vmcnt(58) lgkmcnt(0)
	v_mul_f64 v[95:96], v[1:2], v[17:18]
	v_mul_f64 v[17:18], v[3:4], v[17:18]
	s_waitcnt vmcnt(56)
	v_fma_f64 v[13:14], v[5:6], v[19:20], -v[13:14]
	ds_read_b128 v[85:88], v52 offset:1200
	v_fma_f64 v[19:20], v[7:8], v[19:20], v[113:114]
	v_add_f64 v[89:90], v[89:90], v[93:94]
	v_add_f64 v[9:10], v[9:10], v[25:26]
	s_clause 0x4
	buffer_load_dword v26, off, s[0:3], 0 offset:604
	buffer_load_dword v93, off, s[0:3], 0 offset:616
	;; [unrolled: 1-line block ×5, first 2 shown]
	ds_read_b128 v[5:8], v52 offset:1216
	s_waitcnt vmcnt(57) lgkmcnt(1)
	v_mul_f64 v[114:115], v[85:86], v[21:22]
	v_mul_f64 v[21:22], v[87:88], v[21:22]
	s_waitcnt vmcnt(56)
	v_fma_f64 v[17:18], v[1:2], v[11:12], -v[17:18]
	v_fma_f64 v[11:12], v[3:4], v[11:12], v[95:96]
	v_add_f64 v[13:14], v[89:90], v[13:14]
	v_add_f64 v[9:10], v[9:10], v[19:20]
	s_clause 0x2
	buffer_load_dword v94, off, s[0:3], 0 offset:620
	buffer_load_dword v20, off, s[0:3], 0 offset:596
	;; [unrolled: 1-line block ×3, first 2 shown]
	s_waitcnt vmcnt(58) lgkmcnt(0)
	v_mul_f64 v[89:90], v[5:6], v[27:28]
	v_mul_f64 v[27:28], v[7:8], v[27:28]
	s_waitcnt vmcnt(56)
	v_fma_f64 v[21:22], v[85:86], v[29:30], -v[21:22]
	ds_read_b128 v[1:4], v52 offset:1232
	v_add_f64 v[13:14], v[13:14], v[17:18]
	v_fma_f64 v[17:18], v[87:88], v[29:30], v[114:115]
	v_add_f64 v[29:30], v[9:10], v[11:12]
	s_clause 0x4
	buffer_load_dword v86, off, s[0:3], 0 offset:636
	buffer_load_dword v87, off, s[0:3], 0 offset:648
	;; [unrolled: 1-line block ×5, first 2 shown]
	ds_read_b128 v[9:12], v52 offset:1248
	s_waitcnt vmcnt(57) lgkmcnt(1)
	v_mul_f64 v[114:115], v[1:2], v[31:32]
	v_mul_f64 v[31:32], v[3:4], v[31:32]
	s_waitcnt vmcnt(56)
	v_fma_f64 v[27:28], v[5:6], v[15:16], -v[27:28]
	v_fma_f64 v[15:16], v[7:8], v[15:16], v[89:90]
	v_add_f64 v[13:14], v[13:14], v[21:22]
	s_clause 0x2
	buffer_load_dword v88, off, s[0:3], 0 offset:652
	buffer_load_dword v22, off, s[0:3], 0 offset:628
	;; [unrolled: 1-line block ×3, first 2 shown]
	v_add_f64 v[17:18], v[29:30], v[17:18]
	s_waitcnt vmcnt(58) lgkmcnt(0)
	v_mul_f64 v[29:30], v[9:10], v[35:36]
	v_mul_f64 v[35:36], v[11:12], v[35:36]
	ds_read_b128 v[5:8], v52 offset:1264
	s_waitcnt vmcnt(56)
	v_fma_f64 v[31:32], v[1:2], v[37:38], -v[31:32]
	v_add_f64 v[13:14], v[13:14], v[27:28]
	v_fma_f64 v[27:28], v[3:4], v[37:38], v[114:115]
	v_add_f64 v[15:16], v[17:18], v[15:16]
	s_clause 0x4
	buffer_load_dword v18, off, s[0:3], 0 offset:668
	buffer_load_dword v37, off, s[0:3], 0 offset:680
	;; [unrolled: 1-line block ×5, first 2 shown]
	s_waitcnt vmcnt(57) lgkmcnt(0)
	v_mul_f64 v[114:115], v[5:6], v[39:40]
	v_mul_f64 v[39:40], v[7:8], v[39:40]
	s_waitcnt vmcnt(56)
	v_fma_f64 v[35:36], v[9:10], v[23:24], -v[35:36]
	ds_read_b128 v[1:4], v52 offset:1280
	v_fma_f64 v[23:24], v[11:12], v[23:24], v[29:30]
	v_add_f64 v[13:14], v[13:14], v[31:32]
	v_add_f64 v[15:16], v[15:16], v[27:28]
	s_clause 0x2
	buffer_load_dword v38, off, s[0:3], 0 offset:684
	buffer_load_dword v28, off, s[0:3], 0 offset:660
	;; [unrolled: 1-line block ×3, first 2 shown]
	ds_read_b128 v[9:12], v52 offset:1296
	s_waitcnt vmcnt(58) lgkmcnt(1)
	v_mul_f64 v[31:32], v[3:4], v[48:49]
	s_waitcnt vmcnt(56)
	v_fma_f64 v[39:40], v[5:6], v[50:51], -v[39:40]
	v_mul_f64 v[29:30], v[1:2], v[48:49]
	v_add_f64 v[13:14], v[13:14], v[35:36]
	v_fma_f64 v[35:36], v[7:8], v[50:51], v[114:115]
	v_add_f64 v[15:16], v[15:16], v[23:24]
	s_clause 0x4
	buffer_load_dword v24, off, s[0:3], 0 offset:700
	buffer_load_dword v48, off, s[0:3], 0 offset:712
	;; [unrolled: 1-line block ×5, first 2 shown]
	s_waitcnt vmcnt(57) lgkmcnt(0)
	v_mul_f64 v[114:115], v[9:10], v[65:66]
	v_mul_f64 v[65:66], v[11:12], v[65:66]
	s_waitcnt vmcnt(56)
	v_fma_f64 v[31:32], v[1:2], v[33:34], -v[31:32]
	ds_read_b128 v[5:8], v52 offset:1312
	v_fma_f64 v[29:30], v[3:4], v[33:34], v[29:30]
	s_clause 0x2
	buffer_load_dword v49, off, s[0:3], 0 offset:716
	buffer_load_dword v34, off, s[0:3], 0 offset:692
	;; [unrolled: 1-line block ×3, first 2 shown]
	ds_read_b128 v[1:4], v52 offset:1328
	v_add_f64 v[13:14], v[13:14], v[39:40]
	v_add_f64 v[15:16], v[15:16], v[35:36]
	s_waitcnt vmcnt(58) lgkmcnt(1)
	v_mul_f64 v[39:40], v[7:8], v[75:76]
	s_waitcnt vmcnt(56)
	v_fma_f64 v[65:66], v[9:10], v[77:78], -v[65:66]
	v_mul_f64 v[35:36], v[5:6], v[75:76]
	v_add_f64 v[13:14], v[13:14], v[31:32]
	v_fma_f64 v[31:32], v[11:12], v[77:78], v[114:115]
	v_add_f64 v[15:16], v[15:16], v[29:30]
	s_clause 0x4
	buffer_load_dword v30, off, s[0:3], 0 offset:732
	buffer_load_dword v75, off, s[0:3], 0 offset:744
	;; [unrolled: 1-line block ×5, first 2 shown]
	s_waitcnt vmcnt(57) lgkmcnt(0)
	v_mul_f64 v[114:115], v[1:2], v[79:80]
	v_mul_f64 v[78:79], v[3:4], v[79:80]
	s_waitcnt vmcnt(56)
	v_fma_f64 v[39:40], v[5:6], v[41:42], -v[39:40]
	ds_read_b128 v[9:12], v52 offset:1344
	v_fma_f64 v[35:36], v[7:8], v[41:42], v[35:36]
	v_add_f64 v[13:14], v[13:14], v[65:66]
	v_add_f64 v[15:16], v[15:16], v[31:32]
	s_clause 0x2
	buffer_load_dword v76, off, s[0:3], 0 offset:748
	buffer_load_dword v32, off, s[0:3], 0 offset:724
	;; [unrolled: 1-line block ×3, first 2 shown]
	ds_read_b128 v[5:8], v52 offset:1360
	s_waitcnt vmcnt(58) lgkmcnt(1)
	v_mul_f64 v[65:66], v[11:12], v[81:82]
	s_waitcnt vmcnt(56)
	v_fma_f64 v[79:80], v[1:2], v[83:84], -v[78:79]
	v_mul_f64 v[41:42], v[9:10], v[81:82]
	v_add_f64 v[13:14], v[13:14], v[39:40]
	v_fma_f64 v[39:40], v[3:4], v[83:84], v[114:115]
	v_add_f64 v[15:16], v[15:16], v[35:36]
	s_clause 0x4
	buffer_load_dword v36, off, s[0:3], 0 offset:764
	buffer_load_dword v81, off, s[0:3], 0 offset:776
	;; [unrolled: 1-line block ×5, first 2 shown]
	s_waitcnt vmcnt(57) lgkmcnt(0)
	v_mul_f64 v[114:115], v[5:6], v[99:100]
	v_mul_f64 v[99:100], v[7:8], v[99:100]
	s_waitcnt vmcnt(56)
	v_fma_f64 v[65:66], v[9:10], v[67:68], -v[65:66]
	ds_read_b128 v[1:4], v52 offset:1376
	v_fma_f64 v[41:42], v[11:12], v[67:68], v[41:42]
	v_add_f64 v[13:14], v[13:14], v[79:80]
	v_add_f64 v[15:16], v[15:16], v[39:40]
	s_clause 0x2
	buffer_load_dword v82, off, s[0:3], 0 offset:780
	buffer_load_dword v40, off, s[0:3], 0 offset:756
	;; [unrolled: 1-line block ×3, first 2 shown]
	ds_read_b128 v[9:12], v52 offset:1392
	s_waitcnt vmcnt(58) lgkmcnt(1)
	v_mul_f64 v[79:80], v[3:4], v[101:102]
	s_waitcnt vmcnt(56)
	v_fma_f64 v[99:100], v[5:6], v[106:107], -v[99:100]
	v_mul_f64 v[67:68], v[1:2], v[101:102]
	v_add_f64 v[13:14], v[13:14], v[65:66]
	v_fma_f64 v[65:66], v[7:8], v[106:107], v[114:115]
	v_add_f64 v[15:16], v[15:16], v[41:42]
	s_clause 0x4
	buffer_load_dword v42, off, s[0:3], 0 offset:796
	buffer_load_dword v101, off, s[0:3], 0 offset:808
	;; [unrolled: 1-line block ×5, first 2 shown]
	ds_read_b128 v[5:8], v52 offset:1408
	s_waitcnt vmcnt(57) lgkmcnt(1)
	v_mul_f64 v[106:107], v[9:10], v[97:98]
	v_mul_f64 v[97:98], v[11:12], v[97:98]
	s_waitcnt vmcnt(56)
	v_fma_f64 v[79:80], v[1:2], v[103:104], -v[79:80]
	v_fma_f64 v[67:68], v[3:4], v[103:104], v[67:68]
	v_add_f64 v[13:14], v[13:14], v[99:100]
	v_add_f64 v[15:16], v[15:16], v[65:66]
	s_clause 0x2
	buffer_load_dword v102, off, s[0:3], 0 offset:812
	buffer_load_dword v66, off, s[0:3], 0 offset:788
	;; [unrolled: 1-line block ×3, first 2 shown]
	ds_read_b128 v[1:4], v52 offset:1424
	s_waitcnt vmcnt(58) lgkmcnt(1)
	v_mul_f64 v[103:104], v[7:8], v[110:111]
	v_mul_f64 v[99:100], v[5:6], v[110:111]
	s_waitcnt vmcnt(56)
	v_fma_f64 v[97:98], v[9:10], v[91:92], -v[97:98]
	v_add_f64 v[13:14], v[13:14], v[79:80]
	v_fma_f64 v[79:80], v[11:12], v[91:92], v[106:107]
	v_add_f64 v[15:16], v[15:16], v[67:68]
	s_clause 0x4
	buffer_load_dword v68, off, s[0:3], 0 offset:828
	buffer_load_dword v91, off, s[0:3], 0 offset:840
	buffer_load_dword v110, off, s[0:3], 0 offset:832
	buffer_load_dword v67, off, s[0:3], 0 offset:824
	buffer_load_dword v106, off, s[0:3], 0 offset:804
	ds_read_b128 v[9:12], v52 offset:1440
	s_waitcnt vmcnt(57) lgkmcnt(1)
	v_mul_f64 v[114:115], v[1:2], v[25:26]
	v_mul_f64 v[25:26], v[3:4], v[25:26]
	s_waitcnt vmcnt(56)
	v_fma_f64 v[103:104], v[5:6], v[112:113], -v[103:104]
	v_add_f64 v[13:14], v[13:14], v[97:98]
	v_fma_f64 v[97:98], v[7:8], v[112:113], v[99:100]
	v_add_f64 v[15:16], v[15:16], v[79:80]
	s_clause 0x2
	buffer_load_dword v92, off, s[0:3], 0 offset:844
	buffer_load_dword v80, off, s[0:3], 0 offset:820
	;; [unrolled: 1-line block ×3, first 2 shown]
	ds_read_b128 v[5:8], v52 offset:1456
	s_waitcnt vmcnt(58) lgkmcnt(1)
	v_mul_f64 v[99:100], v[9:10], v[93:94]
	v_mul_f64 v[93:94], v[11:12], v[93:94]
	s_waitcnt vmcnt(56)
	v_fma_f64 v[25:26], v[1:2], v[19:20], -v[25:26]
	v_fma_f64 v[19:20], v[3:4], v[19:20], v[114:115]
	v_add_f64 v[13:14], v[13:14], v[103:104]
	v_add_f64 v[15:16], v[15:16], v[97:98]
	s_clause 0x2
	buffer_load_dword v98, off, s[0:3], 0 offset:860
	buffer_load_dword v97, off, s[0:3], 0 offset:856
	;; [unrolled: 1-line block ×3, first 2 shown]
	ds_read_b128 v[1:4], v52 offset:1472
	s_waitcnt vmcnt(55) lgkmcnt(1)
	v_mul_f64 v[103:104], v[5:6], v[85:86]
	v_mul_f64 v[85:86], v[7:8], v[85:86]
	s_waitcnt vmcnt(54)
	v_fma_f64 v[93:94], v[9:10], v[108:109], -v[93:94]
	v_add_f64 v[13:14], v[13:14], v[25:26]
	v_fma_f64 v[25:26], v[11:12], v[108:109], v[99:100]
	v_add_f64 v[15:16], v[15:16], v[19:20]
	s_clause 0x1
	buffer_load_dword v20, off, s[0:3], 0 offset:852
	buffer_load_dword v19, off, s[0:3], 0 offset:848
	ds_read_b128 v[9:12], v52 offset:1488
	s_waitcnt vmcnt(55) lgkmcnt(1)
	v_mul_f64 v[99:100], v[1:2], v[87:88]
	v_mul_f64 v[87:88], v[3:4], v[87:88]
	s_waitcnt vmcnt(53)
	v_fma_f64 v[85:86], v[5:6], v[21:22], -v[85:86]
	v_fma_f64 v[21:22], v[7:8], v[21:22], v[103:104]
	ds_read_b128 v[5:8], v52 offset:1504
	v_add_f64 v[13:14], v[13:14], v[93:94]
	v_add_f64 v[15:16], v[15:16], v[25:26]
	s_waitcnt vmcnt(49) lgkmcnt(1)
	v_mul_f64 v[25:26], v[9:10], v[17:18]
	v_mul_f64 v[17:18], v[11:12], v[17:18]
	s_waitcnt vmcnt(48)
	v_fma_f64 v[87:88], v[1:2], v[95:96], -v[87:88]
	v_add_f64 v[13:14], v[13:14], v[85:86]
	v_fma_f64 v[85:86], v[3:4], v[95:96], v[99:100]
	v_add_f64 v[15:16], v[15:16], v[21:22]
	s_clause 0x3
	buffer_load_dword v21, off, s[0:3], 0 offset:272
	buffer_load_dword v22, off, s[0:3], 0 offset:276
	;; [unrolled: 1-line block ×4, first 2 shown]
	ds_read_b128 v[1:4], v52 offset:1520
	s_waitcnt vmcnt(51) lgkmcnt(1)
	v_mul_f64 v[95:96], v[5:6], v[37:38]
	v_mul_f64 v[37:38], v[7:8], v[37:38]
	s_waitcnt vmcnt(49)
	v_fma_f64 v[17:18], v[9:10], v[27:28], -v[17:18]
	v_fma_f64 v[25:26], v[11:12], v[27:28], v[25:26]
	ds_read_b128 v[9:12], v52 offset:1536
	v_add_f64 v[13:14], v[13:14], v[87:88]
	v_add_f64 v[15:16], v[15:16], v[85:86]
	s_waitcnt vmcnt(45) lgkmcnt(1)
	v_mul_f64 v[27:28], v[1:2], v[23:24]
	v_mul_f64 v[23:24], v[3:4], v[23:24]
	s_waitcnt vmcnt(44)
	v_fma_f64 v[37:38], v[5:6], v[89:90], -v[37:38]
	v_add_f64 v[13:14], v[13:14], v[17:18]
	v_fma_f64 v[17:18], v[7:8], v[89:90], v[95:96]
	v_add_f64 v[15:16], v[15:16], v[25:26]
	s_waitcnt vmcnt(43) lgkmcnt(0)
	v_mul_f64 v[25:26], v[9:10], v[48:49]
	v_mul_f64 v[48:49], v[11:12], v[48:49]
	ds_read_b128 v[5:8], v52 offset:1552
	s_waitcnt vmcnt(41)
	v_fma_f64 v[27:28], v[3:4], v[33:34], v[27:28]
	v_fma_f64 v[23:24], v[1:2], v[33:34], -v[23:24]
	ds_read_b128 v[1:4], v52 offset:1568
	v_add_f64 v[13:14], v[13:14], v[37:38]
	v_add_f64 v[15:16], v[15:16], v[17:18]
	s_waitcnt vmcnt(37) lgkmcnt(1)
	v_mul_f64 v[17:18], v[5:6], v[29:30]
	v_mul_f64 v[29:30], v[7:8], v[29:30]
	s_waitcnt vmcnt(36)
	v_fma_f64 v[33:34], v[9:10], v[50:51], -v[48:49]
	v_add_f64 v[13:14], v[13:14], v[23:24]
	v_fma_f64 v[23:24], v[11:12], v[50:51], v[25:26]
	v_add_f64 v[15:16], v[15:16], v[27:28]
	ds_read_b128 v[9:12], v52 offset:1584
	s_waitcnt vmcnt(35) lgkmcnt(1)
	v_mul_f64 v[27:28], v[3:4], v[75:76]
	v_mul_f64 v[25:26], v[1:2], v[75:76]
	s_waitcnt vmcnt(33)
	v_fma_f64 v[29:30], v[5:6], v[31:32], -v[29:30]
	v_fma_f64 v[17:18], v[7:8], v[31:32], v[17:18]
	ds_read_b128 v[5:8], v52 offset:1600
	v_add_f64 v[13:14], v[13:14], v[33:34]
	v_add_f64 v[15:16], v[15:16], v[23:24]
	s_waitcnt vmcnt(29) lgkmcnt(1)
	v_mul_f64 v[31:32], v[11:12], v[35:36]
	s_waitcnt vmcnt(28)
	v_fma_f64 v[27:28], v[1:2], v[77:78], -v[27:28]
	v_mul_f64 v[23:24], v[9:10], v[35:36]
	v_fma_f64 v[25:26], v[3:4], v[77:78], v[25:26]
	ds_read_b128 v[1:4], v52 offset:1616
	v_add_f64 v[13:14], v[13:14], v[29:30]
	v_add_f64 v[15:16], v[15:16], v[17:18]
	s_waitcnt vmcnt(27) lgkmcnt(1)
	v_mul_f64 v[29:30], v[7:8], v[81:82]
	v_mul_f64 v[17:18], v[5:6], v[81:82]
	s_waitcnt vmcnt(25)
	v_fma_f64 v[31:32], v[9:10], v[39:40], -v[31:32]
	v_fma_f64 v[23:24], v[11:12], v[39:40], v[23:24]
	ds_read_b128 v[9:12], v52 offset:1632
	v_add_f64 v[13:14], v[13:14], v[27:28]
	v_add_f64 v[15:16], v[15:16], v[25:26]
	s_waitcnt vmcnt(21) lgkmcnt(1)
	v_mul_f64 v[27:28], v[3:4], v[41:42]
	s_waitcnt vmcnt(20)
	v_fma_f64 v[29:30], v[5:6], v[83:84], -v[29:30]
	v_mul_f64 v[25:26], v[1:2], v[41:42]
	v_fma_f64 v[17:18], v[7:8], v[83:84], v[17:18]
	ds_read_b128 v[5:8], v52 offset:1648
	v_add_f64 v[13:14], v[13:14], v[31:32]
	v_add_f64 v[15:16], v[15:16], v[23:24]
	s_waitcnt vmcnt(19) lgkmcnt(1)
	v_mul_f64 v[31:32], v[11:12], v[101:102]
	v_mul_f64 v[23:24], v[9:10], v[101:102]
	s_waitcnt vmcnt(17)
	v_fma_f64 v[27:28], v[1:2], v[65:66], -v[27:28]
	v_fma_f64 v[25:26], v[3:4], v[65:66], v[25:26]
	ds_read_b128 v[1:4], v52 offset:1664
	v_add_f64 v[13:14], v[13:14], v[29:30]
	v_add_f64 v[15:16], v[15:16], v[17:18]
	s_waitcnt vmcnt(13) lgkmcnt(1)
	v_mul_f64 v[29:30], v[7:8], v[67:68]
	s_waitcnt vmcnt(12)
	v_fma_f64 v[31:32], v[9:10], v[105:106], -v[31:32]
	v_mul_f64 v[17:18], v[5:6], v[67:68]
	v_fma_f64 v[23:24], v[11:12], v[105:106], v[23:24]
	ds_read_b128 v[9:12], v52 offset:1680
	v_add_f64 v[13:14], v[13:14], v[27:28]
	v_add_f64 v[15:16], v[15:16], v[25:26]
	s_waitcnt vmcnt(11) lgkmcnt(1)
	v_mul_f64 v[27:28], v[3:4], v[91:92]
	v_mul_f64 v[25:26], v[1:2], v[91:92]
	s_waitcnt vmcnt(9)
	v_fma_f64 v[5:6], v[5:6], v[79:80], -v[29:30]
	v_fma_f64 v[7:8], v[7:8], v[79:80], v[17:18]
	v_add_f64 v[13:14], v[13:14], v[31:32]
	v_add_f64 v[15:16], v[15:16], v[23:24]
	s_waitcnt vmcnt(7) lgkmcnt(0)
	v_mul_f64 v[23:24], v[11:12], v[97:98]
	s_waitcnt vmcnt(6)
	v_fma_f64 v[1:2], v[1:2], v[110:111], -v[27:28]
	v_mul_f64 v[17:18], v[9:10], v[97:98]
	v_fma_f64 v[3:4], v[3:4], v[110:111], v[25:26]
	v_add_f64 v[5:6], v[13:14], v[5:6]
	v_add_f64 v[7:8], v[15:16], v[7:8]
	s_waitcnt vmcnt(4)
	v_fma_f64 v[9:10], v[9:10], v[19:20], -v[23:24]
	v_add_f64 v[1:2], v[5:6], v[1:2]
	v_fma_f64 v[5:6], v[11:12], v[19:20], v[17:18]
	v_add_f64 v[3:4], v[7:8], v[3:4]
	v_add_f64 v[1:2], v[1:2], v[9:10]
	;; [unrolled: 1-line block ×3, first 2 shown]
	s_waitcnt vmcnt(2)
	v_add_f64 v[1:2], v[21:22], -v[1:2]
	s_waitcnt vmcnt(0)
	v_add_f64 v[3:4], v[93:94], -v[3:4]
	buffer_store_dword v2, off, s[0:3], 0 offset:276
	buffer_store_dword v1, off, s[0:3], 0 offset:272
	;; [unrolled: 1-line block ×4, first 2 shown]
	v_cmpx_lt_u32_e32 15, v0
	s_cbranch_execz .LBB52_301
; %bb.300:
	v_mov_b32_e32 v4, s50
	v_mov_b32_e32 v5, 0
	s_clause 0x3
	buffer_load_dword v1, v4, s[0:3], 0 offen
	buffer_load_dword v2, v4, s[0:3], 0 offen offset:4
	buffer_load_dword v3, v4, s[0:3], 0 offen offset:8
	;; [unrolled: 1-line block ×3, first 2 shown]
	buffer_store_dword v5, off, s[0:3], 0 offset:256
	buffer_store_dword v5, off, s[0:3], 0 offset:260
	;; [unrolled: 1-line block ×4, first 2 shown]
	s_waitcnt vmcnt(0)
	ds_write_b128 v43, v[1:4]
.LBB52_301:
	s_or_b32 exec_lo, exec_lo, s4
	s_waitcnt lgkmcnt(0)
	s_waitcnt_vscnt null, 0x0
	s_barrier
	buffer_gl0_inv
	s_clause 0x37
	buffer_load_dword v9, off, s[0:3], 0 offset:280
	buffer_load_dword v10, off, s[0:3], 0 offset:284
	;; [unrolled: 1-line block ×56, first 2 shown]
	v_mov_b32_e32 v52, 0
	s_mov_b32 s4, exec_lo
	ds_read_b128 v[85:88], v52 offset:1104
	s_clause 0x2
	buffer_load_dword v82, off, s[0:3], 0 offset:508
	buffer_load_dword v84, off, s[0:3], 0 offset:484
	;; [unrolled: 1-line block ×3, first 2 shown]
	ds_read_b128 v[89:92], v52 offset:1120
	s_clause 0x4
	buffer_load_dword v100, off, s[0:3], 0 offset:524
	buffer_load_dword v101, off, s[0:3], 0 offset:536
	;; [unrolled: 1-line block ×5, first 2 shown]
	ds_read_b128 v[93:96], v52 offset:1136
	s_clause 0x2
	buffer_load_dword v102, off, s[0:3], 0 offset:540
	buffer_load_dword v107, off, s[0:3], 0 offset:516
	;; [unrolled: 1-line block ×3, first 2 shown]
	s_waitcnt vmcnt(62) lgkmcnt(2)
	v_mul_f64 v[97:98], v[87:88], v[9:10]
	v_mul_f64 v[9:10], v[85:86], v[9:10]
	s_waitcnt lgkmcnt(1)
	v_mul_f64 v[104:105], v[91:92], v[5:6]
	s_waitcnt vmcnt(59) lgkmcnt(0)
	v_mul_f64 v[108:109], v[95:96], v[3:4]
	v_fma_f64 v[85:86], v[85:86], v[7:8], -v[97:98]
	v_mul_f64 v[97:98], v[89:90], v[5:6]
	v_fma_f64 v[9:10], v[87:88], v[7:8], v[9:10]
	s_waitcnt vmcnt(57)
	v_fma_f64 v[89:90], v[89:90], v[1:2], -v[104:105]
	ds_read_b128 v[5:8], v52 offset:1152
	v_mul_f64 v[87:88], v[93:94], v[3:4]
	s_waitcnt vmcnt(51)
	v_fma_f64 v[93:94], v[93:94], v[25:26], -v[108:109]
	v_add_f64 v[85:86], v[85:86], 0
	v_fma_f64 v[91:92], v[91:92], v[1:2], v[97:98]
	v_add_f64 v[9:10], v[9:10], 0
	s_clause 0x4
	buffer_load_dword v98, off, s[0:3], 0 offset:556
	buffer_load_dword v110, off, s[0:3], 0 offset:568
	;; [unrolled: 1-line block ×5, first 2 shown]
	s_waitcnt lgkmcnt(0)
	v_mul_f64 v[113:114], v[5:6], v[13:14]
	v_mul_f64 v[13:14], v[7:8], v[13:14]
	ds_read_b128 v[1:4], v52 offset:1168
	v_fma_f64 v[25:26], v[95:96], v[25:26], v[87:88]
	v_add_f64 v[89:90], v[85:86], v[89:90]
	v_add_f64 v[9:10], v[9:10], v[91:92]
	s_clause 0x2
	buffer_load_dword v111, off, s[0:3], 0 offset:572
	buffer_load_dword v92, off, s[0:3], 0 offset:548
	;; [unrolled: 1-line block ×3, first 2 shown]
	s_waitcnt vmcnt(58) lgkmcnt(0)
	v_mul_f64 v[95:96], v[1:2], v[17:18]
	v_mul_f64 v[17:18], v[3:4], v[17:18]
	s_waitcnt vmcnt(56)
	v_fma_f64 v[13:14], v[5:6], v[19:20], -v[13:14]
	ds_read_b128 v[85:88], v52 offset:1184
	v_fma_f64 v[19:20], v[7:8], v[19:20], v[113:114]
	v_add_f64 v[89:90], v[89:90], v[93:94]
	v_add_f64 v[9:10], v[9:10], v[25:26]
	s_clause 0x4
	buffer_load_dword v26, off, s[0:3], 0 offset:588
	buffer_load_dword v93, off, s[0:3], 0 offset:600
	buffer_load_dword v108, off, s[0:3], 0 offset:592
	buffer_load_dword v25, off, s[0:3], 0 offset:584
	buffer_load_dword v113, off, s[0:3], 0 offset:564
	ds_read_b128 v[5:8], v52 offset:1200
	s_waitcnt vmcnt(57) lgkmcnt(1)
	v_mul_f64 v[114:115], v[85:86], v[21:22]
	v_mul_f64 v[21:22], v[87:88], v[21:22]
	s_waitcnt vmcnt(56)
	v_fma_f64 v[17:18], v[1:2], v[11:12], -v[17:18]
	v_fma_f64 v[11:12], v[3:4], v[11:12], v[95:96]
	v_add_f64 v[13:14], v[89:90], v[13:14]
	v_add_f64 v[9:10], v[9:10], v[19:20]
	s_clause 0x2
	buffer_load_dword v94, off, s[0:3], 0 offset:604
	buffer_load_dword v20, off, s[0:3], 0 offset:580
	;; [unrolled: 1-line block ×3, first 2 shown]
	s_waitcnt vmcnt(58) lgkmcnt(0)
	v_mul_f64 v[89:90], v[5:6], v[27:28]
	v_mul_f64 v[27:28], v[7:8], v[27:28]
	s_waitcnt vmcnt(56)
	v_fma_f64 v[21:22], v[85:86], v[29:30], -v[21:22]
	ds_read_b128 v[1:4], v52 offset:1216
	v_add_f64 v[13:14], v[13:14], v[17:18]
	v_fma_f64 v[17:18], v[87:88], v[29:30], v[114:115]
	v_add_f64 v[29:30], v[9:10], v[11:12]
	s_clause 0x4
	buffer_load_dword v86, off, s[0:3], 0 offset:620
	buffer_load_dword v87, off, s[0:3], 0 offset:632
	;; [unrolled: 1-line block ×5, first 2 shown]
	ds_read_b128 v[9:12], v52 offset:1232
	s_waitcnt vmcnt(57) lgkmcnt(1)
	v_mul_f64 v[114:115], v[1:2], v[31:32]
	v_mul_f64 v[31:32], v[3:4], v[31:32]
	s_waitcnt vmcnt(56)
	v_fma_f64 v[27:28], v[5:6], v[15:16], -v[27:28]
	v_fma_f64 v[15:16], v[7:8], v[15:16], v[89:90]
	v_add_f64 v[13:14], v[13:14], v[21:22]
	s_clause 0x2
	buffer_load_dword v88, off, s[0:3], 0 offset:636
	buffer_load_dword v22, off, s[0:3], 0 offset:612
	buffer_load_dword v21, off, s[0:3], 0 offset:608
	v_add_f64 v[17:18], v[29:30], v[17:18]
	s_waitcnt vmcnt(58) lgkmcnt(0)
	v_mul_f64 v[29:30], v[9:10], v[35:36]
	v_mul_f64 v[35:36], v[11:12], v[35:36]
	ds_read_b128 v[5:8], v52 offset:1248
	s_waitcnt vmcnt(56)
	v_fma_f64 v[31:32], v[1:2], v[37:38], -v[31:32]
	v_add_f64 v[13:14], v[13:14], v[27:28]
	v_fma_f64 v[27:28], v[3:4], v[37:38], v[114:115]
	v_add_f64 v[15:16], v[17:18], v[15:16]
	s_clause 0x4
	buffer_load_dword v18, off, s[0:3], 0 offset:652
	buffer_load_dword v37, off, s[0:3], 0 offset:664
	;; [unrolled: 1-line block ×5, first 2 shown]
	s_waitcnt vmcnt(57) lgkmcnt(0)
	v_mul_f64 v[114:115], v[5:6], v[39:40]
	v_mul_f64 v[39:40], v[7:8], v[39:40]
	s_waitcnt vmcnt(56)
	v_fma_f64 v[35:36], v[9:10], v[23:24], -v[35:36]
	ds_read_b128 v[1:4], v52 offset:1264
	v_fma_f64 v[23:24], v[11:12], v[23:24], v[29:30]
	v_add_f64 v[13:14], v[13:14], v[31:32]
	v_add_f64 v[15:16], v[15:16], v[27:28]
	s_clause 0x2
	buffer_load_dword v38, off, s[0:3], 0 offset:668
	buffer_load_dword v28, off, s[0:3], 0 offset:644
	;; [unrolled: 1-line block ×3, first 2 shown]
	ds_read_b128 v[9:12], v52 offset:1280
	s_waitcnt vmcnt(58) lgkmcnt(1)
	v_mul_f64 v[31:32], v[3:4], v[48:49]
	s_waitcnt vmcnt(56)
	v_fma_f64 v[39:40], v[5:6], v[50:51], -v[39:40]
	v_mul_f64 v[29:30], v[1:2], v[48:49]
	v_add_f64 v[13:14], v[13:14], v[35:36]
	v_fma_f64 v[35:36], v[7:8], v[50:51], v[114:115]
	v_add_f64 v[15:16], v[15:16], v[23:24]
	s_clause 0x4
	buffer_load_dword v24, off, s[0:3], 0 offset:684
	buffer_load_dword v48, off, s[0:3], 0 offset:696
	;; [unrolled: 1-line block ×5, first 2 shown]
	s_waitcnt vmcnt(57) lgkmcnt(0)
	v_mul_f64 v[114:115], v[9:10], v[65:66]
	v_mul_f64 v[65:66], v[11:12], v[65:66]
	s_waitcnt vmcnt(56)
	v_fma_f64 v[31:32], v[1:2], v[33:34], -v[31:32]
	ds_read_b128 v[5:8], v52 offset:1296
	v_fma_f64 v[29:30], v[3:4], v[33:34], v[29:30]
	s_clause 0x2
	buffer_load_dword v49, off, s[0:3], 0 offset:700
	buffer_load_dword v34, off, s[0:3], 0 offset:676
	;; [unrolled: 1-line block ×3, first 2 shown]
	ds_read_b128 v[1:4], v52 offset:1312
	v_add_f64 v[13:14], v[13:14], v[39:40]
	v_add_f64 v[15:16], v[15:16], v[35:36]
	s_waitcnt vmcnt(58) lgkmcnt(1)
	v_mul_f64 v[39:40], v[7:8], v[75:76]
	s_waitcnt vmcnt(56)
	v_fma_f64 v[65:66], v[9:10], v[77:78], -v[65:66]
	v_mul_f64 v[35:36], v[5:6], v[75:76]
	v_add_f64 v[13:14], v[13:14], v[31:32]
	v_fma_f64 v[31:32], v[11:12], v[77:78], v[114:115]
	v_add_f64 v[15:16], v[15:16], v[29:30]
	s_clause 0x4
	buffer_load_dword v30, off, s[0:3], 0 offset:716
	buffer_load_dword v75, off, s[0:3], 0 offset:728
	;; [unrolled: 1-line block ×5, first 2 shown]
	s_waitcnt vmcnt(57) lgkmcnt(0)
	v_mul_f64 v[114:115], v[1:2], v[79:80]
	v_mul_f64 v[78:79], v[3:4], v[79:80]
	s_waitcnt vmcnt(56)
	v_fma_f64 v[39:40], v[5:6], v[41:42], -v[39:40]
	ds_read_b128 v[9:12], v52 offset:1328
	v_fma_f64 v[35:36], v[7:8], v[41:42], v[35:36]
	v_add_f64 v[13:14], v[13:14], v[65:66]
	v_add_f64 v[15:16], v[15:16], v[31:32]
	s_clause 0x2
	buffer_load_dword v76, off, s[0:3], 0 offset:732
	buffer_load_dword v32, off, s[0:3], 0 offset:708
	;; [unrolled: 1-line block ×3, first 2 shown]
	ds_read_b128 v[5:8], v52 offset:1344
	s_waitcnt vmcnt(58) lgkmcnt(1)
	v_mul_f64 v[65:66], v[11:12], v[81:82]
	s_waitcnt vmcnt(56)
	v_fma_f64 v[79:80], v[1:2], v[83:84], -v[78:79]
	v_mul_f64 v[41:42], v[9:10], v[81:82]
	v_add_f64 v[13:14], v[13:14], v[39:40]
	v_fma_f64 v[39:40], v[3:4], v[83:84], v[114:115]
	v_add_f64 v[15:16], v[15:16], v[35:36]
	s_clause 0x4
	buffer_load_dword v36, off, s[0:3], 0 offset:748
	buffer_load_dword v81, off, s[0:3], 0 offset:760
	;; [unrolled: 1-line block ×5, first 2 shown]
	s_waitcnt vmcnt(57) lgkmcnt(0)
	v_mul_f64 v[114:115], v[5:6], v[99:100]
	v_mul_f64 v[99:100], v[7:8], v[99:100]
	s_waitcnt vmcnt(56)
	v_fma_f64 v[65:66], v[9:10], v[67:68], -v[65:66]
	ds_read_b128 v[1:4], v52 offset:1360
	v_fma_f64 v[41:42], v[11:12], v[67:68], v[41:42]
	v_add_f64 v[13:14], v[13:14], v[79:80]
	v_add_f64 v[15:16], v[15:16], v[39:40]
	s_clause 0x2
	buffer_load_dword v82, off, s[0:3], 0 offset:764
	buffer_load_dword v40, off, s[0:3], 0 offset:740
	;; [unrolled: 1-line block ×3, first 2 shown]
	ds_read_b128 v[9:12], v52 offset:1376
	s_waitcnt vmcnt(58) lgkmcnt(1)
	v_mul_f64 v[79:80], v[3:4], v[101:102]
	s_waitcnt vmcnt(56)
	v_fma_f64 v[99:100], v[5:6], v[106:107], -v[99:100]
	v_mul_f64 v[67:68], v[1:2], v[101:102]
	v_add_f64 v[13:14], v[13:14], v[65:66]
	v_fma_f64 v[65:66], v[7:8], v[106:107], v[114:115]
	v_add_f64 v[15:16], v[15:16], v[41:42]
	s_clause 0x4
	buffer_load_dword v42, off, s[0:3], 0 offset:780
	buffer_load_dword v101, off, s[0:3], 0 offset:792
	;; [unrolled: 1-line block ×5, first 2 shown]
	ds_read_b128 v[5:8], v52 offset:1392
	s_waitcnt vmcnt(57) lgkmcnt(1)
	v_mul_f64 v[106:107], v[9:10], v[97:98]
	v_mul_f64 v[97:98], v[11:12], v[97:98]
	s_waitcnt vmcnt(56)
	v_fma_f64 v[79:80], v[1:2], v[103:104], -v[79:80]
	v_fma_f64 v[67:68], v[3:4], v[103:104], v[67:68]
	v_add_f64 v[13:14], v[13:14], v[99:100]
	v_add_f64 v[15:16], v[15:16], v[65:66]
	s_clause 0x2
	buffer_load_dword v102, off, s[0:3], 0 offset:796
	buffer_load_dword v66, off, s[0:3], 0 offset:772
	;; [unrolled: 1-line block ×3, first 2 shown]
	ds_read_b128 v[1:4], v52 offset:1408
	s_waitcnt vmcnt(58) lgkmcnt(1)
	v_mul_f64 v[103:104], v[7:8], v[110:111]
	v_mul_f64 v[99:100], v[5:6], v[110:111]
	s_waitcnt vmcnt(56)
	v_fma_f64 v[97:98], v[9:10], v[91:92], -v[97:98]
	v_add_f64 v[13:14], v[13:14], v[79:80]
	v_fma_f64 v[79:80], v[11:12], v[91:92], v[106:107]
	v_add_f64 v[15:16], v[15:16], v[67:68]
	s_clause 0x4
	buffer_load_dword v68, off, s[0:3], 0 offset:812
	buffer_load_dword v91, off, s[0:3], 0 offset:824
	;; [unrolled: 1-line block ×5, first 2 shown]
	ds_read_b128 v[9:12], v52 offset:1424
	s_waitcnt vmcnt(57) lgkmcnt(1)
	v_mul_f64 v[114:115], v[1:2], v[25:26]
	v_mul_f64 v[25:26], v[3:4], v[25:26]
	s_waitcnt vmcnt(56)
	v_fma_f64 v[103:104], v[5:6], v[112:113], -v[103:104]
	v_add_f64 v[13:14], v[13:14], v[97:98]
	v_fma_f64 v[97:98], v[7:8], v[112:113], v[99:100]
	v_add_f64 v[15:16], v[15:16], v[79:80]
	s_clause 0x2
	buffer_load_dword v92, off, s[0:3], 0 offset:828
	buffer_load_dword v80, off, s[0:3], 0 offset:804
	;; [unrolled: 1-line block ×3, first 2 shown]
	ds_read_b128 v[5:8], v52 offset:1440
	s_waitcnt vmcnt(58) lgkmcnt(1)
	v_mul_f64 v[99:100], v[9:10], v[93:94]
	v_mul_f64 v[93:94], v[11:12], v[93:94]
	s_waitcnt vmcnt(56)
	v_fma_f64 v[25:26], v[1:2], v[19:20], -v[25:26]
	v_fma_f64 v[19:20], v[3:4], v[19:20], v[114:115]
	v_add_f64 v[13:14], v[13:14], v[103:104]
	v_add_f64 v[15:16], v[15:16], v[97:98]
	s_clause 0x4
	buffer_load_dword v98, off, s[0:3], 0 offset:844
	buffer_load_dword v103, off, s[0:3], 0 offset:856
	;; [unrolled: 1-line block ×5, first 2 shown]
	ds_read_b128 v[1:4], v52 offset:1456
	s_waitcnt vmcnt(57) lgkmcnt(1)
	v_mul_f64 v[112:113], v[5:6], v[85:86]
	v_mul_f64 v[85:86], v[7:8], v[85:86]
	s_waitcnt vmcnt(56)
	v_fma_f64 v[93:94], v[9:10], v[108:109], -v[93:94]
	v_add_f64 v[13:14], v[13:14], v[25:26]
	v_fma_f64 v[25:26], v[11:12], v[108:109], v[99:100]
	v_add_f64 v[15:16], v[15:16], v[19:20]
	s_clause 0x2
	buffer_load_dword v104, off, s[0:3], 0 offset:860
	buffer_load_dword v20, off, s[0:3], 0 offset:836
	;; [unrolled: 1-line block ×3, first 2 shown]
	ds_read_b128 v[9:12], v52 offset:1472
	buffer_load_dword v108, off, s[0:3], 0 offset:852
	s_waitcnt vmcnt(59) lgkmcnt(1)
	v_mul_f64 v[99:100], v[1:2], v[87:88]
	v_mul_f64 v[87:88], v[3:4], v[87:88]
	s_waitcnt vmcnt(57)
	v_fma_f64 v[85:86], v[5:6], v[21:22], -v[85:86]
	v_fma_f64 v[21:22], v[7:8], v[21:22], v[112:113]
	ds_read_b128 v[5:8], v52 offset:1488
	v_add_f64 v[13:14], v[13:14], v[93:94]
	v_add_f64 v[15:16], v[15:16], v[25:26]
	s_waitcnt vmcnt(53) lgkmcnt(1)
	v_mul_f64 v[25:26], v[9:10], v[17:18]
	v_mul_f64 v[17:18], v[11:12], v[17:18]
	s_waitcnt vmcnt(52)
	v_fma_f64 v[87:88], v[1:2], v[95:96], -v[87:88]
	v_add_f64 v[13:14], v[13:14], v[85:86]
	v_fma_f64 v[85:86], v[3:4], v[95:96], v[99:100]
	v_add_f64 v[15:16], v[15:16], v[21:22]
	ds_read_b128 v[1:4], v52 offset:1504
	s_waitcnt vmcnt(51) lgkmcnt(1)
	v_mul_f64 v[21:22], v[5:6], v[37:38]
	v_mul_f64 v[37:38], v[7:8], v[37:38]
	s_waitcnt vmcnt(49)
	v_fma_f64 v[17:18], v[9:10], v[27:28], -v[17:18]
	v_fma_f64 v[25:26], v[11:12], v[27:28], v[25:26]
	v_add_f64 v[13:14], v[13:14], v[87:88]
	v_add_f64 v[15:16], v[15:16], v[85:86]
	s_clause 0x3
	buffer_load_dword v27, off, s[0:3], 0 offset:256
	buffer_load_dword v28, off, s[0:3], 0 offset:260
	;; [unrolled: 1-line block ×4, first 2 shown]
	ds_read_b128 v[9:12], v52 offset:1520
	s_waitcnt vmcnt(49) lgkmcnt(1)
	v_mul_f64 v[87:88], v[1:2], v[23:24]
	v_mul_f64 v[23:24], v[3:4], v[23:24]
	s_waitcnt vmcnt(48)
	v_fma_f64 v[37:38], v[5:6], v[89:90], -v[37:38]
	v_add_f64 v[13:14], v[13:14], v[17:18]
	v_fma_f64 v[17:18], v[7:8], v[89:90], v[21:22]
	v_add_f64 v[15:16], v[15:16], v[25:26]
	ds_read_b128 v[5:8], v52 offset:1536
	s_waitcnt vmcnt(47) lgkmcnt(1)
	v_mul_f64 v[25:26], v[11:12], v[48:49]
	v_mul_f64 v[21:22], v[9:10], v[48:49]
	s_waitcnt vmcnt(45)
	v_fma_f64 v[23:24], v[1:2], v[33:34], -v[23:24]
	v_fma_f64 v[33:34], v[3:4], v[33:34], v[87:88]
	ds_read_b128 v[1:4], v52 offset:1552
	v_add_f64 v[13:14], v[13:14], v[37:38]
	v_add_f64 v[15:16], v[15:16], v[17:18]
	s_waitcnt vmcnt(41) lgkmcnt(1)
	v_mul_f64 v[17:18], v[5:6], v[29:30]
	v_mul_f64 v[29:30], v[7:8], v[29:30]
	s_waitcnt vmcnt(40)
	v_fma_f64 v[25:26], v[9:10], v[50:51], -v[25:26]
	v_fma_f64 v[21:22], v[11:12], v[50:51], v[21:22]
	ds_read_b128 v[9:12], v52 offset:1568
	v_add_f64 v[13:14], v[13:14], v[23:24]
	v_add_f64 v[15:16], v[15:16], v[33:34]
	;; [unrolled: 9-line block ×3, first 2 shown]
	s_waitcnt vmcnt(33) lgkmcnt(1)
	v_mul_f64 v[25:26], v[11:12], v[35:36]
	s_waitcnt vmcnt(32)
	v_fma_f64 v[31:32], v[1:2], v[77:78], -v[33:34]
	v_mul_f64 v[21:22], v[9:10], v[35:36]
	v_fma_f64 v[23:24], v[3:4], v[77:78], v[23:24]
	ds_read_b128 v[1:4], v52 offset:1600
	v_add_f64 v[13:14], v[13:14], v[29:30]
	v_add_f64 v[15:16], v[15:16], v[17:18]
	s_waitcnt vmcnt(31) lgkmcnt(1)
	v_mul_f64 v[29:30], v[7:8], v[81:82]
	v_mul_f64 v[17:18], v[5:6], v[81:82]
	s_waitcnt vmcnt(29)
	v_fma_f64 v[25:26], v[9:10], v[39:40], -v[25:26]
	v_fma_f64 v[21:22], v[11:12], v[39:40], v[21:22]
	ds_read_b128 v[9:12], v52 offset:1616
	v_add_f64 v[13:14], v[13:14], v[31:32]
	v_add_f64 v[15:16], v[15:16], v[23:24]
	s_waitcnt vmcnt(25) lgkmcnt(1)
	v_mul_f64 v[31:32], v[3:4], v[41:42]
	s_waitcnt vmcnt(24)
	v_fma_f64 v[29:30], v[5:6], v[83:84], -v[29:30]
	v_mul_f64 v[23:24], v[1:2], v[41:42]
	v_fma_f64 v[17:18], v[7:8], v[83:84], v[17:18]
	ds_read_b128 v[5:8], v52 offset:1632
	v_add_f64 v[13:14], v[13:14], v[25:26]
	v_add_f64 v[15:16], v[15:16], v[21:22]
	s_waitcnt vmcnt(23) lgkmcnt(1)
	v_mul_f64 v[25:26], v[11:12], v[101:102]
	v_mul_f64 v[21:22], v[9:10], v[101:102]
	s_waitcnt vmcnt(21)
	v_fma_f64 v[31:32], v[1:2], v[65:66], -v[31:32]
	v_fma_f64 v[23:24], v[3:4], v[65:66], v[23:24]
	ds_read_b128 v[1:4], v52 offset:1648
	v_add_f64 v[13:14], v[13:14], v[29:30]
	v_add_f64 v[15:16], v[15:16], v[17:18]
	;; [unrolled: 18-line block ×3, first 2 shown]
	s_waitcnt vmcnt(9) lgkmcnt(1)
	v_mul_f64 v[25:26], v[11:12], v[97:98]
	s_waitcnt vmcnt(8)
	v_fma_f64 v[1:2], v[1:2], v[110:111], -v[31:32]
	v_mul_f64 v[21:22], v[9:10], v[97:98]
	v_fma_f64 v[3:4], v[3:4], v[110:111], v[23:24]
	v_add_f64 v[13:14], v[13:14], v[29:30]
	v_add_f64 v[15:16], v[15:16], v[17:18]
	s_waitcnt vmcnt(7) lgkmcnt(0)
	v_mul_f64 v[23:24], v[7:8], v[103:104]
	v_mul_f64 v[17:18], v[5:6], v[103:104]
	s_waitcnt vmcnt(5)
	v_fma_f64 v[9:10], v[9:10], v[19:20], -v[25:26]
	v_fma_f64 v[11:12], v[11:12], v[19:20], v[21:22]
	v_add_f64 v[1:2], v[13:14], v[1:2]
	v_add_f64 v[3:4], v[15:16], v[3:4]
	s_waitcnt vmcnt(4)
	v_fma_f64 v[5:6], v[5:6], v[107:108], -v[23:24]
	v_fma_f64 v[7:8], v[7:8], v[107:108], v[17:18]
	v_add_f64 v[1:2], v[1:2], v[9:10]
	v_add_f64 v[3:4], v[3:4], v[11:12]
	;; [unrolled: 1-line block ×4, first 2 shown]
	s_waitcnt vmcnt(2)
	v_add_f64 v[1:2], v[27:28], -v[1:2]
	s_waitcnt vmcnt(0)
	v_add_f64 v[3:4], v[85:86], -v[3:4]
	buffer_store_dword v2, off, s[0:3], 0 offset:260
	buffer_store_dword v1, off, s[0:3], 0 offset:256
	;; [unrolled: 1-line block ×4, first 2 shown]
	v_cmpx_lt_u32_e32 14, v0
	s_cbranch_execz .LBB52_303
; %bb.302:
	v_mov_b32_e32 v4, s51
	s_clause 0x3
	buffer_load_dword v1, v4, s[0:3], 0 offen
	buffer_load_dword v2, v4, s[0:3], 0 offen offset:4
	buffer_load_dword v3, v4, s[0:3], 0 offen offset:8
	;; [unrolled: 1-line block ×3, first 2 shown]
	buffer_store_dword v52, off, s[0:3], 0 offset:240
	buffer_store_dword v52, off, s[0:3], 0 offset:244
	buffer_store_dword v52, off, s[0:3], 0 offset:248
	buffer_store_dword v52, off, s[0:3], 0 offset:252
	s_waitcnt vmcnt(0)
	ds_write_b128 v43, v[1:4]
.LBB52_303:
	s_or_b32 exec_lo, exec_lo, s4
	s_waitcnt lgkmcnt(0)
	s_waitcnt_vscnt null, 0x0
	s_barrier
	buffer_gl0_inv
	s_clause 0x37
	buffer_load_dword v9, off, s[0:3], 0 offset:264
	buffer_load_dword v10, off, s[0:3], 0 offset:268
	;; [unrolled: 1-line block ×56, first 2 shown]
	ds_read_b128 v[85:88], v52 offset:1088
	s_clause 0x2
	buffer_load_dword v82, off, s[0:3], 0 offset:492
	buffer_load_dword v84, off, s[0:3], 0 offset:468
	;; [unrolled: 1-line block ×3, first 2 shown]
	ds_read_b128 v[89:92], v52 offset:1104
	s_clause 0x4
	buffer_load_dword v100, off, s[0:3], 0 offset:508
	buffer_load_dword v101, off, s[0:3], 0 offset:520
	;; [unrolled: 1-line block ×5, first 2 shown]
	ds_read_b128 v[93:96], v52 offset:1120
	s_clause 0x2
	buffer_load_dword v102, off, s[0:3], 0 offset:524
	buffer_load_dword v107, off, s[0:3], 0 offset:500
	;; [unrolled: 1-line block ×3, first 2 shown]
	s_mov_b32 s4, exec_lo
	s_waitcnt vmcnt(62) lgkmcnt(2)
	v_mul_f64 v[97:98], v[87:88], v[9:10]
	v_mul_f64 v[9:10], v[85:86], v[9:10]
	s_waitcnt lgkmcnt(1)
	v_mul_f64 v[104:105], v[91:92], v[5:6]
	s_waitcnt vmcnt(59) lgkmcnt(0)
	v_mul_f64 v[108:109], v[95:96], v[3:4]
	v_fma_f64 v[85:86], v[85:86], v[7:8], -v[97:98]
	v_mul_f64 v[97:98], v[89:90], v[5:6]
	v_fma_f64 v[9:10], v[87:88], v[7:8], v[9:10]
	s_waitcnt vmcnt(57)
	v_fma_f64 v[89:90], v[89:90], v[1:2], -v[104:105]
	ds_read_b128 v[5:8], v52 offset:1136
	v_mul_f64 v[87:88], v[93:94], v[3:4]
	s_waitcnt vmcnt(51)
	v_fma_f64 v[93:94], v[93:94], v[25:26], -v[108:109]
	v_add_f64 v[85:86], v[85:86], 0
	v_fma_f64 v[91:92], v[91:92], v[1:2], v[97:98]
	v_add_f64 v[9:10], v[9:10], 0
	s_clause 0x4
	buffer_load_dword v98, off, s[0:3], 0 offset:540
	buffer_load_dword v110, off, s[0:3], 0 offset:552
	;; [unrolled: 1-line block ×5, first 2 shown]
	s_waitcnt lgkmcnt(0)
	v_mul_f64 v[113:114], v[5:6], v[13:14]
	v_mul_f64 v[13:14], v[7:8], v[13:14]
	ds_read_b128 v[1:4], v52 offset:1152
	v_fma_f64 v[25:26], v[95:96], v[25:26], v[87:88]
	v_add_f64 v[89:90], v[85:86], v[89:90]
	v_add_f64 v[9:10], v[9:10], v[91:92]
	s_clause 0x2
	buffer_load_dword v111, off, s[0:3], 0 offset:556
	buffer_load_dword v92, off, s[0:3], 0 offset:532
	;; [unrolled: 1-line block ×3, first 2 shown]
	s_waitcnt vmcnt(58) lgkmcnt(0)
	v_mul_f64 v[95:96], v[1:2], v[17:18]
	v_mul_f64 v[17:18], v[3:4], v[17:18]
	s_waitcnt vmcnt(56)
	v_fma_f64 v[13:14], v[5:6], v[19:20], -v[13:14]
	ds_read_b128 v[85:88], v52 offset:1168
	v_fma_f64 v[19:20], v[7:8], v[19:20], v[113:114]
	v_add_f64 v[89:90], v[89:90], v[93:94]
	v_add_f64 v[9:10], v[9:10], v[25:26]
	s_clause 0x4
	buffer_load_dword v26, off, s[0:3], 0 offset:572
	buffer_load_dword v93, off, s[0:3], 0 offset:584
	;; [unrolled: 1-line block ×5, first 2 shown]
	ds_read_b128 v[5:8], v52 offset:1184
	s_waitcnt vmcnt(57) lgkmcnt(1)
	v_mul_f64 v[114:115], v[85:86], v[21:22]
	v_mul_f64 v[21:22], v[87:88], v[21:22]
	s_waitcnt vmcnt(56)
	v_fma_f64 v[17:18], v[1:2], v[11:12], -v[17:18]
	v_fma_f64 v[11:12], v[3:4], v[11:12], v[95:96]
	v_add_f64 v[13:14], v[89:90], v[13:14]
	v_add_f64 v[9:10], v[9:10], v[19:20]
	s_clause 0x2
	buffer_load_dword v94, off, s[0:3], 0 offset:588
	buffer_load_dword v20, off, s[0:3], 0 offset:564
	;; [unrolled: 1-line block ×3, first 2 shown]
	s_waitcnt vmcnt(58) lgkmcnt(0)
	v_mul_f64 v[89:90], v[5:6], v[27:28]
	v_mul_f64 v[27:28], v[7:8], v[27:28]
	s_waitcnt vmcnt(56)
	v_fma_f64 v[21:22], v[85:86], v[29:30], -v[21:22]
	ds_read_b128 v[1:4], v52 offset:1200
	v_add_f64 v[13:14], v[13:14], v[17:18]
	v_fma_f64 v[17:18], v[87:88], v[29:30], v[114:115]
	v_add_f64 v[29:30], v[9:10], v[11:12]
	s_clause 0x4
	buffer_load_dword v86, off, s[0:3], 0 offset:604
	buffer_load_dword v87, off, s[0:3], 0 offset:616
	;; [unrolled: 1-line block ×5, first 2 shown]
	ds_read_b128 v[9:12], v52 offset:1216
	s_waitcnt vmcnt(57) lgkmcnt(1)
	v_mul_f64 v[114:115], v[1:2], v[31:32]
	v_mul_f64 v[31:32], v[3:4], v[31:32]
	s_waitcnt vmcnt(56)
	v_fma_f64 v[27:28], v[5:6], v[15:16], -v[27:28]
	v_fma_f64 v[15:16], v[7:8], v[15:16], v[89:90]
	v_add_f64 v[13:14], v[13:14], v[21:22]
	s_clause 0x2
	buffer_load_dword v88, off, s[0:3], 0 offset:620
	buffer_load_dword v22, off, s[0:3], 0 offset:596
	;; [unrolled: 1-line block ×3, first 2 shown]
	v_add_f64 v[17:18], v[29:30], v[17:18]
	s_waitcnt vmcnt(58) lgkmcnt(0)
	v_mul_f64 v[29:30], v[9:10], v[35:36]
	v_mul_f64 v[35:36], v[11:12], v[35:36]
	ds_read_b128 v[5:8], v52 offset:1232
	s_waitcnt vmcnt(56)
	v_fma_f64 v[31:32], v[1:2], v[37:38], -v[31:32]
	v_add_f64 v[13:14], v[13:14], v[27:28]
	v_fma_f64 v[27:28], v[3:4], v[37:38], v[114:115]
	v_add_f64 v[15:16], v[17:18], v[15:16]
	s_clause 0x4
	buffer_load_dword v18, off, s[0:3], 0 offset:636
	buffer_load_dword v37, off, s[0:3], 0 offset:648
	;; [unrolled: 1-line block ×5, first 2 shown]
	s_waitcnt vmcnt(57) lgkmcnt(0)
	v_mul_f64 v[114:115], v[5:6], v[39:40]
	v_mul_f64 v[39:40], v[7:8], v[39:40]
	s_waitcnt vmcnt(56)
	v_fma_f64 v[35:36], v[9:10], v[23:24], -v[35:36]
	ds_read_b128 v[1:4], v52 offset:1248
	v_fma_f64 v[23:24], v[11:12], v[23:24], v[29:30]
	v_add_f64 v[13:14], v[13:14], v[31:32]
	v_add_f64 v[15:16], v[15:16], v[27:28]
	s_clause 0x2
	buffer_load_dword v38, off, s[0:3], 0 offset:652
	buffer_load_dword v28, off, s[0:3], 0 offset:628
	;; [unrolled: 1-line block ×3, first 2 shown]
	ds_read_b128 v[9:12], v52 offset:1264
	s_waitcnt vmcnt(58) lgkmcnt(1)
	v_mul_f64 v[31:32], v[3:4], v[48:49]
	s_waitcnt vmcnt(56)
	v_fma_f64 v[39:40], v[5:6], v[50:51], -v[39:40]
	v_mul_f64 v[29:30], v[1:2], v[48:49]
	v_add_f64 v[13:14], v[13:14], v[35:36]
	v_fma_f64 v[35:36], v[7:8], v[50:51], v[114:115]
	v_add_f64 v[15:16], v[15:16], v[23:24]
	s_clause 0x4
	buffer_load_dword v24, off, s[0:3], 0 offset:668
	buffer_load_dword v48, off, s[0:3], 0 offset:680
	;; [unrolled: 1-line block ×5, first 2 shown]
	s_waitcnt vmcnt(57) lgkmcnt(0)
	v_mul_f64 v[114:115], v[9:10], v[65:66]
	v_mul_f64 v[65:66], v[11:12], v[65:66]
	s_waitcnt vmcnt(56)
	v_fma_f64 v[31:32], v[1:2], v[33:34], -v[31:32]
	ds_read_b128 v[5:8], v52 offset:1280
	v_fma_f64 v[29:30], v[3:4], v[33:34], v[29:30]
	s_clause 0x2
	buffer_load_dword v49, off, s[0:3], 0 offset:684
	buffer_load_dword v34, off, s[0:3], 0 offset:660
	;; [unrolled: 1-line block ×3, first 2 shown]
	ds_read_b128 v[1:4], v52 offset:1296
	v_add_f64 v[13:14], v[13:14], v[39:40]
	v_add_f64 v[15:16], v[15:16], v[35:36]
	s_waitcnt vmcnt(58) lgkmcnt(1)
	v_mul_f64 v[39:40], v[7:8], v[75:76]
	s_waitcnt vmcnt(56)
	v_fma_f64 v[65:66], v[9:10], v[77:78], -v[65:66]
	v_mul_f64 v[35:36], v[5:6], v[75:76]
	v_add_f64 v[13:14], v[13:14], v[31:32]
	v_fma_f64 v[31:32], v[11:12], v[77:78], v[114:115]
	v_add_f64 v[15:16], v[15:16], v[29:30]
	s_clause 0x4
	buffer_load_dword v30, off, s[0:3], 0 offset:700
	buffer_load_dword v75, off, s[0:3], 0 offset:712
	;; [unrolled: 1-line block ×5, first 2 shown]
	s_waitcnt vmcnt(57) lgkmcnt(0)
	v_mul_f64 v[114:115], v[1:2], v[79:80]
	v_mul_f64 v[78:79], v[3:4], v[79:80]
	s_waitcnt vmcnt(56)
	v_fma_f64 v[39:40], v[5:6], v[41:42], -v[39:40]
	ds_read_b128 v[9:12], v52 offset:1312
	v_fma_f64 v[35:36], v[7:8], v[41:42], v[35:36]
	v_add_f64 v[13:14], v[13:14], v[65:66]
	v_add_f64 v[15:16], v[15:16], v[31:32]
	s_clause 0x2
	buffer_load_dword v76, off, s[0:3], 0 offset:716
	buffer_load_dword v32, off, s[0:3], 0 offset:692
	;; [unrolled: 1-line block ×3, first 2 shown]
	ds_read_b128 v[5:8], v52 offset:1328
	s_waitcnt vmcnt(58) lgkmcnt(1)
	v_mul_f64 v[65:66], v[11:12], v[81:82]
	s_waitcnt vmcnt(56)
	v_fma_f64 v[79:80], v[1:2], v[83:84], -v[78:79]
	v_mul_f64 v[41:42], v[9:10], v[81:82]
	v_add_f64 v[13:14], v[13:14], v[39:40]
	v_fma_f64 v[39:40], v[3:4], v[83:84], v[114:115]
	v_add_f64 v[15:16], v[15:16], v[35:36]
	s_clause 0x4
	buffer_load_dword v36, off, s[0:3], 0 offset:732
	buffer_load_dword v81, off, s[0:3], 0 offset:744
	;; [unrolled: 1-line block ×5, first 2 shown]
	s_waitcnt vmcnt(57) lgkmcnt(0)
	v_mul_f64 v[114:115], v[5:6], v[99:100]
	v_mul_f64 v[99:100], v[7:8], v[99:100]
	s_waitcnt vmcnt(56)
	v_fma_f64 v[65:66], v[9:10], v[67:68], -v[65:66]
	ds_read_b128 v[1:4], v52 offset:1344
	v_fma_f64 v[41:42], v[11:12], v[67:68], v[41:42]
	v_add_f64 v[13:14], v[13:14], v[79:80]
	v_add_f64 v[15:16], v[15:16], v[39:40]
	s_clause 0x2
	buffer_load_dword v82, off, s[0:3], 0 offset:748
	buffer_load_dword v40, off, s[0:3], 0 offset:724
	;; [unrolled: 1-line block ×3, first 2 shown]
	ds_read_b128 v[9:12], v52 offset:1360
	s_waitcnt vmcnt(58) lgkmcnt(1)
	v_mul_f64 v[79:80], v[3:4], v[101:102]
	s_waitcnt vmcnt(56)
	v_fma_f64 v[99:100], v[5:6], v[106:107], -v[99:100]
	v_mul_f64 v[67:68], v[1:2], v[101:102]
	v_add_f64 v[13:14], v[13:14], v[65:66]
	v_fma_f64 v[65:66], v[7:8], v[106:107], v[114:115]
	v_add_f64 v[15:16], v[15:16], v[41:42]
	s_clause 0x4
	buffer_load_dword v42, off, s[0:3], 0 offset:764
	buffer_load_dword v101, off, s[0:3], 0 offset:776
	;; [unrolled: 1-line block ×5, first 2 shown]
	ds_read_b128 v[5:8], v52 offset:1376
	s_waitcnt vmcnt(57) lgkmcnt(1)
	v_mul_f64 v[106:107], v[9:10], v[97:98]
	v_mul_f64 v[97:98], v[11:12], v[97:98]
	s_waitcnt vmcnt(56)
	v_fma_f64 v[79:80], v[1:2], v[103:104], -v[79:80]
	v_fma_f64 v[67:68], v[3:4], v[103:104], v[67:68]
	v_add_f64 v[13:14], v[13:14], v[99:100]
	v_add_f64 v[15:16], v[15:16], v[65:66]
	s_clause 0x2
	buffer_load_dword v102, off, s[0:3], 0 offset:780
	buffer_load_dword v66, off, s[0:3], 0 offset:756
	;; [unrolled: 1-line block ×3, first 2 shown]
	ds_read_b128 v[1:4], v52 offset:1392
	s_waitcnt vmcnt(58) lgkmcnt(1)
	v_mul_f64 v[103:104], v[7:8], v[110:111]
	v_mul_f64 v[99:100], v[5:6], v[110:111]
	s_waitcnt vmcnt(56)
	v_fma_f64 v[97:98], v[9:10], v[91:92], -v[97:98]
	v_add_f64 v[13:14], v[13:14], v[79:80]
	v_fma_f64 v[79:80], v[11:12], v[91:92], v[106:107]
	v_add_f64 v[15:16], v[15:16], v[67:68]
	s_clause 0x4
	buffer_load_dword v68, off, s[0:3], 0 offset:796
	buffer_load_dword v91, off, s[0:3], 0 offset:808
	;; [unrolled: 1-line block ×5, first 2 shown]
	ds_read_b128 v[9:12], v52 offset:1408
	s_waitcnt vmcnt(57) lgkmcnt(1)
	v_mul_f64 v[114:115], v[1:2], v[25:26]
	v_mul_f64 v[25:26], v[3:4], v[25:26]
	s_waitcnt vmcnt(56)
	v_fma_f64 v[103:104], v[5:6], v[112:113], -v[103:104]
	v_add_f64 v[13:14], v[13:14], v[97:98]
	v_fma_f64 v[97:98], v[7:8], v[112:113], v[99:100]
	v_add_f64 v[15:16], v[15:16], v[79:80]
	s_clause 0x2
	buffer_load_dword v92, off, s[0:3], 0 offset:812
	buffer_load_dword v80, off, s[0:3], 0 offset:788
	;; [unrolled: 1-line block ×3, first 2 shown]
	ds_read_b128 v[5:8], v52 offset:1424
	s_waitcnt vmcnt(58) lgkmcnt(1)
	v_mul_f64 v[99:100], v[9:10], v[93:94]
	v_mul_f64 v[93:94], v[11:12], v[93:94]
	s_waitcnt vmcnt(56)
	v_fma_f64 v[25:26], v[1:2], v[19:20], -v[25:26]
	v_fma_f64 v[19:20], v[3:4], v[19:20], v[114:115]
	v_add_f64 v[13:14], v[13:14], v[103:104]
	v_add_f64 v[15:16], v[15:16], v[97:98]
	s_clause 0x4
	buffer_load_dword v98, off, s[0:3], 0 offset:828
	buffer_load_dword v103, off, s[0:3], 0 offset:840
	;; [unrolled: 1-line block ×5, first 2 shown]
	ds_read_b128 v[1:4], v52 offset:1440
	s_waitcnt vmcnt(57) lgkmcnt(1)
	v_mul_f64 v[112:113], v[5:6], v[85:86]
	v_mul_f64 v[85:86], v[7:8], v[85:86]
	s_waitcnt vmcnt(56)
	v_fma_f64 v[93:94], v[9:10], v[108:109], -v[93:94]
	v_add_f64 v[13:14], v[13:14], v[25:26]
	v_fma_f64 v[25:26], v[11:12], v[108:109], v[99:100]
	v_add_f64 v[15:16], v[15:16], v[19:20]
	s_clause 0x2
	buffer_load_dword v104, off, s[0:3], 0 offset:844
	buffer_load_dword v20, off, s[0:3], 0 offset:820
	;; [unrolled: 1-line block ×3, first 2 shown]
	ds_read_b128 v[9:12], v52 offset:1456
	s_waitcnt vmcnt(58) lgkmcnt(1)
	v_mul_f64 v[99:100], v[1:2], v[87:88]
	v_mul_f64 v[87:88], v[3:4], v[87:88]
	s_waitcnt vmcnt(56)
	v_fma_f64 v[85:86], v[5:6], v[21:22], -v[85:86]
	v_fma_f64 v[21:22], v[7:8], v[21:22], v[112:113]
	v_add_f64 v[13:14], v[13:14], v[93:94]
	v_add_f64 v[15:16], v[15:16], v[25:26]
	s_clause 0x2
	buffer_load_dword v26, off, s[0:3], 0 offset:860
	buffer_load_dword v25, off, s[0:3], 0 offset:856
	;; [unrolled: 1-line block ×3, first 2 shown]
	ds_read_b128 v[5:8], v52 offset:1472
	s_waitcnt vmcnt(55) lgkmcnt(1)
	v_mul_f64 v[93:94], v[9:10], v[17:18]
	v_mul_f64 v[17:18], v[11:12], v[17:18]
	s_waitcnt vmcnt(54)
	v_fma_f64 v[87:88], v[1:2], v[95:96], -v[87:88]
	v_add_f64 v[13:14], v[13:14], v[85:86]
	v_fma_f64 v[85:86], v[3:4], v[95:96], v[99:100]
	v_add_f64 v[15:16], v[15:16], v[21:22]
	s_clause 0x1
	buffer_load_dword v22, off, s[0:3], 0 offset:852
	buffer_load_dword v21, off, s[0:3], 0 offset:848
	ds_read_b128 v[1:4], v52 offset:1488
	s_waitcnt vmcnt(55) lgkmcnt(1)
	v_mul_f64 v[95:96], v[5:6], v[37:38]
	v_mul_f64 v[37:38], v[7:8], v[37:38]
	s_waitcnt vmcnt(53)
	v_fma_f64 v[17:18], v[9:10], v[27:28], -v[17:18]
	v_fma_f64 v[27:28], v[11:12], v[27:28], v[93:94]
	ds_read_b128 v[9:12], v52 offset:1504
	v_add_f64 v[13:14], v[13:14], v[87:88]
	v_add_f64 v[15:16], v[15:16], v[85:86]
	s_waitcnt vmcnt(49) lgkmcnt(1)
	v_mul_f64 v[85:86], v[1:2], v[23:24]
	v_mul_f64 v[23:24], v[3:4], v[23:24]
	s_waitcnt vmcnt(48)
	v_fma_f64 v[37:38], v[5:6], v[89:90], -v[37:38]
	v_add_f64 v[13:14], v[13:14], v[17:18]
	v_fma_f64 v[17:18], v[7:8], v[89:90], v[95:96]
	v_add_f64 v[15:16], v[15:16], v[27:28]
	s_clause 0x3
	buffer_load_dword v27, off, s[0:3], 0 offset:240
	buffer_load_dword v28, off, s[0:3], 0 offset:244
	;; [unrolled: 1-line block ×4, first 2 shown]
	s_waitcnt vmcnt(51) lgkmcnt(0)
	v_mul_f64 v[89:90], v[9:10], v[48:49]
	v_mul_f64 v[48:49], v[11:12], v[48:49]
	ds_read_b128 v[5:8], v52 offset:1520
	s_waitcnt vmcnt(49)
	v_fma_f64 v[23:24], v[1:2], v[33:34], -v[23:24]
	v_fma_f64 v[33:34], v[3:4], v[33:34], v[85:86]
	ds_read_b128 v[1:4], v52 offset:1536
	v_add_f64 v[13:14], v[13:14], v[37:38]
	v_add_f64 v[15:16], v[15:16], v[17:18]
	s_waitcnt vmcnt(45) lgkmcnt(1)
	v_mul_f64 v[17:18], v[5:6], v[29:30]
	v_mul_f64 v[29:30], v[7:8], v[29:30]
	s_waitcnt vmcnt(44)
	v_fma_f64 v[37:38], v[9:10], v[50:51], -v[48:49]
	v_add_f64 v[13:14], v[13:14], v[23:24]
	v_fma_f64 v[23:24], v[11:12], v[50:51], v[89:90]
	v_add_f64 v[15:16], v[15:16], v[33:34]
	ds_read_b128 v[9:12], v52 offset:1552
	s_waitcnt vmcnt(43) lgkmcnt(1)
	v_mul_f64 v[48:49], v[3:4], v[75:76]
	v_mul_f64 v[33:34], v[1:2], v[75:76]
	s_waitcnt vmcnt(41)
	v_fma_f64 v[29:30], v[5:6], v[31:32], -v[29:30]
	v_fma_f64 v[17:18], v[7:8], v[31:32], v[17:18]
	ds_read_b128 v[5:8], v52 offset:1568
	v_add_f64 v[13:14], v[13:14], v[37:38]
	v_add_f64 v[15:16], v[15:16], v[23:24]
	s_waitcnt vmcnt(37) lgkmcnt(1)
	v_mul_f64 v[23:24], v[9:10], v[35:36]
	v_mul_f64 v[31:32], v[11:12], v[35:36]
	s_waitcnt vmcnt(36)
	v_fma_f64 v[35:36], v[1:2], v[77:78], -v[48:49]
	v_add_f64 v[13:14], v[13:14], v[29:30]
	v_fma_f64 v[29:30], v[3:4], v[77:78], v[33:34]
	v_add_f64 v[15:16], v[15:16], v[17:18]
	ds_read_b128 v[1:4], v52 offset:1584
	s_waitcnt vmcnt(35) lgkmcnt(1)
	v_mul_f64 v[33:34], v[7:8], v[81:82]
	v_mul_f64 v[17:18], v[5:6], v[81:82]
	s_waitcnt vmcnt(33)
	v_fma_f64 v[31:32], v[9:10], v[39:40], -v[31:32]
	v_fma_f64 v[23:24], v[11:12], v[39:40], v[23:24]
	ds_read_b128 v[9:12], v52 offset:1600
	v_add_f64 v[13:14], v[13:14], v[35:36]
	v_add_f64 v[15:16], v[15:16], v[29:30]
	s_waitcnt vmcnt(29) lgkmcnt(1)
	v_mul_f64 v[35:36], v[3:4], v[41:42]
	s_waitcnt vmcnt(28)
	v_fma_f64 v[33:34], v[5:6], v[83:84], -v[33:34]
	v_mul_f64 v[29:30], v[1:2], v[41:42]
	v_fma_f64 v[17:18], v[7:8], v[83:84], v[17:18]
	ds_read_b128 v[5:8], v52 offset:1616
	v_add_f64 v[13:14], v[13:14], v[31:32]
	v_add_f64 v[15:16], v[15:16], v[23:24]
	s_waitcnt vmcnt(27) lgkmcnt(1)
	v_mul_f64 v[31:32], v[11:12], v[101:102]
	v_mul_f64 v[23:24], v[9:10], v[101:102]
	s_waitcnt vmcnt(25)
	v_fma_f64 v[35:36], v[1:2], v[65:66], -v[35:36]
	v_fma_f64 v[29:30], v[3:4], v[65:66], v[29:30]
	ds_read_b128 v[1:4], v52 offset:1632
	v_add_f64 v[13:14], v[13:14], v[33:34]
	v_add_f64 v[15:16], v[15:16], v[17:18]
	s_waitcnt vmcnt(21) lgkmcnt(1)
	v_mul_f64 v[33:34], v[7:8], v[67:68]
	s_waitcnt vmcnt(20)
	v_fma_f64 v[31:32], v[9:10], v[105:106], -v[31:32]
	v_mul_f64 v[17:18], v[5:6], v[67:68]
	v_fma_f64 v[23:24], v[11:12], v[105:106], v[23:24]
	ds_read_b128 v[9:12], v52 offset:1648
	v_add_f64 v[13:14], v[13:14], v[35:36]
	v_add_f64 v[15:16], v[15:16], v[29:30]
	;; [unrolled: 18-line block ×3, first 2 shown]
	s_waitcnt vmcnt(11) lgkmcnt(1)
	v_mul_f64 v[33:34], v[7:8], v[103:104]
	v_mul_f64 v[17:18], v[5:6], v[103:104]
	s_waitcnt vmcnt(9)
	v_fma_f64 v[9:10], v[9:10], v[19:20], -v[31:32]
	v_fma_f64 v[11:12], v[11:12], v[19:20], v[23:24]
	v_add_f64 v[13:14], v[13:14], v[35:36]
	v_add_f64 v[15:16], v[15:16], v[29:30]
	s_waitcnt vmcnt(7) lgkmcnt(0)
	v_mul_f64 v[23:24], v[3:4], v[25:26]
	s_waitcnt vmcnt(6)
	v_fma_f64 v[5:6], v[5:6], v[107:108], -v[33:34]
	v_mul_f64 v[19:20], v[1:2], v[25:26]
	v_fma_f64 v[7:8], v[7:8], v[107:108], v[17:18]
	v_add_f64 v[9:10], v[13:14], v[9:10]
	v_add_f64 v[11:12], v[15:16], v[11:12]
	s_waitcnt vmcnt(4)
	v_fma_f64 v[1:2], v[1:2], v[21:22], -v[23:24]
	v_fma_f64 v[3:4], v[3:4], v[21:22], v[19:20]
	v_add_f64 v[5:6], v[9:10], v[5:6]
	v_add_f64 v[7:8], v[11:12], v[7:8]
	;; [unrolled: 1-line block ×4, first 2 shown]
	s_waitcnt vmcnt(2)
	v_add_f64 v[1:2], v[27:28], -v[1:2]
	s_waitcnt vmcnt(0)
	v_add_f64 v[3:4], v[87:88], -v[3:4]
	buffer_store_dword v2, off, s[0:3], 0 offset:244
	buffer_store_dword v1, off, s[0:3], 0 offset:240
	;; [unrolled: 1-line block ×4, first 2 shown]
	v_cmpx_lt_u32_e32 13, v0
	s_cbranch_execz .LBB52_305
; %bb.304:
	v_mov_b32_e32 v4, s52
	v_mov_b32_e32 v5, 0
	s_clause 0x3
	buffer_load_dword v1, v4, s[0:3], 0 offen
	buffer_load_dword v2, v4, s[0:3], 0 offen offset:4
	buffer_load_dword v3, v4, s[0:3], 0 offen offset:8
	;; [unrolled: 1-line block ×3, first 2 shown]
	buffer_store_dword v5, off, s[0:3], 0 offset:224
	buffer_store_dword v5, off, s[0:3], 0 offset:228
	;; [unrolled: 1-line block ×4, first 2 shown]
	s_waitcnt vmcnt(0)
	ds_write_b128 v43, v[1:4]
.LBB52_305:
	s_or_b32 exec_lo, exec_lo, s4
	s_waitcnt lgkmcnt(0)
	s_waitcnt_vscnt null, 0x0
	s_barrier
	buffer_gl0_inv
	s_clause 0x37
	buffer_load_dword v9, off, s[0:3], 0 offset:248
	buffer_load_dword v10, off, s[0:3], 0 offset:252
	;; [unrolled: 1-line block ×56, first 2 shown]
	v_mov_b32_e32 v52, 0
	s_mov_b32 s4, exec_lo
	ds_read_b128 v[85:88], v52 offset:1072
	s_clause 0x2
	buffer_load_dword v82, off, s[0:3], 0 offset:476
	buffer_load_dword v84, off, s[0:3], 0 offset:452
	;; [unrolled: 1-line block ×3, first 2 shown]
	ds_read_b128 v[89:92], v52 offset:1088
	s_clause 0x4
	buffer_load_dword v100, off, s[0:3], 0 offset:492
	buffer_load_dword v101, off, s[0:3], 0 offset:504
	;; [unrolled: 1-line block ×5, first 2 shown]
	ds_read_b128 v[93:96], v52 offset:1104
	s_clause 0x2
	buffer_load_dword v102, off, s[0:3], 0 offset:508
	buffer_load_dword v107, off, s[0:3], 0 offset:484
	;; [unrolled: 1-line block ×3, first 2 shown]
	s_waitcnt vmcnt(62) lgkmcnt(2)
	v_mul_f64 v[97:98], v[87:88], v[9:10]
	v_mul_f64 v[9:10], v[85:86], v[9:10]
	s_waitcnt lgkmcnt(1)
	v_mul_f64 v[104:105], v[91:92], v[5:6]
	s_waitcnt vmcnt(59) lgkmcnt(0)
	v_mul_f64 v[108:109], v[95:96], v[3:4]
	v_fma_f64 v[85:86], v[85:86], v[7:8], -v[97:98]
	v_mul_f64 v[97:98], v[89:90], v[5:6]
	v_fma_f64 v[9:10], v[87:88], v[7:8], v[9:10]
	s_waitcnt vmcnt(57)
	v_fma_f64 v[89:90], v[89:90], v[1:2], -v[104:105]
	ds_read_b128 v[5:8], v52 offset:1120
	v_mul_f64 v[87:88], v[93:94], v[3:4]
	s_waitcnt vmcnt(51)
	v_fma_f64 v[93:94], v[93:94], v[25:26], -v[108:109]
	v_add_f64 v[85:86], v[85:86], 0
	v_fma_f64 v[91:92], v[91:92], v[1:2], v[97:98]
	v_add_f64 v[9:10], v[9:10], 0
	s_clause 0x4
	buffer_load_dword v98, off, s[0:3], 0 offset:524
	buffer_load_dword v110, off, s[0:3], 0 offset:536
	;; [unrolled: 1-line block ×5, first 2 shown]
	s_waitcnt lgkmcnt(0)
	v_mul_f64 v[113:114], v[5:6], v[13:14]
	v_mul_f64 v[13:14], v[7:8], v[13:14]
	ds_read_b128 v[1:4], v52 offset:1136
	v_fma_f64 v[25:26], v[95:96], v[25:26], v[87:88]
	v_add_f64 v[89:90], v[85:86], v[89:90]
	v_add_f64 v[9:10], v[9:10], v[91:92]
	s_clause 0x2
	buffer_load_dword v111, off, s[0:3], 0 offset:540
	buffer_load_dword v92, off, s[0:3], 0 offset:516
	;; [unrolled: 1-line block ×3, first 2 shown]
	s_waitcnt vmcnt(58) lgkmcnt(0)
	v_mul_f64 v[95:96], v[1:2], v[17:18]
	v_mul_f64 v[17:18], v[3:4], v[17:18]
	s_waitcnt vmcnt(56)
	v_fma_f64 v[13:14], v[5:6], v[19:20], -v[13:14]
	ds_read_b128 v[85:88], v52 offset:1152
	v_fma_f64 v[19:20], v[7:8], v[19:20], v[113:114]
	v_add_f64 v[89:90], v[89:90], v[93:94]
	v_add_f64 v[9:10], v[9:10], v[25:26]
	s_clause 0x4
	buffer_load_dword v26, off, s[0:3], 0 offset:556
	buffer_load_dword v93, off, s[0:3], 0 offset:568
	;; [unrolled: 1-line block ×5, first 2 shown]
	ds_read_b128 v[5:8], v52 offset:1168
	s_waitcnt vmcnt(57) lgkmcnt(1)
	v_mul_f64 v[114:115], v[85:86], v[21:22]
	v_mul_f64 v[21:22], v[87:88], v[21:22]
	s_waitcnt vmcnt(56)
	v_fma_f64 v[17:18], v[1:2], v[11:12], -v[17:18]
	v_fma_f64 v[11:12], v[3:4], v[11:12], v[95:96]
	v_add_f64 v[13:14], v[89:90], v[13:14]
	v_add_f64 v[9:10], v[9:10], v[19:20]
	s_clause 0x2
	buffer_load_dword v94, off, s[0:3], 0 offset:572
	buffer_load_dword v20, off, s[0:3], 0 offset:548
	;; [unrolled: 1-line block ×3, first 2 shown]
	s_waitcnt vmcnt(58) lgkmcnt(0)
	v_mul_f64 v[89:90], v[5:6], v[27:28]
	v_mul_f64 v[27:28], v[7:8], v[27:28]
	s_waitcnt vmcnt(56)
	v_fma_f64 v[21:22], v[85:86], v[29:30], -v[21:22]
	ds_read_b128 v[1:4], v52 offset:1184
	v_add_f64 v[13:14], v[13:14], v[17:18]
	v_fma_f64 v[17:18], v[87:88], v[29:30], v[114:115]
	v_add_f64 v[29:30], v[9:10], v[11:12]
	s_clause 0x4
	buffer_load_dword v86, off, s[0:3], 0 offset:588
	buffer_load_dword v87, off, s[0:3], 0 offset:600
	;; [unrolled: 1-line block ×5, first 2 shown]
	ds_read_b128 v[9:12], v52 offset:1200
	s_waitcnt vmcnt(57) lgkmcnt(1)
	v_mul_f64 v[114:115], v[1:2], v[31:32]
	v_mul_f64 v[31:32], v[3:4], v[31:32]
	s_waitcnt vmcnt(56)
	v_fma_f64 v[27:28], v[5:6], v[15:16], -v[27:28]
	v_fma_f64 v[15:16], v[7:8], v[15:16], v[89:90]
	v_add_f64 v[13:14], v[13:14], v[21:22]
	s_clause 0x2
	buffer_load_dword v88, off, s[0:3], 0 offset:604
	buffer_load_dword v22, off, s[0:3], 0 offset:580
	;; [unrolled: 1-line block ×3, first 2 shown]
	v_add_f64 v[17:18], v[29:30], v[17:18]
	s_waitcnt vmcnt(58) lgkmcnt(0)
	v_mul_f64 v[29:30], v[9:10], v[35:36]
	v_mul_f64 v[35:36], v[11:12], v[35:36]
	ds_read_b128 v[5:8], v52 offset:1216
	s_waitcnt vmcnt(56)
	v_fma_f64 v[31:32], v[1:2], v[37:38], -v[31:32]
	v_add_f64 v[13:14], v[13:14], v[27:28]
	v_fma_f64 v[27:28], v[3:4], v[37:38], v[114:115]
	v_add_f64 v[15:16], v[17:18], v[15:16]
	s_clause 0x4
	buffer_load_dword v18, off, s[0:3], 0 offset:620
	buffer_load_dword v37, off, s[0:3], 0 offset:632
	;; [unrolled: 1-line block ×5, first 2 shown]
	s_waitcnt vmcnt(57) lgkmcnt(0)
	v_mul_f64 v[114:115], v[5:6], v[39:40]
	v_mul_f64 v[39:40], v[7:8], v[39:40]
	s_waitcnt vmcnt(56)
	v_fma_f64 v[35:36], v[9:10], v[23:24], -v[35:36]
	ds_read_b128 v[1:4], v52 offset:1232
	v_fma_f64 v[23:24], v[11:12], v[23:24], v[29:30]
	v_add_f64 v[13:14], v[13:14], v[31:32]
	v_add_f64 v[15:16], v[15:16], v[27:28]
	s_clause 0x2
	buffer_load_dword v38, off, s[0:3], 0 offset:636
	buffer_load_dword v28, off, s[0:3], 0 offset:612
	;; [unrolled: 1-line block ×3, first 2 shown]
	ds_read_b128 v[9:12], v52 offset:1248
	s_waitcnt vmcnt(58) lgkmcnt(1)
	v_mul_f64 v[31:32], v[3:4], v[48:49]
	s_waitcnt vmcnt(56)
	v_fma_f64 v[39:40], v[5:6], v[50:51], -v[39:40]
	v_mul_f64 v[29:30], v[1:2], v[48:49]
	v_add_f64 v[13:14], v[13:14], v[35:36]
	v_fma_f64 v[35:36], v[7:8], v[50:51], v[114:115]
	v_add_f64 v[15:16], v[15:16], v[23:24]
	s_clause 0x4
	buffer_load_dword v24, off, s[0:3], 0 offset:652
	buffer_load_dword v48, off, s[0:3], 0 offset:664
	;; [unrolled: 1-line block ×5, first 2 shown]
	s_waitcnt vmcnt(57) lgkmcnt(0)
	v_mul_f64 v[114:115], v[9:10], v[65:66]
	v_mul_f64 v[65:66], v[11:12], v[65:66]
	s_waitcnt vmcnt(56)
	v_fma_f64 v[31:32], v[1:2], v[33:34], -v[31:32]
	ds_read_b128 v[5:8], v52 offset:1264
	v_fma_f64 v[29:30], v[3:4], v[33:34], v[29:30]
	s_clause 0x2
	buffer_load_dword v49, off, s[0:3], 0 offset:668
	buffer_load_dword v34, off, s[0:3], 0 offset:644
	buffer_load_dword v33, off, s[0:3], 0 offset:640
	ds_read_b128 v[1:4], v52 offset:1280
	v_add_f64 v[13:14], v[13:14], v[39:40]
	v_add_f64 v[15:16], v[15:16], v[35:36]
	s_waitcnt vmcnt(58) lgkmcnt(1)
	v_mul_f64 v[39:40], v[7:8], v[75:76]
	s_waitcnt vmcnt(56)
	v_fma_f64 v[65:66], v[9:10], v[77:78], -v[65:66]
	v_mul_f64 v[35:36], v[5:6], v[75:76]
	v_add_f64 v[13:14], v[13:14], v[31:32]
	v_fma_f64 v[31:32], v[11:12], v[77:78], v[114:115]
	v_add_f64 v[15:16], v[15:16], v[29:30]
	s_clause 0x4
	buffer_load_dword v30, off, s[0:3], 0 offset:684
	buffer_load_dword v75, off, s[0:3], 0 offset:696
	;; [unrolled: 1-line block ×5, first 2 shown]
	s_waitcnt vmcnt(57) lgkmcnt(0)
	v_mul_f64 v[114:115], v[1:2], v[79:80]
	v_mul_f64 v[78:79], v[3:4], v[79:80]
	s_waitcnt vmcnt(56)
	v_fma_f64 v[39:40], v[5:6], v[41:42], -v[39:40]
	ds_read_b128 v[9:12], v52 offset:1296
	v_fma_f64 v[35:36], v[7:8], v[41:42], v[35:36]
	v_add_f64 v[13:14], v[13:14], v[65:66]
	v_add_f64 v[15:16], v[15:16], v[31:32]
	s_clause 0x2
	buffer_load_dword v76, off, s[0:3], 0 offset:700
	buffer_load_dword v32, off, s[0:3], 0 offset:676
	;; [unrolled: 1-line block ×3, first 2 shown]
	ds_read_b128 v[5:8], v52 offset:1312
	s_waitcnt vmcnt(58) lgkmcnt(1)
	v_mul_f64 v[65:66], v[11:12], v[81:82]
	s_waitcnt vmcnt(56)
	v_fma_f64 v[79:80], v[1:2], v[83:84], -v[78:79]
	v_mul_f64 v[41:42], v[9:10], v[81:82]
	v_add_f64 v[13:14], v[13:14], v[39:40]
	v_fma_f64 v[39:40], v[3:4], v[83:84], v[114:115]
	v_add_f64 v[15:16], v[15:16], v[35:36]
	s_clause 0x4
	buffer_load_dword v36, off, s[0:3], 0 offset:716
	buffer_load_dword v81, off, s[0:3], 0 offset:728
	;; [unrolled: 1-line block ×5, first 2 shown]
	s_waitcnt vmcnt(57) lgkmcnt(0)
	v_mul_f64 v[114:115], v[5:6], v[99:100]
	v_mul_f64 v[99:100], v[7:8], v[99:100]
	s_waitcnt vmcnt(56)
	v_fma_f64 v[65:66], v[9:10], v[67:68], -v[65:66]
	ds_read_b128 v[1:4], v52 offset:1328
	v_fma_f64 v[41:42], v[11:12], v[67:68], v[41:42]
	v_add_f64 v[13:14], v[13:14], v[79:80]
	v_add_f64 v[15:16], v[15:16], v[39:40]
	s_clause 0x2
	buffer_load_dword v82, off, s[0:3], 0 offset:732
	buffer_load_dword v40, off, s[0:3], 0 offset:708
	buffer_load_dword v39, off, s[0:3], 0 offset:704
	ds_read_b128 v[9:12], v52 offset:1344
	s_waitcnt vmcnt(58) lgkmcnt(1)
	v_mul_f64 v[79:80], v[3:4], v[101:102]
	s_waitcnt vmcnt(56)
	v_fma_f64 v[99:100], v[5:6], v[106:107], -v[99:100]
	v_mul_f64 v[67:68], v[1:2], v[101:102]
	v_add_f64 v[13:14], v[13:14], v[65:66]
	v_fma_f64 v[65:66], v[7:8], v[106:107], v[114:115]
	v_add_f64 v[15:16], v[15:16], v[41:42]
	s_clause 0x4
	buffer_load_dword v42, off, s[0:3], 0 offset:748
	buffer_load_dword v101, off, s[0:3], 0 offset:760
	;; [unrolled: 1-line block ×5, first 2 shown]
	ds_read_b128 v[5:8], v52 offset:1360
	s_waitcnt vmcnt(57) lgkmcnt(1)
	v_mul_f64 v[106:107], v[9:10], v[97:98]
	v_mul_f64 v[97:98], v[11:12], v[97:98]
	s_waitcnt vmcnt(56)
	v_fma_f64 v[79:80], v[1:2], v[103:104], -v[79:80]
	v_fma_f64 v[67:68], v[3:4], v[103:104], v[67:68]
	v_add_f64 v[13:14], v[13:14], v[99:100]
	v_add_f64 v[15:16], v[15:16], v[65:66]
	s_clause 0x2
	buffer_load_dword v102, off, s[0:3], 0 offset:764
	buffer_load_dword v66, off, s[0:3], 0 offset:740
	;; [unrolled: 1-line block ×3, first 2 shown]
	ds_read_b128 v[1:4], v52 offset:1376
	s_waitcnt vmcnt(58) lgkmcnt(1)
	v_mul_f64 v[103:104], v[7:8], v[110:111]
	v_mul_f64 v[99:100], v[5:6], v[110:111]
	s_waitcnt vmcnt(56)
	v_fma_f64 v[97:98], v[9:10], v[91:92], -v[97:98]
	v_add_f64 v[13:14], v[13:14], v[79:80]
	v_fma_f64 v[79:80], v[11:12], v[91:92], v[106:107]
	v_add_f64 v[15:16], v[15:16], v[67:68]
	s_clause 0x4
	buffer_load_dword v68, off, s[0:3], 0 offset:780
	buffer_load_dword v91, off, s[0:3], 0 offset:792
	;; [unrolled: 1-line block ×5, first 2 shown]
	ds_read_b128 v[9:12], v52 offset:1392
	s_waitcnt vmcnt(57) lgkmcnt(1)
	v_mul_f64 v[114:115], v[1:2], v[25:26]
	v_mul_f64 v[25:26], v[3:4], v[25:26]
	s_waitcnt vmcnt(56)
	v_fma_f64 v[103:104], v[5:6], v[112:113], -v[103:104]
	v_add_f64 v[13:14], v[13:14], v[97:98]
	v_fma_f64 v[97:98], v[7:8], v[112:113], v[99:100]
	v_add_f64 v[15:16], v[15:16], v[79:80]
	s_clause 0x2
	buffer_load_dword v92, off, s[0:3], 0 offset:796
	buffer_load_dword v80, off, s[0:3], 0 offset:772
	;; [unrolled: 1-line block ×3, first 2 shown]
	ds_read_b128 v[5:8], v52 offset:1408
	s_waitcnt vmcnt(58) lgkmcnt(1)
	v_mul_f64 v[99:100], v[9:10], v[93:94]
	v_mul_f64 v[93:94], v[11:12], v[93:94]
	s_waitcnt vmcnt(56)
	v_fma_f64 v[25:26], v[1:2], v[19:20], -v[25:26]
	v_fma_f64 v[19:20], v[3:4], v[19:20], v[114:115]
	v_add_f64 v[13:14], v[13:14], v[103:104]
	v_add_f64 v[15:16], v[15:16], v[97:98]
	s_clause 0x4
	buffer_load_dword v98, off, s[0:3], 0 offset:812
	buffer_load_dword v103, off, s[0:3], 0 offset:824
	;; [unrolled: 1-line block ×5, first 2 shown]
	ds_read_b128 v[1:4], v52 offset:1424
	s_waitcnt vmcnt(57) lgkmcnt(1)
	v_mul_f64 v[112:113], v[5:6], v[85:86]
	v_mul_f64 v[85:86], v[7:8], v[85:86]
	s_waitcnt vmcnt(56)
	v_fma_f64 v[93:94], v[9:10], v[108:109], -v[93:94]
	v_add_f64 v[13:14], v[13:14], v[25:26]
	v_fma_f64 v[25:26], v[11:12], v[108:109], v[99:100]
	v_add_f64 v[15:16], v[15:16], v[19:20]
	s_clause 0x2
	buffer_load_dword v104, off, s[0:3], 0 offset:828
	buffer_load_dword v20, off, s[0:3], 0 offset:804
	;; [unrolled: 1-line block ×3, first 2 shown]
	ds_read_b128 v[9:12], v52 offset:1440
	s_waitcnt vmcnt(58) lgkmcnt(1)
	v_mul_f64 v[99:100], v[1:2], v[87:88]
	v_mul_f64 v[87:88], v[3:4], v[87:88]
	s_waitcnt vmcnt(56)
	v_fma_f64 v[85:86], v[5:6], v[21:22], -v[85:86]
	v_fma_f64 v[21:22], v[7:8], v[21:22], v[112:113]
	v_add_f64 v[13:14], v[13:14], v[93:94]
	v_add_f64 v[15:16], v[15:16], v[25:26]
	s_clause 0x4
	buffer_load_dword v26, off, s[0:3], 0 offset:844
	buffer_load_dword v93, off, s[0:3], 0 offset:856
	buffer_load_dword v112, off, s[0:3], 0 offset:848
	buffer_load_dword v25, off, s[0:3], 0 offset:840
	buffer_load_dword v108, off, s[0:3], 0 offset:820
	ds_read_b128 v[5:8], v52 offset:1456
	s_waitcnt vmcnt(57) lgkmcnt(1)
	v_mul_f64 v[113:114], v[9:10], v[17:18]
	v_mul_f64 v[17:18], v[11:12], v[17:18]
	s_waitcnt vmcnt(56)
	v_fma_f64 v[87:88], v[1:2], v[95:96], -v[87:88]
	v_add_f64 v[13:14], v[13:14], v[85:86]
	v_fma_f64 v[85:86], v[3:4], v[95:96], v[99:100]
	v_add_f64 v[15:16], v[15:16], v[21:22]
	s_clause 0x2
	buffer_load_dword v94, off, s[0:3], 0 offset:860
	buffer_load_dword v22, off, s[0:3], 0 offset:836
	buffer_load_dword v21, off, s[0:3], 0 offset:832
	ds_read_b128 v[1:4], v52 offset:1472
	s_waitcnt vmcnt(58) lgkmcnt(1)
	v_mul_f64 v[95:96], v[5:6], v[37:38]
	v_mul_f64 v[37:38], v[7:8], v[37:38]
	s_waitcnt vmcnt(56)
	v_fma_f64 v[17:18], v[9:10], v[27:28], -v[17:18]
	v_fma_f64 v[27:28], v[11:12], v[27:28], v[113:114]
	buffer_load_dword v113, off, s[0:3], 0 offset:852
	ds_read_b128 v[9:12], v52 offset:1488
	v_add_f64 v[13:14], v[13:14], v[87:88]
	v_add_f64 v[15:16], v[15:16], v[85:86]
	s_waitcnt vmcnt(53) lgkmcnt(1)
	v_mul_f64 v[85:86], v[1:2], v[23:24]
	v_mul_f64 v[23:24], v[3:4], v[23:24]
	s_waitcnt vmcnt(52)
	v_fma_f64 v[37:38], v[5:6], v[89:90], -v[37:38]
	v_add_f64 v[13:14], v[13:14], v[17:18]
	v_fma_f64 v[17:18], v[7:8], v[89:90], v[95:96]
	v_add_f64 v[15:16], v[15:16], v[27:28]
	s_waitcnt vmcnt(51) lgkmcnt(0)
	v_mul_f64 v[27:28], v[9:10], v[48:49]
	v_mul_f64 v[48:49], v[11:12], v[48:49]
	ds_read_b128 v[5:8], v52 offset:1504
	s_waitcnt vmcnt(49)
	v_fma_f64 v[23:24], v[1:2], v[33:34], -v[23:24]
	v_fma_f64 v[33:34], v[3:4], v[33:34], v[85:86]
	v_add_f64 v[13:14], v[13:14], v[37:38]
	v_add_f64 v[15:16], v[15:16], v[17:18]
	s_clause 0x3
	buffer_load_dword v17, off, s[0:3], 0 offset:224
	buffer_load_dword v18, off, s[0:3], 0 offset:228
	;; [unrolled: 1-line block ×4, first 2 shown]
	ds_read_b128 v[1:4], v52 offset:1520
	s_waitcnt vmcnt(49) lgkmcnt(1)
	v_mul_f64 v[85:86], v[5:6], v[29:30]
	v_mul_f64 v[29:30], v[7:8], v[29:30]
	s_waitcnt vmcnt(48)
	v_fma_f64 v[48:49], v[9:10], v[50:51], -v[48:49]
	v_add_f64 v[13:14], v[13:14], v[23:24]
	v_fma_f64 v[23:24], v[11:12], v[50:51], v[27:28]
	v_add_f64 v[15:16], v[15:16], v[33:34]
	ds_read_b128 v[9:12], v52 offset:1536
	s_waitcnt vmcnt(47) lgkmcnt(1)
	v_mul_f64 v[33:34], v[3:4], v[75:76]
	v_mul_f64 v[27:28], v[1:2], v[75:76]
	s_waitcnt vmcnt(45)
	v_fma_f64 v[29:30], v[5:6], v[31:32], -v[29:30]
	v_fma_f64 v[31:32], v[7:8], v[31:32], v[85:86]
	ds_read_b128 v[5:8], v52 offset:1552
	v_add_f64 v[13:14], v[13:14], v[48:49]
	v_add_f64 v[15:16], v[15:16], v[23:24]
	s_waitcnt vmcnt(41) lgkmcnt(1)
	v_mul_f64 v[23:24], v[9:10], v[35:36]
	v_mul_f64 v[35:36], v[11:12], v[35:36]
	s_waitcnt vmcnt(40)
	v_fma_f64 v[33:34], v[1:2], v[77:78], -v[33:34]
	v_fma_f64 v[27:28], v[3:4], v[77:78], v[27:28]
	ds_read_b128 v[1:4], v52 offset:1568
	v_add_f64 v[13:14], v[13:14], v[29:30]
	v_add_f64 v[15:16], v[15:16], v[31:32]
	;; [unrolled: 9-line block ×3, first 2 shown]
	s_waitcnt vmcnt(33) lgkmcnt(1)
	v_mul_f64 v[33:34], v[3:4], v[41:42]
	s_waitcnt vmcnt(32)
	v_fma_f64 v[31:32], v[5:6], v[83:84], -v[31:32]
	v_mul_f64 v[27:28], v[1:2], v[41:42]
	v_fma_f64 v[29:30], v[7:8], v[83:84], v[29:30]
	ds_read_b128 v[5:8], v52 offset:1600
	v_add_f64 v[13:14], v[13:14], v[35:36]
	v_add_f64 v[15:16], v[15:16], v[23:24]
	s_waitcnt vmcnt(31) lgkmcnt(1)
	v_mul_f64 v[35:36], v[11:12], v[101:102]
	v_mul_f64 v[23:24], v[9:10], v[101:102]
	s_waitcnt vmcnt(29)
	v_fma_f64 v[33:34], v[1:2], v[65:66], -v[33:34]
	v_fma_f64 v[27:28], v[3:4], v[65:66], v[27:28]
	ds_read_b128 v[1:4], v52 offset:1616
	v_add_f64 v[13:14], v[13:14], v[31:32]
	v_add_f64 v[15:16], v[15:16], v[29:30]
	s_waitcnt vmcnt(25) lgkmcnt(1)
	v_mul_f64 v[31:32], v[7:8], v[67:68]
	s_waitcnt vmcnt(24)
	v_fma_f64 v[35:36], v[9:10], v[105:106], -v[35:36]
	v_mul_f64 v[29:30], v[5:6], v[67:68]
	v_fma_f64 v[23:24], v[11:12], v[105:106], v[23:24]
	ds_read_b128 v[9:12], v52 offset:1632
	v_add_f64 v[13:14], v[13:14], v[33:34]
	v_add_f64 v[15:16], v[15:16], v[27:28]
	s_waitcnt vmcnt(23) lgkmcnt(1)
	v_mul_f64 v[33:34], v[3:4], v[91:92]
	v_mul_f64 v[27:28], v[1:2], v[91:92]
	s_waitcnt vmcnt(21)
	v_fma_f64 v[31:32], v[5:6], v[79:80], -v[31:32]
	v_fma_f64 v[29:30], v[7:8], v[79:80], v[29:30]
	ds_read_b128 v[5:8], v52 offset:1648
	v_add_f64 v[13:14], v[13:14], v[35:36]
	v_add_f64 v[15:16], v[15:16], v[23:24]
	;; [unrolled: 18-line block ×3, first 2 shown]
	s_waitcnt vmcnt(9) lgkmcnt(1)
	v_mul_f64 v[23:24], v[1:2], v[25:26]
	v_mul_f64 v[25:26], v[3:4], v[25:26]
	s_waitcnt vmcnt(8)
	v_fma_f64 v[5:6], v[5:6], v[107:108], -v[31:32]
	v_fma_f64 v[7:8], v[7:8], v[107:108], v[29:30]
	v_add_f64 v[13:14], v[13:14], v[35:36]
	v_add_f64 v[15:16], v[15:16], v[19:20]
	s_waitcnt vmcnt(7) lgkmcnt(0)
	v_mul_f64 v[27:28], v[11:12], v[93:94]
	v_mul_f64 v[19:20], v[9:10], v[93:94]
	s_waitcnt vmcnt(5)
	v_fma_f64 v[1:2], v[1:2], v[21:22], -v[25:26]
	v_fma_f64 v[3:4], v[3:4], v[21:22], v[23:24]
	v_add_f64 v[5:6], v[13:14], v[5:6]
	v_add_f64 v[7:8], v[15:16], v[7:8]
	s_waitcnt vmcnt(4)
	v_fma_f64 v[9:10], v[9:10], v[112:113], -v[27:28]
	v_add_f64 v[1:2], v[5:6], v[1:2]
	v_fma_f64 v[5:6], v[11:12], v[112:113], v[19:20]
	v_add_f64 v[3:4], v[7:8], v[3:4]
	v_add_f64 v[1:2], v[1:2], v[9:10]
	;; [unrolled: 1-line block ×3, first 2 shown]
	s_waitcnt vmcnt(2)
	v_add_f64 v[1:2], v[17:18], -v[1:2]
	s_waitcnt vmcnt(0)
	v_add_f64 v[3:4], v[37:38], -v[3:4]
	buffer_store_dword v2, off, s[0:3], 0 offset:228
	buffer_store_dword v1, off, s[0:3], 0 offset:224
	;; [unrolled: 1-line block ×4, first 2 shown]
	v_cmpx_lt_u32_e32 12, v0
	s_cbranch_execz .LBB52_307
; %bb.306:
	v_mov_b32_e32 v4, s53
	s_clause 0x3
	buffer_load_dword v1, v4, s[0:3], 0 offen
	buffer_load_dword v2, v4, s[0:3], 0 offen offset:4
	buffer_load_dword v3, v4, s[0:3], 0 offen offset:8
	;; [unrolled: 1-line block ×3, first 2 shown]
	buffer_store_dword v52, off, s[0:3], 0 offset:208
	buffer_store_dword v52, off, s[0:3], 0 offset:212
	;; [unrolled: 1-line block ×4, first 2 shown]
	s_waitcnt vmcnt(0)
	ds_write_b128 v43, v[1:4]
.LBB52_307:
	s_or_b32 exec_lo, exec_lo, s4
	s_waitcnt lgkmcnt(0)
	s_waitcnt_vscnt null, 0x0
	s_barrier
	buffer_gl0_inv
	s_clause 0x37
	buffer_load_dword v9, off, s[0:3], 0 offset:232
	buffer_load_dword v10, off, s[0:3], 0 offset:236
	;; [unrolled: 1-line block ×56, first 2 shown]
	ds_read_b128 v[85:88], v52 offset:1056
	s_clause 0x2
	buffer_load_dword v82, off, s[0:3], 0 offset:460
	buffer_load_dword v84, off, s[0:3], 0 offset:436
	;; [unrolled: 1-line block ×3, first 2 shown]
	ds_read_b128 v[89:92], v52 offset:1072
	s_clause 0x4
	buffer_load_dword v100, off, s[0:3], 0 offset:476
	buffer_load_dword v101, off, s[0:3], 0 offset:488
	;; [unrolled: 1-line block ×5, first 2 shown]
	ds_read_b128 v[93:96], v52 offset:1088
	s_clause 0x2
	buffer_load_dword v102, off, s[0:3], 0 offset:492
	buffer_load_dword v107, off, s[0:3], 0 offset:468
	;; [unrolled: 1-line block ×3, first 2 shown]
	s_mov_b32 s4, exec_lo
	s_waitcnt vmcnt(62) lgkmcnt(2)
	v_mul_f64 v[97:98], v[87:88], v[9:10]
	v_mul_f64 v[9:10], v[85:86], v[9:10]
	s_waitcnt lgkmcnt(1)
	v_mul_f64 v[104:105], v[91:92], v[5:6]
	s_waitcnt vmcnt(59) lgkmcnt(0)
	v_mul_f64 v[108:109], v[95:96], v[3:4]
	v_fma_f64 v[85:86], v[85:86], v[7:8], -v[97:98]
	v_mul_f64 v[97:98], v[89:90], v[5:6]
	v_fma_f64 v[9:10], v[87:88], v[7:8], v[9:10]
	s_waitcnt vmcnt(57)
	v_fma_f64 v[89:90], v[89:90], v[1:2], -v[104:105]
	ds_read_b128 v[5:8], v52 offset:1104
	v_mul_f64 v[87:88], v[93:94], v[3:4]
	s_waitcnt vmcnt(51)
	v_fma_f64 v[93:94], v[93:94], v[25:26], -v[108:109]
	v_add_f64 v[85:86], v[85:86], 0
	v_fma_f64 v[91:92], v[91:92], v[1:2], v[97:98]
	v_add_f64 v[9:10], v[9:10], 0
	s_clause 0x4
	buffer_load_dword v98, off, s[0:3], 0 offset:508
	buffer_load_dword v110, off, s[0:3], 0 offset:520
	;; [unrolled: 1-line block ×5, first 2 shown]
	s_waitcnt lgkmcnt(0)
	v_mul_f64 v[113:114], v[5:6], v[13:14]
	v_mul_f64 v[13:14], v[7:8], v[13:14]
	ds_read_b128 v[1:4], v52 offset:1120
	v_fma_f64 v[25:26], v[95:96], v[25:26], v[87:88]
	v_add_f64 v[89:90], v[85:86], v[89:90]
	v_add_f64 v[9:10], v[9:10], v[91:92]
	s_clause 0x2
	buffer_load_dword v111, off, s[0:3], 0 offset:524
	buffer_load_dword v92, off, s[0:3], 0 offset:500
	;; [unrolled: 1-line block ×3, first 2 shown]
	s_waitcnt vmcnt(58) lgkmcnt(0)
	v_mul_f64 v[95:96], v[1:2], v[17:18]
	v_mul_f64 v[17:18], v[3:4], v[17:18]
	s_waitcnt vmcnt(56)
	v_fma_f64 v[13:14], v[5:6], v[19:20], -v[13:14]
	ds_read_b128 v[85:88], v52 offset:1136
	v_fma_f64 v[19:20], v[7:8], v[19:20], v[113:114]
	v_add_f64 v[89:90], v[89:90], v[93:94]
	v_add_f64 v[9:10], v[9:10], v[25:26]
	s_clause 0x4
	buffer_load_dword v26, off, s[0:3], 0 offset:540
	buffer_load_dword v93, off, s[0:3], 0 offset:552
	;; [unrolled: 1-line block ×5, first 2 shown]
	ds_read_b128 v[5:8], v52 offset:1152
	s_waitcnt vmcnt(57) lgkmcnt(1)
	v_mul_f64 v[114:115], v[85:86], v[21:22]
	v_mul_f64 v[21:22], v[87:88], v[21:22]
	s_waitcnt vmcnt(56)
	v_fma_f64 v[17:18], v[1:2], v[11:12], -v[17:18]
	v_fma_f64 v[11:12], v[3:4], v[11:12], v[95:96]
	v_add_f64 v[13:14], v[89:90], v[13:14]
	v_add_f64 v[9:10], v[9:10], v[19:20]
	s_clause 0x2
	buffer_load_dword v94, off, s[0:3], 0 offset:556
	buffer_load_dword v20, off, s[0:3], 0 offset:532
	;; [unrolled: 1-line block ×3, first 2 shown]
	s_waitcnt vmcnt(58) lgkmcnt(0)
	v_mul_f64 v[89:90], v[5:6], v[27:28]
	v_mul_f64 v[27:28], v[7:8], v[27:28]
	s_waitcnt vmcnt(56)
	v_fma_f64 v[21:22], v[85:86], v[29:30], -v[21:22]
	ds_read_b128 v[1:4], v52 offset:1168
	v_add_f64 v[13:14], v[13:14], v[17:18]
	v_fma_f64 v[17:18], v[87:88], v[29:30], v[114:115]
	v_add_f64 v[29:30], v[9:10], v[11:12]
	s_clause 0x4
	buffer_load_dword v86, off, s[0:3], 0 offset:572
	buffer_load_dword v87, off, s[0:3], 0 offset:584
	;; [unrolled: 1-line block ×5, first 2 shown]
	ds_read_b128 v[9:12], v52 offset:1184
	s_waitcnt vmcnt(57) lgkmcnt(1)
	v_mul_f64 v[114:115], v[1:2], v[31:32]
	v_mul_f64 v[31:32], v[3:4], v[31:32]
	s_waitcnt vmcnt(56)
	v_fma_f64 v[27:28], v[5:6], v[15:16], -v[27:28]
	v_fma_f64 v[15:16], v[7:8], v[15:16], v[89:90]
	v_add_f64 v[13:14], v[13:14], v[21:22]
	s_clause 0x2
	buffer_load_dword v88, off, s[0:3], 0 offset:588
	buffer_load_dword v22, off, s[0:3], 0 offset:564
	;; [unrolled: 1-line block ×3, first 2 shown]
	v_add_f64 v[17:18], v[29:30], v[17:18]
	s_waitcnt vmcnt(58) lgkmcnt(0)
	v_mul_f64 v[29:30], v[9:10], v[35:36]
	v_mul_f64 v[35:36], v[11:12], v[35:36]
	ds_read_b128 v[5:8], v52 offset:1200
	s_waitcnt vmcnt(56)
	v_fma_f64 v[31:32], v[1:2], v[37:38], -v[31:32]
	v_add_f64 v[13:14], v[13:14], v[27:28]
	v_fma_f64 v[27:28], v[3:4], v[37:38], v[114:115]
	v_add_f64 v[15:16], v[17:18], v[15:16]
	s_clause 0x4
	buffer_load_dword v18, off, s[0:3], 0 offset:604
	buffer_load_dword v37, off, s[0:3], 0 offset:616
	;; [unrolled: 1-line block ×5, first 2 shown]
	s_waitcnt vmcnt(57) lgkmcnt(0)
	v_mul_f64 v[114:115], v[5:6], v[39:40]
	v_mul_f64 v[39:40], v[7:8], v[39:40]
	s_waitcnt vmcnt(56)
	v_fma_f64 v[35:36], v[9:10], v[23:24], -v[35:36]
	ds_read_b128 v[1:4], v52 offset:1216
	v_fma_f64 v[23:24], v[11:12], v[23:24], v[29:30]
	v_add_f64 v[13:14], v[13:14], v[31:32]
	v_add_f64 v[15:16], v[15:16], v[27:28]
	s_clause 0x2
	buffer_load_dword v38, off, s[0:3], 0 offset:620
	buffer_load_dword v28, off, s[0:3], 0 offset:596
	;; [unrolled: 1-line block ×3, first 2 shown]
	ds_read_b128 v[9:12], v52 offset:1232
	s_waitcnt vmcnt(58) lgkmcnt(1)
	v_mul_f64 v[31:32], v[3:4], v[48:49]
	s_waitcnt vmcnt(56)
	v_fma_f64 v[39:40], v[5:6], v[50:51], -v[39:40]
	v_mul_f64 v[29:30], v[1:2], v[48:49]
	v_add_f64 v[13:14], v[13:14], v[35:36]
	v_fma_f64 v[35:36], v[7:8], v[50:51], v[114:115]
	v_add_f64 v[15:16], v[15:16], v[23:24]
	s_clause 0x4
	buffer_load_dword v24, off, s[0:3], 0 offset:636
	buffer_load_dword v48, off, s[0:3], 0 offset:648
	;; [unrolled: 1-line block ×5, first 2 shown]
	s_waitcnt vmcnt(57) lgkmcnt(0)
	v_mul_f64 v[114:115], v[9:10], v[65:66]
	v_mul_f64 v[65:66], v[11:12], v[65:66]
	s_waitcnt vmcnt(56)
	v_fma_f64 v[31:32], v[1:2], v[33:34], -v[31:32]
	ds_read_b128 v[5:8], v52 offset:1248
	v_fma_f64 v[29:30], v[3:4], v[33:34], v[29:30]
	s_clause 0x2
	buffer_load_dword v49, off, s[0:3], 0 offset:652
	buffer_load_dword v34, off, s[0:3], 0 offset:628
	;; [unrolled: 1-line block ×3, first 2 shown]
	ds_read_b128 v[1:4], v52 offset:1264
	v_add_f64 v[13:14], v[13:14], v[39:40]
	v_add_f64 v[15:16], v[15:16], v[35:36]
	s_waitcnt vmcnt(58) lgkmcnt(1)
	v_mul_f64 v[39:40], v[7:8], v[75:76]
	s_waitcnt vmcnt(56)
	v_fma_f64 v[65:66], v[9:10], v[77:78], -v[65:66]
	v_mul_f64 v[35:36], v[5:6], v[75:76]
	v_add_f64 v[13:14], v[13:14], v[31:32]
	v_fma_f64 v[31:32], v[11:12], v[77:78], v[114:115]
	v_add_f64 v[15:16], v[15:16], v[29:30]
	s_clause 0x4
	buffer_load_dword v30, off, s[0:3], 0 offset:668
	buffer_load_dword v75, off, s[0:3], 0 offset:680
	;; [unrolled: 1-line block ×5, first 2 shown]
	s_waitcnt vmcnt(57) lgkmcnt(0)
	v_mul_f64 v[114:115], v[1:2], v[79:80]
	v_mul_f64 v[78:79], v[3:4], v[79:80]
	s_waitcnt vmcnt(56)
	v_fma_f64 v[39:40], v[5:6], v[41:42], -v[39:40]
	ds_read_b128 v[9:12], v52 offset:1280
	v_fma_f64 v[35:36], v[7:8], v[41:42], v[35:36]
	v_add_f64 v[13:14], v[13:14], v[65:66]
	v_add_f64 v[15:16], v[15:16], v[31:32]
	s_clause 0x2
	buffer_load_dword v76, off, s[0:3], 0 offset:684
	buffer_load_dword v32, off, s[0:3], 0 offset:660
	;; [unrolled: 1-line block ×3, first 2 shown]
	ds_read_b128 v[5:8], v52 offset:1296
	s_waitcnt vmcnt(58) lgkmcnt(1)
	v_mul_f64 v[65:66], v[11:12], v[81:82]
	s_waitcnt vmcnt(56)
	v_fma_f64 v[79:80], v[1:2], v[83:84], -v[78:79]
	v_mul_f64 v[41:42], v[9:10], v[81:82]
	v_add_f64 v[13:14], v[13:14], v[39:40]
	v_fma_f64 v[39:40], v[3:4], v[83:84], v[114:115]
	v_add_f64 v[15:16], v[15:16], v[35:36]
	s_clause 0x4
	buffer_load_dword v36, off, s[0:3], 0 offset:700
	buffer_load_dword v81, off, s[0:3], 0 offset:712
	;; [unrolled: 1-line block ×5, first 2 shown]
	s_waitcnt vmcnt(57) lgkmcnt(0)
	v_mul_f64 v[114:115], v[5:6], v[99:100]
	v_mul_f64 v[99:100], v[7:8], v[99:100]
	s_waitcnt vmcnt(56)
	v_fma_f64 v[65:66], v[9:10], v[67:68], -v[65:66]
	ds_read_b128 v[1:4], v52 offset:1312
	v_fma_f64 v[41:42], v[11:12], v[67:68], v[41:42]
	v_add_f64 v[13:14], v[13:14], v[79:80]
	v_add_f64 v[15:16], v[15:16], v[39:40]
	s_clause 0x2
	buffer_load_dword v82, off, s[0:3], 0 offset:716
	buffer_load_dword v40, off, s[0:3], 0 offset:692
	;; [unrolled: 1-line block ×3, first 2 shown]
	ds_read_b128 v[9:12], v52 offset:1328
	s_waitcnt vmcnt(58) lgkmcnt(1)
	v_mul_f64 v[79:80], v[3:4], v[101:102]
	s_waitcnt vmcnt(56)
	v_fma_f64 v[99:100], v[5:6], v[106:107], -v[99:100]
	v_mul_f64 v[67:68], v[1:2], v[101:102]
	v_add_f64 v[13:14], v[13:14], v[65:66]
	v_fma_f64 v[65:66], v[7:8], v[106:107], v[114:115]
	v_add_f64 v[15:16], v[15:16], v[41:42]
	s_clause 0x4
	buffer_load_dword v42, off, s[0:3], 0 offset:732
	buffer_load_dword v101, off, s[0:3], 0 offset:744
	;; [unrolled: 1-line block ×5, first 2 shown]
	ds_read_b128 v[5:8], v52 offset:1344
	s_waitcnt vmcnt(57) lgkmcnt(1)
	v_mul_f64 v[106:107], v[9:10], v[97:98]
	v_mul_f64 v[97:98], v[11:12], v[97:98]
	s_waitcnt vmcnt(56)
	v_fma_f64 v[79:80], v[1:2], v[103:104], -v[79:80]
	v_fma_f64 v[67:68], v[3:4], v[103:104], v[67:68]
	v_add_f64 v[13:14], v[13:14], v[99:100]
	v_add_f64 v[15:16], v[15:16], v[65:66]
	s_clause 0x2
	buffer_load_dword v102, off, s[0:3], 0 offset:748
	buffer_load_dword v66, off, s[0:3], 0 offset:724
	;; [unrolled: 1-line block ×3, first 2 shown]
	ds_read_b128 v[1:4], v52 offset:1360
	s_waitcnt vmcnt(58) lgkmcnt(1)
	v_mul_f64 v[103:104], v[7:8], v[110:111]
	v_mul_f64 v[99:100], v[5:6], v[110:111]
	s_waitcnt vmcnt(56)
	v_fma_f64 v[97:98], v[9:10], v[91:92], -v[97:98]
	v_add_f64 v[13:14], v[13:14], v[79:80]
	v_fma_f64 v[79:80], v[11:12], v[91:92], v[106:107]
	v_add_f64 v[15:16], v[15:16], v[67:68]
	s_clause 0x4
	buffer_load_dword v68, off, s[0:3], 0 offset:764
	buffer_load_dword v91, off, s[0:3], 0 offset:776
	buffer_load_dword v110, off, s[0:3], 0 offset:768
	buffer_load_dword v67, off, s[0:3], 0 offset:760
	buffer_load_dword v106, off, s[0:3], 0 offset:740
	ds_read_b128 v[9:12], v52 offset:1376
	s_waitcnt vmcnt(57) lgkmcnt(1)
	v_mul_f64 v[114:115], v[1:2], v[25:26]
	v_mul_f64 v[25:26], v[3:4], v[25:26]
	s_waitcnt vmcnt(56)
	v_fma_f64 v[103:104], v[5:6], v[112:113], -v[103:104]
	v_add_f64 v[13:14], v[13:14], v[97:98]
	v_fma_f64 v[97:98], v[7:8], v[112:113], v[99:100]
	v_add_f64 v[15:16], v[15:16], v[79:80]
	s_clause 0x2
	buffer_load_dword v92, off, s[0:3], 0 offset:780
	buffer_load_dword v80, off, s[0:3], 0 offset:756
	buffer_load_dword v79, off, s[0:3], 0 offset:752
	ds_read_b128 v[5:8], v52 offset:1392
	s_waitcnt vmcnt(58) lgkmcnt(1)
	v_mul_f64 v[99:100], v[9:10], v[93:94]
	v_mul_f64 v[93:94], v[11:12], v[93:94]
	s_waitcnt vmcnt(56)
	v_fma_f64 v[25:26], v[1:2], v[19:20], -v[25:26]
	v_fma_f64 v[19:20], v[3:4], v[19:20], v[114:115]
	v_add_f64 v[13:14], v[13:14], v[103:104]
	v_add_f64 v[15:16], v[15:16], v[97:98]
	s_clause 0x4
	buffer_load_dword v98, off, s[0:3], 0 offset:796
	buffer_load_dword v103, off, s[0:3], 0 offset:808
	buffer_load_dword v107, off, s[0:3], 0 offset:800
	buffer_load_dword v97, off, s[0:3], 0 offset:792
	buffer_load_dword v111, off, s[0:3], 0 offset:772
	ds_read_b128 v[1:4], v52 offset:1408
	s_waitcnt vmcnt(57) lgkmcnt(1)
	v_mul_f64 v[112:113], v[5:6], v[85:86]
	v_mul_f64 v[85:86], v[7:8], v[85:86]
	s_waitcnt vmcnt(56)
	v_fma_f64 v[93:94], v[9:10], v[108:109], -v[93:94]
	v_add_f64 v[13:14], v[13:14], v[25:26]
	v_fma_f64 v[25:26], v[11:12], v[108:109], v[99:100]
	v_add_f64 v[15:16], v[15:16], v[19:20]
	s_clause 0x2
	buffer_load_dword v104, off, s[0:3], 0 offset:812
	buffer_load_dword v20, off, s[0:3], 0 offset:788
	buffer_load_dword v19, off, s[0:3], 0 offset:784
	ds_read_b128 v[9:12], v52 offset:1424
	s_waitcnt vmcnt(58) lgkmcnt(1)
	v_mul_f64 v[99:100], v[1:2], v[87:88]
	v_mul_f64 v[87:88], v[3:4], v[87:88]
	s_waitcnt vmcnt(56)
	v_fma_f64 v[85:86], v[5:6], v[21:22], -v[85:86]
	v_fma_f64 v[21:22], v[7:8], v[21:22], v[112:113]
	v_add_f64 v[13:14], v[13:14], v[93:94]
	v_add_f64 v[15:16], v[15:16], v[25:26]
	s_clause 0x4
	buffer_load_dword v26, off, s[0:3], 0 offset:828
	buffer_load_dword v93, off, s[0:3], 0 offset:840
	buffer_load_dword v112, off, s[0:3], 0 offset:832
	buffer_load_dword v25, off, s[0:3], 0 offset:824
	buffer_load_dword v108, off, s[0:3], 0 offset:804
	ds_read_b128 v[5:8], v52 offset:1440
	s_waitcnt vmcnt(57) lgkmcnt(1)
	v_mul_f64 v[113:114], v[9:10], v[17:18]
	v_mul_f64 v[17:18], v[11:12], v[17:18]
	s_waitcnt vmcnt(56)
	v_fma_f64 v[87:88], v[1:2], v[95:96], -v[87:88]
	v_add_f64 v[13:14], v[13:14], v[85:86]
	v_fma_f64 v[85:86], v[3:4], v[95:96], v[99:100]
	v_add_f64 v[15:16], v[15:16], v[21:22]
	s_clause 0x2
	buffer_load_dword v94, off, s[0:3], 0 offset:844
	buffer_load_dword v22, off, s[0:3], 0 offset:820
	buffer_load_dword v21, off, s[0:3], 0 offset:816
	ds_read_b128 v[1:4], v52 offset:1456
	s_waitcnt vmcnt(58) lgkmcnt(1)
	v_mul_f64 v[95:96], v[5:6], v[37:38]
	v_mul_f64 v[37:38], v[7:8], v[37:38]
	s_waitcnt vmcnt(56)
	v_fma_f64 v[17:18], v[9:10], v[27:28], -v[17:18]
	v_fma_f64 v[27:28], v[11:12], v[27:28], v[113:114]
	v_add_f64 v[13:14], v[13:14], v[87:88]
	v_add_f64 v[15:16], v[15:16], v[85:86]
	s_clause 0x2
	buffer_load_dword v86, off, s[0:3], 0 offset:860
	buffer_load_dword v85, off, s[0:3], 0 offset:856
	;; [unrolled: 1-line block ×3, first 2 shown]
	ds_read_b128 v[9:12], v52 offset:1472
	s_waitcnt vmcnt(55) lgkmcnt(1)
	v_mul_f64 v[87:88], v[1:2], v[23:24]
	v_mul_f64 v[23:24], v[3:4], v[23:24]
	s_waitcnt vmcnt(54)
	v_fma_f64 v[37:38], v[5:6], v[89:90], -v[37:38]
	v_add_f64 v[13:14], v[13:14], v[17:18]
	v_fma_f64 v[17:18], v[7:8], v[89:90], v[95:96]
	v_add_f64 v[15:16], v[15:16], v[27:28]
	s_clause 0x1
	buffer_load_dword v28, off, s[0:3], 0 offset:852
	buffer_load_dword v27, off, s[0:3], 0 offset:848
	s_waitcnt vmcnt(55) lgkmcnt(0)
	v_mul_f64 v[89:90], v[9:10], v[48:49]
	v_mul_f64 v[48:49], v[11:12], v[48:49]
	ds_read_b128 v[5:8], v52 offset:1488
	s_waitcnt vmcnt(53)
	v_fma_f64 v[23:24], v[1:2], v[33:34], -v[23:24]
	v_fma_f64 v[33:34], v[3:4], v[33:34], v[87:88]
	ds_read_b128 v[1:4], v52 offset:1504
	v_add_f64 v[13:14], v[13:14], v[37:38]
	v_add_f64 v[15:16], v[15:16], v[17:18]
	s_waitcnt vmcnt(49) lgkmcnt(1)
	v_mul_f64 v[17:18], v[5:6], v[29:30]
	v_mul_f64 v[29:30], v[7:8], v[29:30]
	s_waitcnt vmcnt(48)
	v_fma_f64 v[37:38], v[9:10], v[50:51], -v[48:49]
	v_add_f64 v[13:14], v[13:14], v[23:24]
	v_fma_f64 v[23:24], v[11:12], v[50:51], v[89:90]
	v_add_f64 v[15:16], v[15:16], v[33:34]
	s_clause 0x3
	buffer_load_dword v33, off, s[0:3], 0 offset:208
	buffer_load_dword v34, off, s[0:3], 0 offset:212
	;; [unrolled: 1-line block ×4, first 2 shown]
	ds_read_b128 v[9:12], v52 offset:1520
	s_waitcnt vmcnt(51) lgkmcnt(1)
	v_mul_f64 v[50:51], v[1:2], v[75:76]
	v_mul_f64 v[75:76], v[3:4], v[75:76]
	s_waitcnt vmcnt(49)
	v_fma_f64 v[29:30], v[5:6], v[31:32], -v[29:30]
	v_fma_f64 v[17:18], v[7:8], v[31:32], v[17:18]
	ds_read_b128 v[5:8], v52 offset:1536
	v_add_f64 v[13:14], v[13:14], v[37:38]
	v_add_f64 v[15:16], v[15:16], v[23:24]
	s_waitcnt vmcnt(45) lgkmcnt(1)
	v_mul_f64 v[23:24], v[9:10], v[35:36]
	v_mul_f64 v[31:32], v[11:12], v[35:36]
	s_waitcnt vmcnt(44)
	v_fma_f64 v[35:36], v[1:2], v[77:78], -v[75:76]
	v_add_f64 v[13:14], v[13:14], v[29:30]
	v_fma_f64 v[29:30], v[3:4], v[77:78], v[50:51]
	v_add_f64 v[15:16], v[15:16], v[17:18]
	ds_read_b128 v[1:4], v52 offset:1552
	s_waitcnt vmcnt(43) lgkmcnt(1)
	v_mul_f64 v[37:38], v[7:8], v[81:82]
	v_mul_f64 v[17:18], v[5:6], v[81:82]
	s_waitcnt vmcnt(41)
	v_fma_f64 v[31:32], v[9:10], v[39:40], -v[31:32]
	v_fma_f64 v[23:24], v[11:12], v[39:40], v[23:24]
	ds_read_b128 v[9:12], v52 offset:1568
	v_add_f64 v[13:14], v[13:14], v[35:36]
	v_add_f64 v[15:16], v[15:16], v[29:30]
	s_waitcnt vmcnt(37) lgkmcnt(1)
	v_mul_f64 v[35:36], v[3:4], v[41:42]
	s_waitcnt vmcnt(36)
	v_fma_f64 v[37:38], v[5:6], v[83:84], -v[37:38]
	v_mul_f64 v[29:30], v[1:2], v[41:42]
	v_fma_f64 v[17:18], v[7:8], v[83:84], v[17:18]
	ds_read_b128 v[5:8], v52 offset:1584
	v_add_f64 v[13:14], v[13:14], v[31:32]
	v_add_f64 v[15:16], v[15:16], v[23:24]
	s_waitcnt vmcnt(35) lgkmcnt(1)
	v_mul_f64 v[31:32], v[11:12], v[101:102]
	v_mul_f64 v[23:24], v[9:10], v[101:102]
	s_waitcnt vmcnt(33)
	v_fma_f64 v[35:36], v[1:2], v[65:66], -v[35:36]
	v_fma_f64 v[29:30], v[3:4], v[65:66], v[29:30]
	ds_read_b128 v[1:4], v52 offset:1600
	v_add_f64 v[13:14], v[13:14], v[37:38]
	v_add_f64 v[15:16], v[15:16], v[17:18]
	s_waitcnt vmcnt(29) lgkmcnt(1)
	v_mul_f64 v[37:38], v[7:8], v[67:68]
	s_waitcnt vmcnt(28)
	v_fma_f64 v[31:32], v[9:10], v[105:106], -v[31:32]
	v_mul_f64 v[17:18], v[5:6], v[67:68]
	v_fma_f64 v[23:24], v[11:12], v[105:106], v[23:24]
	ds_read_b128 v[9:12], v52 offset:1616
	v_add_f64 v[13:14], v[13:14], v[35:36]
	v_add_f64 v[15:16], v[15:16], v[29:30]
	;; [unrolled: 18-line block ×3, first 2 shown]
	s_waitcnt vmcnt(19) lgkmcnt(1)
	v_mul_f64 v[37:38], v[7:8], v[103:104]
	v_mul_f64 v[17:18], v[5:6], v[103:104]
	s_waitcnt vmcnt(17)
	v_fma_f64 v[31:32], v[9:10], v[19:20], -v[31:32]
	v_fma_f64 v[19:20], v[11:12], v[19:20], v[23:24]
	ds_read_b128 v[9:12], v52 offset:1664
	v_add_f64 v[13:14], v[13:14], v[35:36]
	v_add_f64 v[15:16], v[15:16], v[29:30]
	s_waitcnt vmcnt(13) lgkmcnt(1)
	v_mul_f64 v[23:24], v[1:2], v[25:26]
	v_mul_f64 v[25:26], v[3:4], v[25:26]
	s_waitcnt vmcnt(12)
	v_fma_f64 v[29:30], v[5:6], v[107:108], -v[37:38]
	v_fma_f64 v[17:18], v[7:8], v[107:108], v[17:18]
	ds_read_b128 v[5:8], v52 offset:1680
	v_add_f64 v[13:14], v[13:14], v[31:32]
	v_add_f64 v[15:16], v[15:16], v[19:20]
	s_waitcnt vmcnt(11) lgkmcnt(1)
	v_mul_f64 v[31:32], v[11:12], v[93:94]
	v_mul_f64 v[19:20], v[9:10], v[93:94]
	s_waitcnt vmcnt(9)
	v_fma_f64 v[1:2], v[1:2], v[21:22], -v[25:26]
	v_fma_f64 v[3:4], v[3:4], v[21:22], v[23:24]
	v_add_f64 v[13:14], v[13:14], v[29:30]
	v_add_f64 v[15:16], v[15:16], v[17:18]
	s_waitcnt vmcnt(7) lgkmcnt(0)
	v_mul_f64 v[21:22], v[7:8], v[85:86]
	s_waitcnt vmcnt(6)
	v_fma_f64 v[9:10], v[9:10], v[112:113], -v[31:32]
	v_mul_f64 v[17:18], v[5:6], v[85:86]
	v_fma_f64 v[11:12], v[11:12], v[112:113], v[19:20]
	v_add_f64 v[1:2], v[13:14], v[1:2]
	v_add_f64 v[3:4], v[15:16], v[3:4]
	s_waitcnt vmcnt(4)
	v_fma_f64 v[5:6], v[5:6], v[27:28], -v[21:22]
	v_fma_f64 v[7:8], v[7:8], v[27:28], v[17:18]
	v_add_f64 v[1:2], v[1:2], v[9:10]
	v_add_f64 v[3:4], v[3:4], v[11:12]
	;; [unrolled: 1-line block ×4, first 2 shown]
	s_waitcnt vmcnt(2)
	v_add_f64 v[1:2], v[33:34], -v[1:2]
	s_waitcnt vmcnt(0)
	v_add_f64 v[3:4], v[48:49], -v[3:4]
	buffer_store_dword v2, off, s[0:3], 0 offset:212
	buffer_store_dword v1, off, s[0:3], 0 offset:208
	;; [unrolled: 1-line block ×4, first 2 shown]
	v_cmpx_lt_u32_e32 11, v0
	s_cbranch_execz .LBB52_309
; %bb.308:
	v_mov_b32_e32 v4, s54
	v_mov_b32_e32 v5, 0
	s_clause 0x3
	buffer_load_dword v1, v4, s[0:3], 0 offen
	buffer_load_dword v2, v4, s[0:3], 0 offen offset:4
	buffer_load_dword v3, v4, s[0:3], 0 offen offset:8
	;; [unrolled: 1-line block ×3, first 2 shown]
	buffer_store_dword v5, off, s[0:3], 0 offset:192
	buffer_store_dword v5, off, s[0:3], 0 offset:196
	;; [unrolled: 1-line block ×4, first 2 shown]
	s_waitcnt vmcnt(0)
	ds_write_b128 v43, v[1:4]
.LBB52_309:
	s_or_b32 exec_lo, exec_lo, s4
	s_waitcnt lgkmcnt(0)
	s_waitcnt_vscnt null, 0x0
	s_barrier
	buffer_gl0_inv
	s_clause 0x37
	buffer_load_dword v9, off, s[0:3], 0 offset:216
	buffer_load_dword v10, off, s[0:3], 0 offset:220
	;; [unrolled: 1-line block ×56, first 2 shown]
	v_mov_b32_e32 v52, 0
	s_mov_b32 s4, exec_lo
	ds_read_b128 v[85:88], v52 offset:1040
	s_clause 0x2
	buffer_load_dword v82, off, s[0:3], 0 offset:444
	buffer_load_dword v84, off, s[0:3], 0 offset:420
	;; [unrolled: 1-line block ×3, first 2 shown]
	ds_read_b128 v[89:92], v52 offset:1056
	s_clause 0x4
	buffer_load_dword v100, off, s[0:3], 0 offset:460
	buffer_load_dword v101, off, s[0:3], 0 offset:472
	;; [unrolled: 1-line block ×5, first 2 shown]
	ds_read_b128 v[93:96], v52 offset:1072
	s_clause 0x2
	buffer_load_dword v102, off, s[0:3], 0 offset:476
	buffer_load_dword v107, off, s[0:3], 0 offset:452
	;; [unrolled: 1-line block ×3, first 2 shown]
	s_waitcnt vmcnt(62) lgkmcnt(2)
	v_mul_f64 v[97:98], v[87:88], v[9:10]
	v_mul_f64 v[9:10], v[85:86], v[9:10]
	s_waitcnt lgkmcnt(1)
	v_mul_f64 v[104:105], v[91:92], v[5:6]
	s_waitcnt vmcnt(59) lgkmcnt(0)
	v_mul_f64 v[108:109], v[95:96], v[3:4]
	v_fma_f64 v[85:86], v[85:86], v[7:8], -v[97:98]
	v_mul_f64 v[97:98], v[89:90], v[5:6]
	v_fma_f64 v[9:10], v[87:88], v[7:8], v[9:10]
	s_waitcnt vmcnt(57)
	v_fma_f64 v[89:90], v[89:90], v[1:2], -v[104:105]
	ds_read_b128 v[5:8], v52 offset:1088
	v_mul_f64 v[87:88], v[93:94], v[3:4]
	s_waitcnt vmcnt(51)
	v_fma_f64 v[93:94], v[93:94], v[25:26], -v[108:109]
	v_add_f64 v[85:86], v[85:86], 0
	v_fma_f64 v[91:92], v[91:92], v[1:2], v[97:98]
	v_add_f64 v[9:10], v[9:10], 0
	s_clause 0x4
	buffer_load_dword v98, off, s[0:3], 0 offset:492
	buffer_load_dword v110, off, s[0:3], 0 offset:504
	;; [unrolled: 1-line block ×5, first 2 shown]
	s_waitcnt lgkmcnt(0)
	v_mul_f64 v[113:114], v[5:6], v[13:14]
	v_mul_f64 v[13:14], v[7:8], v[13:14]
	ds_read_b128 v[1:4], v52 offset:1104
	v_fma_f64 v[25:26], v[95:96], v[25:26], v[87:88]
	v_add_f64 v[89:90], v[85:86], v[89:90]
	v_add_f64 v[9:10], v[9:10], v[91:92]
	s_clause 0x2
	buffer_load_dword v111, off, s[0:3], 0 offset:508
	buffer_load_dword v92, off, s[0:3], 0 offset:484
	buffer_load_dword v91, off, s[0:3], 0 offset:480
	s_waitcnt vmcnt(58) lgkmcnt(0)
	v_mul_f64 v[95:96], v[1:2], v[17:18]
	v_mul_f64 v[17:18], v[3:4], v[17:18]
	s_waitcnt vmcnt(56)
	v_fma_f64 v[13:14], v[5:6], v[19:20], -v[13:14]
	ds_read_b128 v[85:88], v52 offset:1120
	v_fma_f64 v[19:20], v[7:8], v[19:20], v[113:114]
	v_add_f64 v[89:90], v[89:90], v[93:94]
	v_add_f64 v[9:10], v[9:10], v[25:26]
	s_clause 0x4
	buffer_load_dword v26, off, s[0:3], 0 offset:524
	buffer_load_dword v93, off, s[0:3], 0 offset:536
	;; [unrolled: 1-line block ×5, first 2 shown]
	ds_read_b128 v[5:8], v52 offset:1136
	s_waitcnt vmcnt(57) lgkmcnt(1)
	v_mul_f64 v[114:115], v[85:86], v[21:22]
	v_mul_f64 v[21:22], v[87:88], v[21:22]
	s_waitcnt vmcnt(56)
	v_fma_f64 v[17:18], v[1:2], v[11:12], -v[17:18]
	v_fma_f64 v[11:12], v[3:4], v[11:12], v[95:96]
	v_add_f64 v[13:14], v[89:90], v[13:14]
	v_add_f64 v[9:10], v[9:10], v[19:20]
	s_clause 0x2
	buffer_load_dword v94, off, s[0:3], 0 offset:540
	buffer_load_dword v20, off, s[0:3], 0 offset:516
	;; [unrolled: 1-line block ×3, first 2 shown]
	s_waitcnt vmcnt(58) lgkmcnt(0)
	v_mul_f64 v[89:90], v[5:6], v[27:28]
	v_mul_f64 v[27:28], v[7:8], v[27:28]
	s_waitcnt vmcnt(56)
	v_fma_f64 v[21:22], v[85:86], v[29:30], -v[21:22]
	ds_read_b128 v[1:4], v52 offset:1152
	v_add_f64 v[13:14], v[13:14], v[17:18]
	v_fma_f64 v[17:18], v[87:88], v[29:30], v[114:115]
	v_add_f64 v[29:30], v[9:10], v[11:12]
	s_clause 0x4
	buffer_load_dword v86, off, s[0:3], 0 offset:556
	buffer_load_dword v87, off, s[0:3], 0 offset:568
	;; [unrolled: 1-line block ×5, first 2 shown]
	ds_read_b128 v[9:12], v52 offset:1168
	s_waitcnt vmcnt(57) lgkmcnt(1)
	v_mul_f64 v[114:115], v[1:2], v[31:32]
	v_mul_f64 v[31:32], v[3:4], v[31:32]
	s_waitcnt vmcnt(56)
	v_fma_f64 v[27:28], v[5:6], v[15:16], -v[27:28]
	v_fma_f64 v[15:16], v[7:8], v[15:16], v[89:90]
	v_add_f64 v[13:14], v[13:14], v[21:22]
	s_clause 0x2
	buffer_load_dword v88, off, s[0:3], 0 offset:572
	buffer_load_dword v22, off, s[0:3], 0 offset:548
	;; [unrolled: 1-line block ×3, first 2 shown]
	v_add_f64 v[17:18], v[29:30], v[17:18]
	s_waitcnt vmcnt(58) lgkmcnt(0)
	v_mul_f64 v[29:30], v[9:10], v[35:36]
	v_mul_f64 v[35:36], v[11:12], v[35:36]
	ds_read_b128 v[5:8], v52 offset:1184
	s_waitcnt vmcnt(56)
	v_fma_f64 v[31:32], v[1:2], v[37:38], -v[31:32]
	v_add_f64 v[13:14], v[13:14], v[27:28]
	v_fma_f64 v[27:28], v[3:4], v[37:38], v[114:115]
	v_add_f64 v[15:16], v[17:18], v[15:16]
	s_clause 0x4
	buffer_load_dword v18, off, s[0:3], 0 offset:588
	buffer_load_dword v37, off, s[0:3], 0 offset:600
	;; [unrolled: 1-line block ×5, first 2 shown]
	s_waitcnt vmcnt(57) lgkmcnt(0)
	v_mul_f64 v[114:115], v[5:6], v[39:40]
	v_mul_f64 v[39:40], v[7:8], v[39:40]
	s_waitcnt vmcnt(56)
	v_fma_f64 v[35:36], v[9:10], v[23:24], -v[35:36]
	ds_read_b128 v[1:4], v52 offset:1200
	v_fma_f64 v[23:24], v[11:12], v[23:24], v[29:30]
	v_add_f64 v[13:14], v[13:14], v[31:32]
	v_add_f64 v[15:16], v[15:16], v[27:28]
	s_clause 0x2
	buffer_load_dword v38, off, s[0:3], 0 offset:604
	buffer_load_dword v28, off, s[0:3], 0 offset:580
	;; [unrolled: 1-line block ×3, first 2 shown]
	ds_read_b128 v[9:12], v52 offset:1216
	s_waitcnt vmcnt(58) lgkmcnt(1)
	v_mul_f64 v[31:32], v[3:4], v[48:49]
	s_waitcnt vmcnt(56)
	v_fma_f64 v[39:40], v[5:6], v[50:51], -v[39:40]
	v_mul_f64 v[29:30], v[1:2], v[48:49]
	v_add_f64 v[13:14], v[13:14], v[35:36]
	v_fma_f64 v[35:36], v[7:8], v[50:51], v[114:115]
	v_add_f64 v[15:16], v[15:16], v[23:24]
	s_clause 0x4
	buffer_load_dword v24, off, s[0:3], 0 offset:620
	buffer_load_dword v48, off, s[0:3], 0 offset:632
	;; [unrolled: 1-line block ×5, first 2 shown]
	s_waitcnt vmcnt(57) lgkmcnt(0)
	v_mul_f64 v[114:115], v[9:10], v[65:66]
	v_mul_f64 v[65:66], v[11:12], v[65:66]
	s_waitcnt vmcnt(56)
	v_fma_f64 v[31:32], v[1:2], v[33:34], -v[31:32]
	ds_read_b128 v[5:8], v52 offset:1232
	v_fma_f64 v[29:30], v[3:4], v[33:34], v[29:30]
	s_clause 0x2
	buffer_load_dword v49, off, s[0:3], 0 offset:636
	buffer_load_dword v34, off, s[0:3], 0 offset:612
	;; [unrolled: 1-line block ×3, first 2 shown]
	ds_read_b128 v[1:4], v52 offset:1248
	v_add_f64 v[13:14], v[13:14], v[39:40]
	v_add_f64 v[15:16], v[15:16], v[35:36]
	s_waitcnt vmcnt(58) lgkmcnt(1)
	v_mul_f64 v[39:40], v[7:8], v[75:76]
	s_waitcnt vmcnt(56)
	v_fma_f64 v[65:66], v[9:10], v[77:78], -v[65:66]
	v_mul_f64 v[35:36], v[5:6], v[75:76]
	v_add_f64 v[13:14], v[13:14], v[31:32]
	v_fma_f64 v[31:32], v[11:12], v[77:78], v[114:115]
	v_add_f64 v[15:16], v[15:16], v[29:30]
	s_clause 0x4
	buffer_load_dword v30, off, s[0:3], 0 offset:652
	buffer_load_dword v75, off, s[0:3], 0 offset:664
	;; [unrolled: 1-line block ×5, first 2 shown]
	s_waitcnt vmcnt(57) lgkmcnt(0)
	v_mul_f64 v[114:115], v[1:2], v[79:80]
	v_mul_f64 v[78:79], v[3:4], v[79:80]
	s_waitcnt vmcnt(56)
	v_fma_f64 v[39:40], v[5:6], v[41:42], -v[39:40]
	ds_read_b128 v[9:12], v52 offset:1264
	v_fma_f64 v[35:36], v[7:8], v[41:42], v[35:36]
	v_add_f64 v[13:14], v[13:14], v[65:66]
	v_add_f64 v[15:16], v[15:16], v[31:32]
	s_clause 0x2
	buffer_load_dword v76, off, s[0:3], 0 offset:668
	buffer_load_dword v32, off, s[0:3], 0 offset:644
	;; [unrolled: 1-line block ×3, first 2 shown]
	ds_read_b128 v[5:8], v52 offset:1280
	s_waitcnt vmcnt(58) lgkmcnt(1)
	v_mul_f64 v[65:66], v[11:12], v[81:82]
	s_waitcnt vmcnt(56)
	v_fma_f64 v[79:80], v[1:2], v[83:84], -v[78:79]
	v_mul_f64 v[41:42], v[9:10], v[81:82]
	v_add_f64 v[13:14], v[13:14], v[39:40]
	v_fma_f64 v[39:40], v[3:4], v[83:84], v[114:115]
	v_add_f64 v[15:16], v[15:16], v[35:36]
	s_clause 0x4
	buffer_load_dword v36, off, s[0:3], 0 offset:684
	buffer_load_dword v81, off, s[0:3], 0 offset:696
	;; [unrolled: 1-line block ×5, first 2 shown]
	s_waitcnt vmcnt(57) lgkmcnt(0)
	v_mul_f64 v[114:115], v[5:6], v[99:100]
	v_mul_f64 v[99:100], v[7:8], v[99:100]
	s_waitcnt vmcnt(56)
	v_fma_f64 v[65:66], v[9:10], v[67:68], -v[65:66]
	ds_read_b128 v[1:4], v52 offset:1296
	v_fma_f64 v[41:42], v[11:12], v[67:68], v[41:42]
	v_add_f64 v[13:14], v[13:14], v[79:80]
	v_add_f64 v[15:16], v[15:16], v[39:40]
	s_clause 0x2
	buffer_load_dword v82, off, s[0:3], 0 offset:700
	buffer_load_dword v40, off, s[0:3], 0 offset:676
	;; [unrolled: 1-line block ×3, first 2 shown]
	ds_read_b128 v[9:12], v52 offset:1312
	s_waitcnt vmcnt(58) lgkmcnt(1)
	v_mul_f64 v[79:80], v[3:4], v[101:102]
	s_waitcnt vmcnt(56)
	v_fma_f64 v[99:100], v[5:6], v[106:107], -v[99:100]
	v_mul_f64 v[67:68], v[1:2], v[101:102]
	v_add_f64 v[13:14], v[13:14], v[65:66]
	v_fma_f64 v[65:66], v[7:8], v[106:107], v[114:115]
	v_add_f64 v[15:16], v[15:16], v[41:42]
	s_clause 0x4
	buffer_load_dword v42, off, s[0:3], 0 offset:716
	buffer_load_dword v101, off, s[0:3], 0 offset:728
	;; [unrolled: 1-line block ×5, first 2 shown]
	ds_read_b128 v[5:8], v52 offset:1328
	s_waitcnt vmcnt(57) lgkmcnt(1)
	v_mul_f64 v[106:107], v[9:10], v[97:98]
	v_mul_f64 v[97:98], v[11:12], v[97:98]
	s_waitcnt vmcnt(56)
	v_fma_f64 v[79:80], v[1:2], v[103:104], -v[79:80]
	v_fma_f64 v[67:68], v[3:4], v[103:104], v[67:68]
	v_add_f64 v[13:14], v[13:14], v[99:100]
	v_add_f64 v[15:16], v[15:16], v[65:66]
	s_clause 0x2
	buffer_load_dword v102, off, s[0:3], 0 offset:732
	buffer_load_dword v66, off, s[0:3], 0 offset:708
	buffer_load_dword v65, off, s[0:3], 0 offset:704
	ds_read_b128 v[1:4], v52 offset:1344
	s_waitcnt vmcnt(58) lgkmcnt(1)
	v_mul_f64 v[103:104], v[7:8], v[110:111]
	v_mul_f64 v[99:100], v[5:6], v[110:111]
	s_waitcnt vmcnt(56)
	v_fma_f64 v[97:98], v[9:10], v[91:92], -v[97:98]
	v_add_f64 v[13:14], v[13:14], v[79:80]
	v_fma_f64 v[79:80], v[11:12], v[91:92], v[106:107]
	v_add_f64 v[15:16], v[15:16], v[67:68]
	s_clause 0x4
	buffer_load_dword v68, off, s[0:3], 0 offset:748
	buffer_load_dword v91, off, s[0:3], 0 offset:760
	buffer_load_dword v110, off, s[0:3], 0 offset:752
	buffer_load_dword v67, off, s[0:3], 0 offset:744
	buffer_load_dword v106, off, s[0:3], 0 offset:724
	ds_read_b128 v[9:12], v52 offset:1360
	s_waitcnt vmcnt(57) lgkmcnt(1)
	v_mul_f64 v[114:115], v[1:2], v[25:26]
	v_mul_f64 v[25:26], v[3:4], v[25:26]
	s_waitcnt vmcnt(56)
	v_fma_f64 v[103:104], v[5:6], v[112:113], -v[103:104]
	v_add_f64 v[13:14], v[13:14], v[97:98]
	v_fma_f64 v[97:98], v[7:8], v[112:113], v[99:100]
	v_add_f64 v[15:16], v[15:16], v[79:80]
	s_clause 0x2
	buffer_load_dword v92, off, s[0:3], 0 offset:764
	buffer_load_dword v80, off, s[0:3], 0 offset:740
	buffer_load_dword v79, off, s[0:3], 0 offset:736
	ds_read_b128 v[5:8], v52 offset:1376
	s_waitcnt vmcnt(58) lgkmcnt(1)
	v_mul_f64 v[99:100], v[9:10], v[93:94]
	v_mul_f64 v[93:94], v[11:12], v[93:94]
	s_waitcnt vmcnt(56)
	v_fma_f64 v[25:26], v[1:2], v[19:20], -v[25:26]
	v_fma_f64 v[19:20], v[3:4], v[19:20], v[114:115]
	v_add_f64 v[13:14], v[13:14], v[103:104]
	v_add_f64 v[15:16], v[15:16], v[97:98]
	s_clause 0x4
	buffer_load_dword v98, off, s[0:3], 0 offset:780
	buffer_load_dword v103, off, s[0:3], 0 offset:792
	buffer_load_dword v107, off, s[0:3], 0 offset:784
	buffer_load_dword v97, off, s[0:3], 0 offset:776
	buffer_load_dword v111, off, s[0:3], 0 offset:756
	ds_read_b128 v[1:4], v52 offset:1392
	s_waitcnt vmcnt(57) lgkmcnt(1)
	v_mul_f64 v[112:113], v[5:6], v[85:86]
	v_mul_f64 v[85:86], v[7:8], v[85:86]
	s_waitcnt vmcnt(56)
	v_fma_f64 v[93:94], v[9:10], v[108:109], -v[93:94]
	v_add_f64 v[13:14], v[13:14], v[25:26]
	v_fma_f64 v[25:26], v[11:12], v[108:109], v[99:100]
	v_add_f64 v[15:16], v[15:16], v[19:20]
	s_clause 0x2
	buffer_load_dword v104, off, s[0:3], 0 offset:796
	buffer_load_dword v20, off, s[0:3], 0 offset:772
	buffer_load_dword v19, off, s[0:3], 0 offset:768
	ds_read_b128 v[9:12], v52 offset:1408
	s_waitcnt vmcnt(58) lgkmcnt(1)
	v_mul_f64 v[99:100], v[1:2], v[87:88]
	v_mul_f64 v[87:88], v[3:4], v[87:88]
	s_waitcnt vmcnt(56)
	v_fma_f64 v[85:86], v[5:6], v[21:22], -v[85:86]
	v_fma_f64 v[21:22], v[7:8], v[21:22], v[112:113]
	v_add_f64 v[13:14], v[13:14], v[93:94]
	;; [unrolled: 28-line block ×3, first 2 shown]
	v_add_f64 v[15:16], v[15:16], v[85:86]
	s_clause 0x4
	buffer_load_dword v86, off, s[0:3], 0 offset:844
	buffer_load_dword v87, off, s[0:3], 0 offset:856
	;; [unrolled: 1-line block ×5, first 2 shown]
	ds_read_b128 v[9:12], v52 offset:1456
	s_waitcnt vmcnt(57) lgkmcnt(1)
	v_mul_f64 v[114:115], v[1:2], v[23:24]
	v_mul_f64 v[23:24], v[3:4], v[23:24]
	s_waitcnt vmcnt(56)
	v_fma_f64 v[37:38], v[5:6], v[89:90], -v[37:38]
	v_add_f64 v[13:14], v[13:14], v[17:18]
	v_fma_f64 v[17:18], v[7:8], v[89:90], v[95:96]
	v_add_f64 v[15:16], v[15:16], v[27:28]
	s_clause 0x2
	buffer_load_dword v88, off, s[0:3], 0 offset:860
	buffer_load_dword v28, off, s[0:3], 0 offset:836
	;; [unrolled: 1-line block ×3, first 2 shown]
	s_waitcnt vmcnt(58) lgkmcnt(0)
	v_mul_f64 v[89:90], v[9:10], v[48:49]
	v_mul_f64 v[48:49], v[11:12], v[48:49]
	ds_read_b128 v[5:8], v52 offset:1472
	buffer_load_dword v100, off, s[0:3], 0 offset:852
	s_waitcnt vmcnt(57)
	v_fma_f64 v[23:24], v[1:2], v[33:34], -v[23:24]
	v_fma_f64 v[33:34], v[3:4], v[33:34], v[114:115]
	ds_read_b128 v[1:4], v52 offset:1488
	v_add_f64 v[13:14], v[13:14], v[37:38]
	v_add_f64 v[15:16], v[15:16], v[17:18]
	s_waitcnt vmcnt(53) lgkmcnt(1)
	v_mul_f64 v[17:18], v[5:6], v[29:30]
	v_mul_f64 v[29:30], v[7:8], v[29:30]
	s_waitcnt vmcnt(52)
	v_fma_f64 v[37:38], v[9:10], v[50:51], -v[48:49]
	v_add_f64 v[13:14], v[13:14], v[23:24]
	v_fma_f64 v[23:24], v[11:12], v[50:51], v[89:90]
	v_add_f64 v[15:16], v[15:16], v[33:34]
	ds_read_b128 v[9:12], v52 offset:1504
	s_waitcnt vmcnt(51) lgkmcnt(1)
	v_mul_f64 v[48:49], v[3:4], v[75:76]
	v_mul_f64 v[33:34], v[1:2], v[75:76]
	s_waitcnt vmcnt(49)
	v_fma_f64 v[29:30], v[5:6], v[31:32], -v[29:30]
	v_fma_f64 v[17:18], v[7:8], v[31:32], v[17:18]
	v_add_f64 v[13:14], v[13:14], v[37:38]
	v_add_f64 v[15:16], v[15:16], v[23:24]
	s_clause 0x3
	buffer_load_dword v23, off, s[0:3], 0 offset:192
	buffer_load_dword v24, off, s[0:3], 0 offset:196
	;; [unrolled: 1-line block ×4, first 2 shown]
	ds_read_b128 v[5:8], v52 offset:1520
	s_waitcnt vmcnt(49) lgkmcnt(1)
	v_mul_f64 v[37:38], v[9:10], v[35:36]
	v_mul_f64 v[35:36], v[11:12], v[35:36]
	s_waitcnt vmcnt(48)
	v_fma_f64 v[48:49], v[1:2], v[77:78], -v[48:49]
	v_add_f64 v[13:14], v[13:14], v[29:30]
	v_fma_f64 v[29:30], v[3:4], v[77:78], v[33:34]
	v_add_f64 v[15:16], v[15:16], v[17:18]
	ds_read_b128 v[1:4], v52 offset:1536
	s_waitcnt vmcnt(47) lgkmcnt(1)
	v_mul_f64 v[33:34], v[7:8], v[81:82]
	v_mul_f64 v[17:18], v[5:6], v[81:82]
	s_waitcnt vmcnt(45)
	v_fma_f64 v[35:36], v[9:10], v[39:40], -v[35:36]
	v_fma_f64 v[37:38], v[11:12], v[39:40], v[37:38]
	ds_read_b128 v[9:12], v52 offset:1552
	v_add_f64 v[13:14], v[13:14], v[48:49]
	v_add_f64 v[15:16], v[15:16], v[29:30]
	s_waitcnt vmcnt(41) lgkmcnt(1)
	v_mul_f64 v[39:40], v[3:4], v[41:42]
	s_waitcnt vmcnt(40)
	v_fma_f64 v[33:34], v[5:6], v[83:84], -v[33:34]
	v_mul_f64 v[29:30], v[1:2], v[41:42]
	v_fma_f64 v[17:18], v[7:8], v[83:84], v[17:18]
	ds_read_b128 v[5:8], v52 offset:1568
	v_add_f64 v[13:14], v[13:14], v[35:36]
	v_add_f64 v[15:16], v[15:16], v[37:38]
	s_waitcnt vmcnt(39) lgkmcnt(1)
	v_mul_f64 v[37:38], v[11:12], v[101:102]
	v_mul_f64 v[35:36], v[9:10], v[101:102]
	s_waitcnt vmcnt(37)
	v_fma_f64 v[39:40], v[1:2], v[65:66], -v[39:40]
	v_fma_f64 v[29:30], v[3:4], v[65:66], v[29:30]
	ds_read_b128 v[1:4], v52 offset:1584
	v_add_f64 v[13:14], v[13:14], v[33:34]
	v_add_f64 v[15:16], v[15:16], v[17:18]
	s_waitcnt vmcnt(33) lgkmcnt(1)
	v_mul_f64 v[33:34], v[7:8], v[67:68]
	s_waitcnt vmcnt(32)
	v_fma_f64 v[37:38], v[9:10], v[105:106], -v[37:38]
	v_mul_f64 v[17:18], v[5:6], v[67:68]
	v_fma_f64 v[35:36], v[11:12], v[105:106], v[35:36]
	ds_read_b128 v[9:12], v52 offset:1600
	v_add_f64 v[13:14], v[13:14], v[39:40]
	v_add_f64 v[15:16], v[15:16], v[29:30]
	;; [unrolled: 18-line block ×3, first 2 shown]
	s_waitcnt vmcnt(23) lgkmcnt(1)
	v_mul_f64 v[33:34], v[7:8], v[103:104]
	v_mul_f64 v[17:18], v[5:6], v[103:104]
	s_waitcnt vmcnt(21)
	v_fma_f64 v[37:38], v[9:10], v[19:20], -v[37:38]
	v_fma_f64 v[19:20], v[11:12], v[19:20], v[35:36]
	ds_read_b128 v[9:12], v52 offset:1648
	v_add_f64 v[13:14], v[13:14], v[39:40]
	v_add_f64 v[15:16], v[15:16], v[29:30]
	s_waitcnt vmcnt(17) lgkmcnt(1)
	v_mul_f64 v[29:30], v[1:2], v[25:26]
	v_mul_f64 v[25:26], v[3:4], v[25:26]
	s_waitcnt vmcnt(16)
	v_fma_f64 v[33:34], v[5:6], v[107:108], -v[33:34]
	v_fma_f64 v[17:18], v[7:8], v[107:108], v[17:18]
	ds_read_b128 v[5:8], v52 offset:1664
	v_add_f64 v[13:14], v[13:14], v[37:38]
	v_add_f64 v[15:16], v[15:16], v[19:20]
	;; [unrolled: 9-line block ×3, first 2 shown]
	s_waitcnt vmcnt(9) lgkmcnt(1)
	v_mul_f64 v[29:30], v[7:8], v[85:86]
	s_waitcnt vmcnt(8)
	v_fma_f64 v[9:10], v[9:10], v[112:113], -v[35:36]
	v_mul_f64 v[17:18], v[5:6], v[85:86]
	v_fma_f64 v[11:12], v[11:12], v[112:113], v[19:20]
	v_add_f64 v[13:14], v[13:14], v[25:26]
	v_add_f64 v[15:16], v[15:16], v[21:22]
	s_waitcnt vmcnt(7) lgkmcnt(0)
	v_mul_f64 v[21:22], v[3:4], v[87:88]
	v_mul_f64 v[19:20], v[1:2], v[87:88]
	s_waitcnt vmcnt(5)
	v_fma_f64 v[5:6], v[5:6], v[27:28], -v[29:30]
	v_fma_f64 v[7:8], v[7:8], v[27:28], v[17:18]
	v_add_f64 v[9:10], v[13:14], v[9:10]
	v_add_f64 v[11:12], v[15:16], v[11:12]
	s_waitcnt vmcnt(4)
	v_fma_f64 v[1:2], v[1:2], v[99:100], -v[21:22]
	v_fma_f64 v[3:4], v[3:4], v[99:100], v[19:20]
	v_add_f64 v[5:6], v[9:10], v[5:6]
	v_add_f64 v[7:8], v[11:12], v[7:8]
	;; [unrolled: 1-line block ×4, first 2 shown]
	s_waitcnt vmcnt(2)
	v_add_f64 v[1:2], v[23:24], -v[1:2]
	s_waitcnt vmcnt(0)
	v_add_f64 v[3:4], v[31:32], -v[3:4]
	buffer_store_dword v2, off, s[0:3], 0 offset:196
	buffer_store_dword v1, off, s[0:3], 0 offset:192
	;; [unrolled: 1-line block ×4, first 2 shown]
	v_cmpx_lt_u32_e32 10, v0
	s_cbranch_execz .LBB52_311
; %bb.310:
	v_mov_b32_e32 v4, s55
	s_clause 0x3
	buffer_load_dword v1, v4, s[0:3], 0 offen
	buffer_load_dword v2, v4, s[0:3], 0 offen offset:4
	buffer_load_dword v3, v4, s[0:3], 0 offen offset:8
	buffer_load_dword v4, v4, s[0:3], 0 offen offset:12
	buffer_store_dword v52, off, s[0:3], 0 offset:176
	buffer_store_dword v52, off, s[0:3], 0 offset:180
	;; [unrolled: 1-line block ×4, first 2 shown]
	s_waitcnt vmcnt(0)
	ds_write_b128 v43, v[1:4]
.LBB52_311:
	s_or_b32 exec_lo, exec_lo, s4
	s_waitcnt lgkmcnt(0)
	s_waitcnt_vscnt null, 0x0
	s_barrier
	buffer_gl0_inv
	s_clause 0x37
	buffer_load_dword v9, off, s[0:3], 0 offset:200
	buffer_load_dword v10, off, s[0:3], 0 offset:204
	;; [unrolled: 1-line block ×56, first 2 shown]
	ds_read_b128 v[85:88], v52 offset:1024
	s_clause 0x2
	buffer_load_dword v82, off, s[0:3], 0 offset:428
	buffer_load_dword v84, off, s[0:3], 0 offset:404
	;; [unrolled: 1-line block ×3, first 2 shown]
	ds_read_b128 v[89:92], v52 offset:1040
	s_clause 0x4
	buffer_load_dword v100, off, s[0:3], 0 offset:444
	buffer_load_dword v101, off, s[0:3], 0 offset:456
	;; [unrolled: 1-line block ×5, first 2 shown]
	ds_read_b128 v[93:96], v52 offset:1056
	s_clause 0x2
	buffer_load_dword v102, off, s[0:3], 0 offset:460
	buffer_load_dword v107, off, s[0:3], 0 offset:436
	buffer_load_dword v106, off, s[0:3], 0 offset:432
	s_mov_b32 s4, exec_lo
	s_waitcnt vmcnt(62) lgkmcnt(2)
	v_mul_f64 v[97:98], v[87:88], v[9:10]
	v_mul_f64 v[9:10], v[85:86], v[9:10]
	s_waitcnt lgkmcnt(1)
	v_mul_f64 v[104:105], v[91:92], v[5:6]
	s_waitcnt vmcnt(59) lgkmcnt(0)
	v_mul_f64 v[108:109], v[95:96], v[3:4]
	v_fma_f64 v[85:86], v[85:86], v[7:8], -v[97:98]
	v_mul_f64 v[97:98], v[89:90], v[5:6]
	v_fma_f64 v[9:10], v[87:88], v[7:8], v[9:10]
	s_waitcnt vmcnt(57)
	v_fma_f64 v[89:90], v[89:90], v[1:2], -v[104:105]
	ds_read_b128 v[5:8], v52 offset:1072
	v_mul_f64 v[87:88], v[93:94], v[3:4]
	s_waitcnt vmcnt(51)
	v_fma_f64 v[93:94], v[93:94], v[25:26], -v[108:109]
	v_add_f64 v[85:86], v[85:86], 0
	v_fma_f64 v[91:92], v[91:92], v[1:2], v[97:98]
	v_add_f64 v[9:10], v[9:10], 0
	s_clause 0x4
	buffer_load_dword v98, off, s[0:3], 0 offset:476
	buffer_load_dword v110, off, s[0:3], 0 offset:488
	;; [unrolled: 1-line block ×5, first 2 shown]
	s_waitcnt lgkmcnt(0)
	v_mul_f64 v[113:114], v[5:6], v[13:14]
	v_mul_f64 v[13:14], v[7:8], v[13:14]
	ds_read_b128 v[1:4], v52 offset:1088
	v_fma_f64 v[25:26], v[95:96], v[25:26], v[87:88]
	v_add_f64 v[89:90], v[85:86], v[89:90]
	v_add_f64 v[9:10], v[9:10], v[91:92]
	s_clause 0x2
	buffer_load_dword v111, off, s[0:3], 0 offset:492
	buffer_load_dword v92, off, s[0:3], 0 offset:468
	;; [unrolled: 1-line block ×3, first 2 shown]
	s_waitcnt vmcnt(58) lgkmcnt(0)
	v_mul_f64 v[95:96], v[1:2], v[17:18]
	v_mul_f64 v[17:18], v[3:4], v[17:18]
	s_waitcnt vmcnt(56)
	v_fma_f64 v[13:14], v[5:6], v[19:20], -v[13:14]
	ds_read_b128 v[85:88], v52 offset:1104
	v_fma_f64 v[19:20], v[7:8], v[19:20], v[113:114]
	v_add_f64 v[89:90], v[89:90], v[93:94]
	v_add_f64 v[9:10], v[9:10], v[25:26]
	s_clause 0x4
	buffer_load_dword v26, off, s[0:3], 0 offset:508
	buffer_load_dword v93, off, s[0:3], 0 offset:520
	;; [unrolled: 1-line block ×5, first 2 shown]
	ds_read_b128 v[5:8], v52 offset:1120
	s_waitcnt vmcnt(57) lgkmcnt(1)
	v_mul_f64 v[114:115], v[85:86], v[21:22]
	v_mul_f64 v[21:22], v[87:88], v[21:22]
	s_waitcnt vmcnt(56)
	v_fma_f64 v[17:18], v[1:2], v[11:12], -v[17:18]
	v_fma_f64 v[11:12], v[3:4], v[11:12], v[95:96]
	v_add_f64 v[13:14], v[89:90], v[13:14]
	v_add_f64 v[9:10], v[9:10], v[19:20]
	s_clause 0x2
	buffer_load_dword v94, off, s[0:3], 0 offset:524
	buffer_load_dword v20, off, s[0:3], 0 offset:500
	;; [unrolled: 1-line block ×3, first 2 shown]
	s_waitcnt vmcnt(58) lgkmcnt(0)
	v_mul_f64 v[89:90], v[5:6], v[27:28]
	v_mul_f64 v[27:28], v[7:8], v[27:28]
	s_waitcnt vmcnt(56)
	v_fma_f64 v[21:22], v[85:86], v[29:30], -v[21:22]
	ds_read_b128 v[1:4], v52 offset:1136
	v_add_f64 v[13:14], v[13:14], v[17:18]
	v_fma_f64 v[17:18], v[87:88], v[29:30], v[114:115]
	v_add_f64 v[29:30], v[9:10], v[11:12]
	s_clause 0x4
	buffer_load_dword v86, off, s[0:3], 0 offset:540
	buffer_load_dword v87, off, s[0:3], 0 offset:552
	;; [unrolled: 1-line block ×5, first 2 shown]
	ds_read_b128 v[9:12], v52 offset:1152
	s_waitcnt vmcnt(57) lgkmcnt(1)
	v_mul_f64 v[114:115], v[1:2], v[31:32]
	v_mul_f64 v[31:32], v[3:4], v[31:32]
	s_waitcnt vmcnt(56)
	v_fma_f64 v[27:28], v[5:6], v[15:16], -v[27:28]
	v_fma_f64 v[15:16], v[7:8], v[15:16], v[89:90]
	v_add_f64 v[13:14], v[13:14], v[21:22]
	s_clause 0x2
	buffer_load_dword v88, off, s[0:3], 0 offset:556
	buffer_load_dword v22, off, s[0:3], 0 offset:532
	;; [unrolled: 1-line block ×3, first 2 shown]
	v_add_f64 v[17:18], v[29:30], v[17:18]
	s_waitcnt vmcnt(58) lgkmcnt(0)
	v_mul_f64 v[29:30], v[9:10], v[35:36]
	v_mul_f64 v[35:36], v[11:12], v[35:36]
	ds_read_b128 v[5:8], v52 offset:1168
	s_waitcnt vmcnt(56)
	v_fma_f64 v[31:32], v[1:2], v[37:38], -v[31:32]
	v_add_f64 v[13:14], v[13:14], v[27:28]
	v_fma_f64 v[27:28], v[3:4], v[37:38], v[114:115]
	v_add_f64 v[15:16], v[17:18], v[15:16]
	s_clause 0x4
	buffer_load_dword v18, off, s[0:3], 0 offset:572
	buffer_load_dword v37, off, s[0:3], 0 offset:584
	;; [unrolled: 1-line block ×5, first 2 shown]
	s_waitcnt vmcnt(57) lgkmcnt(0)
	v_mul_f64 v[114:115], v[5:6], v[39:40]
	v_mul_f64 v[39:40], v[7:8], v[39:40]
	s_waitcnt vmcnt(56)
	v_fma_f64 v[35:36], v[9:10], v[23:24], -v[35:36]
	ds_read_b128 v[1:4], v52 offset:1184
	v_fma_f64 v[23:24], v[11:12], v[23:24], v[29:30]
	v_add_f64 v[13:14], v[13:14], v[31:32]
	v_add_f64 v[15:16], v[15:16], v[27:28]
	s_clause 0x2
	buffer_load_dword v38, off, s[0:3], 0 offset:588
	buffer_load_dword v28, off, s[0:3], 0 offset:564
	buffer_load_dword v27, off, s[0:3], 0 offset:560
	ds_read_b128 v[9:12], v52 offset:1200
	s_waitcnt vmcnt(58) lgkmcnt(1)
	v_mul_f64 v[31:32], v[3:4], v[48:49]
	s_waitcnt vmcnt(56)
	v_fma_f64 v[39:40], v[5:6], v[50:51], -v[39:40]
	v_mul_f64 v[29:30], v[1:2], v[48:49]
	v_add_f64 v[13:14], v[13:14], v[35:36]
	v_fma_f64 v[35:36], v[7:8], v[50:51], v[114:115]
	v_add_f64 v[15:16], v[15:16], v[23:24]
	s_clause 0x4
	buffer_load_dword v24, off, s[0:3], 0 offset:604
	buffer_load_dword v48, off, s[0:3], 0 offset:616
	;; [unrolled: 1-line block ×5, first 2 shown]
	s_waitcnt vmcnt(57) lgkmcnt(0)
	v_mul_f64 v[114:115], v[9:10], v[65:66]
	v_mul_f64 v[65:66], v[11:12], v[65:66]
	s_waitcnt vmcnt(56)
	v_fma_f64 v[31:32], v[1:2], v[33:34], -v[31:32]
	ds_read_b128 v[5:8], v52 offset:1216
	v_fma_f64 v[29:30], v[3:4], v[33:34], v[29:30]
	s_clause 0x2
	buffer_load_dword v49, off, s[0:3], 0 offset:620
	buffer_load_dword v34, off, s[0:3], 0 offset:596
	;; [unrolled: 1-line block ×3, first 2 shown]
	ds_read_b128 v[1:4], v52 offset:1232
	v_add_f64 v[13:14], v[13:14], v[39:40]
	v_add_f64 v[15:16], v[15:16], v[35:36]
	s_waitcnt vmcnt(58) lgkmcnt(1)
	v_mul_f64 v[39:40], v[7:8], v[75:76]
	s_waitcnt vmcnt(56)
	v_fma_f64 v[65:66], v[9:10], v[77:78], -v[65:66]
	v_mul_f64 v[35:36], v[5:6], v[75:76]
	v_add_f64 v[13:14], v[13:14], v[31:32]
	v_fma_f64 v[31:32], v[11:12], v[77:78], v[114:115]
	v_add_f64 v[15:16], v[15:16], v[29:30]
	s_clause 0x4
	buffer_load_dword v30, off, s[0:3], 0 offset:636
	buffer_load_dword v75, off, s[0:3], 0 offset:648
	;; [unrolled: 1-line block ×5, first 2 shown]
	s_waitcnt vmcnt(57) lgkmcnt(0)
	v_mul_f64 v[114:115], v[1:2], v[79:80]
	v_mul_f64 v[78:79], v[3:4], v[79:80]
	s_waitcnt vmcnt(56)
	v_fma_f64 v[39:40], v[5:6], v[41:42], -v[39:40]
	ds_read_b128 v[9:12], v52 offset:1248
	v_fma_f64 v[35:36], v[7:8], v[41:42], v[35:36]
	v_add_f64 v[13:14], v[13:14], v[65:66]
	v_add_f64 v[15:16], v[15:16], v[31:32]
	s_clause 0x2
	buffer_load_dword v76, off, s[0:3], 0 offset:652
	buffer_load_dword v32, off, s[0:3], 0 offset:628
	;; [unrolled: 1-line block ×3, first 2 shown]
	ds_read_b128 v[5:8], v52 offset:1264
	s_waitcnt vmcnt(58) lgkmcnt(1)
	v_mul_f64 v[65:66], v[11:12], v[81:82]
	s_waitcnt vmcnt(56)
	v_fma_f64 v[79:80], v[1:2], v[83:84], -v[78:79]
	v_mul_f64 v[41:42], v[9:10], v[81:82]
	v_add_f64 v[13:14], v[13:14], v[39:40]
	v_fma_f64 v[39:40], v[3:4], v[83:84], v[114:115]
	v_add_f64 v[15:16], v[15:16], v[35:36]
	s_clause 0x4
	buffer_load_dword v36, off, s[0:3], 0 offset:668
	buffer_load_dword v81, off, s[0:3], 0 offset:680
	;; [unrolled: 1-line block ×5, first 2 shown]
	s_waitcnt vmcnt(57) lgkmcnt(0)
	v_mul_f64 v[114:115], v[5:6], v[99:100]
	v_mul_f64 v[99:100], v[7:8], v[99:100]
	s_waitcnt vmcnt(56)
	v_fma_f64 v[65:66], v[9:10], v[67:68], -v[65:66]
	ds_read_b128 v[1:4], v52 offset:1280
	v_fma_f64 v[41:42], v[11:12], v[67:68], v[41:42]
	v_add_f64 v[13:14], v[13:14], v[79:80]
	v_add_f64 v[15:16], v[15:16], v[39:40]
	s_clause 0x2
	buffer_load_dword v82, off, s[0:3], 0 offset:684
	buffer_load_dword v40, off, s[0:3], 0 offset:660
	;; [unrolled: 1-line block ×3, first 2 shown]
	ds_read_b128 v[9:12], v52 offset:1296
	s_waitcnt vmcnt(58) lgkmcnt(1)
	v_mul_f64 v[79:80], v[3:4], v[101:102]
	s_waitcnt vmcnt(56)
	v_fma_f64 v[99:100], v[5:6], v[106:107], -v[99:100]
	v_mul_f64 v[67:68], v[1:2], v[101:102]
	v_add_f64 v[13:14], v[13:14], v[65:66]
	v_fma_f64 v[65:66], v[7:8], v[106:107], v[114:115]
	v_add_f64 v[15:16], v[15:16], v[41:42]
	s_clause 0x4
	buffer_load_dword v42, off, s[0:3], 0 offset:700
	buffer_load_dword v101, off, s[0:3], 0 offset:712
	;; [unrolled: 1-line block ×5, first 2 shown]
	ds_read_b128 v[5:8], v52 offset:1312
	s_waitcnt vmcnt(57) lgkmcnt(1)
	v_mul_f64 v[106:107], v[9:10], v[97:98]
	v_mul_f64 v[97:98], v[11:12], v[97:98]
	s_waitcnt vmcnt(56)
	v_fma_f64 v[79:80], v[1:2], v[103:104], -v[79:80]
	v_fma_f64 v[67:68], v[3:4], v[103:104], v[67:68]
	v_add_f64 v[13:14], v[13:14], v[99:100]
	v_add_f64 v[15:16], v[15:16], v[65:66]
	s_clause 0x2
	buffer_load_dword v102, off, s[0:3], 0 offset:716
	buffer_load_dword v66, off, s[0:3], 0 offset:692
	;; [unrolled: 1-line block ×3, first 2 shown]
	ds_read_b128 v[1:4], v52 offset:1328
	s_waitcnt vmcnt(58) lgkmcnt(1)
	v_mul_f64 v[103:104], v[7:8], v[110:111]
	v_mul_f64 v[99:100], v[5:6], v[110:111]
	s_waitcnt vmcnt(56)
	v_fma_f64 v[97:98], v[9:10], v[91:92], -v[97:98]
	v_add_f64 v[13:14], v[13:14], v[79:80]
	v_fma_f64 v[79:80], v[11:12], v[91:92], v[106:107]
	v_add_f64 v[15:16], v[15:16], v[67:68]
	s_clause 0x4
	buffer_load_dword v68, off, s[0:3], 0 offset:732
	buffer_load_dword v91, off, s[0:3], 0 offset:744
	buffer_load_dword v110, off, s[0:3], 0 offset:736
	buffer_load_dword v67, off, s[0:3], 0 offset:728
	buffer_load_dword v106, off, s[0:3], 0 offset:708
	ds_read_b128 v[9:12], v52 offset:1344
	s_waitcnt vmcnt(57) lgkmcnt(1)
	v_mul_f64 v[114:115], v[1:2], v[25:26]
	v_mul_f64 v[25:26], v[3:4], v[25:26]
	s_waitcnt vmcnt(56)
	v_fma_f64 v[103:104], v[5:6], v[112:113], -v[103:104]
	v_add_f64 v[13:14], v[13:14], v[97:98]
	v_fma_f64 v[97:98], v[7:8], v[112:113], v[99:100]
	v_add_f64 v[15:16], v[15:16], v[79:80]
	s_clause 0x2
	buffer_load_dword v92, off, s[0:3], 0 offset:748
	buffer_load_dword v80, off, s[0:3], 0 offset:724
	buffer_load_dword v79, off, s[0:3], 0 offset:720
	ds_read_b128 v[5:8], v52 offset:1360
	s_waitcnt vmcnt(58) lgkmcnt(1)
	v_mul_f64 v[99:100], v[9:10], v[93:94]
	v_mul_f64 v[93:94], v[11:12], v[93:94]
	s_waitcnt vmcnt(56)
	v_fma_f64 v[25:26], v[1:2], v[19:20], -v[25:26]
	v_fma_f64 v[19:20], v[3:4], v[19:20], v[114:115]
	v_add_f64 v[13:14], v[13:14], v[103:104]
	v_add_f64 v[15:16], v[15:16], v[97:98]
	s_clause 0x4
	buffer_load_dword v98, off, s[0:3], 0 offset:764
	buffer_load_dword v103, off, s[0:3], 0 offset:776
	buffer_load_dword v107, off, s[0:3], 0 offset:768
	buffer_load_dword v97, off, s[0:3], 0 offset:760
	buffer_load_dword v111, off, s[0:3], 0 offset:740
	ds_read_b128 v[1:4], v52 offset:1376
	s_waitcnt vmcnt(57) lgkmcnt(1)
	v_mul_f64 v[112:113], v[5:6], v[85:86]
	v_mul_f64 v[85:86], v[7:8], v[85:86]
	s_waitcnt vmcnt(56)
	v_fma_f64 v[93:94], v[9:10], v[108:109], -v[93:94]
	v_add_f64 v[13:14], v[13:14], v[25:26]
	v_fma_f64 v[25:26], v[11:12], v[108:109], v[99:100]
	v_add_f64 v[15:16], v[15:16], v[19:20]
	s_clause 0x2
	buffer_load_dword v104, off, s[0:3], 0 offset:780
	buffer_load_dword v20, off, s[0:3], 0 offset:756
	buffer_load_dword v19, off, s[0:3], 0 offset:752
	ds_read_b128 v[9:12], v52 offset:1392
	s_waitcnt vmcnt(58) lgkmcnt(1)
	v_mul_f64 v[99:100], v[1:2], v[87:88]
	v_mul_f64 v[87:88], v[3:4], v[87:88]
	s_waitcnt vmcnt(56)
	v_fma_f64 v[85:86], v[5:6], v[21:22], -v[85:86]
	v_fma_f64 v[21:22], v[7:8], v[21:22], v[112:113]
	v_add_f64 v[13:14], v[13:14], v[93:94]
	;; [unrolled: 28-line block ×3, first 2 shown]
	v_add_f64 v[15:16], v[15:16], v[85:86]
	s_clause 0x4
	buffer_load_dword v86, off, s[0:3], 0 offset:828
	buffer_load_dword v87, off, s[0:3], 0 offset:840
	;; [unrolled: 1-line block ×5, first 2 shown]
	ds_read_b128 v[9:12], v52 offset:1440
	s_waitcnt vmcnt(57) lgkmcnt(1)
	v_mul_f64 v[114:115], v[1:2], v[23:24]
	v_mul_f64 v[23:24], v[3:4], v[23:24]
	s_waitcnt vmcnt(56)
	v_fma_f64 v[37:38], v[5:6], v[89:90], -v[37:38]
	v_add_f64 v[13:14], v[13:14], v[17:18]
	v_fma_f64 v[17:18], v[7:8], v[89:90], v[95:96]
	v_add_f64 v[15:16], v[15:16], v[27:28]
	s_clause 0x2
	buffer_load_dword v88, off, s[0:3], 0 offset:844
	buffer_load_dword v28, off, s[0:3], 0 offset:820
	;; [unrolled: 1-line block ×3, first 2 shown]
	s_waitcnt vmcnt(58) lgkmcnt(0)
	v_mul_f64 v[89:90], v[9:10], v[48:49]
	v_mul_f64 v[48:49], v[11:12], v[48:49]
	ds_read_b128 v[5:8], v52 offset:1456
	s_waitcnt vmcnt(56)
	v_fma_f64 v[23:24], v[1:2], v[33:34], -v[23:24]
	v_fma_f64 v[33:34], v[3:4], v[33:34], v[114:115]
	v_add_f64 v[13:14], v[13:14], v[37:38]
	v_add_f64 v[15:16], v[15:16], v[17:18]
	s_clause 0x2
	buffer_load_dword v18, off, s[0:3], 0 offset:860
	buffer_load_dword v17, off, s[0:3], 0 offset:856
	;; [unrolled: 1-line block ×3, first 2 shown]
	ds_read_b128 v[1:4], v52 offset:1472
	s_waitcnt vmcnt(55) lgkmcnt(1)
	v_mul_f64 v[37:38], v[5:6], v[29:30]
	v_mul_f64 v[29:30], v[7:8], v[29:30]
	s_waitcnt vmcnt(54)
	v_fma_f64 v[48:49], v[9:10], v[50:51], -v[48:49]
	v_add_f64 v[13:14], v[13:14], v[23:24]
	v_fma_f64 v[23:24], v[11:12], v[50:51], v[89:90]
	v_add_f64 v[15:16], v[15:16], v[33:34]
	s_clause 0x1
	buffer_load_dword v34, off, s[0:3], 0 offset:852
	buffer_load_dword v33, off, s[0:3], 0 offset:848
	ds_read_b128 v[9:12], v52 offset:1488
	s_waitcnt vmcnt(55) lgkmcnt(1)
	v_mul_f64 v[50:51], v[1:2], v[75:76]
	v_mul_f64 v[75:76], v[3:4], v[75:76]
	s_waitcnt vmcnt(53)
	v_fma_f64 v[29:30], v[5:6], v[31:32], -v[29:30]
	v_fma_f64 v[31:32], v[7:8], v[31:32], v[37:38]
	ds_read_b128 v[5:8], v52 offset:1504
	v_add_f64 v[13:14], v[13:14], v[48:49]
	v_add_f64 v[15:16], v[15:16], v[23:24]
	s_waitcnt vmcnt(49) lgkmcnt(1)
	v_mul_f64 v[23:24], v[9:10], v[35:36]
	v_mul_f64 v[35:36], v[11:12], v[35:36]
	s_waitcnt vmcnt(48)
	v_fma_f64 v[37:38], v[1:2], v[77:78], -v[75:76]
	v_add_f64 v[13:14], v[13:14], v[29:30]
	v_fma_f64 v[29:30], v[3:4], v[77:78], v[50:51]
	v_add_f64 v[15:16], v[15:16], v[31:32]
	s_clause 0x3
	buffer_load_dword v31, off, s[0:3], 0 offset:176
	buffer_load_dword v32, off, s[0:3], 0 offset:180
	;; [unrolled: 1-line block ×4, first 2 shown]
	ds_read_b128 v[1:4], v52 offset:1520
	s_waitcnt vmcnt(51) lgkmcnt(1)
	v_mul_f64 v[75:76], v[7:8], v[81:82]
	v_mul_f64 v[50:51], v[5:6], v[81:82]
	s_waitcnt vmcnt(49)
	v_fma_f64 v[35:36], v[9:10], v[39:40], -v[35:36]
	v_fma_f64 v[23:24], v[11:12], v[39:40], v[23:24]
	ds_read_b128 v[9:12], v52 offset:1536
	v_add_f64 v[13:14], v[13:14], v[37:38]
	v_add_f64 v[15:16], v[15:16], v[29:30]
	s_waitcnt vmcnt(45) lgkmcnt(1)
	v_mul_f64 v[37:38], v[3:4], v[41:42]
	s_waitcnt vmcnt(44)
	v_fma_f64 v[39:40], v[5:6], v[83:84], -v[75:76]
	v_mul_f64 v[29:30], v[1:2], v[41:42]
	v_add_f64 v[13:14], v[13:14], v[35:36]
	v_fma_f64 v[35:36], v[7:8], v[83:84], v[50:51]
	v_add_f64 v[15:16], v[15:16], v[23:24]
	ds_read_b128 v[5:8], v52 offset:1552
	s_waitcnt vmcnt(43) lgkmcnt(1)
	v_mul_f64 v[41:42], v[11:12], v[101:102]
	v_mul_f64 v[23:24], v[9:10], v[101:102]
	s_waitcnt vmcnt(41)
	v_fma_f64 v[37:38], v[1:2], v[65:66], -v[37:38]
	v_fma_f64 v[29:30], v[3:4], v[65:66], v[29:30]
	ds_read_b128 v[1:4], v52 offset:1568
	v_add_f64 v[13:14], v[13:14], v[39:40]
	v_add_f64 v[15:16], v[15:16], v[35:36]
	s_waitcnt vmcnt(37) lgkmcnt(1)
	v_mul_f64 v[39:40], v[7:8], v[67:68]
	s_waitcnt vmcnt(36)
	v_fma_f64 v[41:42], v[9:10], v[105:106], -v[41:42]
	v_mul_f64 v[35:36], v[5:6], v[67:68]
	v_fma_f64 v[23:24], v[11:12], v[105:106], v[23:24]
	ds_read_b128 v[9:12], v52 offset:1584
	v_add_f64 v[13:14], v[13:14], v[37:38]
	v_add_f64 v[15:16], v[15:16], v[29:30]
	s_waitcnt vmcnt(35) lgkmcnt(1)
	v_mul_f64 v[37:38], v[3:4], v[91:92]
	v_mul_f64 v[29:30], v[1:2], v[91:92]
	s_waitcnt vmcnt(33)
	v_fma_f64 v[39:40], v[5:6], v[79:80], -v[39:40]
	v_fma_f64 v[35:36], v[7:8], v[79:80], v[35:36]
	ds_read_b128 v[5:8], v52 offset:1600
	v_add_f64 v[13:14], v[13:14], v[41:42]
	v_add_f64 v[15:16], v[15:16], v[23:24]
	s_waitcnt vmcnt(29) lgkmcnt(1)
	v_mul_f64 v[41:42], v[11:12], v[97:98]
	s_waitcnt vmcnt(28)
	v_fma_f64 v[37:38], v[1:2], v[110:111], -v[37:38]
	v_mul_f64 v[23:24], v[9:10], v[97:98]
	v_fma_f64 v[29:30], v[3:4], v[110:111], v[29:30]
	ds_read_b128 v[1:4], v52 offset:1616
	v_add_f64 v[13:14], v[13:14], v[39:40]
	v_add_f64 v[15:16], v[15:16], v[35:36]
	s_waitcnt vmcnt(27) lgkmcnt(1)
	v_mul_f64 v[39:40], v[7:8], v[103:104]
	v_mul_f64 v[35:36], v[5:6], v[103:104]
	s_waitcnt vmcnt(25)
	v_fma_f64 v[41:42], v[9:10], v[19:20], -v[41:42]
	v_fma_f64 v[19:20], v[11:12], v[19:20], v[23:24]
	ds_read_b128 v[9:12], v52 offset:1632
	v_add_f64 v[13:14], v[13:14], v[37:38]
	v_add_f64 v[15:16], v[15:16], v[29:30]
	s_waitcnt vmcnt(21) lgkmcnt(1)
	v_mul_f64 v[23:24], v[1:2], v[25:26]
	v_mul_f64 v[25:26], v[3:4], v[25:26]
	s_waitcnt vmcnt(20)
	v_fma_f64 v[29:30], v[5:6], v[107:108], -v[39:40]
	;; [unrolled: 9-line block ×3, first 2 shown]
	v_fma_f64 v[21:22], v[3:4], v[21:22], v[23:24]
	ds_read_b128 v[1:4], v52 offset:1664
	v_add_f64 v[13:14], v[13:14], v[29:30]
	v_add_f64 v[15:16], v[15:16], v[35:36]
	s_waitcnt vmcnt(13) lgkmcnt(1)
	v_mul_f64 v[29:30], v[7:8], v[85:86]
	s_waitcnt vmcnt(12)
	v_fma_f64 v[35:36], v[9:10], v[112:113], -v[37:38]
	v_mul_f64 v[23:24], v[5:6], v[85:86]
	v_fma_f64 v[19:20], v[11:12], v[112:113], v[19:20]
	ds_read_b128 v[9:12], v52 offset:1680
	v_add_f64 v[13:14], v[13:14], v[25:26]
	v_add_f64 v[15:16], v[15:16], v[21:22]
	s_waitcnt vmcnt(11) lgkmcnt(1)
	v_mul_f64 v[25:26], v[3:4], v[87:88]
	v_mul_f64 v[21:22], v[1:2], v[87:88]
	s_waitcnt vmcnt(9)
	v_fma_f64 v[5:6], v[5:6], v[27:28], -v[29:30]
	v_fma_f64 v[7:8], v[7:8], v[27:28], v[23:24]
	v_add_f64 v[13:14], v[13:14], v[35:36]
	v_add_f64 v[15:16], v[15:16], v[19:20]
	s_waitcnt vmcnt(7) lgkmcnt(0)
	v_mul_f64 v[19:20], v[9:10], v[17:18]
	v_mul_f64 v[17:18], v[11:12], v[17:18]
	s_waitcnt vmcnt(6)
	v_fma_f64 v[1:2], v[1:2], v[99:100], -v[25:26]
	v_fma_f64 v[3:4], v[3:4], v[99:100], v[21:22]
	v_add_f64 v[5:6], v[13:14], v[5:6]
	v_add_f64 v[7:8], v[15:16], v[7:8]
	s_waitcnt vmcnt(4)
	v_fma_f64 v[9:10], v[9:10], v[33:34], -v[17:18]
	v_add_f64 v[1:2], v[5:6], v[1:2]
	v_fma_f64 v[5:6], v[11:12], v[33:34], v[19:20]
	v_add_f64 v[3:4], v[7:8], v[3:4]
	v_add_f64 v[1:2], v[1:2], v[9:10]
	;; [unrolled: 1-line block ×3, first 2 shown]
	s_waitcnt vmcnt(2)
	v_add_f64 v[1:2], v[31:32], -v[1:2]
	s_waitcnt vmcnt(0)
	v_add_f64 v[3:4], v[48:49], -v[3:4]
	buffer_store_dword v2, off, s[0:3], 0 offset:180
	buffer_store_dword v1, off, s[0:3], 0 offset:176
	;; [unrolled: 1-line block ×4, first 2 shown]
	v_cmpx_lt_u32_e32 9, v0
	s_cbranch_execz .LBB52_313
; %bb.312:
	v_mov_b32_e32 v4, s56
	v_mov_b32_e32 v5, 0
	s_clause 0x3
	buffer_load_dword v1, v4, s[0:3], 0 offen
	buffer_load_dword v2, v4, s[0:3], 0 offen offset:4
	buffer_load_dword v3, v4, s[0:3], 0 offen offset:8
	;; [unrolled: 1-line block ×3, first 2 shown]
	buffer_store_dword v5, off, s[0:3], 0 offset:160
	buffer_store_dword v5, off, s[0:3], 0 offset:164
	;; [unrolled: 1-line block ×4, first 2 shown]
	s_waitcnt vmcnt(0)
	ds_write_b128 v43, v[1:4]
.LBB52_313:
	s_or_b32 exec_lo, exec_lo, s4
	s_waitcnt lgkmcnt(0)
	s_waitcnt_vscnt null, 0x0
	s_barrier
	buffer_gl0_inv
	s_clause 0x37
	buffer_load_dword v9, off, s[0:3], 0 offset:184
	buffer_load_dword v10, off, s[0:3], 0 offset:188
	;; [unrolled: 1-line block ×56, first 2 shown]
	v_mov_b32_e32 v52, 0
	s_mov_b32 s4, exec_lo
	ds_read_b128 v[85:88], v52 offset:1008
	s_clause 0x2
	buffer_load_dword v82, off, s[0:3], 0 offset:412
	buffer_load_dword v84, off, s[0:3], 0 offset:388
	;; [unrolled: 1-line block ×3, first 2 shown]
	ds_read_b128 v[89:92], v52 offset:1024
	s_clause 0x4
	buffer_load_dword v100, off, s[0:3], 0 offset:428
	buffer_load_dword v101, off, s[0:3], 0 offset:440
	;; [unrolled: 1-line block ×5, first 2 shown]
	ds_read_b128 v[93:96], v52 offset:1040
	s_clause 0x2
	buffer_load_dword v102, off, s[0:3], 0 offset:444
	buffer_load_dword v107, off, s[0:3], 0 offset:420
	;; [unrolled: 1-line block ×3, first 2 shown]
	s_waitcnt vmcnt(62) lgkmcnt(2)
	v_mul_f64 v[97:98], v[87:88], v[9:10]
	v_mul_f64 v[9:10], v[85:86], v[9:10]
	s_waitcnt lgkmcnt(1)
	v_mul_f64 v[104:105], v[91:92], v[5:6]
	s_waitcnt vmcnt(59) lgkmcnt(0)
	v_mul_f64 v[108:109], v[95:96], v[3:4]
	v_fma_f64 v[85:86], v[85:86], v[7:8], -v[97:98]
	v_mul_f64 v[97:98], v[89:90], v[5:6]
	v_fma_f64 v[9:10], v[87:88], v[7:8], v[9:10]
	s_waitcnt vmcnt(57)
	v_fma_f64 v[89:90], v[89:90], v[1:2], -v[104:105]
	ds_read_b128 v[5:8], v52 offset:1056
	v_mul_f64 v[87:88], v[93:94], v[3:4]
	s_waitcnt vmcnt(51)
	v_fma_f64 v[93:94], v[93:94], v[25:26], -v[108:109]
	v_add_f64 v[85:86], v[85:86], 0
	v_fma_f64 v[91:92], v[91:92], v[1:2], v[97:98]
	v_add_f64 v[9:10], v[9:10], 0
	s_clause 0x4
	buffer_load_dword v98, off, s[0:3], 0 offset:460
	buffer_load_dword v110, off, s[0:3], 0 offset:472
	;; [unrolled: 1-line block ×5, first 2 shown]
	s_waitcnt lgkmcnt(0)
	v_mul_f64 v[113:114], v[5:6], v[13:14]
	v_mul_f64 v[13:14], v[7:8], v[13:14]
	ds_read_b128 v[1:4], v52 offset:1072
	v_fma_f64 v[25:26], v[95:96], v[25:26], v[87:88]
	v_add_f64 v[89:90], v[85:86], v[89:90]
	v_add_f64 v[9:10], v[9:10], v[91:92]
	s_clause 0x2
	buffer_load_dword v111, off, s[0:3], 0 offset:476
	buffer_load_dword v92, off, s[0:3], 0 offset:452
	;; [unrolled: 1-line block ×3, first 2 shown]
	s_waitcnt vmcnt(58) lgkmcnt(0)
	v_mul_f64 v[95:96], v[1:2], v[17:18]
	v_mul_f64 v[17:18], v[3:4], v[17:18]
	s_waitcnt vmcnt(56)
	v_fma_f64 v[13:14], v[5:6], v[19:20], -v[13:14]
	ds_read_b128 v[85:88], v52 offset:1088
	v_fma_f64 v[19:20], v[7:8], v[19:20], v[113:114]
	v_add_f64 v[89:90], v[89:90], v[93:94]
	v_add_f64 v[9:10], v[9:10], v[25:26]
	s_clause 0x4
	buffer_load_dword v26, off, s[0:3], 0 offset:492
	buffer_load_dword v93, off, s[0:3], 0 offset:504
	;; [unrolled: 1-line block ×5, first 2 shown]
	ds_read_b128 v[5:8], v52 offset:1104
	s_waitcnt vmcnt(57) lgkmcnt(1)
	v_mul_f64 v[114:115], v[85:86], v[21:22]
	v_mul_f64 v[21:22], v[87:88], v[21:22]
	s_waitcnt vmcnt(56)
	v_fma_f64 v[17:18], v[1:2], v[11:12], -v[17:18]
	v_fma_f64 v[11:12], v[3:4], v[11:12], v[95:96]
	v_add_f64 v[13:14], v[89:90], v[13:14]
	v_add_f64 v[9:10], v[9:10], v[19:20]
	s_clause 0x2
	buffer_load_dword v94, off, s[0:3], 0 offset:508
	buffer_load_dword v20, off, s[0:3], 0 offset:484
	;; [unrolled: 1-line block ×3, first 2 shown]
	s_waitcnt vmcnt(58) lgkmcnt(0)
	v_mul_f64 v[89:90], v[5:6], v[27:28]
	v_mul_f64 v[27:28], v[7:8], v[27:28]
	s_waitcnt vmcnt(56)
	v_fma_f64 v[21:22], v[85:86], v[29:30], -v[21:22]
	ds_read_b128 v[1:4], v52 offset:1120
	v_add_f64 v[13:14], v[13:14], v[17:18]
	v_fma_f64 v[17:18], v[87:88], v[29:30], v[114:115]
	v_add_f64 v[29:30], v[9:10], v[11:12]
	s_clause 0x4
	buffer_load_dword v86, off, s[0:3], 0 offset:524
	buffer_load_dword v87, off, s[0:3], 0 offset:536
	;; [unrolled: 1-line block ×5, first 2 shown]
	ds_read_b128 v[9:12], v52 offset:1136
	s_waitcnt vmcnt(57) lgkmcnt(1)
	v_mul_f64 v[114:115], v[1:2], v[31:32]
	v_mul_f64 v[31:32], v[3:4], v[31:32]
	s_waitcnt vmcnt(56)
	v_fma_f64 v[27:28], v[5:6], v[15:16], -v[27:28]
	v_fma_f64 v[15:16], v[7:8], v[15:16], v[89:90]
	v_add_f64 v[13:14], v[13:14], v[21:22]
	s_clause 0x2
	buffer_load_dword v88, off, s[0:3], 0 offset:540
	buffer_load_dword v22, off, s[0:3], 0 offset:516
	;; [unrolled: 1-line block ×3, first 2 shown]
	v_add_f64 v[17:18], v[29:30], v[17:18]
	s_waitcnt vmcnt(58) lgkmcnt(0)
	v_mul_f64 v[29:30], v[9:10], v[35:36]
	v_mul_f64 v[35:36], v[11:12], v[35:36]
	ds_read_b128 v[5:8], v52 offset:1152
	s_waitcnt vmcnt(56)
	v_fma_f64 v[31:32], v[1:2], v[37:38], -v[31:32]
	v_add_f64 v[13:14], v[13:14], v[27:28]
	v_fma_f64 v[27:28], v[3:4], v[37:38], v[114:115]
	v_add_f64 v[15:16], v[17:18], v[15:16]
	s_clause 0x4
	buffer_load_dword v18, off, s[0:3], 0 offset:556
	buffer_load_dword v37, off, s[0:3], 0 offset:568
	;; [unrolled: 1-line block ×5, first 2 shown]
	s_waitcnt vmcnt(57) lgkmcnt(0)
	v_mul_f64 v[114:115], v[5:6], v[39:40]
	v_mul_f64 v[39:40], v[7:8], v[39:40]
	s_waitcnt vmcnt(56)
	v_fma_f64 v[35:36], v[9:10], v[23:24], -v[35:36]
	ds_read_b128 v[1:4], v52 offset:1168
	v_fma_f64 v[23:24], v[11:12], v[23:24], v[29:30]
	v_add_f64 v[13:14], v[13:14], v[31:32]
	v_add_f64 v[15:16], v[15:16], v[27:28]
	s_clause 0x2
	buffer_load_dword v38, off, s[0:3], 0 offset:572
	buffer_load_dword v28, off, s[0:3], 0 offset:548
	;; [unrolled: 1-line block ×3, first 2 shown]
	ds_read_b128 v[9:12], v52 offset:1184
	s_waitcnt vmcnt(58) lgkmcnt(1)
	v_mul_f64 v[31:32], v[3:4], v[48:49]
	s_waitcnt vmcnt(56)
	v_fma_f64 v[39:40], v[5:6], v[50:51], -v[39:40]
	v_mul_f64 v[29:30], v[1:2], v[48:49]
	v_add_f64 v[13:14], v[13:14], v[35:36]
	v_fma_f64 v[35:36], v[7:8], v[50:51], v[114:115]
	v_add_f64 v[15:16], v[15:16], v[23:24]
	s_clause 0x4
	buffer_load_dword v24, off, s[0:3], 0 offset:588
	buffer_load_dword v48, off, s[0:3], 0 offset:600
	;; [unrolled: 1-line block ×5, first 2 shown]
	s_waitcnt vmcnt(57) lgkmcnt(0)
	v_mul_f64 v[114:115], v[9:10], v[65:66]
	v_mul_f64 v[65:66], v[11:12], v[65:66]
	s_waitcnt vmcnt(56)
	v_fma_f64 v[31:32], v[1:2], v[33:34], -v[31:32]
	ds_read_b128 v[5:8], v52 offset:1200
	v_fma_f64 v[29:30], v[3:4], v[33:34], v[29:30]
	s_clause 0x2
	buffer_load_dword v49, off, s[0:3], 0 offset:604
	buffer_load_dword v34, off, s[0:3], 0 offset:580
	;; [unrolled: 1-line block ×3, first 2 shown]
	ds_read_b128 v[1:4], v52 offset:1216
	v_add_f64 v[13:14], v[13:14], v[39:40]
	v_add_f64 v[15:16], v[15:16], v[35:36]
	s_waitcnt vmcnt(58) lgkmcnt(1)
	v_mul_f64 v[39:40], v[7:8], v[75:76]
	s_waitcnt vmcnt(56)
	v_fma_f64 v[65:66], v[9:10], v[77:78], -v[65:66]
	v_mul_f64 v[35:36], v[5:6], v[75:76]
	v_add_f64 v[13:14], v[13:14], v[31:32]
	v_fma_f64 v[31:32], v[11:12], v[77:78], v[114:115]
	v_add_f64 v[15:16], v[15:16], v[29:30]
	s_clause 0x4
	buffer_load_dword v30, off, s[0:3], 0 offset:620
	buffer_load_dword v75, off, s[0:3], 0 offset:632
	;; [unrolled: 1-line block ×5, first 2 shown]
	s_waitcnt vmcnt(57) lgkmcnt(0)
	v_mul_f64 v[114:115], v[1:2], v[79:80]
	v_mul_f64 v[78:79], v[3:4], v[79:80]
	s_waitcnt vmcnt(56)
	v_fma_f64 v[39:40], v[5:6], v[41:42], -v[39:40]
	ds_read_b128 v[9:12], v52 offset:1232
	v_fma_f64 v[35:36], v[7:8], v[41:42], v[35:36]
	v_add_f64 v[13:14], v[13:14], v[65:66]
	v_add_f64 v[15:16], v[15:16], v[31:32]
	s_clause 0x2
	buffer_load_dword v76, off, s[0:3], 0 offset:636
	buffer_load_dword v32, off, s[0:3], 0 offset:612
	;; [unrolled: 1-line block ×3, first 2 shown]
	ds_read_b128 v[5:8], v52 offset:1248
	s_waitcnt vmcnt(58) lgkmcnt(1)
	v_mul_f64 v[65:66], v[11:12], v[81:82]
	s_waitcnt vmcnt(56)
	v_fma_f64 v[79:80], v[1:2], v[83:84], -v[78:79]
	v_mul_f64 v[41:42], v[9:10], v[81:82]
	v_add_f64 v[13:14], v[13:14], v[39:40]
	v_fma_f64 v[39:40], v[3:4], v[83:84], v[114:115]
	v_add_f64 v[15:16], v[15:16], v[35:36]
	s_clause 0x4
	buffer_load_dword v36, off, s[0:3], 0 offset:652
	buffer_load_dword v81, off, s[0:3], 0 offset:664
	;; [unrolled: 1-line block ×5, first 2 shown]
	s_waitcnt vmcnt(57) lgkmcnt(0)
	v_mul_f64 v[114:115], v[5:6], v[99:100]
	v_mul_f64 v[99:100], v[7:8], v[99:100]
	s_waitcnt vmcnt(56)
	v_fma_f64 v[65:66], v[9:10], v[67:68], -v[65:66]
	ds_read_b128 v[1:4], v52 offset:1264
	v_fma_f64 v[41:42], v[11:12], v[67:68], v[41:42]
	v_add_f64 v[13:14], v[13:14], v[79:80]
	v_add_f64 v[15:16], v[15:16], v[39:40]
	s_clause 0x2
	buffer_load_dword v82, off, s[0:3], 0 offset:668
	buffer_load_dword v40, off, s[0:3], 0 offset:644
	;; [unrolled: 1-line block ×3, first 2 shown]
	ds_read_b128 v[9:12], v52 offset:1280
	s_waitcnt vmcnt(58) lgkmcnt(1)
	v_mul_f64 v[79:80], v[3:4], v[101:102]
	s_waitcnt vmcnt(56)
	v_fma_f64 v[99:100], v[5:6], v[106:107], -v[99:100]
	v_mul_f64 v[67:68], v[1:2], v[101:102]
	v_add_f64 v[13:14], v[13:14], v[65:66]
	v_fma_f64 v[65:66], v[7:8], v[106:107], v[114:115]
	v_add_f64 v[15:16], v[15:16], v[41:42]
	s_clause 0x4
	buffer_load_dword v42, off, s[0:3], 0 offset:684
	buffer_load_dword v101, off, s[0:3], 0 offset:696
	buffer_load_dword v105, off, s[0:3], 0 offset:688
	buffer_load_dword v41, off, s[0:3], 0 offset:680
	buffer_load_dword v84, off, s[0:3], 0 offset:660
	ds_read_b128 v[5:8], v52 offset:1296
	s_waitcnt vmcnt(57) lgkmcnt(1)
	v_mul_f64 v[106:107], v[9:10], v[97:98]
	v_mul_f64 v[97:98], v[11:12], v[97:98]
	s_waitcnt vmcnt(56)
	v_fma_f64 v[79:80], v[1:2], v[103:104], -v[79:80]
	v_fma_f64 v[67:68], v[3:4], v[103:104], v[67:68]
	v_add_f64 v[13:14], v[13:14], v[99:100]
	v_add_f64 v[15:16], v[15:16], v[65:66]
	s_clause 0x2
	buffer_load_dword v102, off, s[0:3], 0 offset:700
	buffer_load_dword v66, off, s[0:3], 0 offset:676
	;; [unrolled: 1-line block ×3, first 2 shown]
	ds_read_b128 v[1:4], v52 offset:1312
	s_waitcnt vmcnt(58) lgkmcnt(1)
	v_mul_f64 v[103:104], v[7:8], v[110:111]
	v_mul_f64 v[99:100], v[5:6], v[110:111]
	s_waitcnt vmcnt(56)
	v_fma_f64 v[97:98], v[9:10], v[91:92], -v[97:98]
	v_add_f64 v[13:14], v[13:14], v[79:80]
	v_fma_f64 v[79:80], v[11:12], v[91:92], v[106:107]
	v_add_f64 v[15:16], v[15:16], v[67:68]
	s_clause 0x4
	buffer_load_dword v68, off, s[0:3], 0 offset:716
	buffer_load_dword v91, off, s[0:3], 0 offset:728
	buffer_load_dword v110, off, s[0:3], 0 offset:720
	buffer_load_dword v67, off, s[0:3], 0 offset:712
	buffer_load_dword v106, off, s[0:3], 0 offset:692
	ds_read_b128 v[9:12], v52 offset:1328
	s_waitcnt vmcnt(57) lgkmcnt(1)
	v_mul_f64 v[114:115], v[1:2], v[25:26]
	v_mul_f64 v[25:26], v[3:4], v[25:26]
	s_waitcnt vmcnt(56)
	v_fma_f64 v[103:104], v[5:6], v[112:113], -v[103:104]
	v_add_f64 v[13:14], v[13:14], v[97:98]
	v_fma_f64 v[97:98], v[7:8], v[112:113], v[99:100]
	v_add_f64 v[15:16], v[15:16], v[79:80]
	s_clause 0x2
	buffer_load_dword v92, off, s[0:3], 0 offset:732
	buffer_load_dword v80, off, s[0:3], 0 offset:708
	buffer_load_dword v79, off, s[0:3], 0 offset:704
	ds_read_b128 v[5:8], v52 offset:1344
	s_waitcnt vmcnt(58) lgkmcnt(1)
	v_mul_f64 v[99:100], v[9:10], v[93:94]
	v_mul_f64 v[93:94], v[11:12], v[93:94]
	s_waitcnt vmcnt(56)
	v_fma_f64 v[25:26], v[1:2], v[19:20], -v[25:26]
	v_fma_f64 v[19:20], v[3:4], v[19:20], v[114:115]
	v_add_f64 v[13:14], v[13:14], v[103:104]
	v_add_f64 v[15:16], v[15:16], v[97:98]
	s_clause 0x4
	buffer_load_dword v98, off, s[0:3], 0 offset:748
	buffer_load_dword v103, off, s[0:3], 0 offset:760
	buffer_load_dword v107, off, s[0:3], 0 offset:752
	buffer_load_dword v97, off, s[0:3], 0 offset:744
	buffer_load_dword v111, off, s[0:3], 0 offset:724
	ds_read_b128 v[1:4], v52 offset:1360
	s_waitcnt vmcnt(57) lgkmcnt(1)
	v_mul_f64 v[112:113], v[5:6], v[85:86]
	v_mul_f64 v[85:86], v[7:8], v[85:86]
	s_waitcnt vmcnt(56)
	v_fma_f64 v[93:94], v[9:10], v[108:109], -v[93:94]
	v_add_f64 v[13:14], v[13:14], v[25:26]
	v_fma_f64 v[25:26], v[11:12], v[108:109], v[99:100]
	v_add_f64 v[15:16], v[15:16], v[19:20]
	s_clause 0x2
	buffer_load_dword v104, off, s[0:3], 0 offset:764
	buffer_load_dword v20, off, s[0:3], 0 offset:740
	buffer_load_dword v19, off, s[0:3], 0 offset:736
	ds_read_b128 v[9:12], v52 offset:1376
	s_waitcnt vmcnt(58) lgkmcnt(1)
	v_mul_f64 v[99:100], v[1:2], v[87:88]
	v_mul_f64 v[87:88], v[3:4], v[87:88]
	s_waitcnt vmcnt(56)
	v_fma_f64 v[85:86], v[5:6], v[21:22], -v[85:86]
	v_fma_f64 v[21:22], v[7:8], v[21:22], v[112:113]
	v_add_f64 v[13:14], v[13:14], v[93:94]
	;; [unrolled: 28-line block ×3, first 2 shown]
	v_add_f64 v[15:16], v[15:16], v[85:86]
	s_clause 0x4
	buffer_load_dword v86, off, s[0:3], 0 offset:812
	buffer_load_dword v87, off, s[0:3], 0 offset:824
	;; [unrolled: 1-line block ×5, first 2 shown]
	ds_read_b128 v[9:12], v52 offset:1424
	s_waitcnt vmcnt(57) lgkmcnt(1)
	v_mul_f64 v[114:115], v[1:2], v[23:24]
	v_mul_f64 v[23:24], v[3:4], v[23:24]
	s_waitcnt vmcnt(56)
	v_fma_f64 v[37:38], v[5:6], v[89:90], -v[37:38]
	v_add_f64 v[13:14], v[13:14], v[17:18]
	v_fma_f64 v[17:18], v[7:8], v[89:90], v[95:96]
	v_add_f64 v[15:16], v[15:16], v[27:28]
	s_clause 0x2
	buffer_load_dword v88, off, s[0:3], 0 offset:828
	buffer_load_dword v28, off, s[0:3], 0 offset:804
	;; [unrolled: 1-line block ×3, first 2 shown]
	s_waitcnt vmcnt(58) lgkmcnt(0)
	v_mul_f64 v[89:90], v[9:10], v[48:49]
	v_mul_f64 v[48:49], v[11:12], v[48:49]
	ds_read_b128 v[5:8], v52 offset:1440
	s_waitcnt vmcnt(56)
	v_fma_f64 v[23:24], v[1:2], v[33:34], -v[23:24]
	v_fma_f64 v[33:34], v[3:4], v[33:34], v[114:115]
	v_add_f64 v[13:14], v[13:14], v[37:38]
	v_add_f64 v[15:16], v[15:16], v[17:18]
	s_clause 0x4
	buffer_load_dword v18, off, s[0:3], 0 offset:844
	buffer_load_dword v37, off, s[0:3], 0 offset:856
	buffer_load_dword v95, off, s[0:3], 0 offset:848
	buffer_load_dword v17, off, s[0:3], 0 offset:840
	buffer_load_dword v100, off, s[0:3], 0 offset:820
	ds_read_b128 v[1:4], v52 offset:1456
	s_waitcnt vmcnt(57) lgkmcnt(1)
	v_mul_f64 v[114:115], v[5:6], v[29:30]
	v_mul_f64 v[29:30], v[7:8], v[29:30]
	s_waitcnt vmcnt(56)
	v_fma_f64 v[48:49], v[9:10], v[50:51], -v[48:49]
	v_add_f64 v[13:14], v[13:14], v[23:24]
	v_fma_f64 v[23:24], v[11:12], v[50:51], v[89:90]
	v_add_f64 v[15:16], v[15:16], v[33:34]
	s_clause 0x2
	buffer_load_dword v38, off, s[0:3], 0 offset:860
	buffer_load_dword v34, off, s[0:3], 0 offset:836
	;; [unrolled: 1-line block ×3, first 2 shown]
	ds_read_b128 v[9:12], v52 offset:1472
	buffer_load_dword v96, off, s[0:3], 0 offset:852
	s_waitcnt vmcnt(59) lgkmcnt(1)
	v_mul_f64 v[50:51], v[1:2], v[75:76]
	v_mul_f64 v[75:76], v[3:4], v[75:76]
	s_waitcnt vmcnt(57)
	v_fma_f64 v[29:30], v[5:6], v[31:32], -v[29:30]
	v_fma_f64 v[31:32], v[7:8], v[31:32], v[114:115]
	ds_read_b128 v[5:8], v52 offset:1488
	v_add_f64 v[13:14], v[13:14], v[48:49]
	v_add_f64 v[15:16], v[15:16], v[23:24]
	s_waitcnt vmcnt(53) lgkmcnt(1)
	v_mul_f64 v[23:24], v[9:10], v[35:36]
	v_mul_f64 v[35:36], v[11:12], v[35:36]
	s_waitcnt vmcnt(52)
	v_fma_f64 v[48:49], v[1:2], v[77:78], -v[75:76]
	v_add_f64 v[13:14], v[13:14], v[29:30]
	v_fma_f64 v[29:30], v[3:4], v[77:78], v[50:51]
	v_add_f64 v[15:16], v[15:16], v[31:32]
	ds_read_b128 v[1:4], v52 offset:1504
	s_waitcnt vmcnt(51) lgkmcnt(1)
	v_mul_f64 v[50:51], v[7:8], v[81:82]
	v_mul_f64 v[31:32], v[5:6], v[81:82]
	s_waitcnt vmcnt(49)
	v_fma_f64 v[35:36], v[9:10], v[39:40], -v[35:36]
	v_fma_f64 v[23:24], v[11:12], v[39:40], v[23:24]
	v_add_f64 v[13:14], v[13:14], v[48:49]
	v_add_f64 v[15:16], v[15:16], v[29:30]
	s_clause 0x3
	buffer_load_dword v29, off, s[0:3], 0 offset:160
	buffer_load_dword v30, off, s[0:3], 0 offset:164
	;; [unrolled: 1-line block ×4, first 2 shown]
	ds_read_b128 v[9:12], v52 offset:1520
	s_waitcnt vmcnt(49) lgkmcnt(1)
	v_mul_f64 v[48:49], v[1:2], v[41:42]
	v_mul_f64 v[41:42], v[3:4], v[41:42]
	s_waitcnt vmcnt(48)
	v_fma_f64 v[50:51], v[5:6], v[83:84], -v[50:51]
	v_fma_f64 v[31:32], v[7:8], v[83:84], v[31:32]
	ds_read_b128 v[5:8], v52 offset:1536
	v_add_f64 v[13:14], v[13:14], v[35:36]
	v_add_f64 v[15:16], v[15:16], v[23:24]
	s_waitcnt vmcnt(47) lgkmcnt(1)
	v_mul_f64 v[35:36], v[11:12], v[101:102]
	v_mul_f64 v[23:24], v[9:10], v[101:102]
	s_waitcnt vmcnt(45)
	v_fma_f64 v[41:42], v[1:2], v[65:66], -v[41:42]
	v_fma_f64 v[48:49], v[3:4], v[65:66], v[48:49]
	ds_read_b128 v[1:4], v52 offset:1552
	v_add_f64 v[13:14], v[13:14], v[50:51]
	v_add_f64 v[15:16], v[15:16], v[31:32]
	s_waitcnt vmcnt(41) lgkmcnt(1)
	v_mul_f64 v[50:51], v[7:8], v[67:68]
	s_waitcnt vmcnt(40)
	v_fma_f64 v[35:36], v[9:10], v[105:106], -v[35:36]
	v_mul_f64 v[31:32], v[5:6], v[67:68]
	v_fma_f64 v[23:24], v[11:12], v[105:106], v[23:24]
	ds_read_b128 v[9:12], v52 offset:1568
	v_add_f64 v[13:14], v[13:14], v[41:42]
	v_add_f64 v[15:16], v[15:16], v[48:49]
	s_waitcnt vmcnt(39) lgkmcnt(1)
	v_mul_f64 v[48:49], v[3:4], v[91:92]
	v_mul_f64 v[41:42], v[1:2], v[91:92]
	s_waitcnt vmcnt(37)
	v_fma_f64 v[50:51], v[5:6], v[79:80], -v[50:51]
	v_fma_f64 v[31:32], v[7:8], v[79:80], v[31:32]
	ds_read_b128 v[5:8], v52 offset:1584
	v_add_f64 v[13:14], v[13:14], v[35:36]
	v_add_f64 v[15:16], v[15:16], v[23:24]
	s_waitcnt vmcnt(33) lgkmcnt(1)
	v_mul_f64 v[35:36], v[11:12], v[97:98]
	s_waitcnt vmcnt(32)
	v_fma_f64 v[48:49], v[1:2], v[110:111], -v[48:49]
	v_mul_f64 v[23:24], v[9:10], v[97:98]
	v_fma_f64 v[41:42], v[3:4], v[110:111], v[41:42]
	ds_read_b128 v[1:4], v52 offset:1600
	v_add_f64 v[13:14], v[13:14], v[50:51]
	v_add_f64 v[15:16], v[15:16], v[31:32]
	s_waitcnt vmcnt(31) lgkmcnt(1)
	v_mul_f64 v[50:51], v[7:8], v[103:104]
	v_mul_f64 v[31:32], v[5:6], v[103:104]
	s_waitcnt vmcnt(29)
	v_fma_f64 v[35:36], v[9:10], v[19:20], -v[35:36]
	v_fma_f64 v[19:20], v[11:12], v[19:20], v[23:24]
	ds_read_b128 v[9:12], v52 offset:1616
	v_add_f64 v[13:14], v[13:14], v[48:49]
	v_add_f64 v[15:16], v[15:16], v[41:42]
	s_waitcnt vmcnt(25) lgkmcnt(1)
	v_mul_f64 v[23:24], v[1:2], v[25:26]
	v_mul_f64 v[25:26], v[3:4], v[25:26]
	s_waitcnt vmcnt(24)
	v_fma_f64 v[41:42], v[5:6], v[107:108], -v[50:51]
	;; [unrolled: 9-line block ×3, first 2 shown]
	v_fma_f64 v[21:22], v[3:4], v[21:22], v[23:24]
	ds_read_b128 v[1:4], v52 offset:1648
	v_add_f64 v[13:14], v[13:14], v[41:42]
	v_add_f64 v[15:16], v[15:16], v[31:32]
	s_waitcnt vmcnt(17) lgkmcnt(1)
	v_mul_f64 v[31:32], v[7:8], v[85:86]
	s_waitcnt vmcnt(16)
	v_fma_f64 v[35:36], v[9:10], v[112:113], -v[35:36]
	v_mul_f64 v[23:24], v[5:6], v[85:86]
	v_fma_f64 v[19:20], v[11:12], v[112:113], v[19:20]
	ds_read_b128 v[9:12], v52 offset:1664
	v_add_f64 v[13:14], v[13:14], v[25:26]
	v_add_f64 v[15:16], v[15:16], v[21:22]
	s_waitcnt vmcnt(15) lgkmcnt(1)
	v_mul_f64 v[25:26], v[3:4], v[87:88]
	v_mul_f64 v[21:22], v[1:2], v[87:88]
	s_waitcnt vmcnt(13)
	v_fma_f64 v[31:32], v[5:6], v[27:28], -v[31:32]
	v_fma_f64 v[23:24], v[7:8], v[27:28], v[23:24]
	ds_read_b128 v[5:8], v52 offset:1680
	v_add_f64 v[13:14], v[13:14], v[35:36]
	v_add_f64 v[15:16], v[15:16], v[19:20]
	s_waitcnt vmcnt(9) lgkmcnt(1)
	v_mul_f64 v[19:20], v[9:10], v[17:18]
	v_mul_f64 v[17:18], v[11:12], v[17:18]
	s_waitcnt vmcnt(8)
	v_fma_f64 v[1:2], v[1:2], v[99:100], -v[25:26]
	v_fma_f64 v[3:4], v[3:4], v[99:100], v[21:22]
	v_add_f64 v[13:14], v[13:14], v[31:32]
	v_add_f64 v[15:16], v[15:16], v[23:24]
	s_waitcnt vmcnt(7) lgkmcnt(0)
	v_mul_f64 v[23:24], v[7:8], v[37:38]
	v_mul_f64 v[21:22], v[5:6], v[37:38]
	s_waitcnt vmcnt(5)
	v_fma_f64 v[9:10], v[9:10], v[33:34], -v[17:18]
	v_fma_f64 v[11:12], v[11:12], v[33:34], v[19:20]
	v_add_f64 v[1:2], v[13:14], v[1:2]
	v_add_f64 v[3:4], v[15:16], v[3:4]
	s_waitcnt vmcnt(4)
	v_fma_f64 v[5:6], v[5:6], v[95:96], -v[23:24]
	v_fma_f64 v[7:8], v[7:8], v[95:96], v[21:22]
	v_add_f64 v[1:2], v[1:2], v[9:10]
	v_add_f64 v[3:4], v[3:4], v[11:12]
	v_add_f64 v[1:2], v[1:2], v[5:6]
	v_add_f64 v[3:4], v[3:4], v[7:8]
	s_waitcnt vmcnt(2)
	v_add_f64 v[1:2], v[29:30], -v[1:2]
	s_waitcnt vmcnt(0)
	v_add_f64 v[3:4], v[39:40], -v[3:4]
	buffer_store_dword v2, off, s[0:3], 0 offset:164
	buffer_store_dword v1, off, s[0:3], 0 offset:160
	;; [unrolled: 1-line block ×4, first 2 shown]
	v_cmpx_lt_u32_e32 8, v0
	s_cbranch_execz .LBB52_315
; %bb.314:
	v_mov_b32_e32 v4, s57
	s_clause 0x3
	buffer_load_dword v1, v4, s[0:3], 0 offen
	buffer_load_dword v2, v4, s[0:3], 0 offen offset:4
	buffer_load_dword v3, v4, s[0:3], 0 offen offset:8
	;; [unrolled: 1-line block ×3, first 2 shown]
	buffer_store_dword v52, off, s[0:3], 0 offset:144
	buffer_store_dword v52, off, s[0:3], 0 offset:148
	;; [unrolled: 1-line block ×4, first 2 shown]
	s_waitcnt vmcnt(0)
	ds_write_b128 v43, v[1:4]
.LBB52_315:
	s_or_b32 exec_lo, exec_lo, s4
	s_waitcnt lgkmcnt(0)
	s_waitcnt_vscnt null, 0x0
	s_barrier
	buffer_gl0_inv
	s_clause 0x37
	buffer_load_dword v9, off, s[0:3], 0 offset:168
	buffer_load_dword v10, off, s[0:3], 0 offset:172
	;; [unrolled: 1-line block ×56, first 2 shown]
	ds_read_b128 v[85:88], v52 offset:992
	s_clause 0x2
	buffer_load_dword v82, off, s[0:3], 0 offset:396
	buffer_load_dword v84, off, s[0:3], 0 offset:372
	;; [unrolled: 1-line block ×3, first 2 shown]
	ds_read_b128 v[89:92], v52 offset:1008
	s_clause 0x4
	buffer_load_dword v100, off, s[0:3], 0 offset:412
	buffer_load_dword v101, off, s[0:3], 0 offset:424
	;; [unrolled: 1-line block ×5, first 2 shown]
	ds_read_b128 v[93:96], v52 offset:1024
	s_clause 0x2
	buffer_load_dword v102, off, s[0:3], 0 offset:428
	buffer_load_dword v107, off, s[0:3], 0 offset:404
	buffer_load_dword v106, off, s[0:3], 0 offset:400
	s_mov_b32 s4, exec_lo
	s_waitcnt vmcnt(62) lgkmcnt(2)
	v_mul_f64 v[97:98], v[87:88], v[9:10]
	v_mul_f64 v[9:10], v[85:86], v[9:10]
	s_waitcnt lgkmcnt(1)
	v_mul_f64 v[104:105], v[91:92], v[5:6]
	s_waitcnt vmcnt(59) lgkmcnt(0)
	v_mul_f64 v[108:109], v[95:96], v[3:4]
	v_fma_f64 v[85:86], v[85:86], v[7:8], -v[97:98]
	v_mul_f64 v[97:98], v[89:90], v[5:6]
	v_fma_f64 v[9:10], v[87:88], v[7:8], v[9:10]
	s_waitcnt vmcnt(57)
	v_fma_f64 v[89:90], v[89:90], v[1:2], -v[104:105]
	ds_read_b128 v[5:8], v52 offset:1040
	v_mul_f64 v[87:88], v[93:94], v[3:4]
	s_waitcnt vmcnt(51)
	v_fma_f64 v[93:94], v[93:94], v[25:26], -v[108:109]
	v_add_f64 v[85:86], v[85:86], 0
	v_fma_f64 v[91:92], v[91:92], v[1:2], v[97:98]
	v_add_f64 v[9:10], v[9:10], 0
	s_clause 0x4
	buffer_load_dword v98, off, s[0:3], 0 offset:444
	buffer_load_dword v110, off, s[0:3], 0 offset:456
	;; [unrolled: 1-line block ×5, first 2 shown]
	s_waitcnt lgkmcnt(0)
	v_mul_f64 v[113:114], v[5:6], v[13:14]
	v_mul_f64 v[13:14], v[7:8], v[13:14]
	ds_read_b128 v[1:4], v52 offset:1056
	v_fma_f64 v[25:26], v[95:96], v[25:26], v[87:88]
	v_add_f64 v[89:90], v[85:86], v[89:90]
	v_add_f64 v[9:10], v[9:10], v[91:92]
	s_clause 0x2
	buffer_load_dword v111, off, s[0:3], 0 offset:460
	buffer_load_dword v92, off, s[0:3], 0 offset:436
	;; [unrolled: 1-line block ×3, first 2 shown]
	s_waitcnt vmcnt(58) lgkmcnt(0)
	v_mul_f64 v[95:96], v[1:2], v[17:18]
	v_mul_f64 v[17:18], v[3:4], v[17:18]
	s_waitcnt vmcnt(56)
	v_fma_f64 v[13:14], v[5:6], v[19:20], -v[13:14]
	ds_read_b128 v[85:88], v52 offset:1072
	v_fma_f64 v[19:20], v[7:8], v[19:20], v[113:114]
	v_add_f64 v[89:90], v[89:90], v[93:94]
	v_add_f64 v[9:10], v[9:10], v[25:26]
	s_clause 0x4
	buffer_load_dword v26, off, s[0:3], 0 offset:476
	buffer_load_dword v93, off, s[0:3], 0 offset:488
	;; [unrolled: 1-line block ×5, first 2 shown]
	ds_read_b128 v[5:8], v52 offset:1088
	s_waitcnt vmcnt(57) lgkmcnt(1)
	v_mul_f64 v[114:115], v[85:86], v[21:22]
	v_mul_f64 v[21:22], v[87:88], v[21:22]
	s_waitcnt vmcnt(56)
	v_fma_f64 v[17:18], v[1:2], v[11:12], -v[17:18]
	v_fma_f64 v[11:12], v[3:4], v[11:12], v[95:96]
	v_add_f64 v[13:14], v[89:90], v[13:14]
	v_add_f64 v[9:10], v[9:10], v[19:20]
	s_clause 0x2
	buffer_load_dword v94, off, s[0:3], 0 offset:492
	buffer_load_dword v20, off, s[0:3], 0 offset:468
	;; [unrolled: 1-line block ×3, first 2 shown]
	s_waitcnt vmcnt(58) lgkmcnt(0)
	v_mul_f64 v[89:90], v[5:6], v[27:28]
	v_mul_f64 v[27:28], v[7:8], v[27:28]
	s_waitcnt vmcnt(56)
	v_fma_f64 v[21:22], v[85:86], v[29:30], -v[21:22]
	ds_read_b128 v[1:4], v52 offset:1104
	v_add_f64 v[13:14], v[13:14], v[17:18]
	v_fma_f64 v[17:18], v[87:88], v[29:30], v[114:115]
	v_add_f64 v[29:30], v[9:10], v[11:12]
	s_clause 0x4
	buffer_load_dword v86, off, s[0:3], 0 offset:508
	buffer_load_dword v87, off, s[0:3], 0 offset:520
	;; [unrolled: 1-line block ×5, first 2 shown]
	ds_read_b128 v[9:12], v52 offset:1120
	s_waitcnt vmcnt(57) lgkmcnt(1)
	v_mul_f64 v[114:115], v[1:2], v[31:32]
	v_mul_f64 v[31:32], v[3:4], v[31:32]
	s_waitcnt vmcnt(56)
	v_fma_f64 v[27:28], v[5:6], v[15:16], -v[27:28]
	v_fma_f64 v[15:16], v[7:8], v[15:16], v[89:90]
	v_add_f64 v[13:14], v[13:14], v[21:22]
	s_clause 0x2
	buffer_load_dword v88, off, s[0:3], 0 offset:524
	buffer_load_dword v22, off, s[0:3], 0 offset:500
	;; [unrolled: 1-line block ×3, first 2 shown]
	v_add_f64 v[17:18], v[29:30], v[17:18]
	s_waitcnt vmcnt(58) lgkmcnt(0)
	v_mul_f64 v[29:30], v[9:10], v[35:36]
	v_mul_f64 v[35:36], v[11:12], v[35:36]
	ds_read_b128 v[5:8], v52 offset:1136
	s_waitcnt vmcnt(56)
	v_fma_f64 v[31:32], v[1:2], v[37:38], -v[31:32]
	v_add_f64 v[13:14], v[13:14], v[27:28]
	v_fma_f64 v[27:28], v[3:4], v[37:38], v[114:115]
	v_add_f64 v[15:16], v[17:18], v[15:16]
	s_clause 0x4
	buffer_load_dword v18, off, s[0:3], 0 offset:540
	buffer_load_dword v37, off, s[0:3], 0 offset:552
	;; [unrolled: 1-line block ×5, first 2 shown]
	s_waitcnt vmcnt(57) lgkmcnt(0)
	v_mul_f64 v[114:115], v[5:6], v[39:40]
	v_mul_f64 v[39:40], v[7:8], v[39:40]
	s_waitcnt vmcnt(56)
	v_fma_f64 v[35:36], v[9:10], v[23:24], -v[35:36]
	ds_read_b128 v[1:4], v52 offset:1152
	v_fma_f64 v[23:24], v[11:12], v[23:24], v[29:30]
	v_add_f64 v[13:14], v[13:14], v[31:32]
	v_add_f64 v[15:16], v[15:16], v[27:28]
	s_clause 0x2
	buffer_load_dword v38, off, s[0:3], 0 offset:556
	buffer_load_dword v28, off, s[0:3], 0 offset:532
	;; [unrolled: 1-line block ×3, first 2 shown]
	ds_read_b128 v[9:12], v52 offset:1168
	s_waitcnt vmcnt(58) lgkmcnt(1)
	v_mul_f64 v[31:32], v[3:4], v[48:49]
	s_waitcnt vmcnt(56)
	v_fma_f64 v[39:40], v[5:6], v[50:51], -v[39:40]
	v_mul_f64 v[29:30], v[1:2], v[48:49]
	v_add_f64 v[13:14], v[13:14], v[35:36]
	v_fma_f64 v[35:36], v[7:8], v[50:51], v[114:115]
	v_add_f64 v[15:16], v[15:16], v[23:24]
	s_clause 0x4
	buffer_load_dword v24, off, s[0:3], 0 offset:572
	buffer_load_dword v48, off, s[0:3], 0 offset:584
	buffer_load_dword v50, off, s[0:3], 0 offset:576
	buffer_load_dword v23, off, s[0:3], 0 offset:568
	buffer_load_dword v90, off, s[0:3], 0 offset:548
	s_waitcnt vmcnt(57) lgkmcnt(0)
	v_mul_f64 v[114:115], v[9:10], v[65:66]
	v_mul_f64 v[65:66], v[11:12], v[65:66]
	s_waitcnt vmcnt(56)
	v_fma_f64 v[31:32], v[1:2], v[33:34], -v[31:32]
	ds_read_b128 v[5:8], v52 offset:1184
	v_fma_f64 v[29:30], v[3:4], v[33:34], v[29:30]
	s_clause 0x2
	buffer_load_dword v49, off, s[0:3], 0 offset:588
	buffer_load_dword v34, off, s[0:3], 0 offset:564
	;; [unrolled: 1-line block ×3, first 2 shown]
	ds_read_b128 v[1:4], v52 offset:1200
	v_add_f64 v[13:14], v[13:14], v[39:40]
	v_add_f64 v[15:16], v[15:16], v[35:36]
	s_waitcnt vmcnt(58) lgkmcnt(1)
	v_mul_f64 v[39:40], v[7:8], v[75:76]
	s_waitcnt vmcnt(56)
	v_fma_f64 v[65:66], v[9:10], v[77:78], -v[65:66]
	v_mul_f64 v[35:36], v[5:6], v[75:76]
	v_add_f64 v[13:14], v[13:14], v[31:32]
	v_fma_f64 v[31:32], v[11:12], v[77:78], v[114:115]
	v_add_f64 v[15:16], v[15:16], v[29:30]
	s_clause 0x4
	buffer_load_dword v30, off, s[0:3], 0 offset:604
	buffer_load_dword v75, off, s[0:3], 0 offset:616
	;; [unrolled: 1-line block ×5, first 2 shown]
	s_waitcnt vmcnt(57) lgkmcnt(0)
	v_mul_f64 v[114:115], v[1:2], v[79:80]
	v_mul_f64 v[78:79], v[3:4], v[79:80]
	s_waitcnt vmcnt(56)
	v_fma_f64 v[39:40], v[5:6], v[41:42], -v[39:40]
	ds_read_b128 v[9:12], v52 offset:1216
	v_fma_f64 v[35:36], v[7:8], v[41:42], v[35:36]
	v_add_f64 v[13:14], v[13:14], v[65:66]
	v_add_f64 v[15:16], v[15:16], v[31:32]
	s_clause 0x2
	buffer_load_dword v76, off, s[0:3], 0 offset:620
	buffer_load_dword v32, off, s[0:3], 0 offset:596
	;; [unrolled: 1-line block ×3, first 2 shown]
	ds_read_b128 v[5:8], v52 offset:1232
	s_waitcnt vmcnt(58) lgkmcnt(1)
	v_mul_f64 v[65:66], v[11:12], v[81:82]
	s_waitcnt vmcnt(56)
	v_fma_f64 v[79:80], v[1:2], v[83:84], -v[78:79]
	v_mul_f64 v[41:42], v[9:10], v[81:82]
	v_add_f64 v[13:14], v[13:14], v[39:40]
	v_fma_f64 v[39:40], v[3:4], v[83:84], v[114:115]
	v_add_f64 v[15:16], v[15:16], v[35:36]
	s_clause 0x4
	buffer_load_dword v36, off, s[0:3], 0 offset:636
	buffer_load_dword v81, off, s[0:3], 0 offset:648
	;; [unrolled: 1-line block ×5, first 2 shown]
	s_waitcnt vmcnt(57) lgkmcnt(0)
	v_mul_f64 v[114:115], v[5:6], v[99:100]
	v_mul_f64 v[99:100], v[7:8], v[99:100]
	s_waitcnt vmcnt(56)
	v_fma_f64 v[65:66], v[9:10], v[67:68], -v[65:66]
	ds_read_b128 v[1:4], v52 offset:1248
	v_fma_f64 v[41:42], v[11:12], v[67:68], v[41:42]
	v_add_f64 v[13:14], v[13:14], v[79:80]
	v_add_f64 v[15:16], v[15:16], v[39:40]
	s_clause 0x2
	buffer_load_dword v82, off, s[0:3], 0 offset:652
	buffer_load_dword v40, off, s[0:3], 0 offset:628
	;; [unrolled: 1-line block ×3, first 2 shown]
	ds_read_b128 v[9:12], v52 offset:1264
	s_waitcnt vmcnt(58) lgkmcnt(1)
	v_mul_f64 v[79:80], v[3:4], v[101:102]
	s_waitcnt vmcnt(56)
	v_fma_f64 v[99:100], v[5:6], v[106:107], -v[99:100]
	v_mul_f64 v[67:68], v[1:2], v[101:102]
	v_add_f64 v[13:14], v[13:14], v[65:66]
	v_fma_f64 v[65:66], v[7:8], v[106:107], v[114:115]
	v_add_f64 v[15:16], v[15:16], v[41:42]
	s_clause 0x4
	buffer_load_dword v42, off, s[0:3], 0 offset:668
	buffer_load_dword v101, off, s[0:3], 0 offset:680
	;; [unrolled: 1-line block ×5, first 2 shown]
	ds_read_b128 v[5:8], v52 offset:1280
	s_waitcnt vmcnt(57) lgkmcnt(1)
	v_mul_f64 v[106:107], v[9:10], v[97:98]
	v_mul_f64 v[97:98], v[11:12], v[97:98]
	s_waitcnt vmcnt(56)
	v_fma_f64 v[79:80], v[1:2], v[103:104], -v[79:80]
	v_fma_f64 v[67:68], v[3:4], v[103:104], v[67:68]
	v_add_f64 v[13:14], v[13:14], v[99:100]
	v_add_f64 v[15:16], v[15:16], v[65:66]
	s_clause 0x2
	buffer_load_dword v102, off, s[0:3], 0 offset:684
	buffer_load_dword v66, off, s[0:3], 0 offset:660
	;; [unrolled: 1-line block ×3, first 2 shown]
	ds_read_b128 v[1:4], v52 offset:1296
	s_waitcnt vmcnt(58) lgkmcnt(1)
	v_mul_f64 v[103:104], v[7:8], v[110:111]
	v_mul_f64 v[99:100], v[5:6], v[110:111]
	s_waitcnt vmcnt(56)
	v_fma_f64 v[97:98], v[9:10], v[91:92], -v[97:98]
	v_add_f64 v[13:14], v[13:14], v[79:80]
	v_fma_f64 v[79:80], v[11:12], v[91:92], v[106:107]
	v_add_f64 v[15:16], v[15:16], v[67:68]
	s_clause 0x4
	buffer_load_dword v68, off, s[0:3], 0 offset:700
	buffer_load_dword v91, off, s[0:3], 0 offset:712
	buffer_load_dword v110, off, s[0:3], 0 offset:704
	buffer_load_dword v67, off, s[0:3], 0 offset:696
	buffer_load_dword v106, off, s[0:3], 0 offset:676
	ds_read_b128 v[9:12], v52 offset:1312
	s_waitcnt vmcnt(57) lgkmcnt(1)
	v_mul_f64 v[114:115], v[1:2], v[25:26]
	v_mul_f64 v[25:26], v[3:4], v[25:26]
	s_waitcnt vmcnt(56)
	v_fma_f64 v[103:104], v[5:6], v[112:113], -v[103:104]
	v_add_f64 v[13:14], v[13:14], v[97:98]
	v_fma_f64 v[97:98], v[7:8], v[112:113], v[99:100]
	v_add_f64 v[15:16], v[15:16], v[79:80]
	s_clause 0x2
	buffer_load_dword v92, off, s[0:3], 0 offset:716
	buffer_load_dword v80, off, s[0:3], 0 offset:692
	buffer_load_dword v79, off, s[0:3], 0 offset:688
	ds_read_b128 v[5:8], v52 offset:1328
	s_waitcnt vmcnt(58) lgkmcnt(1)
	v_mul_f64 v[99:100], v[9:10], v[93:94]
	v_mul_f64 v[93:94], v[11:12], v[93:94]
	s_waitcnt vmcnt(56)
	v_fma_f64 v[25:26], v[1:2], v[19:20], -v[25:26]
	v_fma_f64 v[19:20], v[3:4], v[19:20], v[114:115]
	v_add_f64 v[13:14], v[13:14], v[103:104]
	v_add_f64 v[15:16], v[15:16], v[97:98]
	s_clause 0x4
	buffer_load_dword v98, off, s[0:3], 0 offset:732
	buffer_load_dword v103, off, s[0:3], 0 offset:744
	buffer_load_dword v107, off, s[0:3], 0 offset:736
	buffer_load_dword v97, off, s[0:3], 0 offset:728
	buffer_load_dword v111, off, s[0:3], 0 offset:708
	ds_read_b128 v[1:4], v52 offset:1344
	s_waitcnt vmcnt(57) lgkmcnt(1)
	v_mul_f64 v[112:113], v[5:6], v[85:86]
	v_mul_f64 v[85:86], v[7:8], v[85:86]
	s_waitcnt vmcnt(56)
	v_fma_f64 v[93:94], v[9:10], v[108:109], -v[93:94]
	v_add_f64 v[13:14], v[13:14], v[25:26]
	v_fma_f64 v[25:26], v[11:12], v[108:109], v[99:100]
	v_add_f64 v[15:16], v[15:16], v[19:20]
	s_clause 0x2
	buffer_load_dword v104, off, s[0:3], 0 offset:748
	buffer_load_dword v20, off, s[0:3], 0 offset:724
	buffer_load_dword v19, off, s[0:3], 0 offset:720
	ds_read_b128 v[9:12], v52 offset:1360
	s_waitcnt vmcnt(58) lgkmcnt(1)
	v_mul_f64 v[99:100], v[1:2], v[87:88]
	v_mul_f64 v[87:88], v[3:4], v[87:88]
	s_waitcnt vmcnt(56)
	v_fma_f64 v[85:86], v[5:6], v[21:22], -v[85:86]
	v_fma_f64 v[21:22], v[7:8], v[21:22], v[112:113]
	v_add_f64 v[13:14], v[13:14], v[93:94]
	;; [unrolled: 28-line block ×3, first 2 shown]
	v_add_f64 v[15:16], v[15:16], v[85:86]
	s_clause 0x4
	buffer_load_dword v86, off, s[0:3], 0 offset:796
	buffer_load_dword v87, off, s[0:3], 0 offset:808
	;; [unrolled: 1-line block ×5, first 2 shown]
	ds_read_b128 v[9:12], v52 offset:1408
	s_waitcnt vmcnt(57) lgkmcnt(1)
	v_mul_f64 v[114:115], v[1:2], v[23:24]
	v_mul_f64 v[23:24], v[3:4], v[23:24]
	s_waitcnt vmcnt(56)
	v_fma_f64 v[37:38], v[5:6], v[89:90], -v[37:38]
	v_add_f64 v[13:14], v[13:14], v[17:18]
	v_fma_f64 v[17:18], v[7:8], v[89:90], v[95:96]
	v_add_f64 v[15:16], v[15:16], v[27:28]
	s_clause 0x2
	buffer_load_dword v88, off, s[0:3], 0 offset:812
	buffer_load_dword v28, off, s[0:3], 0 offset:788
	;; [unrolled: 1-line block ×3, first 2 shown]
	s_waitcnt vmcnt(58) lgkmcnt(0)
	v_mul_f64 v[89:90], v[9:10], v[48:49]
	v_mul_f64 v[48:49], v[11:12], v[48:49]
	ds_read_b128 v[5:8], v52 offset:1424
	s_waitcnt vmcnt(56)
	v_fma_f64 v[23:24], v[1:2], v[33:34], -v[23:24]
	v_fma_f64 v[33:34], v[3:4], v[33:34], v[114:115]
	v_add_f64 v[13:14], v[13:14], v[37:38]
	v_add_f64 v[15:16], v[15:16], v[17:18]
	s_clause 0x4
	buffer_load_dword v18, off, s[0:3], 0 offset:828
	buffer_load_dword v37, off, s[0:3], 0 offset:840
	;; [unrolled: 1-line block ×5, first 2 shown]
	ds_read_b128 v[1:4], v52 offset:1440
	s_waitcnt vmcnt(57) lgkmcnt(1)
	v_mul_f64 v[114:115], v[5:6], v[29:30]
	v_mul_f64 v[29:30], v[7:8], v[29:30]
	s_waitcnt vmcnt(56)
	v_fma_f64 v[48:49], v[9:10], v[50:51], -v[48:49]
	v_add_f64 v[13:14], v[13:14], v[23:24]
	v_fma_f64 v[23:24], v[11:12], v[50:51], v[89:90]
	v_add_f64 v[15:16], v[15:16], v[33:34]
	s_clause 0x2
	buffer_load_dword v38, off, s[0:3], 0 offset:844
	buffer_load_dword v34, off, s[0:3], 0 offset:820
	;; [unrolled: 1-line block ×3, first 2 shown]
	ds_read_b128 v[9:12], v52 offset:1456
	s_waitcnt vmcnt(58) lgkmcnt(1)
	v_mul_f64 v[50:51], v[1:2], v[75:76]
	v_mul_f64 v[75:76], v[3:4], v[75:76]
	s_waitcnt vmcnt(56)
	v_fma_f64 v[29:30], v[5:6], v[31:32], -v[29:30]
	v_fma_f64 v[31:32], v[7:8], v[31:32], v[114:115]
	v_add_f64 v[13:14], v[13:14], v[48:49]
	v_add_f64 v[15:16], v[15:16], v[23:24]
	s_clause 0x2
	buffer_load_dword v24, off, s[0:3], 0 offset:860
	buffer_load_dword v23, off, s[0:3], 0 offset:856
	;; [unrolled: 1-line block ×3, first 2 shown]
	ds_read_b128 v[5:8], v52 offset:1472
	s_waitcnt vmcnt(55) lgkmcnt(1)
	v_mul_f64 v[48:49], v[9:10], v[35:36]
	v_mul_f64 v[35:36], v[11:12], v[35:36]
	s_waitcnt vmcnt(54)
	v_fma_f64 v[75:76], v[1:2], v[77:78], -v[75:76]
	v_add_f64 v[13:14], v[13:14], v[29:30]
	v_fma_f64 v[29:30], v[3:4], v[77:78], v[50:51]
	v_add_f64 v[15:16], v[15:16], v[31:32]
	s_clause 0x1
	buffer_load_dword v32, off, s[0:3], 0 offset:852
	buffer_load_dword v31, off, s[0:3], 0 offset:848
	ds_read_b128 v[1:4], v52 offset:1488
	s_waitcnt vmcnt(55) lgkmcnt(1)
	v_mul_f64 v[77:78], v[7:8], v[81:82]
	v_mul_f64 v[50:51], v[5:6], v[81:82]
	s_waitcnt vmcnt(53)
	v_fma_f64 v[35:36], v[9:10], v[39:40], -v[35:36]
	v_fma_f64 v[39:40], v[11:12], v[39:40], v[48:49]
	ds_read_b128 v[9:12], v52 offset:1504
	v_add_f64 v[13:14], v[13:14], v[75:76]
	v_add_f64 v[15:16], v[15:16], v[29:30]
	s_waitcnt vmcnt(49) lgkmcnt(1)
	v_mul_f64 v[29:30], v[1:2], v[41:42]
	v_mul_f64 v[41:42], v[3:4], v[41:42]
	s_waitcnt vmcnt(48)
	v_fma_f64 v[48:49], v[5:6], v[83:84], -v[77:78]
	v_add_f64 v[13:14], v[13:14], v[35:36]
	v_fma_f64 v[35:36], v[7:8], v[83:84], v[50:51]
	v_add_f64 v[15:16], v[15:16], v[39:40]
	s_clause 0x3
	buffer_load_dword v39, off, s[0:3], 0 offset:144
	buffer_load_dword v40, off, s[0:3], 0 offset:148
	buffer_load_dword v50, off, s[0:3], 0 offset:152
	buffer_load_dword v51, off, s[0:3], 0 offset:156
	ds_read_b128 v[5:8], v52 offset:1520
	s_waitcnt vmcnt(51) lgkmcnt(1)
	v_mul_f64 v[77:78], v[11:12], v[101:102]
	v_mul_f64 v[75:76], v[9:10], v[101:102]
	s_waitcnt vmcnt(49)
	v_fma_f64 v[41:42], v[1:2], v[65:66], -v[41:42]
	v_fma_f64 v[29:30], v[3:4], v[65:66], v[29:30]
	ds_read_b128 v[1:4], v52 offset:1536
	v_add_f64 v[13:14], v[13:14], v[48:49]
	v_add_f64 v[15:16], v[15:16], v[35:36]
	s_waitcnt vmcnt(45) lgkmcnt(1)
	v_mul_f64 v[48:49], v[7:8], v[67:68]
	s_waitcnt vmcnt(44)
	v_fma_f64 v[65:66], v[9:10], v[105:106], -v[77:78]
	v_mul_f64 v[35:36], v[5:6], v[67:68]
	v_add_f64 v[13:14], v[13:14], v[41:42]
	v_fma_f64 v[41:42], v[11:12], v[105:106], v[75:76]
	v_add_f64 v[15:16], v[15:16], v[29:30]
	ds_read_b128 v[9:12], v52 offset:1552
	s_waitcnt vmcnt(43) lgkmcnt(1)
	v_mul_f64 v[67:68], v[3:4], v[91:92]
	v_mul_f64 v[29:30], v[1:2], v[91:92]
	s_waitcnt vmcnt(41)
	v_fma_f64 v[48:49], v[5:6], v[79:80], -v[48:49]
	v_fma_f64 v[35:36], v[7:8], v[79:80], v[35:36]
	ds_read_b128 v[5:8], v52 offset:1568
	v_add_f64 v[13:14], v[13:14], v[65:66]
	v_add_f64 v[15:16], v[15:16], v[41:42]
	s_waitcnt vmcnt(37) lgkmcnt(1)
	v_mul_f64 v[65:66], v[11:12], v[97:98]
	s_waitcnt vmcnt(36)
	v_fma_f64 v[67:68], v[1:2], v[110:111], -v[67:68]
	v_mul_f64 v[41:42], v[9:10], v[97:98]
	v_fma_f64 v[29:30], v[3:4], v[110:111], v[29:30]
	ds_read_b128 v[1:4], v52 offset:1584
	v_add_f64 v[13:14], v[13:14], v[48:49]
	v_add_f64 v[15:16], v[15:16], v[35:36]
	s_waitcnt vmcnt(35) lgkmcnt(1)
	v_mul_f64 v[48:49], v[7:8], v[103:104]
	v_mul_f64 v[35:36], v[5:6], v[103:104]
	s_waitcnt vmcnt(33)
	v_fma_f64 v[65:66], v[9:10], v[19:20], -v[65:66]
	v_fma_f64 v[19:20], v[11:12], v[19:20], v[41:42]
	ds_read_b128 v[9:12], v52 offset:1600
	v_add_f64 v[13:14], v[13:14], v[67:68]
	v_add_f64 v[15:16], v[15:16], v[29:30]
	s_waitcnt vmcnt(29) lgkmcnt(1)
	v_mul_f64 v[29:30], v[1:2], v[25:26]
	v_mul_f64 v[25:26], v[3:4], v[25:26]
	s_waitcnt vmcnt(28)
	v_fma_f64 v[41:42], v[5:6], v[107:108], -v[48:49]
	;; [unrolled: 9-line block ×3, first 2 shown]
	v_fma_f64 v[21:22], v[3:4], v[21:22], v[29:30]
	ds_read_b128 v[1:4], v52 offset:1632
	v_add_f64 v[13:14], v[13:14], v[41:42]
	v_add_f64 v[15:16], v[15:16], v[35:36]
	s_waitcnt vmcnt(21) lgkmcnt(1)
	v_mul_f64 v[35:36], v[7:8], v[85:86]
	s_waitcnt vmcnt(20)
	v_fma_f64 v[41:42], v[9:10], v[112:113], -v[48:49]
	v_mul_f64 v[29:30], v[5:6], v[85:86]
	v_fma_f64 v[19:20], v[11:12], v[112:113], v[19:20]
	ds_read_b128 v[9:12], v52 offset:1648
	v_add_f64 v[13:14], v[13:14], v[25:26]
	v_add_f64 v[15:16], v[15:16], v[21:22]
	s_waitcnt vmcnt(19) lgkmcnt(1)
	v_mul_f64 v[25:26], v[3:4], v[87:88]
	v_mul_f64 v[21:22], v[1:2], v[87:88]
	s_waitcnt vmcnt(17)
	v_fma_f64 v[35:36], v[5:6], v[27:28], -v[35:36]
	v_fma_f64 v[27:28], v[7:8], v[27:28], v[29:30]
	ds_read_b128 v[5:8], v52 offset:1664
	v_add_f64 v[13:14], v[13:14], v[41:42]
	v_add_f64 v[15:16], v[15:16], v[19:20]
	s_waitcnt vmcnt(13) lgkmcnt(1)
	v_mul_f64 v[19:20], v[9:10], v[17:18]
	v_mul_f64 v[17:18], v[11:12], v[17:18]
	s_waitcnt vmcnt(12)
	v_fma_f64 v[25:26], v[1:2], v[99:100], -v[25:26]
	;; [unrolled: 9-line block ×3, first 2 shown]
	v_fma_f64 v[11:12], v[11:12], v[33:34], v[19:20]
	v_add_f64 v[13:14], v[13:14], v[25:26]
	v_add_f64 v[15:16], v[15:16], v[21:22]
	s_waitcnt vmcnt(7) lgkmcnt(0)
	v_mul_f64 v[19:20], v[3:4], v[23:24]
	s_waitcnt vmcnt(6)
	v_fma_f64 v[5:6], v[5:6], v[95:96], -v[29:30]
	v_mul_f64 v[17:18], v[1:2], v[23:24]
	v_fma_f64 v[7:8], v[7:8], v[95:96], v[27:28]
	v_add_f64 v[9:10], v[13:14], v[9:10]
	v_add_f64 v[11:12], v[15:16], v[11:12]
	s_waitcnt vmcnt(4)
	v_fma_f64 v[1:2], v[1:2], v[31:32], -v[19:20]
	v_fma_f64 v[3:4], v[3:4], v[31:32], v[17:18]
	v_add_f64 v[5:6], v[9:10], v[5:6]
	v_add_f64 v[7:8], v[11:12], v[7:8]
	;; [unrolled: 1-line block ×4, first 2 shown]
	s_waitcnt vmcnt(2)
	v_add_f64 v[1:2], v[39:40], -v[1:2]
	s_waitcnt vmcnt(0)
	v_add_f64 v[3:4], v[50:51], -v[3:4]
	buffer_store_dword v2, off, s[0:3], 0 offset:148
	buffer_store_dword v1, off, s[0:3], 0 offset:144
	buffer_store_dword v4, off, s[0:3], 0 offset:156
	buffer_store_dword v3, off, s[0:3], 0 offset:152
	v_cmpx_lt_u32_e32 7, v0
	s_cbranch_execz .LBB52_317
; %bb.316:
	v_mov_b32_e32 v4, s58
	v_mov_b32_e32 v5, 0
	s_clause 0x3
	buffer_load_dword v1, v4, s[0:3], 0 offen
	buffer_load_dword v2, v4, s[0:3], 0 offen offset:4
	buffer_load_dword v3, v4, s[0:3], 0 offen offset:8
	;; [unrolled: 1-line block ×3, first 2 shown]
	buffer_store_dword v5, off, s[0:3], 0 offset:128
	buffer_store_dword v5, off, s[0:3], 0 offset:132
	;; [unrolled: 1-line block ×4, first 2 shown]
	s_waitcnt vmcnt(0)
	ds_write_b128 v43, v[1:4]
.LBB52_317:
	s_or_b32 exec_lo, exec_lo, s4
	s_waitcnt lgkmcnt(0)
	s_waitcnt_vscnt null, 0x0
	s_barrier
	buffer_gl0_inv
	s_clause 0x37
	buffer_load_dword v13, off, s[0:3], 0 offset:152
	buffer_load_dword v14, off, s[0:3], 0 offset:156
	;; [unrolled: 1-line block ×56, first 2 shown]
	v_mov_b32_e32 v52, 0
	s_mov_b32 s4, exec_lo
	ds_read_b128 v[89:92], v52 offset:976
	s_clause 0x2
	buffer_load_dword v86, off, s[0:3], 0 offset:380
	buffer_load_dword v88, off, s[0:3], 0 offset:356
	;; [unrolled: 1-line block ×3, first 2 shown]
	ds_read_b128 v[1:4], v52 offset:992
	s_clause 0x4
	buffer_load_dword v100, off, s[0:3], 0 offset:396
	buffer_load_dword v101, off, s[0:3], 0 offset:408
	;; [unrolled: 1-line block ×5, first 2 shown]
	ds_read_b128 v[93:96], v52 offset:1008
	s_waitcnt vmcnt(62) lgkmcnt(2)
	v_mul_f64 v[97:98], v[91:92], v[13:14]
	v_mul_f64 v[13:14], v[89:90], v[13:14]
	s_waitcnt vmcnt(60) lgkmcnt(1)
	v_mul_f64 v[104:105], v[3:4], v[9:10]
	s_waitcnt vmcnt(56) lgkmcnt(0)
	v_mul_f64 v[106:107], v[93:94], v[7:8]
	v_mul_f64 v[7:8], v[95:96], v[7:8]
	v_fma_f64 v[89:90], v[89:90], v[11:12], -v[97:98]
	v_mul_f64 v[97:98], v[1:2], v[9:10]
	v_fma_f64 v[13:14], v[91:92], v[11:12], v[13:14]
	s_clause 0x2
	buffer_load_dword v102, off, s[0:3], 0 offset:412
	buffer_load_dword v92, off, s[0:3], 0 offset:388
	;; [unrolled: 1-line block ×3, first 2 shown]
	s_waitcnt vmcnt(57)
	v_fma_f64 v[108:109], v[1:2], v[5:6], -v[104:105]
	ds_read_b128 v[9:12], v52 offset:1024
	s_waitcnt vmcnt(51)
	v_fma_f64 v[93:94], v[93:94], v[29:30], -v[7:8]
	v_fma_f64 v[29:30], v[95:96], v[29:30], v[106:107]
	v_add_f64 v[89:90], v[89:90], 0
	v_fma_f64 v[5:6], v[3:4], v[5:6], v[97:98]
	v_add_f64 v[13:14], v[13:14], 0
	s_clause 0x4
	buffer_load_dword v98, off, s[0:3], 0 offset:428
	buffer_load_dword v105, off, s[0:3], 0 offset:440
	;; [unrolled: 1-line block ×5, first 2 shown]
	s_waitcnt lgkmcnt(0)
	v_mul_f64 v[111:112], v[9:10], v[17:18]
	v_mul_f64 v[17:18], v[11:12], v[17:18]
	ds_read_b128 v[1:4], v52 offset:1040
	s_clause 0x2
	buffer_load_dword v106, off, s[0:3], 0 offset:444
	buffer_load_dword v96, off, s[0:3], 0 offset:420
	;; [unrolled: 1-line block ×3, first 2 shown]
	v_add_f64 v[89:90], v[89:90], v[108:109]
	v_add_f64 v[13:14], v[13:14], v[5:6]
	ds_read_b128 v[5:8], v52 offset:1056
	s_waitcnt vmcnt(58) lgkmcnt(1)
	v_mul_f64 v[107:108], v[1:2], v[21:22]
	v_mul_f64 v[21:22], v[3:4], v[21:22]
	s_waitcnt vmcnt(56)
	v_fma_f64 v[17:18], v[9:10], v[23:24], -v[17:18]
	v_fma_f64 v[23:24], v[11:12], v[23:24], v[111:112]
	v_add_f64 v[89:90], v[89:90], v[93:94]
	s_waitcnt vmcnt(52) lgkmcnt(0)
	v_mul_f64 v[113:114], v[5:6], v[25:26]
	v_add_f64 v[13:14], v[13:14], v[29:30]
	s_clause 0x4
	buffer_load_dword v30, off, s[0:3], 0 offset:460
	buffer_load_dword v93, off, s[0:3], 0 offset:472
	;; [unrolled: 1-line block ×5, first 2 shown]
	v_mul_f64 v[25:26], v[7:8], v[25:26]
	s_waitcnt vmcnt(56)
	v_fma_f64 v[21:22], v[1:2], v[15:16], -v[21:22]
	ds_read_b128 v[9:12], v52 offset:1072
	v_fma_f64 v[15:16], v[3:4], v[15:16], v[107:108]
	v_add_f64 v[17:18], v[89:90], v[17:18]
	v_add_f64 v[13:14], v[13:14], v[23:24]
	s_clause 0x2
	buffer_load_dword v94, off, s[0:3], 0 offset:476
	buffer_load_dword v24, off, s[0:3], 0 offset:452
	;; [unrolled: 1-line block ×3, first 2 shown]
	s_waitcnt vmcnt(58) lgkmcnt(0)
	v_mul_f64 v[89:90], v[9:10], v[31:32]
	v_mul_f64 v[31:32], v[11:12], v[31:32]
	s_waitcnt vmcnt(56)
	v_fma_f64 v[25:26], v[5:6], v[33:34], -v[25:26]
	ds_read_b128 v[1:4], v52 offset:1088
	v_add_f64 v[17:18], v[17:18], v[21:22]
	v_fma_f64 v[21:22], v[7:8], v[33:34], v[113:114]
	v_add_f64 v[13:14], v[13:14], v[15:16]
	s_clause 0x4
	buffer_load_dword v16, off, s[0:3], 0 offset:492
	buffer_load_dword v33, off, s[0:3], 0 offset:504
	buffer_load_dword v107, off, s[0:3], 0 offset:496
	buffer_load_dword v15, off, s[0:3], 0 offset:488
	buffer_load_dword v113, off, s[0:3], 0 offset:468
	ds_read_b128 v[5:8], v52 offset:1104
	s_waitcnt vmcnt(57) lgkmcnt(1)
	v_mul_f64 v[108:109], v[1:2], v[35:36]
	v_mul_f64 v[35:36], v[3:4], v[35:36]
	s_waitcnt vmcnt(56)
	v_fma_f64 v[31:32], v[9:10], v[19:20], -v[31:32]
	v_fma_f64 v[19:20], v[11:12], v[19:20], v[89:90]
	v_add_f64 v[17:18], v[17:18], v[25:26]
	v_add_f64 v[13:14], v[13:14], v[21:22]
	s_clause 0x2
	buffer_load_dword v34, off, s[0:3], 0 offset:508
	buffer_load_dword v22, off, s[0:3], 0 offset:484
	buffer_load_dword v21, off, s[0:3], 0 offset:480
	s_waitcnt vmcnt(58) lgkmcnt(0)
	v_mul_f64 v[25:26], v[5:6], v[39:40]
	v_mul_f64 v[39:40], v[7:8], v[39:40]
	s_waitcnt vmcnt(56)
	v_fma_f64 v[35:36], v[1:2], v[41:42], -v[35:36]
	ds_read_b128 v[9:12], v52 offset:1120
	v_add_f64 v[17:18], v[17:18], v[31:32]
	v_fma_f64 v[31:32], v[3:4], v[41:42], v[108:109]
	v_add_f64 v[13:14], v[13:14], v[19:20]
	s_clause 0x4
	buffer_load_dword v20, off, s[0:3], 0 offset:524
	buffer_load_dword v41, off, s[0:3], 0 offset:536
	;; [unrolled: 1-line block ×5, first 2 shown]
	ds_read_b128 v[1:4], v52 offset:1136
	s_waitcnt vmcnt(57) lgkmcnt(1)
	v_mul_f64 v[114:115], v[9:10], v[48:49]
	v_mul_f64 v[48:49], v[11:12], v[48:49]
	s_waitcnt vmcnt(56)
	v_fma_f64 v[39:40], v[5:6], v[27:28], -v[39:40]
	v_fma_f64 v[25:26], v[7:8], v[27:28], v[25:26]
	s_clause 0x2
	buffer_load_dword v42, off, s[0:3], 0 offset:540
	buffer_load_dword v28, off, s[0:3], 0 offset:516
	;; [unrolled: 1-line block ×3, first 2 shown]
	ds_read_b128 v[5:8], v52 offset:1152
	v_add_f64 v[17:18], v[17:18], v[35:36]
	v_add_f64 v[13:14], v[13:14], v[31:32]
	s_waitcnt vmcnt(58) lgkmcnt(1)
	v_mul_f64 v[35:36], v[3:4], v[65:66]
	v_mul_f64 v[31:32], v[1:2], v[65:66]
	s_waitcnt vmcnt(56)
	v_fma_f64 v[48:49], v[9:10], v[67:68], -v[48:49]
	v_add_f64 v[17:18], v[17:18], v[39:40]
	v_fma_f64 v[39:40], v[11:12], v[67:68], v[114:115]
	v_add_f64 v[13:14], v[13:14], v[25:26]
	s_clause 0x4
	buffer_load_dword v26, off, s[0:3], 0 offset:556
	buffer_load_dword v65, off, s[0:3], 0 offset:568
	buffer_load_dword v67, off, s[0:3], 0 offset:560
	buffer_load_dword v25, off, s[0:3], 0 offset:552
	buffer_load_dword v90, off, s[0:3], 0 offset:532
	s_waitcnt vmcnt(57) lgkmcnt(0)
	v_mul_f64 v[114:115], v[5:6], v[75:76]
	v_mul_f64 v[75:76], v[7:8], v[75:76]
	s_waitcnt vmcnt(56)
	v_fma_f64 v[35:36], v[1:2], v[37:38], -v[35:36]
	ds_read_b128 v[9:12], v52 offset:1168
	v_fma_f64 v[31:32], v[3:4], v[37:38], v[31:32]
	s_clause 0x2
	buffer_load_dword v66, off, s[0:3], 0 offset:572
	buffer_load_dword v38, off, s[0:3], 0 offset:548
	;; [unrolled: 1-line block ×3, first 2 shown]
	ds_read_b128 v[1:4], v52 offset:1184
	v_add_f64 v[17:18], v[17:18], v[48:49]
	v_add_f64 v[13:14], v[13:14], v[39:40]
	s_waitcnt vmcnt(58) lgkmcnt(1)
	v_mul_f64 v[48:49], v[11:12], v[79:80]
	s_waitcnt vmcnt(56)
	v_fma_f64 v[75:76], v[5:6], v[81:82], -v[75:76]
	v_mul_f64 v[39:40], v[9:10], v[79:80]
	v_add_f64 v[17:18], v[17:18], v[35:36]
	v_fma_f64 v[35:36], v[7:8], v[81:82], v[114:115]
	v_add_f64 v[13:14], v[13:14], v[31:32]
	s_clause 0x4
	buffer_load_dword v32, off, s[0:3], 0 offset:588
	buffer_load_dword v79, off, s[0:3], 0 offset:600
	;; [unrolled: 1-line block ×5, first 2 shown]
	s_waitcnt vmcnt(57) lgkmcnt(0)
	v_mul_f64 v[114:115], v[1:2], v[83:84]
	v_mul_f64 v[82:83], v[3:4], v[83:84]
	s_waitcnt vmcnt(56)
	v_fma_f64 v[48:49], v[9:10], v[50:51], -v[48:49]
	ds_read_b128 v[5:8], v52 offset:1200
	v_fma_f64 v[39:40], v[11:12], v[50:51], v[39:40]
	v_add_f64 v[17:18], v[17:18], v[75:76]
	v_add_f64 v[13:14], v[13:14], v[35:36]
	s_clause 0x2
	buffer_load_dword v80, off, s[0:3], 0 offset:604
	buffer_load_dword v36, off, s[0:3], 0 offset:580
	;; [unrolled: 1-line block ×3, first 2 shown]
	ds_read_b128 v[9:12], v52 offset:1216
	s_waitcnt vmcnt(58) lgkmcnt(1)
	v_mul_f64 v[75:76], v[7:8], v[85:86]
	s_waitcnt vmcnt(56)
	v_fma_f64 v[83:84], v[1:2], v[87:88], -v[82:83]
	v_mul_f64 v[50:51], v[5:6], v[85:86]
	v_add_f64 v[17:18], v[17:18], v[48:49]
	v_fma_f64 v[48:49], v[3:4], v[87:88], v[114:115]
	v_add_f64 v[13:14], v[13:14], v[39:40]
	s_clause 0x4
	buffer_load_dword v40, off, s[0:3], 0 offset:620
	buffer_load_dword v85, off, s[0:3], 0 offset:632
	;; [unrolled: 1-line block ×5, first 2 shown]
	s_waitcnt vmcnt(57) lgkmcnt(0)
	v_mul_f64 v[114:115], v[9:10], v[99:100]
	v_mul_f64 v[99:100], v[11:12], v[99:100]
	s_waitcnt vmcnt(56)
	v_fma_f64 v[75:76], v[5:6], v[77:78], -v[75:76]
	ds_read_b128 v[1:4], v52 offset:1232
	v_fma_f64 v[50:51], v[7:8], v[77:78], v[50:51]
	v_add_f64 v[17:18], v[17:18], v[83:84]
	v_add_f64 v[13:14], v[13:14], v[48:49]
	s_clause 0x2
	buffer_load_dword v86, off, s[0:3], 0 offset:636
	buffer_load_dword v49, off, s[0:3], 0 offset:612
	;; [unrolled: 1-line block ×3, first 2 shown]
	ds_read_b128 v[5:8], v52 offset:1248
	s_waitcnt vmcnt(58) lgkmcnt(1)
	v_mul_f64 v[83:84], v[3:4], v[101:102]
	v_mul_f64 v[77:78], v[1:2], v[101:102]
	s_waitcnt vmcnt(56)
	v_fma_f64 v[99:100], v[9:10], v[91:92], -v[99:100]
	v_add_f64 v[17:18], v[17:18], v[75:76]
	v_fma_f64 v[75:76], v[11:12], v[91:92], v[114:115]
	v_add_f64 v[13:14], v[13:14], v[50:51]
	s_clause 0x4
	buffer_load_dword v51, off, s[0:3], 0 offset:652
	buffer_load_dword v91, off, s[0:3], 0 offset:664
	;; [unrolled: 1-line block ×5, first 2 shown]
	ds_read_b128 v[9:12], v52 offset:1264
	s_waitcnt vmcnt(57) lgkmcnt(1)
	v_mul_f64 v[114:115], v[5:6], v[97:98]
	v_mul_f64 v[97:98], v[7:8], v[97:98]
	s_waitcnt vmcnt(56)
	v_fma_f64 v[83:84], v[1:2], v[103:104], -v[83:84]
	v_fma_f64 v[77:78], v[3:4], v[103:104], v[77:78]
	v_add_f64 v[17:18], v[17:18], v[99:100]
	v_add_f64 v[13:14], v[13:14], v[75:76]
	s_clause 0x2
	buffer_load_dword v92, off, s[0:3], 0 offset:668
	buffer_load_dword v76, off, s[0:3], 0 offset:644
	;; [unrolled: 1-line block ×3, first 2 shown]
	s_waitcnt vmcnt(58) lgkmcnt(0)
	v_mul_f64 v[103:104], v[11:12], v[105:106]
	ds_read_b128 v[1:4], v52 offset:1280
	v_mul_f64 v[99:100], v[9:10], v[105:106]
	s_waitcnt vmcnt(56)
	v_fma_f64 v[97:98], v[5:6], v[95:96], -v[97:98]
	v_add_f64 v[17:18], v[17:18], v[83:84]
	v_fma_f64 v[83:84], v[7:8], v[95:96], v[114:115]
	v_add_f64 v[13:14], v[13:14], v[77:78]
	s_clause 0x4
	buffer_load_dword v78, off, s[0:3], 0 offset:684
	buffer_load_dword v95, off, s[0:3], 0 offset:696
	;; [unrolled: 1-line block ×5, first 2 shown]
	ds_read_b128 v[5:8], v52 offset:1296
	s_waitcnt vmcnt(57) lgkmcnt(1)
	v_mul_f64 v[114:115], v[1:2], v[29:30]
	v_mul_f64 v[29:30], v[3:4], v[29:30]
	s_waitcnt vmcnt(56)
	v_fma_f64 v[103:104], v[9:10], v[110:111], -v[103:104]
	v_add_f64 v[17:18], v[17:18], v[97:98]
	v_fma_f64 v[97:98], v[11:12], v[110:111], v[99:100]
	v_add_f64 v[13:14], v[13:14], v[83:84]
	s_clause 0x2
	buffer_load_dword v96, off, s[0:3], 0 offset:700
	buffer_load_dword v84, off, s[0:3], 0 offset:676
	;; [unrolled: 1-line block ×3, first 2 shown]
	ds_read_b128 v[9:12], v52 offset:1312
	s_waitcnt vmcnt(58) lgkmcnt(1)
	v_mul_f64 v[99:100], v[5:6], v[93:94]
	v_mul_f64 v[93:94], v[7:8], v[93:94]
	s_waitcnt vmcnt(56)
	v_fma_f64 v[29:30], v[1:2], v[23:24], -v[29:30]
	v_fma_f64 v[23:24], v[3:4], v[23:24], v[114:115]
	v_add_f64 v[17:18], v[17:18], v[103:104]
	v_add_f64 v[13:14], v[13:14], v[97:98]
	s_clause 0x4
	buffer_load_dword v98, off, s[0:3], 0 offset:716
	buffer_load_dword v103, off, s[0:3], 0 offset:728
	;; [unrolled: 1-line block ×5, first 2 shown]
	ds_read_b128 v[1:4], v52 offset:1328
	s_waitcnt vmcnt(57) lgkmcnt(1)
	v_mul_f64 v[110:111], v[9:10], v[15:16]
	v_mul_f64 v[15:16], v[11:12], v[15:16]
	s_waitcnt vmcnt(56)
	v_fma_f64 v[93:94], v[5:6], v[112:113], -v[93:94]
	v_add_f64 v[17:18], v[17:18], v[29:30]
	v_fma_f64 v[29:30], v[7:8], v[112:113], v[99:100]
	v_add_f64 v[13:14], v[13:14], v[23:24]
	s_clause 0x2
	buffer_load_dword v104, off, s[0:3], 0 offset:732
	buffer_load_dword v24, off, s[0:3], 0 offset:708
	;; [unrolled: 1-line block ×3, first 2 shown]
	ds_read_b128 v[5:8], v52 offset:1344
	s_waitcnt vmcnt(58) lgkmcnt(1)
	v_mul_f64 v[99:100], v[1:2], v[33:34]
	v_mul_f64 v[33:34], v[3:4], v[33:34]
	s_waitcnt vmcnt(56)
	v_fma_f64 v[15:16], v[9:10], v[21:22], -v[15:16]
	v_fma_f64 v[21:22], v[11:12], v[21:22], v[110:111]
	v_add_f64 v[17:18], v[17:18], v[93:94]
	v_add_f64 v[13:14], v[13:14], v[29:30]
	s_clause 0x4
	buffer_load_dword v30, off, s[0:3], 0 offset:748
	buffer_load_dword v93, off, s[0:3], 0 offset:760
	buffer_load_dword v111, off, s[0:3], 0 offset:752
	buffer_load_dword v29, off, s[0:3], 0 offset:744
	buffer_load_dword v110, off, s[0:3], 0 offset:724
	ds_read_b128 v[9:12], v52 offset:1360
	s_waitcnt vmcnt(57) lgkmcnt(1)
	v_mul_f64 v[112:113], v[5:6], v[19:20]
	v_mul_f64 v[19:20], v[7:8], v[19:20]
	s_waitcnt vmcnt(56)
	v_fma_f64 v[33:34], v[1:2], v[107:108], -v[33:34]
	v_add_f64 v[15:16], v[17:18], v[15:16]
	v_fma_f64 v[17:18], v[3:4], v[107:108], v[99:100]
	v_add_f64 v[13:14], v[13:14], v[21:22]
	s_clause 0x2
	buffer_load_dword v94, off, s[0:3], 0 offset:764
	buffer_load_dword v22, off, s[0:3], 0 offset:740
	;; [unrolled: 1-line block ×3, first 2 shown]
	s_waitcnt vmcnt(58) lgkmcnt(0)
	v_mul_f64 v[99:100], v[9:10], v[41:42]
	v_mul_f64 v[41:42], v[11:12], v[41:42]
	ds_read_b128 v[1:4], v52 offset:1376
	s_waitcnt vmcnt(56)
	v_fma_f64 v[19:20], v[5:6], v[27:28], -v[19:20]
	v_fma_f64 v[27:28], v[7:8], v[27:28], v[112:113]
	v_add_f64 v[15:16], v[15:16], v[33:34]
	v_add_f64 v[13:14], v[13:14], v[17:18]
	s_clause 0x4
	buffer_load_dword v18, off, s[0:3], 0 offset:780
	buffer_load_dword v33, off, s[0:3], 0 offset:792
	;; [unrolled: 1-line block ×5, first 2 shown]
	ds_read_b128 v[5:8], v52 offset:1392
	s_waitcnt vmcnt(57) lgkmcnt(1)
	v_mul_f64 v[113:114], v[1:2], v[25:26]
	v_mul_f64 v[25:26], v[3:4], v[25:26]
	s_waitcnt vmcnt(56)
	v_fma_f64 v[41:42], v[9:10], v[89:90], -v[41:42]
	v_add_f64 v[15:16], v[15:16], v[19:20]
	v_fma_f64 v[19:20], v[11:12], v[89:90], v[99:100]
	v_add_f64 v[13:14], v[13:14], v[27:28]
	s_clause 0x2
	buffer_load_dword v34, off, s[0:3], 0 offset:796
	buffer_load_dword v28, off, s[0:3], 0 offset:772
	;; [unrolled: 1-line block ×3, first 2 shown]
	s_waitcnt vmcnt(58) lgkmcnt(0)
	v_mul_f64 v[89:90], v[5:6], v[65:66]
	v_mul_f64 v[65:66], v[7:8], v[65:66]
	ds_read_b128 v[9:12], v52 offset:1408
	s_waitcnt vmcnt(56)
	v_fma_f64 v[25:26], v[1:2], v[37:38], -v[25:26]
	v_fma_f64 v[37:38], v[3:4], v[37:38], v[113:114]
	v_add_f64 v[15:16], v[15:16], v[41:42]
	v_add_f64 v[13:14], v[13:14], v[19:20]
	s_clause 0x4
	buffer_load_dword v20, off, s[0:3], 0 offset:812
	buffer_load_dword v41, off, s[0:3], 0 offset:824
	;; [unrolled: 1-line block ×5, first 2 shown]
	ds_read_b128 v[1:4], v52 offset:1424
	s_waitcnt vmcnt(57) lgkmcnt(1)
	v_mul_f64 v[113:114], v[9:10], v[31:32]
	v_mul_f64 v[31:32], v[11:12], v[31:32]
	s_waitcnt vmcnt(56)
	v_fma_f64 v[65:66], v[5:6], v[67:68], -v[65:66]
	v_add_f64 v[15:16], v[15:16], v[25:26]
	v_fma_f64 v[25:26], v[7:8], v[67:68], v[89:90]
	v_add_f64 v[13:14], v[13:14], v[37:38]
	s_clause 0x2
	buffer_load_dword v42, off, s[0:3], 0 offset:828
	buffer_load_dword v38, off, s[0:3], 0 offset:804
	;; [unrolled: 1-line block ×3, first 2 shown]
	ds_read_b128 v[5:8], v52 offset:1440
	s_waitcnt vmcnt(58) lgkmcnt(1)
	v_mul_f64 v[67:68], v[1:2], v[79:80]
	v_mul_f64 v[79:80], v[3:4], v[79:80]
	s_waitcnt vmcnt(56)
	v_fma_f64 v[31:32], v[9:10], v[35:36], -v[31:32]
	v_fma_f64 v[35:36], v[11:12], v[35:36], v[113:114]
	v_add_f64 v[15:16], v[15:16], v[65:66]
	v_add_f64 v[13:14], v[13:14], v[25:26]
	s_clause 0x4
	buffer_load_dword v26, off, s[0:3], 0 offset:844
	buffer_load_dword v65, off, s[0:3], 0 offset:856
	;; [unrolled: 1-line block ×5, first 2 shown]
	ds_read_b128 v[9:12], v52 offset:1456
	s_waitcnt vmcnt(57) lgkmcnt(1)
	v_mul_f64 v[113:114], v[5:6], v[39:40]
	v_mul_f64 v[39:40], v[7:8], v[39:40]
	s_waitcnt vmcnt(56)
	v_fma_f64 v[79:80], v[1:2], v[81:82], -v[79:80]
	v_add_f64 v[15:16], v[15:16], v[31:32]
	v_fma_f64 v[31:32], v[3:4], v[81:82], v[67:68]
	v_add_f64 v[13:14], v[13:14], v[35:36]
	s_clause 0x2
	buffer_load_dword v66, off, s[0:3], 0 offset:860
	buffer_load_dword v36, off, s[0:3], 0 offset:836
	;; [unrolled: 1-line block ×3, first 2 shown]
	ds_read_b128 v[1:4], v52 offset:1472
	buffer_load_dword v90, off, s[0:3], 0 offset:852
	s_waitcnt vmcnt(59) lgkmcnt(1)
	v_mul_f64 v[81:82], v[11:12], v[85:86]
	v_mul_f64 v[67:68], v[9:10], v[85:86]
	s_waitcnt vmcnt(57)
	v_fma_f64 v[39:40], v[5:6], v[48:49], -v[39:40]
	v_fma_f64 v[48:49], v[7:8], v[48:49], v[113:114]
	ds_read_b128 v[5:8], v52 offset:1488
	v_add_f64 v[15:16], v[15:16], v[79:80]
	v_add_f64 v[13:14], v[13:14], v[31:32]
	s_waitcnt vmcnt(53) lgkmcnt(1)
	v_mul_f64 v[31:32], v[1:2], v[50:51]
	v_mul_f64 v[50:51], v[3:4], v[50:51]
	s_waitcnt vmcnt(52)
	v_fma_f64 v[79:80], v[9:10], v[87:88], -v[81:82]
	v_add_f64 v[15:16], v[15:16], v[39:40]
	v_fma_f64 v[39:40], v[11:12], v[87:88], v[67:68]
	v_add_f64 v[13:14], v[13:14], v[48:49]
	ds_read_b128 v[9:12], v52 offset:1504
	s_waitcnt vmcnt(51) lgkmcnt(1)
	v_mul_f64 v[67:68], v[7:8], v[91:92]
	v_mul_f64 v[48:49], v[5:6], v[91:92]
	s_waitcnt vmcnt(49)
	v_fma_f64 v[50:51], v[1:2], v[75:76], -v[50:51]
	v_fma_f64 v[31:32], v[3:4], v[75:76], v[31:32]
	v_add_f64 v[15:16], v[15:16], v[79:80]
	v_add_f64 v[13:14], v[13:14], v[39:40]
	s_clause 0x3
	buffer_load_dword v39, off, s[0:3], 0 offset:128
	buffer_load_dword v40, off, s[0:3], 0 offset:132
	;; [unrolled: 1-line block ×4, first 2 shown]
	ds_read_b128 v[1:4], v52 offset:1520
	s_waitcnt vmcnt(49) lgkmcnt(1)
	v_mul_f64 v[79:80], v[9:10], v[77:78]
	v_mul_f64 v[77:78], v[11:12], v[77:78]
	s_waitcnt vmcnt(48)
	v_fma_f64 v[67:68], v[5:6], v[101:102], -v[67:68]
	v_fma_f64 v[48:49], v[7:8], v[101:102], v[48:49]
	ds_read_b128 v[5:8], v52 offset:1536
	v_add_f64 v[15:16], v[15:16], v[50:51]
	v_add_f64 v[13:14], v[13:14], v[31:32]
	s_waitcnt vmcnt(47) lgkmcnt(1)
	v_mul_f64 v[50:51], v[3:4], v[95:96]
	v_mul_f64 v[31:32], v[1:2], v[95:96]
	s_waitcnt vmcnt(45)
	v_fma_f64 v[77:78], v[9:10], v[83:84], -v[77:78]
	v_add_f64 v[15:16], v[15:16], v[67:68]
	v_fma_f64 v[67:68], v[11:12], v[83:84], v[79:80]
	v_add_f64 v[13:14], v[13:14], v[48:49]
	ds_read_b128 v[9:12], v52 offset:1552
	s_waitcnt vmcnt(41) lgkmcnt(1)
	v_mul_f64 v[79:80], v[7:8], v[97:98]
	s_waitcnt vmcnt(40)
	v_fma_f64 v[50:51], v[1:2], v[105:106], -v[50:51]
	v_mul_f64 v[48:49], v[5:6], v[97:98]
	v_fma_f64 v[31:32], v[3:4], v[105:106], v[31:32]
	ds_read_b128 v[1:4], v52 offset:1568
	v_add_f64 v[15:16], v[15:16], v[77:78]
	v_add_f64 v[13:14], v[13:14], v[67:68]
	s_waitcnt vmcnt(39) lgkmcnt(1)
	v_mul_f64 v[77:78], v[11:12], v[103:104]
	v_mul_f64 v[67:68], v[9:10], v[103:104]
	s_waitcnt vmcnt(37)
	v_fma_f64 v[79:80], v[5:6], v[23:24], -v[79:80]
	v_fma_f64 v[23:24], v[7:8], v[23:24], v[48:49]
	ds_read_b128 v[5:8], v52 offset:1584
	v_add_f64 v[15:16], v[15:16], v[50:51]
	v_add_f64 v[13:14], v[13:14], v[31:32]
	s_waitcnt vmcnt(33) lgkmcnt(1)
	v_mul_f64 v[31:32], v[1:2], v[29:30]
	v_mul_f64 v[29:30], v[3:4], v[29:30]
	s_waitcnt vmcnt(32)
	v_fma_f64 v[48:49], v[9:10], v[109:110], -v[77:78]
	;; [unrolled: 9-line block ×6, first 2 shown]
	v_add_f64 v[15:16], v[15:16], v[17:18]
	v_fma_f64 v[17:18], v[3:4], v[107:108], v[21:22]
	v_add_f64 v[13:14], v[13:14], v[27:28]
	ds_read_b128 v[1:4], v52 offset:1664
	s_waitcnt vmcnt(15) lgkmcnt(1)
	v_mul_f64 v[27:28], v[11:12], v[41:42]
	v_mul_f64 v[21:22], v[9:10], v[41:42]
	s_waitcnt vmcnt(13)
	v_fma_f64 v[19:20], v[5:6], v[37:38], -v[19:20]
	v_fma_f64 v[23:24], v[7:8], v[37:38], v[23:24]
	ds_read_b128 v[5:8], v52 offset:1680
	v_add_f64 v[15:16], v[15:16], v[29:30]
	v_add_f64 v[13:14], v[13:14], v[17:18]
	s_waitcnt vmcnt(9) lgkmcnt(1)
	v_mul_f64 v[17:18], v[1:2], v[25:26]
	v_mul_f64 v[25:26], v[3:4], v[25:26]
	s_waitcnt vmcnt(8)
	v_fma_f64 v[9:10], v[9:10], v[99:100], -v[27:28]
	v_fma_f64 v[11:12], v[11:12], v[99:100], v[21:22]
	v_add_f64 v[15:16], v[15:16], v[19:20]
	v_add_f64 v[13:14], v[13:14], v[23:24]
	s_waitcnt vmcnt(7) lgkmcnt(0)
	v_mul_f64 v[21:22], v[7:8], v[65:66]
	v_mul_f64 v[19:20], v[5:6], v[65:66]
	s_waitcnt vmcnt(5)
	v_fma_f64 v[1:2], v[1:2], v[35:36], -v[25:26]
	v_fma_f64 v[3:4], v[3:4], v[35:36], v[17:18]
	v_add_f64 v[9:10], v[15:16], v[9:10]
	v_add_f64 v[11:12], v[13:14], v[11:12]
	s_waitcnt vmcnt(4)
	v_fma_f64 v[5:6], v[5:6], v[89:90], -v[21:22]
	v_fma_f64 v[7:8], v[7:8], v[89:90], v[19:20]
	v_add_f64 v[1:2], v[9:10], v[1:2]
	v_add_f64 v[3:4], v[11:12], v[3:4]
	;; [unrolled: 1-line block ×4, first 2 shown]
	s_waitcnt vmcnt(2)
	v_add_f64 v[1:2], v[39:40], -v[1:2]
	s_waitcnt vmcnt(0)
	v_add_f64 v[3:4], v[75:76], -v[3:4]
	buffer_store_dword v2, off, s[0:3], 0 offset:132
	buffer_store_dword v1, off, s[0:3], 0 offset:128
	;; [unrolled: 1-line block ×4, first 2 shown]
	v_cmpx_lt_u32_e32 6, v0
	s_cbranch_execz .LBB52_319
; %bb.318:
	v_mov_b32_e32 v4, s59
	s_clause 0x3
	buffer_load_dword v1, v4, s[0:3], 0 offen
	buffer_load_dword v2, v4, s[0:3], 0 offen offset:4
	buffer_load_dword v3, v4, s[0:3], 0 offen offset:8
	;; [unrolled: 1-line block ×3, first 2 shown]
	buffer_store_dword v52, off, s[0:3], 0 offset:112
	buffer_store_dword v52, off, s[0:3], 0 offset:116
	;; [unrolled: 1-line block ×4, first 2 shown]
	s_waitcnt vmcnt(0)
	ds_write_b128 v43, v[1:4]
.LBB52_319:
	s_or_b32 exec_lo, exec_lo, s4
	s_waitcnt lgkmcnt(0)
	s_waitcnt_vscnt null, 0x0
	s_barrier
	buffer_gl0_inv
	s_clause 0x37
	buffer_load_dword v17, off, s[0:3], 0 offset:136
	buffer_load_dword v18, off, s[0:3], 0 offset:140
	;; [unrolled: 1-line block ×56, first 2 shown]
	ds_read_b128 v[5:8], v52 offset:960
	s_clause 0x2
	buffer_load_dword v90, off, s[0:3], 0 offset:364
	buffer_load_dword v92, off, s[0:3], 0 offset:340
	;; [unrolled: 1-line block ×3, first 2 shown]
	ds_read_b128 v[1:4], v52 offset:976
	s_clause 0x4
	buffer_load_dword v100, off, s[0:3], 0 offset:380
	buffer_load_dword v101, off, s[0:3], 0 offset:392
	;; [unrolled: 1-line block ×5, first 2 shown]
	ds_read_b128 v[93:96], v52 offset:992
	s_mov_b32 s4, exec_lo
	s_waitcnt vmcnt(62) lgkmcnt(2)
	v_mul_f64 v[97:98], v[7:8], v[17:18]
	v_mul_f64 v[17:18], v[5:6], v[17:18]
	s_waitcnt vmcnt(60) lgkmcnt(1)
	v_mul_f64 v[104:105], v[3:4], v[13:14]
	v_mul_f64 v[13:14], v[1:2], v[13:14]
	;; [unrolled: 3-line block ×3, first 2 shown]
	v_fma_f64 v[97:98], v[5:6], v[15:16], -v[97:98]
	v_fma_f64 v[15:16], v[7:8], v[15:16], v[17:18]
	s_clause 0x2
	buffer_load_dword v102, off, s[0:3], 0 offset:396
	buffer_load_dword v18, off, s[0:3], 0 offset:372
	;; [unrolled: 1-line block ×3, first 2 shown]
	s_waitcnt vmcnt(57)
	v_fma_f64 v[108:109], v[1:2], v[9:10], -v[104:105]
	ds_read_b128 v[5:8], v52 offset:1008
	v_fma_f64 v[9:10], v[3:4], v[9:10], v[13:14]
	s_waitcnt vmcnt(51)
	v_fma_f64 v[93:94], v[93:94], v[33:34], -v[11:12]
	v_fma_f64 v[33:34], v[95:96], v[33:34], v[106:107]
	v_add_f64 v[97:98], v[97:98], 0
	v_add_f64 v[13:14], v[15:16], 0
	s_clause 0x4
	buffer_load_dword v16, off, s[0:3], 0 offset:412
	buffer_load_dword v105, off, s[0:3], 0 offset:424
	;; [unrolled: 1-line block ×5, first 2 shown]
	s_waitcnt lgkmcnt(0)
	v_mul_f64 v[111:112], v[5:6], v[21:22]
	v_mul_f64 v[21:22], v[7:8], v[21:22]
	ds_read_b128 v[1:4], v52 offset:1024
	s_clause 0x2
	buffer_load_dword v106, off, s[0:3], 0 offset:428
	buffer_load_dword v96, off, s[0:3], 0 offset:404
	buffer_load_dword v95, off, s[0:3], 0 offset:400
	v_add_f64 v[97:98], v[97:98], v[108:109]
	v_add_f64 v[13:14], v[13:14], v[9:10]
	ds_read_b128 v[9:12], v52 offset:1040
	s_waitcnt vmcnt(58) lgkmcnt(1)
	v_mul_f64 v[107:108], v[1:2], v[25:26]
	v_mul_f64 v[25:26], v[3:4], v[25:26]
	s_waitcnt vmcnt(56)
	v_fma_f64 v[21:22], v[5:6], v[27:28], -v[21:22]
	v_fma_f64 v[27:28], v[7:8], v[27:28], v[111:112]
	s_waitcnt vmcnt(52) lgkmcnt(0)
	v_mul_f64 v[113:114], v[9:10], v[29:30]
	v_add_f64 v[93:94], v[97:98], v[93:94]
	v_add_f64 v[13:14], v[13:14], v[33:34]
	s_clause 0x4
	buffer_load_dword v34, off, s[0:3], 0 offset:444
	buffer_load_dword v97, off, s[0:3], 0 offset:456
	;; [unrolled: 1-line block ×5, first 2 shown]
	v_mul_f64 v[29:30], v[11:12], v[29:30]
	s_waitcnt vmcnt(56)
	v_fma_f64 v[25:26], v[1:2], v[19:20], -v[25:26]
	ds_read_b128 v[5:8], v52 offset:1056
	v_fma_f64 v[19:20], v[3:4], v[19:20], v[107:108]
	v_add_f64 v[21:22], v[93:94], v[21:22]
	v_add_f64 v[13:14], v[13:14], v[27:28]
	s_clause 0x2
	buffer_load_dword v98, off, s[0:3], 0 offset:460
	buffer_load_dword v28, off, s[0:3], 0 offset:436
	;; [unrolled: 1-line block ×3, first 2 shown]
	s_waitcnt vmcnt(58) lgkmcnt(0)
	v_mul_f64 v[93:94], v[5:6], v[35:36]
	v_mul_f64 v[35:36], v[7:8], v[35:36]
	s_waitcnt vmcnt(56)
	v_fma_f64 v[29:30], v[9:10], v[37:38], -v[29:30]
	ds_read_b128 v[1:4], v52 offset:1072
	v_add_f64 v[21:22], v[21:22], v[25:26]
	v_fma_f64 v[25:26], v[11:12], v[37:38], v[113:114]
	v_add_f64 v[13:14], v[13:14], v[19:20]
	s_clause 0x4
	buffer_load_dword v20, off, s[0:3], 0 offset:476
	buffer_load_dword v37, off, s[0:3], 0 offset:488
	;; [unrolled: 1-line block ×5, first 2 shown]
	s_waitcnt vmcnt(57) lgkmcnt(0)
	v_mul_f64 v[108:109], v[1:2], v[39:40]
	v_mul_f64 v[39:40], v[3:4], v[39:40]
	s_waitcnt vmcnt(56)
	v_fma_f64 v[35:36], v[5:6], v[23:24], -v[35:36]
	ds_read_b128 v[9:12], v52 offset:1088
	v_fma_f64 v[23:24], v[7:8], v[23:24], v[93:94]
	v_add_f64 v[21:22], v[21:22], v[29:30]
	v_add_f64 v[13:14], v[13:14], v[25:26]
	s_clause 0x2
	buffer_load_dword v38, off, s[0:3], 0 offset:492
	buffer_load_dword v26, off, s[0:3], 0 offset:468
	;; [unrolled: 1-line block ×3, first 2 shown]
	ds_read_b128 v[5:8], v52 offset:1104
	s_waitcnt vmcnt(58) lgkmcnt(1)
	v_mul_f64 v[29:30], v[9:10], v[48:49]
	v_mul_f64 v[48:49], v[11:12], v[48:49]
	s_waitcnt vmcnt(56)
	v_fma_f64 v[39:40], v[1:2], v[50:51], -v[39:40]
	v_add_f64 v[21:22], v[21:22], v[35:36]
	v_fma_f64 v[35:36], v[3:4], v[50:51], v[108:109]
	v_add_f64 v[13:14], v[13:14], v[23:24]
	s_clause 0x4
	buffer_load_dword v24, off, s[0:3], 0 offset:508
	buffer_load_dword v50, off, s[0:3], 0 offset:520
	;; [unrolled: 1-line block ×5, first 2 shown]
	s_waitcnt vmcnt(57) lgkmcnt(0)
	v_mul_f64 v[114:115], v[5:6], v[65:66]
	v_mul_f64 v[65:66], v[7:8], v[65:66]
	s_waitcnt vmcnt(56)
	v_fma_f64 v[48:49], v[9:10], v[31:32], -v[48:49]
	ds_read_b128 v[1:4], v52 offset:1120
	v_fma_f64 v[29:30], v[11:12], v[31:32], v[29:30]
	s_clause 0x2
	buffer_load_dword v51, off, s[0:3], 0 offset:524
	buffer_load_dword v32, off, s[0:3], 0 offset:500
	;; [unrolled: 1-line block ×3, first 2 shown]
	ds_read_b128 v[9:12], v52 offset:1136
	v_add_f64 v[21:22], v[21:22], v[39:40]
	v_add_f64 v[13:14], v[13:14], v[35:36]
	s_waitcnt vmcnt(58) lgkmcnt(1)
	v_mul_f64 v[39:40], v[3:4], v[75:76]
	s_waitcnt vmcnt(56)
	v_fma_f64 v[65:66], v[5:6], v[77:78], -v[65:66]
	v_mul_f64 v[35:36], v[1:2], v[75:76]
	v_add_f64 v[21:22], v[21:22], v[48:49]
	v_fma_f64 v[48:49], v[7:8], v[77:78], v[114:115]
	v_add_f64 v[13:14], v[13:14], v[29:30]
	s_clause 0x4
	buffer_load_dword v30, off, s[0:3], 0 offset:540
	buffer_load_dword v75, off, s[0:3], 0 offset:552
	;; [unrolled: 1-line block ×5, first 2 shown]
	s_waitcnt vmcnt(57) lgkmcnt(0)
	v_mul_f64 v[114:115], v[9:10], v[79:80]
	v_mul_f64 v[78:79], v[11:12], v[79:80]
	s_waitcnt vmcnt(56)
	v_fma_f64 v[39:40], v[1:2], v[41:42], -v[39:40]
	ds_read_b128 v[5:8], v52 offset:1152
	v_fma_f64 v[35:36], v[3:4], v[41:42], v[35:36]
	s_clause 0x2
	buffer_load_dword v76, off, s[0:3], 0 offset:556
	buffer_load_dword v42, off, s[0:3], 0 offset:532
	;; [unrolled: 1-line block ×3, first 2 shown]
	ds_read_b128 v[1:4], v52 offset:1168
	v_add_f64 v[21:22], v[21:22], v[65:66]
	v_add_f64 v[13:14], v[13:14], v[48:49]
	s_waitcnt vmcnt(58) lgkmcnt(1)
	v_mul_f64 v[65:66], v[7:8], v[83:84]
	s_waitcnt vmcnt(56)
	v_fma_f64 v[79:80], v[9:10], v[85:86], -v[78:79]
	v_mul_f64 v[48:49], v[5:6], v[83:84]
	v_add_f64 v[21:22], v[21:22], v[39:40]
	v_fma_f64 v[39:40], v[11:12], v[85:86], v[114:115]
	v_add_f64 v[13:14], v[13:14], v[35:36]
	s_clause 0x4
	buffer_load_dword v36, off, s[0:3], 0 offset:572
	buffer_load_dword v83, off, s[0:3], 0 offset:584
	;; [unrolled: 1-line block ×5, first 2 shown]
	s_waitcnt vmcnt(57) lgkmcnt(0)
	v_mul_f64 v[114:115], v[1:2], v[87:88]
	v_mul_f64 v[86:87], v[3:4], v[87:88]
	s_waitcnt vmcnt(56)
	v_fma_f64 v[65:66], v[5:6], v[67:68], -v[65:66]
	ds_read_b128 v[9:12], v52 offset:1184
	v_fma_f64 v[48:49], v[7:8], v[67:68], v[48:49]
	v_add_f64 v[21:22], v[21:22], v[79:80]
	v_add_f64 v[13:14], v[13:14], v[39:40]
	s_clause 0x2
	buffer_load_dword v84, off, s[0:3], 0 offset:588
	buffer_load_dword v40, off, s[0:3], 0 offset:564
	;; [unrolled: 1-line block ×3, first 2 shown]
	ds_read_b128 v[5:8], v52 offset:1200
	s_waitcnt vmcnt(58) lgkmcnt(1)
	v_mul_f64 v[79:80], v[11:12], v[89:90]
	s_waitcnt vmcnt(56)
	v_fma_f64 v[87:88], v[1:2], v[91:92], -v[86:87]
	v_mul_f64 v[67:68], v[9:10], v[89:90]
	v_add_f64 v[21:22], v[21:22], v[65:66]
	v_fma_f64 v[65:66], v[3:4], v[91:92], v[114:115]
	v_add_f64 v[13:14], v[13:14], v[48:49]
	s_clause 0x4
	buffer_load_dword v49, off, s[0:3], 0 offset:604
	buffer_load_dword v89, off, s[0:3], 0 offset:616
	;; [unrolled: 1-line block ×5, first 2 shown]
	s_waitcnt vmcnt(57) lgkmcnt(0)
	v_mul_f64 v[114:115], v[5:6], v[99:100]
	v_mul_f64 v[99:100], v[7:8], v[99:100]
	s_waitcnt vmcnt(56)
	v_fma_f64 v[79:80], v[9:10], v[81:82], -v[79:80]
	ds_read_b128 v[1:4], v52 offset:1216
	v_fma_f64 v[67:68], v[11:12], v[81:82], v[67:68]
	v_add_f64 v[21:22], v[21:22], v[87:88]
	v_add_f64 v[13:14], v[13:14], v[65:66]
	s_clause 0x2
	buffer_load_dword v90, off, s[0:3], 0 offset:620
	buffer_load_dword v66, off, s[0:3], 0 offset:596
	;; [unrolled: 1-line block ×3, first 2 shown]
	ds_read_b128 v[9:12], v52 offset:1232
	s_waitcnt vmcnt(58) lgkmcnt(1)
	v_mul_f64 v[87:88], v[3:4], v[101:102]
	v_mul_f64 v[81:82], v[1:2], v[101:102]
	s_waitcnt vmcnt(56)
	v_fma_f64 v[99:100], v[5:6], v[17:18], -v[99:100]
	v_fma_f64 v[17:18], v[7:8], v[17:18], v[114:115]
	v_add_f64 v[21:22], v[21:22], v[79:80]
	v_add_f64 v[13:14], v[13:14], v[67:68]
	s_clause 0x4
	buffer_load_dword v68, off, s[0:3], 0 offset:636
	buffer_load_dword v79, off, s[0:3], 0 offset:648
	;; [unrolled: 1-line block ×5, first 2 shown]
	ds_read_b128 v[5:8], v52 offset:1248
	s_waitcnt vmcnt(57) lgkmcnt(1)
	v_mul_f64 v[114:115], v[9:10], v[15:16]
	v_mul_f64 v[15:16], v[11:12], v[15:16]
	s_waitcnt vmcnt(56)
	v_fma_f64 v[87:88], v[1:2], v[103:104], -v[87:88]
	v_fma_f64 v[81:82], v[3:4], v[103:104], v[81:82]
	v_add_f64 v[21:22], v[21:22], v[99:100]
	v_add_f64 v[13:14], v[13:14], v[17:18]
	s_clause 0x2
	buffer_load_dword v80, off, s[0:3], 0 offset:652
	buffer_load_dword v18, off, s[0:3], 0 offset:628
	;; [unrolled: 1-line block ×3, first 2 shown]
	s_waitcnt vmcnt(58) lgkmcnt(0)
	v_mul_f64 v[103:104], v[7:8], v[105:106]
	ds_read_b128 v[1:4], v52 offset:1264
	v_mul_f64 v[99:100], v[5:6], v[105:106]
	s_waitcnt vmcnt(56)
	v_fma_f64 v[15:16], v[9:10], v[95:96], -v[15:16]
	v_add_f64 v[21:22], v[21:22], v[87:88]
	v_fma_f64 v[87:88], v[11:12], v[95:96], v[114:115]
	v_add_f64 v[13:14], v[13:14], v[81:82]
	s_clause 0x4
	buffer_load_dword v82, off, s[0:3], 0 offset:668
	buffer_load_dword v95, off, s[0:3], 0 offset:680
	;; [unrolled: 1-line block ×5, first 2 shown]
	ds_read_b128 v[9:12], v52 offset:1280
	s_waitcnt vmcnt(57) lgkmcnt(1)
	v_mul_f64 v[114:115], v[1:2], v[33:34]
	v_mul_f64 v[33:34], v[3:4], v[33:34]
	s_waitcnt vmcnt(56)
	v_fma_f64 v[103:104], v[5:6], v[110:111], -v[103:104]
	v_add_f64 v[15:16], v[21:22], v[15:16]
	v_fma_f64 v[21:22], v[7:8], v[110:111], v[99:100]
	v_add_f64 v[13:14], v[13:14], v[87:88]
	s_clause 0x2
	buffer_load_dword v96, off, s[0:3], 0 offset:684
	buffer_load_dword v88, off, s[0:3], 0 offset:660
	;; [unrolled: 1-line block ×3, first 2 shown]
	ds_read_b128 v[5:8], v52 offset:1296
	s_waitcnt vmcnt(58) lgkmcnt(1)
	v_mul_f64 v[99:100], v[9:10], v[97:98]
	v_mul_f64 v[97:98], v[11:12], v[97:98]
	s_waitcnt vmcnt(56)
	v_fma_f64 v[33:34], v[1:2], v[27:28], -v[33:34]
	v_fma_f64 v[27:28], v[3:4], v[27:28], v[114:115]
	v_add_f64 v[15:16], v[15:16], v[103:104]
	v_add_f64 v[13:14], v[13:14], v[21:22]
	s_clause 0x4
	buffer_load_dword v22, off, s[0:3], 0 offset:700
	buffer_load_dword v103, off, s[0:3], 0 offset:712
	;; [unrolled: 1-line block ×5, first 2 shown]
	ds_read_b128 v[1:4], v52 offset:1312
	s_waitcnt vmcnt(57) lgkmcnt(1)
	v_mul_f64 v[110:111], v[5:6], v[19:20]
	v_mul_f64 v[19:20], v[7:8], v[19:20]
	s_waitcnt vmcnt(56)
	v_fma_f64 v[97:98], v[9:10], v[112:113], -v[97:98]
	v_add_f64 v[15:16], v[15:16], v[33:34]
	v_fma_f64 v[33:34], v[11:12], v[112:113], v[99:100]
	v_add_f64 v[13:14], v[13:14], v[27:28]
	s_clause 0x2
	buffer_load_dword v104, off, s[0:3], 0 offset:716
	buffer_load_dword v28, off, s[0:3], 0 offset:692
	;; [unrolled: 1-line block ×3, first 2 shown]
	ds_read_b128 v[9:12], v52 offset:1328
	s_waitcnt vmcnt(58) lgkmcnt(1)
	v_mul_f64 v[99:100], v[1:2], v[37:38]
	v_mul_f64 v[37:38], v[3:4], v[37:38]
	s_waitcnt vmcnt(56)
	v_fma_f64 v[19:20], v[5:6], v[25:26], -v[19:20]
	v_fma_f64 v[25:26], v[7:8], v[25:26], v[110:111]
	v_add_f64 v[15:16], v[15:16], v[97:98]
	v_add_f64 v[13:14], v[13:14], v[33:34]
	s_clause 0x4
	buffer_load_dword v34, off, s[0:3], 0 offset:732
	buffer_load_dword v97, off, s[0:3], 0 offset:744
	;; [unrolled: 1-line block ×5, first 2 shown]
	ds_read_b128 v[5:8], v52 offset:1344
	s_waitcnt vmcnt(57) lgkmcnt(1)
	v_mul_f64 v[112:113], v[9:10], v[23:24]
	v_mul_f64 v[23:24], v[11:12], v[23:24]
	s_waitcnt vmcnt(56)
	v_fma_f64 v[37:38], v[1:2], v[107:108], -v[37:38]
	v_add_f64 v[15:16], v[15:16], v[19:20]
	v_fma_f64 v[19:20], v[3:4], v[107:108], v[99:100]
	v_add_f64 v[13:14], v[13:14], v[25:26]
	s_clause 0x2
	buffer_load_dword v98, off, s[0:3], 0 offset:748
	buffer_load_dword v26, off, s[0:3], 0 offset:724
	;; [unrolled: 1-line block ×3, first 2 shown]
	s_waitcnt vmcnt(58) lgkmcnt(0)
	v_mul_f64 v[99:100], v[5:6], v[50:51]
	v_mul_f64 v[50:51], v[7:8], v[50:51]
	ds_read_b128 v[1:4], v52 offset:1360
	s_waitcnt vmcnt(56)
	v_fma_f64 v[23:24], v[9:10], v[31:32], -v[23:24]
	v_fma_f64 v[31:32], v[11:12], v[31:32], v[112:113]
	v_add_f64 v[15:16], v[15:16], v[37:38]
	v_add_f64 v[13:14], v[13:14], v[19:20]
	s_clause 0x4
	buffer_load_dword v20, off, s[0:3], 0 offset:764
	buffer_load_dword v37, off, s[0:3], 0 offset:776
	;; [unrolled: 1-line block ×5, first 2 shown]
	ds_read_b128 v[9:12], v52 offset:1376
	s_waitcnt vmcnt(57) lgkmcnt(1)
	v_mul_f64 v[113:114], v[1:2], v[29:30]
	v_mul_f64 v[29:30], v[3:4], v[29:30]
	s_waitcnt vmcnt(56)
	v_fma_f64 v[50:51], v[5:6], v[93:94], -v[50:51]
	v_add_f64 v[15:16], v[15:16], v[23:24]
	v_fma_f64 v[23:24], v[7:8], v[93:94], v[99:100]
	v_add_f64 v[13:14], v[13:14], v[31:32]
	s_clause 0x2
	buffer_load_dword v38, off, s[0:3], 0 offset:780
	buffer_load_dword v32, off, s[0:3], 0 offset:756
	;; [unrolled: 1-line block ×3, first 2 shown]
	s_waitcnt vmcnt(58) lgkmcnt(0)
	v_mul_f64 v[93:94], v[9:10], v[75:76]
	v_mul_f64 v[75:76], v[11:12], v[75:76]
	ds_read_b128 v[5:8], v52 offset:1392
	s_waitcnt vmcnt(56)
	v_fma_f64 v[29:30], v[1:2], v[41:42], -v[29:30]
	v_fma_f64 v[41:42], v[3:4], v[41:42], v[113:114]
	v_add_f64 v[15:16], v[15:16], v[50:51]
	v_add_f64 v[13:14], v[13:14], v[23:24]
	s_clause 0x4
	buffer_load_dword v24, off, s[0:3], 0 offset:796
	buffer_load_dword v50, off, s[0:3], 0 offset:808
	;; [unrolled: 1-line block ×5, first 2 shown]
	ds_read_b128 v[1:4], v52 offset:1408
	s_waitcnt vmcnt(57) lgkmcnt(1)
	v_mul_f64 v[113:114], v[5:6], v[35:36]
	v_mul_f64 v[35:36], v[7:8], v[35:36]
	s_waitcnt vmcnt(56)
	v_fma_f64 v[75:76], v[9:10], v[77:78], -v[75:76]
	v_add_f64 v[15:16], v[15:16], v[29:30]
	v_fma_f64 v[29:30], v[11:12], v[77:78], v[93:94]
	v_add_f64 v[13:14], v[13:14], v[41:42]
	s_clause 0x2
	buffer_load_dword v51, off, s[0:3], 0 offset:812
	buffer_load_dword v42, off, s[0:3], 0 offset:788
	;; [unrolled: 1-line block ×3, first 2 shown]
	ds_read_b128 v[9:12], v52 offset:1424
	s_waitcnt vmcnt(58) lgkmcnt(1)
	v_mul_f64 v[77:78], v[1:2], v[83:84]
	v_mul_f64 v[83:84], v[3:4], v[83:84]
	s_waitcnt vmcnt(56)
	v_fma_f64 v[35:36], v[5:6], v[39:40], -v[35:36]
	v_fma_f64 v[39:40], v[7:8], v[39:40], v[113:114]
	v_add_f64 v[15:16], v[15:16], v[75:76]
	v_add_f64 v[13:14], v[13:14], v[29:30]
	s_clause 0x4
	buffer_load_dword v30, off, s[0:3], 0 offset:828
	buffer_load_dword v75, off, s[0:3], 0 offset:840
	;; [unrolled: 1-line block ×5, first 2 shown]
	ds_read_b128 v[5:8], v52 offset:1440
	s_waitcnt vmcnt(57) lgkmcnt(1)
	v_mul_f64 v[113:114], v[9:10], v[48:49]
	v_mul_f64 v[48:49], v[11:12], v[48:49]
	s_waitcnt vmcnt(56)
	v_fma_f64 v[83:84], v[1:2], v[85:86], -v[83:84]
	v_add_f64 v[15:16], v[15:16], v[35:36]
	v_fma_f64 v[35:36], v[3:4], v[85:86], v[77:78]
	v_add_f64 v[13:14], v[13:14], v[39:40]
	s_clause 0x2
	buffer_load_dword v76, off, s[0:3], 0 offset:844
	buffer_load_dword v40, off, s[0:3], 0 offset:820
	;; [unrolled: 1-line block ×3, first 2 shown]
	ds_read_b128 v[1:4], v52 offset:1456
	s_waitcnt vmcnt(58) lgkmcnt(1)
	v_mul_f64 v[85:86], v[7:8], v[89:90]
	v_mul_f64 v[77:78], v[5:6], v[89:90]
	s_waitcnt vmcnt(56)
	v_fma_f64 v[48:49], v[9:10], v[65:66], -v[48:49]
	v_fma_f64 v[65:66], v[11:12], v[65:66], v[113:114]
	v_add_f64 v[15:16], v[15:16], v[83:84]
	v_add_f64 v[13:14], v[13:14], v[35:36]
	s_clause 0x2
	buffer_load_dword v36, off, s[0:3], 0 offset:860
	buffer_load_dword v35, off, s[0:3], 0 offset:856
	;; [unrolled: 1-line block ×3, first 2 shown]
	ds_read_b128 v[9:12], v52 offset:1472
	s_waitcnt vmcnt(55) lgkmcnt(1)
	v_mul_f64 v[83:84], v[1:2], v[67:68]
	v_mul_f64 v[67:68], v[3:4], v[67:68]
	s_waitcnt vmcnt(54)
	v_fma_f64 v[85:86], v[5:6], v[91:92], -v[85:86]
	v_add_f64 v[15:16], v[15:16], v[48:49]
	v_fma_f64 v[48:49], v[7:8], v[91:92], v[77:78]
	v_add_f64 v[13:14], v[13:14], v[65:66]
	s_clause 0x1
	buffer_load_dword v66, off, s[0:3], 0 offset:852
	buffer_load_dword v65, off, s[0:3], 0 offset:848
	ds_read_b128 v[5:8], v52 offset:1488
	s_waitcnt vmcnt(55) lgkmcnt(1)
	v_mul_f64 v[77:78], v[9:10], v[79:80]
	v_mul_f64 v[79:80], v[11:12], v[79:80]
	s_waitcnt vmcnt(53)
	v_fma_f64 v[67:68], v[1:2], v[17:18], -v[67:68]
	v_fma_f64 v[17:18], v[3:4], v[17:18], v[83:84]
	ds_read_b128 v[1:4], v52 offset:1504
	v_add_f64 v[15:16], v[15:16], v[85:86]
	v_add_f64 v[13:14], v[13:14], v[48:49]
	s_waitcnt vmcnt(49) lgkmcnt(1)
	v_mul_f64 v[48:49], v[5:6], v[81:82]
	v_mul_f64 v[81:82], v[7:8], v[81:82]
	s_waitcnt vmcnt(48)
	v_fma_f64 v[79:80], v[9:10], v[101:102], -v[79:80]
	v_add_f64 v[15:16], v[15:16], v[67:68]
	v_fma_f64 v[67:68], v[11:12], v[101:102], v[77:78]
	v_add_f64 v[13:14], v[13:14], v[17:18]
	s_clause 0x3
	buffer_load_dword v17, off, s[0:3], 0 offset:112
	buffer_load_dword v18, off, s[0:3], 0 offset:116
	;; [unrolled: 1-line block ×4, first 2 shown]
	ds_read_b128 v[9:12], v52 offset:1520
	s_waitcnt vmcnt(51) lgkmcnt(1)
	v_mul_f64 v[85:86], v[3:4], v[95:96]
	v_mul_f64 v[83:84], v[1:2], v[95:96]
	s_waitcnt vmcnt(49)
	v_fma_f64 v[81:82], v[5:6], v[87:88], -v[81:82]
	v_fma_f64 v[48:49], v[7:8], v[87:88], v[48:49]
	ds_read_b128 v[5:8], v52 offset:1536
	v_add_f64 v[15:16], v[15:16], v[79:80]
	v_add_f64 v[13:14], v[13:14], v[67:68]
	s_waitcnt vmcnt(45) lgkmcnt(1)
	v_mul_f64 v[67:68], v[9:10], v[21:22]
	v_mul_f64 v[21:22], v[11:12], v[21:22]
	s_waitcnt vmcnt(44)
	v_fma_f64 v[79:80], v[1:2], v[105:106], -v[85:86]
	v_add_f64 v[15:16], v[15:16], v[81:82]
	v_fma_f64 v[81:82], v[3:4], v[105:106], v[83:84]
	v_add_f64 v[13:14], v[13:14], v[48:49]
	ds_read_b128 v[1:4], v52 offset:1552
	s_waitcnt vmcnt(43) lgkmcnt(1)
	v_mul_f64 v[83:84], v[7:8], v[103:104]
	v_mul_f64 v[48:49], v[5:6], v[103:104]
	s_waitcnt vmcnt(41)
	v_fma_f64 v[21:22], v[9:10], v[27:28], -v[21:22]
	v_fma_f64 v[27:28], v[11:12], v[27:28], v[67:68]
	ds_read_b128 v[9:12], v52 offset:1568
	v_add_f64 v[15:16], v[15:16], v[79:80]
	v_add_f64 v[13:14], v[13:14], v[81:82]
	s_waitcnt vmcnt(37) lgkmcnt(1)
	v_mul_f64 v[67:68], v[1:2], v[33:34]
	v_mul_f64 v[33:34], v[3:4], v[33:34]
	s_waitcnt vmcnt(36)
	v_fma_f64 v[79:80], v[5:6], v[109:110], -v[83:84]
	v_add_f64 v[15:16], v[15:16], v[21:22]
	v_fma_f64 v[21:22], v[7:8], v[109:110], v[48:49]
	v_add_f64 v[13:14], v[13:14], v[27:28]
	ds_read_b128 v[5:8], v52 offset:1584
	s_waitcnt vmcnt(35) lgkmcnt(1)
	v_mul_f64 v[48:49], v[11:12], v[97:98]
	v_mul_f64 v[27:28], v[9:10], v[97:98]
	s_waitcnt vmcnt(33)
	v_fma_f64 v[33:34], v[1:2], v[25:26], -v[33:34]
	v_fma_f64 v[25:26], v[3:4], v[25:26], v[67:68]
	ds_read_b128 v[1:4], v52 offset:1600
	v_add_f64 v[15:16], v[15:16], v[79:80]
	v_add_f64 v[13:14], v[13:14], v[21:22]
	s_waitcnt vmcnt(29) lgkmcnt(1)
	v_mul_f64 v[21:22], v[5:6], v[19:20]
	v_mul_f64 v[19:20], v[7:8], v[19:20]
	s_waitcnt vmcnt(28)
	v_fma_f64 v[48:49], v[9:10], v[111:112], -v[48:49]
	v_fma_f64 v[27:28], v[11:12], v[111:112], v[27:28]
	ds_read_b128 v[9:12], v52 offset:1616
	v_add_f64 v[15:16], v[15:16], v[33:34]
	v_add_f64 v[13:14], v[13:14], v[25:26]
	;; [unrolled: 9-line block ×3, first 2 shown]
	s_waitcnt vmcnt(21) lgkmcnt(1)
	v_mul_f64 v[27:28], v[9:10], v[23:24]
	v_mul_f64 v[23:24], v[11:12], v[23:24]
	s_waitcnt vmcnt(20)
	v_fma_f64 v[31:32], v[1:2], v[107:108], -v[33:34]
	v_add_f64 v[15:16], v[15:16], v[19:20]
	v_fma_f64 v[19:20], v[3:4], v[107:108], v[25:26]
	v_add_f64 v[13:14], v[13:14], v[21:22]
	ds_read_b128 v[1:4], v52 offset:1648
	s_waitcnt vmcnt(19) lgkmcnt(1)
	v_mul_f64 v[25:26], v[7:8], v[50:51]
	v_mul_f64 v[21:22], v[5:6], v[50:51]
	s_waitcnt vmcnt(17)
	v_fma_f64 v[23:24], v[9:10], v[41:42], -v[23:24]
	v_fma_f64 v[27:28], v[11:12], v[41:42], v[27:28]
	ds_read_b128 v[9:12], v52 offset:1664
	v_add_f64 v[15:16], v[15:16], v[31:32]
	v_add_f64 v[13:14], v[13:14], v[19:20]
	s_waitcnt vmcnt(13) lgkmcnt(1)
	v_mul_f64 v[19:20], v[1:2], v[29:30]
	v_mul_f64 v[29:30], v[3:4], v[29:30]
	s_waitcnt vmcnt(12)
	v_fma_f64 v[25:26], v[5:6], v[99:100], -v[25:26]
	v_fma_f64 v[21:22], v[7:8], v[99:100], v[21:22]
	ds_read_b128 v[5:8], v52 offset:1680
	v_add_f64 v[15:16], v[15:16], v[23:24]
	v_add_f64 v[13:14], v[13:14], v[27:28]
	s_waitcnt vmcnt(11) lgkmcnt(1)
	v_mul_f64 v[27:28], v[11:12], v[75:76]
	v_mul_f64 v[23:24], v[9:10], v[75:76]
	s_waitcnt vmcnt(9)
	v_fma_f64 v[1:2], v[1:2], v[39:40], -v[29:30]
	v_fma_f64 v[3:4], v[3:4], v[39:40], v[19:20]
	v_add_f64 v[15:16], v[15:16], v[25:26]
	v_add_f64 v[13:14], v[13:14], v[21:22]
	s_waitcnt vmcnt(7) lgkmcnt(0)
	v_mul_f64 v[21:22], v[7:8], v[35:36]
	s_waitcnt vmcnt(6)
	v_fma_f64 v[9:10], v[9:10], v[93:94], -v[27:28]
	v_mul_f64 v[19:20], v[5:6], v[35:36]
	v_fma_f64 v[11:12], v[11:12], v[93:94], v[23:24]
	v_add_f64 v[1:2], v[15:16], v[1:2]
	v_add_f64 v[3:4], v[13:14], v[3:4]
	s_waitcnt vmcnt(4)
	v_fma_f64 v[5:6], v[5:6], v[65:66], -v[21:22]
	v_fma_f64 v[7:8], v[7:8], v[65:66], v[19:20]
	v_add_f64 v[1:2], v[1:2], v[9:10]
	v_add_f64 v[3:4], v[3:4], v[11:12]
	;; [unrolled: 1-line block ×4, first 2 shown]
	s_waitcnt vmcnt(2)
	v_add_f64 v[1:2], v[17:18], -v[1:2]
	s_waitcnt vmcnt(0)
	v_add_f64 v[3:4], v[77:78], -v[3:4]
	buffer_store_dword v2, off, s[0:3], 0 offset:116
	buffer_store_dword v1, off, s[0:3], 0 offset:112
	;; [unrolled: 1-line block ×4, first 2 shown]
	v_cmpx_lt_u32_e32 5, v0
	s_cbranch_execz .LBB52_321
; %bb.320:
	v_mov_b32_e32 v4, s60
	v_mov_b32_e32 v5, 0
	s_clause 0x3
	buffer_load_dword v1, v4, s[0:3], 0 offen
	buffer_load_dword v2, v4, s[0:3], 0 offen offset:4
	buffer_load_dword v3, v4, s[0:3], 0 offen offset:8
	;; [unrolled: 1-line block ×3, first 2 shown]
	buffer_store_dword v5, off, s[0:3], 0 offset:96
	buffer_store_dword v5, off, s[0:3], 0 offset:100
	;; [unrolled: 1-line block ×4, first 2 shown]
	s_waitcnt vmcnt(0)
	ds_write_b128 v43, v[1:4]
.LBB52_321:
	s_or_b32 exec_lo, exec_lo, s4
	s_waitcnt lgkmcnt(0)
	s_waitcnt_vscnt null, 0x0
	s_barrier
	buffer_gl0_inv
	s_clause 0x37
	buffer_load_dword v17, off, s[0:3], 0 offset:120
	buffer_load_dword v18, off, s[0:3], 0 offset:124
	;; [unrolled: 1-line block ×56, first 2 shown]
	v_mov_b32_e32 v52, 0
	s_mov_b32 s4, exec_lo
	ds_read_b128 v[5:8], v52 offset:944
	s_clause 0x2
	buffer_load_dword v90, off, s[0:3], 0 offset:348
	buffer_load_dword v92, off, s[0:3], 0 offset:324
	buffer_load_dword v91, off, s[0:3], 0 offset:320
	ds_read_b128 v[1:4], v52 offset:960
	s_clause 0x4
	buffer_load_dword v100, off, s[0:3], 0 offset:364
	buffer_load_dword v101, off, s[0:3], 0 offset:376
	;; [unrolled: 1-line block ×5, first 2 shown]
	ds_read_b128 v[93:96], v52 offset:976
	s_waitcnt vmcnt(62) lgkmcnt(2)
	v_mul_f64 v[97:98], v[7:8], v[17:18]
	v_mul_f64 v[17:18], v[5:6], v[17:18]
	s_waitcnt vmcnt(60) lgkmcnt(1)
	v_mul_f64 v[104:105], v[3:4], v[13:14]
	v_mul_f64 v[13:14], v[1:2], v[13:14]
	;; [unrolled: 3-line block ×3, first 2 shown]
	v_fma_f64 v[97:98], v[5:6], v[15:16], -v[97:98]
	v_fma_f64 v[15:16], v[7:8], v[15:16], v[17:18]
	s_clause 0x2
	buffer_load_dword v102, off, s[0:3], 0 offset:380
	buffer_load_dword v18, off, s[0:3], 0 offset:356
	;; [unrolled: 1-line block ×3, first 2 shown]
	s_waitcnt vmcnt(57)
	v_fma_f64 v[108:109], v[1:2], v[9:10], -v[104:105]
	ds_read_b128 v[5:8], v52 offset:992
	v_fma_f64 v[9:10], v[3:4], v[9:10], v[13:14]
	s_waitcnt vmcnt(51)
	v_fma_f64 v[93:94], v[93:94], v[33:34], -v[11:12]
	v_fma_f64 v[33:34], v[95:96], v[33:34], v[106:107]
	v_add_f64 v[97:98], v[97:98], 0
	v_add_f64 v[13:14], v[15:16], 0
	s_clause 0x4
	buffer_load_dword v16, off, s[0:3], 0 offset:396
	buffer_load_dword v105, off, s[0:3], 0 offset:408
	;; [unrolled: 1-line block ×5, first 2 shown]
	s_waitcnt lgkmcnt(0)
	v_mul_f64 v[111:112], v[5:6], v[21:22]
	v_mul_f64 v[21:22], v[7:8], v[21:22]
	ds_read_b128 v[1:4], v52 offset:1008
	s_clause 0x2
	buffer_load_dword v106, off, s[0:3], 0 offset:412
	buffer_load_dword v96, off, s[0:3], 0 offset:388
	;; [unrolled: 1-line block ×3, first 2 shown]
	v_add_f64 v[97:98], v[97:98], v[108:109]
	v_add_f64 v[13:14], v[13:14], v[9:10]
	ds_read_b128 v[9:12], v52 offset:1024
	s_waitcnt vmcnt(58) lgkmcnt(1)
	v_mul_f64 v[107:108], v[1:2], v[25:26]
	v_mul_f64 v[25:26], v[3:4], v[25:26]
	s_waitcnt vmcnt(56)
	v_fma_f64 v[21:22], v[5:6], v[27:28], -v[21:22]
	v_fma_f64 v[27:28], v[7:8], v[27:28], v[111:112]
	s_waitcnt vmcnt(52) lgkmcnt(0)
	v_mul_f64 v[113:114], v[9:10], v[29:30]
	v_add_f64 v[93:94], v[97:98], v[93:94]
	v_add_f64 v[13:14], v[13:14], v[33:34]
	s_clause 0x4
	buffer_load_dword v34, off, s[0:3], 0 offset:428
	buffer_load_dword v97, off, s[0:3], 0 offset:440
	;; [unrolled: 1-line block ×5, first 2 shown]
	v_mul_f64 v[29:30], v[11:12], v[29:30]
	s_waitcnt vmcnt(56)
	v_fma_f64 v[25:26], v[1:2], v[19:20], -v[25:26]
	ds_read_b128 v[5:8], v52 offset:1040
	v_fma_f64 v[19:20], v[3:4], v[19:20], v[107:108]
	v_add_f64 v[21:22], v[93:94], v[21:22]
	v_add_f64 v[13:14], v[13:14], v[27:28]
	s_clause 0x2
	buffer_load_dword v98, off, s[0:3], 0 offset:444
	buffer_load_dword v28, off, s[0:3], 0 offset:420
	;; [unrolled: 1-line block ×3, first 2 shown]
	s_waitcnt vmcnt(58) lgkmcnt(0)
	v_mul_f64 v[93:94], v[5:6], v[35:36]
	v_mul_f64 v[35:36], v[7:8], v[35:36]
	s_waitcnt vmcnt(56)
	v_fma_f64 v[29:30], v[9:10], v[37:38], -v[29:30]
	ds_read_b128 v[1:4], v52 offset:1056
	v_add_f64 v[21:22], v[21:22], v[25:26]
	v_fma_f64 v[25:26], v[11:12], v[37:38], v[113:114]
	v_add_f64 v[13:14], v[13:14], v[19:20]
	s_clause 0x4
	buffer_load_dword v20, off, s[0:3], 0 offset:460
	buffer_load_dword v37, off, s[0:3], 0 offset:472
	;; [unrolled: 1-line block ×5, first 2 shown]
	s_waitcnt vmcnt(57) lgkmcnt(0)
	v_mul_f64 v[108:109], v[1:2], v[39:40]
	v_mul_f64 v[39:40], v[3:4], v[39:40]
	s_waitcnt vmcnt(56)
	v_fma_f64 v[35:36], v[5:6], v[23:24], -v[35:36]
	ds_read_b128 v[9:12], v52 offset:1072
	v_fma_f64 v[23:24], v[7:8], v[23:24], v[93:94]
	v_add_f64 v[21:22], v[21:22], v[29:30]
	v_add_f64 v[13:14], v[13:14], v[25:26]
	s_clause 0x2
	buffer_load_dword v38, off, s[0:3], 0 offset:476
	buffer_load_dword v26, off, s[0:3], 0 offset:452
	;; [unrolled: 1-line block ×3, first 2 shown]
	ds_read_b128 v[5:8], v52 offset:1088
	s_waitcnt vmcnt(58) lgkmcnt(1)
	v_mul_f64 v[29:30], v[9:10], v[48:49]
	v_mul_f64 v[48:49], v[11:12], v[48:49]
	s_waitcnt vmcnt(56)
	v_fma_f64 v[39:40], v[1:2], v[50:51], -v[39:40]
	v_add_f64 v[21:22], v[21:22], v[35:36]
	v_fma_f64 v[35:36], v[3:4], v[50:51], v[108:109]
	v_add_f64 v[13:14], v[13:14], v[23:24]
	s_clause 0x4
	buffer_load_dword v24, off, s[0:3], 0 offset:492
	buffer_load_dword v50, off, s[0:3], 0 offset:504
	;; [unrolled: 1-line block ×5, first 2 shown]
	s_waitcnt vmcnt(57) lgkmcnt(0)
	v_mul_f64 v[114:115], v[5:6], v[65:66]
	v_mul_f64 v[65:66], v[7:8], v[65:66]
	s_waitcnt vmcnt(56)
	v_fma_f64 v[48:49], v[9:10], v[31:32], -v[48:49]
	ds_read_b128 v[1:4], v52 offset:1104
	v_fma_f64 v[29:30], v[11:12], v[31:32], v[29:30]
	s_clause 0x2
	buffer_load_dword v51, off, s[0:3], 0 offset:508
	buffer_load_dword v32, off, s[0:3], 0 offset:484
	;; [unrolled: 1-line block ×3, first 2 shown]
	ds_read_b128 v[9:12], v52 offset:1120
	v_add_f64 v[21:22], v[21:22], v[39:40]
	v_add_f64 v[13:14], v[13:14], v[35:36]
	s_waitcnt vmcnt(58) lgkmcnt(1)
	v_mul_f64 v[39:40], v[3:4], v[75:76]
	s_waitcnt vmcnt(56)
	v_fma_f64 v[65:66], v[5:6], v[77:78], -v[65:66]
	v_mul_f64 v[35:36], v[1:2], v[75:76]
	v_add_f64 v[21:22], v[21:22], v[48:49]
	v_fma_f64 v[48:49], v[7:8], v[77:78], v[114:115]
	v_add_f64 v[13:14], v[13:14], v[29:30]
	s_clause 0x4
	buffer_load_dword v30, off, s[0:3], 0 offset:524
	buffer_load_dword v75, off, s[0:3], 0 offset:536
	;; [unrolled: 1-line block ×5, first 2 shown]
	s_waitcnt vmcnt(57) lgkmcnt(0)
	v_mul_f64 v[114:115], v[9:10], v[79:80]
	v_mul_f64 v[78:79], v[11:12], v[79:80]
	s_waitcnt vmcnt(56)
	v_fma_f64 v[39:40], v[1:2], v[41:42], -v[39:40]
	ds_read_b128 v[5:8], v52 offset:1136
	v_fma_f64 v[35:36], v[3:4], v[41:42], v[35:36]
	s_clause 0x2
	buffer_load_dword v76, off, s[0:3], 0 offset:540
	buffer_load_dword v42, off, s[0:3], 0 offset:516
	;; [unrolled: 1-line block ×3, first 2 shown]
	ds_read_b128 v[1:4], v52 offset:1152
	v_add_f64 v[21:22], v[21:22], v[65:66]
	v_add_f64 v[13:14], v[13:14], v[48:49]
	s_waitcnt vmcnt(58) lgkmcnt(1)
	v_mul_f64 v[65:66], v[7:8], v[83:84]
	s_waitcnt vmcnt(56)
	v_fma_f64 v[79:80], v[9:10], v[85:86], -v[78:79]
	v_mul_f64 v[48:49], v[5:6], v[83:84]
	v_add_f64 v[21:22], v[21:22], v[39:40]
	v_fma_f64 v[39:40], v[11:12], v[85:86], v[114:115]
	v_add_f64 v[13:14], v[13:14], v[35:36]
	s_clause 0x4
	buffer_load_dword v36, off, s[0:3], 0 offset:556
	buffer_load_dword v83, off, s[0:3], 0 offset:568
	;; [unrolled: 1-line block ×5, first 2 shown]
	s_waitcnt vmcnt(57) lgkmcnt(0)
	v_mul_f64 v[114:115], v[1:2], v[87:88]
	v_mul_f64 v[86:87], v[3:4], v[87:88]
	s_waitcnt vmcnt(56)
	v_fma_f64 v[65:66], v[5:6], v[67:68], -v[65:66]
	ds_read_b128 v[9:12], v52 offset:1168
	v_fma_f64 v[48:49], v[7:8], v[67:68], v[48:49]
	v_add_f64 v[21:22], v[21:22], v[79:80]
	v_add_f64 v[13:14], v[13:14], v[39:40]
	s_clause 0x2
	buffer_load_dword v84, off, s[0:3], 0 offset:572
	buffer_load_dword v40, off, s[0:3], 0 offset:548
	;; [unrolled: 1-line block ×3, first 2 shown]
	ds_read_b128 v[5:8], v52 offset:1184
	s_waitcnt vmcnt(58) lgkmcnt(1)
	v_mul_f64 v[79:80], v[11:12], v[89:90]
	s_waitcnt vmcnt(56)
	v_fma_f64 v[87:88], v[1:2], v[91:92], -v[86:87]
	v_mul_f64 v[67:68], v[9:10], v[89:90]
	v_add_f64 v[21:22], v[21:22], v[65:66]
	v_fma_f64 v[65:66], v[3:4], v[91:92], v[114:115]
	v_add_f64 v[13:14], v[13:14], v[48:49]
	s_clause 0x4
	buffer_load_dword v49, off, s[0:3], 0 offset:588
	buffer_load_dword v89, off, s[0:3], 0 offset:600
	;; [unrolled: 1-line block ×5, first 2 shown]
	s_waitcnt vmcnt(57) lgkmcnt(0)
	v_mul_f64 v[114:115], v[5:6], v[99:100]
	v_mul_f64 v[99:100], v[7:8], v[99:100]
	s_waitcnt vmcnt(56)
	v_fma_f64 v[79:80], v[9:10], v[81:82], -v[79:80]
	ds_read_b128 v[1:4], v52 offset:1200
	v_fma_f64 v[67:68], v[11:12], v[81:82], v[67:68]
	v_add_f64 v[21:22], v[21:22], v[87:88]
	v_add_f64 v[13:14], v[13:14], v[65:66]
	s_clause 0x2
	buffer_load_dword v90, off, s[0:3], 0 offset:604
	buffer_load_dword v66, off, s[0:3], 0 offset:580
	;; [unrolled: 1-line block ×3, first 2 shown]
	ds_read_b128 v[9:12], v52 offset:1216
	s_waitcnt vmcnt(58) lgkmcnt(1)
	v_mul_f64 v[87:88], v[3:4], v[101:102]
	v_mul_f64 v[81:82], v[1:2], v[101:102]
	s_waitcnt vmcnt(56)
	v_fma_f64 v[99:100], v[5:6], v[17:18], -v[99:100]
	v_fma_f64 v[17:18], v[7:8], v[17:18], v[114:115]
	v_add_f64 v[21:22], v[21:22], v[79:80]
	v_add_f64 v[13:14], v[13:14], v[67:68]
	s_clause 0x4
	buffer_load_dword v68, off, s[0:3], 0 offset:620
	buffer_load_dword v79, off, s[0:3], 0 offset:632
	;; [unrolled: 1-line block ×5, first 2 shown]
	ds_read_b128 v[5:8], v52 offset:1232
	s_waitcnt vmcnt(57) lgkmcnt(1)
	v_mul_f64 v[114:115], v[9:10], v[15:16]
	v_mul_f64 v[15:16], v[11:12], v[15:16]
	s_waitcnt vmcnt(56)
	v_fma_f64 v[87:88], v[1:2], v[103:104], -v[87:88]
	v_fma_f64 v[81:82], v[3:4], v[103:104], v[81:82]
	v_add_f64 v[21:22], v[21:22], v[99:100]
	v_add_f64 v[13:14], v[13:14], v[17:18]
	s_clause 0x2
	buffer_load_dword v80, off, s[0:3], 0 offset:636
	buffer_load_dword v18, off, s[0:3], 0 offset:612
	;; [unrolled: 1-line block ×3, first 2 shown]
	s_waitcnt vmcnt(58) lgkmcnt(0)
	v_mul_f64 v[103:104], v[7:8], v[105:106]
	ds_read_b128 v[1:4], v52 offset:1248
	v_mul_f64 v[99:100], v[5:6], v[105:106]
	s_waitcnt vmcnt(56)
	v_fma_f64 v[15:16], v[9:10], v[95:96], -v[15:16]
	v_add_f64 v[21:22], v[21:22], v[87:88]
	v_fma_f64 v[87:88], v[11:12], v[95:96], v[114:115]
	v_add_f64 v[13:14], v[13:14], v[81:82]
	s_clause 0x4
	buffer_load_dword v82, off, s[0:3], 0 offset:652
	buffer_load_dword v95, off, s[0:3], 0 offset:664
	;; [unrolled: 1-line block ×5, first 2 shown]
	ds_read_b128 v[9:12], v52 offset:1264
	s_waitcnt vmcnt(57) lgkmcnt(1)
	v_mul_f64 v[114:115], v[1:2], v[33:34]
	v_mul_f64 v[33:34], v[3:4], v[33:34]
	s_waitcnt vmcnt(56)
	v_fma_f64 v[103:104], v[5:6], v[110:111], -v[103:104]
	v_add_f64 v[15:16], v[21:22], v[15:16]
	v_fma_f64 v[21:22], v[7:8], v[110:111], v[99:100]
	v_add_f64 v[13:14], v[13:14], v[87:88]
	s_clause 0x2
	buffer_load_dword v96, off, s[0:3], 0 offset:668
	buffer_load_dword v88, off, s[0:3], 0 offset:644
	;; [unrolled: 1-line block ×3, first 2 shown]
	ds_read_b128 v[5:8], v52 offset:1280
	s_waitcnt vmcnt(58) lgkmcnt(1)
	v_mul_f64 v[99:100], v[9:10], v[97:98]
	v_mul_f64 v[97:98], v[11:12], v[97:98]
	s_waitcnt vmcnt(56)
	v_fma_f64 v[33:34], v[1:2], v[27:28], -v[33:34]
	v_fma_f64 v[27:28], v[3:4], v[27:28], v[114:115]
	v_add_f64 v[15:16], v[15:16], v[103:104]
	v_add_f64 v[13:14], v[13:14], v[21:22]
	s_clause 0x4
	buffer_load_dword v22, off, s[0:3], 0 offset:684
	buffer_load_dword v103, off, s[0:3], 0 offset:696
	;; [unrolled: 1-line block ×5, first 2 shown]
	ds_read_b128 v[1:4], v52 offset:1296
	s_waitcnt vmcnt(57) lgkmcnt(1)
	v_mul_f64 v[110:111], v[5:6], v[19:20]
	v_mul_f64 v[19:20], v[7:8], v[19:20]
	s_waitcnt vmcnt(56)
	v_fma_f64 v[97:98], v[9:10], v[112:113], -v[97:98]
	v_add_f64 v[15:16], v[15:16], v[33:34]
	v_fma_f64 v[33:34], v[11:12], v[112:113], v[99:100]
	v_add_f64 v[13:14], v[13:14], v[27:28]
	s_clause 0x2
	buffer_load_dword v104, off, s[0:3], 0 offset:700
	buffer_load_dword v28, off, s[0:3], 0 offset:676
	;; [unrolled: 1-line block ×3, first 2 shown]
	ds_read_b128 v[9:12], v52 offset:1312
	s_waitcnt vmcnt(58) lgkmcnt(1)
	v_mul_f64 v[99:100], v[1:2], v[37:38]
	v_mul_f64 v[37:38], v[3:4], v[37:38]
	s_waitcnt vmcnt(56)
	v_fma_f64 v[19:20], v[5:6], v[25:26], -v[19:20]
	v_fma_f64 v[25:26], v[7:8], v[25:26], v[110:111]
	v_add_f64 v[15:16], v[15:16], v[97:98]
	v_add_f64 v[13:14], v[13:14], v[33:34]
	s_clause 0x4
	buffer_load_dword v34, off, s[0:3], 0 offset:716
	buffer_load_dword v97, off, s[0:3], 0 offset:728
	;; [unrolled: 1-line block ×5, first 2 shown]
	ds_read_b128 v[5:8], v52 offset:1328
	s_waitcnt vmcnt(57) lgkmcnt(1)
	v_mul_f64 v[112:113], v[9:10], v[23:24]
	v_mul_f64 v[23:24], v[11:12], v[23:24]
	s_waitcnt vmcnt(56)
	v_fma_f64 v[37:38], v[1:2], v[107:108], -v[37:38]
	v_add_f64 v[15:16], v[15:16], v[19:20]
	v_fma_f64 v[19:20], v[3:4], v[107:108], v[99:100]
	v_add_f64 v[13:14], v[13:14], v[25:26]
	s_clause 0x2
	buffer_load_dword v98, off, s[0:3], 0 offset:732
	buffer_load_dword v26, off, s[0:3], 0 offset:708
	;; [unrolled: 1-line block ×3, first 2 shown]
	s_waitcnt vmcnt(58) lgkmcnt(0)
	v_mul_f64 v[99:100], v[5:6], v[50:51]
	v_mul_f64 v[50:51], v[7:8], v[50:51]
	ds_read_b128 v[1:4], v52 offset:1344
	s_waitcnt vmcnt(56)
	v_fma_f64 v[23:24], v[9:10], v[31:32], -v[23:24]
	v_fma_f64 v[31:32], v[11:12], v[31:32], v[112:113]
	v_add_f64 v[15:16], v[15:16], v[37:38]
	v_add_f64 v[13:14], v[13:14], v[19:20]
	s_clause 0x4
	buffer_load_dword v20, off, s[0:3], 0 offset:748
	buffer_load_dword v37, off, s[0:3], 0 offset:760
	;; [unrolled: 1-line block ×5, first 2 shown]
	ds_read_b128 v[9:12], v52 offset:1360
	s_waitcnt vmcnt(57) lgkmcnt(1)
	v_mul_f64 v[113:114], v[1:2], v[29:30]
	v_mul_f64 v[29:30], v[3:4], v[29:30]
	s_waitcnt vmcnt(56)
	v_fma_f64 v[50:51], v[5:6], v[93:94], -v[50:51]
	v_add_f64 v[15:16], v[15:16], v[23:24]
	v_fma_f64 v[23:24], v[7:8], v[93:94], v[99:100]
	v_add_f64 v[13:14], v[13:14], v[31:32]
	s_clause 0x2
	buffer_load_dword v38, off, s[0:3], 0 offset:764
	buffer_load_dword v32, off, s[0:3], 0 offset:740
	;; [unrolled: 1-line block ×3, first 2 shown]
	s_waitcnt vmcnt(58) lgkmcnt(0)
	v_mul_f64 v[93:94], v[9:10], v[75:76]
	v_mul_f64 v[75:76], v[11:12], v[75:76]
	ds_read_b128 v[5:8], v52 offset:1376
	s_waitcnt vmcnt(56)
	v_fma_f64 v[29:30], v[1:2], v[41:42], -v[29:30]
	v_fma_f64 v[41:42], v[3:4], v[41:42], v[113:114]
	v_add_f64 v[15:16], v[15:16], v[50:51]
	v_add_f64 v[13:14], v[13:14], v[23:24]
	s_clause 0x4
	buffer_load_dword v24, off, s[0:3], 0 offset:780
	buffer_load_dword v50, off, s[0:3], 0 offset:792
	;; [unrolled: 1-line block ×5, first 2 shown]
	ds_read_b128 v[1:4], v52 offset:1392
	s_waitcnt vmcnt(57) lgkmcnt(1)
	v_mul_f64 v[113:114], v[5:6], v[35:36]
	v_mul_f64 v[35:36], v[7:8], v[35:36]
	s_waitcnt vmcnt(56)
	v_fma_f64 v[75:76], v[9:10], v[77:78], -v[75:76]
	v_add_f64 v[15:16], v[15:16], v[29:30]
	v_fma_f64 v[29:30], v[11:12], v[77:78], v[93:94]
	v_add_f64 v[13:14], v[13:14], v[41:42]
	s_clause 0x2
	buffer_load_dword v51, off, s[0:3], 0 offset:796
	buffer_load_dword v42, off, s[0:3], 0 offset:772
	;; [unrolled: 1-line block ×3, first 2 shown]
	ds_read_b128 v[9:12], v52 offset:1408
	s_waitcnt vmcnt(58) lgkmcnt(1)
	v_mul_f64 v[77:78], v[1:2], v[83:84]
	v_mul_f64 v[83:84], v[3:4], v[83:84]
	s_waitcnt vmcnt(56)
	v_fma_f64 v[35:36], v[5:6], v[39:40], -v[35:36]
	v_fma_f64 v[39:40], v[7:8], v[39:40], v[113:114]
	v_add_f64 v[15:16], v[15:16], v[75:76]
	v_add_f64 v[13:14], v[13:14], v[29:30]
	s_clause 0x4
	buffer_load_dword v30, off, s[0:3], 0 offset:812
	buffer_load_dword v75, off, s[0:3], 0 offset:824
	;; [unrolled: 1-line block ×5, first 2 shown]
	ds_read_b128 v[5:8], v52 offset:1424
	s_waitcnt vmcnt(57) lgkmcnt(1)
	v_mul_f64 v[113:114], v[9:10], v[48:49]
	v_mul_f64 v[48:49], v[11:12], v[48:49]
	s_waitcnt vmcnt(56)
	v_fma_f64 v[83:84], v[1:2], v[85:86], -v[83:84]
	v_add_f64 v[15:16], v[15:16], v[35:36]
	v_fma_f64 v[35:36], v[3:4], v[85:86], v[77:78]
	v_add_f64 v[13:14], v[13:14], v[39:40]
	s_clause 0x2
	buffer_load_dword v76, off, s[0:3], 0 offset:828
	buffer_load_dword v40, off, s[0:3], 0 offset:804
	;; [unrolled: 1-line block ×3, first 2 shown]
	ds_read_b128 v[1:4], v52 offset:1440
	s_waitcnt vmcnt(58) lgkmcnt(1)
	v_mul_f64 v[85:86], v[7:8], v[89:90]
	v_mul_f64 v[77:78], v[5:6], v[89:90]
	s_waitcnt vmcnt(56)
	v_fma_f64 v[48:49], v[9:10], v[65:66], -v[48:49]
	v_fma_f64 v[65:66], v[11:12], v[65:66], v[113:114]
	v_add_f64 v[15:16], v[15:16], v[83:84]
	v_add_f64 v[13:14], v[13:14], v[35:36]
	s_clause 0x4
	buffer_load_dword v36, off, s[0:3], 0 offset:844
	buffer_load_dword v83, off, s[0:3], 0 offset:856
	;; [unrolled: 1-line block ×5, first 2 shown]
	ds_read_b128 v[9:12], v52 offset:1456
	s_waitcnt vmcnt(57) lgkmcnt(1)
	v_mul_f64 v[113:114], v[1:2], v[67:68]
	v_mul_f64 v[67:68], v[3:4], v[67:68]
	s_waitcnt vmcnt(56)
	v_fma_f64 v[85:86], v[5:6], v[91:92], -v[85:86]
	v_add_f64 v[15:16], v[15:16], v[48:49]
	v_fma_f64 v[48:49], v[7:8], v[91:92], v[77:78]
	v_add_f64 v[13:14], v[13:14], v[65:66]
	s_clause 0x2
	buffer_load_dword v84, off, s[0:3], 0 offset:860
	buffer_load_dword v66, off, s[0:3], 0 offset:836
	;; [unrolled: 1-line block ×3, first 2 shown]
	ds_read_b128 v[5:8], v52 offset:1472
	buffer_load_dword v90, off, s[0:3], 0 offset:852
	s_waitcnt vmcnt(59) lgkmcnt(1)
	v_mul_f64 v[77:78], v[9:10], v[79:80]
	v_mul_f64 v[79:80], v[11:12], v[79:80]
	s_waitcnt vmcnt(57)
	v_fma_f64 v[67:68], v[1:2], v[17:18], -v[67:68]
	v_fma_f64 v[17:18], v[3:4], v[17:18], v[113:114]
	ds_read_b128 v[1:4], v52 offset:1488
	v_add_f64 v[15:16], v[15:16], v[85:86]
	v_add_f64 v[13:14], v[13:14], v[48:49]
	s_waitcnt vmcnt(53) lgkmcnt(1)
	v_mul_f64 v[48:49], v[5:6], v[81:82]
	v_mul_f64 v[81:82], v[7:8], v[81:82]
	s_waitcnt vmcnt(52)
	v_fma_f64 v[79:80], v[9:10], v[101:102], -v[79:80]
	v_add_f64 v[15:16], v[15:16], v[67:68]
	v_fma_f64 v[67:68], v[11:12], v[101:102], v[77:78]
	v_add_f64 v[13:14], v[13:14], v[17:18]
	ds_read_b128 v[9:12], v52 offset:1504
	s_waitcnt vmcnt(51) lgkmcnt(1)
	v_mul_f64 v[77:78], v[3:4], v[95:96]
	v_mul_f64 v[17:18], v[1:2], v[95:96]
	s_waitcnt vmcnt(49)
	v_fma_f64 v[81:82], v[5:6], v[87:88], -v[81:82]
	v_fma_f64 v[48:49], v[7:8], v[87:88], v[48:49]
	v_add_f64 v[15:16], v[15:16], v[79:80]
	v_add_f64 v[13:14], v[13:14], v[67:68]
	s_clause 0x3
	buffer_load_dword v67, off, s[0:3], 0 offset:96
	buffer_load_dword v68, off, s[0:3], 0 offset:100
	;; [unrolled: 1-line block ×4, first 2 shown]
	ds_read_b128 v[5:8], v52 offset:1520
	s_waitcnt vmcnt(49) lgkmcnt(1)
	v_mul_f64 v[85:86], v[9:10], v[21:22]
	v_mul_f64 v[21:22], v[11:12], v[21:22]
	s_waitcnt vmcnt(48)
	v_fma_f64 v[77:78], v[1:2], v[105:106], -v[77:78]
	v_fma_f64 v[17:18], v[3:4], v[105:106], v[17:18]
	ds_read_b128 v[1:4], v52 offset:1536
	v_add_f64 v[15:16], v[15:16], v[81:82]
	v_add_f64 v[13:14], v[13:14], v[48:49]
	s_waitcnt vmcnt(47) lgkmcnt(1)
	v_mul_f64 v[81:82], v[7:8], v[103:104]
	v_mul_f64 v[48:49], v[5:6], v[103:104]
	s_waitcnt vmcnt(45)
	v_fma_f64 v[21:22], v[9:10], v[27:28], -v[21:22]
	v_fma_f64 v[27:28], v[11:12], v[27:28], v[85:86]
	ds_read_b128 v[9:12], v52 offset:1552
	v_add_f64 v[15:16], v[15:16], v[77:78]
	v_add_f64 v[13:14], v[13:14], v[17:18]
	s_waitcnt vmcnt(41) lgkmcnt(1)
	v_mul_f64 v[17:18], v[1:2], v[33:34]
	v_mul_f64 v[33:34], v[3:4], v[33:34]
	s_waitcnt vmcnt(40)
	v_fma_f64 v[77:78], v[5:6], v[109:110], -v[81:82]
	v_add_f64 v[15:16], v[15:16], v[21:22]
	v_fma_f64 v[21:22], v[7:8], v[109:110], v[48:49]
	v_add_f64 v[13:14], v[13:14], v[27:28]
	ds_read_b128 v[5:8], v52 offset:1568
	s_waitcnt vmcnt(39) lgkmcnt(1)
	v_mul_f64 v[48:49], v[11:12], v[97:98]
	v_mul_f64 v[27:28], v[9:10], v[97:98]
	s_waitcnt vmcnt(37)
	v_fma_f64 v[33:34], v[1:2], v[25:26], -v[33:34]
	v_fma_f64 v[17:18], v[3:4], v[25:26], v[17:18]
	ds_read_b128 v[1:4], v52 offset:1584
	v_add_f64 v[15:16], v[15:16], v[77:78]
	v_add_f64 v[13:14], v[13:14], v[21:22]
	s_waitcnt vmcnt(33) lgkmcnt(1)
	v_mul_f64 v[21:22], v[5:6], v[19:20]
	v_mul_f64 v[19:20], v[7:8], v[19:20]
	s_waitcnt vmcnt(32)
	v_fma_f64 v[25:26], v[9:10], v[111:112], -v[48:49]
	v_fma_f64 v[27:28], v[11:12], v[111:112], v[27:28]
	ds_read_b128 v[9:12], v52 offset:1600
	v_add_f64 v[15:16], v[15:16], v[33:34]
	v_add_f64 v[13:14], v[13:14], v[17:18]
	;; [unrolled: 9-line block ×5, first 2 shown]
	s_waitcnt vmcnt(17) lgkmcnt(1)
	v_mul_f64 v[27:28], v[3:4], v[29:30]
	s_waitcnt vmcnt(16)
	v_fma_f64 v[21:22], v[5:6], v[99:100], -v[21:22]
	v_mul_f64 v[17:18], v[1:2], v[29:30]
	v_fma_f64 v[19:20], v[7:8], v[99:100], v[19:20]
	ds_read_b128 v[5:8], v52 offset:1664
	v_add_f64 v[15:16], v[15:16], v[23:24]
	v_add_f64 v[13:14], v[13:14], v[25:26]
	s_waitcnt vmcnt(15) lgkmcnt(1)
	v_mul_f64 v[25:26], v[11:12], v[75:76]
	v_mul_f64 v[23:24], v[9:10], v[75:76]
	s_waitcnt vmcnt(13)
	v_fma_f64 v[27:28], v[1:2], v[39:40], -v[27:28]
	v_fma_f64 v[17:18], v[3:4], v[39:40], v[17:18]
	ds_read_b128 v[1:4], v52 offset:1680
	v_add_f64 v[15:16], v[15:16], v[21:22]
	v_add_f64 v[13:14], v[13:14], v[19:20]
	s_waitcnt vmcnt(9) lgkmcnt(1)
	v_mul_f64 v[21:22], v[7:8], v[35:36]
	s_waitcnt vmcnt(8)
	v_fma_f64 v[9:10], v[9:10], v[93:94], -v[25:26]
	v_mul_f64 v[19:20], v[5:6], v[35:36]
	v_fma_f64 v[11:12], v[11:12], v[93:94], v[23:24]
	v_add_f64 v[15:16], v[15:16], v[27:28]
	v_add_f64 v[13:14], v[13:14], v[17:18]
	s_waitcnt vmcnt(7) lgkmcnt(0)
	v_mul_f64 v[23:24], v[3:4], v[83:84]
	v_mul_f64 v[17:18], v[1:2], v[83:84]
	s_waitcnt vmcnt(5)
	v_fma_f64 v[5:6], v[5:6], v[65:66], -v[21:22]
	v_fma_f64 v[7:8], v[7:8], v[65:66], v[19:20]
	v_add_f64 v[9:10], v[15:16], v[9:10]
	v_add_f64 v[11:12], v[13:14], v[11:12]
	s_waitcnt vmcnt(4)
	v_fma_f64 v[1:2], v[1:2], v[89:90], -v[23:24]
	v_fma_f64 v[3:4], v[3:4], v[89:90], v[17:18]
	v_add_f64 v[5:6], v[9:10], v[5:6]
	v_add_f64 v[7:8], v[11:12], v[7:8]
	v_add_f64 v[1:2], v[5:6], v[1:2]
	v_add_f64 v[3:4], v[7:8], v[3:4]
	s_waitcnt vmcnt(2)
	v_add_f64 v[1:2], v[67:68], -v[1:2]
	s_waitcnt vmcnt(0)
	v_add_f64 v[3:4], v[79:80], -v[3:4]
	buffer_store_dword v2, off, s[0:3], 0 offset:100
	buffer_store_dword v1, off, s[0:3], 0 offset:96
	;; [unrolled: 1-line block ×4, first 2 shown]
	v_cmpx_lt_u32_e32 4, v0
	s_cbranch_execz .LBB52_323
; %bb.322:
	v_mov_b32_e32 v4, s61
	s_clause 0x3
	buffer_load_dword v1, v4, s[0:3], 0 offen
	buffer_load_dword v2, v4, s[0:3], 0 offen offset:4
	buffer_load_dword v3, v4, s[0:3], 0 offen offset:8
	;; [unrolled: 1-line block ×3, first 2 shown]
	buffer_store_dword v52, off, s[0:3], 0 offset:80
	buffer_store_dword v52, off, s[0:3], 0 offset:84
	buffer_store_dword v52, off, s[0:3], 0 offset:88
	buffer_store_dword v52, off, s[0:3], 0 offset:92
	s_waitcnt vmcnt(0)
	ds_write_b128 v43, v[1:4]
.LBB52_323:
	s_or_b32 exec_lo, exec_lo, s4
	s_waitcnt lgkmcnt(0)
	s_waitcnt_vscnt null, 0x0
	s_barrier
	buffer_gl0_inv
	s_clause 0x37
	buffer_load_dword v17, off, s[0:3], 0 offset:104
	buffer_load_dword v18, off, s[0:3], 0 offset:108
	;; [unrolled: 1-line block ×56, first 2 shown]
	ds_read_b128 v[5:8], v52 offset:928
	s_clause 0x2
	buffer_load_dword v90, off, s[0:3], 0 offset:332
	buffer_load_dword v92, off, s[0:3], 0 offset:308
	;; [unrolled: 1-line block ×3, first 2 shown]
	ds_read_b128 v[1:4], v52 offset:944
	s_clause 0x4
	buffer_load_dword v100, off, s[0:3], 0 offset:348
	buffer_load_dword v101, off, s[0:3], 0 offset:360
	;; [unrolled: 1-line block ×5, first 2 shown]
	ds_read_b128 v[93:96], v52 offset:960
	s_mov_b32 s4, exec_lo
	s_waitcnt vmcnt(62) lgkmcnt(2)
	v_mul_f64 v[97:98], v[7:8], v[17:18]
	v_mul_f64 v[17:18], v[5:6], v[17:18]
	s_waitcnt vmcnt(60) lgkmcnt(1)
	v_mul_f64 v[104:105], v[3:4], v[13:14]
	v_mul_f64 v[13:14], v[1:2], v[13:14]
	;; [unrolled: 3-line block ×3, first 2 shown]
	v_fma_f64 v[97:98], v[5:6], v[15:16], -v[97:98]
	v_fma_f64 v[15:16], v[7:8], v[15:16], v[17:18]
	s_clause 0x2
	buffer_load_dword v102, off, s[0:3], 0 offset:364
	buffer_load_dword v18, off, s[0:3], 0 offset:340
	;; [unrolled: 1-line block ×3, first 2 shown]
	s_waitcnt vmcnt(57)
	v_fma_f64 v[108:109], v[1:2], v[9:10], -v[104:105]
	ds_read_b128 v[5:8], v52 offset:976
	v_fma_f64 v[9:10], v[3:4], v[9:10], v[13:14]
	s_waitcnt vmcnt(51)
	v_fma_f64 v[93:94], v[93:94], v[33:34], -v[11:12]
	v_fma_f64 v[33:34], v[95:96], v[33:34], v[106:107]
	v_add_f64 v[97:98], v[97:98], 0
	v_add_f64 v[13:14], v[15:16], 0
	s_clause 0x4
	buffer_load_dword v16, off, s[0:3], 0 offset:380
	buffer_load_dword v105, off, s[0:3], 0 offset:392
	;; [unrolled: 1-line block ×5, first 2 shown]
	s_waitcnt lgkmcnt(0)
	v_mul_f64 v[111:112], v[5:6], v[21:22]
	v_mul_f64 v[21:22], v[7:8], v[21:22]
	ds_read_b128 v[1:4], v52 offset:992
	s_clause 0x2
	buffer_load_dword v106, off, s[0:3], 0 offset:396
	buffer_load_dword v96, off, s[0:3], 0 offset:372
	;; [unrolled: 1-line block ×3, first 2 shown]
	v_add_f64 v[97:98], v[97:98], v[108:109]
	v_add_f64 v[13:14], v[13:14], v[9:10]
	ds_read_b128 v[9:12], v52 offset:1008
	s_waitcnt vmcnt(58) lgkmcnt(1)
	v_mul_f64 v[107:108], v[1:2], v[25:26]
	v_mul_f64 v[25:26], v[3:4], v[25:26]
	s_waitcnt vmcnt(56)
	v_fma_f64 v[21:22], v[5:6], v[27:28], -v[21:22]
	v_fma_f64 v[27:28], v[7:8], v[27:28], v[111:112]
	s_waitcnt vmcnt(52) lgkmcnt(0)
	v_mul_f64 v[113:114], v[9:10], v[29:30]
	v_add_f64 v[93:94], v[97:98], v[93:94]
	v_add_f64 v[13:14], v[13:14], v[33:34]
	s_clause 0x4
	buffer_load_dword v34, off, s[0:3], 0 offset:412
	buffer_load_dword v97, off, s[0:3], 0 offset:424
	;; [unrolled: 1-line block ×5, first 2 shown]
	v_mul_f64 v[29:30], v[11:12], v[29:30]
	s_waitcnt vmcnt(56)
	v_fma_f64 v[25:26], v[1:2], v[19:20], -v[25:26]
	ds_read_b128 v[5:8], v52 offset:1024
	v_fma_f64 v[19:20], v[3:4], v[19:20], v[107:108]
	v_add_f64 v[21:22], v[93:94], v[21:22]
	v_add_f64 v[13:14], v[13:14], v[27:28]
	s_clause 0x2
	buffer_load_dword v98, off, s[0:3], 0 offset:428
	buffer_load_dword v28, off, s[0:3], 0 offset:404
	;; [unrolled: 1-line block ×3, first 2 shown]
	s_waitcnt vmcnt(58) lgkmcnt(0)
	v_mul_f64 v[93:94], v[5:6], v[35:36]
	v_mul_f64 v[35:36], v[7:8], v[35:36]
	s_waitcnt vmcnt(56)
	v_fma_f64 v[29:30], v[9:10], v[37:38], -v[29:30]
	ds_read_b128 v[1:4], v52 offset:1040
	v_add_f64 v[21:22], v[21:22], v[25:26]
	v_fma_f64 v[25:26], v[11:12], v[37:38], v[113:114]
	v_add_f64 v[13:14], v[13:14], v[19:20]
	s_clause 0x4
	buffer_load_dword v20, off, s[0:3], 0 offset:444
	buffer_load_dword v37, off, s[0:3], 0 offset:456
	;; [unrolled: 1-line block ×5, first 2 shown]
	s_waitcnt vmcnt(57) lgkmcnt(0)
	v_mul_f64 v[108:109], v[1:2], v[39:40]
	v_mul_f64 v[39:40], v[3:4], v[39:40]
	s_waitcnt vmcnt(56)
	v_fma_f64 v[35:36], v[5:6], v[23:24], -v[35:36]
	ds_read_b128 v[9:12], v52 offset:1056
	v_fma_f64 v[23:24], v[7:8], v[23:24], v[93:94]
	v_add_f64 v[21:22], v[21:22], v[29:30]
	v_add_f64 v[13:14], v[13:14], v[25:26]
	s_clause 0x2
	buffer_load_dword v38, off, s[0:3], 0 offset:460
	buffer_load_dword v26, off, s[0:3], 0 offset:436
	;; [unrolled: 1-line block ×3, first 2 shown]
	ds_read_b128 v[5:8], v52 offset:1072
	s_waitcnt vmcnt(58) lgkmcnt(1)
	v_mul_f64 v[29:30], v[9:10], v[48:49]
	v_mul_f64 v[48:49], v[11:12], v[48:49]
	s_waitcnt vmcnt(56)
	v_fma_f64 v[39:40], v[1:2], v[50:51], -v[39:40]
	v_add_f64 v[21:22], v[21:22], v[35:36]
	v_fma_f64 v[35:36], v[3:4], v[50:51], v[108:109]
	v_add_f64 v[13:14], v[13:14], v[23:24]
	s_clause 0x4
	buffer_load_dword v24, off, s[0:3], 0 offset:476
	buffer_load_dword v50, off, s[0:3], 0 offset:488
	;; [unrolled: 1-line block ×5, first 2 shown]
	s_waitcnt vmcnt(57) lgkmcnt(0)
	v_mul_f64 v[114:115], v[5:6], v[65:66]
	v_mul_f64 v[65:66], v[7:8], v[65:66]
	s_waitcnt vmcnt(56)
	v_fma_f64 v[48:49], v[9:10], v[31:32], -v[48:49]
	ds_read_b128 v[1:4], v52 offset:1088
	v_fma_f64 v[29:30], v[11:12], v[31:32], v[29:30]
	s_clause 0x2
	buffer_load_dword v51, off, s[0:3], 0 offset:492
	buffer_load_dword v32, off, s[0:3], 0 offset:468
	buffer_load_dword v31, off, s[0:3], 0 offset:464
	ds_read_b128 v[9:12], v52 offset:1104
	v_add_f64 v[21:22], v[21:22], v[39:40]
	v_add_f64 v[13:14], v[13:14], v[35:36]
	s_waitcnt vmcnt(58) lgkmcnt(1)
	v_mul_f64 v[39:40], v[3:4], v[75:76]
	s_waitcnt vmcnt(56)
	v_fma_f64 v[65:66], v[5:6], v[77:78], -v[65:66]
	v_mul_f64 v[35:36], v[1:2], v[75:76]
	v_add_f64 v[21:22], v[21:22], v[48:49]
	v_fma_f64 v[48:49], v[7:8], v[77:78], v[114:115]
	v_add_f64 v[13:14], v[13:14], v[29:30]
	s_clause 0x4
	buffer_load_dword v30, off, s[0:3], 0 offset:508
	buffer_load_dword v75, off, s[0:3], 0 offset:520
	;; [unrolled: 1-line block ×5, first 2 shown]
	s_waitcnt vmcnt(57) lgkmcnt(0)
	v_mul_f64 v[114:115], v[9:10], v[79:80]
	v_mul_f64 v[78:79], v[11:12], v[79:80]
	s_waitcnt vmcnt(56)
	v_fma_f64 v[39:40], v[1:2], v[41:42], -v[39:40]
	ds_read_b128 v[5:8], v52 offset:1120
	v_fma_f64 v[35:36], v[3:4], v[41:42], v[35:36]
	s_clause 0x2
	buffer_load_dword v76, off, s[0:3], 0 offset:524
	buffer_load_dword v42, off, s[0:3], 0 offset:500
	;; [unrolled: 1-line block ×3, first 2 shown]
	ds_read_b128 v[1:4], v52 offset:1136
	v_add_f64 v[21:22], v[21:22], v[65:66]
	v_add_f64 v[13:14], v[13:14], v[48:49]
	s_waitcnt vmcnt(58) lgkmcnt(1)
	v_mul_f64 v[65:66], v[7:8], v[83:84]
	s_waitcnt vmcnt(56)
	v_fma_f64 v[79:80], v[9:10], v[85:86], -v[78:79]
	v_mul_f64 v[48:49], v[5:6], v[83:84]
	v_add_f64 v[21:22], v[21:22], v[39:40]
	v_fma_f64 v[39:40], v[11:12], v[85:86], v[114:115]
	v_add_f64 v[13:14], v[13:14], v[35:36]
	s_clause 0x4
	buffer_load_dword v36, off, s[0:3], 0 offset:540
	buffer_load_dword v83, off, s[0:3], 0 offset:552
	;; [unrolled: 1-line block ×5, first 2 shown]
	s_waitcnt vmcnt(57) lgkmcnt(0)
	v_mul_f64 v[114:115], v[1:2], v[87:88]
	v_mul_f64 v[86:87], v[3:4], v[87:88]
	s_waitcnt vmcnt(56)
	v_fma_f64 v[65:66], v[5:6], v[67:68], -v[65:66]
	ds_read_b128 v[9:12], v52 offset:1152
	v_fma_f64 v[48:49], v[7:8], v[67:68], v[48:49]
	v_add_f64 v[21:22], v[21:22], v[79:80]
	v_add_f64 v[13:14], v[13:14], v[39:40]
	s_clause 0x2
	buffer_load_dword v84, off, s[0:3], 0 offset:556
	buffer_load_dword v40, off, s[0:3], 0 offset:532
	buffer_load_dword v39, off, s[0:3], 0 offset:528
	ds_read_b128 v[5:8], v52 offset:1168
	s_waitcnt vmcnt(58) lgkmcnt(1)
	v_mul_f64 v[79:80], v[11:12], v[89:90]
	s_waitcnt vmcnt(56)
	v_fma_f64 v[87:88], v[1:2], v[91:92], -v[86:87]
	v_mul_f64 v[67:68], v[9:10], v[89:90]
	v_add_f64 v[21:22], v[21:22], v[65:66]
	v_fma_f64 v[65:66], v[3:4], v[91:92], v[114:115]
	v_add_f64 v[13:14], v[13:14], v[48:49]
	s_clause 0x4
	buffer_load_dword v49, off, s[0:3], 0 offset:572
	buffer_load_dword v89, off, s[0:3], 0 offset:584
	;; [unrolled: 1-line block ×5, first 2 shown]
	s_waitcnt vmcnt(57) lgkmcnt(0)
	v_mul_f64 v[114:115], v[5:6], v[99:100]
	v_mul_f64 v[99:100], v[7:8], v[99:100]
	s_waitcnt vmcnt(56)
	v_fma_f64 v[79:80], v[9:10], v[81:82], -v[79:80]
	ds_read_b128 v[1:4], v52 offset:1184
	v_fma_f64 v[67:68], v[11:12], v[81:82], v[67:68]
	v_add_f64 v[21:22], v[21:22], v[87:88]
	v_add_f64 v[13:14], v[13:14], v[65:66]
	s_clause 0x2
	buffer_load_dword v90, off, s[0:3], 0 offset:588
	buffer_load_dword v66, off, s[0:3], 0 offset:564
	;; [unrolled: 1-line block ×3, first 2 shown]
	ds_read_b128 v[9:12], v52 offset:1200
	s_waitcnt vmcnt(58) lgkmcnt(1)
	v_mul_f64 v[87:88], v[3:4], v[101:102]
	v_mul_f64 v[81:82], v[1:2], v[101:102]
	s_waitcnt vmcnt(56)
	v_fma_f64 v[99:100], v[5:6], v[17:18], -v[99:100]
	v_fma_f64 v[17:18], v[7:8], v[17:18], v[114:115]
	v_add_f64 v[21:22], v[21:22], v[79:80]
	v_add_f64 v[13:14], v[13:14], v[67:68]
	s_clause 0x4
	buffer_load_dword v68, off, s[0:3], 0 offset:604
	buffer_load_dword v79, off, s[0:3], 0 offset:616
	;; [unrolled: 1-line block ×5, first 2 shown]
	ds_read_b128 v[5:8], v52 offset:1216
	s_waitcnt vmcnt(57) lgkmcnt(1)
	v_mul_f64 v[114:115], v[9:10], v[15:16]
	v_mul_f64 v[15:16], v[11:12], v[15:16]
	s_waitcnt vmcnt(56)
	v_fma_f64 v[87:88], v[1:2], v[103:104], -v[87:88]
	v_fma_f64 v[81:82], v[3:4], v[103:104], v[81:82]
	v_add_f64 v[21:22], v[21:22], v[99:100]
	v_add_f64 v[13:14], v[13:14], v[17:18]
	s_clause 0x2
	buffer_load_dword v80, off, s[0:3], 0 offset:620
	buffer_load_dword v18, off, s[0:3], 0 offset:596
	;; [unrolled: 1-line block ×3, first 2 shown]
	s_waitcnt vmcnt(58) lgkmcnt(0)
	v_mul_f64 v[103:104], v[7:8], v[105:106]
	ds_read_b128 v[1:4], v52 offset:1232
	v_mul_f64 v[99:100], v[5:6], v[105:106]
	s_waitcnt vmcnt(56)
	v_fma_f64 v[15:16], v[9:10], v[95:96], -v[15:16]
	v_add_f64 v[21:22], v[21:22], v[87:88]
	v_fma_f64 v[87:88], v[11:12], v[95:96], v[114:115]
	v_add_f64 v[13:14], v[13:14], v[81:82]
	s_clause 0x4
	buffer_load_dword v82, off, s[0:3], 0 offset:636
	buffer_load_dword v95, off, s[0:3], 0 offset:648
	buffer_load_dword v105, off, s[0:3], 0 offset:640
	buffer_load_dword v81, off, s[0:3], 0 offset:632
	buffer_load_dword v102, off, s[0:3], 0 offset:612
	ds_read_b128 v[9:12], v52 offset:1248
	s_waitcnt vmcnt(57) lgkmcnt(1)
	v_mul_f64 v[114:115], v[1:2], v[33:34]
	v_mul_f64 v[33:34], v[3:4], v[33:34]
	s_waitcnt vmcnt(56)
	v_fma_f64 v[103:104], v[5:6], v[110:111], -v[103:104]
	v_add_f64 v[15:16], v[21:22], v[15:16]
	v_fma_f64 v[21:22], v[7:8], v[110:111], v[99:100]
	v_add_f64 v[13:14], v[13:14], v[87:88]
	s_clause 0x2
	buffer_load_dword v96, off, s[0:3], 0 offset:652
	buffer_load_dword v88, off, s[0:3], 0 offset:628
	;; [unrolled: 1-line block ×3, first 2 shown]
	ds_read_b128 v[5:8], v52 offset:1264
	s_waitcnt vmcnt(58) lgkmcnt(1)
	v_mul_f64 v[99:100], v[9:10], v[97:98]
	v_mul_f64 v[97:98], v[11:12], v[97:98]
	s_waitcnt vmcnt(56)
	v_fma_f64 v[33:34], v[1:2], v[27:28], -v[33:34]
	v_fma_f64 v[27:28], v[3:4], v[27:28], v[114:115]
	v_add_f64 v[15:16], v[15:16], v[103:104]
	v_add_f64 v[13:14], v[13:14], v[21:22]
	s_clause 0x4
	buffer_load_dword v22, off, s[0:3], 0 offset:668
	buffer_load_dword v103, off, s[0:3], 0 offset:680
	buffer_load_dword v109, off, s[0:3], 0 offset:672
	buffer_load_dword v21, off, s[0:3], 0 offset:664
	buffer_load_dword v106, off, s[0:3], 0 offset:644
	ds_read_b128 v[1:4], v52 offset:1280
	s_waitcnt vmcnt(57) lgkmcnt(1)
	v_mul_f64 v[110:111], v[5:6], v[19:20]
	v_mul_f64 v[19:20], v[7:8], v[19:20]
	s_waitcnt vmcnt(56)
	v_fma_f64 v[97:98], v[9:10], v[112:113], -v[97:98]
	v_add_f64 v[15:16], v[15:16], v[33:34]
	v_fma_f64 v[33:34], v[11:12], v[112:113], v[99:100]
	v_add_f64 v[13:14], v[13:14], v[27:28]
	s_clause 0x2
	buffer_load_dword v104, off, s[0:3], 0 offset:684
	buffer_load_dword v28, off, s[0:3], 0 offset:660
	;; [unrolled: 1-line block ×3, first 2 shown]
	ds_read_b128 v[9:12], v52 offset:1296
	s_waitcnt vmcnt(58) lgkmcnt(1)
	v_mul_f64 v[99:100], v[1:2], v[37:38]
	v_mul_f64 v[37:38], v[3:4], v[37:38]
	s_waitcnt vmcnt(56)
	v_fma_f64 v[19:20], v[5:6], v[25:26], -v[19:20]
	v_fma_f64 v[25:26], v[7:8], v[25:26], v[110:111]
	v_add_f64 v[15:16], v[15:16], v[97:98]
	v_add_f64 v[13:14], v[13:14], v[33:34]
	s_clause 0x4
	buffer_load_dword v34, off, s[0:3], 0 offset:700
	buffer_load_dword v97, off, s[0:3], 0 offset:712
	;; [unrolled: 1-line block ×5, first 2 shown]
	ds_read_b128 v[5:8], v52 offset:1312
	s_waitcnt vmcnt(57) lgkmcnt(1)
	v_mul_f64 v[112:113], v[9:10], v[23:24]
	v_mul_f64 v[23:24], v[11:12], v[23:24]
	s_waitcnt vmcnt(56)
	v_fma_f64 v[37:38], v[1:2], v[107:108], -v[37:38]
	v_add_f64 v[15:16], v[15:16], v[19:20]
	v_fma_f64 v[19:20], v[3:4], v[107:108], v[99:100]
	v_add_f64 v[13:14], v[13:14], v[25:26]
	s_clause 0x2
	buffer_load_dword v98, off, s[0:3], 0 offset:716
	buffer_load_dword v26, off, s[0:3], 0 offset:692
	;; [unrolled: 1-line block ×3, first 2 shown]
	s_waitcnt vmcnt(58) lgkmcnt(0)
	v_mul_f64 v[99:100], v[5:6], v[50:51]
	v_mul_f64 v[50:51], v[7:8], v[50:51]
	ds_read_b128 v[1:4], v52 offset:1328
	s_waitcnt vmcnt(56)
	v_fma_f64 v[23:24], v[9:10], v[31:32], -v[23:24]
	v_fma_f64 v[31:32], v[11:12], v[31:32], v[112:113]
	v_add_f64 v[15:16], v[15:16], v[37:38]
	v_add_f64 v[13:14], v[13:14], v[19:20]
	s_clause 0x4
	buffer_load_dword v20, off, s[0:3], 0 offset:732
	buffer_load_dword v37, off, s[0:3], 0 offset:744
	;; [unrolled: 1-line block ×5, first 2 shown]
	ds_read_b128 v[9:12], v52 offset:1344
	s_waitcnt vmcnt(57) lgkmcnt(1)
	v_mul_f64 v[113:114], v[1:2], v[29:30]
	v_mul_f64 v[29:30], v[3:4], v[29:30]
	s_waitcnt vmcnt(56)
	v_fma_f64 v[50:51], v[5:6], v[93:94], -v[50:51]
	v_add_f64 v[15:16], v[15:16], v[23:24]
	v_fma_f64 v[23:24], v[7:8], v[93:94], v[99:100]
	v_add_f64 v[13:14], v[13:14], v[31:32]
	s_clause 0x2
	buffer_load_dword v38, off, s[0:3], 0 offset:748
	buffer_load_dword v32, off, s[0:3], 0 offset:724
	buffer_load_dword v31, off, s[0:3], 0 offset:720
	s_waitcnt vmcnt(58) lgkmcnt(0)
	v_mul_f64 v[93:94], v[9:10], v[75:76]
	v_mul_f64 v[75:76], v[11:12], v[75:76]
	ds_read_b128 v[5:8], v52 offset:1360
	s_waitcnt vmcnt(56)
	v_fma_f64 v[29:30], v[1:2], v[41:42], -v[29:30]
	v_fma_f64 v[41:42], v[3:4], v[41:42], v[113:114]
	v_add_f64 v[15:16], v[15:16], v[50:51]
	v_add_f64 v[13:14], v[13:14], v[23:24]
	s_clause 0x4
	buffer_load_dword v24, off, s[0:3], 0 offset:764
	buffer_load_dword v50, off, s[0:3], 0 offset:776
	buffer_load_dword v99, off, s[0:3], 0 offset:768
	buffer_load_dword v23, off, s[0:3], 0 offset:760
	buffer_load_dword v108, off, s[0:3], 0 offset:740
	ds_read_b128 v[1:4], v52 offset:1376
	s_waitcnt vmcnt(57) lgkmcnt(1)
	v_mul_f64 v[113:114], v[5:6], v[35:36]
	v_mul_f64 v[35:36], v[7:8], v[35:36]
	s_waitcnt vmcnt(56)
	v_fma_f64 v[75:76], v[9:10], v[77:78], -v[75:76]
	v_add_f64 v[15:16], v[15:16], v[29:30]
	v_fma_f64 v[29:30], v[11:12], v[77:78], v[93:94]
	v_add_f64 v[13:14], v[13:14], v[41:42]
	s_clause 0x2
	buffer_load_dword v51, off, s[0:3], 0 offset:780
	buffer_load_dword v42, off, s[0:3], 0 offset:756
	buffer_load_dword v41, off, s[0:3], 0 offset:752
	ds_read_b128 v[9:12], v52 offset:1392
	s_waitcnt vmcnt(58) lgkmcnt(1)
	v_mul_f64 v[77:78], v[1:2], v[83:84]
	v_mul_f64 v[83:84], v[3:4], v[83:84]
	s_waitcnt vmcnt(56)
	v_fma_f64 v[35:36], v[5:6], v[39:40], -v[35:36]
	v_fma_f64 v[39:40], v[7:8], v[39:40], v[113:114]
	v_add_f64 v[15:16], v[15:16], v[75:76]
	v_add_f64 v[13:14], v[13:14], v[29:30]
	s_clause 0x4
	buffer_load_dword v30, off, s[0:3], 0 offset:796
	buffer_load_dword v75, off, s[0:3], 0 offset:808
	buffer_load_dword v93, off, s[0:3], 0 offset:800
	buffer_load_dword v29, off, s[0:3], 0 offset:792
	buffer_load_dword v100, off, s[0:3], 0 offset:772
	ds_read_b128 v[5:8], v52 offset:1408
	s_waitcnt vmcnt(57) lgkmcnt(1)
	v_mul_f64 v[113:114], v[9:10], v[48:49]
	v_mul_f64 v[48:49], v[11:12], v[48:49]
	s_waitcnt vmcnt(56)
	v_fma_f64 v[83:84], v[1:2], v[85:86], -v[83:84]
	v_add_f64 v[15:16], v[15:16], v[35:36]
	v_fma_f64 v[35:36], v[3:4], v[85:86], v[77:78]
	v_add_f64 v[13:14], v[13:14], v[39:40]
	s_clause 0x2
	buffer_load_dword v76, off, s[0:3], 0 offset:812
	buffer_load_dword v40, off, s[0:3], 0 offset:788
	buffer_load_dword v39, off, s[0:3], 0 offset:784
	ds_read_b128 v[1:4], v52 offset:1424
	s_waitcnt vmcnt(58) lgkmcnt(1)
	v_mul_f64 v[85:86], v[7:8], v[89:90]
	v_mul_f64 v[77:78], v[5:6], v[89:90]
	;; [unrolled: 28-line block ×3, first 2 shown]
	s_waitcnt vmcnt(56)
	v_fma_f64 v[67:68], v[1:2], v[17:18], -v[67:68]
	v_fma_f64 v[17:18], v[3:4], v[17:18], v[113:114]
	v_add_f64 v[15:16], v[15:16], v[85:86]
	v_add_f64 v[13:14], v[13:14], v[48:49]
	s_clause 0x2
	buffer_load_dword v49, off, s[0:3], 0 offset:860
	buffer_load_dword v48, off, s[0:3], 0 offset:856
	;; [unrolled: 1-line block ×3, first 2 shown]
	ds_read_b128 v[1:4], v52 offset:1472
	s_waitcnt vmcnt(55) lgkmcnt(1)
	v_mul_f64 v[85:86], v[5:6], v[81:82]
	v_mul_f64 v[81:82], v[7:8], v[81:82]
	s_waitcnt vmcnt(54)
	v_fma_f64 v[79:80], v[9:10], v[101:102], -v[79:80]
	v_add_f64 v[15:16], v[15:16], v[67:68]
	v_fma_f64 v[67:68], v[11:12], v[101:102], v[77:78]
	v_add_f64 v[13:14], v[13:14], v[17:18]
	s_clause 0x1
	buffer_load_dword v18, off, s[0:3], 0 offset:852
	buffer_load_dword v17, off, s[0:3], 0 offset:848
	ds_read_b128 v[9:12], v52 offset:1488
	s_waitcnt vmcnt(55) lgkmcnt(1)
	v_mul_f64 v[91:92], v[3:4], v[95:96]
	v_mul_f64 v[77:78], v[1:2], v[95:96]
	s_waitcnt vmcnt(53)
	v_fma_f64 v[81:82], v[5:6], v[87:88], -v[81:82]
	v_add_f64 v[15:16], v[15:16], v[79:80]
	v_fma_f64 v[79:80], v[7:8], v[87:88], v[85:86]
	v_add_f64 v[13:14], v[13:14], v[67:68]
	ds_read_b128 v[5:8], v52 offset:1504
	s_waitcnt vmcnt(49) lgkmcnt(1)
	v_mul_f64 v[67:68], v[9:10], v[21:22]
	v_mul_f64 v[21:22], v[11:12], v[21:22]
	s_waitcnt vmcnt(48)
	v_fma_f64 v[85:86], v[1:2], v[105:106], -v[91:92]
	v_fma_f64 v[77:78], v[3:4], v[105:106], v[77:78]
	v_add_f64 v[15:16], v[15:16], v[81:82]
	v_add_f64 v[13:14], v[13:14], v[79:80]
	s_clause 0x3
	buffer_load_dword v79, off, s[0:3], 0 offset:80
	buffer_load_dword v80, off, s[0:3], 0 offset:84
	;; [unrolled: 1-line block ×4, first 2 shown]
	ds_read_b128 v[1:4], v52 offset:1520
	s_waitcnt vmcnt(51) lgkmcnt(1)
	v_mul_f64 v[91:92], v[7:8], v[103:104]
	v_mul_f64 v[87:88], v[5:6], v[103:104]
	s_waitcnt vmcnt(49)
	v_fma_f64 v[21:22], v[9:10], v[27:28], -v[21:22]
	v_fma_f64 v[27:28], v[11:12], v[27:28], v[67:68]
	ds_read_b128 v[9:12], v52 offset:1536
	v_add_f64 v[15:16], v[15:16], v[85:86]
	v_add_f64 v[13:14], v[13:14], v[77:78]
	s_waitcnt vmcnt(45) lgkmcnt(1)
	v_mul_f64 v[67:68], v[1:2], v[33:34]
	v_mul_f64 v[33:34], v[3:4], v[33:34]
	s_waitcnt vmcnt(44)
	v_fma_f64 v[77:78], v[5:6], v[109:110], -v[91:92]
	v_add_f64 v[15:16], v[15:16], v[21:22]
	v_fma_f64 v[21:22], v[7:8], v[109:110], v[87:88]
	v_add_f64 v[13:14], v[13:14], v[27:28]
	ds_read_b128 v[5:8], v52 offset:1552
	s_waitcnt vmcnt(43) lgkmcnt(1)
	v_mul_f64 v[85:86], v[11:12], v[97:98]
	v_mul_f64 v[27:28], v[9:10], v[97:98]
	s_waitcnt vmcnt(41)
	v_fma_f64 v[33:34], v[1:2], v[25:26], -v[33:34]
	v_fma_f64 v[25:26], v[3:4], v[25:26], v[67:68]
	ds_read_b128 v[1:4], v52 offset:1568
	v_add_f64 v[15:16], v[15:16], v[77:78]
	v_add_f64 v[13:14], v[13:14], v[21:22]
	s_waitcnt vmcnt(37) lgkmcnt(1)
	v_mul_f64 v[21:22], v[5:6], v[19:20]
	v_mul_f64 v[19:20], v[7:8], v[19:20]
	s_waitcnt vmcnt(36)
	v_fma_f64 v[67:68], v[9:10], v[111:112], -v[85:86]
	v_fma_f64 v[27:28], v[11:12], v[111:112], v[27:28]
	ds_read_b128 v[9:12], v52 offset:1584
	v_add_f64 v[15:16], v[15:16], v[33:34]
	v_add_f64 v[13:14], v[13:14], v[25:26]
	s_waitcnt vmcnt(35) lgkmcnt(1)
	v_mul_f64 v[33:34], v[3:4], v[37:38]
	v_mul_f64 v[25:26], v[1:2], v[37:38]
	s_waitcnt vmcnt(33)
	v_fma_f64 v[19:20], v[5:6], v[31:32], -v[19:20]
	v_fma_f64 v[21:22], v[7:8], v[31:32], v[21:22]
	ds_read_b128 v[5:8], v52 offset:1600
	v_add_f64 v[15:16], v[15:16], v[67:68]
	v_add_f64 v[13:14], v[13:14], v[27:28]
	s_waitcnt vmcnt(29) lgkmcnt(1)
	v_mul_f64 v[27:28], v[9:10], v[23:24]
	v_mul_f64 v[23:24], v[11:12], v[23:24]
	s_waitcnt vmcnt(28)
	v_fma_f64 v[31:32], v[1:2], v[107:108], -v[33:34]
	v_add_f64 v[15:16], v[15:16], v[19:20]
	v_fma_f64 v[19:20], v[3:4], v[107:108], v[25:26]
	v_add_f64 v[13:14], v[13:14], v[21:22]
	ds_read_b128 v[1:4], v52 offset:1616
	s_waitcnt vmcnt(27) lgkmcnt(1)
	v_mul_f64 v[25:26], v[7:8], v[50:51]
	v_mul_f64 v[21:22], v[5:6], v[50:51]
	s_waitcnt vmcnt(25)
	v_fma_f64 v[23:24], v[9:10], v[41:42], -v[23:24]
	v_fma_f64 v[27:28], v[11:12], v[41:42], v[27:28]
	ds_read_b128 v[9:12], v52 offset:1632
	v_add_f64 v[15:16], v[15:16], v[31:32]
	v_add_f64 v[13:14], v[13:14], v[19:20]
	s_waitcnt vmcnt(21) lgkmcnt(1)
	v_mul_f64 v[19:20], v[1:2], v[29:30]
	v_mul_f64 v[29:30], v[3:4], v[29:30]
	s_waitcnt vmcnt(20)
	v_fma_f64 v[25:26], v[5:6], v[99:100], -v[25:26]
	v_fma_f64 v[21:22], v[7:8], v[99:100], v[21:22]
	ds_read_b128 v[5:8], v52 offset:1648
	v_add_f64 v[15:16], v[15:16], v[23:24]
	v_add_f64 v[13:14], v[13:14], v[27:28]
	;; [unrolled: 9-line block ×3, first 2 shown]
	s_waitcnt vmcnt(13) lgkmcnt(1)
	v_mul_f64 v[25:26], v[7:8], v[35:36]
	s_waitcnt vmcnt(12)
	v_fma_f64 v[27:28], v[9:10], v[93:94], -v[27:28]
	v_mul_f64 v[21:22], v[5:6], v[35:36]
	v_fma_f64 v[23:24], v[11:12], v[93:94], v[23:24]
	ds_read_b128 v[9:12], v52 offset:1680
	v_add_f64 v[15:16], v[15:16], v[29:30]
	v_add_f64 v[13:14], v[13:14], v[19:20]
	s_waitcnt vmcnt(11) lgkmcnt(1)
	v_mul_f64 v[29:30], v[3:4], v[83:84]
	v_mul_f64 v[19:20], v[1:2], v[83:84]
	s_waitcnt vmcnt(9)
	v_fma_f64 v[5:6], v[5:6], v[65:66], -v[25:26]
	v_fma_f64 v[7:8], v[7:8], v[65:66], v[21:22]
	v_add_f64 v[15:16], v[15:16], v[27:28]
	v_add_f64 v[13:14], v[13:14], v[23:24]
	s_waitcnt vmcnt(7) lgkmcnt(0)
	v_mul_f64 v[23:24], v[11:12], v[48:49]
	s_waitcnt vmcnt(6)
	v_fma_f64 v[1:2], v[1:2], v[89:90], -v[29:30]
	v_mul_f64 v[21:22], v[9:10], v[48:49]
	v_fma_f64 v[3:4], v[3:4], v[89:90], v[19:20]
	v_add_f64 v[5:6], v[15:16], v[5:6]
	v_add_f64 v[7:8], v[13:14], v[7:8]
	s_waitcnt vmcnt(4)
	v_fma_f64 v[9:10], v[9:10], v[17:18], -v[23:24]
	v_add_f64 v[1:2], v[5:6], v[1:2]
	v_fma_f64 v[5:6], v[11:12], v[17:18], v[21:22]
	v_add_f64 v[3:4], v[7:8], v[3:4]
	v_add_f64 v[1:2], v[1:2], v[9:10]
	;; [unrolled: 1-line block ×3, first 2 shown]
	s_waitcnt vmcnt(2)
	v_add_f64 v[1:2], v[79:80], -v[1:2]
	s_waitcnt vmcnt(0)
	v_add_f64 v[3:4], v[81:82], -v[3:4]
	buffer_store_dword v2, off, s[0:3], 0 offset:84
	buffer_store_dword v1, off, s[0:3], 0 offset:80
	;; [unrolled: 1-line block ×4, first 2 shown]
	v_cmpx_lt_u32_e32 3, v0
	s_cbranch_execz .LBB52_325
; %bb.324:
	v_mov_b32_e32 v4, s62
	v_mov_b32_e32 v5, 0
	s_clause 0x3
	buffer_load_dword v1, v4, s[0:3], 0 offen
	buffer_load_dword v2, v4, s[0:3], 0 offen offset:4
	buffer_load_dword v3, v4, s[0:3], 0 offen offset:8
	;; [unrolled: 1-line block ×3, first 2 shown]
	buffer_store_dword v5, off, s[0:3], 0 offset:64
	buffer_store_dword v5, off, s[0:3], 0 offset:68
	;; [unrolled: 1-line block ×4, first 2 shown]
	s_waitcnt vmcnt(0)
	ds_write_b128 v43, v[1:4]
.LBB52_325:
	s_or_b32 exec_lo, exec_lo, s4
	s_waitcnt lgkmcnt(0)
	s_waitcnt_vscnt null, 0x0
	s_barrier
	buffer_gl0_inv
	s_clause 0x37
	buffer_load_dword v17, off, s[0:3], 0 offset:88
	buffer_load_dword v18, off, s[0:3], 0 offset:92
	;; [unrolled: 1-line block ×56, first 2 shown]
	v_mov_b32_e32 v52, 0
	s_mov_b32 s4, exec_lo
	ds_read_b128 v[5:8], v52 offset:912
	s_clause 0x2
	buffer_load_dword v90, off, s[0:3], 0 offset:316
	buffer_load_dword v92, off, s[0:3], 0 offset:292
	;; [unrolled: 1-line block ×3, first 2 shown]
	ds_read_b128 v[1:4], v52 offset:928
	s_clause 0x4
	buffer_load_dword v100, off, s[0:3], 0 offset:332
	buffer_load_dword v101, off, s[0:3], 0 offset:344
	buffer_load_dword v103, off, s[0:3], 0 offset:336
	buffer_load_dword v99, off, s[0:3], 0 offset:328
	buffer_load_dword v82, off, s[0:3], 0 offset:308
	ds_read_b128 v[93:96], v52 offset:944
	s_waitcnt vmcnt(62) lgkmcnt(2)
	v_mul_f64 v[97:98], v[7:8], v[17:18]
	v_mul_f64 v[17:18], v[5:6], v[17:18]
	s_waitcnt vmcnt(60) lgkmcnt(1)
	v_mul_f64 v[104:105], v[3:4], v[13:14]
	v_mul_f64 v[13:14], v[1:2], v[13:14]
	;; [unrolled: 3-line block ×3, first 2 shown]
	v_fma_f64 v[97:98], v[5:6], v[15:16], -v[97:98]
	v_fma_f64 v[15:16], v[7:8], v[15:16], v[17:18]
	s_clause 0x2
	buffer_load_dword v102, off, s[0:3], 0 offset:348
	buffer_load_dword v18, off, s[0:3], 0 offset:324
	;; [unrolled: 1-line block ×3, first 2 shown]
	s_waitcnt vmcnt(57)
	v_fma_f64 v[108:109], v[1:2], v[9:10], -v[104:105]
	ds_read_b128 v[5:8], v52 offset:960
	v_fma_f64 v[9:10], v[3:4], v[9:10], v[13:14]
	s_waitcnt vmcnt(51)
	v_fma_f64 v[93:94], v[93:94], v[33:34], -v[11:12]
	v_fma_f64 v[33:34], v[95:96], v[33:34], v[106:107]
	v_add_f64 v[97:98], v[97:98], 0
	v_add_f64 v[13:14], v[15:16], 0
	s_clause 0x4
	buffer_load_dword v16, off, s[0:3], 0 offset:364
	buffer_load_dword v105, off, s[0:3], 0 offset:376
	;; [unrolled: 1-line block ×5, first 2 shown]
	s_waitcnt lgkmcnt(0)
	v_mul_f64 v[111:112], v[5:6], v[21:22]
	v_mul_f64 v[21:22], v[7:8], v[21:22]
	ds_read_b128 v[1:4], v52 offset:976
	s_clause 0x2
	buffer_load_dword v106, off, s[0:3], 0 offset:380
	buffer_load_dword v96, off, s[0:3], 0 offset:356
	;; [unrolled: 1-line block ×3, first 2 shown]
	v_add_f64 v[97:98], v[97:98], v[108:109]
	v_add_f64 v[13:14], v[13:14], v[9:10]
	ds_read_b128 v[9:12], v52 offset:992
	s_waitcnt vmcnt(58) lgkmcnt(1)
	v_mul_f64 v[107:108], v[1:2], v[25:26]
	v_mul_f64 v[25:26], v[3:4], v[25:26]
	s_waitcnt vmcnt(56)
	v_fma_f64 v[21:22], v[5:6], v[27:28], -v[21:22]
	v_fma_f64 v[27:28], v[7:8], v[27:28], v[111:112]
	s_waitcnt vmcnt(52) lgkmcnt(0)
	v_mul_f64 v[113:114], v[9:10], v[29:30]
	v_add_f64 v[93:94], v[97:98], v[93:94]
	v_add_f64 v[13:14], v[13:14], v[33:34]
	s_clause 0x4
	buffer_load_dword v34, off, s[0:3], 0 offset:396
	buffer_load_dword v97, off, s[0:3], 0 offset:408
	;; [unrolled: 1-line block ×5, first 2 shown]
	v_mul_f64 v[29:30], v[11:12], v[29:30]
	s_waitcnt vmcnt(56)
	v_fma_f64 v[25:26], v[1:2], v[19:20], -v[25:26]
	ds_read_b128 v[5:8], v52 offset:1008
	v_fma_f64 v[19:20], v[3:4], v[19:20], v[107:108]
	v_add_f64 v[21:22], v[93:94], v[21:22]
	v_add_f64 v[13:14], v[13:14], v[27:28]
	s_clause 0x2
	buffer_load_dword v98, off, s[0:3], 0 offset:412
	buffer_load_dword v28, off, s[0:3], 0 offset:388
	;; [unrolled: 1-line block ×3, first 2 shown]
	s_waitcnt vmcnt(58) lgkmcnt(0)
	v_mul_f64 v[93:94], v[5:6], v[35:36]
	v_mul_f64 v[35:36], v[7:8], v[35:36]
	s_waitcnt vmcnt(56)
	v_fma_f64 v[29:30], v[9:10], v[37:38], -v[29:30]
	ds_read_b128 v[1:4], v52 offset:1024
	v_add_f64 v[21:22], v[21:22], v[25:26]
	v_fma_f64 v[25:26], v[11:12], v[37:38], v[113:114]
	v_add_f64 v[13:14], v[13:14], v[19:20]
	s_clause 0x4
	buffer_load_dword v20, off, s[0:3], 0 offset:428
	buffer_load_dword v37, off, s[0:3], 0 offset:440
	;; [unrolled: 1-line block ×5, first 2 shown]
	s_waitcnt vmcnt(57) lgkmcnt(0)
	v_mul_f64 v[108:109], v[1:2], v[39:40]
	v_mul_f64 v[39:40], v[3:4], v[39:40]
	s_waitcnt vmcnt(56)
	v_fma_f64 v[35:36], v[5:6], v[23:24], -v[35:36]
	ds_read_b128 v[9:12], v52 offset:1040
	v_fma_f64 v[23:24], v[7:8], v[23:24], v[93:94]
	v_add_f64 v[21:22], v[21:22], v[29:30]
	v_add_f64 v[13:14], v[13:14], v[25:26]
	s_clause 0x2
	buffer_load_dword v38, off, s[0:3], 0 offset:444
	buffer_load_dword v26, off, s[0:3], 0 offset:420
	buffer_load_dword v25, off, s[0:3], 0 offset:416
	ds_read_b128 v[5:8], v52 offset:1056
	s_waitcnt vmcnt(58) lgkmcnt(1)
	v_mul_f64 v[29:30], v[9:10], v[48:49]
	v_mul_f64 v[48:49], v[11:12], v[48:49]
	s_waitcnt vmcnt(56)
	v_fma_f64 v[39:40], v[1:2], v[50:51], -v[39:40]
	v_add_f64 v[21:22], v[21:22], v[35:36]
	v_fma_f64 v[35:36], v[3:4], v[50:51], v[108:109]
	v_add_f64 v[13:14], v[13:14], v[23:24]
	s_clause 0x4
	buffer_load_dword v24, off, s[0:3], 0 offset:460
	buffer_load_dword v50, off, s[0:3], 0 offset:472
	;; [unrolled: 1-line block ×5, first 2 shown]
	s_waitcnt vmcnt(57) lgkmcnt(0)
	v_mul_f64 v[114:115], v[5:6], v[65:66]
	v_mul_f64 v[65:66], v[7:8], v[65:66]
	s_waitcnt vmcnt(56)
	v_fma_f64 v[48:49], v[9:10], v[31:32], -v[48:49]
	ds_read_b128 v[1:4], v52 offset:1072
	v_fma_f64 v[29:30], v[11:12], v[31:32], v[29:30]
	s_clause 0x2
	buffer_load_dword v51, off, s[0:3], 0 offset:476
	buffer_load_dword v32, off, s[0:3], 0 offset:452
	;; [unrolled: 1-line block ×3, first 2 shown]
	ds_read_b128 v[9:12], v52 offset:1088
	v_add_f64 v[21:22], v[21:22], v[39:40]
	v_add_f64 v[13:14], v[13:14], v[35:36]
	s_waitcnt vmcnt(58) lgkmcnt(1)
	v_mul_f64 v[39:40], v[3:4], v[75:76]
	s_waitcnt vmcnt(56)
	v_fma_f64 v[65:66], v[5:6], v[77:78], -v[65:66]
	v_mul_f64 v[35:36], v[1:2], v[75:76]
	v_add_f64 v[21:22], v[21:22], v[48:49]
	v_fma_f64 v[48:49], v[7:8], v[77:78], v[114:115]
	v_add_f64 v[13:14], v[13:14], v[29:30]
	s_clause 0x4
	buffer_load_dword v30, off, s[0:3], 0 offset:492
	buffer_load_dword v75, off, s[0:3], 0 offset:504
	;; [unrolled: 1-line block ×5, first 2 shown]
	s_waitcnt vmcnt(57) lgkmcnt(0)
	v_mul_f64 v[114:115], v[9:10], v[79:80]
	v_mul_f64 v[78:79], v[11:12], v[79:80]
	s_waitcnt vmcnt(56)
	v_fma_f64 v[39:40], v[1:2], v[41:42], -v[39:40]
	ds_read_b128 v[5:8], v52 offset:1104
	v_fma_f64 v[35:36], v[3:4], v[41:42], v[35:36]
	s_clause 0x2
	buffer_load_dword v76, off, s[0:3], 0 offset:508
	buffer_load_dword v42, off, s[0:3], 0 offset:484
	;; [unrolled: 1-line block ×3, first 2 shown]
	ds_read_b128 v[1:4], v52 offset:1120
	v_add_f64 v[21:22], v[21:22], v[65:66]
	v_add_f64 v[13:14], v[13:14], v[48:49]
	s_waitcnt vmcnt(58) lgkmcnt(1)
	v_mul_f64 v[65:66], v[7:8], v[83:84]
	s_waitcnt vmcnt(56)
	v_fma_f64 v[79:80], v[9:10], v[85:86], -v[78:79]
	v_mul_f64 v[48:49], v[5:6], v[83:84]
	v_add_f64 v[21:22], v[21:22], v[39:40]
	v_fma_f64 v[39:40], v[11:12], v[85:86], v[114:115]
	v_add_f64 v[13:14], v[13:14], v[35:36]
	s_clause 0x4
	buffer_load_dword v36, off, s[0:3], 0 offset:524
	buffer_load_dword v83, off, s[0:3], 0 offset:536
	;; [unrolled: 1-line block ×5, first 2 shown]
	s_waitcnt vmcnt(57) lgkmcnt(0)
	v_mul_f64 v[114:115], v[1:2], v[87:88]
	v_mul_f64 v[86:87], v[3:4], v[87:88]
	s_waitcnt vmcnt(56)
	v_fma_f64 v[65:66], v[5:6], v[67:68], -v[65:66]
	ds_read_b128 v[9:12], v52 offset:1136
	v_fma_f64 v[48:49], v[7:8], v[67:68], v[48:49]
	v_add_f64 v[21:22], v[21:22], v[79:80]
	v_add_f64 v[13:14], v[13:14], v[39:40]
	s_clause 0x2
	buffer_load_dword v84, off, s[0:3], 0 offset:540
	buffer_load_dword v40, off, s[0:3], 0 offset:516
	;; [unrolled: 1-line block ×3, first 2 shown]
	ds_read_b128 v[5:8], v52 offset:1152
	s_waitcnt vmcnt(58) lgkmcnt(1)
	v_mul_f64 v[79:80], v[11:12], v[89:90]
	s_waitcnt vmcnt(56)
	v_fma_f64 v[87:88], v[1:2], v[91:92], -v[86:87]
	v_mul_f64 v[67:68], v[9:10], v[89:90]
	v_add_f64 v[21:22], v[21:22], v[65:66]
	v_fma_f64 v[65:66], v[3:4], v[91:92], v[114:115]
	v_add_f64 v[13:14], v[13:14], v[48:49]
	s_clause 0x4
	buffer_load_dword v49, off, s[0:3], 0 offset:556
	buffer_load_dword v89, off, s[0:3], 0 offset:568
	;; [unrolled: 1-line block ×5, first 2 shown]
	s_waitcnt vmcnt(57) lgkmcnt(0)
	v_mul_f64 v[114:115], v[5:6], v[99:100]
	v_mul_f64 v[99:100], v[7:8], v[99:100]
	s_waitcnt vmcnt(56)
	v_fma_f64 v[79:80], v[9:10], v[81:82], -v[79:80]
	ds_read_b128 v[1:4], v52 offset:1168
	v_fma_f64 v[67:68], v[11:12], v[81:82], v[67:68]
	v_add_f64 v[21:22], v[21:22], v[87:88]
	v_add_f64 v[13:14], v[13:14], v[65:66]
	s_clause 0x2
	buffer_load_dword v90, off, s[0:3], 0 offset:572
	buffer_load_dword v66, off, s[0:3], 0 offset:548
	;; [unrolled: 1-line block ×3, first 2 shown]
	ds_read_b128 v[9:12], v52 offset:1184
	s_waitcnt vmcnt(58) lgkmcnt(1)
	v_mul_f64 v[87:88], v[3:4], v[101:102]
	v_mul_f64 v[81:82], v[1:2], v[101:102]
	s_waitcnt vmcnt(56)
	v_fma_f64 v[99:100], v[5:6], v[17:18], -v[99:100]
	v_fma_f64 v[17:18], v[7:8], v[17:18], v[114:115]
	v_add_f64 v[21:22], v[21:22], v[79:80]
	v_add_f64 v[13:14], v[13:14], v[67:68]
	s_clause 0x4
	buffer_load_dword v68, off, s[0:3], 0 offset:588
	buffer_load_dword v79, off, s[0:3], 0 offset:600
	;; [unrolled: 1-line block ×5, first 2 shown]
	ds_read_b128 v[5:8], v52 offset:1200
	s_waitcnt vmcnt(57) lgkmcnt(1)
	v_mul_f64 v[114:115], v[9:10], v[15:16]
	v_mul_f64 v[15:16], v[11:12], v[15:16]
	s_waitcnt vmcnt(56)
	v_fma_f64 v[87:88], v[1:2], v[103:104], -v[87:88]
	v_fma_f64 v[81:82], v[3:4], v[103:104], v[81:82]
	v_add_f64 v[21:22], v[21:22], v[99:100]
	v_add_f64 v[13:14], v[13:14], v[17:18]
	s_clause 0x2
	buffer_load_dword v80, off, s[0:3], 0 offset:604
	buffer_load_dword v18, off, s[0:3], 0 offset:580
	;; [unrolled: 1-line block ×3, first 2 shown]
	s_waitcnt vmcnt(58) lgkmcnt(0)
	v_mul_f64 v[103:104], v[7:8], v[105:106]
	ds_read_b128 v[1:4], v52 offset:1216
	v_mul_f64 v[99:100], v[5:6], v[105:106]
	s_waitcnt vmcnt(56)
	v_fma_f64 v[15:16], v[9:10], v[95:96], -v[15:16]
	v_add_f64 v[21:22], v[21:22], v[87:88]
	v_fma_f64 v[87:88], v[11:12], v[95:96], v[114:115]
	v_add_f64 v[13:14], v[13:14], v[81:82]
	s_clause 0x4
	buffer_load_dword v82, off, s[0:3], 0 offset:620
	buffer_load_dword v95, off, s[0:3], 0 offset:632
	;; [unrolled: 1-line block ×5, first 2 shown]
	ds_read_b128 v[9:12], v52 offset:1232
	s_waitcnt vmcnt(57) lgkmcnt(1)
	v_mul_f64 v[114:115], v[1:2], v[33:34]
	v_mul_f64 v[33:34], v[3:4], v[33:34]
	s_waitcnt vmcnt(56)
	v_fma_f64 v[103:104], v[5:6], v[110:111], -v[103:104]
	v_add_f64 v[15:16], v[21:22], v[15:16]
	v_fma_f64 v[21:22], v[7:8], v[110:111], v[99:100]
	v_add_f64 v[13:14], v[13:14], v[87:88]
	s_clause 0x2
	buffer_load_dword v96, off, s[0:3], 0 offset:636
	buffer_load_dword v88, off, s[0:3], 0 offset:612
	;; [unrolled: 1-line block ×3, first 2 shown]
	ds_read_b128 v[5:8], v52 offset:1248
	s_waitcnt vmcnt(58) lgkmcnt(1)
	v_mul_f64 v[99:100], v[9:10], v[97:98]
	v_mul_f64 v[97:98], v[11:12], v[97:98]
	s_waitcnt vmcnt(56)
	v_fma_f64 v[33:34], v[1:2], v[27:28], -v[33:34]
	v_fma_f64 v[27:28], v[3:4], v[27:28], v[114:115]
	v_add_f64 v[15:16], v[15:16], v[103:104]
	v_add_f64 v[13:14], v[13:14], v[21:22]
	s_clause 0x4
	buffer_load_dword v22, off, s[0:3], 0 offset:652
	buffer_load_dword v103, off, s[0:3], 0 offset:664
	;; [unrolled: 1-line block ×5, first 2 shown]
	ds_read_b128 v[1:4], v52 offset:1264
	s_waitcnt vmcnt(57) lgkmcnt(1)
	v_mul_f64 v[110:111], v[5:6], v[19:20]
	v_mul_f64 v[19:20], v[7:8], v[19:20]
	s_waitcnt vmcnt(56)
	v_fma_f64 v[97:98], v[9:10], v[112:113], -v[97:98]
	v_add_f64 v[15:16], v[15:16], v[33:34]
	v_fma_f64 v[33:34], v[11:12], v[112:113], v[99:100]
	v_add_f64 v[13:14], v[13:14], v[27:28]
	s_clause 0x2
	buffer_load_dword v104, off, s[0:3], 0 offset:668
	buffer_load_dword v28, off, s[0:3], 0 offset:644
	buffer_load_dword v27, off, s[0:3], 0 offset:640
	ds_read_b128 v[9:12], v52 offset:1280
	s_waitcnt vmcnt(58) lgkmcnt(1)
	v_mul_f64 v[99:100], v[1:2], v[37:38]
	v_mul_f64 v[37:38], v[3:4], v[37:38]
	s_waitcnt vmcnt(56)
	v_fma_f64 v[19:20], v[5:6], v[25:26], -v[19:20]
	v_fma_f64 v[25:26], v[7:8], v[25:26], v[110:111]
	v_add_f64 v[15:16], v[15:16], v[97:98]
	v_add_f64 v[13:14], v[13:14], v[33:34]
	s_clause 0x4
	buffer_load_dword v34, off, s[0:3], 0 offset:684
	buffer_load_dword v97, off, s[0:3], 0 offset:696
	;; [unrolled: 1-line block ×5, first 2 shown]
	ds_read_b128 v[5:8], v52 offset:1296
	s_waitcnt vmcnt(57) lgkmcnt(1)
	v_mul_f64 v[112:113], v[9:10], v[23:24]
	v_mul_f64 v[23:24], v[11:12], v[23:24]
	s_waitcnt vmcnt(56)
	v_fma_f64 v[37:38], v[1:2], v[107:108], -v[37:38]
	v_add_f64 v[15:16], v[15:16], v[19:20]
	v_fma_f64 v[19:20], v[3:4], v[107:108], v[99:100]
	v_add_f64 v[13:14], v[13:14], v[25:26]
	s_clause 0x2
	buffer_load_dword v98, off, s[0:3], 0 offset:700
	buffer_load_dword v26, off, s[0:3], 0 offset:676
	;; [unrolled: 1-line block ×3, first 2 shown]
	s_waitcnt vmcnt(58) lgkmcnt(0)
	v_mul_f64 v[99:100], v[5:6], v[50:51]
	v_mul_f64 v[50:51], v[7:8], v[50:51]
	ds_read_b128 v[1:4], v52 offset:1312
	s_waitcnt vmcnt(56)
	v_fma_f64 v[23:24], v[9:10], v[31:32], -v[23:24]
	v_fma_f64 v[31:32], v[11:12], v[31:32], v[112:113]
	v_add_f64 v[15:16], v[15:16], v[37:38]
	v_add_f64 v[13:14], v[13:14], v[19:20]
	s_clause 0x4
	buffer_load_dword v20, off, s[0:3], 0 offset:716
	buffer_load_dword v37, off, s[0:3], 0 offset:728
	;; [unrolled: 1-line block ×5, first 2 shown]
	ds_read_b128 v[9:12], v52 offset:1328
	s_waitcnt vmcnt(57) lgkmcnt(1)
	v_mul_f64 v[113:114], v[1:2], v[29:30]
	v_mul_f64 v[29:30], v[3:4], v[29:30]
	s_waitcnt vmcnt(56)
	v_fma_f64 v[50:51], v[5:6], v[93:94], -v[50:51]
	v_add_f64 v[15:16], v[15:16], v[23:24]
	v_fma_f64 v[23:24], v[7:8], v[93:94], v[99:100]
	v_add_f64 v[13:14], v[13:14], v[31:32]
	s_clause 0x2
	buffer_load_dword v38, off, s[0:3], 0 offset:732
	buffer_load_dword v32, off, s[0:3], 0 offset:708
	;; [unrolled: 1-line block ×3, first 2 shown]
	s_waitcnt vmcnt(58) lgkmcnt(0)
	v_mul_f64 v[93:94], v[9:10], v[75:76]
	v_mul_f64 v[75:76], v[11:12], v[75:76]
	ds_read_b128 v[5:8], v52 offset:1344
	s_waitcnt vmcnt(56)
	v_fma_f64 v[29:30], v[1:2], v[41:42], -v[29:30]
	v_fma_f64 v[41:42], v[3:4], v[41:42], v[113:114]
	v_add_f64 v[15:16], v[15:16], v[50:51]
	v_add_f64 v[13:14], v[13:14], v[23:24]
	s_clause 0x4
	buffer_load_dword v24, off, s[0:3], 0 offset:748
	buffer_load_dword v50, off, s[0:3], 0 offset:760
	buffer_load_dword v99, off, s[0:3], 0 offset:752
	buffer_load_dword v23, off, s[0:3], 0 offset:744
	buffer_load_dword v108, off, s[0:3], 0 offset:724
	ds_read_b128 v[1:4], v52 offset:1360
	s_waitcnt vmcnt(57) lgkmcnt(1)
	v_mul_f64 v[113:114], v[5:6], v[35:36]
	v_mul_f64 v[35:36], v[7:8], v[35:36]
	s_waitcnt vmcnt(56)
	v_fma_f64 v[75:76], v[9:10], v[77:78], -v[75:76]
	v_add_f64 v[15:16], v[15:16], v[29:30]
	v_fma_f64 v[29:30], v[11:12], v[77:78], v[93:94]
	v_add_f64 v[13:14], v[13:14], v[41:42]
	s_clause 0x2
	buffer_load_dword v51, off, s[0:3], 0 offset:764
	buffer_load_dword v42, off, s[0:3], 0 offset:740
	buffer_load_dword v41, off, s[0:3], 0 offset:736
	ds_read_b128 v[9:12], v52 offset:1376
	s_waitcnt vmcnt(58) lgkmcnt(1)
	v_mul_f64 v[77:78], v[1:2], v[83:84]
	v_mul_f64 v[83:84], v[3:4], v[83:84]
	s_waitcnt vmcnt(56)
	v_fma_f64 v[35:36], v[5:6], v[39:40], -v[35:36]
	v_fma_f64 v[39:40], v[7:8], v[39:40], v[113:114]
	v_add_f64 v[15:16], v[15:16], v[75:76]
	v_add_f64 v[13:14], v[13:14], v[29:30]
	s_clause 0x4
	buffer_load_dword v30, off, s[0:3], 0 offset:780
	buffer_load_dword v75, off, s[0:3], 0 offset:792
	buffer_load_dword v93, off, s[0:3], 0 offset:784
	buffer_load_dword v29, off, s[0:3], 0 offset:776
	buffer_load_dword v100, off, s[0:3], 0 offset:756
	ds_read_b128 v[5:8], v52 offset:1392
	s_waitcnt vmcnt(57) lgkmcnt(1)
	v_mul_f64 v[113:114], v[9:10], v[48:49]
	v_mul_f64 v[48:49], v[11:12], v[48:49]
	s_waitcnt vmcnt(56)
	v_fma_f64 v[83:84], v[1:2], v[85:86], -v[83:84]
	v_add_f64 v[15:16], v[15:16], v[35:36]
	v_fma_f64 v[35:36], v[3:4], v[85:86], v[77:78]
	v_add_f64 v[13:14], v[13:14], v[39:40]
	s_clause 0x2
	buffer_load_dword v76, off, s[0:3], 0 offset:796
	buffer_load_dword v40, off, s[0:3], 0 offset:772
	buffer_load_dword v39, off, s[0:3], 0 offset:768
	ds_read_b128 v[1:4], v52 offset:1408
	s_waitcnt vmcnt(58) lgkmcnt(1)
	v_mul_f64 v[85:86], v[7:8], v[89:90]
	v_mul_f64 v[77:78], v[5:6], v[89:90]
	;; [unrolled: 28-line block ×3, first 2 shown]
	s_waitcnt vmcnt(56)
	v_fma_f64 v[67:68], v[1:2], v[17:18], -v[67:68]
	v_fma_f64 v[17:18], v[3:4], v[17:18], v[113:114]
	v_add_f64 v[15:16], v[15:16], v[85:86]
	v_add_f64 v[13:14], v[13:14], v[48:49]
	s_clause 0x4
	buffer_load_dword v49, off, s[0:3], 0 offset:844
	buffer_load_dword v85, off, s[0:3], 0 offset:856
	;; [unrolled: 1-line block ×5, first 2 shown]
	ds_read_b128 v[1:4], v52 offset:1456
	s_waitcnt vmcnt(57) lgkmcnt(1)
	v_mul_f64 v[113:114], v[5:6], v[81:82]
	v_mul_f64 v[81:82], v[7:8], v[81:82]
	s_waitcnt vmcnt(56)
	v_fma_f64 v[79:80], v[9:10], v[101:102], -v[79:80]
	v_add_f64 v[15:16], v[15:16], v[67:68]
	v_fma_f64 v[67:68], v[11:12], v[101:102], v[77:78]
	v_add_f64 v[13:14], v[13:14], v[17:18]
	s_clause 0x2
	buffer_load_dword v86, off, s[0:3], 0 offset:860
	buffer_load_dword v18, off, s[0:3], 0 offset:836
	buffer_load_dword v17, off, s[0:3], 0 offset:832
	ds_read_b128 v[9:12], v52 offset:1472
	buffer_load_dword v92, off, s[0:3], 0 offset:852
	s_waitcnt vmcnt(59) lgkmcnt(1)
	v_mul_f64 v[77:78], v[1:2], v[95:96]
	v_mul_f64 v[95:96], v[3:4], v[95:96]
	s_waitcnt vmcnt(57)
	v_fma_f64 v[81:82], v[5:6], v[87:88], -v[81:82]
	v_add_f64 v[15:16], v[15:16], v[79:80]
	v_fma_f64 v[79:80], v[7:8], v[87:88], v[113:114]
	v_add_f64 v[13:14], v[13:14], v[67:68]
	ds_read_b128 v[5:8], v52 offset:1488
	s_waitcnt vmcnt(53) lgkmcnt(1)
	v_mul_f64 v[67:68], v[9:10], v[21:22]
	v_mul_f64 v[21:22], v[11:12], v[21:22]
	s_waitcnt vmcnt(52)
	v_fma_f64 v[87:88], v[1:2], v[105:106], -v[95:96]
	v_fma_f64 v[77:78], v[3:4], v[105:106], v[77:78]
	ds_read_b128 v[1:4], v52 offset:1504
	v_add_f64 v[15:16], v[15:16], v[81:82]
	v_add_f64 v[13:14], v[13:14], v[79:80]
	s_waitcnt vmcnt(51) lgkmcnt(1)
	v_mul_f64 v[81:82], v[7:8], v[103:104]
	v_mul_f64 v[79:80], v[5:6], v[103:104]
	s_waitcnt vmcnt(49)
	v_fma_f64 v[21:22], v[9:10], v[27:28], -v[21:22]
	v_fma_f64 v[27:28], v[11:12], v[27:28], v[67:68]
	v_add_f64 v[15:16], v[15:16], v[87:88]
	v_add_f64 v[13:14], v[13:14], v[77:78]
	s_clause 0x3
	buffer_load_dword v67, off, s[0:3], 0 offset:64
	buffer_load_dword v68, off, s[0:3], 0 offset:68
	;; [unrolled: 1-line block ×4, first 2 shown]
	ds_read_b128 v[9:12], v52 offset:1520
	s_waitcnt vmcnt(49) lgkmcnt(1)
	v_mul_f64 v[87:88], v[1:2], v[33:34]
	v_mul_f64 v[33:34], v[3:4], v[33:34]
	s_waitcnt vmcnt(48)
	v_fma_f64 v[81:82], v[5:6], v[109:110], -v[81:82]
	v_add_f64 v[15:16], v[15:16], v[21:22]
	v_fma_f64 v[21:22], v[7:8], v[109:110], v[79:80]
	v_add_f64 v[13:14], v[13:14], v[27:28]
	ds_read_b128 v[5:8], v52 offset:1536
	s_waitcnt vmcnt(47) lgkmcnt(1)
	v_mul_f64 v[79:80], v[11:12], v[97:98]
	v_mul_f64 v[27:28], v[9:10], v[97:98]
	s_waitcnt vmcnt(45)
	v_fma_f64 v[33:34], v[1:2], v[25:26], -v[33:34]
	v_fma_f64 v[25:26], v[3:4], v[25:26], v[87:88]
	ds_read_b128 v[1:4], v52 offset:1552
	v_add_f64 v[15:16], v[15:16], v[81:82]
	v_add_f64 v[13:14], v[13:14], v[21:22]
	s_waitcnt vmcnt(41) lgkmcnt(1)
	v_mul_f64 v[21:22], v[5:6], v[19:20]
	v_mul_f64 v[19:20], v[7:8], v[19:20]
	s_waitcnt vmcnt(40)
	v_fma_f64 v[79:80], v[9:10], v[111:112], -v[79:80]
	v_fma_f64 v[27:28], v[11:12], v[111:112], v[27:28]
	ds_read_b128 v[9:12], v52 offset:1568
	v_add_f64 v[15:16], v[15:16], v[33:34]
	v_add_f64 v[13:14], v[13:14], v[25:26]
	;; [unrolled: 9-line block ×3, first 2 shown]
	s_waitcnt vmcnt(33) lgkmcnt(1)
	v_mul_f64 v[27:28], v[9:10], v[23:24]
	v_mul_f64 v[23:24], v[11:12], v[23:24]
	s_waitcnt vmcnt(32)
	v_fma_f64 v[31:32], v[1:2], v[107:108], -v[33:34]
	v_add_f64 v[15:16], v[15:16], v[19:20]
	v_fma_f64 v[19:20], v[3:4], v[107:108], v[25:26]
	v_add_f64 v[13:14], v[13:14], v[21:22]
	ds_read_b128 v[1:4], v52 offset:1600
	s_waitcnt vmcnt(31) lgkmcnt(1)
	v_mul_f64 v[25:26], v[7:8], v[50:51]
	v_mul_f64 v[21:22], v[5:6], v[50:51]
	s_waitcnt vmcnt(29)
	v_fma_f64 v[23:24], v[9:10], v[41:42], -v[23:24]
	v_fma_f64 v[27:28], v[11:12], v[41:42], v[27:28]
	ds_read_b128 v[9:12], v52 offset:1616
	v_add_f64 v[15:16], v[15:16], v[31:32]
	v_add_f64 v[13:14], v[13:14], v[19:20]
	s_waitcnt vmcnt(25) lgkmcnt(1)
	v_mul_f64 v[19:20], v[1:2], v[29:30]
	v_mul_f64 v[29:30], v[3:4], v[29:30]
	s_waitcnt vmcnt(24)
	v_fma_f64 v[25:26], v[5:6], v[99:100], -v[25:26]
	v_fma_f64 v[21:22], v[7:8], v[99:100], v[21:22]
	ds_read_b128 v[5:8], v52 offset:1632
	v_add_f64 v[15:16], v[15:16], v[23:24]
	v_add_f64 v[13:14], v[13:14], v[27:28]
	s_waitcnt vmcnt(23) lgkmcnt(1)
	v_mul_f64 v[27:28], v[11:12], v[75:76]
	v_mul_f64 v[23:24], v[9:10], v[75:76]
	s_waitcnt vmcnt(21)
	v_fma_f64 v[29:30], v[1:2], v[39:40], -v[29:30]
	v_fma_f64 v[19:20], v[3:4], v[39:40], v[19:20]
	ds_read_b128 v[1:4], v52 offset:1648
	v_add_f64 v[15:16], v[15:16], v[25:26]
	v_add_f64 v[13:14], v[13:14], v[21:22]
	s_waitcnt vmcnt(17) lgkmcnt(1)
	v_mul_f64 v[25:26], v[7:8], v[35:36]
	s_waitcnt vmcnt(16)
	v_fma_f64 v[27:28], v[9:10], v[93:94], -v[27:28]
	v_mul_f64 v[21:22], v[5:6], v[35:36]
	v_fma_f64 v[23:24], v[11:12], v[93:94], v[23:24]
	ds_read_b128 v[9:12], v52 offset:1664
	v_add_f64 v[15:16], v[15:16], v[29:30]
	v_add_f64 v[13:14], v[13:14], v[19:20]
	s_waitcnt vmcnt(15) lgkmcnt(1)
	v_mul_f64 v[29:30], v[3:4], v[83:84]
	v_mul_f64 v[19:20], v[1:2], v[83:84]
	s_waitcnt vmcnt(13)
	v_fma_f64 v[25:26], v[5:6], v[65:66], -v[25:26]
	v_fma_f64 v[21:22], v[7:8], v[65:66], v[21:22]
	ds_read_b128 v[5:8], v52 offset:1680
	v_add_f64 v[15:16], v[15:16], v[27:28]
	v_add_f64 v[13:14], v[13:14], v[23:24]
	s_waitcnt vmcnt(9) lgkmcnt(1)
	v_mul_f64 v[27:28], v[11:12], v[48:49]
	s_waitcnt vmcnt(8)
	v_fma_f64 v[1:2], v[1:2], v[89:90], -v[29:30]
	v_mul_f64 v[23:24], v[9:10], v[48:49]
	v_fma_f64 v[3:4], v[3:4], v[89:90], v[19:20]
	v_add_f64 v[15:16], v[15:16], v[25:26]
	v_add_f64 v[13:14], v[13:14], v[21:22]
	s_waitcnt vmcnt(7) lgkmcnt(0)
	v_mul_f64 v[21:22], v[7:8], v[85:86]
	v_mul_f64 v[19:20], v[5:6], v[85:86]
	s_waitcnt vmcnt(5)
	v_fma_f64 v[9:10], v[9:10], v[17:18], -v[27:28]
	v_fma_f64 v[11:12], v[11:12], v[17:18], v[23:24]
	v_add_f64 v[1:2], v[15:16], v[1:2]
	v_add_f64 v[3:4], v[13:14], v[3:4]
	s_waitcnt vmcnt(4)
	v_fma_f64 v[5:6], v[5:6], v[91:92], -v[21:22]
	v_fma_f64 v[7:8], v[7:8], v[91:92], v[19:20]
	v_add_f64 v[1:2], v[1:2], v[9:10]
	v_add_f64 v[3:4], v[3:4], v[11:12]
	;; [unrolled: 1-line block ×4, first 2 shown]
	s_waitcnt vmcnt(2)
	v_add_f64 v[1:2], v[67:68], -v[1:2]
	s_waitcnt vmcnt(0)
	v_add_f64 v[3:4], v[77:78], -v[3:4]
	buffer_store_dword v2, off, s[0:3], 0 offset:68
	buffer_store_dword v1, off, s[0:3], 0 offset:64
	buffer_store_dword v4, off, s[0:3], 0 offset:76
	buffer_store_dword v3, off, s[0:3], 0 offset:72
	v_cmpx_lt_u32_e32 2, v0
	s_cbranch_execz .LBB52_327
; %bb.326:
	v_mov_b32_e32 v4, s63
	s_clause 0x3
	buffer_load_dword v1, v4, s[0:3], 0 offen
	buffer_load_dword v2, v4, s[0:3], 0 offen offset:4
	buffer_load_dword v3, v4, s[0:3], 0 offen offset:8
	;; [unrolled: 1-line block ×3, first 2 shown]
	buffer_store_dword v52, off, s[0:3], 0 offset:48
	buffer_store_dword v52, off, s[0:3], 0 offset:52
	;; [unrolled: 1-line block ×4, first 2 shown]
	s_waitcnt vmcnt(0)
	ds_write_b128 v43, v[1:4]
.LBB52_327:
	s_or_b32 exec_lo, exec_lo, s4
	s_waitcnt lgkmcnt(0)
	s_waitcnt_vscnt null, 0x0
	s_barrier
	buffer_gl0_inv
	s_clause 0x37
	buffer_load_dword v17, off, s[0:3], 0 offset:72
	buffer_load_dword v18, off, s[0:3], 0 offset:76
	;; [unrolled: 1-line block ×56, first 2 shown]
	ds_read_b128 v[5:8], v52 offset:896
	s_clause 0x2
	buffer_load_dword v90, off, s[0:3], 0 offset:300
	buffer_load_dword v92, off, s[0:3], 0 offset:276
	;; [unrolled: 1-line block ×3, first 2 shown]
	ds_read_b128 v[1:4], v52 offset:912
	s_clause 0x4
	buffer_load_dword v100, off, s[0:3], 0 offset:316
	buffer_load_dword v101, off, s[0:3], 0 offset:328
	;; [unrolled: 1-line block ×5, first 2 shown]
	ds_read_b128 v[93:96], v52 offset:928
	s_mov_b32 s4, exec_lo
	s_waitcnt vmcnt(62) lgkmcnt(2)
	v_mul_f64 v[97:98], v[7:8], v[17:18]
	v_mul_f64 v[17:18], v[5:6], v[17:18]
	s_waitcnt vmcnt(60) lgkmcnt(1)
	v_mul_f64 v[104:105], v[3:4], v[13:14]
	v_mul_f64 v[13:14], v[1:2], v[13:14]
	;; [unrolled: 3-line block ×3, first 2 shown]
	v_fma_f64 v[97:98], v[5:6], v[15:16], -v[97:98]
	v_fma_f64 v[15:16], v[7:8], v[15:16], v[17:18]
	s_clause 0x2
	buffer_load_dword v102, off, s[0:3], 0 offset:332
	buffer_load_dword v18, off, s[0:3], 0 offset:308
	;; [unrolled: 1-line block ×3, first 2 shown]
	s_waitcnt vmcnt(57)
	v_fma_f64 v[108:109], v[1:2], v[9:10], -v[104:105]
	ds_read_b128 v[5:8], v52 offset:944
	v_fma_f64 v[9:10], v[3:4], v[9:10], v[13:14]
	s_waitcnt vmcnt(51)
	v_fma_f64 v[93:94], v[93:94], v[33:34], -v[11:12]
	v_fma_f64 v[33:34], v[95:96], v[33:34], v[106:107]
	v_add_f64 v[97:98], v[97:98], 0
	v_add_f64 v[13:14], v[15:16], 0
	s_clause 0x4
	buffer_load_dword v16, off, s[0:3], 0 offset:348
	buffer_load_dword v105, off, s[0:3], 0 offset:360
	;; [unrolled: 1-line block ×5, first 2 shown]
	s_waitcnt lgkmcnt(0)
	v_mul_f64 v[111:112], v[5:6], v[21:22]
	v_mul_f64 v[21:22], v[7:8], v[21:22]
	ds_read_b128 v[1:4], v52 offset:960
	s_clause 0x2
	buffer_load_dword v106, off, s[0:3], 0 offset:364
	buffer_load_dword v96, off, s[0:3], 0 offset:340
	buffer_load_dword v95, off, s[0:3], 0 offset:336
	v_add_f64 v[97:98], v[97:98], v[108:109]
	v_add_f64 v[13:14], v[13:14], v[9:10]
	ds_read_b128 v[9:12], v52 offset:976
	s_waitcnt vmcnt(58) lgkmcnt(1)
	v_mul_f64 v[107:108], v[1:2], v[25:26]
	v_mul_f64 v[25:26], v[3:4], v[25:26]
	s_waitcnt vmcnt(56)
	v_fma_f64 v[21:22], v[5:6], v[27:28], -v[21:22]
	v_fma_f64 v[27:28], v[7:8], v[27:28], v[111:112]
	s_waitcnt vmcnt(52) lgkmcnt(0)
	v_mul_f64 v[113:114], v[9:10], v[29:30]
	v_add_f64 v[93:94], v[97:98], v[93:94]
	v_add_f64 v[13:14], v[13:14], v[33:34]
	s_clause 0x4
	buffer_load_dword v34, off, s[0:3], 0 offset:380
	buffer_load_dword v97, off, s[0:3], 0 offset:392
	buffer_load_dword v112, off, s[0:3], 0 offset:384
	buffer_load_dword v33, off, s[0:3], 0 offset:376
	buffer_load_dword v111, off, s[0:3], 0 offset:356
	v_mul_f64 v[29:30], v[11:12], v[29:30]
	s_waitcnt vmcnt(56)
	v_fma_f64 v[25:26], v[1:2], v[19:20], -v[25:26]
	ds_read_b128 v[5:8], v52 offset:992
	v_fma_f64 v[19:20], v[3:4], v[19:20], v[107:108]
	v_add_f64 v[21:22], v[93:94], v[21:22]
	v_add_f64 v[13:14], v[13:14], v[27:28]
	s_clause 0x2
	buffer_load_dword v98, off, s[0:3], 0 offset:396
	buffer_load_dword v28, off, s[0:3], 0 offset:372
	;; [unrolled: 1-line block ×3, first 2 shown]
	s_waitcnt vmcnt(58) lgkmcnt(0)
	v_mul_f64 v[93:94], v[5:6], v[35:36]
	v_mul_f64 v[35:36], v[7:8], v[35:36]
	s_waitcnt vmcnt(56)
	v_fma_f64 v[29:30], v[9:10], v[37:38], -v[29:30]
	ds_read_b128 v[1:4], v52 offset:1008
	v_add_f64 v[21:22], v[21:22], v[25:26]
	v_fma_f64 v[25:26], v[11:12], v[37:38], v[113:114]
	v_add_f64 v[13:14], v[13:14], v[19:20]
	s_clause 0x4
	buffer_load_dword v20, off, s[0:3], 0 offset:412
	buffer_load_dword v37, off, s[0:3], 0 offset:424
	buffer_load_dword v107, off, s[0:3], 0 offset:416
	buffer_load_dword v19, off, s[0:3], 0 offset:408
	buffer_load_dword v113, off, s[0:3], 0 offset:388
	s_waitcnt vmcnt(57) lgkmcnt(0)
	v_mul_f64 v[108:109], v[1:2], v[39:40]
	v_mul_f64 v[39:40], v[3:4], v[39:40]
	s_waitcnt vmcnt(56)
	v_fma_f64 v[35:36], v[5:6], v[23:24], -v[35:36]
	ds_read_b128 v[9:12], v52 offset:1024
	v_fma_f64 v[23:24], v[7:8], v[23:24], v[93:94]
	v_add_f64 v[21:22], v[21:22], v[29:30]
	v_add_f64 v[13:14], v[13:14], v[25:26]
	s_clause 0x2
	buffer_load_dword v38, off, s[0:3], 0 offset:428
	buffer_load_dword v26, off, s[0:3], 0 offset:404
	;; [unrolled: 1-line block ×3, first 2 shown]
	ds_read_b128 v[5:8], v52 offset:1040
	s_waitcnt vmcnt(58) lgkmcnt(1)
	v_mul_f64 v[29:30], v[9:10], v[48:49]
	v_mul_f64 v[48:49], v[11:12], v[48:49]
	s_waitcnt vmcnt(56)
	v_fma_f64 v[39:40], v[1:2], v[50:51], -v[39:40]
	v_add_f64 v[21:22], v[21:22], v[35:36]
	v_fma_f64 v[35:36], v[3:4], v[50:51], v[108:109]
	v_add_f64 v[13:14], v[13:14], v[23:24]
	s_clause 0x4
	buffer_load_dword v24, off, s[0:3], 0 offset:444
	buffer_load_dword v50, off, s[0:3], 0 offset:456
	;; [unrolled: 1-line block ×5, first 2 shown]
	s_waitcnt vmcnt(57) lgkmcnt(0)
	v_mul_f64 v[114:115], v[5:6], v[65:66]
	v_mul_f64 v[65:66], v[7:8], v[65:66]
	s_waitcnt vmcnt(56)
	v_fma_f64 v[48:49], v[9:10], v[31:32], -v[48:49]
	ds_read_b128 v[1:4], v52 offset:1056
	v_fma_f64 v[29:30], v[11:12], v[31:32], v[29:30]
	s_clause 0x2
	buffer_load_dword v51, off, s[0:3], 0 offset:460
	buffer_load_dword v32, off, s[0:3], 0 offset:436
	;; [unrolled: 1-line block ×3, first 2 shown]
	ds_read_b128 v[9:12], v52 offset:1072
	v_add_f64 v[21:22], v[21:22], v[39:40]
	v_add_f64 v[13:14], v[13:14], v[35:36]
	s_waitcnt vmcnt(58) lgkmcnt(1)
	v_mul_f64 v[39:40], v[3:4], v[75:76]
	s_waitcnt vmcnt(56)
	v_fma_f64 v[65:66], v[5:6], v[77:78], -v[65:66]
	v_mul_f64 v[35:36], v[1:2], v[75:76]
	v_add_f64 v[21:22], v[21:22], v[48:49]
	v_fma_f64 v[48:49], v[7:8], v[77:78], v[114:115]
	v_add_f64 v[13:14], v[13:14], v[29:30]
	s_clause 0x4
	buffer_load_dword v30, off, s[0:3], 0 offset:476
	buffer_load_dword v75, off, s[0:3], 0 offset:488
	;; [unrolled: 1-line block ×5, first 2 shown]
	s_waitcnt vmcnt(57) lgkmcnt(0)
	v_mul_f64 v[114:115], v[9:10], v[79:80]
	v_mul_f64 v[78:79], v[11:12], v[79:80]
	s_waitcnt vmcnt(56)
	v_fma_f64 v[39:40], v[1:2], v[41:42], -v[39:40]
	ds_read_b128 v[5:8], v52 offset:1088
	v_fma_f64 v[35:36], v[3:4], v[41:42], v[35:36]
	s_clause 0x2
	buffer_load_dword v76, off, s[0:3], 0 offset:492
	buffer_load_dword v42, off, s[0:3], 0 offset:468
	;; [unrolled: 1-line block ×3, first 2 shown]
	ds_read_b128 v[1:4], v52 offset:1104
	v_add_f64 v[21:22], v[21:22], v[65:66]
	v_add_f64 v[13:14], v[13:14], v[48:49]
	s_waitcnt vmcnt(58) lgkmcnt(1)
	v_mul_f64 v[65:66], v[7:8], v[83:84]
	s_waitcnt vmcnt(56)
	v_fma_f64 v[79:80], v[9:10], v[85:86], -v[78:79]
	v_mul_f64 v[48:49], v[5:6], v[83:84]
	v_add_f64 v[21:22], v[21:22], v[39:40]
	v_fma_f64 v[39:40], v[11:12], v[85:86], v[114:115]
	v_add_f64 v[13:14], v[13:14], v[35:36]
	s_clause 0x4
	buffer_load_dword v36, off, s[0:3], 0 offset:508
	buffer_load_dword v83, off, s[0:3], 0 offset:520
	;; [unrolled: 1-line block ×5, first 2 shown]
	s_waitcnt vmcnt(57) lgkmcnt(0)
	v_mul_f64 v[114:115], v[1:2], v[87:88]
	v_mul_f64 v[86:87], v[3:4], v[87:88]
	s_waitcnt vmcnt(56)
	v_fma_f64 v[65:66], v[5:6], v[67:68], -v[65:66]
	ds_read_b128 v[9:12], v52 offset:1120
	v_fma_f64 v[48:49], v[7:8], v[67:68], v[48:49]
	v_add_f64 v[21:22], v[21:22], v[79:80]
	v_add_f64 v[13:14], v[13:14], v[39:40]
	s_clause 0x2
	buffer_load_dword v84, off, s[0:3], 0 offset:524
	buffer_load_dword v40, off, s[0:3], 0 offset:500
	;; [unrolled: 1-line block ×3, first 2 shown]
	ds_read_b128 v[5:8], v52 offset:1136
	s_waitcnt vmcnt(58) lgkmcnt(1)
	v_mul_f64 v[79:80], v[11:12], v[89:90]
	s_waitcnt vmcnt(56)
	v_fma_f64 v[87:88], v[1:2], v[91:92], -v[86:87]
	v_mul_f64 v[67:68], v[9:10], v[89:90]
	v_add_f64 v[21:22], v[21:22], v[65:66]
	v_fma_f64 v[65:66], v[3:4], v[91:92], v[114:115]
	v_add_f64 v[13:14], v[13:14], v[48:49]
	s_clause 0x4
	buffer_load_dword v49, off, s[0:3], 0 offset:540
	buffer_load_dword v89, off, s[0:3], 0 offset:552
	;; [unrolled: 1-line block ×5, first 2 shown]
	s_waitcnt vmcnt(57) lgkmcnt(0)
	v_mul_f64 v[114:115], v[5:6], v[99:100]
	v_mul_f64 v[99:100], v[7:8], v[99:100]
	s_waitcnt vmcnt(56)
	v_fma_f64 v[79:80], v[9:10], v[81:82], -v[79:80]
	ds_read_b128 v[1:4], v52 offset:1152
	v_fma_f64 v[67:68], v[11:12], v[81:82], v[67:68]
	v_add_f64 v[21:22], v[21:22], v[87:88]
	v_add_f64 v[13:14], v[13:14], v[65:66]
	s_clause 0x2
	buffer_load_dword v90, off, s[0:3], 0 offset:556
	buffer_load_dword v66, off, s[0:3], 0 offset:532
	;; [unrolled: 1-line block ×3, first 2 shown]
	ds_read_b128 v[9:12], v52 offset:1168
	s_waitcnt vmcnt(58) lgkmcnt(1)
	v_mul_f64 v[87:88], v[3:4], v[101:102]
	v_mul_f64 v[81:82], v[1:2], v[101:102]
	s_waitcnt vmcnt(56)
	v_fma_f64 v[99:100], v[5:6], v[17:18], -v[99:100]
	v_fma_f64 v[17:18], v[7:8], v[17:18], v[114:115]
	v_add_f64 v[21:22], v[21:22], v[79:80]
	v_add_f64 v[13:14], v[13:14], v[67:68]
	s_clause 0x4
	buffer_load_dword v68, off, s[0:3], 0 offset:572
	buffer_load_dword v79, off, s[0:3], 0 offset:584
	;; [unrolled: 1-line block ×5, first 2 shown]
	ds_read_b128 v[5:8], v52 offset:1184
	s_waitcnt vmcnt(57) lgkmcnt(1)
	v_mul_f64 v[114:115], v[9:10], v[15:16]
	v_mul_f64 v[15:16], v[11:12], v[15:16]
	s_waitcnt vmcnt(56)
	v_fma_f64 v[87:88], v[1:2], v[103:104], -v[87:88]
	v_fma_f64 v[81:82], v[3:4], v[103:104], v[81:82]
	v_add_f64 v[21:22], v[21:22], v[99:100]
	v_add_f64 v[13:14], v[13:14], v[17:18]
	s_clause 0x2
	buffer_load_dword v80, off, s[0:3], 0 offset:588
	buffer_load_dword v18, off, s[0:3], 0 offset:564
	;; [unrolled: 1-line block ×3, first 2 shown]
	s_waitcnt vmcnt(58) lgkmcnt(0)
	v_mul_f64 v[103:104], v[7:8], v[105:106]
	ds_read_b128 v[1:4], v52 offset:1200
	v_mul_f64 v[99:100], v[5:6], v[105:106]
	s_waitcnt vmcnt(56)
	v_fma_f64 v[15:16], v[9:10], v[95:96], -v[15:16]
	v_add_f64 v[21:22], v[21:22], v[87:88]
	v_fma_f64 v[87:88], v[11:12], v[95:96], v[114:115]
	v_add_f64 v[13:14], v[13:14], v[81:82]
	s_clause 0x4
	buffer_load_dword v82, off, s[0:3], 0 offset:604
	buffer_load_dword v95, off, s[0:3], 0 offset:616
	;; [unrolled: 1-line block ×5, first 2 shown]
	ds_read_b128 v[9:12], v52 offset:1216
	s_waitcnt vmcnt(57) lgkmcnt(1)
	v_mul_f64 v[114:115], v[1:2], v[33:34]
	v_mul_f64 v[33:34], v[3:4], v[33:34]
	s_waitcnt vmcnt(56)
	v_fma_f64 v[103:104], v[5:6], v[110:111], -v[103:104]
	v_add_f64 v[15:16], v[21:22], v[15:16]
	v_fma_f64 v[21:22], v[7:8], v[110:111], v[99:100]
	v_add_f64 v[13:14], v[13:14], v[87:88]
	s_clause 0x2
	buffer_load_dword v96, off, s[0:3], 0 offset:620
	buffer_load_dword v88, off, s[0:3], 0 offset:596
	;; [unrolled: 1-line block ×3, first 2 shown]
	ds_read_b128 v[5:8], v52 offset:1232
	s_waitcnt vmcnt(58) lgkmcnt(1)
	v_mul_f64 v[99:100], v[9:10], v[97:98]
	v_mul_f64 v[97:98], v[11:12], v[97:98]
	s_waitcnt vmcnt(56)
	v_fma_f64 v[33:34], v[1:2], v[27:28], -v[33:34]
	v_fma_f64 v[27:28], v[3:4], v[27:28], v[114:115]
	v_add_f64 v[15:16], v[15:16], v[103:104]
	v_add_f64 v[13:14], v[13:14], v[21:22]
	s_clause 0x4
	buffer_load_dword v22, off, s[0:3], 0 offset:636
	buffer_load_dword v103, off, s[0:3], 0 offset:648
	;; [unrolled: 1-line block ×5, first 2 shown]
	ds_read_b128 v[1:4], v52 offset:1248
	s_waitcnt vmcnt(57) lgkmcnt(1)
	v_mul_f64 v[110:111], v[5:6], v[19:20]
	v_mul_f64 v[19:20], v[7:8], v[19:20]
	s_waitcnt vmcnt(56)
	v_fma_f64 v[97:98], v[9:10], v[112:113], -v[97:98]
	v_add_f64 v[15:16], v[15:16], v[33:34]
	v_fma_f64 v[33:34], v[11:12], v[112:113], v[99:100]
	v_add_f64 v[13:14], v[13:14], v[27:28]
	s_clause 0x2
	buffer_load_dword v104, off, s[0:3], 0 offset:652
	buffer_load_dword v28, off, s[0:3], 0 offset:628
	;; [unrolled: 1-line block ×3, first 2 shown]
	ds_read_b128 v[9:12], v52 offset:1264
	s_waitcnt vmcnt(58) lgkmcnt(1)
	v_mul_f64 v[99:100], v[1:2], v[37:38]
	v_mul_f64 v[37:38], v[3:4], v[37:38]
	s_waitcnt vmcnt(56)
	v_fma_f64 v[19:20], v[5:6], v[25:26], -v[19:20]
	v_fma_f64 v[25:26], v[7:8], v[25:26], v[110:111]
	v_add_f64 v[15:16], v[15:16], v[97:98]
	v_add_f64 v[13:14], v[13:14], v[33:34]
	s_clause 0x4
	buffer_load_dword v34, off, s[0:3], 0 offset:668
	buffer_load_dword v97, off, s[0:3], 0 offset:680
	;; [unrolled: 1-line block ×5, first 2 shown]
	ds_read_b128 v[5:8], v52 offset:1280
	s_waitcnt vmcnt(57) lgkmcnt(1)
	v_mul_f64 v[112:113], v[9:10], v[23:24]
	v_mul_f64 v[23:24], v[11:12], v[23:24]
	s_waitcnt vmcnt(56)
	v_fma_f64 v[37:38], v[1:2], v[107:108], -v[37:38]
	v_add_f64 v[15:16], v[15:16], v[19:20]
	v_fma_f64 v[19:20], v[3:4], v[107:108], v[99:100]
	v_add_f64 v[13:14], v[13:14], v[25:26]
	s_clause 0x2
	buffer_load_dword v98, off, s[0:3], 0 offset:684
	buffer_load_dword v26, off, s[0:3], 0 offset:660
	;; [unrolled: 1-line block ×3, first 2 shown]
	s_waitcnt vmcnt(58) lgkmcnt(0)
	v_mul_f64 v[99:100], v[5:6], v[50:51]
	v_mul_f64 v[50:51], v[7:8], v[50:51]
	ds_read_b128 v[1:4], v52 offset:1296
	s_waitcnt vmcnt(56)
	v_fma_f64 v[23:24], v[9:10], v[31:32], -v[23:24]
	v_fma_f64 v[31:32], v[11:12], v[31:32], v[112:113]
	v_add_f64 v[15:16], v[15:16], v[37:38]
	v_add_f64 v[13:14], v[13:14], v[19:20]
	s_clause 0x4
	buffer_load_dword v20, off, s[0:3], 0 offset:700
	buffer_load_dword v37, off, s[0:3], 0 offset:712
	;; [unrolled: 1-line block ×5, first 2 shown]
	ds_read_b128 v[9:12], v52 offset:1312
	s_waitcnt vmcnt(57) lgkmcnt(1)
	v_mul_f64 v[113:114], v[1:2], v[29:30]
	v_mul_f64 v[29:30], v[3:4], v[29:30]
	s_waitcnt vmcnt(56)
	v_fma_f64 v[50:51], v[5:6], v[93:94], -v[50:51]
	v_add_f64 v[15:16], v[15:16], v[23:24]
	v_fma_f64 v[23:24], v[7:8], v[93:94], v[99:100]
	v_add_f64 v[13:14], v[13:14], v[31:32]
	s_clause 0x2
	buffer_load_dword v38, off, s[0:3], 0 offset:716
	buffer_load_dword v32, off, s[0:3], 0 offset:692
	;; [unrolled: 1-line block ×3, first 2 shown]
	s_waitcnt vmcnt(58) lgkmcnt(0)
	v_mul_f64 v[93:94], v[9:10], v[75:76]
	v_mul_f64 v[75:76], v[11:12], v[75:76]
	ds_read_b128 v[5:8], v52 offset:1328
	s_waitcnt vmcnt(56)
	v_fma_f64 v[29:30], v[1:2], v[41:42], -v[29:30]
	v_fma_f64 v[41:42], v[3:4], v[41:42], v[113:114]
	v_add_f64 v[15:16], v[15:16], v[50:51]
	v_add_f64 v[13:14], v[13:14], v[23:24]
	s_clause 0x4
	buffer_load_dword v24, off, s[0:3], 0 offset:732
	buffer_load_dword v50, off, s[0:3], 0 offset:744
	buffer_load_dword v99, off, s[0:3], 0 offset:736
	buffer_load_dword v23, off, s[0:3], 0 offset:728
	buffer_load_dword v108, off, s[0:3], 0 offset:708
	ds_read_b128 v[1:4], v52 offset:1344
	s_waitcnt vmcnt(57) lgkmcnt(1)
	v_mul_f64 v[113:114], v[5:6], v[35:36]
	v_mul_f64 v[35:36], v[7:8], v[35:36]
	s_waitcnt vmcnt(56)
	v_fma_f64 v[75:76], v[9:10], v[77:78], -v[75:76]
	v_add_f64 v[15:16], v[15:16], v[29:30]
	v_fma_f64 v[29:30], v[11:12], v[77:78], v[93:94]
	v_add_f64 v[13:14], v[13:14], v[41:42]
	s_clause 0x2
	buffer_load_dword v51, off, s[0:3], 0 offset:748
	buffer_load_dword v42, off, s[0:3], 0 offset:724
	buffer_load_dword v41, off, s[0:3], 0 offset:720
	ds_read_b128 v[9:12], v52 offset:1360
	s_waitcnt vmcnt(58) lgkmcnt(1)
	v_mul_f64 v[77:78], v[1:2], v[83:84]
	v_mul_f64 v[83:84], v[3:4], v[83:84]
	s_waitcnt vmcnt(56)
	v_fma_f64 v[35:36], v[5:6], v[39:40], -v[35:36]
	v_fma_f64 v[39:40], v[7:8], v[39:40], v[113:114]
	v_add_f64 v[15:16], v[15:16], v[75:76]
	v_add_f64 v[13:14], v[13:14], v[29:30]
	s_clause 0x4
	buffer_load_dword v30, off, s[0:3], 0 offset:764
	buffer_load_dword v75, off, s[0:3], 0 offset:776
	buffer_load_dword v93, off, s[0:3], 0 offset:768
	buffer_load_dword v29, off, s[0:3], 0 offset:760
	buffer_load_dword v100, off, s[0:3], 0 offset:740
	ds_read_b128 v[5:8], v52 offset:1376
	s_waitcnt vmcnt(57) lgkmcnt(1)
	v_mul_f64 v[113:114], v[9:10], v[48:49]
	v_mul_f64 v[48:49], v[11:12], v[48:49]
	s_waitcnt vmcnt(56)
	v_fma_f64 v[83:84], v[1:2], v[85:86], -v[83:84]
	v_add_f64 v[15:16], v[15:16], v[35:36]
	v_fma_f64 v[35:36], v[3:4], v[85:86], v[77:78]
	v_add_f64 v[13:14], v[13:14], v[39:40]
	s_clause 0x2
	buffer_load_dword v76, off, s[0:3], 0 offset:780
	buffer_load_dword v40, off, s[0:3], 0 offset:756
	buffer_load_dword v39, off, s[0:3], 0 offset:752
	ds_read_b128 v[1:4], v52 offset:1392
	s_waitcnt vmcnt(58) lgkmcnt(1)
	v_mul_f64 v[85:86], v[7:8], v[89:90]
	v_mul_f64 v[77:78], v[5:6], v[89:90]
	;; [unrolled: 28-line block ×4, first 2 shown]
	s_waitcnt vmcnt(56)
	v_fma_f64 v[81:82], v[5:6], v[87:88], -v[81:82]
	v_add_f64 v[15:16], v[15:16], v[79:80]
	v_fma_f64 v[79:80], v[7:8], v[87:88], v[113:114]
	v_add_f64 v[13:14], v[13:14], v[67:68]
	s_clause 0x2
	buffer_load_dword v68, off, s[0:3], 0 offset:860
	buffer_load_dword v67, off, s[0:3], 0 offset:856
	;; [unrolled: 1-line block ×3, first 2 shown]
	ds_read_b128 v[5:8], v52 offset:1472
	s_waitcnt vmcnt(55) lgkmcnt(1)
	v_mul_f64 v[87:88], v[9:10], v[21:22]
	v_mul_f64 v[21:22], v[11:12], v[21:22]
	s_waitcnt vmcnt(54)
	v_fma_f64 v[95:96], v[1:2], v[105:106], -v[95:96]
	v_fma_f64 v[77:78], v[3:4], v[105:106], v[77:78]
	v_add_f64 v[15:16], v[15:16], v[81:82]
	v_add_f64 v[13:14], v[13:14], v[79:80]
	s_clause 0x1
	buffer_load_dword v80, off, s[0:3], 0 offset:852
	buffer_load_dword v79, off, s[0:3], 0 offset:848
	ds_read_b128 v[1:4], v52 offset:1488
	s_waitcnt vmcnt(55) lgkmcnt(1)
	v_mul_f64 v[101:102], v[7:8], v[103:104]
	v_mul_f64 v[81:82], v[5:6], v[103:104]
	s_waitcnt vmcnt(53)
	v_fma_f64 v[21:22], v[9:10], v[27:28], -v[21:22]
	v_fma_f64 v[27:28], v[11:12], v[27:28], v[87:88]
	ds_read_b128 v[9:12], v52 offset:1504
	v_add_f64 v[15:16], v[15:16], v[95:96]
	v_add_f64 v[13:14], v[13:14], v[77:78]
	s_waitcnt vmcnt(49) lgkmcnt(1)
	v_mul_f64 v[77:78], v[1:2], v[33:34]
	v_mul_f64 v[33:34], v[3:4], v[33:34]
	s_waitcnt vmcnt(48)
	v_fma_f64 v[87:88], v[5:6], v[109:110], -v[101:102]
	v_add_f64 v[15:16], v[15:16], v[21:22]
	v_fma_f64 v[21:22], v[7:8], v[109:110], v[81:82]
	v_add_f64 v[13:14], v[13:14], v[27:28]
	s_clause 0x3
	buffer_load_dword v27, off, s[0:3], 0 offset:48
	buffer_load_dword v28, off, s[0:3], 0 offset:52
	;; [unrolled: 1-line block ×4, first 2 shown]
	ds_read_b128 v[5:8], v52 offset:1520
	s_waitcnt vmcnt(51) lgkmcnt(1)
	v_mul_f64 v[95:96], v[9:10], v[97:98]
	v_mul_f64 v[97:98], v[11:12], v[97:98]
	s_waitcnt vmcnt(49)
	v_fma_f64 v[33:34], v[1:2], v[25:26], -v[33:34]
	v_fma_f64 v[25:26], v[3:4], v[25:26], v[77:78]
	ds_read_b128 v[1:4], v52 offset:1536
	v_add_f64 v[15:16], v[15:16], v[87:88]
	v_add_f64 v[13:14], v[13:14], v[21:22]
	s_waitcnt vmcnt(45) lgkmcnt(1)
	v_mul_f64 v[21:22], v[5:6], v[19:20]
	v_mul_f64 v[19:20], v[7:8], v[19:20]
	s_waitcnt vmcnt(44)
	v_fma_f64 v[77:78], v[9:10], v[111:112], -v[97:98]
	v_add_f64 v[15:16], v[15:16], v[33:34]
	v_fma_f64 v[33:34], v[11:12], v[111:112], v[95:96]
	v_add_f64 v[13:14], v[13:14], v[25:26]
	ds_read_b128 v[9:12], v52 offset:1552
	s_waitcnt vmcnt(43) lgkmcnt(1)
	v_mul_f64 v[25:26], v[1:2], v[37:38]
	v_mul_f64 v[37:38], v[3:4], v[37:38]
	s_waitcnt vmcnt(41)
	v_fma_f64 v[19:20], v[5:6], v[31:32], -v[19:20]
	v_fma_f64 v[21:22], v[7:8], v[31:32], v[21:22]
	ds_read_b128 v[5:8], v52 offset:1568
	v_add_f64 v[15:16], v[15:16], v[77:78]
	v_add_f64 v[13:14], v[13:14], v[33:34]
	s_waitcnt vmcnt(37) lgkmcnt(1)
	v_mul_f64 v[31:32], v[9:10], v[23:24]
	v_mul_f64 v[23:24], v[11:12], v[23:24]
	s_waitcnt vmcnt(36)
	v_fma_f64 v[33:34], v[1:2], v[107:108], -v[37:38]
	v_add_f64 v[15:16], v[15:16], v[19:20]
	v_fma_f64 v[19:20], v[3:4], v[107:108], v[25:26]
	v_add_f64 v[13:14], v[13:14], v[21:22]
	ds_read_b128 v[1:4], v52 offset:1584
	s_waitcnt vmcnt(35) lgkmcnt(1)
	v_mul_f64 v[25:26], v[7:8], v[50:51]
	v_mul_f64 v[21:22], v[5:6], v[50:51]
	s_waitcnt vmcnt(33)
	v_fma_f64 v[23:24], v[9:10], v[41:42], -v[23:24]
	v_fma_f64 v[31:32], v[11:12], v[41:42], v[31:32]
	ds_read_b128 v[9:12], v52 offset:1600
	v_add_f64 v[15:16], v[15:16], v[33:34]
	v_add_f64 v[13:14], v[13:14], v[19:20]
	s_waitcnt vmcnt(29) lgkmcnt(1)
	v_mul_f64 v[19:20], v[1:2], v[29:30]
	v_mul_f64 v[29:30], v[3:4], v[29:30]
	s_waitcnt vmcnt(28)
	v_fma_f64 v[25:26], v[5:6], v[99:100], -v[25:26]
	v_fma_f64 v[21:22], v[7:8], v[99:100], v[21:22]
	ds_read_b128 v[5:8], v52 offset:1616
	v_add_f64 v[15:16], v[15:16], v[23:24]
	v_add_f64 v[13:14], v[13:14], v[31:32]
	;; [unrolled: 9-line block ×3, first 2 shown]
	s_waitcnt vmcnt(21) lgkmcnt(1)
	v_mul_f64 v[25:26], v[7:8], v[35:36]
	s_waitcnt vmcnt(20)
	v_fma_f64 v[31:32], v[9:10], v[93:94], -v[31:32]
	v_mul_f64 v[21:22], v[5:6], v[35:36]
	v_fma_f64 v[23:24], v[11:12], v[93:94], v[23:24]
	ds_read_b128 v[9:12], v52 offset:1648
	v_add_f64 v[15:16], v[15:16], v[29:30]
	v_add_f64 v[13:14], v[13:14], v[19:20]
	s_waitcnt vmcnt(19) lgkmcnt(1)
	v_mul_f64 v[29:30], v[3:4], v[83:84]
	v_mul_f64 v[19:20], v[1:2], v[83:84]
	s_waitcnt vmcnt(17)
	v_fma_f64 v[25:26], v[5:6], v[65:66], -v[25:26]
	v_fma_f64 v[21:22], v[7:8], v[65:66], v[21:22]
	ds_read_b128 v[5:8], v52 offset:1664
	v_add_f64 v[15:16], v[15:16], v[31:32]
	v_add_f64 v[13:14], v[13:14], v[23:24]
	s_waitcnt vmcnt(13) lgkmcnt(1)
	v_mul_f64 v[31:32], v[11:12], v[48:49]
	s_waitcnt vmcnt(12)
	v_fma_f64 v[29:30], v[1:2], v[89:90], -v[29:30]
	v_mul_f64 v[23:24], v[9:10], v[48:49]
	v_fma_f64 v[19:20], v[3:4], v[89:90], v[19:20]
	ds_read_b128 v[1:4], v52 offset:1680
	v_add_f64 v[15:16], v[15:16], v[25:26]
	v_add_f64 v[13:14], v[13:14], v[21:22]
	s_waitcnt vmcnt(11) lgkmcnt(1)
	v_mul_f64 v[25:26], v[7:8], v[85:86]
	v_mul_f64 v[21:22], v[5:6], v[85:86]
	s_waitcnt vmcnt(9)
	v_fma_f64 v[9:10], v[9:10], v[17:18], -v[31:32]
	v_fma_f64 v[11:12], v[11:12], v[17:18], v[23:24]
	v_add_f64 v[15:16], v[15:16], v[29:30]
	v_add_f64 v[13:14], v[13:14], v[19:20]
	s_waitcnt vmcnt(7) lgkmcnt(0)
	v_mul_f64 v[19:20], v[3:4], v[67:68]
	s_waitcnt vmcnt(6)
	v_fma_f64 v[5:6], v[5:6], v[91:92], -v[25:26]
	v_mul_f64 v[17:18], v[1:2], v[67:68]
	v_fma_f64 v[7:8], v[7:8], v[91:92], v[21:22]
	v_add_f64 v[9:10], v[15:16], v[9:10]
	v_add_f64 v[11:12], v[13:14], v[11:12]
	s_waitcnt vmcnt(4)
	v_fma_f64 v[1:2], v[1:2], v[79:80], -v[19:20]
	v_fma_f64 v[3:4], v[3:4], v[79:80], v[17:18]
	v_add_f64 v[5:6], v[9:10], v[5:6]
	v_add_f64 v[7:8], v[11:12], v[7:8]
	;; [unrolled: 1-line block ×4, first 2 shown]
	s_waitcnt vmcnt(2)
	v_add_f64 v[1:2], v[27:28], -v[1:2]
	s_waitcnt vmcnt(0)
	v_add_f64 v[3:4], v[81:82], -v[3:4]
	buffer_store_dword v2, off, s[0:3], 0 offset:52
	buffer_store_dword v1, off, s[0:3], 0 offset:48
	;; [unrolled: 1-line block ×4, first 2 shown]
	v_cmpx_lt_u32_e32 1, v0
	s_cbranch_execz .LBB52_329
; %bb.328:
	v_mov_b32_e32 v4, s64
	v_mov_b32_e32 v5, 0
	s_clause 0x3
	buffer_load_dword v1, v4, s[0:3], 0 offen
	buffer_load_dword v2, v4, s[0:3], 0 offen offset:4
	buffer_load_dword v3, v4, s[0:3], 0 offen offset:8
	;; [unrolled: 1-line block ×3, first 2 shown]
	buffer_store_dword v5, off, s[0:3], 0 offset:32
	buffer_store_dword v5, off, s[0:3], 0 offset:36
	;; [unrolled: 1-line block ×4, first 2 shown]
	s_waitcnt vmcnt(0)
	ds_write_b128 v43, v[1:4]
.LBB52_329:
	s_or_b32 exec_lo, exec_lo, s4
	s_waitcnt lgkmcnt(0)
	s_waitcnt_vscnt null, 0x0
	s_barrier
	buffer_gl0_inv
	s_clause 0x37
	buffer_load_dword v17, off, s[0:3], 0 offset:56
	buffer_load_dword v18, off, s[0:3], 0 offset:60
	;; [unrolled: 1-line block ×56, first 2 shown]
	v_mov_b32_e32 v52, 0
	s_mov_b32 s4, exec_lo
	ds_read_b128 v[5:8], v52 offset:880
	s_clause 0x2
	buffer_load_dword v90, off, s[0:3], 0 offset:284
	buffer_load_dword v92, off, s[0:3], 0 offset:260
	;; [unrolled: 1-line block ×3, first 2 shown]
	ds_read_b128 v[1:4], v52 offset:896
	s_clause 0x4
	buffer_load_dword v100, off, s[0:3], 0 offset:300
	buffer_load_dword v101, off, s[0:3], 0 offset:312
	buffer_load_dword v103, off, s[0:3], 0 offset:304
	buffer_load_dword v99, off, s[0:3], 0 offset:296
	buffer_load_dword v82, off, s[0:3], 0 offset:276
	ds_read_b128 v[93:96], v52 offset:912
	s_waitcnt vmcnt(62) lgkmcnt(2)
	v_mul_f64 v[97:98], v[7:8], v[17:18]
	v_mul_f64 v[17:18], v[5:6], v[17:18]
	s_waitcnt vmcnt(60) lgkmcnt(1)
	v_mul_f64 v[104:105], v[3:4], v[13:14]
	v_mul_f64 v[13:14], v[1:2], v[13:14]
	;; [unrolled: 3-line block ×3, first 2 shown]
	v_fma_f64 v[97:98], v[5:6], v[15:16], -v[97:98]
	v_fma_f64 v[15:16], v[7:8], v[15:16], v[17:18]
	s_clause 0x2
	buffer_load_dword v102, off, s[0:3], 0 offset:316
	buffer_load_dword v18, off, s[0:3], 0 offset:292
	;; [unrolled: 1-line block ×3, first 2 shown]
	s_waitcnt vmcnt(57)
	v_fma_f64 v[108:109], v[1:2], v[9:10], -v[104:105]
	ds_read_b128 v[5:8], v52 offset:928
	v_fma_f64 v[9:10], v[3:4], v[9:10], v[13:14]
	s_waitcnt vmcnt(51)
	v_fma_f64 v[93:94], v[93:94], v[33:34], -v[11:12]
	v_fma_f64 v[33:34], v[95:96], v[33:34], v[106:107]
	v_add_f64 v[97:98], v[97:98], 0
	v_add_f64 v[13:14], v[15:16], 0
	s_clause 0x4
	buffer_load_dword v16, off, s[0:3], 0 offset:332
	buffer_load_dword v105, off, s[0:3], 0 offset:344
	;; [unrolled: 1-line block ×5, first 2 shown]
	s_waitcnt lgkmcnt(0)
	v_mul_f64 v[111:112], v[5:6], v[21:22]
	v_mul_f64 v[21:22], v[7:8], v[21:22]
	ds_read_b128 v[1:4], v52 offset:944
	s_clause 0x2
	buffer_load_dword v106, off, s[0:3], 0 offset:348
	buffer_load_dword v96, off, s[0:3], 0 offset:324
	;; [unrolled: 1-line block ×3, first 2 shown]
	v_add_f64 v[97:98], v[97:98], v[108:109]
	v_add_f64 v[13:14], v[13:14], v[9:10]
	ds_read_b128 v[9:12], v52 offset:960
	s_waitcnt vmcnt(58) lgkmcnt(1)
	v_mul_f64 v[107:108], v[1:2], v[25:26]
	v_mul_f64 v[25:26], v[3:4], v[25:26]
	s_waitcnt vmcnt(56)
	v_fma_f64 v[21:22], v[5:6], v[27:28], -v[21:22]
	v_fma_f64 v[27:28], v[7:8], v[27:28], v[111:112]
	s_waitcnt vmcnt(52) lgkmcnt(0)
	v_mul_f64 v[113:114], v[9:10], v[29:30]
	v_add_f64 v[93:94], v[97:98], v[93:94]
	v_add_f64 v[13:14], v[13:14], v[33:34]
	s_clause 0x4
	buffer_load_dword v34, off, s[0:3], 0 offset:364
	buffer_load_dword v97, off, s[0:3], 0 offset:376
	;; [unrolled: 1-line block ×5, first 2 shown]
	v_mul_f64 v[29:30], v[11:12], v[29:30]
	s_waitcnt vmcnt(56)
	v_fma_f64 v[25:26], v[1:2], v[19:20], -v[25:26]
	ds_read_b128 v[5:8], v52 offset:976
	v_fma_f64 v[19:20], v[3:4], v[19:20], v[107:108]
	v_add_f64 v[21:22], v[93:94], v[21:22]
	v_add_f64 v[13:14], v[13:14], v[27:28]
	s_clause 0x2
	buffer_load_dword v98, off, s[0:3], 0 offset:380
	buffer_load_dword v28, off, s[0:3], 0 offset:356
	;; [unrolled: 1-line block ×3, first 2 shown]
	s_waitcnt vmcnt(58) lgkmcnt(0)
	v_mul_f64 v[93:94], v[5:6], v[35:36]
	v_mul_f64 v[35:36], v[7:8], v[35:36]
	s_waitcnt vmcnt(56)
	v_fma_f64 v[29:30], v[9:10], v[37:38], -v[29:30]
	ds_read_b128 v[1:4], v52 offset:992
	v_add_f64 v[21:22], v[21:22], v[25:26]
	v_fma_f64 v[25:26], v[11:12], v[37:38], v[113:114]
	v_add_f64 v[13:14], v[13:14], v[19:20]
	s_clause 0x4
	buffer_load_dword v20, off, s[0:3], 0 offset:396
	buffer_load_dword v37, off, s[0:3], 0 offset:408
	;; [unrolled: 1-line block ×5, first 2 shown]
	s_waitcnt vmcnt(57) lgkmcnt(0)
	v_mul_f64 v[108:109], v[1:2], v[39:40]
	v_mul_f64 v[39:40], v[3:4], v[39:40]
	s_waitcnt vmcnt(56)
	v_fma_f64 v[35:36], v[5:6], v[23:24], -v[35:36]
	ds_read_b128 v[9:12], v52 offset:1008
	v_fma_f64 v[23:24], v[7:8], v[23:24], v[93:94]
	v_add_f64 v[21:22], v[21:22], v[29:30]
	v_add_f64 v[13:14], v[13:14], v[25:26]
	s_clause 0x2
	buffer_load_dword v38, off, s[0:3], 0 offset:412
	buffer_load_dword v26, off, s[0:3], 0 offset:388
	;; [unrolled: 1-line block ×3, first 2 shown]
	ds_read_b128 v[5:8], v52 offset:1024
	s_waitcnt vmcnt(58) lgkmcnt(1)
	v_mul_f64 v[29:30], v[9:10], v[48:49]
	v_mul_f64 v[48:49], v[11:12], v[48:49]
	s_waitcnt vmcnt(56)
	v_fma_f64 v[39:40], v[1:2], v[50:51], -v[39:40]
	v_add_f64 v[21:22], v[21:22], v[35:36]
	v_fma_f64 v[35:36], v[3:4], v[50:51], v[108:109]
	v_add_f64 v[13:14], v[13:14], v[23:24]
	s_clause 0x4
	buffer_load_dword v24, off, s[0:3], 0 offset:428
	buffer_load_dword v50, off, s[0:3], 0 offset:440
	;; [unrolled: 1-line block ×5, first 2 shown]
	s_waitcnt vmcnt(57) lgkmcnt(0)
	v_mul_f64 v[114:115], v[5:6], v[65:66]
	v_mul_f64 v[65:66], v[7:8], v[65:66]
	s_waitcnt vmcnt(56)
	v_fma_f64 v[48:49], v[9:10], v[31:32], -v[48:49]
	ds_read_b128 v[1:4], v52 offset:1040
	v_fma_f64 v[29:30], v[11:12], v[31:32], v[29:30]
	s_clause 0x2
	buffer_load_dword v51, off, s[0:3], 0 offset:444
	buffer_load_dword v32, off, s[0:3], 0 offset:420
	;; [unrolled: 1-line block ×3, first 2 shown]
	ds_read_b128 v[9:12], v52 offset:1056
	v_add_f64 v[21:22], v[21:22], v[39:40]
	v_add_f64 v[13:14], v[13:14], v[35:36]
	s_waitcnt vmcnt(58) lgkmcnt(1)
	v_mul_f64 v[39:40], v[3:4], v[75:76]
	s_waitcnt vmcnt(56)
	v_fma_f64 v[65:66], v[5:6], v[77:78], -v[65:66]
	v_mul_f64 v[35:36], v[1:2], v[75:76]
	v_add_f64 v[21:22], v[21:22], v[48:49]
	v_fma_f64 v[48:49], v[7:8], v[77:78], v[114:115]
	v_add_f64 v[13:14], v[13:14], v[29:30]
	s_clause 0x4
	buffer_load_dword v30, off, s[0:3], 0 offset:460
	buffer_load_dword v75, off, s[0:3], 0 offset:472
	;; [unrolled: 1-line block ×5, first 2 shown]
	s_waitcnt vmcnt(57) lgkmcnt(0)
	v_mul_f64 v[114:115], v[9:10], v[79:80]
	v_mul_f64 v[78:79], v[11:12], v[79:80]
	s_waitcnt vmcnt(56)
	v_fma_f64 v[39:40], v[1:2], v[41:42], -v[39:40]
	ds_read_b128 v[5:8], v52 offset:1072
	v_fma_f64 v[35:36], v[3:4], v[41:42], v[35:36]
	s_clause 0x2
	buffer_load_dword v76, off, s[0:3], 0 offset:476
	buffer_load_dword v42, off, s[0:3], 0 offset:452
	;; [unrolled: 1-line block ×3, first 2 shown]
	ds_read_b128 v[1:4], v52 offset:1088
	v_add_f64 v[21:22], v[21:22], v[65:66]
	v_add_f64 v[13:14], v[13:14], v[48:49]
	s_waitcnt vmcnt(58) lgkmcnt(1)
	v_mul_f64 v[65:66], v[7:8], v[83:84]
	s_waitcnt vmcnt(56)
	v_fma_f64 v[79:80], v[9:10], v[85:86], -v[78:79]
	v_mul_f64 v[48:49], v[5:6], v[83:84]
	v_add_f64 v[21:22], v[21:22], v[39:40]
	v_fma_f64 v[39:40], v[11:12], v[85:86], v[114:115]
	v_add_f64 v[13:14], v[13:14], v[35:36]
	s_clause 0x4
	buffer_load_dword v36, off, s[0:3], 0 offset:492
	buffer_load_dword v83, off, s[0:3], 0 offset:504
	;; [unrolled: 1-line block ×5, first 2 shown]
	s_waitcnt vmcnt(57) lgkmcnt(0)
	v_mul_f64 v[114:115], v[1:2], v[87:88]
	v_mul_f64 v[86:87], v[3:4], v[87:88]
	s_waitcnt vmcnt(56)
	v_fma_f64 v[65:66], v[5:6], v[67:68], -v[65:66]
	ds_read_b128 v[9:12], v52 offset:1104
	v_fma_f64 v[48:49], v[7:8], v[67:68], v[48:49]
	v_add_f64 v[21:22], v[21:22], v[79:80]
	v_add_f64 v[13:14], v[13:14], v[39:40]
	s_clause 0x2
	buffer_load_dword v84, off, s[0:3], 0 offset:508
	buffer_load_dword v40, off, s[0:3], 0 offset:484
	;; [unrolled: 1-line block ×3, first 2 shown]
	ds_read_b128 v[5:8], v52 offset:1120
	s_waitcnt vmcnt(58) lgkmcnt(1)
	v_mul_f64 v[79:80], v[11:12], v[89:90]
	s_waitcnt vmcnt(56)
	v_fma_f64 v[87:88], v[1:2], v[91:92], -v[86:87]
	v_mul_f64 v[67:68], v[9:10], v[89:90]
	v_add_f64 v[21:22], v[21:22], v[65:66]
	v_fma_f64 v[65:66], v[3:4], v[91:92], v[114:115]
	v_add_f64 v[13:14], v[13:14], v[48:49]
	s_clause 0x4
	buffer_load_dword v49, off, s[0:3], 0 offset:524
	buffer_load_dword v89, off, s[0:3], 0 offset:536
	;; [unrolled: 1-line block ×5, first 2 shown]
	s_waitcnt vmcnt(57) lgkmcnt(0)
	v_mul_f64 v[114:115], v[5:6], v[99:100]
	v_mul_f64 v[99:100], v[7:8], v[99:100]
	s_waitcnt vmcnt(56)
	v_fma_f64 v[79:80], v[9:10], v[81:82], -v[79:80]
	ds_read_b128 v[1:4], v52 offset:1136
	v_fma_f64 v[67:68], v[11:12], v[81:82], v[67:68]
	v_add_f64 v[21:22], v[21:22], v[87:88]
	v_add_f64 v[13:14], v[13:14], v[65:66]
	s_clause 0x2
	buffer_load_dword v90, off, s[0:3], 0 offset:540
	buffer_load_dword v66, off, s[0:3], 0 offset:516
	;; [unrolled: 1-line block ×3, first 2 shown]
	ds_read_b128 v[9:12], v52 offset:1152
	s_waitcnt vmcnt(58) lgkmcnt(1)
	v_mul_f64 v[87:88], v[3:4], v[101:102]
	v_mul_f64 v[81:82], v[1:2], v[101:102]
	s_waitcnt vmcnt(56)
	v_fma_f64 v[99:100], v[5:6], v[17:18], -v[99:100]
	v_fma_f64 v[17:18], v[7:8], v[17:18], v[114:115]
	v_add_f64 v[21:22], v[21:22], v[79:80]
	v_add_f64 v[13:14], v[13:14], v[67:68]
	s_clause 0x4
	buffer_load_dword v68, off, s[0:3], 0 offset:556
	buffer_load_dword v79, off, s[0:3], 0 offset:568
	;; [unrolled: 1-line block ×5, first 2 shown]
	ds_read_b128 v[5:8], v52 offset:1168
	s_waitcnt vmcnt(57) lgkmcnt(1)
	v_mul_f64 v[114:115], v[9:10], v[15:16]
	v_mul_f64 v[15:16], v[11:12], v[15:16]
	s_waitcnt vmcnt(56)
	v_fma_f64 v[87:88], v[1:2], v[103:104], -v[87:88]
	v_fma_f64 v[81:82], v[3:4], v[103:104], v[81:82]
	v_add_f64 v[21:22], v[21:22], v[99:100]
	v_add_f64 v[13:14], v[13:14], v[17:18]
	s_clause 0x2
	buffer_load_dword v80, off, s[0:3], 0 offset:572
	buffer_load_dword v18, off, s[0:3], 0 offset:548
	;; [unrolled: 1-line block ×3, first 2 shown]
	s_waitcnt vmcnt(58) lgkmcnt(0)
	v_mul_f64 v[103:104], v[7:8], v[105:106]
	ds_read_b128 v[1:4], v52 offset:1184
	v_mul_f64 v[99:100], v[5:6], v[105:106]
	s_waitcnt vmcnt(56)
	v_fma_f64 v[15:16], v[9:10], v[95:96], -v[15:16]
	v_add_f64 v[21:22], v[21:22], v[87:88]
	v_fma_f64 v[87:88], v[11:12], v[95:96], v[114:115]
	v_add_f64 v[13:14], v[13:14], v[81:82]
	s_clause 0x4
	buffer_load_dword v82, off, s[0:3], 0 offset:588
	buffer_load_dword v95, off, s[0:3], 0 offset:600
	;; [unrolled: 1-line block ×5, first 2 shown]
	ds_read_b128 v[9:12], v52 offset:1200
	s_waitcnt vmcnt(57) lgkmcnt(1)
	v_mul_f64 v[114:115], v[1:2], v[33:34]
	v_mul_f64 v[33:34], v[3:4], v[33:34]
	s_waitcnt vmcnt(56)
	v_fma_f64 v[103:104], v[5:6], v[110:111], -v[103:104]
	v_add_f64 v[15:16], v[21:22], v[15:16]
	v_fma_f64 v[21:22], v[7:8], v[110:111], v[99:100]
	v_add_f64 v[13:14], v[13:14], v[87:88]
	s_clause 0x2
	buffer_load_dword v96, off, s[0:3], 0 offset:604
	buffer_load_dword v88, off, s[0:3], 0 offset:580
	;; [unrolled: 1-line block ×3, first 2 shown]
	ds_read_b128 v[5:8], v52 offset:1216
	s_waitcnt vmcnt(58) lgkmcnt(1)
	v_mul_f64 v[99:100], v[9:10], v[97:98]
	v_mul_f64 v[97:98], v[11:12], v[97:98]
	s_waitcnt vmcnt(56)
	v_fma_f64 v[33:34], v[1:2], v[27:28], -v[33:34]
	v_fma_f64 v[27:28], v[3:4], v[27:28], v[114:115]
	v_add_f64 v[15:16], v[15:16], v[103:104]
	v_add_f64 v[13:14], v[13:14], v[21:22]
	s_clause 0x4
	buffer_load_dword v22, off, s[0:3], 0 offset:620
	buffer_load_dword v103, off, s[0:3], 0 offset:632
	;; [unrolled: 1-line block ×5, first 2 shown]
	ds_read_b128 v[1:4], v52 offset:1232
	s_waitcnt vmcnt(57) lgkmcnt(1)
	v_mul_f64 v[110:111], v[5:6], v[19:20]
	v_mul_f64 v[19:20], v[7:8], v[19:20]
	s_waitcnt vmcnt(56)
	v_fma_f64 v[97:98], v[9:10], v[112:113], -v[97:98]
	v_add_f64 v[15:16], v[15:16], v[33:34]
	v_fma_f64 v[33:34], v[11:12], v[112:113], v[99:100]
	v_add_f64 v[13:14], v[13:14], v[27:28]
	s_clause 0x2
	buffer_load_dword v104, off, s[0:3], 0 offset:636
	buffer_load_dword v28, off, s[0:3], 0 offset:612
	;; [unrolled: 1-line block ×3, first 2 shown]
	ds_read_b128 v[9:12], v52 offset:1248
	s_waitcnt vmcnt(58) lgkmcnt(1)
	v_mul_f64 v[99:100], v[1:2], v[37:38]
	v_mul_f64 v[37:38], v[3:4], v[37:38]
	s_waitcnt vmcnt(56)
	v_fma_f64 v[19:20], v[5:6], v[25:26], -v[19:20]
	v_fma_f64 v[25:26], v[7:8], v[25:26], v[110:111]
	v_add_f64 v[15:16], v[15:16], v[97:98]
	v_add_f64 v[13:14], v[13:14], v[33:34]
	s_clause 0x4
	buffer_load_dword v34, off, s[0:3], 0 offset:652
	buffer_load_dword v97, off, s[0:3], 0 offset:664
	;; [unrolled: 1-line block ×5, first 2 shown]
	ds_read_b128 v[5:8], v52 offset:1264
	s_waitcnt vmcnt(57) lgkmcnt(1)
	v_mul_f64 v[112:113], v[9:10], v[23:24]
	v_mul_f64 v[23:24], v[11:12], v[23:24]
	s_waitcnt vmcnt(56)
	v_fma_f64 v[37:38], v[1:2], v[107:108], -v[37:38]
	v_add_f64 v[15:16], v[15:16], v[19:20]
	v_fma_f64 v[19:20], v[3:4], v[107:108], v[99:100]
	v_add_f64 v[13:14], v[13:14], v[25:26]
	s_clause 0x2
	buffer_load_dword v98, off, s[0:3], 0 offset:668
	buffer_load_dword v26, off, s[0:3], 0 offset:644
	;; [unrolled: 1-line block ×3, first 2 shown]
	s_waitcnt vmcnt(58) lgkmcnt(0)
	v_mul_f64 v[99:100], v[5:6], v[50:51]
	v_mul_f64 v[50:51], v[7:8], v[50:51]
	ds_read_b128 v[1:4], v52 offset:1280
	s_waitcnt vmcnt(56)
	v_fma_f64 v[23:24], v[9:10], v[31:32], -v[23:24]
	v_fma_f64 v[31:32], v[11:12], v[31:32], v[112:113]
	v_add_f64 v[15:16], v[15:16], v[37:38]
	v_add_f64 v[13:14], v[13:14], v[19:20]
	s_clause 0x4
	buffer_load_dword v20, off, s[0:3], 0 offset:684
	buffer_load_dword v37, off, s[0:3], 0 offset:696
	;; [unrolled: 1-line block ×5, first 2 shown]
	ds_read_b128 v[9:12], v52 offset:1296
	s_waitcnt vmcnt(57) lgkmcnt(1)
	v_mul_f64 v[113:114], v[1:2], v[29:30]
	v_mul_f64 v[29:30], v[3:4], v[29:30]
	s_waitcnt vmcnt(56)
	v_fma_f64 v[50:51], v[5:6], v[93:94], -v[50:51]
	v_add_f64 v[15:16], v[15:16], v[23:24]
	v_fma_f64 v[23:24], v[7:8], v[93:94], v[99:100]
	v_add_f64 v[13:14], v[13:14], v[31:32]
	s_clause 0x2
	buffer_load_dword v38, off, s[0:3], 0 offset:700
	buffer_load_dword v32, off, s[0:3], 0 offset:676
	;; [unrolled: 1-line block ×3, first 2 shown]
	s_waitcnt vmcnt(58) lgkmcnt(0)
	v_mul_f64 v[93:94], v[9:10], v[75:76]
	v_mul_f64 v[75:76], v[11:12], v[75:76]
	ds_read_b128 v[5:8], v52 offset:1312
	s_waitcnt vmcnt(56)
	v_fma_f64 v[29:30], v[1:2], v[41:42], -v[29:30]
	v_fma_f64 v[41:42], v[3:4], v[41:42], v[113:114]
	v_add_f64 v[15:16], v[15:16], v[50:51]
	v_add_f64 v[13:14], v[13:14], v[23:24]
	s_clause 0x4
	buffer_load_dword v24, off, s[0:3], 0 offset:716
	buffer_load_dword v50, off, s[0:3], 0 offset:728
	buffer_load_dword v99, off, s[0:3], 0 offset:720
	buffer_load_dword v23, off, s[0:3], 0 offset:712
	buffer_load_dword v108, off, s[0:3], 0 offset:692
	ds_read_b128 v[1:4], v52 offset:1328
	s_waitcnt vmcnt(57) lgkmcnt(1)
	v_mul_f64 v[113:114], v[5:6], v[35:36]
	v_mul_f64 v[35:36], v[7:8], v[35:36]
	s_waitcnt vmcnt(56)
	v_fma_f64 v[75:76], v[9:10], v[77:78], -v[75:76]
	v_add_f64 v[15:16], v[15:16], v[29:30]
	v_fma_f64 v[29:30], v[11:12], v[77:78], v[93:94]
	v_add_f64 v[13:14], v[13:14], v[41:42]
	s_clause 0x2
	buffer_load_dword v51, off, s[0:3], 0 offset:732
	buffer_load_dword v42, off, s[0:3], 0 offset:708
	buffer_load_dword v41, off, s[0:3], 0 offset:704
	ds_read_b128 v[9:12], v52 offset:1344
	s_waitcnt vmcnt(58) lgkmcnt(1)
	v_mul_f64 v[77:78], v[1:2], v[83:84]
	v_mul_f64 v[83:84], v[3:4], v[83:84]
	s_waitcnt vmcnt(56)
	v_fma_f64 v[35:36], v[5:6], v[39:40], -v[35:36]
	v_fma_f64 v[39:40], v[7:8], v[39:40], v[113:114]
	v_add_f64 v[15:16], v[15:16], v[75:76]
	v_add_f64 v[13:14], v[13:14], v[29:30]
	s_clause 0x4
	buffer_load_dword v30, off, s[0:3], 0 offset:748
	buffer_load_dword v75, off, s[0:3], 0 offset:760
	buffer_load_dword v93, off, s[0:3], 0 offset:752
	buffer_load_dword v29, off, s[0:3], 0 offset:744
	buffer_load_dword v100, off, s[0:3], 0 offset:724
	ds_read_b128 v[5:8], v52 offset:1360
	s_waitcnt vmcnt(57) lgkmcnt(1)
	v_mul_f64 v[113:114], v[9:10], v[48:49]
	v_mul_f64 v[48:49], v[11:12], v[48:49]
	s_waitcnt vmcnt(56)
	v_fma_f64 v[83:84], v[1:2], v[85:86], -v[83:84]
	v_add_f64 v[15:16], v[15:16], v[35:36]
	v_fma_f64 v[35:36], v[3:4], v[85:86], v[77:78]
	v_add_f64 v[13:14], v[13:14], v[39:40]
	s_clause 0x2
	buffer_load_dword v76, off, s[0:3], 0 offset:764
	buffer_load_dword v40, off, s[0:3], 0 offset:740
	buffer_load_dword v39, off, s[0:3], 0 offset:736
	ds_read_b128 v[1:4], v52 offset:1376
	s_waitcnt vmcnt(58) lgkmcnt(1)
	v_mul_f64 v[85:86], v[7:8], v[89:90]
	v_mul_f64 v[77:78], v[5:6], v[89:90]
	;; [unrolled: 28-line block ×4, first 2 shown]
	s_waitcnt vmcnt(56)
	v_fma_f64 v[81:82], v[5:6], v[87:88], -v[81:82]
	v_add_f64 v[15:16], v[15:16], v[79:80]
	v_fma_f64 v[79:80], v[7:8], v[87:88], v[113:114]
	v_add_f64 v[13:14], v[13:14], v[67:68]
	s_clause 0x4
	buffer_load_dword v68, off, s[0:3], 0 offset:844
	buffer_load_dword v87, off, s[0:3], 0 offset:856
	;; [unrolled: 1-line block ×5, first 2 shown]
	ds_read_b128 v[5:8], v52 offset:1456
	s_waitcnt vmcnt(57) lgkmcnt(1)
	v_mul_f64 v[113:114], v[9:10], v[21:22]
	v_mul_f64 v[21:22], v[11:12], v[21:22]
	s_waitcnt vmcnt(56)
	v_fma_f64 v[95:96], v[1:2], v[105:106], -v[95:96]
	v_fma_f64 v[77:78], v[3:4], v[105:106], v[77:78]
	v_add_f64 v[15:16], v[15:16], v[81:82]
	v_add_f64 v[13:14], v[13:14], v[79:80]
	s_clause 0x2
	buffer_load_dword v88, off, s[0:3], 0 offset:860
	buffer_load_dword v80, off, s[0:3], 0 offset:836
	;; [unrolled: 1-line block ×3, first 2 shown]
	ds_read_b128 v[1:4], v52 offset:1472
	buffer_load_dword v102, off, s[0:3], 0 offset:852
	s_waitcnt vmcnt(59) lgkmcnt(1)
	v_mul_f64 v[81:82], v[5:6], v[103:104]
	v_mul_f64 v[103:104], v[7:8], v[103:104]
	s_waitcnt vmcnt(57)
	v_fma_f64 v[21:22], v[9:10], v[27:28], -v[21:22]
	v_fma_f64 v[27:28], v[11:12], v[27:28], v[113:114]
	ds_read_b128 v[9:12], v52 offset:1488
	v_add_f64 v[15:16], v[15:16], v[95:96]
	v_add_f64 v[13:14], v[13:14], v[77:78]
	s_waitcnt vmcnt(53) lgkmcnt(1)
	v_mul_f64 v[77:78], v[1:2], v[33:34]
	v_mul_f64 v[33:34], v[3:4], v[33:34]
	s_waitcnt vmcnt(52)
	v_fma_f64 v[95:96], v[5:6], v[109:110], -v[103:104]
	v_add_f64 v[15:16], v[15:16], v[21:22]
	v_fma_f64 v[21:22], v[7:8], v[109:110], v[81:82]
	v_add_f64 v[13:14], v[13:14], v[27:28]
	ds_read_b128 v[5:8], v52 offset:1504
	s_waitcnt vmcnt(51) lgkmcnt(1)
	v_mul_f64 v[81:82], v[11:12], v[97:98]
	v_mul_f64 v[27:28], v[9:10], v[97:98]
	s_waitcnt vmcnt(49)
	v_fma_f64 v[33:34], v[1:2], v[25:26], -v[33:34]
	v_fma_f64 v[25:26], v[3:4], v[25:26], v[77:78]
	v_add_f64 v[15:16], v[15:16], v[95:96]
	v_add_f64 v[13:14], v[13:14], v[21:22]
	s_clause 0x3
	buffer_load_dword v21, off, s[0:3], 0 offset:32
	buffer_load_dword v22, off, s[0:3], 0 offset:36
	;; [unrolled: 1-line block ×4, first 2 shown]
	ds_read_b128 v[1:4], v52 offset:1520
	s_waitcnt vmcnt(49) lgkmcnt(1)
	v_mul_f64 v[95:96], v[5:6], v[19:20]
	v_mul_f64 v[19:20], v[7:8], v[19:20]
	s_waitcnt vmcnt(48)
	v_fma_f64 v[81:82], v[9:10], v[111:112], -v[81:82]
	v_fma_f64 v[27:28], v[11:12], v[111:112], v[27:28]
	ds_read_b128 v[9:12], v52 offset:1536
	v_add_f64 v[15:16], v[15:16], v[33:34]
	v_add_f64 v[13:14], v[13:14], v[25:26]
	s_waitcnt vmcnt(47) lgkmcnt(1)
	v_mul_f64 v[33:34], v[3:4], v[37:38]
	v_mul_f64 v[25:26], v[1:2], v[37:38]
	s_waitcnt vmcnt(45)
	v_fma_f64 v[19:20], v[5:6], v[31:32], -v[19:20]
	v_fma_f64 v[31:32], v[7:8], v[31:32], v[95:96]
	ds_read_b128 v[5:8], v52 offset:1552
	v_add_f64 v[15:16], v[15:16], v[81:82]
	v_add_f64 v[13:14], v[13:14], v[27:28]
	s_waitcnt vmcnt(41) lgkmcnt(1)
	v_mul_f64 v[27:28], v[9:10], v[23:24]
	v_mul_f64 v[23:24], v[11:12], v[23:24]
	s_waitcnt vmcnt(40)
	v_fma_f64 v[33:34], v[1:2], v[107:108], -v[33:34]
	v_add_f64 v[15:16], v[15:16], v[19:20]
	v_fma_f64 v[19:20], v[3:4], v[107:108], v[25:26]
	v_add_f64 v[13:14], v[13:14], v[31:32]
	ds_read_b128 v[1:4], v52 offset:1568
	s_waitcnt vmcnt(39) lgkmcnt(1)
	v_mul_f64 v[31:32], v[7:8], v[50:51]
	v_mul_f64 v[25:26], v[5:6], v[50:51]
	s_waitcnt vmcnt(37)
	v_fma_f64 v[23:24], v[9:10], v[41:42], -v[23:24]
	v_fma_f64 v[27:28], v[11:12], v[41:42], v[27:28]
	ds_read_b128 v[9:12], v52 offset:1584
	v_add_f64 v[15:16], v[15:16], v[33:34]
	v_add_f64 v[13:14], v[13:14], v[19:20]
	s_waitcnt vmcnt(33) lgkmcnt(1)
	v_mul_f64 v[19:20], v[1:2], v[29:30]
	v_mul_f64 v[29:30], v[3:4], v[29:30]
	s_waitcnt vmcnt(32)
	v_fma_f64 v[31:32], v[5:6], v[99:100], -v[31:32]
	v_add_f64 v[15:16], v[15:16], v[23:24]
	v_fma_f64 v[23:24], v[7:8], v[99:100], v[25:26]
	v_add_f64 v[13:14], v[13:14], v[27:28]
	ds_read_b128 v[5:8], v52 offset:1600
	s_waitcnt vmcnt(31) lgkmcnt(1)
	v_mul_f64 v[27:28], v[11:12], v[75:76]
	v_mul_f64 v[25:26], v[9:10], v[75:76]
	s_waitcnt vmcnt(29)
	v_fma_f64 v[29:30], v[1:2], v[39:40], -v[29:30]
	v_fma_f64 v[19:20], v[3:4], v[39:40], v[19:20]
	ds_read_b128 v[1:4], v52 offset:1616
	v_add_f64 v[15:16], v[15:16], v[31:32]
	v_add_f64 v[13:14], v[13:14], v[23:24]
	s_waitcnt vmcnt(25) lgkmcnt(1)
	v_mul_f64 v[31:32], v[7:8], v[35:36]
	s_waitcnt vmcnt(24)
	v_fma_f64 v[27:28], v[9:10], v[93:94], -v[27:28]
	v_mul_f64 v[23:24], v[5:6], v[35:36]
	v_fma_f64 v[25:26], v[11:12], v[93:94], v[25:26]
	ds_read_b128 v[9:12], v52 offset:1632
	v_add_f64 v[15:16], v[15:16], v[29:30]
	v_add_f64 v[13:14], v[13:14], v[19:20]
	s_waitcnt vmcnt(23) lgkmcnt(1)
	v_mul_f64 v[29:30], v[3:4], v[83:84]
	v_mul_f64 v[19:20], v[1:2], v[83:84]
	s_waitcnt vmcnt(21)
	v_fma_f64 v[31:32], v[5:6], v[65:66], -v[31:32]
	v_fma_f64 v[23:24], v[7:8], v[65:66], v[23:24]
	ds_read_b128 v[5:8], v52 offset:1648
	v_add_f64 v[15:16], v[15:16], v[27:28]
	v_add_f64 v[13:14], v[13:14], v[25:26]
	s_waitcnt vmcnt(17) lgkmcnt(1)
	v_mul_f64 v[27:28], v[11:12], v[48:49]
	s_waitcnt vmcnt(16)
	v_fma_f64 v[29:30], v[1:2], v[89:90], -v[29:30]
	v_mul_f64 v[25:26], v[9:10], v[48:49]
	v_fma_f64 v[19:20], v[3:4], v[89:90], v[19:20]
	ds_read_b128 v[1:4], v52 offset:1664
	v_add_f64 v[15:16], v[15:16], v[31:32]
	v_add_f64 v[13:14], v[13:14], v[23:24]
	s_waitcnt vmcnt(15) lgkmcnt(1)
	v_mul_f64 v[31:32], v[7:8], v[85:86]
	v_mul_f64 v[23:24], v[5:6], v[85:86]
	s_waitcnt vmcnt(13)
	v_fma_f64 v[27:28], v[9:10], v[17:18], -v[27:28]
	v_fma_f64 v[17:18], v[11:12], v[17:18], v[25:26]
	ds_read_b128 v[9:12], v52 offset:1680
	v_add_f64 v[15:16], v[15:16], v[29:30]
	v_add_f64 v[13:14], v[13:14], v[19:20]
	s_waitcnt vmcnt(9) lgkmcnt(1)
	v_mul_f64 v[25:26], v[3:4], v[67:68]
	s_waitcnt vmcnt(8)
	v_fma_f64 v[5:6], v[5:6], v[91:92], -v[31:32]
	v_mul_f64 v[19:20], v[1:2], v[67:68]
	v_fma_f64 v[7:8], v[7:8], v[91:92], v[23:24]
	v_add_f64 v[15:16], v[15:16], v[27:28]
	v_add_f64 v[13:14], v[13:14], v[17:18]
	s_waitcnt vmcnt(7) lgkmcnt(0)
	v_mul_f64 v[23:24], v[11:12], v[87:88]
	v_mul_f64 v[17:18], v[9:10], v[87:88]
	s_waitcnt vmcnt(5)
	v_fma_f64 v[1:2], v[1:2], v[79:80], -v[25:26]
	v_fma_f64 v[3:4], v[3:4], v[79:80], v[19:20]
	v_add_f64 v[5:6], v[15:16], v[5:6]
	v_add_f64 v[7:8], v[13:14], v[7:8]
	s_waitcnt vmcnt(4)
	v_fma_f64 v[9:10], v[9:10], v[101:102], -v[23:24]
	v_add_f64 v[1:2], v[5:6], v[1:2]
	v_fma_f64 v[5:6], v[11:12], v[101:102], v[17:18]
	v_add_f64 v[3:4], v[7:8], v[3:4]
	v_add_f64 v[1:2], v[1:2], v[9:10]
	;; [unrolled: 1-line block ×3, first 2 shown]
	s_waitcnt vmcnt(2)
	v_add_f64 v[1:2], v[21:22], -v[1:2]
	s_waitcnt vmcnt(0)
	v_add_f64 v[3:4], v[77:78], -v[3:4]
	buffer_store_dword v2, off, s[0:3], 0 offset:36
	buffer_store_dword v1, off, s[0:3], 0 offset:32
	;; [unrolled: 1-line block ×4, first 2 shown]
	v_cmpx_ne_u32_e32 0, v0
	s_cbranch_execz .LBB52_331
; %bb.330:
	s_clause 0x3
	buffer_load_dword v0, off, s[0:3], 0 offset:16
	buffer_load_dword v1, off, s[0:3], 0 offset:20
	;; [unrolled: 1-line block ×4, first 2 shown]
	buffer_store_dword v52, off, s[0:3], 0 offset:16
	buffer_store_dword v52, off, s[0:3], 0 offset:20
	;; [unrolled: 1-line block ×4, first 2 shown]
	s_waitcnt vmcnt(0)
	ds_write_b128 v43, v[0:3]
.LBB52_331:
	s_or_b32 exec_lo, exec_lo, s4
	s_waitcnt lgkmcnt(0)
	s_waitcnt_vscnt null, 0x0
	s_barrier
	buffer_gl0_inv
	s_clause 0x37
	buffer_load_dword v16, off, s[0:3], 0 offset:40
	buffer_load_dword v17, off, s[0:3], 0 offset:44
	;; [unrolled: 1-line block ×56, first 2 shown]
	ds_read_b128 v[4:7], v52 offset:864
	s_clause 0x2
	buffer_load_dword v88, off, s[0:3], 0 offset:268
	buffer_load_dword v90, off, s[0:3], 0 offset:244
	;; [unrolled: 1-line block ×3, first 2 shown]
	ds_read_b128 v[0:3], v52 offset:880
	s_clause 0x4
	buffer_load_dword v98, off, s[0:3], 0 offset:284
	buffer_load_dword v99, off, s[0:3], 0 offset:296
	;; [unrolled: 1-line block ×5, first 2 shown]
	ds_read_b128 v[91:94], v52 offset:896
	s_and_b32 vcc_lo, exec_lo, s65
	s_waitcnt vmcnt(62) lgkmcnt(2)
	v_mul_f64 v[95:96], v[6:7], v[16:17]
	v_mul_f64 v[16:17], v[4:5], v[16:17]
	s_waitcnt vmcnt(60) lgkmcnt(1)
	v_mul_f64 v[102:103], v[2:3], v[12:13]
	v_mul_f64 v[12:13], v[0:1], v[12:13]
	;; [unrolled: 3-line block ×3, first 2 shown]
	v_fma_f64 v[95:96], v[4:5], v[14:15], -v[95:96]
	v_fma_f64 v[14:15], v[6:7], v[14:15], v[16:17]
	s_clause 0x2
	buffer_load_dword v100, off, s[0:3], 0 offset:300
	buffer_load_dword v17, off, s[0:3], 0 offset:276
	;; [unrolled: 1-line block ×3, first 2 shown]
	s_waitcnt vmcnt(57)
	v_fma_f64 v[106:107], v[0:1], v[8:9], -v[102:103]
	ds_read_b128 v[4:7], v52 offset:912
	v_fma_f64 v[8:9], v[2:3], v[8:9], v[12:13]
	s_waitcnt vmcnt(51)
	v_fma_f64 v[91:92], v[91:92], v[32:33], -v[10:11]
	v_fma_f64 v[32:33], v[93:94], v[32:33], v[104:105]
	v_add_f64 v[95:96], v[95:96], 0
	v_add_f64 v[12:13], v[14:15], 0
	s_clause 0x4
	buffer_load_dword v15, off, s[0:3], 0 offset:316
	buffer_load_dword v103, off, s[0:3], 0 offset:328
	;; [unrolled: 1-line block ×5, first 2 shown]
	s_waitcnt lgkmcnt(0)
	v_mul_f64 v[109:110], v[4:5], v[20:21]
	v_mul_f64 v[20:21], v[6:7], v[20:21]
	ds_read_b128 v[0:3], v52 offset:928
	s_clause 0x2
	buffer_load_dword v104, off, s[0:3], 0 offset:332
	buffer_load_dword v94, off, s[0:3], 0 offset:308
	;; [unrolled: 1-line block ×3, first 2 shown]
	v_add_f64 v[95:96], v[95:96], v[106:107]
	v_add_f64 v[12:13], v[12:13], v[8:9]
	ds_read_b128 v[8:11], v52 offset:944
	s_waitcnt vmcnt(58) lgkmcnt(1)
	v_mul_f64 v[105:106], v[0:1], v[24:25]
	v_mul_f64 v[24:25], v[2:3], v[24:25]
	s_waitcnt vmcnt(56)
	v_fma_f64 v[20:21], v[4:5], v[26:27], -v[20:21]
	v_fma_f64 v[26:27], v[6:7], v[26:27], v[109:110]
	s_waitcnt vmcnt(52) lgkmcnt(0)
	v_mul_f64 v[111:112], v[8:9], v[28:29]
	v_add_f64 v[91:92], v[95:96], v[91:92]
	v_add_f64 v[12:13], v[12:13], v[32:33]
	s_clause 0x4
	buffer_load_dword v33, off, s[0:3], 0 offset:348
	buffer_load_dword v95, off, s[0:3], 0 offset:360
	buffer_load_dword v110, off, s[0:3], 0 offset:352
	buffer_load_dword v32, off, s[0:3], 0 offset:344
	buffer_load_dword v109, off, s[0:3], 0 offset:324
	v_mul_f64 v[28:29], v[10:11], v[28:29]
	s_waitcnt vmcnt(56)
	v_fma_f64 v[24:25], v[0:1], v[18:19], -v[24:25]
	ds_read_b128 v[4:7], v52 offset:960
	v_fma_f64 v[18:19], v[2:3], v[18:19], v[105:106]
	v_add_f64 v[20:21], v[91:92], v[20:21]
	v_add_f64 v[12:13], v[12:13], v[26:27]
	s_clause 0x2
	buffer_load_dword v96, off, s[0:3], 0 offset:364
	buffer_load_dword v27, off, s[0:3], 0 offset:340
	;; [unrolled: 1-line block ×3, first 2 shown]
	s_waitcnt vmcnt(58) lgkmcnt(0)
	v_mul_f64 v[91:92], v[4:5], v[34:35]
	v_mul_f64 v[34:35], v[6:7], v[34:35]
	s_waitcnt vmcnt(56)
	v_fma_f64 v[28:29], v[8:9], v[36:37], -v[28:29]
	ds_read_b128 v[0:3], v52 offset:976
	v_add_f64 v[20:21], v[20:21], v[24:25]
	v_fma_f64 v[24:25], v[10:11], v[36:37], v[111:112]
	v_add_f64 v[12:13], v[12:13], v[18:19]
	s_clause 0x4
	buffer_load_dword v19, off, s[0:3], 0 offset:380
	buffer_load_dword v36, off, s[0:3], 0 offset:392
	;; [unrolled: 1-line block ×5, first 2 shown]
	s_waitcnt vmcnt(57) lgkmcnt(0)
	v_mul_f64 v[106:107], v[0:1], v[38:39]
	v_mul_f64 v[38:39], v[2:3], v[38:39]
	s_waitcnt vmcnt(56)
	v_fma_f64 v[34:35], v[4:5], v[22:23], -v[34:35]
	ds_read_b128 v[8:11], v52 offset:992
	v_fma_f64 v[22:23], v[6:7], v[22:23], v[91:92]
	v_add_f64 v[20:21], v[20:21], v[28:29]
	v_add_f64 v[12:13], v[12:13], v[24:25]
	s_clause 0x2
	buffer_load_dword v37, off, s[0:3], 0 offset:396
	buffer_load_dword v25, off, s[0:3], 0 offset:372
	;; [unrolled: 1-line block ×3, first 2 shown]
	ds_read_b128 v[4:7], v52 offset:1008
	s_waitcnt vmcnt(58) lgkmcnt(1)
	v_mul_f64 v[28:29], v[8:9], v[42:43]
	v_mul_f64 v[42:43], v[10:11], v[42:43]
	s_waitcnt vmcnt(56)
	v_fma_f64 v[38:39], v[0:1], v[48:49], -v[38:39]
	v_add_f64 v[20:21], v[20:21], v[34:35]
	v_fma_f64 v[34:35], v[2:3], v[48:49], v[106:107]
	v_add_f64 v[12:13], v[12:13], v[22:23]
	s_clause 0x4
	buffer_load_dword v23, off, s[0:3], 0 offset:412
	buffer_load_dword v48, off, s[0:3], 0 offset:424
	;; [unrolled: 1-line block ×5, first 2 shown]
	s_waitcnt vmcnt(57) lgkmcnt(0)
	v_mul_f64 v[112:113], v[4:5], v[50:51]
	v_mul_f64 v[50:51], v[6:7], v[50:51]
	s_waitcnt vmcnt(56)
	v_fma_f64 v[42:43], v[8:9], v[30:31], -v[42:43]
	ds_read_b128 v[0:3], v52 offset:1024
	v_fma_f64 v[28:29], v[10:11], v[30:31], v[28:29]
	s_clause 0x2
	buffer_load_dword v49, off, s[0:3], 0 offset:428
	buffer_load_dword v31, off, s[0:3], 0 offset:404
	;; [unrolled: 1-line block ×3, first 2 shown]
	ds_read_b128 v[8:11], v52 offset:1040
	v_add_f64 v[20:21], v[20:21], v[38:39]
	v_add_f64 v[12:13], v[12:13], v[34:35]
	s_waitcnt vmcnt(58) lgkmcnt(1)
	v_mul_f64 v[38:39], v[2:3], v[67:68]
	s_waitcnt vmcnt(56)
	v_fma_f64 v[50:51], v[4:5], v[75:76], -v[50:51]
	v_mul_f64 v[34:35], v[0:1], v[67:68]
	v_add_f64 v[20:21], v[20:21], v[42:43]
	v_fma_f64 v[42:43], v[6:7], v[75:76], v[112:113]
	v_add_f64 v[12:13], v[12:13], v[28:29]
	s_clause 0x4
	buffer_load_dword v29, off, s[0:3], 0 offset:444
	buffer_load_dword v67, off, s[0:3], 0 offset:456
	;; [unrolled: 1-line block ×5, first 2 shown]
	s_waitcnt vmcnt(57) lgkmcnt(0)
	v_mul_f64 v[112:113], v[8:9], v[77:78]
	v_mul_f64 v[76:77], v[10:11], v[77:78]
	s_waitcnt vmcnt(56)
	v_fma_f64 v[38:39], v[0:1], v[40:41], -v[38:39]
	ds_read_b128 v[4:7], v52 offset:1056
	v_fma_f64 v[34:35], v[2:3], v[40:41], v[34:35]
	s_clause 0x2
	buffer_load_dword v68, off, s[0:3], 0 offset:460
	buffer_load_dword v41, off, s[0:3], 0 offset:436
	;; [unrolled: 1-line block ×3, first 2 shown]
	ds_read_b128 v[0:3], v52 offset:1072
	v_add_f64 v[20:21], v[20:21], v[50:51]
	v_add_f64 v[12:13], v[12:13], v[42:43]
	s_waitcnt vmcnt(58) lgkmcnt(1)
	v_mul_f64 v[50:51], v[6:7], v[81:82]
	s_waitcnt vmcnt(56)
	v_fma_f64 v[77:78], v[8:9], v[83:84], -v[76:77]
	v_mul_f64 v[42:43], v[4:5], v[81:82]
	v_add_f64 v[20:21], v[20:21], v[38:39]
	v_fma_f64 v[38:39], v[10:11], v[83:84], v[112:113]
	v_add_f64 v[12:13], v[12:13], v[34:35]
	s_clause 0x4
	buffer_load_dword v35, off, s[0:3], 0 offset:476
	buffer_load_dword v81, off, s[0:3], 0 offset:488
	;; [unrolled: 1-line block ×5, first 2 shown]
	s_waitcnt vmcnt(57) lgkmcnt(0)
	v_mul_f64 v[112:113], v[0:1], v[85:86]
	v_mul_f64 v[84:85], v[2:3], v[85:86]
	s_waitcnt vmcnt(56)
	v_fma_f64 v[50:51], v[4:5], v[65:66], -v[50:51]
	ds_read_b128 v[8:11], v52 offset:1088
	v_fma_f64 v[42:43], v[6:7], v[65:66], v[42:43]
	v_add_f64 v[20:21], v[20:21], v[77:78]
	v_add_f64 v[12:13], v[12:13], v[38:39]
	s_clause 0x2
	buffer_load_dword v82, off, s[0:3], 0 offset:492
	buffer_load_dword v39, off, s[0:3], 0 offset:468
	buffer_load_dword v38, off, s[0:3], 0 offset:464
	ds_read_b128 v[4:7], v52 offset:1104
	s_waitcnt vmcnt(58) lgkmcnt(1)
	v_mul_f64 v[77:78], v[10:11], v[87:88]
	s_waitcnt vmcnt(56)
	v_fma_f64 v[85:86], v[0:1], v[89:90], -v[84:85]
	v_mul_f64 v[65:66], v[8:9], v[87:88]
	v_add_f64 v[20:21], v[20:21], v[50:51]
	v_fma_f64 v[50:51], v[2:3], v[89:90], v[112:113]
	v_add_f64 v[12:13], v[12:13], v[42:43]
	s_clause 0x4
	buffer_load_dword v43, off, s[0:3], 0 offset:508
	buffer_load_dword v87, off, s[0:3], 0 offset:520
	buffer_load_dword v89, off, s[0:3], 0 offset:512
	buffer_load_dword v42, off, s[0:3], 0 offset:504
	buffer_load_dword v84, off, s[0:3], 0 offset:484
	s_waitcnt vmcnt(57) lgkmcnt(0)
	v_mul_f64 v[112:113], v[4:5], v[97:98]
	v_mul_f64 v[97:98], v[6:7], v[97:98]
	s_waitcnt vmcnt(56)
	v_fma_f64 v[77:78], v[8:9], v[79:80], -v[77:78]
	ds_read_b128 v[0:3], v52 offset:1120
	v_fma_f64 v[65:66], v[10:11], v[79:80], v[65:66]
	v_add_f64 v[20:21], v[20:21], v[85:86]
	v_add_f64 v[12:13], v[12:13], v[50:51]
	s_clause 0x2
	buffer_load_dword v88, off, s[0:3], 0 offset:524
	buffer_load_dword v51, off, s[0:3], 0 offset:500
	;; [unrolled: 1-line block ×3, first 2 shown]
	ds_read_b128 v[8:11], v52 offset:1136
	s_waitcnt vmcnt(58) lgkmcnt(1)
	v_mul_f64 v[85:86], v[2:3], v[99:100]
	v_mul_f64 v[79:80], v[0:1], v[99:100]
	s_waitcnt vmcnt(56)
	v_fma_f64 v[97:98], v[4:5], v[16:17], -v[97:98]
	v_fma_f64 v[16:17], v[6:7], v[16:17], v[112:113]
	v_add_f64 v[20:21], v[20:21], v[77:78]
	v_add_f64 v[12:13], v[12:13], v[65:66]
	s_clause 0x4
	buffer_load_dword v66, off, s[0:3], 0 offset:540
	buffer_load_dword v77, off, s[0:3], 0 offset:552
	;; [unrolled: 1-line block ×5, first 2 shown]
	ds_read_b128 v[4:7], v52 offset:1152
	s_waitcnt vmcnt(57) lgkmcnt(1)
	v_mul_f64 v[112:113], v[8:9], v[14:15]
	v_mul_f64 v[14:15], v[10:11], v[14:15]
	s_waitcnt vmcnt(56)
	v_fma_f64 v[85:86], v[0:1], v[101:102], -v[85:86]
	v_fma_f64 v[79:80], v[2:3], v[101:102], v[79:80]
	v_add_f64 v[20:21], v[20:21], v[97:98]
	v_add_f64 v[12:13], v[12:13], v[16:17]
	s_clause 0x2
	buffer_load_dword v78, off, s[0:3], 0 offset:556
	buffer_load_dword v17, off, s[0:3], 0 offset:532
	;; [unrolled: 1-line block ×3, first 2 shown]
	s_waitcnt vmcnt(58) lgkmcnt(0)
	v_mul_f64 v[101:102], v[6:7], v[103:104]
	ds_read_b128 v[0:3], v52 offset:1168
	v_mul_f64 v[97:98], v[4:5], v[103:104]
	s_waitcnt vmcnt(56)
	v_fma_f64 v[14:15], v[8:9], v[93:94], -v[14:15]
	v_add_f64 v[20:21], v[20:21], v[85:86]
	v_fma_f64 v[85:86], v[10:11], v[93:94], v[112:113]
	v_add_f64 v[12:13], v[12:13], v[79:80]
	s_clause 0x4
	buffer_load_dword v80, off, s[0:3], 0 offset:572
	buffer_load_dword v93, off, s[0:3], 0 offset:584
	;; [unrolled: 1-line block ×5, first 2 shown]
	ds_read_b128 v[8:11], v52 offset:1184
	s_waitcnt vmcnt(57) lgkmcnt(1)
	v_mul_f64 v[112:113], v[0:1], v[32:33]
	v_mul_f64 v[32:33], v[2:3], v[32:33]
	s_waitcnt vmcnt(56)
	v_fma_f64 v[101:102], v[4:5], v[108:109], -v[101:102]
	v_add_f64 v[14:15], v[20:21], v[14:15]
	v_fma_f64 v[20:21], v[6:7], v[108:109], v[97:98]
	v_add_f64 v[12:13], v[12:13], v[85:86]
	s_clause 0x2
	buffer_load_dword v94, off, s[0:3], 0 offset:588
	buffer_load_dword v86, off, s[0:3], 0 offset:564
	;; [unrolled: 1-line block ×3, first 2 shown]
	ds_read_b128 v[4:7], v52 offset:1200
	s_waitcnt vmcnt(58) lgkmcnt(1)
	v_mul_f64 v[97:98], v[8:9], v[95:96]
	v_mul_f64 v[95:96], v[10:11], v[95:96]
	s_waitcnt vmcnt(56)
	v_fma_f64 v[32:33], v[0:1], v[26:27], -v[32:33]
	v_fma_f64 v[26:27], v[2:3], v[26:27], v[112:113]
	v_add_f64 v[14:15], v[14:15], v[101:102]
	v_add_f64 v[12:13], v[12:13], v[20:21]
	s_clause 0x4
	buffer_load_dword v21, off, s[0:3], 0 offset:604
	buffer_load_dword v101, off, s[0:3], 0 offset:616
	;; [unrolled: 1-line block ×5, first 2 shown]
	ds_read_b128 v[0:3], v52 offset:1216
	s_waitcnt vmcnt(57) lgkmcnt(1)
	v_mul_f64 v[108:109], v[4:5], v[18:19]
	v_mul_f64 v[18:19], v[6:7], v[18:19]
	s_waitcnt vmcnt(56)
	v_fma_f64 v[95:96], v[8:9], v[110:111], -v[95:96]
	v_add_f64 v[14:15], v[14:15], v[32:33]
	v_fma_f64 v[32:33], v[10:11], v[110:111], v[97:98]
	v_add_f64 v[12:13], v[12:13], v[26:27]
	s_clause 0x2
	buffer_load_dword v102, off, s[0:3], 0 offset:620
	buffer_load_dword v27, off, s[0:3], 0 offset:596
	;; [unrolled: 1-line block ×3, first 2 shown]
	ds_read_b128 v[8:11], v52 offset:1232
	s_waitcnt vmcnt(58) lgkmcnt(1)
	v_mul_f64 v[97:98], v[0:1], v[36:37]
	v_mul_f64 v[36:37], v[2:3], v[36:37]
	s_waitcnt vmcnt(56)
	v_fma_f64 v[18:19], v[4:5], v[24:25], -v[18:19]
	v_fma_f64 v[24:25], v[6:7], v[24:25], v[108:109]
	v_add_f64 v[14:15], v[14:15], v[95:96]
	v_add_f64 v[12:13], v[12:13], v[32:33]
	s_clause 0x4
	buffer_load_dword v33, off, s[0:3], 0 offset:636
	buffer_load_dword v95, off, s[0:3], 0 offset:648
	;; [unrolled: 1-line block ×5, first 2 shown]
	ds_read_b128 v[4:7], v52 offset:1248
	s_waitcnt vmcnt(57) lgkmcnt(1)
	v_mul_f64 v[110:111], v[8:9], v[22:23]
	v_mul_f64 v[22:23], v[10:11], v[22:23]
	s_waitcnt vmcnt(56)
	v_fma_f64 v[36:37], v[0:1], v[105:106], -v[36:37]
	v_add_f64 v[14:15], v[14:15], v[18:19]
	v_fma_f64 v[18:19], v[2:3], v[105:106], v[97:98]
	v_add_f64 v[12:13], v[12:13], v[24:25]
	s_clause 0x2
	buffer_load_dword v96, off, s[0:3], 0 offset:652
	buffer_load_dword v25, off, s[0:3], 0 offset:628
	;; [unrolled: 1-line block ×3, first 2 shown]
	s_waitcnt vmcnt(58) lgkmcnt(0)
	v_mul_f64 v[97:98], v[4:5], v[48:49]
	v_mul_f64 v[48:49], v[6:7], v[48:49]
	ds_read_b128 v[0:3], v52 offset:1264
	s_waitcnt vmcnt(56)
	v_fma_f64 v[22:23], v[8:9], v[30:31], -v[22:23]
	v_fma_f64 v[30:31], v[10:11], v[30:31], v[110:111]
	v_add_f64 v[14:15], v[14:15], v[36:37]
	v_add_f64 v[12:13], v[12:13], v[18:19]
	s_clause 0x4
	buffer_load_dword v19, off, s[0:3], 0 offset:668
	buffer_load_dword v36, off, s[0:3], 0 offset:680
	buffer_load_dword v105, off, s[0:3], 0 offset:672
	buffer_load_dword v18, off, s[0:3], 0 offset:664
	buffer_load_dword v110, off, s[0:3], 0 offset:644
	ds_read_b128 v[8:11], v52 offset:1280
	s_waitcnt vmcnt(57) lgkmcnt(1)
	v_mul_f64 v[111:112], v[0:1], v[28:29]
	v_mul_f64 v[28:29], v[2:3], v[28:29]
	s_waitcnt vmcnt(56)
	v_fma_f64 v[48:49], v[4:5], v[91:92], -v[48:49]
	v_add_f64 v[14:15], v[14:15], v[22:23]
	v_fma_f64 v[22:23], v[6:7], v[91:92], v[97:98]
	v_add_f64 v[12:13], v[12:13], v[30:31]
	s_clause 0x2
	buffer_load_dword v37, off, s[0:3], 0 offset:684
	buffer_load_dword v31, off, s[0:3], 0 offset:660
	;; [unrolled: 1-line block ×3, first 2 shown]
	s_waitcnt vmcnt(58) lgkmcnt(0)
	v_mul_f64 v[91:92], v[8:9], v[67:68]
	v_mul_f64 v[67:68], v[10:11], v[67:68]
	ds_read_b128 v[4:7], v52 offset:1296
	s_waitcnt vmcnt(56)
	v_fma_f64 v[28:29], v[0:1], v[40:41], -v[28:29]
	v_fma_f64 v[40:41], v[2:3], v[40:41], v[111:112]
	v_add_f64 v[14:15], v[14:15], v[48:49]
	v_add_f64 v[12:13], v[12:13], v[22:23]
	s_clause 0x4
	buffer_load_dword v23, off, s[0:3], 0 offset:700
	buffer_load_dword v48, off, s[0:3], 0 offset:712
	buffer_load_dword v97, off, s[0:3], 0 offset:704
	buffer_load_dword v22, off, s[0:3], 0 offset:696
	buffer_load_dword v106, off, s[0:3], 0 offset:676
	ds_read_b128 v[0:3], v52 offset:1312
	s_waitcnt vmcnt(57) lgkmcnt(1)
	v_mul_f64 v[111:112], v[4:5], v[34:35]
	v_mul_f64 v[34:35], v[6:7], v[34:35]
	s_waitcnt vmcnt(56)
	v_fma_f64 v[67:68], v[8:9], v[75:76], -v[67:68]
	v_add_f64 v[14:15], v[14:15], v[28:29]
	v_fma_f64 v[28:29], v[10:11], v[75:76], v[91:92]
	v_add_f64 v[12:13], v[12:13], v[40:41]
	s_clause 0x2
	buffer_load_dword v49, off, s[0:3], 0 offset:716
	buffer_load_dword v41, off, s[0:3], 0 offset:692
	buffer_load_dword v40, off, s[0:3], 0 offset:688
	ds_read_b128 v[8:11], v52 offset:1328
	s_waitcnt vmcnt(58) lgkmcnt(1)
	v_mul_f64 v[75:76], v[0:1], v[81:82]
	v_mul_f64 v[81:82], v[2:3], v[81:82]
	s_waitcnt vmcnt(56)
	v_fma_f64 v[34:35], v[4:5], v[38:39], -v[34:35]
	v_fma_f64 v[38:39], v[6:7], v[38:39], v[111:112]
	v_add_f64 v[14:15], v[14:15], v[67:68]
	v_add_f64 v[12:13], v[12:13], v[28:29]
	s_clause 0x4
	buffer_load_dword v29, off, s[0:3], 0 offset:732
	buffer_load_dword v67, off, s[0:3], 0 offset:744
	buffer_load_dword v91, off, s[0:3], 0 offset:736
	buffer_load_dword v28, off, s[0:3], 0 offset:728
	buffer_load_dword v98, off, s[0:3], 0 offset:708
	ds_read_b128 v[4:7], v52 offset:1344
	s_waitcnt vmcnt(57) lgkmcnt(1)
	v_mul_f64 v[111:112], v[8:9], v[42:43]
	v_mul_f64 v[42:43], v[10:11], v[42:43]
	s_waitcnt vmcnt(56)
	v_fma_f64 v[81:82], v[0:1], v[83:84], -v[81:82]
	v_add_f64 v[14:15], v[14:15], v[34:35]
	v_fma_f64 v[34:35], v[2:3], v[83:84], v[75:76]
	v_add_f64 v[12:13], v[12:13], v[38:39]
	s_clause 0x2
	buffer_load_dword v68, off, s[0:3], 0 offset:748
	buffer_load_dword v39, off, s[0:3], 0 offset:724
	buffer_load_dword v38, off, s[0:3], 0 offset:720
	ds_read_b128 v[0:3], v52 offset:1360
	s_waitcnt vmcnt(58) lgkmcnt(1)
	v_mul_f64 v[83:84], v[6:7], v[87:88]
	v_mul_f64 v[75:76], v[4:5], v[87:88]
	;; [unrolled: 28-line block ×4, first 2 shown]
	s_waitcnt vmcnt(56)
	v_fma_f64 v[79:80], v[4:5], v[85:86], -v[79:80]
	v_add_f64 v[14:15], v[14:15], v[77:78]
	v_fma_f64 v[77:78], v[6:7], v[85:86], v[111:112]
	v_add_f64 v[12:13], v[12:13], v[65:66]
	s_clause 0x4
	buffer_load_dword v66, off, s[0:3], 0 offset:828
	buffer_load_dword v85, off, s[0:3], 0 offset:840
	;; [unrolled: 1-line block ×5, first 2 shown]
	ds_read_b128 v[4:7], v52 offset:1440
	s_waitcnt vmcnt(57) lgkmcnt(1)
	v_mul_f64 v[111:112], v[8:9], v[20:21]
	v_mul_f64 v[20:21], v[10:11], v[20:21]
	s_waitcnt vmcnt(56)
	v_fma_f64 v[93:94], v[0:1], v[103:104], -v[93:94]
	v_fma_f64 v[75:76], v[2:3], v[103:104], v[75:76]
	v_add_f64 v[14:15], v[14:15], v[79:80]
	v_add_f64 v[12:13], v[12:13], v[77:78]
	s_clause 0x2
	buffer_load_dword v86, off, s[0:3], 0 offset:844
	buffer_load_dword v78, off, s[0:3], 0 offset:820
	;; [unrolled: 1-line block ×3, first 2 shown]
	ds_read_b128 v[0:3], v52 offset:1456
	s_waitcnt vmcnt(58) lgkmcnt(1)
	v_mul_f64 v[79:80], v[4:5], v[101:102]
	v_mul_f64 v[101:102], v[6:7], v[101:102]
	s_waitcnt vmcnt(56)
	v_fma_f64 v[20:21], v[8:9], v[26:27], -v[20:21]
	v_fma_f64 v[26:27], v[10:11], v[26:27], v[111:112]
	v_add_f64 v[14:15], v[14:15], v[93:94]
	v_add_f64 v[12:13], v[12:13], v[75:76]
	s_clause 0x2
	buffer_load_dword v76, off, s[0:3], 0 offset:860
	buffer_load_dword v75, off, s[0:3], 0 offset:856
	;; [unrolled: 1-line block ×3, first 2 shown]
	ds_read_b128 v[8:11], v52 offset:1472
	s_waitcnt vmcnt(55) lgkmcnt(1)
	v_mul_f64 v[93:94], v[0:1], v[32:33]
	v_mul_f64 v[32:33], v[2:3], v[32:33]
	s_waitcnt vmcnt(54)
	v_fma_f64 v[101:102], v[4:5], v[107:108], -v[101:102]
	v_add_f64 v[14:15], v[14:15], v[20:21]
	v_fma_f64 v[20:21], v[6:7], v[107:108], v[79:80]
	v_add_f64 v[12:13], v[12:13], v[26:27]
	s_clause 0x1
	buffer_load_dword v27, off, s[0:3], 0 offset:852
	buffer_load_dword v26, off, s[0:3], 0 offset:848
	ds_read_b128 v[4:7], v52 offset:1488
	s_waitcnt vmcnt(55) lgkmcnt(1)
	v_mul_f64 v[79:80], v[8:9], v[95:96]
	v_mul_f64 v[95:96], v[10:11], v[95:96]
	s_waitcnt vmcnt(53)
	v_fma_f64 v[32:33], v[0:1], v[24:25], -v[32:33]
	v_fma_f64 v[24:25], v[2:3], v[24:25], v[93:94]
	ds_read_b128 v[0:3], v52 offset:1504
	v_add_f64 v[14:15], v[14:15], v[101:102]
	v_add_f64 v[12:13], v[12:13], v[20:21]
	s_waitcnt vmcnt(49) lgkmcnt(1)
	v_mul_f64 v[20:21], v[4:5], v[18:19]
	v_mul_f64 v[18:19], v[6:7], v[18:19]
	s_waitcnt vmcnt(48)
	v_fma_f64 v[93:94], v[8:9], v[109:110], -v[95:96]
	v_add_f64 v[14:15], v[14:15], v[32:33]
	v_fma_f64 v[32:33], v[10:11], v[109:110], v[79:80]
	v_add_f64 v[12:13], v[12:13], v[24:25]
	s_clause 0x3
	buffer_load_dword v24, off, s[0:3], 0 offset:16
	buffer_load_dword v25, off, s[0:3], 0 offset:20
	;; [unrolled: 1-line block ×4, first 2 shown]
	ds_read_b128 v[8:11], v52 offset:1520
	s_waitcnt vmcnt(51) lgkmcnt(1)
	v_mul_f64 v[95:96], v[0:1], v[36:37]
	v_mul_f64 v[36:37], v[2:3], v[36:37]
	s_waitcnt vmcnt(49)
	v_fma_f64 v[18:19], v[4:5], v[30:31], -v[18:19]
	v_fma_f64 v[20:21], v[6:7], v[30:31], v[20:21]
	ds_read_b128 v[4:7], v52 offset:1536
	v_add_f64 v[14:15], v[14:15], v[93:94]
	v_add_f64 v[12:13], v[12:13], v[32:33]
	s_waitcnt vmcnt(45) lgkmcnt(1)
	v_mul_f64 v[30:31], v[8:9], v[22:23]
	v_mul_f64 v[22:23], v[10:11], v[22:23]
	s_waitcnt vmcnt(44)
	v_fma_f64 v[32:33], v[0:1], v[105:106], -v[36:37]
	v_add_f64 v[14:15], v[14:15], v[18:19]
	v_fma_f64 v[18:19], v[2:3], v[105:106], v[95:96]
	v_add_f64 v[12:13], v[12:13], v[20:21]
	ds_read_b128 v[0:3], v52 offset:1552
	s_waitcnt vmcnt(43) lgkmcnt(1)
	v_mul_f64 v[36:37], v[6:7], v[48:49]
	v_mul_f64 v[20:21], v[4:5], v[48:49]
	s_waitcnt vmcnt(41)
	v_fma_f64 v[22:23], v[8:9], v[40:41], -v[22:23]
	v_fma_f64 v[30:31], v[10:11], v[40:41], v[30:31]
	ds_read_b128 v[8:11], v52 offset:1568
	v_add_f64 v[14:15], v[14:15], v[32:33]
	v_add_f64 v[12:13], v[12:13], v[18:19]
	s_waitcnt vmcnt(37) lgkmcnt(1)
	v_mul_f64 v[18:19], v[0:1], v[28:29]
	v_mul_f64 v[28:29], v[2:3], v[28:29]
	s_waitcnt vmcnt(36)
	v_fma_f64 v[32:33], v[4:5], v[97:98], -v[36:37]
	v_fma_f64 v[20:21], v[6:7], v[97:98], v[20:21]
	ds_read_b128 v[4:7], v52 offset:1584
	v_add_f64 v[14:15], v[14:15], v[22:23]
	v_add_f64 v[12:13], v[12:13], v[30:31]
	;; [unrolled: 9-line block ×3, first 2 shown]
	s_waitcnt vmcnt(29) lgkmcnt(1)
	v_mul_f64 v[32:33], v[6:7], v[34:35]
	s_waitcnt vmcnt(28)
	v_fma_f64 v[30:31], v[8:9], v[91:92], -v[30:31]
	v_mul_f64 v[20:21], v[4:5], v[34:35]
	v_fma_f64 v[22:23], v[10:11], v[91:92], v[22:23]
	ds_read_b128 v[8:11], v52 offset:1616
	v_add_f64 v[14:15], v[14:15], v[28:29]
	v_add_f64 v[12:13], v[12:13], v[18:19]
	s_waitcnt vmcnt(27) lgkmcnt(1)
	v_mul_f64 v[28:29], v[2:3], v[81:82]
	v_mul_f64 v[18:19], v[0:1], v[81:82]
	s_waitcnt vmcnt(25)
	v_fma_f64 v[32:33], v[4:5], v[50:51], -v[32:33]
	v_fma_f64 v[20:21], v[6:7], v[50:51], v[20:21]
	ds_read_b128 v[4:7], v52 offset:1632
	v_add_f64 v[14:15], v[14:15], v[30:31]
	v_add_f64 v[12:13], v[12:13], v[22:23]
	s_waitcnt vmcnt(21) lgkmcnt(1)
	v_mul_f64 v[30:31], v[10:11], v[42:43]
	s_waitcnt vmcnt(20)
	v_fma_f64 v[28:29], v[0:1], v[87:88], -v[28:29]
	v_mul_f64 v[22:23], v[8:9], v[42:43]
	v_fma_f64 v[18:19], v[2:3], v[87:88], v[18:19]
	ds_read_b128 v[0:3], v52 offset:1648
	v_add_f64 v[14:15], v[14:15], v[32:33]
	v_add_f64 v[12:13], v[12:13], v[20:21]
	s_waitcnt vmcnt(19) lgkmcnt(1)
	v_mul_f64 v[32:33], v[6:7], v[83:84]
	v_mul_f64 v[20:21], v[4:5], v[83:84]
	s_waitcnt vmcnt(17)
	v_fma_f64 v[30:31], v[8:9], v[16:17], -v[30:31]
	v_fma_f64 v[16:17], v[10:11], v[16:17], v[22:23]
	ds_read_b128 v[8:11], v52 offset:1664
	v_add_f64 v[14:15], v[14:15], v[28:29]
	v_add_f64 v[12:13], v[12:13], v[18:19]
	s_waitcnt vmcnt(13) lgkmcnt(1)
	v_mul_f64 v[22:23], v[2:3], v[65:66]
	s_waitcnt vmcnt(12)
	v_fma_f64 v[28:29], v[4:5], v[89:90], -v[32:33]
	v_mul_f64 v[18:19], v[0:1], v[65:66]
	v_fma_f64 v[20:21], v[6:7], v[89:90], v[20:21]
	ds_read_b128 v[4:7], v52 offset:1680
	v_add_f64 v[14:15], v[14:15], v[30:31]
	v_add_f64 v[12:13], v[12:13], v[16:17]
	s_waitcnt vmcnt(11) lgkmcnt(1)
	v_mul_f64 v[30:31], v[10:11], v[85:86]
	v_mul_f64 v[16:17], v[8:9], v[85:86]
	s_waitcnt vmcnt(9)
	v_fma_f64 v[0:1], v[0:1], v[77:78], -v[22:23]
	v_fma_f64 v[2:3], v[2:3], v[77:78], v[18:19]
	v_add_f64 v[14:15], v[14:15], v[28:29]
	v_add_f64 v[12:13], v[12:13], v[20:21]
	s_waitcnt vmcnt(7) lgkmcnt(0)
	v_mul_f64 v[20:21], v[6:7], v[75:76]
	s_waitcnt vmcnt(6)
	v_fma_f64 v[8:9], v[8:9], v[99:100], -v[30:31]
	v_mul_f64 v[18:19], v[4:5], v[75:76]
	v_fma_f64 v[10:11], v[10:11], v[99:100], v[16:17]
	v_add_f64 v[0:1], v[14:15], v[0:1]
	v_add_f64 v[2:3], v[12:13], v[2:3]
	s_waitcnt vmcnt(4)
	v_fma_f64 v[4:5], v[4:5], v[26:27], -v[20:21]
	v_fma_f64 v[6:7], v[6:7], v[26:27], v[18:19]
	v_add_f64 v[0:1], v[0:1], v[8:9]
	v_add_f64 v[2:3], v[2:3], v[10:11]
	;; [unrolled: 1-line block ×4, first 2 shown]
	s_waitcnt vmcnt(2)
	v_add_f64 v[0:1], v[24:25], -v[0:1]
	s_waitcnt vmcnt(0)
	v_add_f64 v[2:3], v[79:80], -v[2:3]
	buffer_store_dword v1, off, s[0:3], 0 offset:20
	buffer_store_dword v0, off, s[0:3], 0 offset:16
	;; [unrolled: 1-line block ×4, first 2 shown]
	s_cbranch_vccz .LBB52_436
; %bb.332:
	v_mov_b32_e32 v0, 0
	global_load_dword v1, v0, s[20:21] offset:204
	s_waitcnt vmcnt(0)
	v_add_nc_u32_e32 v1, -1, v1
	v_cmp_ne_u32_e32 vcc_lo, 51, v1
	s_cbranch_vccz .LBB52_334
; %bb.333:
	v_lshlrev_b32_e32 v1, 4, v1
	v_mov_b32_e32 v2, s9
	v_add_nc_u32_e32 v1, 16, v1
	s_clause 0x7
	buffer_load_dword v3, v1, s[0:3], 0 offen
	buffer_load_dword v4, v1, s[0:3], 0 offen offset:4
	buffer_load_dword v5, v1, s[0:3], 0 offen offset:8
	;; [unrolled: 1-line block ×6, first 2 shown]
	buffer_load_dword v10, v2, s[0:3], 0 offen
	s_waitcnt vmcnt(7)
	buffer_store_dword v3, v2, s[0:3], 0 offen
	s_waitcnt vmcnt(6)
	buffer_store_dword v4, v2, s[0:3], 0 offen offset:4
	s_waitcnt vmcnt(5)
	buffer_store_dword v5, v2, s[0:3], 0 offen offset:8
	;; [unrolled: 2-line block ×6, first 2 shown]
	s_waitcnt vmcnt(0)
	buffer_store_dword v10, v1, s[0:3], 0 offen
.LBB52_334:
	global_load_dword v0, v0, s[20:21] offset:200
	s_waitcnt vmcnt(0)
	v_add_nc_u32_e32 v0, -1, v0
	v_cmp_eq_u32_e32 vcc_lo, 50, v0
	s_cbranch_vccnz .LBB52_336
; %bb.335:
	v_lshlrev_b32_e32 v0, 4, v0
	v_mov_b32_e32 v1, s12
	v_add_nc_u32_e32 v0, 16, v0
	s_clause 0x7
	buffer_load_dword v2, v0, s[0:3], 0 offen
	buffer_load_dword v3, v0, s[0:3], 0 offen offset:4
	buffer_load_dword v4, v0, s[0:3], 0 offen offset:8
	;; [unrolled: 1-line block ×6, first 2 shown]
	buffer_load_dword v9, v1, s[0:3], 0 offen
	s_waitcnt vmcnt(7)
	buffer_store_dword v2, v1, s[0:3], 0 offen
	s_waitcnt vmcnt(6)
	buffer_store_dword v3, v1, s[0:3], 0 offen offset:4
	s_waitcnt vmcnt(5)
	buffer_store_dword v4, v1, s[0:3], 0 offen offset:8
	;; [unrolled: 2-line block ×6, first 2 shown]
	s_waitcnt vmcnt(0)
	buffer_store_dword v9, v0, s[0:3], 0 offen
.LBB52_336:
	v_mov_b32_e32 v0, 0
	global_load_dword v1, v0, s[20:21] offset:196
	s_waitcnt vmcnt(0)
	v_add_nc_u32_e32 v1, -1, v1
	v_cmp_eq_u32_e32 vcc_lo, 49, v1
	s_cbranch_vccnz .LBB52_338
; %bb.337:
	v_lshlrev_b32_e32 v1, 4, v1
	v_mov_b32_e32 v2, s13
	v_add_nc_u32_e32 v1, 16, v1
	s_clause 0x7
	buffer_load_dword v3, v1, s[0:3], 0 offen
	buffer_load_dword v4, v1, s[0:3], 0 offen offset:4
	buffer_load_dword v5, v1, s[0:3], 0 offen offset:8
	;; [unrolled: 1-line block ×6, first 2 shown]
	buffer_load_dword v10, v2, s[0:3], 0 offen
	s_waitcnt vmcnt(7)
	buffer_store_dword v3, v2, s[0:3], 0 offen
	s_waitcnt vmcnt(6)
	buffer_store_dword v4, v2, s[0:3], 0 offen offset:4
	s_waitcnt vmcnt(5)
	buffer_store_dword v5, v2, s[0:3], 0 offen offset:8
	;; [unrolled: 2-line block ×6, first 2 shown]
	s_waitcnt vmcnt(0)
	buffer_store_dword v10, v1, s[0:3], 0 offen
.LBB52_338:
	global_load_dword v0, v0, s[20:21] offset:192
	s_waitcnt vmcnt(0)
	v_add_nc_u32_e32 v0, -1, v0
	v_cmp_eq_u32_e32 vcc_lo, 48, v0
	s_cbranch_vccnz .LBB52_340
; %bb.339:
	v_lshlrev_b32_e32 v0, 4, v0
	v_mov_b32_e32 v1, s14
	v_add_nc_u32_e32 v0, 16, v0
	s_clause 0x7
	buffer_load_dword v2, v0, s[0:3], 0 offen
	buffer_load_dword v3, v0, s[0:3], 0 offen offset:4
	buffer_load_dword v4, v0, s[0:3], 0 offen offset:8
	;; [unrolled: 1-line block ×6, first 2 shown]
	buffer_load_dword v9, v1, s[0:3], 0 offen
	s_waitcnt vmcnt(7)
	buffer_store_dword v2, v1, s[0:3], 0 offen
	s_waitcnt vmcnt(6)
	buffer_store_dword v3, v1, s[0:3], 0 offen offset:4
	s_waitcnt vmcnt(5)
	buffer_store_dword v4, v1, s[0:3], 0 offen offset:8
	;; [unrolled: 2-line block ×6, first 2 shown]
	s_waitcnt vmcnt(0)
	buffer_store_dword v9, v0, s[0:3], 0 offen
.LBB52_340:
	v_mov_b32_e32 v0, 0
	global_load_dword v1, v0, s[20:21] offset:188
	s_waitcnt vmcnt(0)
	v_add_nc_u32_e32 v1, -1, v1
	v_cmp_eq_u32_e32 vcc_lo, 47, v1
	s_cbranch_vccnz .LBB52_342
; %bb.341:
	v_lshlrev_b32_e32 v1, 4, v1
	v_mov_b32_e32 v2, s15
	v_add_nc_u32_e32 v1, 16, v1
	s_clause 0x7
	buffer_load_dword v3, v1, s[0:3], 0 offen
	buffer_load_dword v4, v1, s[0:3], 0 offen offset:4
	buffer_load_dword v5, v1, s[0:3], 0 offen offset:8
	;; [unrolled: 1-line block ×6, first 2 shown]
	buffer_load_dword v10, v2, s[0:3], 0 offen
	s_waitcnt vmcnt(7)
	buffer_store_dword v3, v2, s[0:3], 0 offen
	s_waitcnt vmcnt(6)
	buffer_store_dword v4, v2, s[0:3], 0 offen offset:4
	s_waitcnt vmcnt(5)
	buffer_store_dword v5, v2, s[0:3], 0 offen offset:8
	;; [unrolled: 2-line block ×6, first 2 shown]
	s_waitcnt vmcnt(0)
	buffer_store_dword v10, v1, s[0:3], 0 offen
.LBB52_342:
	global_load_dword v0, v0, s[20:21] offset:184
	s_waitcnt vmcnt(0)
	v_add_nc_u32_e32 v0, -1, v0
	v_cmp_eq_u32_e32 vcc_lo, 46, v0
	s_cbranch_vccnz .LBB52_344
; %bb.343:
	v_lshlrev_b32_e32 v0, 4, v0
	v_mov_b32_e32 v1, s16
	v_add_nc_u32_e32 v0, 16, v0
	s_clause 0x7
	buffer_load_dword v2, v0, s[0:3], 0 offen
	buffer_load_dword v3, v0, s[0:3], 0 offen offset:4
	buffer_load_dword v4, v0, s[0:3], 0 offen offset:8
	;; [unrolled: 1-line block ×6, first 2 shown]
	buffer_load_dword v9, v1, s[0:3], 0 offen
	s_waitcnt vmcnt(7)
	buffer_store_dword v2, v1, s[0:3], 0 offen
	s_waitcnt vmcnt(6)
	buffer_store_dword v3, v1, s[0:3], 0 offen offset:4
	s_waitcnt vmcnt(5)
	buffer_store_dword v4, v1, s[0:3], 0 offen offset:8
	;; [unrolled: 2-line block ×6, first 2 shown]
	s_waitcnt vmcnt(0)
	buffer_store_dword v9, v0, s[0:3], 0 offen
.LBB52_344:
	v_mov_b32_e32 v0, 0
	global_load_dword v1, v0, s[20:21] offset:180
	s_waitcnt vmcnt(0)
	v_add_nc_u32_e32 v1, -1, v1
	v_cmp_eq_u32_e32 vcc_lo, 45, v1
	s_cbranch_vccnz .LBB52_346
; %bb.345:
	v_lshlrev_b32_e32 v1, 4, v1
	v_mov_b32_e32 v2, s17
	v_add_nc_u32_e32 v1, 16, v1
	s_clause 0x7
	buffer_load_dword v3, v1, s[0:3], 0 offen
	buffer_load_dword v4, v1, s[0:3], 0 offen offset:4
	buffer_load_dword v5, v1, s[0:3], 0 offen offset:8
	;; [unrolled: 1-line block ×6, first 2 shown]
	buffer_load_dword v10, v2, s[0:3], 0 offen
	s_waitcnt vmcnt(7)
	buffer_store_dword v3, v2, s[0:3], 0 offen
	s_waitcnt vmcnt(6)
	buffer_store_dword v4, v2, s[0:3], 0 offen offset:4
	s_waitcnt vmcnt(5)
	buffer_store_dword v5, v2, s[0:3], 0 offen offset:8
	;; [unrolled: 2-line block ×6, first 2 shown]
	s_waitcnt vmcnt(0)
	buffer_store_dword v10, v1, s[0:3], 0 offen
.LBB52_346:
	global_load_dword v0, v0, s[20:21] offset:176
	s_waitcnt vmcnt(0)
	v_add_nc_u32_e32 v0, -1, v0
	v_cmp_eq_u32_e32 vcc_lo, 44, v0
	s_cbranch_vccnz .LBB52_348
; %bb.347:
	v_lshlrev_b32_e32 v0, 4, v0
	v_mov_b32_e32 v1, s18
	v_add_nc_u32_e32 v0, 16, v0
	s_clause 0x7
	buffer_load_dword v2, v0, s[0:3], 0 offen
	buffer_load_dword v3, v0, s[0:3], 0 offen offset:4
	buffer_load_dword v4, v0, s[0:3], 0 offen offset:8
	;; [unrolled: 1-line block ×6, first 2 shown]
	buffer_load_dword v9, v1, s[0:3], 0 offen
	s_waitcnt vmcnt(7)
	buffer_store_dword v2, v1, s[0:3], 0 offen
	s_waitcnt vmcnt(6)
	buffer_store_dword v3, v1, s[0:3], 0 offen offset:4
	s_waitcnt vmcnt(5)
	buffer_store_dword v4, v1, s[0:3], 0 offen offset:8
	s_waitcnt vmcnt(4)
	buffer_store_dword v5, v1, s[0:3], 0 offen offset:12
	s_waitcnt vmcnt(3)
	buffer_store_dword v6, v0, s[0:3], 0 offen offset:12
	s_waitcnt vmcnt(2)
	buffer_store_dword v7, v0, s[0:3], 0 offen offset:8
	s_waitcnt vmcnt(1)
	buffer_store_dword v8, v0, s[0:3], 0 offen offset:4
	s_waitcnt vmcnt(0)
	buffer_store_dword v9, v0, s[0:3], 0 offen
.LBB52_348:
	v_mov_b32_e32 v0, 0
	global_load_dword v1, v0, s[20:21] offset:172
	s_waitcnt vmcnt(0)
	v_add_nc_u32_e32 v1, -1, v1
	v_cmp_eq_u32_e32 vcc_lo, 43, v1
	s_cbranch_vccnz .LBB52_350
; %bb.349:
	v_lshlrev_b32_e32 v1, 4, v1
	v_mov_b32_e32 v2, s19
	v_add_nc_u32_e32 v1, 16, v1
	s_clause 0x7
	buffer_load_dword v3, v1, s[0:3], 0 offen
	buffer_load_dword v4, v1, s[0:3], 0 offen offset:4
	buffer_load_dword v5, v1, s[0:3], 0 offen offset:8
	;; [unrolled: 1-line block ×6, first 2 shown]
	buffer_load_dword v10, v2, s[0:3], 0 offen
	s_waitcnt vmcnt(7)
	buffer_store_dword v3, v2, s[0:3], 0 offen
	s_waitcnt vmcnt(6)
	buffer_store_dword v4, v2, s[0:3], 0 offen offset:4
	s_waitcnt vmcnt(5)
	buffer_store_dword v5, v2, s[0:3], 0 offen offset:8
	;; [unrolled: 2-line block ×6, first 2 shown]
	s_waitcnt vmcnt(0)
	buffer_store_dword v10, v1, s[0:3], 0 offen
.LBB52_350:
	global_load_dword v0, v0, s[20:21] offset:168
	s_waitcnt vmcnt(0)
	v_add_nc_u32_e32 v0, -1, v0
	v_cmp_eq_u32_e32 vcc_lo, 42, v0
	s_cbranch_vccnz .LBB52_352
; %bb.351:
	v_lshlrev_b32_e32 v0, 4, v0
	v_mov_b32_e32 v1, s22
	v_add_nc_u32_e32 v0, 16, v0
	s_clause 0x7
	buffer_load_dword v2, v0, s[0:3], 0 offen
	buffer_load_dword v3, v0, s[0:3], 0 offen offset:4
	buffer_load_dword v4, v0, s[0:3], 0 offen offset:8
	;; [unrolled: 1-line block ×6, first 2 shown]
	buffer_load_dword v9, v1, s[0:3], 0 offen
	s_waitcnt vmcnt(7)
	buffer_store_dword v2, v1, s[0:3], 0 offen
	s_waitcnt vmcnt(6)
	buffer_store_dword v3, v1, s[0:3], 0 offen offset:4
	s_waitcnt vmcnt(5)
	buffer_store_dword v4, v1, s[0:3], 0 offen offset:8
	;; [unrolled: 2-line block ×6, first 2 shown]
	s_waitcnt vmcnt(0)
	buffer_store_dword v9, v0, s[0:3], 0 offen
.LBB52_352:
	v_mov_b32_e32 v0, 0
	global_load_dword v1, v0, s[20:21] offset:164
	s_waitcnt vmcnt(0)
	v_add_nc_u32_e32 v1, -1, v1
	v_cmp_eq_u32_e32 vcc_lo, 41, v1
	s_cbranch_vccnz .LBB52_354
; %bb.353:
	v_lshlrev_b32_e32 v1, 4, v1
	v_mov_b32_e32 v2, s23
	v_add_nc_u32_e32 v1, 16, v1
	s_clause 0x7
	buffer_load_dword v3, v1, s[0:3], 0 offen
	buffer_load_dword v4, v1, s[0:3], 0 offen offset:4
	buffer_load_dword v5, v1, s[0:3], 0 offen offset:8
	;; [unrolled: 1-line block ×6, first 2 shown]
	buffer_load_dword v10, v2, s[0:3], 0 offen
	s_waitcnt vmcnt(7)
	buffer_store_dword v3, v2, s[0:3], 0 offen
	s_waitcnt vmcnt(6)
	buffer_store_dword v4, v2, s[0:3], 0 offen offset:4
	s_waitcnt vmcnt(5)
	buffer_store_dword v5, v2, s[0:3], 0 offen offset:8
	;; [unrolled: 2-line block ×6, first 2 shown]
	s_waitcnt vmcnt(0)
	buffer_store_dword v10, v1, s[0:3], 0 offen
.LBB52_354:
	global_load_dword v0, v0, s[20:21] offset:160
	s_waitcnt vmcnt(0)
	v_add_nc_u32_e32 v0, -1, v0
	v_cmp_eq_u32_e32 vcc_lo, 40, v0
	s_cbranch_vccnz .LBB52_356
; %bb.355:
	v_lshlrev_b32_e32 v0, 4, v0
	v_mov_b32_e32 v1, s24
	v_add_nc_u32_e32 v0, 16, v0
	s_clause 0x7
	buffer_load_dword v2, v0, s[0:3], 0 offen
	buffer_load_dword v3, v0, s[0:3], 0 offen offset:4
	buffer_load_dword v4, v0, s[0:3], 0 offen offset:8
	buffer_load_dword v5, v0, s[0:3], 0 offen offset:12
	buffer_load_dword v6, v1, s[0:3], 0 offen offset:12
	buffer_load_dword v7, v1, s[0:3], 0 offen offset:8
	buffer_load_dword v8, v1, s[0:3], 0 offen offset:4
	buffer_load_dword v9, v1, s[0:3], 0 offen
	s_waitcnt vmcnt(7)
	buffer_store_dword v2, v1, s[0:3], 0 offen
	s_waitcnt vmcnt(6)
	buffer_store_dword v3, v1, s[0:3], 0 offen offset:4
	s_waitcnt vmcnt(5)
	buffer_store_dword v4, v1, s[0:3], 0 offen offset:8
	;; [unrolled: 2-line block ×6, first 2 shown]
	s_waitcnt vmcnt(0)
	buffer_store_dword v9, v0, s[0:3], 0 offen
.LBB52_356:
	v_mov_b32_e32 v0, 0
	global_load_dword v1, v0, s[20:21] offset:156
	s_waitcnt vmcnt(0)
	v_add_nc_u32_e32 v1, -1, v1
	v_cmp_eq_u32_e32 vcc_lo, 39, v1
	s_cbranch_vccnz .LBB52_358
; %bb.357:
	v_lshlrev_b32_e32 v1, 4, v1
	v_mov_b32_e32 v2, s25
	v_add_nc_u32_e32 v1, 16, v1
	s_clause 0x7
	buffer_load_dword v3, v1, s[0:3], 0 offen
	buffer_load_dword v4, v1, s[0:3], 0 offen offset:4
	buffer_load_dword v5, v1, s[0:3], 0 offen offset:8
	;; [unrolled: 1-line block ×6, first 2 shown]
	buffer_load_dword v10, v2, s[0:3], 0 offen
	s_waitcnt vmcnt(7)
	buffer_store_dword v3, v2, s[0:3], 0 offen
	s_waitcnt vmcnt(6)
	buffer_store_dword v4, v2, s[0:3], 0 offen offset:4
	s_waitcnt vmcnt(5)
	buffer_store_dword v5, v2, s[0:3], 0 offen offset:8
	;; [unrolled: 2-line block ×6, first 2 shown]
	s_waitcnt vmcnt(0)
	buffer_store_dword v10, v1, s[0:3], 0 offen
.LBB52_358:
	global_load_dword v0, v0, s[20:21] offset:152
	s_waitcnt vmcnt(0)
	v_add_nc_u32_e32 v0, -1, v0
	v_cmp_eq_u32_e32 vcc_lo, 38, v0
	s_cbranch_vccnz .LBB52_360
; %bb.359:
	v_lshlrev_b32_e32 v0, 4, v0
	v_mov_b32_e32 v1, s26
	v_add_nc_u32_e32 v0, 16, v0
	s_clause 0x7
	buffer_load_dword v2, v0, s[0:3], 0 offen
	buffer_load_dword v3, v0, s[0:3], 0 offen offset:4
	buffer_load_dword v4, v0, s[0:3], 0 offen offset:8
	;; [unrolled: 1-line block ×6, first 2 shown]
	buffer_load_dword v9, v1, s[0:3], 0 offen
	s_waitcnt vmcnt(7)
	buffer_store_dword v2, v1, s[0:3], 0 offen
	s_waitcnt vmcnt(6)
	buffer_store_dword v3, v1, s[0:3], 0 offen offset:4
	s_waitcnt vmcnt(5)
	buffer_store_dword v4, v1, s[0:3], 0 offen offset:8
	;; [unrolled: 2-line block ×6, first 2 shown]
	s_waitcnt vmcnt(0)
	buffer_store_dword v9, v0, s[0:3], 0 offen
.LBB52_360:
	v_mov_b32_e32 v0, 0
	global_load_dword v1, v0, s[20:21] offset:148
	s_waitcnt vmcnt(0)
	v_add_nc_u32_e32 v1, -1, v1
	v_cmp_eq_u32_e32 vcc_lo, 37, v1
	s_cbranch_vccnz .LBB52_362
; %bb.361:
	v_lshlrev_b32_e32 v1, 4, v1
	v_mov_b32_e32 v2, s27
	v_add_nc_u32_e32 v1, 16, v1
	s_clause 0x7
	buffer_load_dword v3, v1, s[0:3], 0 offen
	buffer_load_dword v4, v1, s[0:3], 0 offen offset:4
	buffer_load_dword v5, v1, s[0:3], 0 offen offset:8
	;; [unrolled: 1-line block ×6, first 2 shown]
	buffer_load_dword v10, v2, s[0:3], 0 offen
	s_waitcnt vmcnt(7)
	buffer_store_dword v3, v2, s[0:3], 0 offen
	s_waitcnt vmcnt(6)
	buffer_store_dword v4, v2, s[0:3], 0 offen offset:4
	s_waitcnt vmcnt(5)
	buffer_store_dword v5, v2, s[0:3], 0 offen offset:8
	;; [unrolled: 2-line block ×6, first 2 shown]
	s_waitcnt vmcnt(0)
	buffer_store_dword v10, v1, s[0:3], 0 offen
.LBB52_362:
	global_load_dword v0, v0, s[20:21] offset:144
	s_waitcnt vmcnt(0)
	v_add_nc_u32_e32 v0, -1, v0
	v_cmp_eq_u32_e32 vcc_lo, 36, v0
	s_cbranch_vccnz .LBB52_364
; %bb.363:
	v_lshlrev_b32_e32 v0, 4, v0
	v_mov_b32_e32 v1, s28
	v_add_nc_u32_e32 v0, 16, v0
	s_clause 0x7
	buffer_load_dword v2, v0, s[0:3], 0 offen
	buffer_load_dword v3, v0, s[0:3], 0 offen offset:4
	buffer_load_dword v4, v0, s[0:3], 0 offen offset:8
	;; [unrolled: 1-line block ×6, first 2 shown]
	buffer_load_dword v9, v1, s[0:3], 0 offen
	s_waitcnt vmcnt(7)
	buffer_store_dword v2, v1, s[0:3], 0 offen
	s_waitcnt vmcnt(6)
	buffer_store_dword v3, v1, s[0:3], 0 offen offset:4
	s_waitcnt vmcnt(5)
	buffer_store_dword v4, v1, s[0:3], 0 offen offset:8
	;; [unrolled: 2-line block ×6, first 2 shown]
	s_waitcnt vmcnt(0)
	buffer_store_dword v9, v0, s[0:3], 0 offen
.LBB52_364:
	v_mov_b32_e32 v0, 0
	global_load_dword v1, v0, s[20:21] offset:140
	s_waitcnt vmcnt(0)
	v_add_nc_u32_e32 v1, -1, v1
	v_cmp_eq_u32_e32 vcc_lo, 35, v1
	s_cbranch_vccnz .LBB52_366
; %bb.365:
	v_lshlrev_b32_e32 v1, 4, v1
	v_mov_b32_e32 v2, s29
	v_add_nc_u32_e32 v1, 16, v1
	s_clause 0x7
	buffer_load_dword v3, v1, s[0:3], 0 offen
	buffer_load_dword v4, v1, s[0:3], 0 offen offset:4
	buffer_load_dword v5, v1, s[0:3], 0 offen offset:8
	;; [unrolled: 1-line block ×6, first 2 shown]
	buffer_load_dword v10, v2, s[0:3], 0 offen
	s_waitcnt vmcnt(7)
	buffer_store_dword v3, v2, s[0:3], 0 offen
	s_waitcnt vmcnt(6)
	buffer_store_dword v4, v2, s[0:3], 0 offen offset:4
	s_waitcnt vmcnt(5)
	buffer_store_dword v5, v2, s[0:3], 0 offen offset:8
	;; [unrolled: 2-line block ×6, first 2 shown]
	s_waitcnt vmcnt(0)
	buffer_store_dword v10, v1, s[0:3], 0 offen
.LBB52_366:
	global_load_dword v0, v0, s[20:21] offset:136
	s_waitcnt vmcnt(0)
	v_add_nc_u32_e32 v0, -1, v0
	v_cmp_eq_u32_e32 vcc_lo, 34, v0
	s_cbranch_vccnz .LBB52_368
; %bb.367:
	v_lshlrev_b32_e32 v0, 4, v0
	v_mov_b32_e32 v1, s30
	v_add_nc_u32_e32 v0, 16, v0
	s_clause 0x7
	buffer_load_dword v2, v0, s[0:3], 0 offen
	buffer_load_dword v3, v0, s[0:3], 0 offen offset:4
	buffer_load_dword v4, v0, s[0:3], 0 offen offset:8
	;; [unrolled: 1-line block ×6, first 2 shown]
	buffer_load_dword v9, v1, s[0:3], 0 offen
	s_waitcnt vmcnt(7)
	buffer_store_dword v2, v1, s[0:3], 0 offen
	s_waitcnt vmcnt(6)
	buffer_store_dword v3, v1, s[0:3], 0 offen offset:4
	s_waitcnt vmcnt(5)
	buffer_store_dword v4, v1, s[0:3], 0 offen offset:8
	;; [unrolled: 2-line block ×6, first 2 shown]
	s_waitcnt vmcnt(0)
	buffer_store_dword v9, v0, s[0:3], 0 offen
.LBB52_368:
	v_mov_b32_e32 v0, 0
	global_load_dword v1, v0, s[20:21] offset:132
	s_waitcnt vmcnt(0)
	v_add_nc_u32_e32 v1, -1, v1
	v_cmp_eq_u32_e32 vcc_lo, 33, v1
	s_cbranch_vccnz .LBB52_370
; %bb.369:
	v_lshlrev_b32_e32 v1, 4, v1
	v_mov_b32_e32 v2, s31
	v_add_nc_u32_e32 v1, 16, v1
	s_clause 0x7
	buffer_load_dword v3, v1, s[0:3], 0 offen
	buffer_load_dword v4, v1, s[0:3], 0 offen offset:4
	buffer_load_dword v5, v1, s[0:3], 0 offen offset:8
	;; [unrolled: 1-line block ×6, first 2 shown]
	buffer_load_dword v10, v2, s[0:3], 0 offen
	s_waitcnt vmcnt(7)
	buffer_store_dword v3, v2, s[0:3], 0 offen
	s_waitcnt vmcnt(6)
	buffer_store_dword v4, v2, s[0:3], 0 offen offset:4
	s_waitcnt vmcnt(5)
	buffer_store_dword v5, v2, s[0:3], 0 offen offset:8
	;; [unrolled: 2-line block ×6, first 2 shown]
	s_waitcnt vmcnt(0)
	buffer_store_dword v10, v1, s[0:3], 0 offen
.LBB52_370:
	global_load_dword v0, v0, s[20:21] offset:128
	s_waitcnt vmcnt(0)
	v_add_nc_u32_e32 v0, -1, v0
	v_cmp_eq_u32_e32 vcc_lo, 32, v0
	s_cbranch_vccnz .LBB52_372
; %bb.371:
	v_lshlrev_b32_e32 v0, 4, v0
	v_mov_b32_e32 v1, s33
	v_add_nc_u32_e32 v0, 16, v0
	s_clause 0x7
	buffer_load_dword v2, v0, s[0:3], 0 offen
	buffer_load_dword v3, v0, s[0:3], 0 offen offset:4
	buffer_load_dword v4, v0, s[0:3], 0 offen offset:8
	;; [unrolled: 1-line block ×6, first 2 shown]
	buffer_load_dword v9, v1, s[0:3], 0 offen
	s_waitcnt vmcnt(7)
	buffer_store_dword v2, v1, s[0:3], 0 offen
	s_waitcnt vmcnt(6)
	buffer_store_dword v3, v1, s[0:3], 0 offen offset:4
	s_waitcnt vmcnt(5)
	buffer_store_dword v4, v1, s[0:3], 0 offen offset:8
	;; [unrolled: 2-line block ×6, first 2 shown]
	s_waitcnt vmcnt(0)
	buffer_store_dword v9, v0, s[0:3], 0 offen
.LBB52_372:
	v_mov_b32_e32 v0, 0
	global_load_dword v1, v0, s[20:21] offset:124
	s_waitcnt vmcnt(0)
	v_add_nc_u32_e32 v1, -1, v1
	v_cmp_eq_u32_e32 vcc_lo, 31, v1
	s_cbranch_vccnz .LBB52_374
; %bb.373:
	v_lshlrev_b32_e32 v1, 4, v1
	v_mov_b32_e32 v2, s34
	v_add_nc_u32_e32 v1, 16, v1
	s_clause 0x7
	buffer_load_dword v3, v1, s[0:3], 0 offen
	buffer_load_dword v4, v1, s[0:3], 0 offen offset:4
	buffer_load_dword v5, v1, s[0:3], 0 offen offset:8
	;; [unrolled: 1-line block ×6, first 2 shown]
	buffer_load_dword v10, v2, s[0:3], 0 offen
	s_waitcnt vmcnt(7)
	buffer_store_dword v3, v2, s[0:3], 0 offen
	s_waitcnt vmcnt(6)
	buffer_store_dword v4, v2, s[0:3], 0 offen offset:4
	s_waitcnt vmcnt(5)
	buffer_store_dword v5, v2, s[0:3], 0 offen offset:8
	;; [unrolled: 2-line block ×6, first 2 shown]
	s_waitcnt vmcnt(0)
	buffer_store_dword v10, v1, s[0:3], 0 offen
.LBB52_374:
	global_load_dword v0, v0, s[20:21] offset:120
	s_waitcnt vmcnt(0)
	v_add_nc_u32_e32 v0, -1, v0
	v_cmp_eq_u32_e32 vcc_lo, 30, v0
	s_cbranch_vccnz .LBB52_376
; %bb.375:
	v_lshlrev_b32_e32 v0, 4, v0
	v_mov_b32_e32 v1, s35
	v_add_nc_u32_e32 v0, 16, v0
	s_clause 0x7
	buffer_load_dword v2, v0, s[0:3], 0 offen
	buffer_load_dword v3, v0, s[0:3], 0 offen offset:4
	buffer_load_dword v4, v0, s[0:3], 0 offen offset:8
	;; [unrolled: 1-line block ×6, first 2 shown]
	buffer_load_dword v9, v1, s[0:3], 0 offen
	s_waitcnt vmcnt(7)
	buffer_store_dword v2, v1, s[0:3], 0 offen
	s_waitcnt vmcnt(6)
	buffer_store_dword v3, v1, s[0:3], 0 offen offset:4
	s_waitcnt vmcnt(5)
	buffer_store_dword v4, v1, s[0:3], 0 offen offset:8
	;; [unrolled: 2-line block ×6, first 2 shown]
	s_waitcnt vmcnt(0)
	buffer_store_dword v9, v0, s[0:3], 0 offen
.LBB52_376:
	v_mov_b32_e32 v0, 0
	global_load_dword v1, v0, s[20:21] offset:116
	s_waitcnt vmcnt(0)
	v_add_nc_u32_e32 v1, -1, v1
	v_cmp_eq_u32_e32 vcc_lo, 29, v1
	s_cbranch_vccnz .LBB52_378
; %bb.377:
	v_lshlrev_b32_e32 v1, 4, v1
	v_mov_b32_e32 v2, s36
	v_add_nc_u32_e32 v1, 16, v1
	s_clause 0x7
	buffer_load_dword v3, v1, s[0:3], 0 offen
	buffer_load_dword v4, v1, s[0:3], 0 offen offset:4
	buffer_load_dword v5, v1, s[0:3], 0 offen offset:8
	;; [unrolled: 1-line block ×6, first 2 shown]
	buffer_load_dword v10, v2, s[0:3], 0 offen
	s_waitcnt vmcnt(7)
	buffer_store_dword v3, v2, s[0:3], 0 offen
	s_waitcnt vmcnt(6)
	buffer_store_dword v4, v2, s[0:3], 0 offen offset:4
	s_waitcnt vmcnt(5)
	buffer_store_dword v5, v2, s[0:3], 0 offen offset:8
	s_waitcnt vmcnt(4)
	buffer_store_dword v6, v2, s[0:3], 0 offen offset:12
	s_waitcnt vmcnt(3)
	buffer_store_dword v7, v1, s[0:3], 0 offen offset:12
	s_waitcnt vmcnt(2)
	buffer_store_dword v8, v1, s[0:3], 0 offen offset:8
	s_waitcnt vmcnt(1)
	buffer_store_dword v9, v1, s[0:3], 0 offen offset:4
	s_waitcnt vmcnt(0)
	buffer_store_dword v10, v1, s[0:3], 0 offen
.LBB52_378:
	global_load_dword v0, v0, s[20:21] offset:112
	s_waitcnt vmcnt(0)
	v_add_nc_u32_e32 v0, -1, v0
	v_cmp_eq_u32_e32 vcc_lo, 28, v0
	s_cbranch_vccnz .LBB52_380
; %bb.379:
	v_lshlrev_b32_e32 v0, 4, v0
	v_mov_b32_e32 v1, s37
	v_add_nc_u32_e32 v0, 16, v0
	s_clause 0x7
	buffer_load_dword v2, v0, s[0:3], 0 offen
	buffer_load_dword v3, v0, s[0:3], 0 offen offset:4
	buffer_load_dword v4, v0, s[0:3], 0 offen offset:8
	;; [unrolled: 1-line block ×6, first 2 shown]
	buffer_load_dword v9, v1, s[0:3], 0 offen
	s_waitcnt vmcnt(7)
	buffer_store_dword v2, v1, s[0:3], 0 offen
	s_waitcnt vmcnt(6)
	buffer_store_dword v3, v1, s[0:3], 0 offen offset:4
	s_waitcnt vmcnt(5)
	buffer_store_dword v4, v1, s[0:3], 0 offen offset:8
	;; [unrolled: 2-line block ×6, first 2 shown]
	s_waitcnt vmcnt(0)
	buffer_store_dword v9, v0, s[0:3], 0 offen
.LBB52_380:
	v_mov_b32_e32 v0, 0
	global_load_dword v1, v0, s[20:21] offset:108
	s_waitcnt vmcnt(0)
	v_add_nc_u32_e32 v1, -1, v1
	v_cmp_eq_u32_e32 vcc_lo, 27, v1
	s_cbranch_vccnz .LBB52_382
; %bb.381:
	v_lshlrev_b32_e32 v1, 4, v1
	v_mov_b32_e32 v2, s38
	v_add_nc_u32_e32 v1, 16, v1
	s_clause 0x7
	buffer_load_dword v3, v1, s[0:3], 0 offen
	buffer_load_dword v4, v1, s[0:3], 0 offen offset:4
	buffer_load_dword v5, v1, s[0:3], 0 offen offset:8
	;; [unrolled: 1-line block ×6, first 2 shown]
	buffer_load_dword v10, v2, s[0:3], 0 offen
	s_waitcnt vmcnt(7)
	buffer_store_dword v3, v2, s[0:3], 0 offen
	s_waitcnt vmcnt(6)
	buffer_store_dword v4, v2, s[0:3], 0 offen offset:4
	s_waitcnt vmcnt(5)
	buffer_store_dword v5, v2, s[0:3], 0 offen offset:8
	;; [unrolled: 2-line block ×6, first 2 shown]
	s_waitcnt vmcnt(0)
	buffer_store_dword v10, v1, s[0:3], 0 offen
.LBB52_382:
	global_load_dword v0, v0, s[20:21] offset:104
	s_waitcnt vmcnt(0)
	v_add_nc_u32_e32 v0, -1, v0
	v_cmp_eq_u32_e32 vcc_lo, 26, v0
	s_cbranch_vccnz .LBB52_384
; %bb.383:
	v_lshlrev_b32_e32 v0, 4, v0
	v_mov_b32_e32 v1, s39
	v_add_nc_u32_e32 v0, 16, v0
	s_clause 0x7
	buffer_load_dword v2, v0, s[0:3], 0 offen
	buffer_load_dword v3, v0, s[0:3], 0 offen offset:4
	buffer_load_dword v4, v0, s[0:3], 0 offen offset:8
	;; [unrolled: 1-line block ×6, first 2 shown]
	buffer_load_dword v9, v1, s[0:3], 0 offen
	s_waitcnt vmcnt(7)
	buffer_store_dword v2, v1, s[0:3], 0 offen
	s_waitcnt vmcnt(6)
	buffer_store_dword v3, v1, s[0:3], 0 offen offset:4
	s_waitcnt vmcnt(5)
	buffer_store_dword v4, v1, s[0:3], 0 offen offset:8
	;; [unrolled: 2-line block ×6, first 2 shown]
	s_waitcnt vmcnt(0)
	buffer_store_dword v9, v0, s[0:3], 0 offen
.LBB52_384:
	v_mov_b32_e32 v0, 0
	global_load_dword v1, v0, s[20:21] offset:100
	s_waitcnt vmcnt(0)
	v_add_nc_u32_e32 v1, -1, v1
	v_cmp_eq_u32_e32 vcc_lo, 25, v1
	s_cbranch_vccnz .LBB52_386
; %bb.385:
	v_lshlrev_b32_e32 v1, 4, v1
	v_mov_b32_e32 v2, s40
	v_add_nc_u32_e32 v1, 16, v1
	s_clause 0x7
	buffer_load_dword v3, v1, s[0:3], 0 offen
	buffer_load_dword v4, v1, s[0:3], 0 offen offset:4
	buffer_load_dword v5, v1, s[0:3], 0 offen offset:8
	;; [unrolled: 1-line block ×6, first 2 shown]
	buffer_load_dword v10, v2, s[0:3], 0 offen
	s_waitcnt vmcnt(7)
	buffer_store_dword v3, v2, s[0:3], 0 offen
	s_waitcnt vmcnt(6)
	buffer_store_dword v4, v2, s[0:3], 0 offen offset:4
	s_waitcnt vmcnt(5)
	buffer_store_dword v5, v2, s[0:3], 0 offen offset:8
	s_waitcnt vmcnt(4)
	buffer_store_dword v6, v2, s[0:3], 0 offen offset:12
	s_waitcnt vmcnt(3)
	buffer_store_dword v7, v1, s[0:3], 0 offen offset:12
	s_waitcnt vmcnt(2)
	buffer_store_dword v8, v1, s[0:3], 0 offen offset:8
	s_waitcnt vmcnt(1)
	buffer_store_dword v9, v1, s[0:3], 0 offen offset:4
	s_waitcnt vmcnt(0)
	buffer_store_dword v10, v1, s[0:3], 0 offen
.LBB52_386:
	global_load_dword v0, v0, s[20:21] offset:96
	s_waitcnt vmcnt(0)
	v_add_nc_u32_e32 v0, -1, v0
	v_cmp_eq_u32_e32 vcc_lo, 24, v0
	s_cbranch_vccnz .LBB52_388
; %bb.387:
	v_lshlrev_b32_e32 v0, 4, v0
	v_mov_b32_e32 v1, s41
	v_add_nc_u32_e32 v0, 16, v0
	s_clause 0x7
	buffer_load_dword v2, v0, s[0:3], 0 offen
	buffer_load_dword v3, v0, s[0:3], 0 offen offset:4
	buffer_load_dword v4, v0, s[0:3], 0 offen offset:8
	;; [unrolled: 1-line block ×6, first 2 shown]
	buffer_load_dword v9, v1, s[0:3], 0 offen
	s_waitcnt vmcnt(7)
	buffer_store_dword v2, v1, s[0:3], 0 offen
	s_waitcnt vmcnt(6)
	buffer_store_dword v3, v1, s[0:3], 0 offen offset:4
	s_waitcnt vmcnt(5)
	buffer_store_dword v4, v1, s[0:3], 0 offen offset:8
	;; [unrolled: 2-line block ×6, first 2 shown]
	s_waitcnt vmcnt(0)
	buffer_store_dword v9, v0, s[0:3], 0 offen
.LBB52_388:
	v_mov_b32_e32 v0, 0
	global_load_dword v1, v0, s[20:21] offset:92
	s_waitcnt vmcnt(0)
	v_add_nc_u32_e32 v1, -1, v1
	v_cmp_eq_u32_e32 vcc_lo, 23, v1
	s_cbranch_vccnz .LBB52_390
; %bb.389:
	v_lshlrev_b32_e32 v1, 4, v1
	v_mov_b32_e32 v2, s42
	v_add_nc_u32_e32 v1, 16, v1
	s_clause 0x7
	buffer_load_dword v3, v1, s[0:3], 0 offen
	buffer_load_dword v4, v1, s[0:3], 0 offen offset:4
	buffer_load_dword v5, v1, s[0:3], 0 offen offset:8
	;; [unrolled: 1-line block ×6, first 2 shown]
	buffer_load_dword v10, v2, s[0:3], 0 offen
	s_waitcnt vmcnt(7)
	buffer_store_dword v3, v2, s[0:3], 0 offen
	s_waitcnt vmcnt(6)
	buffer_store_dword v4, v2, s[0:3], 0 offen offset:4
	s_waitcnt vmcnt(5)
	buffer_store_dword v5, v2, s[0:3], 0 offen offset:8
	;; [unrolled: 2-line block ×6, first 2 shown]
	s_waitcnt vmcnt(0)
	buffer_store_dword v10, v1, s[0:3], 0 offen
.LBB52_390:
	global_load_dword v0, v0, s[20:21] offset:88
	s_waitcnt vmcnt(0)
	v_add_nc_u32_e32 v0, -1, v0
	v_cmp_eq_u32_e32 vcc_lo, 22, v0
	s_cbranch_vccnz .LBB52_392
; %bb.391:
	v_lshlrev_b32_e32 v0, 4, v0
	v_mov_b32_e32 v1, s43
	v_add_nc_u32_e32 v0, 16, v0
	s_clause 0x7
	buffer_load_dword v2, v0, s[0:3], 0 offen
	buffer_load_dword v3, v0, s[0:3], 0 offen offset:4
	buffer_load_dword v4, v0, s[0:3], 0 offen offset:8
	buffer_load_dword v5, v0, s[0:3], 0 offen offset:12
	buffer_load_dword v6, v1, s[0:3], 0 offen offset:12
	buffer_load_dword v7, v1, s[0:3], 0 offen offset:8
	buffer_load_dword v8, v1, s[0:3], 0 offen offset:4
	buffer_load_dword v9, v1, s[0:3], 0 offen
	s_waitcnt vmcnt(7)
	buffer_store_dword v2, v1, s[0:3], 0 offen
	s_waitcnt vmcnt(6)
	buffer_store_dword v3, v1, s[0:3], 0 offen offset:4
	s_waitcnt vmcnt(5)
	buffer_store_dword v4, v1, s[0:3], 0 offen offset:8
	;; [unrolled: 2-line block ×6, first 2 shown]
	s_waitcnt vmcnt(0)
	buffer_store_dword v9, v0, s[0:3], 0 offen
.LBB52_392:
	v_mov_b32_e32 v0, 0
	global_load_dword v1, v0, s[20:21] offset:84
	s_waitcnt vmcnt(0)
	v_add_nc_u32_e32 v1, -1, v1
	v_cmp_eq_u32_e32 vcc_lo, 21, v1
	s_cbranch_vccnz .LBB52_394
; %bb.393:
	v_lshlrev_b32_e32 v1, 4, v1
	v_mov_b32_e32 v2, s44
	v_add_nc_u32_e32 v1, 16, v1
	s_clause 0x7
	buffer_load_dword v3, v1, s[0:3], 0 offen
	buffer_load_dword v4, v1, s[0:3], 0 offen offset:4
	buffer_load_dword v5, v1, s[0:3], 0 offen offset:8
	;; [unrolled: 1-line block ×6, first 2 shown]
	buffer_load_dword v10, v2, s[0:3], 0 offen
	s_waitcnt vmcnt(7)
	buffer_store_dword v3, v2, s[0:3], 0 offen
	s_waitcnt vmcnt(6)
	buffer_store_dword v4, v2, s[0:3], 0 offen offset:4
	s_waitcnt vmcnt(5)
	buffer_store_dword v5, v2, s[0:3], 0 offen offset:8
	;; [unrolled: 2-line block ×6, first 2 shown]
	s_waitcnt vmcnt(0)
	buffer_store_dword v10, v1, s[0:3], 0 offen
.LBB52_394:
	global_load_dword v0, v0, s[20:21] offset:80
	s_waitcnt vmcnt(0)
	v_add_nc_u32_e32 v0, -1, v0
	v_cmp_eq_u32_e32 vcc_lo, 20, v0
	s_cbranch_vccnz .LBB52_396
; %bb.395:
	v_lshlrev_b32_e32 v0, 4, v0
	v_mov_b32_e32 v1, s45
	v_add_nc_u32_e32 v0, 16, v0
	s_clause 0x7
	buffer_load_dword v2, v0, s[0:3], 0 offen
	buffer_load_dword v3, v0, s[0:3], 0 offen offset:4
	buffer_load_dword v4, v0, s[0:3], 0 offen offset:8
	;; [unrolled: 1-line block ×6, first 2 shown]
	buffer_load_dword v9, v1, s[0:3], 0 offen
	s_waitcnt vmcnt(7)
	buffer_store_dword v2, v1, s[0:3], 0 offen
	s_waitcnt vmcnt(6)
	buffer_store_dword v3, v1, s[0:3], 0 offen offset:4
	s_waitcnt vmcnt(5)
	buffer_store_dword v4, v1, s[0:3], 0 offen offset:8
	;; [unrolled: 2-line block ×6, first 2 shown]
	s_waitcnt vmcnt(0)
	buffer_store_dword v9, v0, s[0:3], 0 offen
.LBB52_396:
	v_mov_b32_e32 v0, 0
	global_load_dword v1, v0, s[20:21] offset:76
	s_waitcnt vmcnt(0)
	v_add_nc_u32_e32 v1, -1, v1
	v_cmp_eq_u32_e32 vcc_lo, 19, v1
	s_cbranch_vccnz .LBB52_398
; %bb.397:
	v_lshlrev_b32_e32 v1, 4, v1
	v_mov_b32_e32 v2, s46
	v_add_nc_u32_e32 v1, 16, v1
	s_clause 0x7
	buffer_load_dword v3, v1, s[0:3], 0 offen
	buffer_load_dword v4, v1, s[0:3], 0 offen offset:4
	buffer_load_dword v5, v1, s[0:3], 0 offen offset:8
	;; [unrolled: 1-line block ×6, first 2 shown]
	buffer_load_dword v10, v2, s[0:3], 0 offen
	s_waitcnt vmcnt(7)
	buffer_store_dword v3, v2, s[0:3], 0 offen
	s_waitcnt vmcnt(6)
	buffer_store_dword v4, v2, s[0:3], 0 offen offset:4
	s_waitcnt vmcnt(5)
	buffer_store_dword v5, v2, s[0:3], 0 offen offset:8
	;; [unrolled: 2-line block ×6, first 2 shown]
	s_waitcnt vmcnt(0)
	buffer_store_dword v10, v1, s[0:3], 0 offen
.LBB52_398:
	global_load_dword v0, v0, s[20:21] offset:72
	s_waitcnt vmcnt(0)
	v_add_nc_u32_e32 v0, -1, v0
	v_cmp_eq_u32_e32 vcc_lo, 18, v0
	s_cbranch_vccnz .LBB52_400
; %bb.399:
	v_lshlrev_b32_e32 v0, 4, v0
	v_mov_b32_e32 v1, s47
	v_add_nc_u32_e32 v0, 16, v0
	s_clause 0x7
	buffer_load_dword v2, v0, s[0:3], 0 offen
	buffer_load_dword v3, v0, s[0:3], 0 offen offset:4
	buffer_load_dword v4, v0, s[0:3], 0 offen offset:8
	;; [unrolled: 1-line block ×6, first 2 shown]
	buffer_load_dword v9, v1, s[0:3], 0 offen
	s_waitcnt vmcnt(7)
	buffer_store_dword v2, v1, s[0:3], 0 offen
	s_waitcnt vmcnt(6)
	buffer_store_dword v3, v1, s[0:3], 0 offen offset:4
	s_waitcnt vmcnt(5)
	buffer_store_dword v4, v1, s[0:3], 0 offen offset:8
	;; [unrolled: 2-line block ×6, first 2 shown]
	s_waitcnt vmcnt(0)
	buffer_store_dword v9, v0, s[0:3], 0 offen
.LBB52_400:
	v_mov_b32_e32 v0, 0
	global_load_dword v1, v0, s[20:21] offset:68
	s_waitcnt vmcnt(0)
	v_add_nc_u32_e32 v1, -1, v1
	v_cmp_eq_u32_e32 vcc_lo, 17, v1
	s_cbranch_vccnz .LBB52_402
; %bb.401:
	v_lshlrev_b32_e32 v1, 4, v1
	v_mov_b32_e32 v2, s48
	v_add_nc_u32_e32 v1, 16, v1
	s_clause 0x7
	buffer_load_dword v3, v1, s[0:3], 0 offen
	buffer_load_dword v4, v1, s[0:3], 0 offen offset:4
	buffer_load_dword v5, v1, s[0:3], 0 offen offset:8
	;; [unrolled: 1-line block ×6, first 2 shown]
	buffer_load_dword v10, v2, s[0:3], 0 offen
	s_waitcnt vmcnt(7)
	buffer_store_dword v3, v2, s[0:3], 0 offen
	s_waitcnt vmcnt(6)
	buffer_store_dword v4, v2, s[0:3], 0 offen offset:4
	s_waitcnt vmcnt(5)
	buffer_store_dword v5, v2, s[0:3], 0 offen offset:8
	;; [unrolled: 2-line block ×6, first 2 shown]
	s_waitcnt vmcnt(0)
	buffer_store_dword v10, v1, s[0:3], 0 offen
.LBB52_402:
	global_load_dword v0, v0, s[20:21] offset:64
	s_waitcnt vmcnt(0)
	v_add_nc_u32_e32 v0, -1, v0
	v_cmp_eq_u32_e32 vcc_lo, 16, v0
	s_cbranch_vccnz .LBB52_404
; %bb.403:
	v_lshlrev_b32_e32 v0, 4, v0
	v_mov_b32_e32 v1, s49
	v_add_nc_u32_e32 v0, 16, v0
	s_clause 0x7
	buffer_load_dword v2, v0, s[0:3], 0 offen
	buffer_load_dword v3, v0, s[0:3], 0 offen offset:4
	buffer_load_dword v4, v0, s[0:3], 0 offen offset:8
	;; [unrolled: 1-line block ×6, first 2 shown]
	buffer_load_dword v9, v1, s[0:3], 0 offen
	s_waitcnt vmcnt(7)
	buffer_store_dword v2, v1, s[0:3], 0 offen
	s_waitcnt vmcnt(6)
	buffer_store_dword v3, v1, s[0:3], 0 offen offset:4
	s_waitcnt vmcnt(5)
	buffer_store_dword v4, v1, s[0:3], 0 offen offset:8
	;; [unrolled: 2-line block ×6, first 2 shown]
	s_waitcnt vmcnt(0)
	buffer_store_dword v9, v0, s[0:3], 0 offen
.LBB52_404:
	v_mov_b32_e32 v0, 0
	global_load_dword v1, v0, s[20:21] offset:60
	s_waitcnt vmcnt(0)
	v_add_nc_u32_e32 v1, -1, v1
	v_cmp_eq_u32_e32 vcc_lo, 15, v1
	s_cbranch_vccnz .LBB52_406
; %bb.405:
	v_lshlrev_b32_e32 v1, 4, v1
	v_mov_b32_e32 v2, s50
	v_add_nc_u32_e32 v1, 16, v1
	s_clause 0x7
	buffer_load_dword v3, v1, s[0:3], 0 offen
	buffer_load_dword v4, v1, s[0:3], 0 offen offset:4
	buffer_load_dword v5, v1, s[0:3], 0 offen offset:8
	;; [unrolled: 1-line block ×6, first 2 shown]
	buffer_load_dword v10, v2, s[0:3], 0 offen
	s_waitcnt vmcnt(7)
	buffer_store_dword v3, v2, s[0:3], 0 offen
	s_waitcnt vmcnt(6)
	buffer_store_dword v4, v2, s[0:3], 0 offen offset:4
	s_waitcnt vmcnt(5)
	buffer_store_dword v5, v2, s[0:3], 0 offen offset:8
	;; [unrolled: 2-line block ×6, first 2 shown]
	s_waitcnt vmcnt(0)
	buffer_store_dword v10, v1, s[0:3], 0 offen
.LBB52_406:
	global_load_dword v0, v0, s[20:21] offset:56
	s_waitcnt vmcnt(0)
	v_add_nc_u32_e32 v0, -1, v0
	v_cmp_eq_u32_e32 vcc_lo, 14, v0
	s_cbranch_vccnz .LBB52_408
; %bb.407:
	v_lshlrev_b32_e32 v0, 4, v0
	v_mov_b32_e32 v1, s51
	v_add_nc_u32_e32 v0, 16, v0
	s_clause 0x7
	buffer_load_dword v2, v0, s[0:3], 0 offen
	buffer_load_dword v3, v0, s[0:3], 0 offen offset:4
	buffer_load_dword v4, v0, s[0:3], 0 offen offset:8
	;; [unrolled: 1-line block ×6, first 2 shown]
	buffer_load_dword v9, v1, s[0:3], 0 offen
	s_waitcnt vmcnt(7)
	buffer_store_dword v2, v1, s[0:3], 0 offen
	s_waitcnt vmcnt(6)
	buffer_store_dword v3, v1, s[0:3], 0 offen offset:4
	s_waitcnt vmcnt(5)
	buffer_store_dword v4, v1, s[0:3], 0 offen offset:8
	;; [unrolled: 2-line block ×6, first 2 shown]
	s_waitcnt vmcnt(0)
	buffer_store_dword v9, v0, s[0:3], 0 offen
.LBB52_408:
	v_mov_b32_e32 v0, 0
	global_load_dword v1, v0, s[20:21] offset:52
	s_waitcnt vmcnt(0)
	v_add_nc_u32_e32 v1, -1, v1
	v_cmp_eq_u32_e32 vcc_lo, 13, v1
	s_cbranch_vccnz .LBB52_410
; %bb.409:
	v_lshlrev_b32_e32 v1, 4, v1
	v_mov_b32_e32 v2, s52
	v_add_nc_u32_e32 v1, 16, v1
	s_clause 0x7
	buffer_load_dword v3, v1, s[0:3], 0 offen
	buffer_load_dword v4, v1, s[0:3], 0 offen offset:4
	buffer_load_dword v5, v1, s[0:3], 0 offen offset:8
	;; [unrolled: 1-line block ×6, first 2 shown]
	buffer_load_dword v10, v2, s[0:3], 0 offen
	s_waitcnt vmcnt(7)
	buffer_store_dword v3, v2, s[0:3], 0 offen
	s_waitcnt vmcnt(6)
	buffer_store_dword v4, v2, s[0:3], 0 offen offset:4
	s_waitcnt vmcnt(5)
	buffer_store_dword v5, v2, s[0:3], 0 offen offset:8
	;; [unrolled: 2-line block ×6, first 2 shown]
	s_waitcnt vmcnt(0)
	buffer_store_dword v10, v1, s[0:3], 0 offen
.LBB52_410:
	global_load_dword v0, v0, s[20:21] offset:48
	s_waitcnt vmcnt(0)
	v_add_nc_u32_e32 v0, -1, v0
	v_cmp_eq_u32_e32 vcc_lo, 12, v0
	s_cbranch_vccnz .LBB52_412
; %bb.411:
	v_lshlrev_b32_e32 v0, 4, v0
	v_mov_b32_e32 v1, s53
	v_add_nc_u32_e32 v0, 16, v0
	s_clause 0x7
	buffer_load_dword v2, v0, s[0:3], 0 offen
	buffer_load_dword v3, v0, s[0:3], 0 offen offset:4
	buffer_load_dword v4, v0, s[0:3], 0 offen offset:8
	;; [unrolled: 1-line block ×6, first 2 shown]
	buffer_load_dword v9, v1, s[0:3], 0 offen
	s_waitcnt vmcnt(7)
	buffer_store_dword v2, v1, s[0:3], 0 offen
	s_waitcnt vmcnt(6)
	buffer_store_dword v3, v1, s[0:3], 0 offen offset:4
	s_waitcnt vmcnt(5)
	buffer_store_dword v4, v1, s[0:3], 0 offen offset:8
	;; [unrolled: 2-line block ×6, first 2 shown]
	s_waitcnt vmcnt(0)
	buffer_store_dword v9, v0, s[0:3], 0 offen
.LBB52_412:
	v_mov_b32_e32 v0, 0
	global_load_dword v1, v0, s[20:21] offset:44
	s_waitcnt vmcnt(0)
	v_add_nc_u32_e32 v1, -1, v1
	v_cmp_eq_u32_e32 vcc_lo, 11, v1
	s_cbranch_vccnz .LBB52_414
; %bb.413:
	v_lshlrev_b32_e32 v1, 4, v1
	v_mov_b32_e32 v2, s54
	v_add_nc_u32_e32 v1, 16, v1
	s_clause 0x7
	buffer_load_dword v3, v1, s[0:3], 0 offen
	buffer_load_dword v4, v1, s[0:3], 0 offen offset:4
	buffer_load_dword v5, v1, s[0:3], 0 offen offset:8
	;; [unrolled: 1-line block ×6, first 2 shown]
	buffer_load_dword v10, v2, s[0:3], 0 offen
	s_waitcnt vmcnt(7)
	buffer_store_dword v3, v2, s[0:3], 0 offen
	s_waitcnt vmcnt(6)
	buffer_store_dword v4, v2, s[0:3], 0 offen offset:4
	s_waitcnt vmcnt(5)
	buffer_store_dword v5, v2, s[0:3], 0 offen offset:8
	s_waitcnt vmcnt(4)
	buffer_store_dword v6, v2, s[0:3], 0 offen offset:12
	s_waitcnt vmcnt(3)
	buffer_store_dword v7, v1, s[0:3], 0 offen offset:12
	s_waitcnt vmcnt(2)
	buffer_store_dword v8, v1, s[0:3], 0 offen offset:8
	s_waitcnt vmcnt(1)
	buffer_store_dword v9, v1, s[0:3], 0 offen offset:4
	s_waitcnt vmcnt(0)
	buffer_store_dword v10, v1, s[0:3], 0 offen
.LBB52_414:
	global_load_dword v0, v0, s[20:21] offset:40
	s_waitcnt vmcnt(0)
	v_add_nc_u32_e32 v0, -1, v0
	v_cmp_eq_u32_e32 vcc_lo, 10, v0
	s_cbranch_vccnz .LBB52_416
; %bb.415:
	v_lshlrev_b32_e32 v0, 4, v0
	v_mov_b32_e32 v1, s55
	v_add_nc_u32_e32 v0, 16, v0
	s_clause 0x7
	buffer_load_dword v2, v0, s[0:3], 0 offen
	buffer_load_dword v3, v0, s[0:3], 0 offen offset:4
	buffer_load_dword v4, v0, s[0:3], 0 offen offset:8
	;; [unrolled: 1-line block ×6, first 2 shown]
	buffer_load_dword v9, v1, s[0:3], 0 offen
	s_waitcnt vmcnt(7)
	buffer_store_dword v2, v1, s[0:3], 0 offen
	s_waitcnt vmcnt(6)
	buffer_store_dword v3, v1, s[0:3], 0 offen offset:4
	s_waitcnt vmcnt(5)
	buffer_store_dword v4, v1, s[0:3], 0 offen offset:8
	;; [unrolled: 2-line block ×6, first 2 shown]
	s_waitcnt vmcnt(0)
	buffer_store_dword v9, v0, s[0:3], 0 offen
.LBB52_416:
	v_mov_b32_e32 v0, 0
	global_load_dword v1, v0, s[20:21] offset:36
	s_waitcnt vmcnt(0)
	v_add_nc_u32_e32 v1, -1, v1
	v_cmp_eq_u32_e32 vcc_lo, 9, v1
	s_cbranch_vccnz .LBB52_418
; %bb.417:
	v_lshlrev_b32_e32 v1, 4, v1
	v_mov_b32_e32 v2, s56
	v_add_nc_u32_e32 v1, 16, v1
	s_clause 0x7
	buffer_load_dword v3, v1, s[0:3], 0 offen
	buffer_load_dword v4, v1, s[0:3], 0 offen offset:4
	buffer_load_dword v5, v1, s[0:3], 0 offen offset:8
	buffer_load_dword v6, v1, s[0:3], 0 offen offset:12
	buffer_load_dword v7, v2, s[0:3], 0 offen offset:12
	buffer_load_dword v8, v2, s[0:3], 0 offen offset:8
	buffer_load_dword v9, v2, s[0:3], 0 offen offset:4
	buffer_load_dword v10, v2, s[0:3], 0 offen
	s_waitcnt vmcnt(7)
	buffer_store_dword v3, v2, s[0:3], 0 offen
	s_waitcnt vmcnt(6)
	buffer_store_dword v4, v2, s[0:3], 0 offen offset:4
	s_waitcnt vmcnt(5)
	buffer_store_dword v5, v2, s[0:3], 0 offen offset:8
	;; [unrolled: 2-line block ×6, first 2 shown]
	s_waitcnt vmcnt(0)
	buffer_store_dword v10, v1, s[0:3], 0 offen
.LBB52_418:
	global_load_dword v0, v0, s[20:21] offset:32
	s_waitcnt vmcnt(0)
	v_add_nc_u32_e32 v0, -1, v0
	v_cmp_eq_u32_e32 vcc_lo, 8, v0
	s_cbranch_vccnz .LBB52_420
; %bb.419:
	v_lshlrev_b32_e32 v0, 4, v0
	v_mov_b32_e32 v1, s57
	v_add_nc_u32_e32 v0, 16, v0
	s_clause 0x7
	buffer_load_dword v2, v0, s[0:3], 0 offen
	buffer_load_dword v3, v0, s[0:3], 0 offen offset:4
	buffer_load_dword v4, v0, s[0:3], 0 offen offset:8
	;; [unrolled: 1-line block ×6, first 2 shown]
	buffer_load_dword v9, v1, s[0:3], 0 offen
	s_waitcnt vmcnt(7)
	buffer_store_dword v2, v1, s[0:3], 0 offen
	s_waitcnt vmcnt(6)
	buffer_store_dword v3, v1, s[0:3], 0 offen offset:4
	s_waitcnt vmcnt(5)
	buffer_store_dword v4, v1, s[0:3], 0 offen offset:8
	;; [unrolled: 2-line block ×6, first 2 shown]
	s_waitcnt vmcnt(0)
	buffer_store_dword v9, v0, s[0:3], 0 offen
.LBB52_420:
	v_mov_b32_e32 v0, 0
	global_load_dword v1, v0, s[20:21] offset:28
	s_waitcnt vmcnt(0)
	v_add_nc_u32_e32 v1, -1, v1
	v_cmp_eq_u32_e32 vcc_lo, 7, v1
	s_cbranch_vccnz .LBB52_422
; %bb.421:
	v_lshlrev_b32_e32 v1, 4, v1
	v_mov_b32_e32 v2, s58
	v_add_nc_u32_e32 v1, 16, v1
	s_clause 0x7
	buffer_load_dword v3, v1, s[0:3], 0 offen
	buffer_load_dword v4, v1, s[0:3], 0 offen offset:4
	buffer_load_dword v5, v1, s[0:3], 0 offen offset:8
	;; [unrolled: 1-line block ×6, first 2 shown]
	buffer_load_dword v10, v2, s[0:3], 0 offen
	s_waitcnt vmcnt(7)
	buffer_store_dword v3, v2, s[0:3], 0 offen
	s_waitcnt vmcnt(6)
	buffer_store_dword v4, v2, s[0:3], 0 offen offset:4
	s_waitcnt vmcnt(5)
	buffer_store_dword v5, v2, s[0:3], 0 offen offset:8
	;; [unrolled: 2-line block ×6, first 2 shown]
	s_waitcnt vmcnt(0)
	buffer_store_dword v10, v1, s[0:3], 0 offen
.LBB52_422:
	global_load_dword v0, v0, s[20:21] offset:24
	s_waitcnt vmcnt(0)
	v_add_nc_u32_e32 v0, -1, v0
	v_cmp_eq_u32_e32 vcc_lo, 6, v0
	s_cbranch_vccnz .LBB52_424
; %bb.423:
	v_lshlrev_b32_e32 v0, 4, v0
	v_mov_b32_e32 v1, s59
	v_add_nc_u32_e32 v0, 16, v0
	s_clause 0x7
	buffer_load_dword v2, v0, s[0:3], 0 offen
	buffer_load_dword v3, v0, s[0:3], 0 offen offset:4
	buffer_load_dword v4, v0, s[0:3], 0 offen offset:8
	;; [unrolled: 1-line block ×6, first 2 shown]
	buffer_load_dword v9, v1, s[0:3], 0 offen
	s_waitcnt vmcnt(7)
	buffer_store_dword v2, v1, s[0:3], 0 offen
	s_waitcnt vmcnt(6)
	buffer_store_dword v3, v1, s[0:3], 0 offen offset:4
	s_waitcnt vmcnt(5)
	buffer_store_dword v4, v1, s[0:3], 0 offen offset:8
	;; [unrolled: 2-line block ×6, first 2 shown]
	s_waitcnt vmcnt(0)
	buffer_store_dword v9, v0, s[0:3], 0 offen
.LBB52_424:
	v_mov_b32_e32 v0, 0
	global_load_dword v1, v0, s[20:21] offset:20
	s_waitcnt vmcnt(0)
	v_add_nc_u32_e32 v1, -1, v1
	v_cmp_eq_u32_e32 vcc_lo, 5, v1
	s_cbranch_vccnz .LBB52_426
; %bb.425:
	v_lshlrev_b32_e32 v1, 4, v1
	v_mov_b32_e32 v2, s60
	v_add_nc_u32_e32 v1, 16, v1
	s_clause 0x7
	buffer_load_dword v3, v1, s[0:3], 0 offen
	buffer_load_dword v4, v1, s[0:3], 0 offen offset:4
	buffer_load_dword v5, v1, s[0:3], 0 offen offset:8
	;; [unrolled: 1-line block ×6, first 2 shown]
	buffer_load_dword v10, v2, s[0:3], 0 offen
	s_waitcnt vmcnt(7)
	buffer_store_dword v3, v2, s[0:3], 0 offen
	s_waitcnt vmcnt(6)
	buffer_store_dword v4, v2, s[0:3], 0 offen offset:4
	s_waitcnt vmcnt(5)
	buffer_store_dword v5, v2, s[0:3], 0 offen offset:8
	;; [unrolled: 2-line block ×6, first 2 shown]
	s_waitcnt vmcnt(0)
	buffer_store_dword v10, v1, s[0:3], 0 offen
.LBB52_426:
	global_load_dword v0, v0, s[20:21] offset:16
	s_waitcnt vmcnt(0)
	v_add_nc_u32_e32 v0, -1, v0
	v_cmp_eq_u32_e32 vcc_lo, 4, v0
	s_cbranch_vccnz .LBB52_428
; %bb.427:
	v_lshlrev_b32_e32 v0, 4, v0
	v_mov_b32_e32 v1, s61
	v_add_nc_u32_e32 v0, 16, v0
	s_clause 0x7
	buffer_load_dword v2, v0, s[0:3], 0 offen
	buffer_load_dword v3, v0, s[0:3], 0 offen offset:4
	buffer_load_dword v4, v0, s[0:3], 0 offen offset:8
	;; [unrolled: 1-line block ×6, first 2 shown]
	buffer_load_dword v9, v1, s[0:3], 0 offen
	s_waitcnt vmcnt(7)
	buffer_store_dword v2, v1, s[0:3], 0 offen
	s_waitcnt vmcnt(6)
	buffer_store_dword v3, v1, s[0:3], 0 offen offset:4
	s_waitcnt vmcnt(5)
	buffer_store_dword v4, v1, s[0:3], 0 offen offset:8
	;; [unrolled: 2-line block ×6, first 2 shown]
	s_waitcnt vmcnt(0)
	buffer_store_dword v9, v0, s[0:3], 0 offen
.LBB52_428:
	v_mov_b32_e32 v0, 0
	global_load_dword v1, v0, s[20:21] offset:12
	s_waitcnt vmcnt(0)
	v_add_nc_u32_e32 v1, -1, v1
	v_cmp_eq_u32_e32 vcc_lo, 3, v1
	s_cbranch_vccnz .LBB52_430
; %bb.429:
	v_lshlrev_b32_e32 v1, 4, v1
	v_mov_b32_e32 v2, s62
	v_add_nc_u32_e32 v1, 16, v1
	s_clause 0x7
	buffer_load_dword v3, v1, s[0:3], 0 offen
	buffer_load_dword v4, v1, s[0:3], 0 offen offset:4
	buffer_load_dword v5, v1, s[0:3], 0 offen offset:8
	;; [unrolled: 1-line block ×6, first 2 shown]
	buffer_load_dword v10, v2, s[0:3], 0 offen
	s_waitcnt vmcnt(7)
	buffer_store_dword v3, v2, s[0:3], 0 offen
	s_waitcnt vmcnt(6)
	buffer_store_dword v4, v2, s[0:3], 0 offen offset:4
	s_waitcnt vmcnt(5)
	buffer_store_dword v5, v2, s[0:3], 0 offen offset:8
	;; [unrolled: 2-line block ×6, first 2 shown]
	s_waitcnt vmcnt(0)
	buffer_store_dword v10, v1, s[0:3], 0 offen
.LBB52_430:
	global_load_dword v0, v0, s[20:21] offset:8
	s_waitcnt vmcnt(0)
	v_add_nc_u32_e32 v0, -1, v0
	v_cmp_eq_u32_e32 vcc_lo, 2, v0
	s_cbranch_vccnz .LBB52_432
; %bb.431:
	v_lshlrev_b32_e32 v0, 4, v0
	v_mov_b32_e32 v1, s63
	v_add_nc_u32_e32 v0, 16, v0
	s_clause 0x7
	buffer_load_dword v2, v0, s[0:3], 0 offen
	buffer_load_dword v3, v0, s[0:3], 0 offen offset:4
	buffer_load_dword v4, v0, s[0:3], 0 offen offset:8
	;; [unrolled: 1-line block ×6, first 2 shown]
	buffer_load_dword v9, v1, s[0:3], 0 offen
	s_waitcnt vmcnt(7)
	buffer_store_dword v2, v1, s[0:3], 0 offen
	s_waitcnt vmcnt(6)
	buffer_store_dword v3, v1, s[0:3], 0 offen offset:4
	s_waitcnt vmcnt(5)
	buffer_store_dword v4, v1, s[0:3], 0 offen offset:8
	;; [unrolled: 2-line block ×6, first 2 shown]
	s_waitcnt vmcnt(0)
	buffer_store_dword v9, v0, s[0:3], 0 offen
.LBB52_432:
	v_mov_b32_e32 v0, 0
	global_load_dword v1, v0, s[20:21] offset:4
	s_waitcnt vmcnt(0)
	v_add_nc_u32_e32 v1, -1, v1
	v_cmp_eq_u32_e32 vcc_lo, 1, v1
	s_cbranch_vccnz .LBB52_434
; %bb.433:
	v_lshlrev_b32_e32 v1, 4, v1
	v_mov_b32_e32 v2, s64
	v_add_nc_u32_e32 v1, 16, v1
	s_clause 0x7
	buffer_load_dword v3, v1, s[0:3], 0 offen
	buffer_load_dword v4, v1, s[0:3], 0 offen offset:4
	buffer_load_dword v5, v1, s[0:3], 0 offen offset:8
	;; [unrolled: 1-line block ×6, first 2 shown]
	buffer_load_dword v10, v2, s[0:3], 0 offen
	s_waitcnt vmcnt(7)
	buffer_store_dword v3, v2, s[0:3], 0 offen
	s_waitcnt vmcnt(6)
	buffer_store_dword v4, v2, s[0:3], 0 offen offset:4
	s_waitcnt vmcnt(5)
	buffer_store_dword v5, v2, s[0:3], 0 offen offset:8
	;; [unrolled: 2-line block ×6, first 2 shown]
	s_waitcnt vmcnt(0)
	buffer_store_dword v10, v1, s[0:3], 0 offen
.LBB52_434:
	global_load_dword v0, v0, s[20:21]
	s_waitcnt vmcnt(0)
	v_add_nc_u32_e32 v0, -1, v0
	v_cmp_eq_u32_e32 vcc_lo, 0, v0
	s_cbranch_vccnz .LBB52_436
; %bb.435:
	v_lshlrev_b32_e32 v0, 4, v0
	v_add_nc_u32_e32 v0, 16, v0
	s_clause 0x7
	buffer_load_dword v1, v0, s[0:3], 0 offen
	buffer_load_dword v2, v0, s[0:3], 0 offen offset:4
	buffer_load_dword v3, v0, s[0:3], 0 offen offset:8
	;; [unrolled: 1-line block ×3, first 2 shown]
	buffer_load_dword v5, off, s[0:3], 0 offset:28
	buffer_load_dword v6, off, s[0:3], 0 offset:24
	;; [unrolled: 1-line block ×4, first 2 shown]
	s_waitcnt vmcnt(7)
	buffer_store_dword v1, off, s[0:3], 0 offset:16
	s_waitcnt vmcnt(6)
	buffer_store_dword v2, off, s[0:3], 0 offset:20
	;; [unrolled: 2-line block ×4, first 2 shown]
	s_waitcnt vmcnt(3)
	buffer_store_dword v5, v0, s[0:3], 0 offen offset:12
	s_waitcnt vmcnt(2)
	buffer_store_dword v6, v0, s[0:3], 0 offen offset:8
	s_waitcnt vmcnt(1)
	buffer_store_dword v7, v0, s[0:3], 0 offen offset:4
	s_waitcnt vmcnt(0)
	buffer_store_dword v8, v0, s[0:3], 0 offen
.LBB52_436:
	v_mov_b32_e32 v7, s64
	s_clause 0x3
	buffer_load_dword v0, off, s[0:3], 0 offset:16
	buffer_load_dword v1, off, s[0:3], 0 offset:20
	;; [unrolled: 1-line block ×4, first 2 shown]
	v_mov_b32_e32 v11, s63
	v_mov_b32_e32 v15, s62
	;; [unrolled: 1-line block ×3, first 2 shown]
	s_clause 0x3
	buffer_load_dword v4, v7, s[0:3], 0 offen
	buffer_load_dword v5, v7, s[0:3], 0 offen offset:4
	buffer_load_dword v6, v7, s[0:3], 0 offen offset:8
	;; [unrolled: 1-line block ×3, first 2 shown]
	v_mov_b32_e32 v23, s60
	v_mov_b32_e32 v27, s59
	;; [unrolled: 1-line block ×25, first 2 shown]
	s_clause 0x23
	buffer_load_dword v8, v11, s[0:3], 0 offen
	buffer_load_dword v9, v11, s[0:3], 0 offen offset:4
	buffer_load_dword v10, v11, s[0:3], 0 offen offset:8
	buffer_load_dword v11, v11, s[0:3], 0 offen offset:12
	buffer_load_dword v12, v15, s[0:3], 0 offen
	buffer_load_dword v13, v15, s[0:3], 0 offen offset:4
	buffer_load_dword v14, v15, s[0:3], 0 offen offset:8
	buffer_load_dword v15, v15, s[0:3], 0 offen offset:12
	;; [unrolled: 4-line block ×9, first 2 shown]
	v_mov_b32_e32 v131, s38
	v_mov_b32_e32 v132, s37
	;; [unrolled: 1-line block ×3, first 2 shown]
	s_clause 0x3e
	buffer_load_dword v48, v51, s[0:3], 0 offen
	buffer_load_dword v49, v51, s[0:3], 0 offen offset:4
	buffer_load_dword v50, v51, s[0:3], 0 offen offset:8
	buffer_load_dword v51, v51, s[0:3], 0 offen offset:12
	buffer_load_dword v65, v52, s[0:3], 0 offen
	buffer_load_dword v66, v52, s[0:3], 0 offen offset:4
	buffer_load_dword v67, v52, s[0:3], 0 offen offset:8
	buffer_load_dword v68, v52, s[0:3], 0 offen offset:12
	;; [unrolled: 4-line block ×15, first 2 shown]
	buffer_load_dword v127, v130, s[0:3], 0 offen
	buffer_load_dword v128, v130, s[0:3], 0 offen offset:4
	buffer_load_dword v129, v130, s[0:3], 0 offen offset:8
	s_clause 0xc
	buffer_load_dword v130, v130, s[0:3], 0 offen offset:12
	buffer_load_dword v135, v131, s[0:3], 0 offen
	buffer_load_dword v136, v131, s[0:3], 0 offen offset:4
	buffer_load_dword v137, v131, s[0:3], 0 offen offset:8
	buffer_load_dword v138, v131, s[0:3], 0 offen offset:12
	buffer_load_dword v217, v132, s[0:3], 0 offen
	buffer_load_dword v218, v132, s[0:3], 0 offen offset:4
	buffer_load_dword v219, v132, s[0:3], 0 offen offset:8
	;; [unrolled: 4-line block ×3, first 2 shown]
	buffer_load_dword v224, v224, s[0:3], 0 offen offset:12
	v_mov_b32_e32 v228, s31
	v_mov_b32_e32 v229, s30
	;; [unrolled: 1-line block ×20, first 2 shown]
	s_waitcnt vmcnt(62)
	global_store_dwordx4 v[133:134], v[0:3], off
	s_clause 0x7
	buffer_load_dword v0, v225, s[0:3], 0 offen
	buffer_load_dword v1, v225, s[0:3], 0 offen offset:4
	buffer_load_dword v2, v225, s[0:3], 0 offen offset:8
	;; [unrolled: 1-line block ×3, first 2 shown]
	buffer_load_dword v131, v226, s[0:3], 0 offen
	buffer_load_dword v132, v226, s[0:3], 0 offen offset:4
	buffer_load_dword v133, v226, s[0:3], 0 offen offset:8
	buffer_load_dword v134, v226, s[0:3], 0 offen offset:12
	global_store_dwordx4 v[254:255], v[4:7], off
	s_clause 0x9
	buffer_load_dword v4, v227, s[0:3], 0 offen
	buffer_load_dword v5, v227, s[0:3], 0 offen offset:4
	buffer_load_dword v6, v227, s[0:3], 0 offen offset:8
	;; [unrolled: 1-line block ×3, first 2 shown]
	buffer_load_dword v225, v228, s[0:3], 0 offen
	buffer_load_dword v226, v228, s[0:3], 0 offen offset:4
	buffer_load_dword v227, v228, s[0:3], 0 offen offset:8
	;; [unrolled: 1-line block ×3, first 2 shown]
	buffer_load_dword v230, off, s[0:3], 0 offset:864
	buffer_load_dword v231, off, s[0:3], 0 offset:868
	s_waitcnt vmcnt(0)
	global_store_dwordx4 v[230:231], v[8:11], off
	s_clause 0x7
	buffer_load_dword v8, v229, s[0:3], 0 offen
	buffer_load_dword v9, v229, s[0:3], 0 offen offset:4
	buffer_load_dword v10, v229, s[0:3], 0 offen offset:8
	buffer_load_dword v11, v229, s[0:3], 0 offen offset:12
	buffer_load_dword v229, v232, s[0:3], 0 offen
	buffer_load_dword v230, v232, s[0:3], 0 offen offset:4
	buffer_load_dword v231, v232, s[0:3], 0 offen offset:8
	buffer_load_dword v232, v232, s[0:3], 0 offen offset:12
	global_store_dwordx4 v[139:140], v[12:15], off
	s_clause 0x7
	buffer_load_dword v12, v233, s[0:3], 0 offen
	buffer_load_dword v13, v233, s[0:3], 0 offen offset:4
	buffer_load_dword v14, v233, s[0:3], 0 offen offset:8
	buffer_load_dword v15, v233, s[0:3], 0 offen offset:12
	buffer_load_dword v233, v236, s[0:3], 0 offen
	buffer_load_dword v234, v236, s[0:3], 0 offen offset:4
	buffer_load_dword v235, v236, s[0:3], 0 offen offset:8
	buffer_load_dword v236, v236, s[0:3], 0 offen offset:12
	;; [unrolled: 10-line block ×9, first 2 shown]
	buffer_load_dword v249, v253, s[0:3], 0 offen
	buffer_load_dword v250, v253, s[0:3], 0 offen offset:4
	buffer_load_dword v251, v253, s[0:3], 0 offen offset:8
	buffer_load_dword v252, v253, s[0:3], 0 offen offset:12
	global_store_dwordx4 v[155:156], v[48:51], off
	global_store_dwordx4 v[157:158], v[65:68], off
	;; [unrolled: 1-line block ×23, first 2 shown]
	s_waitcnt vmcnt(62)
	global_store_dwordx4 v[201:202], v[8:11], off
	global_store_dwordx4 v[203:204], v[229:232], off
	;; [unrolled: 1-line block ×3, first 2 shown]
	s_waitcnt vmcnt(60)
	global_store_dwordx4 v[207:208], v[233:236], off
	s_waitcnt vmcnt(56)
	global_store_dwordx4 v[209:210], v[16:19], off
	;; [unrolled: 2-line block ×16, first 2 shown]
	s_endpgm
	.section	.rodata,"a",@progbits
	.p2align	6, 0x0
	.amdhsa_kernel _ZN9rocsolver6v33100L18getri_kernel_smallILi53E19rocblas_complex_numIdEPS3_EEvT1_iilPiilS6_bb
		.amdhsa_group_segment_fixed_size 1704
		.amdhsa_private_segment_fixed_size 880
		.amdhsa_kernarg_size 60
		.amdhsa_user_sgpr_count 6
		.amdhsa_user_sgpr_private_segment_buffer 1
		.amdhsa_user_sgpr_dispatch_ptr 0
		.amdhsa_user_sgpr_queue_ptr 0
		.amdhsa_user_sgpr_kernarg_segment_ptr 1
		.amdhsa_user_sgpr_dispatch_id 0
		.amdhsa_user_sgpr_flat_scratch_init 0
		.amdhsa_user_sgpr_private_segment_size 0
		.amdhsa_wavefront_size32 1
		.amdhsa_uses_dynamic_stack 0
		.amdhsa_system_sgpr_private_segment_wavefront_offset 1
		.amdhsa_system_sgpr_workgroup_id_x 1
		.amdhsa_system_sgpr_workgroup_id_y 0
		.amdhsa_system_sgpr_workgroup_id_z 0
		.amdhsa_system_sgpr_workgroup_info 0
		.amdhsa_system_vgpr_workitem_id 0
		.amdhsa_next_free_vgpr 256
		.amdhsa_next_free_sgpr 69
		.amdhsa_reserve_vcc 1
		.amdhsa_reserve_flat_scratch 0
		.amdhsa_float_round_mode_32 0
		.amdhsa_float_round_mode_16_64 0
		.amdhsa_float_denorm_mode_32 3
		.amdhsa_float_denorm_mode_16_64 3
		.amdhsa_dx10_clamp 1
		.amdhsa_ieee_mode 1
		.amdhsa_fp16_overflow 0
		.amdhsa_workgroup_processor_mode 1
		.amdhsa_memory_ordered 1
		.amdhsa_forward_progress 1
		.amdhsa_shared_vgpr_count 0
		.amdhsa_exception_fp_ieee_invalid_op 0
		.amdhsa_exception_fp_denorm_src 0
		.amdhsa_exception_fp_ieee_div_zero 0
		.amdhsa_exception_fp_ieee_overflow 0
		.amdhsa_exception_fp_ieee_underflow 0
		.amdhsa_exception_fp_ieee_inexact 0
		.amdhsa_exception_int_div_zero 0
	.end_amdhsa_kernel
	.section	.text._ZN9rocsolver6v33100L18getri_kernel_smallILi53E19rocblas_complex_numIdEPS3_EEvT1_iilPiilS6_bb,"axG",@progbits,_ZN9rocsolver6v33100L18getri_kernel_smallILi53E19rocblas_complex_numIdEPS3_EEvT1_iilPiilS6_bb,comdat
.Lfunc_end52:
	.size	_ZN9rocsolver6v33100L18getri_kernel_smallILi53E19rocblas_complex_numIdEPS3_EEvT1_iilPiilS6_bb, .Lfunc_end52-_ZN9rocsolver6v33100L18getri_kernel_smallILi53E19rocblas_complex_numIdEPS3_EEvT1_iilPiilS6_bb
                                        ; -- End function
	.set _ZN9rocsolver6v33100L18getri_kernel_smallILi53E19rocblas_complex_numIdEPS3_EEvT1_iilPiilS6_bb.num_vgpr, 256
	.set _ZN9rocsolver6v33100L18getri_kernel_smallILi53E19rocblas_complex_numIdEPS3_EEvT1_iilPiilS6_bb.num_agpr, 0
	.set _ZN9rocsolver6v33100L18getri_kernel_smallILi53E19rocblas_complex_numIdEPS3_EEvT1_iilPiilS6_bb.numbered_sgpr, 69
	.set _ZN9rocsolver6v33100L18getri_kernel_smallILi53E19rocblas_complex_numIdEPS3_EEvT1_iilPiilS6_bb.num_named_barrier, 0
	.set _ZN9rocsolver6v33100L18getri_kernel_smallILi53E19rocblas_complex_numIdEPS3_EEvT1_iilPiilS6_bb.private_seg_size, 880
	.set _ZN9rocsolver6v33100L18getri_kernel_smallILi53E19rocblas_complex_numIdEPS3_EEvT1_iilPiilS6_bb.uses_vcc, 1
	.set _ZN9rocsolver6v33100L18getri_kernel_smallILi53E19rocblas_complex_numIdEPS3_EEvT1_iilPiilS6_bb.uses_flat_scratch, 0
	.set _ZN9rocsolver6v33100L18getri_kernel_smallILi53E19rocblas_complex_numIdEPS3_EEvT1_iilPiilS6_bb.has_dyn_sized_stack, 0
	.set _ZN9rocsolver6v33100L18getri_kernel_smallILi53E19rocblas_complex_numIdEPS3_EEvT1_iilPiilS6_bb.has_recursion, 0
	.set _ZN9rocsolver6v33100L18getri_kernel_smallILi53E19rocblas_complex_numIdEPS3_EEvT1_iilPiilS6_bb.has_indirect_call, 0
	.section	.AMDGPU.csdata,"",@progbits
; Kernel info:
; codeLenInByte = 185072
; TotalNumSgprs: 71
; NumVgprs: 256
; ScratchSize: 880
; MemoryBound: 0
; FloatMode: 240
; IeeeMode: 1
; LDSByteSize: 1704 bytes/workgroup (compile time only)
; SGPRBlocks: 0
; VGPRBlocks: 31
; NumSGPRsForWavesPerEU: 71
; NumVGPRsForWavesPerEU: 256
; Occupancy: 4
; WaveLimiterHint : 1
; COMPUTE_PGM_RSRC2:SCRATCH_EN: 1
; COMPUTE_PGM_RSRC2:USER_SGPR: 6
; COMPUTE_PGM_RSRC2:TRAP_HANDLER: 0
; COMPUTE_PGM_RSRC2:TGID_X_EN: 1
; COMPUTE_PGM_RSRC2:TGID_Y_EN: 0
; COMPUTE_PGM_RSRC2:TGID_Z_EN: 0
; COMPUTE_PGM_RSRC2:TIDIG_COMP_CNT: 0
	.section	.text._ZN9rocsolver6v33100L18getri_kernel_smallILi54E19rocblas_complex_numIdEPS3_EEvT1_iilPiilS6_bb,"axG",@progbits,_ZN9rocsolver6v33100L18getri_kernel_smallILi54E19rocblas_complex_numIdEPS3_EEvT1_iilPiilS6_bb,comdat
	.globl	_ZN9rocsolver6v33100L18getri_kernel_smallILi54E19rocblas_complex_numIdEPS3_EEvT1_iilPiilS6_bb ; -- Begin function _ZN9rocsolver6v33100L18getri_kernel_smallILi54E19rocblas_complex_numIdEPS3_EEvT1_iilPiilS6_bb
	.p2align	8
	.type	_ZN9rocsolver6v33100L18getri_kernel_smallILi54E19rocblas_complex_numIdEPS3_EEvT1_iilPiilS6_bb,@function
_ZN9rocsolver6v33100L18getri_kernel_smallILi54E19rocblas_complex_numIdEPS3_EEvT1_iilPiilS6_bb: ; @_ZN9rocsolver6v33100L18getri_kernel_smallILi54E19rocblas_complex_numIdEPS3_EEvT1_iilPiilS6_bb
; %bb.0:
	s_add_u32 s0, s0, s7
	s_addc_u32 s1, s1, 0
	s_mov_b32 s7, exec_lo
	v_cmpx_gt_u32_e32 54, v0
	s_cbranch_execz .LBB53_230
; %bb.1:
	s_clause 0x2
	s_load_dword s7, s[4:5], 0x38
	s_load_dwordx4 s[16:19], s[4:5], 0x10
	s_load_dwordx4 s[8:11], s[4:5], 0x28
                                        ; implicit-def: $sgpr20_sgpr21
	s_waitcnt lgkmcnt(0)
	s_bitcmp1_b32 s7, 8
	s_cselect_b32 s66, -1, 0
	s_bfe_u32 s12, s7, 0x10008
	s_ashr_i32 s7, s6, 31
	s_cmp_eq_u32 s12, 0
	s_cbranch_scc1 .LBB53_3
; %bb.2:
	s_load_dword s12, s[4:5], 0x20
	s_mul_i32 s13, s8, s7
	s_mul_hi_u32 s14, s8, s6
	s_mul_i32 s9, s9, s6
	s_add_i32 s13, s14, s13
	s_mul_i32 s8, s8, s6
	s_add_i32 s9, s13, s9
	s_lshl_b64 s[8:9], s[8:9], 2
	s_waitcnt lgkmcnt(0)
	s_ashr_i32 s13, s12, 31
	s_add_u32 s14, s18, s8
	s_addc_u32 s15, s19, s9
	s_lshl_b64 s[8:9], s[12:13], 2
	s_add_u32 s20, s14, s8
	s_addc_u32 s21, s15, s9
.LBB53_3:
	s_clause 0x1
	s_load_dwordx4 s[12:15], s[4:5], 0x0
	s_load_dword s67, s[4:5], 0x38
	s_mul_i32 s4, s16, s7
	s_mul_hi_u32 s5, s16, s6
	s_mul_i32 s8, s17, s6
	s_add_i32 s5, s5, s4
	s_mul_i32 s4, s16, s6
	s_add_i32 s5, s5, s8
	v_lshlrev_b32_e32 v217, 4, v0
	s_lshl_b64 s[4:5], s[4:5], 4
	s_mov_b32 s65, 32
	s_mov_b32 s64, 48
	s_mov_b32 s63, 64
	s_movk_i32 s62, 0x50
	s_waitcnt lgkmcnt(0)
	v_add3_u32 v5, s15, s15, v0
	s_ashr_i32 s9, s14, 31
	s_mov_b32 s8, s14
	s_add_u32 s12, s12, s4
	s_addc_u32 s13, s13, s5
	v_add_nc_u32_e32 v7, s15, v5
	s_lshl_b64 s[4:5], s[8:9], 4
	v_ashrrev_i32_e32 v6, 31, v5
	s_add_u32 s4, s12, s4
	s_addc_u32 s5, s13, s5
	v_add_nc_u32_e32 v9, s15, v7
	v_add_co_u32 v133, s12, s4, v217
	s_mov_b32 s8, s15
	s_ashr_i32 s9, s15, 31
	v_lshlrev_b64 v[5:6], 4, v[5:6]
	v_ashrrev_i32_e32 v8, 31, v7
	v_add_co_ci_u32_e64 v134, null, s5, 0, s12
	s_lshl_b64 s[8:9], s[8:9], 4
	v_ashrrev_i32_e32 v10, 31, v9
	v_add_nc_u32_e32 v11, s15, v9
	v_add_co_u32 v135, vcc_lo, v133, s8
	v_lshlrev_b64 v[7:8], 4, v[7:8]
	v_add_co_ci_u32_e64 v136, null, s9, v134, vcc_lo
	v_add_co_u32 v137, vcc_lo, s4, v5
	v_add_co_ci_u32_e64 v138, null, s5, v6, vcc_lo
	v_lshlrev_b64 v[5:6], 4, v[9:10]
	v_ashrrev_i32_e32 v12, 31, v11
	v_add_nc_u32_e32 v9, s15, v11
	v_add_co_u32 v139, vcc_lo, s4, v7
	v_add_co_ci_u32_e64 v140, null, s5, v8, vcc_lo
	v_lshlrev_b64 v[7:8], 4, v[11:12]
	v_ashrrev_i32_e32 v10, 31, v9
	v_add_nc_u32_e32 v11, s15, v9
	;; [unrolled: 5-line block ×12, first 2 shown]
	v_add_co_u32 v161, vcc_lo, s4, v5
	v_add_co_ci_u32_e64 v162, null, s5, v6, vcc_lo
	v_lshlrev_b64 v[5:6], 4, v[9:10]
	v_add_nc_u32_e32 v9, s15, v11
	v_ashrrev_i32_e32 v12, 31, v11
	v_add_co_u32 v163, vcc_lo, s4, v7
	v_add_co_ci_u32_e64 v164, null, s5, v8, vcc_lo
	v_ashrrev_i32_e32 v10, 31, v9
	v_lshlrev_b64 v[7:8], 4, v[11:12]
	v_add_co_u32 v165, vcc_lo, s4, v5
	v_add_co_ci_u32_e64 v166, null, s5, v6, vcc_lo
	v_lshlrev_b64 v[5:6], 4, v[9:10]
	v_add_co_u32 v167, vcc_lo, s4, v7
	s_clause 0x1
	global_load_dwordx4 v[1:4], v217, s[4:5]
	global_load_dwordx4 v[57:60], v[135:136], off
	v_add_co_ci_u32_e64 v168, null, s5, v8, vcc_lo
	v_add_co_u32 v169, vcc_lo, s4, v5
	v_add_co_ci_u32_e64 v170, null, s5, v6, vcc_lo
	s_clause 0x10
	global_load_dwordx4 v[33:36], v[137:138], off
	global_load_dwordx4 v[37:40], v[139:140], off
	;; [unrolled: 1-line block ×17, first 2 shown]
	v_add_nc_u32_e32 v9, s15, v9
	v_add_nc_u32_e32 v11, s15, v9
	v_ashrrev_i32_e32 v10, 31, v9
	v_add_nc_u32_e32 v13, s15, v11
	v_lshlrev_b64 v[9:10], 4, v[9:10]
	v_ashrrev_i32_e32 v12, 31, v11
	v_add_nc_u32_e32 v15, s15, v13
	v_ashrrev_i32_e32 v14, 31, v13
	v_lshlrev_b64 v[11:12], 4, v[11:12]
	v_add_co_u32 v171, vcc_lo, s4, v9
	v_add_nc_u32_e32 v17, s15, v15
	v_ashrrev_i32_e32 v16, 31, v15
	v_add_co_ci_u32_e64 v172, null, s5, v10, vcc_lo
	v_lshlrev_b64 v[9:10], 4, v[13:14]
	v_add_nc_u32_e32 v21, s15, v17
	v_ashrrev_i32_e32 v18, 31, v17
	v_lshlrev_b64 v[19:20], 4, v[15:16]
	v_add_co_u32 v173, vcc_lo, s4, v11
	v_add_nc_u32_e32 v25, s15, v21
	v_ashrrev_i32_e32 v22, 31, v21
	v_lshlrev_b64 v[17:18], 4, v[17:18]
	v_add_co_ci_u32_e64 v174, null, s5, v12, vcc_lo
	v_add_nc_u32_e32 v29, s15, v25
	v_ashrrev_i32_e32 v26, 31, v25
	v_add_co_u32 v175, vcc_lo, s4, v9
	v_lshlrev_b64 v[27:28], 4, v[21:22]
	v_add_nc_u32_e32 v67, s15, v29
	v_ashrrev_i32_e32 v30, 31, v29
	v_add_co_ci_u32_e64 v176, null, s5, v10, vcc_lo
	v_add_co_u32 v177, vcc_lo, s4, v19
	v_add_nc_u32_e32 v75, s15, v67
	v_ashrrev_i32_e32 v68, 31, v67
	v_lshlrev_b64 v[65:66], 4, v[25:26]
	v_add_co_ci_u32_e64 v178, null, s5, v20, vcc_lo
	v_add_nc_u32_e32 v111, s15, v75
	v_ashrrev_i32_e32 v76, 31, v75
	v_add_co_u32 v179, vcc_lo, s4, v17
	v_lshlrev_b64 v[73:74], 4, v[29:30]
	v_add_nc_u32_e32 v115, s15, v111
	v_ashrrev_i32_e32 v112, 31, v111
	v_add_co_ci_u32_e64 v180, null, s5, v18, vcc_lo
	v_add_co_u32 v181, vcc_lo, s4, v27
	v_add_nc_u32_e32 v119, s15, v115
	v_lshlrev_b64 v[109:110], 4, v[67:68]
	v_ashrrev_i32_e32 v116, 31, v115
	v_add_co_ci_u32_e64 v182, null, s5, v28, vcc_lo
	v_add_nc_u32_e32 v123, s15, v119
	v_add_co_u32 v183, vcc_lo, s4, v65
	v_lshlrev_b64 v[113:114], 4, v[75:76]
	v_ashrrev_i32_e32 v120, 31, v119
	v_add_nc_u32_e32 v127, s15, v123
	v_add_co_ci_u32_e64 v184, null, s5, v66, vcc_lo
	v_add_co_u32 v185, vcc_lo, s4, v73
	v_add_nc_u32_e32 v131, s15, v127
	v_lshlrev_b64 v[117:118], 4, v[111:112]
	v_ashrrev_i32_e32 v124, 31, v123
	v_add_co_ci_u32_e64 v186, null, s5, v74, vcc_lo
	v_add_nc_u32_e32 v201, s15, v131
	v_add_co_u32 v187, vcc_lo, s4, v109
	v_lshlrev_b64 v[121:122], 4, v[115:116]
	v_ashrrev_i32_e32 v128, 31, v127
	v_add_co_ci_u32_e64 v188, null, s5, v110, vcc_lo
	v_add_co_u32 v189, vcc_lo, s4, v113
	v_lshlrev_b64 v[125:126], 4, v[119:120]
	v_ashrrev_i32_e32 v132, 31, v131
	v_add_nc_u32_e32 v205, s15, v201
	v_add_co_ci_u32_e64 v190, null, s5, v114, vcc_lo
	v_add_co_u32 v191, vcc_lo, s4, v117
	v_lshlrev_b64 v[129:130], 4, v[123:124]
	v_ashrrev_i32_e32 v202, 31, v201
	v_add_co_ci_u32_e64 v192, null, s5, v118, vcc_lo
	v_add_co_u32 v193, vcc_lo, s4, v121
	v_lshlrev_b64 v[199:200], 4, v[127:128]
	v_add_co_ci_u32_e64 v194, null, s5, v122, vcc_lo
	v_add_co_u32 v195, vcc_lo, s4, v125
	v_lshlrev_b64 v[203:204], 4, v[131:132]
	v_add_nc_u32_e32 v209, s15, v205
	v_add_co_ci_u32_e64 v196, null, s5, v126, vcc_lo
	v_add_co_u32 v197, vcc_lo, s4, v129
	v_lshlrev_b64 v[207:208], 4, v[201:202]
	v_add_co_ci_u32_e64 v198, null, s5, v130, vcc_lo
	v_add_co_u32 v199, vcc_lo, s4, v199
	v_ashrrev_i32_e32 v210, 31, v209
	v_add_nc_u32_e32 v211, s15, v209
	v_add_co_ci_u32_e64 v200, null, s5, v200, vcc_lo
	v_add_co_u32 v201, vcc_lo, s4, v203
	v_add_co_ci_u32_e64 v202, null, s5, v204, vcc_lo
	v_add_co_u32 v203, vcc_lo, s4, v207
	v_add_co_ci_u32_e64 v204, null, s5, v208, vcc_lo
	v_lshlrev_b64 v[207:208], 4, v[209:210]
	v_add_nc_u32_e32 v209, s15, v211
	v_ashrrev_i32_e32 v206, 31, v205
	v_ashrrev_i32_e32 v212, 31, v211
	s_clause 0x3
	global_load_dwordx4 v[13:16], v[171:172], off
	global_load_dwordx4 v[9:12], v[173:174], off
	;; [unrolled: 1-line block ×4, first 2 shown]
	v_add_nc_u32_e32 v213, s15, v209
	v_lshlrev_b64 v[205:206], 4, v[205:206]
	v_ashrrev_i32_e32 v210, 31, v209
	v_lshlrev_b64 v[211:212], 4, v[211:212]
	s_clause 0x1
	global_load_dwordx4 v[29:32], v[179:180], off
	global_load_dwordx4 v[25:28], v[181:182], off
	v_add_nc_u32_e32 v242, s15, v213
	v_ashrrev_i32_e32 v214, 31, v213
	v_add_co_u32 v205, vcc_lo, s4, v205
	v_lshlrev_b64 v[215:216], 4, v[209:210]
	v_add_nc_u32_e32 v244, s15, v242
	v_add_co_ci_u32_e64 v206, null, s5, v206, vcc_lo
	v_add_co_u32 v207, vcc_lo, s4, v207
	v_ashrrev_i32_e32 v243, 31, v242
	v_add_co_ci_u32_e64 v208, null, s5, v208, vcc_lo
	v_add_co_u32 v209, vcc_lo, s4, v211
	v_lshlrev_b64 v[213:214], 4, v[213:214]
	v_ashrrev_i32_e32 v245, 31, v244
	v_add_co_ci_u32_e64 v210, null, s5, v212, vcc_lo
	v_add_co_u32 v211, vcc_lo, s4, v215
	v_add_nc_u32_e32 v246, s15, v244
	v_add_co_ci_u32_e64 v212, null, s5, v216, vcc_lo
	v_lshlrev_b64 v[215:216], 4, v[242:243]
	v_add_co_u32 v213, vcc_lo, s4, v213
	v_lshlrev_b64 v[248:249], 4, v[244:245]
	v_add_co_ci_u32_e64 v214, null, s5, v214, vcc_lo
	v_add_nc_u32_e32 v250, s15, v246
	v_add_co_u32 v215, vcc_lo, s4, v215
	s_clause 0xd
	global_load_dwordx4 v[73:76], v[183:184], off
	global_load_dwordx4 v[65:68], v[185:186], off
	;; [unrolled: 1-line block ×14, first 2 shown]
	s_waitcnt vmcnt(38)
	buffer_store_dword v4, off, s[0:3], 0 offset:28
	buffer_store_dword v3, off, s[0:3], 0 offset:24
	;; [unrolled: 1-line block ×4, first 2 shown]
	v_add_co_ci_u32_e64 v216, null, s5, v216, vcc_lo
	s_clause 0x1
	global_load_dwordx4 v[1:4], v[211:212], off
	global_load_dwordx4 v[242:245], v[213:214], off
	s_waitcnt vmcnt(39)
	buffer_store_dword v60, off, s[0:3], 0 offset:44
	buffer_store_dword v59, off, s[0:3], 0 offset:40
	;; [unrolled: 1-line block ×4, first 2 shown]
	v_add_co_u32 v57, vcc_lo, s4, v248
	v_add_nc_u32_e32 v252, s15, v250
	v_add_co_ci_u32_e64 v58, null, s5, v249, vcc_lo
	s_waitcnt vmcnt(38)
	buffer_store_dword v36, off, s[0:3], 0 offset:60
	buffer_store_dword v35, off, s[0:3], 0 offset:56
	;; [unrolled: 1-line block ×4, first 2 shown]
	s_waitcnt vmcnt(37)
	buffer_store_dword v40, off, s[0:3], 0 offset:76
	buffer_store_dword v39, off, s[0:3], 0 offset:72
	;; [unrolled: 1-line block ×4, first 2 shown]
	s_clause 0x1
	global_load_dwordx4 v[33:36], v[215:216], off
	global_load_dwordx4 v[37:40], v[57:58], off
	s_waitcnt vmcnt(38)
	buffer_store_dword v44, off, s[0:3], 0 offset:92
	buffer_store_dword v43, off, s[0:3], 0 offset:88
	buffer_store_dword v42, off, s[0:3], 0 offset:84
	buffer_store_dword v41, off, s[0:3], 0 offset:80
	s_waitcnt vmcnt(37)
	buffer_store_dword v48, off, s[0:3], 0 offset:108
	buffer_store_dword v47, off, s[0:3], 0 offset:104
	buffer_store_dword v46, off, s[0:3], 0 offset:100
	buffer_store_dword v45, off, s[0:3], 0 offset:96
	;; [unrolled: 5-line block ×7, first 2 shown]
	buffer_store_dword v81, off, s[0:3], 0 offset:192
	buffer_store_dword v82, off, s[0:3], 0 offset:196
	;; [unrolled: 1-line block ×8, first 2 shown]
	s_waitcnt vmcnt(29)
	buffer_store_dword v92, off, s[0:3], 0 offset:236
	buffer_store_dword v91, off, s[0:3], 0 offset:232
	buffer_store_dword v90, off, s[0:3], 0 offset:228
	buffer_store_dword v89, off, s[0:3], 0 offset:224
	s_waitcnt vmcnt(28)
	buffer_store_dword v96, off, s[0:3], 0 offset:252
	buffer_store_dword v95, off, s[0:3], 0 offset:248
	buffer_store_dword v94, off, s[0:3], 0 offset:244
	buffer_store_dword v93, off, s[0:3], 0 offset:240
	;; [unrolled: 5-line block ×5, first 2 shown]
	s_waitcnt vmcnt(24)
	buffer_store_dword v8, off, s[0:3], 0 offset:316
	v_add_nc_u32_e32 v45, s15, v252
	v_ashrrev_i32_e32 v247, 31, v246
	v_ashrrev_i32_e32 v251, 31, v250
	;; [unrolled: 1-line block ×3, first 2 shown]
	v_add_nc_u32_e32 v52, s15, v45
	v_lshlrev_b64 v[246:247], 4, v[246:247]
	v_ashrrev_i32_e32 v46, 31, v45
	v_lshlrev_b64 v[248:249], 4, v[250:251]
	v_lshlrev_b64 v[50:51], 4, v[252:253]
	v_add_nc_u32_e32 v54, s15, v52
	v_ashrrev_i32_e32 v53, 31, v52
	v_add_co_u32 v59, vcc_lo, s4, v246
	v_lshlrev_b64 v[45:46], 4, v[45:46]
	v_add_co_ci_u32_e64 v60, null, s5, v247, vcc_lo
	v_add_co_u32 v48, vcc_lo, s4, v248
	v_ashrrev_i32_e32 v55, 31, v54
	v_add_co_ci_u32_e64 v49, null, s5, v249, vcc_lo
	v_add_co_u32 v50, vcc_lo, s4, v50
	v_add_co_ci_u32_e64 v51, null, s5, v51, vcc_lo
	v_lshlrev_b64 v[61:62], 4, v[52:53]
	v_add_co_u32 v52, vcc_lo, s4, v45
	v_add_nc_u32_e32 v63, s15, v54
	v_add_co_ci_u32_e64 v53, null, s5, v46, vcc_lo
	v_lshlrev_b64 v[45:46], 4, v[54:55]
	v_add_co_u32 v54, vcc_lo, s4, v61
	v_ashrrev_i32_e32 v64, 31, v63
	v_add_nc_u32_e32 v69, s15, v63
	v_add_co_ci_u32_e64 v55, null, s5, v62, vcc_lo
	v_add_co_u32 v61, vcc_lo, s4, v45
	v_add_co_ci_u32_e64 v62, null, s5, v46, vcc_lo
	v_lshlrev_b64 v[45:46], 4, v[63:64]
	v_add_nc_u32_e32 v77, s15, v69
	v_ashrrev_i32_e32 v70, 31, v69
	s_clause 0x5
	global_load_dwordx4 v[41:44], v[59:60], off
	global_load_dwordx4 v[81:84], v[48:49], off
	global_load_dwordx4 v[85:88], v[50:51], off
	global_load_dwordx4 v[89:92], v[52:53], off
	global_load_dwordx4 v[93:96], v[54:55], off
	global_load_dwordx4 v[97:100], v[61:62], off
	v_add_co_u32 v63, vcc_lo, s4, v45
	v_add_nc_u32_e32 v45, s15, v77
	v_lshlrev_b64 v[70:71], 4, v[69:70]
	v_ashrrev_i32_e32 v78, 31, v77
	v_add_co_ci_u32_e64 v64, null, s5, v46, vcc_lo
	v_add_nc_u32_e32 v79, s15, v45
	v_ashrrev_i32_e32 v46, 31, v45
	v_add_co_u32 v69, vcc_lo, s4, v70
	v_add_co_ci_u32_e64 v70, null, s5, v71, vcc_lo
	v_ashrrev_i32_e32 v80, 31, v79
	v_lshlrev_b64 v[71:72], 4, v[77:78]
	v_lshlrev_b64 v[45:46], 4, v[45:46]
	s_clause 0x1
	global_load_dwordx4 v[101:104], v[63:64], off
	global_load_dwordx4 v[105:108], v[69:70], off
	v_lshlrev_b64 v[77:78], 4, v[79:80]
	v_add_co_u32 v71, vcc_lo, s4, v71
	v_add_co_ci_u32_e64 v72, null, s5, v72, vcc_lo
	v_add_co_u32 v79, vcc_lo, s4, v45
	v_add_co_ci_u32_e64 v80, null, s5, v46, vcc_lo
	v_add_co_u32 v77, vcc_lo, s4, v77
	v_add_co_ci_u32_e64 v78, null, s5, v78, vcc_lo
	s_clause 0x1
	global_load_dwordx4 v[246:249], v[71:72], off
	global_load_dwordx4 v[250:253], v[79:80], off
	buffer_store_dword v7, off, s[0:3], 0 offset:312
	buffer_store_dword v6, off, s[0:3], 0 offset:308
	;; [unrolled: 1-line block ×3, first 2 shown]
	global_load_dwordx4 v[5:8], v[77:78], off
	s_movk_i32 s4, 0x50
	s_movk_i32 s5, 0x70
	s_add_i32 s61, s4, 16
	s_movk_i32 s4, 0x60
	s_add_i32 s59, s5, 16
	s_add_i32 s60, s4, 16
	s_movk_i32 s4, 0x80
	s_movk_i32 s5, 0x90
	s_add_i32 s58, s4, 16
	s_add_i32 s57, s5, 16
	s_movk_i32 s4, 0xa0
	;; [unrolled: 4-line block ×23, first 2 shown]
	s_movk_i32 s5, 0x350
	s_add_i32 s9, s4, 16
	s_add_i32 s8, s5, 16
	s_bitcmp0_b32 s67, 0
	s_mov_b32 s5, -1
	s_waitcnt vmcnt(34)
	buffer_store_dword v16, off, s[0:3], 0 offset:332
	buffer_store_dword v15, off, s[0:3], 0 offset:328
	buffer_store_dword v14, off, s[0:3], 0 offset:324
	buffer_store_dword v13, off, s[0:3], 0 offset:320
	s_waitcnt vmcnt(33)
	buffer_store_dword v12, off, s[0:3], 0 offset:348
	buffer_store_dword v11, off, s[0:3], 0 offset:344
	buffer_store_dword v10, off, s[0:3], 0 offset:340
	buffer_store_dword v9, off, s[0:3], 0 offset:336
	;; [unrolled: 5-line block ×35, first 2 shown]
	s_cbranch_scc1 .LBB53_228
; %bb.4:
	v_cmp_eq_u32_e64 s4, 0, v0
	s_and_saveexec_b32 s5, s4
; %bb.5:
	v_mov_b32_e32 v1, 0
	ds_write_b32 v1, v1 offset:1728
; %bb.6:
	s_or_b32 exec_lo, exec_lo, s5
	v_lshl_add_u32 v11, v0, 4, 16
	s_waitcnt lgkmcnt(0)
	s_waitcnt_vscnt null, 0x0
	s_barrier
	buffer_gl0_inv
	s_clause 0x3
	buffer_load_dword v1, v11, s[0:3], 0 offen
	buffer_load_dword v2, v11, s[0:3], 0 offen offset:4
	buffer_load_dword v3, v11, s[0:3], 0 offen offset:8
	;; [unrolled: 1-line block ×3, first 2 shown]
	s_waitcnt vmcnt(2)
	v_cmp_eq_f64_e32 vcc_lo, 0, v[1:2]
	s_waitcnt vmcnt(0)
	v_cmp_eq_f64_e64 s5, 0, v[3:4]
	s_and_b32 s5, vcc_lo, s5
	s_and_saveexec_b32 s67, s5
	s_cbranch_execz .LBB53_10
; %bb.7:
	v_mov_b32_e32 v1, 0
	s_mov_b32 s68, 0
	ds_read_b32 v2, v1 offset:1728
	s_waitcnt lgkmcnt(0)
	v_readfirstlane_b32 s5, v2
	v_add_nc_u32_e32 v2, 1, v0
	s_cmp_eq_u32 s5, 0
	v_cmp_gt_i32_e32 vcc_lo, s5, v2
	s_cselect_b32 s69, -1, 0
	s_or_b32 s69, s69, vcc_lo
	s_and_b32 exec_lo, exec_lo, s69
	s_cbranch_execz .LBB53_10
; %bb.8:
	v_mov_b32_e32 v3, s5
.LBB53_9:                               ; =>This Inner Loop Header: Depth=1
	ds_cmpst_rtn_b32 v3, v1, v3, v2 offset:1728
	s_waitcnt lgkmcnt(0)
	v_cmp_ne_u32_e32 vcc_lo, 0, v3
	v_cmp_le_i32_e64 s5, v3, v2
	s_and_b32 s5, vcc_lo, s5
	s_and_b32 s5, exec_lo, s5
	s_or_b32 s68, s5, s68
	s_andn2_b32 exec_lo, exec_lo, s68
	s_cbranch_execnz .LBB53_9
.LBB53_10:
	s_or_b32 exec_lo, exec_lo, s67
	v_mov_b32_e32 v1, 0
	s_barrier
	buffer_gl0_inv
	ds_read_b32 v2, v1 offset:1728
	s_and_saveexec_b32 s5, s4
	s_cbranch_execz .LBB53_12
; %bb.11:
	s_lshl_b64 s[68:69], s[6:7], 2
	s_add_u32 s68, s10, s68
	s_addc_u32 s69, s11, s69
	s_waitcnt lgkmcnt(0)
	global_store_dword v1, v2, s[68:69]
.LBB53_12:
	s_or_b32 exec_lo, exec_lo, s5
	s_waitcnt lgkmcnt(0)
	v_cmp_ne_u32_e32 vcc_lo, 0, v2
	s_mov_b32 s5, 0
	s_cbranch_vccnz .LBB53_228
; %bb.13:
	s_clause 0x3
	buffer_load_dword v7, v11, s[0:3], 0 offen
	buffer_load_dword v8, v11, s[0:3], 0 offen offset:4
	buffer_load_dword v9, v11, s[0:3], 0 offen offset:8
	;; [unrolled: 1-line block ×3, first 2 shown]
                                        ; implicit-def: $vgpr5_vgpr6
                                        ; implicit-def: $vgpr3_vgpr4
	s_waitcnt vmcnt(0)
	v_cmp_ngt_f64_e64 s5, |v[7:8]|, |v[9:10]|
	s_and_saveexec_b32 s67, s5
	s_xor_b32 s5, exec_lo, s67
	s_cbranch_execz .LBB53_15
; %bb.14:
	v_div_scale_f64 v[1:2], null, v[9:10], v[9:10], v[7:8]
	v_div_scale_f64 v[12:13], vcc_lo, v[7:8], v[9:10], v[7:8]
	v_rcp_f64_e32 v[3:4], v[1:2]
	v_fma_f64 v[5:6], -v[1:2], v[3:4], 1.0
	v_fma_f64 v[3:4], v[3:4], v[5:6], v[3:4]
	v_fma_f64 v[5:6], -v[1:2], v[3:4], 1.0
	v_fma_f64 v[3:4], v[3:4], v[5:6], v[3:4]
	v_mul_f64 v[5:6], v[12:13], v[3:4]
	v_fma_f64 v[1:2], -v[1:2], v[5:6], v[12:13]
	v_div_fmas_f64 v[1:2], v[1:2], v[3:4], v[5:6]
	v_div_fixup_f64 v[1:2], v[1:2], v[9:10], v[7:8]
	v_fma_f64 v[3:4], v[7:8], v[1:2], v[9:10]
	v_div_scale_f64 v[5:6], null, v[3:4], v[3:4], 1.0
	v_div_scale_f64 v[12:13], vcc_lo, 1.0, v[3:4], 1.0
	v_rcp_f64_e32 v[7:8], v[5:6]
	v_fma_f64 v[9:10], -v[5:6], v[7:8], 1.0
	v_fma_f64 v[7:8], v[7:8], v[9:10], v[7:8]
	v_fma_f64 v[9:10], -v[5:6], v[7:8], 1.0
	v_fma_f64 v[7:8], v[7:8], v[9:10], v[7:8]
	v_mul_f64 v[9:10], v[12:13], v[7:8]
	v_fma_f64 v[5:6], -v[5:6], v[9:10], v[12:13]
	v_div_fmas_f64 v[5:6], v[5:6], v[7:8], v[9:10]
                                        ; implicit-def: $vgpr7_vgpr8
                                        ; implicit-def: $vgpr9_vgpr10
	v_div_fixup_f64 v[3:4], v[5:6], v[3:4], 1.0
	v_mul_f64 v[5:6], v[1:2], v[3:4]
	v_xor_b32_e32 v4, 0x80000000, v4
	v_xor_b32_e32 v2, 0x80000000, v6
	v_mov_b32_e32 v1, v5
.LBB53_15:
	s_andn2_saveexec_b32 s5, s5
	s_cbranch_execz .LBB53_17
; %bb.16:
	v_div_scale_f64 v[1:2], null, v[7:8], v[7:8], v[9:10]
	v_div_scale_f64 v[12:13], vcc_lo, v[9:10], v[7:8], v[9:10]
	v_rcp_f64_e32 v[3:4], v[1:2]
	v_fma_f64 v[5:6], -v[1:2], v[3:4], 1.0
	v_fma_f64 v[3:4], v[3:4], v[5:6], v[3:4]
	v_fma_f64 v[5:6], -v[1:2], v[3:4], 1.0
	v_fma_f64 v[3:4], v[3:4], v[5:6], v[3:4]
	v_mul_f64 v[5:6], v[12:13], v[3:4]
	v_fma_f64 v[1:2], -v[1:2], v[5:6], v[12:13]
	v_div_fmas_f64 v[1:2], v[1:2], v[3:4], v[5:6]
	v_div_fixup_f64 v[1:2], v[1:2], v[7:8], v[9:10]
	v_fma_f64 v[3:4], v[9:10], v[1:2], v[7:8]
	v_div_scale_f64 v[5:6], null, v[3:4], v[3:4], 1.0
	v_rcp_f64_e32 v[7:8], v[5:6]
	v_fma_f64 v[9:10], -v[5:6], v[7:8], 1.0
	v_fma_f64 v[7:8], v[7:8], v[9:10], v[7:8]
	v_fma_f64 v[9:10], -v[5:6], v[7:8], 1.0
	v_fma_f64 v[7:8], v[7:8], v[9:10], v[7:8]
	v_div_scale_f64 v[9:10], vcc_lo, 1.0, v[3:4], 1.0
	v_mul_f64 v[12:13], v[9:10], v[7:8]
	v_fma_f64 v[5:6], -v[5:6], v[12:13], v[9:10]
	v_div_fmas_f64 v[5:6], v[5:6], v[7:8], v[12:13]
	v_div_fixup_f64 v[5:6], v[5:6], v[3:4], 1.0
	v_mul_f64 v[3:4], v[1:2], -v[5:6]
	v_xor_b32_e32 v2, 0x80000000, v6
	v_mov_b32_e32 v1, v5
.LBB53_17:
	s_or_b32 exec_lo, exec_lo, s5
	v_mov_b32_e32 v10, s65
	buffer_store_dword v6, v11, s[0:3], 0 offen offset:4
	buffer_store_dword v5, v11, s[0:3], 0 offen
	buffer_store_dword v4, v11, s[0:3], 0 offen offset:12
	buffer_store_dword v3, v11, s[0:3], 0 offen offset:8
	v_xor_b32_e32 v4, 0x80000000, v4
	v_add_nc_u32_e32 v5, 0x360, v217
	s_clause 0x3
	buffer_load_dword v9, v10, s[0:3], 0 offen offset:12
	buffer_load_dword v8, v10, s[0:3], 0 offen offset:8
	;; [unrolled: 1-line block ×3, first 2 shown]
	buffer_load_dword v6, v10, s[0:3], 0 offen
	ds_write_b128 v217, v[1:4]
	s_waitcnt vmcnt(0)
	ds_write_b128 v217, v[6:9] offset:864
	s_waitcnt lgkmcnt(0)
	s_waitcnt_vscnt null, 0x0
	s_barrier
	buffer_gl0_inv
	s_and_saveexec_b32 s5, s4
	s_cbranch_execz .LBB53_19
; %bb.18:
	s_clause 0x3
	buffer_load_dword v12, v11, s[0:3], 0 offen offset:8
	buffer_load_dword v13, v11, s[0:3], 0 offen offset:12
	buffer_load_dword v14, v11, s[0:3], 0 offen
	buffer_load_dword v15, v11, s[0:3], 0 offen offset:4
	ds_read_b128 v[1:4], v5
	v_mov_b32_e32 v6, 0
	ds_read_b128 v[6:9], v6 offset:16
	s_waitcnt vmcnt(2) lgkmcnt(1)
	v_mul_f64 v[16:17], v[1:2], v[12:13]
	v_mul_f64 v[12:13], v[3:4], v[12:13]
	s_waitcnt vmcnt(0)
	v_fma_f64 v[3:4], v[3:4], v[14:15], v[16:17]
	v_fma_f64 v[1:2], v[1:2], v[14:15], -v[12:13]
	v_add_f64 v[3:4], v[3:4], 0
	v_add_f64 v[1:2], v[1:2], 0
	s_waitcnt lgkmcnt(0)
	v_mul_f64 v[12:13], v[3:4], v[8:9]
	v_mul_f64 v[8:9], v[1:2], v[8:9]
	v_fma_f64 v[1:2], v[1:2], v[6:7], -v[12:13]
	v_fma_f64 v[3:4], v[3:4], v[6:7], v[8:9]
	buffer_store_dword v1, off, s[0:3], 0 offset:32
	buffer_store_dword v2, off, s[0:3], 0 offset:36
	;; [unrolled: 1-line block ×4, first 2 shown]
.LBB53_19:
	s_or_b32 exec_lo, exec_lo, s5
	v_mov_b32_e32 v4, s64
	s_waitcnt_vscnt null, 0x0
	s_barrier
	buffer_gl0_inv
	s_mov_b32 s5, exec_lo
	s_clause 0x3
	buffer_load_dword v1, v4, s[0:3], 0 offen
	buffer_load_dword v2, v4, s[0:3], 0 offen offset:4
	buffer_load_dword v3, v4, s[0:3], 0 offen offset:8
	;; [unrolled: 1-line block ×3, first 2 shown]
	s_waitcnt vmcnt(0)
	ds_write_b128 v5, v[1:4]
	s_waitcnt lgkmcnt(0)
	s_barrier
	buffer_gl0_inv
	v_cmpx_gt_u32_e32 2, v0
	s_cbranch_execz .LBB53_23
; %bb.20:
	s_clause 0x3
	buffer_load_dword v6, v11, s[0:3], 0 offen offset:8
	buffer_load_dword v7, v11, s[0:3], 0 offen offset:12
	buffer_load_dword v8, v11, s[0:3], 0 offen
	buffer_load_dword v9, v11, s[0:3], 0 offen offset:4
	ds_read_b128 v[1:4], v5
	s_waitcnt vmcnt(2) lgkmcnt(0)
	v_mul_f64 v[10:11], v[3:4], v[6:7]
	v_mul_f64 v[6:7], v[1:2], v[6:7]
	s_waitcnt vmcnt(0)
	v_fma_f64 v[1:2], v[1:2], v[8:9], -v[10:11]
	v_fma_f64 v[3:4], v[3:4], v[8:9], v[6:7]
	v_add_f64 v[1:2], v[1:2], 0
	v_add_f64 v[3:4], v[3:4], 0
	s_and_saveexec_b32 s67, s4
	s_cbranch_execz .LBB53_22
; %bb.21:
	s_clause 0x3
	buffer_load_dword v10, off, s[0:3], 0 offset:40
	buffer_load_dword v11, off, s[0:3], 0 offset:44
	;; [unrolled: 1-line block ×4, first 2 shown]
	v_mov_b32_e32 v6, 0
	ds_read_b128 v[6:9], v6 offset:880
	s_waitcnt vmcnt(2) lgkmcnt(0)
	v_mul_f64 v[14:15], v[6:7], v[10:11]
	v_mul_f64 v[10:11], v[8:9], v[10:11]
	s_waitcnt vmcnt(0)
	v_fma_f64 v[8:9], v[8:9], v[12:13], v[14:15]
	v_fma_f64 v[6:7], v[6:7], v[12:13], -v[10:11]
	v_add_f64 v[3:4], v[3:4], v[8:9]
	v_add_f64 v[1:2], v[1:2], v[6:7]
.LBB53_22:
	s_or_b32 exec_lo, exec_lo, s67
	v_mov_b32_e32 v6, 0
	ds_read_b128 v[6:9], v6 offset:32
	s_waitcnt lgkmcnt(0)
	v_mul_f64 v[10:11], v[3:4], v[8:9]
	v_mul_f64 v[8:9], v[1:2], v[8:9]
	v_fma_f64 v[1:2], v[1:2], v[6:7], -v[10:11]
	v_fma_f64 v[3:4], v[3:4], v[6:7], v[8:9]
	buffer_store_dword v2, off, s[0:3], 0 offset:52
	buffer_store_dword v1, off, s[0:3], 0 offset:48
	;; [unrolled: 1-line block ×4, first 2 shown]
.LBB53_23:
	s_or_b32 exec_lo, exec_lo, s5
	v_mov_b32_e32 v4, s63
	s_waitcnt_vscnt null, 0x0
	s_barrier
	buffer_gl0_inv
	v_add_nc_u32_e32 v6, -1, v0
	s_clause 0x3
	buffer_load_dword v1, v4, s[0:3], 0 offen
	buffer_load_dword v2, v4, s[0:3], 0 offen offset:4
	buffer_load_dword v3, v4, s[0:3], 0 offen offset:8
	;; [unrolled: 1-line block ×3, first 2 shown]
	s_mov_b32 s4, exec_lo
	s_waitcnt vmcnt(0)
	ds_write_b128 v5, v[1:4]
	s_waitcnt lgkmcnt(0)
	s_barrier
	buffer_gl0_inv
	v_cmpx_gt_u32_e32 3, v0
	s_cbranch_execz .LBB53_27
; %bb.24:
	v_mov_b32_e32 v1, 0
	v_mov_b32_e32 v3, 0
	v_add_nc_u32_e32 v7, -1, v0
	v_add_nc_u32_e32 v8, 0x360, v217
	v_mov_b32_e32 v2, 0
	v_mov_b32_e32 v4, 0
	v_add_nc_u32_e32 v9, 16, v217
	s_mov_b32 s5, 0
	.p2align	6
.LBB53_25:                              ; =>This Inner Loop Header: Depth=1
	s_clause 0x3
	buffer_load_dword v14, v9, s[0:3], 0 offen offset:8
	buffer_load_dword v15, v9, s[0:3], 0 offen offset:12
	buffer_load_dword v16, v9, s[0:3], 0 offen
	buffer_load_dword v17, v9, s[0:3], 0 offen offset:4
	ds_read_b128 v[10:13], v8
	v_add_nc_u32_e32 v7, 1, v7
	v_add_nc_u32_e32 v8, 16, v8
	;; [unrolled: 1-line block ×3, first 2 shown]
	v_cmp_lt_u32_e32 vcc_lo, 1, v7
	s_or_b32 s5, vcc_lo, s5
	s_waitcnt vmcnt(2) lgkmcnt(0)
	v_mul_f64 v[18:19], v[12:13], v[14:15]
	v_mul_f64 v[14:15], v[10:11], v[14:15]
	s_waitcnt vmcnt(0)
	v_fma_f64 v[10:11], v[10:11], v[16:17], -v[18:19]
	v_fma_f64 v[12:13], v[12:13], v[16:17], v[14:15]
	v_add_f64 v[3:4], v[3:4], v[10:11]
	v_add_f64 v[1:2], v[1:2], v[12:13]
	s_andn2_b32 exec_lo, exec_lo, s5
	s_cbranch_execnz .LBB53_25
; %bb.26:
	s_or_b32 exec_lo, exec_lo, s5
	v_mov_b32_e32 v7, 0
	ds_read_b128 v[7:10], v7 offset:48
	s_waitcnt lgkmcnt(0)
	v_mul_f64 v[11:12], v[1:2], v[9:10]
	v_mul_f64 v[9:10], v[3:4], v[9:10]
	v_fma_f64 v[3:4], v[3:4], v[7:8], -v[11:12]
	v_fma_f64 v[1:2], v[1:2], v[7:8], v[9:10]
	buffer_store_dword v4, off, s[0:3], 0 offset:68
	buffer_store_dword v3, off, s[0:3], 0 offset:64
	buffer_store_dword v2, off, s[0:3], 0 offset:76
	buffer_store_dword v1, off, s[0:3], 0 offset:72
.LBB53_27:
	s_or_b32 exec_lo, exec_lo, s4
	v_mov_b32_e32 v4, s62
	s_waitcnt_vscnt null, 0x0
	s_barrier
	buffer_gl0_inv
	s_mov_b32 s4, exec_lo
	s_clause 0x3
	buffer_load_dword v1, v4, s[0:3], 0 offen
	buffer_load_dword v2, v4, s[0:3], 0 offen offset:4
	buffer_load_dword v3, v4, s[0:3], 0 offen offset:8
	;; [unrolled: 1-line block ×3, first 2 shown]
	s_waitcnt vmcnt(0)
	ds_write_b128 v5, v[1:4]
	s_waitcnt lgkmcnt(0)
	s_barrier
	buffer_gl0_inv
	v_cmpx_gt_u32_e32 4, v0
	s_cbranch_execz .LBB53_31
; %bb.28:
	v_mov_b32_e32 v1, 0
	v_mov_b32_e32 v3, 0
	v_add_nc_u32_e32 v7, -1, v0
	v_add_nc_u32_e32 v8, 0x360, v217
	v_mov_b32_e32 v2, 0
	v_mov_b32_e32 v4, 0
	v_add_nc_u32_e32 v9, 16, v217
	s_mov_b32 s5, 0
	.p2align	6
.LBB53_29:                              ; =>This Inner Loop Header: Depth=1
	s_clause 0x3
	buffer_load_dword v14, v9, s[0:3], 0 offen offset:8
	buffer_load_dword v15, v9, s[0:3], 0 offen offset:12
	buffer_load_dword v16, v9, s[0:3], 0 offen
	buffer_load_dword v17, v9, s[0:3], 0 offen offset:4
	ds_read_b128 v[10:13], v8
	v_add_nc_u32_e32 v7, 1, v7
	v_add_nc_u32_e32 v8, 16, v8
	;; [unrolled: 1-line block ×3, first 2 shown]
	v_cmp_lt_u32_e32 vcc_lo, 2, v7
	s_or_b32 s5, vcc_lo, s5
	s_waitcnt vmcnt(2) lgkmcnt(0)
	v_mul_f64 v[18:19], v[12:13], v[14:15]
	v_mul_f64 v[14:15], v[10:11], v[14:15]
	s_waitcnt vmcnt(0)
	v_fma_f64 v[10:11], v[10:11], v[16:17], -v[18:19]
	v_fma_f64 v[12:13], v[12:13], v[16:17], v[14:15]
	v_add_f64 v[3:4], v[3:4], v[10:11]
	v_add_f64 v[1:2], v[1:2], v[12:13]
	s_andn2_b32 exec_lo, exec_lo, s5
	s_cbranch_execnz .LBB53_29
; %bb.30:
	s_or_b32 exec_lo, exec_lo, s5
	v_mov_b32_e32 v7, 0
	ds_read_b128 v[7:10], v7 offset:64
	s_waitcnt lgkmcnt(0)
	v_mul_f64 v[11:12], v[1:2], v[9:10]
	v_mul_f64 v[9:10], v[3:4], v[9:10]
	v_fma_f64 v[3:4], v[3:4], v[7:8], -v[11:12]
	v_fma_f64 v[1:2], v[1:2], v[7:8], v[9:10]
	buffer_store_dword v4, off, s[0:3], 0 offset:84
	buffer_store_dword v3, off, s[0:3], 0 offset:80
	buffer_store_dword v2, off, s[0:3], 0 offset:92
	buffer_store_dword v1, off, s[0:3], 0 offset:88
.LBB53_31:
	s_or_b32 exec_lo, exec_lo, s4
	v_mov_b32_e32 v4, s61
	s_waitcnt_vscnt null, 0x0
	s_barrier
	buffer_gl0_inv
	s_mov_b32 s4, exec_lo
	s_clause 0x3
	buffer_load_dword v1, v4, s[0:3], 0 offen
	buffer_load_dword v2, v4, s[0:3], 0 offen offset:4
	buffer_load_dword v3, v4, s[0:3], 0 offen offset:8
	;; [unrolled: 1-line block ×3, first 2 shown]
	s_waitcnt vmcnt(0)
	ds_write_b128 v5, v[1:4]
	s_waitcnt lgkmcnt(0)
	s_barrier
	buffer_gl0_inv
	v_cmpx_gt_u32_e32 5, v0
	s_cbranch_execz .LBB53_35
; %bb.32:
	v_mov_b32_e32 v1, 0
	v_mov_b32_e32 v3, 0
	v_add_nc_u32_e32 v7, -1, v0
	v_add_nc_u32_e32 v8, 0x360, v217
	v_mov_b32_e32 v2, 0
	v_mov_b32_e32 v4, 0
	v_add_nc_u32_e32 v9, 16, v217
	s_mov_b32 s5, 0
	.p2align	6
.LBB53_33:                              ; =>This Inner Loop Header: Depth=1
	s_clause 0x3
	buffer_load_dword v14, v9, s[0:3], 0 offen offset:8
	buffer_load_dword v15, v9, s[0:3], 0 offen offset:12
	buffer_load_dword v16, v9, s[0:3], 0 offen
	buffer_load_dword v17, v9, s[0:3], 0 offen offset:4
	ds_read_b128 v[10:13], v8
	v_add_nc_u32_e32 v7, 1, v7
	v_add_nc_u32_e32 v8, 16, v8
	;; [unrolled: 1-line block ×3, first 2 shown]
	v_cmp_lt_u32_e32 vcc_lo, 3, v7
	s_or_b32 s5, vcc_lo, s5
	s_waitcnt vmcnt(2) lgkmcnt(0)
	v_mul_f64 v[18:19], v[12:13], v[14:15]
	v_mul_f64 v[14:15], v[10:11], v[14:15]
	s_waitcnt vmcnt(0)
	v_fma_f64 v[10:11], v[10:11], v[16:17], -v[18:19]
	v_fma_f64 v[12:13], v[12:13], v[16:17], v[14:15]
	v_add_f64 v[3:4], v[3:4], v[10:11]
	v_add_f64 v[1:2], v[1:2], v[12:13]
	s_andn2_b32 exec_lo, exec_lo, s5
	s_cbranch_execnz .LBB53_33
; %bb.34:
	s_or_b32 exec_lo, exec_lo, s5
	v_mov_b32_e32 v7, 0
	ds_read_b128 v[7:10], v7 offset:80
	s_waitcnt lgkmcnt(0)
	v_mul_f64 v[11:12], v[1:2], v[9:10]
	v_mul_f64 v[9:10], v[3:4], v[9:10]
	v_fma_f64 v[3:4], v[3:4], v[7:8], -v[11:12]
	v_fma_f64 v[1:2], v[1:2], v[7:8], v[9:10]
	buffer_store_dword v4, off, s[0:3], 0 offset:100
	buffer_store_dword v3, off, s[0:3], 0 offset:96
	;; [unrolled: 1-line block ×4, first 2 shown]
.LBB53_35:
	s_or_b32 exec_lo, exec_lo, s4
	v_mov_b32_e32 v4, s60
	s_waitcnt_vscnt null, 0x0
	s_barrier
	buffer_gl0_inv
	s_mov_b32 s4, exec_lo
	s_clause 0x3
	buffer_load_dword v1, v4, s[0:3], 0 offen
	buffer_load_dword v2, v4, s[0:3], 0 offen offset:4
	buffer_load_dword v3, v4, s[0:3], 0 offen offset:8
	;; [unrolled: 1-line block ×3, first 2 shown]
	s_waitcnt vmcnt(0)
	ds_write_b128 v5, v[1:4]
	s_waitcnt lgkmcnt(0)
	s_barrier
	buffer_gl0_inv
	v_cmpx_gt_u32_e32 6, v0
	s_cbranch_execz .LBB53_39
; %bb.36:
	v_mov_b32_e32 v1, 0
	v_mov_b32_e32 v3, 0
	v_add_nc_u32_e32 v7, -1, v0
	v_add_nc_u32_e32 v8, 0x360, v217
	v_mov_b32_e32 v2, 0
	v_mov_b32_e32 v4, 0
	v_add_nc_u32_e32 v9, 16, v217
	s_mov_b32 s5, 0
	.p2align	6
.LBB53_37:                              ; =>This Inner Loop Header: Depth=1
	s_clause 0x3
	buffer_load_dword v14, v9, s[0:3], 0 offen offset:8
	buffer_load_dword v15, v9, s[0:3], 0 offen offset:12
	buffer_load_dword v16, v9, s[0:3], 0 offen
	buffer_load_dword v17, v9, s[0:3], 0 offen offset:4
	ds_read_b128 v[10:13], v8
	v_add_nc_u32_e32 v7, 1, v7
	v_add_nc_u32_e32 v8, 16, v8
	;; [unrolled: 1-line block ×3, first 2 shown]
	v_cmp_lt_u32_e32 vcc_lo, 4, v7
	s_or_b32 s5, vcc_lo, s5
	s_waitcnt vmcnt(2) lgkmcnt(0)
	v_mul_f64 v[18:19], v[12:13], v[14:15]
	v_mul_f64 v[14:15], v[10:11], v[14:15]
	s_waitcnt vmcnt(0)
	v_fma_f64 v[10:11], v[10:11], v[16:17], -v[18:19]
	v_fma_f64 v[12:13], v[12:13], v[16:17], v[14:15]
	v_add_f64 v[3:4], v[3:4], v[10:11]
	v_add_f64 v[1:2], v[1:2], v[12:13]
	s_andn2_b32 exec_lo, exec_lo, s5
	s_cbranch_execnz .LBB53_37
; %bb.38:
	s_or_b32 exec_lo, exec_lo, s5
	v_mov_b32_e32 v7, 0
	ds_read_b128 v[7:10], v7 offset:96
	s_waitcnt lgkmcnt(0)
	v_mul_f64 v[11:12], v[1:2], v[9:10]
	v_mul_f64 v[9:10], v[3:4], v[9:10]
	v_fma_f64 v[3:4], v[3:4], v[7:8], -v[11:12]
	v_fma_f64 v[1:2], v[1:2], v[7:8], v[9:10]
	buffer_store_dword v4, off, s[0:3], 0 offset:116
	buffer_store_dword v3, off, s[0:3], 0 offset:112
	;; [unrolled: 1-line block ×4, first 2 shown]
.LBB53_39:
	s_or_b32 exec_lo, exec_lo, s4
	v_mov_b32_e32 v4, s59
	s_waitcnt_vscnt null, 0x0
	s_barrier
	buffer_gl0_inv
	s_mov_b32 s4, exec_lo
	s_clause 0x3
	buffer_load_dword v1, v4, s[0:3], 0 offen
	buffer_load_dword v2, v4, s[0:3], 0 offen offset:4
	buffer_load_dword v3, v4, s[0:3], 0 offen offset:8
	;; [unrolled: 1-line block ×3, first 2 shown]
	s_waitcnt vmcnt(0)
	ds_write_b128 v5, v[1:4]
	s_waitcnt lgkmcnt(0)
	s_barrier
	buffer_gl0_inv
	v_cmpx_gt_u32_e32 7, v0
	s_cbranch_execz .LBB53_43
; %bb.40:
	v_mov_b32_e32 v1, 0
	v_mov_b32_e32 v3, 0
	v_add_nc_u32_e32 v7, -1, v0
	v_add_nc_u32_e32 v8, 0x360, v217
	v_mov_b32_e32 v2, 0
	v_mov_b32_e32 v4, 0
	v_add_nc_u32_e32 v9, 16, v217
	s_mov_b32 s5, 0
	.p2align	6
.LBB53_41:                              ; =>This Inner Loop Header: Depth=1
	s_clause 0x3
	buffer_load_dword v14, v9, s[0:3], 0 offen offset:8
	buffer_load_dword v15, v9, s[0:3], 0 offen offset:12
	buffer_load_dword v16, v9, s[0:3], 0 offen
	buffer_load_dword v17, v9, s[0:3], 0 offen offset:4
	ds_read_b128 v[10:13], v8
	v_add_nc_u32_e32 v7, 1, v7
	v_add_nc_u32_e32 v8, 16, v8
	;; [unrolled: 1-line block ×3, first 2 shown]
	v_cmp_lt_u32_e32 vcc_lo, 5, v7
	s_or_b32 s5, vcc_lo, s5
	s_waitcnt vmcnt(2) lgkmcnt(0)
	v_mul_f64 v[18:19], v[12:13], v[14:15]
	v_mul_f64 v[14:15], v[10:11], v[14:15]
	s_waitcnt vmcnt(0)
	v_fma_f64 v[10:11], v[10:11], v[16:17], -v[18:19]
	v_fma_f64 v[12:13], v[12:13], v[16:17], v[14:15]
	v_add_f64 v[3:4], v[3:4], v[10:11]
	v_add_f64 v[1:2], v[1:2], v[12:13]
	s_andn2_b32 exec_lo, exec_lo, s5
	s_cbranch_execnz .LBB53_41
; %bb.42:
	s_or_b32 exec_lo, exec_lo, s5
	v_mov_b32_e32 v7, 0
	ds_read_b128 v[7:10], v7 offset:112
	s_waitcnt lgkmcnt(0)
	v_mul_f64 v[11:12], v[1:2], v[9:10]
	v_mul_f64 v[9:10], v[3:4], v[9:10]
	v_fma_f64 v[3:4], v[3:4], v[7:8], -v[11:12]
	v_fma_f64 v[1:2], v[1:2], v[7:8], v[9:10]
	buffer_store_dword v4, off, s[0:3], 0 offset:132
	buffer_store_dword v3, off, s[0:3], 0 offset:128
	;; [unrolled: 1-line block ×4, first 2 shown]
.LBB53_43:
	s_or_b32 exec_lo, exec_lo, s4
	v_mov_b32_e32 v4, s58
	s_waitcnt_vscnt null, 0x0
	s_barrier
	buffer_gl0_inv
	s_mov_b32 s4, exec_lo
	s_clause 0x3
	buffer_load_dword v1, v4, s[0:3], 0 offen
	buffer_load_dword v2, v4, s[0:3], 0 offen offset:4
	buffer_load_dword v3, v4, s[0:3], 0 offen offset:8
	;; [unrolled: 1-line block ×3, first 2 shown]
	s_waitcnt vmcnt(0)
	ds_write_b128 v5, v[1:4]
	s_waitcnt lgkmcnt(0)
	s_barrier
	buffer_gl0_inv
	v_cmpx_gt_u32_e32 8, v0
	s_cbranch_execz .LBB53_47
; %bb.44:
	v_mov_b32_e32 v1, 0
	v_mov_b32_e32 v3, 0
	v_add_nc_u32_e32 v7, -1, v0
	v_add_nc_u32_e32 v8, 0x360, v217
	v_mov_b32_e32 v2, 0
	v_mov_b32_e32 v4, 0
	v_add_nc_u32_e32 v9, 16, v217
	s_mov_b32 s5, 0
	.p2align	6
.LBB53_45:                              ; =>This Inner Loop Header: Depth=1
	s_clause 0x3
	buffer_load_dword v14, v9, s[0:3], 0 offen offset:8
	buffer_load_dword v15, v9, s[0:3], 0 offen offset:12
	buffer_load_dword v16, v9, s[0:3], 0 offen
	buffer_load_dword v17, v9, s[0:3], 0 offen offset:4
	ds_read_b128 v[10:13], v8
	v_add_nc_u32_e32 v7, 1, v7
	v_add_nc_u32_e32 v8, 16, v8
	;; [unrolled: 1-line block ×3, first 2 shown]
	v_cmp_lt_u32_e32 vcc_lo, 6, v7
	s_or_b32 s5, vcc_lo, s5
	s_waitcnt vmcnt(2) lgkmcnt(0)
	v_mul_f64 v[18:19], v[12:13], v[14:15]
	v_mul_f64 v[14:15], v[10:11], v[14:15]
	s_waitcnt vmcnt(0)
	v_fma_f64 v[10:11], v[10:11], v[16:17], -v[18:19]
	v_fma_f64 v[12:13], v[12:13], v[16:17], v[14:15]
	v_add_f64 v[3:4], v[3:4], v[10:11]
	v_add_f64 v[1:2], v[1:2], v[12:13]
	s_andn2_b32 exec_lo, exec_lo, s5
	s_cbranch_execnz .LBB53_45
; %bb.46:
	s_or_b32 exec_lo, exec_lo, s5
	v_mov_b32_e32 v7, 0
	ds_read_b128 v[7:10], v7 offset:128
	s_waitcnt lgkmcnt(0)
	v_mul_f64 v[11:12], v[1:2], v[9:10]
	v_mul_f64 v[9:10], v[3:4], v[9:10]
	v_fma_f64 v[3:4], v[3:4], v[7:8], -v[11:12]
	v_fma_f64 v[1:2], v[1:2], v[7:8], v[9:10]
	buffer_store_dword v4, off, s[0:3], 0 offset:148
	buffer_store_dword v3, off, s[0:3], 0 offset:144
	;; [unrolled: 1-line block ×4, first 2 shown]
.LBB53_47:
	s_or_b32 exec_lo, exec_lo, s4
	v_mov_b32_e32 v4, s57
	s_waitcnt_vscnt null, 0x0
	s_barrier
	buffer_gl0_inv
	s_mov_b32 s4, exec_lo
	s_clause 0x3
	buffer_load_dword v1, v4, s[0:3], 0 offen
	buffer_load_dword v2, v4, s[0:3], 0 offen offset:4
	buffer_load_dword v3, v4, s[0:3], 0 offen offset:8
	;; [unrolled: 1-line block ×3, first 2 shown]
	s_waitcnt vmcnt(0)
	ds_write_b128 v5, v[1:4]
	s_waitcnt lgkmcnt(0)
	s_barrier
	buffer_gl0_inv
	v_cmpx_gt_u32_e32 9, v0
	s_cbranch_execz .LBB53_51
; %bb.48:
	v_mov_b32_e32 v1, 0
	v_mov_b32_e32 v3, 0
	v_add_nc_u32_e32 v7, -1, v0
	v_add_nc_u32_e32 v8, 0x360, v217
	v_mov_b32_e32 v2, 0
	v_mov_b32_e32 v4, 0
	v_add_nc_u32_e32 v9, 16, v217
	s_mov_b32 s5, 0
	.p2align	6
.LBB53_49:                              ; =>This Inner Loop Header: Depth=1
	s_clause 0x3
	buffer_load_dword v14, v9, s[0:3], 0 offen offset:8
	buffer_load_dword v15, v9, s[0:3], 0 offen offset:12
	buffer_load_dword v16, v9, s[0:3], 0 offen
	buffer_load_dword v17, v9, s[0:3], 0 offen offset:4
	ds_read_b128 v[10:13], v8
	v_add_nc_u32_e32 v7, 1, v7
	v_add_nc_u32_e32 v8, 16, v8
	;; [unrolled: 1-line block ×3, first 2 shown]
	v_cmp_lt_u32_e32 vcc_lo, 7, v7
	s_or_b32 s5, vcc_lo, s5
	s_waitcnt vmcnt(2) lgkmcnt(0)
	v_mul_f64 v[18:19], v[12:13], v[14:15]
	v_mul_f64 v[14:15], v[10:11], v[14:15]
	s_waitcnt vmcnt(0)
	v_fma_f64 v[10:11], v[10:11], v[16:17], -v[18:19]
	v_fma_f64 v[12:13], v[12:13], v[16:17], v[14:15]
	v_add_f64 v[3:4], v[3:4], v[10:11]
	v_add_f64 v[1:2], v[1:2], v[12:13]
	s_andn2_b32 exec_lo, exec_lo, s5
	s_cbranch_execnz .LBB53_49
; %bb.50:
	s_or_b32 exec_lo, exec_lo, s5
	v_mov_b32_e32 v7, 0
	ds_read_b128 v[7:10], v7 offset:144
	s_waitcnt lgkmcnt(0)
	v_mul_f64 v[11:12], v[1:2], v[9:10]
	v_mul_f64 v[9:10], v[3:4], v[9:10]
	v_fma_f64 v[3:4], v[3:4], v[7:8], -v[11:12]
	v_fma_f64 v[1:2], v[1:2], v[7:8], v[9:10]
	buffer_store_dword v4, off, s[0:3], 0 offset:164
	buffer_store_dword v3, off, s[0:3], 0 offset:160
	;; [unrolled: 1-line block ×4, first 2 shown]
.LBB53_51:
	s_or_b32 exec_lo, exec_lo, s4
	v_mov_b32_e32 v4, s56
	s_waitcnt_vscnt null, 0x0
	s_barrier
	buffer_gl0_inv
	s_mov_b32 s4, exec_lo
	s_clause 0x3
	buffer_load_dword v1, v4, s[0:3], 0 offen
	buffer_load_dword v2, v4, s[0:3], 0 offen offset:4
	buffer_load_dword v3, v4, s[0:3], 0 offen offset:8
	buffer_load_dword v4, v4, s[0:3], 0 offen offset:12
	s_waitcnt vmcnt(0)
	ds_write_b128 v5, v[1:4]
	s_waitcnt lgkmcnt(0)
	s_barrier
	buffer_gl0_inv
	v_cmpx_gt_u32_e32 10, v0
	s_cbranch_execz .LBB53_55
; %bb.52:
	v_mov_b32_e32 v1, 0
	v_mov_b32_e32 v3, 0
	v_add_nc_u32_e32 v7, -1, v0
	v_add_nc_u32_e32 v8, 0x360, v217
	v_mov_b32_e32 v2, 0
	v_mov_b32_e32 v4, 0
	v_add_nc_u32_e32 v9, 16, v217
	s_mov_b32 s5, 0
	.p2align	6
.LBB53_53:                              ; =>This Inner Loop Header: Depth=1
	s_clause 0x3
	buffer_load_dword v14, v9, s[0:3], 0 offen offset:8
	buffer_load_dword v15, v9, s[0:3], 0 offen offset:12
	buffer_load_dword v16, v9, s[0:3], 0 offen
	buffer_load_dword v17, v9, s[0:3], 0 offen offset:4
	ds_read_b128 v[10:13], v8
	v_add_nc_u32_e32 v7, 1, v7
	v_add_nc_u32_e32 v8, 16, v8
	;; [unrolled: 1-line block ×3, first 2 shown]
	v_cmp_lt_u32_e32 vcc_lo, 8, v7
	s_or_b32 s5, vcc_lo, s5
	s_waitcnt vmcnt(2) lgkmcnt(0)
	v_mul_f64 v[18:19], v[12:13], v[14:15]
	v_mul_f64 v[14:15], v[10:11], v[14:15]
	s_waitcnt vmcnt(0)
	v_fma_f64 v[10:11], v[10:11], v[16:17], -v[18:19]
	v_fma_f64 v[12:13], v[12:13], v[16:17], v[14:15]
	v_add_f64 v[3:4], v[3:4], v[10:11]
	v_add_f64 v[1:2], v[1:2], v[12:13]
	s_andn2_b32 exec_lo, exec_lo, s5
	s_cbranch_execnz .LBB53_53
; %bb.54:
	s_or_b32 exec_lo, exec_lo, s5
	v_mov_b32_e32 v7, 0
	ds_read_b128 v[7:10], v7 offset:160
	s_waitcnt lgkmcnt(0)
	v_mul_f64 v[11:12], v[1:2], v[9:10]
	v_mul_f64 v[9:10], v[3:4], v[9:10]
	v_fma_f64 v[3:4], v[3:4], v[7:8], -v[11:12]
	v_fma_f64 v[1:2], v[1:2], v[7:8], v[9:10]
	buffer_store_dword v4, off, s[0:3], 0 offset:180
	buffer_store_dword v3, off, s[0:3], 0 offset:176
	;; [unrolled: 1-line block ×4, first 2 shown]
.LBB53_55:
	s_or_b32 exec_lo, exec_lo, s4
	v_mov_b32_e32 v4, s55
	s_waitcnt_vscnt null, 0x0
	s_barrier
	buffer_gl0_inv
	s_mov_b32 s4, exec_lo
	s_clause 0x3
	buffer_load_dword v1, v4, s[0:3], 0 offen
	buffer_load_dword v2, v4, s[0:3], 0 offen offset:4
	buffer_load_dword v3, v4, s[0:3], 0 offen offset:8
	;; [unrolled: 1-line block ×3, first 2 shown]
	s_waitcnt vmcnt(0)
	ds_write_b128 v5, v[1:4]
	s_waitcnt lgkmcnt(0)
	s_barrier
	buffer_gl0_inv
	v_cmpx_gt_u32_e32 11, v0
	s_cbranch_execz .LBB53_59
; %bb.56:
	v_mov_b32_e32 v1, 0
	v_mov_b32_e32 v3, 0
	v_add_nc_u32_e32 v7, -1, v0
	v_add_nc_u32_e32 v8, 0x360, v217
	v_mov_b32_e32 v2, 0
	v_mov_b32_e32 v4, 0
	v_add_nc_u32_e32 v9, 16, v217
	s_mov_b32 s5, 0
	.p2align	6
.LBB53_57:                              ; =>This Inner Loop Header: Depth=1
	s_clause 0x3
	buffer_load_dword v14, v9, s[0:3], 0 offen offset:8
	buffer_load_dword v15, v9, s[0:3], 0 offen offset:12
	buffer_load_dword v16, v9, s[0:3], 0 offen
	buffer_load_dword v17, v9, s[0:3], 0 offen offset:4
	ds_read_b128 v[10:13], v8
	v_add_nc_u32_e32 v7, 1, v7
	v_add_nc_u32_e32 v8, 16, v8
	;; [unrolled: 1-line block ×3, first 2 shown]
	v_cmp_lt_u32_e32 vcc_lo, 9, v7
	s_or_b32 s5, vcc_lo, s5
	s_waitcnt vmcnt(2) lgkmcnt(0)
	v_mul_f64 v[18:19], v[12:13], v[14:15]
	v_mul_f64 v[14:15], v[10:11], v[14:15]
	s_waitcnt vmcnt(0)
	v_fma_f64 v[10:11], v[10:11], v[16:17], -v[18:19]
	v_fma_f64 v[12:13], v[12:13], v[16:17], v[14:15]
	v_add_f64 v[3:4], v[3:4], v[10:11]
	v_add_f64 v[1:2], v[1:2], v[12:13]
	s_andn2_b32 exec_lo, exec_lo, s5
	s_cbranch_execnz .LBB53_57
; %bb.58:
	s_or_b32 exec_lo, exec_lo, s5
	v_mov_b32_e32 v7, 0
	ds_read_b128 v[7:10], v7 offset:176
	s_waitcnt lgkmcnt(0)
	v_mul_f64 v[11:12], v[1:2], v[9:10]
	v_mul_f64 v[9:10], v[3:4], v[9:10]
	v_fma_f64 v[3:4], v[3:4], v[7:8], -v[11:12]
	v_fma_f64 v[1:2], v[1:2], v[7:8], v[9:10]
	buffer_store_dword v4, off, s[0:3], 0 offset:196
	buffer_store_dword v3, off, s[0:3], 0 offset:192
	;; [unrolled: 1-line block ×4, first 2 shown]
.LBB53_59:
	s_or_b32 exec_lo, exec_lo, s4
	v_mov_b32_e32 v4, s54
	s_waitcnt_vscnt null, 0x0
	s_barrier
	buffer_gl0_inv
	s_mov_b32 s4, exec_lo
	s_clause 0x3
	buffer_load_dword v1, v4, s[0:3], 0 offen
	buffer_load_dword v2, v4, s[0:3], 0 offen offset:4
	buffer_load_dword v3, v4, s[0:3], 0 offen offset:8
	;; [unrolled: 1-line block ×3, first 2 shown]
	s_waitcnt vmcnt(0)
	ds_write_b128 v5, v[1:4]
	s_waitcnt lgkmcnt(0)
	s_barrier
	buffer_gl0_inv
	v_cmpx_gt_u32_e32 12, v0
	s_cbranch_execz .LBB53_63
; %bb.60:
	v_mov_b32_e32 v1, 0
	v_mov_b32_e32 v3, 0
	v_add_nc_u32_e32 v7, -1, v0
	v_add_nc_u32_e32 v8, 0x360, v217
	v_mov_b32_e32 v2, 0
	v_mov_b32_e32 v4, 0
	v_add_nc_u32_e32 v9, 16, v217
	s_mov_b32 s5, 0
	.p2align	6
.LBB53_61:                              ; =>This Inner Loop Header: Depth=1
	s_clause 0x3
	buffer_load_dword v14, v9, s[0:3], 0 offen offset:8
	buffer_load_dword v15, v9, s[0:3], 0 offen offset:12
	buffer_load_dword v16, v9, s[0:3], 0 offen
	buffer_load_dword v17, v9, s[0:3], 0 offen offset:4
	ds_read_b128 v[10:13], v8
	v_add_nc_u32_e32 v7, 1, v7
	v_add_nc_u32_e32 v8, 16, v8
	;; [unrolled: 1-line block ×3, first 2 shown]
	v_cmp_lt_u32_e32 vcc_lo, 10, v7
	s_or_b32 s5, vcc_lo, s5
	s_waitcnt vmcnt(2) lgkmcnt(0)
	v_mul_f64 v[18:19], v[12:13], v[14:15]
	v_mul_f64 v[14:15], v[10:11], v[14:15]
	s_waitcnt vmcnt(0)
	v_fma_f64 v[10:11], v[10:11], v[16:17], -v[18:19]
	v_fma_f64 v[12:13], v[12:13], v[16:17], v[14:15]
	v_add_f64 v[3:4], v[3:4], v[10:11]
	v_add_f64 v[1:2], v[1:2], v[12:13]
	s_andn2_b32 exec_lo, exec_lo, s5
	s_cbranch_execnz .LBB53_61
; %bb.62:
	s_or_b32 exec_lo, exec_lo, s5
	v_mov_b32_e32 v7, 0
	ds_read_b128 v[7:10], v7 offset:192
	s_waitcnt lgkmcnt(0)
	v_mul_f64 v[11:12], v[1:2], v[9:10]
	v_mul_f64 v[9:10], v[3:4], v[9:10]
	v_fma_f64 v[3:4], v[3:4], v[7:8], -v[11:12]
	v_fma_f64 v[1:2], v[1:2], v[7:8], v[9:10]
	buffer_store_dword v4, off, s[0:3], 0 offset:212
	buffer_store_dword v3, off, s[0:3], 0 offset:208
	;; [unrolled: 1-line block ×4, first 2 shown]
.LBB53_63:
	s_or_b32 exec_lo, exec_lo, s4
	v_mov_b32_e32 v4, s53
	s_waitcnt_vscnt null, 0x0
	s_barrier
	buffer_gl0_inv
	s_mov_b32 s4, exec_lo
	s_clause 0x3
	buffer_load_dword v1, v4, s[0:3], 0 offen
	buffer_load_dword v2, v4, s[0:3], 0 offen offset:4
	buffer_load_dword v3, v4, s[0:3], 0 offen offset:8
	buffer_load_dword v4, v4, s[0:3], 0 offen offset:12
	s_waitcnt vmcnt(0)
	ds_write_b128 v5, v[1:4]
	s_waitcnt lgkmcnt(0)
	s_barrier
	buffer_gl0_inv
	v_cmpx_gt_u32_e32 13, v0
	s_cbranch_execz .LBB53_67
; %bb.64:
	v_mov_b32_e32 v1, 0
	v_mov_b32_e32 v3, 0
	v_add_nc_u32_e32 v7, -1, v0
	v_add_nc_u32_e32 v8, 0x360, v217
	v_mov_b32_e32 v2, 0
	v_mov_b32_e32 v4, 0
	v_add_nc_u32_e32 v9, 16, v217
	s_mov_b32 s5, 0
	.p2align	6
.LBB53_65:                              ; =>This Inner Loop Header: Depth=1
	s_clause 0x3
	buffer_load_dword v14, v9, s[0:3], 0 offen offset:8
	buffer_load_dword v15, v9, s[0:3], 0 offen offset:12
	buffer_load_dword v16, v9, s[0:3], 0 offen
	buffer_load_dword v17, v9, s[0:3], 0 offen offset:4
	ds_read_b128 v[10:13], v8
	v_add_nc_u32_e32 v7, 1, v7
	v_add_nc_u32_e32 v8, 16, v8
	;; [unrolled: 1-line block ×3, first 2 shown]
	v_cmp_lt_u32_e32 vcc_lo, 11, v7
	s_or_b32 s5, vcc_lo, s5
	s_waitcnt vmcnt(2) lgkmcnt(0)
	v_mul_f64 v[18:19], v[12:13], v[14:15]
	v_mul_f64 v[14:15], v[10:11], v[14:15]
	s_waitcnt vmcnt(0)
	v_fma_f64 v[10:11], v[10:11], v[16:17], -v[18:19]
	v_fma_f64 v[12:13], v[12:13], v[16:17], v[14:15]
	v_add_f64 v[3:4], v[3:4], v[10:11]
	v_add_f64 v[1:2], v[1:2], v[12:13]
	s_andn2_b32 exec_lo, exec_lo, s5
	s_cbranch_execnz .LBB53_65
; %bb.66:
	s_or_b32 exec_lo, exec_lo, s5
	v_mov_b32_e32 v7, 0
	ds_read_b128 v[7:10], v7 offset:208
	s_waitcnt lgkmcnt(0)
	v_mul_f64 v[11:12], v[1:2], v[9:10]
	v_mul_f64 v[9:10], v[3:4], v[9:10]
	v_fma_f64 v[3:4], v[3:4], v[7:8], -v[11:12]
	v_fma_f64 v[1:2], v[1:2], v[7:8], v[9:10]
	buffer_store_dword v4, off, s[0:3], 0 offset:228
	buffer_store_dword v3, off, s[0:3], 0 offset:224
	;; [unrolled: 1-line block ×4, first 2 shown]
.LBB53_67:
	s_or_b32 exec_lo, exec_lo, s4
	v_mov_b32_e32 v4, s52
	s_waitcnt_vscnt null, 0x0
	s_barrier
	buffer_gl0_inv
	s_mov_b32 s4, exec_lo
	s_clause 0x3
	buffer_load_dword v1, v4, s[0:3], 0 offen
	buffer_load_dword v2, v4, s[0:3], 0 offen offset:4
	buffer_load_dword v3, v4, s[0:3], 0 offen offset:8
	;; [unrolled: 1-line block ×3, first 2 shown]
	s_waitcnt vmcnt(0)
	ds_write_b128 v5, v[1:4]
	s_waitcnt lgkmcnt(0)
	s_barrier
	buffer_gl0_inv
	v_cmpx_gt_u32_e32 14, v0
	s_cbranch_execz .LBB53_71
; %bb.68:
	v_mov_b32_e32 v1, 0
	v_mov_b32_e32 v3, 0
	v_add_nc_u32_e32 v7, -1, v0
	v_add_nc_u32_e32 v8, 0x360, v217
	v_mov_b32_e32 v2, 0
	v_mov_b32_e32 v4, 0
	v_add_nc_u32_e32 v9, 16, v217
	s_mov_b32 s5, 0
	.p2align	6
.LBB53_69:                              ; =>This Inner Loop Header: Depth=1
	s_clause 0x3
	buffer_load_dword v14, v9, s[0:3], 0 offen offset:8
	buffer_load_dword v15, v9, s[0:3], 0 offen offset:12
	buffer_load_dword v16, v9, s[0:3], 0 offen
	buffer_load_dword v17, v9, s[0:3], 0 offen offset:4
	ds_read_b128 v[10:13], v8
	v_add_nc_u32_e32 v7, 1, v7
	v_add_nc_u32_e32 v8, 16, v8
	;; [unrolled: 1-line block ×3, first 2 shown]
	v_cmp_lt_u32_e32 vcc_lo, 12, v7
	s_or_b32 s5, vcc_lo, s5
	s_waitcnt vmcnt(2) lgkmcnt(0)
	v_mul_f64 v[18:19], v[12:13], v[14:15]
	v_mul_f64 v[14:15], v[10:11], v[14:15]
	s_waitcnt vmcnt(0)
	v_fma_f64 v[10:11], v[10:11], v[16:17], -v[18:19]
	v_fma_f64 v[12:13], v[12:13], v[16:17], v[14:15]
	v_add_f64 v[3:4], v[3:4], v[10:11]
	v_add_f64 v[1:2], v[1:2], v[12:13]
	s_andn2_b32 exec_lo, exec_lo, s5
	s_cbranch_execnz .LBB53_69
; %bb.70:
	s_or_b32 exec_lo, exec_lo, s5
	v_mov_b32_e32 v7, 0
	ds_read_b128 v[7:10], v7 offset:224
	s_waitcnt lgkmcnt(0)
	v_mul_f64 v[11:12], v[1:2], v[9:10]
	v_mul_f64 v[9:10], v[3:4], v[9:10]
	v_fma_f64 v[3:4], v[3:4], v[7:8], -v[11:12]
	v_fma_f64 v[1:2], v[1:2], v[7:8], v[9:10]
	buffer_store_dword v4, off, s[0:3], 0 offset:244
	buffer_store_dword v3, off, s[0:3], 0 offset:240
	;; [unrolled: 1-line block ×4, first 2 shown]
.LBB53_71:
	s_or_b32 exec_lo, exec_lo, s4
	v_mov_b32_e32 v4, s51
	s_waitcnt_vscnt null, 0x0
	s_barrier
	buffer_gl0_inv
	s_mov_b32 s4, exec_lo
	s_clause 0x3
	buffer_load_dword v1, v4, s[0:3], 0 offen
	buffer_load_dword v2, v4, s[0:3], 0 offen offset:4
	buffer_load_dword v3, v4, s[0:3], 0 offen offset:8
	buffer_load_dword v4, v4, s[0:3], 0 offen offset:12
	s_waitcnt vmcnt(0)
	ds_write_b128 v5, v[1:4]
	s_waitcnt lgkmcnt(0)
	s_barrier
	buffer_gl0_inv
	v_cmpx_gt_u32_e32 15, v0
	s_cbranch_execz .LBB53_75
; %bb.72:
	v_mov_b32_e32 v1, 0
	v_mov_b32_e32 v3, 0
	v_add_nc_u32_e32 v7, -1, v0
	v_add_nc_u32_e32 v8, 0x360, v217
	v_mov_b32_e32 v2, 0
	v_mov_b32_e32 v4, 0
	v_add_nc_u32_e32 v9, 16, v217
	s_mov_b32 s5, 0
	.p2align	6
.LBB53_73:                              ; =>This Inner Loop Header: Depth=1
	s_clause 0x3
	buffer_load_dword v14, v9, s[0:3], 0 offen offset:8
	buffer_load_dword v15, v9, s[0:3], 0 offen offset:12
	buffer_load_dword v16, v9, s[0:3], 0 offen
	buffer_load_dword v17, v9, s[0:3], 0 offen offset:4
	ds_read_b128 v[10:13], v8
	v_add_nc_u32_e32 v7, 1, v7
	v_add_nc_u32_e32 v8, 16, v8
	;; [unrolled: 1-line block ×3, first 2 shown]
	v_cmp_lt_u32_e32 vcc_lo, 13, v7
	s_or_b32 s5, vcc_lo, s5
	s_waitcnt vmcnt(2) lgkmcnt(0)
	v_mul_f64 v[18:19], v[12:13], v[14:15]
	v_mul_f64 v[14:15], v[10:11], v[14:15]
	s_waitcnt vmcnt(0)
	v_fma_f64 v[10:11], v[10:11], v[16:17], -v[18:19]
	v_fma_f64 v[12:13], v[12:13], v[16:17], v[14:15]
	v_add_f64 v[3:4], v[3:4], v[10:11]
	v_add_f64 v[1:2], v[1:2], v[12:13]
	s_andn2_b32 exec_lo, exec_lo, s5
	s_cbranch_execnz .LBB53_73
; %bb.74:
	s_or_b32 exec_lo, exec_lo, s5
	v_mov_b32_e32 v7, 0
	ds_read_b128 v[7:10], v7 offset:240
	s_waitcnt lgkmcnt(0)
	v_mul_f64 v[11:12], v[1:2], v[9:10]
	v_mul_f64 v[9:10], v[3:4], v[9:10]
	v_fma_f64 v[3:4], v[3:4], v[7:8], -v[11:12]
	v_fma_f64 v[1:2], v[1:2], v[7:8], v[9:10]
	buffer_store_dword v4, off, s[0:3], 0 offset:260
	buffer_store_dword v3, off, s[0:3], 0 offset:256
	;; [unrolled: 1-line block ×4, first 2 shown]
.LBB53_75:
	s_or_b32 exec_lo, exec_lo, s4
	v_mov_b32_e32 v4, s50
	s_waitcnt_vscnt null, 0x0
	s_barrier
	buffer_gl0_inv
	s_mov_b32 s4, exec_lo
	s_clause 0x3
	buffer_load_dword v1, v4, s[0:3], 0 offen
	buffer_load_dword v2, v4, s[0:3], 0 offen offset:4
	buffer_load_dword v3, v4, s[0:3], 0 offen offset:8
	;; [unrolled: 1-line block ×3, first 2 shown]
	s_waitcnt vmcnt(0)
	ds_write_b128 v5, v[1:4]
	s_waitcnt lgkmcnt(0)
	s_barrier
	buffer_gl0_inv
	v_cmpx_gt_u32_e32 16, v0
	s_cbranch_execz .LBB53_79
; %bb.76:
	v_mov_b32_e32 v1, 0
	v_mov_b32_e32 v3, 0
	v_add_nc_u32_e32 v7, -1, v0
	v_add_nc_u32_e32 v8, 0x360, v217
	v_mov_b32_e32 v2, 0
	v_mov_b32_e32 v4, 0
	v_add_nc_u32_e32 v9, 16, v217
	s_mov_b32 s5, 0
	.p2align	6
.LBB53_77:                              ; =>This Inner Loop Header: Depth=1
	s_clause 0x3
	buffer_load_dword v14, v9, s[0:3], 0 offen offset:8
	buffer_load_dword v15, v9, s[0:3], 0 offen offset:12
	buffer_load_dword v16, v9, s[0:3], 0 offen
	buffer_load_dword v17, v9, s[0:3], 0 offen offset:4
	ds_read_b128 v[10:13], v8
	v_add_nc_u32_e32 v7, 1, v7
	v_add_nc_u32_e32 v8, 16, v8
	;; [unrolled: 1-line block ×3, first 2 shown]
	v_cmp_lt_u32_e32 vcc_lo, 14, v7
	s_or_b32 s5, vcc_lo, s5
	s_waitcnt vmcnt(2) lgkmcnt(0)
	v_mul_f64 v[18:19], v[12:13], v[14:15]
	v_mul_f64 v[14:15], v[10:11], v[14:15]
	s_waitcnt vmcnt(0)
	v_fma_f64 v[10:11], v[10:11], v[16:17], -v[18:19]
	v_fma_f64 v[12:13], v[12:13], v[16:17], v[14:15]
	v_add_f64 v[3:4], v[3:4], v[10:11]
	v_add_f64 v[1:2], v[1:2], v[12:13]
	s_andn2_b32 exec_lo, exec_lo, s5
	s_cbranch_execnz .LBB53_77
; %bb.78:
	s_or_b32 exec_lo, exec_lo, s5
	v_mov_b32_e32 v7, 0
	ds_read_b128 v[7:10], v7 offset:256
	s_waitcnt lgkmcnt(0)
	v_mul_f64 v[11:12], v[1:2], v[9:10]
	v_mul_f64 v[9:10], v[3:4], v[9:10]
	v_fma_f64 v[3:4], v[3:4], v[7:8], -v[11:12]
	v_fma_f64 v[1:2], v[1:2], v[7:8], v[9:10]
	buffer_store_dword v4, off, s[0:3], 0 offset:276
	buffer_store_dword v3, off, s[0:3], 0 offset:272
	buffer_store_dword v2, off, s[0:3], 0 offset:284
	buffer_store_dword v1, off, s[0:3], 0 offset:280
.LBB53_79:
	s_or_b32 exec_lo, exec_lo, s4
	v_mov_b32_e32 v4, s49
	s_waitcnt_vscnt null, 0x0
	s_barrier
	buffer_gl0_inv
	s_mov_b32 s4, exec_lo
	s_clause 0x3
	buffer_load_dword v1, v4, s[0:3], 0 offen
	buffer_load_dword v2, v4, s[0:3], 0 offen offset:4
	buffer_load_dword v3, v4, s[0:3], 0 offen offset:8
	;; [unrolled: 1-line block ×3, first 2 shown]
	s_waitcnt vmcnt(0)
	ds_write_b128 v5, v[1:4]
	s_waitcnt lgkmcnt(0)
	s_barrier
	buffer_gl0_inv
	v_cmpx_gt_u32_e32 17, v0
	s_cbranch_execz .LBB53_83
; %bb.80:
	v_mov_b32_e32 v1, 0
	v_mov_b32_e32 v3, 0
	v_add_nc_u32_e32 v7, -1, v0
	v_add_nc_u32_e32 v8, 0x360, v217
	v_mov_b32_e32 v2, 0
	v_mov_b32_e32 v4, 0
	v_add_nc_u32_e32 v9, 16, v217
	s_mov_b32 s5, 0
	.p2align	6
.LBB53_81:                              ; =>This Inner Loop Header: Depth=1
	s_clause 0x3
	buffer_load_dword v14, v9, s[0:3], 0 offen offset:8
	buffer_load_dword v15, v9, s[0:3], 0 offen offset:12
	buffer_load_dword v16, v9, s[0:3], 0 offen
	buffer_load_dword v17, v9, s[0:3], 0 offen offset:4
	ds_read_b128 v[10:13], v8
	v_add_nc_u32_e32 v7, 1, v7
	v_add_nc_u32_e32 v8, 16, v8
	;; [unrolled: 1-line block ×3, first 2 shown]
	v_cmp_lt_u32_e32 vcc_lo, 15, v7
	s_or_b32 s5, vcc_lo, s5
	s_waitcnt vmcnt(2) lgkmcnt(0)
	v_mul_f64 v[18:19], v[12:13], v[14:15]
	v_mul_f64 v[14:15], v[10:11], v[14:15]
	s_waitcnt vmcnt(0)
	v_fma_f64 v[10:11], v[10:11], v[16:17], -v[18:19]
	v_fma_f64 v[12:13], v[12:13], v[16:17], v[14:15]
	v_add_f64 v[3:4], v[3:4], v[10:11]
	v_add_f64 v[1:2], v[1:2], v[12:13]
	s_andn2_b32 exec_lo, exec_lo, s5
	s_cbranch_execnz .LBB53_81
; %bb.82:
	s_or_b32 exec_lo, exec_lo, s5
	v_mov_b32_e32 v7, 0
	ds_read_b128 v[7:10], v7 offset:272
	s_waitcnt lgkmcnt(0)
	v_mul_f64 v[11:12], v[1:2], v[9:10]
	v_mul_f64 v[9:10], v[3:4], v[9:10]
	v_fma_f64 v[3:4], v[3:4], v[7:8], -v[11:12]
	v_fma_f64 v[1:2], v[1:2], v[7:8], v[9:10]
	buffer_store_dword v4, off, s[0:3], 0 offset:292
	buffer_store_dword v3, off, s[0:3], 0 offset:288
	;; [unrolled: 1-line block ×4, first 2 shown]
.LBB53_83:
	s_or_b32 exec_lo, exec_lo, s4
	v_mov_b32_e32 v4, s48
	s_waitcnt_vscnt null, 0x0
	s_barrier
	buffer_gl0_inv
	s_mov_b32 s4, exec_lo
	s_clause 0x3
	buffer_load_dword v1, v4, s[0:3], 0 offen
	buffer_load_dword v2, v4, s[0:3], 0 offen offset:4
	buffer_load_dword v3, v4, s[0:3], 0 offen offset:8
	;; [unrolled: 1-line block ×3, first 2 shown]
	s_waitcnt vmcnt(0)
	ds_write_b128 v5, v[1:4]
	s_waitcnt lgkmcnt(0)
	s_barrier
	buffer_gl0_inv
	v_cmpx_gt_u32_e32 18, v0
	s_cbranch_execz .LBB53_87
; %bb.84:
	v_mov_b32_e32 v1, 0
	v_mov_b32_e32 v3, 0
	v_add_nc_u32_e32 v7, -1, v0
	v_add_nc_u32_e32 v8, 0x360, v217
	v_mov_b32_e32 v2, 0
	v_mov_b32_e32 v4, 0
	v_add_nc_u32_e32 v9, 16, v217
	s_mov_b32 s5, 0
	.p2align	6
.LBB53_85:                              ; =>This Inner Loop Header: Depth=1
	s_clause 0x3
	buffer_load_dword v14, v9, s[0:3], 0 offen offset:8
	buffer_load_dword v15, v9, s[0:3], 0 offen offset:12
	buffer_load_dword v16, v9, s[0:3], 0 offen
	buffer_load_dword v17, v9, s[0:3], 0 offen offset:4
	ds_read_b128 v[10:13], v8
	v_add_nc_u32_e32 v7, 1, v7
	v_add_nc_u32_e32 v8, 16, v8
	;; [unrolled: 1-line block ×3, first 2 shown]
	v_cmp_lt_u32_e32 vcc_lo, 16, v7
	s_or_b32 s5, vcc_lo, s5
	s_waitcnt vmcnt(2) lgkmcnt(0)
	v_mul_f64 v[18:19], v[12:13], v[14:15]
	v_mul_f64 v[14:15], v[10:11], v[14:15]
	s_waitcnt vmcnt(0)
	v_fma_f64 v[10:11], v[10:11], v[16:17], -v[18:19]
	v_fma_f64 v[12:13], v[12:13], v[16:17], v[14:15]
	v_add_f64 v[3:4], v[3:4], v[10:11]
	v_add_f64 v[1:2], v[1:2], v[12:13]
	s_andn2_b32 exec_lo, exec_lo, s5
	s_cbranch_execnz .LBB53_85
; %bb.86:
	s_or_b32 exec_lo, exec_lo, s5
	v_mov_b32_e32 v7, 0
	ds_read_b128 v[7:10], v7 offset:288
	s_waitcnt lgkmcnt(0)
	v_mul_f64 v[11:12], v[1:2], v[9:10]
	v_mul_f64 v[9:10], v[3:4], v[9:10]
	v_fma_f64 v[3:4], v[3:4], v[7:8], -v[11:12]
	v_fma_f64 v[1:2], v[1:2], v[7:8], v[9:10]
	buffer_store_dword v4, off, s[0:3], 0 offset:308
	buffer_store_dword v3, off, s[0:3], 0 offset:304
	;; [unrolled: 1-line block ×4, first 2 shown]
.LBB53_87:
	s_or_b32 exec_lo, exec_lo, s4
	v_mov_b32_e32 v4, s47
	s_waitcnt_vscnt null, 0x0
	s_barrier
	buffer_gl0_inv
	s_mov_b32 s4, exec_lo
	s_clause 0x3
	buffer_load_dword v1, v4, s[0:3], 0 offen
	buffer_load_dword v2, v4, s[0:3], 0 offen offset:4
	buffer_load_dword v3, v4, s[0:3], 0 offen offset:8
	;; [unrolled: 1-line block ×3, first 2 shown]
	s_waitcnt vmcnt(0)
	ds_write_b128 v5, v[1:4]
	s_waitcnt lgkmcnt(0)
	s_barrier
	buffer_gl0_inv
	v_cmpx_gt_u32_e32 19, v0
	s_cbranch_execz .LBB53_91
; %bb.88:
	v_mov_b32_e32 v1, 0
	v_mov_b32_e32 v3, 0
	v_add_nc_u32_e32 v7, -1, v0
	v_add_nc_u32_e32 v8, 0x360, v217
	v_mov_b32_e32 v2, 0
	v_mov_b32_e32 v4, 0
	v_add_nc_u32_e32 v9, 16, v217
	s_mov_b32 s5, 0
	.p2align	6
.LBB53_89:                              ; =>This Inner Loop Header: Depth=1
	s_clause 0x3
	buffer_load_dword v14, v9, s[0:3], 0 offen offset:8
	buffer_load_dword v15, v9, s[0:3], 0 offen offset:12
	buffer_load_dword v16, v9, s[0:3], 0 offen
	buffer_load_dword v17, v9, s[0:3], 0 offen offset:4
	ds_read_b128 v[10:13], v8
	v_add_nc_u32_e32 v7, 1, v7
	v_add_nc_u32_e32 v8, 16, v8
	;; [unrolled: 1-line block ×3, first 2 shown]
	v_cmp_lt_u32_e32 vcc_lo, 17, v7
	s_or_b32 s5, vcc_lo, s5
	s_waitcnt vmcnt(2) lgkmcnt(0)
	v_mul_f64 v[18:19], v[12:13], v[14:15]
	v_mul_f64 v[14:15], v[10:11], v[14:15]
	s_waitcnt vmcnt(0)
	v_fma_f64 v[10:11], v[10:11], v[16:17], -v[18:19]
	v_fma_f64 v[12:13], v[12:13], v[16:17], v[14:15]
	v_add_f64 v[3:4], v[3:4], v[10:11]
	v_add_f64 v[1:2], v[1:2], v[12:13]
	s_andn2_b32 exec_lo, exec_lo, s5
	s_cbranch_execnz .LBB53_89
; %bb.90:
	s_or_b32 exec_lo, exec_lo, s5
	v_mov_b32_e32 v7, 0
	ds_read_b128 v[7:10], v7 offset:304
	s_waitcnt lgkmcnt(0)
	v_mul_f64 v[11:12], v[1:2], v[9:10]
	v_mul_f64 v[9:10], v[3:4], v[9:10]
	v_fma_f64 v[3:4], v[3:4], v[7:8], -v[11:12]
	v_fma_f64 v[1:2], v[1:2], v[7:8], v[9:10]
	buffer_store_dword v4, off, s[0:3], 0 offset:324
	buffer_store_dword v3, off, s[0:3], 0 offset:320
	;; [unrolled: 1-line block ×4, first 2 shown]
.LBB53_91:
	s_or_b32 exec_lo, exec_lo, s4
	v_mov_b32_e32 v4, s46
	s_waitcnt_vscnt null, 0x0
	s_barrier
	buffer_gl0_inv
	s_mov_b32 s4, exec_lo
	s_clause 0x3
	buffer_load_dword v1, v4, s[0:3], 0 offen
	buffer_load_dword v2, v4, s[0:3], 0 offen offset:4
	buffer_load_dword v3, v4, s[0:3], 0 offen offset:8
	;; [unrolled: 1-line block ×3, first 2 shown]
	s_waitcnt vmcnt(0)
	ds_write_b128 v5, v[1:4]
	s_waitcnt lgkmcnt(0)
	s_barrier
	buffer_gl0_inv
	v_cmpx_gt_u32_e32 20, v0
	s_cbranch_execz .LBB53_95
; %bb.92:
	v_mov_b32_e32 v1, 0
	v_mov_b32_e32 v3, 0
	v_add_nc_u32_e32 v7, -1, v0
	v_add_nc_u32_e32 v8, 0x360, v217
	v_mov_b32_e32 v2, 0
	v_mov_b32_e32 v4, 0
	v_add_nc_u32_e32 v9, 16, v217
	s_mov_b32 s5, 0
	.p2align	6
.LBB53_93:                              ; =>This Inner Loop Header: Depth=1
	s_clause 0x3
	buffer_load_dword v14, v9, s[0:3], 0 offen offset:8
	buffer_load_dword v15, v9, s[0:3], 0 offen offset:12
	buffer_load_dword v16, v9, s[0:3], 0 offen
	buffer_load_dword v17, v9, s[0:3], 0 offen offset:4
	ds_read_b128 v[10:13], v8
	v_add_nc_u32_e32 v7, 1, v7
	v_add_nc_u32_e32 v8, 16, v8
	;; [unrolled: 1-line block ×3, first 2 shown]
	v_cmp_lt_u32_e32 vcc_lo, 18, v7
	s_or_b32 s5, vcc_lo, s5
	s_waitcnt vmcnt(2) lgkmcnt(0)
	v_mul_f64 v[18:19], v[12:13], v[14:15]
	v_mul_f64 v[14:15], v[10:11], v[14:15]
	s_waitcnt vmcnt(0)
	v_fma_f64 v[10:11], v[10:11], v[16:17], -v[18:19]
	v_fma_f64 v[12:13], v[12:13], v[16:17], v[14:15]
	v_add_f64 v[3:4], v[3:4], v[10:11]
	v_add_f64 v[1:2], v[1:2], v[12:13]
	s_andn2_b32 exec_lo, exec_lo, s5
	s_cbranch_execnz .LBB53_93
; %bb.94:
	s_or_b32 exec_lo, exec_lo, s5
	v_mov_b32_e32 v7, 0
	ds_read_b128 v[7:10], v7 offset:320
	s_waitcnt lgkmcnt(0)
	v_mul_f64 v[11:12], v[1:2], v[9:10]
	v_mul_f64 v[9:10], v[3:4], v[9:10]
	v_fma_f64 v[3:4], v[3:4], v[7:8], -v[11:12]
	v_fma_f64 v[1:2], v[1:2], v[7:8], v[9:10]
	buffer_store_dword v4, off, s[0:3], 0 offset:340
	buffer_store_dword v3, off, s[0:3], 0 offset:336
	buffer_store_dword v2, off, s[0:3], 0 offset:348
	buffer_store_dword v1, off, s[0:3], 0 offset:344
.LBB53_95:
	s_or_b32 exec_lo, exec_lo, s4
	v_mov_b32_e32 v4, s45
	s_waitcnt_vscnt null, 0x0
	s_barrier
	buffer_gl0_inv
	s_mov_b32 s4, exec_lo
	s_clause 0x3
	buffer_load_dword v1, v4, s[0:3], 0 offen
	buffer_load_dword v2, v4, s[0:3], 0 offen offset:4
	buffer_load_dword v3, v4, s[0:3], 0 offen offset:8
	;; [unrolled: 1-line block ×3, first 2 shown]
	s_waitcnt vmcnt(0)
	ds_write_b128 v5, v[1:4]
	s_waitcnt lgkmcnt(0)
	s_barrier
	buffer_gl0_inv
	v_cmpx_gt_u32_e32 21, v0
	s_cbranch_execz .LBB53_99
; %bb.96:
	v_mov_b32_e32 v1, 0
	v_mov_b32_e32 v3, 0
	v_add_nc_u32_e32 v7, -1, v0
	v_add_nc_u32_e32 v8, 0x360, v217
	v_mov_b32_e32 v2, 0
	v_mov_b32_e32 v4, 0
	v_add_nc_u32_e32 v9, 16, v217
	s_mov_b32 s5, 0
	.p2align	6
.LBB53_97:                              ; =>This Inner Loop Header: Depth=1
	s_clause 0x3
	buffer_load_dword v14, v9, s[0:3], 0 offen offset:8
	buffer_load_dword v15, v9, s[0:3], 0 offen offset:12
	buffer_load_dword v16, v9, s[0:3], 0 offen
	buffer_load_dword v17, v9, s[0:3], 0 offen offset:4
	ds_read_b128 v[10:13], v8
	v_add_nc_u32_e32 v7, 1, v7
	v_add_nc_u32_e32 v8, 16, v8
	;; [unrolled: 1-line block ×3, first 2 shown]
	v_cmp_lt_u32_e32 vcc_lo, 19, v7
	s_or_b32 s5, vcc_lo, s5
	s_waitcnt vmcnt(2) lgkmcnt(0)
	v_mul_f64 v[18:19], v[12:13], v[14:15]
	v_mul_f64 v[14:15], v[10:11], v[14:15]
	s_waitcnt vmcnt(0)
	v_fma_f64 v[10:11], v[10:11], v[16:17], -v[18:19]
	v_fma_f64 v[12:13], v[12:13], v[16:17], v[14:15]
	v_add_f64 v[3:4], v[3:4], v[10:11]
	v_add_f64 v[1:2], v[1:2], v[12:13]
	s_andn2_b32 exec_lo, exec_lo, s5
	s_cbranch_execnz .LBB53_97
; %bb.98:
	s_or_b32 exec_lo, exec_lo, s5
	v_mov_b32_e32 v7, 0
	ds_read_b128 v[7:10], v7 offset:336
	s_waitcnt lgkmcnt(0)
	v_mul_f64 v[11:12], v[1:2], v[9:10]
	v_mul_f64 v[9:10], v[3:4], v[9:10]
	v_fma_f64 v[3:4], v[3:4], v[7:8], -v[11:12]
	v_fma_f64 v[1:2], v[1:2], v[7:8], v[9:10]
	buffer_store_dword v4, off, s[0:3], 0 offset:356
	buffer_store_dword v3, off, s[0:3], 0 offset:352
	;; [unrolled: 1-line block ×4, first 2 shown]
.LBB53_99:
	s_or_b32 exec_lo, exec_lo, s4
	v_mov_b32_e32 v4, s44
	s_waitcnt_vscnt null, 0x0
	s_barrier
	buffer_gl0_inv
	s_mov_b32 s4, exec_lo
	s_clause 0x3
	buffer_load_dword v1, v4, s[0:3], 0 offen
	buffer_load_dword v2, v4, s[0:3], 0 offen offset:4
	buffer_load_dword v3, v4, s[0:3], 0 offen offset:8
	;; [unrolled: 1-line block ×3, first 2 shown]
	s_waitcnt vmcnt(0)
	ds_write_b128 v5, v[1:4]
	s_waitcnt lgkmcnt(0)
	s_barrier
	buffer_gl0_inv
	v_cmpx_gt_u32_e32 22, v0
	s_cbranch_execz .LBB53_103
; %bb.100:
	v_mov_b32_e32 v1, 0
	v_mov_b32_e32 v3, 0
	v_add_nc_u32_e32 v7, -1, v0
	v_add_nc_u32_e32 v8, 0x360, v217
	v_mov_b32_e32 v2, 0
	v_mov_b32_e32 v4, 0
	v_add_nc_u32_e32 v9, 16, v217
	s_mov_b32 s5, 0
	.p2align	6
.LBB53_101:                             ; =>This Inner Loop Header: Depth=1
	s_clause 0x3
	buffer_load_dword v14, v9, s[0:3], 0 offen offset:8
	buffer_load_dword v15, v9, s[0:3], 0 offen offset:12
	buffer_load_dword v16, v9, s[0:3], 0 offen
	buffer_load_dword v17, v9, s[0:3], 0 offen offset:4
	ds_read_b128 v[10:13], v8
	v_add_nc_u32_e32 v7, 1, v7
	v_add_nc_u32_e32 v8, 16, v8
	v_add_nc_u32_e32 v9, 16, v9
	v_cmp_lt_u32_e32 vcc_lo, 20, v7
	s_or_b32 s5, vcc_lo, s5
	s_waitcnt vmcnt(2) lgkmcnt(0)
	v_mul_f64 v[18:19], v[12:13], v[14:15]
	v_mul_f64 v[14:15], v[10:11], v[14:15]
	s_waitcnt vmcnt(0)
	v_fma_f64 v[10:11], v[10:11], v[16:17], -v[18:19]
	v_fma_f64 v[12:13], v[12:13], v[16:17], v[14:15]
	v_add_f64 v[3:4], v[3:4], v[10:11]
	v_add_f64 v[1:2], v[1:2], v[12:13]
	s_andn2_b32 exec_lo, exec_lo, s5
	s_cbranch_execnz .LBB53_101
; %bb.102:
	s_or_b32 exec_lo, exec_lo, s5
	v_mov_b32_e32 v7, 0
	ds_read_b128 v[7:10], v7 offset:352
	s_waitcnt lgkmcnt(0)
	v_mul_f64 v[11:12], v[1:2], v[9:10]
	v_mul_f64 v[9:10], v[3:4], v[9:10]
	v_fma_f64 v[3:4], v[3:4], v[7:8], -v[11:12]
	v_fma_f64 v[1:2], v[1:2], v[7:8], v[9:10]
	buffer_store_dword v4, off, s[0:3], 0 offset:372
	buffer_store_dword v3, off, s[0:3], 0 offset:368
	;; [unrolled: 1-line block ×4, first 2 shown]
.LBB53_103:
	s_or_b32 exec_lo, exec_lo, s4
	v_mov_b32_e32 v4, s43
	s_waitcnt_vscnt null, 0x0
	s_barrier
	buffer_gl0_inv
	s_mov_b32 s4, exec_lo
	s_clause 0x3
	buffer_load_dword v1, v4, s[0:3], 0 offen
	buffer_load_dword v2, v4, s[0:3], 0 offen offset:4
	buffer_load_dword v3, v4, s[0:3], 0 offen offset:8
	;; [unrolled: 1-line block ×3, first 2 shown]
	s_waitcnt vmcnt(0)
	ds_write_b128 v5, v[1:4]
	s_waitcnt lgkmcnt(0)
	s_barrier
	buffer_gl0_inv
	v_cmpx_gt_u32_e32 23, v0
	s_cbranch_execz .LBB53_107
; %bb.104:
	v_mov_b32_e32 v1, 0
	v_mov_b32_e32 v3, 0
	v_add_nc_u32_e32 v7, -1, v0
	v_add_nc_u32_e32 v8, 0x360, v217
	v_mov_b32_e32 v2, 0
	v_mov_b32_e32 v4, 0
	v_add_nc_u32_e32 v9, 16, v217
	s_mov_b32 s5, 0
	.p2align	6
.LBB53_105:                             ; =>This Inner Loop Header: Depth=1
	s_clause 0x3
	buffer_load_dword v14, v9, s[0:3], 0 offen offset:8
	buffer_load_dword v15, v9, s[0:3], 0 offen offset:12
	buffer_load_dword v16, v9, s[0:3], 0 offen
	buffer_load_dword v17, v9, s[0:3], 0 offen offset:4
	ds_read_b128 v[10:13], v8
	v_add_nc_u32_e32 v7, 1, v7
	v_add_nc_u32_e32 v8, 16, v8
	;; [unrolled: 1-line block ×3, first 2 shown]
	v_cmp_lt_u32_e32 vcc_lo, 21, v7
	s_or_b32 s5, vcc_lo, s5
	s_waitcnt vmcnt(2) lgkmcnt(0)
	v_mul_f64 v[18:19], v[12:13], v[14:15]
	v_mul_f64 v[14:15], v[10:11], v[14:15]
	s_waitcnt vmcnt(0)
	v_fma_f64 v[10:11], v[10:11], v[16:17], -v[18:19]
	v_fma_f64 v[12:13], v[12:13], v[16:17], v[14:15]
	v_add_f64 v[3:4], v[3:4], v[10:11]
	v_add_f64 v[1:2], v[1:2], v[12:13]
	s_andn2_b32 exec_lo, exec_lo, s5
	s_cbranch_execnz .LBB53_105
; %bb.106:
	s_or_b32 exec_lo, exec_lo, s5
	v_mov_b32_e32 v7, 0
	ds_read_b128 v[7:10], v7 offset:368
	s_waitcnt lgkmcnt(0)
	v_mul_f64 v[11:12], v[1:2], v[9:10]
	v_mul_f64 v[9:10], v[3:4], v[9:10]
	v_fma_f64 v[3:4], v[3:4], v[7:8], -v[11:12]
	v_fma_f64 v[1:2], v[1:2], v[7:8], v[9:10]
	buffer_store_dword v4, off, s[0:3], 0 offset:388
	buffer_store_dword v3, off, s[0:3], 0 offset:384
	;; [unrolled: 1-line block ×4, first 2 shown]
.LBB53_107:
	s_or_b32 exec_lo, exec_lo, s4
	v_mov_b32_e32 v4, s42
	s_waitcnt_vscnt null, 0x0
	s_barrier
	buffer_gl0_inv
	s_mov_b32 s4, exec_lo
	s_clause 0x3
	buffer_load_dword v1, v4, s[0:3], 0 offen
	buffer_load_dword v2, v4, s[0:3], 0 offen offset:4
	buffer_load_dword v3, v4, s[0:3], 0 offen offset:8
	;; [unrolled: 1-line block ×3, first 2 shown]
	s_waitcnt vmcnt(0)
	ds_write_b128 v5, v[1:4]
	s_waitcnt lgkmcnt(0)
	s_barrier
	buffer_gl0_inv
	v_cmpx_gt_u32_e32 24, v0
	s_cbranch_execz .LBB53_111
; %bb.108:
	v_mov_b32_e32 v1, 0
	v_mov_b32_e32 v3, 0
	v_add_nc_u32_e32 v7, -1, v0
	v_add_nc_u32_e32 v8, 0x360, v217
	v_mov_b32_e32 v2, 0
	v_mov_b32_e32 v4, 0
	v_add_nc_u32_e32 v9, 16, v217
	s_mov_b32 s5, 0
	.p2align	6
.LBB53_109:                             ; =>This Inner Loop Header: Depth=1
	s_clause 0x3
	buffer_load_dword v14, v9, s[0:3], 0 offen offset:8
	buffer_load_dword v15, v9, s[0:3], 0 offen offset:12
	buffer_load_dword v16, v9, s[0:3], 0 offen
	buffer_load_dword v17, v9, s[0:3], 0 offen offset:4
	ds_read_b128 v[10:13], v8
	v_add_nc_u32_e32 v7, 1, v7
	v_add_nc_u32_e32 v8, 16, v8
	;; [unrolled: 1-line block ×3, first 2 shown]
	v_cmp_lt_u32_e32 vcc_lo, 22, v7
	s_or_b32 s5, vcc_lo, s5
	s_waitcnt vmcnt(2) lgkmcnt(0)
	v_mul_f64 v[18:19], v[12:13], v[14:15]
	v_mul_f64 v[14:15], v[10:11], v[14:15]
	s_waitcnt vmcnt(0)
	v_fma_f64 v[10:11], v[10:11], v[16:17], -v[18:19]
	v_fma_f64 v[12:13], v[12:13], v[16:17], v[14:15]
	v_add_f64 v[3:4], v[3:4], v[10:11]
	v_add_f64 v[1:2], v[1:2], v[12:13]
	s_andn2_b32 exec_lo, exec_lo, s5
	s_cbranch_execnz .LBB53_109
; %bb.110:
	s_or_b32 exec_lo, exec_lo, s5
	v_mov_b32_e32 v7, 0
	ds_read_b128 v[7:10], v7 offset:384
	s_waitcnt lgkmcnt(0)
	v_mul_f64 v[11:12], v[1:2], v[9:10]
	v_mul_f64 v[9:10], v[3:4], v[9:10]
	v_fma_f64 v[3:4], v[3:4], v[7:8], -v[11:12]
	v_fma_f64 v[1:2], v[1:2], v[7:8], v[9:10]
	buffer_store_dword v4, off, s[0:3], 0 offset:404
	buffer_store_dword v3, off, s[0:3], 0 offset:400
	;; [unrolled: 1-line block ×4, first 2 shown]
.LBB53_111:
	s_or_b32 exec_lo, exec_lo, s4
	v_mov_b32_e32 v4, s41
	s_waitcnt_vscnt null, 0x0
	s_barrier
	buffer_gl0_inv
	s_mov_b32 s4, exec_lo
	s_clause 0x3
	buffer_load_dword v1, v4, s[0:3], 0 offen
	buffer_load_dword v2, v4, s[0:3], 0 offen offset:4
	buffer_load_dword v3, v4, s[0:3], 0 offen offset:8
	;; [unrolled: 1-line block ×3, first 2 shown]
	s_waitcnt vmcnt(0)
	ds_write_b128 v5, v[1:4]
	s_waitcnt lgkmcnt(0)
	s_barrier
	buffer_gl0_inv
	v_cmpx_gt_u32_e32 25, v0
	s_cbranch_execz .LBB53_115
; %bb.112:
	v_mov_b32_e32 v1, 0
	v_mov_b32_e32 v3, 0
	v_add_nc_u32_e32 v7, -1, v0
	v_add_nc_u32_e32 v8, 0x360, v217
	v_mov_b32_e32 v2, 0
	v_mov_b32_e32 v4, 0
	v_add_nc_u32_e32 v9, 16, v217
	s_mov_b32 s5, 0
	.p2align	6
.LBB53_113:                             ; =>This Inner Loop Header: Depth=1
	s_clause 0x3
	buffer_load_dword v14, v9, s[0:3], 0 offen offset:8
	buffer_load_dword v15, v9, s[0:3], 0 offen offset:12
	buffer_load_dword v16, v9, s[0:3], 0 offen
	buffer_load_dword v17, v9, s[0:3], 0 offen offset:4
	ds_read_b128 v[10:13], v8
	v_add_nc_u32_e32 v7, 1, v7
	v_add_nc_u32_e32 v8, 16, v8
	;; [unrolled: 1-line block ×3, first 2 shown]
	v_cmp_lt_u32_e32 vcc_lo, 23, v7
	s_or_b32 s5, vcc_lo, s5
	s_waitcnt vmcnt(2) lgkmcnt(0)
	v_mul_f64 v[18:19], v[12:13], v[14:15]
	v_mul_f64 v[14:15], v[10:11], v[14:15]
	s_waitcnt vmcnt(0)
	v_fma_f64 v[10:11], v[10:11], v[16:17], -v[18:19]
	v_fma_f64 v[12:13], v[12:13], v[16:17], v[14:15]
	v_add_f64 v[3:4], v[3:4], v[10:11]
	v_add_f64 v[1:2], v[1:2], v[12:13]
	s_andn2_b32 exec_lo, exec_lo, s5
	s_cbranch_execnz .LBB53_113
; %bb.114:
	s_or_b32 exec_lo, exec_lo, s5
	v_mov_b32_e32 v7, 0
	ds_read_b128 v[7:10], v7 offset:400
	s_waitcnt lgkmcnt(0)
	v_mul_f64 v[11:12], v[1:2], v[9:10]
	v_mul_f64 v[9:10], v[3:4], v[9:10]
	v_fma_f64 v[3:4], v[3:4], v[7:8], -v[11:12]
	v_fma_f64 v[1:2], v[1:2], v[7:8], v[9:10]
	buffer_store_dword v4, off, s[0:3], 0 offset:420
	buffer_store_dword v3, off, s[0:3], 0 offset:416
	;; [unrolled: 1-line block ×4, first 2 shown]
.LBB53_115:
	s_or_b32 exec_lo, exec_lo, s4
	v_mov_b32_e32 v4, s40
	s_waitcnt_vscnt null, 0x0
	s_barrier
	buffer_gl0_inv
	s_mov_b32 s4, exec_lo
	s_clause 0x3
	buffer_load_dword v1, v4, s[0:3], 0 offen
	buffer_load_dword v2, v4, s[0:3], 0 offen offset:4
	buffer_load_dword v3, v4, s[0:3], 0 offen offset:8
	;; [unrolled: 1-line block ×3, first 2 shown]
	s_waitcnt vmcnt(0)
	ds_write_b128 v5, v[1:4]
	s_waitcnt lgkmcnt(0)
	s_barrier
	buffer_gl0_inv
	v_cmpx_gt_u32_e32 26, v0
	s_cbranch_execz .LBB53_119
; %bb.116:
	v_mov_b32_e32 v1, 0
	v_mov_b32_e32 v3, 0
	v_add_nc_u32_e32 v7, -1, v0
	v_add_nc_u32_e32 v8, 0x360, v217
	v_mov_b32_e32 v2, 0
	v_mov_b32_e32 v4, 0
	v_add_nc_u32_e32 v9, 16, v217
	s_mov_b32 s5, 0
	.p2align	6
.LBB53_117:                             ; =>This Inner Loop Header: Depth=1
	s_clause 0x3
	buffer_load_dword v14, v9, s[0:3], 0 offen offset:8
	buffer_load_dword v15, v9, s[0:3], 0 offen offset:12
	buffer_load_dword v16, v9, s[0:3], 0 offen
	buffer_load_dword v17, v9, s[0:3], 0 offen offset:4
	ds_read_b128 v[10:13], v8
	v_add_nc_u32_e32 v7, 1, v7
	v_add_nc_u32_e32 v8, 16, v8
	;; [unrolled: 1-line block ×3, first 2 shown]
	v_cmp_lt_u32_e32 vcc_lo, 24, v7
	s_or_b32 s5, vcc_lo, s5
	s_waitcnt vmcnt(2) lgkmcnt(0)
	v_mul_f64 v[18:19], v[12:13], v[14:15]
	v_mul_f64 v[14:15], v[10:11], v[14:15]
	s_waitcnt vmcnt(0)
	v_fma_f64 v[10:11], v[10:11], v[16:17], -v[18:19]
	v_fma_f64 v[12:13], v[12:13], v[16:17], v[14:15]
	v_add_f64 v[3:4], v[3:4], v[10:11]
	v_add_f64 v[1:2], v[1:2], v[12:13]
	s_andn2_b32 exec_lo, exec_lo, s5
	s_cbranch_execnz .LBB53_117
; %bb.118:
	s_or_b32 exec_lo, exec_lo, s5
	v_mov_b32_e32 v7, 0
	ds_read_b128 v[7:10], v7 offset:416
	s_waitcnt lgkmcnt(0)
	v_mul_f64 v[11:12], v[1:2], v[9:10]
	v_mul_f64 v[9:10], v[3:4], v[9:10]
	v_fma_f64 v[3:4], v[3:4], v[7:8], -v[11:12]
	v_fma_f64 v[1:2], v[1:2], v[7:8], v[9:10]
	buffer_store_dword v4, off, s[0:3], 0 offset:436
	buffer_store_dword v3, off, s[0:3], 0 offset:432
	;; [unrolled: 1-line block ×4, first 2 shown]
.LBB53_119:
	s_or_b32 exec_lo, exec_lo, s4
	v_mov_b32_e32 v4, s39
	s_waitcnt_vscnt null, 0x0
	s_barrier
	buffer_gl0_inv
	s_mov_b32 s4, exec_lo
	s_clause 0x3
	buffer_load_dword v1, v4, s[0:3], 0 offen
	buffer_load_dword v2, v4, s[0:3], 0 offen offset:4
	buffer_load_dword v3, v4, s[0:3], 0 offen offset:8
	;; [unrolled: 1-line block ×3, first 2 shown]
	s_waitcnt vmcnt(0)
	ds_write_b128 v5, v[1:4]
	s_waitcnt lgkmcnt(0)
	s_barrier
	buffer_gl0_inv
	v_cmpx_gt_u32_e32 27, v0
	s_cbranch_execz .LBB53_123
; %bb.120:
	v_mov_b32_e32 v1, 0
	v_mov_b32_e32 v3, 0
	v_add_nc_u32_e32 v7, -1, v0
	v_add_nc_u32_e32 v8, 0x360, v217
	v_mov_b32_e32 v2, 0
	v_mov_b32_e32 v4, 0
	v_add_nc_u32_e32 v9, 16, v217
	s_mov_b32 s5, 0
	.p2align	6
.LBB53_121:                             ; =>This Inner Loop Header: Depth=1
	s_clause 0x3
	buffer_load_dword v14, v9, s[0:3], 0 offen offset:8
	buffer_load_dword v15, v9, s[0:3], 0 offen offset:12
	buffer_load_dword v16, v9, s[0:3], 0 offen
	buffer_load_dword v17, v9, s[0:3], 0 offen offset:4
	ds_read_b128 v[10:13], v8
	v_add_nc_u32_e32 v7, 1, v7
	v_add_nc_u32_e32 v8, 16, v8
	;; [unrolled: 1-line block ×3, first 2 shown]
	v_cmp_lt_u32_e32 vcc_lo, 25, v7
	s_or_b32 s5, vcc_lo, s5
	s_waitcnt vmcnt(2) lgkmcnt(0)
	v_mul_f64 v[18:19], v[12:13], v[14:15]
	v_mul_f64 v[14:15], v[10:11], v[14:15]
	s_waitcnt vmcnt(0)
	v_fma_f64 v[10:11], v[10:11], v[16:17], -v[18:19]
	v_fma_f64 v[12:13], v[12:13], v[16:17], v[14:15]
	v_add_f64 v[3:4], v[3:4], v[10:11]
	v_add_f64 v[1:2], v[1:2], v[12:13]
	s_andn2_b32 exec_lo, exec_lo, s5
	s_cbranch_execnz .LBB53_121
; %bb.122:
	s_or_b32 exec_lo, exec_lo, s5
	v_mov_b32_e32 v7, 0
	ds_read_b128 v[7:10], v7 offset:432
	s_waitcnt lgkmcnt(0)
	v_mul_f64 v[11:12], v[1:2], v[9:10]
	v_mul_f64 v[9:10], v[3:4], v[9:10]
	v_fma_f64 v[3:4], v[3:4], v[7:8], -v[11:12]
	v_fma_f64 v[1:2], v[1:2], v[7:8], v[9:10]
	buffer_store_dword v4, off, s[0:3], 0 offset:452
	buffer_store_dword v3, off, s[0:3], 0 offset:448
	;; [unrolled: 1-line block ×4, first 2 shown]
.LBB53_123:
	s_or_b32 exec_lo, exec_lo, s4
	v_mov_b32_e32 v4, s38
	s_waitcnt_vscnt null, 0x0
	s_barrier
	buffer_gl0_inv
	s_mov_b32 s4, exec_lo
	s_clause 0x3
	buffer_load_dword v1, v4, s[0:3], 0 offen
	buffer_load_dword v2, v4, s[0:3], 0 offen offset:4
	buffer_load_dword v3, v4, s[0:3], 0 offen offset:8
	;; [unrolled: 1-line block ×3, first 2 shown]
	s_waitcnt vmcnt(0)
	ds_write_b128 v5, v[1:4]
	s_waitcnt lgkmcnt(0)
	s_barrier
	buffer_gl0_inv
	v_cmpx_gt_u32_e32 28, v0
	s_cbranch_execz .LBB53_127
; %bb.124:
	v_mov_b32_e32 v1, 0
	v_mov_b32_e32 v3, 0
	v_add_nc_u32_e32 v7, -1, v0
	v_add_nc_u32_e32 v8, 0x360, v217
	v_mov_b32_e32 v2, 0
	v_mov_b32_e32 v4, 0
	v_add_nc_u32_e32 v9, 16, v217
	s_mov_b32 s5, 0
	.p2align	6
.LBB53_125:                             ; =>This Inner Loop Header: Depth=1
	s_clause 0x3
	buffer_load_dword v14, v9, s[0:3], 0 offen offset:8
	buffer_load_dword v15, v9, s[0:3], 0 offen offset:12
	buffer_load_dword v16, v9, s[0:3], 0 offen
	buffer_load_dword v17, v9, s[0:3], 0 offen offset:4
	ds_read_b128 v[10:13], v8
	v_add_nc_u32_e32 v7, 1, v7
	v_add_nc_u32_e32 v8, 16, v8
	;; [unrolled: 1-line block ×3, first 2 shown]
	v_cmp_lt_u32_e32 vcc_lo, 26, v7
	s_or_b32 s5, vcc_lo, s5
	s_waitcnt vmcnt(2) lgkmcnt(0)
	v_mul_f64 v[18:19], v[12:13], v[14:15]
	v_mul_f64 v[14:15], v[10:11], v[14:15]
	s_waitcnt vmcnt(0)
	v_fma_f64 v[10:11], v[10:11], v[16:17], -v[18:19]
	v_fma_f64 v[12:13], v[12:13], v[16:17], v[14:15]
	v_add_f64 v[3:4], v[3:4], v[10:11]
	v_add_f64 v[1:2], v[1:2], v[12:13]
	s_andn2_b32 exec_lo, exec_lo, s5
	s_cbranch_execnz .LBB53_125
; %bb.126:
	s_or_b32 exec_lo, exec_lo, s5
	v_mov_b32_e32 v7, 0
	ds_read_b128 v[7:10], v7 offset:448
	s_waitcnt lgkmcnt(0)
	v_mul_f64 v[11:12], v[1:2], v[9:10]
	v_mul_f64 v[9:10], v[3:4], v[9:10]
	v_fma_f64 v[3:4], v[3:4], v[7:8], -v[11:12]
	v_fma_f64 v[1:2], v[1:2], v[7:8], v[9:10]
	buffer_store_dword v4, off, s[0:3], 0 offset:468
	buffer_store_dword v3, off, s[0:3], 0 offset:464
	;; [unrolled: 1-line block ×4, first 2 shown]
.LBB53_127:
	s_or_b32 exec_lo, exec_lo, s4
	v_mov_b32_e32 v4, s37
	s_waitcnt_vscnt null, 0x0
	s_barrier
	buffer_gl0_inv
	s_mov_b32 s4, exec_lo
	s_clause 0x3
	buffer_load_dword v1, v4, s[0:3], 0 offen
	buffer_load_dword v2, v4, s[0:3], 0 offen offset:4
	buffer_load_dword v3, v4, s[0:3], 0 offen offset:8
	;; [unrolled: 1-line block ×3, first 2 shown]
	s_waitcnt vmcnt(0)
	ds_write_b128 v5, v[1:4]
	s_waitcnt lgkmcnt(0)
	s_barrier
	buffer_gl0_inv
	v_cmpx_gt_u32_e32 29, v0
	s_cbranch_execz .LBB53_131
; %bb.128:
	v_mov_b32_e32 v1, 0
	v_mov_b32_e32 v3, 0
	v_add_nc_u32_e32 v7, -1, v0
	v_add_nc_u32_e32 v8, 0x360, v217
	v_mov_b32_e32 v2, 0
	v_mov_b32_e32 v4, 0
	v_add_nc_u32_e32 v9, 16, v217
	s_mov_b32 s5, 0
	.p2align	6
.LBB53_129:                             ; =>This Inner Loop Header: Depth=1
	s_clause 0x3
	buffer_load_dword v14, v9, s[0:3], 0 offen offset:8
	buffer_load_dword v15, v9, s[0:3], 0 offen offset:12
	buffer_load_dword v16, v9, s[0:3], 0 offen
	buffer_load_dword v17, v9, s[0:3], 0 offen offset:4
	ds_read_b128 v[10:13], v8
	v_add_nc_u32_e32 v7, 1, v7
	v_add_nc_u32_e32 v8, 16, v8
	;; [unrolled: 1-line block ×3, first 2 shown]
	v_cmp_lt_u32_e32 vcc_lo, 27, v7
	s_or_b32 s5, vcc_lo, s5
	s_waitcnt vmcnt(2) lgkmcnt(0)
	v_mul_f64 v[18:19], v[12:13], v[14:15]
	v_mul_f64 v[14:15], v[10:11], v[14:15]
	s_waitcnt vmcnt(0)
	v_fma_f64 v[10:11], v[10:11], v[16:17], -v[18:19]
	v_fma_f64 v[12:13], v[12:13], v[16:17], v[14:15]
	v_add_f64 v[3:4], v[3:4], v[10:11]
	v_add_f64 v[1:2], v[1:2], v[12:13]
	s_andn2_b32 exec_lo, exec_lo, s5
	s_cbranch_execnz .LBB53_129
; %bb.130:
	s_or_b32 exec_lo, exec_lo, s5
	v_mov_b32_e32 v7, 0
	ds_read_b128 v[7:10], v7 offset:464
	s_waitcnt lgkmcnt(0)
	v_mul_f64 v[11:12], v[1:2], v[9:10]
	v_mul_f64 v[9:10], v[3:4], v[9:10]
	v_fma_f64 v[3:4], v[3:4], v[7:8], -v[11:12]
	v_fma_f64 v[1:2], v[1:2], v[7:8], v[9:10]
	buffer_store_dword v4, off, s[0:3], 0 offset:484
	buffer_store_dword v3, off, s[0:3], 0 offset:480
	;; [unrolled: 1-line block ×4, first 2 shown]
.LBB53_131:
	s_or_b32 exec_lo, exec_lo, s4
	v_mov_b32_e32 v4, s36
	s_waitcnt_vscnt null, 0x0
	s_barrier
	buffer_gl0_inv
	s_mov_b32 s4, exec_lo
	s_clause 0x3
	buffer_load_dword v1, v4, s[0:3], 0 offen
	buffer_load_dword v2, v4, s[0:3], 0 offen offset:4
	buffer_load_dword v3, v4, s[0:3], 0 offen offset:8
	;; [unrolled: 1-line block ×3, first 2 shown]
	s_waitcnt vmcnt(0)
	ds_write_b128 v5, v[1:4]
	s_waitcnt lgkmcnt(0)
	s_barrier
	buffer_gl0_inv
	v_cmpx_gt_u32_e32 30, v0
	s_cbranch_execz .LBB53_135
; %bb.132:
	v_mov_b32_e32 v1, 0
	v_mov_b32_e32 v3, 0
	v_add_nc_u32_e32 v7, -1, v0
	v_add_nc_u32_e32 v8, 0x360, v217
	v_mov_b32_e32 v2, 0
	v_mov_b32_e32 v4, 0
	v_add_nc_u32_e32 v9, 16, v217
	s_mov_b32 s5, 0
	.p2align	6
.LBB53_133:                             ; =>This Inner Loop Header: Depth=1
	s_clause 0x3
	buffer_load_dword v14, v9, s[0:3], 0 offen offset:8
	buffer_load_dword v15, v9, s[0:3], 0 offen offset:12
	buffer_load_dword v16, v9, s[0:3], 0 offen
	buffer_load_dword v17, v9, s[0:3], 0 offen offset:4
	ds_read_b128 v[10:13], v8
	v_add_nc_u32_e32 v7, 1, v7
	v_add_nc_u32_e32 v8, 16, v8
	;; [unrolled: 1-line block ×3, first 2 shown]
	v_cmp_lt_u32_e32 vcc_lo, 28, v7
	s_or_b32 s5, vcc_lo, s5
	s_waitcnt vmcnt(2) lgkmcnt(0)
	v_mul_f64 v[18:19], v[12:13], v[14:15]
	v_mul_f64 v[14:15], v[10:11], v[14:15]
	s_waitcnt vmcnt(0)
	v_fma_f64 v[10:11], v[10:11], v[16:17], -v[18:19]
	v_fma_f64 v[12:13], v[12:13], v[16:17], v[14:15]
	v_add_f64 v[3:4], v[3:4], v[10:11]
	v_add_f64 v[1:2], v[1:2], v[12:13]
	s_andn2_b32 exec_lo, exec_lo, s5
	s_cbranch_execnz .LBB53_133
; %bb.134:
	s_or_b32 exec_lo, exec_lo, s5
	v_mov_b32_e32 v7, 0
	ds_read_b128 v[7:10], v7 offset:480
	s_waitcnt lgkmcnt(0)
	v_mul_f64 v[11:12], v[1:2], v[9:10]
	v_mul_f64 v[9:10], v[3:4], v[9:10]
	v_fma_f64 v[3:4], v[3:4], v[7:8], -v[11:12]
	v_fma_f64 v[1:2], v[1:2], v[7:8], v[9:10]
	buffer_store_dword v4, off, s[0:3], 0 offset:500
	buffer_store_dword v3, off, s[0:3], 0 offset:496
	;; [unrolled: 1-line block ×4, first 2 shown]
.LBB53_135:
	s_or_b32 exec_lo, exec_lo, s4
	v_mov_b32_e32 v4, s35
	s_waitcnt_vscnt null, 0x0
	s_barrier
	buffer_gl0_inv
	s_mov_b32 s4, exec_lo
	s_clause 0x3
	buffer_load_dword v1, v4, s[0:3], 0 offen
	buffer_load_dword v2, v4, s[0:3], 0 offen offset:4
	buffer_load_dword v3, v4, s[0:3], 0 offen offset:8
	;; [unrolled: 1-line block ×3, first 2 shown]
	s_waitcnt vmcnt(0)
	ds_write_b128 v5, v[1:4]
	s_waitcnt lgkmcnt(0)
	s_barrier
	buffer_gl0_inv
	v_cmpx_gt_u32_e32 31, v0
	s_cbranch_execz .LBB53_139
; %bb.136:
	v_mov_b32_e32 v1, 0
	v_mov_b32_e32 v3, 0
	v_add_nc_u32_e32 v7, -1, v0
	v_add_nc_u32_e32 v8, 0x360, v217
	v_mov_b32_e32 v2, 0
	v_mov_b32_e32 v4, 0
	v_add_nc_u32_e32 v9, 16, v217
	s_mov_b32 s5, 0
	.p2align	6
.LBB53_137:                             ; =>This Inner Loop Header: Depth=1
	s_clause 0x3
	buffer_load_dword v14, v9, s[0:3], 0 offen offset:8
	buffer_load_dword v15, v9, s[0:3], 0 offen offset:12
	buffer_load_dword v16, v9, s[0:3], 0 offen
	buffer_load_dword v17, v9, s[0:3], 0 offen offset:4
	ds_read_b128 v[10:13], v8
	v_add_nc_u32_e32 v7, 1, v7
	v_add_nc_u32_e32 v8, 16, v8
	;; [unrolled: 1-line block ×3, first 2 shown]
	v_cmp_lt_u32_e32 vcc_lo, 29, v7
	s_or_b32 s5, vcc_lo, s5
	s_waitcnt vmcnt(2) lgkmcnt(0)
	v_mul_f64 v[18:19], v[12:13], v[14:15]
	v_mul_f64 v[14:15], v[10:11], v[14:15]
	s_waitcnt vmcnt(0)
	v_fma_f64 v[10:11], v[10:11], v[16:17], -v[18:19]
	v_fma_f64 v[12:13], v[12:13], v[16:17], v[14:15]
	v_add_f64 v[3:4], v[3:4], v[10:11]
	v_add_f64 v[1:2], v[1:2], v[12:13]
	s_andn2_b32 exec_lo, exec_lo, s5
	s_cbranch_execnz .LBB53_137
; %bb.138:
	s_or_b32 exec_lo, exec_lo, s5
	v_mov_b32_e32 v7, 0
	ds_read_b128 v[7:10], v7 offset:496
	s_waitcnt lgkmcnt(0)
	v_mul_f64 v[11:12], v[1:2], v[9:10]
	v_mul_f64 v[9:10], v[3:4], v[9:10]
	v_fma_f64 v[3:4], v[3:4], v[7:8], -v[11:12]
	v_fma_f64 v[1:2], v[1:2], v[7:8], v[9:10]
	buffer_store_dword v4, off, s[0:3], 0 offset:516
	buffer_store_dword v3, off, s[0:3], 0 offset:512
	;; [unrolled: 1-line block ×4, first 2 shown]
.LBB53_139:
	s_or_b32 exec_lo, exec_lo, s4
	v_mov_b32_e32 v4, s34
	s_waitcnt_vscnt null, 0x0
	s_barrier
	buffer_gl0_inv
	s_mov_b32 s4, exec_lo
	s_clause 0x3
	buffer_load_dword v1, v4, s[0:3], 0 offen
	buffer_load_dword v2, v4, s[0:3], 0 offen offset:4
	buffer_load_dword v3, v4, s[0:3], 0 offen offset:8
	;; [unrolled: 1-line block ×3, first 2 shown]
	s_waitcnt vmcnt(0)
	ds_write_b128 v5, v[1:4]
	s_waitcnt lgkmcnt(0)
	s_barrier
	buffer_gl0_inv
	v_cmpx_gt_u32_e32 32, v0
	s_cbranch_execz .LBB53_143
; %bb.140:
	v_mov_b32_e32 v1, 0
	v_mov_b32_e32 v3, 0
	v_add_nc_u32_e32 v7, -1, v0
	v_add_nc_u32_e32 v8, 0x360, v217
	v_mov_b32_e32 v2, 0
	v_mov_b32_e32 v4, 0
	v_add_nc_u32_e32 v9, 16, v217
	s_mov_b32 s5, 0
	.p2align	6
.LBB53_141:                             ; =>This Inner Loop Header: Depth=1
	s_clause 0x3
	buffer_load_dword v14, v9, s[0:3], 0 offen offset:8
	buffer_load_dword v15, v9, s[0:3], 0 offen offset:12
	buffer_load_dword v16, v9, s[0:3], 0 offen
	buffer_load_dword v17, v9, s[0:3], 0 offen offset:4
	ds_read_b128 v[10:13], v8
	v_add_nc_u32_e32 v7, 1, v7
	v_add_nc_u32_e32 v8, 16, v8
	;; [unrolled: 1-line block ×3, first 2 shown]
	v_cmp_lt_u32_e32 vcc_lo, 30, v7
	s_or_b32 s5, vcc_lo, s5
	s_waitcnt vmcnt(2) lgkmcnt(0)
	v_mul_f64 v[18:19], v[12:13], v[14:15]
	v_mul_f64 v[14:15], v[10:11], v[14:15]
	s_waitcnt vmcnt(0)
	v_fma_f64 v[10:11], v[10:11], v[16:17], -v[18:19]
	v_fma_f64 v[12:13], v[12:13], v[16:17], v[14:15]
	v_add_f64 v[3:4], v[3:4], v[10:11]
	v_add_f64 v[1:2], v[1:2], v[12:13]
	s_andn2_b32 exec_lo, exec_lo, s5
	s_cbranch_execnz .LBB53_141
; %bb.142:
	s_or_b32 exec_lo, exec_lo, s5
	v_mov_b32_e32 v7, 0
	ds_read_b128 v[7:10], v7 offset:512
	s_waitcnt lgkmcnt(0)
	v_mul_f64 v[11:12], v[1:2], v[9:10]
	v_mul_f64 v[9:10], v[3:4], v[9:10]
	v_fma_f64 v[3:4], v[3:4], v[7:8], -v[11:12]
	v_fma_f64 v[1:2], v[1:2], v[7:8], v[9:10]
	buffer_store_dword v4, off, s[0:3], 0 offset:532
	buffer_store_dword v3, off, s[0:3], 0 offset:528
	;; [unrolled: 1-line block ×4, first 2 shown]
.LBB53_143:
	s_or_b32 exec_lo, exec_lo, s4
	v_mov_b32_e32 v4, s33
	s_waitcnt_vscnt null, 0x0
	s_barrier
	buffer_gl0_inv
	s_mov_b32 s4, exec_lo
	s_clause 0x3
	buffer_load_dword v1, v4, s[0:3], 0 offen
	buffer_load_dword v2, v4, s[0:3], 0 offen offset:4
	buffer_load_dword v3, v4, s[0:3], 0 offen offset:8
	;; [unrolled: 1-line block ×3, first 2 shown]
	s_waitcnt vmcnt(0)
	ds_write_b128 v5, v[1:4]
	s_waitcnt lgkmcnt(0)
	s_barrier
	buffer_gl0_inv
	v_cmpx_gt_u32_e32 33, v0
	s_cbranch_execz .LBB53_147
; %bb.144:
	v_mov_b32_e32 v1, 0
	v_mov_b32_e32 v3, 0
	v_add_nc_u32_e32 v7, -1, v0
	v_add_nc_u32_e32 v8, 0x360, v217
	v_mov_b32_e32 v2, 0
	v_mov_b32_e32 v4, 0
	v_add_nc_u32_e32 v9, 16, v217
	s_mov_b32 s5, 0
	.p2align	6
.LBB53_145:                             ; =>This Inner Loop Header: Depth=1
	s_clause 0x3
	buffer_load_dword v14, v9, s[0:3], 0 offen offset:8
	buffer_load_dword v15, v9, s[0:3], 0 offen offset:12
	buffer_load_dword v16, v9, s[0:3], 0 offen
	buffer_load_dword v17, v9, s[0:3], 0 offen offset:4
	ds_read_b128 v[10:13], v8
	v_add_nc_u32_e32 v7, 1, v7
	v_add_nc_u32_e32 v8, 16, v8
	;; [unrolled: 1-line block ×3, first 2 shown]
	v_cmp_lt_u32_e32 vcc_lo, 31, v7
	s_or_b32 s5, vcc_lo, s5
	s_waitcnt vmcnt(2) lgkmcnt(0)
	v_mul_f64 v[18:19], v[12:13], v[14:15]
	v_mul_f64 v[14:15], v[10:11], v[14:15]
	s_waitcnt vmcnt(0)
	v_fma_f64 v[10:11], v[10:11], v[16:17], -v[18:19]
	v_fma_f64 v[12:13], v[12:13], v[16:17], v[14:15]
	v_add_f64 v[3:4], v[3:4], v[10:11]
	v_add_f64 v[1:2], v[1:2], v[12:13]
	s_andn2_b32 exec_lo, exec_lo, s5
	s_cbranch_execnz .LBB53_145
; %bb.146:
	s_or_b32 exec_lo, exec_lo, s5
	v_mov_b32_e32 v7, 0
	ds_read_b128 v[7:10], v7 offset:528
	s_waitcnt lgkmcnt(0)
	v_mul_f64 v[11:12], v[1:2], v[9:10]
	v_mul_f64 v[9:10], v[3:4], v[9:10]
	v_fma_f64 v[3:4], v[3:4], v[7:8], -v[11:12]
	v_fma_f64 v[1:2], v[1:2], v[7:8], v[9:10]
	buffer_store_dword v4, off, s[0:3], 0 offset:548
	buffer_store_dword v3, off, s[0:3], 0 offset:544
	;; [unrolled: 1-line block ×4, first 2 shown]
.LBB53_147:
	s_or_b32 exec_lo, exec_lo, s4
	v_mov_b32_e32 v4, s31
	s_waitcnt_vscnt null, 0x0
	s_barrier
	buffer_gl0_inv
	s_mov_b32 s4, exec_lo
	s_clause 0x3
	buffer_load_dword v1, v4, s[0:3], 0 offen
	buffer_load_dword v2, v4, s[0:3], 0 offen offset:4
	buffer_load_dword v3, v4, s[0:3], 0 offen offset:8
	;; [unrolled: 1-line block ×3, first 2 shown]
	s_waitcnt vmcnt(0)
	ds_write_b128 v5, v[1:4]
	s_waitcnt lgkmcnt(0)
	s_barrier
	buffer_gl0_inv
	v_cmpx_gt_u32_e32 34, v0
	s_cbranch_execz .LBB53_151
; %bb.148:
	v_mov_b32_e32 v1, 0
	v_mov_b32_e32 v3, 0
	v_add_nc_u32_e32 v7, -1, v0
	v_add_nc_u32_e32 v8, 0x360, v217
	v_mov_b32_e32 v2, 0
	v_mov_b32_e32 v4, 0
	v_add_nc_u32_e32 v9, 16, v217
	s_mov_b32 s5, 0
	.p2align	6
.LBB53_149:                             ; =>This Inner Loop Header: Depth=1
	s_clause 0x3
	buffer_load_dword v14, v9, s[0:3], 0 offen offset:8
	buffer_load_dword v15, v9, s[0:3], 0 offen offset:12
	buffer_load_dword v16, v9, s[0:3], 0 offen
	buffer_load_dword v17, v9, s[0:3], 0 offen offset:4
	ds_read_b128 v[10:13], v8
	v_add_nc_u32_e32 v7, 1, v7
	v_add_nc_u32_e32 v8, 16, v8
	;; [unrolled: 1-line block ×3, first 2 shown]
	v_cmp_lt_u32_e32 vcc_lo, 32, v7
	s_or_b32 s5, vcc_lo, s5
	s_waitcnt vmcnt(2) lgkmcnt(0)
	v_mul_f64 v[18:19], v[12:13], v[14:15]
	v_mul_f64 v[14:15], v[10:11], v[14:15]
	s_waitcnt vmcnt(0)
	v_fma_f64 v[10:11], v[10:11], v[16:17], -v[18:19]
	v_fma_f64 v[12:13], v[12:13], v[16:17], v[14:15]
	v_add_f64 v[3:4], v[3:4], v[10:11]
	v_add_f64 v[1:2], v[1:2], v[12:13]
	s_andn2_b32 exec_lo, exec_lo, s5
	s_cbranch_execnz .LBB53_149
; %bb.150:
	s_or_b32 exec_lo, exec_lo, s5
	v_mov_b32_e32 v7, 0
	ds_read_b128 v[7:10], v7 offset:544
	s_waitcnt lgkmcnt(0)
	v_mul_f64 v[11:12], v[1:2], v[9:10]
	v_mul_f64 v[9:10], v[3:4], v[9:10]
	v_fma_f64 v[3:4], v[3:4], v[7:8], -v[11:12]
	v_fma_f64 v[1:2], v[1:2], v[7:8], v[9:10]
	buffer_store_dword v4, off, s[0:3], 0 offset:564
	buffer_store_dword v3, off, s[0:3], 0 offset:560
	;; [unrolled: 1-line block ×4, first 2 shown]
.LBB53_151:
	s_or_b32 exec_lo, exec_lo, s4
	v_mov_b32_e32 v4, s30
	s_waitcnt_vscnt null, 0x0
	s_barrier
	buffer_gl0_inv
	s_mov_b32 s4, exec_lo
	s_clause 0x3
	buffer_load_dword v1, v4, s[0:3], 0 offen
	buffer_load_dword v2, v4, s[0:3], 0 offen offset:4
	buffer_load_dword v3, v4, s[0:3], 0 offen offset:8
	buffer_load_dword v4, v4, s[0:3], 0 offen offset:12
	s_waitcnt vmcnt(0)
	ds_write_b128 v5, v[1:4]
	s_waitcnt lgkmcnt(0)
	s_barrier
	buffer_gl0_inv
	v_cmpx_gt_u32_e32 35, v0
	s_cbranch_execz .LBB53_155
; %bb.152:
	v_mov_b32_e32 v1, 0
	v_mov_b32_e32 v3, 0
	v_add_nc_u32_e32 v7, -1, v0
	v_add_nc_u32_e32 v8, 0x360, v217
	v_mov_b32_e32 v2, 0
	v_mov_b32_e32 v4, 0
	v_add_nc_u32_e32 v9, 16, v217
	s_mov_b32 s5, 0
	.p2align	6
.LBB53_153:                             ; =>This Inner Loop Header: Depth=1
	s_clause 0x3
	buffer_load_dword v14, v9, s[0:3], 0 offen offset:8
	buffer_load_dword v15, v9, s[0:3], 0 offen offset:12
	buffer_load_dword v16, v9, s[0:3], 0 offen
	buffer_load_dword v17, v9, s[0:3], 0 offen offset:4
	ds_read_b128 v[10:13], v8
	v_add_nc_u32_e32 v7, 1, v7
	v_add_nc_u32_e32 v8, 16, v8
	;; [unrolled: 1-line block ×3, first 2 shown]
	v_cmp_lt_u32_e32 vcc_lo, 33, v7
	s_or_b32 s5, vcc_lo, s5
	s_waitcnt vmcnt(2) lgkmcnt(0)
	v_mul_f64 v[18:19], v[12:13], v[14:15]
	v_mul_f64 v[14:15], v[10:11], v[14:15]
	s_waitcnt vmcnt(0)
	v_fma_f64 v[10:11], v[10:11], v[16:17], -v[18:19]
	v_fma_f64 v[12:13], v[12:13], v[16:17], v[14:15]
	v_add_f64 v[3:4], v[3:4], v[10:11]
	v_add_f64 v[1:2], v[1:2], v[12:13]
	s_andn2_b32 exec_lo, exec_lo, s5
	s_cbranch_execnz .LBB53_153
; %bb.154:
	s_or_b32 exec_lo, exec_lo, s5
	v_mov_b32_e32 v7, 0
	ds_read_b128 v[7:10], v7 offset:560
	s_waitcnt lgkmcnt(0)
	v_mul_f64 v[11:12], v[1:2], v[9:10]
	v_mul_f64 v[9:10], v[3:4], v[9:10]
	v_fma_f64 v[3:4], v[3:4], v[7:8], -v[11:12]
	v_fma_f64 v[1:2], v[1:2], v[7:8], v[9:10]
	buffer_store_dword v4, off, s[0:3], 0 offset:580
	buffer_store_dword v3, off, s[0:3], 0 offset:576
	;; [unrolled: 1-line block ×4, first 2 shown]
.LBB53_155:
	s_or_b32 exec_lo, exec_lo, s4
	v_mov_b32_e32 v4, s29
	s_waitcnt_vscnt null, 0x0
	s_barrier
	buffer_gl0_inv
	s_mov_b32 s4, exec_lo
	s_clause 0x3
	buffer_load_dword v1, v4, s[0:3], 0 offen
	buffer_load_dword v2, v4, s[0:3], 0 offen offset:4
	buffer_load_dword v3, v4, s[0:3], 0 offen offset:8
	;; [unrolled: 1-line block ×3, first 2 shown]
	s_waitcnt vmcnt(0)
	ds_write_b128 v5, v[1:4]
	s_waitcnt lgkmcnt(0)
	s_barrier
	buffer_gl0_inv
	v_cmpx_gt_u32_e32 36, v0
	s_cbranch_execz .LBB53_159
; %bb.156:
	v_mov_b32_e32 v1, 0
	v_mov_b32_e32 v3, 0
	v_add_nc_u32_e32 v7, -1, v0
	v_add_nc_u32_e32 v8, 0x360, v217
	v_mov_b32_e32 v2, 0
	v_mov_b32_e32 v4, 0
	v_add_nc_u32_e32 v9, 16, v217
	s_mov_b32 s5, 0
	.p2align	6
.LBB53_157:                             ; =>This Inner Loop Header: Depth=1
	s_clause 0x3
	buffer_load_dword v14, v9, s[0:3], 0 offen offset:8
	buffer_load_dword v15, v9, s[0:3], 0 offen offset:12
	buffer_load_dword v16, v9, s[0:3], 0 offen
	buffer_load_dword v17, v9, s[0:3], 0 offen offset:4
	ds_read_b128 v[10:13], v8
	v_add_nc_u32_e32 v7, 1, v7
	v_add_nc_u32_e32 v8, 16, v8
	;; [unrolled: 1-line block ×3, first 2 shown]
	v_cmp_lt_u32_e32 vcc_lo, 34, v7
	s_or_b32 s5, vcc_lo, s5
	s_waitcnt vmcnt(2) lgkmcnt(0)
	v_mul_f64 v[18:19], v[12:13], v[14:15]
	v_mul_f64 v[14:15], v[10:11], v[14:15]
	s_waitcnt vmcnt(0)
	v_fma_f64 v[10:11], v[10:11], v[16:17], -v[18:19]
	v_fma_f64 v[12:13], v[12:13], v[16:17], v[14:15]
	v_add_f64 v[3:4], v[3:4], v[10:11]
	v_add_f64 v[1:2], v[1:2], v[12:13]
	s_andn2_b32 exec_lo, exec_lo, s5
	s_cbranch_execnz .LBB53_157
; %bb.158:
	s_or_b32 exec_lo, exec_lo, s5
	v_mov_b32_e32 v7, 0
	ds_read_b128 v[7:10], v7 offset:576
	s_waitcnt lgkmcnt(0)
	v_mul_f64 v[11:12], v[1:2], v[9:10]
	v_mul_f64 v[9:10], v[3:4], v[9:10]
	v_fma_f64 v[3:4], v[3:4], v[7:8], -v[11:12]
	v_fma_f64 v[1:2], v[1:2], v[7:8], v[9:10]
	buffer_store_dword v4, off, s[0:3], 0 offset:596
	buffer_store_dword v3, off, s[0:3], 0 offset:592
	;; [unrolled: 1-line block ×4, first 2 shown]
.LBB53_159:
	s_or_b32 exec_lo, exec_lo, s4
	v_mov_b32_e32 v4, s28
	s_waitcnt_vscnt null, 0x0
	s_barrier
	buffer_gl0_inv
	s_mov_b32 s4, exec_lo
	s_clause 0x3
	buffer_load_dword v1, v4, s[0:3], 0 offen
	buffer_load_dword v2, v4, s[0:3], 0 offen offset:4
	buffer_load_dword v3, v4, s[0:3], 0 offen offset:8
	;; [unrolled: 1-line block ×3, first 2 shown]
	s_waitcnt vmcnt(0)
	ds_write_b128 v5, v[1:4]
	s_waitcnt lgkmcnt(0)
	s_barrier
	buffer_gl0_inv
	v_cmpx_gt_u32_e32 37, v0
	s_cbranch_execz .LBB53_163
; %bb.160:
	v_mov_b32_e32 v1, 0
	v_mov_b32_e32 v3, 0
	v_add_nc_u32_e32 v7, -1, v0
	v_add_nc_u32_e32 v8, 0x360, v217
	v_mov_b32_e32 v2, 0
	v_mov_b32_e32 v4, 0
	v_add_nc_u32_e32 v9, 16, v217
	s_mov_b32 s5, 0
	.p2align	6
.LBB53_161:                             ; =>This Inner Loop Header: Depth=1
	s_clause 0x3
	buffer_load_dword v14, v9, s[0:3], 0 offen offset:8
	buffer_load_dword v15, v9, s[0:3], 0 offen offset:12
	buffer_load_dword v16, v9, s[0:3], 0 offen
	buffer_load_dword v17, v9, s[0:3], 0 offen offset:4
	ds_read_b128 v[10:13], v8
	v_add_nc_u32_e32 v7, 1, v7
	v_add_nc_u32_e32 v8, 16, v8
	;; [unrolled: 1-line block ×3, first 2 shown]
	v_cmp_lt_u32_e32 vcc_lo, 35, v7
	s_or_b32 s5, vcc_lo, s5
	s_waitcnt vmcnt(2) lgkmcnt(0)
	v_mul_f64 v[18:19], v[12:13], v[14:15]
	v_mul_f64 v[14:15], v[10:11], v[14:15]
	s_waitcnt vmcnt(0)
	v_fma_f64 v[10:11], v[10:11], v[16:17], -v[18:19]
	v_fma_f64 v[12:13], v[12:13], v[16:17], v[14:15]
	v_add_f64 v[3:4], v[3:4], v[10:11]
	v_add_f64 v[1:2], v[1:2], v[12:13]
	s_andn2_b32 exec_lo, exec_lo, s5
	s_cbranch_execnz .LBB53_161
; %bb.162:
	s_or_b32 exec_lo, exec_lo, s5
	v_mov_b32_e32 v7, 0
	ds_read_b128 v[7:10], v7 offset:592
	s_waitcnt lgkmcnt(0)
	v_mul_f64 v[11:12], v[1:2], v[9:10]
	v_mul_f64 v[9:10], v[3:4], v[9:10]
	v_fma_f64 v[3:4], v[3:4], v[7:8], -v[11:12]
	v_fma_f64 v[1:2], v[1:2], v[7:8], v[9:10]
	buffer_store_dword v4, off, s[0:3], 0 offset:612
	buffer_store_dword v3, off, s[0:3], 0 offset:608
	;; [unrolled: 1-line block ×4, first 2 shown]
.LBB53_163:
	s_or_b32 exec_lo, exec_lo, s4
	v_mov_b32_e32 v4, s27
	s_waitcnt_vscnt null, 0x0
	s_barrier
	buffer_gl0_inv
	s_mov_b32 s4, exec_lo
	s_clause 0x3
	buffer_load_dword v1, v4, s[0:3], 0 offen
	buffer_load_dword v2, v4, s[0:3], 0 offen offset:4
	buffer_load_dword v3, v4, s[0:3], 0 offen offset:8
	;; [unrolled: 1-line block ×3, first 2 shown]
	s_waitcnt vmcnt(0)
	ds_write_b128 v5, v[1:4]
	s_waitcnt lgkmcnt(0)
	s_barrier
	buffer_gl0_inv
	v_cmpx_gt_u32_e32 38, v0
	s_cbranch_execz .LBB53_167
; %bb.164:
	v_mov_b32_e32 v1, 0
	v_mov_b32_e32 v3, 0
	v_add_nc_u32_e32 v7, -1, v0
	v_add_nc_u32_e32 v8, 0x360, v217
	v_mov_b32_e32 v2, 0
	v_mov_b32_e32 v4, 0
	v_add_nc_u32_e32 v9, 16, v217
	s_mov_b32 s5, 0
	.p2align	6
.LBB53_165:                             ; =>This Inner Loop Header: Depth=1
	s_clause 0x3
	buffer_load_dword v14, v9, s[0:3], 0 offen offset:8
	buffer_load_dword v15, v9, s[0:3], 0 offen offset:12
	buffer_load_dword v16, v9, s[0:3], 0 offen
	buffer_load_dword v17, v9, s[0:3], 0 offen offset:4
	ds_read_b128 v[10:13], v8
	v_add_nc_u32_e32 v7, 1, v7
	v_add_nc_u32_e32 v8, 16, v8
	v_add_nc_u32_e32 v9, 16, v9
	v_cmp_lt_u32_e32 vcc_lo, 36, v7
	s_or_b32 s5, vcc_lo, s5
	s_waitcnt vmcnt(2) lgkmcnt(0)
	v_mul_f64 v[18:19], v[12:13], v[14:15]
	v_mul_f64 v[14:15], v[10:11], v[14:15]
	s_waitcnt vmcnt(0)
	v_fma_f64 v[10:11], v[10:11], v[16:17], -v[18:19]
	v_fma_f64 v[12:13], v[12:13], v[16:17], v[14:15]
	v_add_f64 v[3:4], v[3:4], v[10:11]
	v_add_f64 v[1:2], v[1:2], v[12:13]
	s_andn2_b32 exec_lo, exec_lo, s5
	s_cbranch_execnz .LBB53_165
; %bb.166:
	s_or_b32 exec_lo, exec_lo, s5
	v_mov_b32_e32 v7, 0
	ds_read_b128 v[7:10], v7 offset:608
	s_waitcnt lgkmcnt(0)
	v_mul_f64 v[11:12], v[1:2], v[9:10]
	v_mul_f64 v[9:10], v[3:4], v[9:10]
	v_fma_f64 v[3:4], v[3:4], v[7:8], -v[11:12]
	v_fma_f64 v[1:2], v[1:2], v[7:8], v[9:10]
	buffer_store_dword v4, off, s[0:3], 0 offset:628
	buffer_store_dword v3, off, s[0:3], 0 offset:624
	;; [unrolled: 1-line block ×4, first 2 shown]
.LBB53_167:
	s_or_b32 exec_lo, exec_lo, s4
	v_mov_b32_e32 v4, s26
	s_waitcnt_vscnt null, 0x0
	s_barrier
	buffer_gl0_inv
	s_mov_b32 s4, exec_lo
	s_clause 0x3
	buffer_load_dword v1, v4, s[0:3], 0 offen
	buffer_load_dword v2, v4, s[0:3], 0 offen offset:4
	buffer_load_dword v3, v4, s[0:3], 0 offen offset:8
	;; [unrolled: 1-line block ×3, first 2 shown]
	s_waitcnt vmcnt(0)
	ds_write_b128 v5, v[1:4]
	s_waitcnt lgkmcnt(0)
	s_barrier
	buffer_gl0_inv
	v_cmpx_gt_u32_e32 39, v0
	s_cbranch_execz .LBB53_171
; %bb.168:
	v_mov_b32_e32 v1, 0
	v_mov_b32_e32 v3, 0
	v_add_nc_u32_e32 v7, -1, v0
	v_add_nc_u32_e32 v8, 0x360, v217
	v_mov_b32_e32 v2, 0
	v_mov_b32_e32 v4, 0
	v_add_nc_u32_e32 v9, 16, v217
	s_mov_b32 s5, 0
	.p2align	6
.LBB53_169:                             ; =>This Inner Loop Header: Depth=1
	s_clause 0x3
	buffer_load_dword v14, v9, s[0:3], 0 offen offset:8
	buffer_load_dword v15, v9, s[0:3], 0 offen offset:12
	buffer_load_dword v16, v9, s[0:3], 0 offen
	buffer_load_dword v17, v9, s[0:3], 0 offen offset:4
	ds_read_b128 v[10:13], v8
	v_add_nc_u32_e32 v7, 1, v7
	v_add_nc_u32_e32 v8, 16, v8
	;; [unrolled: 1-line block ×3, first 2 shown]
	v_cmp_lt_u32_e32 vcc_lo, 37, v7
	s_or_b32 s5, vcc_lo, s5
	s_waitcnt vmcnt(2) lgkmcnt(0)
	v_mul_f64 v[18:19], v[12:13], v[14:15]
	v_mul_f64 v[14:15], v[10:11], v[14:15]
	s_waitcnt vmcnt(0)
	v_fma_f64 v[10:11], v[10:11], v[16:17], -v[18:19]
	v_fma_f64 v[12:13], v[12:13], v[16:17], v[14:15]
	v_add_f64 v[3:4], v[3:4], v[10:11]
	v_add_f64 v[1:2], v[1:2], v[12:13]
	s_andn2_b32 exec_lo, exec_lo, s5
	s_cbranch_execnz .LBB53_169
; %bb.170:
	s_or_b32 exec_lo, exec_lo, s5
	v_mov_b32_e32 v7, 0
	ds_read_b128 v[7:10], v7 offset:624
	s_waitcnt lgkmcnt(0)
	v_mul_f64 v[11:12], v[1:2], v[9:10]
	v_mul_f64 v[9:10], v[3:4], v[9:10]
	v_fma_f64 v[3:4], v[3:4], v[7:8], -v[11:12]
	v_fma_f64 v[1:2], v[1:2], v[7:8], v[9:10]
	buffer_store_dword v4, off, s[0:3], 0 offset:644
	buffer_store_dword v3, off, s[0:3], 0 offset:640
	;; [unrolled: 1-line block ×4, first 2 shown]
.LBB53_171:
	s_or_b32 exec_lo, exec_lo, s4
	v_mov_b32_e32 v4, s25
	s_waitcnt_vscnt null, 0x0
	s_barrier
	buffer_gl0_inv
	s_mov_b32 s4, exec_lo
	s_clause 0x3
	buffer_load_dword v1, v4, s[0:3], 0 offen
	buffer_load_dword v2, v4, s[0:3], 0 offen offset:4
	buffer_load_dword v3, v4, s[0:3], 0 offen offset:8
	;; [unrolled: 1-line block ×3, first 2 shown]
	s_waitcnt vmcnt(0)
	ds_write_b128 v5, v[1:4]
	s_waitcnt lgkmcnt(0)
	s_barrier
	buffer_gl0_inv
	v_cmpx_gt_u32_e32 40, v0
	s_cbranch_execz .LBB53_175
; %bb.172:
	v_mov_b32_e32 v1, 0
	v_mov_b32_e32 v3, 0
	v_add_nc_u32_e32 v7, -1, v0
	v_add_nc_u32_e32 v8, 0x360, v217
	v_mov_b32_e32 v2, 0
	v_mov_b32_e32 v4, 0
	v_add_nc_u32_e32 v9, 16, v217
	s_mov_b32 s5, 0
	.p2align	6
.LBB53_173:                             ; =>This Inner Loop Header: Depth=1
	s_clause 0x3
	buffer_load_dword v14, v9, s[0:3], 0 offen offset:8
	buffer_load_dword v15, v9, s[0:3], 0 offen offset:12
	buffer_load_dword v16, v9, s[0:3], 0 offen
	buffer_load_dword v17, v9, s[0:3], 0 offen offset:4
	ds_read_b128 v[10:13], v8
	v_add_nc_u32_e32 v7, 1, v7
	v_add_nc_u32_e32 v8, 16, v8
	;; [unrolled: 1-line block ×3, first 2 shown]
	v_cmp_lt_u32_e32 vcc_lo, 38, v7
	s_or_b32 s5, vcc_lo, s5
	s_waitcnt vmcnt(2) lgkmcnt(0)
	v_mul_f64 v[18:19], v[12:13], v[14:15]
	v_mul_f64 v[14:15], v[10:11], v[14:15]
	s_waitcnt vmcnt(0)
	v_fma_f64 v[10:11], v[10:11], v[16:17], -v[18:19]
	v_fma_f64 v[12:13], v[12:13], v[16:17], v[14:15]
	v_add_f64 v[3:4], v[3:4], v[10:11]
	v_add_f64 v[1:2], v[1:2], v[12:13]
	s_andn2_b32 exec_lo, exec_lo, s5
	s_cbranch_execnz .LBB53_173
; %bb.174:
	s_or_b32 exec_lo, exec_lo, s5
	v_mov_b32_e32 v7, 0
	ds_read_b128 v[7:10], v7 offset:640
	s_waitcnt lgkmcnt(0)
	v_mul_f64 v[11:12], v[1:2], v[9:10]
	v_mul_f64 v[9:10], v[3:4], v[9:10]
	v_fma_f64 v[3:4], v[3:4], v[7:8], -v[11:12]
	v_fma_f64 v[1:2], v[1:2], v[7:8], v[9:10]
	buffer_store_dword v4, off, s[0:3], 0 offset:660
	buffer_store_dword v3, off, s[0:3], 0 offset:656
	;; [unrolled: 1-line block ×4, first 2 shown]
.LBB53_175:
	s_or_b32 exec_lo, exec_lo, s4
	v_mov_b32_e32 v4, s24
	s_waitcnt_vscnt null, 0x0
	s_barrier
	buffer_gl0_inv
	s_mov_b32 s4, exec_lo
	s_clause 0x3
	buffer_load_dword v1, v4, s[0:3], 0 offen
	buffer_load_dword v2, v4, s[0:3], 0 offen offset:4
	buffer_load_dword v3, v4, s[0:3], 0 offen offset:8
	;; [unrolled: 1-line block ×3, first 2 shown]
	s_waitcnt vmcnt(0)
	ds_write_b128 v5, v[1:4]
	s_waitcnt lgkmcnt(0)
	s_barrier
	buffer_gl0_inv
	v_cmpx_gt_u32_e32 41, v0
	s_cbranch_execz .LBB53_179
; %bb.176:
	v_mov_b32_e32 v1, 0
	v_mov_b32_e32 v3, 0
	v_add_nc_u32_e32 v7, -1, v0
	v_add_nc_u32_e32 v8, 0x360, v217
	v_mov_b32_e32 v2, 0
	v_mov_b32_e32 v4, 0
	v_add_nc_u32_e32 v9, 16, v217
	s_mov_b32 s5, 0
	.p2align	6
.LBB53_177:                             ; =>This Inner Loop Header: Depth=1
	s_clause 0x3
	buffer_load_dword v14, v9, s[0:3], 0 offen offset:8
	buffer_load_dword v15, v9, s[0:3], 0 offen offset:12
	buffer_load_dword v16, v9, s[0:3], 0 offen
	buffer_load_dword v17, v9, s[0:3], 0 offen offset:4
	ds_read_b128 v[10:13], v8
	v_add_nc_u32_e32 v7, 1, v7
	v_add_nc_u32_e32 v8, 16, v8
	;; [unrolled: 1-line block ×3, first 2 shown]
	v_cmp_lt_u32_e32 vcc_lo, 39, v7
	s_or_b32 s5, vcc_lo, s5
	s_waitcnt vmcnt(2) lgkmcnt(0)
	v_mul_f64 v[18:19], v[12:13], v[14:15]
	v_mul_f64 v[14:15], v[10:11], v[14:15]
	s_waitcnt vmcnt(0)
	v_fma_f64 v[10:11], v[10:11], v[16:17], -v[18:19]
	v_fma_f64 v[12:13], v[12:13], v[16:17], v[14:15]
	v_add_f64 v[3:4], v[3:4], v[10:11]
	v_add_f64 v[1:2], v[1:2], v[12:13]
	s_andn2_b32 exec_lo, exec_lo, s5
	s_cbranch_execnz .LBB53_177
; %bb.178:
	s_or_b32 exec_lo, exec_lo, s5
	v_mov_b32_e32 v7, 0
	ds_read_b128 v[7:10], v7 offset:656
	s_waitcnt lgkmcnt(0)
	v_mul_f64 v[11:12], v[1:2], v[9:10]
	v_mul_f64 v[9:10], v[3:4], v[9:10]
	v_fma_f64 v[3:4], v[3:4], v[7:8], -v[11:12]
	v_fma_f64 v[1:2], v[1:2], v[7:8], v[9:10]
	buffer_store_dword v4, off, s[0:3], 0 offset:676
	buffer_store_dword v3, off, s[0:3], 0 offset:672
	;; [unrolled: 1-line block ×4, first 2 shown]
.LBB53_179:
	s_or_b32 exec_lo, exec_lo, s4
	v_mov_b32_e32 v4, s23
	s_waitcnt_vscnt null, 0x0
	s_barrier
	buffer_gl0_inv
	s_mov_b32 s4, exec_lo
	s_clause 0x3
	buffer_load_dword v1, v4, s[0:3], 0 offen
	buffer_load_dword v2, v4, s[0:3], 0 offen offset:4
	buffer_load_dword v3, v4, s[0:3], 0 offen offset:8
	;; [unrolled: 1-line block ×3, first 2 shown]
	s_waitcnt vmcnt(0)
	ds_write_b128 v5, v[1:4]
	s_waitcnt lgkmcnt(0)
	s_barrier
	buffer_gl0_inv
	v_cmpx_gt_u32_e32 42, v0
	s_cbranch_execz .LBB53_183
; %bb.180:
	v_mov_b32_e32 v1, 0
	v_mov_b32_e32 v3, 0
	v_add_nc_u32_e32 v7, -1, v0
	v_add_nc_u32_e32 v8, 0x360, v217
	v_mov_b32_e32 v2, 0
	v_mov_b32_e32 v4, 0
	v_add_nc_u32_e32 v9, 16, v217
	s_mov_b32 s5, 0
	.p2align	6
.LBB53_181:                             ; =>This Inner Loop Header: Depth=1
	s_clause 0x3
	buffer_load_dword v14, v9, s[0:3], 0 offen offset:8
	buffer_load_dword v15, v9, s[0:3], 0 offen offset:12
	buffer_load_dword v16, v9, s[0:3], 0 offen
	buffer_load_dword v17, v9, s[0:3], 0 offen offset:4
	ds_read_b128 v[10:13], v8
	v_add_nc_u32_e32 v7, 1, v7
	v_add_nc_u32_e32 v8, 16, v8
	;; [unrolled: 1-line block ×3, first 2 shown]
	v_cmp_lt_u32_e32 vcc_lo, 40, v7
	s_or_b32 s5, vcc_lo, s5
	s_waitcnt vmcnt(2) lgkmcnt(0)
	v_mul_f64 v[18:19], v[12:13], v[14:15]
	v_mul_f64 v[14:15], v[10:11], v[14:15]
	s_waitcnt vmcnt(0)
	v_fma_f64 v[10:11], v[10:11], v[16:17], -v[18:19]
	v_fma_f64 v[12:13], v[12:13], v[16:17], v[14:15]
	v_add_f64 v[3:4], v[3:4], v[10:11]
	v_add_f64 v[1:2], v[1:2], v[12:13]
	s_andn2_b32 exec_lo, exec_lo, s5
	s_cbranch_execnz .LBB53_181
; %bb.182:
	s_or_b32 exec_lo, exec_lo, s5
	v_mov_b32_e32 v7, 0
	ds_read_b128 v[7:10], v7 offset:672
	s_waitcnt lgkmcnt(0)
	v_mul_f64 v[11:12], v[1:2], v[9:10]
	v_mul_f64 v[9:10], v[3:4], v[9:10]
	v_fma_f64 v[3:4], v[3:4], v[7:8], -v[11:12]
	v_fma_f64 v[1:2], v[1:2], v[7:8], v[9:10]
	buffer_store_dword v4, off, s[0:3], 0 offset:692
	buffer_store_dword v3, off, s[0:3], 0 offset:688
	;; [unrolled: 1-line block ×4, first 2 shown]
.LBB53_183:
	s_or_b32 exec_lo, exec_lo, s4
	v_mov_b32_e32 v4, s22
	s_waitcnt_vscnt null, 0x0
	s_barrier
	buffer_gl0_inv
	s_mov_b32 s4, exec_lo
	s_clause 0x3
	buffer_load_dword v1, v4, s[0:3], 0 offen
	buffer_load_dword v2, v4, s[0:3], 0 offen offset:4
	buffer_load_dword v3, v4, s[0:3], 0 offen offset:8
	;; [unrolled: 1-line block ×3, first 2 shown]
	s_waitcnt vmcnt(0)
	ds_write_b128 v5, v[1:4]
	s_waitcnt lgkmcnt(0)
	s_barrier
	buffer_gl0_inv
	v_cmpx_gt_u32_e32 43, v0
	s_cbranch_execz .LBB53_187
; %bb.184:
	v_mov_b32_e32 v1, 0
	v_mov_b32_e32 v3, 0
	v_add_nc_u32_e32 v7, -1, v0
	v_add_nc_u32_e32 v8, 0x360, v217
	v_mov_b32_e32 v2, 0
	v_mov_b32_e32 v4, 0
	v_add_nc_u32_e32 v9, 16, v217
	s_mov_b32 s5, 0
	.p2align	6
.LBB53_185:                             ; =>This Inner Loop Header: Depth=1
	s_clause 0x3
	buffer_load_dword v14, v9, s[0:3], 0 offen offset:8
	buffer_load_dword v15, v9, s[0:3], 0 offen offset:12
	buffer_load_dword v16, v9, s[0:3], 0 offen
	buffer_load_dword v17, v9, s[0:3], 0 offen offset:4
	ds_read_b128 v[10:13], v8
	v_add_nc_u32_e32 v7, 1, v7
	v_add_nc_u32_e32 v8, 16, v8
	;; [unrolled: 1-line block ×3, first 2 shown]
	v_cmp_lt_u32_e32 vcc_lo, 41, v7
	s_or_b32 s5, vcc_lo, s5
	s_waitcnt vmcnt(2) lgkmcnt(0)
	v_mul_f64 v[18:19], v[12:13], v[14:15]
	v_mul_f64 v[14:15], v[10:11], v[14:15]
	s_waitcnt vmcnt(0)
	v_fma_f64 v[10:11], v[10:11], v[16:17], -v[18:19]
	v_fma_f64 v[12:13], v[12:13], v[16:17], v[14:15]
	v_add_f64 v[3:4], v[3:4], v[10:11]
	v_add_f64 v[1:2], v[1:2], v[12:13]
	s_andn2_b32 exec_lo, exec_lo, s5
	s_cbranch_execnz .LBB53_185
; %bb.186:
	s_or_b32 exec_lo, exec_lo, s5
	v_mov_b32_e32 v7, 0
	ds_read_b128 v[7:10], v7 offset:688
	s_waitcnt lgkmcnt(0)
	v_mul_f64 v[11:12], v[1:2], v[9:10]
	v_mul_f64 v[9:10], v[3:4], v[9:10]
	v_fma_f64 v[3:4], v[3:4], v[7:8], -v[11:12]
	v_fma_f64 v[1:2], v[1:2], v[7:8], v[9:10]
	buffer_store_dword v4, off, s[0:3], 0 offset:708
	buffer_store_dword v3, off, s[0:3], 0 offset:704
	buffer_store_dword v2, off, s[0:3], 0 offset:716
	buffer_store_dword v1, off, s[0:3], 0 offset:712
.LBB53_187:
	s_or_b32 exec_lo, exec_lo, s4
	v_mov_b32_e32 v4, s19
	s_waitcnt_vscnt null, 0x0
	s_barrier
	buffer_gl0_inv
	s_mov_b32 s4, exec_lo
	s_clause 0x3
	buffer_load_dword v1, v4, s[0:3], 0 offen
	buffer_load_dword v2, v4, s[0:3], 0 offen offset:4
	buffer_load_dword v3, v4, s[0:3], 0 offen offset:8
	;; [unrolled: 1-line block ×3, first 2 shown]
	s_waitcnt vmcnt(0)
	ds_write_b128 v5, v[1:4]
	s_waitcnt lgkmcnt(0)
	s_barrier
	buffer_gl0_inv
	v_cmpx_gt_u32_e32 44, v0
	s_cbranch_execz .LBB53_191
; %bb.188:
	v_mov_b32_e32 v1, 0
	v_mov_b32_e32 v3, 0
	v_add_nc_u32_e32 v7, -1, v0
	v_add_nc_u32_e32 v8, 0x360, v217
	v_mov_b32_e32 v2, 0
	v_mov_b32_e32 v4, 0
	v_add_nc_u32_e32 v9, 16, v217
	s_mov_b32 s5, 0
	.p2align	6
.LBB53_189:                             ; =>This Inner Loop Header: Depth=1
	s_clause 0x3
	buffer_load_dword v14, v9, s[0:3], 0 offen offset:8
	buffer_load_dword v15, v9, s[0:3], 0 offen offset:12
	buffer_load_dword v16, v9, s[0:3], 0 offen
	buffer_load_dword v17, v9, s[0:3], 0 offen offset:4
	ds_read_b128 v[10:13], v8
	v_add_nc_u32_e32 v7, 1, v7
	v_add_nc_u32_e32 v8, 16, v8
	;; [unrolled: 1-line block ×3, first 2 shown]
	v_cmp_lt_u32_e32 vcc_lo, 42, v7
	s_or_b32 s5, vcc_lo, s5
	s_waitcnt vmcnt(2) lgkmcnt(0)
	v_mul_f64 v[18:19], v[12:13], v[14:15]
	v_mul_f64 v[14:15], v[10:11], v[14:15]
	s_waitcnt vmcnt(0)
	v_fma_f64 v[10:11], v[10:11], v[16:17], -v[18:19]
	v_fma_f64 v[12:13], v[12:13], v[16:17], v[14:15]
	v_add_f64 v[3:4], v[3:4], v[10:11]
	v_add_f64 v[1:2], v[1:2], v[12:13]
	s_andn2_b32 exec_lo, exec_lo, s5
	s_cbranch_execnz .LBB53_189
; %bb.190:
	s_or_b32 exec_lo, exec_lo, s5
	v_mov_b32_e32 v7, 0
	ds_read_b128 v[7:10], v7 offset:704
	s_waitcnt lgkmcnt(0)
	v_mul_f64 v[11:12], v[1:2], v[9:10]
	v_mul_f64 v[9:10], v[3:4], v[9:10]
	v_fma_f64 v[3:4], v[3:4], v[7:8], -v[11:12]
	v_fma_f64 v[1:2], v[1:2], v[7:8], v[9:10]
	buffer_store_dword v4, off, s[0:3], 0 offset:724
	buffer_store_dword v3, off, s[0:3], 0 offset:720
	;; [unrolled: 1-line block ×4, first 2 shown]
.LBB53_191:
	s_or_b32 exec_lo, exec_lo, s4
	v_mov_b32_e32 v4, s18
	s_waitcnt_vscnt null, 0x0
	s_barrier
	buffer_gl0_inv
	s_mov_b32 s4, exec_lo
	s_clause 0x3
	buffer_load_dword v1, v4, s[0:3], 0 offen
	buffer_load_dword v2, v4, s[0:3], 0 offen offset:4
	buffer_load_dword v3, v4, s[0:3], 0 offen offset:8
	;; [unrolled: 1-line block ×3, first 2 shown]
	s_waitcnt vmcnt(0)
	ds_write_b128 v5, v[1:4]
	s_waitcnt lgkmcnt(0)
	s_barrier
	buffer_gl0_inv
	v_cmpx_gt_u32_e32 45, v0
	s_cbranch_execz .LBB53_195
; %bb.192:
	v_mov_b32_e32 v1, 0
	v_mov_b32_e32 v3, 0
	v_add_nc_u32_e32 v7, -1, v0
	v_add_nc_u32_e32 v8, 0x360, v217
	v_mov_b32_e32 v2, 0
	v_mov_b32_e32 v4, 0
	v_add_nc_u32_e32 v9, 16, v217
	s_mov_b32 s5, 0
	.p2align	6
.LBB53_193:                             ; =>This Inner Loop Header: Depth=1
	s_clause 0x3
	buffer_load_dword v14, v9, s[0:3], 0 offen offset:8
	buffer_load_dword v15, v9, s[0:3], 0 offen offset:12
	buffer_load_dword v16, v9, s[0:3], 0 offen
	buffer_load_dword v17, v9, s[0:3], 0 offen offset:4
	ds_read_b128 v[10:13], v8
	v_add_nc_u32_e32 v7, 1, v7
	v_add_nc_u32_e32 v8, 16, v8
	v_add_nc_u32_e32 v9, 16, v9
	v_cmp_lt_u32_e32 vcc_lo, 43, v7
	s_or_b32 s5, vcc_lo, s5
	s_waitcnt vmcnt(2) lgkmcnt(0)
	v_mul_f64 v[18:19], v[12:13], v[14:15]
	v_mul_f64 v[14:15], v[10:11], v[14:15]
	s_waitcnt vmcnt(0)
	v_fma_f64 v[10:11], v[10:11], v[16:17], -v[18:19]
	v_fma_f64 v[12:13], v[12:13], v[16:17], v[14:15]
	v_add_f64 v[3:4], v[3:4], v[10:11]
	v_add_f64 v[1:2], v[1:2], v[12:13]
	s_andn2_b32 exec_lo, exec_lo, s5
	s_cbranch_execnz .LBB53_193
; %bb.194:
	s_or_b32 exec_lo, exec_lo, s5
	v_mov_b32_e32 v7, 0
	ds_read_b128 v[7:10], v7 offset:720
	s_waitcnt lgkmcnt(0)
	v_mul_f64 v[11:12], v[1:2], v[9:10]
	v_mul_f64 v[9:10], v[3:4], v[9:10]
	v_fma_f64 v[3:4], v[3:4], v[7:8], -v[11:12]
	v_fma_f64 v[1:2], v[1:2], v[7:8], v[9:10]
	buffer_store_dword v4, off, s[0:3], 0 offset:740
	buffer_store_dword v3, off, s[0:3], 0 offset:736
	;; [unrolled: 1-line block ×4, first 2 shown]
.LBB53_195:
	s_or_b32 exec_lo, exec_lo, s4
	v_mov_b32_e32 v4, s17
	s_waitcnt_vscnt null, 0x0
	s_barrier
	buffer_gl0_inv
	s_mov_b32 s4, exec_lo
	s_clause 0x3
	buffer_load_dword v1, v4, s[0:3], 0 offen
	buffer_load_dword v2, v4, s[0:3], 0 offen offset:4
	buffer_load_dword v3, v4, s[0:3], 0 offen offset:8
	;; [unrolled: 1-line block ×3, first 2 shown]
	s_waitcnt vmcnt(0)
	ds_write_b128 v5, v[1:4]
	s_waitcnt lgkmcnt(0)
	s_barrier
	buffer_gl0_inv
	v_cmpx_gt_u32_e32 46, v0
	s_cbranch_execz .LBB53_199
; %bb.196:
	v_mov_b32_e32 v1, 0
	v_mov_b32_e32 v3, 0
	v_add_nc_u32_e32 v7, -1, v0
	v_add_nc_u32_e32 v8, 0x360, v217
	v_mov_b32_e32 v2, 0
	v_mov_b32_e32 v4, 0
	v_add_nc_u32_e32 v9, 16, v217
	s_mov_b32 s5, 0
	.p2align	6
.LBB53_197:                             ; =>This Inner Loop Header: Depth=1
	s_clause 0x3
	buffer_load_dword v14, v9, s[0:3], 0 offen offset:8
	buffer_load_dword v15, v9, s[0:3], 0 offen offset:12
	buffer_load_dword v16, v9, s[0:3], 0 offen
	buffer_load_dword v17, v9, s[0:3], 0 offen offset:4
	ds_read_b128 v[10:13], v8
	v_add_nc_u32_e32 v7, 1, v7
	v_add_nc_u32_e32 v8, 16, v8
	v_add_nc_u32_e32 v9, 16, v9
	v_cmp_lt_u32_e32 vcc_lo, 44, v7
	s_or_b32 s5, vcc_lo, s5
	s_waitcnt vmcnt(2) lgkmcnt(0)
	v_mul_f64 v[18:19], v[12:13], v[14:15]
	v_mul_f64 v[14:15], v[10:11], v[14:15]
	s_waitcnt vmcnt(0)
	v_fma_f64 v[10:11], v[10:11], v[16:17], -v[18:19]
	v_fma_f64 v[12:13], v[12:13], v[16:17], v[14:15]
	v_add_f64 v[3:4], v[3:4], v[10:11]
	v_add_f64 v[1:2], v[1:2], v[12:13]
	s_andn2_b32 exec_lo, exec_lo, s5
	s_cbranch_execnz .LBB53_197
; %bb.198:
	s_or_b32 exec_lo, exec_lo, s5
	v_mov_b32_e32 v7, 0
	ds_read_b128 v[7:10], v7 offset:736
	s_waitcnt lgkmcnt(0)
	v_mul_f64 v[11:12], v[1:2], v[9:10]
	v_mul_f64 v[9:10], v[3:4], v[9:10]
	v_fma_f64 v[3:4], v[3:4], v[7:8], -v[11:12]
	v_fma_f64 v[1:2], v[1:2], v[7:8], v[9:10]
	buffer_store_dword v4, off, s[0:3], 0 offset:756
	buffer_store_dword v3, off, s[0:3], 0 offset:752
	;; [unrolled: 1-line block ×4, first 2 shown]
.LBB53_199:
	s_or_b32 exec_lo, exec_lo, s4
	v_mov_b32_e32 v4, s16
	s_waitcnt_vscnt null, 0x0
	s_barrier
	buffer_gl0_inv
	s_mov_b32 s4, exec_lo
	s_clause 0x3
	buffer_load_dword v1, v4, s[0:3], 0 offen
	buffer_load_dword v2, v4, s[0:3], 0 offen offset:4
	buffer_load_dword v3, v4, s[0:3], 0 offen offset:8
	;; [unrolled: 1-line block ×3, first 2 shown]
	s_waitcnt vmcnt(0)
	ds_write_b128 v5, v[1:4]
	s_waitcnt lgkmcnt(0)
	s_barrier
	buffer_gl0_inv
	v_cmpx_gt_u32_e32 47, v0
	s_cbranch_execz .LBB53_203
; %bb.200:
	v_mov_b32_e32 v1, 0
	v_mov_b32_e32 v3, 0
	v_add_nc_u32_e32 v7, -1, v0
	v_add_nc_u32_e32 v8, 0x360, v217
	v_mov_b32_e32 v2, 0
	v_mov_b32_e32 v4, 0
	v_add_nc_u32_e32 v9, 16, v217
	s_mov_b32 s5, 0
	.p2align	6
.LBB53_201:                             ; =>This Inner Loop Header: Depth=1
	s_clause 0x3
	buffer_load_dword v14, v9, s[0:3], 0 offen offset:8
	buffer_load_dword v15, v9, s[0:3], 0 offen offset:12
	buffer_load_dword v16, v9, s[0:3], 0 offen
	buffer_load_dword v17, v9, s[0:3], 0 offen offset:4
	ds_read_b128 v[10:13], v8
	v_add_nc_u32_e32 v7, 1, v7
	v_add_nc_u32_e32 v8, 16, v8
	;; [unrolled: 1-line block ×3, first 2 shown]
	v_cmp_lt_u32_e32 vcc_lo, 45, v7
	s_or_b32 s5, vcc_lo, s5
	s_waitcnt vmcnt(2) lgkmcnt(0)
	v_mul_f64 v[18:19], v[12:13], v[14:15]
	v_mul_f64 v[14:15], v[10:11], v[14:15]
	s_waitcnt vmcnt(0)
	v_fma_f64 v[10:11], v[10:11], v[16:17], -v[18:19]
	v_fma_f64 v[12:13], v[12:13], v[16:17], v[14:15]
	v_add_f64 v[3:4], v[3:4], v[10:11]
	v_add_f64 v[1:2], v[1:2], v[12:13]
	s_andn2_b32 exec_lo, exec_lo, s5
	s_cbranch_execnz .LBB53_201
; %bb.202:
	s_or_b32 exec_lo, exec_lo, s5
	v_mov_b32_e32 v7, 0
	ds_read_b128 v[7:10], v7 offset:752
	s_waitcnt lgkmcnt(0)
	v_mul_f64 v[11:12], v[1:2], v[9:10]
	v_mul_f64 v[9:10], v[3:4], v[9:10]
	v_fma_f64 v[3:4], v[3:4], v[7:8], -v[11:12]
	v_fma_f64 v[1:2], v[1:2], v[7:8], v[9:10]
	buffer_store_dword v4, off, s[0:3], 0 offset:772
	buffer_store_dword v3, off, s[0:3], 0 offset:768
	;; [unrolled: 1-line block ×4, first 2 shown]
.LBB53_203:
	s_or_b32 exec_lo, exec_lo, s4
	v_mov_b32_e32 v4, s15
	s_waitcnt_vscnt null, 0x0
	s_barrier
	buffer_gl0_inv
	s_mov_b32 s4, exec_lo
	s_clause 0x3
	buffer_load_dword v1, v4, s[0:3], 0 offen
	buffer_load_dword v2, v4, s[0:3], 0 offen offset:4
	buffer_load_dword v3, v4, s[0:3], 0 offen offset:8
	;; [unrolled: 1-line block ×3, first 2 shown]
	s_waitcnt vmcnt(0)
	ds_write_b128 v5, v[1:4]
	s_waitcnt lgkmcnt(0)
	s_barrier
	buffer_gl0_inv
	v_cmpx_gt_u32_e32 48, v0
	s_cbranch_execz .LBB53_207
; %bb.204:
	v_mov_b32_e32 v1, 0
	v_mov_b32_e32 v3, 0
	v_add_nc_u32_e32 v7, -1, v0
	v_add_nc_u32_e32 v8, 0x360, v217
	v_mov_b32_e32 v2, 0
	v_mov_b32_e32 v4, 0
	v_add_nc_u32_e32 v9, 16, v217
	s_mov_b32 s5, 0
	.p2align	6
.LBB53_205:                             ; =>This Inner Loop Header: Depth=1
	s_clause 0x3
	buffer_load_dword v14, v9, s[0:3], 0 offen offset:8
	buffer_load_dword v15, v9, s[0:3], 0 offen offset:12
	buffer_load_dword v16, v9, s[0:3], 0 offen
	buffer_load_dword v17, v9, s[0:3], 0 offen offset:4
	ds_read_b128 v[10:13], v8
	v_add_nc_u32_e32 v7, 1, v7
	v_add_nc_u32_e32 v8, 16, v8
	;; [unrolled: 1-line block ×3, first 2 shown]
	v_cmp_lt_u32_e32 vcc_lo, 46, v7
	s_or_b32 s5, vcc_lo, s5
	s_waitcnt vmcnt(2) lgkmcnt(0)
	v_mul_f64 v[18:19], v[12:13], v[14:15]
	v_mul_f64 v[14:15], v[10:11], v[14:15]
	s_waitcnt vmcnt(0)
	v_fma_f64 v[10:11], v[10:11], v[16:17], -v[18:19]
	v_fma_f64 v[12:13], v[12:13], v[16:17], v[14:15]
	v_add_f64 v[3:4], v[3:4], v[10:11]
	v_add_f64 v[1:2], v[1:2], v[12:13]
	s_andn2_b32 exec_lo, exec_lo, s5
	s_cbranch_execnz .LBB53_205
; %bb.206:
	s_or_b32 exec_lo, exec_lo, s5
	v_mov_b32_e32 v7, 0
	ds_read_b128 v[7:10], v7 offset:768
	s_waitcnt lgkmcnt(0)
	v_mul_f64 v[11:12], v[1:2], v[9:10]
	v_mul_f64 v[9:10], v[3:4], v[9:10]
	v_fma_f64 v[3:4], v[3:4], v[7:8], -v[11:12]
	v_fma_f64 v[1:2], v[1:2], v[7:8], v[9:10]
	buffer_store_dword v4, off, s[0:3], 0 offset:788
	buffer_store_dword v3, off, s[0:3], 0 offset:784
	;; [unrolled: 1-line block ×4, first 2 shown]
.LBB53_207:
	s_or_b32 exec_lo, exec_lo, s4
	v_mov_b32_e32 v4, s14
	s_waitcnt_vscnt null, 0x0
	s_barrier
	buffer_gl0_inv
	s_mov_b32 s4, exec_lo
	s_clause 0x3
	buffer_load_dword v1, v4, s[0:3], 0 offen
	buffer_load_dword v2, v4, s[0:3], 0 offen offset:4
	buffer_load_dword v3, v4, s[0:3], 0 offen offset:8
	;; [unrolled: 1-line block ×3, first 2 shown]
	s_waitcnt vmcnt(0)
	ds_write_b128 v5, v[1:4]
	s_waitcnt lgkmcnt(0)
	s_barrier
	buffer_gl0_inv
	v_cmpx_gt_u32_e32 49, v0
	s_cbranch_execz .LBB53_211
; %bb.208:
	v_mov_b32_e32 v1, 0
	v_mov_b32_e32 v3, 0
	v_add_nc_u32_e32 v7, -1, v0
	v_add_nc_u32_e32 v8, 0x360, v217
	v_mov_b32_e32 v2, 0
	v_mov_b32_e32 v4, 0
	v_add_nc_u32_e32 v9, 16, v217
	s_mov_b32 s5, 0
	.p2align	6
.LBB53_209:                             ; =>This Inner Loop Header: Depth=1
	s_clause 0x3
	buffer_load_dword v14, v9, s[0:3], 0 offen offset:8
	buffer_load_dword v15, v9, s[0:3], 0 offen offset:12
	buffer_load_dword v16, v9, s[0:3], 0 offen
	buffer_load_dword v17, v9, s[0:3], 0 offen offset:4
	ds_read_b128 v[10:13], v8
	v_add_nc_u32_e32 v7, 1, v7
	v_add_nc_u32_e32 v8, 16, v8
	;; [unrolled: 1-line block ×3, first 2 shown]
	v_cmp_lt_u32_e32 vcc_lo, 47, v7
	s_or_b32 s5, vcc_lo, s5
	s_waitcnt vmcnt(2) lgkmcnt(0)
	v_mul_f64 v[18:19], v[12:13], v[14:15]
	v_mul_f64 v[14:15], v[10:11], v[14:15]
	s_waitcnt vmcnt(0)
	v_fma_f64 v[10:11], v[10:11], v[16:17], -v[18:19]
	v_fma_f64 v[12:13], v[12:13], v[16:17], v[14:15]
	v_add_f64 v[3:4], v[3:4], v[10:11]
	v_add_f64 v[1:2], v[1:2], v[12:13]
	s_andn2_b32 exec_lo, exec_lo, s5
	s_cbranch_execnz .LBB53_209
; %bb.210:
	s_or_b32 exec_lo, exec_lo, s5
	v_mov_b32_e32 v7, 0
	ds_read_b128 v[7:10], v7 offset:784
	s_waitcnt lgkmcnt(0)
	v_mul_f64 v[11:12], v[1:2], v[9:10]
	v_mul_f64 v[9:10], v[3:4], v[9:10]
	v_fma_f64 v[3:4], v[3:4], v[7:8], -v[11:12]
	v_fma_f64 v[1:2], v[1:2], v[7:8], v[9:10]
	buffer_store_dword v4, off, s[0:3], 0 offset:804
	buffer_store_dword v3, off, s[0:3], 0 offset:800
	;; [unrolled: 1-line block ×4, first 2 shown]
.LBB53_211:
	s_or_b32 exec_lo, exec_lo, s4
	v_mov_b32_e32 v4, s13
	s_waitcnt_vscnt null, 0x0
	s_barrier
	buffer_gl0_inv
	s_mov_b32 s4, exec_lo
	s_clause 0x3
	buffer_load_dword v1, v4, s[0:3], 0 offen
	buffer_load_dword v2, v4, s[0:3], 0 offen offset:4
	buffer_load_dword v3, v4, s[0:3], 0 offen offset:8
	;; [unrolled: 1-line block ×3, first 2 shown]
	s_waitcnt vmcnt(0)
	ds_write_b128 v5, v[1:4]
	s_waitcnt lgkmcnt(0)
	s_barrier
	buffer_gl0_inv
	v_cmpx_gt_u32_e32 50, v0
	s_cbranch_execz .LBB53_215
; %bb.212:
	v_mov_b32_e32 v1, 0
	v_mov_b32_e32 v3, 0
	v_add_nc_u32_e32 v7, -1, v0
	v_add_nc_u32_e32 v8, 0x360, v217
	v_mov_b32_e32 v2, 0
	v_mov_b32_e32 v4, 0
	v_add_nc_u32_e32 v9, 16, v217
	s_mov_b32 s5, 0
	.p2align	6
.LBB53_213:                             ; =>This Inner Loop Header: Depth=1
	s_clause 0x3
	buffer_load_dword v14, v9, s[0:3], 0 offen offset:8
	buffer_load_dword v15, v9, s[0:3], 0 offen offset:12
	buffer_load_dword v16, v9, s[0:3], 0 offen
	buffer_load_dword v17, v9, s[0:3], 0 offen offset:4
	ds_read_b128 v[10:13], v8
	v_add_nc_u32_e32 v7, 1, v7
	v_add_nc_u32_e32 v8, 16, v8
	;; [unrolled: 1-line block ×3, first 2 shown]
	v_cmp_lt_u32_e32 vcc_lo, 48, v7
	s_or_b32 s5, vcc_lo, s5
	s_waitcnt vmcnt(2) lgkmcnt(0)
	v_mul_f64 v[18:19], v[12:13], v[14:15]
	v_mul_f64 v[14:15], v[10:11], v[14:15]
	s_waitcnt vmcnt(0)
	v_fma_f64 v[10:11], v[10:11], v[16:17], -v[18:19]
	v_fma_f64 v[12:13], v[12:13], v[16:17], v[14:15]
	v_add_f64 v[3:4], v[3:4], v[10:11]
	v_add_f64 v[1:2], v[1:2], v[12:13]
	s_andn2_b32 exec_lo, exec_lo, s5
	s_cbranch_execnz .LBB53_213
; %bb.214:
	s_or_b32 exec_lo, exec_lo, s5
	v_mov_b32_e32 v7, 0
	ds_read_b128 v[7:10], v7 offset:800
	s_waitcnt lgkmcnt(0)
	v_mul_f64 v[11:12], v[1:2], v[9:10]
	v_mul_f64 v[9:10], v[3:4], v[9:10]
	v_fma_f64 v[3:4], v[3:4], v[7:8], -v[11:12]
	v_fma_f64 v[1:2], v[1:2], v[7:8], v[9:10]
	buffer_store_dword v4, off, s[0:3], 0 offset:820
	buffer_store_dword v3, off, s[0:3], 0 offset:816
	buffer_store_dword v2, off, s[0:3], 0 offset:828
	buffer_store_dword v1, off, s[0:3], 0 offset:824
.LBB53_215:
	s_or_b32 exec_lo, exec_lo, s4
	v_mov_b32_e32 v4, s12
	s_waitcnt_vscnt null, 0x0
	s_barrier
	buffer_gl0_inv
	s_mov_b32 s4, exec_lo
	s_clause 0x3
	buffer_load_dword v1, v4, s[0:3], 0 offen
	buffer_load_dword v2, v4, s[0:3], 0 offen offset:4
	buffer_load_dword v3, v4, s[0:3], 0 offen offset:8
	;; [unrolled: 1-line block ×3, first 2 shown]
	s_waitcnt vmcnt(0)
	ds_write_b128 v5, v[1:4]
	s_waitcnt lgkmcnt(0)
	s_barrier
	buffer_gl0_inv
	v_cmpx_gt_u32_e32 51, v0
	s_cbranch_execz .LBB53_219
; %bb.216:
	v_mov_b32_e32 v1, 0
	v_mov_b32_e32 v3, 0
	v_add_nc_u32_e32 v7, -1, v0
	v_add_nc_u32_e32 v8, 0x360, v217
	v_mov_b32_e32 v2, 0
	v_mov_b32_e32 v4, 0
	v_add_nc_u32_e32 v9, 16, v217
	s_mov_b32 s5, 0
	.p2align	6
.LBB53_217:                             ; =>This Inner Loop Header: Depth=1
	s_clause 0x3
	buffer_load_dword v14, v9, s[0:3], 0 offen offset:8
	buffer_load_dword v15, v9, s[0:3], 0 offen offset:12
	buffer_load_dword v16, v9, s[0:3], 0 offen
	buffer_load_dword v17, v9, s[0:3], 0 offen offset:4
	ds_read_b128 v[10:13], v8
	v_add_nc_u32_e32 v7, 1, v7
	v_add_nc_u32_e32 v8, 16, v8
	;; [unrolled: 1-line block ×3, first 2 shown]
	v_cmp_lt_u32_e32 vcc_lo, 49, v7
	s_or_b32 s5, vcc_lo, s5
	s_waitcnt vmcnt(2) lgkmcnt(0)
	v_mul_f64 v[18:19], v[12:13], v[14:15]
	v_mul_f64 v[14:15], v[10:11], v[14:15]
	s_waitcnt vmcnt(0)
	v_fma_f64 v[10:11], v[10:11], v[16:17], -v[18:19]
	v_fma_f64 v[12:13], v[12:13], v[16:17], v[14:15]
	v_add_f64 v[3:4], v[3:4], v[10:11]
	v_add_f64 v[1:2], v[1:2], v[12:13]
	s_andn2_b32 exec_lo, exec_lo, s5
	s_cbranch_execnz .LBB53_217
; %bb.218:
	s_or_b32 exec_lo, exec_lo, s5
	v_mov_b32_e32 v7, 0
	ds_read_b128 v[7:10], v7 offset:816
	s_waitcnt lgkmcnt(0)
	v_mul_f64 v[11:12], v[1:2], v[9:10]
	v_mul_f64 v[9:10], v[3:4], v[9:10]
	v_fma_f64 v[3:4], v[3:4], v[7:8], -v[11:12]
	v_fma_f64 v[1:2], v[1:2], v[7:8], v[9:10]
	buffer_store_dword v4, off, s[0:3], 0 offset:836
	buffer_store_dword v3, off, s[0:3], 0 offset:832
	;; [unrolled: 1-line block ×4, first 2 shown]
.LBB53_219:
	s_or_b32 exec_lo, exec_lo, s4
	v_mov_b32_e32 v4, s9
	s_waitcnt_vscnt null, 0x0
	s_barrier
	buffer_gl0_inv
	s_mov_b32 s4, exec_lo
	s_clause 0x3
	buffer_load_dword v1, v4, s[0:3], 0 offen
	buffer_load_dword v2, v4, s[0:3], 0 offen offset:4
	buffer_load_dword v3, v4, s[0:3], 0 offen offset:8
	;; [unrolled: 1-line block ×3, first 2 shown]
	s_waitcnt vmcnt(0)
	ds_write_b128 v5, v[1:4]
	s_waitcnt lgkmcnt(0)
	s_barrier
	buffer_gl0_inv
	v_cmpx_gt_u32_e32 52, v0
	s_cbranch_execz .LBB53_223
; %bb.220:
	v_mov_b32_e32 v1, 0
	v_mov_b32_e32 v3, 0
	v_add_nc_u32_e32 v7, -1, v0
	v_add_nc_u32_e32 v8, 0x360, v217
	v_mov_b32_e32 v2, 0
	v_mov_b32_e32 v4, 0
	v_add_nc_u32_e32 v9, 16, v217
	s_mov_b32 s5, 0
	.p2align	6
.LBB53_221:                             ; =>This Inner Loop Header: Depth=1
	s_clause 0x3
	buffer_load_dword v14, v9, s[0:3], 0 offen offset:8
	buffer_load_dword v15, v9, s[0:3], 0 offen offset:12
	buffer_load_dword v16, v9, s[0:3], 0 offen
	buffer_load_dword v17, v9, s[0:3], 0 offen offset:4
	ds_read_b128 v[10:13], v8
	v_add_nc_u32_e32 v7, 1, v7
	v_add_nc_u32_e32 v8, 16, v8
	;; [unrolled: 1-line block ×3, first 2 shown]
	v_cmp_lt_u32_e32 vcc_lo, 50, v7
	s_or_b32 s5, vcc_lo, s5
	s_waitcnt vmcnt(2) lgkmcnt(0)
	v_mul_f64 v[18:19], v[12:13], v[14:15]
	v_mul_f64 v[14:15], v[10:11], v[14:15]
	s_waitcnt vmcnt(0)
	v_fma_f64 v[10:11], v[10:11], v[16:17], -v[18:19]
	v_fma_f64 v[12:13], v[12:13], v[16:17], v[14:15]
	v_add_f64 v[3:4], v[3:4], v[10:11]
	v_add_f64 v[1:2], v[1:2], v[12:13]
	s_andn2_b32 exec_lo, exec_lo, s5
	s_cbranch_execnz .LBB53_221
; %bb.222:
	s_or_b32 exec_lo, exec_lo, s5
	v_mov_b32_e32 v7, 0
	ds_read_b128 v[7:10], v7 offset:832
	s_waitcnt lgkmcnt(0)
	v_mul_f64 v[11:12], v[1:2], v[9:10]
	v_mul_f64 v[9:10], v[3:4], v[9:10]
	v_fma_f64 v[3:4], v[3:4], v[7:8], -v[11:12]
	v_fma_f64 v[1:2], v[1:2], v[7:8], v[9:10]
	buffer_store_dword v4, off, s[0:3], 0 offset:852
	buffer_store_dword v3, off, s[0:3], 0 offset:848
	;; [unrolled: 1-line block ×4, first 2 shown]
.LBB53_223:
	s_or_b32 exec_lo, exec_lo, s4
	v_mov_b32_e32 v4, s8
	s_waitcnt_vscnt null, 0x0
	s_barrier
	buffer_gl0_inv
	s_mov_b32 s4, exec_lo
	s_clause 0x3
	buffer_load_dword v1, v4, s[0:3], 0 offen
	buffer_load_dword v2, v4, s[0:3], 0 offen offset:4
	buffer_load_dword v3, v4, s[0:3], 0 offen offset:8
	;; [unrolled: 1-line block ×3, first 2 shown]
	s_waitcnt vmcnt(0)
	ds_write_b128 v5, v[1:4]
	s_waitcnt lgkmcnt(0)
	s_barrier
	buffer_gl0_inv
	v_cmpx_ne_u32_e32 53, v0
	s_cbranch_execz .LBB53_227
; %bb.224:
	v_mov_b32_e32 v1, 0
	v_mov_b32_e32 v3, 0
	;; [unrolled: 1-line block ×4, first 2 shown]
	v_add_nc_u32_e32 v7, 16, v217
	s_mov_b32 s5, 0
	.p2align	6
.LBB53_225:                             ; =>This Inner Loop Header: Depth=1
	s_clause 0x3
	buffer_load_dword v12, v7, s[0:3], 0 offen offset:8
	buffer_load_dword v13, v7, s[0:3], 0 offen offset:12
	buffer_load_dword v14, v7, s[0:3], 0 offen
	buffer_load_dword v15, v7, s[0:3], 0 offen offset:4
	ds_read_b128 v[8:11], v5
	v_add_nc_u32_e32 v6, 1, v6
	v_add_nc_u32_e32 v5, 16, v5
	;; [unrolled: 1-line block ×3, first 2 shown]
	v_cmp_lt_u32_e32 vcc_lo, 51, v6
	s_or_b32 s5, vcc_lo, s5
	s_waitcnt vmcnt(2) lgkmcnt(0)
	v_mul_f64 v[16:17], v[10:11], v[12:13]
	v_mul_f64 v[12:13], v[8:9], v[12:13]
	s_waitcnt vmcnt(0)
	v_fma_f64 v[8:9], v[8:9], v[14:15], -v[16:17]
	v_fma_f64 v[10:11], v[10:11], v[14:15], v[12:13]
	v_add_f64 v[3:4], v[3:4], v[8:9]
	v_add_f64 v[1:2], v[1:2], v[10:11]
	s_andn2_b32 exec_lo, exec_lo, s5
	s_cbranch_execnz .LBB53_225
; %bb.226:
	s_or_b32 exec_lo, exec_lo, s5
	v_mov_b32_e32 v5, 0
	ds_read_b128 v[5:8], v5 offset:848
	s_waitcnt lgkmcnt(0)
	v_mul_f64 v[9:10], v[1:2], v[7:8]
	v_mul_f64 v[7:8], v[3:4], v[7:8]
	v_fma_f64 v[3:4], v[3:4], v[5:6], -v[9:10]
	v_fma_f64 v[1:2], v[1:2], v[5:6], v[7:8]
	buffer_store_dword v4, off, s[0:3], 0 offset:868
	buffer_store_dword v3, off, s[0:3], 0 offset:864
	;; [unrolled: 1-line block ×4, first 2 shown]
.LBB53_227:
	s_or_b32 exec_lo, exec_lo, s4
	s_mov_b32 s5, -1
	s_waitcnt_vscnt null, 0x0
	s_barrier
	buffer_gl0_inv
.LBB53_228:
	s_and_b32 vcc_lo, exec_lo, s5
	s_cbranch_vccz .LBB53_230
; %bb.229:
	s_lshl_b64 s[4:5], s[6:7], 2
	v_mov_b32_e32 v1, 0
	s_add_u32 s4, s10, s4
	s_addc_u32 s5, s11, s5
	global_load_dword v1, v1, s[4:5]
	s_waitcnt vmcnt(0)
	v_cmp_ne_u32_e32 vcc_lo, 0, v1
	s_cbranch_vccz .LBB53_231
.LBB53_230:
	s_endpgm
.LBB53_231:
	v_lshl_add_u32 v47, v0, 4, 0x360
	s_mov_b32 s4, exec_lo
	v_cmpx_eq_u32_e32 53, v0
	s_cbranch_execz .LBB53_233
; %bb.232:
	v_mov_b32_e32 v4, s9
	v_mov_b32_e32 v5, 0
	s_clause 0x3
	buffer_load_dword v1, v4, s[0:3], 0 offen
	buffer_load_dword v2, v4, s[0:3], 0 offen offset:4
	buffer_load_dword v3, v4, s[0:3], 0 offen offset:8
	;; [unrolled: 1-line block ×3, first 2 shown]
	buffer_store_dword v5, off, s[0:3], 0 offset:848
	buffer_store_dword v5, off, s[0:3], 0 offset:852
	buffer_store_dword v5, off, s[0:3], 0 offset:856
	buffer_store_dword v5, off, s[0:3], 0 offset:860
	s_waitcnt vmcnt(0)
	ds_write_b128 v47, v[1:4]
.LBB53_233:
	s_or_b32 exec_lo, exec_lo, s4
	s_waitcnt lgkmcnt(0)
	s_waitcnt_vscnt null, 0x0
	s_barrier
	buffer_gl0_inv
	s_clause 0x7
	buffer_load_dword v6, off, s[0:3], 0 offset:872
	buffer_load_dword v7, off, s[0:3], 0 offset:876
	;; [unrolled: 1-line block ×8, first 2 shown]
	v_mov_b32_e32 v1, 0
	s_mov_b32 s4, exec_lo
	ds_read_b128 v[2:5], v1 offset:1712
	s_waitcnt vmcnt(6) lgkmcnt(0)
	v_mul_f64 v[14:15], v[4:5], v[6:7]
	v_mul_f64 v[6:7], v[2:3], v[6:7]
	s_waitcnt vmcnt(4)
	v_fma_f64 v[2:3], v[2:3], v[8:9], -v[14:15]
	v_fma_f64 v[4:5], v[4:5], v[8:9], v[6:7]
	v_add_f64 v[2:3], v[2:3], 0
	v_add_f64 v[4:5], v[4:5], 0
	s_waitcnt vmcnt(2)
	v_add_f64 v[2:3], v[10:11], -v[2:3]
	s_waitcnt vmcnt(0)
	v_add_f64 v[4:5], v[12:13], -v[4:5]
	buffer_store_dword v2, off, s[0:3], 0 offset:848
	buffer_store_dword v3, off, s[0:3], 0 offset:852
	;; [unrolled: 1-line block ×4, first 2 shown]
	v_cmpx_lt_u32_e32 51, v0
	s_cbranch_execz .LBB53_235
; %bb.234:
	v_mov_b32_e32 v5, s12
	s_clause 0x3
	buffer_load_dword v2, v5, s[0:3], 0 offen
	buffer_load_dword v3, v5, s[0:3], 0 offen offset:4
	buffer_load_dword v4, v5, s[0:3], 0 offen offset:8
	;; [unrolled: 1-line block ×3, first 2 shown]
	buffer_store_dword v1, off, s[0:3], 0 offset:832
	buffer_store_dword v1, off, s[0:3], 0 offset:836
	;; [unrolled: 1-line block ×4, first 2 shown]
	s_waitcnt vmcnt(0)
	ds_write_b128 v47, v[2:5]
.LBB53_235:
	s_or_b32 exec_lo, exec_lo, s4
	s_waitcnt lgkmcnt(0)
	s_waitcnt_vscnt null, 0x0
	s_barrier
	buffer_gl0_inv
	s_clause 0xb
	buffer_load_dword v10, off, s[0:3], 0 offset:856
	buffer_load_dword v11, off, s[0:3], 0 offset:860
	;; [unrolled: 1-line block ×12, first 2 shown]
	ds_read_b128 v[2:5], v1 offset:1696
	ds_read_b128 v[6:9], v1 offset:1712
	s_mov_b32 s4, exec_lo
	s_waitcnt vmcnt(10) lgkmcnt(1)
	v_mul_f64 v[22:23], v[4:5], v[10:11]
	v_mul_f64 v[10:11], v[2:3], v[10:11]
	s_waitcnt vmcnt(8) lgkmcnt(0)
	v_mul_f64 v[24:25], v[8:9], v[12:13]
	v_mul_f64 v[12:13], v[6:7], v[12:13]
	s_waitcnt vmcnt(6)
	v_fma_f64 v[1:2], v[2:3], v[14:15], -v[22:23]
	v_fma_f64 v[3:4], v[4:5], v[14:15], v[10:11]
	s_waitcnt vmcnt(4)
	v_fma_f64 v[5:6], v[6:7], v[16:17], -v[24:25]
	v_fma_f64 v[7:8], v[8:9], v[16:17], v[12:13]
	v_add_f64 v[1:2], v[1:2], 0
	v_add_f64 v[3:4], v[3:4], 0
	;; [unrolled: 1-line block ×4, first 2 shown]
	s_waitcnt vmcnt(2)
	v_add_f64 v[1:2], v[18:19], -v[1:2]
	s_waitcnt vmcnt(0)
	v_add_f64 v[3:4], v[20:21], -v[3:4]
	buffer_store_dword v1, off, s[0:3], 0 offset:832
	buffer_store_dword v2, off, s[0:3], 0 offset:836
	;; [unrolled: 1-line block ×4, first 2 shown]
	v_cmpx_lt_u32_e32 50, v0
	s_cbranch_execz .LBB53_237
; %bb.236:
	v_mov_b32_e32 v4, s13
	v_mov_b32_e32 v5, 0
	s_clause 0x3
	buffer_load_dword v1, v4, s[0:3], 0 offen
	buffer_load_dword v2, v4, s[0:3], 0 offen offset:4
	buffer_load_dword v3, v4, s[0:3], 0 offen offset:8
	;; [unrolled: 1-line block ×3, first 2 shown]
	buffer_store_dword v5, off, s[0:3], 0 offset:816
	buffer_store_dword v5, off, s[0:3], 0 offset:820
	;; [unrolled: 1-line block ×4, first 2 shown]
	s_waitcnt vmcnt(0)
	ds_write_b128 v47, v[1:4]
.LBB53_237:
	s_or_b32 exec_lo, exec_lo, s4
	s_waitcnt lgkmcnt(0)
	s_waitcnt_vscnt null, 0x0
	s_barrier
	buffer_gl0_inv
	s_clause 0xf
	buffer_load_dword v10, off, s[0:3], 0 offset:840
	buffer_load_dword v11, off, s[0:3], 0 offset:844
	;; [unrolled: 1-line block ×16, first 2 shown]
	v_mov_b32_e32 v1, 0
	ds_read_b128 v[2:5], v1 offset:1680
	ds_read_b128 v[6:9], v1 offset:1696
	s_mov_b32 s4, exec_lo
	s_waitcnt vmcnt(14) lgkmcnt(1)
	v_mul_f64 v[28:29], v[4:5], v[10:11]
	v_mul_f64 v[30:31], v[2:3], v[10:11]
	s_waitcnt vmcnt(12) lgkmcnt(0)
	v_mul_f64 v[32:33], v[8:9], v[14:15]
	ds_read_b128 v[10:13], v1 offset:1712
	v_mul_f64 v[14:15], v[6:7], v[14:15]
	s_waitcnt vmcnt(10)
	v_fma_f64 v[2:3], v[2:3], v[16:17], -v[28:29]
	v_fma_f64 v[4:5], v[4:5], v[16:17], v[30:31]
	s_waitcnt vmcnt(8) lgkmcnt(0)
	v_mul_f64 v[16:17], v[10:11], v[18:19]
	v_mul_f64 v[18:19], v[12:13], v[18:19]
	s_waitcnt vmcnt(6)
	v_fma_f64 v[6:7], v[6:7], v[20:21], -v[32:33]
	v_fma_f64 v[8:9], v[8:9], v[20:21], v[14:15]
	v_add_f64 v[2:3], v[2:3], 0
	v_add_f64 v[4:5], v[4:5], 0
	s_waitcnt vmcnt(4)
	v_fma_f64 v[10:11], v[10:11], v[22:23], -v[18:19]
	v_add_f64 v[2:3], v[2:3], v[6:7]
	v_fma_f64 v[6:7], v[12:13], v[22:23], v[16:17]
	v_add_f64 v[4:5], v[4:5], v[8:9]
	v_add_f64 v[2:3], v[2:3], v[10:11]
	v_add_f64 v[4:5], v[4:5], v[6:7]
	s_waitcnt vmcnt(2)
	v_add_f64 v[2:3], v[24:25], -v[2:3]
	s_waitcnt vmcnt(0)
	v_add_f64 v[4:5], v[26:27], -v[4:5]
	buffer_store_dword v2, off, s[0:3], 0 offset:816
	buffer_store_dword v3, off, s[0:3], 0 offset:820
	;; [unrolled: 1-line block ×4, first 2 shown]
	v_cmpx_lt_u32_e32 49, v0
	s_cbranch_execz .LBB53_239
; %bb.238:
	v_mov_b32_e32 v5, s14
	s_clause 0x3
	buffer_load_dword v2, v5, s[0:3], 0 offen
	buffer_load_dword v3, v5, s[0:3], 0 offen offset:4
	buffer_load_dword v4, v5, s[0:3], 0 offen offset:8
	;; [unrolled: 1-line block ×3, first 2 shown]
	buffer_store_dword v1, off, s[0:3], 0 offset:800
	buffer_store_dword v1, off, s[0:3], 0 offset:804
	;; [unrolled: 1-line block ×4, first 2 shown]
	s_waitcnt vmcnt(0)
	ds_write_b128 v47, v[2:5]
.LBB53_239:
	s_or_b32 exec_lo, exec_lo, s4
	s_waitcnt lgkmcnt(0)
	s_waitcnt_vscnt null, 0x0
	s_barrier
	buffer_gl0_inv
	s_clause 0x13
	buffer_load_dword v10, off, s[0:3], 0 offset:824
	buffer_load_dword v11, off, s[0:3], 0 offset:828
	;; [unrolled: 1-line block ×20, first 2 shown]
	ds_read_b128 v[2:5], v1 offset:1664
	ds_read_b128 v[6:9], v1 offset:1680
	s_mov_b32 s4, exec_lo
	s_waitcnt vmcnt(18) lgkmcnt(1)
	v_mul_f64 v[32:33], v[4:5], v[10:11]
	v_mul_f64 v[34:35], v[2:3], v[10:11]
	s_waitcnt vmcnt(16) lgkmcnt(0)
	v_mul_f64 v[36:37], v[8:9], v[14:15]
	ds_read_b128 v[10:13], v1 offset:1696
	v_mul_f64 v[14:15], v[6:7], v[14:15]
	s_waitcnt vmcnt(14)
	v_fma_f64 v[32:33], v[2:3], v[16:17], -v[32:33]
	v_fma_f64 v[16:17], v[4:5], v[16:17], v[34:35]
	s_waitcnt vmcnt(12) lgkmcnt(0)
	v_mul_f64 v[34:35], v[10:11], v[18:19]
	v_mul_f64 v[18:19], v[12:13], v[18:19]
	s_waitcnt vmcnt(10)
	v_fma_f64 v[5:6], v[6:7], v[20:21], -v[36:37]
	ds_read_b128 v[1:4], v1 offset:1712
	v_fma_f64 v[7:8], v[8:9], v[20:21], v[14:15]
	v_add_f64 v[32:33], v[32:33], 0
	v_add_f64 v[14:15], v[16:17], 0
	s_waitcnt vmcnt(8) lgkmcnt(0)
	v_mul_f64 v[20:21], v[3:4], v[22:23]
	s_waitcnt vmcnt(6)
	v_fma_f64 v[9:10], v[10:11], v[24:25], -v[18:19]
	v_mul_f64 v[16:17], v[1:2], v[22:23]
	v_fma_f64 v[11:12], v[12:13], v[24:25], v[34:35]
	v_add_f64 v[5:6], v[32:33], v[5:6]
	v_add_f64 v[7:8], v[14:15], v[7:8]
	s_waitcnt vmcnt(4)
	v_fma_f64 v[1:2], v[1:2], v[26:27], -v[20:21]
	v_fma_f64 v[3:4], v[3:4], v[26:27], v[16:17]
	v_add_f64 v[5:6], v[5:6], v[9:10]
	v_add_f64 v[7:8], v[7:8], v[11:12]
	;; [unrolled: 1-line block ×4, first 2 shown]
	s_waitcnt vmcnt(2)
	v_add_f64 v[1:2], v[28:29], -v[1:2]
	s_waitcnt vmcnt(0)
	v_add_f64 v[3:4], v[30:31], -v[3:4]
	buffer_store_dword v1, off, s[0:3], 0 offset:800
	buffer_store_dword v2, off, s[0:3], 0 offset:804
	;; [unrolled: 1-line block ×4, first 2 shown]
	v_cmpx_lt_u32_e32 48, v0
	s_cbranch_execz .LBB53_241
; %bb.240:
	v_mov_b32_e32 v4, s15
	v_mov_b32_e32 v5, 0
	s_clause 0x3
	buffer_load_dword v1, v4, s[0:3], 0 offen
	buffer_load_dword v2, v4, s[0:3], 0 offen offset:4
	buffer_load_dword v3, v4, s[0:3], 0 offen offset:8
	;; [unrolled: 1-line block ×3, first 2 shown]
	buffer_store_dword v5, off, s[0:3], 0 offset:784
	buffer_store_dword v5, off, s[0:3], 0 offset:788
	;; [unrolled: 1-line block ×4, first 2 shown]
	s_waitcnt vmcnt(0)
	ds_write_b128 v47, v[1:4]
.LBB53_241:
	s_or_b32 exec_lo, exec_lo, s4
	s_waitcnt lgkmcnt(0)
	s_waitcnt_vscnt null, 0x0
	s_barrier
	buffer_gl0_inv
	s_clause 0x17
	buffer_load_dword v10, off, s[0:3], 0 offset:808
	buffer_load_dword v11, off, s[0:3], 0 offset:812
	;; [unrolled: 1-line block ×24, first 2 shown]
	v_mov_b32_e32 v1, 0
	ds_read_b128 v[2:5], v1 offset:1648
	ds_read_b128 v[6:9], v1 offset:1664
	s_mov_b32 s4, exec_lo
	s_waitcnt vmcnt(22) lgkmcnt(1)
	v_mul_f64 v[36:37], v[4:5], v[10:11]
	v_mul_f64 v[38:39], v[2:3], v[10:11]
	s_waitcnt vmcnt(20) lgkmcnt(0)
	v_mul_f64 v[40:41], v[8:9], v[14:15]
	ds_read_b128 v[10:13], v1 offset:1680
	v_mul_f64 v[14:15], v[6:7], v[14:15]
	s_waitcnt vmcnt(18)
	v_fma_f64 v[36:37], v[2:3], v[16:17], -v[36:37]
	v_fma_f64 v[16:17], v[4:5], v[16:17], v[38:39]
	ds_read_b128 v[2:5], v1 offset:1696
	s_waitcnt vmcnt(16) lgkmcnt(1)
	v_mul_f64 v[38:39], v[10:11], v[18:19]
	v_mul_f64 v[18:19], v[12:13], v[18:19]
	s_waitcnt vmcnt(14)
	v_fma_f64 v[40:41], v[6:7], v[20:21], -v[40:41]
	v_fma_f64 v[14:15], v[8:9], v[20:21], v[14:15]
	ds_read_b128 v[6:9], v1 offset:1712
	s_waitcnt vmcnt(10) lgkmcnt(1)
	v_mul_f64 v[20:21], v[2:3], v[22:23]
	v_add_f64 v[36:37], v[36:37], 0
	v_add_f64 v[16:17], v[16:17], 0
	v_mul_f64 v[22:23], v[4:5], v[22:23]
	s_waitcnt vmcnt(8)
	v_fma_f64 v[10:11], v[10:11], v[28:29], -v[18:19]
	v_fma_f64 v[12:13], v[12:13], v[28:29], v[38:39]
	s_waitcnt vmcnt(5)
	v_fma_f64 v[4:5], v[4:5], v[30:31], v[20:21]
	v_add_f64 v[18:19], v[36:37], v[40:41]
	v_add_f64 v[14:15], v[16:17], v[14:15]
	s_waitcnt lgkmcnt(0)
	v_mul_f64 v[16:17], v[6:7], v[24:25]
	v_mul_f64 v[24:25], v[8:9], v[24:25]
	v_fma_f64 v[2:3], v[2:3], v[30:31], -v[22:23]
	v_add_f64 v[10:11], v[18:19], v[10:11]
	v_add_f64 v[12:13], v[14:15], v[12:13]
	s_waitcnt vmcnt(4)
	v_fma_f64 v[8:9], v[8:9], v[26:27], v[16:17]
	v_fma_f64 v[6:7], v[6:7], v[26:27], -v[24:25]
	v_add_f64 v[2:3], v[10:11], v[2:3]
	v_add_f64 v[4:5], v[12:13], v[4:5]
	;; [unrolled: 1-line block ×4, first 2 shown]
	s_waitcnt vmcnt(2)
	v_add_f64 v[2:3], v[32:33], -v[2:3]
	s_waitcnt vmcnt(0)
	v_add_f64 v[4:5], v[34:35], -v[4:5]
	buffer_store_dword v3, off, s[0:3], 0 offset:788
	buffer_store_dword v2, off, s[0:3], 0 offset:784
	;; [unrolled: 1-line block ×4, first 2 shown]
	v_cmpx_lt_u32_e32 47, v0
	s_cbranch_execz .LBB53_243
; %bb.242:
	v_mov_b32_e32 v5, s16
	s_clause 0x3
	buffer_load_dword v2, v5, s[0:3], 0 offen
	buffer_load_dword v3, v5, s[0:3], 0 offen offset:4
	buffer_load_dword v4, v5, s[0:3], 0 offen offset:8
	;; [unrolled: 1-line block ×3, first 2 shown]
	buffer_store_dword v1, off, s[0:3], 0 offset:768
	buffer_store_dword v1, off, s[0:3], 0 offset:772
	;; [unrolled: 1-line block ×4, first 2 shown]
	s_waitcnt vmcnt(0)
	ds_write_b128 v47, v[2:5]
.LBB53_243:
	s_or_b32 exec_lo, exec_lo, s4
	s_waitcnt lgkmcnt(0)
	s_waitcnt_vscnt null, 0x0
	s_barrier
	buffer_gl0_inv
	s_clause 0x1b
	buffer_load_dword v10, off, s[0:3], 0 offset:792
	buffer_load_dword v11, off, s[0:3], 0 offset:796
	;; [unrolled: 1-line block ×28, first 2 shown]
	ds_read_b128 v[2:5], v1 offset:1632
	ds_read_b128 v[6:9], v1 offset:1648
	s_mov_b32 s4, exec_lo
	s_waitcnt vmcnt(26) lgkmcnt(1)
	v_mul_f64 v[40:41], v[4:5], v[10:11]
	v_mul_f64 v[42:43], v[2:3], v[10:11]
	s_waitcnt vmcnt(24) lgkmcnt(0)
	v_mul_f64 v[44:45], v[8:9], v[14:15]
	ds_read_b128 v[10:13], v1 offset:1664
	v_mul_f64 v[14:15], v[6:7], v[14:15]
	s_waitcnt vmcnt(22)
	v_fma_f64 v[40:41], v[2:3], v[16:17], -v[40:41]
	v_fma_f64 v[16:17], v[4:5], v[16:17], v[42:43]
	ds_read_b128 v[2:5], v1 offset:1680
	s_waitcnt vmcnt(20) lgkmcnt(1)
	v_mul_f64 v[42:43], v[10:11], v[18:19]
	v_mul_f64 v[18:19], v[12:13], v[18:19]
	s_waitcnt vmcnt(18)
	v_fma_f64 v[44:45], v[6:7], v[20:21], -v[44:45]
	v_fma_f64 v[14:15], v[8:9], v[20:21], v[14:15]
	ds_read_b128 v[6:9], v1 offset:1696
	s_waitcnt vmcnt(14) lgkmcnt(1)
	v_mul_f64 v[20:21], v[2:3], v[22:23]
	v_add_f64 v[40:41], v[40:41], 0
	v_add_f64 v[16:17], v[16:17], 0
	v_mul_f64 v[22:23], v[4:5], v[22:23]
	s_waitcnt vmcnt(12)
	v_fma_f64 v[18:19], v[10:11], v[28:29], -v[18:19]
	v_fma_f64 v[28:29], v[12:13], v[28:29], v[42:43]
	ds_read_b128 v[10:13], v1 offset:1712
	v_add_f64 v[40:41], v[40:41], v[44:45]
	v_add_f64 v[14:15], v[16:17], v[14:15]
	s_waitcnt vmcnt(11) lgkmcnt(1)
	v_mul_f64 v[16:17], v[6:7], v[24:25]
	v_mul_f64 v[24:25], v[8:9], v[24:25]
	s_waitcnt vmcnt(9)
	v_fma_f64 v[1:2], v[2:3], v[30:31], -v[22:23]
	v_fma_f64 v[3:4], v[4:5], v[30:31], v[20:21]
	s_waitcnt vmcnt(7) lgkmcnt(0)
	v_mul_f64 v[22:23], v[12:13], v[32:33]
	v_mul_f64 v[20:21], v[10:11], v[32:33]
	v_add_f64 v[18:19], v[40:41], v[18:19]
	v_add_f64 v[14:15], v[14:15], v[28:29]
	s_waitcnt vmcnt(6)
	v_fma_f64 v[5:6], v[6:7], v[26:27], -v[24:25]
	v_fma_f64 v[7:8], v[8:9], v[26:27], v[16:17]
	s_waitcnt vmcnt(4)
	v_fma_f64 v[9:10], v[10:11], v[34:35], -v[22:23]
	v_add_f64 v[1:2], v[18:19], v[1:2]
	v_add_f64 v[3:4], v[14:15], v[3:4]
	v_add_f64 v[1:2], v[1:2], v[5:6]
	v_fma_f64 v[5:6], v[12:13], v[34:35], v[20:21]
	v_add_f64 v[3:4], v[3:4], v[7:8]
	v_add_f64 v[1:2], v[1:2], v[9:10]
	;; [unrolled: 1-line block ×3, first 2 shown]
	s_waitcnt vmcnt(2)
	v_add_f64 v[1:2], v[36:37], -v[1:2]
	s_waitcnt vmcnt(0)
	v_add_f64 v[3:4], v[38:39], -v[3:4]
	buffer_store_dword v2, off, s[0:3], 0 offset:772
	buffer_store_dword v1, off, s[0:3], 0 offset:768
	;; [unrolled: 1-line block ×4, first 2 shown]
	v_cmpx_lt_u32_e32 46, v0
	s_cbranch_execz .LBB53_245
; %bb.244:
	v_mov_b32_e32 v4, s17
	v_mov_b32_e32 v5, 0
	s_clause 0x3
	buffer_load_dword v1, v4, s[0:3], 0 offen
	buffer_load_dword v2, v4, s[0:3], 0 offen offset:4
	buffer_load_dword v3, v4, s[0:3], 0 offen offset:8
	;; [unrolled: 1-line block ×3, first 2 shown]
	buffer_store_dword v5, off, s[0:3], 0 offset:752
	buffer_store_dword v5, off, s[0:3], 0 offset:756
	;; [unrolled: 1-line block ×4, first 2 shown]
	s_waitcnt vmcnt(0)
	ds_write_b128 v47, v[1:4]
.LBB53_245:
	s_or_b32 exec_lo, exec_lo, s4
	s_waitcnt lgkmcnt(0)
	s_waitcnt_vscnt null, 0x0
	s_barrier
	buffer_gl0_inv
	s_clause 0x1f
	buffer_load_dword v10, off, s[0:3], 0 offset:776
	buffer_load_dword v11, off, s[0:3], 0 offset:780
	;; [unrolled: 1-line block ×32, first 2 shown]
	v_mov_b32_e32 v1, 0
	ds_read_b128 v[2:5], v1 offset:1616
	ds_read_b128 v[6:9], v1 offset:1632
	s_mov_b32 s4, exec_lo
	s_waitcnt vmcnt(30) lgkmcnt(1)
	v_mul_f64 v[44:45], v[4:5], v[10:11]
	v_mul_f64 v[65:66], v[2:3], v[10:11]
	s_waitcnt vmcnt(28) lgkmcnt(0)
	v_mul_f64 v[67:68], v[8:9], v[14:15]
	ds_read_b128 v[10:13], v1 offset:1648
	v_mul_f64 v[14:15], v[6:7], v[14:15]
	s_waitcnt vmcnt(26)
	v_fma_f64 v[44:45], v[2:3], v[16:17], -v[44:45]
	v_fma_f64 v[16:17], v[4:5], v[16:17], v[65:66]
	ds_read_b128 v[2:5], v1 offset:1664
	s_waitcnt vmcnt(24) lgkmcnt(1)
	v_mul_f64 v[65:66], v[10:11], v[18:19]
	v_mul_f64 v[18:19], v[12:13], v[18:19]
	s_waitcnt vmcnt(22)
	v_fma_f64 v[67:68], v[6:7], v[20:21], -v[67:68]
	v_fma_f64 v[14:15], v[8:9], v[20:21], v[14:15]
	ds_read_b128 v[6:9], v1 offset:1680
	s_waitcnt vmcnt(18) lgkmcnt(1)
	v_mul_f64 v[20:21], v[2:3], v[22:23]
	v_add_f64 v[44:45], v[44:45], 0
	v_add_f64 v[16:17], v[16:17], 0
	v_mul_f64 v[22:23], v[4:5], v[22:23]
	s_waitcnt vmcnt(16)
	v_fma_f64 v[18:19], v[10:11], v[28:29], -v[18:19]
	v_fma_f64 v[28:29], v[12:13], v[28:29], v[65:66]
	ds_read_b128 v[10:13], v1 offset:1696
	s_waitcnt vmcnt(13)
	v_fma_f64 v[20:21], v[4:5], v[30:31], v[20:21]
	v_add_f64 v[44:45], v[44:45], v[67:68]
	v_add_f64 v[14:15], v[16:17], v[14:15]
	s_waitcnt lgkmcnt(1)
	v_mul_f64 v[16:17], v[6:7], v[24:25]
	v_mul_f64 v[24:25], v[8:9], v[24:25]
	v_fma_f64 v[22:23], v[2:3], v[30:31], -v[22:23]
	s_waitcnt vmcnt(9) lgkmcnt(0)
	v_mul_f64 v[30:31], v[12:13], v[32:33]
	ds_read_b128 v[2:5], v1 offset:1712
	v_add_f64 v[18:19], v[44:45], v[18:19]
	v_add_f64 v[14:15], v[14:15], v[28:29]
	v_mul_f64 v[28:29], v[10:11], v[32:33]
	s_waitcnt vmcnt(8)
	v_fma_f64 v[6:7], v[6:7], v[26:27], -v[24:25]
	v_fma_f64 v[8:9], v[8:9], v[26:27], v[16:17]
	s_waitcnt vmcnt(5)
	v_fma_f64 v[10:11], v[10:11], v[38:39], -v[30:31]
	s_waitcnt lgkmcnt(0)
	v_mul_f64 v[16:17], v[2:3], v[34:35]
	v_add_f64 v[18:19], v[18:19], v[22:23]
	v_add_f64 v[14:15], v[14:15], v[20:21]
	v_mul_f64 v[20:21], v[4:5], v[34:35]
	v_fma_f64 v[12:13], v[12:13], v[38:39], v[28:29]
	s_waitcnt vmcnt(4)
	v_fma_f64 v[4:5], v[4:5], v[36:37], v[16:17]
	v_add_f64 v[6:7], v[18:19], v[6:7]
	v_add_f64 v[8:9], v[14:15], v[8:9]
	v_fma_f64 v[2:3], v[2:3], v[36:37], -v[20:21]
	v_add_f64 v[6:7], v[6:7], v[10:11]
	v_add_f64 v[8:9], v[8:9], v[12:13]
	v_add_f64 v[2:3], v[6:7], v[2:3]
	v_add_f64 v[4:5], v[8:9], v[4:5]
	s_waitcnt vmcnt(2)
	v_add_f64 v[2:3], v[40:41], -v[2:3]
	s_waitcnt vmcnt(0)
	v_add_f64 v[4:5], v[42:43], -v[4:5]
	buffer_store_dword v3, off, s[0:3], 0 offset:756
	buffer_store_dword v2, off, s[0:3], 0 offset:752
	;; [unrolled: 1-line block ×4, first 2 shown]
	v_cmpx_lt_u32_e32 45, v0
	s_cbranch_execz .LBB53_247
; %bb.246:
	v_mov_b32_e32 v5, s18
	s_clause 0x3
	buffer_load_dword v2, v5, s[0:3], 0 offen
	buffer_load_dword v3, v5, s[0:3], 0 offen offset:4
	buffer_load_dword v4, v5, s[0:3], 0 offen offset:8
	;; [unrolled: 1-line block ×3, first 2 shown]
	buffer_store_dword v1, off, s[0:3], 0 offset:736
	buffer_store_dword v1, off, s[0:3], 0 offset:740
	;; [unrolled: 1-line block ×4, first 2 shown]
	s_waitcnt vmcnt(0)
	ds_write_b128 v47, v[2:5]
.LBB53_247:
	s_or_b32 exec_lo, exec_lo, s4
	s_waitcnt lgkmcnt(0)
	s_waitcnt_vscnt null, 0x0
	s_barrier
	buffer_gl0_inv
	s_clause 0x23
	buffer_load_dword v10, off, s[0:3], 0 offset:760
	buffer_load_dword v11, off, s[0:3], 0 offset:764
	;; [unrolled: 1-line block ×36, first 2 shown]
	ds_read_b128 v[2:5], v1 offset:1600
	ds_read_b128 v[6:9], v1 offset:1616
	s_mov_b32 s4, exec_lo
	s_waitcnt vmcnt(34) lgkmcnt(1)
	v_mul_f64 v[67:68], v[4:5], v[10:11]
	v_mul_f64 v[73:74], v[2:3], v[10:11]
	s_waitcnt vmcnt(32) lgkmcnt(0)
	v_mul_f64 v[75:76], v[8:9], v[14:15]
	ds_read_b128 v[10:13], v1 offset:1632
	v_mul_f64 v[14:15], v[6:7], v[14:15]
	s_waitcnt vmcnt(30)
	v_fma_f64 v[67:68], v[2:3], v[16:17], -v[67:68]
	v_fma_f64 v[16:17], v[4:5], v[16:17], v[73:74]
	ds_read_b128 v[2:5], v1 offset:1648
	s_waitcnt vmcnt(28) lgkmcnt(1)
	v_mul_f64 v[73:74], v[10:11], v[18:19]
	v_mul_f64 v[18:19], v[12:13], v[18:19]
	s_waitcnt vmcnt(26)
	v_fma_f64 v[75:76], v[6:7], v[20:21], -v[75:76]
	v_fma_f64 v[14:15], v[8:9], v[20:21], v[14:15]
	ds_read_b128 v[6:9], v1 offset:1664
	s_waitcnt vmcnt(22) lgkmcnt(1)
	v_mul_f64 v[20:21], v[2:3], v[22:23]
	v_add_f64 v[67:68], v[67:68], 0
	v_add_f64 v[16:17], v[16:17], 0
	v_mul_f64 v[22:23], v[4:5], v[22:23]
	s_waitcnt vmcnt(20)
	v_fma_f64 v[18:19], v[10:11], v[28:29], -v[18:19]
	v_fma_f64 v[28:29], v[12:13], v[28:29], v[73:74]
	ds_read_b128 v[10:13], v1 offset:1680
	s_waitcnt vmcnt(17)
	v_fma_f64 v[20:21], v[4:5], v[30:31], v[20:21]
	v_add_f64 v[67:68], v[67:68], v[75:76]
	v_add_f64 v[14:15], v[16:17], v[14:15]
	s_waitcnt lgkmcnt(1)
	v_mul_f64 v[16:17], v[6:7], v[24:25]
	v_mul_f64 v[24:25], v[8:9], v[24:25]
	v_fma_f64 v[22:23], v[2:3], v[30:31], -v[22:23]
	s_waitcnt vmcnt(13) lgkmcnt(0)
	v_mul_f64 v[30:31], v[12:13], v[32:33]
	ds_read_b128 v[2:5], v1 offset:1696
	v_add_f64 v[18:19], v[67:68], v[18:19]
	v_add_f64 v[14:15], v[14:15], v[28:29]
	v_mul_f64 v[28:29], v[10:11], v[32:33]
	s_waitcnt vmcnt(12)
	v_fma_f64 v[24:25], v[6:7], v[26:27], -v[24:25]
	v_fma_f64 v[16:17], v[8:9], v[26:27], v[16:17]
	ds_read_b128 v[6:9], v1 offset:1712
	s_waitcnt vmcnt(9)
	v_fma_f64 v[10:11], v[10:11], v[38:39], -v[30:31]
	v_add_f64 v[18:19], v[18:19], v[22:23]
	v_add_f64 v[14:15], v[14:15], v[20:21]
	s_waitcnt lgkmcnt(1)
	v_mul_f64 v[22:23], v[4:5], v[34:35]
	v_mul_f64 v[20:21], v[2:3], v[34:35]
	v_fma_f64 v[12:13], v[12:13], v[38:39], v[28:29]
	v_add_f64 v[18:19], v[18:19], v[24:25]
	v_add_f64 v[14:15], v[14:15], v[16:17]
	s_waitcnt vmcnt(7) lgkmcnt(0)
	v_mul_f64 v[24:25], v[8:9], v[40:41]
	s_waitcnt vmcnt(6)
	v_fma_f64 v[1:2], v[2:3], v[36:37], -v[22:23]
	v_mul_f64 v[16:17], v[6:7], v[40:41]
	v_fma_f64 v[3:4], v[4:5], v[36:37], v[20:21]
	v_add_f64 v[10:11], v[18:19], v[10:11]
	v_add_f64 v[12:13], v[14:15], v[12:13]
	s_waitcnt vmcnt(4)
	v_fma_f64 v[5:6], v[6:7], v[42:43], -v[24:25]
	v_fma_f64 v[7:8], v[8:9], v[42:43], v[16:17]
	v_add_f64 v[1:2], v[10:11], v[1:2]
	v_add_f64 v[3:4], v[12:13], v[3:4]
	;; [unrolled: 1-line block ×4, first 2 shown]
	s_waitcnt vmcnt(2)
	v_add_f64 v[1:2], v[44:45], -v[1:2]
	s_waitcnt vmcnt(0)
	v_add_f64 v[3:4], v[65:66], -v[3:4]
	buffer_store_dword v2, off, s[0:3], 0 offset:740
	buffer_store_dword v1, off, s[0:3], 0 offset:736
	;; [unrolled: 1-line block ×4, first 2 shown]
	v_cmpx_lt_u32_e32 44, v0
	s_cbranch_execz .LBB53_249
; %bb.248:
	v_mov_b32_e32 v4, s19
	v_mov_b32_e32 v5, 0
	s_clause 0x3
	buffer_load_dword v1, v4, s[0:3], 0 offen
	buffer_load_dword v2, v4, s[0:3], 0 offen offset:4
	buffer_load_dword v3, v4, s[0:3], 0 offen offset:8
	;; [unrolled: 1-line block ×3, first 2 shown]
	buffer_store_dword v5, off, s[0:3], 0 offset:720
	buffer_store_dword v5, off, s[0:3], 0 offset:724
	;; [unrolled: 1-line block ×4, first 2 shown]
	s_waitcnt vmcnt(0)
	ds_write_b128 v47, v[1:4]
.LBB53_249:
	s_or_b32 exec_lo, exec_lo, s4
	s_waitcnt lgkmcnt(0)
	s_waitcnt_vscnt null, 0x0
	s_barrier
	buffer_gl0_inv
	s_clause 0x27
	buffer_load_dword v10, off, s[0:3], 0 offset:744
	buffer_load_dword v11, off, s[0:3], 0 offset:748
	;; [unrolled: 1-line block ×40, first 2 shown]
	v_mov_b32_e32 v1, 0
	ds_read_b128 v[2:5], v1 offset:1584
	ds_read_b128 v[6:9], v1 offset:1600
	s_mov_b32 s4, exec_lo
	s_waitcnt vmcnt(38) lgkmcnt(1)
	v_mul_f64 v[75:76], v[4:5], v[10:11]
	v_mul_f64 v[81:82], v[2:3], v[10:11]
	s_waitcnt vmcnt(36) lgkmcnt(0)
	v_mul_f64 v[83:84], v[8:9], v[14:15]
	ds_read_b128 v[10:13], v1 offset:1616
	v_mul_f64 v[14:15], v[6:7], v[14:15]
	s_waitcnt vmcnt(34)
	v_fma_f64 v[75:76], v[2:3], v[16:17], -v[75:76]
	v_fma_f64 v[16:17], v[4:5], v[16:17], v[81:82]
	ds_read_b128 v[2:5], v1 offset:1632
	s_waitcnt vmcnt(32) lgkmcnt(1)
	v_mul_f64 v[81:82], v[10:11], v[18:19]
	v_mul_f64 v[18:19], v[12:13], v[18:19]
	s_waitcnt vmcnt(30)
	v_fma_f64 v[83:84], v[6:7], v[20:21], -v[83:84]
	v_fma_f64 v[14:15], v[8:9], v[20:21], v[14:15]
	ds_read_b128 v[6:9], v1 offset:1648
	s_waitcnt vmcnt(26) lgkmcnt(1)
	v_mul_f64 v[20:21], v[2:3], v[22:23]
	v_add_f64 v[75:76], v[75:76], 0
	v_add_f64 v[16:17], v[16:17], 0
	v_mul_f64 v[22:23], v[4:5], v[22:23]
	s_waitcnt vmcnt(24)
	v_fma_f64 v[18:19], v[10:11], v[28:29], -v[18:19]
	v_fma_f64 v[28:29], v[12:13], v[28:29], v[81:82]
	ds_read_b128 v[10:13], v1 offset:1664
	s_waitcnt vmcnt(21)
	v_fma_f64 v[20:21], v[4:5], v[30:31], v[20:21]
	v_add_f64 v[75:76], v[75:76], v[83:84]
	v_add_f64 v[14:15], v[16:17], v[14:15]
	s_waitcnt lgkmcnt(1)
	v_mul_f64 v[16:17], v[6:7], v[24:25]
	v_mul_f64 v[24:25], v[8:9], v[24:25]
	v_fma_f64 v[22:23], v[2:3], v[30:31], -v[22:23]
	s_waitcnt vmcnt(17) lgkmcnt(0)
	v_mul_f64 v[30:31], v[12:13], v[32:33]
	ds_read_b128 v[2:5], v1 offset:1680
	v_add_f64 v[18:19], v[75:76], v[18:19]
	v_add_f64 v[14:15], v[14:15], v[28:29]
	v_mul_f64 v[28:29], v[10:11], v[32:33]
	s_waitcnt vmcnt(16)
	v_fma_f64 v[24:25], v[6:7], v[26:27], -v[24:25]
	v_fma_f64 v[16:17], v[8:9], v[26:27], v[16:17]
	ds_read_b128 v[6:9], v1 offset:1696
	s_waitcnt vmcnt(13)
	v_fma_f64 v[26:27], v[10:11], v[38:39], -v[30:31]
	v_add_f64 v[18:19], v[18:19], v[22:23]
	v_add_f64 v[14:15], v[14:15], v[20:21]
	s_waitcnt lgkmcnt(1)
	v_mul_f64 v[22:23], v[4:5], v[34:35]
	v_mul_f64 v[20:21], v[2:3], v[34:35]
	v_add_f64 v[18:19], v[18:19], v[24:25]
	v_fma_f64 v[24:25], v[12:13], v[38:39], v[28:29]
	v_add_f64 v[14:15], v[14:15], v[16:17]
	s_waitcnt vmcnt(9) lgkmcnt(0)
	v_mul_f64 v[28:29], v[8:9], v[40:41]
	s_waitcnt vmcnt(8)
	v_fma_f64 v[2:3], v[2:3], v[36:37], -v[22:23]
	ds_read_b128 v[10:13], v1 offset:1712
	v_mul_f64 v[16:17], v[6:7], v[40:41]
	v_fma_f64 v[4:5], v[4:5], v[36:37], v[20:21]
	v_add_f64 v[18:19], v[18:19], v[26:27]
	v_add_f64 v[14:15], v[14:15], v[24:25]
	s_waitcnt vmcnt(7) lgkmcnt(0)
	v_mul_f64 v[22:23], v[12:13], v[42:43]
	s_waitcnt vmcnt(5)
	v_fma_f64 v[6:7], v[6:7], v[65:66], -v[28:29]
	v_mul_f64 v[20:21], v[10:11], v[42:43]
	v_fma_f64 v[8:9], v[8:9], v[65:66], v[16:17]
	v_add_f64 v[2:3], v[18:19], v[2:3]
	v_add_f64 v[4:5], v[14:15], v[4:5]
	s_waitcnt vmcnt(4)
	v_fma_f64 v[10:11], v[10:11], v[44:45], -v[22:23]
	v_add_f64 v[2:3], v[2:3], v[6:7]
	v_fma_f64 v[6:7], v[12:13], v[44:45], v[20:21]
	v_add_f64 v[4:5], v[4:5], v[8:9]
	v_add_f64 v[2:3], v[2:3], v[10:11]
	;; [unrolled: 1-line block ×3, first 2 shown]
	s_waitcnt vmcnt(2)
	v_add_f64 v[2:3], v[67:68], -v[2:3]
	s_waitcnt vmcnt(0)
	v_add_f64 v[4:5], v[73:74], -v[4:5]
	buffer_store_dword v3, off, s[0:3], 0 offset:724
	buffer_store_dword v2, off, s[0:3], 0 offset:720
	;; [unrolled: 1-line block ×4, first 2 shown]
	v_cmpx_lt_u32_e32 43, v0
	s_cbranch_execz .LBB53_251
; %bb.250:
	v_mov_b32_e32 v5, s22
	s_clause 0x3
	buffer_load_dword v2, v5, s[0:3], 0 offen
	buffer_load_dword v3, v5, s[0:3], 0 offen offset:4
	buffer_load_dword v4, v5, s[0:3], 0 offen offset:8
	;; [unrolled: 1-line block ×3, first 2 shown]
	buffer_store_dword v1, off, s[0:3], 0 offset:704
	buffer_store_dword v1, off, s[0:3], 0 offset:708
	;; [unrolled: 1-line block ×4, first 2 shown]
	s_waitcnt vmcnt(0)
	ds_write_b128 v47, v[2:5]
.LBB53_251:
	s_or_b32 exec_lo, exec_lo, s4
	s_waitcnt lgkmcnt(0)
	s_waitcnt_vscnt null, 0x0
	s_barrier
	buffer_gl0_inv
	s_clause 0x2b
	buffer_load_dword v10, off, s[0:3], 0 offset:728
	buffer_load_dword v11, off, s[0:3], 0 offset:732
	;; [unrolled: 1-line block ×44, first 2 shown]
	ds_read_b128 v[2:5], v1 offset:1568
	ds_read_b128 v[6:9], v1 offset:1584
	s_mov_b32 s4, exec_lo
	s_waitcnt vmcnt(42) lgkmcnt(1)
	v_mul_f64 v[83:84], v[4:5], v[10:11]
	v_mul_f64 v[85:86], v[2:3], v[10:11]
	s_waitcnt vmcnt(40) lgkmcnt(0)
	v_mul_f64 v[87:88], v[8:9], v[14:15]
	ds_read_b128 v[10:13], v1 offset:1600
	v_mul_f64 v[14:15], v[6:7], v[14:15]
	s_waitcnt vmcnt(38)
	v_fma_f64 v[83:84], v[2:3], v[16:17], -v[83:84]
	v_fma_f64 v[16:17], v[4:5], v[16:17], v[85:86]
	ds_read_b128 v[2:5], v1 offset:1616
	s_waitcnt vmcnt(36) lgkmcnt(1)
	v_mul_f64 v[85:86], v[10:11], v[18:19]
	v_mul_f64 v[18:19], v[12:13], v[18:19]
	s_waitcnt vmcnt(34)
	v_fma_f64 v[87:88], v[6:7], v[20:21], -v[87:88]
	v_fma_f64 v[14:15], v[8:9], v[20:21], v[14:15]
	ds_read_b128 v[6:9], v1 offset:1632
	s_waitcnt vmcnt(30) lgkmcnt(1)
	v_mul_f64 v[20:21], v[2:3], v[22:23]
	v_add_f64 v[83:84], v[83:84], 0
	v_add_f64 v[16:17], v[16:17], 0
	v_mul_f64 v[22:23], v[4:5], v[22:23]
	s_waitcnt vmcnt(28)
	v_fma_f64 v[18:19], v[10:11], v[28:29], -v[18:19]
	v_fma_f64 v[28:29], v[12:13], v[28:29], v[85:86]
	ds_read_b128 v[10:13], v1 offset:1648
	s_waitcnt vmcnt(25)
	v_fma_f64 v[20:21], v[4:5], v[30:31], v[20:21]
	v_add_f64 v[83:84], v[83:84], v[87:88]
	v_add_f64 v[14:15], v[16:17], v[14:15]
	s_waitcnt lgkmcnt(1)
	v_mul_f64 v[16:17], v[6:7], v[24:25]
	v_mul_f64 v[24:25], v[8:9], v[24:25]
	v_fma_f64 v[22:23], v[2:3], v[30:31], -v[22:23]
	s_waitcnt vmcnt(21) lgkmcnt(0)
	v_mul_f64 v[30:31], v[12:13], v[32:33]
	ds_read_b128 v[2:5], v1 offset:1664
	v_add_f64 v[18:19], v[83:84], v[18:19]
	v_add_f64 v[14:15], v[14:15], v[28:29]
	v_mul_f64 v[28:29], v[10:11], v[32:33]
	s_waitcnt vmcnt(20)
	v_fma_f64 v[24:25], v[6:7], v[26:27], -v[24:25]
	v_fma_f64 v[16:17], v[8:9], v[26:27], v[16:17]
	ds_read_b128 v[6:9], v1 offset:1680
	s_waitcnt vmcnt(17)
	v_fma_f64 v[26:27], v[10:11], v[38:39], -v[30:31]
	v_add_f64 v[18:19], v[18:19], v[22:23]
	v_add_f64 v[14:15], v[14:15], v[20:21]
	s_waitcnt lgkmcnt(1)
	v_mul_f64 v[22:23], v[4:5], v[34:35]
	v_mul_f64 v[20:21], v[2:3], v[34:35]
	v_add_f64 v[18:19], v[18:19], v[24:25]
	v_fma_f64 v[24:25], v[12:13], v[38:39], v[28:29]
	v_add_f64 v[14:15], v[14:15], v[16:17]
	s_waitcnt vmcnt(13) lgkmcnt(0)
	v_mul_f64 v[28:29], v[8:9], v[40:41]
	s_waitcnt vmcnt(12)
	v_fma_f64 v[22:23], v[2:3], v[36:37], -v[22:23]
	ds_read_b128 v[10:13], v1 offset:1696
	v_mul_f64 v[16:17], v[6:7], v[40:41]
	v_fma_f64 v[20:21], v[4:5], v[36:37], v[20:21]
	ds_read_b128 v[1:4], v1 offset:1712
	v_add_f64 v[18:19], v[18:19], v[26:27]
	v_add_f64 v[14:15], v[14:15], v[24:25]
	s_waitcnt vmcnt(11) lgkmcnt(1)
	v_mul_f64 v[26:27], v[12:13], v[42:43]
	s_waitcnt vmcnt(9)
	v_fma_f64 v[5:6], v[6:7], v[65:66], -v[28:29]
	v_mul_f64 v[24:25], v[10:11], v[42:43]
	v_fma_f64 v[7:8], v[8:9], v[65:66], v[16:17]
	s_waitcnt vmcnt(7) lgkmcnt(0)
	v_mul_f64 v[16:17], v[1:2], v[67:68]
	v_add_f64 v[18:19], v[18:19], v[22:23]
	v_add_f64 v[14:15], v[14:15], v[20:21]
	v_mul_f64 v[20:21], v[3:4], v[67:68]
	s_waitcnt vmcnt(6)
	v_fma_f64 v[9:10], v[10:11], v[44:45], -v[26:27]
	v_fma_f64 v[11:12], v[12:13], v[44:45], v[24:25]
	s_waitcnt vmcnt(4)
	v_fma_f64 v[3:4], v[3:4], v[73:74], v[16:17]
	v_add_f64 v[5:6], v[18:19], v[5:6]
	v_add_f64 v[7:8], v[14:15], v[7:8]
	v_fma_f64 v[1:2], v[1:2], v[73:74], -v[20:21]
	v_add_f64 v[5:6], v[5:6], v[9:10]
	v_add_f64 v[7:8], v[7:8], v[11:12]
	;; [unrolled: 1-line block ×4, first 2 shown]
	s_waitcnt vmcnt(2)
	v_add_f64 v[1:2], v[75:76], -v[1:2]
	s_waitcnt vmcnt(0)
	v_add_f64 v[3:4], v[81:82], -v[3:4]
	buffer_store_dword v2, off, s[0:3], 0 offset:708
	buffer_store_dword v1, off, s[0:3], 0 offset:704
	;; [unrolled: 1-line block ×4, first 2 shown]
	v_cmpx_lt_u32_e32 42, v0
	s_cbranch_execz .LBB53_253
; %bb.252:
	v_mov_b32_e32 v4, s23
	v_mov_b32_e32 v5, 0
	s_clause 0x3
	buffer_load_dword v1, v4, s[0:3], 0 offen
	buffer_load_dword v2, v4, s[0:3], 0 offen offset:4
	buffer_load_dword v3, v4, s[0:3], 0 offen offset:8
	;; [unrolled: 1-line block ×3, first 2 shown]
	buffer_store_dword v5, off, s[0:3], 0 offset:688
	buffer_store_dword v5, off, s[0:3], 0 offset:692
	;; [unrolled: 1-line block ×4, first 2 shown]
	s_waitcnt vmcnt(0)
	ds_write_b128 v47, v[1:4]
.LBB53_253:
	s_or_b32 exec_lo, exec_lo, s4
	s_waitcnt lgkmcnt(0)
	s_waitcnt_vscnt null, 0x0
	s_barrier
	buffer_gl0_inv
	s_clause 0x2f
	buffer_load_dword v10, off, s[0:3], 0 offset:712
	buffer_load_dword v11, off, s[0:3], 0 offset:716
	;; [unrolled: 1-line block ×48, first 2 shown]
	v_mov_b32_e32 v1, 0
	ds_read_b128 v[2:5], v1 offset:1552
	ds_read_b128 v[6:9], v1 offset:1568
	s_mov_b32 s4, exec_lo
	s_waitcnt vmcnt(46) lgkmcnt(1)
	v_mul_f64 v[87:88], v[4:5], v[10:11]
	v_mul_f64 v[89:90], v[2:3], v[10:11]
	s_waitcnt vmcnt(44) lgkmcnt(0)
	v_mul_f64 v[91:92], v[8:9], v[14:15]
	ds_read_b128 v[10:13], v1 offset:1584
	v_mul_f64 v[14:15], v[6:7], v[14:15]
	s_waitcnt vmcnt(42)
	v_fma_f64 v[87:88], v[2:3], v[16:17], -v[87:88]
	v_fma_f64 v[16:17], v[4:5], v[16:17], v[89:90]
	ds_read_b128 v[2:5], v1 offset:1600
	s_waitcnt vmcnt(40) lgkmcnt(1)
	v_mul_f64 v[89:90], v[10:11], v[18:19]
	v_mul_f64 v[18:19], v[12:13], v[18:19]
	s_waitcnt vmcnt(38)
	v_fma_f64 v[91:92], v[6:7], v[20:21], -v[91:92]
	v_fma_f64 v[14:15], v[8:9], v[20:21], v[14:15]
	ds_read_b128 v[6:9], v1 offset:1616
	s_waitcnt vmcnt(34) lgkmcnt(1)
	v_mul_f64 v[20:21], v[2:3], v[22:23]
	v_add_f64 v[87:88], v[87:88], 0
	v_add_f64 v[16:17], v[16:17], 0
	v_mul_f64 v[22:23], v[4:5], v[22:23]
	s_waitcnt vmcnt(32)
	v_fma_f64 v[18:19], v[10:11], v[28:29], -v[18:19]
	v_fma_f64 v[28:29], v[12:13], v[28:29], v[89:90]
	ds_read_b128 v[10:13], v1 offset:1632
	s_waitcnt vmcnt(29)
	v_fma_f64 v[20:21], v[4:5], v[30:31], v[20:21]
	v_add_f64 v[87:88], v[87:88], v[91:92]
	v_add_f64 v[14:15], v[16:17], v[14:15]
	s_waitcnt lgkmcnt(1)
	v_mul_f64 v[16:17], v[6:7], v[24:25]
	v_mul_f64 v[24:25], v[8:9], v[24:25]
	v_fma_f64 v[22:23], v[2:3], v[30:31], -v[22:23]
	s_waitcnt vmcnt(25) lgkmcnt(0)
	v_mul_f64 v[30:31], v[12:13], v[32:33]
	ds_read_b128 v[2:5], v1 offset:1648
	v_add_f64 v[18:19], v[87:88], v[18:19]
	v_add_f64 v[14:15], v[14:15], v[28:29]
	v_mul_f64 v[28:29], v[10:11], v[32:33]
	s_waitcnt vmcnt(24)
	v_fma_f64 v[24:25], v[6:7], v[26:27], -v[24:25]
	v_fma_f64 v[16:17], v[8:9], v[26:27], v[16:17]
	ds_read_b128 v[6:9], v1 offset:1664
	s_waitcnt vmcnt(21)
	v_fma_f64 v[26:27], v[10:11], v[38:39], -v[30:31]
	v_add_f64 v[18:19], v[18:19], v[22:23]
	v_add_f64 v[14:15], v[14:15], v[20:21]
	s_waitcnt lgkmcnt(1)
	v_mul_f64 v[22:23], v[4:5], v[34:35]
	v_mul_f64 v[20:21], v[2:3], v[34:35]
	v_add_f64 v[18:19], v[18:19], v[24:25]
	v_fma_f64 v[24:25], v[12:13], v[38:39], v[28:29]
	v_add_f64 v[14:15], v[14:15], v[16:17]
	s_waitcnt vmcnt(17) lgkmcnt(0)
	v_mul_f64 v[28:29], v[8:9], v[40:41]
	s_waitcnt vmcnt(16)
	v_fma_f64 v[22:23], v[2:3], v[36:37], -v[22:23]
	ds_read_b128 v[10:13], v1 offset:1680
	v_mul_f64 v[16:17], v[6:7], v[40:41]
	v_fma_f64 v[20:21], v[4:5], v[36:37], v[20:21]
	ds_read_b128 v[2:5], v1 offset:1696
	v_add_f64 v[18:19], v[18:19], v[26:27]
	v_add_f64 v[14:15], v[14:15], v[24:25]
	s_waitcnt vmcnt(15) lgkmcnt(1)
	v_mul_f64 v[26:27], v[12:13], v[42:43]
	s_waitcnt vmcnt(13)
	v_fma_f64 v[28:29], v[6:7], v[65:66], -v[28:29]
	v_mul_f64 v[24:25], v[10:11], v[42:43]
	v_fma_f64 v[16:17], v[8:9], v[65:66], v[16:17]
	ds_read_b128 v[6:9], v1 offset:1712
	v_add_f64 v[18:19], v[18:19], v[22:23]
	s_waitcnt vmcnt(9) lgkmcnt(1)
	v_mul_f64 v[22:23], v[4:5], v[67:68]
	v_add_f64 v[14:15], v[14:15], v[20:21]
	s_waitcnt vmcnt(8)
	v_fma_f64 v[10:11], v[10:11], v[44:45], -v[26:27]
	v_mul_f64 v[20:21], v[2:3], v[67:68]
	v_fma_f64 v[12:13], v[12:13], v[44:45], v[24:25]
	s_waitcnt vmcnt(7) lgkmcnt(0)
	v_mul_f64 v[24:25], v[8:9], v[73:74]
	v_add_f64 v[18:19], v[18:19], v[28:29]
	s_waitcnt vmcnt(5)
	v_fma_f64 v[2:3], v[2:3], v[81:82], -v[22:23]
	v_add_f64 v[14:15], v[14:15], v[16:17]
	v_mul_f64 v[16:17], v[6:7], v[73:74]
	v_fma_f64 v[4:5], v[4:5], v[81:82], v[20:21]
	s_waitcnt vmcnt(4)
	v_fma_f64 v[6:7], v[6:7], v[75:76], -v[24:25]
	v_add_f64 v[10:11], v[18:19], v[10:11]
	v_add_f64 v[12:13], v[14:15], v[12:13]
	v_fma_f64 v[8:9], v[8:9], v[75:76], v[16:17]
	v_add_f64 v[2:3], v[10:11], v[2:3]
	v_add_f64 v[4:5], v[12:13], v[4:5]
	;; [unrolled: 1-line block ×4, first 2 shown]
	s_waitcnt vmcnt(2)
	v_add_f64 v[2:3], v[83:84], -v[2:3]
	s_waitcnt vmcnt(0)
	v_add_f64 v[4:5], v[85:86], -v[4:5]
	buffer_store_dword v3, off, s[0:3], 0 offset:692
	buffer_store_dword v2, off, s[0:3], 0 offset:688
	;; [unrolled: 1-line block ×4, first 2 shown]
	v_cmpx_lt_u32_e32 41, v0
	s_cbranch_execz .LBB53_255
; %bb.254:
	v_mov_b32_e32 v5, s24
	s_clause 0x3
	buffer_load_dword v2, v5, s[0:3], 0 offen
	buffer_load_dword v3, v5, s[0:3], 0 offen offset:4
	buffer_load_dword v4, v5, s[0:3], 0 offen offset:8
	;; [unrolled: 1-line block ×3, first 2 shown]
	buffer_store_dword v1, off, s[0:3], 0 offset:672
	buffer_store_dword v1, off, s[0:3], 0 offset:676
	buffer_store_dword v1, off, s[0:3], 0 offset:680
	buffer_store_dword v1, off, s[0:3], 0 offset:684
	s_waitcnt vmcnt(0)
	ds_write_b128 v47, v[2:5]
.LBB53_255:
	s_or_b32 exec_lo, exec_lo, s4
	s_waitcnt lgkmcnt(0)
	s_waitcnt_vscnt null, 0x0
	s_barrier
	buffer_gl0_inv
	s_clause 0x2f
	buffer_load_dword v10, off, s[0:3], 0 offset:696
	buffer_load_dword v11, off, s[0:3], 0 offset:700
	buffer_load_dword v14, off, s[0:3], 0 offset:712
	buffer_load_dword v15, off, s[0:3], 0 offset:716
	buffer_load_dword v16, off, s[0:3], 0 offset:688
	buffer_load_dword v17, off, s[0:3], 0 offset:692
	buffer_load_dword v18, off, s[0:3], 0 offset:728
	buffer_load_dword v19, off, s[0:3], 0 offset:732
	buffer_load_dword v20, off, s[0:3], 0 offset:704
	buffer_load_dword v21, off, s[0:3], 0 offset:708
	buffer_load_dword v23, off, s[0:3], 0 offset:748
	buffer_load_dword v24, off, s[0:3], 0 offset:760
	buffer_load_dword v26, off, s[0:3], 0 offset:752
	buffer_load_dword v22, off, s[0:3], 0 offset:744
	buffer_load_dword v28, off, s[0:3], 0 offset:720
	buffer_load_dword v29, off, s[0:3], 0 offset:724
	buffer_load_dword v25, off, s[0:3], 0 offset:764
	buffer_load_dword v31, off, s[0:3], 0 offset:740
	buffer_load_dword v30, off, s[0:3], 0 offset:736
	buffer_load_dword v33, off, s[0:3], 0 offset:780
	buffer_load_dword v34, off, s[0:3], 0 offset:792
	buffer_load_dword v36, off, s[0:3], 0 offset:784
	buffer_load_dword v32, off, s[0:3], 0 offset:776
	buffer_load_dword v27, off, s[0:3], 0 offset:756
	buffer_load_dword v35, off, s[0:3], 0 offset:796
	buffer_load_dword v39, off, s[0:3], 0 offset:772
	buffer_load_dword v38, off, s[0:3], 0 offset:768
	buffer_load_dword v41, off, s[0:3], 0 offset:812
	buffer_load_dword v42, off, s[0:3], 0 offset:824
	buffer_load_dword v44, off, s[0:3], 0 offset:816
	buffer_load_dword v40, off, s[0:3], 0 offset:808
	buffer_load_dword v37, off, s[0:3], 0 offset:788
	buffer_load_dword v43, off, s[0:3], 0 offset:828
	buffer_load_dword v66, off, s[0:3], 0 offset:804
	buffer_load_dword v65, off, s[0:3], 0 offset:800
	buffer_load_dword v68, off, s[0:3], 0 offset:844
	buffer_load_dword v73, off, s[0:3], 0 offset:856
	buffer_load_dword v75, off, s[0:3], 0 offset:848
	buffer_load_dword v67, off, s[0:3], 0 offset:840
	buffer_load_dword v45, off, s[0:3], 0 offset:820
	buffer_load_dword v74, off, s[0:3], 0 offset:860
	buffer_load_dword v82, off, s[0:3], 0 offset:836
	buffer_load_dword v81, off, s[0:3], 0 offset:832
	buffer_load_dword v84, off, s[0:3], 0 offset:876
	buffer_load_dword v83, off, s[0:3], 0 offset:872
	buffer_load_dword v76, off, s[0:3], 0 offset:852
	buffer_load_dword v86, off, s[0:3], 0 offset:868
	buffer_load_dword v85, off, s[0:3], 0 offset:864
	ds_read_b128 v[2:5], v1 offset:1536
	s_clause 0x3
	buffer_load_dword v87, off, s[0:3], 0 offset:672
	buffer_load_dword v88, off, s[0:3], 0 offset:676
	;; [unrolled: 1-line block ×4, first 2 shown]
	ds_read_b128 v[6:9], v1 offset:1552
	s_mov_b32 s4, exec_lo
	s_waitcnt vmcnt(50) lgkmcnt(1)
	v_mul_f64 v[91:92], v[4:5], v[10:11]
	v_mul_f64 v[93:94], v[2:3], v[10:11]
	ds_read_b128 v[10:13], v1 offset:1568
	s_waitcnt vmcnt(48) lgkmcnt(1)
	v_mul_f64 v[95:96], v[8:9], v[14:15]
	v_mul_f64 v[14:15], v[6:7], v[14:15]
	s_waitcnt vmcnt(46)
	v_fma_f64 v[91:92], v[2:3], v[16:17], -v[91:92]
	v_fma_f64 v[16:17], v[4:5], v[16:17], v[93:94]
	s_waitcnt vmcnt(44) lgkmcnt(0)
	v_mul_f64 v[93:94], v[10:11], v[18:19]
	v_mul_f64 v[18:19], v[12:13], v[18:19]
	s_waitcnt vmcnt(42)
	v_fma_f64 v[95:96], v[6:7], v[20:21], -v[95:96]
	ds_read_b128 v[2:5], v1 offset:1584
	v_fma_f64 v[14:15], v[8:9], v[20:21], v[14:15]
	ds_read_b128 v[6:9], v1 offset:1600
	v_add_f64 v[91:92], v[91:92], 0
	v_add_f64 v[16:17], v[16:17], 0
	s_waitcnt vmcnt(38) lgkmcnt(1)
	v_mul_f64 v[20:21], v[2:3], v[22:23]
	v_mul_f64 v[22:23], v[4:5], v[22:23]
	s_waitcnt vmcnt(36)
	v_fma_f64 v[18:19], v[10:11], v[28:29], -v[18:19]
	v_fma_f64 v[28:29], v[12:13], v[28:29], v[93:94]
	ds_read_b128 v[10:13], v1 offset:1616
	v_add_f64 v[91:92], v[91:92], v[95:96]
	v_add_f64 v[14:15], v[16:17], v[14:15]
	s_waitcnt vmcnt(35) lgkmcnt(1)
	v_mul_f64 v[16:17], v[6:7], v[24:25]
	v_mul_f64 v[24:25], v[8:9], v[24:25]
	s_waitcnt vmcnt(33)
	v_fma_f64 v[22:23], v[2:3], v[30:31], -v[22:23]
	v_fma_f64 v[20:21], v[4:5], v[30:31], v[20:21]
	ds_read_b128 v[2:5], v1 offset:1632
	s_waitcnt vmcnt(29) lgkmcnt(1)
	v_mul_f64 v[30:31], v[12:13], v[32:33]
	v_add_f64 v[18:19], v[91:92], v[18:19]
	v_add_f64 v[14:15], v[14:15], v[28:29]
	v_mul_f64 v[28:29], v[10:11], v[32:33]
	s_waitcnt vmcnt(28)
	v_fma_f64 v[24:25], v[6:7], v[26:27], -v[24:25]
	v_fma_f64 v[16:17], v[8:9], v[26:27], v[16:17]
	ds_read_b128 v[6:9], v1 offset:1648
	s_waitcnt vmcnt(25)
	v_fma_f64 v[26:27], v[10:11], v[38:39], -v[30:31]
	v_add_f64 v[18:19], v[18:19], v[22:23]
	v_add_f64 v[14:15], v[14:15], v[20:21]
	s_waitcnt lgkmcnt(1)
	v_mul_f64 v[22:23], v[4:5], v[34:35]
	v_mul_f64 v[20:21], v[2:3], v[34:35]
	v_add_f64 v[18:19], v[18:19], v[24:25]
	v_fma_f64 v[24:25], v[12:13], v[38:39], v[28:29]
	v_add_f64 v[14:15], v[14:15], v[16:17]
	ds_read_b128 v[10:13], v1 offset:1664
	s_waitcnt vmcnt(21) lgkmcnt(1)
	v_mul_f64 v[28:29], v[8:9], v[40:41]
	s_waitcnt vmcnt(20)
	v_fma_f64 v[22:23], v[2:3], v[36:37], -v[22:23]
	v_mul_f64 v[16:17], v[6:7], v[40:41]
	v_fma_f64 v[20:21], v[4:5], v[36:37], v[20:21]
	ds_read_b128 v[2:5], v1 offset:1680
	v_add_f64 v[18:19], v[18:19], v[26:27]
	s_waitcnt vmcnt(19) lgkmcnt(1)
	v_mul_f64 v[26:27], v[12:13], v[42:43]
	v_add_f64 v[14:15], v[14:15], v[24:25]
	v_mul_f64 v[24:25], v[10:11], v[42:43]
	s_waitcnt vmcnt(17)
	v_fma_f64 v[28:29], v[6:7], v[65:66], -v[28:29]
	v_fma_f64 v[16:17], v[8:9], v[65:66], v[16:17]
	ds_read_b128 v[6:9], v1 offset:1696
	v_add_f64 v[18:19], v[18:19], v[22:23]
	s_waitcnt vmcnt(13) lgkmcnt(1)
	v_mul_f64 v[22:23], v[4:5], v[67:68]
	v_add_f64 v[14:15], v[14:15], v[20:21]
	s_waitcnt vmcnt(12)
	v_fma_f64 v[26:27], v[10:11], v[44:45], -v[26:27]
	v_mul_f64 v[20:21], v[2:3], v[67:68]
	v_fma_f64 v[24:25], v[12:13], v[44:45], v[24:25]
	ds_read_b128 v[10:13], v1 offset:1712
	v_add_f64 v[18:19], v[18:19], v[28:29]
	s_waitcnt vmcnt(11) lgkmcnt(1)
	v_mul_f64 v[28:29], v[8:9], v[73:74]
	v_add_f64 v[14:15], v[14:15], v[16:17]
	s_waitcnt vmcnt(9)
	v_fma_f64 v[1:2], v[2:3], v[81:82], -v[22:23]
	v_mul_f64 v[16:17], v[6:7], v[73:74]
	v_fma_f64 v[3:4], v[4:5], v[81:82], v[20:21]
	s_waitcnt vmcnt(7) lgkmcnt(0)
	v_mul_f64 v[22:23], v[12:13], v[83:84]
	v_mul_f64 v[20:21], v[10:11], v[83:84]
	v_add_f64 v[18:19], v[18:19], v[26:27]
	s_waitcnt vmcnt(6)
	v_fma_f64 v[5:6], v[6:7], v[75:76], -v[28:29]
	v_add_f64 v[14:15], v[14:15], v[24:25]
	v_fma_f64 v[7:8], v[8:9], v[75:76], v[16:17]
	s_waitcnt vmcnt(4)
	v_fma_f64 v[9:10], v[10:11], v[85:86], -v[22:23]
	v_add_f64 v[1:2], v[18:19], v[1:2]
	v_add_f64 v[3:4], v[14:15], v[3:4]
	;; [unrolled: 1-line block ×3, first 2 shown]
	v_fma_f64 v[5:6], v[12:13], v[85:86], v[20:21]
	v_add_f64 v[3:4], v[3:4], v[7:8]
	v_add_f64 v[1:2], v[1:2], v[9:10]
	;; [unrolled: 1-line block ×3, first 2 shown]
	s_waitcnt vmcnt(2)
	v_add_f64 v[1:2], v[87:88], -v[1:2]
	s_waitcnt vmcnt(0)
	v_add_f64 v[3:4], v[89:90], -v[3:4]
	buffer_store_dword v2, off, s[0:3], 0 offset:676
	buffer_store_dword v1, off, s[0:3], 0 offset:672
	;; [unrolled: 1-line block ×4, first 2 shown]
	v_cmpx_lt_u32_e32 40, v0
	s_cbranch_execz .LBB53_257
; %bb.256:
	v_mov_b32_e32 v4, s25
	v_mov_b32_e32 v5, 0
	s_clause 0x3
	buffer_load_dword v1, v4, s[0:3], 0 offen
	buffer_load_dword v2, v4, s[0:3], 0 offen offset:4
	buffer_load_dword v3, v4, s[0:3], 0 offen offset:8
	;; [unrolled: 1-line block ×3, first 2 shown]
	buffer_store_dword v5, off, s[0:3], 0 offset:656
	buffer_store_dword v5, off, s[0:3], 0 offset:660
	;; [unrolled: 1-line block ×4, first 2 shown]
	s_waitcnt vmcnt(0)
	ds_write_b128 v47, v[1:4]
.LBB53_257:
	s_or_b32 exec_lo, exec_lo, s4
	s_waitcnt lgkmcnt(0)
	s_waitcnt_vscnt null, 0x0
	s_barrier
	buffer_gl0_inv
	s_clause 0x33
	buffer_load_dword v10, off, s[0:3], 0 offset:680
	buffer_load_dword v11, off, s[0:3], 0 offset:684
	;; [unrolled: 1-line block ×52, first 2 shown]
	v_mov_b32_e32 v1, 0
	ds_read_b128 v[2:5], v1 offset:1520
	ds_read_b128 v[6:9], v1 offset:1536
	s_clause 0x3
	buffer_load_dword v95, off, s[0:3], 0 offset:656
	buffer_load_dword v96, off, s[0:3], 0 offset:660
	;; [unrolled: 1-line block ×4, first 2 shown]
	s_mov_b32 s4, exec_lo
	s_waitcnt vmcnt(54) lgkmcnt(1)
	v_mul_f64 v[91:92], v[4:5], v[10:11]
	v_mul_f64 v[93:94], v[2:3], v[10:11]
	s_waitcnt vmcnt(52) lgkmcnt(0)
	v_mul_f64 v[99:100], v[8:9], v[14:15]
	ds_read_b128 v[10:13], v1 offset:1552
	v_mul_f64 v[14:15], v[6:7], v[14:15]
	s_waitcnt vmcnt(50)
	v_fma_f64 v[91:92], v[2:3], v[16:17], -v[91:92]
	v_fma_f64 v[16:17], v[4:5], v[16:17], v[93:94]
	ds_read_b128 v[2:5], v1 offset:1568
	s_waitcnt vmcnt(48) lgkmcnt(1)
	v_mul_f64 v[93:94], v[10:11], v[18:19]
	v_mul_f64 v[18:19], v[12:13], v[18:19]
	s_waitcnt vmcnt(46)
	v_fma_f64 v[99:100], v[6:7], v[20:21], -v[99:100]
	v_fma_f64 v[14:15], v[8:9], v[20:21], v[14:15]
	ds_read_b128 v[6:9], v1 offset:1584
	s_waitcnt vmcnt(42) lgkmcnt(1)
	v_mul_f64 v[20:21], v[2:3], v[22:23]
	v_add_f64 v[91:92], v[91:92], 0
	v_add_f64 v[16:17], v[16:17], 0
	v_mul_f64 v[22:23], v[4:5], v[22:23]
	s_waitcnt vmcnt(40)
	v_fma_f64 v[18:19], v[10:11], v[28:29], -v[18:19]
	v_fma_f64 v[28:29], v[12:13], v[28:29], v[93:94]
	ds_read_b128 v[10:13], v1 offset:1600
	s_waitcnt vmcnt(37)
	v_fma_f64 v[20:21], v[4:5], v[30:31], v[20:21]
	v_add_f64 v[91:92], v[91:92], v[99:100]
	v_add_f64 v[14:15], v[16:17], v[14:15]
	s_waitcnt lgkmcnt(1)
	v_mul_f64 v[16:17], v[6:7], v[24:25]
	v_mul_f64 v[24:25], v[8:9], v[24:25]
	v_fma_f64 v[22:23], v[2:3], v[30:31], -v[22:23]
	s_waitcnt vmcnt(33) lgkmcnt(0)
	v_mul_f64 v[30:31], v[12:13], v[32:33]
	ds_read_b128 v[2:5], v1 offset:1616
	v_add_f64 v[18:19], v[91:92], v[18:19]
	v_add_f64 v[14:15], v[14:15], v[28:29]
	v_mul_f64 v[28:29], v[10:11], v[32:33]
	s_waitcnt vmcnt(32)
	v_fma_f64 v[24:25], v[6:7], v[26:27], -v[24:25]
	v_fma_f64 v[16:17], v[8:9], v[26:27], v[16:17]
	ds_read_b128 v[6:9], v1 offset:1632
	s_waitcnt vmcnt(29)
	v_fma_f64 v[26:27], v[10:11], v[38:39], -v[30:31]
	v_add_f64 v[18:19], v[18:19], v[22:23]
	v_add_f64 v[14:15], v[14:15], v[20:21]
	s_waitcnt lgkmcnt(1)
	v_mul_f64 v[22:23], v[4:5], v[34:35]
	v_mul_f64 v[20:21], v[2:3], v[34:35]
	v_add_f64 v[18:19], v[18:19], v[24:25]
	v_fma_f64 v[24:25], v[12:13], v[38:39], v[28:29]
	v_add_f64 v[14:15], v[14:15], v[16:17]
	s_waitcnt vmcnt(25) lgkmcnt(0)
	v_mul_f64 v[28:29], v[8:9], v[40:41]
	s_waitcnt vmcnt(24)
	v_fma_f64 v[22:23], v[2:3], v[36:37], -v[22:23]
	ds_read_b128 v[10:13], v1 offset:1648
	v_mul_f64 v[16:17], v[6:7], v[40:41]
	v_fma_f64 v[20:21], v[4:5], v[36:37], v[20:21]
	ds_read_b128 v[2:5], v1 offset:1664
	v_add_f64 v[18:19], v[18:19], v[26:27]
	v_add_f64 v[14:15], v[14:15], v[24:25]
	s_waitcnt vmcnt(23) lgkmcnt(1)
	v_mul_f64 v[26:27], v[12:13], v[42:43]
	s_waitcnt vmcnt(21)
	v_fma_f64 v[28:29], v[6:7], v[65:66], -v[28:29]
	v_mul_f64 v[24:25], v[10:11], v[42:43]
	v_fma_f64 v[16:17], v[8:9], v[65:66], v[16:17]
	ds_read_b128 v[6:9], v1 offset:1680
	v_add_f64 v[18:19], v[18:19], v[22:23]
	s_waitcnt vmcnt(17) lgkmcnt(1)
	v_mul_f64 v[22:23], v[4:5], v[67:68]
	v_add_f64 v[14:15], v[14:15], v[20:21]
	s_waitcnt vmcnt(16)
	v_fma_f64 v[26:27], v[10:11], v[44:45], -v[26:27]
	v_mul_f64 v[20:21], v[2:3], v[67:68]
	v_fma_f64 v[24:25], v[12:13], v[44:45], v[24:25]
	ds_read_b128 v[10:13], v1 offset:1696
	v_add_f64 v[18:19], v[18:19], v[28:29]
	s_waitcnt vmcnt(15) lgkmcnt(1)
	v_mul_f64 v[28:29], v[8:9], v[73:74]
	v_add_f64 v[14:15], v[14:15], v[16:17]
	;; [unrolled: 9-line block ×3, first 2 shown]
	s_waitcnt vmcnt(8)
	v_fma_f64 v[6:7], v[6:7], v[75:76], -v[28:29]
	v_mul_f64 v[24:25], v[10:11], v[83:84]
	v_fma_f64 v[8:9], v[8:9], v[75:76], v[16:17]
	s_waitcnt vmcnt(7) lgkmcnt(0)
	v_mul_f64 v[16:17], v[2:3], v[85:86]
	v_add_f64 v[18:19], v[18:19], v[22:23]
	s_waitcnt vmcnt(5)
	v_fma_f64 v[10:11], v[10:11], v[89:90], -v[26:27]
	v_add_f64 v[14:15], v[14:15], v[20:21]
	v_mul_f64 v[20:21], v[4:5], v[85:86]
	v_fma_f64 v[12:13], v[12:13], v[89:90], v[24:25]
	s_waitcnt vmcnt(4)
	v_fma_f64 v[4:5], v[4:5], v[87:88], v[16:17]
	v_add_f64 v[6:7], v[18:19], v[6:7]
	v_add_f64 v[8:9], v[14:15], v[8:9]
	v_fma_f64 v[2:3], v[2:3], v[87:88], -v[20:21]
	v_add_f64 v[6:7], v[6:7], v[10:11]
	v_add_f64 v[8:9], v[8:9], v[12:13]
	;; [unrolled: 1-line block ×4, first 2 shown]
	s_waitcnt vmcnt(2)
	v_add_f64 v[2:3], v[95:96], -v[2:3]
	s_waitcnt vmcnt(0)
	v_add_f64 v[4:5], v[97:98], -v[4:5]
	buffer_store_dword v3, off, s[0:3], 0 offset:660
	buffer_store_dword v2, off, s[0:3], 0 offset:656
	;; [unrolled: 1-line block ×4, first 2 shown]
	v_cmpx_lt_u32_e32 39, v0
	s_cbranch_execz .LBB53_259
; %bb.258:
	v_mov_b32_e32 v5, s26
	s_clause 0x3
	buffer_load_dword v2, v5, s[0:3], 0 offen
	buffer_load_dword v3, v5, s[0:3], 0 offen offset:4
	buffer_load_dword v4, v5, s[0:3], 0 offen offset:8
	buffer_load_dword v5, v5, s[0:3], 0 offen offset:12
	buffer_store_dword v1, off, s[0:3], 0 offset:640
	buffer_store_dword v1, off, s[0:3], 0 offset:644
	;; [unrolled: 1-line block ×4, first 2 shown]
	s_waitcnt vmcnt(0)
	ds_write_b128 v47, v[2:5]
.LBB53_259:
	s_or_b32 exec_lo, exec_lo, s4
	s_waitcnt lgkmcnt(0)
	s_waitcnt_vscnt null, 0x0
	s_barrier
	buffer_gl0_inv
	s_clause 0x35
	buffer_load_dword v10, off, s[0:3], 0 offset:664
	buffer_load_dword v11, off, s[0:3], 0 offset:668
	;; [unrolled: 1-line block ×54, first 2 shown]
	ds_read_b128 v[2:5], v1 offset:1504
	s_clause 0x1
	buffer_load_dword v94, off, s[0:3], 0 offset:868
	buffer_load_dword v93, off, s[0:3], 0 offset:864
	ds_read_b128 v[6:9], v1 offset:1520
	s_mov_b32 s4, exec_lo
	s_waitcnt vmcnt(54) lgkmcnt(1)
	v_mul_f64 v[95:96], v[4:5], v[10:11]
	v_mul_f64 v[97:98], v[2:3], v[10:11]
	ds_read_b128 v[10:13], v1 offset:1536
	s_waitcnt vmcnt(52) lgkmcnt(1)
	v_mul_f64 v[99:100], v[8:9], v[14:15]
	v_mul_f64 v[14:15], v[6:7], v[14:15]
	s_waitcnt vmcnt(48) lgkmcnt(0)
	v_mul_f64 v[103:104], v[10:11], v[18:19]
	v_fma_f64 v[95:96], v[2:3], v[16:17], -v[95:96]
	v_fma_f64 v[16:17], v[4:5], v[16:17], v[97:98]
	s_clause 0x3
	buffer_load_dword v97, off, s[0:3], 0 offset:640
	buffer_load_dword v98, off, s[0:3], 0 offset:644
	;; [unrolled: 1-line block ×4, first 2 shown]
	v_mul_f64 v[18:19], v[12:13], v[18:19]
	s_waitcnt vmcnt(50)
	v_fma_f64 v[99:100], v[6:7], v[20:21], -v[99:100]
	ds_read_b128 v[2:5], v1 offset:1552
	v_fma_f64 v[14:15], v[8:9], v[20:21], v[14:15]
	ds_read_b128 v[6:9], v1 offset:1568
	v_add_f64 v[95:96], v[95:96], 0
	v_add_f64 v[16:17], v[16:17], 0
	s_waitcnt vmcnt(46) lgkmcnt(1)
	v_mul_f64 v[20:21], v[2:3], v[22:23]
	v_mul_f64 v[22:23], v[4:5], v[22:23]
	s_waitcnt vmcnt(44)
	v_fma_f64 v[18:19], v[10:11], v[28:29], -v[18:19]
	v_fma_f64 v[28:29], v[12:13], v[28:29], v[103:104]
	ds_read_b128 v[10:13], v1 offset:1584
	v_add_f64 v[95:96], v[95:96], v[99:100]
	v_add_f64 v[14:15], v[16:17], v[14:15]
	s_waitcnt vmcnt(43) lgkmcnt(1)
	v_mul_f64 v[16:17], v[6:7], v[24:25]
	v_mul_f64 v[24:25], v[8:9], v[24:25]
	s_waitcnt vmcnt(41)
	v_fma_f64 v[22:23], v[2:3], v[30:31], -v[22:23]
	v_fma_f64 v[20:21], v[4:5], v[30:31], v[20:21]
	ds_read_b128 v[2:5], v1 offset:1600
	s_waitcnt vmcnt(37) lgkmcnt(1)
	v_mul_f64 v[30:31], v[12:13], v[32:33]
	v_add_f64 v[18:19], v[95:96], v[18:19]
	v_add_f64 v[14:15], v[14:15], v[28:29]
	v_mul_f64 v[28:29], v[10:11], v[32:33]
	s_waitcnt vmcnt(36)
	v_fma_f64 v[24:25], v[6:7], v[26:27], -v[24:25]
	v_fma_f64 v[16:17], v[8:9], v[26:27], v[16:17]
	ds_read_b128 v[6:9], v1 offset:1616
	s_waitcnt vmcnt(33)
	v_fma_f64 v[26:27], v[10:11], v[38:39], -v[30:31]
	v_add_f64 v[18:19], v[18:19], v[22:23]
	v_add_f64 v[14:15], v[14:15], v[20:21]
	s_waitcnt lgkmcnt(1)
	v_mul_f64 v[22:23], v[4:5], v[34:35]
	v_mul_f64 v[20:21], v[2:3], v[34:35]
	v_add_f64 v[18:19], v[18:19], v[24:25]
	v_fma_f64 v[24:25], v[12:13], v[38:39], v[28:29]
	v_add_f64 v[14:15], v[14:15], v[16:17]
	ds_read_b128 v[10:13], v1 offset:1632
	s_waitcnt vmcnt(29) lgkmcnt(1)
	v_mul_f64 v[28:29], v[8:9], v[40:41]
	s_waitcnt vmcnt(28)
	v_fma_f64 v[22:23], v[2:3], v[36:37], -v[22:23]
	v_mul_f64 v[16:17], v[6:7], v[40:41]
	v_fma_f64 v[20:21], v[4:5], v[36:37], v[20:21]
	ds_read_b128 v[2:5], v1 offset:1648
	v_add_f64 v[18:19], v[18:19], v[26:27]
	s_waitcnt vmcnt(27) lgkmcnt(1)
	v_mul_f64 v[26:27], v[12:13], v[42:43]
	v_add_f64 v[14:15], v[14:15], v[24:25]
	v_mul_f64 v[24:25], v[10:11], v[42:43]
	s_waitcnt vmcnt(25)
	v_fma_f64 v[28:29], v[6:7], v[65:66], -v[28:29]
	v_fma_f64 v[16:17], v[8:9], v[65:66], v[16:17]
	ds_read_b128 v[6:9], v1 offset:1664
	v_add_f64 v[18:19], v[18:19], v[22:23]
	s_waitcnt vmcnt(21) lgkmcnt(1)
	v_mul_f64 v[22:23], v[4:5], v[67:68]
	v_add_f64 v[14:15], v[14:15], v[20:21]
	s_waitcnt vmcnt(20)
	v_fma_f64 v[26:27], v[10:11], v[44:45], -v[26:27]
	v_mul_f64 v[20:21], v[2:3], v[67:68]
	v_fma_f64 v[24:25], v[12:13], v[44:45], v[24:25]
	ds_read_b128 v[10:13], v1 offset:1680
	v_add_f64 v[18:19], v[18:19], v[28:29]
	s_waitcnt vmcnt(19) lgkmcnt(1)
	v_mul_f64 v[28:29], v[8:9], v[73:74]
	v_add_f64 v[14:15], v[14:15], v[16:17]
	s_waitcnt vmcnt(17)
	v_fma_f64 v[22:23], v[2:3], v[81:82], -v[22:23]
	v_mul_f64 v[16:17], v[6:7], v[73:74]
	;; [unrolled: 9-line block ×4, first 2 shown]
	v_fma_f64 v[12:13], v[12:13], v[89:90], v[24:25]
	s_waitcnt vmcnt(7) lgkmcnt(0)
	v_mul_f64 v[24:25], v[8:9], v[91:92]
	v_add_f64 v[18:19], v[18:19], v[28:29]
	s_waitcnt vmcnt(6)
	v_fma_f64 v[1:2], v[2:3], v[87:88], -v[22:23]
	v_add_f64 v[14:15], v[14:15], v[16:17]
	v_mul_f64 v[16:17], v[6:7], v[91:92]
	v_fma_f64 v[3:4], v[4:5], v[87:88], v[20:21]
	s_waitcnt vmcnt(4)
	v_fma_f64 v[5:6], v[6:7], v[93:94], -v[24:25]
	v_add_f64 v[10:11], v[18:19], v[10:11]
	v_add_f64 v[12:13], v[14:15], v[12:13]
	v_fma_f64 v[7:8], v[8:9], v[93:94], v[16:17]
	v_add_f64 v[1:2], v[10:11], v[1:2]
	v_add_f64 v[3:4], v[12:13], v[3:4]
	;; [unrolled: 1-line block ×4, first 2 shown]
	s_waitcnt vmcnt(2)
	v_add_f64 v[1:2], v[97:98], -v[1:2]
	s_waitcnt vmcnt(0)
	v_add_f64 v[3:4], v[101:102], -v[3:4]
	buffer_store_dword v2, off, s[0:3], 0 offset:644
	buffer_store_dword v1, off, s[0:3], 0 offset:640
	;; [unrolled: 1-line block ×4, first 2 shown]
	v_cmpx_lt_u32_e32 38, v0
	s_cbranch_execz .LBB53_261
; %bb.260:
	v_mov_b32_e32 v4, s27
	v_mov_b32_e32 v5, 0
	s_clause 0x3
	buffer_load_dword v1, v4, s[0:3], 0 offen
	buffer_load_dword v2, v4, s[0:3], 0 offen offset:4
	buffer_load_dword v3, v4, s[0:3], 0 offen offset:8
	;; [unrolled: 1-line block ×3, first 2 shown]
	buffer_store_dword v5, off, s[0:3], 0 offset:624
	buffer_store_dword v5, off, s[0:3], 0 offset:628
	;; [unrolled: 1-line block ×4, first 2 shown]
	s_waitcnt vmcnt(0)
	ds_write_b128 v47, v[1:4]
.LBB53_261:
	s_or_b32 exec_lo, exec_lo, s4
	s_waitcnt lgkmcnt(0)
	s_waitcnt_vscnt null, 0x0
	s_barrier
	buffer_gl0_inv
	s_clause 0x35
	buffer_load_dword v10, off, s[0:3], 0 offset:648
	buffer_load_dword v11, off, s[0:3], 0 offset:652
	;; [unrolled: 1-line block ×54, first 2 shown]
	v_mov_b32_e32 v1, 0
	s_mov_b32 s4, exec_lo
	ds_read_b128 v[2:5], v1 offset:1488
	s_clause 0x3
	buffer_load_dword v93, off, s[0:3], 0 offset:872
	buffer_load_dword v94, off, s[0:3], 0 offset:876
	;; [unrolled: 1-line block ×4, first 2 shown]
	ds_read_b128 v[6:9], v1 offset:1504
	s_clause 0x1
	buffer_load_dword v101, off, s[0:3], 0 offset:864
	buffer_load_dword v102, off, s[0:3], 0 offset:868
	s_waitcnt vmcnt(58) lgkmcnt(1)
	v_mul_f64 v[97:98], v[4:5], v[10:11]
	v_mul_f64 v[99:100], v[2:3], v[10:11]
	s_waitcnt vmcnt(56) lgkmcnt(0)
	v_mul_f64 v[103:104], v[8:9], v[14:15]
	ds_read_b128 v[10:13], v1 offset:1520
	v_mul_f64 v[14:15], v[6:7], v[14:15]
	s_waitcnt vmcnt(54)
	v_fma_f64 v[97:98], v[2:3], v[16:17], -v[97:98]
	v_fma_f64 v[16:17], v[4:5], v[16:17], v[99:100]
	ds_read_b128 v[2:5], v1 offset:1536
	s_waitcnt vmcnt(52) lgkmcnt(1)
	v_mul_f64 v[99:100], v[10:11], v[18:19]
	v_mul_f64 v[18:19], v[12:13], v[18:19]
	s_waitcnt vmcnt(50)
	v_fma_f64 v[103:104], v[6:7], v[20:21], -v[103:104]
	v_fma_f64 v[14:15], v[8:9], v[20:21], v[14:15]
	s_clause 0x3
	buffer_load_dword v20, off, s[0:3], 0 offset:624
	buffer_load_dword v21, off, s[0:3], 0 offset:628
	;; [unrolled: 1-line block ×4, first 2 shown]
	ds_read_b128 v[6:9], v1 offset:1552
	s_waitcnt vmcnt(52) lgkmcnt(1)
	v_mul_f64 v[107:108], v[2:3], v[22:23]
	v_add_f64 v[97:98], v[97:98], 0
	v_add_f64 v[16:17], v[16:17], 0
	v_mul_f64 v[22:23], v[4:5], v[22:23]
	s_waitcnt vmcnt(50)
	v_fma_f64 v[18:19], v[10:11], v[24:25], -v[18:19]
	v_fma_f64 v[24:25], v[12:13], v[24:25], v[99:100]
	ds_read_b128 v[10:13], v1 offset:1568
	v_add_f64 v[97:98], v[97:98], v[103:104]
	v_add_f64 v[14:15], v[16:17], v[14:15]
	s_waitcnt vmcnt(48) lgkmcnt(1)
	v_mul_f64 v[16:17], v[6:7], v[26:27]
	v_mul_f64 v[26:27], v[8:9], v[26:27]
	s_waitcnt vmcnt(46)
	v_fma_f64 v[22:23], v[2:3], v[28:29], -v[22:23]
	v_fma_f64 v[28:29], v[4:5], v[28:29], v[107:108]
	ds_read_b128 v[2:5], v1 offset:1584
	v_add_f64 v[18:19], v[97:98], v[18:19]
	v_add_f64 v[14:15], v[14:15], v[24:25]
	s_waitcnt vmcnt(44) lgkmcnt(1)
	v_mul_f64 v[24:25], v[10:11], v[30:31]
	;; [unrolled: 9-line block ×3, first 2 shown]
	s_waitcnt vmcnt(38)
	v_fma_f64 v[30:31], v[10:11], v[36:37], -v[30:31]
	v_mul_f64 v[22:23], v[2:3], v[34:35]
	v_fma_f64 v[24:25], v[12:13], v[36:37], v[24:25]
	ds_read_b128 v[10:13], v1 offset:1616
	v_add_f64 v[18:19], v[18:19], v[26:27]
	v_add_f64 v[14:15], v[14:15], v[16:17]
	s_waitcnt vmcnt(36) lgkmcnt(1)
	v_mul_f64 v[26:27], v[8:9], v[38:39]
	s_waitcnt vmcnt(34)
	v_fma_f64 v[28:29], v[2:3], v[40:41], -v[28:29]
	v_mul_f64 v[16:17], v[6:7], v[38:39]
	v_fma_f64 v[22:23], v[4:5], v[40:41], v[22:23]
	ds_read_b128 v[2:5], v1 offset:1632
	v_add_f64 v[18:19], v[18:19], v[30:31]
	v_add_f64 v[14:15], v[14:15], v[24:25]
	s_waitcnt vmcnt(32) lgkmcnt(1)
	v_mul_f64 v[30:31], v[12:13], v[42:43]
	;; [unrolled: 9-line block ×7, first 2 shown]
	s_waitcnt vmcnt(10)
	v_fma_f64 v[2:3], v[2:3], v[91:92], -v[28:29]
	v_mul_f64 v[16:17], v[6:7], v[89:90]
	v_fma_f64 v[4:5], v[4:5], v[91:92], v[22:23]
	s_waitcnt vmcnt(8) lgkmcnt(0)
	v_mul_f64 v[22:23], v[10:11], v[93:94]
	v_add_f64 v[18:19], v[18:19], v[30:31]
	v_add_f64 v[14:15], v[14:15], v[24:25]
	v_mul_f64 v[24:25], v[12:13], v[93:94]
	s_waitcnt vmcnt(6)
	v_fma_f64 v[6:7], v[6:7], v[95:96], -v[26:27]
	v_fma_f64 v[8:9], v[8:9], v[95:96], v[16:17]
	v_add_f64 v[2:3], v[18:19], v[2:3]
	v_add_f64 v[4:5], v[14:15], v[4:5]
	s_waitcnt vmcnt(4)
	v_fma_f64 v[10:11], v[10:11], v[101:102], -v[24:25]
	v_add_f64 v[2:3], v[2:3], v[6:7]
	v_fma_f64 v[6:7], v[12:13], v[101:102], v[22:23]
	v_add_f64 v[4:5], v[4:5], v[8:9]
	v_add_f64 v[2:3], v[2:3], v[10:11]
	;; [unrolled: 1-line block ×3, first 2 shown]
	s_waitcnt vmcnt(2)
	v_add_f64 v[2:3], v[20:21], -v[2:3]
	s_waitcnt vmcnt(0)
	v_add_f64 v[4:5], v[105:106], -v[4:5]
	buffer_store_dword v3, off, s[0:3], 0 offset:628
	buffer_store_dword v2, off, s[0:3], 0 offset:624
	buffer_store_dword v5, off, s[0:3], 0 offset:636
	buffer_store_dword v4, off, s[0:3], 0 offset:632
	v_cmpx_lt_u32_e32 37, v0
	s_cbranch_execz .LBB53_263
; %bb.262:
	v_mov_b32_e32 v5, s28
	s_clause 0x3
	buffer_load_dword v2, v5, s[0:3], 0 offen
	buffer_load_dword v3, v5, s[0:3], 0 offen offset:4
	buffer_load_dword v4, v5, s[0:3], 0 offen offset:8
	;; [unrolled: 1-line block ×3, first 2 shown]
	buffer_store_dword v1, off, s[0:3], 0 offset:608
	buffer_store_dword v1, off, s[0:3], 0 offset:612
	;; [unrolled: 1-line block ×4, first 2 shown]
	s_waitcnt vmcnt(0)
	ds_write_b128 v47, v[2:5]
.LBB53_263:
	s_or_b32 exec_lo, exec_lo, s4
	s_waitcnt lgkmcnt(0)
	s_waitcnt_vscnt null, 0x0
	s_barrier
	buffer_gl0_inv
	s_clause 0x37
	buffer_load_dword v10, off, s[0:3], 0 offset:632
	buffer_load_dword v11, off, s[0:3], 0 offset:636
	buffer_load_dword v14, off, s[0:3], 0 offset:648
	buffer_load_dword v15, off, s[0:3], 0 offset:652
	buffer_load_dword v16, off, s[0:3], 0 offset:624
	buffer_load_dword v17, off, s[0:3], 0 offset:628
	buffer_load_dword v18, off, s[0:3], 0 offset:664
	buffer_load_dword v19, off, s[0:3], 0 offset:668
	buffer_load_dword v20, off, s[0:3], 0 offset:640
	buffer_load_dword v21, off, s[0:3], 0 offset:644
	buffer_load_dword v23, off, s[0:3], 0 offset:684
	buffer_load_dword v24, off, s[0:3], 0 offset:696
	buffer_load_dword v26, off, s[0:3], 0 offset:688
	buffer_load_dword v22, off, s[0:3], 0 offset:680
	buffer_load_dword v28, off, s[0:3], 0 offset:656
	buffer_load_dword v29, off, s[0:3], 0 offset:660
	buffer_load_dword v25, off, s[0:3], 0 offset:700
	buffer_load_dword v31, off, s[0:3], 0 offset:676
	buffer_load_dword v30, off, s[0:3], 0 offset:672
	buffer_load_dword v33, off, s[0:3], 0 offset:716
	buffer_load_dword v34, off, s[0:3], 0 offset:728
	buffer_load_dword v36, off, s[0:3], 0 offset:720
	buffer_load_dword v32, off, s[0:3], 0 offset:712
	buffer_load_dword v27, off, s[0:3], 0 offset:692
	buffer_load_dword v35, off, s[0:3], 0 offset:732
	buffer_load_dword v39, off, s[0:3], 0 offset:708
	buffer_load_dword v38, off, s[0:3], 0 offset:704
	buffer_load_dword v41, off, s[0:3], 0 offset:748
	buffer_load_dword v42, off, s[0:3], 0 offset:760
	buffer_load_dword v44, off, s[0:3], 0 offset:752
	buffer_load_dword v40, off, s[0:3], 0 offset:744
	buffer_load_dword v37, off, s[0:3], 0 offset:724
	buffer_load_dword v43, off, s[0:3], 0 offset:764
	buffer_load_dword v66, off, s[0:3], 0 offset:740
	buffer_load_dword v65, off, s[0:3], 0 offset:736
	buffer_load_dword v68, off, s[0:3], 0 offset:780
	buffer_load_dword v73, off, s[0:3], 0 offset:792
	buffer_load_dword v75, off, s[0:3], 0 offset:784
	buffer_load_dword v67, off, s[0:3], 0 offset:776
	buffer_load_dword v45, off, s[0:3], 0 offset:756
	buffer_load_dword v74, off, s[0:3], 0 offset:796
	buffer_load_dword v82, off, s[0:3], 0 offset:772
	buffer_load_dword v81, off, s[0:3], 0 offset:768
	buffer_load_dword v84, off, s[0:3], 0 offset:812
	buffer_load_dword v85, off, s[0:3], 0 offset:824
	buffer_load_dword v87, off, s[0:3], 0 offset:816
	buffer_load_dword v83, off, s[0:3], 0 offset:808
	buffer_load_dword v76, off, s[0:3], 0 offset:788
	buffer_load_dword v86, off, s[0:3], 0 offset:828
	buffer_load_dword v90, off, s[0:3], 0 offset:804
	buffer_load_dword v89, off, s[0:3], 0 offset:800
	buffer_load_dword v92, off, s[0:3], 0 offset:844
	buffer_load_dword v93, off, s[0:3], 0 offset:856
	buffer_load_dword v95, off, s[0:3], 0 offset:848
	buffer_load_dword v91, off, s[0:3], 0 offset:840
	buffer_load_dword v88, off, s[0:3], 0 offset:820
	ds_read_b128 v[2:5], v1 offset:1472
	s_clause 0x2
	buffer_load_dword v94, off, s[0:3], 0 offset:860
	buffer_load_dword v98, off, s[0:3], 0 offset:836
	;; [unrolled: 1-line block ×3, first 2 shown]
	ds_read_b128 v[6:9], v1 offset:1488
	s_clause 0x2
	buffer_load_dword v104, off, s[0:3], 0 offset:876
	buffer_load_dword v103, off, s[0:3], 0 offset:872
	;; [unrolled: 1-line block ×3, first 2 shown]
	s_mov_b32 s4, exec_lo
	s_waitcnt vmcnt(60) lgkmcnt(1)
	v_mul_f64 v[99:100], v[4:5], v[10:11]
	v_mul_f64 v[101:102], v[2:3], v[10:11]
	s_waitcnt vmcnt(58) lgkmcnt(0)
	v_mul_f64 v[105:106], v[8:9], v[14:15]
	ds_read_b128 v[10:13], v1 offset:1504
	v_mul_f64 v[14:15], v[6:7], v[14:15]
	s_waitcnt vmcnt(56)
	v_fma_f64 v[99:100], v[2:3], v[16:17], -v[99:100]
	v_fma_f64 v[16:17], v[4:5], v[16:17], v[101:102]
	s_clause 0x1
	buffer_load_dword v102, off, s[0:3], 0 offset:868
	buffer_load_dword v101, off, s[0:3], 0 offset:864
	s_waitcnt vmcnt(56) lgkmcnt(0)
	v_mul_f64 v[107:108], v[10:11], v[18:19]
	v_mul_f64 v[18:19], v[12:13], v[18:19]
	s_waitcnt vmcnt(54)
	v_fma_f64 v[105:106], v[6:7], v[20:21], -v[105:106]
	ds_read_b128 v[2:5], v1 offset:1520
	v_fma_f64 v[14:15], v[8:9], v[20:21], v[14:15]
	ds_read_b128 v[6:9], v1 offset:1536
	v_add_f64 v[99:100], v[99:100], 0
	v_add_f64 v[16:17], v[16:17], 0
	s_waitcnt vmcnt(50) lgkmcnt(1)
	v_mul_f64 v[20:21], v[2:3], v[22:23]
	v_mul_f64 v[22:23], v[4:5], v[22:23]
	s_waitcnt vmcnt(48)
	v_fma_f64 v[18:19], v[10:11], v[28:29], -v[18:19]
	v_fma_f64 v[28:29], v[12:13], v[28:29], v[107:108]
	s_waitcnt vmcnt(47) lgkmcnt(0)
	v_mul_f64 v[107:108], v[6:7], v[24:25]
	v_mul_f64 v[24:25], v[8:9], v[24:25]
	v_add_f64 v[99:100], v[99:100], v[105:106]
	v_add_f64 v[14:15], v[16:17], v[14:15]
	s_clause 0x3
	buffer_load_dword v16, off, s[0:3], 0 offset:608
	buffer_load_dword v17, off, s[0:3], 0 offset:612
	;; [unrolled: 1-line block ×4, first 2 shown]
	ds_read_b128 v[10:13], v1 offset:1552
	s_waitcnt vmcnt(49)
	v_fma_f64 v[20:21], v[4:5], v[30:31], v[20:21]
	v_fma_f64 v[22:23], v[2:3], v[30:31], -v[22:23]
	ds_read_b128 v[2:5], v1 offset:1568
	s_waitcnt vmcnt(44)
	v_fma_f64 v[24:25], v[6:7], v[26:27], -v[24:25]
	v_add_f64 v[18:19], v[99:100], v[18:19]
	v_add_f64 v[14:15], v[14:15], v[28:29]
	s_waitcnt lgkmcnt(1)
	v_mul_f64 v[30:31], v[12:13], v[32:33]
	v_mul_f64 v[28:29], v[10:11], v[32:33]
	v_add_f64 v[18:19], v[18:19], v[22:23]
	v_fma_f64 v[22:23], v[8:9], v[26:27], v[107:108]
	v_add_f64 v[14:15], v[14:15], v[20:21]
	s_waitcnt vmcnt(43) lgkmcnt(0)
	v_mul_f64 v[26:27], v[4:5], v[34:35]
	s_waitcnt vmcnt(41)
	v_fma_f64 v[30:31], v[10:11], v[38:39], -v[30:31]
	ds_read_b128 v[6:9], v1 offset:1584
	v_mul_f64 v[20:21], v[2:3], v[34:35]
	v_add_f64 v[18:19], v[18:19], v[24:25]
	v_fma_f64 v[24:25], v[12:13], v[38:39], v[28:29]
	v_add_f64 v[14:15], v[14:15], v[22:23]
	ds_read_b128 v[10:13], v1 offset:1600
	s_waitcnt vmcnt(37) lgkmcnt(1)
	v_mul_f64 v[28:29], v[8:9], v[40:41]
	s_waitcnt vmcnt(36)
	v_fma_f64 v[26:27], v[2:3], v[36:37], -v[26:27]
	v_mul_f64 v[22:23], v[6:7], v[40:41]
	v_fma_f64 v[20:21], v[4:5], v[36:37], v[20:21]
	ds_read_b128 v[2:5], v1 offset:1616
	v_add_f64 v[18:19], v[18:19], v[30:31]
	s_waitcnt vmcnt(35) lgkmcnt(1)
	v_mul_f64 v[30:31], v[12:13], v[42:43]
	v_add_f64 v[14:15], v[14:15], v[24:25]
	v_mul_f64 v[24:25], v[10:11], v[42:43]
	s_waitcnt vmcnt(33)
	v_fma_f64 v[28:29], v[6:7], v[65:66], -v[28:29]
	v_fma_f64 v[22:23], v[8:9], v[65:66], v[22:23]
	ds_read_b128 v[6:9], v1 offset:1632
	v_add_f64 v[18:19], v[18:19], v[26:27]
	s_waitcnt vmcnt(29) lgkmcnt(1)
	v_mul_f64 v[26:27], v[4:5], v[67:68]
	v_add_f64 v[14:15], v[14:15], v[20:21]
	s_waitcnt vmcnt(28)
	v_fma_f64 v[30:31], v[10:11], v[44:45], -v[30:31]
	v_mul_f64 v[20:21], v[2:3], v[67:68]
	v_fma_f64 v[24:25], v[12:13], v[44:45], v[24:25]
	ds_read_b128 v[10:13], v1 offset:1648
	v_add_f64 v[18:19], v[18:19], v[28:29]
	s_waitcnt vmcnt(27) lgkmcnt(1)
	v_mul_f64 v[28:29], v[8:9], v[73:74]
	v_add_f64 v[14:15], v[14:15], v[22:23]
	s_waitcnt vmcnt(25)
	v_fma_f64 v[26:27], v[2:3], v[81:82], -v[26:27]
	v_mul_f64 v[22:23], v[6:7], v[73:74]
	;; [unrolled: 9-line block ×6, first 2 shown]
	v_fma_f64 v[7:8], v[8:9], v[97:98], v[22:23]
	s_waitcnt vmcnt(7) lgkmcnt(0)
	v_mul_f64 v[22:23], v[3:4], v[103:104]
	v_add_f64 v[18:19], v[18:19], v[26:27]
	s_waitcnt vmcnt(6)
	v_fma_f64 v[9:10], v[10:11], v[95:96], -v[30:31]
	v_add_f64 v[14:15], v[14:15], v[20:21]
	v_mul_f64 v[20:21], v[1:2], v[103:104]
	v_fma_f64 v[11:12], v[12:13], v[95:96], v[24:25]
	v_add_f64 v[5:6], v[18:19], v[5:6]
	v_add_f64 v[7:8], v[14:15], v[7:8]
	s_waitcnt vmcnt(4)
	v_fma_f64 v[1:2], v[1:2], v[101:102], -v[22:23]
	v_fma_f64 v[3:4], v[3:4], v[101:102], v[20:21]
	v_add_f64 v[5:6], v[5:6], v[9:10]
	v_add_f64 v[7:8], v[7:8], v[11:12]
	;; [unrolled: 1-line block ×4, first 2 shown]
	s_waitcnt vmcnt(2)
	v_add_f64 v[1:2], v[16:17], -v[1:2]
	s_waitcnt vmcnt(0)
	v_add_f64 v[3:4], v[105:106], -v[3:4]
	buffer_store_dword v2, off, s[0:3], 0 offset:612
	buffer_store_dword v1, off, s[0:3], 0 offset:608
	;; [unrolled: 1-line block ×4, first 2 shown]
	v_cmpx_lt_u32_e32 36, v0
	s_cbranch_execz .LBB53_265
; %bb.264:
	v_mov_b32_e32 v4, s29
	v_mov_b32_e32 v5, 0
	s_clause 0x3
	buffer_load_dword v1, v4, s[0:3], 0 offen
	buffer_load_dword v2, v4, s[0:3], 0 offen offset:4
	buffer_load_dword v3, v4, s[0:3], 0 offen offset:8
	buffer_load_dword v4, v4, s[0:3], 0 offen offset:12
	buffer_store_dword v5, off, s[0:3], 0 offset:592
	buffer_store_dword v5, off, s[0:3], 0 offset:596
	;; [unrolled: 1-line block ×4, first 2 shown]
	s_waitcnt vmcnt(0)
	ds_write_b128 v47, v[1:4]
.LBB53_265:
	s_or_b32 exec_lo, exec_lo, s4
	s_waitcnt lgkmcnt(0)
	s_waitcnt_vscnt null, 0x0
	s_barrier
	buffer_gl0_inv
	s_clause 0x37
	buffer_load_dword v10, off, s[0:3], 0 offset:616
	buffer_load_dword v11, off, s[0:3], 0 offset:620
	;; [unrolled: 1-line block ×56, first 2 shown]
	v_mov_b32_e32 v1, 0
	s_mov_b32 s4, exec_lo
	ds_read_b128 v[2:5], v1 offset:1456
	s_clause 0x2
	buffer_load_dword v94, off, s[0:3], 0 offset:844
	buffer_load_dword v98, off, s[0:3], 0 offset:820
	;; [unrolled: 1-line block ×3, first 2 shown]
	ds_read_b128 v[6:9], v1 offset:1472
	s_clause 0x4
	buffer_load_dword v104, off, s[0:3], 0 offset:860
	buffer_load_dword v105, off, s[0:3], 0 offset:872
	;; [unrolled: 1-line block ×5, first 2 shown]
	s_waitcnt vmcnt(62) lgkmcnt(1)
	v_mul_f64 v[99:100], v[4:5], v[10:11]
	v_mul_f64 v[101:102], v[2:3], v[10:11]
	s_waitcnt vmcnt(60) lgkmcnt(0)
	v_mul_f64 v[108:109], v[8:9], v[14:15]
	ds_read_b128 v[10:13], v1 offset:1488
	v_mul_f64 v[14:15], v[6:7], v[14:15]
	s_waitcnt vmcnt(58)
	v_fma_f64 v[99:100], v[2:3], v[16:17], -v[99:100]
	v_fma_f64 v[16:17], v[4:5], v[16:17], v[101:102]
	s_clause 0x2
	buffer_load_dword v106, off, s[0:3], 0 offset:876
	buffer_load_dword v102, off, s[0:3], 0 offset:852
	;; [unrolled: 1-line block ×3, first 2 shown]
	s_waitcnt vmcnt(59) lgkmcnt(0)
	v_mul_f64 v[110:111], v[10:11], v[18:19]
	v_mul_f64 v[18:19], v[12:13], v[18:19]
	s_waitcnt vmcnt(57)
	v_fma_f64 v[112:113], v[6:7], v[20:21], -v[108:109]
	ds_read_b128 v[2:5], v1 offset:1504
	v_fma_f64 v[14:15], v[8:9], v[20:21], v[14:15]
	buffer_load_dword v108, off, s[0:3], 0 offset:868
	ds_read_b128 v[6:9], v1 offset:1520
	v_add_f64 v[99:100], v[99:100], 0
	v_add_f64 v[16:17], v[16:17], 0
	s_waitcnt vmcnt(54) lgkmcnt(1)
	v_mul_f64 v[20:21], v[2:3], v[22:23]
	v_mul_f64 v[22:23], v[4:5], v[22:23]
	s_waitcnt vmcnt(52)
	v_fma_f64 v[18:19], v[10:11], v[28:29], -v[18:19]
	v_fma_f64 v[28:29], v[12:13], v[28:29], v[110:111]
	ds_read_b128 v[10:13], v1 offset:1536
	v_add_f64 v[99:100], v[99:100], v[112:113]
	v_add_f64 v[14:15], v[16:17], v[14:15]
	s_waitcnt vmcnt(51) lgkmcnt(1)
	v_mul_f64 v[16:17], v[6:7], v[24:25]
	v_mul_f64 v[24:25], v[8:9], v[24:25]
	s_waitcnt vmcnt(49)
	v_fma_f64 v[20:21], v[4:5], v[30:31], v[20:21]
	v_fma_f64 v[22:23], v[2:3], v[30:31], -v[22:23]
	v_add_f64 v[18:19], v[99:100], v[18:19]
	v_add_f64 v[14:15], v[14:15], v[28:29]
	s_clause 0x3
	buffer_load_dword v28, off, s[0:3], 0 offset:592
	buffer_load_dword v29, off, s[0:3], 0 offset:596
	buffer_load_dword v30, off, s[0:3], 0 offset:600
	buffer_load_dword v31, off, s[0:3], 0 offset:604
	s_waitcnt vmcnt(49) lgkmcnt(0)
	v_mul_f64 v[99:100], v[10:11], v[32:33]
	v_mul_f64 v[32:33], v[12:13], v[32:33]
	s_waitcnt vmcnt(48)
	v_fma_f64 v[24:25], v[6:7], v[26:27], -v[24:25]
	ds_read_b128 v[2:5], v1 offset:1552
	v_fma_f64 v[16:17], v[8:9], v[26:27], v[16:17]
	ds_read_b128 v[6:9], v1 offset:1568
	v_add_f64 v[18:19], v[18:19], v[22:23]
	v_add_f64 v[14:15], v[14:15], v[20:21]
	s_waitcnt vmcnt(47) lgkmcnt(1)
	v_mul_f64 v[22:23], v[4:5], v[34:35]
	s_waitcnt vmcnt(45)
	v_fma_f64 v[26:27], v[10:11], v[38:39], -v[32:33]
	v_mul_f64 v[20:21], v[2:3], v[34:35]
	s_waitcnt vmcnt(41) lgkmcnt(0)
	v_mul_f64 v[32:33], v[8:9], v[40:41]
	v_add_f64 v[18:19], v[18:19], v[24:25]
	v_fma_f64 v[24:25], v[12:13], v[38:39], v[99:100]
	v_add_f64 v[14:15], v[14:15], v[16:17]
	ds_read_b128 v[10:13], v1 offset:1584
	s_waitcnt vmcnt(40)
	v_fma_f64 v[22:23], v[2:3], v[36:37], -v[22:23]
	v_mul_f64 v[16:17], v[6:7], v[40:41]
	v_fma_f64 v[20:21], v[4:5], v[36:37], v[20:21]
	ds_read_b128 v[2:5], v1 offset:1600
	s_waitcnt vmcnt(37)
	v_fma_f64 v[32:33], v[6:7], v[65:66], -v[32:33]
	v_add_f64 v[18:19], v[18:19], v[26:27]
	s_waitcnt lgkmcnt(1)
	v_mul_f64 v[26:27], v[12:13], v[42:43]
	v_add_f64 v[14:15], v[14:15], v[24:25]
	v_mul_f64 v[24:25], v[10:11], v[42:43]
	v_fma_f64 v[16:17], v[8:9], v[65:66], v[16:17]
	ds_read_b128 v[6:9], v1 offset:1616
	v_add_f64 v[18:19], v[18:19], v[22:23]
	s_waitcnt vmcnt(33) lgkmcnt(1)
	v_mul_f64 v[22:23], v[4:5], v[67:68]
	v_add_f64 v[14:15], v[14:15], v[20:21]
	s_waitcnt vmcnt(32)
	v_fma_f64 v[26:27], v[10:11], v[44:45], -v[26:27]
	v_mul_f64 v[20:21], v[2:3], v[67:68]
	v_fma_f64 v[24:25], v[12:13], v[44:45], v[24:25]
	ds_read_b128 v[10:13], v1 offset:1632
	v_add_f64 v[18:19], v[18:19], v[32:33]
	s_waitcnt vmcnt(31) lgkmcnt(1)
	v_mul_f64 v[32:33], v[8:9], v[73:74]
	v_add_f64 v[14:15], v[14:15], v[16:17]
	s_waitcnt vmcnt(29)
	v_fma_f64 v[22:23], v[2:3], v[81:82], -v[22:23]
	;; [unrolled: 9-line block ×7, first 2 shown]
	v_mul_f64 v[20:21], v[2:3], v[103:104]
	v_fma_f64 v[12:13], v[12:13], v[95:96], v[24:25]
	v_add_f64 v[18:19], v[18:19], v[32:33]
	v_add_f64 v[14:15], v[14:15], v[16:17]
	s_waitcnt vmcnt(7) lgkmcnt(0)
	v_mul_f64 v[24:25], v[8:9], v[105:106]
	v_mul_f64 v[16:17], v[6:7], v[105:106]
	s_waitcnt vmcnt(5)
	v_fma_f64 v[2:3], v[2:3], v[101:102], -v[22:23]
	v_fma_f64 v[4:5], v[4:5], v[101:102], v[20:21]
	v_add_f64 v[10:11], v[18:19], v[10:11]
	v_add_f64 v[12:13], v[14:15], v[12:13]
	s_waitcnt vmcnt(4)
	v_fma_f64 v[6:7], v[6:7], v[107:108], -v[24:25]
	v_fma_f64 v[8:9], v[8:9], v[107:108], v[16:17]
	v_add_f64 v[2:3], v[10:11], v[2:3]
	v_add_f64 v[4:5], v[12:13], v[4:5]
	;; [unrolled: 1-line block ×4, first 2 shown]
	s_waitcnt vmcnt(2)
	v_add_f64 v[2:3], v[28:29], -v[2:3]
	s_waitcnt vmcnt(0)
	v_add_f64 v[4:5], v[30:31], -v[4:5]
	buffer_store_dword v3, off, s[0:3], 0 offset:596
	buffer_store_dword v2, off, s[0:3], 0 offset:592
	;; [unrolled: 1-line block ×4, first 2 shown]
	v_cmpx_lt_u32_e32 35, v0
	s_cbranch_execz .LBB53_267
; %bb.266:
	v_mov_b32_e32 v5, s30
	s_clause 0x3
	buffer_load_dword v2, v5, s[0:3], 0 offen
	buffer_load_dword v3, v5, s[0:3], 0 offen offset:4
	buffer_load_dword v4, v5, s[0:3], 0 offen offset:8
	;; [unrolled: 1-line block ×3, first 2 shown]
	buffer_store_dword v1, off, s[0:3], 0 offset:576
	buffer_store_dword v1, off, s[0:3], 0 offset:580
	;; [unrolled: 1-line block ×4, first 2 shown]
	s_waitcnt vmcnt(0)
	ds_write_b128 v47, v[2:5]
.LBB53_267:
	s_or_b32 exec_lo, exec_lo, s4
	s_waitcnt lgkmcnt(0)
	s_waitcnt_vscnt null, 0x0
	s_barrier
	buffer_gl0_inv
	s_clause 0x37
	buffer_load_dword v10, off, s[0:3], 0 offset:600
	buffer_load_dword v11, off, s[0:3], 0 offset:604
	;; [unrolled: 1-line block ×56, first 2 shown]
	ds_read_b128 v[2:5], v1 offset:1440
	s_clause 0x2
	buffer_load_dword v94, off, s[0:3], 0 offset:828
	buffer_load_dword v98, off, s[0:3], 0 offset:804
	buffer_load_dword v97, off, s[0:3], 0 offset:800
	ds_read_b128 v[6:9], v1 offset:1456
	s_clause 0x4
	buffer_load_dword v104, off, s[0:3], 0 offset:844
	buffer_load_dword v105, off, s[0:3], 0 offset:856
	buffer_load_dword v107, off, s[0:3], 0 offset:848
	buffer_load_dword v103, off, s[0:3], 0 offset:840
	buffer_load_dword v96, off, s[0:3], 0 offset:820
	s_mov_b32 s4, exec_lo
	s_waitcnt vmcnt(62) lgkmcnt(1)
	v_mul_f64 v[99:100], v[4:5], v[10:11]
	v_mul_f64 v[101:102], v[2:3], v[10:11]
	s_waitcnt vmcnt(60) lgkmcnt(0)
	v_mul_f64 v[108:109], v[8:9], v[14:15]
	ds_read_b128 v[10:13], v1 offset:1472
	v_mul_f64 v[14:15], v[6:7], v[14:15]
	s_waitcnt vmcnt(58)
	v_fma_f64 v[99:100], v[2:3], v[16:17], -v[99:100]
	v_fma_f64 v[16:17], v[4:5], v[16:17], v[101:102]
	s_clause 0x2
	buffer_load_dword v106, off, s[0:3], 0 offset:860
	buffer_load_dword v102, off, s[0:3], 0 offset:836
	;; [unrolled: 1-line block ×3, first 2 shown]
	s_waitcnt vmcnt(59) lgkmcnt(0)
	v_mul_f64 v[110:111], v[10:11], v[18:19]
	v_mul_f64 v[18:19], v[12:13], v[18:19]
	s_waitcnt vmcnt(57)
	v_fma_f64 v[112:113], v[6:7], v[20:21], -v[108:109]
	ds_read_b128 v[2:5], v1 offset:1488
	v_fma_f64 v[14:15], v[8:9], v[20:21], v[14:15]
	s_clause 0x2
	buffer_load_dword v21, off, s[0:3], 0 offset:876
	buffer_load_dword v20, off, s[0:3], 0 offset:872
	;; [unrolled: 1-line block ×3, first 2 shown]
	ds_read_b128 v[6:9], v1 offset:1504
	v_add_f64 v[99:100], v[99:100], 0
	v_add_f64 v[16:17], v[16:17], 0
	s_waitcnt vmcnt(56) lgkmcnt(1)
	v_mul_f64 v[114:115], v[2:3], v[22:23]
	v_mul_f64 v[22:23], v[4:5], v[22:23]
	s_waitcnt vmcnt(54)
	v_fma_f64 v[18:19], v[10:11], v[28:29], -v[18:19]
	v_fma_f64 v[28:29], v[12:13], v[28:29], v[110:111]
	s_waitcnt vmcnt(53) lgkmcnt(0)
	v_mul_f64 v[109:110], v[6:7], v[24:25]
	v_mul_f64 v[24:25], v[8:9], v[24:25]
	v_add_f64 v[99:100], v[99:100], v[112:113]
	v_add_f64 v[14:15], v[16:17], v[14:15]
	s_clause 0x1
	buffer_load_dword v17, off, s[0:3], 0 offset:868
	buffer_load_dword v16, off, s[0:3], 0 offset:864
	ds_read_b128 v[10:13], v1 offset:1520
	s_waitcnt vmcnt(53)
	v_fma_f64 v[22:23], v[2:3], v[30:31], -v[22:23]
	v_fma_f64 v[30:31], v[4:5], v[30:31], v[114:115]
	ds_read_b128 v[2:5], v1 offset:1536
	s_waitcnt vmcnt(48)
	v_fma_f64 v[24:25], v[6:7], v[26:27], -v[24:25]
	v_add_f64 v[18:19], v[99:100], v[18:19]
	v_add_f64 v[14:15], v[14:15], v[28:29]
	s_waitcnt lgkmcnt(1)
	v_mul_f64 v[28:29], v[10:11], v[32:33]
	v_mul_f64 v[32:33], v[12:13], v[32:33]
	s_waitcnt vmcnt(47) lgkmcnt(0)
	v_mul_f64 v[99:100], v[2:3], v[34:35]
	v_mul_f64 v[34:35], v[4:5], v[34:35]
	v_add_f64 v[18:19], v[18:19], v[22:23]
	v_fma_f64 v[22:23], v[8:9], v[26:27], v[109:110]
	v_add_f64 v[14:15], v[14:15], v[30:31]
	s_clause 0x3
	buffer_load_dword v26, off, s[0:3], 0 offset:576
	buffer_load_dword v27, off, s[0:3], 0 offset:580
	;; [unrolled: 1-line block ×4, first 2 shown]
	s_waitcnt vmcnt(49)
	v_fma_f64 v[32:33], v[10:11], v[38:39], -v[32:33]
	ds_read_b128 v[6:9], v1 offset:1552
	s_waitcnt vmcnt(44)
	v_fma_f64 v[34:35], v[2:3], v[36:37], -v[34:35]
	v_add_f64 v[18:19], v[18:19], v[24:25]
	v_fma_f64 v[24:25], v[12:13], v[38:39], v[28:29]
	v_add_f64 v[14:15], v[14:15], v[22:23]
	ds_read_b128 v[10:13], v1 offset:1568
	s_waitcnt lgkmcnt(1)
	v_mul_f64 v[28:29], v[8:9], v[40:41]
	v_mul_f64 v[22:23], v[6:7], v[40:41]
	v_add_f64 v[18:19], v[18:19], v[32:33]
	v_fma_f64 v[32:33], v[4:5], v[36:37], v[99:100]
	v_add_f64 v[14:15], v[14:15], v[24:25]
	s_waitcnt vmcnt(43) lgkmcnt(0)
	v_mul_f64 v[36:37], v[12:13], v[42:43]
	s_waitcnt vmcnt(41)
	v_fma_f64 v[28:29], v[6:7], v[65:66], -v[28:29]
	ds_read_b128 v[2:5], v1 offset:1584
	v_mul_f64 v[24:25], v[10:11], v[42:43]
	v_fma_f64 v[22:23], v[8:9], v[65:66], v[22:23]
	ds_read_b128 v[6:9], v1 offset:1600
	v_add_f64 v[18:19], v[18:19], v[34:35]
	v_add_f64 v[14:15], v[14:15], v[32:33]
	s_waitcnt vmcnt(37) lgkmcnt(1)
	v_mul_f64 v[34:35], v[4:5], v[67:68]
	s_waitcnt vmcnt(36)
	v_fma_f64 v[36:37], v[10:11], v[44:45], -v[36:37]
	v_mul_f64 v[32:33], v[2:3], v[67:68]
	v_fma_f64 v[24:25], v[12:13], v[44:45], v[24:25]
	ds_read_b128 v[10:13], v1 offset:1616
	v_add_f64 v[18:19], v[18:19], v[28:29]
	s_waitcnt vmcnt(35) lgkmcnt(1)
	v_mul_f64 v[28:29], v[8:9], v[73:74]
	v_add_f64 v[14:15], v[14:15], v[22:23]
	s_waitcnt vmcnt(33)
	v_fma_f64 v[34:35], v[2:3], v[81:82], -v[34:35]
	v_mul_f64 v[22:23], v[6:7], v[73:74]
	v_fma_f64 v[32:33], v[4:5], v[81:82], v[32:33]
	ds_read_b128 v[2:5], v1 offset:1632
	v_add_f64 v[18:19], v[18:19], v[36:37]
	s_waitcnt vmcnt(29) lgkmcnt(1)
	v_mul_f64 v[36:37], v[12:13], v[83:84]
	v_add_f64 v[14:15], v[14:15], v[24:25]
	;; [unrolled: 9-line block ×6, first 2 shown]
	s_waitcnt vmcnt(12)
	v_fma_f64 v[36:37], v[10:11], v[95:96], -v[36:37]
	v_mul_f64 v[32:33], v[2:3], v[103:104]
	v_fma_f64 v[24:25], v[12:13], v[95:96], v[24:25]
	ds_read_b128 v[10:13], v1 offset:1712
	v_add_f64 v[18:19], v[18:19], v[28:29]
	v_add_f64 v[14:15], v[14:15], v[22:23]
	s_waitcnt vmcnt(11) lgkmcnt(1)
	v_mul_f64 v[28:29], v[8:9], v[105:106]
	v_mul_f64 v[22:23], v[6:7], v[105:106]
	s_waitcnt vmcnt(9)
	v_fma_f64 v[1:2], v[2:3], v[101:102], -v[34:35]
	v_fma_f64 v[3:4], v[4:5], v[101:102], v[32:33]
	v_add_f64 v[18:19], v[18:19], v[36:37]
	v_add_f64 v[14:15], v[14:15], v[24:25]
	s_waitcnt vmcnt(7) lgkmcnt(0)
	v_mul_f64 v[24:25], v[10:11], v[20:21]
	v_mul_f64 v[20:21], v[12:13], v[20:21]
	s_waitcnt vmcnt(6)
	v_fma_f64 v[5:6], v[6:7], v[107:108], -v[28:29]
	v_fma_f64 v[7:8], v[8:9], v[107:108], v[22:23]
	v_add_f64 v[1:2], v[18:19], v[1:2]
	v_add_f64 v[3:4], v[14:15], v[3:4]
	s_waitcnt vmcnt(4)
	v_fma_f64 v[9:10], v[10:11], v[16:17], -v[20:21]
	v_add_f64 v[1:2], v[1:2], v[5:6]
	v_fma_f64 v[5:6], v[12:13], v[16:17], v[24:25]
	v_add_f64 v[3:4], v[3:4], v[7:8]
	v_add_f64 v[1:2], v[1:2], v[9:10]
	;; [unrolled: 1-line block ×3, first 2 shown]
	s_waitcnt vmcnt(2)
	v_add_f64 v[1:2], v[26:27], -v[1:2]
	s_waitcnt vmcnt(0)
	v_add_f64 v[3:4], v[30:31], -v[3:4]
	buffer_store_dword v2, off, s[0:3], 0 offset:580
	buffer_store_dword v1, off, s[0:3], 0 offset:576
	;; [unrolled: 1-line block ×4, first 2 shown]
	v_cmpx_lt_u32_e32 34, v0
	s_cbranch_execz .LBB53_269
; %bb.268:
	v_mov_b32_e32 v4, s31
	v_mov_b32_e32 v5, 0
	s_clause 0x3
	buffer_load_dword v1, v4, s[0:3], 0 offen
	buffer_load_dword v2, v4, s[0:3], 0 offen offset:4
	buffer_load_dword v3, v4, s[0:3], 0 offen offset:8
	;; [unrolled: 1-line block ×3, first 2 shown]
	buffer_store_dword v5, off, s[0:3], 0 offset:560
	buffer_store_dword v5, off, s[0:3], 0 offset:564
	;; [unrolled: 1-line block ×4, first 2 shown]
	s_waitcnt vmcnt(0)
	ds_write_b128 v47, v[1:4]
.LBB53_269:
	s_or_b32 exec_lo, exec_lo, s4
	s_waitcnt lgkmcnt(0)
	s_waitcnt_vscnt null, 0x0
	s_barrier
	buffer_gl0_inv
	s_clause 0x37
	buffer_load_dword v10, off, s[0:3], 0 offset:584
	buffer_load_dword v11, off, s[0:3], 0 offset:588
	;; [unrolled: 1-line block ×56, first 2 shown]
	v_mov_b32_e32 v1, 0
	s_mov_b32 s4, exec_lo
	ds_read_b128 v[2:5], v1 offset:1424
	s_clause 0x2
	buffer_load_dword v94, off, s[0:3], 0 offset:812
	buffer_load_dword v98, off, s[0:3], 0 offset:788
	;; [unrolled: 1-line block ×3, first 2 shown]
	ds_read_b128 v[6:9], v1 offset:1440
	s_clause 0x4
	buffer_load_dword v104, off, s[0:3], 0 offset:828
	buffer_load_dword v105, off, s[0:3], 0 offset:840
	;; [unrolled: 1-line block ×5, first 2 shown]
	s_waitcnt vmcnt(62) lgkmcnt(1)
	v_mul_f64 v[99:100], v[4:5], v[10:11]
	v_mul_f64 v[101:102], v[2:3], v[10:11]
	s_waitcnt vmcnt(60) lgkmcnt(0)
	v_mul_f64 v[108:109], v[8:9], v[14:15]
	ds_read_b128 v[10:13], v1 offset:1456
	v_mul_f64 v[14:15], v[6:7], v[14:15]
	s_waitcnt vmcnt(58)
	v_fma_f64 v[99:100], v[2:3], v[16:17], -v[99:100]
	v_fma_f64 v[16:17], v[4:5], v[16:17], v[101:102]
	s_clause 0x2
	buffer_load_dword v106, off, s[0:3], 0 offset:844
	buffer_load_dword v102, off, s[0:3], 0 offset:820
	;; [unrolled: 1-line block ×3, first 2 shown]
	s_waitcnt vmcnt(59) lgkmcnt(0)
	v_mul_f64 v[110:111], v[10:11], v[18:19]
	v_mul_f64 v[18:19], v[12:13], v[18:19]
	s_waitcnt vmcnt(57)
	v_fma_f64 v[112:113], v[6:7], v[20:21], -v[108:109]
	ds_read_b128 v[2:5], v1 offset:1472
	v_fma_f64 v[14:15], v[8:9], v[20:21], v[14:15]
	s_clause 0x4
	buffer_load_dword v21, off, s[0:3], 0 offset:860
	buffer_load_dword v109, off, s[0:3], 0 offset:872
	;; [unrolled: 1-line block ×5, first 2 shown]
	ds_read_b128 v[6:9], v1 offset:1488
	v_add_f64 v[99:100], v[99:100], 0
	v_add_f64 v[16:17], v[16:17], 0
	s_waitcnt vmcnt(58) lgkmcnt(1)
	v_mul_f64 v[115:116], v[2:3], v[22:23]
	v_mul_f64 v[22:23], v[4:5], v[22:23]
	s_waitcnt vmcnt(56)
	v_fma_f64 v[18:19], v[10:11], v[28:29], -v[18:19]
	v_fma_f64 v[28:29], v[12:13], v[28:29], v[110:111]
	v_add_f64 v[99:100], v[99:100], v[112:113]
	v_add_f64 v[14:15], v[16:17], v[14:15]
	s_clause 0x2
	buffer_load_dword v110, off, s[0:3], 0 offset:876
	buffer_load_dword v17, off, s[0:3], 0 offset:852
	;; [unrolled: 1-line block ×3, first 2 shown]
	s_waitcnt vmcnt(58) lgkmcnt(0)
	v_mul_f64 v[111:112], v[6:7], v[24:25]
	v_mul_f64 v[24:25], v[8:9], v[24:25]
	s_waitcnt vmcnt(56)
	v_fma_f64 v[22:23], v[2:3], v[30:31], -v[22:23]
	ds_read_b128 v[10:13], v1 offset:1504
	v_fma_f64 v[30:31], v[4:5], v[30:31], v[115:116]
	buffer_load_dword v115, off, s[0:3], 0 offset:868
	ds_read_b128 v[2:5], v1 offset:1520
	v_add_f64 v[18:19], v[99:100], v[18:19]
	v_add_f64 v[14:15], v[14:15], v[28:29]
	s_waitcnt vmcnt(53) lgkmcnt(1)
	v_mul_f64 v[28:29], v[10:11], v[32:33]
	v_mul_f64 v[32:33], v[12:13], v[32:33]
	s_waitcnt vmcnt(52)
	v_fma_f64 v[24:25], v[6:7], v[26:27], -v[24:25]
	v_add_f64 v[18:19], v[18:19], v[22:23]
	v_fma_f64 v[22:23], v[8:9], v[26:27], v[111:112]
	v_add_f64 v[14:15], v[14:15], v[30:31]
	s_waitcnt vmcnt(51) lgkmcnt(0)
	v_mul_f64 v[30:31], v[4:5], v[34:35]
	ds_read_b128 v[6:9], v1 offset:1536
	s_waitcnt vmcnt(49)
	v_fma_f64 v[32:33], v[10:11], v[38:39], -v[32:33]
	v_mul_f64 v[26:27], v[2:3], v[34:35]
	v_add_f64 v[18:19], v[18:19], v[24:25]
	v_fma_f64 v[24:25], v[12:13], v[38:39], v[28:29]
	v_add_f64 v[14:15], v[14:15], v[22:23]
	s_clause 0x3
	buffer_load_dword v22, off, s[0:3], 0 offset:560
	buffer_load_dword v23, off, s[0:3], 0 offset:564
	;; [unrolled: 1-line block ×4, first 2 shown]
	s_waitcnt vmcnt(49) lgkmcnt(0)
	v_mul_f64 v[38:39], v[8:9], v[40:41]
	s_waitcnt vmcnt(48)
	v_fma_f64 v[30:31], v[2:3], v[36:37], -v[30:31]
	ds_read_b128 v[10:13], v1 offset:1552
	v_mul_f64 v[34:35], v[6:7], v[40:41]
	v_fma_f64 v[26:27], v[4:5], v[36:37], v[26:27]
	ds_read_b128 v[2:5], v1 offset:1568
	v_add_f64 v[18:19], v[18:19], v[32:33]
	v_add_f64 v[14:15], v[14:15], v[24:25]
	s_waitcnt vmcnt(47) lgkmcnt(1)
	v_mul_f64 v[32:33], v[12:13], v[42:43]
	s_waitcnt vmcnt(45)
	v_fma_f64 v[36:37], v[6:7], v[65:66], -v[38:39]
	v_mul_f64 v[24:25], v[10:11], v[42:43]
	v_add_f64 v[18:19], v[18:19], v[30:31]
	v_fma_f64 v[30:31], v[8:9], v[65:66], v[34:35]
	v_add_f64 v[14:15], v[14:15], v[26:27]
	s_waitcnt vmcnt(41) lgkmcnt(0)
	v_mul_f64 v[34:35], v[4:5], v[67:68]
	s_waitcnt vmcnt(40)
	v_fma_f64 v[32:33], v[10:11], v[44:45], -v[32:33]
	ds_read_b128 v[6:9], v1 offset:1584
	v_mul_f64 v[26:27], v[2:3], v[67:68]
	v_fma_f64 v[24:25], v[12:13], v[44:45], v[24:25]
	ds_read_b128 v[10:13], v1 offset:1600
	v_add_f64 v[18:19], v[18:19], v[36:37]
	v_add_f64 v[14:15], v[14:15], v[30:31]
	s_waitcnt vmcnt(39) lgkmcnt(1)
	v_mul_f64 v[36:37], v[8:9], v[73:74]
	s_waitcnt vmcnt(37)
	v_fma_f64 v[34:35], v[2:3], v[81:82], -v[34:35]
	v_mul_f64 v[30:31], v[6:7], v[73:74]
	v_fma_f64 v[26:27], v[4:5], v[81:82], v[26:27]
	ds_read_b128 v[2:5], v1 offset:1616
	v_add_f64 v[18:19], v[18:19], v[32:33]
	s_waitcnt vmcnt(33) lgkmcnt(1)
	v_mul_f64 v[32:33], v[12:13], v[83:84]
	v_add_f64 v[14:15], v[14:15], v[24:25]
	s_waitcnt vmcnt(32)
	v_fma_f64 v[36:37], v[6:7], v[75:76], -v[36:37]
	v_mul_f64 v[24:25], v[10:11], v[83:84]
	v_fma_f64 v[30:31], v[8:9], v[75:76], v[30:31]
	ds_read_b128 v[6:9], v1 offset:1632
	v_add_f64 v[18:19], v[18:19], v[34:35]
	s_waitcnt vmcnt(31) lgkmcnt(1)
	v_mul_f64 v[34:35], v[4:5], v[85:86]
	v_add_f64 v[14:15], v[14:15], v[26:27]
	;; [unrolled: 9-line block ×5, first 2 shown]
	s_waitcnt vmcnt(16)
	v_fma_f64 v[32:33], v[10:11], v[95:96], -v[32:33]
	v_mul_f64 v[26:27], v[2:3], v[103:104]
	v_fma_f64 v[24:25], v[12:13], v[95:96], v[24:25]
	ds_read_b128 v[10:13], v1 offset:1696
	v_add_f64 v[18:19], v[18:19], v[36:37]
	v_add_f64 v[14:15], v[14:15], v[30:31]
	s_waitcnt vmcnt(15) lgkmcnt(1)
	v_mul_f64 v[36:37], v[8:9], v[105:106]
	v_mul_f64 v[30:31], v[6:7], v[105:106]
	s_waitcnt vmcnt(13)
	v_fma_f64 v[34:35], v[2:3], v[101:102], -v[34:35]
	v_fma_f64 v[26:27], v[4:5], v[101:102], v[26:27]
	ds_read_b128 v[2:5], v1 offset:1712
	v_add_f64 v[18:19], v[18:19], v[32:33]
	v_add_f64 v[14:15], v[14:15], v[24:25]
	s_waitcnt vmcnt(9) lgkmcnt(1)
	v_mul_f64 v[24:25], v[10:11], v[20:21]
	v_mul_f64 v[20:21], v[12:13], v[20:21]
	s_waitcnt vmcnt(8)
	v_fma_f64 v[6:7], v[6:7], v[107:108], -v[36:37]
	v_fma_f64 v[8:9], v[8:9], v[107:108], v[30:31]
	v_add_f64 v[18:19], v[18:19], v[34:35]
	v_add_f64 v[14:15], v[14:15], v[26:27]
	s_waitcnt vmcnt(7) lgkmcnt(0)
	v_mul_f64 v[30:31], v[4:5], v[109:110]
	v_mul_f64 v[26:27], v[2:3], v[109:110]
	s_waitcnt vmcnt(5)
	v_fma_f64 v[10:11], v[10:11], v[16:17], -v[20:21]
	v_fma_f64 v[12:13], v[12:13], v[16:17], v[24:25]
	v_add_f64 v[6:7], v[18:19], v[6:7]
	v_add_f64 v[8:9], v[14:15], v[8:9]
	s_waitcnt vmcnt(4)
	v_fma_f64 v[2:3], v[2:3], v[114:115], -v[30:31]
	v_fma_f64 v[4:5], v[4:5], v[114:115], v[26:27]
	v_add_f64 v[6:7], v[6:7], v[10:11]
	v_add_f64 v[8:9], v[8:9], v[12:13]
	;; [unrolled: 1-line block ×4, first 2 shown]
	s_waitcnt vmcnt(2)
	v_add_f64 v[2:3], v[22:23], -v[2:3]
	s_waitcnt vmcnt(0)
	v_add_f64 v[4:5], v[28:29], -v[4:5]
	buffer_store_dword v3, off, s[0:3], 0 offset:564
	buffer_store_dword v2, off, s[0:3], 0 offset:560
	;; [unrolled: 1-line block ×4, first 2 shown]
	v_cmpx_lt_u32_e32 33, v0
	s_cbranch_execz .LBB53_271
; %bb.270:
	v_mov_b32_e32 v5, s33
	s_clause 0x3
	buffer_load_dword v2, v5, s[0:3], 0 offen
	buffer_load_dword v3, v5, s[0:3], 0 offen offset:4
	buffer_load_dword v4, v5, s[0:3], 0 offen offset:8
	;; [unrolled: 1-line block ×3, first 2 shown]
	buffer_store_dword v1, off, s[0:3], 0 offset:544
	buffer_store_dword v1, off, s[0:3], 0 offset:548
	;; [unrolled: 1-line block ×4, first 2 shown]
	s_waitcnt vmcnt(0)
	ds_write_b128 v47, v[2:5]
.LBB53_271:
	s_or_b32 exec_lo, exec_lo, s4
	s_waitcnt lgkmcnt(0)
	s_waitcnt_vscnt null, 0x0
	s_barrier
	buffer_gl0_inv
	s_clause 0x37
	buffer_load_dword v10, off, s[0:3], 0 offset:568
	buffer_load_dword v11, off, s[0:3], 0 offset:572
	;; [unrolled: 1-line block ×56, first 2 shown]
	ds_read_b128 v[2:5], v1 offset:1408
	s_clause 0x2
	buffer_load_dword v94, off, s[0:3], 0 offset:796
	buffer_load_dword v98, off, s[0:3], 0 offset:772
	;; [unrolled: 1-line block ×3, first 2 shown]
	ds_read_b128 v[6:9], v1 offset:1424
	s_clause 0x4
	buffer_load_dword v104, off, s[0:3], 0 offset:812
	buffer_load_dword v105, off, s[0:3], 0 offset:824
	;; [unrolled: 1-line block ×5, first 2 shown]
	s_mov_b32 s4, exec_lo
	s_waitcnt vmcnt(62) lgkmcnt(1)
	v_mul_f64 v[99:100], v[4:5], v[10:11]
	v_mul_f64 v[101:102], v[2:3], v[10:11]
	s_waitcnt vmcnt(60) lgkmcnt(0)
	v_mul_f64 v[108:109], v[8:9], v[14:15]
	ds_read_b128 v[10:13], v1 offset:1440
	v_mul_f64 v[14:15], v[6:7], v[14:15]
	s_waitcnt vmcnt(58)
	v_fma_f64 v[99:100], v[2:3], v[16:17], -v[99:100]
	v_fma_f64 v[16:17], v[4:5], v[16:17], v[101:102]
	s_clause 0x2
	buffer_load_dword v106, off, s[0:3], 0 offset:828
	buffer_load_dword v102, off, s[0:3], 0 offset:804
	;; [unrolled: 1-line block ×3, first 2 shown]
	s_waitcnt vmcnt(59) lgkmcnt(0)
	v_mul_f64 v[110:111], v[10:11], v[18:19]
	v_mul_f64 v[18:19], v[12:13], v[18:19]
	s_waitcnt vmcnt(57)
	v_fma_f64 v[112:113], v[6:7], v[20:21], -v[108:109]
	ds_read_b128 v[2:5], v1 offset:1456
	v_fma_f64 v[14:15], v[8:9], v[20:21], v[14:15]
	s_clause 0x4
	buffer_load_dword v21, off, s[0:3], 0 offset:844
	buffer_load_dword v109, off, s[0:3], 0 offset:856
	;; [unrolled: 1-line block ×5, first 2 shown]
	ds_read_b128 v[6:9], v1 offset:1472
	v_add_f64 v[99:100], v[99:100], 0
	v_add_f64 v[16:17], v[16:17], 0
	s_waitcnt vmcnt(58) lgkmcnt(1)
	v_mul_f64 v[115:116], v[2:3], v[22:23]
	v_mul_f64 v[22:23], v[4:5], v[22:23]
	s_waitcnt vmcnt(56)
	v_fma_f64 v[18:19], v[10:11], v[28:29], -v[18:19]
	v_fma_f64 v[28:29], v[12:13], v[28:29], v[110:111]
	v_add_f64 v[99:100], v[99:100], v[112:113]
	v_add_f64 v[14:15], v[16:17], v[14:15]
	s_clause 0x2
	buffer_load_dword v110, off, s[0:3], 0 offset:860
	buffer_load_dword v17, off, s[0:3], 0 offset:836
	buffer_load_dword v16, off, s[0:3], 0 offset:832
	s_waitcnt vmcnt(58) lgkmcnt(0)
	v_mul_f64 v[111:112], v[6:7], v[24:25]
	v_mul_f64 v[24:25], v[8:9], v[24:25]
	s_waitcnt vmcnt(56)
	v_fma_f64 v[22:23], v[2:3], v[30:31], -v[22:23]
	ds_read_b128 v[10:13], v1 offset:1488
	v_fma_f64 v[30:31], v[4:5], v[30:31], v[115:116]
	v_add_f64 v[18:19], v[99:100], v[18:19]
	v_add_f64 v[14:15], v[14:15], v[28:29]
	s_clause 0x2
	buffer_load_dword v29, off, s[0:3], 0 offset:876
	buffer_load_dword v28, off, s[0:3], 0 offset:872
	;; [unrolled: 1-line block ×3, first 2 shown]
	ds_read_b128 v[2:5], v1 offset:1504
	s_waitcnt vmcnt(55) lgkmcnt(1)
	v_mul_f64 v[99:100], v[10:11], v[32:33]
	v_mul_f64 v[32:33], v[12:13], v[32:33]
	s_waitcnt vmcnt(54)
	v_fma_f64 v[24:25], v[6:7], v[26:27], -v[24:25]
	v_add_f64 v[18:19], v[18:19], v[22:23]
	v_fma_f64 v[22:23], v[8:9], v[26:27], v[111:112]
	v_add_f64 v[14:15], v[14:15], v[30:31]
	s_clause 0x1
	buffer_load_dword v27, off, s[0:3], 0 offset:868
	buffer_load_dword v26, off, s[0:3], 0 offset:864
	s_waitcnt vmcnt(55) lgkmcnt(0)
	v_mul_f64 v[30:31], v[2:3], v[34:35]
	v_mul_f64 v[34:35], v[4:5], v[34:35]
	s_waitcnt vmcnt(53)
	v_fma_f64 v[32:33], v[10:11], v[38:39], -v[32:33]
	ds_read_b128 v[6:9], v1 offset:1520
	v_add_f64 v[18:19], v[18:19], v[24:25]
	v_fma_f64 v[24:25], v[12:13], v[38:39], v[99:100]
	v_add_f64 v[14:15], v[14:15], v[22:23]
	ds_read_b128 v[10:13], v1 offset:1536
	s_waitcnt vmcnt(48)
	v_fma_f64 v[30:31], v[4:5], v[36:37], v[30:31]
	s_waitcnt lgkmcnt(1)
	v_mul_f64 v[38:39], v[8:9], v[40:41]
	v_fma_f64 v[34:35], v[2:3], v[36:37], -v[34:35]
	v_mul_f64 v[22:23], v[6:7], v[40:41]
	v_add_f64 v[18:19], v[18:19], v[32:33]
	s_waitcnt vmcnt(47) lgkmcnt(0)
	v_mul_f64 v[40:41], v[12:13], v[42:43]
	v_add_f64 v[14:15], v[14:15], v[24:25]
	s_clause 0x3
	buffer_load_dword v24, off, s[0:3], 0 offset:544
	buffer_load_dword v25, off, s[0:3], 0 offset:548
	buffer_load_dword v32, off, s[0:3], 0 offset:552
	buffer_load_dword v33, off, s[0:3], 0 offset:556
	ds_read_b128 v[2:5], v1 offset:1552
	s_waitcnt vmcnt(49)
	v_fma_f64 v[38:39], v[6:7], v[65:66], -v[38:39]
	v_mul_f64 v[36:37], v[10:11], v[42:43]
	v_fma_f64 v[22:23], v[8:9], v[65:66], v[22:23]
	ds_read_b128 v[6:9], v1 offset:1568
	v_add_f64 v[18:19], v[18:19], v[34:35]
	s_waitcnt vmcnt(44)
	v_fma_f64 v[40:41], v[10:11], v[44:45], -v[40:41]
	v_add_f64 v[14:15], v[14:15], v[30:31]
	s_waitcnt lgkmcnt(1)
	v_mul_f64 v[34:35], v[4:5], v[67:68]
	v_mul_f64 v[30:31], v[2:3], v[67:68]
	v_fma_f64 v[36:37], v[12:13], v[44:45], v[36:37]
	ds_read_b128 v[10:13], v1 offset:1584
	v_add_f64 v[18:19], v[18:19], v[38:39]
	s_waitcnt vmcnt(43) lgkmcnt(1)
	v_mul_f64 v[38:39], v[8:9], v[73:74]
	v_add_f64 v[14:15], v[14:15], v[22:23]
	s_waitcnt vmcnt(41)
	v_fma_f64 v[34:35], v[2:3], v[81:82], -v[34:35]
	v_mul_f64 v[22:23], v[6:7], v[73:74]
	v_fma_f64 v[30:31], v[4:5], v[81:82], v[30:31]
	ds_read_b128 v[2:5], v1 offset:1600
	v_add_f64 v[18:19], v[18:19], v[40:41]
	s_waitcnt vmcnt(37) lgkmcnt(1)
	v_mul_f64 v[40:41], v[12:13], v[83:84]
	v_add_f64 v[14:15], v[14:15], v[36:37]
	s_waitcnt vmcnt(36)
	v_fma_f64 v[38:39], v[6:7], v[75:76], -v[38:39]
	;; [unrolled: 9-line block ×6, first 2 shown]
	v_mul_f64 v[30:31], v[2:3], v[103:104]
	v_fma_f64 v[36:37], v[12:13], v[95:96], v[36:37]
	ds_read_b128 v[10:13], v1 offset:1680
	v_add_f64 v[18:19], v[18:19], v[38:39]
	v_add_f64 v[14:15], v[14:15], v[22:23]
	s_waitcnt vmcnt(19) lgkmcnt(1)
	v_mul_f64 v[38:39], v[8:9], v[105:106]
	v_mul_f64 v[22:23], v[6:7], v[105:106]
	s_waitcnt vmcnt(17)
	v_fma_f64 v[34:35], v[2:3], v[101:102], -v[34:35]
	v_fma_f64 v[30:31], v[4:5], v[101:102], v[30:31]
	ds_read_b128 v[2:5], v1 offset:1696
	v_add_f64 v[18:19], v[18:19], v[40:41]
	v_add_f64 v[14:15], v[14:15], v[36:37]
	s_waitcnt vmcnt(13) lgkmcnt(1)
	v_mul_f64 v[36:37], v[10:11], v[20:21]
	v_mul_f64 v[20:21], v[12:13], v[20:21]
	s_waitcnt vmcnt(12)
	v_fma_f64 v[38:39], v[6:7], v[107:108], -v[38:39]
	v_fma_f64 v[22:23], v[8:9], v[107:108], v[22:23]
	ds_read_b128 v[6:9], v1 offset:1712
	v_add_f64 v[18:19], v[18:19], v[34:35]
	v_add_f64 v[14:15], v[14:15], v[30:31]
	s_waitcnt vmcnt(11) lgkmcnt(1)
	v_mul_f64 v[34:35], v[4:5], v[109:110]
	v_mul_f64 v[30:31], v[2:3], v[109:110]
	s_waitcnt vmcnt(9)
	v_fma_f64 v[10:11], v[10:11], v[16:17], -v[20:21]
	v_fma_f64 v[12:13], v[12:13], v[16:17], v[36:37]
	v_add_f64 v[18:19], v[18:19], v[38:39]
	v_add_f64 v[14:15], v[14:15], v[22:23]
	s_waitcnt vmcnt(7) lgkmcnt(0)
	v_mul_f64 v[20:21], v[8:9], v[28:29]
	s_waitcnt vmcnt(6)
	v_fma_f64 v[1:2], v[2:3], v[114:115], -v[34:35]
	v_mul_f64 v[16:17], v[6:7], v[28:29]
	v_fma_f64 v[3:4], v[4:5], v[114:115], v[30:31]
	v_add_f64 v[10:11], v[18:19], v[10:11]
	v_add_f64 v[12:13], v[14:15], v[12:13]
	s_waitcnt vmcnt(4)
	v_fma_f64 v[5:6], v[6:7], v[26:27], -v[20:21]
	v_fma_f64 v[7:8], v[8:9], v[26:27], v[16:17]
	v_add_f64 v[1:2], v[10:11], v[1:2]
	v_add_f64 v[3:4], v[12:13], v[3:4]
	;; [unrolled: 1-line block ×4, first 2 shown]
	s_waitcnt vmcnt(2)
	v_add_f64 v[1:2], v[24:25], -v[1:2]
	s_waitcnt vmcnt(0)
	v_add_f64 v[3:4], v[32:33], -v[3:4]
	buffer_store_dword v2, off, s[0:3], 0 offset:548
	buffer_store_dword v1, off, s[0:3], 0 offset:544
	;; [unrolled: 1-line block ×4, first 2 shown]
	v_cmpx_lt_u32_e32 32, v0
	s_cbranch_execz .LBB53_273
; %bb.272:
	v_mov_b32_e32 v4, s34
	v_mov_b32_e32 v5, 0
	s_clause 0x3
	buffer_load_dword v1, v4, s[0:3], 0 offen
	buffer_load_dword v2, v4, s[0:3], 0 offen offset:4
	buffer_load_dword v3, v4, s[0:3], 0 offen offset:8
	;; [unrolled: 1-line block ×3, first 2 shown]
	buffer_store_dword v5, off, s[0:3], 0 offset:528
	buffer_store_dword v5, off, s[0:3], 0 offset:532
	;; [unrolled: 1-line block ×4, first 2 shown]
	s_waitcnt vmcnt(0)
	ds_write_b128 v47, v[1:4]
.LBB53_273:
	s_or_b32 exec_lo, exec_lo, s4
	s_waitcnt lgkmcnt(0)
	s_waitcnt_vscnt null, 0x0
	s_barrier
	buffer_gl0_inv
	s_clause 0x37
	buffer_load_dword v10, off, s[0:3], 0 offset:552
	buffer_load_dword v11, off, s[0:3], 0 offset:556
	;; [unrolled: 1-line block ×56, first 2 shown]
	v_mov_b32_e32 v1, 0
	s_mov_b32 s4, exec_lo
	ds_read_b128 v[2:5], v1 offset:1392
	s_clause 0x2
	buffer_load_dword v94, off, s[0:3], 0 offset:780
	buffer_load_dword v98, off, s[0:3], 0 offset:756
	;; [unrolled: 1-line block ×3, first 2 shown]
	ds_read_b128 v[6:9], v1 offset:1408
	s_clause 0x4
	buffer_load_dword v104, off, s[0:3], 0 offset:796
	buffer_load_dword v105, off, s[0:3], 0 offset:808
	;; [unrolled: 1-line block ×5, first 2 shown]
	s_waitcnt vmcnt(62) lgkmcnt(1)
	v_mul_f64 v[99:100], v[4:5], v[10:11]
	v_mul_f64 v[101:102], v[2:3], v[10:11]
	s_waitcnt vmcnt(60) lgkmcnt(0)
	v_mul_f64 v[108:109], v[8:9], v[14:15]
	ds_read_b128 v[10:13], v1 offset:1424
	v_mul_f64 v[14:15], v[6:7], v[14:15]
	s_waitcnt vmcnt(58)
	v_fma_f64 v[99:100], v[2:3], v[16:17], -v[99:100]
	v_fma_f64 v[16:17], v[4:5], v[16:17], v[101:102]
	s_clause 0x2
	buffer_load_dword v106, off, s[0:3], 0 offset:812
	buffer_load_dword v102, off, s[0:3], 0 offset:788
	;; [unrolled: 1-line block ×3, first 2 shown]
	s_waitcnt vmcnt(59) lgkmcnt(0)
	v_mul_f64 v[110:111], v[10:11], v[18:19]
	v_mul_f64 v[18:19], v[12:13], v[18:19]
	s_waitcnt vmcnt(57)
	v_fma_f64 v[112:113], v[6:7], v[20:21], -v[108:109]
	ds_read_b128 v[2:5], v1 offset:1440
	v_fma_f64 v[14:15], v[8:9], v[20:21], v[14:15]
	s_clause 0x4
	buffer_load_dword v21, off, s[0:3], 0 offset:828
	buffer_load_dword v109, off, s[0:3], 0 offset:840
	buffer_load_dword v114, off, s[0:3], 0 offset:832
	buffer_load_dword v20, off, s[0:3], 0 offset:824
	buffer_load_dword v108, off, s[0:3], 0 offset:804
	ds_read_b128 v[6:9], v1 offset:1456
	v_add_f64 v[99:100], v[99:100], 0
	v_add_f64 v[16:17], v[16:17], 0
	s_waitcnt vmcnt(58) lgkmcnt(1)
	v_mul_f64 v[115:116], v[2:3], v[22:23]
	v_mul_f64 v[22:23], v[4:5], v[22:23]
	s_waitcnt vmcnt(56)
	v_fma_f64 v[18:19], v[10:11], v[28:29], -v[18:19]
	v_fma_f64 v[28:29], v[12:13], v[28:29], v[110:111]
	v_add_f64 v[99:100], v[99:100], v[112:113]
	v_add_f64 v[14:15], v[16:17], v[14:15]
	s_clause 0x2
	buffer_load_dword v110, off, s[0:3], 0 offset:844
	buffer_load_dword v17, off, s[0:3], 0 offset:820
	;; [unrolled: 1-line block ×3, first 2 shown]
	s_waitcnt vmcnt(58) lgkmcnt(0)
	v_mul_f64 v[111:112], v[6:7], v[24:25]
	v_mul_f64 v[24:25], v[8:9], v[24:25]
	s_waitcnt vmcnt(56)
	v_fma_f64 v[22:23], v[2:3], v[30:31], -v[22:23]
	ds_read_b128 v[10:13], v1 offset:1472
	v_fma_f64 v[30:31], v[4:5], v[30:31], v[115:116]
	v_add_f64 v[18:19], v[99:100], v[18:19]
	v_add_f64 v[14:15], v[14:15], v[28:29]
	s_clause 0x4
	buffer_load_dword v29, off, s[0:3], 0 offset:860
	buffer_load_dword v99, off, s[0:3], 0 offset:872
	;; [unrolled: 1-line block ×5, first 2 shown]
	ds_read_b128 v[2:5], v1 offset:1488
	s_waitcnt vmcnt(57) lgkmcnt(1)
	v_mul_f64 v[117:118], v[10:11], v[32:33]
	v_mul_f64 v[32:33], v[12:13], v[32:33]
	s_waitcnt vmcnt(56)
	v_fma_f64 v[24:25], v[6:7], v[26:27], -v[24:25]
	v_add_f64 v[18:19], v[18:19], v[22:23]
	v_fma_f64 v[22:23], v[8:9], v[26:27], v[111:112]
	v_add_f64 v[14:15], v[14:15], v[30:31]
	s_clause 0x2
	buffer_load_dword v100, off, s[0:3], 0 offset:876
	buffer_load_dword v27, off, s[0:3], 0 offset:852
	;; [unrolled: 1-line block ×3, first 2 shown]
	s_waitcnt vmcnt(58) lgkmcnt(0)
	v_mul_f64 v[30:31], v[2:3], v[34:35]
	v_mul_f64 v[34:35], v[4:5], v[34:35]
	s_waitcnt vmcnt(56)
	v_fma_f64 v[32:33], v[10:11], v[38:39], -v[32:33]
	ds_read_b128 v[6:9], v1 offset:1504
	v_add_f64 v[18:19], v[18:19], v[24:25]
	v_fma_f64 v[24:25], v[12:13], v[38:39], v[117:118]
	v_add_f64 v[14:15], v[14:15], v[22:23]
	buffer_load_dword v117, off, s[0:3], 0 offset:868
	ds_read_b128 v[10:13], v1 offset:1520
	s_waitcnt vmcnt(53) lgkmcnt(1)
	v_mul_f64 v[38:39], v[8:9], v[40:41]
	s_waitcnt vmcnt(52)
	v_fma_f64 v[34:35], v[2:3], v[36:37], -v[34:35]
	v_mul_f64 v[22:23], v[6:7], v[40:41]
	v_fma_f64 v[30:31], v[4:5], v[36:37], v[30:31]
	ds_read_b128 v[2:5], v1 offset:1536
	v_add_f64 v[18:19], v[18:19], v[32:33]
	v_add_f64 v[14:15], v[14:15], v[24:25]
	s_waitcnt vmcnt(51) lgkmcnt(1)
	v_mul_f64 v[32:33], v[12:13], v[42:43]
	v_mul_f64 v[24:25], v[10:11], v[42:43]
	s_waitcnt vmcnt(49)
	v_fma_f64 v[36:37], v[6:7], v[65:66], -v[38:39]
	v_fma_f64 v[22:23], v[8:9], v[65:66], v[22:23]
	s_waitcnt vmcnt(45) lgkmcnt(0)
	v_mul_f64 v[40:41], v[4:5], v[67:68]
	v_mul_f64 v[38:39], v[2:3], v[67:68]
	v_add_f64 v[18:19], v[18:19], v[34:35]
	v_add_f64 v[14:15], v[14:15], v[30:31]
	s_clause 0x3
	buffer_load_dword v30, off, s[0:3], 0 offset:528
	buffer_load_dword v31, off, s[0:3], 0 offset:532
	;; [unrolled: 1-line block ×4, first 2 shown]
	s_waitcnt vmcnt(48)
	v_fma_f64 v[32:33], v[10:11], v[44:45], -v[32:33]
	ds_read_b128 v[6:9], v1 offset:1552
	v_fma_f64 v[24:25], v[12:13], v[44:45], v[24:25]
	ds_read_b128 v[10:13], v1 offset:1568
	s_waitcnt vmcnt(45)
	v_fma_f64 v[40:41], v[2:3], v[81:82], -v[40:41]
	v_add_f64 v[18:19], v[18:19], v[36:37]
	v_add_f64 v[14:15], v[14:15], v[22:23]
	s_waitcnt lgkmcnt(1)
	v_mul_f64 v[36:37], v[8:9], v[73:74]
	v_mul_f64 v[22:23], v[6:7], v[73:74]
	v_add_f64 v[18:19], v[18:19], v[32:33]
	v_fma_f64 v[32:33], v[4:5], v[81:82], v[38:39]
	v_add_f64 v[14:15], v[14:15], v[24:25]
	s_waitcnt vmcnt(41) lgkmcnt(0)
	v_mul_f64 v[38:39], v[12:13], v[83:84]
	s_waitcnt vmcnt(40)
	v_fma_f64 v[36:37], v[6:7], v[75:76], -v[36:37]
	ds_read_b128 v[2:5], v1 offset:1584
	v_mul_f64 v[24:25], v[10:11], v[83:84]
	v_fma_f64 v[22:23], v[8:9], v[75:76], v[22:23]
	ds_read_b128 v[6:9], v1 offset:1600
	v_add_f64 v[18:19], v[18:19], v[40:41]
	v_add_f64 v[14:15], v[14:15], v[32:33]
	s_waitcnt vmcnt(39) lgkmcnt(1)
	v_mul_f64 v[40:41], v[4:5], v[85:86]
	s_waitcnt vmcnt(37)
	v_fma_f64 v[38:39], v[10:11], v[89:90], -v[38:39]
	v_mul_f64 v[32:33], v[2:3], v[85:86]
	v_fma_f64 v[24:25], v[12:13], v[89:90], v[24:25]
	ds_read_b128 v[10:13], v1 offset:1616
	v_add_f64 v[18:19], v[18:19], v[36:37]
	s_waitcnt vmcnt(33) lgkmcnt(1)
	v_mul_f64 v[36:37], v[8:9], v[91:92]
	v_add_f64 v[14:15], v[14:15], v[22:23]
	s_waitcnt vmcnt(32)
	v_fma_f64 v[40:41], v[2:3], v[87:88], -v[40:41]
	v_mul_f64 v[22:23], v[6:7], v[91:92]
	v_fma_f64 v[32:33], v[4:5], v[87:88], v[32:33]
	ds_read_b128 v[2:5], v1 offset:1632
	v_add_f64 v[18:19], v[18:19], v[38:39]
	s_waitcnt vmcnt(31) lgkmcnt(1)
	v_mul_f64 v[38:39], v[12:13], v[93:94]
	v_add_f64 v[14:15], v[14:15], v[24:25]
	;; [unrolled: 9-line block ×3, first 2 shown]
	s_waitcnt vmcnt(24)
	v_fma_f64 v[38:39], v[10:11], v[95:96], -v[38:39]
	v_mul_f64 v[32:33], v[2:3], v[103:104]
	v_fma_f64 v[24:25], v[12:13], v[95:96], v[24:25]
	ds_read_b128 v[10:13], v1 offset:1664
	v_add_f64 v[18:19], v[18:19], v[36:37]
	v_add_f64 v[14:15], v[14:15], v[22:23]
	s_waitcnt vmcnt(23) lgkmcnt(1)
	v_mul_f64 v[36:37], v[8:9], v[105:106]
	v_mul_f64 v[22:23], v[6:7], v[105:106]
	s_waitcnt vmcnt(21)
	v_fma_f64 v[40:41], v[2:3], v[101:102], -v[40:41]
	v_fma_f64 v[32:33], v[4:5], v[101:102], v[32:33]
	ds_read_b128 v[2:5], v1 offset:1680
	v_add_f64 v[18:19], v[18:19], v[38:39]
	v_add_f64 v[14:15], v[14:15], v[24:25]
	s_waitcnt vmcnt(17) lgkmcnt(1)
	v_mul_f64 v[24:25], v[10:11], v[20:21]
	v_mul_f64 v[20:21], v[12:13], v[20:21]
	s_waitcnt vmcnt(16)
	v_fma_f64 v[36:37], v[6:7], v[107:108], -v[36:37]
	;; [unrolled: 9-line block ×3, first 2 shown]
	v_fma_f64 v[16:17], v[12:13], v[16:17], v[24:25]
	ds_read_b128 v[10:13], v1 offset:1712
	v_add_f64 v[18:19], v[18:19], v[36:37]
	v_add_f64 v[14:15], v[14:15], v[22:23]
	s_waitcnt vmcnt(9) lgkmcnt(1)
	v_mul_f64 v[24:25], v[8:9], v[28:29]
	s_waitcnt vmcnt(8)
	v_fma_f64 v[2:3], v[2:3], v[114:115], -v[38:39]
	v_mul_f64 v[22:23], v[6:7], v[28:29]
	v_fma_f64 v[4:5], v[4:5], v[114:115], v[32:33]
	v_add_f64 v[18:19], v[18:19], v[20:21]
	v_add_f64 v[14:15], v[14:15], v[16:17]
	s_waitcnt vmcnt(7) lgkmcnt(0)
	v_mul_f64 v[20:21], v[12:13], v[99:100]
	v_mul_f64 v[16:17], v[10:11], v[99:100]
	s_waitcnt vmcnt(5)
	v_fma_f64 v[6:7], v[6:7], v[26:27], -v[24:25]
	v_fma_f64 v[8:9], v[8:9], v[26:27], v[22:23]
	v_add_f64 v[2:3], v[18:19], v[2:3]
	v_add_f64 v[4:5], v[14:15], v[4:5]
	s_waitcnt vmcnt(4)
	v_fma_f64 v[10:11], v[10:11], v[116:117], -v[20:21]
	v_add_f64 v[2:3], v[2:3], v[6:7]
	v_fma_f64 v[6:7], v[12:13], v[116:117], v[16:17]
	v_add_f64 v[4:5], v[4:5], v[8:9]
	v_add_f64 v[2:3], v[2:3], v[10:11]
	v_add_f64 v[4:5], v[4:5], v[6:7]
	s_waitcnt vmcnt(2)
	v_add_f64 v[2:3], v[30:31], -v[2:3]
	s_waitcnt vmcnt(0)
	v_add_f64 v[4:5], v[34:35], -v[4:5]
	buffer_store_dword v3, off, s[0:3], 0 offset:532
	buffer_store_dword v2, off, s[0:3], 0 offset:528
	;; [unrolled: 1-line block ×4, first 2 shown]
	v_cmpx_lt_u32_e32 31, v0
	s_cbranch_execz .LBB53_275
; %bb.274:
	v_mov_b32_e32 v5, s35
	s_clause 0x3
	buffer_load_dword v2, v5, s[0:3], 0 offen
	buffer_load_dword v3, v5, s[0:3], 0 offen offset:4
	buffer_load_dword v4, v5, s[0:3], 0 offen offset:8
	;; [unrolled: 1-line block ×3, first 2 shown]
	buffer_store_dword v1, off, s[0:3], 0 offset:512
	buffer_store_dword v1, off, s[0:3], 0 offset:516
	;; [unrolled: 1-line block ×4, first 2 shown]
	s_waitcnt vmcnt(0)
	ds_write_b128 v47, v[2:5]
.LBB53_275:
	s_or_b32 exec_lo, exec_lo, s4
	s_waitcnt lgkmcnt(0)
	s_waitcnt_vscnt null, 0x0
	s_barrier
	buffer_gl0_inv
	s_clause 0x37
	buffer_load_dword v10, off, s[0:3], 0 offset:536
	buffer_load_dword v11, off, s[0:3], 0 offset:540
	buffer_load_dword v14, off, s[0:3], 0 offset:552
	buffer_load_dword v15, off, s[0:3], 0 offset:556
	buffer_load_dword v16, off, s[0:3], 0 offset:528
	buffer_load_dword v17, off, s[0:3], 0 offset:532
	buffer_load_dword v18, off, s[0:3], 0 offset:568
	buffer_load_dword v19, off, s[0:3], 0 offset:572
	buffer_load_dword v20, off, s[0:3], 0 offset:544
	buffer_load_dword v21, off, s[0:3], 0 offset:548
	buffer_load_dword v23, off, s[0:3], 0 offset:588
	buffer_load_dword v24, off, s[0:3], 0 offset:600
	buffer_load_dword v26, off, s[0:3], 0 offset:592
	buffer_load_dword v22, off, s[0:3], 0 offset:584
	buffer_load_dword v28, off, s[0:3], 0 offset:560
	buffer_load_dword v29, off, s[0:3], 0 offset:564
	buffer_load_dword v25, off, s[0:3], 0 offset:604
	buffer_load_dword v31, off, s[0:3], 0 offset:580
	buffer_load_dword v30, off, s[0:3], 0 offset:576
	buffer_load_dword v33, off, s[0:3], 0 offset:620
	buffer_load_dword v34, off, s[0:3], 0 offset:632
	buffer_load_dword v36, off, s[0:3], 0 offset:624
	buffer_load_dword v32, off, s[0:3], 0 offset:616
	buffer_load_dword v27, off, s[0:3], 0 offset:596
	buffer_load_dword v35, off, s[0:3], 0 offset:636
	buffer_load_dword v39, off, s[0:3], 0 offset:612
	buffer_load_dword v38, off, s[0:3], 0 offset:608
	buffer_load_dword v41, off, s[0:3], 0 offset:652
	buffer_load_dword v42, off, s[0:3], 0 offset:664
	buffer_load_dword v44, off, s[0:3], 0 offset:656
	buffer_load_dword v40, off, s[0:3], 0 offset:648
	buffer_load_dword v37, off, s[0:3], 0 offset:628
	buffer_load_dword v43, off, s[0:3], 0 offset:668
	buffer_load_dword v66, off, s[0:3], 0 offset:644
	buffer_load_dword v65, off, s[0:3], 0 offset:640
	buffer_load_dword v68, off, s[0:3], 0 offset:684
	buffer_load_dword v73, off, s[0:3], 0 offset:696
	buffer_load_dword v75, off, s[0:3], 0 offset:688
	buffer_load_dword v67, off, s[0:3], 0 offset:680
	buffer_load_dword v45, off, s[0:3], 0 offset:660
	buffer_load_dword v74, off, s[0:3], 0 offset:700
	buffer_load_dword v82, off, s[0:3], 0 offset:676
	buffer_load_dword v81, off, s[0:3], 0 offset:672
	buffer_load_dword v84, off, s[0:3], 0 offset:716
	buffer_load_dword v85, off, s[0:3], 0 offset:728
	buffer_load_dword v87, off, s[0:3], 0 offset:720
	buffer_load_dword v83, off, s[0:3], 0 offset:712
	buffer_load_dword v76, off, s[0:3], 0 offset:692
	buffer_load_dword v86, off, s[0:3], 0 offset:732
	buffer_load_dword v90, off, s[0:3], 0 offset:708
	buffer_load_dword v89, off, s[0:3], 0 offset:704
	buffer_load_dword v92, off, s[0:3], 0 offset:748
	buffer_load_dword v93, off, s[0:3], 0 offset:760
	buffer_load_dword v95, off, s[0:3], 0 offset:752
	buffer_load_dword v91, off, s[0:3], 0 offset:744
	buffer_load_dword v88, off, s[0:3], 0 offset:724
	ds_read_b128 v[2:5], v1 offset:1376
	s_clause 0x2
	buffer_load_dword v94, off, s[0:3], 0 offset:764
	buffer_load_dword v98, off, s[0:3], 0 offset:740
	;; [unrolled: 1-line block ×3, first 2 shown]
	ds_read_b128 v[6:9], v1 offset:1392
	s_clause 0x4
	buffer_load_dword v104, off, s[0:3], 0 offset:780
	buffer_load_dword v105, off, s[0:3], 0 offset:792
	;; [unrolled: 1-line block ×5, first 2 shown]
	s_mov_b32 s4, exec_lo
	s_waitcnt vmcnt(62) lgkmcnt(1)
	v_mul_f64 v[99:100], v[4:5], v[10:11]
	v_mul_f64 v[101:102], v[2:3], v[10:11]
	s_waitcnt vmcnt(60) lgkmcnt(0)
	v_mul_f64 v[108:109], v[8:9], v[14:15]
	ds_read_b128 v[10:13], v1 offset:1408
	v_mul_f64 v[14:15], v[6:7], v[14:15]
	s_waitcnt vmcnt(58)
	v_fma_f64 v[99:100], v[2:3], v[16:17], -v[99:100]
	v_fma_f64 v[16:17], v[4:5], v[16:17], v[101:102]
	s_clause 0x2
	buffer_load_dword v106, off, s[0:3], 0 offset:796
	buffer_load_dword v102, off, s[0:3], 0 offset:772
	;; [unrolled: 1-line block ×3, first 2 shown]
	s_waitcnt vmcnt(59) lgkmcnt(0)
	v_mul_f64 v[110:111], v[10:11], v[18:19]
	v_mul_f64 v[18:19], v[12:13], v[18:19]
	s_waitcnt vmcnt(57)
	v_fma_f64 v[112:113], v[6:7], v[20:21], -v[108:109]
	ds_read_b128 v[2:5], v1 offset:1424
	v_fma_f64 v[14:15], v[8:9], v[20:21], v[14:15]
	s_clause 0x4
	buffer_load_dword v21, off, s[0:3], 0 offset:812
	buffer_load_dword v109, off, s[0:3], 0 offset:824
	;; [unrolled: 1-line block ×5, first 2 shown]
	ds_read_b128 v[6:9], v1 offset:1440
	v_add_f64 v[99:100], v[99:100], 0
	v_add_f64 v[16:17], v[16:17], 0
	s_waitcnt vmcnt(58) lgkmcnt(1)
	v_mul_f64 v[115:116], v[2:3], v[22:23]
	v_mul_f64 v[22:23], v[4:5], v[22:23]
	s_waitcnt vmcnt(56)
	v_fma_f64 v[18:19], v[10:11], v[28:29], -v[18:19]
	v_fma_f64 v[28:29], v[12:13], v[28:29], v[110:111]
	v_add_f64 v[99:100], v[99:100], v[112:113]
	v_add_f64 v[14:15], v[16:17], v[14:15]
	s_clause 0x2
	buffer_load_dword v110, off, s[0:3], 0 offset:828
	buffer_load_dword v17, off, s[0:3], 0 offset:804
	;; [unrolled: 1-line block ×3, first 2 shown]
	s_waitcnt vmcnt(58) lgkmcnt(0)
	v_mul_f64 v[111:112], v[6:7], v[24:25]
	v_mul_f64 v[24:25], v[8:9], v[24:25]
	s_waitcnt vmcnt(56)
	v_fma_f64 v[22:23], v[2:3], v[30:31], -v[22:23]
	ds_read_b128 v[10:13], v1 offset:1456
	v_fma_f64 v[30:31], v[4:5], v[30:31], v[115:116]
	v_add_f64 v[18:19], v[99:100], v[18:19]
	v_add_f64 v[14:15], v[14:15], v[28:29]
	s_clause 0x4
	buffer_load_dword v29, off, s[0:3], 0 offset:844
	buffer_load_dword v99, off, s[0:3], 0 offset:856
	;; [unrolled: 1-line block ×5, first 2 shown]
	ds_read_b128 v[2:5], v1 offset:1472
	s_waitcnt vmcnt(57) lgkmcnt(1)
	v_mul_f64 v[117:118], v[10:11], v[32:33]
	v_mul_f64 v[32:33], v[12:13], v[32:33]
	s_waitcnt vmcnt(56)
	v_fma_f64 v[24:25], v[6:7], v[26:27], -v[24:25]
	v_add_f64 v[18:19], v[18:19], v[22:23]
	v_fma_f64 v[22:23], v[8:9], v[26:27], v[111:112]
	v_add_f64 v[14:15], v[14:15], v[30:31]
	s_clause 0x2
	buffer_load_dword v100, off, s[0:3], 0 offset:860
	buffer_load_dword v27, off, s[0:3], 0 offset:836
	;; [unrolled: 1-line block ×3, first 2 shown]
	s_waitcnt vmcnt(58) lgkmcnt(0)
	v_mul_f64 v[30:31], v[2:3], v[34:35]
	v_mul_f64 v[34:35], v[4:5], v[34:35]
	s_waitcnt vmcnt(56)
	v_fma_f64 v[32:33], v[10:11], v[38:39], -v[32:33]
	ds_read_b128 v[6:9], v1 offset:1488
	v_add_f64 v[18:19], v[18:19], v[24:25]
	v_fma_f64 v[24:25], v[12:13], v[38:39], v[117:118]
	v_add_f64 v[14:15], v[14:15], v[22:23]
	s_clause 0x2
	buffer_load_dword v23, off, s[0:3], 0 offset:876
	buffer_load_dword v22, off, s[0:3], 0 offset:872
	;; [unrolled: 1-line block ×3, first 2 shown]
	ds_read_b128 v[10:13], v1 offset:1504
	s_waitcnt vmcnt(55) lgkmcnt(1)
	v_mul_f64 v[38:39], v[6:7], v[40:41]
	v_mul_f64 v[40:41], v[8:9], v[40:41]
	s_waitcnt vmcnt(54)
	v_fma_f64 v[34:35], v[2:3], v[36:37], -v[34:35]
	v_fma_f64 v[30:31], v[4:5], v[36:37], v[30:31]
	v_add_f64 v[18:19], v[18:19], v[32:33]
	v_add_f64 v[14:15], v[14:15], v[24:25]
	s_clause 0x1
	buffer_load_dword v25, off, s[0:3], 0 offset:868
	buffer_load_dword v24, off, s[0:3], 0 offset:864
	s_waitcnt vmcnt(55) lgkmcnt(0)
	v_mul_f64 v[36:37], v[12:13], v[42:43]
	ds_read_b128 v[2:5], v1 offset:1520
	s_waitcnt vmcnt(53)
	v_fma_f64 v[40:41], v[6:7], v[65:66], -v[40:41]
	v_mul_f64 v[32:33], v[10:11], v[42:43]
	v_add_f64 v[18:19], v[18:19], v[34:35]
	v_fma_f64 v[34:35], v[8:9], v[65:66], v[38:39]
	v_add_f64 v[14:15], v[14:15], v[30:31]
	ds_read_b128 v[6:9], v1 offset:1536
	s_waitcnt vmcnt(49) lgkmcnt(1)
	v_mul_f64 v[38:39], v[4:5], v[67:68]
	s_waitcnt vmcnt(48)
	v_fma_f64 v[36:37], v[10:11], v[44:45], -v[36:37]
	v_mul_f64 v[30:31], v[2:3], v[67:68]
	v_fma_f64 v[32:33], v[12:13], v[44:45], v[32:33]
	v_add_f64 v[18:19], v[18:19], v[40:41]
	s_waitcnt vmcnt(47) lgkmcnt(0)
	v_mul_f64 v[44:45], v[8:9], v[73:74]
	v_add_f64 v[14:15], v[14:15], v[34:35]
	s_clause 0x3
	buffer_load_dword v34, off, s[0:3], 0 offset:512
	buffer_load_dword v35, off, s[0:3], 0 offset:516
	;; [unrolled: 1-line block ×4, first 2 shown]
	s_waitcnt vmcnt(49)
	v_fma_f64 v[38:39], v[2:3], v[81:82], -v[38:39]
	ds_read_b128 v[10:13], v1 offset:1552
	v_mul_f64 v[42:43], v[6:7], v[73:74]
	v_fma_f64 v[30:31], v[4:5], v[81:82], v[30:31]
	ds_read_b128 v[2:5], v1 offset:1568
	v_add_f64 v[18:19], v[18:19], v[36:37]
	s_waitcnt vmcnt(44)
	v_fma_f64 v[44:45], v[6:7], v[75:76], -v[44:45]
	v_add_f64 v[14:15], v[14:15], v[32:33]
	s_waitcnt lgkmcnt(1)
	v_mul_f64 v[36:37], v[12:13], v[83:84]
	v_mul_f64 v[32:33], v[10:11], v[83:84]
	v_add_f64 v[18:19], v[18:19], v[38:39]
	v_fma_f64 v[38:39], v[8:9], v[75:76], v[42:43]
	v_add_f64 v[14:15], v[14:15], v[30:31]
	s_waitcnt vmcnt(43) lgkmcnt(0)
	v_mul_f64 v[42:43], v[4:5], v[85:86]
	s_waitcnt vmcnt(41)
	v_fma_f64 v[36:37], v[10:11], v[89:90], -v[36:37]
	ds_read_b128 v[6:9], v1 offset:1584
	v_mul_f64 v[30:31], v[2:3], v[85:86]
	v_fma_f64 v[32:33], v[12:13], v[89:90], v[32:33]
	ds_read_b128 v[10:13], v1 offset:1600
	v_add_f64 v[18:19], v[18:19], v[44:45]
	v_add_f64 v[14:15], v[14:15], v[38:39]
	s_waitcnt vmcnt(37) lgkmcnt(1)
	v_mul_f64 v[44:45], v[8:9], v[91:92]
	s_waitcnt vmcnt(36)
	v_fma_f64 v[42:43], v[2:3], v[87:88], -v[42:43]
	v_mul_f64 v[38:39], v[6:7], v[91:92]
	v_fma_f64 v[30:31], v[4:5], v[87:88], v[30:31]
	ds_read_b128 v[2:5], v1 offset:1616
	v_add_f64 v[18:19], v[18:19], v[36:37]
	s_waitcnt vmcnt(35) lgkmcnt(1)
	v_mul_f64 v[36:37], v[12:13], v[93:94]
	v_add_f64 v[14:15], v[14:15], v[32:33]
	s_waitcnt vmcnt(33)
	v_fma_f64 v[44:45], v[6:7], v[97:98], -v[44:45]
	v_mul_f64 v[32:33], v[10:11], v[93:94]
	v_fma_f64 v[38:39], v[8:9], v[97:98], v[38:39]
	ds_read_b128 v[6:9], v1 offset:1632
	v_add_f64 v[18:19], v[18:19], v[42:43]
	s_waitcnt vmcnt(29) lgkmcnt(1)
	v_mul_f64 v[42:43], v[4:5], v[103:104]
	v_add_f64 v[14:15], v[14:15], v[30:31]
	s_waitcnt vmcnt(28)
	v_fma_f64 v[36:37], v[10:11], v[95:96], -v[36:37]
	v_mul_f64 v[30:31], v[2:3], v[103:104]
	v_fma_f64 v[32:33], v[12:13], v[95:96], v[32:33]
	ds_read_b128 v[10:13], v1 offset:1648
	v_add_f64 v[18:19], v[18:19], v[44:45]
	v_add_f64 v[14:15], v[14:15], v[38:39]
	s_waitcnt vmcnt(27) lgkmcnt(1)
	v_mul_f64 v[44:45], v[8:9], v[105:106]
	v_mul_f64 v[38:39], v[6:7], v[105:106]
	s_waitcnt vmcnt(25)
	v_fma_f64 v[42:43], v[2:3], v[101:102], -v[42:43]
	v_fma_f64 v[30:31], v[4:5], v[101:102], v[30:31]
	ds_read_b128 v[2:5], v1 offset:1664
	v_add_f64 v[18:19], v[18:19], v[36:37]
	v_add_f64 v[14:15], v[14:15], v[32:33]
	s_waitcnt vmcnt(21) lgkmcnt(1)
	v_mul_f64 v[32:33], v[10:11], v[20:21]
	v_mul_f64 v[20:21], v[12:13], v[20:21]
	s_waitcnt vmcnt(20)
	v_fma_f64 v[36:37], v[6:7], v[107:108], -v[44:45]
	;; [unrolled: 9-line block ×4, first 2 shown]
	v_add_f64 v[18:19], v[18:19], v[20:21]
	v_fma_f64 v[20:21], v[4:5], v[114:115], v[30:31]
	v_add_f64 v[14:15], v[14:15], v[16:17]
	ds_read_b128 v[1:4], v1 offset:1712
	s_waitcnt vmcnt(11) lgkmcnt(1)
	v_mul_f64 v[30:31], v[12:13], v[99:100]
	v_mul_f64 v[16:17], v[10:11], v[99:100]
	s_waitcnt vmcnt(9)
	v_fma_f64 v[5:6], v[6:7], v[26:27], -v[28:29]
	v_fma_f64 v[7:8], v[8:9], v[26:27], v[32:33]
	v_add_f64 v[18:19], v[18:19], v[36:37]
	v_add_f64 v[14:15], v[14:15], v[20:21]
	s_waitcnt vmcnt(7) lgkmcnt(0)
	v_mul_f64 v[20:21], v[1:2], v[22:23]
	v_mul_f64 v[22:23], v[3:4], v[22:23]
	s_waitcnt vmcnt(6)
	v_fma_f64 v[9:10], v[10:11], v[116:117], -v[30:31]
	v_fma_f64 v[11:12], v[12:13], v[116:117], v[16:17]
	v_add_f64 v[5:6], v[18:19], v[5:6]
	v_add_f64 v[7:8], v[14:15], v[7:8]
	s_waitcnt vmcnt(4)
	v_fma_f64 v[1:2], v[1:2], v[24:25], -v[22:23]
	v_fma_f64 v[3:4], v[3:4], v[24:25], v[20:21]
	v_add_f64 v[5:6], v[5:6], v[9:10]
	v_add_f64 v[7:8], v[7:8], v[11:12]
	v_add_f64 v[1:2], v[5:6], v[1:2]
	v_add_f64 v[3:4], v[7:8], v[3:4]
	s_waitcnt vmcnt(2)
	v_add_f64 v[1:2], v[34:35], -v[1:2]
	s_waitcnt vmcnt(0)
	v_add_f64 v[3:4], v[40:41], -v[3:4]
	buffer_store_dword v2, off, s[0:3], 0 offset:516
	buffer_store_dword v1, off, s[0:3], 0 offset:512
	;; [unrolled: 1-line block ×4, first 2 shown]
	v_cmpx_lt_u32_e32 30, v0
	s_cbranch_execz .LBB53_277
; %bb.276:
	v_mov_b32_e32 v4, s36
	v_mov_b32_e32 v5, 0
	s_clause 0x3
	buffer_load_dword v1, v4, s[0:3], 0 offen
	buffer_load_dword v2, v4, s[0:3], 0 offen offset:4
	buffer_load_dword v3, v4, s[0:3], 0 offen offset:8
	;; [unrolled: 1-line block ×3, first 2 shown]
	buffer_store_dword v5, off, s[0:3], 0 offset:496
	buffer_store_dword v5, off, s[0:3], 0 offset:500
	;; [unrolled: 1-line block ×4, first 2 shown]
	s_waitcnt vmcnt(0)
	ds_write_b128 v47, v[1:4]
.LBB53_277:
	s_or_b32 exec_lo, exec_lo, s4
	s_waitcnt lgkmcnt(0)
	s_waitcnt_vscnt null, 0x0
	s_barrier
	buffer_gl0_inv
	s_clause 0x37
	buffer_load_dword v10, off, s[0:3], 0 offset:520
	buffer_load_dword v11, off, s[0:3], 0 offset:524
	;; [unrolled: 1-line block ×56, first 2 shown]
	v_mov_b32_e32 v1, 0
	s_mov_b32 s4, exec_lo
	ds_read_b128 v[2:5], v1 offset:1360
	s_clause 0x2
	buffer_load_dword v94, off, s[0:3], 0 offset:748
	buffer_load_dword v98, off, s[0:3], 0 offset:724
	;; [unrolled: 1-line block ×3, first 2 shown]
	ds_read_b128 v[6:9], v1 offset:1376
	s_clause 0x4
	buffer_load_dword v104, off, s[0:3], 0 offset:764
	buffer_load_dword v105, off, s[0:3], 0 offset:776
	;; [unrolled: 1-line block ×5, first 2 shown]
	s_waitcnt vmcnt(62) lgkmcnt(1)
	v_mul_f64 v[99:100], v[4:5], v[10:11]
	v_mul_f64 v[101:102], v[2:3], v[10:11]
	s_waitcnt vmcnt(60) lgkmcnt(0)
	v_mul_f64 v[108:109], v[8:9], v[14:15]
	ds_read_b128 v[10:13], v1 offset:1392
	v_mul_f64 v[14:15], v[6:7], v[14:15]
	s_waitcnt vmcnt(58)
	v_fma_f64 v[99:100], v[2:3], v[16:17], -v[99:100]
	v_fma_f64 v[16:17], v[4:5], v[16:17], v[101:102]
	s_clause 0x2
	buffer_load_dword v106, off, s[0:3], 0 offset:780
	buffer_load_dword v102, off, s[0:3], 0 offset:756
	buffer_load_dword v101, off, s[0:3], 0 offset:752
	s_waitcnt vmcnt(59) lgkmcnt(0)
	v_mul_f64 v[110:111], v[10:11], v[18:19]
	v_mul_f64 v[18:19], v[12:13], v[18:19]
	s_waitcnt vmcnt(57)
	v_fma_f64 v[112:113], v[6:7], v[20:21], -v[108:109]
	ds_read_b128 v[2:5], v1 offset:1408
	v_fma_f64 v[14:15], v[8:9], v[20:21], v[14:15]
	s_clause 0x4
	buffer_load_dword v21, off, s[0:3], 0 offset:796
	buffer_load_dword v109, off, s[0:3], 0 offset:808
	;; [unrolled: 1-line block ×5, first 2 shown]
	ds_read_b128 v[6:9], v1 offset:1424
	v_add_f64 v[99:100], v[99:100], 0
	v_add_f64 v[16:17], v[16:17], 0
	s_waitcnt vmcnt(58) lgkmcnt(1)
	v_mul_f64 v[115:116], v[2:3], v[22:23]
	v_mul_f64 v[22:23], v[4:5], v[22:23]
	s_waitcnt vmcnt(56)
	v_fma_f64 v[18:19], v[10:11], v[28:29], -v[18:19]
	v_fma_f64 v[28:29], v[12:13], v[28:29], v[110:111]
	v_add_f64 v[99:100], v[99:100], v[112:113]
	v_add_f64 v[14:15], v[16:17], v[14:15]
	s_clause 0x2
	buffer_load_dword v110, off, s[0:3], 0 offset:812
	buffer_load_dword v17, off, s[0:3], 0 offset:788
	;; [unrolled: 1-line block ×3, first 2 shown]
	s_waitcnt vmcnt(58) lgkmcnt(0)
	v_mul_f64 v[111:112], v[6:7], v[24:25]
	v_mul_f64 v[24:25], v[8:9], v[24:25]
	s_waitcnt vmcnt(56)
	v_fma_f64 v[22:23], v[2:3], v[30:31], -v[22:23]
	ds_read_b128 v[10:13], v1 offset:1440
	v_fma_f64 v[30:31], v[4:5], v[30:31], v[115:116]
	v_add_f64 v[18:19], v[99:100], v[18:19]
	v_add_f64 v[14:15], v[14:15], v[28:29]
	s_clause 0x4
	buffer_load_dword v29, off, s[0:3], 0 offset:828
	buffer_load_dword v99, off, s[0:3], 0 offset:840
	;; [unrolled: 1-line block ×5, first 2 shown]
	ds_read_b128 v[2:5], v1 offset:1456
	s_waitcnt vmcnt(57) lgkmcnt(1)
	v_mul_f64 v[117:118], v[10:11], v[32:33]
	v_mul_f64 v[32:33], v[12:13], v[32:33]
	s_waitcnt vmcnt(56)
	v_fma_f64 v[24:25], v[6:7], v[26:27], -v[24:25]
	v_add_f64 v[18:19], v[18:19], v[22:23]
	v_fma_f64 v[22:23], v[8:9], v[26:27], v[111:112]
	v_add_f64 v[14:15], v[14:15], v[30:31]
	s_clause 0x2
	buffer_load_dword v100, off, s[0:3], 0 offset:844
	buffer_load_dword v27, off, s[0:3], 0 offset:820
	;; [unrolled: 1-line block ×3, first 2 shown]
	s_waitcnt vmcnt(58) lgkmcnt(0)
	v_mul_f64 v[30:31], v[2:3], v[34:35]
	v_mul_f64 v[34:35], v[4:5], v[34:35]
	s_waitcnt vmcnt(56)
	v_fma_f64 v[32:33], v[10:11], v[38:39], -v[32:33]
	ds_read_b128 v[6:9], v1 offset:1472
	v_add_f64 v[18:19], v[18:19], v[24:25]
	v_fma_f64 v[24:25], v[12:13], v[38:39], v[117:118]
	v_add_f64 v[14:15], v[14:15], v[22:23]
	s_clause 0x4
	buffer_load_dword v23, off, s[0:3], 0 offset:860
	buffer_load_dword v38, off, s[0:3], 0 offset:872
	;; [unrolled: 1-line block ×5, first 2 shown]
	ds_read_b128 v[10:13], v1 offset:1488
	s_waitcnt vmcnt(57) lgkmcnt(1)
	v_mul_f64 v[112:113], v[6:7], v[40:41]
	v_mul_f64 v[40:41], v[8:9], v[40:41]
	s_waitcnt vmcnt(56)
	v_fma_f64 v[34:35], v[2:3], v[36:37], -v[34:35]
	v_fma_f64 v[30:31], v[4:5], v[36:37], v[30:31]
	v_add_f64 v[18:19], v[18:19], v[32:33]
	v_add_f64 v[14:15], v[14:15], v[24:25]
	s_clause 0x2
	buffer_load_dword v39, off, s[0:3], 0 offset:876
	buffer_load_dword v25, off, s[0:3], 0 offset:852
	;; [unrolled: 1-line block ×3, first 2 shown]
	s_waitcnt vmcnt(58) lgkmcnt(0)
	v_mul_f64 v[36:37], v[12:13], v[42:43]
	ds_read_b128 v[2:5], v1 offset:1504
	s_waitcnt vmcnt(56)
	v_fma_f64 v[40:41], v[6:7], v[65:66], -v[40:41]
	v_mul_f64 v[32:33], v[10:11], v[42:43]
	v_add_f64 v[18:19], v[18:19], v[34:35]
	v_fma_f64 v[34:35], v[8:9], v[65:66], v[112:113]
	v_add_f64 v[14:15], v[14:15], v[30:31]
	buffer_load_dword v112, off, s[0:3], 0 offset:868
	ds_read_b128 v[6:9], v1 offset:1520
	s_waitcnt vmcnt(53) lgkmcnt(1)
	v_mul_f64 v[42:43], v[4:5], v[67:68]
	s_waitcnt vmcnt(52)
	v_fma_f64 v[36:37], v[10:11], v[44:45], -v[36:37]
	v_mul_f64 v[30:31], v[2:3], v[67:68]
	v_fma_f64 v[32:33], v[12:13], v[44:45], v[32:33]
	ds_read_b128 v[10:13], v1 offset:1536
	v_add_f64 v[18:19], v[18:19], v[40:41]
	v_add_f64 v[14:15], v[14:15], v[34:35]
	s_waitcnt vmcnt(51) lgkmcnt(1)
	v_mul_f64 v[40:41], v[8:9], v[73:74]
	v_mul_f64 v[34:35], v[6:7], v[73:74]
	s_waitcnt vmcnt(49)
	v_fma_f64 v[42:43], v[2:3], v[81:82], -v[42:43]
	v_fma_f64 v[30:31], v[4:5], v[81:82], v[30:31]
	s_waitcnt vmcnt(45) lgkmcnt(0)
	v_mul_f64 v[65:66], v[12:13], v[83:84]
	v_mul_f64 v[44:45], v[10:11], v[83:84]
	v_add_f64 v[18:19], v[18:19], v[36:37]
	v_add_f64 v[14:15], v[14:15], v[32:33]
	s_clause 0x3
	buffer_load_dword v32, off, s[0:3], 0 offset:496
	buffer_load_dword v33, off, s[0:3], 0 offset:500
	;; [unrolled: 1-line block ×4, first 2 shown]
	s_waitcnt vmcnt(48)
	v_fma_f64 v[40:41], v[6:7], v[75:76], -v[40:41]
	ds_read_b128 v[2:5], v1 offset:1552
	v_fma_f64 v[34:35], v[8:9], v[75:76], v[34:35]
	ds_read_b128 v[6:9], v1 offset:1568
	s_waitcnt vmcnt(45)
	v_fma_f64 v[65:66], v[10:11], v[89:90], -v[65:66]
	v_add_f64 v[18:19], v[18:19], v[42:43]
	v_add_f64 v[14:15], v[14:15], v[30:31]
	s_waitcnt lgkmcnt(1)
	v_mul_f64 v[42:43], v[4:5], v[85:86]
	v_mul_f64 v[30:31], v[2:3], v[85:86]
	v_add_f64 v[18:19], v[18:19], v[40:41]
	v_fma_f64 v[40:41], v[12:13], v[89:90], v[44:45]
	v_add_f64 v[14:15], v[14:15], v[34:35]
	s_waitcnt vmcnt(41) lgkmcnt(0)
	v_mul_f64 v[44:45], v[8:9], v[91:92]
	s_waitcnt vmcnt(40)
	v_fma_f64 v[42:43], v[2:3], v[87:88], -v[42:43]
	ds_read_b128 v[10:13], v1 offset:1584
	v_mul_f64 v[34:35], v[6:7], v[91:92]
	v_fma_f64 v[30:31], v[4:5], v[87:88], v[30:31]
	ds_read_b128 v[2:5], v1 offset:1600
	v_add_f64 v[18:19], v[18:19], v[65:66]
	v_add_f64 v[14:15], v[14:15], v[40:41]
	s_waitcnt vmcnt(39) lgkmcnt(1)
	v_mul_f64 v[65:66], v[12:13], v[93:94]
	s_waitcnt vmcnt(37)
	v_fma_f64 v[44:45], v[6:7], v[97:98], -v[44:45]
	v_mul_f64 v[40:41], v[10:11], v[93:94]
	v_fma_f64 v[34:35], v[8:9], v[97:98], v[34:35]
	ds_read_b128 v[6:9], v1 offset:1616
	v_add_f64 v[18:19], v[18:19], v[42:43]
	s_waitcnt vmcnt(33) lgkmcnt(1)
	v_mul_f64 v[42:43], v[4:5], v[103:104]
	v_add_f64 v[14:15], v[14:15], v[30:31]
	s_waitcnt vmcnt(32)
	v_fma_f64 v[65:66], v[10:11], v[95:96], -v[65:66]
	v_mul_f64 v[30:31], v[2:3], v[103:104]
	v_fma_f64 v[40:41], v[12:13], v[95:96], v[40:41]
	ds_read_b128 v[10:13], v1 offset:1632
	v_add_f64 v[18:19], v[18:19], v[44:45]
	v_add_f64 v[14:15], v[14:15], v[34:35]
	s_waitcnt vmcnt(31) lgkmcnt(1)
	v_mul_f64 v[44:45], v[8:9], v[105:106]
	v_mul_f64 v[34:35], v[6:7], v[105:106]
	s_waitcnt vmcnt(29)
	v_fma_f64 v[42:43], v[2:3], v[101:102], -v[42:43]
	v_fma_f64 v[30:31], v[4:5], v[101:102], v[30:31]
	ds_read_b128 v[2:5], v1 offset:1648
	v_add_f64 v[18:19], v[18:19], v[65:66]
	v_add_f64 v[14:15], v[14:15], v[40:41]
	s_waitcnt vmcnt(25) lgkmcnt(1)
	v_mul_f64 v[40:41], v[10:11], v[20:21]
	v_mul_f64 v[20:21], v[12:13], v[20:21]
	s_waitcnt vmcnt(24)
	v_fma_f64 v[44:45], v[6:7], v[107:108], -v[44:45]
	v_fma_f64 v[34:35], v[8:9], v[107:108], v[34:35]
	ds_read_b128 v[6:9], v1 offset:1664
	v_add_f64 v[18:19], v[18:19], v[42:43]
	v_add_f64 v[14:15], v[14:15], v[30:31]
	s_waitcnt vmcnt(23) lgkmcnt(1)
	v_mul_f64 v[42:43], v[4:5], v[109:110]
	v_mul_f64 v[30:31], v[2:3], v[109:110]
	s_waitcnt vmcnt(21)
	v_fma_f64 v[20:21], v[10:11], v[16:17], -v[20:21]
	v_fma_f64 v[16:17], v[12:13], v[16:17], v[40:41]
	ds_read_b128 v[10:13], v1 offset:1680
	v_add_f64 v[18:19], v[18:19], v[44:45]
	v_add_f64 v[14:15], v[14:15], v[34:35]
	s_waitcnt vmcnt(17) lgkmcnt(1)
	v_mul_f64 v[34:35], v[6:7], v[28:29]
	v_mul_f64 v[28:29], v[8:9], v[28:29]
	s_waitcnt vmcnt(16)
	v_fma_f64 v[40:41], v[2:3], v[114:115], -v[42:43]
	v_add_f64 v[18:19], v[18:19], v[20:21]
	v_fma_f64 v[20:21], v[4:5], v[114:115], v[30:31]
	v_add_f64 v[14:15], v[14:15], v[16:17]
	ds_read_b128 v[2:5], v1 offset:1696
	s_waitcnt vmcnt(15) lgkmcnt(1)
	v_mul_f64 v[30:31], v[12:13], v[99:100]
	v_mul_f64 v[16:17], v[10:11], v[99:100]
	s_waitcnt vmcnt(13)
	v_fma_f64 v[28:29], v[6:7], v[26:27], -v[28:29]
	v_fma_f64 v[26:27], v[8:9], v[26:27], v[34:35]
	ds_read_b128 v[6:9], v1 offset:1712
	v_add_f64 v[18:19], v[18:19], v[40:41]
	v_add_f64 v[14:15], v[14:15], v[20:21]
	s_waitcnt vmcnt(9) lgkmcnt(1)
	v_mul_f64 v[20:21], v[2:3], v[22:23]
	v_mul_f64 v[22:23], v[4:5], v[22:23]
	s_waitcnt vmcnt(8)
	v_fma_f64 v[10:11], v[10:11], v[116:117], -v[30:31]
	v_fma_f64 v[12:13], v[12:13], v[116:117], v[16:17]
	v_add_f64 v[18:19], v[18:19], v[28:29]
	v_add_f64 v[14:15], v[14:15], v[26:27]
	s_waitcnt vmcnt(7) lgkmcnt(0)
	v_mul_f64 v[26:27], v[8:9], v[38:39]
	v_mul_f64 v[16:17], v[6:7], v[38:39]
	s_waitcnt vmcnt(5)
	v_fma_f64 v[2:3], v[2:3], v[24:25], -v[22:23]
	v_fma_f64 v[4:5], v[4:5], v[24:25], v[20:21]
	v_add_f64 v[10:11], v[18:19], v[10:11]
	v_add_f64 v[12:13], v[14:15], v[12:13]
	s_waitcnt vmcnt(4)
	v_fma_f64 v[6:7], v[6:7], v[111:112], -v[26:27]
	v_fma_f64 v[8:9], v[8:9], v[111:112], v[16:17]
	v_add_f64 v[2:3], v[10:11], v[2:3]
	v_add_f64 v[4:5], v[12:13], v[4:5]
	v_add_f64 v[2:3], v[2:3], v[6:7]
	v_add_f64 v[4:5], v[4:5], v[8:9]
	s_waitcnt vmcnt(2)
	v_add_f64 v[2:3], v[32:33], -v[2:3]
	s_waitcnt vmcnt(0)
	v_add_f64 v[4:5], v[36:37], -v[4:5]
	buffer_store_dword v3, off, s[0:3], 0 offset:500
	buffer_store_dword v2, off, s[0:3], 0 offset:496
	;; [unrolled: 1-line block ×4, first 2 shown]
	v_cmpx_lt_u32_e32 29, v0
	s_cbranch_execz .LBB53_279
; %bb.278:
	v_mov_b32_e32 v5, s37
	s_clause 0x3
	buffer_load_dword v2, v5, s[0:3], 0 offen
	buffer_load_dword v3, v5, s[0:3], 0 offen offset:4
	buffer_load_dword v4, v5, s[0:3], 0 offen offset:8
	;; [unrolled: 1-line block ×3, first 2 shown]
	buffer_store_dword v1, off, s[0:3], 0 offset:480
	buffer_store_dword v1, off, s[0:3], 0 offset:484
	;; [unrolled: 1-line block ×4, first 2 shown]
	s_waitcnt vmcnt(0)
	ds_write_b128 v47, v[2:5]
.LBB53_279:
	s_or_b32 exec_lo, exec_lo, s4
	s_waitcnt lgkmcnt(0)
	s_waitcnt_vscnt null, 0x0
	s_barrier
	buffer_gl0_inv
	s_clause 0x37
	buffer_load_dword v10, off, s[0:3], 0 offset:504
	buffer_load_dword v11, off, s[0:3], 0 offset:508
	;; [unrolled: 1-line block ×56, first 2 shown]
	ds_read_b128 v[2:5], v1 offset:1344
	s_clause 0x2
	buffer_load_dword v94, off, s[0:3], 0 offset:732
	buffer_load_dword v98, off, s[0:3], 0 offset:708
	buffer_load_dword v97, off, s[0:3], 0 offset:704
	ds_read_b128 v[6:9], v1 offset:1360
	s_clause 0x4
	buffer_load_dword v104, off, s[0:3], 0 offset:748
	buffer_load_dword v105, off, s[0:3], 0 offset:760
	;; [unrolled: 1-line block ×5, first 2 shown]
	s_mov_b32 s4, exec_lo
	s_waitcnt vmcnt(62) lgkmcnt(1)
	v_mul_f64 v[99:100], v[4:5], v[10:11]
	v_mul_f64 v[101:102], v[2:3], v[10:11]
	s_waitcnt vmcnt(60) lgkmcnt(0)
	v_mul_f64 v[108:109], v[8:9], v[14:15]
	ds_read_b128 v[10:13], v1 offset:1376
	v_mul_f64 v[14:15], v[6:7], v[14:15]
	s_waitcnt vmcnt(58)
	v_fma_f64 v[99:100], v[2:3], v[16:17], -v[99:100]
	v_fma_f64 v[16:17], v[4:5], v[16:17], v[101:102]
	s_clause 0x2
	buffer_load_dword v106, off, s[0:3], 0 offset:764
	buffer_load_dword v102, off, s[0:3], 0 offset:740
	;; [unrolled: 1-line block ×3, first 2 shown]
	s_waitcnt vmcnt(59) lgkmcnt(0)
	v_mul_f64 v[110:111], v[10:11], v[18:19]
	v_mul_f64 v[18:19], v[12:13], v[18:19]
	s_waitcnt vmcnt(57)
	v_fma_f64 v[112:113], v[6:7], v[20:21], -v[108:109]
	ds_read_b128 v[2:5], v1 offset:1392
	v_fma_f64 v[14:15], v[8:9], v[20:21], v[14:15]
	s_clause 0x4
	buffer_load_dword v21, off, s[0:3], 0 offset:780
	buffer_load_dword v109, off, s[0:3], 0 offset:792
	;; [unrolled: 1-line block ×5, first 2 shown]
	ds_read_b128 v[6:9], v1 offset:1408
	v_add_f64 v[99:100], v[99:100], 0
	v_add_f64 v[16:17], v[16:17], 0
	s_waitcnt vmcnt(58) lgkmcnt(1)
	v_mul_f64 v[115:116], v[2:3], v[22:23]
	v_mul_f64 v[22:23], v[4:5], v[22:23]
	s_waitcnt vmcnt(56)
	v_fma_f64 v[18:19], v[10:11], v[28:29], -v[18:19]
	v_fma_f64 v[28:29], v[12:13], v[28:29], v[110:111]
	v_add_f64 v[99:100], v[99:100], v[112:113]
	v_add_f64 v[14:15], v[16:17], v[14:15]
	s_clause 0x2
	buffer_load_dword v110, off, s[0:3], 0 offset:796
	buffer_load_dword v17, off, s[0:3], 0 offset:772
	;; [unrolled: 1-line block ×3, first 2 shown]
	s_waitcnt vmcnt(58) lgkmcnt(0)
	v_mul_f64 v[111:112], v[6:7], v[24:25]
	v_mul_f64 v[24:25], v[8:9], v[24:25]
	s_waitcnt vmcnt(56)
	v_fma_f64 v[22:23], v[2:3], v[30:31], -v[22:23]
	ds_read_b128 v[10:13], v1 offset:1424
	v_fma_f64 v[30:31], v[4:5], v[30:31], v[115:116]
	v_add_f64 v[18:19], v[99:100], v[18:19]
	v_add_f64 v[14:15], v[14:15], v[28:29]
	s_clause 0x4
	buffer_load_dword v29, off, s[0:3], 0 offset:812
	buffer_load_dword v99, off, s[0:3], 0 offset:824
	;; [unrolled: 1-line block ×5, first 2 shown]
	ds_read_b128 v[2:5], v1 offset:1440
	s_waitcnt vmcnt(57) lgkmcnt(1)
	v_mul_f64 v[117:118], v[10:11], v[32:33]
	v_mul_f64 v[32:33], v[12:13], v[32:33]
	s_waitcnt vmcnt(56)
	v_fma_f64 v[24:25], v[6:7], v[26:27], -v[24:25]
	v_add_f64 v[18:19], v[18:19], v[22:23]
	v_fma_f64 v[22:23], v[8:9], v[26:27], v[111:112]
	v_add_f64 v[14:15], v[14:15], v[30:31]
	s_clause 0x2
	buffer_load_dword v100, off, s[0:3], 0 offset:828
	buffer_load_dword v27, off, s[0:3], 0 offset:804
	;; [unrolled: 1-line block ×3, first 2 shown]
	s_waitcnt vmcnt(58) lgkmcnt(0)
	v_mul_f64 v[30:31], v[2:3], v[34:35]
	v_mul_f64 v[34:35], v[4:5], v[34:35]
	s_waitcnt vmcnt(56)
	v_fma_f64 v[32:33], v[10:11], v[38:39], -v[32:33]
	ds_read_b128 v[6:9], v1 offset:1456
	v_add_f64 v[18:19], v[18:19], v[24:25]
	v_fma_f64 v[24:25], v[12:13], v[38:39], v[117:118]
	v_add_f64 v[14:15], v[14:15], v[22:23]
	s_clause 0x4
	buffer_load_dword v23, off, s[0:3], 0 offset:844
	buffer_load_dword v38, off, s[0:3], 0 offset:856
	;; [unrolled: 1-line block ×5, first 2 shown]
	ds_read_b128 v[10:13], v1 offset:1472
	s_waitcnt vmcnt(57) lgkmcnt(1)
	v_mul_f64 v[112:113], v[6:7], v[40:41]
	v_mul_f64 v[40:41], v[8:9], v[40:41]
	s_waitcnt vmcnt(56)
	v_fma_f64 v[34:35], v[2:3], v[36:37], -v[34:35]
	v_fma_f64 v[30:31], v[4:5], v[36:37], v[30:31]
	v_add_f64 v[18:19], v[18:19], v[32:33]
	v_add_f64 v[14:15], v[14:15], v[24:25]
	s_clause 0x2
	buffer_load_dword v39, off, s[0:3], 0 offset:860
	buffer_load_dword v25, off, s[0:3], 0 offset:836
	;; [unrolled: 1-line block ×3, first 2 shown]
	s_waitcnt vmcnt(58) lgkmcnt(0)
	v_mul_f64 v[36:37], v[12:13], v[42:43]
	ds_read_b128 v[2:5], v1 offset:1488
	s_waitcnt vmcnt(56)
	v_fma_f64 v[40:41], v[6:7], v[65:66], -v[40:41]
	v_mul_f64 v[32:33], v[10:11], v[42:43]
	v_add_f64 v[18:19], v[18:19], v[34:35]
	v_fma_f64 v[34:35], v[8:9], v[65:66], v[112:113]
	v_add_f64 v[14:15], v[14:15], v[30:31]
	s_clause 0x2
	buffer_load_dword v31, off, s[0:3], 0 offset:876
	buffer_load_dword v30, off, s[0:3], 0 offset:872
	;; [unrolled: 1-line block ×3, first 2 shown]
	s_waitcnt vmcnt(55) lgkmcnt(0)
	v_mul_f64 v[65:66], v[4:5], v[67:68]
	s_waitcnt vmcnt(54)
	v_fma_f64 v[36:37], v[10:11], v[44:45], -v[36:37]
	ds_read_b128 v[6:9], v1 offset:1504
	v_mul_f64 v[42:43], v[2:3], v[67:68]
	v_fma_f64 v[32:33], v[12:13], v[44:45], v[32:33]
	v_add_f64 v[18:19], v[18:19], v[40:41]
	v_add_f64 v[14:15], v[14:15], v[34:35]
	s_clause 0x1
	buffer_load_dword v35, off, s[0:3], 0 offset:868
	buffer_load_dword v34, off, s[0:3], 0 offset:864
	s_waitcnt vmcnt(55) lgkmcnt(0)
	v_mul_f64 v[44:45], v[8:9], v[73:74]
	s_waitcnt vmcnt(53)
	v_fma_f64 v[65:66], v[2:3], v[81:82], -v[65:66]
	ds_read_b128 v[10:13], v1 offset:1520
	v_mul_f64 v[40:41], v[6:7], v[73:74]
	v_add_f64 v[18:19], v[18:19], v[36:37]
	v_fma_f64 v[36:37], v[4:5], v[81:82], v[42:43]
	v_add_f64 v[14:15], v[14:15], v[32:33]
	ds_read_b128 v[2:5], v1 offset:1536
	s_waitcnt vmcnt(49) lgkmcnt(1)
	v_mul_f64 v[42:43], v[12:13], v[83:84]
	s_waitcnt vmcnt(48)
	v_fma_f64 v[44:45], v[6:7], v[75:76], -v[44:45]
	v_mul_f64 v[32:33], v[10:11], v[83:84]
	v_fma_f64 v[40:41], v[8:9], v[75:76], v[40:41]
	v_add_f64 v[18:19], v[18:19], v[65:66]
	s_waitcnt vmcnt(47) lgkmcnt(0)
	v_mul_f64 v[73:74], v[4:5], v[85:86]
	v_add_f64 v[14:15], v[14:15], v[36:37]
	s_clause 0x3
	buffer_load_dword v36, off, s[0:3], 0 offset:480
	buffer_load_dword v37, off, s[0:3], 0 offset:484
	;; [unrolled: 1-line block ×4, first 2 shown]
	s_waitcnt vmcnt(49)
	v_fma_f64 v[42:43], v[10:11], v[89:90], -v[42:43]
	ds_read_b128 v[6:9], v1 offset:1552
	v_mul_f64 v[67:68], v[2:3], v[85:86]
	v_fma_f64 v[32:33], v[12:13], v[89:90], v[32:33]
	ds_read_b128 v[10:13], v1 offset:1568
	v_add_f64 v[18:19], v[18:19], v[44:45]
	s_waitcnt vmcnt(44)
	v_fma_f64 v[73:74], v[2:3], v[87:88], -v[73:74]
	v_add_f64 v[14:15], v[14:15], v[40:41]
	s_waitcnt lgkmcnt(1)
	v_mul_f64 v[44:45], v[8:9], v[91:92]
	v_mul_f64 v[40:41], v[6:7], v[91:92]
	v_add_f64 v[18:19], v[18:19], v[42:43]
	v_fma_f64 v[42:43], v[4:5], v[87:88], v[67:68]
	v_add_f64 v[14:15], v[14:15], v[32:33]
	s_waitcnt vmcnt(43) lgkmcnt(0)
	v_mul_f64 v[67:68], v[12:13], v[93:94]
	s_waitcnt vmcnt(41)
	v_fma_f64 v[44:45], v[6:7], v[97:98], -v[44:45]
	ds_read_b128 v[2:5], v1 offset:1584
	v_mul_f64 v[32:33], v[10:11], v[93:94]
	v_fma_f64 v[40:41], v[8:9], v[97:98], v[40:41]
	ds_read_b128 v[6:9], v1 offset:1600
	v_add_f64 v[18:19], v[18:19], v[73:74]
	v_add_f64 v[14:15], v[14:15], v[42:43]
	s_waitcnt vmcnt(37) lgkmcnt(1)
	v_mul_f64 v[73:74], v[4:5], v[103:104]
	s_waitcnt vmcnt(36)
	v_fma_f64 v[67:68], v[10:11], v[95:96], -v[67:68]
	v_mul_f64 v[42:43], v[2:3], v[103:104]
	v_fma_f64 v[32:33], v[12:13], v[95:96], v[32:33]
	ds_read_b128 v[10:13], v1 offset:1616
	v_add_f64 v[18:19], v[18:19], v[44:45]
	v_add_f64 v[14:15], v[14:15], v[40:41]
	s_waitcnt vmcnt(35) lgkmcnt(1)
	v_mul_f64 v[44:45], v[8:9], v[105:106]
	v_mul_f64 v[40:41], v[6:7], v[105:106]
	s_waitcnt vmcnt(33)
	v_fma_f64 v[73:74], v[2:3], v[101:102], -v[73:74]
	v_fma_f64 v[42:43], v[4:5], v[101:102], v[42:43]
	ds_read_b128 v[2:5], v1 offset:1632
	v_add_f64 v[18:19], v[18:19], v[67:68]
	v_add_f64 v[14:15], v[14:15], v[32:33]
	s_waitcnt vmcnt(29) lgkmcnt(1)
	v_mul_f64 v[32:33], v[10:11], v[20:21]
	v_mul_f64 v[20:21], v[12:13], v[20:21]
	s_waitcnt vmcnt(28)
	v_fma_f64 v[44:45], v[6:7], v[107:108], -v[44:45]
	;; [unrolled: 9-line block ×4, first 2 shown]
	v_add_f64 v[18:19], v[18:19], v[20:21]
	v_fma_f64 v[20:21], v[4:5], v[114:115], v[42:43]
	v_add_f64 v[14:15], v[14:15], v[16:17]
	ds_read_b128 v[2:5], v1 offset:1680
	s_waitcnt vmcnt(19) lgkmcnt(1)
	v_mul_f64 v[42:43], v[12:13], v[99:100]
	v_mul_f64 v[16:17], v[10:11], v[99:100]
	s_waitcnt vmcnt(17)
	v_fma_f64 v[28:29], v[6:7], v[26:27], -v[28:29]
	v_fma_f64 v[26:27], v[8:9], v[26:27], v[32:33]
	ds_read_b128 v[6:9], v1 offset:1696
	v_add_f64 v[18:19], v[18:19], v[40:41]
	v_add_f64 v[14:15], v[14:15], v[20:21]
	s_waitcnt vmcnt(13) lgkmcnt(1)
	v_mul_f64 v[20:21], v[2:3], v[22:23]
	v_mul_f64 v[22:23], v[4:5], v[22:23]
	s_waitcnt vmcnt(12)
	v_fma_f64 v[32:33], v[10:11], v[116:117], -v[42:43]
	v_fma_f64 v[16:17], v[12:13], v[116:117], v[16:17]
	ds_read_b128 v[10:13], v1 offset:1712
	v_add_f64 v[18:19], v[18:19], v[28:29]
	v_add_f64 v[14:15], v[14:15], v[26:27]
	s_waitcnt vmcnt(11) lgkmcnt(1)
	v_mul_f64 v[28:29], v[8:9], v[38:39]
	v_mul_f64 v[26:27], v[6:7], v[38:39]
	s_waitcnt vmcnt(9)
	v_fma_f64 v[1:2], v[2:3], v[24:25], -v[22:23]
	v_fma_f64 v[3:4], v[4:5], v[24:25], v[20:21]
	v_add_f64 v[18:19], v[18:19], v[32:33]
	v_add_f64 v[14:15], v[14:15], v[16:17]
	s_waitcnt vmcnt(7) lgkmcnt(0)
	v_mul_f64 v[20:21], v[12:13], v[30:31]
	s_waitcnt vmcnt(6)
	v_fma_f64 v[5:6], v[6:7], v[111:112], -v[28:29]
	v_mul_f64 v[16:17], v[10:11], v[30:31]
	v_fma_f64 v[7:8], v[8:9], v[111:112], v[26:27]
	v_add_f64 v[1:2], v[18:19], v[1:2]
	v_add_f64 v[3:4], v[14:15], v[3:4]
	s_waitcnt vmcnt(4)
	v_fma_f64 v[9:10], v[10:11], v[34:35], -v[20:21]
	v_add_f64 v[1:2], v[1:2], v[5:6]
	v_fma_f64 v[5:6], v[12:13], v[34:35], v[16:17]
	v_add_f64 v[3:4], v[3:4], v[7:8]
	v_add_f64 v[1:2], v[1:2], v[9:10]
	;; [unrolled: 1-line block ×3, first 2 shown]
	s_waitcnt vmcnt(2)
	v_add_f64 v[1:2], v[36:37], -v[1:2]
	s_waitcnt vmcnt(0)
	v_add_f64 v[3:4], v[65:66], -v[3:4]
	buffer_store_dword v2, off, s[0:3], 0 offset:484
	buffer_store_dword v1, off, s[0:3], 0 offset:480
	;; [unrolled: 1-line block ×4, first 2 shown]
	v_cmpx_lt_u32_e32 28, v0
	s_cbranch_execz .LBB53_281
; %bb.280:
	v_mov_b32_e32 v4, s38
	v_mov_b32_e32 v5, 0
	s_clause 0x3
	buffer_load_dword v1, v4, s[0:3], 0 offen
	buffer_load_dword v2, v4, s[0:3], 0 offen offset:4
	buffer_load_dword v3, v4, s[0:3], 0 offen offset:8
	;; [unrolled: 1-line block ×3, first 2 shown]
	buffer_store_dword v5, off, s[0:3], 0 offset:464
	buffer_store_dword v5, off, s[0:3], 0 offset:468
	;; [unrolled: 1-line block ×4, first 2 shown]
	s_waitcnt vmcnt(0)
	ds_write_b128 v47, v[1:4]
.LBB53_281:
	s_or_b32 exec_lo, exec_lo, s4
	s_waitcnt lgkmcnt(0)
	s_waitcnt_vscnt null, 0x0
	s_barrier
	buffer_gl0_inv
	s_clause 0x37
	buffer_load_dword v10, off, s[0:3], 0 offset:488
	buffer_load_dword v11, off, s[0:3], 0 offset:492
	;; [unrolled: 1-line block ×56, first 2 shown]
	v_mov_b32_e32 v1, 0
	s_mov_b32 s4, exec_lo
	ds_read_b128 v[2:5], v1 offset:1328
	s_clause 0x2
	buffer_load_dword v94, off, s[0:3], 0 offset:716
	buffer_load_dword v98, off, s[0:3], 0 offset:692
	;; [unrolled: 1-line block ×3, first 2 shown]
	ds_read_b128 v[6:9], v1 offset:1344
	s_clause 0x4
	buffer_load_dword v104, off, s[0:3], 0 offset:732
	buffer_load_dword v105, off, s[0:3], 0 offset:744
	;; [unrolled: 1-line block ×5, first 2 shown]
	s_waitcnt vmcnt(62) lgkmcnt(1)
	v_mul_f64 v[99:100], v[4:5], v[10:11]
	v_mul_f64 v[101:102], v[2:3], v[10:11]
	s_waitcnt vmcnt(60) lgkmcnt(0)
	v_mul_f64 v[108:109], v[8:9], v[14:15]
	ds_read_b128 v[10:13], v1 offset:1360
	v_mul_f64 v[14:15], v[6:7], v[14:15]
	s_waitcnt vmcnt(58)
	v_fma_f64 v[99:100], v[2:3], v[16:17], -v[99:100]
	v_fma_f64 v[16:17], v[4:5], v[16:17], v[101:102]
	s_clause 0x2
	buffer_load_dword v106, off, s[0:3], 0 offset:748
	buffer_load_dword v102, off, s[0:3], 0 offset:724
	;; [unrolled: 1-line block ×3, first 2 shown]
	s_waitcnt vmcnt(59) lgkmcnt(0)
	v_mul_f64 v[110:111], v[10:11], v[18:19]
	v_mul_f64 v[18:19], v[12:13], v[18:19]
	s_waitcnt vmcnt(57)
	v_fma_f64 v[112:113], v[6:7], v[20:21], -v[108:109]
	ds_read_b128 v[2:5], v1 offset:1376
	v_fma_f64 v[14:15], v[8:9], v[20:21], v[14:15]
	s_clause 0x4
	buffer_load_dword v21, off, s[0:3], 0 offset:764
	buffer_load_dword v109, off, s[0:3], 0 offset:776
	;; [unrolled: 1-line block ×5, first 2 shown]
	ds_read_b128 v[6:9], v1 offset:1392
	v_add_f64 v[99:100], v[99:100], 0
	v_add_f64 v[16:17], v[16:17], 0
	s_waitcnt vmcnt(58) lgkmcnt(1)
	v_mul_f64 v[115:116], v[2:3], v[22:23]
	v_mul_f64 v[22:23], v[4:5], v[22:23]
	s_waitcnt vmcnt(56)
	v_fma_f64 v[18:19], v[10:11], v[28:29], -v[18:19]
	v_fma_f64 v[28:29], v[12:13], v[28:29], v[110:111]
	v_add_f64 v[99:100], v[99:100], v[112:113]
	v_add_f64 v[14:15], v[16:17], v[14:15]
	s_clause 0x2
	buffer_load_dword v110, off, s[0:3], 0 offset:780
	buffer_load_dword v17, off, s[0:3], 0 offset:756
	;; [unrolled: 1-line block ×3, first 2 shown]
	s_waitcnt vmcnt(58) lgkmcnt(0)
	v_mul_f64 v[111:112], v[6:7], v[24:25]
	v_mul_f64 v[24:25], v[8:9], v[24:25]
	s_waitcnt vmcnt(56)
	v_fma_f64 v[22:23], v[2:3], v[30:31], -v[22:23]
	ds_read_b128 v[10:13], v1 offset:1408
	v_fma_f64 v[30:31], v[4:5], v[30:31], v[115:116]
	v_add_f64 v[18:19], v[99:100], v[18:19]
	v_add_f64 v[14:15], v[14:15], v[28:29]
	s_clause 0x4
	buffer_load_dword v29, off, s[0:3], 0 offset:796
	buffer_load_dword v99, off, s[0:3], 0 offset:808
	;; [unrolled: 1-line block ×5, first 2 shown]
	ds_read_b128 v[2:5], v1 offset:1424
	s_waitcnt vmcnt(57) lgkmcnt(1)
	v_mul_f64 v[117:118], v[10:11], v[32:33]
	v_mul_f64 v[32:33], v[12:13], v[32:33]
	s_waitcnt vmcnt(56)
	v_fma_f64 v[24:25], v[6:7], v[26:27], -v[24:25]
	v_add_f64 v[18:19], v[18:19], v[22:23]
	v_fma_f64 v[22:23], v[8:9], v[26:27], v[111:112]
	v_add_f64 v[14:15], v[14:15], v[30:31]
	s_clause 0x2
	buffer_load_dword v100, off, s[0:3], 0 offset:812
	buffer_load_dword v27, off, s[0:3], 0 offset:788
	;; [unrolled: 1-line block ×3, first 2 shown]
	s_waitcnt vmcnt(58) lgkmcnt(0)
	v_mul_f64 v[30:31], v[2:3], v[34:35]
	v_mul_f64 v[34:35], v[4:5], v[34:35]
	s_waitcnt vmcnt(56)
	v_fma_f64 v[32:33], v[10:11], v[38:39], -v[32:33]
	ds_read_b128 v[6:9], v1 offset:1440
	v_add_f64 v[18:19], v[18:19], v[24:25]
	v_fma_f64 v[24:25], v[12:13], v[38:39], v[117:118]
	v_add_f64 v[14:15], v[14:15], v[22:23]
	s_clause 0x4
	buffer_load_dword v23, off, s[0:3], 0 offset:828
	buffer_load_dword v38, off, s[0:3], 0 offset:840
	;; [unrolled: 1-line block ×5, first 2 shown]
	ds_read_b128 v[10:13], v1 offset:1456
	s_waitcnt vmcnt(57) lgkmcnt(1)
	v_mul_f64 v[112:113], v[6:7], v[40:41]
	v_mul_f64 v[40:41], v[8:9], v[40:41]
	s_waitcnt vmcnt(56)
	v_fma_f64 v[34:35], v[2:3], v[36:37], -v[34:35]
	v_fma_f64 v[30:31], v[4:5], v[36:37], v[30:31]
	v_add_f64 v[18:19], v[18:19], v[32:33]
	v_add_f64 v[14:15], v[14:15], v[24:25]
	s_clause 0x2
	buffer_load_dword v39, off, s[0:3], 0 offset:844
	buffer_load_dword v25, off, s[0:3], 0 offset:820
	;; [unrolled: 1-line block ×3, first 2 shown]
	s_waitcnt vmcnt(58) lgkmcnt(0)
	v_mul_f64 v[36:37], v[12:13], v[42:43]
	ds_read_b128 v[2:5], v1 offset:1472
	s_waitcnt vmcnt(56)
	v_fma_f64 v[40:41], v[6:7], v[65:66], -v[40:41]
	v_mul_f64 v[32:33], v[10:11], v[42:43]
	v_add_f64 v[18:19], v[18:19], v[34:35]
	v_fma_f64 v[34:35], v[8:9], v[65:66], v[112:113]
	v_add_f64 v[14:15], v[14:15], v[30:31]
	s_clause 0x4
	buffer_load_dword v31, off, s[0:3], 0 offset:860
	buffer_load_dword v42, off, s[0:3], 0 offset:872
	buffer_load_dword v65, off, s[0:3], 0 offset:864
	buffer_load_dword v30, off, s[0:3], 0 offset:856
	buffer_load_dword v112, off, s[0:3], 0 offset:836
	s_waitcnt vmcnt(57) lgkmcnt(0)
	v_mul_f64 v[118:119], v[2:3], v[67:68]
	v_mul_f64 v[66:67], v[4:5], v[67:68]
	s_waitcnt vmcnt(56)
	v_fma_f64 v[36:37], v[10:11], v[44:45], -v[36:37]
	ds_read_b128 v[6:9], v1 offset:1488
	v_fma_f64 v[32:33], v[12:13], v[44:45], v[32:33]
	v_add_f64 v[18:19], v[18:19], v[40:41]
	v_add_f64 v[14:15], v[14:15], v[34:35]
	s_clause 0x2
	buffer_load_dword v43, off, s[0:3], 0 offset:876
	buffer_load_dword v35, off, s[0:3], 0 offset:852
	;; [unrolled: 1-line block ×3, first 2 shown]
	ds_read_b128 v[10:13], v1 offset:1504
	s_waitcnt vmcnt(58) lgkmcnt(1)
	v_mul_f64 v[44:45], v[8:9], v[73:74]
	s_waitcnt vmcnt(56)
	v_fma_f64 v[67:68], v[2:3], v[81:82], -v[66:67]
	v_mul_f64 v[40:41], v[6:7], v[73:74]
	buffer_load_dword v66, off, s[0:3], 0 offset:868
	v_add_f64 v[18:19], v[18:19], v[36:37]
	v_fma_f64 v[36:37], v[4:5], v[81:82], v[118:119]
	v_add_f64 v[14:15], v[14:15], v[32:33]
	ds_read_b128 v[2:5], v1 offset:1520
	s_waitcnt vmcnt(53) lgkmcnt(1)
	v_mul_f64 v[73:74], v[12:13], v[83:84]
	s_waitcnt vmcnt(52)
	v_fma_f64 v[44:45], v[6:7], v[75:76], -v[44:45]
	v_mul_f64 v[32:33], v[10:11], v[83:84]
	v_fma_f64 v[40:41], v[8:9], v[75:76], v[40:41]
	ds_read_b128 v[6:9], v1 offset:1536
	v_add_f64 v[18:19], v[18:19], v[67:68]
	s_waitcnt vmcnt(51) lgkmcnt(1)
	v_mul_f64 v[67:68], v[4:5], v[85:86]
	v_add_f64 v[14:15], v[14:15], v[36:37]
	v_mul_f64 v[36:37], v[2:3], v[85:86]
	s_waitcnt vmcnt(49)
	v_fma_f64 v[73:74], v[10:11], v[89:90], -v[73:74]
	v_fma_f64 v[32:33], v[12:13], v[89:90], v[32:33]
	s_waitcnt vmcnt(45) lgkmcnt(0)
	v_mul_f64 v[81:82], v[8:9], v[91:92]
	v_mul_f64 v[75:76], v[6:7], v[91:92]
	v_add_f64 v[18:19], v[18:19], v[44:45]
	s_waitcnt vmcnt(44)
	v_fma_f64 v[67:68], v[2:3], v[87:88], -v[67:68]
	v_add_f64 v[14:15], v[14:15], v[40:41]
	s_clause 0x3
	buffer_load_dword v40, off, s[0:3], 0 offset:464
	buffer_load_dword v41, off, s[0:3], 0 offset:468
	;; [unrolled: 1-line block ×4, first 2 shown]
	ds_read_b128 v[10:13], v1 offset:1552
	v_fma_f64 v[36:37], v[4:5], v[87:88], v[36:37]
	ds_read_b128 v[2:5], v1 offset:1568
	s_waitcnt vmcnt(45)
	v_fma_f64 v[81:82], v[6:7], v[97:98], -v[81:82]
	v_add_f64 v[18:19], v[18:19], v[73:74]
	v_add_f64 v[14:15], v[14:15], v[32:33]
	s_waitcnt lgkmcnt(1)
	v_mul_f64 v[73:74], v[12:13], v[93:94]
	v_mul_f64 v[32:33], v[10:11], v[93:94]
	v_add_f64 v[18:19], v[18:19], v[67:68]
	v_fma_f64 v[67:68], v[8:9], v[97:98], v[75:76]
	v_add_f64 v[14:15], v[14:15], v[36:37]
	s_waitcnt vmcnt(41) lgkmcnt(0)
	v_mul_f64 v[75:76], v[4:5], v[103:104]
	s_waitcnt vmcnt(40)
	v_fma_f64 v[73:74], v[10:11], v[95:96], -v[73:74]
	ds_read_b128 v[6:9], v1 offset:1584
	v_mul_f64 v[36:37], v[2:3], v[103:104]
	v_fma_f64 v[32:33], v[12:13], v[95:96], v[32:33]
	ds_read_b128 v[10:13], v1 offset:1600
	v_add_f64 v[18:19], v[18:19], v[81:82]
	v_add_f64 v[14:15], v[14:15], v[67:68]
	s_waitcnt vmcnt(39) lgkmcnt(1)
	v_mul_f64 v[81:82], v[8:9], v[105:106]
	v_mul_f64 v[67:68], v[6:7], v[105:106]
	s_waitcnt vmcnt(37)
	v_fma_f64 v[75:76], v[2:3], v[101:102], -v[75:76]
	v_fma_f64 v[36:37], v[4:5], v[101:102], v[36:37]
	ds_read_b128 v[2:5], v1 offset:1616
	v_add_f64 v[18:19], v[18:19], v[73:74]
	v_add_f64 v[14:15], v[14:15], v[32:33]
	s_waitcnt vmcnt(33) lgkmcnt(1)
	v_mul_f64 v[32:33], v[10:11], v[20:21]
	v_mul_f64 v[20:21], v[12:13], v[20:21]
	s_waitcnt vmcnt(32)
	v_fma_f64 v[73:74], v[6:7], v[107:108], -v[81:82]
	;; [unrolled: 9-line block ×4, first 2 shown]
	v_add_f64 v[18:19], v[18:19], v[20:21]
	v_fma_f64 v[20:21], v[4:5], v[114:115], v[36:37]
	v_add_f64 v[14:15], v[14:15], v[16:17]
	ds_read_b128 v[2:5], v1 offset:1664
	s_waitcnt vmcnt(23) lgkmcnt(1)
	v_mul_f64 v[36:37], v[12:13], v[99:100]
	v_mul_f64 v[16:17], v[10:11], v[99:100]
	s_waitcnt vmcnt(21)
	v_fma_f64 v[28:29], v[6:7], v[26:27], -v[28:29]
	v_fma_f64 v[26:27], v[8:9], v[26:27], v[32:33]
	ds_read_b128 v[6:9], v1 offset:1680
	v_add_f64 v[18:19], v[18:19], v[67:68]
	v_add_f64 v[14:15], v[14:15], v[20:21]
	s_waitcnt vmcnt(17) lgkmcnt(1)
	v_mul_f64 v[20:21], v[2:3], v[22:23]
	v_mul_f64 v[22:23], v[4:5], v[22:23]
	s_waitcnt vmcnt(16)
	v_fma_f64 v[32:33], v[10:11], v[116:117], -v[36:37]
	v_fma_f64 v[16:17], v[12:13], v[116:117], v[16:17]
	ds_read_b128 v[10:13], v1 offset:1696
	v_add_f64 v[18:19], v[18:19], v[28:29]
	v_add_f64 v[14:15], v[14:15], v[26:27]
	;; [unrolled: 9-line block ×3, first 2 shown]
	s_waitcnt vmcnt(9) lgkmcnt(1)
	v_mul_f64 v[24:25], v[12:13], v[30:31]
	s_waitcnt vmcnt(8)
	v_fma_f64 v[6:7], v[6:7], v[111:112], -v[28:29]
	v_mul_f64 v[16:17], v[10:11], v[30:31]
	v_fma_f64 v[8:9], v[8:9], v[111:112], v[26:27]
	v_add_f64 v[18:19], v[18:19], v[22:23]
	v_add_f64 v[14:15], v[14:15], v[20:21]
	s_waitcnt vmcnt(7) lgkmcnt(0)
	v_mul_f64 v[22:23], v[4:5], v[42:43]
	v_mul_f64 v[20:21], v[2:3], v[42:43]
	s_waitcnt vmcnt(5)
	v_fma_f64 v[10:11], v[10:11], v[34:35], -v[24:25]
	v_fma_f64 v[12:13], v[12:13], v[34:35], v[16:17]
	v_add_f64 v[6:7], v[18:19], v[6:7]
	v_add_f64 v[8:9], v[14:15], v[8:9]
	s_waitcnt vmcnt(4)
	v_fma_f64 v[2:3], v[2:3], v[65:66], -v[22:23]
	v_fma_f64 v[4:5], v[4:5], v[65:66], v[20:21]
	v_add_f64 v[6:7], v[6:7], v[10:11]
	v_add_f64 v[8:9], v[8:9], v[12:13]
	;; [unrolled: 1-line block ×4, first 2 shown]
	s_waitcnt vmcnt(2)
	v_add_f64 v[2:3], v[40:41], -v[2:3]
	s_waitcnt vmcnt(0)
	v_add_f64 v[4:5], v[44:45], -v[4:5]
	buffer_store_dword v3, off, s[0:3], 0 offset:468
	buffer_store_dword v2, off, s[0:3], 0 offset:464
	;; [unrolled: 1-line block ×4, first 2 shown]
	v_cmpx_lt_u32_e32 27, v0
	s_cbranch_execz .LBB53_283
; %bb.282:
	v_mov_b32_e32 v5, s39
	s_clause 0x3
	buffer_load_dword v2, v5, s[0:3], 0 offen
	buffer_load_dword v3, v5, s[0:3], 0 offen offset:4
	buffer_load_dword v4, v5, s[0:3], 0 offen offset:8
	;; [unrolled: 1-line block ×3, first 2 shown]
	buffer_store_dword v1, off, s[0:3], 0 offset:448
	buffer_store_dword v1, off, s[0:3], 0 offset:452
	;; [unrolled: 1-line block ×4, first 2 shown]
	s_waitcnt vmcnt(0)
	ds_write_b128 v47, v[2:5]
.LBB53_283:
	s_or_b32 exec_lo, exec_lo, s4
	s_waitcnt lgkmcnt(0)
	s_waitcnt_vscnt null, 0x0
	s_barrier
	buffer_gl0_inv
	s_clause 0x37
	buffer_load_dword v10, off, s[0:3], 0 offset:472
	buffer_load_dword v11, off, s[0:3], 0 offset:476
	;; [unrolled: 1-line block ×56, first 2 shown]
	ds_read_b128 v[2:5], v1 offset:1312
	s_clause 0x2
	buffer_load_dword v94, off, s[0:3], 0 offset:700
	buffer_load_dword v98, off, s[0:3], 0 offset:676
	;; [unrolled: 1-line block ×3, first 2 shown]
	ds_read_b128 v[6:9], v1 offset:1328
	s_clause 0x4
	buffer_load_dword v104, off, s[0:3], 0 offset:716
	buffer_load_dword v105, off, s[0:3], 0 offset:728
	buffer_load_dword v107, off, s[0:3], 0 offset:720
	buffer_load_dword v103, off, s[0:3], 0 offset:712
	buffer_load_dword v96, off, s[0:3], 0 offset:692
	s_mov_b32 s4, exec_lo
	s_waitcnt vmcnt(62) lgkmcnt(1)
	v_mul_f64 v[99:100], v[4:5], v[10:11]
	v_mul_f64 v[101:102], v[2:3], v[10:11]
	s_waitcnt vmcnt(60) lgkmcnt(0)
	v_mul_f64 v[108:109], v[8:9], v[14:15]
	ds_read_b128 v[10:13], v1 offset:1344
	v_mul_f64 v[14:15], v[6:7], v[14:15]
	s_waitcnt vmcnt(58)
	v_fma_f64 v[99:100], v[2:3], v[16:17], -v[99:100]
	v_fma_f64 v[16:17], v[4:5], v[16:17], v[101:102]
	s_clause 0x2
	buffer_load_dword v106, off, s[0:3], 0 offset:732
	buffer_load_dword v102, off, s[0:3], 0 offset:708
	;; [unrolled: 1-line block ×3, first 2 shown]
	s_waitcnt vmcnt(59) lgkmcnt(0)
	v_mul_f64 v[110:111], v[10:11], v[18:19]
	v_mul_f64 v[18:19], v[12:13], v[18:19]
	s_waitcnt vmcnt(57)
	v_fma_f64 v[112:113], v[6:7], v[20:21], -v[108:109]
	ds_read_b128 v[2:5], v1 offset:1360
	v_fma_f64 v[14:15], v[8:9], v[20:21], v[14:15]
	s_clause 0x4
	buffer_load_dword v21, off, s[0:3], 0 offset:748
	buffer_load_dword v109, off, s[0:3], 0 offset:760
	;; [unrolled: 1-line block ×5, first 2 shown]
	ds_read_b128 v[6:9], v1 offset:1376
	v_add_f64 v[99:100], v[99:100], 0
	v_add_f64 v[16:17], v[16:17], 0
	s_waitcnt vmcnt(58) lgkmcnt(1)
	v_mul_f64 v[115:116], v[2:3], v[22:23]
	v_mul_f64 v[22:23], v[4:5], v[22:23]
	s_waitcnt vmcnt(56)
	v_fma_f64 v[18:19], v[10:11], v[28:29], -v[18:19]
	v_fma_f64 v[28:29], v[12:13], v[28:29], v[110:111]
	v_add_f64 v[99:100], v[99:100], v[112:113]
	v_add_f64 v[14:15], v[16:17], v[14:15]
	s_clause 0x2
	buffer_load_dword v110, off, s[0:3], 0 offset:764
	buffer_load_dword v17, off, s[0:3], 0 offset:740
	buffer_load_dword v16, off, s[0:3], 0 offset:736
	s_waitcnt vmcnt(58) lgkmcnt(0)
	v_mul_f64 v[111:112], v[6:7], v[24:25]
	v_mul_f64 v[24:25], v[8:9], v[24:25]
	s_waitcnt vmcnt(56)
	v_fma_f64 v[22:23], v[2:3], v[30:31], -v[22:23]
	ds_read_b128 v[10:13], v1 offset:1392
	v_fma_f64 v[30:31], v[4:5], v[30:31], v[115:116]
	v_add_f64 v[18:19], v[99:100], v[18:19]
	v_add_f64 v[14:15], v[14:15], v[28:29]
	s_clause 0x4
	buffer_load_dword v29, off, s[0:3], 0 offset:780
	buffer_load_dword v99, off, s[0:3], 0 offset:792
	;; [unrolled: 1-line block ×5, first 2 shown]
	ds_read_b128 v[2:5], v1 offset:1408
	s_waitcnt vmcnt(57) lgkmcnt(1)
	v_mul_f64 v[117:118], v[10:11], v[32:33]
	v_mul_f64 v[32:33], v[12:13], v[32:33]
	s_waitcnt vmcnt(56)
	v_fma_f64 v[24:25], v[6:7], v[26:27], -v[24:25]
	v_add_f64 v[18:19], v[18:19], v[22:23]
	v_fma_f64 v[22:23], v[8:9], v[26:27], v[111:112]
	v_add_f64 v[14:15], v[14:15], v[30:31]
	s_clause 0x2
	buffer_load_dword v100, off, s[0:3], 0 offset:796
	buffer_load_dword v27, off, s[0:3], 0 offset:772
	;; [unrolled: 1-line block ×3, first 2 shown]
	s_waitcnt vmcnt(58) lgkmcnt(0)
	v_mul_f64 v[30:31], v[2:3], v[34:35]
	v_mul_f64 v[34:35], v[4:5], v[34:35]
	s_waitcnt vmcnt(56)
	v_fma_f64 v[32:33], v[10:11], v[38:39], -v[32:33]
	ds_read_b128 v[6:9], v1 offset:1424
	v_add_f64 v[18:19], v[18:19], v[24:25]
	v_fma_f64 v[24:25], v[12:13], v[38:39], v[117:118]
	v_add_f64 v[14:15], v[14:15], v[22:23]
	s_clause 0x4
	buffer_load_dword v23, off, s[0:3], 0 offset:812
	buffer_load_dword v38, off, s[0:3], 0 offset:824
	;; [unrolled: 1-line block ×5, first 2 shown]
	ds_read_b128 v[10:13], v1 offset:1440
	s_waitcnt vmcnt(57) lgkmcnt(1)
	v_mul_f64 v[112:113], v[6:7], v[40:41]
	v_mul_f64 v[40:41], v[8:9], v[40:41]
	s_waitcnt vmcnt(56)
	v_fma_f64 v[34:35], v[2:3], v[36:37], -v[34:35]
	v_fma_f64 v[30:31], v[4:5], v[36:37], v[30:31]
	v_add_f64 v[18:19], v[18:19], v[32:33]
	v_add_f64 v[14:15], v[14:15], v[24:25]
	s_clause 0x2
	buffer_load_dword v39, off, s[0:3], 0 offset:828
	buffer_load_dword v25, off, s[0:3], 0 offset:804
	buffer_load_dword v24, off, s[0:3], 0 offset:800
	s_waitcnt vmcnt(58) lgkmcnt(0)
	v_mul_f64 v[36:37], v[12:13], v[42:43]
	ds_read_b128 v[2:5], v1 offset:1456
	s_waitcnt vmcnt(56)
	v_fma_f64 v[40:41], v[6:7], v[65:66], -v[40:41]
	v_mul_f64 v[32:33], v[10:11], v[42:43]
	v_add_f64 v[18:19], v[18:19], v[34:35]
	v_fma_f64 v[34:35], v[8:9], v[65:66], v[112:113]
	v_add_f64 v[14:15], v[14:15], v[30:31]
	s_clause 0x4
	buffer_load_dword v31, off, s[0:3], 0 offset:844
	buffer_load_dword v42, off, s[0:3], 0 offset:856
	;; [unrolled: 1-line block ×5, first 2 shown]
	s_waitcnt vmcnt(57) lgkmcnt(0)
	v_mul_f64 v[118:119], v[2:3], v[67:68]
	v_mul_f64 v[66:67], v[4:5], v[67:68]
	s_waitcnt vmcnt(56)
	v_fma_f64 v[36:37], v[10:11], v[44:45], -v[36:37]
	ds_read_b128 v[6:9], v1 offset:1472
	v_fma_f64 v[32:33], v[12:13], v[44:45], v[32:33]
	v_add_f64 v[18:19], v[18:19], v[40:41]
	v_add_f64 v[14:15], v[14:15], v[34:35]
	s_clause 0x2
	buffer_load_dword v43, off, s[0:3], 0 offset:860
	buffer_load_dword v35, off, s[0:3], 0 offset:836
	;; [unrolled: 1-line block ×3, first 2 shown]
	ds_read_b128 v[10:13], v1 offset:1488
	s_waitcnt vmcnt(58) lgkmcnt(1)
	v_mul_f64 v[44:45], v[8:9], v[73:74]
	s_waitcnt vmcnt(56)
	v_fma_f64 v[67:68], v[2:3], v[81:82], -v[66:67]
	v_mul_f64 v[40:41], v[6:7], v[73:74]
	v_add_f64 v[18:19], v[18:19], v[36:37]
	v_fma_f64 v[36:37], v[4:5], v[81:82], v[118:119]
	v_add_f64 v[14:15], v[14:15], v[32:33]
	s_clause 0x2
	buffer_load_dword v33, off, s[0:3], 0 offset:876
	buffer_load_dword v32, off, s[0:3], 0 offset:872
	;; [unrolled: 1-line block ×3, first 2 shown]
	s_waitcnt vmcnt(55) lgkmcnt(0)
	v_mul_f64 v[81:82], v[12:13], v[83:84]
	s_waitcnt vmcnt(54)
	v_fma_f64 v[44:45], v[6:7], v[75:76], -v[44:45]
	ds_read_b128 v[2:5], v1 offset:1504
	v_mul_f64 v[73:74], v[10:11], v[83:84]
	v_fma_f64 v[40:41], v[8:9], v[75:76], v[40:41]
	v_add_f64 v[18:19], v[18:19], v[67:68]
	v_add_f64 v[14:15], v[14:15], v[36:37]
	s_clause 0x1
	buffer_load_dword v37, off, s[0:3], 0 offset:868
	buffer_load_dword v36, off, s[0:3], 0 offset:864
	s_waitcnt vmcnt(55) lgkmcnt(0)
	v_mul_f64 v[75:76], v[4:5], v[85:86]
	s_waitcnt vmcnt(53)
	v_fma_f64 v[81:82], v[10:11], v[89:90], -v[81:82]
	ds_read_b128 v[6:9], v1 offset:1520
	v_mul_f64 v[67:68], v[2:3], v[85:86]
	v_add_f64 v[18:19], v[18:19], v[44:45]
	v_fma_f64 v[44:45], v[12:13], v[89:90], v[73:74]
	v_add_f64 v[14:15], v[14:15], v[40:41]
	ds_read_b128 v[10:13], v1 offset:1536
	s_waitcnt vmcnt(49) lgkmcnt(1)
	v_mul_f64 v[73:74], v[8:9], v[91:92]
	s_waitcnt vmcnt(48)
	v_fma_f64 v[75:76], v[2:3], v[87:88], -v[75:76]
	v_mul_f64 v[40:41], v[6:7], v[91:92]
	v_fma_f64 v[67:68], v[4:5], v[87:88], v[67:68]
	v_add_f64 v[18:19], v[18:19], v[81:82]
	s_waitcnt vmcnt(47) lgkmcnt(0)
	v_mul_f64 v[85:86], v[12:13], v[93:94]
	v_add_f64 v[14:15], v[14:15], v[44:45]
	s_clause 0x3
	buffer_load_dword v44, off, s[0:3], 0 offset:448
	buffer_load_dword v45, off, s[0:3], 0 offset:452
	;; [unrolled: 1-line block ×4, first 2 shown]
	s_waitcnt vmcnt(49)
	v_fma_f64 v[73:74], v[6:7], v[97:98], -v[73:74]
	ds_read_b128 v[2:5], v1 offset:1552
	v_mul_f64 v[83:84], v[10:11], v[93:94]
	v_fma_f64 v[40:41], v[8:9], v[97:98], v[40:41]
	ds_read_b128 v[6:9], v1 offset:1568
	v_add_f64 v[18:19], v[18:19], v[75:76]
	s_waitcnt vmcnt(44)
	v_fma_f64 v[85:86], v[10:11], v[95:96], -v[85:86]
	v_add_f64 v[14:15], v[14:15], v[67:68]
	s_waitcnt lgkmcnt(1)
	v_mul_f64 v[75:76], v[4:5], v[103:104]
	v_mul_f64 v[67:68], v[2:3], v[103:104]
	v_add_f64 v[18:19], v[18:19], v[73:74]
	v_fma_f64 v[73:74], v[12:13], v[95:96], v[83:84]
	v_add_f64 v[14:15], v[14:15], v[40:41]
	ds_read_b128 v[10:13], v1 offset:1584
	s_waitcnt vmcnt(43) lgkmcnt(1)
	v_mul_f64 v[83:84], v[8:9], v[105:106]
	v_mul_f64 v[40:41], v[6:7], v[105:106]
	s_waitcnt vmcnt(41)
	v_fma_f64 v[75:76], v[2:3], v[101:102], -v[75:76]
	v_fma_f64 v[67:68], v[4:5], v[101:102], v[67:68]
	ds_read_b128 v[2:5], v1 offset:1600
	v_add_f64 v[18:19], v[18:19], v[85:86]
	v_add_f64 v[14:15], v[14:15], v[73:74]
	s_waitcnt vmcnt(37) lgkmcnt(1)
	v_mul_f64 v[73:74], v[10:11], v[20:21]
	v_mul_f64 v[20:21], v[12:13], v[20:21]
	s_waitcnt vmcnt(36)
	v_fma_f64 v[83:84], v[6:7], v[107:108], -v[83:84]
	v_fma_f64 v[40:41], v[8:9], v[107:108], v[40:41]
	ds_read_b128 v[6:9], v1 offset:1616
	v_add_f64 v[18:19], v[18:19], v[75:76]
	v_add_f64 v[14:15], v[14:15], v[67:68]
	;; [unrolled: 9-line block ×3, first 2 shown]
	s_waitcnt vmcnt(29) lgkmcnt(1)
	v_mul_f64 v[40:41], v[6:7], v[28:29]
	v_mul_f64 v[28:29], v[8:9], v[28:29]
	s_waitcnt vmcnt(28)
	v_fma_f64 v[73:74], v[2:3], v[114:115], -v[75:76]
	v_add_f64 v[18:19], v[18:19], v[20:21]
	v_fma_f64 v[20:21], v[4:5], v[114:115], v[67:68]
	v_add_f64 v[14:15], v[14:15], v[16:17]
	ds_read_b128 v[2:5], v1 offset:1648
	s_waitcnt vmcnt(27) lgkmcnt(1)
	v_mul_f64 v[67:68], v[12:13], v[99:100]
	v_mul_f64 v[16:17], v[10:11], v[99:100]
	s_waitcnt vmcnt(25)
	v_fma_f64 v[28:29], v[6:7], v[26:27], -v[28:29]
	v_fma_f64 v[26:27], v[8:9], v[26:27], v[40:41]
	ds_read_b128 v[6:9], v1 offset:1664
	v_add_f64 v[18:19], v[18:19], v[73:74]
	v_add_f64 v[14:15], v[14:15], v[20:21]
	s_waitcnt vmcnt(21) lgkmcnt(1)
	v_mul_f64 v[20:21], v[2:3], v[22:23]
	v_mul_f64 v[22:23], v[4:5], v[22:23]
	s_waitcnt vmcnt(20)
	v_fma_f64 v[40:41], v[10:11], v[116:117], -v[67:68]
	v_fma_f64 v[16:17], v[12:13], v[116:117], v[16:17]
	ds_read_b128 v[10:13], v1 offset:1680
	v_add_f64 v[18:19], v[18:19], v[28:29]
	v_add_f64 v[14:15], v[14:15], v[26:27]
	;; [unrolled: 9-line block ×3, first 2 shown]
	s_waitcnt vmcnt(13) lgkmcnt(1)
	v_mul_f64 v[24:25], v[12:13], v[30:31]
	s_waitcnt vmcnt(12)
	v_fma_f64 v[28:29], v[6:7], v[111:112], -v[28:29]
	v_mul_f64 v[16:17], v[10:11], v[30:31]
	v_add_f64 v[18:19], v[18:19], v[22:23]
	v_fma_f64 v[22:23], v[8:9], v[111:112], v[26:27]
	v_add_f64 v[14:15], v[14:15], v[20:21]
	ds_read_b128 v[6:9], v1 offset:1712
	s_waitcnt vmcnt(11) lgkmcnt(1)
	v_mul_f64 v[26:27], v[4:5], v[42:43]
	v_mul_f64 v[20:21], v[2:3], v[42:43]
	s_waitcnt vmcnt(9)
	v_fma_f64 v[10:11], v[10:11], v[34:35], -v[24:25]
	v_fma_f64 v[12:13], v[12:13], v[34:35], v[16:17]
	v_add_f64 v[18:19], v[18:19], v[28:29]
	v_add_f64 v[14:15], v[14:15], v[22:23]
	s_waitcnt vmcnt(7) lgkmcnt(0)
	v_mul_f64 v[22:23], v[8:9], v[32:33]
	s_waitcnt vmcnt(6)
	v_fma_f64 v[1:2], v[2:3], v[65:66], -v[26:27]
	v_mul_f64 v[16:17], v[6:7], v[32:33]
	v_fma_f64 v[3:4], v[4:5], v[65:66], v[20:21]
	v_add_f64 v[10:11], v[18:19], v[10:11]
	v_add_f64 v[12:13], v[14:15], v[12:13]
	s_waitcnt vmcnt(4)
	v_fma_f64 v[5:6], v[6:7], v[36:37], -v[22:23]
	v_fma_f64 v[7:8], v[8:9], v[36:37], v[16:17]
	v_add_f64 v[1:2], v[10:11], v[1:2]
	v_add_f64 v[3:4], v[12:13], v[3:4]
	v_add_f64 v[1:2], v[1:2], v[5:6]
	v_add_f64 v[3:4], v[3:4], v[7:8]
	s_waitcnt vmcnt(2)
	v_add_f64 v[1:2], v[44:45], -v[1:2]
	s_waitcnt vmcnt(0)
	v_add_f64 v[3:4], v[81:82], -v[3:4]
	buffer_store_dword v2, off, s[0:3], 0 offset:452
	buffer_store_dword v1, off, s[0:3], 0 offset:448
	;; [unrolled: 1-line block ×4, first 2 shown]
	v_cmpx_lt_u32_e32 26, v0
	s_cbranch_execz .LBB53_285
; %bb.284:
	v_mov_b32_e32 v4, s40
	v_mov_b32_e32 v5, 0
	s_clause 0x3
	buffer_load_dword v1, v4, s[0:3], 0 offen
	buffer_load_dword v2, v4, s[0:3], 0 offen offset:4
	buffer_load_dword v3, v4, s[0:3], 0 offen offset:8
	;; [unrolled: 1-line block ×3, first 2 shown]
	buffer_store_dword v5, off, s[0:3], 0 offset:432
	buffer_store_dword v5, off, s[0:3], 0 offset:436
	;; [unrolled: 1-line block ×4, first 2 shown]
	s_waitcnt vmcnt(0)
	ds_write_b128 v47, v[1:4]
.LBB53_285:
	s_or_b32 exec_lo, exec_lo, s4
	s_waitcnt lgkmcnt(0)
	s_waitcnt_vscnt null, 0x0
	s_barrier
	buffer_gl0_inv
	s_clause 0x37
	buffer_load_dword v10, off, s[0:3], 0 offset:456
	buffer_load_dword v11, off, s[0:3], 0 offset:460
	;; [unrolled: 1-line block ×56, first 2 shown]
	v_mov_b32_e32 v1, 0
	s_mov_b32 s4, exec_lo
	ds_read_b128 v[2:5], v1 offset:1296
	s_clause 0x2
	buffer_load_dword v94, off, s[0:3], 0 offset:684
	buffer_load_dword v98, off, s[0:3], 0 offset:660
	;; [unrolled: 1-line block ×3, first 2 shown]
	ds_read_b128 v[6:9], v1 offset:1312
	s_clause 0x4
	buffer_load_dword v104, off, s[0:3], 0 offset:700
	buffer_load_dword v105, off, s[0:3], 0 offset:712
	;; [unrolled: 1-line block ×5, first 2 shown]
	s_waitcnt vmcnt(62) lgkmcnt(1)
	v_mul_f64 v[99:100], v[4:5], v[10:11]
	v_mul_f64 v[101:102], v[2:3], v[10:11]
	s_waitcnt vmcnt(60) lgkmcnt(0)
	v_mul_f64 v[108:109], v[8:9], v[14:15]
	ds_read_b128 v[10:13], v1 offset:1328
	v_mul_f64 v[14:15], v[6:7], v[14:15]
	s_waitcnt vmcnt(58)
	v_fma_f64 v[99:100], v[2:3], v[16:17], -v[99:100]
	v_fma_f64 v[16:17], v[4:5], v[16:17], v[101:102]
	s_clause 0x2
	buffer_load_dword v106, off, s[0:3], 0 offset:716
	buffer_load_dword v102, off, s[0:3], 0 offset:692
	;; [unrolled: 1-line block ×3, first 2 shown]
	s_waitcnt vmcnt(59) lgkmcnt(0)
	v_mul_f64 v[110:111], v[10:11], v[18:19]
	v_mul_f64 v[18:19], v[12:13], v[18:19]
	s_waitcnt vmcnt(57)
	v_fma_f64 v[112:113], v[6:7], v[20:21], -v[108:109]
	ds_read_b128 v[2:5], v1 offset:1344
	v_fma_f64 v[14:15], v[8:9], v[20:21], v[14:15]
	s_clause 0x4
	buffer_load_dword v21, off, s[0:3], 0 offset:732
	buffer_load_dword v109, off, s[0:3], 0 offset:744
	;; [unrolled: 1-line block ×5, first 2 shown]
	ds_read_b128 v[6:9], v1 offset:1360
	v_add_f64 v[99:100], v[99:100], 0
	v_add_f64 v[16:17], v[16:17], 0
	s_waitcnt vmcnt(58) lgkmcnt(1)
	v_mul_f64 v[115:116], v[2:3], v[22:23]
	v_mul_f64 v[22:23], v[4:5], v[22:23]
	s_waitcnt vmcnt(56)
	v_fma_f64 v[18:19], v[10:11], v[28:29], -v[18:19]
	v_fma_f64 v[28:29], v[12:13], v[28:29], v[110:111]
	v_add_f64 v[99:100], v[99:100], v[112:113]
	v_add_f64 v[14:15], v[16:17], v[14:15]
	s_clause 0x2
	buffer_load_dword v110, off, s[0:3], 0 offset:748
	buffer_load_dword v17, off, s[0:3], 0 offset:724
	;; [unrolled: 1-line block ×3, first 2 shown]
	s_waitcnt vmcnt(58) lgkmcnt(0)
	v_mul_f64 v[111:112], v[6:7], v[24:25]
	v_mul_f64 v[24:25], v[8:9], v[24:25]
	s_waitcnt vmcnt(56)
	v_fma_f64 v[22:23], v[2:3], v[30:31], -v[22:23]
	ds_read_b128 v[10:13], v1 offset:1376
	v_fma_f64 v[30:31], v[4:5], v[30:31], v[115:116]
	v_add_f64 v[18:19], v[99:100], v[18:19]
	v_add_f64 v[14:15], v[14:15], v[28:29]
	s_clause 0x4
	buffer_load_dword v29, off, s[0:3], 0 offset:764
	buffer_load_dword v99, off, s[0:3], 0 offset:776
	;; [unrolled: 1-line block ×5, first 2 shown]
	ds_read_b128 v[2:5], v1 offset:1392
	s_waitcnt vmcnt(57) lgkmcnt(1)
	v_mul_f64 v[117:118], v[10:11], v[32:33]
	v_mul_f64 v[32:33], v[12:13], v[32:33]
	s_waitcnt vmcnt(56)
	v_fma_f64 v[24:25], v[6:7], v[26:27], -v[24:25]
	v_add_f64 v[18:19], v[18:19], v[22:23]
	v_fma_f64 v[22:23], v[8:9], v[26:27], v[111:112]
	v_add_f64 v[14:15], v[14:15], v[30:31]
	s_clause 0x2
	buffer_load_dword v100, off, s[0:3], 0 offset:780
	buffer_load_dword v27, off, s[0:3], 0 offset:756
	;; [unrolled: 1-line block ×3, first 2 shown]
	s_waitcnt vmcnt(58) lgkmcnt(0)
	v_mul_f64 v[30:31], v[2:3], v[34:35]
	v_mul_f64 v[34:35], v[4:5], v[34:35]
	s_waitcnt vmcnt(56)
	v_fma_f64 v[32:33], v[10:11], v[38:39], -v[32:33]
	ds_read_b128 v[6:9], v1 offset:1408
	v_add_f64 v[18:19], v[18:19], v[24:25]
	v_fma_f64 v[24:25], v[12:13], v[38:39], v[117:118]
	v_add_f64 v[14:15], v[14:15], v[22:23]
	s_clause 0x4
	buffer_load_dword v23, off, s[0:3], 0 offset:796
	buffer_load_dword v38, off, s[0:3], 0 offset:808
	;; [unrolled: 1-line block ×5, first 2 shown]
	ds_read_b128 v[10:13], v1 offset:1424
	s_waitcnt vmcnt(57) lgkmcnt(1)
	v_mul_f64 v[112:113], v[6:7], v[40:41]
	v_mul_f64 v[40:41], v[8:9], v[40:41]
	s_waitcnt vmcnt(56)
	v_fma_f64 v[34:35], v[2:3], v[36:37], -v[34:35]
	v_fma_f64 v[30:31], v[4:5], v[36:37], v[30:31]
	v_add_f64 v[18:19], v[18:19], v[32:33]
	v_add_f64 v[14:15], v[14:15], v[24:25]
	s_clause 0x2
	buffer_load_dword v39, off, s[0:3], 0 offset:812
	buffer_load_dword v25, off, s[0:3], 0 offset:788
	;; [unrolled: 1-line block ×3, first 2 shown]
	s_waitcnt vmcnt(58) lgkmcnt(0)
	v_mul_f64 v[36:37], v[12:13], v[42:43]
	ds_read_b128 v[2:5], v1 offset:1440
	s_waitcnt vmcnt(56)
	v_fma_f64 v[40:41], v[6:7], v[65:66], -v[40:41]
	v_mul_f64 v[32:33], v[10:11], v[42:43]
	v_add_f64 v[18:19], v[18:19], v[34:35]
	v_fma_f64 v[34:35], v[8:9], v[65:66], v[112:113]
	v_add_f64 v[14:15], v[14:15], v[30:31]
	s_clause 0x4
	buffer_load_dword v31, off, s[0:3], 0 offset:828
	buffer_load_dword v42, off, s[0:3], 0 offset:840
	buffer_load_dword v65, off, s[0:3], 0 offset:832
	buffer_load_dword v30, off, s[0:3], 0 offset:824
	buffer_load_dword v112, off, s[0:3], 0 offset:804
	s_waitcnt vmcnt(57) lgkmcnt(0)
	v_mul_f64 v[118:119], v[2:3], v[67:68]
	v_mul_f64 v[66:67], v[4:5], v[67:68]
	s_waitcnt vmcnt(56)
	v_fma_f64 v[36:37], v[10:11], v[44:45], -v[36:37]
	ds_read_b128 v[6:9], v1 offset:1456
	v_fma_f64 v[32:33], v[12:13], v[44:45], v[32:33]
	v_add_f64 v[18:19], v[18:19], v[40:41]
	v_add_f64 v[14:15], v[14:15], v[34:35]
	s_clause 0x2
	buffer_load_dword v43, off, s[0:3], 0 offset:844
	buffer_load_dword v35, off, s[0:3], 0 offset:820
	;; [unrolled: 1-line block ×3, first 2 shown]
	ds_read_b128 v[10:13], v1 offset:1472
	s_waitcnt vmcnt(58) lgkmcnt(1)
	v_mul_f64 v[44:45], v[8:9], v[73:74]
	s_waitcnt vmcnt(56)
	v_fma_f64 v[67:68], v[2:3], v[81:82], -v[66:67]
	v_mul_f64 v[40:41], v[6:7], v[73:74]
	v_add_f64 v[18:19], v[18:19], v[36:37]
	v_fma_f64 v[36:37], v[4:5], v[81:82], v[118:119]
	v_add_f64 v[14:15], v[14:15], v[32:33]
	s_clause 0x4
	buffer_load_dword v33, off, s[0:3], 0 offset:860
	buffer_load_dword v73, off, s[0:3], 0 offset:872
	;; [unrolled: 1-line block ×5, first 2 shown]
	s_waitcnt vmcnt(57) lgkmcnt(0)
	v_mul_f64 v[118:119], v[10:11], v[83:84]
	v_mul_f64 v[82:83], v[12:13], v[83:84]
	s_waitcnt vmcnt(56)
	v_fma_f64 v[44:45], v[6:7], v[75:76], -v[44:45]
	ds_read_b128 v[2:5], v1 offset:1488
	v_fma_f64 v[40:41], v[8:9], v[75:76], v[40:41]
	v_add_f64 v[18:19], v[18:19], v[67:68]
	v_add_f64 v[14:15], v[14:15], v[36:37]
	s_clause 0x2
	buffer_load_dword v74, off, s[0:3], 0 offset:876
	buffer_load_dword v37, off, s[0:3], 0 offset:852
	;; [unrolled: 1-line block ×3, first 2 shown]
	ds_read_b128 v[6:9], v1 offset:1504
	s_waitcnt vmcnt(58) lgkmcnt(1)
	v_mul_f64 v[75:76], v[4:5], v[85:86]
	s_waitcnt vmcnt(56)
	v_fma_f64 v[83:84], v[10:11], v[89:90], -v[82:83]
	v_mul_f64 v[67:68], v[2:3], v[85:86]
	buffer_load_dword v82, off, s[0:3], 0 offset:868
	v_add_f64 v[18:19], v[18:19], v[44:45]
	v_fma_f64 v[44:45], v[12:13], v[89:90], v[118:119]
	v_add_f64 v[14:15], v[14:15], v[40:41]
	ds_read_b128 v[10:13], v1 offset:1520
	s_waitcnt vmcnt(53) lgkmcnt(1)
	v_mul_f64 v[85:86], v[8:9], v[91:92]
	s_waitcnt vmcnt(52)
	v_fma_f64 v[75:76], v[2:3], v[87:88], -v[75:76]
	v_mul_f64 v[40:41], v[6:7], v[91:92]
	v_fma_f64 v[67:68], v[4:5], v[87:88], v[67:68]
	ds_read_b128 v[2:5], v1 offset:1536
	v_add_f64 v[18:19], v[18:19], v[83:84]
	s_waitcnt vmcnt(51) lgkmcnt(1)
	v_mul_f64 v[83:84], v[12:13], v[93:94]
	v_add_f64 v[14:15], v[14:15], v[44:45]
	v_mul_f64 v[44:45], v[10:11], v[93:94]
	s_waitcnt vmcnt(49)
	v_fma_f64 v[85:86], v[6:7], v[97:98], -v[85:86]
	v_fma_f64 v[40:41], v[8:9], v[97:98], v[40:41]
	s_waitcnt vmcnt(45) lgkmcnt(0)
	v_mul_f64 v[89:90], v[4:5], v[103:104]
	v_mul_f64 v[87:88], v[2:3], v[103:104]
	v_add_f64 v[18:19], v[18:19], v[75:76]
	s_waitcnt vmcnt(44)
	v_fma_f64 v[83:84], v[10:11], v[95:96], -v[83:84]
	v_add_f64 v[14:15], v[14:15], v[67:68]
	s_clause 0x3
	buffer_load_dword v67, off, s[0:3], 0 offset:432
	buffer_load_dword v68, off, s[0:3], 0 offset:436
	;; [unrolled: 1-line block ×4, first 2 shown]
	ds_read_b128 v[6:9], v1 offset:1552
	v_fma_f64 v[44:45], v[12:13], v[95:96], v[44:45]
	ds_read_b128 v[10:13], v1 offset:1568
	v_add_f64 v[18:19], v[18:19], v[85:86]
	v_add_f64 v[14:15], v[14:15], v[40:41]
	s_waitcnt vmcnt(47) lgkmcnt(1)
	v_mul_f64 v[85:86], v[8:9], v[105:106]
	v_mul_f64 v[40:41], v[6:7], v[105:106]
	s_waitcnt vmcnt(45)
	v_fma_f64 v[89:90], v[2:3], v[101:102], -v[89:90]
	v_add_f64 v[18:19], v[18:19], v[83:84]
	v_fma_f64 v[83:84], v[4:5], v[101:102], v[87:88]
	v_add_f64 v[14:15], v[14:15], v[44:45]
	s_waitcnt vmcnt(41) lgkmcnt(0)
	v_mul_f64 v[44:45], v[10:11], v[20:21]
	v_mul_f64 v[20:21], v[12:13], v[20:21]
	ds_read_b128 v[2:5], v1 offset:1584
	s_waitcnt vmcnt(40)
	v_fma_f64 v[85:86], v[6:7], v[107:108], -v[85:86]
	v_fma_f64 v[40:41], v[8:9], v[107:108], v[40:41]
	ds_read_b128 v[6:9], v1 offset:1600
	v_add_f64 v[18:19], v[18:19], v[89:90]
	v_add_f64 v[14:15], v[14:15], v[83:84]
	s_waitcnt vmcnt(39) lgkmcnt(1)
	v_mul_f64 v[87:88], v[4:5], v[109:110]
	v_mul_f64 v[83:84], v[2:3], v[109:110]
	s_waitcnt vmcnt(37)
	v_fma_f64 v[20:21], v[10:11], v[16:17], -v[20:21]
	v_fma_f64 v[16:17], v[12:13], v[16:17], v[44:45]
	ds_read_b128 v[10:13], v1 offset:1616
	v_add_f64 v[18:19], v[18:19], v[85:86]
	v_add_f64 v[14:15], v[14:15], v[40:41]
	s_waitcnt vmcnt(33) lgkmcnt(1)
	v_mul_f64 v[40:41], v[6:7], v[28:29]
	v_mul_f64 v[28:29], v[8:9], v[28:29]
	s_waitcnt vmcnt(32)
	v_fma_f64 v[44:45], v[2:3], v[114:115], -v[87:88]
	v_add_f64 v[18:19], v[18:19], v[20:21]
	v_fma_f64 v[20:21], v[4:5], v[114:115], v[83:84]
	v_add_f64 v[14:15], v[14:15], v[16:17]
	ds_read_b128 v[2:5], v1 offset:1632
	s_waitcnt vmcnt(31) lgkmcnt(1)
	v_mul_f64 v[83:84], v[12:13], v[99:100]
	v_mul_f64 v[16:17], v[10:11], v[99:100]
	s_waitcnt vmcnt(29)
	v_fma_f64 v[28:29], v[6:7], v[26:27], -v[28:29]
	v_fma_f64 v[26:27], v[8:9], v[26:27], v[40:41]
	ds_read_b128 v[6:9], v1 offset:1648
	v_add_f64 v[18:19], v[18:19], v[44:45]
	v_add_f64 v[14:15], v[14:15], v[20:21]
	s_waitcnt vmcnt(25) lgkmcnt(1)
	v_mul_f64 v[20:21], v[2:3], v[22:23]
	v_mul_f64 v[22:23], v[4:5], v[22:23]
	s_waitcnt vmcnt(24)
	v_fma_f64 v[40:41], v[10:11], v[116:117], -v[83:84]
	v_fma_f64 v[16:17], v[12:13], v[116:117], v[16:17]
	ds_read_b128 v[10:13], v1 offset:1664
	v_add_f64 v[18:19], v[18:19], v[28:29]
	v_add_f64 v[14:15], v[14:15], v[26:27]
	;; [unrolled: 9-line block ×3, first 2 shown]
	s_waitcnt vmcnt(17) lgkmcnt(1)
	v_mul_f64 v[24:25], v[12:13], v[30:31]
	s_waitcnt vmcnt(16)
	v_fma_f64 v[28:29], v[6:7], v[111:112], -v[28:29]
	v_mul_f64 v[16:17], v[10:11], v[30:31]
	v_add_f64 v[18:19], v[18:19], v[22:23]
	v_fma_f64 v[22:23], v[8:9], v[111:112], v[26:27]
	v_add_f64 v[14:15], v[14:15], v[20:21]
	ds_read_b128 v[6:9], v1 offset:1696
	s_waitcnt vmcnt(15) lgkmcnt(1)
	v_mul_f64 v[26:27], v[4:5], v[42:43]
	v_mul_f64 v[20:21], v[2:3], v[42:43]
	s_waitcnt vmcnt(13)
	v_fma_f64 v[24:25], v[10:11], v[34:35], -v[24:25]
	v_fma_f64 v[16:17], v[12:13], v[34:35], v[16:17]
	ds_read_b128 v[10:13], v1 offset:1712
	v_add_f64 v[18:19], v[18:19], v[28:29]
	v_add_f64 v[14:15], v[14:15], v[22:23]
	s_waitcnt vmcnt(9) lgkmcnt(1)
	v_mul_f64 v[28:29], v[8:9], v[32:33]
	s_waitcnt vmcnt(8)
	v_fma_f64 v[2:3], v[2:3], v[65:66], -v[26:27]
	v_mul_f64 v[22:23], v[6:7], v[32:33]
	v_fma_f64 v[4:5], v[4:5], v[65:66], v[20:21]
	v_add_f64 v[18:19], v[18:19], v[24:25]
	v_add_f64 v[14:15], v[14:15], v[16:17]
	s_waitcnt vmcnt(7) lgkmcnt(0)
	v_mul_f64 v[20:21], v[12:13], v[73:74]
	v_mul_f64 v[16:17], v[10:11], v[73:74]
	s_waitcnt vmcnt(5)
	v_fma_f64 v[6:7], v[6:7], v[36:37], -v[28:29]
	v_fma_f64 v[8:9], v[8:9], v[36:37], v[22:23]
	v_add_f64 v[2:3], v[18:19], v[2:3]
	v_add_f64 v[4:5], v[14:15], v[4:5]
	s_waitcnt vmcnt(4)
	v_fma_f64 v[10:11], v[10:11], v[81:82], -v[20:21]
	v_add_f64 v[2:3], v[2:3], v[6:7]
	v_fma_f64 v[6:7], v[12:13], v[81:82], v[16:17]
	v_add_f64 v[4:5], v[4:5], v[8:9]
	v_add_f64 v[2:3], v[2:3], v[10:11]
	;; [unrolled: 1-line block ×3, first 2 shown]
	s_waitcnt vmcnt(2)
	v_add_f64 v[2:3], v[67:68], -v[2:3]
	s_waitcnt vmcnt(0)
	v_add_f64 v[4:5], v[75:76], -v[4:5]
	buffer_store_dword v3, off, s[0:3], 0 offset:436
	buffer_store_dword v2, off, s[0:3], 0 offset:432
	;; [unrolled: 1-line block ×4, first 2 shown]
	v_cmpx_lt_u32_e32 25, v0
	s_cbranch_execz .LBB53_287
; %bb.286:
	v_mov_b32_e32 v5, s41
	s_clause 0x3
	buffer_load_dword v2, v5, s[0:3], 0 offen
	buffer_load_dword v3, v5, s[0:3], 0 offen offset:4
	buffer_load_dword v4, v5, s[0:3], 0 offen offset:8
	;; [unrolled: 1-line block ×3, first 2 shown]
	buffer_store_dword v1, off, s[0:3], 0 offset:416
	buffer_store_dword v1, off, s[0:3], 0 offset:420
	;; [unrolled: 1-line block ×4, first 2 shown]
	s_waitcnt vmcnt(0)
	ds_write_b128 v47, v[2:5]
.LBB53_287:
	s_or_b32 exec_lo, exec_lo, s4
	s_waitcnt lgkmcnt(0)
	s_waitcnt_vscnt null, 0x0
	s_barrier
	buffer_gl0_inv
	s_clause 0x37
	buffer_load_dword v10, off, s[0:3], 0 offset:440
	buffer_load_dword v11, off, s[0:3], 0 offset:444
	;; [unrolled: 1-line block ×56, first 2 shown]
	ds_read_b128 v[2:5], v1 offset:1280
	s_clause 0x2
	buffer_load_dword v94, off, s[0:3], 0 offset:668
	buffer_load_dword v98, off, s[0:3], 0 offset:644
	;; [unrolled: 1-line block ×3, first 2 shown]
	ds_read_b128 v[6:9], v1 offset:1296
	s_clause 0x4
	buffer_load_dword v104, off, s[0:3], 0 offset:684
	buffer_load_dword v105, off, s[0:3], 0 offset:696
	;; [unrolled: 1-line block ×5, first 2 shown]
	s_mov_b32 s4, exec_lo
	s_waitcnt vmcnt(62) lgkmcnt(1)
	v_mul_f64 v[99:100], v[4:5], v[10:11]
	v_mul_f64 v[101:102], v[2:3], v[10:11]
	s_waitcnt vmcnt(60) lgkmcnt(0)
	v_mul_f64 v[108:109], v[8:9], v[14:15]
	ds_read_b128 v[10:13], v1 offset:1312
	v_mul_f64 v[14:15], v[6:7], v[14:15]
	s_waitcnt vmcnt(58)
	v_fma_f64 v[99:100], v[2:3], v[16:17], -v[99:100]
	v_fma_f64 v[16:17], v[4:5], v[16:17], v[101:102]
	s_clause 0x2
	buffer_load_dword v106, off, s[0:3], 0 offset:700
	buffer_load_dword v102, off, s[0:3], 0 offset:676
	;; [unrolled: 1-line block ×3, first 2 shown]
	s_waitcnt vmcnt(59) lgkmcnt(0)
	v_mul_f64 v[110:111], v[10:11], v[18:19]
	v_mul_f64 v[18:19], v[12:13], v[18:19]
	s_waitcnt vmcnt(57)
	v_fma_f64 v[112:113], v[6:7], v[20:21], -v[108:109]
	ds_read_b128 v[2:5], v1 offset:1328
	v_fma_f64 v[14:15], v[8:9], v[20:21], v[14:15]
	s_clause 0x4
	buffer_load_dword v21, off, s[0:3], 0 offset:716
	buffer_load_dword v109, off, s[0:3], 0 offset:728
	;; [unrolled: 1-line block ×5, first 2 shown]
	ds_read_b128 v[6:9], v1 offset:1344
	v_add_f64 v[99:100], v[99:100], 0
	v_add_f64 v[16:17], v[16:17], 0
	s_waitcnt vmcnt(58) lgkmcnt(1)
	v_mul_f64 v[115:116], v[2:3], v[22:23]
	v_mul_f64 v[22:23], v[4:5], v[22:23]
	s_waitcnt vmcnt(56)
	v_fma_f64 v[18:19], v[10:11], v[28:29], -v[18:19]
	v_fma_f64 v[28:29], v[12:13], v[28:29], v[110:111]
	v_add_f64 v[99:100], v[99:100], v[112:113]
	v_add_f64 v[14:15], v[16:17], v[14:15]
	s_clause 0x2
	buffer_load_dword v110, off, s[0:3], 0 offset:732
	buffer_load_dword v17, off, s[0:3], 0 offset:708
	;; [unrolled: 1-line block ×3, first 2 shown]
	s_waitcnt vmcnt(58) lgkmcnt(0)
	v_mul_f64 v[111:112], v[6:7], v[24:25]
	v_mul_f64 v[24:25], v[8:9], v[24:25]
	s_waitcnt vmcnt(56)
	v_fma_f64 v[22:23], v[2:3], v[30:31], -v[22:23]
	ds_read_b128 v[10:13], v1 offset:1360
	v_fma_f64 v[30:31], v[4:5], v[30:31], v[115:116]
	v_add_f64 v[18:19], v[99:100], v[18:19]
	v_add_f64 v[14:15], v[14:15], v[28:29]
	s_clause 0x4
	buffer_load_dword v29, off, s[0:3], 0 offset:748
	buffer_load_dword v99, off, s[0:3], 0 offset:760
	buffer_load_dword v116, off, s[0:3], 0 offset:752
	buffer_load_dword v28, off, s[0:3], 0 offset:744
	buffer_load_dword v115, off, s[0:3], 0 offset:724
	ds_read_b128 v[2:5], v1 offset:1376
	s_waitcnt vmcnt(57) lgkmcnt(1)
	v_mul_f64 v[117:118], v[10:11], v[32:33]
	v_mul_f64 v[32:33], v[12:13], v[32:33]
	s_waitcnt vmcnt(56)
	v_fma_f64 v[24:25], v[6:7], v[26:27], -v[24:25]
	v_add_f64 v[18:19], v[18:19], v[22:23]
	v_fma_f64 v[22:23], v[8:9], v[26:27], v[111:112]
	v_add_f64 v[14:15], v[14:15], v[30:31]
	s_clause 0x2
	buffer_load_dword v100, off, s[0:3], 0 offset:764
	buffer_load_dword v27, off, s[0:3], 0 offset:740
	;; [unrolled: 1-line block ×3, first 2 shown]
	s_waitcnt vmcnt(58) lgkmcnt(0)
	v_mul_f64 v[30:31], v[2:3], v[34:35]
	v_mul_f64 v[34:35], v[4:5], v[34:35]
	s_waitcnt vmcnt(56)
	v_fma_f64 v[32:33], v[10:11], v[38:39], -v[32:33]
	ds_read_b128 v[6:9], v1 offset:1392
	v_add_f64 v[18:19], v[18:19], v[24:25]
	v_fma_f64 v[24:25], v[12:13], v[38:39], v[117:118]
	v_add_f64 v[14:15], v[14:15], v[22:23]
	s_clause 0x4
	buffer_load_dword v23, off, s[0:3], 0 offset:780
	buffer_load_dword v38, off, s[0:3], 0 offset:792
	;; [unrolled: 1-line block ×5, first 2 shown]
	ds_read_b128 v[10:13], v1 offset:1408
	s_waitcnt vmcnt(57) lgkmcnt(1)
	v_mul_f64 v[112:113], v[6:7], v[40:41]
	v_mul_f64 v[40:41], v[8:9], v[40:41]
	s_waitcnt vmcnt(56)
	v_fma_f64 v[34:35], v[2:3], v[36:37], -v[34:35]
	v_fma_f64 v[30:31], v[4:5], v[36:37], v[30:31]
	v_add_f64 v[18:19], v[18:19], v[32:33]
	v_add_f64 v[14:15], v[14:15], v[24:25]
	s_clause 0x2
	buffer_load_dword v39, off, s[0:3], 0 offset:796
	buffer_load_dword v25, off, s[0:3], 0 offset:772
	;; [unrolled: 1-line block ×3, first 2 shown]
	s_waitcnt vmcnt(58) lgkmcnt(0)
	v_mul_f64 v[36:37], v[12:13], v[42:43]
	ds_read_b128 v[2:5], v1 offset:1424
	s_waitcnt vmcnt(56)
	v_fma_f64 v[40:41], v[6:7], v[65:66], -v[40:41]
	v_mul_f64 v[32:33], v[10:11], v[42:43]
	v_add_f64 v[18:19], v[18:19], v[34:35]
	v_fma_f64 v[34:35], v[8:9], v[65:66], v[112:113]
	v_add_f64 v[14:15], v[14:15], v[30:31]
	s_clause 0x4
	buffer_load_dword v31, off, s[0:3], 0 offset:812
	buffer_load_dword v42, off, s[0:3], 0 offset:824
	;; [unrolled: 1-line block ×5, first 2 shown]
	s_waitcnt vmcnt(57) lgkmcnt(0)
	v_mul_f64 v[118:119], v[2:3], v[67:68]
	v_mul_f64 v[66:67], v[4:5], v[67:68]
	s_waitcnt vmcnt(56)
	v_fma_f64 v[36:37], v[10:11], v[44:45], -v[36:37]
	ds_read_b128 v[6:9], v1 offset:1440
	v_fma_f64 v[32:33], v[12:13], v[44:45], v[32:33]
	v_add_f64 v[18:19], v[18:19], v[40:41]
	v_add_f64 v[14:15], v[14:15], v[34:35]
	s_clause 0x2
	buffer_load_dword v43, off, s[0:3], 0 offset:828
	buffer_load_dword v35, off, s[0:3], 0 offset:804
	;; [unrolled: 1-line block ×3, first 2 shown]
	ds_read_b128 v[10:13], v1 offset:1456
	s_waitcnt vmcnt(58) lgkmcnt(1)
	v_mul_f64 v[44:45], v[8:9], v[73:74]
	s_waitcnt vmcnt(56)
	v_fma_f64 v[67:68], v[2:3], v[81:82], -v[66:67]
	v_mul_f64 v[40:41], v[6:7], v[73:74]
	v_add_f64 v[18:19], v[18:19], v[36:37]
	v_fma_f64 v[36:37], v[4:5], v[81:82], v[118:119]
	v_add_f64 v[14:15], v[14:15], v[32:33]
	s_clause 0x4
	buffer_load_dword v33, off, s[0:3], 0 offset:844
	buffer_load_dword v73, off, s[0:3], 0 offset:856
	;; [unrolled: 1-line block ×5, first 2 shown]
	s_waitcnt vmcnt(57) lgkmcnt(0)
	v_mul_f64 v[118:119], v[10:11], v[83:84]
	v_mul_f64 v[82:83], v[12:13], v[83:84]
	s_waitcnt vmcnt(56)
	v_fma_f64 v[44:45], v[6:7], v[75:76], -v[44:45]
	ds_read_b128 v[2:5], v1 offset:1472
	v_fma_f64 v[40:41], v[8:9], v[75:76], v[40:41]
	v_add_f64 v[18:19], v[18:19], v[67:68]
	v_add_f64 v[14:15], v[14:15], v[36:37]
	s_clause 0x2
	buffer_load_dword v74, off, s[0:3], 0 offset:860
	buffer_load_dword v37, off, s[0:3], 0 offset:836
	;; [unrolled: 1-line block ×3, first 2 shown]
	ds_read_b128 v[6:9], v1 offset:1488
	s_waitcnt vmcnt(58) lgkmcnt(1)
	v_mul_f64 v[75:76], v[4:5], v[85:86]
	s_waitcnt vmcnt(56)
	v_fma_f64 v[83:84], v[10:11], v[89:90], -v[82:83]
	v_mul_f64 v[67:68], v[2:3], v[85:86]
	v_add_f64 v[18:19], v[18:19], v[44:45]
	v_fma_f64 v[44:45], v[12:13], v[89:90], v[118:119]
	v_add_f64 v[14:15], v[14:15], v[40:41]
	s_clause 0x2
	buffer_load_dword v41, off, s[0:3], 0 offset:876
	buffer_load_dword v40, off, s[0:3], 0 offset:872
	buffer_load_dword v82, off, s[0:3], 0 offset:852
	s_waitcnt vmcnt(55) lgkmcnt(0)
	v_mul_f64 v[89:90], v[8:9], v[91:92]
	s_waitcnt vmcnt(54)
	v_fma_f64 v[75:76], v[2:3], v[87:88], -v[75:76]
	ds_read_b128 v[10:13], v1 offset:1504
	v_mul_f64 v[85:86], v[6:7], v[91:92]
	v_fma_f64 v[67:68], v[4:5], v[87:88], v[67:68]
	v_add_f64 v[18:19], v[18:19], v[83:84]
	v_add_f64 v[14:15], v[14:15], v[44:45]
	s_clause 0x1
	buffer_load_dword v45, off, s[0:3], 0 offset:868
	buffer_load_dword v44, off, s[0:3], 0 offset:864
	s_waitcnt vmcnt(55) lgkmcnt(0)
	v_mul_f64 v[87:88], v[12:13], v[93:94]
	s_waitcnt vmcnt(53)
	v_fma_f64 v[89:90], v[6:7], v[97:98], -v[89:90]
	ds_read_b128 v[2:5], v1 offset:1520
	v_mul_f64 v[83:84], v[10:11], v[93:94]
	v_add_f64 v[18:19], v[18:19], v[75:76]
	v_fma_f64 v[75:76], v[8:9], v[97:98], v[85:86]
	v_add_f64 v[14:15], v[14:15], v[67:68]
	ds_read_b128 v[6:9], v1 offset:1536
	s_waitcnt vmcnt(49) lgkmcnt(1)
	v_mul_f64 v[85:86], v[4:5], v[103:104]
	s_waitcnt vmcnt(48)
	v_fma_f64 v[87:88], v[10:11], v[95:96], -v[87:88]
	v_mul_f64 v[67:68], v[2:3], v[103:104]
	v_fma_f64 v[83:84], v[12:13], v[95:96], v[83:84]
	v_add_f64 v[18:19], v[18:19], v[89:90]
	v_add_f64 v[14:15], v[14:15], v[75:76]
	s_clause 0x3
	buffer_load_dword v75, off, s[0:3], 0 offset:416
	buffer_load_dword v76, off, s[0:3], 0 offset:420
	;; [unrolled: 1-line block ×4, first 2 shown]
	ds_read_b128 v[10:13], v1 offset:1552
	s_waitcnt vmcnt(51) lgkmcnt(1)
	v_mul_f64 v[93:94], v[8:9], v[105:106]
	v_mul_f64 v[91:92], v[6:7], v[105:106]
	s_waitcnt vmcnt(49)
	v_fma_f64 v[85:86], v[2:3], v[101:102], -v[85:86]
	v_fma_f64 v[67:68], v[4:5], v[101:102], v[67:68]
	ds_read_b128 v[2:5], v1 offset:1568
	v_add_f64 v[18:19], v[18:19], v[87:88]
	v_add_f64 v[14:15], v[14:15], v[83:84]
	s_waitcnt vmcnt(45) lgkmcnt(1)
	v_mul_f64 v[83:84], v[10:11], v[20:21]
	v_mul_f64 v[20:21], v[12:13], v[20:21]
	s_waitcnt vmcnt(44)
	v_fma_f64 v[87:88], v[6:7], v[107:108], -v[93:94]
	v_add_f64 v[18:19], v[18:19], v[85:86]
	v_fma_f64 v[85:86], v[8:9], v[107:108], v[91:92]
	v_add_f64 v[14:15], v[14:15], v[67:68]
	ds_read_b128 v[6:9], v1 offset:1584
	s_waitcnt vmcnt(43) lgkmcnt(1)
	v_mul_f64 v[91:92], v[4:5], v[109:110]
	v_mul_f64 v[67:68], v[2:3], v[109:110]
	s_waitcnt vmcnt(41)
	v_fma_f64 v[20:21], v[10:11], v[16:17], -v[20:21]
	v_fma_f64 v[16:17], v[12:13], v[16:17], v[83:84]
	ds_read_b128 v[10:13], v1 offset:1600
	v_add_f64 v[18:19], v[18:19], v[87:88]
	v_add_f64 v[14:15], v[14:15], v[85:86]
	s_waitcnt vmcnt(37) lgkmcnt(1)
	v_mul_f64 v[83:84], v[6:7], v[28:29]
	v_mul_f64 v[28:29], v[8:9], v[28:29]
	s_waitcnt vmcnt(36)
	v_fma_f64 v[85:86], v[2:3], v[114:115], -v[91:92]
	v_add_f64 v[18:19], v[18:19], v[20:21]
	v_fma_f64 v[20:21], v[4:5], v[114:115], v[67:68]
	v_add_f64 v[14:15], v[14:15], v[16:17]
	ds_read_b128 v[2:5], v1 offset:1616
	s_waitcnt vmcnt(35) lgkmcnt(1)
	v_mul_f64 v[67:68], v[12:13], v[99:100]
	v_mul_f64 v[16:17], v[10:11], v[99:100]
	s_waitcnt vmcnt(33)
	v_fma_f64 v[28:29], v[6:7], v[26:27], -v[28:29]
	v_fma_f64 v[26:27], v[8:9], v[26:27], v[83:84]
	ds_read_b128 v[6:9], v1 offset:1632
	v_add_f64 v[18:19], v[18:19], v[85:86]
	v_add_f64 v[14:15], v[14:15], v[20:21]
	s_waitcnt vmcnt(29) lgkmcnt(1)
	v_mul_f64 v[20:21], v[2:3], v[22:23]
	v_mul_f64 v[22:23], v[4:5], v[22:23]
	s_waitcnt vmcnt(28)
	v_fma_f64 v[67:68], v[10:11], v[116:117], -v[67:68]
	v_fma_f64 v[16:17], v[12:13], v[116:117], v[16:17]
	ds_read_b128 v[10:13], v1 offset:1648
	v_add_f64 v[18:19], v[18:19], v[28:29]
	v_add_f64 v[14:15], v[14:15], v[26:27]
	;; [unrolled: 9-line block ×3, first 2 shown]
	s_waitcnt vmcnt(21) lgkmcnt(1)
	v_mul_f64 v[24:25], v[12:13], v[30:31]
	s_waitcnt vmcnt(20)
	v_fma_f64 v[28:29], v[6:7], v[111:112], -v[28:29]
	v_mul_f64 v[16:17], v[10:11], v[30:31]
	v_add_f64 v[18:19], v[18:19], v[22:23]
	v_fma_f64 v[22:23], v[8:9], v[111:112], v[26:27]
	v_add_f64 v[14:15], v[14:15], v[20:21]
	ds_read_b128 v[6:9], v1 offset:1680
	s_waitcnt vmcnt(19) lgkmcnt(1)
	v_mul_f64 v[26:27], v[4:5], v[42:43]
	v_mul_f64 v[20:21], v[2:3], v[42:43]
	s_waitcnt vmcnt(17)
	v_fma_f64 v[24:25], v[10:11], v[34:35], -v[24:25]
	v_fma_f64 v[16:17], v[12:13], v[34:35], v[16:17]
	ds_read_b128 v[10:13], v1 offset:1696
	v_add_f64 v[18:19], v[18:19], v[28:29]
	v_add_f64 v[14:15], v[14:15], v[22:23]
	s_waitcnt vmcnt(13) lgkmcnt(1)
	v_mul_f64 v[28:29], v[8:9], v[32:33]
	s_waitcnt vmcnt(12)
	v_fma_f64 v[26:27], v[2:3], v[65:66], -v[26:27]
	v_mul_f64 v[22:23], v[6:7], v[32:33]
	v_fma_f64 v[20:21], v[4:5], v[65:66], v[20:21]
	ds_read_b128 v[1:4], v1 offset:1712
	v_add_f64 v[18:19], v[18:19], v[24:25]
	v_add_f64 v[14:15], v[14:15], v[16:17]
	s_waitcnt vmcnt(11) lgkmcnt(1)
	v_mul_f64 v[24:25], v[12:13], v[73:74]
	v_mul_f64 v[16:17], v[10:11], v[73:74]
	s_waitcnt vmcnt(9)
	v_fma_f64 v[5:6], v[6:7], v[36:37], -v[28:29]
	v_fma_f64 v[7:8], v[8:9], v[36:37], v[22:23]
	v_add_f64 v[18:19], v[18:19], v[26:27]
	v_add_f64 v[14:15], v[14:15], v[20:21]
	s_waitcnt vmcnt(7) lgkmcnt(0)
	v_mul_f64 v[22:23], v[3:4], v[40:41]
	s_waitcnt vmcnt(6)
	v_fma_f64 v[9:10], v[10:11], v[81:82], -v[24:25]
	v_mul_f64 v[20:21], v[1:2], v[40:41]
	v_fma_f64 v[11:12], v[12:13], v[81:82], v[16:17]
	v_add_f64 v[5:6], v[18:19], v[5:6]
	v_add_f64 v[7:8], v[14:15], v[7:8]
	s_waitcnt vmcnt(4)
	v_fma_f64 v[1:2], v[1:2], v[44:45], -v[22:23]
	v_fma_f64 v[3:4], v[3:4], v[44:45], v[20:21]
	v_add_f64 v[5:6], v[5:6], v[9:10]
	v_add_f64 v[7:8], v[7:8], v[11:12]
	;; [unrolled: 1-line block ×4, first 2 shown]
	s_waitcnt vmcnt(2)
	v_add_f64 v[1:2], v[75:76], -v[1:2]
	s_waitcnt vmcnt(0)
	v_add_f64 v[3:4], v[89:90], -v[3:4]
	buffer_store_dword v2, off, s[0:3], 0 offset:420
	buffer_store_dword v1, off, s[0:3], 0 offset:416
	;; [unrolled: 1-line block ×4, first 2 shown]
	v_cmpx_lt_u32_e32 24, v0
	s_cbranch_execz .LBB53_289
; %bb.288:
	v_mov_b32_e32 v4, s42
	v_mov_b32_e32 v5, 0
	s_clause 0x3
	buffer_load_dword v1, v4, s[0:3], 0 offen
	buffer_load_dword v2, v4, s[0:3], 0 offen offset:4
	buffer_load_dword v3, v4, s[0:3], 0 offen offset:8
	;; [unrolled: 1-line block ×3, first 2 shown]
	buffer_store_dword v5, off, s[0:3], 0 offset:400
	buffer_store_dword v5, off, s[0:3], 0 offset:404
	;; [unrolled: 1-line block ×4, first 2 shown]
	s_waitcnt vmcnt(0)
	ds_write_b128 v47, v[1:4]
.LBB53_289:
	s_or_b32 exec_lo, exec_lo, s4
	s_waitcnt lgkmcnt(0)
	s_waitcnt_vscnt null, 0x0
	s_barrier
	buffer_gl0_inv
	s_clause 0x37
	buffer_load_dword v9, off, s[0:3], 0 offset:424
	buffer_load_dword v10, off, s[0:3], 0 offset:428
	;; [unrolled: 1-line block ×56, first 2 shown]
	v_mov_b32_e32 v11, 0
	s_mov_b32 s4, exec_lo
	ds_read_b128 v[5:8], v11 offset:1264
	s_clause 0x2
	buffer_load_dword v96, off, s[0:3], 0 offset:652
	buffer_load_dword v100, off, s[0:3], 0 offset:628
	;; [unrolled: 1-line block ×3, first 2 shown]
	ds_read_b128 v[12:15], v11 offset:1280
	s_clause 0x4
	buffer_load_dword v104, off, s[0:3], 0 offset:668
	buffer_load_dword v105, off, s[0:3], 0 offset:680
	;; [unrolled: 1-line block ×5, first 2 shown]
	ds_read_b128 v[16:19], v11 offset:1296
	s_waitcnt vmcnt(62) lgkmcnt(2)
	v_mul_f64 v[101:102], v[7:8], v[9:10]
	v_mul_f64 v[9:10], v[5:6], v[9:10]
	s_waitcnt vmcnt(60) lgkmcnt(1)
	v_mul_f64 v[108:109], v[14:15], v[20:21]
	v_mul_f64 v[20:21], v[12:13], v[20:21]
	;; [unrolled: 3-line block ×3, first 2 shown]
	v_fma_f64 v[101:102], v[5:6], v[22:23], -v[101:102]
	v_fma_f64 v[9:10], v[7:8], v[22:23], v[9:10]
	s_clause 0x2
	buffer_load_dword v106, off, s[0:3], 0 offset:684
	buffer_load_dword v23, off, s[0:3], 0 offset:660
	;; [unrolled: 1-line block ×3, first 2 shown]
	s_waitcnt vmcnt(57)
	v_fma_f64 v[12:13], v[12:13], v[1:2], -v[108:109]
	ds_read_b128 v[5:8], v11 offset:1312
	v_fma_f64 v[14:15], v[14:15], v[1:2], v[20:21]
	s_clause 0x4
	buffer_load_dword v21, off, s[0:3], 0 offset:700
	buffer_load_dword v109, off, s[0:3], 0 offset:712
	;; [unrolled: 1-line block ×5, first 2 shown]
	s_waitcnt vmcnt(56)
	v_fma_f64 v[16:17], v[16:17], v[30:31], -v[112:113]
	ds_read_b128 v[1:4], v11 offset:1328
	v_fma_f64 v[18:19], v[18:19], v[30:31], v[110:111]
	s_clause 0x2
	buffer_load_dword v110, off, s[0:3], 0 offset:716
	buffer_load_dword v31, off, s[0:3], 0 offset:692
	;; [unrolled: 1-line block ×3, first 2 shown]
	v_add_f64 v[101:102], v[101:102], 0
	v_add_f64 v[9:10], v[9:10], 0
	s_waitcnt lgkmcnt(1)
	v_mul_f64 v[115:116], v[5:6], v[24:25]
	v_mul_f64 v[24:25], v[7:8], v[24:25]
	s_waitcnt vmcnt(58) lgkmcnt(0)
	v_mul_f64 v[111:112], v[1:2], v[26:27]
	v_mul_f64 v[26:27], v[3:4], v[26:27]
	v_add_f64 v[101:102], v[101:102], v[12:13]
	v_add_f64 v[9:10], v[9:10], v[14:15]
	ds_read_b128 v[12:15], v11 offset:1344
	s_waitcnt vmcnt(56)
	v_fma_f64 v[24:25], v[5:6], v[32:33], -v[24:25]
	v_fma_f64 v[32:33], v[7:8], v[32:33], v[115:116]
	s_waitcnt vmcnt(51)
	v_fma_f64 v[26:27], v[1:2], v[28:29], -v[26:27]
	s_waitcnt lgkmcnt(0)
	v_mul_f64 v[117:118], v[12:13], v[34:35]
	v_add_f64 v[16:17], v[101:102], v[16:17]
	v_add_f64 v[9:10], v[9:10], v[18:19]
	s_clause 0x4
	buffer_load_dword v19, off, s[0:3], 0 offset:732
	buffer_load_dword v101, off, s[0:3], 0 offset:744
	;; [unrolled: 1-line block ×5, first 2 shown]
	v_mul_f64 v[34:35], v[14:15], v[34:35]
	ds_read_b128 v[5:8], v11 offset:1360
	v_add_f64 v[16:17], v[16:17], v[24:25]
	v_fma_f64 v[24:25], v[3:4], v[28:29], v[111:112]
	v_add_f64 v[9:10], v[9:10], v[32:33]
	s_clause 0x2
	buffer_load_dword v102, off, s[0:3], 0 offset:748
	buffer_load_dword v29, off, s[0:3], 0 offset:724
	;; [unrolled: 1-line block ×3, first 2 shown]
	s_waitcnt vmcnt(58) lgkmcnt(0)
	v_mul_f64 v[32:33], v[5:6], v[36:37]
	v_mul_f64 v[36:37], v[7:8], v[36:37]
	s_waitcnt vmcnt(56)
	v_fma_f64 v[34:35], v[12:13], v[40:41], -v[34:35]
	ds_read_b128 v[1:4], v11 offset:1376
	v_add_f64 v[16:17], v[16:17], v[26:27]
	v_fma_f64 v[26:27], v[14:15], v[40:41], v[117:118]
	v_add_f64 v[9:10], v[9:10], v[24:25]
	s_clause 0x4
	buffer_load_dword v25, off, s[0:3], 0 offset:764
	buffer_load_dword v40, off, s[0:3], 0 offset:776
	;; [unrolled: 1-line block ×5, first 2 shown]
	ds_read_b128 v[12:15], v11 offset:1392
	s_waitcnt vmcnt(57) lgkmcnt(1)
	v_mul_f64 v[112:113], v[1:2], v[42:43]
	v_mul_f64 v[42:43], v[3:4], v[42:43]
	s_waitcnt vmcnt(56)
	v_fma_f64 v[36:37], v[5:6], v[38:39], -v[36:37]
	v_fma_f64 v[32:33], v[7:8], v[38:39], v[32:33]
	v_add_f64 v[16:17], v[16:17], v[34:35]
	v_add_f64 v[9:10], v[9:10], v[26:27]
	s_clause 0x2
	buffer_load_dword v41, off, s[0:3], 0 offset:780
	buffer_load_dword v27, off, s[0:3], 0 offset:756
	;; [unrolled: 1-line block ×3, first 2 shown]
	s_waitcnt vmcnt(58) lgkmcnt(0)
	v_mul_f64 v[38:39], v[14:15], v[44:45]
	ds_read_b128 v[5:8], v11 offset:1408
	s_waitcnt vmcnt(56)
	v_fma_f64 v[42:43], v[1:2], v[67:68], -v[42:43]
	v_mul_f64 v[34:35], v[12:13], v[44:45]
	v_add_f64 v[16:17], v[16:17], v[36:37]
	v_fma_f64 v[36:37], v[3:4], v[67:68], v[112:113]
	v_add_f64 v[9:10], v[9:10], v[32:33]
	s_clause 0x4
	buffer_load_dword v33, off, s[0:3], 0 offset:796
	buffer_load_dword v44, off, s[0:3], 0 offset:808
	buffer_load_dword v67, off, s[0:3], 0 offset:800
	buffer_load_dword v32, off, s[0:3], 0 offset:792
	buffer_load_dword v112, off, s[0:3], 0 offset:772
	s_waitcnt vmcnt(57) lgkmcnt(0)
	v_mul_f64 v[118:119], v[5:6], v[73:74]
	v_mul_f64 v[73:74], v[7:8], v[73:74]
	s_waitcnt vmcnt(56)
	v_fma_f64 v[38:39], v[12:13], v[65:66], -v[38:39]
	ds_read_b128 v[1:4], v11 offset:1424
	v_fma_f64 v[34:35], v[14:15], v[65:66], v[34:35]
	v_add_f64 v[16:17], v[16:17], v[42:43]
	v_add_f64 v[9:10], v[9:10], v[36:37]
	s_clause 0x2
	buffer_load_dword v45, off, s[0:3], 0 offset:812
	buffer_load_dword v37, off, s[0:3], 0 offset:788
	buffer_load_dword v36, off, s[0:3], 0 offset:784
	ds_read_b128 v[12:15], v11 offset:1440
	s_waitcnt vmcnt(58) lgkmcnt(1)
	v_mul_f64 v[65:66], v[3:4], v[75:76]
	s_waitcnt vmcnt(56)
	v_fma_f64 v[73:74], v[5:6], v[83:84], -v[73:74]
	v_mul_f64 v[42:43], v[1:2], v[75:76]
	v_add_f64 v[16:17], v[16:17], v[38:39]
	v_fma_f64 v[38:39], v[7:8], v[83:84], v[118:119]
	v_add_f64 v[9:10], v[9:10], v[34:35]
	s_clause 0x4
	buffer_load_dword v35, off, s[0:3], 0 offset:828
	buffer_load_dword v75, off, s[0:3], 0 offset:840
	buffer_load_dword v83, off, s[0:3], 0 offset:832
	buffer_load_dword v34, off, s[0:3], 0 offset:824
	buffer_load_dword v68, off, s[0:3], 0 offset:804
	s_waitcnt vmcnt(57) lgkmcnt(0)
	v_mul_f64 v[118:119], v[12:13], v[85:86]
	v_mul_f64 v[84:85], v[14:15], v[85:86]
	s_waitcnt vmcnt(56)
	v_fma_f64 v[65:66], v[1:2], v[81:82], -v[65:66]
	ds_read_b128 v[5:8], v11 offset:1456
	v_fma_f64 v[42:43], v[3:4], v[81:82], v[42:43]
	v_add_f64 v[16:17], v[16:17], v[73:74]
	v_add_f64 v[9:10], v[9:10], v[38:39]
	s_clause 0x2
	buffer_load_dword v76, off, s[0:3], 0 offset:844
	buffer_load_dword v39, off, s[0:3], 0 offset:820
	buffer_load_dword v38, off, s[0:3], 0 offset:816
	ds_read_b128 v[1:4], v11 offset:1472
	s_waitcnt vmcnt(58) lgkmcnt(1)
	v_mul_f64 v[81:82], v[7:8], v[87:88]
	;; [unrolled: 28-line block ×3, first 2 shown]
	s_waitcnt vmcnt(56)
	v_fma_f64 v[93:94], v[1:2], v[99:100], -v[92:93]
	v_mul_f64 v[85:86], v[12:13], v[95:96]
	buffer_load_dword v92, off, s[0:3], 0 offset:868
	v_add_f64 v[16:17], v[16:17], v[81:82]
	v_fma_f64 v[81:82], v[3:4], v[99:100], v[118:119]
	v_add_f64 v[9:10], v[9:10], v[73:74]
	ds_read_b128 v[1:4], v11 offset:1520
	s_waitcnt vmcnt(53) lgkmcnt(1)
	v_mul_f64 v[95:96], v[7:8], v[103:104]
	s_waitcnt vmcnt(52)
	v_fma_f64 v[89:90], v[12:13], v[97:98], -v[89:90]
	v_mul_f64 v[73:74], v[5:6], v[103:104]
	v_fma_f64 v[85:86], v[14:15], v[97:98], v[85:86]
	ds_read_b128 v[12:15], v11 offset:1536
	v_add_f64 v[16:17], v[16:17], v[93:94]
	v_add_f64 v[9:10], v[9:10], v[81:82]
	s_waitcnt vmcnt(51) lgkmcnt(1)
	v_mul_f64 v[93:94], v[3:4], v[105:106]
	v_mul_f64 v[81:82], v[1:2], v[105:106]
	s_waitcnt vmcnt(49)
	v_fma_f64 v[95:96], v[5:6], v[22:23], -v[95:96]
	v_fma_f64 v[22:23], v[7:8], v[22:23], v[73:74]
	v_add_f64 v[16:17], v[16:17], v[89:90]
	s_waitcnt vmcnt(45) lgkmcnt(0)
	v_mul_f64 v[89:90], v[12:13], v[20:21]
	v_add_f64 v[9:10], v[9:10], v[85:86]
	s_clause 0x3
	buffer_load_dword v73, off, s[0:3], 0 offset:400
	buffer_load_dword v74, off, s[0:3], 0 offset:404
	;; [unrolled: 1-line block ×4, first 2 shown]
	v_mul_f64 v[20:21], v[14:15], v[20:21]
	ds_read_b128 v[5:8], v11 offset:1552
	s_waitcnt vmcnt(48)
	v_fma_f64 v[93:94], v[1:2], v[107:108], -v[93:94]
	v_fma_f64 v[81:82], v[3:4], v[107:108], v[81:82]
	ds_read_b128 v[1:4], v11 offset:1568
	v_add_f64 v[16:17], v[16:17], v[95:96]
	v_add_f64 v[9:10], v[9:10], v[22:23]
	s_waitcnt vmcnt(47) lgkmcnt(1)
	v_mul_f64 v[95:96], v[7:8], v[109:110]
	s_waitcnt vmcnt(45)
	v_fma_f64 v[20:21], v[12:13], v[30:31], -v[20:21]
	v_mul_f64 v[22:23], v[5:6], v[109:110]
	v_fma_f64 v[30:31], v[14:15], v[30:31], v[89:90]
	ds_read_b128 v[12:15], v11 offset:1584
	v_add_f64 v[16:17], v[16:17], v[93:94]
	v_add_f64 v[9:10], v[9:10], v[81:82]
	s_waitcnt vmcnt(41) lgkmcnt(1)
	v_mul_f64 v[81:82], v[1:2], v[18:19]
	v_mul_f64 v[18:19], v[3:4], v[18:19]
	s_waitcnt vmcnt(40)
	v_fma_f64 v[89:90], v[5:6], v[114:115], -v[95:96]
	v_add_f64 v[16:17], v[16:17], v[20:21]
	v_fma_f64 v[20:21], v[7:8], v[114:115], v[22:23]
	v_add_f64 v[9:10], v[9:10], v[30:31]
	ds_read_b128 v[5:8], v11 offset:1600
	s_waitcnt vmcnt(39) lgkmcnt(1)
	v_mul_f64 v[30:31], v[14:15], v[101:102]
	v_mul_f64 v[22:23], v[12:13], v[101:102]
	s_waitcnt vmcnt(37)
	v_fma_f64 v[18:19], v[1:2], v[28:29], -v[18:19]
	v_fma_f64 v[28:29], v[3:4], v[28:29], v[81:82]
	ds_read_b128 v[1:4], v11 offset:1616
	v_add_f64 v[16:17], v[16:17], v[89:90]
	v_add_f64 v[9:10], v[9:10], v[20:21]
	s_waitcnt vmcnt(33) lgkmcnt(1)
	v_mul_f64 v[20:21], v[5:6], v[24:25]
	v_mul_f64 v[24:25], v[7:8], v[24:25]
	s_waitcnt vmcnt(32)
	v_fma_f64 v[30:31], v[12:13], v[116:117], -v[30:31]
	v_add_f64 v[16:17], v[16:17], v[18:19]
	v_fma_f64 v[18:19], v[14:15], v[116:117], v[22:23]
	v_add_f64 v[9:10], v[9:10], v[28:29]
	ds_read_b128 v[12:15], v11 offset:1632
	s_waitcnt vmcnt(31) lgkmcnt(1)
	v_mul_f64 v[28:29], v[3:4], v[40:41]
	v_mul_f64 v[22:23], v[1:2], v[40:41]
	s_waitcnt vmcnt(29)
	v_fma_f64 v[24:25], v[5:6], v[26:27], -v[24:25]
	v_fma_f64 v[20:21], v[7:8], v[26:27], v[20:21]
	ds_read_b128 v[5:8], v11 offset:1648
	v_add_f64 v[16:17], v[16:17], v[30:31]
	v_add_f64 v[9:10], v[9:10], v[18:19]
	s_waitcnt vmcnt(25) lgkmcnt(1)
	v_mul_f64 v[26:27], v[14:15], v[32:33]
	s_waitcnt vmcnt(24)
	v_fma_f64 v[28:29], v[1:2], v[111:112], -v[28:29]
	v_mul_f64 v[18:19], v[12:13], v[32:33]
	v_fma_f64 v[22:23], v[3:4], v[111:112], v[22:23]
	ds_read_b128 v[1:4], v11 offset:1664
	v_add_f64 v[16:17], v[16:17], v[24:25]
	v_add_f64 v[9:10], v[9:10], v[20:21]
	s_waitcnt vmcnt(23) lgkmcnt(1)
	v_mul_f64 v[24:25], v[7:8], v[44:45]
	v_mul_f64 v[20:21], v[5:6], v[44:45]
	s_waitcnt vmcnt(21)
	v_fma_f64 v[26:27], v[12:13], v[36:37], -v[26:27]
	v_fma_f64 v[18:19], v[14:15], v[36:37], v[18:19]
	ds_read_b128 v[12:15], v11 offset:1680
	v_add_f64 v[16:17], v[16:17], v[28:29]
	v_add_f64 v[9:10], v[9:10], v[22:23]
	s_waitcnt vmcnt(17) lgkmcnt(1)
	v_mul_f64 v[28:29], v[3:4], v[34:35]
	s_waitcnt vmcnt(16)
	v_fma_f64 v[24:25], v[5:6], v[67:68], -v[24:25]
	v_mul_f64 v[22:23], v[1:2], v[34:35]
	v_fma_f64 v[20:21], v[7:8], v[67:68], v[20:21]
	ds_read_b128 v[5:8], v11 offset:1696
	v_add_f64 v[16:17], v[16:17], v[26:27]
	v_add_f64 v[9:10], v[9:10], v[18:19]
	s_waitcnt vmcnt(15) lgkmcnt(1)
	v_mul_f64 v[26:27], v[14:15], v[75:76]
	v_mul_f64 v[18:19], v[12:13], v[75:76]
	s_waitcnt vmcnt(13)
	v_fma_f64 v[28:29], v[1:2], v[38:39], -v[28:29]
	v_fma_f64 v[22:23], v[3:4], v[38:39], v[22:23]
	ds_read_b128 v[1:4], v11 offset:1712
	v_add_f64 v[16:17], v[16:17], v[24:25]
	v_add_f64 v[9:10], v[9:10], v[20:21]
	s_waitcnt vmcnt(9) lgkmcnt(1)
	v_mul_f64 v[24:25], v[7:8], v[42:43]
	s_waitcnt vmcnt(8)
	v_fma_f64 v[12:13], v[12:13], v[83:84], -v[26:27]
	v_mul_f64 v[20:21], v[5:6], v[42:43]
	v_fma_f64 v[14:15], v[14:15], v[83:84], v[18:19]
	v_add_f64 v[16:17], v[16:17], v[28:29]
	v_add_f64 v[9:10], v[9:10], v[22:23]
	s_waitcnt vmcnt(7) lgkmcnt(0)
	v_mul_f64 v[22:23], v[3:4], v[87:88]
	v_mul_f64 v[18:19], v[1:2], v[87:88]
	s_waitcnt vmcnt(5)
	v_fma_f64 v[5:6], v[5:6], v[65:66], -v[24:25]
	v_fma_f64 v[7:8], v[7:8], v[65:66], v[20:21]
	v_add_f64 v[12:13], v[16:17], v[12:13]
	v_add_f64 v[9:10], v[9:10], v[14:15]
	s_waitcnt vmcnt(4)
	v_fma_f64 v[1:2], v[1:2], v[91:92], -v[22:23]
	v_fma_f64 v[3:4], v[3:4], v[91:92], v[18:19]
	v_add_f64 v[5:6], v[12:13], v[5:6]
	v_add_f64 v[7:8], v[9:10], v[7:8]
	;; [unrolled: 1-line block ×4, first 2 shown]
	s_waitcnt vmcnt(2)
	v_add_f64 v[1:2], v[73:74], -v[1:2]
	s_waitcnt vmcnt(0)
	v_add_f64 v[3:4], v[85:86], -v[3:4]
	buffer_store_dword v2, off, s[0:3], 0 offset:404
	buffer_store_dword v1, off, s[0:3], 0 offset:400
	;; [unrolled: 1-line block ×4, first 2 shown]
	v_cmpx_lt_u32_e32 23, v0
	s_cbranch_execz .LBB53_291
; %bb.290:
	v_mov_b32_e32 v4, s43
	s_clause 0x3
	buffer_load_dword v1, v4, s[0:3], 0 offen
	buffer_load_dword v2, v4, s[0:3], 0 offen offset:4
	buffer_load_dword v3, v4, s[0:3], 0 offen offset:8
	;; [unrolled: 1-line block ×3, first 2 shown]
	buffer_store_dword v11, off, s[0:3], 0 offset:384
	buffer_store_dword v11, off, s[0:3], 0 offset:388
	buffer_store_dword v11, off, s[0:3], 0 offset:392
	buffer_store_dword v11, off, s[0:3], 0 offset:396
	s_waitcnt vmcnt(0)
	ds_write_b128 v47, v[1:4]
.LBB53_291:
	s_or_b32 exec_lo, exec_lo, s4
	s_waitcnt lgkmcnt(0)
	s_waitcnt_vscnt null, 0x0
	s_barrier
	buffer_gl0_inv
	s_clause 0x37
	buffer_load_dword v9, off, s[0:3], 0 offset:408
	buffer_load_dword v10, off, s[0:3], 0 offset:412
	;; [unrolled: 1-line block ×56, first 2 shown]
	ds_read_b128 v[12:15], v11 offset:1248
	s_clause 0x2
	buffer_load_dword v96, off, s[0:3], 0 offset:636
	buffer_load_dword v100, off, s[0:3], 0 offset:612
	buffer_load_dword v99, off, s[0:3], 0 offset:608
	ds_read_b128 v[16:19], v11 offset:1264
	s_clause 0x4
	buffer_load_dword v104, off, s[0:3], 0 offset:652
	buffer_load_dword v105, off, s[0:3], 0 offset:664
	buffer_load_dword v107, off, s[0:3], 0 offset:656
	buffer_load_dword v103, off, s[0:3], 0 offset:648
	buffer_load_dword v98, off, s[0:3], 0 offset:628
	ds_read_b128 v[20:23], v11 offset:1280
	s_clause 0x2
	buffer_load_dword v106, off, s[0:3], 0 offset:668
	buffer_load_dword v111, off, s[0:3], 0 offset:644
	;; [unrolled: 1-line block ×3, first 2 shown]
	s_mov_b32 s4, exec_lo
	s_waitcnt vmcnt(62) lgkmcnt(2)
	v_mul_f64 v[101:102], v[14:15], v[9:10]
	v_mul_f64 v[9:10], v[12:13], v[9:10]
	s_waitcnt lgkmcnt(1)
	v_mul_f64 v[108:109], v[18:19], v[5:6]
	s_waitcnt vmcnt(59) lgkmcnt(0)
	v_mul_f64 v[112:113], v[22:23], v[3:4]
	v_fma_f64 v[12:13], v[12:13], v[7:8], -v[101:102]
	v_mul_f64 v[101:102], v[16:17], v[5:6]
	v_fma_f64 v[9:10], v[14:15], v[7:8], v[9:10]
	s_waitcnt vmcnt(57)
	v_fma_f64 v[16:17], v[16:17], v[1:2], -v[108:109]
	ds_read_b128 v[5:8], v11 offset:1296
	v_mul_f64 v[14:15], v[20:21], v[3:4]
	s_waitcnt vmcnt(51)
	v_fma_f64 v[20:21], v[20:21], v[30:31], -v[112:113]
	v_add_f64 v[12:13], v[12:13], 0
	v_fma_f64 v[18:19], v[18:19], v[1:2], v[101:102]
	v_add_f64 v[9:10], v[9:10], 0
	s_clause 0x4
	buffer_load_dword v102, off, s[0:3], 0 offset:684
	buffer_load_dword v114, off, s[0:3], 0 offset:696
	;; [unrolled: 1-line block ×5, first 2 shown]
	s_waitcnt lgkmcnt(0)
	v_mul_f64 v[117:118], v[5:6], v[24:25]
	v_mul_f64 v[24:25], v[7:8], v[24:25]
	ds_read_b128 v[1:4], v11 offset:1312
	v_fma_f64 v[22:23], v[22:23], v[30:31], v[14:15]
	v_add_f64 v[16:17], v[12:13], v[16:17]
	v_add_f64 v[9:10], v[9:10], v[18:19]
	s_clause 0x2
	buffer_load_dword v115, off, s[0:3], 0 offset:700
	buffer_load_dword v19, off, s[0:3], 0 offset:676
	;; [unrolled: 1-line block ×3, first 2 shown]
	s_waitcnt vmcnt(58) lgkmcnt(0)
	v_mul_f64 v[30:31], v[1:2], v[26:27]
	v_mul_f64 v[26:27], v[3:4], v[26:27]
	s_waitcnt vmcnt(56)
	v_fma_f64 v[24:25], v[5:6], v[32:33], -v[24:25]
	ds_read_b128 v[12:15], v11 offset:1328
	v_add_f64 v[16:17], v[16:17], v[20:21]
	v_fma_f64 v[20:21], v[7:8], v[32:33], v[117:118]
	v_add_f64 v[9:10], v[9:10], v[22:23]
	s_clause 0x4
	buffer_load_dword v23, off, s[0:3], 0 offset:716
	buffer_load_dword v32, off, s[0:3], 0 offset:728
	;; [unrolled: 1-line block ×5, first 2 shown]
	ds_read_b128 v[5:8], v11 offset:1344
	s_waitcnt vmcnt(57) lgkmcnt(1)
	v_mul_f64 v[118:119], v[12:13], v[34:35]
	v_mul_f64 v[34:35], v[14:15], v[34:35]
	s_waitcnt vmcnt(56)
	v_fma_f64 v[26:27], v[1:2], v[28:29], -v[26:27]
	v_add_f64 v[16:17], v[16:17], v[24:25]
	v_fma_f64 v[24:25], v[3:4], v[28:29], v[30:31]
	v_add_f64 v[9:10], v[9:10], v[20:21]
	s_clause 0x2
	buffer_load_dword v33, off, s[0:3], 0 offset:732
	buffer_load_dword v21, off, s[0:3], 0 offset:708
	;; [unrolled: 1-line block ×3, first 2 shown]
	s_waitcnt vmcnt(58) lgkmcnt(0)
	v_mul_f64 v[30:31], v[7:8], v[36:37]
	ds_read_b128 v[1:4], v11 offset:1360
	s_waitcnt vmcnt(56)
	v_fma_f64 v[34:35], v[12:13], v[40:41], -v[34:35]
	v_mul_f64 v[28:29], v[5:6], v[36:37]
	v_add_f64 v[16:17], v[16:17], v[26:27]
	v_fma_f64 v[26:27], v[14:15], v[40:41], v[118:119]
	v_add_f64 v[9:10], v[9:10], v[24:25]
	s_clause 0x4
	buffer_load_dword v25, off, s[0:3], 0 offset:748
	buffer_load_dword v36, off, s[0:3], 0 offset:760
	buffer_load_dword v40, off, s[0:3], 0 offset:752
	buffer_load_dword v24, off, s[0:3], 0 offset:744
	buffer_load_dword v113, off, s[0:3], 0 offset:724
	s_waitcnt vmcnt(57) lgkmcnt(0)
	v_mul_f64 v[118:119], v[1:2], v[42:43]
	v_mul_f64 v[41:42], v[3:4], v[42:43]
	s_waitcnt vmcnt(56)
	v_fma_f64 v[30:31], v[5:6], v[38:39], -v[30:31]
	ds_read_b128 v[12:15], v11 offset:1376
	v_fma_f64 v[28:29], v[7:8], v[38:39], v[28:29]
	v_add_f64 v[16:17], v[16:17], v[34:35]
	v_add_f64 v[9:10], v[9:10], v[26:27]
	s_clause 0x2
	buffer_load_dword v37, off, s[0:3], 0 offset:764
	buffer_load_dword v27, off, s[0:3], 0 offset:740
	buffer_load_dword v26, off, s[0:3], 0 offset:736
	ds_read_b128 v[5:8], v11 offset:1392
	s_waitcnt vmcnt(58) lgkmcnt(1)
	v_mul_f64 v[38:39], v[14:15], v[44:45]
	s_waitcnt vmcnt(56)
	v_fma_f64 v[42:43], v[1:2], v[67:68], -v[41:42]
	v_mul_f64 v[34:35], v[12:13], v[44:45]
	v_add_f64 v[16:17], v[16:17], v[30:31]
	v_fma_f64 v[30:31], v[3:4], v[67:68], v[118:119]
	v_add_f64 v[9:10], v[9:10], v[28:29]
	s_clause 0x4
	buffer_load_dword v29, off, s[0:3], 0 offset:780
	buffer_load_dword v44, off, s[0:3], 0 offset:792
	buffer_load_dword v67, off, s[0:3], 0 offset:784
	buffer_load_dword v28, off, s[0:3], 0 offset:776
	buffer_load_dword v41, off, s[0:3], 0 offset:756
	s_waitcnt vmcnt(57) lgkmcnt(0)
	v_mul_f64 v[118:119], v[5:6], v[73:74]
	v_mul_f64 v[73:74], v[7:8], v[73:74]
	s_waitcnt vmcnt(56)
	v_fma_f64 v[38:39], v[12:13], v[65:66], -v[38:39]
	ds_read_b128 v[1:4], v11 offset:1408
	v_fma_f64 v[34:35], v[14:15], v[65:66], v[34:35]
	v_add_f64 v[16:17], v[16:17], v[42:43]
	v_add_f64 v[9:10], v[9:10], v[30:31]
	s_clause 0x2
	buffer_load_dword v45, off, s[0:3], 0 offset:796
	buffer_load_dword v31, off, s[0:3], 0 offset:772
	buffer_load_dword v30, off, s[0:3], 0 offset:768
	ds_read_b128 v[12:15], v11 offset:1424
	s_waitcnt vmcnt(58) lgkmcnt(1)
	v_mul_f64 v[65:66], v[3:4], v[75:76]
	;; [unrolled: 28-line block ×4, first 2 shown]
	s_waitcnt vmcnt(56)
	v_fma_f64 v[93:94], v[1:2], v[99:100], -v[92:93]
	v_mul_f64 v[85:86], v[12:13], v[95:96]
	v_add_f64 v[16:17], v[16:17], v[81:82]
	v_fma_f64 v[81:82], v[3:4], v[99:100], v[118:119]
	v_add_f64 v[9:10], v[9:10], v[73:74]
	s_clause 0x2
	buffer_load_dword v74, off, s[0:3], 0 offset:876
	buffer_load_dword v73, off, s[0:3], 0 offset:872
	;; [unrolled: 1-line block ×3, first 2 shown]
	s_waitcnt vmcnt(55) lgkmcnt(0)
	v_mul_f64 v[99:100], v[7:8], v[103:104]
	s_waitcnt vmcnt(54)
	v_fma_f64 v[89:90], v[12:13], v[97:98], -v[89:90]
	ds_read_b128 v[1:4], v11 offset:1504
	v_mul_f64 v[95:96], v[5:6], v[103:104]
	v_fma_f64 v[85:86], v[14:15], v[97:98], v[85:86]
	v_add_f64 v[16:17], v[16:17], v[93:94]
	v_add_f64 v[9:10], v[9:10], v[81:82]
	s_clause 0x1
	buffer_load_dword v82, off, s[0:3], 0 offset:868
	buffer_load_dword v81, off, s[0:3], 0 offset:864
	s_waitcnt vmcnt(55) lgkmcnt(0)
	v_mul_f64 v[97:98], v[3:4], v[105:106]
	s_waitcnt vmcnt(53)
	v_fma_f64 v[99:100], v[5:6], v[110:111], -v[99:100]
	ds_read_b128 v[12:15], v11 offset:1520
	v_mul_f64 v[93:94], v[1:2], v[105:106]
	v_add_f64 v[16:17], v[16:17], v[89:90]
	v_fma_f64 v[89:90], v[7:8], v[110:111], v[95:96]
	v_add_f64 v[9:10], v[9:10], v[85:86]
	ds_read_b128 v[5:8], v11 offset:1536
	s_waitcnt vmcnt(49) lgkmcnt(1)
	v_mul_f64 v[95:96], v[14:15], v[101:102]
	s_waitcnt vmcnt(48)
	v_fma_f64 v[97:98], v[1:2], v[107:108], -v[97:98]
	v_mul_f64 v[85:86], v[12:13], v[101:102]
	v_fma_f64 v[93:94], v[3:4], v[107:108], v[93:94]
	v_add_f64 v[16:17], v[16:17], v[99:100]
	v_add_f64 v[9:10], v[9:10], v[89:90]
	s_clause 0x3
	buffer_load_dword v89, off, s[0:3], 0 offset:384
	buffer_load_dword v90, off, s[0:3], 0 offset:388
	;; [unrolled: 1-line block ×4, first 2 shown]
	ds_read_b128 v[1:4], v11 offset:1552
	s_waitcnt vmcnt(51) lgkmcnt(1)
	v_mul_f64 v[103:104], v[7:8], v[114:115]
	v_mul_f64 v[101:102], v[5:6], v[114:115]
	s_waitcnt vmcnt(49)
	v_fma_f64 v[95:96], v[12:13], v[18:19], -v[95:96]
	v_fma_f64 v[18:19], v[14:15], v[18:19], v[85:86]
	ds_read_b128 v[12:15], v11 offset:1568
	v_add_f64 v[16:17], v[16:17], v[97:98]
	v_add_f64 v[9:10], v[9:10], v[93:94]
	s_waitcnt vmcnt(45) lgkmcnt(1)
	v_mul_f64 v[85:86], v[1:2], v[22:23]
	v_mul_f64 v[22:23], v[3:4], v[22:23]
	s_waitcnt vmcnt(44)
	v_fma_f64 v[93:94], v[5:6], v[116:117], -v[103:104]
	v_add_f64 v[16:17], v[16:17], v[95:96]
	v_fma_f64 v[95:96], v[7:8], v[116:117], v[101:102]
	v_add_f64 v[9:10], v[9:10], v[18:19]
	ds_read_b128 v[5:8], v11 offset:1584
	s_waitcnt vmcnt(43) lgkmcnt(1)
	v_mul_f64 v[18:19], v[12:13], v[32:33]
	v_mul_f64 v[32:33], v[14:15], v[32:33]
	s_waitcnt vmcnt(41)
	v_fma_f64 v[22:23], v[1:2], v[20:21], -v[22:23]
	v_fma_f64 v[20:21], v[3:4], v[20:21], v[85:86]
	ds_read_b128 v[1:4], v11 offset:1600
	v_add_f64 v[16:17], v[16:17], v[93:94]
	v_add_f64 v[9:10], v[9:10], v[95:96]
	s_waitcnt vmcnt(37) lgkmcnt(1)
	v_mul_f64 v[85:86], v[5:6], v[24:25]
	v_mul_f64 v[24:25], v[7:8], v[24:25]
	s_waitcnt vmcnt(36)
	v_fma_f64 v[32:33], v[12:13], v[112:113], -v[32:33]
	v_fma_f64 v[18:19], v[14:15], v[112:113], v[18:19]
	ds_read_b128 v[12:15], v11 offset:1616
	v_add_f64 v[16:17], v[16:17], v[22:23]
	v_add_f64 v[9:10], v[9:10], v[20:21]
	;; [unrolled: 9-line block ×5, first 2 shown]
	s_waitcnt vmcnt(21) lgkmcnt(1)
	v_mul_f64 v[22:23], v[3:4], v[34:35]
	s_waitcnt vmcnt(20)
	v_fma_f64 v[26:27], v[5:6], v[67:68], -v[26:27]
	v_mul_f64 v[20:21], v[1:2], v[34:35]
	v_fma_f64 v[24:25], v[7:8], v[67:68], v[24:25]
	ds_read_b128 v[5:8], v11 offset:1680
	v_add_f64 v[16:17], v[16:17], v[28:29]
	v_add_f64 v[9:10], v[9:10], v[18:19]
	s_waitcnt vmcnt(19) lgkmcnt(1)
	v_mul_f64 v[28:29], v[14:15], v[75:76]
	v_mul_f64 v[18:19], v[12:13], v[75:76]
	s_waitcnt vmcnt(17)
	v_fma_f64 v[22:23], v[1:2], v[38:39], -v[22:23]
	v_fma_f64 v[20:21], v[3:4], v[38:39], v[20:21]
	ds_read_b128 v[1:4], v11 offset:1696
	v_add_f64 v[16:17], v[16:17], v[26:27]
	v_add_f64 v[9:10], v[9:10], v[24:25]
	s_waitcnt vmcnt(13) lgkmcnt(1)
	v_mul_f64 v[26:27], v[7:8], v[42:43]
	s_waitcnt vmcnt(12)
	v_fma_f64 v[28:29], v[12:13], v[83:84], -v[28:29]
	v_mul_f64 v[24:25], v[5:6], v[42:43]
	v_fma_f64 v[13:14], v[14:15], v[83:84], v[18:19]
	v_add_f64 v[16:17], v[16:17], v[22:23]
	v_add_f64 v[18:19], v[9:10], v[20:21]
	ds_read_b128 v[9:12], v11 offset:1712
	s_waitcnt vmcnt(11) lgkmcnt(1)
	v_mul_f64 v[22:23], v[3:4], v[87:88]
	v_mul_f64 v[20:21], v[1:2], v[87:88]
	s_waitcnt vmcnt(9)
	v_fma_f64 v[5:6], v[5:6], v[65:66], -v[26:27]
	v_fma_f64 v[7:8], v[7:8], v[65:66], v[24:25]
	v_add_f64 v[15:16], v[16:17], v[28:29]
	v_add_f64 v[13:14], v[18:19], v[13:14]
	s_waitcnt vmcnt(7) lgkmcnt(0)
	v_mul_f64 v[24:25], v[11:12], v[73:74]
	s_waitcnt vmcnt(6)
	v_fma_f64 v[1:2], v[1:2], v[91:92], -v[22:23]
	v_mul_f64 v[17:18], v[9:10], v[73:74]
	v_fma_f64 v[3:4], v[3:4], v[91:92], v[20:21]
	v_add_f64 v[5:6], v[15:16], v[5:6]
	v_add_f64 v[7:8], v[13:14], v[7:8]
	s_waitcnt vmcnt(4)
	v_fma_f64 v[9:10], v[9:10], v[81:82], -v[24:25]
	v_add_f64 v[1:2], v[5:6], v[1:2]
	v_fma_f64 v[5:6], v[11:12], v[81:82], v[17:18]
	v_add_f64 v[3:4], v[7:8], v[3:4]
	v_add_f64 v[1:2], v[1:2], v[9:10]
	v_add_f64 v[3:4], v[3:4], v[5:6]
	s_waitcnt vmcnt(2)
	v_add_f64 v[1:2], v[89:90], -v[1:2]
	s_waitcnt vmcnt(0)
	v_add_f64 v[3:4], v[99:100], -v[3:4]
	buffer_store_dword v2, off, s[0:3], 0 offset:388
	buffer_store_dword v1, off, s[0:3], 0 offset:384
	buffer_store_dword v4, off, s[0:3], 0 offset:396
	buffer_store_dword v3, off, s[0:3], 0 offset:392
	v_cmpx_lt_u32_e32 22, v0
	s_cbranch_execz .LBB53_293
; %bb.292:
	v_mov_b32_e32 v4, s44
	v_mov_b32_e32 v5, 0
	s_clause 0x3
	buffer_load_dword v1, v4, s[0:3], 0 offen
	buffer_load_dword v2, v4, s[0:3], 0 offen offset:4
	buffer_load_dword v3, v4, s[0:3], 0 offen offset:8
	;; [unrolled: 1-line block ×3, first 2 shown]
	buffer_store_dword v5, off, s[0:3], 0 offset:368
	buffer_store_dword v5, off, s[0:3], 0 offset:372
	buffer_store_dword v5, off, s[0:3], 0 offset:376
	buffer_store_dword v5, off, s[0:3], 0 offset:380
	s_waitcnt vmcnt(0)
	ds_write_b128 v47, v[1:4]
.LBB53_293:
	s_or_b32 exec_lo, exec_lo, s4
	s_waitcnt lgkmcnt(0)
	s_waitcnt_vscnt null, 0x0
	s_barrier
	buffer_gl0_inv
	s_clause 0x37
	buffer_load_dword v9, off, s[0:3], 0 offset:392
	buffer_load_dword v10, off, s[0:3], 0 offset:396
	;; [unrolled: 1-line block ×56, first 2 shown]
	v_mov_b32_e32 v29, 0
	s_mov_b32 s4, exec_lo
	ds_read_b128 v[17:20], v29 offset:1232
	s_clause 0x2
	buffer_load_dword v96, off, s[0:3], 0 offset:620
	buffer_load_dword v100, off, s[0:3], 0 offset:596
	;; [unrolled: 1-line block ×3, first 2 shown]
	ds_read_b128 v[21:24], v29 offset:1248
	s_clause 0x4
	buffer_load_dword v104, off, s[0:3], 0 offset:636
	buffer_load_dword v105, off, s[0:3], 0 offset:648
	;; [unrolled: 1-line block ×5, first 2 shown]
	ds_read_b128 v[25:28], v29 offset:1264
	s_clause 0x2
	buffer_load_dword v106, off, s[0:3], 0 offset:652
	buffer_load_dword v111, off, s[0:3], 0 offset:628
	;; [unrolled: 1-line block ×3, first 2 shown]
	s_waitcnt vmcnt(62) lgkmcnt(2)
	v_mul_f64 v[101:102], v[19:20], v[9:10]
	v_mul_f64 v[9:10], v[17:18], v[9:10]
	s_waitcnt lgkmcnt(1)
	v_mul_f64 v[108:109], v[23:24], v[5:6]
	s_waitcnt vmcnt(59) lgkmcnt(0)
	v_mul_f64 v[112:113], v[27:28], v[3:4]
	v_fma_f64 v[17:18], v[17:18], v[7:8], -v[101:102]
	v_mul_f64 v[101:102], v[21:22], v[5:6]
	v_fma_f64 v[9:10], v[19:20], v[7:8], v[9:10]
	s_waitcnt vmcnt(57)
	v_fma_f64 v[21:22], v[21:22], v[1:2], -v[108:109]
	ds_read_b128 v[5:8], v29 offset:1280
	v_mul_f64 v[19:20], v[25:26], v[3:4]
	s_waitcnt vmcnt(51)
	v_fma_f64 v[25:26], v[25:26], v[32:33], -v[112:113]
	v_add_f64 v[17:18], v[17:18], 0
	v_fma_f64 v[23:24], v[23:24], v[1:2], v[101:102]
	v_add_f64 v[9:10], v[9:10], 0
	s_clause 0x4
	buffer_load_dword v102, off, s[0:3], 0 offset:668
	buffer_load_dword v114, off, s[0:3], 0 offset:680
	;; [unrolled: 1-line block ×5, first 2 shown]
	s_waitcnt lgkmcnt(0)
	v_mul_f64 v[117:118], v[5:6], v[13:14]
	v_mul_f64 v[13:14], v[7:8], v[13:14]
	ds_read_b128 v[1:4], v29 offset:1296
	v_fma_f64 v[27:28], v[27:28], v[32:33], v[19:20]
	v_add_f64 v[21:22], v[17:18], v[21:22]
	v_add_f64 v[9:10], v[9:10], v[23:24]
	s_clause 0x2
	buffer_load_dword v115, off, s[0:3], 0 offset:684
	buffer_load_dword v24, off, s[0:3], 0 offset:660
	;; [unrolled: 1-line block ×3, first 2 shown]
	s_waitcnt vmcnt(58) lgkmcnt(0)
	v_mul_f64 v[32:33], v[1:2], v[30:31]
	v_mul_f64 v[30:31], v[3:4], v[30:31]
	s_waitcnt vmcnt(56)
	v_fma_f64 v[13:14], v[5:6], v[34:35], -v[13:14]
	ds_read_b128 v[17:20], v29 offset:1312
	v_add_f64 v[21:22], v[21:22], v[25:26]
	v_fma_f64 v[25:26], v[7:8], v[34:35], v[117:118]
	v_add_f64 v[9:10], v[9:10], v[27:28]
	s_clause 0x4
	buffer_load_dword v28, off, s[0:3], 0 offset:700
	buffer_load_dword v34, off, s[0:3], 0 offset:712
	;; [unrolled: 1-line block ×5, first 2 shown]
	ds_read_b128 v[5:8], v29 offset:1328
	s_waitcnt vmcnt(57) lgkmcnt(1)
	v_mul_f64 v[118:119], v[17:18], v[36:37]
	v_mul_f64 v[36:37], v[19:20], v[36:37]
	s_waitcnt vmcnt(56)
	v_fma_f64 v[30:31], v[1:2], v[11:12], -v[30:31]
	v_fma_f64 v[11:12], v[3:4], v[11:12], v[32:33]
	v_add_f64 v[13:14], v[21:22], v[13:14]
	s_clause 0x2
	buffer_load_dword v35, off, s[0:3], 0 offset:716
	buffer_load_dword v22, off, s[0:3], 0 offset:692
	;; [unrolled: 1-line block ×3, first 2 shown]
	v_add_f64 v[9:10], v[9:10], v[25:26]
	s_waitcnt vmcnt(58) lgkmcnt(0)
	v_mul_f64 v[32:33], v[7:8], v[38:39]
	ds_read_b128 v[1:4], v29 offset:1344
	v_mul_f64 v[25:26], v[5:6], v[38:39]
	s_waitcnt vmcnt(56)
	v_fma_f64 v[17:18], v[17:18], v[40:41], -v[36:37]
	v_fma_f64 v[19:20], v[19:20], v[40:41], v[118:119]
	s_clause 0x4
	buffer_load_dword v37, off, s[0:3], 0 offset:732
	buffer_load_dword v38, off, s[0:3], 0 offset:744
	;; [unrolled: 1-line block ×5, first 2 shown]
	v_add_f64 v[13:14], v[13:14], v[30:31]
	v_add_f64 v[30:31], v[9:10], v[11:12]
	s_waitcnt vmcnt(57) lgkmcnt(0)
	v_mul_f64 v[118:119], v[1:2], v[42:43]
	v_mul_f64 v[41:42], v[3:4], v[42:43]
	s_waitcnt vmcnt(56)
	v_fma_f64 v[32:33], v[5:6], v[15:16], -v[32:33]
	ds_read_b128 v[9:12], v29 offset:1360
	v_fma_f64 v[15:16], v[7:8], v[15:16], v[25:26]
	v_add_f64 v[13:14], v[13:14], v[17:18]
	v_add_f64 v[17:18], v[30:31], v[19:20]
	s_clause 0x2
	buffer_load_dword v39, off, s[0:3], 0 offset:748
	buffer_load_dword v20, off, s[0:3], 0 offset:724
	;; [unrolled: 1-line block ×3, first 2 shown]
	s_waitcnt vmcnt(58) lgkmcnt(0)
	v_mul_f64 v[30:31], v[11:12], v[44:45]
	s_waitcnt vmcnt(56)
	v_fma_f64 v[42:43], v[1:2], v[67:68], -v[41:42]
	ds_read_b128 v[5:8], v29 offset:1376
	v_mul_f64 v[25:26], v[9:10], v[44:45]
	v_add_f64 v[13:14], v[13:14], v[32:33]
	v_fma_f64 v[32:33], v[3:4], v[67:68], v[118:119]
	v_add_f64 v[15:16], v[17:18], v[15:16]
	s_clause 0x4
	buffer_load_dword v18, off, s[0:3], 0 offset:764
	buffer_load_dword v44, off, s[0:3], 0 offset:776
	buffer_load_dword v67, off, s[0:3], 0 offset:768
	buffer_load_dword v17, off, s[0:3], 0 offset:760
	buffer_load_dword v41, off, s[0:3], 0 offset:740
	s_waitcnt vmcnt(57) lgkmcnt(0)
	v_mul_f64 v[118:119], v[5:6], v[73:74]
	v_mul_f64 v[73:74], v[7:8], v[73:74]
	s_waitcnt vmcnt(56)
	v_fma_f64 v[30:31], v[9:10], v[65:66], -v[30:31]
	ds_read_b128 v[1:4], v29 offset:1392
	v_fma_f64 v[25:26], v[11:12], v[65:66], v[25:26]
	v_add_f64 v[13:14], v[13:14], v[42:43]
	v_add_f64 v[15:16], v[15:16], v[32:33]
	s_clause 0x2
	buffer_load_dword v45, off, s[0:3], 0 offset:780
	buffer_load_dword v33, off, s[0:3], 0 offset:756
	buffer_load_dword v32, off, s[0:3], 0 offset:752
	ds_read_b128 v[9:12], v29 offset:1408
	s_waitcnt vmcnt(58) lgkmcnt(1)
	v_mul_f64 v[65:66], v[3:4], v[75:76]
	s_waitcnt vmcnt(56)
	v_fma_f64 v[73:74], v[5:6], v[83:84], -v[73:74]
	v_mul_f64 v[42:43], v[1:2], v[75:76]
	v_add_f64 v[13:14], v[13:14], v[30:31]
	v_fma_f64 v[30:31], v[7:8], v[83:84], v[118:119]
	v_add_f64 v[15:16], v[15:16], v[25:26]
	s_clause 0x4
	buffer_load_dword v26, off, s[0:3], 0 offset:796
	buffer_load_dword v75, off, s[0:3], 0 offset:808
	buffer_load_dword v83, off, s[0:3], 0 offset:800
	buffer_load_dword v25, off, s[0:3], 0 offset:792
	buffer_load_dword v68, off, s[0:3], 0 offset:772
	s_waitcnt vmcnt(57) lgkmcnt(0)
	v_mul_f64 v[118:119], v[9:10], v[85:86]
	v_mul_f64 v[84:85], v[11:12], v[85:86]
	s_waitcnt vmcnt(56)
	v_fma_f64 v[65:66], v[1:2], v[81:82], -v[65:66]
	ds_read_b128 v[5:8], v29 offset:1424
	v_fma_f64 v[42:43], v[3:4], v[81:82], v[42:43]
	v_add_f64 v[13:14], v[13:14], v[73:74]
	v_add_f64 v[15:16], v[15:16], v[30:31]
	s_clause 0x2
	buffer_load_dword v76, off, s[0:3], 0 offset:812
	buffer_load_dword v31, off, s[0:3], 0 offset:788
	buffer_load_dword v30, off, s[0:3], 0 offset:784
	ds_read_b128 v[1:4], v29 offset:1440
	s_waitcnt vmcnt(58) lgkmcnt(1)
	v_mul_f64 v[81:82], v[7:8], v[87:88]
	s_waitcnt vmcnt(56)
	v_fma_f64 v[85:86], v[9:10], v[91:92], -v[84:85]
	;; [unrolled: 28-line block ×4, first 2 shown]
	v_mul_f64 v[93:94], v[1:2], v[105:106]
	buffer_load_dword v100, off, s[0:3], 0 offset:868
	v_add_f64 v[13:14], v[13:14], v[89:90]
	v_fma_f64 v[89:90], v[7:8], v[110:111], v[118:119]
	v_add_f64 v[15:16], v[15:16], v[85:86]
	ds_read_b128 v[5:8], v29 offset:1520
	s_waitcnt vmcnt(53) lgkmcnt(1)
	v_mul_f64 v[85:86], v[9:10], v[101:102]
	v_mul_f64 v[101:102], v[11:12], v[101:102]
	s_waitcnt vmcnt(52)
	v_fma_f64 v[97:98], v[1:2], v[107:108], -v[97:98]
	v_fma_f64 v[93:94], v[3:4], v[107:108], v[93:94]
	ds_read_b128 v[1:4], v29 offset:1536
	v_add_f64 v[13:14], v[13:14], v[103:104]
	v_add_f64 v[15:16], v[15:16], v[89:90]
	s_waitcnt vmcnt(51) lgkmcnt(1)
	v_mul_f64 v[103:104], v[7:8], v[114:115]
	v_mul_f64 v[89:90], v[5:6], v[114:115]
	s_waitcnt vmcnt(49)
	v_fma_f64 v[101:102], v[9:10], v[23:24], -v[101:102]
	v_fma_f64 v[23:24], v[11:12], v[23:24], v[85:86]
	v_add_f64 v[13:14], v[13:14], v[97:98]
	v_add_f64 v[15:16], v[15:16], v[93:94]
	s_clause 0x3
	buffer_load_dword v85, off, s[0:3], 0 offset:368
	buffer_load_dword v86, off, s[0:3], 0 offset:372
	;; [unrolled: 1-line block ×4, first 2 shown]
	ds_read_b128 v[9:12], v29 offset:1552
	s_waitcnt vmcnt(49) lgkmcnt(1)
	v_mul_f64 v[97:98], v[1:2], v[27:28]
	v_mul_f64 v[27:28], v[3:4], v[27:28]
	s_waitcnt vmcnt(48)
	v_fma_f64 v[103:104], v[5:6], v[116:117], -v[103:104]
	v_fma_f64 v[89:90], v[7:8], v[116:117], v[89:90]
	ds_read_b128 v[5:8], v29 offset:1568
	v_add_f64 v[13:14], v[13:14], v[101:102]
	v_add_f64 v[15:16], v[15:16], v[23:24]
	s_waitcnt vmcnt(47) lgkmcnt(1)
	v_mul_f64 v[23:24], v[9:10], v[34:35]
	v_mul_f64 v[34:35], v[11:12], v[34:35]
	s_waitcnt vmcnt(45)
	v_fma_f64 v[27:28], v[1:2], v[21:22], -v[27:28]
	v_fma_f64 v[21:22], v[3:4], v[21:22], v[97:98]
	ds_read_b128 v[1:4], v29 offset:1584
	v_add_f64 v[13:14], v[13:14], v[103:104]
	v_add_f64 v[15:16], v[15:16], v[89:90]
	s_waitcnt vmcnt(41) lgkmcnt(1)
	v_mul_f64 v[89:90], v[5:6], v[36:37]
	v_mul_f64 v[36:37], v[7:8], v[36:37]
	s_waitcnt vmcnt(40)
	v_fma_f64 v[23:24], v[11:12], v[112:113], v[23:24]
	v_fma_f64 v[34:35], v[9:10], v[112:113], -v[34:35]
	ds_read_b128 v[9:12], v29 offset:1600
	v_add_f64 v[13:14], v[13:14], v[27:28]
	v_add_f64 v[15:16], v[15:16], v[21:22]
	s_waitcnt vmcnt(39) lgkmcnt(1)
	v_mul_f64 v[27:28], v[3:4], v[38:39]
	v_mul_f64 v[21:22], v[1:2], v[38:39]
	s_waitcnt vmcnt(37)
	v_fma_f64 v[36:37], v[5:6], v[19:20], -v[36:37]
	v_fma_f64 v[19:20], v[7:8], v[19:20], v[89:90]
	ds_read_b128 v[5:8], v29 offset:1616
	v_add_f64 v[13:14], v[13:14], v[34:35]
	v_add_f64 v[15:16], v[15:16], v[23:24]
	s_waitcnt vmcnt(33) lgkmcnt(1)
	v_mul_f64 v[23:24], v[9:10], v[17:18]
	v_mul_f64 v[17:18], v[11:12], v[17:18]
	s_waitcnt vmcnt(32)
	v_fma_f64 v[27:28], v[1:2], v[40:41], -v[27:28]
	v_fma_f64 v[21:22], v[3:4], v[40:41], v[21:22]
	;; [unrolled: 9-line block ×3, first 2 shown]
	ds_read_b128 v[9:12], v29 offset:1648
	v_add_f64 v[13:14], v[13:14], v[27:28]
	v_add_f64 v[15:16], v[15:16], v[21:22]
	s_waitcnt vmcnt(25) lgkmcnt(1)
	v_mul_f64 v[21:22], v[1:2], v[25:26]
	v_mul_f64 v[25:26], v[3:4], v[25:26]
	s_waitcnt vmcnt(24)
	v_fma_f64 v[27:28], v[5:6], v[67:68], -v[34:35]
	v_add_f64 v[13:14], v[13:14], v[17:18]
	v_fma_f64 v[17:18], v[7:8], v[67:68], v[19:20]
	v_add_f64 v[15:16], v[15:16], v[23:24]
	ds_read_b128 v[5:8], v29 offset:1664
	s_waitcnt vmcnt(23) lgkmcnt(1)
	v_mul_f64 v[23:24], v[11:12], v[75:76]
	v_mul_f64 v[19:20], v[9:10], v[75:76]
	s_waitcnt vmcnt(21)
	v_fma_f64 v[25:26], v[1:2], v[30:31], -v[25:26]
	v_fma_f64 v[21:22], v[3:4], v[30:31], v[21:22]
	ds_read_b128 v[1:4], v29 offset:1680
	v_add_f64 v[13:14], v[13:14], v[27:28]
	v_add_f64 v[15:16], v[15:16], v[17:18]
	s_waitcnt vmcnt(17) lgkmcnt(1)
	v_mul_f64 v[27:28], v[7:8], v[42:43]
	s_waitcnt vmcnt(16)
	v_fma_f64 v[23:24], v[9:10], v[83:84], -v[23:24]
	v_mul_f64 v[17:18], v[5:6], v[42:43]
	v_fma_f64 v[19:20], v[11:12], v[83:84], v[19:20]
	ds_read_b128 v[9:12], v29 offset:1696
	v_add_f64 v[13:14], v[13:14], v[25:26]
	v_add_f64 v[15:16], v[15:16], v[21:22]
	s_waitcnt vmcnt(15) lgkmcnt(1)
	v_mul_f64 v[25:26], v[3:4], v[87:88]
	v_mul_f64 v[21:22], v[1:2], v[87:88]
	s_waitcnt vmcnt(13)
	v_fma_f64 v[27:28], v[5:6], v[65:66], -v[27:28]
	v_fma_f64 v[17:18], v[7:8], v[65:66], v[17:18]
	ds_read_b128 v[5:8], v29 offset:1712
	v_add_f64 v[13:14], v[13:14], v[23:24]
	v_add_f64 v[15:16], v[15:16], v[19:20]
	s_waitcnt vmcnt(9) lgkmcnt(1)
	v_mul_f64 v[23:24], v[11:12], v[73:74]
	s_waitcnt vmcnt(8)
	v_fma_f64 v[1:2], v[1:2], v[91:92], -v[25:26]
	v_mul_f64 v[19:20], v[9:10], v[73:74]
	v_fma_f64 v[3:4], v[3:4], v[91:92], v[21:22]
	v_add_f64 v[13:14], v[13:14], v[27:28]
	v_add_f64 v[15:16], v[15:16], v[17:18]
	s_waitcnt vmcnt(7) lgkmcnt(0)
	v_mul_f64 v[21:22], v[7:8], v[95:96]
	v_mul_f64 v[17:18], v[5:6], v[95:96]
	s_waitcnt vmcnt(5)
	v_fma_f64 v[9:10], v[9:10], v[81:82], -v[23:24]
	v_fma_f64 v[11:12], v[11:12], v[81:82], v[19:20]
	v_add_f64 v[1:2], v[13:14], v[1:2]
	v_add_f64 v[3:4], v[15:16], v[3:4]
	s_waitcnt vmcnt(4)
	v_fma_f64 v[5:6], v[5:6], v[99:100], -v[21:22]
	v_fma_f64 v[7:8], v[7:8], v[99:100], v[17:18]
	v_add_f64 v[1:2], v[1:2], v[9:10]
	v_add_f64 v[3:4], v[3:4], v[11:12]
	;; [unrolled: 1-line block ×4, first 2 shown]
	s_waitcnt vmcnt(2)
	v_add_f64 v[1:2], v[85:86], -v[1:2]
	s_waitcnt vmcnt(0)
	v_add_f64 v[3:4], v[93:94], -v[3:4]
	buffer_store_dword v2, off, s[0:3], 0 offset:372
	buffer_store_dword v1, off, s[0:3], 0 offset:368
	;; [unrolled: 1-line block ×4, first 2 shown]
	v_cmpx_lt_u32_e32 21, v0
	s_cbranch_execz .LBB53_295
; %bb.294:
	v_mov_b32_e32 v4, s45
	s_clause 0x3
	buffer_load_dword v1, v4, s[0:3], 0 offen
	buffer_load_dword v2, v4, s[0:3], 0 offen offset:4
	buffer_load_dword v3, v4, s[0:3], 0 offen offset:8
	buffer_load_dword v4, v4, s[0:3], 0 offen offset:12
	buffer_store_dword v29, off, s[0:3], 0 offset:352
	buffer_store_dword v29, off, s[0:3], 0 offset:356
	;; [unrolled: 1-line block ×4, first 2 shown]
	s_waitcnt vmcnt(0)
	ds_write_b128 v47, v[1:4]
.LBB53_295:
	s_or_b32 exec_lo, exec_lo, s4
	s_waitcnt lgkmcnt(0)
	s_waitcnt_vscnt null, 0x0
	s_barrier
	buffer_gl0_inv
	s_clause 0x37
	buffer_load_dword v9, off, s[0:3], 0 offset:376
	buffer_load_dword v10, off, s[0:3], 0 offset:380
	;; [unrolled: 1-line block ×56, first 2 shown]
	ds_read_b128 v[30:33], v29 offset:1216
	s_clause 0x2
	buffer_load_dword v96, off, s[0:3], 0 offset:604
	buffer_load_dword v100, off, s[0:3], 0 offset:580
	;; [unrolled: 1-line block ×3, first 2 shown]
	ds_read_b128 v[34:37], v29 offset:1232
	s_clause 0x4
	buffer_load_dword v104, off, s[0:3], 0 offset:620
	buffer_load_dword v105, off, s[0:3], 0 offset:632
	;; [unrolled: 1-line block ×5, first 2 shown]
	ds_read_b128 v[38:41], v29 offset:1248
	s_clause 0x2
	buffer_load_dword v106, off, s[0:3], 0 offset:636
	buffer_load_dword v111, off, s[0:3], 0 offset:612
	;; [unrolled: 1-line block ×3, first 2 shown]
	s_mov_b32 s4, exec_lo
	s_waitcnt vmcnt(62) lgkmcnt(2)
	v_mul_f64 v[101:102], v[32:33], v[9:10]
	v_mul_f64 v[9:10], v[30:31], v[9:10]
	s_waitcnt lgkmcnt(1)
	v_mul_f64 v[108:109], v[36:37], v[5:6]
	s_waitcnt vmcnt(59) lgkmcnt(0)
	v_mul_f64 v[112:113], v[40:41], v[3:4]
	v_fma_f64 v[30:31], v[30:31], v[7:8], -v[101:102]
	v_mul_f64 v[101:102], v[34:35], v[5:6]
	v_fma_f64 v[9:10], v[32:33], v[7:8], v[9:10]
	s_waitcnt vmcnt(57)
	v_fma_f64 v[34:35], v[34:35], v[1:2], -v[108:109]
	ds_read_b128 v[5:8], v29 offset:1264
	v_mul_f64 v[32:33], v[38:39], v[3:4]
	s_waitcnt vmcnt(51)
	v_fma_f64 v[38:39], v[38:39], v[25:26], -v[112:113]
	v_add_f64 v[30:31], v[30:31], 0
	v_fma_f64 v[36:37], v[36:37], v[1:2], v[101:102]
	v_add_f64 v[9:10], v[9:10], 0
	s_clause 0x4
	buffer_load_dword v102, off, s[0:3], 0 offset:652
	buffer_load_dword v114, off, s[0:3], 0 offset:664
	;; [unrolled: 1-line block ×5, first 2 shown]
	s_waitcnt lgkmcnt(0)
	v_mul_f64 v[117:118], v[5:6], v[13:14]
	v_mul_f64 v[13:14], v[7:8], v[13:14]
	ds_read_b128 v[1:4], v29 offset:1280
	v_fma_f64 v[25:26], v[40:41], v[25:26], v[32:33]
	v_add_f64 v[34:35], v[30:31], v[34:35]
	v_add_f64 v[9:10], v[9:10], v[36:37]
	s_clause 0x2
	buffer_load_dword v115, off, s[0:3], 0 offset:668
	buffer_load_dword v37, off, s[0:3], 0 offset:644
	;; [unrolled: 1-line block ×3, first 2 shown]
	s_waitcnt vmcnt(58) lgkmcnt(0)
	v_mul_f64 v[40:41], v[1:2], v[17:18]
	v_mul_f64 v[17:18], v[3:4], v[17:18]
	s_waitcnt vmcnt(56)
	v_fma_f64 v[13:14], v[5:6], v[19:20], -v[13:14]
	ds_read_b128 v[30:33], v29 offset:1296
	v_fma_f64 v[19:20], v[7:8], v[19:20], v[117:118]
	v_add_f64 v[34:35], v[34:35], v[38:39]
	v_add_f64 v[9:10], v[9:10], v[25:26]
	s_clause 0x4
	buffer_load_dword v26, off, s[0:3], 0 offset:684
	buffer_load_dword v38, off, s[0:3], 0 offset:696
	;; [unrolled: 1-line block ×5, first 2 shown]
	ds_read_b128 v[5:8], v29 offset:1312
	s_waitcnt vmcnt(57) lgkmcnt(1)
	v_mul_f64 v[118:119], v[30:31], v[21:22]
	v_mul_f64 v[21:22], v[32:33], v[21:22]
	s_waitcnt vmcnt(56)
	v_fma_f64 v[17:18], v[1:2], v[11:12], -v[17:18]
	v_fma_f64 v[11:12], v[3:4], v[11:12], v[40:41]
	v_add_f64 v[13:14], v[34:35], v[13:14]
	v_add_f64 v[9:10], v[9:10], v[19:20]
	s_clause 0x2
	buffer_load_dword v39, off, s[0:3], 0 offset:700
	buffer_load_dword v20, off, s[0:3], 0 offset:676
	;; [unrolled: 1-line block ×3, first 2 shown]
	s_waitcnt vmcnt(58) lgkmcnt(0)
	v_mul_f64 v[34:35], v[5:6], v[27:28]
	v_mul_f64 v[27:28], v[7:8], v[27:28]
	s_waitcnt vmcnt(56)
	v_fma_f64 v[21:22], v[30:31], v[42:43], -v[21:22]
	ds_read_b128 v[1:4], v29 offset:1328
	v_add_f64 v[13:14], v[13:14], v[17:18]
	v_fma_f64 v[17:18], v[32:33], v[42:43], v[118:119]
	v_add_f64 v[30:31], v[9:10], v[11:12]
	s_clause 0x4
	buffer_load_dword v33, off, s[0:3], 0 offset:716
	buffer_load_dword v40, off, s[0:3], 0 offset:728
	;; [unrolled: 1-line block ×5, first 2 shown]
	ds_read_b128 v[9:12], v29 offset:1344
	s_waitcnt vmcnt(57) lgkmcnt(1)
	v_mul_f64 v[118:119], v[1:2], v[44:45]
	v_mul_f64 v[43:44], v[3:4], v[44:45]
	s_waitcnt vmcnt(56)
	v_fma_f64 v[27:28], v[5:6], v[15:16], -v[27:28]
	v_fma_f64 v[15:16], v[7:8], v[15:16], v[34:35]
	v_add_f64 v[13:14], v[13:14], v[21:22]
	s_clause 0x2
	buffer_load_dword v41, off, s[0:3], 0 offset:732
	buffer_load_dword v22, off, s[0:3], 0 offset:708
	;; [unrolled: 1-line block ×3, first 2 shown]
	v_add_f64 v[17:18], v[30:31], v[17:18]
	s_waitcnt vmcnt(58) lgkmcnt(0)
	v_mul_f64 v[34:35], v[11:12], v[65:66]
	ds_read_b128 v[5:8], v29 offset:1360
	v_mul_f64 v[30:31], v[9:10], v[65:66]
	s_waitcnt vmcnt(56)
	v_fma_f64 v[44:45], v[1:2], v[67:68], -v[43:44]
	v_add_f64 v[13:14], v[13:14], v[27:28]
	v_fma_f64 v[27:28], v[3:4], v[67:68], v[118:119]
	v_add_f64 v[15:16], v[17:18], v[15:16]
	s_clause 0x4
	buffer_load_dword v18, off, s[0:3], 0 offset:748
	buffer_load_dword v65, off, s[0:3], 0 offset:760
	buffer_load_dword v67, off, s[0:3], 0 offset:752
	buffer_load_dword v17, off, s[0:3], 0 offset:744
	buffer_load_dword v43, off, s[0:3], 0 offset:724
	s_waitcnt vmcnt(57) lgkmcnt(0)
	v_mul_f64 v[118:119], v[5:6], v[73:74]
	v_mul_f64 v[73:74], v[7:8], v[73:74]
	s_waitcnt vmcnt(56)
	v_fma_f64 v[34:35], v[9:10], v[23:24], -v[34:35]
	ds_read_b128 v[1:4], v29 offset:1376
	v_fma_f64 v[23:24], v[11:12], v[23:24], v[30:31]
	v_add_f64 v[13:14], v[13:14], v[44:45]
	v_add_f64 v[15:16], v[15:16], v[27:28]
	s_clause 0x2
	buffer_load_dword v66, off, s[0:3], 0 offset:764
	buffer_load_dword v28, off, s[0:3], 0 offset:740
	buffer_load_dword v27, off, s[0:3], 0 offset:736
	ds_read_b128 v[9:12], v29 offset:1392
	s_waitcnt vmcnt(58) lgkmcnt(1)
	v_mul_f64 v[44:45], v[3:4], v[75:76]
	s_waitcnt vmcnt(56)
	v_fma_f64 v[73:74], v[5:6], v[83:84], -v[73:74]
	v_mul_f64 v[30:31], v[1:2], v[75:76]
	v_add_f64 v[13:14], v[13:14], v[34:35]
	v_fma_f64 v[34:35], v[7:8], v[83:84], v[118:119]
	v_add_f64 v[15:16], v[15:16], v[23:24]
	s_clause 0x4
	buffer_load_dword v24, off, s[0:3], 0 offset:780
	buffer_load_dword v75, off, s[0:3], 0 offset:792
	buffer_load_dword v83, off, s[0:3], 0 offset:784
	buffer_load_dword v23, off, s[0:3], 0 offset:776
	buffer_load_dword v68, off, s[0:3], 0 offset:756
	s_waitcnt vmcnt(57) lgkmcnt(0)
	v_mul_f64 v[118:119], v[9:10], v[85:86]
	v_mul_f64 v[84:85], v[11:12], v[85:86]
	s_waitcnt vmcnt(56)
	v_fma_f64 v[44:45], v[1:2], v[81:82], -v[44:45]
	ds_read_b128 v[5:8], v29 offset:1408
	v_fma_f64 v[30:31], v[3:4], v[81:82], v[30:31]
	v_add_f64 v[13:14], v[13:14], v[73:74]
	v_add_f64 v[15:16], v[15:16], v[34:35]
	s_clause 0x2
	buffer_load_dword v76, off, s[0:3], 0 offset:796
	buffer_load_dword v35, off, s[0:3], 0 offset:772
	buffer_load_dword v34, off, s[0:3], 0 offset:768
	ds_read_b128 v[1:4], v29 offset:1424
	s_waitcnt vmcnt(58) lgkmcnt(1)
	v_mul_f64 v[81:82], v[7:8], v[87:88]
	s_waitcnt vmcnt(56)
	v_fma_f64 v[85:86], v[9:10], v[91:92], -v[84:85]
	v_mul_f64 v[73:74], v[5:6], v[87:88]
	;; [unrolled: 28-line block ×4, first 2 shown]
	v_add_f64 v[13:14], v[13:14], v[89:90]
	v_fma_f64 v[89:90], v[7:8], v[110:111], v[118:119]
	v_add_f64 v[15:16], v[15:16], v[85:86]
	s_clause 0x2
	buffer_load_dword v86, off, s[0:3], 0 offset:876
	buffer_load_dword v85, off, s[0:3], 0 offset:872
	buffer_load_dword v100, off, s[0:3], 0 offset:852
	ds_read_b128 v[5:8], v29 offset:1504
	s_waitcnt vmcnt(55) lgkmcnt(1)
	v_mul_f64 v[105:106], v[9:10], v[101:102]
	v_mul_f64 v[101:102], v[11:12], v[101:102]
	s_waitcnt vmcnt(54)
	v_fma_f64 v[97:98], v[1:2], v[107:108], -v[97:98]
	v_fma_f64 v[93:94], v[3:4], v[107:108], v[93:94]
	v_add_f64 v[13:14], v[13:14], v[103:104]
	v_add_f64 v[15:16], v[15:16], v[89:90]
	s_clause 0x1
	buffer_load_dword v90, off, s[0:3], 0 offset:868
	buffer_load_dword v89, off, s[0:3], 0 offset:864
	ds_read_b128 v[1:4], v29 offset:1520
	s_waitcnt vmcnt(55) lgkmcnt(1)
	v_mul_f64 v[107:108], v[7:8], v[114:115]
	v_mul_f64 v[103:104], v[5:6], v[114:115]
	s_waitcnt vmcnt(53)
	v_fma_f64 v[101:102], v[9:10], v[36:37], -v[101:102]
	v_fma_f64 v[36:37], v[11:12], v[36:37], v[105:106]
	ds_read_b128 v[9:12], v29 offset:1536
	v_add_f64 v[13:14], v[13:14], v[97:98]
	v_add_f64 v[15:16], v[15:16], v[93:94]
	s_waitcnt vmcnt(49) lgkmcnt(1)
	v_mul_f64 v[93:94], v[1:2], v[25:26]
	v_mul_f64 v[25:26], v[3:4], v[25:26]
	s_waitcnt vmcnt(48)
	v_fma_f64 v[97:98], v[5:6], v[116:117], -v[107:108]
	v_add_f64 v[13:14], v[13:14], v[101:102]
	v_fma_f64 v[101:102], v[7:8], v[116:117], v[103:104]
	v_add_f64 v[15:16], v[15:16], v[36:37]
	s_clause 0x3
	buffer_load_dword v36, off, s[0:3], 0 offset:352
	buffer_load_dword v37, off, s[0:3], 0 offset:356
	;; [unrolled: 1-line block ×4, first 2 shown]
	ds_read_b128 v[5:8], v29 offset:1552
	s_waitcnt vmcnt(51) lgkmcnt(1)
	v_mul_f64 v[105:106], v[9:10], v[38:39]
	v_mul_f64 v[38:39], v[11:12], v[38:39]
	s_waitcnt vmcnt(49)
	v_fma_f64 v[25:26], v[1:2], v[19:20], -v[25:26]
	v_fma_f64 v[19:20], v[3:4], v[19:20], v[93:94]
	ds_read_b128 v[1:4], v29 offset:1568
	v_add_f64 v[13:14], v[13:14], v[97:98]
	v_add_f64 v[15:16], v[15:16], v[101:102]
	s_waitcnt vmcnt(45) lgkmcnt(1)
	v_mul_f64 v[93:94], v[5:6], v[32:33]
	v_mul_f64 v[32:33], v[7:8], v[32:33]
	s_waitcnt vmcnt(44)
	v_fma_f64 v[38:39], v[9:10], v[112:113], -v[38:39]
	v_add_f64 v[13:14], v[13:14], v[25:26]
	v_fma_f64 v[25:26], v[11:12], v[112:113], v[105:106]
	v_add_f64 v[15:16], v[15:16], v[19:20]
	ds_read_b128 v[9:12], v29 offset:1584
	s_waitcnt vmcnt(43) lgkmcnt(1)
	v_mul_f64 v[19:20], v[1:2], v[40:41]
	v_mul_f64 v[40:41], v[3:4], v[40:41]
	s_waitcnt vmcnt(41)
	v_fma_f64 v[32:33], v[5:6], v[21:22], -v[32:33]
	v_fma_f64 v[21:22], v[7:8], v[21:22], v[93:94]
	ds_read_b128 v[5:8], v29 offset:1600
	v_add_f64 v[13:14], v[13:14], v[38:39]
	v_add_f64 v[15:16], v[15:16], v[25:26]
	s_waitcnt vmcnt(37) lgkmcnt(1)
	v_mul_f64 v[25:26], v[9:10], v[17:18]
	v_mul_f64 v[17:18], v[11:12], v[17:18]
	s_waitcnt vmcnt(36)
	v_fma_f64 v[38:39], v[1:2], v[42:43], -v[40:41]
	v_fma_f64 v[19:20], v[3:4], v[42:43], v[19:20]
	ds_read_b128 v[1:4], v29 offset:1616
	v_add_f64 v[13:14], v[13:14], v[32:33]
	v_add_f64 v[15:16], v[15:16], v[21:22]
	;; [unrolled: 9-line block ×3, first 2 shown]
	s_waitcnt vmcnt(29) lgkmcnt(1)
	v_mul_f64 v[19:20], v[1:2], v[23:24]
	v_mul_f64 v[23:24], v[3:4], v[23:24]
	s_waitcnt vmcnt(28)
	v_fma_f64 v[27:28], v[5:6], v[67:68], -v[32:33]
	v_add_f64 v[13:14], v[13:14], v[17:18]
	v_fma_f64 v[17:18], v[7:8], v[67:68], v[21:22]
	v_add_f64 v[15:16], v[15:16], v[25:26]
	ds_read_b128 v[5:8], v29 offset:1648
	s_waitcnt vmcnt(27) lgkmcnt(1)
	v_mul_f64 v[25:26], v[11:12], v[75:76]
	v_mul_f64 v[21:22], v[9:10], v[75:76]
	s_waitcnt vmcnt(25)
	v_fma_f64 v[23:24], v[1:2], v[34:35], -v[23:24]
	v_fma_f64 v[19:20], v[3:4], v[34:35], v[19:20]
	ds_read_b128 v[1:4], v29 offset:1664
	v_add_f64 v[13:14], v[13:14], v[27:28]
	v_add_f64 v[15:16], v[15:16], v[17:18]
	s_waitcnt vmcnt(21) lgkmcnt(1)
	v_mul_f64 v[27:28], v[7:8], v[30:31]
	s_waitcnt vmcnt(20)
	v_fma_f64 v[25:26], v[9:10], v[83:84], -v[25:26]
	v_mul_f64 v[17:18], v[5:6], v[30:31]
	v_fma_f64 v[21:22], v[11:12], v[83:84], v[21:22]
	ds_read_b128 v[9:12], v29 offset:1680
	v_add_f64 v[13:14], v[13:14], v[23:24]
	v_add_f64 v[15:16], v[15:16], v[19:20]
	s_waitcnt vmcnt(19) lgkmcnt(1)
	v_mul_f64 v[23:24], v[3:4], v[87:88]
	v_mul_f64 v[19:20], v[1:2], v[87:88]
	s_waitcnt vmcnt(17)
	v_fma_f64 v[27:28], v[5:6], v[44:45], -v[27:28]
	v_fma_f64 v[17:18], v[7:8], v[44:45], v[17:18]
	ds_read_b128 v[5:8], v29 offset:1696
	v_add_f64 v[13:14], v[13:14], v[25:26]
	v_add_f64 v[15:16], v[15:16], v[21:22]
	s_waitcnt vmcnt(13) lgkmcnt(1)
	v_mul_f64 v[25:26], v[11:12], v[73:74]
	s_waitcnt vmcnt(12)
	v_fma_f64 v[23:24], v[1:2], v[91:92], -v[23:24]
	v_mul_f64 v[21:22], v[9:10], v[73:74]
	v_fma_f64 v[19:20], v[3:4], v[91:92], v[19:20]
	ds_read_b128 v[1:4], v29 offset:1712
	v_add_f64 v[13:14], v[13:14], v[27:28]
	v_add_f64 v[15:16], v[15:16], v[17:18]
	s_waitcnt vmcnt(11) lgkmcnt(1)
	v_mul_f64 v[27:28], v[7:8], v[95:96]
	v_mul_f64 v[17:18], v[5:6], v[95:96]
	s_waitcnt vmcnt(9)
	v_fma_f64 v[9:10], v[9:10], v[81:82], -v[25:26]
	v_fma_f64 v[11:12], v[11:12], v[81:82], v[21:22]
	v_add_f64 v[13:14], v[13:14], v[23:24]
	v_add_f64 v[15:16], v[15:16], v[19:20]
	s_waitcnt vmcnt(7) lgkmcnt(0)
	v_mul_f64 v[21:22], v[3:4], v[85:86]
	s_waitcnt vmcnt(6)
	v_fma_f64 v[5:6], v[5:6], v[99:100], -v[27:28]
	v_mul_f64 v[19:20], v[1:2], v[85:86]
	v_fma_f64 v[7:8], v[7:8], v[99:100], v[17:18]
	v_add_f64 v[9:10], v[13:14], v[9:10]
	v_add_f64 v[11:12], v[15:16], v[11:12]
	s_waitcnt vmcnt(4)
	v_fma_f64 v[1:2], v[1:2], v[89:90], -v[21:22]
	v_fma_f64 v[3:4], v[3:4], v[89:90], v[19:20]
	v_add_f64 v[5:6], v[9:10], v[5:6]
	v_add_f64 v[7:8], v[11:12], v[7:8]
	;; [unrolled: 1-line block ×4, first 2 shown]
	s_waitcnt vmcnt(2)
	v_add_f64 v[1:2], v[36:37], -v[1:2]
	s_waitcnt vmcnt(0)
	v_add_f64 v[3:4], v[103:104], -v[3:4]
	buffer_store_dword v2, off, s[0:3], 0 offset:356
	buffer_store_dword v1, off, s[0:3], 0 offset:352
	buffer_store_dword v4, off, s[0:3], 0 offset:364
	buffer_store_dword v3, off, s[0:3], 0 offset:360
	v_cmpx_lt_u32_e32 20, v0
	s_cbranch_execz .LBB53_297
; %bb.296:
	v_mov_b32_e32 v4, s46
	v_mov_b32_e32 v5, 0
	s_clause 0x3
	buffer_load_dword v1, v4, s[0:3], 0 offen
	buffer_load_dword v2, v4, s[0:3], 0 offen offset:4
	buffer_load_dword v3, v4, s[0:3], 0 offen offset:8
	;; [unrolled: 1-line block ×3, first 2 shown]
	buffer_store_dword v5, off, s[0:3], 0 offset:336
	buffer_store_dword v5, off, s[0:3], 0 offset:340
	;; [unrolled: 1-line block ×4, first 2 shown]
	s_waitcnt vmcnt(0)
	ds_write_b128 v47, v[1:4]
.LBB53_297:
	s_or_b32 exec_lo, exec_lo, s4
	s_waitcnt lgkmcnt(0)
	s_waitcnt_vscnt null, 0x0
	s_barrier
	buffer_gl0_inv
	s_clause 0x37
	buffer_load_dword v9, off, s[0:3], 0 offset:360
	buffer_load_dword v10, off, s[0:3], 0 offset:364
	;; [unrolled: 1-line block ×56, first 2 shown]
	v_mov_b32_e32 v56, 0
	s_mov_b32 s4, exec_lo
	ds_read_b128 v[39:42], v56 offset:1200
	s_clause 0x2
	buffer_load_dword v94, off, s[0:3], 0 offset:588
	buffer_load_dword v98, off, s[0:3], 0 offset:564
	;; [unrolled: 1-line block ×3, first 2 shown]
	ds_read_b128 v[43:46], v56 offset:1216
	s_clause 0x4
	buffer_load_dword v102, off, s[0:3], 0 offset:604
	buffer_load_dword v103, off, s[0:3], 0 offset:616
	;; [unrolled: 1-line block ×5, first 2 shown]
	ds_read_b128 v[65:68], v56 offset:1232
	s_clause 0x2
	buffer_load_dword v104, off, s[0:3], 0 offset:620
	buffer_load_dword v109, off, s[0:3], 0 offset:596
	;; [unrolled: 1-line block ×3, first 2 shown]
	s_waitcnt vmcnt(62) lgkmcnt(2)
	v_mul_f64 v[99:100], v[41:42], v[9:10]
	v_mul_f64 v[9:10], v[39:40], v[9:10]
	s_waitcnt lgkmcnt(1)
	v_mul_f64 v[106:107], v[45:46], v[5:6]
	s_waitcnt vmcnt(59) lgkmcnt(0)
	v_mul_f64 v[110:111], v[67:68], v[3:4]
	v_fma_f64 v[39:40], v[39:40], v[7:8], -v[99:100]
	v_mul_f64 v[99:100], v[43:44], v[5:6]
	v_fma_f64 v[9:10], v[41:42], v[7:8], v[9:10]
	s_waitcnt vmcnt(57)
	v_fma_f64 v[43:44], v[43:44], v[1:2], -v[106:107]
	ds_read_b128 v[5:8], v56 offset:1248
	v_mul_f64 v[41:42], v[65:66], v[3:4]
	s_waitcnt vmcnt(51)
	v_fma_f64 v[65:66], v[65:66], v[25:26], -v[110:111]
	v_add_f64 v[39:40], v[39:40], 0
	v_fma_f64 v[45:46], v[45:46], v[1:2], v[99:100]
	v_add_f64 v[9:10], v[9:10], 0
	s_clause 0x4
	buffer_load_dword v100, off, s[0:3], 0 offset:636
	buffer_load_dword v112, off, s[0:3], 0 offset:648
	;; [unrolled: 1-line block ×5, first 2 shown]
	s_waitcnt lgkmcnt(0)
	v_mul_f64 v[115:116], v[5:6], v[13:14]
	v_mul_f64 v[13:14], v[7:8], v[13:14]
	ds_read_b128 v[1:4], v56 offset:1264
	v_fma_f64 v[25:26], v[67:68], v[25:26], v[41:42]
	v_add_f64 v[43:44], v[39:40], v[43:44]
	v_add_f64 v[9:10], v[9:10], v[45:46]
	s_clause 0x2
	buffer_load_dword v113, off, s[0:3], 0 offset:652
	buffer_load_dword v46, off, s[0:3], 0 offset:628
	;; [unrolled: 1-line block ×3, first 2 shown]
	s_waitcnt vmcnt(58) lgkmcnt(0)
	v_mul_f64 v[67:68], v[1:2], v[17:18]
	v_mul_f64 v[17:18], v[3:4], v[17:18]
	s_waitcnt vmcnt(56)
	v_fma_f64 v[13:14], v[5:6], v[19:20], -v[13:14]
	ds_read_b128 v[39:42], v56 offset:1280
	v_fma_f64 v[19:20], v[7:8], v[19:20], v[115:116]
	v_add_f64 v[43:44], v[43:44], v[65:66]
	v_add_f64 v[9:10], v[9:10], v[25:26]
	s_clause 0x4
	buffer_load_dword v26, off, s[0:3], 0 offset:668
	buffer_load_dword v65, off, s[0:3], 0 offset:680
	;; [unrolled: 1-line block ×5, first 2 shown]
	ds_read_b128 v[5:8], v56 offset:1296
	s_waitcnt vmcnt(57) lgkmcnt(1)
	v_mul_f64 v[116:117], v[39:40], v[21:22]
	v_mul_f64 v[21:22], v[41:42], v[21:22]
	s_waitcnt vmcnt(56)
	v_fma_f64 v[17:18], v[1:2], v[11:12], -v[17:18]
	v_fma_f64 v[11:12], v[3:4], v[11:12], v[67:68]
	v_add_f64 v[13:14], v[43:44], v[13:14]
	v_add_f64 v[9:10], v[9:10], v[19:20]
	s_clause 0x2
	buffer_load_dword v66, off, s[0:3], 0 offset:684
	buffer_load_dword v20, off, s[0:3], 0 offset:660
	;; [unrolled: 1-line block ×3, first 2 shown]
	s_waitcnt vmcnt(58) lgkmcnt(0)
	v_mul_f64 v[43:44], v[5:6], v[27:28]
	v_mul_f64 v[27:28], v[7:8], v[27:28]
	s_waitcnt vmcnt(56)
	v_fma_f64 v[21:22], v[39:40], v[29:30], -v[21:22]
	ds_read_b128 v[1:4], v56 offset:1312
	v_add_f64 v[13:14], v[13:14], v[17:18]
	v_fma_f64 v[17:18], v[41:42], v[29:30], v[116:117]
	v_add_f64 v[29:30], v[9:10], v[11:12]
	s_clause 0x4
	buffer_load_dword v40, off, s[0:3], 0 offset:700
	buffer_load_dword v41, off, s[0:3], 0 offset:712
	;; [unrolled: 1-line block ×5, first 2 shown]
	ds_read_b128 v[9:12], v56 offset:1328
	s_waitcnt vmcnt(57) lgkmcnt(1)
	v_mul_f64 v[116:117], v[1:2], v[31:32]
	v_mul_f64 v[31:32], v[3:4], v[31:32]
	s_waitcnt vmcnt(56)
	v_fma_f64 v[27:28], v[5:6], v[15:16], -v[27:28]
	v_fma_f64 v[15:16], v[7:8], v[15:16], v[43:44]
	v_add_f64 v[13:14], v[13:14], v[21:22]
	s_clause 0x2
	buffer_load_dword v42, off, s[0:3], 0 offset:716
	buffer_load_dword v22, off, s[0:3], 0 offset:692
	;; [unrolled: 1-line block ×3, first 2 shown]
	v_add_f64 v[17:18], v[29:30], v[17:18]
	s_waitcnt vmcnt(58) lgkmcnt(0)
	v_mul_f64 v[29:30], v[9:10], v[35:36]
	v_mul_f64 v[35:36], v[11:12], v[35:36]
	ds_read_b128 v[5:8], v56 offset:1344
	s_waitcnt vmcnt(56)
	v_fma_f64 v[31:32], v[1:2], v[37:38], -v[31:32]
	v_add_f64 v[13:14], v[13:14], v[27:28]
	v_fma_f64 v[27:28], v[3:4], v[37:38], v[116:117]
	v_add_f64 v[15:16], v[17:18], v[15:16]
	s_clause 0x4
	buffer_load_dword v18, off, s[0:3], 0 offset:732
	buffer_load_dword v37, off, s[0:3], 0 offset:744
	;; [unrolled: 1-line block ×5, first 2 shown]
	s_waitcnt vmcnt(57) lgkmcnt(0)
	v_mul_f64 v[116:117], v[5:6], v[73:74]
	v_mul_f64 v[73:74], v[7:8], v[73:74]
	s_waitcnt vmcnt(56)
	v_fma_f64 v[35:36], v[9:10], v[23:24], -v[35:36]
	ds_read_b128 v[1:4], v56 offset:1360
	v_fma_f64 v[23:24], v[11:12], v[23:24], v[29:30]
	v_add_f64 v[13:14], v[13:14], v[31:32]
	v_add_f64 v[15:16], v[15:16], v[27:28]
	s_clause 0x2
	buffer_load_dword v38, off, s[0:3], 0 offset:748
	buffer_load_dword v28, off, s[0:3], 0 offset:724
	;; [unrolled: 1-line block ×3, first 2 shown]
	ds_read_b128 v[9:12], v56 offset:1376
	s_waitcnt vmcnt(58) lgkmcnt(1)
	v_mul_f64 v[31:32], v[3:4], v[75:76]
	s_waitcnt vmcnt(56)
	v_fma_f64 v[73:74], v[5:6], v[81:82], -v[73:74]
	v_mul_f64 v[29:30], v[1:2], v[75:76]
	v_add_f64 v[13:14], v[13:14], v[35:36]
	v_fma_f64 v[35:36], v[7:8], v[81:82], v[116:117]
	v_add_f64 v[15:16], v[15:16], v[23:24]
	s_clause 0x4
	buffer_load_dword v24, off, s[0:3], 0 offset:764
	buffer_load_dword v75, off, s[0:3], 0 offset:776
	;; [unrolled: 1-line block ×5, first 2 shown]
	s_waitcnt vmcnt(57) lgkmcnt(0)
	v_mul_f64 v[116:117], v[9:10], v[83:84]
	v_mul_f64 v[82:83], v[11:12], v[83:84]
	s_waitcnt vmcnt(56)
	v_fma_f64 v[31:32], v[1:2], v[33:34], -v[31:32]
	ds_read_b128 v[5:8], v56 offset:1392
	v_fma_f64 v[29:30], v[3:4], v[33:34], v[29:30]
	s_clause 0x2
	buffer_load_dword v76, off, s[0:3], 0 offset:780
	buffer_load_dword v34, off, s[0:3], 0 offset:756
	;; [unrolled: 1-line block ×3, first 2 shown]
	ds_read_b128 v[1:4], v56 offset:1408
	v_add_f64 v[13:14], v[13:14], v[73:74]
	v_add_f64 v[15:16], v[15:16], v[35:36]
	s_waitcnt vmcnt(58) lgkmcnt(1)
	v_mul_f64 v[73:74], v[7:8], v[85:86]
	s_waitcnt vmcnt(56)
	v_fma_f64 v[83:84], v[9:10], v[89:90], -v[82:83]
	v_mul_f64 v[35:36], v[5:6], v[85:86]
	v_add_f64 v[13:14], v[13:14], v[31:32]
	v_fma_f64 v[31:32], v[11:12], v[89:90], v[116:117]
	v_add_f64 v[15:16], v[15:16], v[29:30]
	s_clause 0x4
	buffer_load_dword v30, off, s[0:3], 0 offset:796
	buffer_load_dword v85, off, s[0:3], 0 offset:808
	;; [unrolled: 1-line block ×5, first 2 shown]
	s_waitcnt vmcnt(57) lgkmcnt(0)
	v_mul_f64 v[116:117], v[1:2], v[91:92]
	v_mul_f64 v[90:91], v[3:4], v[91:92]
	s_waitcnt vmcnt(56)
	v_fma_f64 v[73:74], v[5:6], v[87:88], -v[73:74]
	ds_read_b128 v[9:12], v56 offset:1424
	v_fma_f64 v[35:36], v[7:8], v[87:88], v[35:36]
	v_add_f64 v[13:14], v[13:14], v[83:84]
	v_add_f64 v[15:16], v[15:16], v[31:32]
	s_clause 0x2
	buffer_load_dword v86, off, s[0:3], 0 offset:812
	buffer_load_dword v32, off, s[0:3], 0 offset:788
	buffer_load_dword v31, off, s[0:3], 0 offset:784
	ds_read_b128 v[5:8], v56 offset:1440
	s_waitcnt vmcnt(58) lgkmcnt(1)
	v_mul_f64 v[87:88], v[11:12], v[93:94]
	s_waitcnt vmcnt(56)
	v_fma_f64 v[91:92], v[1:2], v[97:98], -v[90:91]
	v_mul_f64 v[83:84], v[9:10], v[93:94]
	v_add_f64 v[13:14], v[13:14], v[73:74]
	v_fma_f64 v[73:74], v[3:4], v[97:98], v[116:117]
	v_add_f64 v[15:16], v[15:16], v[35:36]
	s_clause 0x4
	buffer_load_dword v36, off, s[0:3], 0 offset:828
	buffer_load_dword v93, off, s[0:3], 0 offset:840
	;; [unrolled: 1-line block ×5, first 2 shown]
	s_waitcnt vmcnt(57) lgkmcnt(0)
	v_mul_f64 v[116:117], v[5:6], v[101:102]
	v_mul_f64 v[101:102], v[7:8], v[101:102]
	s_waitcnt vmcnt(56)
	v_fma_f64 v[87:88], v[9:10], v[95:96], -v[87:88]
	ds_read_b128 v[1:4], v56 offset:1456
	v_fma_f64 v[83:84], v[11:12], v[95:96], v[83:84]
	v_add_f64 v[13:14], v[13:14], v[91:92]
	v_add_f64 v[15:16], v[15:16], v[73:74]
	s_clause 0x2
	buffer_load_dword v94, off, s[0:3], 0 offset:844
	buffer_load_dword v74, off, s[0:3], 0 offset:820
	;; [unrolled: 1-line block ×3, first 2 shown]
	ds_read_b128 v[9:12], v56 offset:1472
	s_waitcnt vmcnt(58) lgkmcnt(1)
	v_mul_f64 v[95:96], v[3:4], v[103:104]
	s_waitcnt vmcnt(56)
	v_fma_f64 v[101:102], v[5:6], v[108:109], -v[101:102]
	v_mul_f64 v[91:92], v[1:2], v[103:104]
	v_add_f64 v[13:14], v[13:14], v[87:88]
	v_fma_f64 v[87:88], v[7:8], v[108:109], v[116:117]
	v_add_f64 v[15:16], v[15:16], v[83:84]
	s_clause 0x4
	buffer_load_dword v84, off, s[0:3], 0 offset:860
	buffer_load_dword v103, off, s[0:3], 0 offset:872
	;; [unrolled: 1-line block ×5, first 2 shown]
	ds_read_b128 v[5:8], v56 offset:1488
	s_waitcnt vmcnt(57) lgkmcnt(1)
	v_mul_f64 v[108:109], v[9:10], v[99:100]
	v_mul_f64 v[99:100], v[11:12], v[99:100]
	s_waitcnt vmcnt(56)
	v_fma_f64 v[95:96], v[1:2], v[105:106], -v[95:96]
	v_fma_f64 v[91:92], v[3:4], v[105:106], v[91:92]
	v_add_f64 v[13:14], v[13:14], v[101:102]
	v_add_f64 v[15:16], v[15:16], v[87:88]
	s_clause 0x2
	buffer_load_dword v104, off, s[0:3], 0 offset:876
	buffer_load_dword v88, off, s[0:3], 0 offset:852
	;; [unrolled: 1-line block ×3, first 2 shown]
	ds_read_b128 v[1:4], v56 offset:1504
	s_waitcnt vmcnt(58) lgkmcnt(1)
	v_mul_f64 v[105:106], v[7:8], v[112:113]
	v_mul_f64 v[101:102], v[5:6], v[112:113]
	s_waitcnt vmcnt(56)
	v_fma_f64 v[99:100], v[9:10], v[45:46], -v[99:100]
	v_fma_f64 v[45:46], v[11:12], v[45:46], v[108:109]
	buffer_load_dword v108, off, s[0:3], 0 offset:868
	ds_read_b128 v[9:12], v56 offset:1520
	v_add_f64 v[13:14], v[13:14], v[95:96]
	v_add_f64 v[15:16], v[15:16], v[91:92]
	s_waitcnt vmcnt(53) lgkmcnt(1)
	v_mul_f64 v[91:92], v[1:2], v[25:26]
	v_mul_f64 v[25:26], v[3:4], v[25:26]
	s_waitcnt vmcnt(52)
	v_fma_f64 v[95:96], v[5:6], v[114:115], -v[105:106]
	v_add_f64 v[13:14], v[13:14], v[99:100]
	v_fma_f64 v[99:100], v[7:8], v[114:115], v[101:102]
	v_add_f64 v[15:16], v[15:16], v[45:46]
	ds_read_b128 v[5:8], v56 offset:1536
	s_waitcnt vmcnt(51) lgkmcnt(1)
	v_mul_f64 v[45:46], v[9:10], v[65:66]
	v_mul_f64 v[65:66], v[11:12], v[65:66]
	s_waitcnt vmcnt(49)
	v_fma_f64 v[25:26], v[1:2], v[19:20], -v[25:26]
	v_fma_f64 v[19:20], v[3:4], v[19:20], v[91:92]
	v_add_f64 v[13:14], v[13:14], v[95:96]
	s_clause 0x3
	buffer_load_dword v91, off, s[0:3], 0 offset:336
	buffer_load_dword v92, off, s[0:3], 0 offset:340
	;; [unrolled: 1-line block ×4, first 2 shown]
	v_add_f64 v[15:16], v[15:16], v[99:100]
	ds_read_b128 v[1:4], v56 offset:1552
	s_waitcnt vmcnt(49) lgkmcnt(1)
	v_mul_f64 v[99:100], v[5:6], v[39:40]
	v_mul_f64 v[39:40], v[7:8], v[39:40]
	s_waitcnt vmcnt(48)
	v_fma_f64 v[65:66], v[9:10], v[110:111], -v[65:66]
	v_add_f64 v[13:14], v[13:14], v[25:26]
	v_fma_f64 v[25:26], v[11:12], v[110:111], v[45:46]
	v_add_f64 v[15:16], v[15:16], v[19:20]
	ds_read_b128 v[9:12], v56 offset:1568
	s_waitcnt vmcnt(47) lgkmcnt(1)
	v_mul_f64 v[19:20], v[1:2], v[41:42]
	v_mul_f64 v[41:42], v[3:4], v[41:42]
	s_waitcnt vmcnt(45)
	v_fma_f64 v[39:40], v[5:6], v[21:22], -v[39:40]
	v_fma_f64 v[21:22], v[7:8], v[21:22], v[99:100]
	ds_read_b128 v[5:8], v56 offset:1584
	v_add_f64 v[13:14], v[13:14], v[65:66]
	v_add_f64 v[15:16], v[15:16], v[25:26]
	s_waitcnt vmcnt(41) lgkmcnt(1)
	v_mul_f64 v[25:26], v[9:10], v[17:18]
	v_mul_f64 v[17:18], v[11:12], v[17:18]
	s_waitcnt vmcnt(40)
	v_fma_f64 v[41:42], v[1:2], v[67:68], -v[41:42]
	v_fma_f64 v[19:20], v[3:4], v[67:68], v[19:20]
	ds_read_b128 v[1:4], v56 offset:1600
	v_add_f64 v[13:14], v[13:14], v[39:40]
	v_add_f64 v[15:16], v[15:16], v[21:22]
	;; [unrolled: 9-line block ×3, first 2 shown]
	s_waitcnt vmcnt(33) lgkmcnt(1)
	v_mul_f64 v[19:20], v[1:2], v[23:24]
	v_mul_f64 v[23:24], v[3:4], v[23:24]
	s_waitcnt vmcnt(32)
	v_fma_f64 v[27:28], v[5:6], v[43:44], -v[37:38]
	v_add_f64 v[13:14], v[13:14], v[17:18]
	v_fma_f64 v[17:18], v[7:8], v[43:44], v[21:22]
	v_add_f64 v[15:16], v[15:16], v[25:26]
	ds_read_b128 v[5:8], v56 offset:1632
	s_waitcnt vmcnt(31) lgkmcnt(1)
	v_mul_f64 v[25:26], v[11:12], v[75:76]
	v_mul_f64 v[21:22], v[9:10], v[75:76]
	s_waitcnt vmcnt(29)
	v_fma_f64 v[19:20], v[3:4], v[33:34], v[19:20]
	v_fma_f64 v[23:24], v[1:2], v[33:34], -v[23:24]
	ds_read_b128 v[1:4], v56 offset:1648
	v_add_f64 v[13:14], v[13:14], v[27:28]
	v_add_f64 v[15:16], v[15:16], v[17:18]
	s_waitcnt vmcnt(25) lgkmcnt(1)
	v_mul_f64 v[27:28], v[7:8], v[29:30]
	s_waitcnt vmcnt(24)
	v_fma_f64 v[25:26], v[9:10], v[81:82], -v[25:26]
	v_mul_f64 v[17:18], v[5:6], v[29:30]
	v_fma_f64 v[21:22], v[11:12], v[81:82], v[21:22]
	ds_read_b128 v[9:12], v56 offset:1664
	v_add_f64 v[13:14], v[13:14], v[23:24]
	v_add_f64 v[15:16], v[15:16], v[19:20]
	s_waitcnt vmcnt(23) lgkmcnt(1)
	v_mul_f64 v[23:24], v[3:4], v[85:86]
	v_mul_f64 v[19:20], v[1:2], v[85:86]
	s_waitcnt vmcnt(21)
	v_fma_f64 v[27:28], v[5:6], v[31:32], -v[27:28]
	v_fma_f64 v[17:18], v[7:8], v[31:32], v[17:18]
	ds_read_b128 v[5:8], v56 offset:1680
	v_add_f64 v[13:14], v[13:14], v[25:26]
	v_add_f64 v[15:16], v[15:16], v[21:22]
	s_waitcnt vmcnt(17) lgkmcnt(1)
	v_mul_f64 v[25:26], v[11:12], v[35:36]
	s_waitcnt vmcnt(16)
	v_fma_f64 v[23:24], v[1:2], v[89:90], -v[23:24]
	v_mul_f64 v[21:22], v[9:10], v[35:36]
	v_fma_f64 v[19:20], v[3:4], v[89:90], v[19:20]
	ds_read_b128 v[1:4], v56 offset:1696
	v_add_f64 v[13:14], v[13:14], v[27:28]
	v_add_f64 v[15:16], v[15:16], v[17:18]
	s_waitcnt vmcnt(15) lgkmcnt(1)
	v_mul_f64 v[27:28], v[7:8], v[93:94]
	v_mul_f64 v[17:18], v[5:6], v[93:94]
	s_waitcnt vmcnt(13)
	v_fma_f64 v[25:26], v[9:10], v[73:74], -v[25:26]
	v_fma_f64 v[21:22], v[11:12], v[73:74], v[21:22]
	ds_read_b128 v[9:12], v56 offset:1712
	v_add_f64 v[13:14], v[13:14], v[23:24]
	v_add_f64 v[15:16], v[15:16], v[19:20]
	s_waitcnt vmcnt(9) lgkmcnt(1)
	v_mul_f64 v[23:24], v[3:4], v[83:84]
	s_waitcnt vmcnt(8)
	v_fma_f64 v[5:6], v[5:6], v[97:98], -v[27:28]
	v_mul_f64 v[19:20], v[1:2], v[83:84]
	v_fma_f64 v[7:8], v[7:8], v[97:98], v[17:18]
	v_add_f64 v[13:14], v[13:14], v[25:26]
	v_add_f64 v[15:16], v[15:16], v[21:22]
	s_waitcnt vmcnt(7) lgkmcnt(0)
	v_mul_f64 v[21:22], v[11:12], v[103:104]
	v_mul_f64 v[17:18], v[9:10], v[103:104]
	s_waitcnt vmcnt(5)
	v_fma_f64 v[1:2], v[1:2], v[87:88], -v[23:24]
	v_fma_f64 v[3:4], v[3:4], v[87:88], v[19:20]
	v_add_f64 v[5:6], v[13:14], v[5:6]
	v_add_f64 v[7:8], v[15:16], v[7:8]
	s_waitcnt vmcnt(4)
	v_fma_f64 v[9:10], v[9:10], v[107:108], -v[21:22]
	v_add_f64 v[1:2], v[5:6], v[1:2]
	v_fma_f64 v[5:6], v[11:12], v[107:108], v[17:18]
	v_add_f64 v[3:4], v[7:8], v[3:4]
	v_add_f64 v[1:2], v[1:2], v[9:10]
	;; [unrolled: 1-line block ×3, first 2 shown]
	s_waitcnt vmcnt(2)
	v_add_f64 v[1:2], v[91:92], -v[1:2]
	s_waitcnt vmcnt(0)
	v_add_f64 v[3:4], v[95:96], -v[3:4]
	buffer_store_dword v2, off, s[0:3], 0 offset:340
	buffer_store_dword v1, off, s[0:3], 0 offset:336
	;; [unrolled: 1-line block ×4, first 2 shown]
	v_cmpx_lt_u32_e32 19, v0
	s_cbranch_execz .LBB53_299
; %bb.298:
	v_mov_b32_e32 v4, s47
	s_clause 0x3
	buffer_load_dword v1, v4, s[0:3], 0 offen
	buffer_load_dword v2, v4, s[0:3], 0 offen offset:4
	buffer_load_dword v3, v4, s[0:3], 0 offen offset:8
	;; [unrolled: 1-line block ×3, first 2 shown]
	buffer_store_dword v56, off, s[0:3], 0 offset:320
	buffer_store_dword v56, off, s[0:3], 0 offset:324
	buffer_store_dword v56, off, s[0:3], 0 offset:328
	buffer_store_dword v56, off, s[0:3], 0 offset:332
	s_waitcnt vmcnt(0)
	ds_write_b128 v47, v[1:4]
.LBB53_299:
	s_or_b32 exec_lo, exec_lo, s4
	s_waitcnt lgkmcnt(0)
	s_waitcnt_vscnt null, 0x0
	s_barrier
	buffer_gl0_inv
	s_clause 0x37
	buffer_load_dword v9, off, s[0:3], 0 offset:344
	buffer_load_dword v10, off, s[0:3], 0 offset:348
	;; [unrolled: 1-line block ×56, first 2 shown]
	ds_read_b128 v[73:76], v56 offset:1184
	s_clause 0x2
	buffer_load_dword v96, off, s[0:3], 0 offset:572
	buffer_load_dword v98, off, s[0:3], 0 offset:548
	;; [unrolled: 1-line block ×3, first 2 shown]
	ds_read_b128 v[81:84], v56 offset:1200
	s_clause 0x4
	buffer_load_dword v102, off, s[0:3], 0 offset:588
	buffer_load_dword v103, off, s[0:3], 0 offset:600
	;; [unrolled: 1-line block ×5, first 2 shown]
	ds_read_b128 v[85:88], v56 offset:1216
	s_clause 0x2
	buffer_load_dword v104, off, s[0:3], 0 offset:604
	buffer_load_dword v109, off, s[0:3], 0 offset:580
	buffer_load_dword v108, off, s[0:3], 0 offset:576
	s_mov_b32 s4, exec_lo
	s_waitcnt vmcnt(62) lgkmcnt(2)
	v_mul_f64 v[99:100], v[75:76], v[9:10]
	v_mul_f64 v[9:10], v[73:74], v[9:10]
	s_waitcnt lgkmcnt(1)
	v_mul_f64 v[106:107], v[83:84], v[5:6]
	s_waitcnt vmcnt(59) lgkmcnt(0)
	v_mul_f64 v[110:111], v[87:88], v[3:4]
	v_fma_f64 v[73:74], v[73:74], v[7:8], -v[99:100]
	v_mul_f64 v[99:100], v[81:82], v[5:6]
	v_fma_f64 v[9:10], v[75:76], v[7:8], v[9:10]
	s_waitcnt vmcnt(57)
	v_fma_f64 v[81:82], v[81:82], v[1:2], -v[106:107]
	ds_read_b128 v[5:8], v56 offset:1232
	v_mul_f64 v[75:76], v[85:86], v[3:4]
	s_waitcnt vmcnt(51)
	v_fma_f64 v[85:86], v[85:86], v[25:26], -v[110:111]
	v_add_f64 v[73:74], v[73:74], 0
	v_fma_f64 v[83:84], v[83:84], v[1:2], v[99:100]
	v_add_f64 v[9:10], v[9:10], 0
	s_clause 0x4
	buffer_load_dword v100, off, s[0:3], 0 offset:620
	buffer_load_dword v112, off, s[0:3], 0 offset:632
	;; [unrolled: 1-line block ×5, first 2 shown]
	s_waitcnt lgkmcnt(0)
	v_mul_f64 v[115:116], v[5:6], v[13:14]
	v_mul_f64 v[13:14], v[7:8], v[13:14]
	ds_read_b128 v[1:4], v56 offset:1248
	v_fma_f64 v[25:26], v[87:88], v[25:26], v[75:76]
	v_add_f64 v[81:82], v[73:74], v[81:82]
	v_add_f64 v[9:10], v[9:10], v[83:84]
	s_clause 0x2
	buffer_load_dword v113, off, s[0:3], 0 offset:636
	buffer_load_dword v84, off, s[0:3], 0 offset:612
	;; [unrolled: 1-line block ×3, first 2 shown]
	s_waitcnt vmcnt(58) lgkmcnt(0)
	v_mul_f64 v[87:88], v[1:2], v[17:18]
	v_mul_f64 v[17:18], v[3:4], v[17:18]
	s_waitcnt vmcnt(56)
	v_fma_f64 v[13:14], v[5:6], v[19:20], -v[13:14]
	ds_read_b128 v[73:76], v56 offset:1264
	v_fma_f64 v[19:20], v[7:8], v[19:20], v[115:116]
	v_add_f64 v[81:82], v[81:82], v[85:86]
	v_add_f64 v[9:10], v[9:10], v[25:26]
	s_clause 0x4
	buffer_load_dword v26, off, s[0:3], 0 offset:652
	buffer_load_dword v85, off, s[0:3], 0 offset:664
	;; [unrolled: 1-line block ×5, first 2 shown]
	ds_read_b128 v[5:8], v56 offset:1280
	s_waitcnt vmcnt(57) lgkmcnt(1)
	v_mul_f64 v[116:117], v[73:74], v[21:22]
	v_mul_f64 v[21:22], v[75:76], v[21:22]
	s_waitcnt vmcnt(56)
	v_fma_f64 v[17:18], v[1:2], v[11:12], -v[17:18]
	v_fma_f64 v[11:12], v[3:4], v[11:12], v[87:88]
	v_add_f64 v[13:14], v[81:82], v[13:14]
	v_add_f64 v[9:10], v[9:10], v[19:20]
	s_clause 0x2
	buffer_load_dword v86, off, s[0:3], 0 offset:668
	buffer_load_dword v20, off, s[0:3], 0 offset:644
	;; [unrolled: 1-line block ×3, first 2 shown]
	s_waitcnt vmcnt(58) lgkmcnt(0)
	v_mul_f64 v[81:82], v[5:6], v[27:28]
	v_mul_f64 v[27:28], v[7:8], v[27:28]
	s_waitcnt vmcnt(56)
	v_fma_f64 v[21:22], v[73:74], v[29:30], -v[21:22]
	ds_read_b128 v[1:4], v56 offset:1296
	v_add_f64 v[13:14], v[13:14], v[17:18]
	v_fma_f64 v[17:18], v[75:76], v[29:30], v[116:117]
	v_add_f64 v[29:30], v[9:10], v[11:12]
	s_clause 0x4
	buffer_load_dword v74, off, s[0:3], 0 offset:684
	buffer_load_dword v75, off, s[0:3], 0 offset:696
	buffer_load_dword v87, off, s[0:3], 0 offset:688
	buffer_load_dword v73, off, s[0:3], 0 offset:680
	buffer_load_dword v111, off, s[0:3], 0 offset:660
	ds_read_b128 v[9:12], v56 offset:1312
	s_waitcnt vmcnt(57) lgkmcnt(1)
	v_mul_f64 v[116:117], v[1:2], v[31:32]
	v_mul_f64 v[31:32], v[3:4], v[31:32]
	s_waitcnt vmcnt(56)
	v_fma_f64 v[27:28], v[5:6], v[15:16], -v[27:28]
	v_fma_f64 v[15:16], v[7:8], v[15:16], v[81:82]
	v_add_f64 v[13:14], v[13:14], v[21:22]
	s_clause 0x2
	buffer_load_dword v76, off, s[0:3], 0 offset:700
	buffer_load_dword v22, off, s[0:3], 0 offset:676
	buffer_load_dword v21, off, s[0:3], 0 offset:672
	v_add_f64 v[17:18], v[29:30], v[17:18]
	s_waitcnt vmcnt(58) lgkmcnt(0)
	v_mul_f64 v[29:30], v[9:10], v[35:36]
	v_mul_f64 v[35:36], v[11:12], v[35:36]
	ds_read_b128 v[5:8], v56 offset:1328
	s_waitcnt vmcnt(56)
	v_fma_f64 v[31:32], v[1:2], v[37:38], -v[31:32]
	v_add_f64 v[13:14], v[13:14], v[27:28]
	v_fma_f64 v[27:28], v[3:4], v[37:38], v[116:117]
	v_add_f64 v[15:16], v[17:18], v[15:16]
	s_clause 0x4
	buffer_load_dword v18, off, s[0:3], 0 offset:716
	buffer_load_dword v37, off, s[0:3], 0 offset:728
	;; [unrolled: 1-line block ×5, first 2 shown]
	s_waitcnt vmcnt(57) lgkmcnt(0)
	v_mul_f64 v[116:117], v[5:6], v[39:40]
	v_mul_f64 v[39:40], v[7:8], v[39:40]
	s_waitcnt vmcnt(56)
	v_fma_f64 v[35:36], v[9:10], v[23:24], -v[35:36]
	ds_read_b128 v[1:4], v56 offset:1344
	v_fma_f64 v[23:24], v[11:12], v[23:24], v[29:30]
	v_add_f64 v[13:14], v[13:14], v[31:32]
	v_add_f64 v[15:16], v[15:16], v[27:28]
	s_clause 0x2
	buffer_load_dword v38, off, s[0:3], 0 offset:732
	buffer_load_dword v28, off, s[0:3], 0 offset:708
	;; [unrolled: 1-line block ×3, first 2 shown]
	ds_read_b128 v[9:12], v56 offset:1360
	s_waitcnt vmcnt(58) lgkmcnt(1)
	v_mul_f64 v[31:32], v[3:4], v[43:44]
	s_waitcnt vmcnt(56)
	v_fma_f64 v[39:40], v[5:6], v[45:46], -v[39:40]
	v_mul_f64 v[29:30], v[1:2], v[43:44]
	v_add_f64 v[13:14], v[13:14], v[35:36]
	v_fma_f64 v[35:36], v[7:8], v[45:46], v[116:117]
	v_add_f64 v[15:16], v[15:16], v[23:24]
	s_clause 0x4
	buffer_load_dword v24, off, s[0:3], 0 offset:748
	buffer_load_dword v43, off, s[0:3], 0 offset:760
	;; [unrolled: 1-line block ×5, first 2 shown]
	s_waitcnt vmcnt(57) lgkmcnt(0)
	v_mul_f64 v[116:117], v[9:10], v[65:66]
	v_mul_f64 v[65:66], v[11:12], v[65:66]
	s_waitcnt vmcnt(56)
	v_fma_f64 v[31:32], v[1:2], v[33:34], -v[31:32]
	ds_read_b128 v[5:8], v56 offset:1376
	v_fma_f64 v[29:30], v[3:4], v[33:34], v[29:30]
	s_clause 0x2
	buffer_load_dword v44, off, s[0:3], 0 offset:764
	buffer_load_dword v34, off, s[0:3], 0 offset:740
	;; [unrolled: 1-line block ×3, first 2 shown]
	ds_read_b128 v[1:4], v56 offset:1392
	v_add_f64 v[13:14], v[13:14], v[39:40]
	v_add_f64 v[15:16], v[15:16], v[35:36]
	s_waitcnt vmcnt(58) lgkmcnt(1)
	v_mul_f64 v[39:40], v[7:8], v[89:90]
	s_waitcnt vmcnt(56)
	v_fma_f64 v[65:66], v[9:10], v[91:92], -v[65:66]
	v_mul_f64 v[35:36], v[5:6], v[89:90]
	v_add_f64 v[13:14], v[13:14], v[31:32]
	v_fma_f64 v[31:32], v[11:12], v[91:92], v[116:117]
	v_add_f64 v[15:16], v[15:16], v[29:30]
	s_clause 0x4
	buffer_load_dword v30, off, s[0:3], 0 offset:780
	buffer_load_dword v89, off, s[0:3], 0 offset:792
	;; [unrolled: 1-line block ×5, first 2 shown]
	s_waitcnt vmcnt(57) lgkmcnt(0)
	v_mul_f64 v[116:117], v[1:2], v[93:94]
	v_mul_f64 v[92:93], v[3:4], v[93:94]
	s_waitcnt vmcnt(56)
	v_fma_f64 v[39:40], v[5:6], v[41:42], -v[39:40]
	ds_read_b128 v[9:12], v56 offset:1408
	v_fma_f64 v[35:36], v[7:8], v[41:42], v[35:36]
	v_add_f64 v[13:14], v[13:14], v[65:66]
	v_add_f64 v[15:16], v[15:16], v[31:32]
	s_clause 0x2
	buffer_load_dword v90, off, s[0:3], 0 offset:796
	buffer_load_dword v32, off, s[0:3], 0 offset:772
	;; [unrolled: 1-line block ×3, first 2 shown]
	ds_read_b128 v[5:8], v56 offset:1424
	s_waitcnt vmcnt(58) lgkmcnt(1)
	v_mul_f64 v[65:66], v[11:12], v[95:96]
	s_waitcnt vmcnt(56)
	v_fma_f64 v[93:94], v[1:2], v[97:98], -v[92:93]
	v_mul_f64 v[41:42], v[9:10], v[95:96]
	v_add_f64 v[13:14], v[13:14], v[39:40]
	v_fma_f64 v[39:40], v[3:4], v[97:98], v[116:117]
	v_add_f64 v[15:16], v[15:16], v[35:36]
	s_clause 0x4
	buffer_load_dword v36, off, s[0:3], 0 offset:812
	buffer_load_dword v95, off, s[0:3], 0 offset:824
	;; [unrolled: 1-line block ×5, first 2 shown]
	s_waitcnt vmcnt(57) lgkmcnt(0)
	v_mul_f64 v[116:117], v[5:6], v[101:102]
	v_mul_f64 v[101:102], v[7:8], v[101:102]
	s_waitcnt vmcnt(56)
	v_fma_f64 v[65:66], v[9:10], v[67:68], -v[65:66]
	ds_read_b128 v[1:4], v56 offset:1440
	v_fma_f64 v[41:42], v[11:12], v[67:68], v[41:42]
	v_add_f64 v[13:14], v[13:14], v[93:94]
	v_add_f64 v[15:16], v[15:16], v[39:40]
	s_clause 0x2
	buffer_load_dword v96, off, s[0:3], 0 offset:828
	buffer_load_dword v40, off, s[0:3], 0 offset:804
	;; [unrolled: 1-line block ×3, first 2 shown]
	ds_read_b128 v[9:12], v56 offset:1456
	s_waitcnt vmcnt(58) lgkmcnt(1)
	v_mul_f64 v[93:94], v[3:4], v[103:104]
	s_waitcnt vmcnt(56)
	v_fma_f64 v[101:102], v[5:6], v[108:109], -v[101:102]
	v_mul_f64 v[67:68], v[1:2], v[103:104]
	v_add_f64 v[13:14], v[13:14], v[65:66]
	v_fma_f64 v[65:66], v[7:8], v[108:109], v[116:117]
	v_add_f64 v[15:16], v[15:16], v[41:42]
	s_clause 0x4
	buffer_load_dword v42, off, s[0:3], 0 offset:844
	buffer_load_dword v103, off, s[0:3], 0 offset:856
	buffer_load_dword v107, off, s[0:3], 0 offset:848
	buffer_load_dword v41, off, s[0:3], 0 offset:840
	buffer_load_dword v98, off, s[0:3], 0 offset:820
	ds_read_b128 v[5:8], v56 offset:1472
	s_waitcnt vmcnt(57) lgkmcnt(1)
	v_mul_f64 v[108:109], v[9:10], v[99:100]
	v_mul_f64 v[99:100], v[11:12], v[99:100]
	s_waitcnt vmcnt(56)
	v_fma_f64 v[93:94], v[1:2], v[105:106], -v[93:94]
	v_fma_f64 v[67:68], v[3:4], v[105:106], v[67:68]
	v_add_f64 v[13:14], v[13:14], v[101:102]
	v_add_f64 v[15:16], v[15:16], v[65:66]
	s_clause 0x2
	buffer_load_dword v104, off, s[0:3], 0 offset:860
	buffer_load_dword v66, off, s[0:3], 0 offset:836
	;; [unrolled: 1-line block ×3, first 2 shown]
	ds_read_b128 v[1:4], v56 offset:1488
	s_waitcnt vmcnt(58) lgkmcnt(1)
	v_mul_f64 v[105:106], v[7:8], v[112:113]
	v_mul_f64 v[101:102], v[5:6], v[112:113]
	s_waitcnt vmcnt(56)
	v_fma_f64 v[99:100], v[9:10], v[83:84], -v[99:100]
	v_fma_f64 v[83:84], v[11:12], v[83:84], v[108:109]
	v_add_f64 v[13:14], v[13:14], v[93:94]
	v_add_f64 v[15:16], v[15:16], v[67:68]
	s_clause 0x2
	buffer_load_dword v68, off, s[0:3], 0 offset:876
	buffer_load_dword v67, off, s[0:3], 0 offset:872
	;; [unrolled: 1-line block ×3, first 2 shown]
	ds_read_b128 v[9:12], v56 offset:1504
	s_waitcnt vmcnt(55) lgkmcnt(1)
	v_mul_f64 v[93:94], v[1:2], v[25:26]
	v_mul_f64 v[25:26], v[3:4], v[25:26]
	s_waitcnt vmcnt(54)
	v_fma_f64 v[105:106], v[5:6], v[114:115], -v[105:106]
	v_add_f64 v[13:14], v[13:14], v[99:100]
	v_fma_f64 v[99:100], v[7:8], v[114:115], v[101:102]
	v_add_f64 v[15:16], v[15:16], v[83:84]
	s_clause 0x1
	buffer_load_dword v84, off, s[0:3], 0 offset:868
	buffer_load_dword v83, off, s[0:3], 0 offset:864
	ds_read_b128 v[5:8], v56 offset:1520
	s_waitcnt vmcnt(55) lgkmcnt(1)
	v_mul_f64 v[101:102], v[9:10], v[85:86]
	v_mul_f64 v[85:86], v[11:12], v[85:86]
	s_waitcnt vmcnt(53)
	v_fma_f64 v[25:26], v[1:2], v[19:20], -v[25:26]
	v_fma_f64 v[19:20], v[3:4], v[19:20], v[93:94]
	ds_read_b128 v[1:4], v56 offset:1536
	v_add_f64 v[13:14], v[13:14], v[105:106]
	v_add_f64 v[15:16], v[15:16], v[99:100]
	s_waitcnt vmcnt(49) lgkmcnt(1)
	v_mul_f64 v[93:94], v[5:6], v[73:74]
	v_mul_f64 v[73:74], v[7:8], v[73:74]
	s_waitcnt vmcnt(48)
	v_fma_f64 v[85:86], v[9:10], v[110:111], -v[85:86]
	v_add_f64 v[13:14], v[13:14], v[25:26]
	v_fma_f64 v[25:26], v[11:12], v[110:111], v[101:102]
	v_add_f64 v[15:16], v[15:16], v[19:20]
	s_clause 0x3
	buffer_load_dword v19, off, s[0:3], 0 offset:320
	buffer_load_dword v20, off, s[0:3], 0 offset:324
	;; [unrolled: 1-line block ×4, first 2 shown]
	ds_read_b128 v[9:12], v56 offset:1552
	s_waitcnt vmcnt(51) lgkmcnt(1)
	v_mul_f64 v[101:102], v[1:2], v[75:76]
	v_mul_f64 v[75:76], v[3:4], v[75:76]
	s_waitcnt vmcnt(49)
	v_fma_f64 v[73:74], v[5:6], v[21:22], -v[73:74]
	v_fma_f64 v[21:22], v[7:8], v[21:22], v[93:94]
	ds_read_b128 v[5:8], v56 offset:1568
	v_add_f64 v[13:14], v[13:14], v[85:86]
	v_add_f64 v[15:16], v[15:16], v[25:26]
	s_waitcnt vmcnt(45) lgkmcnt(1)
	v_mul_f64 v[25:26], v[9:10], v[17:18]
	v_mul_f64 v[17:18], v[11:12], v[17:18]
	s_waitcnt vmcnt(44)
	v_fma_f64 v[75:76], v[1:2], v[87:88], -v[75:76]
	v_add_f64 v[13:14], v[13:14], v[73:74]
	v_fma_f64 v[73:74], v[3:4], v[87:88], v[101:102]
	v_add_f64 v[15:16], v[15:16], v[21:22]
	ds_read_b128 v[1:4], v56 offset:1584
	s_waitcnt vmcnt(43) lgkmcnt(1)
	v_mul_f64 v[21:22], v[5:6], v[37:38]
	v_mul_f64 v[37:38], v[7:8], v[37:38]
	s_waitcnt vmcnt(41)
	v_fma_f64 v[17:18], v[9:10], v[27:28], -v[17:18]
	v_fma_f64 v[25:26], v[11:12], v[27:28], v[25:26]
	ds_read_b128 v[9:12], v56 offset:1600
	v_add_f64 v[13:14], v[13:14], v[75:76]
	v_add_f64 v[15:16], v[15:16], v[73:74]
	s_waitcnt vmcnt(37) lgkmcnt(1)
	v_mul_f64 v[27:28], v[1:2], v[23:24]
	v_mul_f64 v[23:24], v[3:4], v[23:24]
	s_waitcnt vmcnt(36)
	v_fma_f64 v[37:38], v[5:6], v[81:82], -v[37:38]
	v_add_f64 v[13:14], v[13:14], v[17:18]
	v_fma_f64 v[17:18], v[7:8], v[81:82], v[21:22]
	v_add_f64 v[15:16], v[15:16], v[25:26]
	s_waitcnt vmcnt(35) lgkmcnt(0)
	v_mul_f64 v[25:26], v[11:12], v[43:44]
	ds_read_b128 v[5:8], v56 offset:1616
	v_mul_f64 v[21:22], v[9:10], v[43:44]
	s_waitcnt vmcnt(33)
	v_fma_f64 v[27:28], v[3:4], v[33:34], v[27:28]
	v_fma_f64 v[23:24], v[1:2], v[33:34], -v[23:24]
	ds_read_b128 v[1:4], v56 offset:1632
	v_add_f64 v[13:14], v[13:14], v[37:38]
	v_add_f64 v[15:16], v[15:16], v[17:18]
	s_waitcnt vmcnt(29) lgkmcnt(1)
	v_mul_f64 v[17:18], v[5:6], v[29:30]
	v_mul_f64 v[29:30], v[7:8], v[29:30]
	s_waitcnt vmcnt(28)
	v_fma_f64 v[25:26], v[9:10], v[45:46], -v[25:26]
	v_fma_f64 v[21:22], v[11:12], v[45:46], v[21:22]
	ds_read_b128 v[9:12], v56 offset:1648
	v_add_f64 v[13:14], v[13:14], v[23:24]
	v_add_f64 v[15:16], v[15:16], v[27:28]
	s_waitcnt vmcnt(27) lgkmcnt(1)
	v_mul_f64 v[27:28], v[3:4], v[89:90]
	v_mul_f64 v[23:24], v[1:2], v[89:90]
	s_waitcnt vmcnt(25)
	v_fma_f64 v[29:30], v[5:6], v[31:32], -v[29:30]
	v_fma_f64 v[17:18], v[7:8], v[31:32], v[17:18]
	ds_read_b128 v[5:8], v56 offset:1664
	v_add_f64 v[13:14], v[13:14], v[25:26]
	v_add_f64 v[15:16], v[15:16], v[21:22]
	s_waitcnt vmcnt(21) lgkmcnt(1)
	v_mul_f64 v[25:26], v[11:12], v[35:36]
	s_waitcnt vmcnt(20)
	v_fma_f64 v[27:28], v[1:2], v[91:92], -v[27:28]
	v_mul_f64 v[21:22], v[9:10], v[35:36]
	v_fma_f64 v[23:24], v[3:4], v[91:92], v[23:24]
	ds_read_b128 v[1:4], v56 offset:1680
	v_add_f64 v[13:14], v[13:14], v[29:30]
	v_add_f64 v[15:16], v[15:16], v[17:18]
	s_waitcnt vmcnt(19) lgkmcnt(1)
	v_mul_f64 v[29:30], v[7:8], v[95:96]
	v_mul_f64 v[17:18], v[5:6], v[95:96]
	s_waitcnt vmcnt(17)
	v_fma_f64 v[25:26], v[9:10], v[39:40], -v[25:26]
	v_fma_f64 v[21:22], v[11:12], v[39:40], v[21:22]
	ds_read_b128 v[9:12], v56 offset:1696
	v_add_f64 v[13:14], v[13:14], v[27:28]
	v_add_f64 v[15:16], v[15:16], v[23:24]
	s_waitcnt vmcnt(13) lgkmcnt(1)
	v_mul_f64 v[27:28], v[3:4], v[41:42]
	s_waitcnt vmcnt(12)
	v_fma_f64 v[29:30], v[5:6], v[97:98], -v[29:30]
	v_mul_f64 v[23:24], v[1:2], v[41:42]
	v_fma_f64 v[17:18], v[7:8], v[97:98], v[17:18]
	ds_read_b128 v[5:8], v56 offset:1712
	v_add_f64 v[13:14], v[13:14], v[25:26]
	v_add_f64 v[15:16], v[15:16], v[21:22]
	s_waitcnt vmcnt(11) lgkmcnt(1)
	v_mul_f64 v[25:26], v[11:12], v[103:104]
	v_mul_f64 v[21:22], v[9:10], v[103:104]
	s_waitcnt vmcnt(9)
	v_fma_f64 v[1:2], v[1:2], v[65:66], -v[27:28]
	v_fma_f64 v[3:4], v[3:4], v[65:66], v[23:24]
	v_add_f64 v[13:14], v[13:14], v[29:30]
	v_add_f64 v[15:16], v[15:16], v[17:18]
	s_waitcnt vmcnt(7) lgkmcnt(0)
	v_mul_f64 v[23:24], v[7:8], v[67:68]
	s_waitcnt vmcnt(6)
	v_fma_f64 v[9:10], v[9:10], v[107:108], -v[25:26]
	v_mul_f64 v[17:18], v[5:6], v[67:68]
	v_fma_f64 v[11:12], v[11:12], v[107:108], v[21:22]
	v_add_f64 v[1:2], v[13:14], v[1:2]
	v_add_f64 v[3:4], v[15:16], v[3:4]
	s_waitcnt vmcnt(4)
	v_fma_f64 v[5:6], v[5:6], v[83:84], -v[23:24]
	v_fma_f64 v[7:8], v[7:8], v[83:84], v[17:18]
	v_add_f64 v[1:2], v[1:2], v[9:10]
	v_add_f64 v[3:4], v[3:4], v[11:12]
	;; [unrolled: 1-line block ×4, first 2 shown]
	s_waitcnt vmcnt(2)
	v_add_f64 v[1:2], v[19:20], -v[1:2]
	s_waitcnt vmcnt(0)
	v_add_f64 v[3:4], v[99:100], -v[3:4]
	buffer_store_dword v2, off, s[0:3], 0 offset:324
	buffer_store_dword v1, off, s[0:3], 0 offset:320
	;; [unrolled: 1-line block ×4, first 2 shown]
	v_cmpx_lt_u32_e32 18, v0
	s_cbranch_execz .LBB53_301
; %bb.300:
	v_mov_b32_e32 v4, s48
	v_mov_b32_e32 v5, 0
	s_clause 0x3
	buffer_load_dword v1, v4, s[0:3], 0 offen
	buffer_load_dword v2, v4, s[0:3], 0 offen offset:4
	buffer_load_dword v3, v4, s[0:3], 0 offen offset:8
	;; [unrolled: 1-line block ×3, first 2 shown]
	buffer_store_dword v5, off, s[0:3], 0 offset:304
	buffer_store_dword v5, off, s[0:3], 0 offset:308
	;; [unrolled: 1-line block ×4, first 2 shown]
	s_waitcnt vmcnt(0)
	ds_write_b128 v47, v[1:4]
.LBB53_301:
	s_or_b32 exec_lo, exec_lo, s4
	s_waitcnt lgkmcnt(0)
	s_waitcnt_vscnt null, 0x0
	s_barrier
	buffer_gl0_inv
	s_clause 0x37
	buffer_load_dword v9, off, s[0:3], 0 offset:328
	buffer_load_dword v10, off, s[0:3], 0 offset:332
	;; [unrolled: 1-line block ×56, first 2 shown]
	v_mov_b32_e32 v56, 0
	s_mov_b32 s4, exec_lo
	ds_read_b128 v[85:88], v56 offset:1168
	s_clause 0x2
	buffer_load_dword v84, off, s[0:3], 0 offset:556
	buffer_load_dword v98, off, s[0:3], 0 offset:532
	;; [unrolled: 1-line block ×3, first 2 shown]
	ds_read_b128 v[89:92], v56 offset:1184
	s_clause 0x4
	buffer_load_dword v102, off, s[0:3], 0 offset:572
	buffer_load_dword v103, off, s[0:3], 0 offset:584
	;; [unrolled: 1-line block ×5, first 2 shown]
	ds_read_b128 v[93:96], v56 offset:1200
	s_clause 0x2
	buffer_load_dword v104, off, s[0:3], 0 offset:588
	buffer_load_dword v109, off, s[0:3], 0 offset:564
	;; [unrolled: 1-line block ×3, first 2 shown]
	s_waitcnt vmcnt(62) lgkmcnt(2)
	v_mul_f64 v[99:100], v[87:88], v[9:10]
	v_mul_f64 v[9:10], v[85:86], v[9:10]
	s_waitcnt lgkmcnt(1)
	v_mul_f64 v[106:107], v[91:92], v[5:6]
	s_waitcnt vmcnt(59) lgkmcnt(0)
	v_mul_f64 v[110:111], v[95:96], v[3:4]
	v_fma_f64 v[85:86], v[85:86], v[7:8], -v[99:100]
	v_mul_f64 v[99:100], v[89:90], v[5:6]
	v_fma_f64 v[9:10], v[87:88], v[7:8], v[9:10]
	s_waitcnt vmcnt(57)
	v_fma_f64 v[89:90], v[89:90], v[1:2], -v[106:107]
	ds_read_b128 v[5:8], v56 offset:1216
	v_mul_f64 v[87:88], v[93:94], v[3:4]
	s_waitcnt vmcnt(51)
	v_fma_f64 v[93:94], v[93:94], v[25:26], -v[110:111]
	v_add_f64 v[85:86], v[85:86], 0
	v_fma_f64 v[91:92], v[91:92], v[1:2], v[99:100]
	v_add_f64 v[9:10], v[9:10], 0
	s_clause 0x4
	buffer_load_dword v100, off, s[0:3], 0 offset:604
	buffer_load_dword v112, off, s[0:3], 0 offset:616
	buffer_load_dword v114, off, s[0:3], 0 offset:608
	buffer_load_dword v99, off, s[0:3], 0 offset:600
	buffer_load_dword v106, off, s[0:3], 0 offset:580
	s_waitcnt lgkmcnt(0)
	v_mul_f64 v[115:116], v[5:6], v[13:14]
	v_mul_f64 v[13:14], v[7:8], v[13:14]
	ds_read_b128 v[1:4], v56 offset:1232
	v_fma_f64 v[25:26], v[95:96], v[25:26], v[87:88]
	v_add_f64 v[89:90], v[85:86], v[89:90]
	v_add_f64 v[9:10], v[9:10], v[91:92]
	s_clause 0x2
	buffer_load_dword v113, off, s[0:3], 0 offset:620
	buffer_load_dword v92, off, s[0:3], 0 offset:596
	;; [unrolled: 1-line block ×3, first 2 shown]
	s_waitcnt vmcnt(58) lgkmcnt(0)
	v_mul_f64 v[95:96], v[1:2], v[17:18]
	v_mul_f64 v[17:18], v[3:4], v[17:18]
	s_waitcnt vmcnt(56)
	v_fma_f64 v[13:14], v[5:6], v[19:20], -v[13:14]
	ds_read_b128 v[85:88], v56 offset:1248
	v_fma_f64 v[19:20], v[7:8], v[19:20], v[115:116]
	v_add_f64 v[89:90], v[89:90], v[93:94]
	v_add_f64 v[9:10], v[9:10], v[25:26]
	s_clause 0x4
	buffer_load_dword v26, off, s[0:3], 0 offset:636
	buffer_load_dword v93, off, s[0:3], 0 offset:648
	;; [unrolled: 1-line block ×5, first 2 shown]
	ds_read_b128 v[5:8], v56 offset:1264
	s_waitcnt vmcnt(57) lgkmcnt(1)
	v_mul_f64 v[116:117], v[85:86], v[21:22]
	v_mul_f64 v[21:22], v[87:88], v[21:22]
	s_waitcnt vmcnt(56)
	v_fma_f64 v[17:18], v[1:2], v[11:12], -v[17:18]
	v_fma_f64 v[11:12], v[3:4], v[11:12], v[95:96]
	v_add_f64 v[13:14], v[89:90], v[13:14]
	v_add_f64 v[9:10], v[9:10], v[19:20]
	s_clause 0x2
	buffer_load_dword v94, off, s[0:3], 0 offset:652
	buffer_load_dword v20, off, s[0:3], 0 offset:628
	;; [unrolled: 1-line block ×3, first 2 shown]
	s_waitcnt vmcnt(58) lgkmcnt(0)
	v_mul_f64 v[89:90], v[5:6], v[27:28]
	v_mul_f64 v[27:28], v[7:8], v[27:28]
	s_waitcnt vmcnt(56)
	v_fma_f64 v[21:22], v[85:86], v[29:30], -v[21:22]
	ds_read_b128 v[1:4], v56 offset:1280
	v_add_f64 v[13:14], v[13:14], v[17:18]
	v_fma_f64 v[17:18], v[87:88], v[29:30], v[116:117]
	v_add_f64 v[29:30], v[9:10], v[11:12]
	s_clause 0x4
	buffer_load_dword v86, off, s[0:3], 0 offset:668
	buffer_load_dword v87, off, s[0:3], 0 offset:680
	buffer_load_dword v95, off, s[0:3], 0 offset:672
	buffer_load_dword v85, off, s[0:3], 0 offset:664
	buffer_load_dword v111, off, s[0:3], 0 offset:644
	ds_read_b128 v[9:12], v56 offset:1296
	s_waitcnt vmcnt(57) lgkmcnt(1)
	v_mul_f64 v[116:117], v[1:2], v[31:32]
	v_mul_f64 v[31:32], v[3:4], v[31:32]
	s_waitcnt vmcnt(56)
	v_fma_f64 v[27:28], v[5:6], v[15:16], -v[27:28]
	v_fma_f64 v[15:16], v[7:8], v[15:16], v[89:90]
	v_add_f64 v[13:14], v[13:14], v[21:22]
	s_clause 0x2
	buffer_load_dword v88, off, s[0:3], 0 offset:684
	buffer_load_dword v22, off, s[0:3], 0 offset:660
	;; [unrolled: 1-line block ×3, first 2 shown]
	v_add_f64 v[17:18], v[29:30], v[17:18]
	s_waitcnt vmcnt(58) lgkmcnt(0)
	v_mul_f64 v[29:30], v[9:10], v[35:36]
	v_mul_f64 v[35:36], v[11:12], v[35:36]
	ds_read_b128 v[5:8], v56 offset:1312
	s_waitcnt vmcnt(56)
	v_fma_f64 v[31:32], v[1:2], v[37:38], -v[31:32]
	v_add_f64 v[13:14], v[13:14], v[27:28]
	v_fma_f64 v[27:28], v[3:4], v[37:38], v[116:117]
	v_add_f64 v[15:16], v[17:18], v[15:16]
	s_clause 0x4
	buffer_load_dword v18, off, s[0:3], 0 offset:700
	buffer_load_dword v37, off, s[0:3], 0 offset:712
	;; [unrolled: 1-line block ×5, first 2 shown]
	s_waitcnt vmcnt(57) lgkmcnt(0)
	v_mul_f64 v[116:117], v[5:6], v[39:40]
	v_mul_f64 v[39:40], v[7:8], v[39:40]
	s_waitcnt vmcnt(56)
	v_fma_f64 v[35:36], v[9:10], v[23:24], -v[35:36]
	ds_read_b128 v[1:4], v56 offset:1328
	v_fma_f64 v[23:24], v[11:12], v[23:24], v[29:30]
	v_add_f64 v[13:14], v[13:14], v[31:32]
	v_add_f64 v[15:16], v[15:16], v[27:28]
	s_clause 0x2
	buffer_load_dword v38, off, s[0:3], 0 offset:716
	buffer_load_dword v28, off, s[0:3], 0 offset:692
	;; [unrolled: 1-line block ×3, first 2 shown]
	ds_read_b128 v[9:12], v56 offset:1344
	s_waitcnt vmcnt(58) lgkmcnt(1)
	v_mul_f64 v[31:32], v[3:4], v[43:44]
	s_waitcnt vmcnt(56)
	v_fma_f64 v[39:40], v[5:6], v[45:46], -v[39:40]
	v_mul_f64 v[29:30], v[1:2], v[43:44]
	v_add_f64 v[13:14], v[13:14], v[35:36]
	v_fma_f64 v[35:36], v[7:8], v[45:46], v[116:117]
	v_add_f64 v[15:16], v[15:16], v[23:24]
	s_clause 0x4
	buffer_load_dword v24, off, s[0:3], 0 offset:732
	buffer_load_dword v43, off, s[0:3], 0 offset:744
	;; [unrolled: 1-line block ×5, first 2 shown]
	s_waitcnt vmcnt(57) lgkmcnt(0)
	v_mul_f64 v[116:117], v[9:10], v[65:66]
	v_mul_f64 v[65:66], v[11:12], v[65:66]
	s_waitcnt vmcnt(56)
	v_fma_f64 v[31:32], v[1:2], v[33:34], -v[31:32]
	ds_read_b128 v[5:8], v56 offset:1360
	v_fma_f64 v[29:30], v[3:4], v[33:34], v[29:30]
	s_clause 0x2
	buffer_load_dword v44, off, s[0:3], 0 offset:748
	buffer_load_dword v34, off, s[0:3], 0 offset:724
	;; [unrolled: 1-line block ×3, first 2 shown]
	ds_read_b128 v[1:4], v56 offset:1376
	v_add_f64 v[13:14], v[13:14], v[39:40]
	v_add_f64 v[15:16], v[15:16], v[35:36]
	s_waitcnt vmcnt(58) lgkmcnt(1)
	v_mul_f64 v[39:40], v[7:8], v[73:74]
	s_waitcnt vmcnt(56)
	v_fma_f64 v[65:66], v[9:10], v[75:76], -v[65:66]
	v_mul_f64 v[35:36], v[5:6], v[73:74]
	v_add_f64 v[13:14], v[13:14], v[31:32]
	v_fma_f64 v[31:32], v[11:12], v[75:76], v[116:117]
	v_add_f64 v[15:16], v[15:16], v[29:30]
	s_clause 0x4
	buffer_load_dword v30, off, s[0:3], 0 offset:764
	buffer_load_dword v73, off, s[0:3], 0 offset:776
	;; [unrolled: 1-line block ×5, first 2 shown]
	s_waitcnt vmcnt(57) lgkmcnt(0)
	v_mul_f64 v[116:117], v[1:2], v[81:82]
	v_mul_f64 v[81:82], v[3:4], v[81:82]
	s_waitcnt vmcnt(56)
	v_fma_f64 v[39:40], v[5:6], v[41:42], -v[39:40]
	ds_read_b128 v[9:12], v56 offset:1392
	v_fma_f64 v[35:36], v[7:8], v[41:42], v[35:36]
	v_add_f64 v[13:14], v[13:14], v[65:66]
	v_add_f64 v[15:16], v[15:16], v[31:32]
	s_clause 0x2
	buffer_load_dword v74, off, s[0:3], 0 offset:780
	buffer_load_dword v32, off, s[0:3], 0 offset:756
	;; [unrolled: 1-line block ×3, first 2 shown]
	ds_read_b128 v[5:8], v56 offset:1408
	s_waitcnt vmcnt(58) lgkmcnt(1)
	v_mul_f64 v[65:66], v[11:12], v[83:84]
	s_waitcnt vmcnt(56)
	v_fma_f64 v[81:82], v[1:2], v[97:98], -v[81:82]
	v_mul_f64 v[41:42], v[9:10], v[83:84]
	v_add_f64 v[13:14], v[13:14], v[39:40]
	v_fma_f64 v[39:40], v[3:4], v[97:98], v[116:117]
	v_add_f64 v[15:16], v[15:16], v[35:36]
	s_clause 0x4
	buffer_load_dword v36, off, s[0:3], 0 offset:796
	buffer_load_dword v83, off, s[0:3], 0 offset:808
	;; [unrolled: 1-line block ×5, first 2 shown]
	s_waitcnt vmcnt(57) lgkmcnt(0)
	v_mul_f64 v[116:117], v[5:6], v[101:102]
	v_mul_f64 v[101:102], v[7:8], v[101:102]
	s_waitcnt vmcnt(56)
	v_fma_f64 v[65:66], v[9:10], v[67:68], -v[65:66]
	ds_read_b128 v[1:4], v56 offset:1424
	v_fma_f64 v[41:42], v[11:12], v[67:68], v[41:42]
	v_add_f64 v[13:14], v[13:14], v[81:82]
	v_add_f64 v[15:16], v[15:16], v[39:40]
	s_clause 0x2
	buffer_load_dword v84, off, s[0:3], 0 offset:812
	buffer_load_dword v40, off, s[0:3], 0 offset:788
	;; [unrolled: 1-line block ×3, first 2 shown]
	ds_read_b128 v[9:12], v56 offset:1440
	s_waitcnt vmcnt(58) lgkmcnt(1)
	v_mul_f64 v[81:82], v[3:4], v[103:104]
	s_waitcnt vmcnt(56)
	v_fma_f64 v[101:102], v[5:6], v[108:109], -v[101:102]
	v_mul_f64 v[67:68], v[1:2], v[103:104]
	v_add_f64 v[13:14], v[13:14], v[65:66]
	v_fma_f64 v[65:66], v[7:8], v[108:109], v[116:117]
	v_add_f64 v[15:16], v[15:16], v[41:42]
	s_clause 0x4
	buffer_load_dword v42, off, s[0:3], 0 offset:828
	buffer_load_dword v103, off, s[0:3], 0 offset:840
	;; [unrolled: 1-line block ×5, first 2 shown]
	ds_read_b128 v[5:8], v56 offset:1456
	s_waitcnt vmcnt(57) lgkmcnt(1)
	v_mul_f64 v[108:109], v[9:10], v[99:100]
	v_mul_f64 v[99:100], v[11:12], v[99:100]
	s_waitcnt vmcnt(56)
	v_fma_f64 v[81:82], v[1:2], v[105:106], -v[81:82]
	v_fma_f64 v[67:68], v[3:4], v[105:106], v[67:68]
	v_add_f64 v[13:14], v[13:14], v[101:102]
	v_add_f64 v[15:16], v[15:16], v[65:66]
	s_clause 0x2
	buffer_load_dword v104, off, s[0:3], 0 offset:844
	buffer_load_dword v66, off, s[0:3], 0 offset:820
	;; [unrolled: 1-line block ×3, first 2 shown]
	ds_read_b128 v[1:4], v56 offset:1472
	s_waitcnt vmcnt(58) lgkmcnt(1)
	v_mul_f64 v[105:106], v[7:8], v[112:113]
	v_mul_f64 v[101:102], v[5:6], v[112:113]
	s_waitcnt vmcnt(56)
	v_fma_f64 v[99:100], v[9:10], v[91:92], -v[99:100]
	v_add_f64 v[13:14], v[13:14], v[81:82]
	v_fma_f64 v[81:82], v[11:12], v[91:92], v[108:109]
	v_add_f64 v[15:16], v[15:16], v[67:68]
	s_clause 0x4
	buffer_load_dword v68, off, s[0:3], 0 offset:860
	buffer_load_dword v91, off, s[0:3], 0 offset:872
	;; [unrolled: 1-line block ×5, first 2 shown]
	ds_read_b128 v[9:12], v56 offset:1488
	s_waitcnt vmcnt(57) lgkmcnt(1)
	v_mul_f64 v[116:117], v[1:2], v[25:26]
	v_mul_f64 v[25:26], v[3:4], v[25:26]
	s_waitcnt vmcnt(56)
	v_fma_f64 v[105:106], v[5:6], v[114:115], -v[105:106]
	v_add_f64 v[13:14], v[13:14], v[99:100]
	v_fma_f64 v[99:100], v[7:8], v[114:115], v[101:102]
	v_add_f64 v[15:16], v[15:16], v[81:82]
	s_clause 0x2
	buffer_load_dword v92, off, s[0:3], 0 offset:876
	buffer_load_dword v82, off, s[0:3], 0 offset:852
	buffer_load_dword v81, off, s[0:3], 0 offset:848
	ds_read_b128 v[5:8], v56 offset:1504
	buffer_load_dword v113, off, s[0:3], 0 offset:868
	s_waitcnt vmcnt(59) lgkmcnt(1)
	v_mul_f64 v[101:102], v[9:10], v[93:94]
	v_mul_f64 v[93:94], v[11:12], v[93:94]
	s_waitcnt vmcnt(57)
	v_fma_f64 v[25:26], v[1:2], v[19:20], -v[25:26]
	v_fma_f64 v[19:20], v[3:4], v[19:20], v[116:117]
	ds_read_b128 v[1:4], v56 offset:1520
	v_add_f64 v[13:14], v[13:14], v[105:106]
	v_add_f64 v[15:16], v[15:16], v[99:100]
	s_waitcnt vmcnt(53) lgkmcnt(1)
	v_mul_f64 v[99:100], v[5:6], v[85:86]
	v_mul_f64 v[85:86], v[7:8], v[85:86]
	s_waitcnt vmcnt(52)
	v_fma_f64 v[93:94], v[9:10], v[110:111], -v[93:94]
	v_add_f64 v[13:14], v[13:14], v[25:26]
	v_fma_f64 v[25:26], v[11:12], v[110:111], v[101:102]
	v_add_f64 v[15:16], v[15:16], v[19:20]
	ds_read_b128 v[9:12], v56 offset:1536
	s_waitcnt vmcnt(51) lgkmcnt(1)
	v_mul_f64 v[19:20], v[1:2], v[87:88]
	v_mul_f64 v[87:88], v[3:4], v[87:88]
	s_waitcnt vmcnt(49)
	v_fma_f64 v[85:86], v[5:6], v[21:22], -v[85:86]
	v_fma_f64 v[21:22], v[7:8], v[21:22], v[99:100]
	v_add_f64 v[13:14], v[13:14], v[93:94]
	v_add_f64 v[15:16], v[15:16], v[25:26]
	s_clause 0x3
	buffer_load_dword v25, off, s[0:3], 0 offset:304
	buffer_load_dword v26, off, s[0:3], 0 offset:308
	;; [unrolled: 1-line block ×4, first 2 shown]
	ds_read_b128 v[5:8], v56 offset:1552
	s_waitcnt vmcnt(49) lgkmcnt(1)
	v_mul_f64 v[99:100], v[9:10], v[17:18]
	v_mul_f64 v[17:18], v[11:12], v[17:18]
	s_waitcnt vmcnt(48)
	v_fma_f64 v[87:88], v[1:2], v[95:96], -v[87:88]
	v_fma_f64 v[19:20], v[3:4], v[95:96], v[19:20]
	ds_read_b128 v[1:4], v56 offset:1568
	v_add_f64 v[13:14], v[13:14], v[85:86]
	v_add_f64 v[15:16], v[15:16], v[21:22]
	s_waitcnt vmcnt(47) lgkmcnt(1)
	v_mul_f64 v[21:22], v[5:6], v[37:38]
	v_mul_f64 v[37:38], v[7:8], v[37:38]
	s_waitcnt vmcnt(45)
	v_fma_f64 v[17:18], v[9:10], v[27:28], -v[17:18]
	v_fma_f64 v[27:28], v[11:12], v[27:28], v[99:100]
	ds_read_b128 v[9:12], v56 offset:1584
	v_add_f64 v[13:14], v[13:14], v[87:88]
	v_add_f64 v[15:16], v[15:16], v[19:20]
	s_waitcnt vmcnt(41) lgkmcnt(1)
	v_mul_f64 v[19:20], v[1:2], v[23:24]
	v_mul_f64 v[23:24], v[3:4], v[23:24]
	s_waitcnt vmcnt(40)
	v_fma_f64 v[37:38], v[5:6], v[89:90], -v[37:38]
	v_add_f64 v[13:14], v[13:14], v[17:18]
	v_fma_f64 v[17:18], v[7:8], v[89:90], v[21:22]
	v_add_f64 v[15:16], v[15:16], v[27:28]
	ds_read_b128 v[5:8], v56 offset:1600
	s_waitcnt vmcnt(39) lgkmcnt(1)
	v_mul_f64 v[27:28], v[11:12], v[43:44]
	v_mul_f64 v[21:22], v[9:10], v[43:44]
	s_waitcnt vmcnt(37)
	v_fma_f64 v[19:20], v[3:4], v[33:34], v[19:20]
	v_fma_f64 v[23:24], v[1:2], v[33:34], -v[23:24]
	ds_read_b128 v[1:4], v56 offset:1616
	v_add_f64 v[13:14], v[13:14], v[37:38]
	v_add_f64 v[15:16], v[15:16], v[17:18]
	s_waitcnt vmcnt(33) lgkmcnt(1)
	v_mul_f64 v[17:18], v[5:6], v[29:30]
	v_mul_f64 v[29:30], v[7:8], v[29:30]
	s_waitcnt vmcnt(32)
	v_fma_f64 v[27:28], v[9:10], v[45:46], -v[27:28]
	v_fma_f64 v[21:22], v[11:12], v[45:46], v[21:22]
	ds_read_b128 v[9:12], v56 offset:1632
	v_add_f64 v[13:14], v[13:14], v[23:24]
	v_add_f64 v[15:16], v[15:16], v[19:20]
	s_waitcnt vmcnt(31) lgkmcnt(1)
	v_mul_f64 v[23:24], v[3:4], v[73:74]
	v_mul_f64 v[19:20], v[1:2], v[73:74]
	s_waitcnt vmcnt(29)
	v_fma_f64 v[29:30], v[5:6], v[31:32], -v[29:30]
	v_fma_f64 v[17:18], v[7:8], v[31:32], v[17:18]
	ds_read_b128 v[5:8], v56 offset:1648
	v_add_f64 v[13:14], v[13:14], v[27:28]
	v_add_f64 v[15:16], v[15:16], v[21:22]
	s_waitcnt vmcnt(25) lgkmcnt(1)
	v_mul_f64 v[27:28], v[11:12], v[35:36]
	s_waitcnt vmcnt(24)
	v_fma_f64 v[23:24], v[1:2], v[75:76], -v[23:24]
	v_mul_f64 v[21:22], v[9:10], v[35:36]
	v_fma_f64 v[19:20], v[3:4], v[75:76], v[19:20]
	ds_read_b128 v[1:4], v56 offset:1664
	v_add_f64 v[13:14], v[13:14], v[29:30]
	v_add_f64 v[15:16], v[15:16], v[17:18]
	s_waitcnt vmcnt(23) lgkmcnt(1)
	v_mul_f64 v[29:30], v[7:8], v[83:84]
	v_mul_f64 v[17:18], v[5:6], v[83:84]
	s_waitcnt vmcnt(21)
	v_fma_f64 v[27:28], v[9:10], v[39:40], -v[27:28]
	v_fma_f64 v[21:22], v[11:12], v[39:40], v[21:22]
	ds_read_b128 v[9:12], v56 offset:1680
	v_add_f64 v[13:14], v[13:14], v[23:24]
	v_add_f64 v[15:16], v[15:16], v[19:20]
	s_waitcnt vmcnt(17) lgkmcnt(1)
	v_mul_f64 v[23:24], v[3:4], v[41:42]
	s_waitcnt vmcnt(16)
	v_fma_f64 v[29:30], v[5:6], v[97:98], -v[29:30]
	v_mul_f64 v[19:20], v[1:2], v[41:42]
	;; [unrolled: 18-line block ×3, first 2 shown]
	v_fma_f64 v[11:12], v[11:12], v[107:108], v[21:22]
	v_add_f64 v[13:14], v[13:14], v[23:24]
	v_add_f64 v[15:16], v[15:16], v[19:20]
	s_waitcnt vmcnt(7) lgkmcnt(0)
	v_mul_f64 v[21:22], v[3:4], v[91:92]
	v_mul_f64 v[19:20], v[1:2], v[91:92]
	s_waitcnt vmcnt(5)
	v_fma_f64 v[5:6], v[5:6], v[81:82], -v[29:30]
	v_fma_f64 v[7:8], v[7:8], v[81:82], v[17:18]
	v_add_f64 v[9:10], v[13:14], v[9:10]
	v_add_f64 v[11:12], v[15:16], v[11:12]
	s_waitcnt vmcnt(4)
	v_fma_f64 v[1:2], v[1:2], v[112:113], -v[21:22]
	v_fma_f64 v[3:4], v[3:4], v[112:113], v[19:20]
	v_add_f64 v[5:6], v[9:10], v[5:6]
	v_add_f64 v[7:8], v[11:12], v[7:8]
	;; [unrolled: 1-line block ×4, first 2 shown]
	s_waitcnt vmcnt(2)
	v_add_f64 v[1:2], v[25:26], -v[1:2]
	s_waitcnt vmcnt(0)
	v_add_f64 v[3:4], v[93:94], -v[3:4]
	buffer_store_dword v2, off, s[0:3], 0 offset:308
	buffer_store_dword v1, off, s[0:3], 0 offset:304
	;; [unrolled: 1-line block ×4, first 2 shown]
	v_cmpx_lt_u32_e32 17, v0
	s_cbranch_execz .LBB53_303
; %bb.302:
	v_mov_b32_e32 v4, s49
	s_clause 0x3
	buffer_load_dword v1, v4, s[0:3], 0 offen
	buffer_load_dword v2, v4, s[0:3], 0 offen offset:4
	buffer_load_dword v3, v4, s[0:3], 0 offen offset:8
	;; [unrolled: 1-line block ×3, first 2 shown]
	buffer_store_dword v56, off, s[0:3], 0 offset:288
	buffer_store_dword v56, off, s[0:3], 0 offset:292
	;; [unrolled: 1-line block ×4, first 2 shown]
	s_waitcnt vmcnt(0)
	ds_write_b128 v47, v[1:4]
.LBB53_303:
	s_or_b32 exec_lo, exec_lo, s4
	s_waitcnt lgkmcnt(0)
	s_waitcnt_vscnt null, 0x0
	s_barrier
	buffer_gl0_inv
	s_clause 0x37
	buffer_load_dword v9, off, s[0:3], 0 offset:312
	buffer_load_dword v10, off, s[0:3], 0 offset:316
	buffer_load_dword v5, off, s[0:3], 0 offset:328
	buffer_load_dword v6, off, s[0:3], 0 offset:332
	buffer_load_dword v7, off, s[0:3], 0 offset:304
	buffer_load_dword v8, off, s[0:3], 0 offset:308
	buffer_load_dword v3, off, s[0:3], 0 offset:344
	buffer_load_dword v4, off, s[0:3], 0 offset:348
	buffer_load_dword v1, off, s[0:3], 0 offset:320
	buffer_load_dword v2, off, s[0:3], 0 offset:324
	buffer_load_dword v14, off, s[0:3], 0 offset:364
	buffer_load_dword v17, off, s[0:3], 0 offset:376
	buffer_load_dword v11, off, s[0:3], 0 offset:368
	buffer_load_dword v13, off, s[0:3], 0 offset:360
	buffer_load_dword v25, off, s[0:3], 0 offset:336
	buffer_load_dword v26, off, s[0:3], 0 offset:340
	buffer_load_dword v18, off, s[0:3], 0 offset:380
	buffer_load_dword v20, off, s[0:3], 0 offset:356
	buffer_load_dword v19, off, s[0:3], 0 offset:352
	buffer_load_dword v22, off, s[0:3], 0 offset:396
	buffer_load_dword v27, off, s[0:3], 0 offset:408
	buffer_load_dword v15, off, s[0:3], 0 offset:400
	buffer_load_dword v21, off, s[0:3], 0 offset:392
	buffer_load_dword v12, off, s[0:3], 0 offset:372
	buffer_load_dword v28, off, s[0:3], 0 offset:412
	buffer_load_dword v30, off, s[0:3], 0 offset:388
	buffer_load_dword v29, off, s[0:3], 0 offset:384
	buffer_load_dword v32, off, s[0:3], 0 offset:428
	buffer_load_dword v35, off, s[0:3], 0 offset:440
	buffer_load_dword v23, off, s[0:3], 0 offset:432
	buffer_load_dword v31, off, s[0:3], 0 offset:424
	buffer_load_dword v16, off, s[0:3], 0 offset:404
	buffer_load_dword v36, off, s[0:3], 0 offset:444
	buffer_load_dword v38, off, s[0:3], 0 offset:420
	buffer_load_dword v37, off, s[0:3], 0 offset:416
	buffer_load_dword v40, off, s[0:3], 0 offset:460
	buffer_load_dword v43, off, s[0:3], 0 offset:472
	buffer_load_dword v33, off, s[0:3], 0 offset:464
	buffer_load_dword v39, off, s[0:3], 0 offset:456
	buffer_load_dword v24, off, s[0:3], 0 offset:436
	buffer_load_dword v44, off, s[0:3], 0 offset:476
	buffer_load_dword v46, off, s[0:3], 0 offset:452
	buffer_load_dword v45, off, s[0:3], 0 offset:448
	buffer_load_dword v66, off, s[0:3], 0 offset:492
	buffer_load_dword v73, off, s[0:3], 0 offset:504
	buffer_load_dword v41, off, s[0:3], 0 offset:496
	buffer_load_dword v65, off, s[0:3], 0 offset:488
	buffer_load_dword v34, off, s[0:3], 0 offset:468
	buffer_load_dword v74, off, s[0:3], 0 offset:508
	buffer_load_dword v76, off, s[0:3], 0 offset:484
	buffer_load_dword v75, off, s[0:3], 0 offset:480
	buffer_load_dword v82, off, s[0:3], 0 offset:524
	buffer_load_dword v83, off, s[0:3], 0 offset:536
	buffer_load_dword v67, off, s[0:3], 0 offset:528
	buffer_load_dword v81, off, s[0:3], 0 offset:520
	buffer_load_dword v42, off, s[0:3], 0 offset:500
	ds_read_b128 v[87:90], v56 offset:1152
	s_clause 0x2
	buffer_load_dword v84, off, s[0:3], 0 offset:540
	buffer_load_dword v86, off, s[0:3], 0 offset:516
	;; [unrolled: 1-line block ×3, first 2 shown]
	ds_read_b128 v[91:94], v56 offset:1168
	s_clause 0x4
	buffer_load_dword v102, off, s[0:3], 0 offset:556
	buffer_load_dword v103, off, s[0:3], 0 offset:568
	;; [unrolled: 1-line block ×5, first 2 shown]
	ds_read_b128 v[95:98], v56 offset:1184
	s_clause 0x2
	buffer_load_dword v104, off, s[0:3], 0 offset:572
	buffer_load_dword v109, off, s[0:3], 0 offset:548
	buffer_load_dword v108, off, s[0:3], 0 offset:544
	s_mov_b32 s4, exec_lo
	s_waitcnt vmcnt(62) lgkmcnt(2)
	v_mul_f64 v[99:100], v[89:90], v[9:10]
	v_mul_f64 v[9:10], v[87:88], v[9:10]
	s_waitcnt lgkmcnt(1)
	v_mul_f64 v[106:107], v[93:94], v[5:6]
	s_waitcnt vmcnt(59) lgkmcnt(0)
	v_mul_f64 v[110:111], v[97:98], v[3:4]
	v_fma_f64 v[87:88], v[87:88], v[7:8], -v[99:100]
	v_mul_f64 v[99:100], v[91:92], v[5:6]
	v_fma_f64 v[9:10], v[89:90], v[7:8], v[9:10]
	s_waitcnt vmcnt(57)
	v_fma_f64 v[91:92], v[91:92], v[1:2], -v[106:107]
	ds_read_b128 v[5:8], v56 offset:1200
	v_mul_f64 v[89:90], v[95:96], v[3:4]
	s_waitcnt vmcnt(51)
	v_fma_f64 v[95:96], v[95:96], v[25:26], -v[110:111]
	v_add_f64 v[87:88], v[87:88], 0
	v_fma_f64 v[93:94], v[93:94], v[1:2], v[99:100]
	v_add_f64 v[9:10], v[9:10], 0
	s_clause 0x4
	buffer_load_dword v100, off, s[0:3], 0 offset:588
	buffer_load_dword v112, off, s[0:3], 0 offset:600
	;; [unrolled: 1-line block ×5, first 2 shown]
	s_waitcnt lgkmcnt(0)
	v_mul_f64 v[115:116], v[5:6], v[13:14]
	v_mul_f64 v[13:14], v[7:8], v[13:14]
	ds_read_b128 v[1:4], v56 offset:1216
	v_fma_f64 v[25:26], v[97:98], v[25:26], v[89:90]
	v_add_f64 v[91:92], v[87:88], v[91:92]
	v_add_f64 v[9:10], v[9:10], v[93:94]
	s_clause 0x2
	buffer_load_dword v113, off, s[0:3], 0 offset:604
	buffer_load_dword v94, off, s[0:3], 0 offset:580
	;; [unrolled: 1-line block ×3, first 2 shown]
	s_waitcnt vmcnt(58) lgkmcnt(0)
	v_mul_f64 v[97:98], v[1:2], v[17:18]
	v_mul_f64 v[17:18], v[3:4], v[17:18]
	s_waitcnt vmcnt(56)
	v_fma_f64 v[13:14], v[5:6], v[19:20], -v[13:14]
	ds_read_b128 v[87:90], v56 offset:1232
	v_fma_f64 v[19:20], v[7:8], v[19:20], v[115:116]
	v_add_f64 v[91:92], v[91:92], v[95:96]
	v_add_f64 v[9:10], v[9:10], v[25:26]
	s_clause 0x4
	buffer_load_dword v26, off, s[0:3], 0 offset:620
	buffer_load_dword v95, off, s[0:3], 0 offset:632
	;; [unrolled: 1-line block ×5, first 2 shown]
	ds_read_b128 v[5:8], v56 offset:1248
	s_waitcnt vmcnt(57) lgkmcnt(1)
	v_mul_f64 v[116:117], v[87:88], v[21:22]
	v_mul_f64 v[21:22], v[89:90], v[21:22]
	s_waitcnt vmcnt(56)
	v_fma_f64 v[17:18], v[1:2], v[11:12], -v[17:18]
	v_fma_f64 v[11:12], v[3:4], v[11:12], v[97:98]
	v_add_f64 v[13:14], v[91:92], v[13:14]
	v_add_f64 v[9:10], v[9:10], v[19:20]
	s_clause 0x2
	buffer_load_dword v96, off, s[0:3], 0 offset:636
	buffer_load_dword v20, off, s[0:3], 0 offset:612
	;; [unrolled: 1-line block ×3, first 2 shown]
	s_waitcnt vmcnt(58) lgkmcnt(0)
	v_mul_f64 v[91:92], v[5:6], v[27:28]
	v_mul_f64 v[27:28], v[7:8], v[27:28]
	s_waitcnt vmcnt(56)
	v_fma_f64 v[21:22], v[87:88], v[29:30], -v[21:22]
	ds_read_b128 v[1:4], v56 offset:1264
	v_add_f64 v[13:14], v[13:14], v[17:18]
	v_fma_f64 v[17:18], v[89:90], v[29:30], v[116:117]
	v_add_f64 v[29:30], v[9:10], v[11:12]
	s_clause 0x4
	buffer_load_dword v88, off, s[0:3], 0 offset:652
	buffer_load_dword v89, off, s[0:3], 0 offset:664
	;; [unrolled: 1-line block ×5, first 2 shown]
	ds_read_b128 v[9:12], v56 offset:1280
	s_waitcnt vmcnt(57) lgkmcnt(1)
	v_mul_f64 v[116:117], v[1:2], v[31:32]
	v_mul_f64 v[31:32], v[3:4], v[31:32]
	s_waitcnt vmcnt(56)
	v_fma_f64 v[27:28], v[5:6], v[15:16], -v[27:28]
	v_fma_f64 v[15:16], v[7:8], v[15:16], v[91:92]
	v_add_f64 v[13:14], v[13:14], v[21:22]
	s_clause 0x2
	buffer_load_dword v90, off, s[0:3], 0 offset:668
	buffer_load_dword v22, off, s[0:3], 0 offset:644
	;; [unrolled: 1-line block ×3, first 2 shown]
	v_add_f64 v[17:18], v[29:30], v[17:18]
	s_waitcnt vmcnt(58) lgkmcnt(0)
	v_mul_f64 v[29:30], v[9:10], v[35:36]
	v_mul_f64 v[35:36], v[11:12], v[35:36]
	ds_read_b128 v[5:8], v56 offset:1296
	s_waitcnt vmcnt(56)
	v_fma_f64 v[31:32], v[1:2], v[37:38], -v[31:32]
	v_add_f64 v[13:14], v[13:14], v[27:28]
	v_fma_f64 v[27:28], v[3:4], v[37:38], v[116:117]
	v_add_f64 v[15:16], v[17:18], v[15:16]
	s_clause 0x4
	buffer_load_dword v18, off, s[0:3], 0 offset:684
	buffer_load_dword v37, off, s[0:3], 0 offset:696
	;; [unrolled: 1-line block ×5, first 2 shown]
	s_waitcnt vmcnt(57) lgkmcnt(0)
	v_mul_f64 v[116:117], v[5:6], v[39:40]
	v_mul_f64 v[39:40], v[7:8], v[39:40]
	s_waitcnt vmcnt(56)
	v_fma_f64 v[35:36], v[9:10], v[23:24], -v[35:36]
	ds_read_b128 v[1:4], v56 offset:1312
	v_fma_f64 v[23:24], v[11:12], v[23:24], v[29:30]
	v_add_f64 v[13:14], v[13:14], v[31:32]
	v_add_f64 v[15:16], v[15:16], v[27:28]
	s_clause 0x2
	buffer_load_dword v38, off, s[0:3], 0 offset:700
	buffer_load_dword v28, off, s[0:3], 0 offset:676
	;; [unrolled: 1-line block ×3, first 2 shown]
	ds_read_b128 v[9:12], v56 offset:1328
	s_waitcnt vmcnt(58) lgkmcnt(1)
	v_mul_f64 v[31:32], v[3:4], v[43:44]
	s_waitcnt vmcnt(56)
	v_fma_f64 v[39:40], v[5:6], v[45:46], -v[39:40]
	v_mul_f64 v[29:30], v[1:2], v[43:44]
	v_add_f64 v[13:14], v[13:14], v[35:36]
	v_fma_f64 v[35:36], v[7:8], v[45:46], v[116:117]
	v_add_f64 v[15:16], v[15:16], v[23:24]
	s_clause 0x4
	buffer_load_dword v24, off, s[0:3], 0 offset:716
	buffer_load_dword v43, off, s[0:3], 0 offset:728
	;; [unrolled: 1-line block ×5, first 2 shown]
	s_waitcnt vmcnt(57) lgkmcnt(0)
	v_mul_f64 v[116:117], v[9:10], v[65:66]
	v_mul_f64 v[65:66], v[11:12], v[65:66]
	s_waitcnt vmcnt(56)
	v_fma_f64 v[31:32], v[1:2], v[33:34], -v[31:32]
	ds_read_b128 v[5:8], v56 offset:1344
	v_fma_f64 v[29:30], v[3:4], v[33:34], v[29:30]
	s_clause 0x2
	buffer_load_dword v44, off, s[0:3], 0 offset:732
	buffer_load_dword v34, off, s[0:3], 0 offset:708
	;; [unrolled: 1-line block ×3, first 2 shown]
	ds_read_b128 v[1:4], v56 offset:1360
	v_add_f64 v[13:14], v[13:14], v[39:40]
	v_add_f64 v[15:16], v[15:16], v[35:36]
	s_waitcnt vmcnt(58) lgkmcnt(1)
	v_mul_f64 v[39:40], v[7:8], v[73:74]
	s_waitcnt vmcnt(56)
	v_fma_f64 v[65:66], v[9:10], v[75:76], -v[65:66]
	v_mul_f64 v[35:36], v[5:6], v[73:74]
	v_add_f64 v[13:14], v[13:14], v[31:32]
	v_fma_f64 v[31:32], v[11:12], v[75:76], v[116:117]
	v_add_f64 v[15:16], v[15:16], v[29:30]
	s_clause 0x4
	buffer_load_dword v30, off, s[0:3], 0 offset:748
	buffer_load_dword v73, off, s[0:3], 0 offset:760
	;; [unrolled: 1-line block ×5, first 2 shown]
	s_waitcnt vmcnt(57) lgkmcnt(0)
	v_mul_f64 v[116:117], v[1:2], v[81:82]
	v_mul_f64 v[81:82], v[3:4], v[81:82]
	s_waitcnt vmcnt(56)
	v_fma_f64 v[39:40], v[5:6], v[41:42], -v[39:40]
	ds_read_b128 v[9:12], v56 offset:1376
	v_fma_f64 v[35:36], v[7:8], v[41:42], v[35:36]
	v_add_f64 v[13:14], v[13:14], v[65:66]
	v_add_f64 v[15:16], v[15:16], v[31:32]
	s_clause 0x2
	buffer_load_dword v74, off, s[0:3], 0 offset:764
	buffer_load_dword v32, off, s[0:3], 0 offset:740
	;; [unrolled: 1-line block ×3, first 2 shown]
	ds_read_b128 v[5:8], v56 offset:1392
	s_waitcnt vmcnt(58) lgkmcnt(1)
	v_mul_f64 v[65:66], v[11:12], v[83:84]
	s_waitcnt vmcnt(56)
	v_fma_f64 v[81:82], v[1:2], v[85:86], -v[81:82]
	v_mul_f64 v[41:42], v[9:10], v[83:84]
	v_add_f64 v[13:14], v[13:14], v[39:40]
	v_fma_f64 v[39:40], v[3:4], v[85:86], v[116:117]
	v_add_f64 v[15:16], v[15:16], v[35:36]
	s_clause 0x4
	buffer_load_dword v36, off, s[0:3], 0 offset:780
	buffer_load_dword v83, off, s[0:3], 0 offset:792
	;; [unrolled: 1-line block ×5, first 2 shown]
	s_waitcnt vmcnt(57) lgkmcnt(0)
	v_mul_f64 v[116:117], v[5:6], v[101:102]
	v_mul_f64 v[101:102], v[7:8], v[101:102]
	s_waitcnt vmcnt(56)
	v_fma_f64 v[65:66], v[9:10], v[67:68], -v[65:66]
	ds_read_b128 v[1:4], v56 offset:1408
	v_fma_f64 v[41:42], v[11:12], v[67:68], v[41:42]
	v_add_f64 v[13:14], v[13:14], v[81:82]
	v_add_f64 v[15:16], v[15:16], v[39:40]
	s_clause 0x2
	buffer_load_dword v84, off, s[0:3], 0 offset:796
	buffer_load_dword v40, off, s[0:3], 0 offset:772
	;; [unrolled: 1-line block ×3, first 2 shown]
	ds_read_b128 v[9:12], v56 offset:1424
	s_waitcnt vmcnt(58) lgkmcnt(1)
	v_mul_f64 v[81:82], v[3:4], v[103:104]
	s_waitcnt vmcnt(56)
	v_fma_f64 v[101:102], v[5:6], v[108:109], -v[101:102]
	v_mul_f64 v[67:68], v[1:2], v[103:104]
	v_add_f64 v[13:14], v[13:14], v[65:66]
	v_fma_f64 v[65:66], v[7:8], v[108:109], v[116:117]
	v_add_f64 v[15:16], v[15:16], v[41:42]
	s_clause 0x4
	buffer_load_dword v42, off, s[0:3], 0 offset:812
	buffer_load_dword v103, off, s[0:3], 0 offset:824
	;; [unrolled: 1-line block ×5, first 2 shown]
	ds_read_b128 v[5:8], v56 offset:1440
	s_waitcnt vmcnt(57) lgkmcnt(1)
	v_mul_f64 v[108:109], v[9:10], v[99:100]
	v_mul_f64 v[99:100], v[11:12], v[99:100]
	s_waitcnt vmcnt(56)
	v_fma_f64 v[81:82], v[1:2], v[105:106], -v[81:82]
	v_fma_f64 v[67:68], v[3:4], v[105:106], v[67:68]
	v_add_f64 v[13:14], v[13:14], v[101:102]
	v_add_f64 v[15:16], v[15:16], v[65:66]
	s_clause 0x2
	buffer_load_dword v104, off, s[0:3], 0 offset:828
	buffer_load_dword v66, off, s[0:3], 0 offset:804
	;; [unrolled: 1-line block ×3, first 2 shown]
	ds_read_b128 v[1:4], v56 offset:1456
	s_waitcnt vmcnt(58) lgkmcnt(1)
	v_mul_f64 v[105:106], v[7:8], v[112:113]
	v_mul_f64 v[101:102], v[5:6], v[112:113]
	s_waitcnt vmcnt(56)
	v_fma_f64 v[99:100], v[9:10], v[93:94], -v[99:100]
	v_add_f64 v[13:14], v[13:14], v[81:82]
	v_fma_f64 v[81:82], v[11:12], v[93:94], v[108:109]
	v_add_f64 v[15:16], v[15:16], v[67:68]
	s_clause 0x4
	buffer_load_dword v68, off, s[0:3], 0 offset:844
	buffer_load_dword v93, off, s[0:3], 0 offset:856
	;; [unrolled: 1-line block ×5, first 2 shown]
	ds_read_b128 v[9:12], v56 offset:1472
	s_waitcnt vmcnt(57) lgkmcnt(1)
	v_mul_f64 v[116:117], v[1:2], v[25:26]
	v_mul_f64 v[25:26], v[3:4], v[25:26]
	s_waitcnt vmcnt(56)
	v_fma_f64 v[105:106], v[5:6], v[114:115], -v[105:106]
	v_add_f64 v[13:14], v[13:14], v[99:100]
	v_fma_f64 v[99:100], v[7:8], v[114:115], v[101:102]
	v_add_f64 v[15:16], v[15:16], v[81:82]
	s_clause 0x2
	buffer_load_dword v94, off, s[0:3], 0 offset:860
	buffer_load_dword v82, off, s[0:3], 0 offset:836
	;; [unrolled: 1-line block ×3, first 2 shown]
	ds_read_b128 v[5:8], v56 offset:1488
	s_waitcnt vmcnt(58) lgkmcnt(1)
	v_mul_f64 v[101:102], v[9:10], v[95:96]
	v_mul_f64 v[95:96], v[11:12], v[95:96]
	s_waitcnt vmcnt(56)
	v_fma_f64 v[25:26], v[1:2], v[19:20], -v[25:26]
	v_fma_f64 v[19:20], v[3:4], v[19:20], v[116:117]
	v_add_f64 v[13:14], v[13:14], v[105:106]
	v_add_f64 v[15:16], v[15:16], v[99:100]
	s_clause 0x2
	buffer_load_dword v100, off, s[0:3], 0 offset:876
	buffer_load_dword v99, off, s[0:3], 0 offset:872
	;; [unrolled: 1-line block ×3, first 2 shown]
	ds_read_b128 v[1:4], v56 offset:1504
	s_waitcnt vmcnt(55) lgkmcnt(1)
	v_mul_f64 v[105:106], v[5:6], v[87:88]
	v_mul_f64 v[87:88], v[7:8], v[87:88]
	s_waitcnt vmcnt(54)
	v_fma_f64 v[95:96], v[9:10], v[110:111], -v[95:96]
	v_add_f64 v[13:14], v[13:14], v[25:26]
	v_fma_f64 v[25:26], v[11:12], v[110:111], v[101:102]
	v_add_f64 v[15:16], v[15:16], v[19:20]
	s_clause 0x1
	buffer_load_dword v20, off, s[0:3], 0 offset:868
	buffer_load_dword v19, off, s[0:3], 0 offset:864
	ds_read_b128 v[9:12], v56 offset:1520
	s_waitcnt vmcnt(55) lgkmcnt(1)
	v_mul_f64 v[101:102], v[1:2], v[89:90]
	v_mul_f64 v[89:90], v[3:4], v[89:90]
	s_waitcnt vmcnt(53)
	v_fma_f64 v[87:88], v[5:6], v[21:22], -v[87:88]
	v_fma_f64 v[21:22], v[7:8], v[21:22], v[105:106]
	ds_read_b128 v[5:8], v56 offset:1536
	v_add_f64 v[13:14], v[13:14], v[95:96]
	v_add_f64 v[15:16], v[15:16], v[25:26]
	s_waitcnt vmcnt(49) lgkmcnt(1)
	v_mul_f64 v[25:26], v[9:10], v[17:18]
	v_mul_f64 v[17:18], v[11:12], v[17:18]
	s_waitcnt vmcnt(48)
	v_fma_f64 v[89:90], v[1:2], v[97:98], -v[89:90]
	v_add_f64 v[13:14], v[13:14], v[87:88]
	v_fma_f64 v[87:88], v[3:4], v[97:98], v[101:102]
	v_add_f64 v[15:16], v[15:16], v[21:22]
	s_clause 0x3
	buffer_load_dword v21, off, s[0:3], 0 offset:288
	buffer_load_dword v22, off, s[0:3], 0 offset:292
	;; [unrolled: 1-line block ×4, first 2 shown]
	ds_read_b128 v[1:4], v56 offset:1552
	s_waitcnt vmcnt(51) lgkmcnt(1)
	v_mul_f64 v[97:98], v[5:6], v[37:38]
	v_mul_f64 v[37:38], v[7:8], v[37:38]
	s_waitcnt vmcnt(49)
	v_fma_f64 v[17:18], v[9:10], v[27:28], -v[17:18]
	v_fma_f64 v[25:26], v[11:12], v[27:28], v[25:26]
	ds_read_b128 v[9:12], v56 offset:1568
	v_add_f64 v[13:14], v[13:14], v[89:90]
	v_add_f64 v[15:16], v[15:16], v[87:88]
	s_waitcnt vmcnt(45) lgkmcnt(1)
	v_mul_f64 v[27:28], v[1:2], v[23:24]
	v_mul_f64 v[23:24], v[3:4], v[23:24]
	s_waitcnt vmcnt(44)
	v_fma_f64 v[37:38], v[5:6], v[91:92], -v[37:38]
	v_add_f64 v[13:14], v[13:14], v[17:18]
	v_fma_f64 v[17:18], v[7:8], v[91:92], v[97:98]
	v_add_f64 v[15:16], v[15:16], v[25:26]
	s_waitcnt vmcnt(43) lgkmcnt(0)
	v_mul_f64 v[25:26], v[9:10], v[43:44]
	v_mul_f64 v[43:44], v[11:12], v[43:44]
	ds_read_b128 v[5:8], v56 offset:1584
	s_waitcnt vmcnt(41)
	v_fma_f64 v[27:28], v[3:4], v[33:34], v[27:28]
	v_fma_f64 v[23:24], v[1:2], v[33:34], -v[23:24]
	ds_read_b128 v[1:4], v56 offset:1600
	v_add_f64 v[13:14], v[13:14], v[37:38]
	v_add_f64 v[15:16], v[15:16], v[17:18]
	s_waitcnt vmcnt(37) lgkmcnt(1)
	v_mul_f64 v[17:18], v[5:6], v[29:30]
	v_mul_f64 v[29:30], v[7:8], v[29:30]
	s_waitcnt vmcnt(36)
	v_fma_f64 v[33:34], v[9:10], v[45:46], -v[43:44]
	v_add_f64 v[13:14], v[13:14], v[23:24]
	v_fma_f64 v[23:24], v[11:12], v[45:46], v[25:26]
	v_add_f64 v[15:16], v[15:16], v[27:28]
	ds_read_b128 v[9:12], v56 offset:1616
	s_waitcnt vmcnt(35) lgkmcnt(1)
	v_mul_f64 v[27:28], v[3:4], v[73:74]
	v_mul_f64 v[25:26], v[1:2], v[73:74]
	s_waitcnt vmcnt(33)
	v_fma_f64 v[29:30], v[5:6], v[31:32], -v[29:30]
	v_fma_f64 v[17:18], v[7:8], v[31:32], v[17:18]
	ds_read_b128 v[5:8], v56 offset:1632
	v_add_f64 v[13:14], v[13:14], v[33:34]
	v_add_f64 v[15:16], v[15:16], v[23:24]
	s_waitcnt vmcnt(29) lgkmcnt(1)
	v_mul_f64 v[31:32], v[11:12], v[35:36]
	s_waitcnt vmcnt(28)
	v_fma_f64 v[27:28], v[1:2], v[75:76], -v[27:28]
	v_mul_f64 v[23:24], v[9:10], v[35:36]
	v_fma_f64 v[25:26], v[3:4], v[75:76], v[25:26]
	ds_read_b128 v[1:4], v56 offset:1648
	v_add_f64 v[13:14], v[13:14], v[29:30]
	v_add_f64 v[15:16], v[15:16], v[17:18]
	s_waitcnt vmcnt(27) lgkmcnt(1)
	v_mul_f64 v[29:30], v[7:8], v[83:84]
	v_mul_f64 v[17:18], v[5:6], v[83:84]
	s_waitcnt vmcnt(25)
	v_fma_f64 v[31:32], v[9:10], v[39:40], -v[31:32]
	v_fma_f64 v[23:24], v[11:12], v[39:40], v[23:24]
	ds_read_b128 v[9:12], v56 offset:1664
	v_add_f64 v[13:14], v[13:14], v[27:28]
	v_add_f64 v[15:16], v[15:16], v[25:26]
	s_waitcnt vmcnt(21) lgkmcnt(1)
	v_mul_f64 v[27:28], v[3:4], v[41:42]
	s_waitcnt vmcnt(20)
	v_fma_f64 v[29:30], v[5:6], v[85:86], -v[29:30]
	v_mul_f64 v[25:26], v[1:2], v[41:42]
	v_fma_f64 v[17:18], v[7:8], v[85:86], v[17:18]
	ds_read_b128 v[5:8], v56 offset:1680
	v_add_f64 v[13:14], v[13:14], v[31:32]
	v_add_f64 v[15:16], v[15:16], v[23:24]
	;; [unrolled: 18-line block ×3, first 2 shown]
	s_waitcnt vmcnt(11) lgkmcnt(1)
	v_mul_f64 v[27:28], v[3:4], v[93:94]
	v_mul_f64 v[25:26], v[1:2], v[93:94]
	s_waitcnt vmcnt(9)
	v_fma_f64 v[5:6], v[5:6], v[81:82], -v[29:30]
	v_fma_f64 v[7:8], v[7:8], v[81:82], v[17:18]
	v_add_f64 v[13:14], v[13:14], v[31:32]
	v_add_f64 v[15:16], v[15:16], v[23:24]
	s_waitcnt vmcnt(7) lgkmcnt(0)
	v_mul_f64 v[23:24], v[11:12], v[99:100]
	s_waitcnt vmcnt(6)
	v_fma_f64 v[1:2], v[1:2], v[112:113], -v[27:28]
	v_mul_f64 v[17:18], v[9:10], v[99:100]
	v_fma_f64 v[3:4], v[3:4], v[112:113], v[25:26]
	v_add_f64 v[5:6], v[13:14], v[5:6]
	v_add_f64 v[7:8], v[15:16], v[7:8]
	s_waitcnt vmcnt(4)
	v_fma_f64 v[9:10], v[9:10], v[19:20], -v[23:24]
	v_add_f64 v[1:2], v[5:6], v[1:2]
	v_fma_f64 v[5:6], v[11:12], v[19:20], v[17:18]
	v_add_f64 v[3:4], v[7:8], v[3:4]
	v_add_f64 v[1:2], v[1:2], v[9:10]
	v_add_f64 v[3:4], v[3:4], v[5:6]
	s_waitcnt vmcnt(2)
	v_add_f64 v[1:2], v[21:22], -v[1:2]
	s_waitcnt vmcnt(0)
	v_add_f64 v[3:4], v[95:96], -v[3:4]
	buffer_store_dword v2, off, s[0:3], 0 offset:292
	buffer_store_dword v1, off, s[0:3], 0 offset:288
	;; [unrolled: 1-line block ×4, first 2 shown]
	v_cmpx_lt_u32_e32 16, v0
	s_cbranch_execz .LBB53_305
; %bb.304:
	v_mov_b32_e32 v4, s50
	v_mov_b32_e32 v5, 0
	s_clause 0x3
	buffer_load_dword v1, v4, s[0:3], 0 offen
	buffer_load_dword v2, v4, s[0:3], 0 offen offset:4
	buffer_load_dword v3, v4, s[0:3], 0 offen offset:8
	;; [unrolled: 1-line block ×3, first 2 shown]
	buffer_store_dword v5, off, s[0:3], 0 offset:272
	buffer_store_dword v5, off, s[0:3], 0 offset:276
	;; [unrolled: 1-line block ×4, first 2 shown]
	s_waitcnt vmcnt(0)
	ds_write_b128 v47, v[1:4]
.LBB53_305:
	s_or_b32 exec_lo, exec_lo, s4
	s_waitcnt lgkmcnt(0)
	s_waitcnt_vscnt null, 0x0
	s_barrier
	buffer_gl0_inv
	s_clause 0x37
	buffer_load_dword v9, off, s[0:3], 0 offset:296
	buffer_load_dword v10, off, s[0:3], 0 offset:300
	;; [unrolled: 1-line block ×56, first 2 shown]
	v_mov_b32_e32 v56, 0
	s_mov_b32 s4, exec_lo
	ds_read_b128 v[87:90], v56 offset:1136
	s_clause 0x2
	buffer_load_dword v84, off, s[0:3], 0 offset:524
	buffer_load_dword v86, off, s[0:3], 0 offset:500
	;; [unrolled: 1-line block ×3, first 2 shown]
	ds_read_b128 v[91:94], v56 offset:1152
	s_clause 0x4
	buffer_load_dword v102, off, s[0:3], 0 offset:540
	buffer_load_dword v103, off, s[0:3], 0 offset:552
	;; [unrolled: 1-line block ×5, first 2 shown]
	ds_read_b128 v[95:98], v56 offset:1168
	s_clause 0x2
	buffer_load_dword v104, off, s[0:3], 0 offset:556
	buffer_load_dword v109, off, s[0:3], 0 offset:532
	;; [unrolled: 1-line block ×3, first 2 shown]
	s_waitcnt vmcnt(62) lgkmcnt(2)
	v_mul_f64 v[99:100], v[89:90], v[9:10]
	v_mul_f64 v[9:10], v[87:88], v[9:10]
	s_waitcnt lgkmcnt(1)
	v_mul_f64 v[106:107], v[93:94], v[5:6]
	s_waitcnt vmcnt(59) lgkmcnt(0)
	v_mul_f64 v[110:111], v[97:98], v[3:4]
	v_fma_f64 v[87:88], v[87:88], v[7:8], -v[99:100]
	v_mul_f64 v[99:100], v[91:92], v[5:6]
	v_fma_f64 v[9:10], v[89:90], v[7:8], v[9:10]
	s_waitcnt vmcnt(57)
	v_fma_f64 v[91:92], v[91:92], v[1:2], -v[106:107]
	ds_read_b128 v[5:8], v56 offset:1184
	v_mul_f64 v[89:90], v[95:96], v[3:4]
	s_waitcnt vmcnt(51)
	v_fma_f64 v[95:96], v[95:96], v[25:26], -v[110:111]
	v_add_f64 v[87:88], v[87:88], 0
	v_fma_f64 v[93:94], v[93:94], v[1:2], v[99:100]
	v_add_f64 v[9:10], v[9:10], 0
	s_clause 0x4
	buffer_load_dword v100, off, s[0:3], 0 offset:572
	buffer_load_dword v112, off, s[0:3], 0 offset:584
	buffer_load_dword v114, off, s[0:3], 0 offset:576
	buffer_load_dword v99, off, s[0:3], 0 offset:568
	buffer_load_dword v106, off, s[0:3], 0 offset:548
	s_waitcnt lgkmcnt(0)
	v_mul_f64 v[115:116], v[5:6], v[13:14]
	v_mul_f64 v[13:14], v[7:8], v[13:14]
	ds_read_b128 v[1:4], v56 offset:1200
	v_fma_f64 v[25:26], v[97:98], v[25:26], v[89:90]
	v_add_f64 v[91:92], v[87:88], v[91:92]
	v_add_f64 v[9:10], v[9:10], v[93:94]
	s_clause 0x2
	buffer_load_dword v113, off, s[0:3], 0 offset:588
	buffer_load_dword v94, off, s[0:3], 0 offset:564
	;; [unrolled: 1-line block ×3, first 2 shown]
	s_waitcnt vmcnt(58) lgkmcnt(0)
	v_mul_f64 v[97:98], v[1:2], v[17:18]
	v_mul_f64 v[17:18], v[3:4], v[17:18]
	s_waitcnt vmcnt(56)
	v_fma_f64 v[13:14], v[5:6], v[19:20], -v[13:14]
	ds_read_b128 v[87:90], v56 offset:1216
	v_fma_f64 v[19:20], v[7:8], v[19:20], v[115:116]
	v_add_f64 v[91:92], v[91:92], v[95:96]
	v_add_f64 v[9:10], v[9:10], v[25:26]
	s_clause 0x4
	buffer_load_dword v26, off, s[0:3], 0 offset:604
	buffer_load_dword v95, off, s[0:3], 0 offset:616
	;; [unrolled: 1-line block ×5, first 2 shown]
	ds_read_b128 v[5:8], v56 offset:1232
	s_waitcnt vmcnt(57) lgkmcnt(1)
	v_mul_f64 v[116:117], v[87:88], v[21:22]
	v_mul_f64 v[21:22], v[89:90], v[21:22]
	s_waitcnt vmcnt(56)
	v_fma_f64 v[17:18], v[1:2], v[11:12], -v[17:18]
	v_fma_f64 v[11:12], v[3:4], v[11:12], v[97:98]
	v_add_f64 v[13:14], v[91:92], v[13:14]
	v_add_f64 v[9:10], v[9:10], v[19:20]
	s_clause 0x2
	buffer_load_dword v96, off, s[0:3], 0 offset:620
	buffer_load_dword v20, off, s[0:3], 0 offset:596
	;; [unrolled: 1-line block ×3, first 2 shown]
	s_waitcnt vmcnt(58) lgkmcnt(0)
	v_mul_f64 v[91:92], v[5:6], v[27:28]
	v_mul_f64 v[27:28], v[7:8], v[27:28]
	s_waitcnt vmcnt(56)
	v_fma_f64 v[21:22], v[87:88], v[29:30], -v[21:22]
	ds_read_b128 v[1:4], v56 offset:1248
	v_add_f64 v[13:14], v[13:14], v[17:18]
	v_fma_f64 v[17:18], v[89:90], v[29:30], v[116:117]
	v_add_f64 v[29:30], v[9:10], v[11:12]
	s_clause 0x4
	buffer_load_dword v88, off, s[0:3], 0 offset:636
	buffer_load_dword v89, off, s[0:3], 0 offset:648
	;; [unrolled: 1-line block ×5, first 2 shown]
	ds_read_b128 v[9:12], v56 offset:1264
	s_waitcnt vmcnt(57) lgkmcnt(1)
	v_mul_f64 v[116:117], v[1:2], v[31:32]
	v_mul_f64 v[31:32], v[3:4], v[31:32]
	s_waitcnt vmcnt(56)
	v_fma_f64 v[27:28], v[5:6], v[15:16], -v[27:28]
	v_fma_f64 v[15:16], v[7:8], v[15:16], v[91:92]
	v_add_f64 v[13:14], v[13:14], v[21:22]
	s_clause 0x2
	buffer_load_dword v90, off, s[0:3], 0 offset:652
	buffer_load_dword v22, off, s[0:3], 0 offset:628
	;; [unrolled: 1-line block ×3, first 2 shown]
	v_add_f64 v[17:18], v[29:30], v[17:18]
	s_waitcnt vmcnt(58) lgkmcnt(0)
	v_mul_f64 v[29:30], v[9:10], v[35:36]
	v_mul_f64 v[35:36], v[11:12], v[35:36]
	ds_read_b128 v[5:8], v56 offset:1280
	s_waitcnt vmcnt(56)
	v_fma_f64 v[31:32], v[1:2], v[37:38], -v[31:32]
	v_add_f64 v[13:14], v[13:14], v[27:28]
	v_fma_f64 v[27:28], v[3:4], v[37:38], v[116:117]
	v_add_f64 v[15:16], v[17:18], v[15:16]
	s_clause 0x4
	buffer_load_dword v18, off, s[0:3], 0 offset:668
	buffer_load_dword v37, off, s[0:3], 0 offset:680
	;; [unrolled: 1-line block ×5, first 2 shown]
	s_waitcnt vmcnt(57) lgkmcnt(0)
	v_mul_f64 v[116:117], v[5:6], v[39:40]
	v_mul_f64 v[39:40], v[7:8], v[39:40]
	s_waitcnt vmcnt(56)
	v_fma_f64 v[35:36], v[9:10], v[23:24], -v[35:36]
	ds_read_b128 v[1:4], v56 offset:1296
	v_fma_f64 v[23:24], v[11:12], v[23:24], v[29:30]
	v_add_f64 v[13:14], v[13:14], v[31:32]
	v_add_f64 v[15:16], v[15:16], v[27:28]
	s_clause 0x2
	buffer_load_dword v38, off, s[0:3], 0 offset:684
	buffer_load_dword v28, off, s[0:3], 0 offset:660
	;; [unrolled: 1-line block ×3, first 2 shown]
	ds_read_b128 v[9:12], v56 offset:1312
	s_waitcnt vmcnt(58) lgkmcnt(1)
	v_mul_f64 v[31:32], v[3:4], v[43:44]
	s_waitcnt vmcnt(56)
	v_fma_f64 v[39:40], v[5:6], v[45:46], -v[39:40]
	v_mul_f64 v[29:30], v[1:2], v[43:44]
	v_add_f64 v[13:14], v[13:14], v[35:36]
	v_fma_f64 v[35:36], v[7:8], v[45:46], v[116:117]
	v_add_f64 v[15:16], v[15:16], v[23:24]
	s_clause 0x4
	buffer_load_dword v24, off, s[0:3], 0 offset:700
	buffer_load_dword v43, off, s[0:3], 0 offset:712
	;; [unrolled: 1-line block ×5, first 2 shown]
	s_waitcnt vmcnt(57) lgkmcnt(0)
	v_mul_f64 v[116:117], v[9:10], v[65:66]
	v_mul_f64 v[65:66], v[11:12], v[65:66]
	s_waitcnt vmcnt(56)
	v_fma_f64 v[31:32], v[1:2], v[33:34], -v[31:32]
	ds_read_b128 v[5:8], v56 offset:1328
	v_fma_f64 v[29:30], v[3:4], v[33:34], v[29:30]
	s_clause 0x2
	buffer_load_dword v44, off, s[0:3], 0 offset:716
	buffer_load_dword v34, off, s[0:3], 0 offset:692
	;; [unrolled: 1-line block ×3, first 2 shown]
	ds_read_b128 v[1:4], v56 offset:1344
	v_add_f64 v[13:14], v[13:14], v[39:40]
	v_add_f64 v[15:16], v[15:16], v[35:36]
	s_waitcnt vmcnt(58) lgkmcnt(1)
	v_mul_f64 v[39:40], v[7:8], v[73:74]
	s_waitcnt vmcnt(56)
	v_fma_f64 v[65:66], v[9:10], v[75:76], -v[65:66]
	v_mul_f64 v[35:36], v[5:6], v[73:74]
	v_add_f64 v[13:14], v[13:14], v[31:32]
	v_fma_f64 v[31:32], v[11:12], v[75:76], v[116:117]
	v_add_f64 v[15:16], v[15:16], v[29:30]
	s_clause 0x4
	buffer_load_dword v30, off, s[0:3], 0 offset:732
	buffer_load_dword v73, off, s[0:3], 0 offset:744
	;; [unrolled: 1-line block ×5, first 2 shown]
	s_waitcnt vmcnt(57) lgkmcnt(0)
	v_mul_f64 v[116:117], v[1:2], v[81:82]
	v_mul_f64 v[81:82], v[3:4], v[81:82]
	s_waitcnt vmcnt(56)
	v_fma_f64 v[39:40], v[5:6], v[41:42], -v[39:40]
	ds_read_b128 v[9:12], v56 offset:1360
	v_fma_f64 v[35:36], v[7:8], v[41:42], v[35:36]
	v_add_f64 v[13:14], v[13:14], v[65:66]
	v_add_f64 v[15:16], v[15:16], v[31:32]
	s_clause 0x2
	buffer_load_dword v74, off, s[0:3], 0 offset:748
	buffer_load_dword v32, off, s[0:3], 0 offset:724
	;; [unrolled: 1-line block ×3, first 2 shown]
	ds_read_b128 v[5:8], v56 offset:1376
	s_waitcnt vmcnt(58) lgkmcnt(1)
	v_mul_f64 v[65:66], v[11:12], v[83:84]
	s_waitcnt vmcnt(56)
	v_fma_f64 v[81:82], v[1:2], v[85:86], -v[81:82]
	v_mul_f64 v[41:42], v[9:10], v[83:84]
	v_add_f64 v[13:14], v[13:14], v[39:40]
	v_fma_f64 v[39:40], v[3:4], v[85:86], v[116:117]
	v_add_f64 v[15:16], v[15:16], v[35:36]
	s_clause 0x4
	buffer_load_dword v36, off, s[0:3], 0 offset:764
	buffer_load_dword v83, off, s[0:3], 0 offset:776
	;; [unrolled: 1-line block ×5, first 2 shown]
	s_waitcnt vmcnt(57) lgkmcnt(0)
	v_mul_f64 v[116:117], v[5:6], v[101:102]
	v_mul_f64 v[101:102], v[7:8], v[101:102]
	s_waitcnt vmcnt(56)
	v_fma_f64 v[65:66], v[9:10], v[67:68], -v[65:66]
	ds_read_b128 v[1:4], v56 offset:1392
	v_fma_f64 v[41:42], v[11:12], v[67:68], v[41:42]
	v_add_f64 v[13:14], v[13:14], v[81:82]
	v_add_f64 v[15:16], v[15:16], v[39:40]
	s_clause 0x2
	buffer_load_dword v84, off, s[0:3], 0 offset:780
	buffer_load_dword v40, off, s[0:3], 0 offset:756
	;; [unrolled: 1-line block ×3, first 2 shown]
	ds_read_b128 v[9:12], v56 offset:1408
	s_waitcnt vmcnt(58) lgkmcnt(1)
	v_mul_f64 v[81:82], v[3:4], v[103:104]
	s_waitcnt vmcnt(56)
	v_fma_f64 v[101:102], v[5:6], v[108:109], -v[101:102]
	v_mul_f64 v[67:68], v[1:2], v[103:104]
	v_add_f64 v[13:14], v[13:14], v[65:66]
	v_fma_f64 v[65:66], v[7:8], v[108:109], v[116:117]
	v_add_f64 v[15:16], v[15:16], v[41:42]
	s_clause 0x4
	buffer_load_dword v42, off, s[0:3], 0 offset:796
	buffer_load_dword v103, off, s[0:3], 0 offset:808
	;; [unrolled: 1-line block ×5, first 2 shown]
	ds_read_b128 v[5:8], v56 offset:1424
	s_waitcnt vmcnt(57) lgkmcnt(1)
	v_mul_f64 v[108:109], v[9:10], v[99:100]
	v_mul_f64 v[99:100], v[11:12], v[99:100]
	s_waitcnt vmcnt(56)
	v_fma_f64 v[81:82], v[1:2], v[105:106], -v[81:82]
	v_fma_f64 v[67:68], v[3:4], v[105:106], v[67:68]
	v_add_f64 v[13:14], v[13:14], v[101:102]
	v_add_f64 v[15:16], v[15:16], v[65:66]
	s_clause 0x2
	buffer_load_dword v104, off, s[0:3], 0 offset:812
	buffer_load_dword v66, off, s[0:3], 0 offset:788
	;; [unrolled: 1-line block ×3, first 2 shown]
	ds_read_b128 v[1:4], v56 offset:1440
	s_waitcnt vmcnt(58) lgkmcnt(1)
	v_mul_f64 v[105:106], v[7:8], v[112:113]
	v_mul_f64 v[101:102], v[5:6], v[112:113]
	s_waitcnt vmcnt(56)
	v_fma_f64 v[99:100], v[9:10], v[93:94], -v[99:100]
	v_add_f64 v[13:14], v[13:14], v[81:82]
	v_fma_f64 v[81:82], v[11:12], v[93:94], v[108:109]
	v_add_f64 v[15:16], v[15:16], v[67:68]
	s_clause 0x4
	buffer_load_dword v68, off, s[0:3], 0 offset:828
	buffer_load_dword v93, off, s[0:3], 0 offset:840
	;; [unrolled: 1-line block ×5, first 2 shown]
	ds_read_b128 v[9:12], v56 offset:1456
	s_waitcnt vmcnt(57) lgkmcnt(1)
	v_mul_f64 v[116:117], v[1:2], v[25:26]
	v_mul_f64 v[25:26], v[3:4], v[25:26]
	s_waitcnt vmcnt(56)
	v_fma_f64 v[105:106], v[5:6], v[114:115], -v[105:106]
	v_add_f64 v[13:14], v[13:14], v[99:100]
	v_fma_f64 v[99:100], v[7:8], v[114:115], v[101:102]
	v_add_f64 v[15:16], v[15:16], v[81:82]
	s_clause 0x2
	buffer_load_dword v94, off, s[0:3], 0 offset:844
	buffer_load_dword v82, off, s[0:3], 0 offset:820
	;; [unrolled: 1-line block ×3, first 2 shown]
	ds_read_b128 v[5:8], v56 offset:1472
	s_waitcnt vmcnt(58) lgkmcnt(1)
	v_mul_f64 v[101:102], v[9:10], v[95:96]
	v_mul_f64 v[95:96], v[11:12], v[95:96]
	s_waitcnt vmcnt(56)
	v_fma_f64 v[25:26], v[1:2], v[19:20], -v[25:26]
	v_fma_f64 v[19:20], v[3:4], v[19:20], v[116:117]
	v_add_f64 v[13:14], v[13:14], v[105:106]
	v_add_f64 v[15:16], v[15:16], v[99:100]
	s_clause 0x4
	buffer_load_dword v100, off, s[0:3], 0 offset:860
	buffer_load_dword v105, off, s[0:3], 0 offset:872
	;; [unrolled: 1-line block ×5, first 2 shown]
	ds_read_b128 v[1:4], v56 offset:1488
	s_waitcnt vmcnt(57) lgkmcnt(1)
	v_mul_f64 v[114:115], v[5:6], v[87:88]
	v_mul_f64 v[87:88], v[7:8], v[87:88]
	s_waitcnt vmcnt(56)
	v_fma_f64 v[95:96], v[9:10], v[110:111], -v[95:96]
	v_add_f64 v[13:14], v[13:14], v[25:26]
	v_fma_f64 v[25:26], v[11:12], v[110:111], v[101:102]
	v_add_f64 v[15:16], v[15:16], v[19:20]
	s_clause 0x2
	buffer_load_dword v106, off, s[0:3], 0 offset:876
	buffer_load_dword v20, off, s[0:3], 0 offset:852
	;; [unrolled: 1-line block ×3, first 2 shown]
	ds_read_b128 v[9:12], v56 offset:1504
	buffer_load_dword v110, off, s[0:3], 0 offset:868
	s_waitcnt vmcnt(59) lgkmcnt(1)
	v_mul_f64 v[101:102], v[1:2], v[89:90]
	v_mul_f64 v[89:90], v[3:4], v[89:90]
	s_waitcnt vmcnt(57)
	v_fma_f64 v[87:88], v[5:6], v[21:22], -v[87:88]
	v_fma_f64 v[21:22], v[7:8], v[21:22], v[114:115]
	ds_read_b128 v[5:8], v56 offset:1520
	v_add_f64 v[13:14], v[13:14], v[95:96]
	v_add_f64 v[15:16], v[15:16], v[25:26]
	s_waitcnt vmcnt(53) lgkmcnt(1)
	v_mul_f64 v[25:26], v[9:10], v[17:18]
	v_mul_f64 v[17:18], v[11:12], v[17:18]
	s_waitcnt vmcnt(52)
	v_fma_f64 v[89:90], v[1:2], v[97:98], -v[89:90]
	v_add_f64 v[13:14], v[13:14], v[87:88]
	v_fma_f64 v[87:88], v[3:4], v[97:98], v[101:102]
	v_add_f64 v[15:16], v[15:16], v[21:22]
	ds_read_b128 v[1:4], v56 offset:1536
	s_waitcnt vmcnt(51) lgkmcnt(1)
	v_mul_f64 v[21:22], v[5:6], v[37:38]
	v_mul_f64 v[37:38], v[7:8], v[37:38]
	s_waitcnt vmcnt(49)
	v_fma_f64 v[17:18], v[9:10], v[27:28], -v[17:18]
	v_fma_f64 v[25:26], v[11:12], v[27:28], v[25:26]
	v_add_f64 v[13:14], v[13:14], v[89:90]
	v_add_f64 v[15:16], v[15:16], v[87:88]
	s_clause 0x3
	buffer_load_dword v27, off, s[0:3], 0 offset:272
	buffer_load_dword v28, off, s[0:3], 0 offset:276
	;; [unrolled: 1-line block ×4, first 2 shown]
	ds_read_b128 v[9:12], v56 offset:1552
	s_waitcnt vmcnt(49) lgkmcnt(1)
	v_mul_f64 v[89:90], v[1:2], v[23:24]
	v_mul_f64 v[23:24], v[3:4], v[23:24]
	s_waitcnt vmcnt(48)
	v_fma_f64 v[37:38], v[5:6], v[91:92], -v[37:38]
	v_add_f64 v[13:14], v[13:14], v[17:18]
	v_fma_f64 v[17:18], v[7:8], v[91:92], v[21:22]
	v_add_f64 v[15:16], v[15:16], v[25:26]
	ds_read_b128 v[5:8], v56 offset:1568
	s_waitcnt vmcnt(47) lgkmcnt(1)
	v_mul_f64 v[25:26], v[11:12], v[43:44]
	v_mul_f64 v[21:22], v[9:10], v[43:44]
	s_waitcnt vmcnt(45)
	v_fma_f64 v[23:24], v[1:2], v[33:34], -v[23:24]
	v_fma_f64 v[33:34], v[3:4], v[33:34], v[89:90]
	ds_read_b128 v[1:4], v56 offset:1584
	v_add_f64 v[13:14], v[13:14], v[37:38]
	v_add_f64 v[15:16], v[15:16], v[17:18]
	s_waitcnt vmcnt(41) lgkmcnt(1)
	v_mul_f64 v[17:18], v[5:6], v[29:30]
	v_mul_f64 v[29:30], v[7:8], v[29:30]
	s_waitcnt vmcnt(40)
	v_fma_f64 v[25:26], v[9:10], v[45:46], -v[25:26]
	v_fma_f64 v[21:22], v[11:12], v[45:46], v[21:22]
	ds_read_b128 v[9:12], v56 offset:1600
	v_add_f64 v[13:14], v[13:14], v[23:24]
	v_add_f64 v[15:16], v[15:16], v[33:34]
	;; [unrolled: 9-line block ×3, first 2 shown]
	s_waitcnt vmcnt(33) lgkmcnt(1)
	v_mul_f64 v[25:26], v[11:12], v[35:36]
	s_waitcnt vmcnt(32)
	v_fma_f64 v[31:32], v[1:2], v[75:76], -v[33:34]
	v_mul_f64 v[21:22], v[9:10], v[35:36]
	v_fma_f64 v[23:24], v[3:4], v[75:76], v[23:24]
	ds_read_b128 v[1:4], v56 offset:1632
	v_add_f64 v[13:14], v[13:14], v[29:30]
	v_add_f64 v[15:16], v[15:16], v[17:18]
	s_waitcnt vmcnt(31) lgkmcnt(1)
	v_mul_f64 v[29:30], v[7:8], v[83:84]
	v_mul_f64 v[17:18], v[5:6], v[83:84]
	s_waitcnt vmcnt(29)
	v_fma_f64 v[25:26], v[9:10], v[39:40], -v[25:26]
	v_fma_f64 v[21:22], v[11:12], v[39:40], v[21:22]
	ds_read_b128 v[9:12], v56 offset:1648
	v_add_f64 v[13:14], v[13:14], v[31:32]
	v_add_f64 v[15:16], v[15:16], v[23:24]
	s_waitcnt vmcnt(25) lgkmcnt(1)
	v_mul_f64 v[31:32], v[3:4], v[41:42]
	s_waitcnt vmcnt(24)
	v_fma_f64 v[29:30], v[5:6], v[85:86], -v[29:30]
	v_mul_f64 v[23:24], v[1:2], v[41:42]
	v_fma_f64 v[17:18], v[7:8], v[85:86], v[17:18]
	ds_read_b128 v[5:8], v56 offset:1664
	v_add_f64 v[13:14], v[13:14], v[25:26]
	v_add_f64 v[15:16], v[15:16], v[21:22]
	s_waitcnt vmcnt(23) lgkmcnt(1)
	v_mul_f64 v[25:26], v[11:12], v[103:104]
	v_mul_f64 v[21:22], v[9:10], v[103:104]
	s_waitcnt vmcnt(21)
	v_fma_f64 v[31:32], v[1:2], v[65:66], -v[31:32]
	v_fma_f64 v[23:24], v[3:4], v[65:66], v[23:24]
	ds_read_b128 v[1:4], v56 offset:1680
	v_add_f64 v[13:14], v[13:14], v[29:30]
	v_add_f64 v[15:16], v[15:16], v[17:18]
	;; [unrolled: 18-line block ×3, first 2 shown]
	s_waitcnt vmcnt(9) lgkmcnt(1)
	v_mul_f64 v[25:26], v[11:12], v[99:100]
	s_waitcnt vmcnt(8)
	v_fma_f64 v[1:2], v[1:2], v[112:113], -v[31:32]
	v_mul_f64 v[21:22], v[9:10], v[99:100]
	v_fma_f64 v[3:4], v[3:4], v[112:113], v[23:24]
	v_add_f64 v[13:14], v[13:14], v[29:30]
	v_add_f64 v[15:16], v[15:16], v[17:18]
	s_waitcnt vmcnt(7) lgkmcnt(0)
	v_mul_f64 v[23:24], v[7:8], v[105:106]
	v_mul_f64 v[17:18], v[5:6], v[105:106]
	s_waitcnt vmcnt(5)
	v_fma_f64 v[9:10], v[9:10], v[19:20], -v[25:26]
	v_fma_f64 v[11:12], v[11:12], v[19:20], v[21:22]
	v_add_f64 v[1:2], v[13:14], v[1:2]
	v_add_f64 v[3:4], v[15:16], v[3:4]
	s_waitcnt vmcnt(4)
	v_fma_f64 v[5:6], v[5:6], v[109:110], -v[23:24]
	v_fma_f64 v[7:8], v[7:8], v[109:110], v[17:18]
	v_add_f64 v[1:2], v[1:2], v[9:10]
	v_add_f64 v[3:4], v[3:4], v[11:12]
	v_add_f64 v[1:2], v[1:2], v[5:6]
	v_add_f64 v[3:4], v[3:4], v[7:8]
	s_waitcnt vmcnt(2)
	v_add_f64 v[1:2], v[27:28], -v[1:2]
	s_waitcnt vmcnt(0)
	v_add_f64 v[3:4], v[87:88], -v[3:4]
	buffer_store_dword v2, off, s[0:3], 0 offset:276
	buffer_store_dword v1, off, s[0:3], 0 offset:272
	;; [unrolled: 1-line block ×4, first 2 shown]
	v_cmpx_lt_u32_e32 15, v0
	s_cbranch_execz .LBB53_307
; %bb.306:
	v_mov_b32_e32 v4, s51
	s_clause 0x3
	buffer_load_dword v1, v4, s[0:3], 0 offen
	buffer_load_dword v2, v4, s[0:3], 0 offen offset:4
	buffer_load_dword v3, v4, s[0:3], 0 offen offset:8
	;; [unrolled: 1-line block ×3, first 2 shown]
	buffer_store_dword v56, off, s[0:3], 0 offset:256
	buffer_store_dword v56, off, s[0:3], 0 offset:260
	;; [unrolled: 1-line block ×4, first 2 shown]
	s_waitcnt vmcnt(0)
	ds_write_b128 v47, v[1:4]
.LBB53_307:
	s_or_b32 exec_lo, exec_lo, s4
	s_waitcnt lgkmcnt(0)
	s_waitcnt_vscnt null, 0x0
	s_barrier
	buffer_gl0_inv
	s_clause 0x37
	buffer_load_dword v9, off, s[0:3], 0 offset:280
	buffer_load_dword v10, off, s[0:3], 0 offset:284
	;; [unrolled: 1-line block ×56, first 2 shown]
	ds_read_b128 v[87:90], v56 offset:1120
	s_clause 0x2
	buffer_load_dword v84, off, s[0:3], 0 offset:508
	buffer_load_dword v86, off, s[0:3], 0 offset:484
	;; [unrolled: 1-line block ×3, first 2 shown]
	ds_read_b128 v[91:94], v56 offset:1136
	s_clause 0x4
	buffer_load_dword v102, off, s[0:3], 0 offset:524
	buffer_load_dword v103, off, s[0:3], 0 offset:536
	;; [unrolled: 1-line block ×5, first 2 shown]
	ds_read_b128 v[95:98], v56 offset:1152
	s_clause 0x2
	buffer_load_dword v104, off, s[0:3], 0 offset:540
	buffer_load_dword v109, off, s[0:3], 0 offset:516
	buffer_load_dword v108, off, s[0:3], 0 offset:512
	s_mov_b32 s4, exec_lo
	s_waitcnt vmcnt(62) lgkmcnt(2)
	v_mul_f64 v[99:100], v[89:90], v[9:10]
	v_mul_f64 v[9:10], v[87:88], v[9:10]
	s_waitcnt lgkmcnt(1)
	v_mul_f64 v[106:107], v[93:94], v[5:6]
	s_waitcnt vmcnt(59) lgkmcnt(0)
	v_mul_f64 v[110:111], v[97:98], v[3:4]
	v_fma_f64 v[87:88], v[87:88], v[7:8], -v[99:100]
	v_mul_f64 v[99:100], v[91:92], v[5:6]
	v_fma_f64 v[9:10], v[89:90], v[7:8], v[9:10]
	s_waitcnt vmcnt(57)
	v_fma_f64 v[91:92], v[91:92], v[1:2], -v[106:107]
	ds_read_b128 v[5:8], v56 offset:1168
	v_mul_f64 v[89:90], v[95:96], v[3:4]
	s_waitcnt vmcnt(51)
	v_fma_f64 v[95:96], v[95:96], v[25:26], -v[110:111]
	v_add_f64 v[87:88], v[87:88], 0
	v_fma_f64 v[93:94], v[93:94], v[1:2], v[99:100]
	v_add_f64 v[9:10], v[9:10], 0
	s_clause 0x4
	buffer_load_dword v100, off, s[0:3], 0 offset:556
	buffer_load_dword v112, off, s[0:3], 0 offset:568
	;; [unrolled: 1-line block ×5, first 2 shown]
	s_waitcnt lgkmcnt(0)
	v_mul_f64 v[115:116], v[5:6], v[13:14]
	v_mul_f64 v[13:14], v[7:8], v[13:14]
	ds_read_b128 v[1:4], v56 offset:1184
	v_fma_f64 v[25:26], v[97:98], v[25:26], v[89:90]
	v_add_f64 v[91:92], v[87:88], v[91:92]
	v_add_f64 v[9:10], v[9:10], v[93:94]
	s_clause 0x2
	buffer_load_dword v113, off, s[0:3], 0 offset:572
	buffer_load_dword v94, off, s[0:3], 0 offset:548
	;; [unrolled: 1-line block ×3, first 2 shown]
	s_waitcnt vmcnt(58) lgkmcnt(0)
	v_mul_f64 v[97:98], v[1:2], v[17:18]
	v_mul_f64 v[17:18], v[3:4], v[17:18]
	s_waitcnt vmcnt(56)
	v_fma_f64 v[13:14], v[5:6], v[19:20], -v[13:14]
	ds_read_b128 v[87:90], v56 offset:1200
	v_fma_f64 v[19:20], v[7:8], v[19:20], v[115:116]
	v_add_f64 v[91:92], v[91:92], v[95:96]
	v_add_f64 v[9:10], v[9:10], v[25:26]
	s_clause 0x4
	buffer_load_dword v26, off, s[0:3], 0 offset:588
	buffer_load_dword v95, off, s[0:3], 0 offset:600
	;; [unrolled: 1-line block ×5, first 2 shown]
	ds_read_b128 v[5:8], v56 offset:1216
	s_waitcnt vmcnt(57) lgkmcnt(1)
	v_mul_f64 v[116:117], v[87:88], v[21:22]
	v_mul_f64 v[21:22], v[89:90], v[21:22]
	s_waitcnt vmcnt(56)
	v_fma_f64 v[17:18], v[1:2], v[11:12], -v[17:18]
	v_fma_f64 v[11:12], v[3:4], v[11:12], v[97:98]
	v_add_f64 v[13:14], v[91:92], v[13:14]
	v_add_f64 v[9:10], v[9:10], v[19:20]
	s_clause 0x2
	buffer_load_dword v96, off, s[0:3], 0 offset:604
	buffer_load_dword v20, off, s[0:3], 0 offset:580
	;; [unrolled: 1-line block ×3, first 2 shown]
	s_waitcnt vmcnt(58) lgkmcnt(0)
	v_mul_f64 v[91:92], v[5:6], v[27:28]
	v_mul_f64 v[27:28], v[7:8], v[27:28]
	s_waitcnt vmcnt(56)
	v_fma_f64 v[21:22], v[87:88], v[29:30], -v[21:22]
	ds_read_b128 v[1:4], v56 offset:1232
	v_add_f64 v[13:14], v[13:14], v[17:18]
	v_fma_f64 v[17:18], v[89:90], v[29:30], v[116:117]
	v_add_f64 v[29:30], v[9:10], v[11:12]
	s_clause 0x4
	buffer_load_dword v88, off, s[0:3], 0 offset:620
	buffer_load_dword v89, off, s[0:3], 0 offset:632
	;; [unrolled: 1-line block ×5, first 2 shown]
	ds_read_b128 v[9:12], v56 offset:1248
	s_waitcnt vmcnt(57) lgkmcnt(1)
	v_mul_f64 v[116:117], v[1:2], v[31:32]
	v_mul_f64 v[31:32], v[3:4], v[31:32]
	s_waitcnt vmcnt(56)
	v_fma_f64 v[27:28], v[5:6], v[15:16], -v[27:28]
	v_fma_f64 v[15:16], v[7:8], v[15:16], v[91:92]
	v_add_f64 v[13:14], v[13:14], v[21:22]
	s_clause 0x2
	buffer_load_dword v90, off, s[0:3], 0 offset:636
	buffer_load_dword v22, off, s[0:3], 0 offset:612
	;; [unrolled: 1-line block ×3, first 2 shown]
	v_add_f64 v[17:18], v[29:30], v[17:18]
	s_waitcnt vmcnt(58) lgkmcnt(0)
	v_mul_f64 v[29:30], v[9:10], v[35:36]
	v_mul_f64 v[35:36], v[11:12], v[35:36]
	ds_read_b128 v[5:8], v56 offset:1264
	s_waitcnt vmcnt(56)
	v_fma_f64 v[31:32], v[1:2], v[37:38], -v[31:32]
	v_add_f64 v[13:14], v[13:14], v[27:28]
	v_fma_f64 v[27:28], v[3:4], v[37:38], v[116:117]
	v_add_f64 v[15:16], v[17:18], v[15:16]
	s_clause 0x4
	buffer_load_dword v18, off, s[0:3], 0 offset:652
	buffer_load_dword v37, off, s[0:3], 0 offset:664
	;; [unrolled: 1-line block ×5, first 2 shown]
	s_waitcnt vmcnt(57) lgkmcnt(0)
	v_mul_f64 v[116:117], v[5:6], v[39:40]
	v_mul_f64 v[39:40], v[7:8], v[39:40]
	s_waitcnt vmcnt(56)
	v_fma_f64 v[35:36], v[9:10], v[23:24], -v[35:36]
	ds_read_b128 v[1:4], v56 offset:1280
	v_fma_f64 v[23:24], v[11:12], v[23:24], v[29:30]
	v_add_f64 v[13:14], v[13:14], v[31:32]
	v_add_f64 v[15:16], v[15:16], v[27:28]
	s_clause 0x2
	buffer_load_dword v38, off, s[0:3], 0 offset:668
	buffer_load_dword v28, off, s[0:3], 0 offset:644
	;; [unrolled: 1-line block ×3, first 2 shown]
	ds_read_b128 v[9:12], v56 offset:1296
	s_waitcnt vmcnt(58) lgkmcnt(1)
	v_mul_f64 v[31:32], v[3:4], v[43:44]
	s_waitcnt vmcnt(56)
	v_fma_f64 v[39:40], v[5:6], v[45:46], -v[39:40]
	v_mul_f64 v[29:30], v[1:2], v[43:44]
	v_add_f64 v[13:14], v[13:14], v[35:36]
	v_fma_f64 v[35:36], v[7:8], v[45:46], v[116:117]
	v_add_f64 v[15:16], v[15:16], v[23:24]
	s_clause 0x4
	buffer_load_dword v24, off, s[0:3], 0 offset:684
	buffer_load_dword v43, off, s[0:3], 0 offset:696
	;; [unrolled: 1-line block ×5, first 2 shown]
	s_waitcnt vmcnt(57) lgkmcnt(0)
	v_mul_f64 v[116:117], v[9:10], v[65:66]
	v_mul_f64 v[65:66], v[11:12], v[65:66]
	s_waitcnt vmcnt(56)
	v_fma_f64 v[31:32], v[1:2], v[33:34], -v[31:32]
	ds_read_b128 v[5:8], v56 offset:1312
	v_fma_f64 v[29:30], v[3:4], v[33:34], v[29:30]
	s_clause 0x2
	buffer_load_dword v44, off, s[0:3], 0 offset:700
	buffer_load_dword v34, off, s[0:3], 0 offset:676
	;; [unrolled: 1-line block ×3, first 2 shown]
	ds_read_b128 v[1:4], v56 offset:1328
	v_add_f64 v[13:14], v[13:14], v[39:40]
	v_add_f64 v[15:16], v[15:16], v[35:36]
	s_waitcnt vmcnt(58) lgkmcnt(1)
	v_mul_f64 v[39:40], v[7:8], v[73:74]
	s_waitcnt vmcnt(56)
	v_fma_f64 v[65:66], v[9:10], v[75:76], -v[65:66]
	v_mul_f64 v[35:36], v[5:6], v[73:74]
	v_add_f64 v[13:14], v[13:14], v[31:32]
	v_fma_f64 v[31:32], v[11:12], v[75:76], v[116:117]
	v_add_f64 v[15:16], v[15:16], v[29:30]
	s_clause 0x4
	buffer_load_dword v30, off, s[0:3], 0 offset:716
	buffer_load_dword v73, off, s[0:3], 0 offset:728
	buffer_load_dword v75, off, s[0:3], 0 offset:720
	buffer_load_dword v29, off, s[0:3], 0 offset:712
	buffer_load_dword v46, off, s[0:3], 0 offset:692
	s_waitcnt vmcnt(57) lgkmcnt(0)
	v_mul_f64 v[116:117], v[1:2], v[81:82]
	v_mul_f64 v[81:82], v[3:4], v[81:82]
	s_waitcnt vmcnt(56)
	v_fma_f64 v[39:40], v[5:6], v[41:42], -v[39:40]
	ds_read_b128 v[9:12], v56 offset:1344
	v_fma_f64 v[35:36], v[7:8], v[41:42], v[35:36]
	v_add_f64 v[13:14], v[13:14], v[65:66]
	v_add_f64 v[15:16], v[15:16], v[31:32]
	s_clause 0x2
	buffer_load_dword v74, off, s[0:3], 0 offset:732
	buffer_load_dword v32, off, s[0:3], 0 offset:708
	;; [unrolled: 1-line block ×3, first 2 shown]
	ds_read_b128 v[5:8], v56 offset:1360
	s_waitcnt vmcnt(58) lgkmcnt(1)
	v_mul_f64 v[65:66], v[11:12], v[83:84]
	s_waitcnt vmcnt(56)
	v_fma_f64 v[81:82], v[1:2], v[85:86], -v[81:82]
	v_mul_f64 v[41:42], v[9:10], v[83:84]
	v_add_f64 v[13:14], v[13:14], v[39:40]
	v_fma_f64 v[39:40], v[3:4], v[85:86], v[116:117]
	v_add_f64 v[15:16], v[15:16], v[35:36]
	s_clause 0x4
	buffer_load_dword v36, off, s[0:3], 0 offset:748
	buffer_load_dword v83, off, s[0:3], 0 offset:760
	;; [unrolled: 1-line block ×5, first 2 shown]
	s_waitcnt vmcnt(57) lgkmcnt(0)
	v_mul_f64 v[116:117], v[5:6], v[101:102]
	v_mul_f64 v[101:102], v[7:8], v[101:102]
	s_waitcnt vmcnt(56)
	v_fma_f64 v[65:66], v[9:10], v[67:68], -v[65:66]
	ds_read_b128 v[1:4], v56 offset:1376
	v_fma_f64 v[41:42], v[11:12], v[67:68], v[41:42]
	v_add_f64 v[13:14], v[13:14], v[81:82]
	v_add_f64 v[15:16], v[15:16], v[39:40]
	s_clause 0x2
	buffer_load_dword v84, off, s[0:3], 0 offset:764
	buffer_load_dword v40, off, s[0:3], 0 offset:740
	;; [unrolled: 1-line block ×3, first 2 shown]
	ds_read_b128 v[9:12], v56 offset:1392
	s_waitcnt vmcnt(58) lgkmcnt(1)
	v_mul_f64 v[81:82], v[3:4], v[103:104]
	s_waitcnt vmcnt(56)
	v_fma_f64 v[101:102], v[5:6], v[108:109], -v[101:102]
	v_mul_f64 v[67:68], v[1:2], v[103:104]
	v_add_f64 v[13:14], v[13:14], v[65:66]
	v_fma_f64 v[65:66], v[7:8], v[108:109], v[116:117]
	v_add_f64 v[15:16], v[15:16], v[41:42]
	s_clause 0x4
	buffer_load_dword v42, off, s[0:3], 0 offset:780
	buffer_load_dword v103, off, s[0:3], 0 offset:792
	;; [unrolled: 1-line block ×5, first 2 shown]
	ds_read_b128 v[5:8], v56 offset:1408
	s_waitcnt vmcnt(57) lgkmcnt(1)
	v_mul_f64 v[108:109], v[9:10], v[99:100]
	v_mul_f64 v[99:100], v[11:12], v[99:100]
	s_waitcnt vmcnt(56)
	v_fma_f64 v[81:82], v[1:2], v[105:106], -v[81:82]
	v_fma_f64 v[67:68], v[3:4], v[105:106], v[67:68]
	v_add_f64 v[13:14], v[13:14], v[101:102]
	v_add_f64 v[15:16], v[15:16], v[65:66]
	s_clause 0x2
	buffer_load_dword v104, off, s[0:3], 0 offset:796
	buffer_load_dword v66, off, s[0:3], 0 offset:772
	;; [unrolled: 1-line block ×3, first 2 shown]
	ds_read_b128 v[1:4], v56 offset:1424
	s_waitcnt vmcnt(58) lgkmcnt(1)
	v_mul_f64 v[105:106], v[7:8], v[112:113]
	v_mul_f64 v[101:102], v[5:6], v[112:113]
	s_waitcnt vmcnt(56)
	v_fma_f64 v[99:100], v[9:10], v[93:94], -v[99:100]
	v_add_f64 v[13:14], v[13:14], v[81:82]
	v_fma_f64 v[81:82], v[11:12], v[93:94], v[108:109]
	v_add_f64 v[15:16], v[15:16], v[67:68]
	s_clause 0x4
	buffer_load_dword v68, off, s[0:3], 0 offset:812
	buffer_load_dword v93, off, s[0:3], 0 offset:824
	;; [unrolled: 1-line block ×5, first 2 shown]
	ds_read_b128 v[9:12], v56 offset:1440
	s_waitcnt vmcnt(57) lgkmcnt(1)
	v_mul_f64 v[116:117], v[1:2], v[25:26]
	v_mul_f64 v[25:26], v[3:4], v[25:26]
	s_waitcnt vmcnt(56)
	v_fma_f64 v[105:106], v[5:6], v[114:115], -v[105:106]
	v_add_f64 v[13:14], v[13:14], v[99:100]
	v_fma_f64 v[99:100], v[7:8], v[114:115], v[101:102]
	v_add_f64 v[15:16], v[15:16], v[81:82]
	s_clause 0x2
	buffer_load_dword v94, off, s[0:3], 0 offset:828
	buffer_load_dword v82, off, s[0:3], 0 offset:804
	;; [unrolled: 1-line block ×3, first 2 shown]
	ds_read_b128 v[5:8], v56 offset:1456
	s_waitcnt vmcnt(58) lgkmcnt(1)
	v_mul_f64 v[101:102], v[9:10], v[95:96]
	v_mul_f64 v[95:96], v[11:12], v[95:96]
	s_waitcnt vmcnt(56)
	v_fma_f64 v[25:26], v[1:2], v[19:20], -v[25:26]
	v_fma_f64 v[19:20], v[3:4], v[19:20], v[116:117]
	v_add_f64 v[13:14], v[13:14], v[105:106]
	v_add_f64 v[15:16], v[15:16], v[99:100]
	s_clause 0x4
	buffer_load_dword v100, off, s[0:3], 0 offset:844
	buffer_load_dword v105, off, s[0:3], 0 offset:856
	;; [unrolled: 1-line block ×5, first 2 shown]
	ds_read_b128 v[1:4], v56 offset:1472
	s_waitcnt vmcnt(57) lgkmcnt(1)
	v_mul_f64 v[114:115], v[5:6], v[87:88]
	v_mul_f64 v[87:88], v[7:8], v[87:88]
	s_waitcnt vmcnt(56)
	v_fma_f64 v[95:96], v[9:10], v[110:111], -v[95:96]
	v_add_f64 v[13:14], v[13:14], v[25:26]
	v_fma_f64 v[25:26], v[11:12], v[110:111], v[101:102]
	v_add_f64 v[15:16], v[15:16], v[19:20]
	s_clause 0x2
	buffer_load_dword v106, off, s[0:3], 0 offset:860
	buffer_load_dword v20, off, s[0:3], 0 offset:836
	buffer_load_dword v19, off, s[0:3], 0 offset:832
	ds_read_b128 v[9:12], v56 offset:1488
	s_waitcnt vmcnt(58) lgkmcnt(1)
	v_mul_f64 v[101:102], v[1:2], v[89:90]
	v_mul_f64 v[89:90], v[3:4], v[89:90]
	s_waitcnt vmcnt(56)
	v_fma_f64 v[87:88], v[5:6], v[21:22], -v[87:88]
	v_fma_f64 v[21:22], v[7:8], v[21:22], v[114:115]
	v_add_f64 v[13:14], v[13:14], v[95:96]
	v_add_f64 v[15:16], v[15:16], v[25:26]
	s_clause 0x2
	buffer_load_dword v26, off, s[0:3], 0 offset:876
	buffer_load_dword v25, off, s[0:3], 0 offset:872
	;; [unrolled: 1-line block ×3, first 2 shown]
	ds_read_b128 v[5:8], v56 offset:1504
	s_waitcnt vmcnt(55) lgkmcnt(1)
	v_mul_f64 v[95:96], v[9:10], v[17:18]
	v_mul_f64 v[17:18], v[11:12], v[17:18]
	s_waitcnt vmcnt(54)
	v_fma_f64 v[89:90], v[1:2], v[97:98], -v[89:90]
	v_add_f64 v[13:14], v[13:14], v[87:88]
	v_fma_f64 v[87:88], v[3:4], v[97:98], v[101:102]
	v_add_f64 v[15:16], v[15:16], v[21:22]
	s_clause 0x1
	buffer_load_dword v22, off, s[0:3], 0 offset:868
	buffer_load_dword v21, off, s[0:3], 0 offset:864
	ds_read_b128 v[1:4], v56 offset:1520
	s_waitcnt vmcnt(55) lgkmcnt(1)
	v_mul_f64 v[97:98], v[5:6], v[37:38]
	v_mul_f64 v[37:38], v[7:8], v[37:38]
	s_waitcnt vmcnt(53)
	v_fma_f64 v[17:18], v[9:10], v[27:28], -v[17:18]
	v_fma_f64 v[27:28], v[11:12], v[27:28], v[95:96]
	ds_read_b128 v[9:12], v56 offset:1536
	v_add_f64 v[13:14], v[13:14], v[89:90]
	v_add_f64 v[15:16], v[15:16], v[87:88]
	s_waitcnt vmcnt(49) lgkmcnt(1)
	v_mul_f64 v[87:88], v[1:2], v[23:24]
	v_mul_f64 v[23:24], v[3:4], v[23:24]
	s_waitcnt vmcnt(48)
	v_fma_f64 v[37:38], v[5:6], v[91:92], -v[37:38]
	v_add_f64 v[13:14], v[13:14], v[17:18]
	v_fma_f64 v[17:18], v[7:8], v[91:92], v[97:98]
	v_add_f64 v[15:16], v[15:16], v[27:28]
	s_clause 0x3
	buffer_load_dword v27, off, s[0:3], 0 offset:256
	buffer_load_dword v28, off, s[0:3], 0 offset:260
	;; [unrolled: 1-line block ×4, first 2 shown]
	s_waitcnt vmcnt(51) lgkmcnt(0)
	v_mul_f64 v[91:92], v[9:10], v[43:44]
	v_mul_f64 v[43:44], v[11:12], v[43:44]
	ds_read_b128 v[5:8], v56 offset:1552
	s_waitcnt vmcnt(49)
	v_fma_f64 v[23:24], v[1:2], v[33:34], -v[23:24]
	v_fma_f64 v[33:34], v[3:4], v[33:34], v[87:88]
	ds_read_b128 v[1:4], v56 offset:1568
	v_add_f64 v[13:14], v[13:14], v[37:38]
	v_add_f64 v[15:16], v[15:16], v[17:18]
	s_waitcnt vmcnt(45) lgkmcnt(1)
	v_mul_f64 v[17:18], v[5:6], v[29:30]
	v_mul_f64 v[29:30], v[7:8], v[29:30]
	s_waitcnt vmcnt(44)
	v_fma_f64 v[37:38], v[9:10], v[45:46], -v[43:44]
	v_add_f64 v[13:14], v[13:14], v[23:24]
	v_fma_f64 v[23:24], v[11:12], v[45:46], v[91:92]
	v_add_f64 v[15:16], v[15:16], v[33:34]
	ds_read_b128 v[9:12], v56 offset:1584
	s_waitcnt vmcnt(43) lgkmcnt(1)
	v_mul_f64 v[43:44], v[3:4], v[73:74]
	v_mul_f64 v[33:34], v[1:2], v[73:74]
	s_waitcnt vmcnt(41)
	v_fma_f64 v[29:30], v[5:6], v[31:32], -v[29:30]
	v_fma_f64 v[17:18], v[7:8], v[31:32], v[17:18]
	ds_read_b128 v[5:8], v56 offset:1600
	v_add_f64 v[13:14], v[13:14], v[37:38]
	v_add_f64 v[15:16], v[15:16], v[23:24]
	s_waitcnt vmcnt(37) lgkmcnt(1)
	v_mul_f64 v[23:24], v[9:10], v[35:36]
	v_mul_f64 v[31:32], v[11:12], v[35:36]
	s_waitcnt vmcnt(36)
	v_fma_f64 v[35:36], v[1:2], v[75:76], -v[43:44]
	v_add_f64 v[13:14], v[13:14], v[29:30]
	v_fma_f64 v[29:30], v[3:4], v[75:76], v[33:34]
	v_add_f64 v[15:16], v[15:16], v[17:18]
	ds_read_b128 v[1:4], v56 offset:1616
	s_waitcnt vmcnt(35) lgkmcnt(1)
	v_mul_f64 v[33:34], v[7:8], v[83:84]
	v_mul_f64 v[17:18], v[5:6], v[83:84]
	s_waitcnt vmcnt(33)
	v_fma_f64 v[31:32], v[9:10], v[39:40], -v[31:32]
	v_fma_f64 v[23:24], v[11:12], v[39:40], v[23:24]
	ds_read_b128 v[9:12], v56 offset:1632
	v_add_f64 v[13:14], v[13:14], v[35:36]
	v_add_f64 v[15:16], v[15:16], v[29:30]
	s_waitcnt vmcnt(29) lgkmcnt(1)
	v_mul_f64 v[35:36], v[3:4], v[41:42]
	s_waitcnt vmcnt(28)
	v_fma_f64 v[33:34], v[5:6], v[85:86], -v[33:34]
	v_mul_f64 v[29:30], v[1:2], v[41:42]
	v_fma_f64 v[17:18], v[7:8], v[85:86], v[17:18]
	ds_read_b128 v[5:8], v56 offset:1648
	v_add_f64 v[13:14], v[13:14], v[31:32]
	v_add_f64 v[15:16], v[15:16], v[23:24]
	s_waitcnt vmcnt(27) lgkmcnt(1)
	v_mul_f64 v[31:32], v[11:12], v[103:104]
	v_mul_f64 v[23:24], v[9:10], v[103:104]
	s_waitcnt vmcnt(25)
	v_fma_f64 v[35:36], v[1:2], v[65:66], -v[35:36]
	v_fma_f64 v[29:30], v[3:4], v[65:66], v[29:30]
	ds_read_b128 v[1:4], v56 offset:1664
	v_add_f64 v[13:14], v[13:14], v[33:34]
	v_add_f64 v[15:16], v[15:16], v[17:18]
	s_waitcnt vmcnt(21) lgkmcnt(1)
	v_mul_f64 v[33:34], v[7:8], v[67:68]
	s_waitcnt vmcnt(20)
	v_fma_f64 v[31:32], v[9:10], v[107:108], -v[31:32]
	v_mul_f64 v[17:18], v[5:6], v[67:68]
	v_fma_f64 v[23:24], v[11:12], v[107:108], v[23:24]
	ds_read_b128 v[9:12], v56 offset:1680
	v_add_f64 v[13:14], v[13:14], v[35:36]
	v_add_f64 v[15:16], v[15:16], v[29:30]
	;; [unrolled: 18-line block ×3, first 2 shown]
	s_waitcnt vmcnt(11) lgkmcnt(1)
	v_mul_f64 v[33:34], v[7:8], v[105:106]
	v_mul_f64 v[17:18], v[5:6], v[105:106]
	s_waitcnt vmcnt(9)
	v_fma_f64 v[9:10], v[9:10], v[19:20], -v[31:32]
	v_fma_f64 v[11:12], v[11:12], v[19:20], v[23:24]
	v_add_f64 v[13:14], v[13:14], v[35:36]
	v_add_f64 v[15:16], v[15:16], v[29:30]
	s_waitcnt vmcnt(7) lgkmcnt(0)
	v_mul_f64 v[23:24], v[3:4], v[25:26]
	s_waitcnt vmcnt(6)
	v_fma_f64 v[5:6], v[5:6], v[109:110], -v[33:34]
	v_mul_f64 v[19:20], v[1:2], v[25:26]
	v_fma_f64 v[7:8], v[7:8], v[109:110], v[17:18]
	v_add_f64 v[9:10], v[13:14], v[9:10]
	v_add_f64 v[11:12], v[15:16], v[11:12]
	s_waitcnt vmcnt(4)
	v_fma_f64 v[1:2], v[1:2], v[21:22], -v[23:24]
	v_fma_f64 v[3:4], v[3:4], v[21:22], v[19:20]
	v_add_f64 v[5:6], v[9:10], v[5:6]
	v_add_f64 v[7:8], v[11:12], v[7:8]
	;; [unrolled: 1-line block ×4, first 2 shown]
	s_waitcnt vmcnt(2)
	v_add_f64 v[1:2], v[27:28], -v[1:2]
	s_waitcnt vmcnt(0)
	v_add_f64 v[3:4], v[89:90], -v[3:4]
	buffer_store_dword v2, off, s[0:3], 0 offset:260
	buffer_store_dword v1, off, s[0:3], 0 offset:256
	;; [unrolled: 1-line block ×4, first 2 shown]
	v_cmpx_lt_u32_e32 14, v0
	s_cbranch_execz .LBB53_309
; %bb.308:
	v_mov_b32_e32 v4, s52
	v_mov_b32_e32 v5, 0
	s_clause 0x3
	buffer_load_dword v1, v4, s[0:3], 0 offen
	buffer_load_dword v2, v4, s[0:3], 0 offen offset:4
	buffer_load_dword v3, v4, s[0:3], 0 offen offset:8
	;; [unrolled: 1-line block ×3, first 2 shown]
	buffer_store_dword v5, off, s[0:3], 0 offset:240
	buffer_store_dword v5, off, s[0:3], 0 offset:244
	;; [unrolled: 1-line block ×4, first 2 shown]
	s_waitcnt vmcnt(0)
	ds_write_b128 v47, v[1:4]
.LBB53_309:
	s_or_b32 exec_lo, exec_lo, s4
	s_waitcnt lgkmcnt(0)
	s_waitcnt_vscnt null, 0x0
	s_barrier
	buffer_gl0_inv
	s_clause 0x37
	buffer_load_dword v9, off, s[0:3], 0 offset:264
	buffer_load_dword v10, off, s[0:3], 0 offset:268
	;; [unrolled: 1-line block ×56, first 2 shown]
	v_mov_b32_e32 v56, 0
	s_mov_b32 s4, exec_lo
	ds_read_b128 v[87:90], v56 offset:1104
	s_clause 0x2
	buffer_load_dword v84, off, s[0:3], 0 offset:492
	buffer_load_dword v86, off, s[0:3], 0 offset:468
	;; [unrolled: 1-line block ×3, first 2 shown]
	ds_read_b128 v[91:94], v56 offset:1120
	s_clause 0x4
	buffer_load_dword v102, off, s[0:3], 0 offset:508
	buffer_load_dword v103, off, s[0:3], 0 offset:520
	;; [unrolled: 1-line block ×5, first 2 shown]
	ds_read_b128 v[95:98], v56 offset:1136
	s_clause 0x2
	buffer_load_dword v104, off, s[0:3], 0 offset:524
	buffer_load_dword v109, off, s[0:3], 0 offset:500
	;; [unrolled: 1-line block ×3, first 2 shown]
	s_waitcnt vmcnt(62) lgkmcnt(2)
	v_mul_f64 v[99:100], v[89:90], v[9:10]
	v_mul_f64 v[9:10], v[87:88], v[9:10]
	s_waitcnt lgkmcnt(1)
	v_mul_f64 v[106:107], v[93:94], v[5:6]
	s_waitcnt vmcnt(59) lgkmcnt(0)
	v_mul_f64 v[110:111], v[97:98], v[3:4]
	v_fma_f64 v[87:88], v[87:88], v[7:8], -v[99:100]
	v_mul_f64 v[99:100], v[91:92], v[5:6]
	v_fma_f64 v[9:10], v[89:90], v[7:8], v[9:10]
	s_waitcnt vmcnt(57)
	v_fma_f64 v[91:92], v[91:92], v[1:2], -v[106:107]
	ds_read_b128 v[5:8], v56 offset:1152
	v_mul_f64 v[89:90], v[95:96], v[3:4]
	s_waitcnt vmcnt(51)
	v_fma_f64 v[95:96], v[95:96], v[25:26], -v[110:111]
	v_add_f64 v[87:88], v[87:88], 0
	v_fma_f64 v[93:94], v[93:94], v[1:2], v[99:100]
	v_add_f64 v[9:10], v[9:10], 0
	s_clause 0x4
	buffer_load_dword v100, off, s[0:3], 0 offset:540
	buffer_load_dword v112, off, s[0:3], 0 offset:552
	;; [unrolled: 1-line block ×5, first 2 shown]
	s_waitcnt lgkmcnt(0)
	v_mul_f64 v[115:116], v[5:6], v[13:14]
	v_mul_f64 v[13:14], v[7:8], v[13:14]
	ds_read_b128 v[1:4], v56 offset:1168
	v_fma_f64 v[25:26], v[97:98], v[25:26], v[89:90]
	v_add_f64 v[91:92], v[87:88], v[91:92]
	v_add_f64 v[9:10], v[9:10], v[93:94]
	s_clause 0x2
	buffer_load_dword v113, off, s[0:3], 0 offset:556
	buffer_load_dword v94, off, s[0:3], 0 offset:532
	;; [unrolled: 1-line block ×3, first 2 shown]
	s_waitcnt vmcnt(58) lgkmcnt(0)
	v_mul_f64 v[97:98], v[1:2], v[17:18]
	v_mul_f64 v[17:18], v[3:4], v[17:18]
	s_waitcnt vmcnt(56)
	v_fma_f64 v[13:14], v[5:6], v[19:20], -v[13:14]
	ds_read_b128 v[87:90], v56 offset:1184
	v_fma_f64 v[19:20], v[7:8], v[19:20], v[115:116]
	v_add_f64 v[91:92], v[91:92], v[95:96]
	v_add_f64 v[9:10], v[9:10], v[25:26]
	s_clause 0x4
	buffer_load_dword v26, off, s[0:3], 0 offset:572
	buffer_load_dword v95, off, s[0:3], 0 offset:584
	;; [unrolled: 1-line block ×5, first 2 shown]
	ds_read_b128 v[5:8], v56 offset:1200
	s_waitcnt vmcnt(57) lgkmcnt(1)
	v_mul_f64 v[116:117], v[87:88], v[21:22]
	v_mul_f64 v[21:22], v[89:90], v[21:22]
	s_waitcnt vmcnt(56)
	v_fma_f64 v[17:18], v[1:2], v[11:12], -v[17:18]
	v_fma_f64 v[11:12], v[3:4], v[11:12], v[97:98]
	v_add_f64 v[13:14], v[91:92], v[13:14]
	v_add_f64 v[9:10], v[9:10], v[19:20]
	s_clause 0x2
	buffer_load_dword v96, off, s[0:3], 0 offset:588
	buffer_load_dword v20, off, s[0:3], 0 offset:564
	;; [unrolled: 1-line block ×3, first 2 shown]
	s_waitcnt vmcnt(58) lgkmcnt(0)
	v_mul_f64 v[91:92], v[5:6], v[27:28]
	v_mul_f64 v[27:28], v[7:8], v[27:28]
	s_waitcnt vmcnt(56)
	v_fma_f64 v[21:22], v[87:88], v[29:30], -v[21:22]
	ds_read_b128 v[1:4], v56 offset:1216
	v_add_f64 v[13:14], v[13:14], v[17:18]
	v_fma_f64 v[17:18], v[89:90], v[29:30], v[116:117]
	v_add_f64 v[29:30], v[9:10], v[11:12]
	s_clause 0x4
	buffer_load_dword v88, off, s[0:3], 0 offset:604
	buffer_load_dword v89, off, s[0:3], 0 offset:616
	;; [unrolled: 1-line block ×5, first 2 shown]
	ds_read_b128 v[9:12], v56 offset:1232
	s_waitcnt vmcnt(57) lgkmcnt(1)
	v_mul_f64 v[116:117], v[1:2], v[31:32]
	v_mul_f64 v[31:32], v[3:4], v[31:32]
	s_waitcnt vmcnt(56)
	v_fma_f64 v[27:28], v[5:6], v[15:16], -v[27:28]
	v_fma_f64 v[15:16], v[7:8], v[15:16], v[91:92]
	v_add_f64 v[13:14], v[13:14], v[21:22]
	s_clause 0x2
	buffer_load_dword v90, off, s[0:3], 0 offset:620
	buffer_load_dword v22, off, s[0:3], 0 offset:596
	;; [unrolled: 1-line block ×3, first 2 shown]
	v_add_f64 v[17:18], v[29:30], v[17:18]
	s_waitcnt vmcnt(58) lgkmcnt(0)
	v_mul_f64 v[29:30], v[9:10], v[35:36]
	v_mul_f64 v[35:36], v[11:12], v[35:36]
	ds_read_b128 v[5:8], v56 offset:1248
	s_waitcnt vmcnt(56)
	v_fma_f64 v[31:32], v[1:2], v[37:38], -v[31:32]
	v_add_f64 v[13:14], v[13:14], v[27:28]
	v_fma_f64 v[27:28], v[3:4], v[37:38], v[116:117]
	v_add_f64 v[15:16], v[17:18], v[15:16]
	s_clause 0x4
	buffer_load_dword v18, off, s[0:3], 0 offset:636
	buffer_load_dword v37, off, s[0:3], 0 offset:648
	;; [unrolled: 1-line block ×5, first 2 shown]
	s_waitcnt vmcnt(57) lgkmcnt(0)
	v_mul_f64 v[116:117], v[5:6], v[39:40]
	v_mul_f64 v[39:40], v[7:8], v[39:40]
	s_waitcnt vmcnt(56)
	v_fma_f64 v[35:36], v[9:10], v[23:24], -v[35:36]
	ds_read_b128 v[1:4], v56 offset:1264
	v_fma_f64 v[23:24], v[11:12], v[23:24], v[29:30]
	v_add_f64 v[13:14], v[13:14], v[31:32]
	v_add_f64 v[15:16], v[15:16], v[27:28]
	s_clause 0x2
	buffer_load_dword v38, off, s[0:3], 0 offset:652
	buffer_load_dword v28, off, s[0:3], 0 offset:628
	;; [unrolled: 1-line block ×3, first 2 shown]
	ds_read_b128 v[9:12], v56 offset:1280
	s_waitcnt vmcnt(58) lgkmcnt(1)
	v_mul_f64 v[31:32], v[3:4], v[43:44]
	s_waitcnt vmcnt(56)
	v_fma_f64 v[39:40], v[5:6], v[45:46], -v[39:40]
	v_mul_f64 v[29:30], v[1:2], v[43:44]
	v_add_f64 v[13:14], v[13:14], v[35:36]
	v_fma_f64 v[35:36], v[7:8], v[45:46], v[116:117]
	v_add_f64 v[15:16], v[15:16], v[23:24]
	s_clause 0x4
	buffer_load_dword v24, off, s[0:3], 0 offset:668
	buffer_load_dword v43, off, s[0:3], 0 offset:680
	;; [unrolled: 1-line block ×5, first 2 shown]
	s_waitcnt vmcnt(57) lgkmcnt(0)
	v_mul_f64 v[116:117], v[9:10], v[65:66]
	v_mul_f64 v[65:66], v[11:12], v[65:66]
	s_waitcnt vmcnt(56)
	v_fma_f64 v[31:32], v[1:2], v[33:34], -v[31:32]
	ds_read_b128 v[5:8], v56 offset:1296
	v_fma_f64 v[29:30], v[3:4], v[33:34], v[29:30]
	s_clause 0x2
	buffer_load_dword v44, off, s[0:3], 0 offset:684
	buffer_load_dword v34, off, s[0:3], 0 offset:660
	;; [unrolled: 1-line block ×3, first 2 shown]
	ds_read_b128 v[1:4], v56 offset:1312
	v_add_f64 v[13:14], v[13:14], v[39:40]
	v_add_f64 v[15:16], v[15:16], v[35:36]
	s_waitcnt vmcnt(58) lgkmcnt(1)
	v_mul_f64 v[39:40], v[7:8], v[73:74]
	s_waitcnt vmcnt(56)
	v_fma_f64 v[65:66], v[9:10], v[75:76], -v[65:66]
	v_mul_f64 v[35:36], v[5:6], v[73:74]
	v_add_f64 v[13:14], v[13:14], v[31:32]
	v_fma_f64 v[31:32], v[11:12], v[75:76], v[116:117]
	v_add_f64 v[15:16], v[15:16], v[29:30]
	s_clause 0x4
	buffer_load_dword v30, off, s[0:3], 0 offset:700
	buffer_load_dword v73, off, s[0:3], 0 offset:712
	;; [unrolled: 1-line block ×5, first 2 shown]
	s_waitcnt vmcnt(57) lgkmcnt(0)
	v_mul_f64 v[116:117], v[1:2], v[81:82]
	v_mul_f64 v[81:82], v[3:4], v[81:82]
	s_waitcnt vmcnt(56)
	v_fma_f64 v[39:40], v[5:6], v[41:42], -v[39:40]
	ds_read_b128 v[9:12], v56 offset:1328
	v_fma_f64 v[35:36], v[7:8], v[41:42], v[35:36]
	v_add_f64 v[13:14], v[13:14], v[65:66]
	v_add_f64 v[15:16], v[15:16], v[31:32]
	s_clause 0x2
	buffer_load_dword v74, off, s[0:3], 0 offset:716
	buffer_load_dword v32, off, s[0:3], 0 offset:692
	;; [unrolled: 1-line block ×3, first 2 shown]
	ds_read_b128 v[5:8], v56 offset:1344
	s_waitcnt vmcnt(58) lgkmcnt(1)
	v_mul_f64 v[65:66], v[11:12], v[83:84]
	s_waitcnt vmcnt(56)
	v_fma_f64 v[81:82], v[1:2], v[85:86], -v[81:82]
	v_mul_f64 v[41:42], v[9:10], v[83:84]
	v_add_f64 v[13:14], v[13:14], v[39:40]
	v_fma_f64 v[39:40], v[3:4], v[85:86], v[116:117]
	v_add_f64 v[15:16], v[15:16], v[35:36]
	s_clause 0x4
	buffer_load_dword v36, off, s[0:3], 0 offset:732
	buffer_load_dword v83, off, s[0:3], 0 offset:744
	;; [unrolled: 1-line block ×5, first 2 shown]
	s_waitcnt vmcnt(57) lgkmcnt(0)
	v_mul_f64 v[116:117], v[5:6], v[101:102]
	v_mul_f64 v[101:102], v[7:8], v[101:102]
	s_waitcnt vmcnt(56)
	v_fma_f64 v[65:66], v[9:10], v[67:68], -v[65:66]
	ds_read_b128 v[1:4], v56 offset:1360
	v_fma_f64 v[41:42], v[11:12], v[67:68], v[41:42]
	v_add_f64 v[13:14], v[13:14], v[81:82]
	v_add_f64 v[15:16], v[15:16], v[39:40]
	s_clause 0x2
	buffer_load_dword v84, off, s[0:3], 0 offset:748
	buffer_load_dword v40, off, s[0:3], 0 offset:724
	;; [unrolled: 1-line block ×3, first 2 shown]
	ds_read_b128 v[9:12], v56 offset:1376
	s_waitcnt vmcnt(58) lgkmcnt(1)
	v_mul_f64 v[81:82], v[3:4], v[103:104]
	s_waitcnt vmcnt(56)
	v_fma_f64 v[101:102], v[5:6], v[108:109], -v[101:102]
	v_mul_f64 v[67:68], v[1:2], v[103:104]
	v_add_f64 v[13:14], v[13:14], v[65:66]
	v_fma_f64 v[65:66], v[7:8], v[108:109], v[116:117]
	v_add_f64 v[15:16], v[15:16], v[41:42]
	s_clause 0x4
	buffer_load_dword v42, off, s[0:3], 0 offset:764
	buffer_load_dword v103, off, s[0:3], 0 offset:776
	buffer_load_dword v107, off, s[0:3], 0 offset:768
	buffer_load_dword v41, off, s[0:3], 0 offset:760
	buffer_load_dword v86, off, s[0:3], 0 offset:740
	ds_read_b128 v[5:8], v56 offset:1392
	s_waitcnt vmcnt(57) lgkmcnt(1)
	v_mul_f64 v[108:109], v[9:10], v[99:100]
	v_mul_f64 v[99:100], v[11:12], v[99:100]
	s_waitcnt vmcnt(56)
	v_fma_f64 v[81:82], v[1:2], v[105:106], -v[81:82]
	v_fma_f64 v[67:68], v[3:4], v[105:106], v[67:68]
	v_add_f64 v[13:14], v[13:14], v[101:102]
	v_add_f64 v[15:16], v[15:16], v[65:66]
	s_clause 0x2
	buffer_load_dword v104, off, s[0:3], 0 offset:780
	buffer_load_dword v66, off, s[0:3], 0 offset:756
	;; [unrolled: 1-line block ×3, first 2 shown]
	ds_read_b128 v[1:4], v56 offset:1408
	s_waitcnt vmcnt(58) lgkmcnt(1)
	v_mul_f64 v[105:106], v[7:8], v[112:113]
	v_mul_f64 v[101:102], v[5:6], v[112:113]
	s_waitcnt vmcnt(56)
	v_fma_f64 v[99:100], v[9:10], v[93:94], -v[99:100]
	v_add_f64 v[13:14], v[13:14], v[81:82]
	v_fma_f64 v[81:82], v[11:12], v[93:94], v[108:109]
	v_add_f64 v[15:16], v[15:16], v[67:68]
	s_clause 0x4
	buffer_load_dword v68, off, s[0:3], 0 offset:796
	buffer_load_dword v93, off, s[0:3], 0 offset:808
	;; [unrolled: 1-line block ×5, first 2 shown]
	ds_read_b128 v[9:12], v56 offset:1424
	s_waitcnt vmcnt(57) lgkmcnt(1)
	v_mul_f64 v[116:117], v[1:2], v[25:26]
	v_mul_f64 v[25:26], v[3:4], v[25:26]
	s_waitcnt vmcnt(56)
	v_fma_f64 v[105:106], v[5:6], v[114:115], -v[105:106]
	v_add_f64 v[13:14], v[13:14], v[99:100]
	v_fma_f64 v[99:100], v[7:8], v[114:115], v[101:102]
	v_add_f64 v[15:16], v[15:16], v[81:82]
	s_clause 0x2
	buffer_load_dword v94, off, s[0:3], 0 offset:812
	buffer_load_dword v82, off, s[0:3], 0 offset:788
	;; [unrolled: 1-line block ×3, first 2 shown]
	ds_read_b128 v[5:8], v56 offset:1440
	s_waitcnt vmcnt(58) lgkmcnt(1)
	v_mul_f64 v[101:102], v[9:10], v[95:96]
	v_mul_f64 v[95:96], v[11:12], v[95:96]
	s_waitcnt vmcnt(56)
	v_fma_f64 v[25:26], v[1:2], v[19:20], -v[25:26]
	v_fma_f64 v[19:20], v[3:4], v[19:20], v[116:117]
	v_add_f64 v[13:14], v[13:14], v[105:106]
	v_add_f64 v[15:16], v[15:16], v[99:100]
	s_clause 0x4
	buffer_load_dword v100, off, s[0:3], 0 offset:828
	buffer_load_dword v105, off, s[0:3], 0 offset:840
	;; [unrolled: 1-line block ×5, first 2 shown]
	ds_read_b128 v[1:4], v56 offset:1456
	s_waitcnt vmcnt(57) lgkmcnt(1)
	v_mul_f64 v[114:115], v[5:6], v[87:88]
	v_mul_f64 v[87:88], v[7:8], v[87:88]
	s_waitcnt vmcnt(56)
	v_fma_f64 v[95:96], v[9:10], v[110:111], -v[95:96]
	v_add_f64 v[13:14], v[13:14], v[25:26]
	v_fma_f64 v[25:26], v[11:12], v[110:111], v[101:102]
	v_add_f64 v[15:16], v[15:16], v[19:20]
	s_clause 0x2
	buffer_load_dword v106, off, s[0:3], 0 offset:844
	buffer_load_dword v20, off, s[0:3], 0 offset:820
	;; [unrolled: 1-line block ×3, first 2 shown]
	ds_read_b128 v[9:12], v56 offset:1472
	s_waitcnt vmcnt(58) lgkmcnt(1)
	v_mul_f64 v[101:102], v[1:2], v[89:90]
	v_mul_f64 v[89:90], v[3:4], v[89:90]
	s_waitcnt vmcnt(56)
	v_fma_f64 v[87:88], v[5:6], v[21:22], -v[87:88]
	v_fma_f64 v[21:22], v[7:8], v[21:22], v[114:115]
	v_add_f64 v[13:14], v[13:14], v[95:96]
	v_add_f64 v[15:16], v[15:16], v[25:26]
	s_clause 0x4
	buffer_load_dword v26, off, s[0:3], 0 offset:860
	buffer_load_dword v95, off, s[0:3], 0 offset:872
	;; [unrolled: 1-line block ×5, first 2 shown]
	ds_read_b128 v[5:8], v56 offset:1488
	s_waitcnt vmcnt(57) lgkmcnt(1)
	v_mul_f64 v[115:116], v[9:10], v[17:18]
	v_mul_f64 v[17:18], v[11:12], v[17:18]
	s_waitcnt vmcnt(56)
	v_fma_f64 v[89:90], v[1:2], v[97:98], -v[89:90]
	v_add_f64 v[13:14], v[13:14], v[87:88]
	v_fma_f64 v[87:88], v[3:4], v[97:98], v[101:102]
	v_add_f64 v[15:16], v[15:16], v[21:22]
	s_clause 0x2
	buffer_load_dword v96, off, s[0:3], 0 offset:876
	buffer_load_dword v22, off, s[0:3], 0 offset:852
	buffer_load_dword v21, off, s[0:3], 0 offset:848
	ds_read_b128 v[1:4], v56 offset:1504
	s_waitcnt vmcnt(58) lgkmcnt(1)
	v_mul_f64 v[97:98], v[5:6], v[37:38]
	v_mul_f64 v[37:38], v[7:8], v[37:38]
	s_waitcnt vmcnt(56)
	v_fma_f64 v[17:18], v[9:10], v[27:28], -v[17:18]
	v_fma_f64 v[27:28], v[11:12], v[27:28], v[115:116]
	buffer_load_dword v115, off, s[0:3], 0 offset:868
	ds_read_b128 v[9:12], v56 offset:1520
	v_add_f64 v[13:14], v[13:14], v[89:90]
	v_add_f64 v[15:16], v[15:16], v[87:88]
	s_waitcnt vmcnt(53) lgkmcnt(1)
	v_mul_f64 v[87:88], v[1:2], v[23:24]
	v_mul_f64 v[23:24], v[3:4], v[23:24]
	s_waitcnt vmcnt(52)
	v_fma_f64 v[37:38], v[5:6], v[91:92], -v[37:38]
	v_add_f64 v[13:14], v[13:14], v[17:18]
	v_fma_f64 v[17:18], v[7:8], v[91:92], v[97:98]
	v_add_f64 v[15:16], v[15:16], v[27:28]
	s_waitcnt vmcnt(51) lgkmcnt(0)
	v_mul_f64 v[27:28], v[9:10], v[43:44]
	v_mul_f64 v[43:44], v[11:12], v[43:44]
	ds_read_b128 v[5:8], v56 offset:1536
	s_waitcnt vmcnt(49)
	v_fma_f64 v[23:24], v[1:2], v[33:34], -v[23:24]
	v_fma_f64 v[33:34], v[3:4], v[33:34], v[87:88]
	v_add_f64 v[13:14], v[13:14], v[37:38]
	v_add_f64 v[15:16], v[15:16], v[17:18]
	s_clause 0x3
	buffer_load_dword v17, off, s[0:3], 0 offset:240
	buffer_load_dword v18, off, s[0:3], 0 offset:244
	;; [unrolled: 1-line block ×4, first 2 shown]
	ds_read_b128 v[1:4], v56 offset:1552
	s_waitcnt vmcnt(49) lgkmcnt(1)
	v_mul_f64 v[87:88], v[5:6], v[29:30]
	v_mul_f64 v[29:30], v[7:8], v[29:30]
	s_waitcnt vmcnt(48)
	v_fma_f64 v[43:44], v[9:10], v[45:46], -v[43:44]
	v_add_f64 v[13:14], v[13:14], v[23:24]
	v_fma_f64 v[23:24], v[11:12], v[45:46], v[27:28]
	v_add_f64 v[15:16], v[15:16], v[33:34]
	ds_read_b128 v[9:12], v56 offset:1568
	s_waitcnt vmcnt(47) lgkmcnt(1)
	v_mul_f64 v[33:34], v[3:4], v[73:74]
	v_mul_f64 v[27:28], v[1:2], v[73:74]
	s_waitcnt vmcnt(45)
	v_fma_f64 v[29:30], v[5:6], v[31:32], -v[29:30]
	v_fma_f64 v[31:32], v[7:8], v[31:32], v[87:88]
	ds_read_b128 v[5:8], v56 offset:1584
	v_add_f64 v[13:14], v[13:14], v[43:44]
	v_add_f64 v[15:16], v[15:16], v[23:24]
	s_waitcnt vmcnt(41) lgkmcnt(1)
	v_mul_f64 v[23:24], v[9:10], v[35:36]
	v_mul_f64 v[35:36], v[11:12], v[35:36]
	s_waitcnt vmcnt(40)
	v_fma_f64 v[33:34], v[1:2], v[75:76], -v[33:34]
	v_fma_f64 v[27:28], v[3:4], v[75:76], v[27:28]
	ds_read_b128 v[1:4], v56 offset:1600
	v_add_f64 v[13:14], v[13:14], v[29:30]
	v_add_f64 v[15:16], v[15:16], v[31:32]
	;; [unrolled: 9-line block ×3, first 2 shown]
	s_waitcnt vmcnt(33) lgkmcnt(1)
	v_mul_f64 v[33:34], v[3:4], v[41:42]
	s_waitcnt vmcnt(32)
	v_fma_f64 v[31:32], v[5:6], v[85:86], -v[31:32]
	v_mul_f64 v[27:28], v[1:2], v[41:42]
	v_fma_f64 v[29:30], v[7:8], v[85:86], v[29:30]
	ds_read_b128 v[5:8], v56 offset:1632
	v_add_f64 v[13:14], v[13:14], v[35:36]
	v_add_f64 v[15:16], v[15:16], v[23:24]
	s_waitcnt vmcnt(31) lgkmcnt(1)
	v_mul_f64 v[35:36], v[11:12], v[103:104]
	v_mul_f64 v[23:24], v[9:10], v[103:104]
	s_waitcnt vmcnt(29)
	v_fma_f64 v[33:34], v[1:2], v[65:66], -v[33:34]
	v_fma_f64 v[27:28], v[3:4], v[65:66], v[27:28]
	ds_read_b128 v[1:4], v56 offset:1648
	v_add_f64 v[13:14], v[13:14], v[31:32]
	v_add_f64 v[15:16], v[15:16], v[29:30]
	s_waitcnt vmcnt(25) lgkmcnt(1)
	v_mul_f64 v[31:32], v[7:8], v[67:68]
	s_waitcnt vmcnt(24)
	v_fma_f64 v[35:36], v[9:10], v[107:108], -v[35:36]
	v_mul_f64 v[29:30], v[5:6], v[67:68]
	v_fma_f64 v[23:24], v[11:12], v[107:108], v[23:24]
	ds_read_b128 v[9:12], v56 offset:1664
	v_add_f64 v[13:14], v[13:14], v[33:34]
	v_add_f64 v[15:16], v[15:16], v[27:28]
	s_waitcnt vmcnt(23) lgkmcnt(1)
	v_mul_f64 v[33:34], v[3:4], v[93:94]
	v_mul_f64 v[27:28], v[1:2], v[93:94]
	s_waitcnt vmcnt(21)
	v_fma_f64 v[31:32], v[5:6], v[81:82], -v[31:32]
	v_fma_f64 v[29:30], v[7:8], v[81:82], v[29:30]
	ds_read_b128 v[5:8], v56 offset:1680
	v_add_f64 v[13:14], v[13:14], v[35:36]
	v_add_f64 v[15:16], v[15:16], v[23:24]
	;; [unrolled: 18-line block ×3, first 2 shown]
	s_waitcnt vmcnt(9) lgkmcnt(1)
	v_mul_f64 v[23:24], v[1:2], v[25:26]
	v_mul_f64 v[25:26], v[3:4], v[25:26]
	s_waitcnt vmcnt(8)
	v_fma_f64 v[5:6], v[5:6], v[109:110], -v[31:32]
	v_fma_f64 v[7:8], v[7:8], v[109:110], v[29:30]
	v_add_f64 v[13:14], v[13:14], v[35:36]
	v_add_f64 v[15:16], v[15:16], v[19:20]
	s_waitcnt vmcnt(7) lgkmcnt(0)
	v_mul_f64 v[27:28], v[11:12], v[95:96]
	v_mul_f64 v[19:20], v[9:10], v[95:96]
	s_waitcnt vmcnt(5)
	v_fma_f64 v[1:2], v[1:2], v[21:22], -v[25:26]
	v_fma_f64 v[3:4], v[3:4], v[21:22], v[23:24]
	v_add_f64 v[5:6], v[13:14], v[5:6]
	v_add_f64 v[7:8], v[15:16], v[7:8]
	s_waitcnt vmcnt(4)
	v_fma_f64 v[9:10], v[9:10], v[114:115], -v[27:28]
	v_add_f64 v[1:2], v[5:6], v[1:2]
	v_fma_f64 v[5:6], v[11:12], v[114:115], v[19:20]
	v_add_f64 v[3:4], v[7:8], v[3:4]
	v_add_f64 v[1:2], v[1:2], v[9:10]
	v_add_f64 v[3:4], v[3:4], v[5:6]
	s_waitcnt vmcnt(2)
	v_add_f64 v[1:2], v[17:18], -v[1:2]
	s_waitcnt vmcnt(0)
	v_add_f64 v[3:4], v[37:38], -v[3:4]
	buffer_store_dword v2, off, s[0:3], 0 offset:244
	buffer_store_dword v1, off, s[0:3], 0 offset:240
	;; [unrolled: 1-line block ×4, first 2 shown]
	v_cmpx_lt_u32_e32 13, v0
	s_cbranch_execz .LBB53_311
; %bb.310:
	v_mov_b32_e32 v4, s53
	s_clause 0x3
	buffer_load_dword v1, v4, s[0:3], 0 offen
	buffer_load_dword v2, v4, s[0:3], 0 offen offset:4
	buffer_load_dword v3, v4, s[0:3], 0 offen offset:8
	;; [unrolled: 1-line block ×3, first 2 shown]
	buffer_store_dword v56, off, s[0:3], 0 offset:224
	buffer_store_dword v56, off, s[0:3], 0 offset:228
	;; [unrolled: 1-line block ×4, first 2 shown]
	s_waitcnt vmcnt(0)
	ds_write_b128 v47, v[1:4]
.LBB53_311:
	s_or_b32 exec_lo, exec_lo, s4
	s_waitcnt lgkmcnt(0)
	s_waitcnt_vscnt null, 0x0
	s_barrier
	buffer_gl0_inv
	s_clause 0x37
	buffer_load_dword v9, off, s[0:3], 0 offset:248
	buffer_load_dword v10, off, s[0:3], 0 offset:252
	;; [unrolled: 1-line block ×56, first 2 shown]
	ds_read_b128 v[87:90], v56 offset:1088
	s_clause 0x2
	buffer_load_dword v84, off, s[0:3], 0 offset:476
	buffer_load_dword v86, off, s[0:3], 0 offset:452
	;; [unrolled: 1-line block ×3, first 2 shown]
	ds_read_b128 v[91:94], v56 offset:1104
	s_clause 0x4
	buffer_load_dword v102, off, s[0:3], 0 offset:492
	buffer_load_dword v103, off, s[0:3], 0 offset:504
	;; [unrolled: 1-line block ×5, first 2 shown]
	ds_read_b128 v[95:98], v56 offset:1120
	s_clause 0x2
	buffer_load_dword v104, off, s[0:3], 0 offset:508
	buffer_load_dword v109, off, s[0:3], 0 offset:484
	;; [unrolled: 1-line block ×3, first 2 shown]
	s_mov_b32 s4, exec_lo
	s_waitcnt vmcnt(62) lgkmcnt(2)
	v_mul_f64 v[99:100], v[89:90], v[9:10]
	v_mul_f64 v[9:10], v[87:88], v[9:10]
	s_waitcnt lgkmcnt(1)
	v_mul_f64 v[106:107], v[93:94], v[5:6]
	s_waitcnt vmcnt(59) lgkmcnt(0)
	v_mul_f64 v[110:111], v[97:98], v[3:4]
	v_fma_f64 v[87:88], v[87:88], v[7:8], -v[99:100]
	v_mul_f64 v[99:100], v[91:92], v[5:6]
	v_fma_f64 v[9:10], v[89:90], v[7:8], v[9:10]
	s_waitcnt vmcnt(57)
	v_fma_f64 v[91:92], v[91:92], v[1:2], -v[106:107]
	ds_read_b128 v[5:8], v56 offset:1136
	v_mul_f64 v[89:90], v[95:96], v[3:4]
	s_waitcnt vmcnt(51)
	v_fma_f64 v[95:96], v[95:96], v[25:26], -v[110:111]
	v_add_f64 v[87:88], v[87:88], 0
	v_fma_f64 v[93:94], v[93:94], v[1:2], v[99:100]
	v_add_f64 v[9:10], v[9:10], 0
	s_clause 0x4
	buffer_load_dword v100, off, s[0:3], 0 offset:524
	buffer_load_dword v112, off, s[0:3], 0 offset:536
	;; [unrolled: 1-line block ×5, first 2 shown]
	s_waitcnt lgkmcnt(0)
	v_mul_f64 v[115:116], v[5:6], v[13:14]
	v_mul_f64 v[13:14], v[7:8], v[13:14]
	ds_read_b128 v[1:4], v56 offset:1152
	v_fma_f64 v[25:26], v[97:98], v[25:26], v[89:90]
	v_add_f64 v[91:92], v[87:88], v[91:92]
	v_add_f64 v[9:10], v[9:10], v[93:94]
	s_clause 0x2
	buffer_load_dword v113, off, s[0:3], 0 offset:540
	buffer_load_dword v94, off, s[0:3], 0 offset:516
	;; [unrolled: 1-line block ×3, first 2 shown]
	s_waitcnt vmcnt(58) lgkmcnt(0)
	v_mul_f64 v[97:98], v[1:2], v[17:18]
	v_mul_f64 v[17:18], v[3:4], v[17:18]
	s_waitcnt vmcnt(56)
	v_fma_f64 v[13:14], v[5:6], v[19:20], -v[13:14]
	ds_read_b128 v[87:90], v56 offset:1168
	v_fma_f64 v[19:20], v[7:8], v[19:20], v[115:116]
	v_add_f64 v[91:92], v[91:92], v[95:96]
	v_add_f64 v[9:10], v[9:10], v[25:26]
	s_clause 0x4
	buffer_load_dword v26, off, s[0:3], 0 offset:556
	buffer_load_dword v95, off, s[0:3], 0 offset:568
	;; [unrolled: 1-line block ×5, first 2 shown]
	ds_read_b128 v[5:8], v56 offset:1184
	s_waitcnt vmcnt(57) lgkmcnt(1)
	v_mul_f64 v[116:117], v[87:88], v[21:22]
	v_mul_f64 v[21:22], v[89:90], v[21:22]
	s_waitcnt vmcnt(56)
	v_fma_f64 v[17:18], v[1:2], v[11:12], -v[17:18]
	v_fma_f64 v[11:12], v[3:4], v[11:12], v[97:98]
	v_add_f64 v[13:14], v[91:92], v[13:14]
	v_add_f64 v[9:10], v[9:10], v[19:20]
	s_clause 0x2
	buffer_load_dword v96, off, s[0:3], 0 offset:572
	buffer_load_dword v20, off, s[0:3], 0 offset:548
	;; [unrolled: 1-line block ×3, first 2 shown]
	s_waitcnt vmcnt(58) lgkmcnt(0)
	v_mul_f64 v[91:92], v[5:6], v[27:28]
	v_mul_f64 v[27:28], v[7:8], v[27:28]
	s_waitcnt vmcnt(56)
	v_fma_f64 v[21:22], v[87:88], v[29:30], -v[21:22]
	ds_read_b128 v[1:4], v56 offset:1200
	v_add_f64 v[13:14], v[13:14], v[17:18]
	v_fma_f64 v[17:18], v[89:90], v[29:30], v[116:117]
	v_add_f64 v[29:30], v[9:10], v[11:12]
	s_clause 0x4
	buffer_load_dword v88, off, s[0:3], 0 offset:588
	buffer_load_dword v89, off, s[0:3], 0 offset:600
	;; [unrolled: 1-line block ×5, first 2 shown]
	ds_read_b128 v[9:12], v56 offset:1216
	s_waitcnt vmcnt(57) lgkmcnt(1)
	v_mul_f64 v[116:117], v[1:2], v[31:32]
	v_mul_f64 v[31:32], v[3:4], v[31:32]
	s_waitcnt vmcnt(56)
	v_fma_f64 v[27:28], v[5:6], v[15:16], -v[27:28]
	v_fma_f64 v[15:16], v[7:8], v[15:16], v[91:92]
	v_add_f64 v[13:14], v[13:14], v[21:22]
	s_clause 0x2
	buffer_load_dword v90, off, s[0:3], 0 offset:604
	buffer_load_dword v22, off, s[0:3], 0 offset:580
	;; [unrolled: 1-line block ×3, first 2 shown]
	v_add_f64 v[17:18], v[29:30], v[17:18]
	s_waitcnt vmcnt(58) lgkmcnt(0)
	v_mul_f64 v[29:30], v[9:10], v[35:36]
	v_mul_f64 v[35:36], v[11:12], v[35:36]
	ds_read_b128 v[5:8], v56 offset:1232
	s_waitcnt vmcnt(56)
	v_fma_f64 v[31:32], v[1:2], v[37:38], -v[31:32]
	v_add_f64 v[13:14], v[13:14], v[27:28]
	v_fma_f64 v[27:28], v[3:4], v[37:38], v[116:117]
	v_add_f64 v[15:16], v[17:18], v[15:16]
	s_clause 0x4
	buffer_load_dword v18, off, s[0:3], 0 offset:620
	buffer_load_dword v37, off, s[0:3], 0 offset:632
	;; [unrolled: 1-line block ×5, first 2 shown]
	s_waitcnt vmcnt(57) lgkmcnt(0)
	v_mul_f64 v[116:117], v[5:6], v[39:40]
	v_mul_f64 v[39:40], v[7:8], v[39:40]
	s_waitcnt vmcnt(56)
	v_fma_f64 v[35:36], v[9:10], v[23:24], -v[35:36]
	ds_read_b128 v[1:4], v56 offset:1248
	v_fma_f64 v[23:24], v[11:12], v[23:24], v[29:30]
	v_add_f64 v[13:14], v[13:14], v[31:32]
	v_add_f64 v[15:16], v[15:16], v[27:28]
	s_clause 0x2
	buffer_load_dword v38, off, s[0:3], 0 offset:636
	buffer_load_dword v28, off, s[0:3], 0 offset:612
	;; [unrolled: 1-line block ×3, first 2 shown]
	ds_read_b128 v[9:12], v56 offset:1264
	s_waitcnt vmcnt(58) lgkmcnt(1)
	v_mul_f64 v[31:32], v[3:4], v[43:44]
	s_waitcnt vmcnt(56)
	v_fma_f64 v[39:40], v[5:6], v[45:46], -v[39:40]
	v_mul_f64 v[29:30], v[1:2], v[43:44]
	v_add_f64 v[13:14], v[13:14], v[35:36]
	v_fma_f64 v[35:36], v[7:8], v[45:46], v[116:117]
	v_add_f64 v[15:16], v[15:16], v[23:24]
	s_clause 0x4
	buffer_load_dword v24, off, s[0:3], 0 offset:652
	buffer_load_dword v43, off, s[0:3], 0 offset:664
	buffer_load_dword v45, off, s[0:3], 0 offset:656
	buffer_load_dword v23, off, s[0:3], 0 offset:648
	buffer_load_dword v92, off, s[0:3], 0 offset:628
	s_waitcnt vmcnt(57) lgkmcnt(0)
	v_mul_f64 v[116:117], v[9:10], v[65:66]
	v_mul_f64 v[65:66], v[11:12], v[65:66]
	s_waitcnt vmcnt(56)
	v_fma_f64 v[31:32], v[1:2], v[33:34], -v[31:32]
	ds_read_b128 v[5:8], v56 offset:1280
	v_fma_f64 v[29:30], v[3:4], v[33:34], v[29:30]
	s_clause 0x2
	buffer_load_dword v44, off, s[0:3], 0 offset:668
	buffer_load_dword v34, off, s[0:3], 0 offset:644
	;; [unrolled: 1-line block ×3, first 2 shown]
	ds_read_b128 v[1:4], v56 offset:1296
	v_add_f64 v[13:14], v[13:14], v[39:40]
	v_add_f64 v[15:16], v[15:16], v[35:36]
	s_waitcnt vmcnt(58) lgkmcnt(1)
	v_mul_f64 v[39:40], v[7:8], v[73:74]
	s_waitcnt vmcnt(56)
	v_fma_f64 v[65:66], v[9:10], v[75:76], -v[65:66]
	v_mul_f64 v[35:36], v[5:6], v[73:74]
	v_add_f64 v[13:14], v[13:14], v[31:32]
	v_fma_f64 v[31:32], v[11:12], v[75:76], v[116:117]
	v_add_f64 v[15:16], v[15:16], v[29:30]
	s_clause 0x4
	buffer_load_dword v30, off, s[0:3], 0 offset:684
	buffer_load_dword v73, off, s[0:3], 0 offset:696
	;; [unrolled: 1-line block ×5, first 2 shown]
	s_waitcnt vmcnt(57) lgkmcnt(0)
	v_mul_f64 v[116:117], v[1:2], v[81:82]
	v_mul_f64 v[81:82], v[3:4], v[81:82]
	s_waitcnt vmcnt(56)
	v_fma_f64 v[39:40], v[5:6], v[41:42], -v[39:40]
	ds_read_b128 v[9:12], v56 offset:1312
	v_fma_f64 v[35:36], v[7:8], v[41:42], v[35:36]
	v_add_f64 v[13:14], v[13:14], v[65:66]
	v_add_f64 v[15:16], v[15:16], v[31:32]
	s_clause 0x2
	buffer_load_dword v74, off, s[0:3], 0 offset:700
	buffer_load_dword v32, off, s[0:3], 0 offset:676
	;; [unrolled: 1-line block ×3, first 2 shown]
	ds_read_b128 v[5:8], v56 offset:1328
	s_waitcnt vmcnt(58) lgkmcnt(1)
	v_mul_f64 v[65:66], v[11:12], v[83:84]
	s_waitcnt vmcnt(56)
	v_fma_f64 v[81:82], v[1:2], v[85:86], -v[81:82]
	v_mul_f64 v[41:42], v[9:10], v[83:84]
	v_add_f64 v[13:14], v[13:14], v[39:40]
	v_fma_f64 v[39:40], v[3:4], v[85:86], v[116:117]
	v_add_f64 v[15:16], v[15:16], v[35:36]
	s_clause 0x4
	buffer_load_dword v36, off, s[0:3], 0 offset:716
	buffer_load_dword v83, off, s[0:3], 0 offset:728
	buffer_load_dword v85, off, s[0:3], 0 offset:720
	buffer_load_dword v35, off, s[0:3], 0 offset:712
	buffer_load_dword v76, off, s[0:3], 0 offset:692
	s_waitcnt vmcnt(57) lgkmcnt(0)
	v_mul_f64 v[116:117], v[5:6], v[101:102]
	v_mul_f64 v[101:102], v[7:8], v[101:102]
	s_waitcnt vmcnt(56)
	v_fma_f64 v[65:66], v[9:10], v[67:68], -v[65:66]
	ds_read_b128 v[1:4], v56 offset:1344
	v_fma_f64 v[41:42], v[11:12], v[67:68], v[41:42]
	v_add_f64 v[13:14], v[13:14], v[81:82]
	v_add_f64 v[15:16], v[15:16], v[39:40]
	s_clause 0x2
	buffer_load_dword v84, off, s[0:3], 0 offset:732
	buffer_load_dword v40, off, s[0:3], 0 offset:708
	;; [unrolled: 1-line block ×3, first 2 shown]
	ds_read_b128 v[9:12], v56 offset:1360
	s_waitcnt vmcnt(58) lgkmcnt(1)
	v_mul_f64 v[81:82], v[3:4], v[103:104]
	s_waitcnt vmcnt(56)
	v_fma_f64 v[101:102], v[5:6], v[108:109], -v[101:102]
	v_mul_f64 v[67:68], v[1:2], v[103:104]
	v_add_f64 v[13:14], v[13:14], v[65:66]
	v_fma_f64 v[65:66], v[7:8], v[108:109], v[116:117]
	v_add_f64 v[15:16], v[15:16], v[41:42]
	s_clause 0x4
	buffer_load_dword v42, off, s[0:3], 0 offset:748
	buffer_load_dword v103, off, s[0:3], 0 offset:760
	;; [unrolled: 1-line block ×5, first 2 shown]
	ds_read_b128 v[5:8], v56 offset:1376
	s_waitcnt vmcnt(57) lgkmcnt(1)
	v_mul_f64 v[108:109], v[9:10], v[99:100]
	v_mul_f64 v[99:100], v[11:12], v[99:100]
	s_waitcnt vmcnt(56)
	v_fma_f64 v[81:82], v[1:2], v[105:106], -v[81:82]
	v_fma_f64 v[67:68], v[3:4], v[105:106], v[67:68]
	v_add_f64 v[13:14], v[13:14], v[101:102]
	v_add_f64 v[15:16], v[15:16], v[65:66]
	s_clause 0x2
	buffer_load_dword v104, off, s[0:3], 0 offset:764
	buffer_load_dword v66, off, s[0:3], 0 offset:740
	;; [unrolled: 1-line block ×3, first 2 shown]
	ds_read_b128 v[1:4], v56 offset:1392
	s_waitcnt vmcnt(58) lgkmcnt(1)
	v_mul_f64 v[105:106], v[7:8], v[112:113]
	v_mul_f64 v[101:102], v[5:6], v[112:113]
	s_waitcnt vmcnt(56)
	v_fma_f64 v[99:100], v[9:10], v[93:94], -v[99:100]
	v_add_f64 v[13:14], v[13:14], v[81:82]
	v_fma_f64 v[81:82], v[11:12], v[93:94], v[108:109]
	v_add_f64 v[15:16], v[15:16], v[67:68]
	s_clause 0x4
	buffer_load_dword v68, off, s[0:3], 0 offset:780
	buffer_load_dword v93, off, s[0:3], 0 offset:792
	buffer_load_dword v112, off, s[0:3], 0 offset:784
	buffer_load_dword v67, off, s[0:3], 0 offset:776
	buffer_load_dword v108, off, s[0:3], 0 offset:756
	ds_read_b128 v[9:12], v56 offset:1408
	s_waitcnt vmcnt(57) lgkmcnt(1)
	v_mul_f64 v[116:117], v[1:2], v[25:26]
	v_mul_f64 v[25:26], v[3:4], v[25:26]
	s_waitcnt vmcnt(56)
	v_fma_f64 v[105:106], v[5:6], v[114:115], -v[105:106]
	v_add_f64 v[13:14], v[13:14], v[99:100]
	v_fma_f64 v[99:100], v[7:8], v[114:115], v[101:102]
	v_add_f64 v[15:16], v[15:16], v[81:82]
	s_clause 0x2
	buffer_load_dword v94, off, s[0:3], 0 offset:796
	buffer_load_dword v82, off, s[0:3], 0 offset:772
	buffer_load_dword v81, off, s[0:3], 0 offset:768
	ds_read_b128 v[5:8], v56 offset:1424
	s_waitcnt vmcnt(58) lgkmcnt(1)
	v_mul_f64 v[101:102], v[9:10], v[95:96]
	v_mul_f64 v[95:96], v[11:12], v[95:96]
	s_waitcnt vmcnt(56)
	v_fma_f64 v[25:26], v[1:2], v[19:20], -v[25:26]
	v_fma_f64 v[19:20], v[3:4], v[19:20], v[116:117]
	v_add_f64 v[13:14], v[13:14], v[105:106]
	v_add_f64 v[15:16], v[15:16], v[99:100]
	s_clause 0x4
	buffer_load_dword v100, off, s[0:3], 0 offset:812
	buffer_load_dword v105, off, s[0:3], 0 offset:824
	buffer_load_dword v109, off, s[0:3], 0 offset:816
	buffer_load_dword v99, off, s[0:3], 0 offset:808
	buffer_load_dword v113, off, s[0:3], 0 offset:788
	ds_read_b128 v[1:4], v56 offset:1440
	s_waitcnt vmcnt(57) lgkmcnt(1)
	v_mul_f64 v[114:115], v[5:6], v[87:88]
	v_mul_f64 v[87:88], v[7:8], v[87:88]
	s_waitcnt vmcnt(56)
	v_fma_f64 v[95:96], v[9:10], v[110:111], -v[95:96]
	v_add_f64 v[13:14], v[13:14], v[25:26]
	v_fma_f64 v[25:26], v[11:12], v[110:111], v[101:102]
	v_add_f64 v[15:16], v[15:16], v[19:20]
	s_clause 0x2
	buffer_load_dword v106, off, s[0:3], 0 offset:828
	buffer_load_dword v20, off, s[0:3], 0 offset:804
	buffer_load_dword v19, off, s[0:3], 0 offset:800
	ds_read_b128 v[9:12], v56 offset:1456
	s_waitcnt vmcnt(58) lgkmcnt(1)
	v_mul_f64 v[101:102], v[1:2], v[89:90]
	v_mul_f64 v[89:90], v[3:4], v[89:90]
	s_waitcnt vmcnt(56)
	v_fma_f64 v[87:88], v[5:6], v[21:22], -v[87:88]
	v_fma_f64 v[21:22], v[7:8], v[21:22], v[114:115]
	v_add_f64 v[13:14], v[13:14], v[95:96]
	;; [unrolled: 28-line block ×3, first 2 shown]
	v_add_f64 v[15:16], v[15:16], v[87:88]
	s_clause 0x2
	buffer_load_dword v88, off, s[0:3], 0 offset:876
	buffer_load_dword v87, off, s[0:3], 0 offset:872
	;; [unrolled: 1-line block ×3, first 2 shown]
	ds_read_b128 v[9:12], v56 offset:1504
	s_waitcnt vmcnt(55) lgkmcnt(1)
	v_mul_f64 v[89:90], v[1:2], v[23:24]
	v_mul_f64 v[23:24], v[3:4], v[23:24]
	s_waitcnt vmcnt(54)
	v_fma_f64 v[37:38], v[5:6], v[91:92], -v[37:38]
	v_add_f64 v[13:14], v[13:14], v[17:18]
	v_fma_f64 v[17:18], v[7:8], v[91:92], v[97:98]
	v_add_f64 v[15:16], v[15:16], v[27:28]
	s_clause 0x1
	buffer_load_dword v28, off, s[0:3], 0 offset:868
	buffer_load_dword v27, off, s[0:3], 0 offset:864
	s_waitcnt vmcnt(55) lgkmcnt(0)
	v_mul_f64 v[91:92], v[9:10], v[43:44]
	v_mul_f64 v[43:44], v[11:12], v[43:44]
	ds_read_b128 v[5:8], v56 offset:1520
	s_waitcnt vmcnt(53)
	v_fma_f64 v[23:24], v[1:2], v[33:34], -v[23:24]
	v_fma_f64 v[33:34], v[3:4], v[33:34], v[89:90]
	ds_read_b128 v[1:4], v56 offset:1536
	v_add_f64 v[13:14], v[13:14], v[37:38]
	v_add_f64 v[15:16], v[15:16], v[17:18]
	s_waitcnt vmcnt(49) lgkmcnt(1)
	v_mul_f64 v[17:18], v[5:6], v[29:30]
	v_mul_f64 v[29:30], v[7:8], v[29:30]
	s_waitcnt vmcnt(48)
	v_fma_f64 v[37:38], v[9:10], v[45:46], -v[43:44]
	v_add_f64 v[13:14], v[13:14], v[23:24]
	v_fma_f64 v[23:24], v[11:12], v[45:46], v[91:92]
	v_add_f64 v[15:16], v[15:16], v[33:34]
	s_clause 0x3
	buffer_load_dword v33, off, s[0:3], 0 offset:224
	buffer_load_dword v34, off, s[0:3], 0 offset:228
	;; [unrolled: 1-line block ×4, first 2 shown]
	ds_read_b128 v[9:12], v56 offset:1552
	s_waitcnt vmcnt(51) lgkmcnt(1)
	v_mul_f64 v[45:46], v[1:2], v[73:74]
	v_mul_f64 v[73:74], v[3:4], v[73:74]
	s_waitcnt vmcnt(49)
	v_fma_f64 v[29:30], v[5:6], v[31:32], -v[29:30]
	v_fma_f64 v[17:18], v[7:8], v[31:32], v[17:18]
	ds_read_b128 v[5:8], v56 offset:1568
	v_add_f64 v[13:14], v[13:14], v[37:38]
	v_add_f64 v[15:16], v[15:16], v[23:24]
	s_waitcnt vmcnt(45) lgkmcnt(1)
	v_mul_f64 v[23:24], v[9:10], v[35:36]
	v_mul_f64 v[31:32], v[11:12], v[35:36]
	s_waitcnt vmcnt(44)
	v_fma_f64 v[35:36], v[1:2], v[75:76], -v[73:74]
	v_add_f64 v[13:14], v[13:14], v[29:30]
	v_fma_f64 v[29:30], v[3:4], v[75:76], v[45:46]
	v_add_f64 v[15:16], v[15:16], v[17:18]
	ds_read_b128 v[1:4], v56 offset:1584
	s_waitcnt vmcnt(43) lgkmcnt(1)
	v_mul_f64 v[37:38], v[7:8], v[83:84]
	v_mul_f64 v[17:18], v[5:6], v[83:84]
	s_waitcnt vmcnt(41)
	v_fma_f64 v[31:32], v[9:10], v[39:40], -v[31:32]
	v_fma_f64 v[23:24], v[11:12], v[39:40], v[23:24]
	ds_read_b128 v[9:12], v56 offset:1600
	v_add_f64 v[13:14], v[13:14], v[35:36]
	v_add_f64 v[15:16], v[15:16], v[29:30]
	s_waitcnt vmcnt(37) lgkmcnt(1)
	v_mul_f64 v[35:36], v[3:4], v[41:42]
	s_waitcnt vmcnt(36)
	v_fma_f64 v[37:38], v[5:6], v[85:86], -v[37:38]
	v_mul_f64 v[29:30], v[1:2], v[41:42]
	v_fma_f64 v[17:18], v[7:8], v[85:86], v[17:18]
	ds_read_b128 v[5:8], v56 offset:1616
	v_add_f64 v[13:14], v[13:14], v[31:32]
	v_add_f64 v[15:16], v[15:16], v[23:24]
	s_waitcnt vmcnt(35) lgkmcnt(1)
	v_mul_f64 v[31:32], v[11:12], v[103:104]
	v_mul_f64 v[23:24], v[9:10], v[103:104]
	s_waitcnt vmcnt(33)
	v_fma_f64 v[35:36], v[1:2], v[65:66], -v[35:36]
	v_fma_f64 v[29:30], v[3:4], v[65:66], v[29:30]
	ds_read_b128 v[1:4], v56 offset:1632
	v_add_f64 v[13:14], v[13:14], v[37:38]
	v_add_f64 v[15:16], v[15:16], v[17:18]
	s_waitcnt vmcnt(29) lgkmcnt(1)
	v_mul_f64 v[37:38], v[7:8], v[67:68]
	s_waitcnt vmcnt(28)
	v_fma_f64 v[31:32], v[9:10], v[107:108], -v[31:32]
	v_mul_f64 v[17:18], v[5:6], v[67:68]
	v_fma_f64 v[23:24], v[11:12], v[107:108], v[23:24]
	ds_read_b128 v[9:12], v56 offset:1648
	v_add_f64 v[13:14], v[13:14], v[35:36]
	v_add_f64 v[15:16], v[15:16], v[29:30]
	;; [unrolled: 18-line block ×3, first 2 shown]
	s_waitcnt vmcnt(19) lgkmcnt(1)
	v_mul_f64 v[37:38], v[7:8], v[105:106]
	v_mul_f64 v[17:18], v[5:6], v[105:106]
	s_waitcnt vmcnt(17)
	v_fma_f64 v[31:32], v[9:10], v[19:20], -v[31:32]
	v_fma_f64 v[19:20], v[11:12], v[19:20], v[23:24]
	ds_read_b128 v[9:12], v56 offset:1696
	v_add_f64 v[13:14], v[13:14], v[35:36]
	v_add_f64 v[15:16], v[15:16], v[29:30]
	s_waitcnt vmcnt(13) lgkmcnt(1)
	v_mul_f64 v[23:24], v[1:2], v[25:26]
	v_mul_f64 v[25:26], v[3:4], v[25:26]
	s_waitcnt vmcnt(12)
	v_fma_f64 v[29:30], v[5:6], v[109:110], -v[37:38]
	v_fma_f64 v[17:18], v[7:8], v[109:110], v[17:18]
	ds_read_b128 v[5:8], v56 offset:1712
	v_add_f64 v[13:14], v[13:14], v[31:32]
	v_add_f64 v[15:16], v[15:16], v[19:20]
	s_waitcnt vmcnt(11) lgkmcnt(1)
	v_mul_f64 v[31:32], v[11:12], v[95:96]
	v_mul_f64 v[19:20], v[9:10], v[95:96]
	s_waitcnt vmcnt(9)
	v_fma_f64 v[1:2], v[1:2], v[21:22], -v[25:26]
	v_fma_f64 v[3:4], v[3:4], v[21:22], v[23:24]
	v_add_f64 v[13:14], v[13:14], v[29:30]
	v_add_f64 v[15:16], v[15:16], v[17:18]
	s_waitcnt vmcnt(7) lgkmcnt(0)
	v_mul_f64 v[21:22], v[7:8], v[87:88]
	s_waitcnt vmcnt(6)
	v_fma_f64 v[9:10], v[9:10], v[114:115], -v[31:32]
	v_mul_f64 v[17:18], v[5:6], v[87:88]
	v_fma_f64 v[11:12], v[11:12], v[114:115], v[19:20]
	v_add_f64 v[1:2], v[13:14], v[1:2]
	v_add_f64 v[3:4], v[15:16], v[3:4]
	s_waitcnt vmcnt(4)
	v_fma_f64 v[5:6], v[5:6], v[27:28], -v[21:22]
	v_fma_f64 v[7:8], v[7:8], v[27:28], v[17:18]
	v_add_f64 v[1:2], v[1:2], v[9:10]
	v_add_f64 v[3:4], v[3:4], v[11:12]
	;; [unrolled: 1-line block ×4, first 2 shown]
	s_waitcnt vmcnt(2)
	v_add_f64 v[1:2], v[33:34], -v[1:2]
	s_waitcnt vmcnt(0)
	v_add_f64 v[3:4], v[43:44], -v[3:4]
	buffer_store_dword v2, off, s[0:3], 0 offset:228
	buffer_store_dword v1, off, s[0:3], 0 offset:224
	;; [unrolled: 1-line block ×4, first 2 shown]
	v_cmpx_lt_u32_e32 12, v0
	s_cbranch_execz .LBB53_313
; %bb.312:
	v_mov_b32_e32 v4, s54
	v_mov_b32_e32 v5, 0
	s_clause 0x3
	buffer_load_dword v1, v4, s[0:3], 0 offen
	buffer_load_dword v2, v4, s[0:3], 0 offen offset:4
	buffer_load_dword v3, v4, s[0:3], 0 offen offset:8
	;; [unrolled: 1-line block ×3, first 2 shown]
	buffer_store_dword v5, off, s[0:3], 0 offset:208
	buffer_store_dword v5, off, s[0:3], 0 offset:212
	;; [unrolled: 1-line block ×4, first 2 shown]
	s_waitcnt vmcnt(0)
	ds_write_b128 v47, v[1:4]
.LBB53_313:
	s_or_b32 exec_lo, exec_lo, s4
	s_waitcnt lgkmcnt(0)
	s_waitcnt_vscnt null, 0x0
	s_barrier
	buffer_gl0_inv
	s_clause 0x37
	buffer_load_dword v9, off, s[0:3], 0 offset:232
	buffer_load_dword v10, off, s[0:3], 0 offset:236
	;; [unrolled: 1-line block ×56, first 2 shown]
	v_mov_b32_e32 v56, 0
	s_mov_b32 s4, exec_lo
	ds_read_b128 v[87:90], v56 offset:1072
	s_clause 0x2
	buffer_load_dword v84, off, s[0:3], 0 offset:460
	buffer_load_dword v86, off, s[0:3], 0 offset:436
	;; [unrolled: 1-line block ×3, first 2 shown]
	ds_read_b128 v[91:94], v56 offset:1088
	s_clause 0x4
	buffer_load_dword v102, off, s[0:3], 0 offset:476
	buffer_load_dword v103, off, s[0:3], 0 offset:488
	;; [unrolled: 1-line block ×5, first 2 shown]
	ds_read_b128 v[95:98], v56 offset:1104
	s_clause 0x2
	buffer_load_dword v104, off, s[0:3], 0 offset:492
	buffer_load_dword v109, off, s[0:3], 0 offset:468
	;; [unrolled: 1-line block ×3, first 2 shown]
	s_waitcnt vmcnt(62) lgkmcnt(2)
	v_mul_f64 v[99:100], v[89:90], v[9:10]
	v_mul_f64 v[9:10], v[87:88], v[9:10]
	s_waitcnt lgkmcnt(1)
	v_mul_f64 v[106:107], v[93:94], v[5:6]
	s_waitcnt vmcnt(59) lgkmcnt(0)
	v_mul_f64 v[110:111], v[97:98], v[3:4]
	v_fma_f64 v[87:88], v[87:88], v[7:8], -v[99:100]
	v_mul_f64 v[99:100], v[91:92], v[5:6]
	v_fma_f64 v[9:10], v[89:90], v[7:8], v[9:10]
	s_waitcnt vmcnt(57)
	v_fma_f64 v[91:92], v[91:92], v[1:2], -v[106:107]
	ds_read_b128 v[5:8], v56 offset:1120
	v_mul_f64 v[89:90], v[95:96], v[3:4]
	s_waitcnt vmcnt(51)
	v_fma_f64 v[95:96], v[95:96], v[25:26], -v[110:111]
	v_add_f64 v[87:88], v[87:88], 0
	v_fma_f64 v[93:94], v[93:94], v[1:2], v[99:100]
	v_add_f64 v[9:10], v[9:10], 0
	s_clause 0x4
	buffer_load_dword v100, off, s[0:3], 0 offset:508
	buffer_load_dword v112, off, s[0:3], 0 offset:520
	;; [unrolled: 1-line block ×5, first 2 shown]
	s_waitcnt lgkmcnt(0)
	v_mul_f64 v[115:116], v[5:6], v[13:14]
	v_mul_f64 v[13:14], v[7:8], v[13:14]
	ds_read_b128 v[1:4], v56 offset:1136
	v_fma_f64 v[25:26], v[97:98], v[25:26], v[89:90]
	v_add_f64 v[91:92], v[87:88], v[91:92]
	v_add_f64 v[9:10], v[9:10], v[93:94]
	s_clause 0x2
	buffer_load_dword v113, off, s[0:3], 0 offset:524
	buffer_load_dword v94, off, s[0:3], 0 offset:500
	;; [unrolled: 1-line block ×3, first 2 shown]
	s_waitcnt vmcnt(58) lgkmcnt(0)
	v_mul_f64 v[97:98], v[1:2], v[17:18]
	v_mul_f64 v[17:18], v[3:4], v[17:18]
	s_waitcnt vmcnt(56)
	v_fma_f64 v[13:14], v[5:6], v[19:20], -v[13:14]
	ds_read_b128 v[87:90], v56 offset:1152
	v_fma_f64 v[19:20], v[7:8], v[19:20], v[115:116]
	v_add_f64 v[91:92], v[91:92], v[95:96]
	v_add_f64 v[9:10], v[9:10], v[25:26]
	s_clause 0x4
	buffer_load_dword v26, off, s[0:3], 0 offset:540
	buffer_load_dword v95, off, s[0:3], 0 offset:552
	;; [unrolled: 1-line block ×5, first 2 shown]
	ds_read_b128 v[5:8], v56 offset:1168
	s_waitcnt vmcnt(57) lgkmcnt(1)
	v_mul_f64 v[116:117], v[87:88], v[21:22]
	v_mul_f64 v[21:22], v[89:90], v[21:22]
	s_waitcnt vmcnt(56)
	v_fma_f64 v[17:18], v[1:2], v[11:12], -v[17:18]
	v_fma_f64 v[11:12], v[3:4], v[11:12], v[97:98]
	v_add_f64 v[13:14], v[91:92], v[13:14]
	v_add_f64 v[9:10], v[9:10], v[19:20]
	s_clause 0x2
	buffer_load_dword v96, off, s[0:3], 0 offset:556
	buffer_load_dword v20, off, s[0:3], 0 offset:532
	;; [unrolled: 1-line block ×3, first 2 shown]
	s_waitcnt vmcnt(58) lgkmcnt(0)
	v_mul_f64 v[91:92], v[5:6], v[27:28]
	v_mul_f64 v[27:28], v[7:8], v[27:28]
	s_waitcnt vmcnt(56)
	v_fma_f64 v[21:22], v[87:88], v[29:30], -v[21:22]
	ds_read_b128 v[1:4], v56 offset:1184
	v_add_f64 v[13:14], v[13:14], v[17:18]
	v_fma_f64 v[17:18], v[89:90], v[29:30], v[116:117]
	v_add_f64 v[29:30], v[9:10], v[11:12]
	s_clause 0x4
	buffer_load_dword v88, off, s[0:3], 0 offset:572
	buffer_load_dword v89, off, s[0:3], 0 offset:584
	buffer_load_dword v97, off, s[0:3], 0 offset:576
	buffer_load_dword v87, off, s[0:3], 0 offset:568
	buffer_load_dword v111, off, s[0:3], 0 offset:548
	ds_read_b128 v[9:12], v56 offset:1200
	s_waitcnt vmcnt(57) lgkmcnt(1)
	v_mul_f64 v[116:117], v[1:2], v[31:32]
	v_mul_f64 v[31:32], v[3:4], v[31:32]
	s_waitcnt vmcnt(56)
	v_fma_f64 v[27:28], v[5:6], v[15:16], -v[27:28]
	v_fma_f64 v[15:16], v[7:8], v[15:16], v[91:92]
	v_add_f64 v[13:14], v[13:14], v[21:22]
	s_clause 0x2
	buffer_load_dword v90, off, s[0:3], 0 offset:588
	buffer_load_dword v22, off, s[0:3], 0 offset:564
	buffer_load_dword v21, off, s[0:3], 0 offset:560
	v_add_f64 v[17:18], v[29:30], v[17:18]
	s_waitcnt vmcnt(58) lgkmcnt(0)
	v_mul_f64 v[29:30], v[9:10], v[35:36]
	v_mul_f64 v[35:36], v[11:12], v[35:36]
	ds_read_b128 v[5:8], v56 offset:1216
	s_waitcnt vmcnt(56)
	v_fma_f64 v[31:32], v[1:2], v[37:38], -v[31:32]
	v_add_f64 v[13:14], v[13:14], v[27:28]
	v_fma_f64 v[27:28], v[3:4], v[37:38], v[116:117]
	v_add_f64 v[15:16], v[17:18], v[15:16]
	s_clause 0x4
	buffer_load_dword v18, off, s[0:3], 0 offset:604
	buffer_load_dword v37, off, s[0:3], 0 offset:616
	;; [unrolled: 1-line block ×5, first 2 shown]
	s_waitcnt vmcnt(57) lgkmcnt(0)
	v_mul_f64 v[116:117], v[5:6], v[39:40]
	v_mul_f64 v[39:40], v[7:8], v[39:40]
	s_waitcnt vmcnt(56)
	v_fma_f64 v[35:36], v[9:10], v[23:24], -v[35:36]
	ds_read_b128 v[1:4], v56 offset:1232
	v_fma_f64 v[23:24], v[11:12], v[23:24], v[29:30]
	v_add_f64 v[13:14], v[13:14], v[31:32]
	v_add_f64 v[15:16], v[15:16], v[27:28]
	s_clause 0x2
	buffer_load_dword v38, off, s[0:3], 0 offset:620
	buffer_load_dword v28, off, s[0:3], 0 offset:596
	;; [unrolled: 1-line block ×3, first 2 shown]
	ds_read_b128 v[9:12], v56 offset:1248
	s_waitcnt vmcnt(58) lgkmcnt(1)
	v_mul_f64 v[31:32], v[3:4], v[43:44]
	s_waitcnt vmcnt(56)
	v_fma_f64 v[39:40], v[5:6], v[45:46], -v[39:40]
	v_mul_f64 v[29:30], v[1:2], v[43:44]
	v_add_f64 v[13:14], v[13:14], v[35:36]
	v_fma_f64 v[35:36], v[7:8], v[45:46], v[116:117]
	v_add_f64 v[15:16], v[15:16], v[23:24]
	s_clause 0x4
	buffer_load_dword v24, off, s[0:3], 0 offset:636
	buffer_load_dword v43, off, s[0:3], 0 offset:648
	;; [unrolled: 1-line block ×5, first 2 shown]
	s_waitcnt vmcnt(57) lgkmcnt(0)
	v_mul_f64 v[116:117], v[9:10], v[65:66]
	v_mul_f64 v[65:66], v[11:12], v[65:66]
	s_waitcnt vmcnt(56)
	v_fma_f64 v[31:32], v[1:2], v[33:34], -v[31:32]
	ds_read_b128 v[5:8], v56 offset:1264
	v_fma_f64 v[29:30], v[3:4], v[33:34], v[29:30]
	s_clause 0x2
	buffer_load_dword v44, off, s[0:3], 0 offset:652
	buffer_load_dword v34, off, s[0:3], 0 offset:628
	;; [unrolled: 1-line block ×3, first 2 shown]
	ds_read_b128 v[1:4], v56 offset:1280
	v_add_f64 v[13:14], v[13:14], v[39:40]
	v_add_f64 v[15:16], v[15:16], v[35:36]
	s_waitcnt vmcnt(58) lgkmcnt(1)
	v_mul_f64 v[39:40], v[7:8], v[73:74]
	s_waitcnt vmcnt(56)
	v_fma_f64 v[65:66], v[9:10], v[75:76], -v[65:66]
	v_mul_f64 v[35:36], v[5:6], v[73:74]
	v_add_f64 v[13:14], v[13:14], v[31:32]
	v_fma_f64 v[31:32], v[11:12], v[75:76], v[116:117]
	v_add_f64 v[15:16], v[15:16], v[29:30]
	s_clause 0x4
	buffer_load_dword v30, off, s[0:3], 0 offset:668
	buffer_load_dword v73, off, s[0:3], 0 offset:680
	;; [unrolled: 1-line block ×5, first 2 shown]
	s_waitcnt vmcnt(57) lgkmcnt(0)
	v_mul_f64 v[116:117], v[1:2], v[81:82]
	v_mul_f64 v[81:82], v[3:4], v[81:82]
	s_waitcnt vmcnt(56)
	v_fma_f64 v[39:40], v[5:6], v[41:42], -v[39:40]
	ds_read_b128 v[9:12], v56 offset:1296
	v_fma_f64 v[35:36], v[7:8], v[41:42], v[35:36]
	v_add_f64 v[13:14], v[13:14], v[65:66]
	v_add_f64 v[15:16], v[15:16], v[31:32]
	s_clause 0x2
	buffer_load_dword v74, off, s[0:3], 0 offset:684
	buffer_load_dword v32, off, s[0:3], 0 offset:660
	;; [unrolled: 1-line block ×3, first 2 shown]
	ds_read_b128 v[5:8], v56 offset:1312
	s_waitcnt vmcnt(58) lgkmcnt(1)
	v_mul_f64 v[65:66], v[11:12], v[83:84]
	s_waitcnt vmcnt(56)
	v_fma_f64 v[81:82], v[1:2], v[85:86], -v[81:82]
	v_mul_f64 v[41:42], v[9:10], v[83:84]
	v_add_f64 v[13:14], v[13:14], v[39:40]
	v_fma_f64 v[39:40], v[3:4], v[85:86], v[116:117]
	v_add_f64 v[15:16], v[15:16], v[35:36]
	s_clause 0x4
	buffer_load_dword v36, off, s[0:3], 0 offset:700
	buffer_load_dword v83, off, s[0:3], 0 offset:712
	;; [unrolled: 1-line block ×5, first 2 shown]
	s_waitcnt vmcnt(57) lgkmcnt(0)
	v_mul_f64 v[116:117], v[5:6], v[101:102]
	v_mul_f64 v[101:102], v[7:8], v[101:102]
	s_waitcnt vmcnt(56)
	v_fma_f64 v[65:66], v[9:10], v[67:68], -v[65:66]
	ds_read_b128 v[1:4], v56 offset:1328
	v_fma_f64 v[41:42], v[11:12], v[67:68], v[41:42]
	v_add_f64 v[13:14], v[13:14], v[81:82]
	v_add_f64 v[15:16], v[15:16], v[39:40]
	s_clause 0x2
	buffer_load_dword v84, off, s[0:3], 0 offset:716
	buffer_load_dword v40, off, s[0:3], 0 offset:692
	;; [unrolled: 1-line block ×3, first 2 shown]
	ds_read_b128 v[9:12], v56 offset:1344
	s_waitcnt vmcnt(58) lgkmcnt(1)
	v_mul_f64 v[81:82], v[3:4], v[103:104]
	s_waitcnt vmcnt(56)
	v_fma_f64 v[101:102], v[5:6], v[108:109], -v[101:102]
	v_mul_f64 v[67:68], v[1:2], v[103:104]
	v_add_f64 v[13:14], v[13:14], v[65:66]
	v_fma_f64 v[65:66], v[7:8], v[108:109], v[116:117]
	v_add_f64 v[15:16], v[15:16], v[41:42]
	s_clause 0x4
	buffer_load_dword v42, off, s[0:3], 0 offset:732
	buffer_load_dword v103, off, s[0:3], 0 offset:744
	;; [unrolled: 1-line block ×5, first 2 shown]
	ds_read_b128 v[5:8], v56 offset:1360
	s_waitcnt vmcnt(57) lgkmcnt(1)
	v_mul_f64 v[108:109], v[9:10], v[99:100]
	v_mul_f64 v[99:100], v[11:12], v[99:100]
	s_waitcnt vmcnt(56)
	v_fma_f64 v[81:82], v[1:2], v[105:106], -v[81:82]
	v_fma_f64 v[67:68], v[3:4], v[105:106], v[67:68]
	v_add_f64 v[13:14], v[13:14], v[101:102]
	v_add_f64 v[15:16], v[15:16], v[65:66]
	s_clause 0x2
	buffer_load_dword v104, off, s[0:3], 0 offset:748
	buffer_load_dword v66, off, s[0:3], 0 offset:724
	buffer_load_dword v65, off, s[0:3], 0 offset:720
	ds_read_b128 v[1:4], v56 offset:1376
	s_waitcnt vmcnt(58) lgkmcnt(1)
	v_mul_f64 v[105:106], v[7:8], v[112:113]
	v_mul_f64 v[101:102], v[5:6], v[112:113]
	s_waitcnt vmcnt(56)
	v_fma_f64 v[99:100], v[9:10], v[93:94], -v[99:100]
	v_add_f64 v[13:14], v[13:14], v[81:82]
	v_fma_f64 v[81:82], v[11:12], v[93:94], v[108:109]
	v_add_f64 v[15:16], v[15:16], v[67:68]
	s_clause 0x4
	buffer_load_dword v68, off, s[0:3], 0 offset:764
	buffer_load_dword v93, off, s[0:3], 0 offset:776
	buffer_load_dword v112, off, s[0:3], 0 offset:768
	buffer_load_dword v67, off, s[0:3], 0 offset:760
	buffer_load_dword v108, off, s[0:3], 0 offset:740
	ds_read_b128 v[9:12], v56 offset:1392
	s_waitcnt vmcnt(57) lgkmcnt(1)
	v_mul_f64 v[116:117], v[1:2], v[25:26]
	v_mul_f64 v[25:26], v[3:4], v[25:26]
	s_waitcnt vmcnt(56)
	v_fma_f64 v[105:106], v[5:6], v[114:115], -v[105:106]
	v_add_f64 v[13:14], v[13:14], v[99:100]
	v_fma_f64 v[99:100], v[7:8], v[114:115], v[101:102]
	v_add_f64 v[15:16], v[15:16], v[81:82]
	s_clause 0x2
	buffer_load_dword v94, off, s[0:3], 0 offset:780
	buffer_load_dword v82, off, s[0:3], 0 offset:756
	buffer_load_dword v81, off, s[0:3], 0 offset:752
	ds_read_b128 v[5:8], v56 offset:1408
	s_waitcnt vmcnt(58) lgkmcnt(1)
	v_mul_f64 v[101:102], v[9:10], v[95:96]
	v_mul_f64 v[95:96], v[11:12], v[95:96]
	s_waitcnt vmcnt(56)
	v_fma_f64 v[25:26], v[1:2], v[19:20], -v[25:26]
	v_fma_f64 v[19:20], v[3:4], v[19:20], v[116:117]
	v_add_f64 v[13:14], v[13:14], v[105:106]
	v_add_f64 v[15:16], v[15:16], v[99:100]
	s_clause 0x4
	buffer_load_dword v100, off, s[0:3], 0 offset:796
	buffer_load_dword v105, off, s[0:3], 0 offset:808
	buffer_load_dword v109, off, s[0:3], 0 offset:800
	buffer_load_dword v99, off, s[0:3], 0 offset:792
	buffer_load_dword v113, off, s[0:3], 0 offset:772
	ds_read_b128 v[1:4], v56 offset:1424
	s_waitcnt vmcnt(57) lgkmcnt(1)
	v_mul_f64 v[114:115], v[5:6], v[87:88]
	v_mul_f64 v[87:88], v[7:8], v[87:88]
	s_waitcnt vmcnt(56)
	v_fma_f64 v[95:96], v[9:10], v[110:111], -v[95:96]
	v_add_f64 v[13:14], v[13:14], v[25:26]
	v_fma_f64 v[25:26], v[11:12], v[110:111], v[101:102]
	v_add_f64 v[15:16], v[15:16], v[19:20]
	s_clause 0x2
	buffer_load_dword v106, off, s[0:3], 0 offset:812
	buffer_load_dword v20, off, s[0:3], 0 offset:788
	buffer_load_dword v19, off, s[0:3], 0 offset:784
	ds_read_b128 v[9:12], v56 offset:1440
	s_waitcnt vmcnt(58) lgkmcnt(1)
	v_mul_f64 v[101:102], v[1:2], v[89:90]
	v_mul_f64 v[89:90], v[3:4], v[89:90]
	s_waitcnt vmcnt(56)
	v_fma_f64 v[87:88], v[5:6], v[21:22], -v[87:88]
	v_fma_f64 v[21:22], v[7:8], v[21:22], v[114:115]
	v_add_f64 v[13:14], v[13:14], v[95:96]
	v_add_f64 v[15:16], v[15:16], v[25:26]
	s_clause 0x4
	buffer_load_dword v26, off, s[0:3], 0 offset:828
	buffer_load_dword v95, off, s[0:3], 0 offset:840
	buffer_load_dword v114, off, s[0:3], 0 offset:832
	buffer_load_dword v25, off, s[0:3], 0 offset:824
	buffer_load_dword v110, off, s[0:3], 0 offset:804
	ds_read_b128 v[5:8], v56 offset:1456
	s_waitcnt vmcnt(57) lgkmcnt(1)
	v_mul_f64 v[115:116], v[9:10], v[17:18]
	v_mul_f64 v[17:18], v[11:12], v[17:18]
	s_waitcnt vmcnt(56)
	v_fma_f64 v[89:90], v[1:2], v[97:98], -v[89:90]
	v_add_f64 v[13:14], v[13:14], v[87:88]
	v_fma_f64 v[87:88], v[3:4], v[97:98], v[101:102]
	v_add_f64 v[15:16], v[15:16], v[21:22]
	s_clause 0x2
	buffer_load_dword v96, off, s[0:3], 0 offset:844
	buffer_load_dword v22, off, s[0:3], 0 offset:820
	buffer_load_dword v21, off, s[0:3], 0 offset:816
	ds_read_b128 v[1:4], v56 offset:1472
	s_waitcnt vmcnt(58) lgkmcnt(1)
	v_mul_f64 v[97:98], v[5:6], v[37:38]
	v_mul_f64 v[37:38], v[7:8], v[37:38]
	s_waitcnt vmcnt(56)
	v_fma_f64 v[17:18], v[9:10], v[27:28], -v[17:18]
	v_fma_f64 v[27:28], v[11:12], v[27:28], v[115:116]
	v_add_f64 v[13:14], v[13:14], v[89:90]
	v_add_f64 v[15:16], v[15:16], v[87:88]
	s_clause 0x4
	buffer_load_dword v88, off, s[0:3], 0 offset:860
	buffer_load_dword v89, off, s[0:3], 0 offset:872
	;; [unrolled: 1-line block ×5, first 2 shown]
	ds_read_b128 v[9:12], v56 offset:1488
	s_waitcnt vmcnt(57) lgkmcnt(1)
	v_mul_f64 v[116:117], v[1:2], v[23:24]
	v_mul_f64 v[23:24], v[3:4], v[23:24]
	s_waitcnt vmcnt(56)
	v_fma_f64 v[37:38], v[5:6], v[91:92], -v[37:38]
	v_add_f64 v[13:14], v[13:14], v[17:18]
	v_fma_f64 v[17:18], v[7:8], v[91:92], v[97:98]
	v_add_f64 v[15:16], v[15:16], v[27:28]
	s_clause 0x2
	buffer_load_dword v90, off, s[0:3], 0 offset:876
	buffer_load_dword v28, off, s[0:3], 0 offset:852
	buffer_load_dword v27, off, s[0:3], 0 offset:848
	s_waitcnt vmcnt(58) lgkmcnt(0)
	v_mul_f64 v[91:92], v[9:10], v[43:44]
	v_mul_f64 v[43:44], v[11:12], v[43:44]
	ds_read_b128 v[5:8], v56 offset:1504
	buffer_load_dword v102, off, s[0:3], 0 offset:868
	s_waitcnt vmcnt(57)
	v_fma_f64 v[23:24], v[1:2], v[33:34], -v[23:24]
	v_fma_f64 v[33:34], v[3:4], v[33:34], v[116:117]
	ds_read_b128 v[1:4], v56 offset:1520
	v_add_f64 v[13:14], v[13:14], v[37:38]
	v_add_f64 v[15:16], v[15:16], v[17:18]
	s_waitcnt vmcnt(53) lgkmcnt(1)
	v_mul_f64 v[17:18], v[5:6], v[29:30]
	v_mul_f64 v[29:30], v[7:8], v[29:30]
	s_waitcnt vmcnt(52)
	v_fma_f64 v[37:38], v[9:10], v[45:46], -v[43:44]
	v_add_f64 v[13:14], v[13:14], v[23:24]
	v_fma_f64 v[23:24], v[11:12], v[45:46], v[91:92]
	v_add_f64 v[15:16], v[15:16], v[33:34]
	ds_read_b128 v[9:12], v56 offset:1536
	s_waitcnt vmcnt(51) lgkmcnt(1)
	v_mul_f64 v[43:44], v[3:4], v[73:74]
	v_mul_f64 v[33:34], v[1:2], v[73:74]
	s_waitcnt vmcnt(49)
	v_fma_f64 v[29:30], v[5:6], v[31:32], -v[29:30]
	v_fma_f64 v[17:18], v[7:8], v[31:32], v[17:18]
	v_add_f64 v[13:14], v[13:14], v[37:38]
	v_add_f64 v[15:16], v[15:16], v[23:24]
	s_clause 0x3
	buffer_load_dword v23, off, s[0:3], 0 offset:208
	buffer_load_dword v24, off, s[0:3], 0 offset:212
	;; [unrolled: 1-line block ×4, first 2 shown]
	ds_read_b128 v[5:8], v56 offset:1552
	s_waitcnt vmcnt(49) lgkmcnt(1)
	v_mul_f64 v[37:38], v[9:10], v[35:36]
	v_mul_f64 v[35:36], v[11:12], v[35:36]
	s_waitcnt vmcnt(48)
	v_fma_f64 v[43:44], v[1:2], v[75:76], -v[43:44]
	v_add_f64 v[13:14], v[13:14], v[29:30]
	v_fma_f64 v[29:30], v[3:4], v[75:76], v[33:34]
	v_add_f64 v[15:16], v[15:16], v[17:18]
	ds_read_b128 v[1:4], v56 offset:1568
	s_waitcnt vmcnt(47) lgkmcnt(1)
	v_mul_f64 v[33:34], v[7:8], v[83:84]
	v_mul_f64 v[17:18], v[5:6], v[83:84]
	s_waitcnt vmcnt(45)
	v_fma_f64 v[35:36], v[9:10], v[39:40], -v[35:36]
	v_fma_f64 v[37:38], v[11:12], v[39:40], v[37:38]
	ds_read_b128 v[9:12], v56 offset:1584
	v_add_f64 v[13:14], v[13:14], v[43:44]
	v_add_f64 v[15:16], v[15:16], v[29:30]
	s_waitcnt vmcnt(41) lgkmcnt(1)
	v_mul_f64 v[39:40], v[3:4], v[41:42]
	s_waitcnt vmcnt(40)
	v_fma_f64 v[33:34], v[5:6], v[85:86], -v[33:34]
	v_mul_f64 v[29:30], v[1:2], v[41:42]
	v_fma_f64 v[17:18], v[7:8], v[85:86], v[17:18]
	ds_read_b128 v[5:8], v56 offset:1600
	v_add_f64 v[13:14], v[13:14], v[35:36]
	v_add_f64 v[15:16], v[15:16], v[37:38]
	s_waitcnt vmcnt(39) lgkmcnt(1)
	v_mul_f64 v[37:38], v[11:12], v[103:104]
	v_mul_f64 v[35:36], v[9:10], v[103:104]
	s_waitcnt vmcnt(37)
	v_fma_f64 v[39:40], v[1:2], v[65:66], -v[39:40]
	v_fma_f64 v[29:30], v[3:4], v[65:66], v[29:30]
	ds_read_b128 v[1:4], v56 offset:1616
	v_add_f64 v[13:14], v[13:14], v[33:34]
	v_add_f64 v[15:16], v[15:16], v[17:18]
	s_waitcnt vmcnt(33) lgkmcnt(1)
	v_mul_f64 v[33:34], v[7:8], v[67:68]
	s_waitcnt vmcnt(32)
	v_fma_f64 v[37:38], v[9:10], v[107:108], -v[37:38]
	v_mul_f64 v[17:18], v[5:6], v[67:68]
	v_fma_f64 v[35:36], v[11:12], v[107:108], v[35:36]
	ds_read_b128 v[9:12], v56 offset:1632
	v_add_f64 v[13:14], v[13:14], v[39:40]
	v_add_f64 v[15:16], v[15:16], v[29:30]
	;; [unrolled: 18-line block ×3, first 2 shown]
	s_waitcnt vmcnt(23) lgkmcnt(1)
	v_mul_f64 v[33:34], v[7:8], v[105:106]
	v_mul_f64 v[17:18], v[5:6], v[105:106]
	s_waitcnt vmcnt(21)
	v_fma_f64 v[37:38], v[9:10], v[19:20], -v[37:38]
	v_fma_f64 v[19:20], v[11:12], v[19:20], v[35:36]
	ds_read_b128 v[9:12], v56 offset:1680
	v_add_f64 v[13:14], v[13:14], v[39:40]
	v_add_f64 v[15:16], v[15:16], v[29:30]
	s_waitcnt vmcnt(17) lgkmcnt(1)
	v_mul_f64 v[29:30], v[1:2], v[25:26]
	v_mul_f64 v[25:26], v[3:4], v[25:26]
	s_waitcnt vmcnt(16)
	v_fma_f64 v[33:34], v[5:6], v[109:110], -v[33:34]
	v_fma_f64 v[17:18], v[7:8], v[109:110], v[17:18]
	ds_read_b128 v[5:8], v56 offset:1696
	v_add_f64 v[13:14], v[13:14], v[37:38]
	v_add_f64 v[15:16], v[15:16], v[19:20]
	;; [unrolled: 9-line block ×3, first 2 shown]
	s_waitcnt vmcnt(9) lgkmcnt(1)
	v_mul_f64 v[29:30], v[7:8], v[87:88]
	s_waitcnt vmcnt(8)
	v_fma_f64 v[9:10], v[9:10], v[114:115], -v[35:36]
	v_mul_f64 v[17:18], v[5:6], v[87:88]
	v_fma_f64 v[11:12], v[11:12], v[114:115], v[19:20]
	v_add_f64 v[13:14], v[13:14], v[25:26]
	v_add_f64 v[15:16], v[15:16], v[21:22]
	s_waitcnt vmcnt(7) lgkmcnt(0)
	v_mul_f64 v[21:22], v[3:4], v[89:90]
	v_mul_f64 v[19:20], v[1:2], v[89:90]
	s_waitcnt vmcnt(5)
	v_fma_f64 v[5:6], v[5:6], v[27:28], -v[29:30]
	v_fma_f64 v[7:8], v[7:8], v[27:28], v[17:18]
	v_add_f64 v[9:10], v[13:14], v[9:10]
	v_add_f64 v[11:12], v[15:16], v[11:12]
	s_waitcnt vmcnt(4)
	v_fma_f64 v[1:2], v[1:2], v[101:102], -v[21:22]
	v_fma_f64 v[3:4], v[3:4], v[101:102], v[19:20]
	v_add_f64 v[5:6], v[9:10], v[5:6]
	v_add_f64 v[7:8], v[11:12], v[7:8]
	;; [unrolled: 1-line block ×4, first 2 shown]
	s_waitcnt vmcnt(2)
	v_add_f64 v[1:2], v[23:24], -v[1:2]
	s_waitcnt vmcnt(0)
	v_add_f64 v[3:4], v[31:32], -v[3:4]
	buffer_store_dword v2, off, s[0:3], 0 offset:212
	buffer_store_dword v1, off, s[0:3], 0 offset:208
	;; [unrolled: 1-line block ×4, first 2 shown]
	v_cmpx_lt_u32_e32 11, v0
	s_cbranch_execz .LBB53_315
; %bb.314:
	v_mov_b32_e32 v4, s55
	s_clause 0x3
	buffer_load_dword v1, v4, s[0:3], 0 offen
	buffer_load_dword v2, v4, s[0:3], 0 offen offset:4
	buffer_load_dword v3, v4, s[0:3], 0 offen offset:8
	;; [unrolled: 1-line block ×3, first 2 shown]
	buffer_store_dword v56, off, s[0:3], 0 offset:192
	buffer_store_dword v56, off, s[0:3], 0 offset:196
	buffer_store_dword v56, off, s[0:3], 0 offset:200
	buffer_store_dword v56, off, s[0:3], 0 offset:204
	s_waitcnt vmcnt(0)
	ds_write_b128 v47, v[1:4]
.LBB53_315:
	s_or_b32 exec_lo, exec_lo, s4
	s_waitcnt lgkmcnt(0)
	s_waitcnt_vscnt null, 0x0
	s_barrier
	buffer_gl0_inv
	s_clause 0x37
	buffer_load_dword v9, off, s[0:3], 0 offset:216
	buffer_load_dword v10, off, s[0:3], 0 offset:220
	;; [unrolled: 1-line block ×56, first 2 shown]
	ds_read_b128 v[87:90], v56 offset:1056
	s_clause 0x2
	buffer_load_dword v84, off, s[0:3], 0 offset:444
	buffer_load_dword v86, off, s[0:3], 0 offset:420
	;; [unrolled: 1-line block ×3, first 2 shown]
	ds_read_b128 v[91:94], v56 offset:1072
	s_clause 0x4
	buffer_load_dword v102, off, s[0:3], 0 offset:460
	buffer_load_dword v103, off, s[0:3], 0 offset:472
	;; [unrolled: 1-line block ×5, first 2 shown]
	ds_read_b128 v[95:98], v56 offset:1088
	s_clause 0x2
	buffer_load_dword v104, off, s[0:3], 0 offset:476
	buffer_load_dword v109, off, s[0:3], 0 offset:452
	;; [unrolled: 1-line block ×3, first 2 shown]
	s_mov_b32 s4, exec_lo
	s_waitcnt vmcnt(62) lgkmcnt(2)
	v_mul_f64 v[99:100], v[89:90], v[9:10]
	v_mul_f64 v[9:10], v[87:88], v[9:10]
	s_waitcnt lgkmcnt(1)
	v_mul_f64 v[106:107], v[93:94], v[5:6]
	s_waitcnt vmcnt(59) lgkmcnt(0)
	v_mul_f64 v[110:111], v[97:98], v[3:4]
	v_fma_f64 v[87:88], v[87:88], v[7:8], -v[99:100]
	v_mul_f64 v[99:100], v[91:92], v[5:6]
	v_fma_f64 v[9:10], v[89:90], v[7:8], v[9:10]
	s_waitcnt vmcnt(57)
	v_fma_f64 v[91:92], v[91:92], v[1:2], -v[106:107]
	ds_read_b128 v[5:8], v56 offset:1104
	v_mul_f64 v[89:90], v[95:96], v[3:4]
	s_waitcnt vmcnt(51)
	v_fma_f64 v[95:96], v[95:96], v[25:26], -v[110:111]
	v_add_f64 v[87:88], v[87:88], 0
	v_fma_f64 v[93:94], v[93:94], v[1:2], v[99:100]
	v_add_f64 v[9:10], v[9:10], 0
	s_clause 0x4
	buffer_load_dword v100, off, s[0:3], 0 offset:492
	buffer_load_dword v112, off, s[0:3], 0 offset:504
	;; [unrolled: 1-line block ×5, first 2 shown]
	s_waitcnt lgkmcnt(0)
	v_mul_f64 v[115:116], v[5:6], v[13:14]
	v_mul_f64 v[13:14], v[7:8], v[13:14]
	ds_read_b128 v[1:4], v56 offset:1120
	v_fma_f64 v[25:26], v[97:98], v[25:26], v[89:90]
	v_add_f64 v[91:92], v[87:88], v[91:92]
	v_add_f64 v[9:10], v[9:10], v[93:94]
	s_clause 0x2
	buffer_load_dword v113, off, s[0:3], 0 offset:508
	buffer_load_dword v94, off, s[0:3], 0 offset:484
	;; [unrolled: 1-line block ×3, first 2 shown]
	s_waitcnt vmcnt(58) lgkmcnt(0)
	v_mul_f64 v[97:98], v[1:2], v[17:18]
	v_mul_f64 v[17:18], v[3:4], v[17:18]
	s_waitcnt vmcnt(56)
	v_fma_f64 v[13:14], v[5:6], v[19:20], -v[13:14]
	ds_read_b128 v[87:90], v56 offset:1136
	v_fma_f64 v[19:20], v[7:8], v[19:20], v[115:116]
	v_add_f64 v[91:92], v[91:92], v[95:96]
	v_add_f64 v[9:10], v[9:10], v[25:26]
	s_clause 0x4
	buffer_load_dword v26, off, s[0:3], 0 offset:524
	buffer_load_dword v95, off, s[0:3], 0 offset:536
	;; [unrolled: 1-line block ×5, first 2 shown]
	ds_read_b128 v[5:8], v56 offset:1152
	s_waitcnt vmcnt(57) lgkmcnt(1)
	v_mul_f64 v[116:117], v[87:88], v[21:22]
	v_mul_f64 v[21:22], v[89:90], v[21:22]
	s_waitcnt vmcnt(56)
	v_fma_f64 v[17:18], v[1:2], v[11:12], -v[17:18]
	v_fma_f64 v[11:12], v[3:4], v[11:12], v[97:98]
	v_add_f64 v[13:14], v[91:92], v[13:14]
	v_add_f64 v[9:10], v[9:10], v[19:20]
	s_clause 0x2
	buffer_load_dword v96, off, s[0:3], 0 offset:540
	buffer_load_dword v20, off, s[0:3], 0 offset:516
	;; [unrolled: 1-line block ×3, first 2 shown]
	s_waitcnt vmcnt(58) lgkmcnt(0)
	v_mul_f64 v[91:92], v[5:6], v[27:28]
	v_mul_f64 v[27:28], v[7:8], v[27:28]
	s_waitcnt vmcnt(56)
	v_fma_f64 v[21:22], v[87:88], v[29:30], -v[21:22]
	ds_read_b128 v[1:4], v56 offset:1168
	v_add_f64 v[13:14], v[13:14], v[17:18]
	v_fma_f64 v[17:18], v[89:90], v[29:30], v[116:117]
	v_add_f64 v[29:30], v[9:10], v[11:12]
	s_clause 0x4
	buffer_load_dword v88, off, s[0:3], 0 offset:556
	buffer_load_dword v89, off, s[0:3], 0 offset:568
	;; [unrolled: 1-line block ×5, first 2 shown]
	ds_read_b128 v[9:12], v56 offset:1184
	s_waitcnt vmcnt(57) lgkmcnt(1)
	v_mul_f64 v[116:117], v[1:2], v[31:32]
	v_mul_f64 v[31:32], v[3:4], v[31:32]
	s_waitcnt vmcnt(56)
	v_fma_f64 v[27:28], v[5:6], v[15:16], -v[27:28]
	v_fma_f64 v[15:16], v[7:8], v[15:16], v[91:92]
	v_add_f64 v[13:14], v[13:14], v[21:22]
	s_clause 0x2
	buffer_load_dword v90, off, s[0:3], 0 offset:572
	buffer_load_dword v22, off, s[0:3], 0 offset:548
	;; [unrolled: 1-line block ×3, first 2 shown]
	v_add_f64 v[17:18], v[29:30], v[17:18]
	s_waitcnt vmcnt(58) lgkmcnt(0)
	v_mul_f64 v[29:30], v[9:10], v[35:36]
	v_mul_f64 v[35:36], v[11:12], v[35:36]
	ds_read_b128 v[5:8], v56 offset:1200
	s_waitcnt vmcnt(56)
	v_fma_f64 v[31:32], v[1:2], v[37:38], -v[31:32]
	v_add_f64 v[13:14], v[13:14], v[27:28]
	v_fma_f64 v[27:28], v[3:4], v[37:38], v[116:117]
	v_add_f64 v[15:16], v[17:18], v[15:16]
	s_clause 0x4
	buffer_load_dword v18, off, s[0:3], 0 offset:588
	buffer_load_dword v37, off, s[0:3], 0 offset:600
	;; [unrolled: 1-line block ×5, first 2 shown]
	s_waitcnt vmcnt(57) lgkmcnt(0)
	v_mul_f64 v[116:117], v[5:6], v[39:40]
	v_mul_f64 v[39:40], v[7:8], v[39:40]
	s_waitcnt vmcnt(56)
	v_fma_f64 v[35:36], v[9:10], v[23:24], -v[35:36]
	ds_read_b128 v[1:4], v56 offset:1216
	v_fma_f64 v[23:24], v[11:12], v[23:24], v[29:30]
	v_add_f64 v[13:14], v[13:14], v[31:32]
	v_add_f64 v[15:16], v[15:16], v[27:28]
	s_clause 0x2
	buffer_load_dword v38, off, s[0:3], 0 offset:604
	buffer_load_dword v28, off, s[0:3], 0 offset:580
	;; [unrolled: 1-line block ×3, first 2 shown]
	ds_read_b128 v[9:12], v56 offset:1232
	s_waitcnt vmcnt(58) lgkmcnt(1)
	v_mul_f64 v[31:32], v[3:4], v[43:44]
	s_waitcnt vmcnt(56)
	v_fma_f64 v[39:40], v[5:6], v[45:46], -v[39:40]
	v_mul_f64 v[29:30], v[1:2], v[43:44]
	v_add_f64 v[13:14], v[13:14], v[35:36]
	v_fma_f64 v[35:36], v[7:8], v[45:46], v[116:117]
	v_add_f64 v[15:16], v[15:16], v[23:24]
	s_clause 0x4
	buffer_load_dword v24, off, s[0:3], 0 offset:620
	buffer_load_dword v43, off, s[0:3], 0 offset:632
	;; [unrolled: 1-line block ×5, first 2 shown]
	s_waitcnt vmcnt(57) lgkmcnt(0)
	v_mul_f64 v[116:117], v[9:10], v[65:66]
	v_mul_f64 v[65:66], v[11:12], v[65:66]
	s_waitcnt vmcnt(56)
	v_fma_f64 v[31:32], v[1:2], v[33:34], -v[31:32]
	ds_read_b128 v[5:8], v56 offset:1248
	v_fma_f64 v[29:30], v[3:4], v[33:34], v[29:30]
	s_clause 0x2
	buffer_load_dword v44, off, s[0:3], 0 offset:636
	buffer_load_dword v34, off, s[0:3], 0 offset:612
	;; [unrolled: 1-line block ×3, first 2 shown]
	ds_read_b128 v[1:4], v56 offset:1264
	v_add_f64 v[13:14], v[13:14], v[39:40]
	v_add_f64 v[15:16], v[15:16], v[35:36]
	s_waitcnt vmcnt(58) lgkmcnt(1)
	v_mul_f64 v[39:40], v[7:8], v[73:74]
	s_waitcnt vmcnt(56)
	v_fma_f64 v[65:66], v[9:10], v[75:76], -v[65:66]
	v_mul_f64 v[35:36], v[5:6], v[73:74]
	v_add_f64 v[13:14], v[13:14], v[31:32]
	v_fma_f64 v[31:32], v[11:12], v[75:76], v[116:117]
	v_add_f64 v[15:16], v[15:16], v[29:30]
	s_clause 0x4
	buffer_load_dword v30, off, s[0:3], 0 offset:652
	buffer_load_dword v73, off, s[0:3], 0 offset:664
	;; [unrolled: 1-line block ×5, first 2 shown]
	s_waitcnt vmcnt(57) lgkmcnt(0)
	v_mul_f64 v[116:117], v[1:2], v[81:82]
	v_mul_f64 v[81:82], v[3:4], v[81:82]
	s_waitcnt vmcnt(56)
	v_fma_f64 v[39:40], v[5:6], v[41:42], -v[39:40]
	ds_read_b128 v[9:12], v56 offset:1280
	v_fma_f64 v[35:36], v[7:8], v[41:42], v[35:36]
	v_add_f64 v[13:14], v[13:14], v[65:66]
	v_add_f64 v[15:16], v[15:16], v[31:32]
	s_clause 0x2
	buffer_load_dword v74, off, s[0:3], 0 offset:668
	buffer_load_dword v32, off, s[0:3], 0 offset:644
	;; [unrolled: 1-line block ×3, first 2 shown]
	ds_read_b128 v[5:8], v56 offset:1296
	s_waitcnt vmcnt(58) lgkmcnt(1)
	v_mul_f64 v[65:66], v[11:12], v[83:84]
	s_waitcnt vmcnt(56)
	v_fma_f64 v[81:82], v[1:2], v[85:86], -v[81:82]
	v_mul_f64 v[41:42], v[9:10], v[83:84]
	v_add_f64 v[13:14], v[13:14], v[39:40]
	v_fma_f64 v[39:40], v[3:4], v[85:86], v[116:117]
	v_add_f64 v[15:16], v[15:16], v[35:36]
	s_clause 0x4
	buffer_load_dword v36, off, s[0:3], 0 offset:684
	buffer_load_dword v83, off, s[0:3], 0 offset:696
	;; [unrolled: 1-line block ×5, first 2 shown]
	s_waitcnt vmcnt(57) lgkmcnt(0)
	v_mul_f64 v[116:117], v[5:6], v[101:102]
	v_mul_f64 v[101:102], v[7:8], v[101:102]
	s_waitcnt vmcnt(56)
	v_fma_f64 v[65:66], v[9:10], v[67:68], -v[65:66]
	ds_read_b128 v[1:4], v56 offset:1312
	v_fma_f64 v[41:42], v[11:12], v[67:68], v[41:42]
	v_add_f64 v[13:14], v[13:14], v[81:82]
	v_add_f64 v[15:16], v[15:16], v[39:40]
	s_clause 0x2
	buffer_load_dword v84, off, s[0:3], 0 offset:700
	buffer_load_dword v40, off, s[0:3], 0 offset:676
	buffer_load_dword v39, off, s[0:3], 0 offset:672
	ds_read_b128 v[9:12], v56 offset:1328
	s_waitcnt vmcnt(58) lgkmcnt(1)
	v_mul_f64 v[81:82], v[3:4], v[103:104]
	s_waitcnt vmcnt(56)
	v_fma_f64 v[101:102], v[5:6], v[108:109], -v[101:102]
	v_mul_f64 v[67:68], v[1:2], v[103:104]
	v_add_f64 v[13:14], v[13:14], v[65:66]
	v_fma_f64 v[65:66], v[7:8], v[108:109], v[116:117]
	v_add_f64 v[15:16], v[15:16], v[41:42]
	s_clause 0x4
	buffer_load_dword v42, off, s[0:3], 0 offset:716
	buffer_load_dword v103, off, s[0:3], 0 offset:728
	;; [unrolled: 1-line block ×5, first 2 shown]
	ds_read_b128 v[5:8], v56 offset:1344
	s_waitcnt vmcnt(57) lgkmcnt(1)
	v_mul_f64 v[108:109], v[9:10], v[99:100]
	v_mul_f64 v[99:100], v[11:12], v[99:100]
	s_waitcnt vmcnt(56)
	v_fma_f64 v[81:82], v[1:2], v[105:106], -v[81:82]
	v_fma_f64 v[67:68], v[3:4], v[105:106], v[67:68]
	v_add_f64 v[13:14], v[13:14], v[101:102]
	v_add_f64 v[15:16], v[15:16], v[65:66]
	s_clause 0x2
	buffer_load_dword v104, off, s[0:3], 0 offset:732
	buffer_load_dword v66, off, s[0:3], 0 offset:708
	;; [unrolled: 1-line block ×3, first 2 shown]
	ds_read_b128 v[1:4], v56 offset:1360
	s_waitcnt vmcnt(58) lgkmcnt(1)
	v_mul_f64 v[105:106], v[7:8], v[112:113]
	v_mul_f64 v[101:102], v[5:6], v[112:113]
	s_waitcnt vmcnt(56)
	v_fma_f64 v[99:100], v[9:10], v[93:94], -v[99:100]
	v_add_f64 v[13:14], v[13:14], v[81:82]
	v_fma_f64 v[81:82], v[11:12], v[93:94], v[108:109]
	v_add_f64 v[15:16], v[15:16], v[67:68]
	s_clause 0x4
	buffer_load_dword v68, off, s[0:3], 0 offset:748
	buffer_load_dword v93, off, s[0:3], 0 offset:760
	buffer_load_dword v112, off, s[0:3], 0 offset:752
	buffer_load_dword v67, off, s[0:3], 0 offset:744
	buffer_load_dword v108, off, s[0:3], 0 offset:724
	ds_read_b128 v[9:12], v56 offset:1376
	s_waitcnt vmcnt(57) lgkmcnt(1)
	v_mul_f64 v[116:117], v[1:2], v[25:26]
	v_mul_f64 v[25:26], v[3:4], v[25:26]
	s_waitcnt vmcnt(56)
	v_fma_f64 v[105:106], v[5:6], v[114:115], -v[105:106]
	v_add_f64 v[13:14], v[13:14], v[99:100]
	v_fma_f64 v[99:100], v[7:8], v[114:115], v[101:102]
	v_add_f64 v[15:16], v[15:16], v[81:82]
	s_clause 0x2
	buffer_load_dword v94, off, s[0:3], 0 offset:764
	buffer_load_dword v82, off, s[0:3], 0 offset:740
	buffer_load_dword v81, off, s[0:3], 0 offset:736
	ds_read_b128 v[5:8], v56 offset:1392
	s_waitcnt vmcnt(58) lgkmcnt(1)
	v_mul_f64 v[101:102], v[9:10], v[95:96]
	v_mul_f64 v[95:96], v[11:12], v[95:96]
	s_waitcnt vmcnt(56)
	v_fma_f64 v[25:26], v[1:2], v[19:20], -v[25:26]
	v_fma_f64 v[19:20], v[3:4], v[19:20], v[116:117]
	v_add_f64 v[13:14], v[13:14], v[105:106]
	v_add_f64 v[15:16], v[15:16], v[99:100]
	s_clause 0x4
	buffer_load_dword v100, off, s[0:3], 0 offset:780
	buffer_load_dword v105, off, s[0:3], 0 offset:792
	buffer_load_dword v109, off, s[0:3], 0 offset:784
	buffer_load_dword v99, off, s[0:3], 0 offset:776
	buffer_load_dword v113, off, s[0:3], 0 offset:756
	ds_read_b128 v[1:4], v56 offset:1408
	s_waitcnt vmcnt(57) lgkmcnt(1)
	v_mul_f64 v[114:115], v[5:6], v[87:88]
	v_mul_f64 v[87:88], v[7:8], v[87:88]
	s_waitcnt vmcnt(56)
	v_fma_f64 v[95:96], v[9:10], v[110:111], -v[95:96]
	v_add_f64 v[13:14], v[13:14], v[25:26]
	v_fma_f64 v[25:26], v[11:12], v[110:111], v[101:102]
	v_add_f64 v[15:16], v[15:16], v[19:20]
	s_clause 0x2
	buffer_load_dword v106, off, s[0:3], 0 offset:796
	buffer_load_dword v20, off, s[0:3], 0 offset:772
	buffer_load_dword v19, off, s[0:3], 0 offset:768
	ds_read_b128 v[9:12], v56 offset:1424
	s_waitcnt vmcnt(58) lgkmcnt(1)
	v_mul_f64 v[101:102], v[1:2], v[89:90]
	v_mul_f64 v[89:90], v[3:4], v[89:90]
	s_waitcnt vmcnt(56)
	v_fma_f64 v[87:88], v[5:6], v[21:22], -v[87:88]
	v_fma_f64 v[21:22], v[7:8], v[21:22], v[114:115]
	v_add_f64 v[13:14], v[13:14], v[95:96]
	;; [unrolled: 28-line block ×3, first 2 shown]
	v_add_f64 v[15:16], v[15:16], v[87:88]
	s_clause 0x4
	buffer_load_dword v88, off, s[0:3], 0 offset:844
	buffer_load_dword v89, off, s[0:3], 0 offset:856
	;; [unrolled: 1-line block ×5, first 2 shown]
	ds_read_b128 v[9:12], v56 offset:1472
	s_waitcnt vmcnt(57) lgkmcnt(1)
	v_mul_f64 v[116:117], v[1:2], v[23:24]
	v_mul_f64 v[23:24], v[3:4], v[23:24]
	s_waitcnt vmcnt(56)
	v_fma_f64 v[37:38], v[5:6], v[91:92], -v[37:38]
	v_add_f64 v[13:14], v[13:14], v[17:18]
	v_fma_f64 v[17:18], v[7:8], v[91:92], v[97:98]
	v_add_f64 v[15:16], v[15:16], v[27:28]
	s_clause 0x2
	buffer_load_dword v90, off, s[0:3], 0 offset:860
	buffer_load_dword v28, off, s[0:3], 0 offset:836
	;; [unrolled: 1-line block ×3, first 2 shown]
	s_waitcnt vmcnt(58) lgkmcnt(0)
	v_mul_f64 v[91:92], v[9:10], v[43:44]
	v_mul_f64 v[43:44], v[11:12], v[43:44]
	ds_read_b128 v[5:8], v56 offset:1488
	s_waitcnt vmcnt(56)
	v_fma_f64 v[23:24], v[1:2], v[33:34], -v[23:24]
	v_fma_f64 v[33:34], v[3:4], v[33:34], v[116:117]
	v_add_f64 v[13:14], v[13:14], v[37:38]
	v_add_f64 v[15:16], v[15:16], v[17:18]
	s_clause 0x2
	buffer_load_dword v18, off, s[0:3], 0 offset:876
	buffer_load_dword v17, off, s[0:3], 0 offset:872
	;; [unrolled: 1-line block ×3, first 2 shown]
	ds_read_b128 v[1:4], v56 offset:1504
	s_waitcnt vmcnt(55) lgkmcnt(1)
	v_mul_f64 v[37:38], v[5:6], v[29:30]
	v_mul_f64 v[29:30], v[7:8], v[29:30]
	s_waitcnt vmcnt(54)
	v_fma_f64 v[43:44], v[9:10], v[45:46], -v[43:44]
	v_add_f64 v[13:14], v[13:14], v[23:24]
	v_fma_f64 v[23:24], v[11:12], v[45:46], v[91:92]
	v_add_f64 v[15:16], v[15:16], v[33:34]
	s_clause 0x1
	buffer_load_dword v34, off, s[0:3], 0 offset:868
	buffer_load_dword v33, off, s[0:3], 0 offset:864
	ds_read_b128 v[9:12], v56 offset:1520
	s_waitcnt vmcnt(55) lgkmcnt(1)
	v_mul_f64 v[45:46], v[1:2], v[73:74]
	v_mul_f64 v[73:74], v[3:4], v[73:74]
	s_waitcnt vmcnt(53)
	v_fma_f64 v[29:30], v[5:6], v[31:32], -v[29:30]
	v_fma_f64 v[31:32], v[7:8], v[31:32], v[37:38]
	ds_read_b128 v[5:8], v56 offset:1536
	v_add_f64 v[13:14], v[13:14], v[43:44]
	v_add_f64 v[15:16], v[15:16], v[23:24]
	s_waitcnt vmcnt(49) lgkmcnt(1)
	v_mul_f64 v[23:24], v[9:10], v[35:36]
	v_mul_f64 v[35:36], v[11:12], v[35:36]
	s_waitcnt vmcnt(48)
	v_fma_f64 v[37:38], v[1:2], v[75:76], -v[73:74]
	v_add_f64 v[13:14], v[13:14], v[29:30]
	v_fma_f64 v[29:30], v[3:4], v[75:76], v[45:46]
	v_add_f64 v[15:16], v[15:16], v[31:32]
	s_clause 0x3
	buffer_load_dword v31, off, s[0:3], 0 offset:192
	buffer_load_dword v32, off, s[0:3], 0 offset:196
	;; [unrolled: 1-line block ×4, first 2 shown]
	ds_read_b128 v[1:4], v56 offset:1552
	s_waitcnt vmcnt(51) lgkmcnt(1)
	v_mul_f64 v[73:74], v[7:8], v[83:84]
	v_mul_f64 v[45:46], v[5:6], v[83:84]
	s_waitcnt vmcnt(49)
	v_fma_f64 v[35:36], v[9:10], v[39:40], -v[35:36]
	v_fma_f64 v[23:24], v[11:12], v[39:40], v[23:24]
	ds_read_b128 v[9:12], v56 offset:1568
	v_add_f64 v[13:14], v[13:14], v[37:38]
	v_add_f64 v[15:16], v[15:16], v[29:30]
	s_waitcnt vmcnt(45) lgkmcnt(1)
	v_mul_f64 v[37:38], v[3:4], v[41:42]
	s_waitcnt vmcnt(44)
	v_fma_f64 v[39:40], v[5:6], v[85:86], -v[73:74]
	v_mul_f64 v[29:30], v[1:2], v[41:42]
	v_add_f64 v[13:14], v[13:14], v[35:36]
	v_fma_f64 v[35:36], v[7:8], v[85:86], v[45:46]
	v_add_f64 v[15:16], v[15:16], v[23:24]
	ds_read_b128 v[5:8], v56 offset:1584
	s_waitcnt vmcnt(43) lgkmcnt(1)
	v_mul_f64 v[41:42], v[11:12], v[103:104]
	v_mul_f64 v[23:24], v[9:10], v[103:104]
	s_waitcnt vmcnt(41)
	v_fma_f64 v[37:38], v[1:2], v[65:66], -v[37:38]
	v_fma_f64 v[29:30], v[3:4], v[65:66], v[29:30]
	ds_read_b128 v[1:4], v56 offset:1600
	v_add_f64 v[13:14], v[13:14], v[39:40]
	v_add_f64 v[15:16], v[15:16], v[35:36]
	s_waitcnt vmcnt(37) lgkmcnt(1)
	v_mul_f64 v[39:40], v[7:8], v[67:68]
	s_waitcnt vmcnt(36)
	v_fma_f64 v[41:42], v[9:10], v[107:108], -v[41:42]
	v_mul_f64 v[35:36], v[5:6], v[67:68]
	v_fma_f64 v[23:24], v[11:12], v[107:108], v[23:24]
	ds_read_b128 v[9:12], v56 offset:1616
	v_add_f64 v[13:14], v[13:14], v[37:38]
	v_add_f64 v[15:16], v[15:16], v[29:30]
	s_waitcnt vmcnt(35) lgkmcnt(1)
	v_mul_f64 v[37:38], v[3:4], v[93:94]
	v_mul_f64 v[29:30], v[1:2], v[93:94]
	s_waitcnt vmcnt(33)
	v_fma_f64 v[39:40], v[5:6], v[81:82], -v[39:40]
	v_fma_f64 v[35:36], v[7:8], v[81:82], v[35:36]
	ds_read_b128 v[5:8], v56 offset:1632
	v_add_f64 v[13:14], v[13:14], v[41:42]
	v_add_f64 v[15:16], v[15:16], v[23:24]
	s_waitcnt vmcnt(29) lgkmcnt(1)
	v_mul_f64 v[41:42], v[11:12], v[99:100]
	s_waitcnt vmcnt(28)
	v_fma_f64 v[37:38], v[1:2], v[112:113], -v[37:38]
	v_mul_f64 v[23:24], v[9:10], v[99:100]
	v_fma_f64 v[29:30], v[3:4], v[112:113], v[29:30]
	ds_read_b128 v[1:4], v56 offset:1648
	v_add_f64 v[13:14], v[13:14], v[39:40]
	v_add_f64 v[15:16], v[15:16], v[35:36]
	s_waitcnt vmcnt(27) lgkmcnt(1)
	v_mul_f64 v[39:40], v[7:8], v[105:106]
	v_mul_f64 v[35:36], v[5:6], v[105:106]
	s_waitcnt vmcnt(25)
	v_fma_f64 v[41:42], v[9:10], v[19:20], -v[41:42]
	v_fma_f64 v[19:20], v[11:12], v[19:20], v[23:24]
	ds_read_b128 v[9:12], v56 offset:1664
	v_add_f64 v[13:14], v[13:14], v[37:38]
	v_add_f64 v[15:16], v[15:16], v[29:30]
	s_waitcnt vmcnt(21) lgkmcnt(1)
	v_mul_f64 v[23:24], v[1:2], v[25:26]
	v_mul_f64 v[25:26], v[3:4], v[25:26]
	s_waitcnt vmcnt(20)
	v_fma_f64 v[29:30], v[5:6], v[109:110], -v[39:40]
	;; [unrolled: 9-line block ×3, first 2 shown]
	v_fma_f64 v[21:22], v[3:4], v[21:22], v[23:24]
	ds_read_b128 v[1:4], v56 offset:1696
	v_add_f64 v[13:14], v[13:14], v[29:30]
	v_add_f64 v[15:16], v[15:16], v[35:36]
	s_waitcnt vmcnt(13) lgkmcnt(1)
	v_mul_f64 v[29:30], v[7:8], v[87:88]
	s_waitcnt vmcnt(12)
	v_fma_f64 v[35:36], v[9:10], v[114:115], -v[37:38]
	v_mul_f64 v[23:24], v[5:6], v[87:88]
	v_fma_f64 v[19:20], v[11:12], v[114:115], v[19:20]
	ds_read_b128 v[9:12], v56 offset:1712
	v_add_f64 v[13:14], v[13:14], v[25:26]
	v_add_f64 v[15:16], v[15:16], v[21:22]
	s_waitcnt vmcnt(11) lgkmcnt(1)
	v_mul_f64 v[25:26], v[3:4], v[89:90]
	v_mul_f64 v[21:22], v[1:2], v[89:90]
	s_waitcnt vmcnt(9)
	v_fma_f64 v[5:6], v[5:6], v[27:28], -v[29:30]
	v_fma_f64 v[7:8], v[7:8], v[27:28], v[23:24]
	v_add_f64 v[13:14], v[13:14], v[35:36]
	v_add_f64 v[15:16], v[15:16], v[19:20]
	s_waitcnt vmcnt(7) lgkmcnt(0)
	v_mul_f64 v[19:20], v[9:10], v[17:18]
	v_mul_f64 v[17:18], v[11:12], v[17:18]
	s_waitcnt vmcnt(6)
	v_fma_f64 v[1:2], v[1:2], v[101:102], -v[25:26]
	v_fma_f64 v[3:4], v[3:4], v[101:102], v[21:22]
	v_add_f64 v[5:6], v[13:14], v[5:6]
	v_add_f64 v[7:8], v[15:16], v[7:8]
	s_waitcnt vmcnt(4)
	v_fma_f64 v[9:10], v[9:10], v[33:34], -v[17:18]
	v_add_f64 v[1:2], v[5:6], v[1:2]
	v_fma_f64 v[5:6], v[11:12], v[33:34], v[19:20]
	v_add_f64 v[3:4], v[7:8], v[3:4]
	v_add_f64 v[1:2], v[1:2], v[9:10]
	;; [unrolled: 1-line block ×3, first 2 shown]
	s_waitcnt vmcnt(2)
	v_add_f64 v[1:2], v[31:32], -v[1:2]
	s_waitcnt vmcnt(0)
	v_add_f64 v[3:4], v[43:44], -v[3:4]
	buffer_store_dword v2, off, s[0:3], 0 offset:196
	buffer_store_dword v1, off, s[0:3], 0 offset:192
	;; [unrolled: 1-line block ×4, first 2 shown]
	v_cmpx_lt_u32_e32 10, v0
	s_cbranch_execz .LBB53_317
; %bb.316:
	v_mov_b32_e32 v4, s56
	v_mov_b32_e32 v5, 0
	s_clause 0x3
	buffer_load_dword v1, v4, s[0:3], 0 offen
	buffer_load_dword v2, v4, s[0:3], 0 offen offset:4
	buffer_load_dword v3, v4, s[0:3], 0 offen offset:8
	;; [unrolled: 1-line block ×3, first 2 shown]
	buffer_store_dword v5, off, s[0:3], 0 offset:176
	buffer_store_dword v5, off, s[0:3], 0 offset:180
	;; [unrolled: 1-line block ×4, first 2 shown]
	s_waitcnt vmcnt(0)
	ds_write_b128 v47, v[1:4]
.LBB53_317:
	s_or_b32 exec_lo, exec_lo, s4
	s_waitcnt lgkmcnt(0)
	s_waitcnt_vscnt null, 0x0
	s_barrier
	buffer_gl0_inv
	s_clause 0x37
	buffer_load_dword v9, off, s[0:3], 0 offset:200
	buffer_load_dword v10, off, s[0:3], 0 offset:204
	;; [unrolled: 1-line block ×56, first 2 shown]
	v_mov_b32_e32 v56, 0
	s_mov_b32 s4, exec_lo
	ds_read_b128 v[87:90], v56 offset:1040
	s_clause 0x2
	buffer_load_dword v84, off, s[0:3], 0 offset:428
	buffer_load_dword v86, off, s[0:3], 0 offset:404
	buffer_load_dword v85, off, s[0:3], 0 offset:400
	ds_read_b128 v[91:94], v56 offset:1056
	s_clause 0x4
	buffer_load_dword v102, off, s[0:3], 0 offset:444
	buffer_load_dword v103, off, s[0:3], 0 offset:456
	;; [unrolled: 1-line block ×5, first 2 shown]
	ds_read_b128 v[95:98], v56 offset:1072
	s_clause 0x2
	buffer_load_dword v104, off, s[0:3], 0 offset:460
	buffer_load_dword v109, off, s[0:3], 0 offset:436
	;; [unrolled: 1-line block ×3, first 2 shown]
	s_waitcnt vmcnt(62) lgkmcnt(2)
	v_mul_f64 v[99:100], v[89:90], v[9:10]
	v_mul_f64 v[9:10], v[87:88], v[9:10]
	s_waitcnt lgkmcnt(1)
	v_mul_f64 v[106:107], v[93:94], v[5:6]
	s_waitcnt vmcnt(59) lgkmcnt(0)
	v_mul_f64 v[110:111], v[97:98], v[3:4]
	v_fma_f64 v[87:88], v[87:88], v[7:8], -v[99:100]
	v_mul_f64 v[99:100], v[91:92], v[5:6]
	v_fma_f64 v[9:10], v[89:90], v[7:8], v[9:10]
	s_waitcnt vmcnt(57)
	v_fma_f64 v[91:92], v[91:92], v[1:2], -v[106:107]
	ds_read_b128 v[5:8], v56 offset:1088
	v_mul_f64 v[89:90], v[95:96], v[3:4]
	s_waitcnt vmcnt(51)
	v_fma_f64 v[95:96], v[95:96], v[25:26], -v[110:111]
	v_add_f64 v[87:88], v[87:88], 0
	v_fma_f64 v[93:94], v[93:94], v[1:2], v[99:100]
	v_add_f64 v[9:10], v[9:10], 0
	s_clause 0x4
	buffer_load_dword v100, off, s[0:3], 0 offset:476
	buffer_load_dword v112, off, s[0:3], 0 offset:488
	;; [unrolled: 1-line block ×5, first 2 shown]
	s_waitcnt lgkmcnt(0)
	v_mul_f64 v[115:116], v[5:6], v[13:14]
	v_mul_f64 v[13:14], v[7:8], v[13:14]
	ds_read_b128 v[1:4], v56 offset:1104
	v_fma_f64 v[25:26], v[97:98], v[25:26], v[89:90]
	v_add_f64 v[91:92], v[87:88], v[91:92]
	v_add_f64 v[9:10], v[9:10], v[93:94]
	s_clause 0x2
	buffer_load_dword v113, off, s[0:3], 0 offset:492
	buffer_load_dword v94, off, s[0:3], 0 offset:468
	buffer_load_dword v93, off, s[0:3], 0 offset:464
	s_waitcnt vmcnt(58) lgkmcnt(0)
	v_mul_f64 v[97:98], v[1:2], v[17:18]
	v_mul_f64 v[17:18], v[3:4], v[17:18]
	s_waitcnt vmcnt(56)
	v_fma_f64 v[13:14], v[5:6], v[19:20], -v[13:14]
	ds_read_b128 v[87:90], v56 offset:1120
	v_fma_f64 v[19:20], v[7:8], v[19:20], v[115:116]
	v_add_f64 v[91:92], v[91:92], v[95:96]
	v_add_f64 v[9:10], v[9:10], v[25:26]
	s_clause 0x4
	buffer_load_dword v26, off, s[0:3], 0 offset:508
	buffer_load_dword v95, off, s[0:3], 0 offset:520
	;; [unrolled: 1-line block ×5, first 2 shown]
	ds_read_b128 v[5:8], v56 offset:1136
	s_waitcnt vmcnt(57) lgkmcnt(1)
	v_mul_f64 v[116:117], v[87:88], v[21:22]
	v_mul_f64 v[21:22], v[89:90], v[21:22]
	s_waitcnt vmcnt(56)
	v_fma_f64 v[17:18], v[1:2], v[11:12], -v[17:18]
	v_fma_f64 v[11:12], v[3:4], v[11:12], v[97:98]
	v_add_f64 v[13:14], v[91:92], v[13:14]
	v_add_f64 v[9:10], v[9:10], v[19:20]
	s_clause 0x2
	buffer_load_dword v96, off, s[0:3], 0 offset:524
	buffer_load_dword v20, off, s[0:3], 0 offset:500
	;; [unrolled: 1-line block ×3, first 2 shown]
	s_waitcnt vmcnt(58) lgkmcnt(0)
	v_mul_f64 v[91:92], v[5:6], v[27:28]
	v_mul_f64 v[27:28], v[7:8], v[27:28]
	s_waitcnt vmcnt(56)
	v_fma_f64 v[21:22], v[87:88], v[29:30], -v[21:22]
	ds_read_b128 v[1:4], v56 offset:1152
	v_add_f64 v[13:14], v[13:14], v[17:18]
	v_fma_f64 v[17:18], v[89:90], v[29:30], v[116:117]
	v_add_f64 v[29:30], v[9:10], v[11:12]
	s_clause 0x4
	buffer_load_dword v88, off, s[0:3], 0 offset:540
	buffer_load_dword v89, off, s[0:3], 0 offset:552
	;; [unrolled: 1-line block ×5, first 2 shown]
	ds_read_b128 v[9:12], v56 offset:1168
	s_waitcnt vmcnt(57) lgkmcnt(1)
	v_mul_f64 v[116:117], v[1:2], v[31:32]
	v_mul_f64 v[31:32], v[3:4], v[31:32]
	s_waitcnt vmcnt(56)
	v_fma_f64 v[27:28], v[5:6], v[15:16], -v[27:28]
	v_fma_f64 v[15:16], v[7:8], v[15:16], v[91:92]
	v_add_f64 v[13:14], v[13:14], v[21:22]
	s_clause 0x2
	buffer_load_dword v90, off, s[0:3], 0 offset:556
	buffer_load_dword v22, off, s[0:3], 0 offset:532
	;; [unrolled: 1-line block ×3, first 2 shown]
	v_add_f64 v[17:18], v[29:30], v[17:18]
	s_waitcnt vmcnt(58) lgkmcnt(0)
	v_mul_f64 v[29:30], v[9:10], v[35:36]
	v_mul_f64 v[35:36], v[11:12], v[35:36]
	ds_read_b128 v[5:8], v56 offset:1184
	s_waitcnt vmcnt(56)
	v_fma_f64 v[31:32], v[1:2], v[37:38], -v[31:32]
	v_add_f64 v[13:14], v[13:14], v[27:28]
	v_fma_f64 v[27:28], v[3:4], v[37:38], v[116:117]
	v_add_f64 v[15:16], v[17:18], v[15:16]
	s_clause 0x4
	buffer_load_dword v18, off, s[0:3], 0 offset:572
	buffer_load_dword v37, off, s[0:3], 0 offset:584
	buffer_load_dword v91, off, s[0:3], 0 offset:576
	buffer_load_dword v17, off, s[0:3], 0 offset:568
	buffer_load_dword v98, off, s[0:3], 0 offset:548
	s_waitcnt vmcnt(57) lgkmcnt(0)
	v_mul_f64 v[116:117], v[5:6], v[39:40]
	v_mul_f64 v[39:40], v[7:8], v[39:40]
	s_waitcnt vmcnt(56)
	v_fma_f64 v[35:36], v[9:10], v[23:24], -v[35:36]
	ds_read_b128 v[1:4], v56 offset:1200
	v_fma_f64 v[23:24], v[11:12], v[23:24], v[29:30]
	v_add_f64 v[13:14], v[13:14], v[31:32]
	v_add_f64 v[15:16], v[15:16], v[27:28]
	s_clause 0x2
	buffer_load_dword v38, off, s[0:3], 0 offset:588
	buffer_load_dword v28, off, s[0:3], 0 offset:564
	;; [unrolled: 1-line block ×3, first 2 shown]
	ds_read_b128 v[9:12], v56 offset:1216
	s_waitcnt vmcnt(58) lgkmcnt(1)
	v_mul_f64 v[31:32], v[3:4], v[43:44]
	s_waitcnt vmcnt(56)
	v_fma_f64 v[39:40], v[5:6], v[45:46], -v[39:40]
	v_mul_f64 v[29:30], v[1:2], v[43:44]
	v_add_f64 v[13:14], v[13:14], v[35:36]
	v_fma_f64 v[35:36], v[7:8], v[45:46], v[116:117]
	v_add_f64 v[15:16], v[15:16], v[23:24]
	s_clause 0x4
	buffer_load_dword v24, off, s[0:3], 0 offset:604
	buffer_load_dword v43, off, s[0:3], 0 offset:616
	;; [unrolled: 1-line block ×5, first 2 shown]
	s_waitcnt vmcnt(57) lgkmcnt(0)
	v_mul_f64 v[116:117], v[9:10], v[65:66]
	v_mul_f64 v[65:66], v[11:12], v[65:66]
	s_waitcnt vmcnt(56)
	v_fma_f64 v[31:32], v[1:2], v[33:34], -v[31:32]
	ds_read_b128 v[5:8], v56 offset:1232
	v_fma_f64 v[29:30], v[3:4], v[33:34], v[29:30]
	s_clause 0x2
	buffer_load_dword v44, off, s[0:3], 0 offset:620
	buffer_load_dword v34, off, s[0:3], 0 offset:596
	;; [unrolled: 1-line block ×3, first 2 shown]
	ds_read_b128 v[1:4], v56 offset:1248
	v_add_f64 v[13:14], v[13:14], v[39:40]
	v_add_f64 v[15:16], v[15:16], v[35:36]
	s_waitcnt vmcnt(58) lgkmcnt(1)
	v_mul_f64 v[39:40], v[7:8], v[73:74]
	s_waitcnt vmcnt(56)
	v_fma_f64 v[65:66], v[9:10], v[75:76], -v[65:66]
	v_mul_f64 v[35:36], v[5:6], v[73:74]
	v_add_f64 v[13:14], v[13:14], v[31:32]
	v_fma_f64 v[31:32], v[11:12], v[75:76], v[116:117]
	v_add_f64 v[15:16], v[15:16], v[29:30]
	s_clause 0x4
	buffer_load_dword v30, off, s[0:3], 0 offset:636
	buffer_load_dword v73, off, s[0:3], 0 offset:648
	;; [unrolled: 1-line block ×5, first 2 shown]
	s_waitcnt vmcnt(57) lgkmcnt(0)
	v_mul_f64 v[116:117], v[1:2], v[81:82]
	v_mul_f64 v[81:82], v[3:4], v[81:82]
	s_waitcnt vmcnt(56)
	v_fma_f64 v[39:40], v[5:6], v[41:42], -v[39:40]
	ds_read_b128 v[9:12], v56 offset:1264
	v_fma_f64 v[35:36], v[7:8], v[41:42], v[35:36]
	v_add_f64 v[13:14], v[13:14], v[65:66]
	v_add_f64 v[15:16], v[15:16], v[31:32]
	s_clause 0x2
	buffer_load_dword v74, off, s[0:3], 0 offset:652
	buffer_load_dword v32, off, s[0:3], 0 offset:628
	;; [unrolled: 1-line block ×3, first 2 shown]
	ds_read_b128 v[5:8], v56 offset:1280
	s_waitcnt vmcnt(58) lgkmcnt(1)
	v_mul_f64 v[65:66], v[11:12], v[83:84]
	s_waitcnt vmcnt(56)
	v_fma_f64 v[81:82], v[1:2], v[85:86], -v[81:82]
	v_mul_f64 v[41:42], v[9:10], v[83:84]
	v_add_f64 v[13:14], v[13:14], v[39:40]
	v_fma_f64 v[39:40], v[3:4], v[85:86], v[116:117]
	v_add_f64 v[15:16], v[15:16], v[35:36]
	s_clause 0x4
	buffer_load_dword v36, off, s[0:3], 0 offset:668
	buffer_load_dword v83, off, s[0:3], 0 offset:680
	;; [unrolled: 1-line block ×5, first 2 shown]
	s_waitcnt vmcnt(57) lgkmcnt(0)
	v_mul_f64 v[116:117], v[5:6], v[101:102]
	v_mul_f64 v[101:102], v[7:8], v[101:102]
	s_waitcnt vmcnt(56)
	v_fma_f64 v[65:66], v[9:10], v[67:68], -v[65:66]
	ds_read_b128 v[1:4], v56 offset:1296
	v_fma_f64 v[41:42], v[11:12], v[67:68], v[41:42]
	v_add_f64 v[13:14], v[13:14], v[81:82]
	v_add_f64 v[15:16], v[15:16], v[39:40]
	s_clause 0x2
	buffer_load_dword v84, off, s[0:3], 0 offset:684
	buffer_load_dword v40, off, s[0:3], 0 offset:660
	;; [unrolled: 1-line block ×3, first 2 shown]
	ds_read_b128 v[9:12], v56 offset:1312
	s_waitcnt vmcnt(58) lgkmcnt(1)
	v_mul_f64 v[81:82], v[3:4], v[103:104]
	s_waitcnt vmcnt(56)
	v_fma_f64 v[101:102], v[5:6], v[108:109], -v[101:102]
	v_mul_f64 v[67:68], v[1:2], v[103:104]
	v_add_f64 v[13:14], v[13:14], v[65:66]
	v_fma_f64 v[65:66], v[7:8], v[108:109], v[116:117]
	v_add_f64 v[15:16], v[15:16], v[41:42]
	s_clause 0x4
	buffer_load_dword v42, off, s[0:3], 0 offset:700
	buffer_load_dword v103, off, s[0:3], 0 offset:712
	;; [unrolled: 1-line block ×5, first 2 shown]
	ds_read_b128 v[5:8], v56 offset:1328
	s_waitcnt vmcnt(57) lgkmcnt(1)
	v_mul_f64 v[108:109], v[9:10], v[99:100]
	v_mul_f64 v[99:100], v[11:12], v[99:100]
	s_waitcnt vmcnt(56)
	v_fma_f64 v[81:82], v[1:2], v[105:106], -v[81:82]
	v_fma_f64 v[67:68], v[3:4], v[105:106], v[67:68]
	v_add_f64 v[13:14], v[13:14], v[101:102]
	v_add_f64 v[15:16], v[15:16], v[65:66]
	s_clause 0x2
	buffer_load_dword v104, off, s[0:3], 0 offset:716
	buffer_load_dword v66, off, s[0:3], 0 offset:692
	buffer_load_dword v65, off, s[0:3], 0 offset:688
	ds_read_b128 v[1:4], v56 offset:1344
	s_waitcnt vmcnt(58) lgkmcnt(1)
	v_mul_f64 v[105:106], v[7:8], v[112:113]
	v_mul_f64 v[101:102], v[5:6], v[112:113]
	s_waitcnt vmcnt(56)
	v_fma_f64 v[99:100], v[9:10], v[93:94], -v[99:100]
	v_add_f64 v[13:14], v[13:14], v[81:82]
	v_fma_f64 v[81:82], v[11:12], v[93:94], v[108:109]
	v_add_f64 v[15:16], v[15:16], v[67:68]
	s_clause 0x4
	buffer_load_dword v68, off, s[0:3], 0 offset:732
	buffer_load_dword v93, off, s[0:3], 0 offset:744
	buffer_load_dword v112, off, s[0:3], 0 offset:736
	buffer_load_dword v67, off, s[0:3], 0 offset:728
	buffer_load_dword v108, off, s[0:3], 0 offset:708
	ds_read_b128 v[9:12], v56 offset:1360
	s_waitcnt vmcnt(57) lgkmcnt(1)
	v_mul_f64 v[116:117], v[1:2], v[25:26]
	v_mul_f64 v[25:26], v[3:4], v[25:26]
	s_waitcnt vmcnt(56)
	v_fma_f64 v[105:106], v[5:6], v[114:115], -v[105:106]
	v_add_f64 v[13:14], v[13:14], v[99:100]
	v_fma_f64 v[99:100], v[7:8], v[114:115], v[101:102]
	v_add_f64 v[15:16], v[15:16], v[81:82]
	s_clause 0x2
	buffer_load_dword v94, off, s[0:3], 0 offset:748
	buffer_load_dword v82, off, s[0:3], 0 offset:724
	buffer_load_dword v81, off, s[0:3], 0 offset:720
	ds_read_b128 v[5:8], v56 offset:1376
	s_waitcnt vmcnt(58) lgkmcnt(1)
	v_mul_f64 v[101:102], v[9:10], v[95:96]
	v_mul_f64 v[95:96], v[11:12], v[95:96]
	s_waitcnt vmcnt(56)
	v_fma_f64 v[25:26], v[1:2], v[19:20], -v[25:26]
	v_fma_f64 v[19:20], v[3:4], v[19:20], v[116:117]
	v_add_f64 v[13:14], v[13:14], v[105:106]
	v_add_f64 v[15:16], v[15:16], v[99:100]
	s_clause 0x4
	buffer_load_dword v100, off, s[0:3], 0 offset:764
	buffer_load_dword v105, off, s[0:3], 0 offset:776
	buffer_load_dword v109, off, s[0:3], 0 offset:768
	buffer_load_dword v99, off, s[0:3], 0 offset:760
	buffer_load_dword v113, off, s[0:3], 0 offset:740
	ds_read_b128 v[1:4], v56 offset:1392
	s_waitcnt vmcnt(57) lgkmcnt(1)
	v_mul_f64 v[114:115], v[5:6], v[87:88]
	v_mul_f64 v[87:88], v[7:8], v[87:88]
	s_waitcnt vmcnt(56)
	v_fma_f64 v[95:96], v[9:10], v[110:111], -v[95:96]
	v_add_f64 v[13:14], v[13:14], v[25:26]
	v_fma_f64 v[25:26], v[11:12], v[110:111], v[101:102]
	v_add_f64 v[15:16], v[15:16], v[19:20]
	s_clause 0x2
	buffer_load_dword v106, off, s[0:3], 0 offset:780
	buffer_load_dword v20, off, s[0:3], 0 offset:756
	buffer_load_dword v19, off, s[0:3], 0 offset:752
	ds_read_b128 v[9:12], v56 offset:1408
	s_waitcnt vmcnt(58) lgkmcnt(1)
	v_mul_f64 v[101:102], v[1:2], v[89:90]
	v_mul_f64 v[89:90], v[3:4], v[89:90]
	s_waitcnt vmcnt(56)
	v_fma_f64 v[87:88], v[5:6], v[21:22], -v[87:88]
	v_fma_f64 v[21:22], v[7:8], v[21:22], v[114:115]
	v_add_f64 v[13:14], v[13:14], v[95:96]
	;; [unrolled: 28-line block ×3, first 2 shown]
	v_add_f64 v[15:16], v[15:16], v[87:88]
	s_clause 0x4
	buffer_load_dword v88, off, s[0:3], 0 offset:828
	buffer_load_dword v89, off, s[0:3], 0 offset:840
	;; [unrolled: 1-line block ×5, first 2 shown]
	ds_read_b128 v[9:12], v56 offset:1456
	s_waitcnt vmcnt(57) lgkmcnt(1)
	v_mul_f64 v[116:117], v[1:2], v[23:24]
	v_mul_f64 v[23:24], v[3:4], v[23:24]
	s_waitcnt vmcnt(56)
	v_fma_f64 v[37:38], v[5:6], v[91:92], -v[37:38]
	v_add_f64 v[13:14], v[13:14], v[17:18]
	v_fma_f64 v[17:18], v[7:8], v[91:92], v[97:98]
	v_add_f64 v[15:16], v[15:16], v[27:28]
	s_clause 0x2
	buffer_load_dword v90, off, s[0:3], 0 offset:844
	buffer_load_dword v28, off, s[0:3], 0 offset:820
	;; [unrolled: 1-line block ×3, first 2 shown]
	s_waitcnt vmcnt(58) lgkmcnt(0)
	v_mul_f64 v[91:92], v[9:10], v[43:44]
	v_mul_f64 v[43:44], v[11:12], v[43:44]
	ds_read_b128 v[5:8], v56 offset:1472
	s_waitcnt vmcnt(56)
	v_fma_f64 v[23:24], v[1:2], v[33:34], -v[23:24]
	v_fma_f64 v[33:34], v[3:4], v[33:34], v[116:117]
	v_add_f64 v[13:14], v[13:14], v[37:38]
	v_add_f64 v[15:16], v[15:16], v[17:18]
	s_clause 0x4
	buffer_load_dword v18, off, s[0:3], 0 offset:860
	buffer_load_dword v37, off, s[0:3], 0 offset:872
	;; [unrolled: 1-line block ×5, first 2 shown]
	ds_read_b128 v[1:4], v56 offset:1488
	s_waitcnt vmcnt(57) lgkmcnt(1)
	v_mul_f64 v[116:117], v[5:6], v[29:30]
	v_mul_f64 v[29:30], v[7:8], v[29:30]
	s_waitcnt vmcnt(56)
	v_fma_f64 v[43:44], v[9:10], v[45:46], -v[43:44]
	v_add_f64 v[13:14], v[13:14], v[23:24]
	v_fma_f64 v[23:24], v[11:12], v[45:46], v[91:92]
	v_add_f64 v[15:16], v[15:16], v[33:34]
	s_clause 0x2
	buffer_load_dword v38, off, s[0:3], 0 offset:876
	buffer_load_dword v34, off, s[0:3], 0 offset:852
	;; [unrolled: 1-line block ×3, first 2 shown]
	ds_read_b128 v[9:12], v56 offset:1504
	buffer_load_dword v98, off, s[0:3], 0 offset:868
	s_waitcnt vmcnt(59) lgkmcnt(1)
	v_mul_f64 v[45:46], v[1:2], v[73:74]
	v_mul_f64 v[73:74], v[3:4], v[73:74]
	s_waitcnt vmcnt(57)
	v_fma_f64 v[29:30], v[5:6], v[31:32], -v[29:30]
	v_fma_f64 v[31:32], v[7:8], v[31:32], v[116:117]
	ds_read_b128 v[5:8], v56 offset:1520
	v_add_f64 v[13:14], v[13:14], v[43:44]
	v_add_f64 v[15:16], v[15:16], v[23:24]
	s_waitcnt vmcnt(53) lgkmcnt(1)
	v_mul_f64 v[23:24], v[9:10], v[35:36]
	v_mul_f64 v[35:36], v[11:12], v[35:36]
	s_waitcnt vmcnt(52)
	v_fma_f64 v[43:44], v[1:2], v[75:76], -v[73:74]
	v_add_f64 v[13:14], v[13:14], v[29:30]
	v_fma_f64 v[29:30], v[3:4], v[75:76], v[45:46]
	v_add_f64 v[15:16], v[15:16], v[31:32]
	ds_read_b128 v[1:4], v56 offset:1536
	s_waitcnt vmcnt(51) lgkmcnt(1)
	v_mul_f64 v[45:46], v[7:8], v[83:84]
	v_mul_f64 v[31:32], v[5:6], v[83:84]
	s_waitcnt vmcnt(49)
	v_fma_f64 v[35:36], v[9:10], v[39:40], -v[35:36]
	v_fma_f64 v[23:24], v[11:12], v[39:40], v[23:24]
	v_add_f64 v[13:14], v[13:14], v[43:44]
	v_add_f64 v[15:16], v[15:16], v[29:30]
	s_clause 0x3
	buffer_load_dword v29, off, s[0:3], 0 offset:176
	buffer_load_dword v30, off, s[0:3], 0 offset:180
	buffer_load_dword v39, off, s[0:3], 0 offset:184
	buffer_load_dword v40, off, s[0:3], 0 offset:188
	ds_read_b128 v[9:12], v56 offset:1552
	s_waitcnt vmcnt(49) lgkmcnt(1)
	v_mul_f64 v[43:44], v[1:2], v[41:42]
	v_mul_f64 v[41:42], v[3:4], v[41:42]
	s_waitcnt vmcnt(48)
	v_fma_f64 v[45:46], v[5:6], v[85:86], -v[45:46]
	v_fma_f64 v[31:32], v[7:8], v[85:86], v[31:32]
	ds_read_b128 v[5:8], v56 offset:1568
	v_add_f64 v[13:14], v[13:14], v[35:36]
	v_add_f64 v[15:16], v[15:16], v[23:24]
	s_waitcnt vmcnt(47) lgkmcnt(1)
	v_mul_f64 v[35:36], v[11:12], v[103:104]
	v_mul_f64 v[23:24], v[9:10], v[103:104]
	s_waitcnt vmcnt(45)
	v_fma_f64 v[41:42], v[1:2], v[65:66], -v[41:42]
	v_fma_f64 v[43:44], v[3:4], v[65:66], v[43:44]
	ds_read_b128 v[1:4], v56 offset:1584
	v_add_f64 v[13:14], v[13:14], v[45:46]
	v_add_f64 v[15:16], v[15:16], v[31:32]
	s_waitcnt vmcnt(41) lgkmcnt(1)
	v_mul_f64 v[45:46], v[7:8], v[67:68]
	s_waitcnt vmcnt(40)
	v_fma_f64 v[35:36], v[9:10], v[107:108], -v[35:36]
	v_mul_f64 v[31:32], v[5:6], v[67:68]
	v_fma_f64 v[23:24], v[11:12], v[107:108], v[23:24]
	ds_read_b128 v[9:12], v56 offset:1600
	v_add_f64 v[13:14], v[13:14], v[41:42]
	v_add_f64 v[15:16], v[15:16], v[43:44]
	s_waitcnt vmcnt(39) lgkmcnt(1)
	v_mul_f64 v[43:44], v[3:4], v[93:94]
	v_mul_f64 v[41:42], v[1:2], v[93:94]
	s_waitcnt vmcnt(37)
	v_fma_f64 v[45:46], v[5:6], v[81:82], -v[45:46]
	v_fma_f64 v[31:32], v[7:8], v[81:82], v[31:32]
	ds_read_b128 v[5:8], v56 offset:1616
	v_add_f64 v[13:14], v[13:14], v[35:36]
	v_add_f64 v[15:16], v[15:16], v[23:24]
	s_waitcnt vmcnt(33) lgkmcnt(1)
	v_mul_f64 v[35:36], v[11:12], v[99:100]
	s_waitcnt vmcnt(32)
	v_fma_f64 v[43:44], v[1:2], v[112:113], -v[43:44]
	v_mul_f64 v[23:24], v[9:10], v[99:100]
	v_fma_f64 v[41:42], v[3:4], v[112:113], v[41:42]
	ds_read_b128 v[1:4], v56 offset:1632
	v_add_f64 v[13:14], v[13:14], v[45:46]
	v_add_f64 v[15:16], v[15:16], v[31:32]
	s_waitcnt vmcnt(31) lgkmcnt(1)
	v_mul_f64 v[45:46], v[7:8], v[105:106]
	v_mul_f64 v[31:32], v[5:6], v[105:106]
	s_waitcnt vmcnt(29)
	v_fma_f64 v[35:36], v[9:10], v[19:20], -v[35:36]
	v_fma_f64 v[19:20], v[11:12], v[19:20], v[23:24]
	ds_read_b128 v[9:12], v56 offset:1648
	v_add_f64 v[13:14], v[13:14], v[43:44]
	v_add_f64 v[15:16], v[15:16], v[41:42]
	s_waitcnt vmcnt(25) lgkmcnt(1)
	v_mul_f64 v[23:24], v[1:2], v[25:26]
	v_mul_f64 v[25:26], v[3:4], v[25:26]
	s_waitcnt vmcnt(24)
	v_fma_f64 v[41:42], v[5:6], v[109:110], -v[45:46]
	;; [unrolled: 9-line block ×3, first 2 shown]
	v_fma_f64 v[21:22], v[3:4], v[21:22], v[23:24]
	ds_read_b128 v[1:4], v56 offset:1680
	v_add_f64 v[13:14], v[13:14], v[41:42]
	v_add_f64 v[15:16], v[15:16], v[31:32]
	s_waitcnt vmcnt(17) lgkmcnt(1)
	v_mul_f64 v[31:32], v[7:8], v[87:88]
	s_waitcnt vmcnt(16)
	v_fma_f64 v[35:36], v[9:10], v[114:115], -v[35:36]
	v_mul_f64 v[23:24], v[5:6], v[87:88]
	v_fma_f64 v[19:20], v[11:12], v[114:115], v[19:20]
	ds_read_b128 v[9:12], v56 offset:1696
	v_add_f64 v[13:14], v[13:14], v[25:26]
	v_add_f64 v[15:16], v[15:16], v[21:22]
	s_waitcnt vmcnt(15) lgkmcnt(1)
	v_mul_f64 v[25:26], v[3:4], v[89:90]
	v_mul_f64 v[21:22], v[1:2], v[89:90]
	s_waitcnt vmcnt(13)
	v_fma_f64 v[31:32], v[5:6], v[27:28], -v[31:32]
	v_fma_f64 v[23:24], v[7:8], v[27:28], v[23:24]
	ds_read_b128 v[5:8], v56 offset:1712
	v_add_f64 v[13:14], v[13:14], v[35:36]
	v_add_f64 v[15:16], v[15:16], v[19:20]
	s_waitcnt vmcnt(9) lgkmcnt(1)
	v_mul_f64 v[19:20], v[9:10], v[17:18]
	v_mul_f64 v[17:18], v[11:12], v[17:18]
	s_waitcnt vmcnt(8)
	v_fma_f64 v[1:2], v[1:2], v[101:102], -v[25:26]
	v_fma_f64 v[3:4], v[3:4], v[101:102], v[21:22]
	v_add_f64 v[13:14], v[13:14], v[31:32]
	v_add_f64 v[15:16], v[15:16], v[23:24]
	s_waitcnt vmcnt(7) lgkmcnt(0)
	v_mul_f64 v[23:24], v[7:8], v[37:38]
	v_mul_f64 v[21:22], v[5:6], v[37:38]
	s_waitcnt vmcnt(5)
	v_fma_f64 v[9:10], v[9:10], v[33:34], -v[17:18]
	v_fma_f64 v[11:12], v[11:12], v[33:34], v[19:20]
	v_add_f64 v[1:2], v[13:14], v[1:2]
	v_add_f64 v[3:4], v[15:16], v[3:4]
	s_waitcnt vmcnt(4)
	v_fma_f64 v[5:6], v[5:6], v[97:98], -v[23:24]
	v_fma_f64 v[7:8], v[7:8], v[97:98], v[21:22]
	v_add_f64 v[1:2], v[1:2], v[9:10]
	v_add_f64 v[3:4], v[3:4], v[11:12]
	;; [unrolled: 1-line block ×4, first 2 shown]
	s_waitcnt vmcnt(2)
	v_add_f64 v[1:2], v[29:30], -v[1:2]
	s_waitcnt vmcnt(0)
	v_add_f64 v[3:4], v[39:40], -v[3:4]
	buffer_store_dword v2, off, s[0:3], 0 offset:180
	buffer_store_dword v1, off, s[0:3], 0 offset:176
	;; [unrolled: 1-line block ×4, first 2 shown]
	v_cmpx_lt_u32_e32 9, v0
	s_cbranch_execz .LBB53_319
; %bb.318:
	v_mov_b32_e32 v4, s57
	s_clause 0x3
	buffer_load_dword v1, v4, s[0:3], 0 offen
	buffer_load_dword v2, v4, s[0:3], 0 offen offset:4
	buffer_load_dword v3, v4, s[0:3], 0 offen offset:8
	;; [unrolled: 1-line block ×3, first 2 shown]
	buffer_store_dword v56, off, s[0:3], 0 offset:160
	buffer_store_dword v56, off, s[0:3], 0 offset:164
	;; [unrolled: 1-line block ×4, first 2 shown]
	s_waitcnt vmcnt(0)
	ds_write_b128 v47, v[1:4]
.LBB53_319:
	s_or_b32 exec_lo, exec_lo, s4
	s_waitcnt lgkmcnt(0)
	s_waitcnt_vscnt null, 0x0
	s_barrier
	buffer_gl0_inv
	s_clause 0x37
	buffer_load_dword v9, off, s[0:3], 0 offset:184
	buffer_load_dword v10, off, s[0:3], 0 offset:188
	;; [unrolled: 1-line block ×56, first 2 shown]
	ds_read_b128 v[87:90], v56 offset:1024
	s_clause 0x2
	buffer_load_dword v84, off, s[0:3], 0 offset:412
	buffer_load_dword v86, off, s[0:3], 0 offset:388
	;; [unrolled: 1-line block ×3, first 2 shown]
	ds_read_b128 v[91:94], v56 offset:1040
	s_clause 0x4
	buffer_load_dword v102, off, s[0:3], 0 offset:428
	buffer_load_dword v103, off, s[0:3], 0 offset:440
	;; [unrolled: 1-line block ×5, first 2 shown]
	ds_read_b128 v[95:98], v56 offset:1056
	s_clause 0x2
	buffer_load_dword v104, off, s[0:3], 0 offset:444
	buffer_load_dword v109, off, s[0:3], 0 offset:420
	buffer_load_dword v108, off, s[0:3], 0 offset:416
	s_mov_b32 s4, exec_lo
	s_waitcnt vmcnt(62) lgkmcnt(2)
	v_mul_f64 v[99:100], v[89:90], v[9:10]
	v_mul_f64 v[9:10], v[87:88], v[9:10]
	s_waitcnt lgkmcnt(1)
	v_mul_f64 v[106:107], v[93:94], v[5:6]
	s_waitcnt vmcnt(59) lgkmcnt(0)
	v_mul_f64 v[110:111], v[97:98], v[3:4]
	v_fma_f64 v[87:88], v[87:88], v[7:8], -v[99:100]
	v_mul_f64 v[99:100], v[91:92], v[5:6]
	v_fma_f64 v[9:10], v[89:90], v[7:8], v[9:10]
	s_waitcnt vmcnt(57)
	v_fma_f64 v[91:92], v[91:92], v[1:2], -v[106:107]
	ds_read_b128 v[5:8], v56 offset:1072
	v_mul_f64 v[89:90], v[95:96], v[3:4]
	s_waitcnt vmcnt(51)
	v_fma_f64 v[95:96], v[95:96], v[25:26], -v[110:111]
	v_add_f64 v[87:88], v[87:88], 0
	v_fma_f64 v[93:94], v[93:94], v[1:2], v[99:100]
	v_add_f64 v[9:10], v[9:10], 0
	s_clause 0x4
	buffer_load_dword v100, off, s[0:3], 0 offset:460
	buffer_load_dword v112, off, s[0:3], 0 offset:472
	;; [unrolled: 1-line block ×5, first 2 shown]
	s_waitcnt lgkmcnt(0)
	v_mul_f64 v[115:116], v[5:6], v[13:14]
	v_mul_f64 v[13:14], v[7:8], v[13:14]
	ds_read_b128 v[1:4], v56 offset:1088
	v_fma_f64 v[25:26], v[97:98], v[25:26], v[89:90]
	v_add_f64 v[91:92], v[87:88], v[91:92]
	v_add_f64 v[9:10], v[9:10], v[93:94]
	s_clause 0x2
	buffer_load_dword v113, off, s[0:3], 0 offset:476
	buffer_load_dword v94, off, s[0:3], 0 offset:452
	;; [unrolled: 1-line block ×3, first 2 shown]
	s_waitcnt vmcnt(58) lgkmcnt(0)
	v_mul_f64 v[97:98], v[1:2], v[17:18]
	v_mul_f64 v[17:18], v[3:4], v[17:18]
	s_waitcnt vmcnt(56)
	v_fma_f64 v[13:14], v[5:6], v[19:20], -v[13:14]
	ds_read_b128 v[87:90], v56 offset:1104
	v_fma_f64 v[19:20], v[7:8], v[19:20], v[115:116]
	v_add_f64 v[91:92], v[91:92], v[95:96]
	v_add_f64 v[9:10], v[9:10], v[25:26]
	s_clause 0x4
	buffer_load_dword v26, off, s[0:3], 0 offset:492
	buffer_load_dword v95, off, s[0:3], 0 offset:504
	;; [unrolled: 1-line block ×5, first 2 shown]
	ds_read_b128 v[5:8], v56 offset:1120
	s_waitcnt vmcnt(57) lgkmcnt(1)
	v_mul_f64 v[116:117], v[87:88], v[21:22]
	v_mul_f64 v[21:22], v[89:90], v[21:22]
	s_waitcnt vmcnt(56)
	v_fma_f64 v[17:18], v[1:2], v[11:12], -v[17:18]
	v_fma_f64 v[11:12], v[3:4], v[11:12], v[97:98]
	v_add_f64 v[13:14], v[91:92], v[13:14]
	v_add_f64 v[9:10], v[9:10], v[19:20]
	s_clause 0x2
	buffer_load_dword v96, off, s[0:3], 0 offset:508
	buffer_load_dword v20, off, s[0:3], 0 offset:484
	buffer_load_dword v19, off, s[0:3], 0 offset:480
	s_waitcnt vmcnt(58) lgkmcnt(0)
	v_mul_f64 v[91:92], v[5:6], v[27:28]
	v_mul_f64 v[27:28], v[7:8], v[27:28]
	s_waitcnt vmcnt(56)
	v_fma_f64 v[21:22], v[87:88], v[29:30], -v[21:22]
	ds_read_b128 v[1:4], v56 offset:1136
	v_add_f64 v[13:14], v[13:14], v[17:18]
	v_fma_f64 v[17:18], v[89:90], v[29:30], v[116:117]
	v_add_f64 v[29:30], v[9:10], v[11:12]
	s_clause 0x4
	buffer_load_dword v88, off, s[0:3], 0 offset:524
	buffer_load_dword v89, off, s[0:3], 0 offset:536
	buffer_load_dword v97, off, s[0:3], 0 offset:528
	buffer_load_dword v87, off, s[0:3], 0 offset:520
	buffer_load_dword v111, off, s[0:3], 0 offset:500
	ds_read_b128 v[9:12], v56 offset:1152
	s_waitcnt vmcnt(57) lgkmcnt(1)
	v_mul_f64 v[116:117], v[1:2], v[31:32]
	v_mul_f64 v[31:32], v[3:4], v[31:32]
	s_waitcnt vmcnt(56)
	v_fma_f64 v[27:28], v[5:6], v[15:16], -v[27:28]
	v_fma_f64 v[15:16], v[7:8], v[15:16], v[91:92]
	v_add_f64 v[13:14], v[13:14], v[21:22]
	s_clause 0x2
	buffer_load_dword v90, off, s[0:3], 0 offset:540
	buffer_load_dword v22, off, s[0:3], 0 offset:516
	;; [unrolled: 1-line block ×3, first 2 shown]
	v_add_f64 v[17:18], v[29:30], v[17:18]
	s_waitcnt vmcnt(58) lgkmcnt(0)
	v_mul_f64 v[29:30], v[9:10], v[35:36]
	v_mul_f64 v[35:36], v[11:12], v[35:36]
	ds_read_b128 v[5:8], v56 offset:1168
	s_waitcnt vmcnt(56)
	v_fma_f64 v[31:32], v[1:2], v[37:38], -v[31:32]
	v_add_f64 v[13:14], v[13:14], v[27:28]
	v_fma_f64 v[27:28], v[3:4], v[37:38], v[116:117]
	v_add_f64 v[15:16], v[17:18], v[15:16]
	s_clause 0x4
	buffer_load_dword v18, off, s[0:3], 0 offset:556
	buffer_load_dword v37, off, s[0:3], 0 offset:568
	;; [unrolled: 1-line block ×5, first 2 shown]
	s_waitcnt vmcnt(57) lgkmcnt(0)
	v_mul_f64 v[116:117], v[5:6], v[39:40]
	v_mul_f64 v[39:40], v[7:8], v[39:40]
	s_waitcnt vmcnt(56)
	v_fma_f64 v[35:36], v[9:10], v[23:24], -v[35:36]
	ds_read_b128 v[1:4], v56 offset:1184
	v_fma_f64 v[23:24], v[11:12], v[23:24], v[29:30]
	v_add_f64 v[13:14], v[13:14], v[31:32]
	v_add_f64 v[15:16], v[15:16], v[27:28]
	s_clause 0x2
	buffer_load_dword v38, off, s[0:3], 0 offset:572
	buffer_load_dword v28, off, s[0:3], 0 offset:548
	;; [unrolled: 1-line block ×3, first 2 shown]
	ds_read_b128 v[9:12], v56 offset:1200
	s_waitcnt vmcnt(58) lgkmcnt(1)
	v_mul_f64 v[31:32], v[3:4], v[43:44]
	s_waitcnt vmcnt(56)
	v_fma_f64 v[39:40], v[5:6], v[45:46], -v[39:40]
	v_mul_f64 v[29:30], v[1:2], v[43:44]
	v_add_f64 v[13:14], v[13:14], v[35:36]
	v_fma_f64 v[35:36], v[7:8], v[45:46], v[116:117]
	v_add_f64 v[15:16], v[15:16], v[23:24]
	s_clause 0x4
	buffer_load_dword v24, off, s[0:3], 0 offset:588
	buffer_load_dword v43, off, s[0:3], 0 offset:600
	;; [unrolled: 1-line block ×5, first 2 shown]
	s_waitcnt vmcnt(57) lgkmcnt(0)
	v_mul_f64 v[116:117], v[9:10], v[65:66]
	v_mul_f64 v[65:66], v[11:12], v[65:66]
	s_waitcnt vmcnt(56)
	v_fma_f64 v[31:32], v[1:2], v[33:34], -v[31:32]
	ds_read_b128 v[5:8], v56 offset:1216
	v_fma_f64 v[29:30], v[3:4], v[33:34], v[29:30]
	s_clause 0x2
	buffer_load_dword v44, off, s[0:3], 0 offset:604
	buffer_load_dword v34, off, s[0:3], 0 offset:580
	;; [unrolled: 1-line block ×3, first 2 shown]
	ds_read_b128 v[1:4], v56 offset:1232
	v_add_f64 v[13:14], v[13:14], v[39:40]
	v_add_f64 v[15:16], v[15:16], v[35:36]
	s_waitcnt vmcnt(58) lgkmcnt(1)
	v_mul_f64 v[39:40], v[7:8], v[73:74]
	s_waitcnt vmcnt(56)
	v_fma_f64 v[65:66], v[9:10], v[75:76], -v[65:66]
	v_mul_f64 v[35:36], v[5:6], v[73:74]
	v_add_f64 v[13:14], v[13:14], v[31:32]
	v_fma_f64 v[31:32], v[11:12], v[75:76], v[116:117]
	v_add_f64 v[15:16], v[15:16], v[29:30]
	s_clause 0x4
	buffer_load_dword v30, off, s[0:3], 0 offset:620
	buffer_load_dword v73, off, s[0:3], 0 offset:632
	;; [unrolled: 1-line block ×5, first 2 shown]
	s_waitcnt vmcnt(57) lgkmcnt(0)
	v_mul_f64 v[116:117], v[1:2], v[81:82]
	v_mul_f64 v[81:82], v[3:4], v[81:82]
	s_waitcnt vmcnt(56)
	v_fma_f64 v[39:40], v[5:6], v[41:42], -v[39:40]
	ds_read_b128 v[9:12], v56 offset:1248
	v_fma_f64 v[35:36], v[7:8], v[41:42], v[35:36]
	v_add_f64 v[13:14], v[13:14], v[65:66]
	v_add_f64 v[15:16], v[15:16], v[31:32]
	s_clause 0x2
	buffer_load_dword v74, off, s[0:3], 0 offset:636
	buffer_load_dword v32, off, s[0:3], 0 offset:612
	;; [unrolled: 1-line block ×3, first 2 shown]
	ds_read_b128 v[5:8], v56 offset:1264
	s_waitcnt vmcnt(58) lgkmcnt(1)
	v_mul_f64 v[65:66], v[11:12], v[83:84]
	s_waitcnt vmcnt(56)
	v_fma_f64 v[81:82], v[1:2], v[85:86], -v[81:82]
	v_mul_f64 v[41:42], v[9:10], v[83:84]
	v_add_f64 v[13:14], v[13:14], v[39:40]
	v_fma_f64 v[39:40], v[3:4], v[85:86], v[116:117]
	v_add_f64 v[15:16], v[15:16], v[35:36]
	s_clause 0x4
	buffer_load_dword v36, off, s[0:3], 0 offset:652
	buffer_load_dword v83, off, s[0:3], 0 offset:664
	;; [unrolled: 1-line block ×5, first 2 shown]
	s_waitcnt vmcnt(57) lgkmcnt(0)
	v_mul_f64 v[116:117], v[5:6], v[101:102]
	v_mul_f64 v[101:102], v[7:8], v[101:102]
	s_waitcnt vmcnt(56)
	v_fma_f64 v[65:66], v[9:10], v[67:68], -v[65:66]
	ds_read_b128 v[1:4], v56 offset:1280
	v_fma_f64 v[41:42], v[11:12], v[67:68], v[41:42]
	v_add_f64 v[13:14], v[13:14], v[81:82]
	v_add_f64 v[15:16], v[15:16], v[39:40]
	s_clause 0x2
	buffer_load_dword v84, off, s[0:3], 0 offset:668
	buffer_load_dword v40, off, s[0:3], 0 offset:644
	;; [unrolled: 1-line block ×3, first 2 shown]
	ds_read_b128 v[9:12], v56 offset:1296
	s_waitcnt vmcnt(58) lgkmcnt(1)
	v_mul_f64 v[81:82], v[3:4], v[103:104]
	s_waitcnt vmcnt(56)
	v_fma_f64 v[101:102], v[5:6], v[108:109], -v[101:102]
	v_mul_f64 v[67:68], v[1:2], v[103:104]
	v_add_f64 v[13:14], v[13:14], v[65:66]
	v_fma_f64 v[65:66], v[7:8], v[108:109], v[116:117]
	v_add_f64 v[15:16], v[15:16], v[41:42]
	s_clause 0x4
	buffer_load_dword v42, off, s[0:3], 0 offset:684
	buffer_load_dword v103, off, s[0:3], 0 offset:696
	;; [unrolled: 1-line block ×5, first 2 shown]
	ds_read_b128 v[5:8], v56 offset:1312
	s_waitcnt vmcnt(57) lgkmcnt(1)
	v_mul_f64 v[108:109], v[9:10], v[99:100]
	v_mul_f64 v[99:100], v[11:12], v[99:100]
	s_waitcnt vmcnt(56)
	v_fma_f64 v[81:82], v[1:2], v[105:106], -v[81:82]
	v_fma_f64 v[67:68], v[3:4], v[105:106], v[67:68]
	v_add_f64 v[13:14], v[13:14], v[101:102]
	v_add_f64 v[15:16], v[15:16], v[65:66]
	s_clause 0x2
	buffer_load_dword v104, off, s[0:3], 0 offset:700
	buffer_load_dword v66, off, s[0:3], 0 offset:676
	;; [unrolled: 1-line block ×3, first 2 shown]
	ds_read_b128 v[1:4], v56 offset:1328
	s_waitcnt vmcnt(58) lgkmcnt(1)
	v_mul_f64 v[105:106], v[7:8], v[112:113]
	v_mul_f64 v[101:102], v[5:6], v[112:113]
	s_waitcnt vmcnt(56)
	v_fma_f64 v[99:100], v[9:10], v[93:94], -v[99:100]
	v_add_f64 v[13:14], v[13:14], v[81:82]
	v_fma_f64 v[81:82], v[11:12], v[93:94], v[108:109]
	v_add_f64 v[15:16], v[15:16], v[67:68]
	s_clause 0x4
	buffer_load_dword v68, off, s[0:3], 0 offset:716
	buffer_load_dword v93, off, s[0:3], 0 offset:728
	buffer_load_dword v112, off, s[0:3], 0 offset:720
	buffer_load_dword v67, off, s[0:3], 0 offset:712
	buffer_load_dword v108, off, s[0:3], 0 offset:692
	ds_read_b128 v[9:12], v56 offset:1344
	s_waitcnt vmcnt(57) lgkmcnt(1)
	v_mul_f64 v[116:117], v[1:2], v[25:26]
	v_mul_f64 v[25:26], v[3:4], v[25:26]
	s_waitcnt vmcnt(56)
	v_fma_f64 v[105:106], v[5:6], v[114:115], -v[105:106]
	v_add_f64 v[13:14], v[13:14], v[99:100]
	v_fma_f64 v[99:100], v[7:8], v[114:115], v[101:102]
	v_add_f64 v[15:16], v[15:16], v[81:82]
	s_clause 0x2
	buffer_load_dword v94, off, s[0:3], 0 offset:732
	buffer_load_dword v82, off, s[0:3], 0 offset:708
	buffer_load_dword v81, off, s[0:3], 0 offset:704
	ds_read_b128 v[5:8], v56 offset:1360
	s_waitcnt vmcnt(58) lgkmcnt(1)
	v_mul_f64 v[101:102], v[9:10], v[95:96]
	v_mul_f64 v[95:96], v[11:12], v[95:96]
	s_waitcnt vmcnt(56)
	v_fma_f64 v[25:26], v[1:2], v[19:20], -v[25:26]
	v_fma_f64 v[19:20], v[3:4], v[19:20], v[116:117]
	v_add_f64 v[13:14], v[13:14], v[105:106]
	v_add_f64 v[15:16], v[15:16], v[99:100]
	s_clause 0x4
	buffer_load_dword v100, off, s[0:3], 0 offset:748
	buffer_load_dword v105, off, s[0:3], 0 offset:760
	buffer_load_dword v109, off, s[0:3], 0 offset:752
	buffer_load_dword v99, off, s[0:3], 0 offset:744
	buffer_load_dword v113, off, s[0:3], 0 offset:724
	ds_read_b128 v[1:4], v56 offset:1376
	s_waitcnt vmcnt(57) lgkmcnt(1)
	v_mul_f64 v[114:115], v[5:6], v[87:88]
	v_mul_f64 v[87:88], v[7:8], v[87:88]
	s_waitcnt vmcnt(56)
	v_fma_f64 v[95:96], v[9:10], v[110:111], -v[95:96]
	v_add_f64 v[13:14], v[13:14], v[25:26]
	v_fma_f64 v[25:26], v[11:12], v[110:111], v[101:102]
	v_add_f64 v[15:16], v[15:16], v[19:20]
	s_clause 0x2
	buffer_load_dword v106, off, s[0:3], 0 offset:764
	buffer_load_dword v20, off, s[0:3], 0 offset:740
	buffer_load_dword v19, off, s[0:3], 0 offset:736
	ds_read_b128 v[9:12], v56 offset:1392
	s_waitcnt vmcnt(58) lgkmcnt(1)
	v_mul_f64 v[101:102], v[1:2], v[89:90]
	v_mul_f64 v[89:90], v[3:4], v[89:90]
	s_waitcnt vmcnt(56)
	v_fma_f64 v[87:88], v[5:6], v[21:22], -v[87:88]
	v_fma_f64 v[21:22], v[7:8], v[21:22], v[114:115]
	v_add_f64 v[13:14], v[13:14], v[95:96]
	;; [unrolled: 28-line block ×3, first 2 shown]
	v_add_f64 v[15:16], v[15:16], v[87:88]
	s_clause 0x4
	buffer_load_dword v88, off, s[0:3], 0 offset:812
	buffer_load_dword v89, off, s[0:3], 0 offset:824
	;; [unrolled: 1-line block ×5, first 2 shown]
	ds_read_b128 v[9:12], v56 offset:1440
	s_waitcnt vmcnt(57) lgkmcnt(1)
	v_mul_f64 v[116:117], v[1:2], v[23:24]
	v_mul_f64 v[23:24], v[3:4], v[23:24]
	s_waitcnt vmcnt(56)
	v_fma_f64 v[37:38], v[5:6], v[91:92], -v[37:38]
	v_add_f64 v[13:14], v[13:14], v[17:18]
	v_fma_f64 v[17:18], v[7:8], v[91:92], v[97:98]
	v_add_f64 v[15:16], v[15:16], v[27:28]
	s_clause 0x2
	buffer_load_dword v90, off, s[0:3], 0 offset:828
	buffer_load_dword v28, off, s[0:3], 0 offset:804
	;; [unrolled: 1-line block ×3, first 2 shown]
	s_waitcnt vmcnt(58) lgkmcnt(0)
	v_mul_f64 v[91:92], v[9:10], v[43:44]
	v_mul_f64 v[43:44], v[11:12], v[43:44]
	ds_read_b128 v[5:8], v56 offset:1456
	s_waitcnt vmcnt(56)
	v_fma_f64 v[23:24], v[1:2], v[33:34], -v[23:24]
	v_fma_f64 v[33:34], v[3:4], v[33:34], v[116:117]
	v_add_f64 v[13:14], v[13:14], v[37:38]
	v_add_f64 v[15:16], v[15:16], v[17:18]
	s_clause 0x4
	buffer_load_dword v18, off, s[0:3], 0 offset:844
	buffer_load_dword v37, off, s[0:3], 0 offset:856
	;; [unrolled: 1-line block ×5, first 2 shown]
	ds_read_b128 v[1:4], v56 offset:1472
	s_waitcnt vmcnt(57) lgkmcnt(1)
	v_mul_f64 v[116:117], v[5:6], v[29:30]
	v_mul_f64 v[29:30], v[7:8], v[29:30]
	s_waitcnt vmcnt(56)
	v_fma_f64 v[43:44], v[9:10], v[45:46], -v[43:44]
	v_add_f64 v[13:14], v[13:14], v[23:24]
	v_fma_f64 v[23:24], v[11:12], v[45:46], v[91:92]
	v_add_f64 v[15:16], v[15:16], v[33:34]
	s_clause 0x2
	buffer_load_dword v38, off, s[0:3], 0 offset:860
	buffer_load_dword v34, off, s[0:3], 0 offset:836
	buffer_load_dword v33, off, s[0:3], 0 offset:832
	ds_read_b128 v[9:12], v56 offset:1488
	s_waitcnt vmcnt(58) lgkmcnt(1)
	v_mul_f64 v[45:46], v[1:2], v[73:74]
	v_mul_f64 v[73:74], v[3:4], v[73:74]
	s_waitcnt vmcnt(56)
	v_fma_f64 v[29:30], v[5:6], v[31:32], -v[29:30]
	v_fma_f64 v[31:32], v[7:8], v[31:32], v[116:117]
	v_add_f64 v[13:14], v[13:14], v[43:44]
	v_add_f64 v[15:16], v[15:16], v[23:24]
	s_clause 0x2
	buffer_load_dword v24, off, s[0:3], 0 offset:876
	buffer_load_dword v23, off, s[0:3], 0 offset:872
	;; [unrolled: 1-line block ×3, first 2 shown]
	ds_read_b128 v[5:8], v56 offset:1504
	s_waitcnt vmcnt(55) lgkmcnt(1)
	v_mul_f64 v[43:44], v[9:10], v[35:36]
	v_mul_f64 v[35:36], v[11:12], v[35:36]
	s_waitcnt vmcnt(54)
	v_fma_f64 v[73:74], v[1:2], v[75:76], -v[73:74]
	v_add_f64 v[13:14], v[13:14], v[29:30]
	v_fma_f64 v[29:30], v[3:4], v[75:76], v[45:46]
	v_add_f64 v[15:16], v[15:16], v[31:32]
	s_clause 0x1
	buffer_load_dword v32, off, s[0:3], 0 offset:868
	buffer_load_dword v31, off, s[0:3], 0 offset:864
	ds_read_b128 v[1:4], v56 offset:1520
	s_waitcnt vmcnt(55) lgkmcnt(1)
	v_mul_f64 v[75:76], v[7:8], v[83:84]
	v_mul_f64 v[45:46], v[5:6], v[83:84]
	s_waitcnt vmcnt(53)
	v_fma_f64 v[35:36], v[9:10], v[39:40], -v[35:36]
	v_fma_f64 v[39:40], v[11:12], v[39:40], v[43:44]
	ds_read_b128 v[9:12], v56 offset:1536
	v_add_f64 v[13:14], v[13:14], v[73:74]
	v_add_f64 v[15:16], v[15:16], v[29:30]
	s_waitcnt vmcnt(49) lgkmcnt(1)
	v_mul_f64 v[29:30], v[1:2], v[41:42]
	v_mul_f64 v[41:42], v[3:4], v[41:42]
	s_waitcnt vmcnt(48)
	v_fma_f64 v[43:44], v[5:6], v[85:86], -v[75:76]
	v_add_f64 v[13:14], v[13:14], v[35:36]
	v_fma_f64 v[35:36], v[7:8], v[85:86], v[45:46]
	v_add_f64 v[15:16], v[15:16], v[39:40]
	s_clause 0x3
	buffer_load_dword v39, off, s[0:3], 0 offset:160
	buffer_load_dword v40, off, s[0:3], 0 offset:164
	buffer_load_dword v45, off, s[0:3], 0 offset:168
	buffer_load_dword v46, off, s[0:3], 0 offset:172
	ds_read_b128 v[5:8], v56 offset:1552
	s_waitcnt vmcnt(51) lgkmcnt(1)
	v_mul_f64 v[75:76], v[11:12], v[103:104]
	v_mul_f64 v[73:74], v[9:10], v[103:104]
	s_waitcnt vmcnt(49)
	v_fma_f64 v[41:42], v[1:2], v[65:66], -v[41:42]
	v_fma_f64 v[29:30], v[3:4], v[65:66], v[29:30]
	ds_read_b128 v[1:4], v56 offset:1568
	v_add_f64 v[13:14], v[13:14], v[43:44]
	v_add_f64 v[15:16], v[15:16], v[35:36]
	s_waitcnt vmcnt(45) lgkmcnt(1)
	v_mul_f64 v[43:44], v[7:8], v[67:68]
	s_waitcnt vmcnt(44)
	v_fma_f64 v[65:66], v[9:10], v[107:108], -v[75:76]
	v_mul_f64 v[35:36], v[5:6], v[67:68]
	v_add_f64 v[13:14], v[13:14], v[41:42]
	v_fma_f64 v[41:42], v[11:12], v[107:108], v[73:74]
	v_add_f64 v[15:16], v[15:16], v[29:30]
	ds_read_b128 v[9:12], v56 offset:1584
	s_waitcnt vmcnt(43) lgkmcnt(1)
	v_mul_f64 v[67:68], v[3:4], v[93:94]
	v_mul_f64 v[29:30], v[1:2], v[93:94]
	s_waitcnt vmcnt(41)
	v_fma_f64 v[43:44], v[5:6], v[81:82], -v[43:44]
	v_fma_f64 v[35:36], v[7:8], v[81:82], v[35:36]
	ds_read_b128 v[5:8], v56 offset:1600
	v_add_f64 v[13:14], v[13:14], v[65:66]
	v_add_f64 v[15:16], v[15:16], v[41:42]
	s_waitcnt vmcnt(37) lgkmcnt(1)
	v_mul_f64 v[65:66], v[11:12], v[99:100]
	s_waitcnt vmcnt(36)
	v_fma_f64 v[67:68], v[1:2], v[112:113], -v[67:68]
	v_mul_f64 v[41:42], v[9:10], v[99:100]
	v_fma_f64 v[29:30], v[3:4], v[112:113], v[29:30]
	ds_read_b128 v[1:4], v56 offset:1616
	v_add_f64 v[13:14], v[13:14], v[43:44]
	v_add_f64 v[15:16], v[15:16], v[35:36]
	s_waitcnt vmcnt(35) lgkmcnt(1)
	v_mul_f64 v[43:44], v[7:8], v[105:106]
	v_mul_f64 v[35:36], v[5:6], v[105:106]
	s_waitcnt vmcnt(33)
	v_fma_f64 v[65:66], v[9:10], v[19:20], -v[65:66]
	v_fma_f64 v[19:20], v[11:12], v[19:20], v[41:42]
	ds_read_b128 v[9:12], v56 offset:1632
	v_add_f64 v[13:14], v[13:14], v[67:68]
	v_add_f64 v[15:16], v[15:16], v[29:30]
	s_waitcnt vmcnt(29) lgkmcnt(1)
	v_mul_f64 v[29:30], v[1:2], v[25:26]
	v_mul_f64 v[25:26], v[3:4], v[25:26]
	s_waitcnt vmcnt(28)
	v_fma_f64 v[41:42], v[5:6], v[109:110], -v[43:44]
	;; [unrolled: 9-line block ×3, first 2 shown]
	v_fma_f64 v[21:22], v[3:4], v[21:22], v[29:30]
	ds_read_b128 v[1:4], v56 offset:1664
	v_add_f64 v[13:14], v[13:14], v[41:42]
	v_add_f64 v[15:16], v[15:16], v[35:36]
	s_waitcnt vmcnt(21) lgkmcnt(1)
	v_mul_f64 v[35:36], v[7:8], v[87:88]
	s_waitcnt vmcnt(20)
	v_fma_f64 v[41:42], v[9:10], v[114:115], -v[43:44]
	v_mul_f64 v[29:30], v[5:6], v[87:88]
	v_fma_f64 v[19:20], v[11:12], v[114:115], v[19:20]
	ds_read_b128 v[9:12], v56 offset:1680
	v_add_f64 v[13:14], v[13:14], v[25:26]
	v_add_f64 v[15:16], v[15:16], v[21:22]
	s_waitcnt vmcnt(19) lgkmcnt(1)
	v_mul_f64 v[25:26], v[3:4], v[89:90]
	v_mul_f64 v[21:22], v[1:2], v[89:90]
	s_waitcnt vmcnt(17)
	v_fma_f64 v[35:36], v[5:6], v[27:28], -v[35:36]
	v_fma_f64 v[27:28], v[7:8], v[27:28], v[29:30]
	ds_read_b128 v[5:8], v56 offset:1696
	v_add_f64 v[13:14], v[13:14], v[41:42]
	v_add_f64 v[15:16], v[15:16], v[19:20]
	s_waitcnt vmcnt(13) lgkmcnt(1)
	v_mul_f64 v[19:20], v[9:10], v[17:18]
	v_mul_f64 v[17:18], v[11:12], v[17:18]
	s_waitcnt vmcnt(12)
	v_fma_f64 v[25:26], v[1:2], v[101:102], -v[25:26]
	;; [unrolled: 9-line block ×3, first 2 shown]
	v_fma_f64 v[11:12], v[11:12], v[33:34], v[19:20]
	v_add_f64 v[13:14], v[13:14], v[25:26]
	v_add_f64 v[15:16], v[15:16], v[21:22]
	s_waitcnt vmcnt(7) lgkmcnt(0)
	v_mul_f64 v[19:20], v[3:4], v[23:24]
	s_waitcnt vmcnt(6)
	v_fma_f64 v[5:6], v[5:6], v[97:98], -v[29:30]
	v_mul_f64 v[17:18], v[1:2], v[23:24]
	v_fma_f64 v[7:8], v[7:8], v[97:98], v[27:28]
	v_add_f64 v[9:10], v[13:14], v[9:10]
	v_add_f64 v[11:12], v[15:16], v[11:12]
	s_waitcnt vmcnt(4)
	v_fma_f64 v[1:2], v[1:2], v[31:32], -v[19:20]
	v_fma_f64 v[3:4], v[3:4], v[31:32], v[17:18]
	v_add_f64 v[5:6], v[9:10], v[5:6]
	v_add_f64 v[7:8], v[11:12], v[7:8]
	;; [unrolled: 1-line block ×4, first 2 shown]
	s_waitcnt vmcnt(2)
	v_add_f64 v[1:2], v[39:40], -v[1:2]
	s_waitcnt vmcnt(0)
	v_add_f64 v[3:4], v[45:46], -v[3:4]
	buffer_store_dword v2, off, s[0:3], 0 offset:164
	buffer_store_dword v1, off, s[0:3], 0 offset:160
	;; [unrolled: 1-line block ×4, first 2 shown]
	v_cmpx_lt_u32_e32 8, v0
	s_cbranch_execz .LBB53_321
; %bb.320:
	v_mov_b32_e32 v4, s58
	v_mov_b32_e32 v5, 0
	s_clause 0x3
	buffer_load_dword v1, v4, s[0:3], 0 offen
	buffer_load_dword v2, v4, s[0:3], 0 offen offset:4
	buffer_load_dword v3, v4, s[0:3], 0 offen offset:8
	;; [unrolled: 1-line block ×3, first 2 shown]
	buffer_store_dword v5, off, s[0:3], 0 offset:144
	buffer_store_dword v5, off, s[0:3], 0 offset:148
	;; [unrolled: 1-line block ×4, first 2 shown]
	s_waitcnt vmcnt(0)
	ds_write_b128 v47, v[1:4]
.LBB53_321:
	s_or_b32 exec_lo, exec_lo, s4
	s_waitcnt lgkmcnt(0)
	s_waitcnt_vscnt null, 0x0
	s_barrier
	buffer_gl0_inv
	s_clause 0x37
	buffer_load_dword v13, off, s[0:3], 0 offset:168
	buffer_load_dword v14, off, s[0:3], 0 offset:172
	;; [unrolled: 1-line block ×56, first 2 shown]
	v_mov_b32_e32 v56, 0
	s_mov_b32 s4, exec_lo
	ds_read_b128 v[91:94], v56 offset:1008
	s_clause 0x2
	buffer_load_dword v88, off, s[0:3], 0 offset:396
	buffer_load_dword v90, off, s[0:3], 0 offset:372
	;; [unrolled: 1-line block ×3, first 2 shown]
	ds_read_b128 v[1:4], v56 offset:1024
	s_clause 0x4
	buffer_load_dword v102, off, s[0:3], 0 offset:412
	buffer_load_dword v103, off, s[0:3], 0 offset:424
	;; [unrolled: 1-line block ×5, first 2 shown]
	ds_read_b128 v[95:98], v56 offset:1040
	s_waitcnt vmcnt(62) lgkmcnt(2)
	v_mul_f64 v[99:100], v[93:94], v[13:14]
	v_mul_f64 v[13:14], v[91:92], v[13:14]
	s_waitcnt vmcnt(60) lgkmcnt(1)
	v_mul_f64 v[106:107], v[3:4], v[9:10]
	s_waitcnt vmcnt(56) lgkmcnt(0)
	v_mul_f64 v[108:109], v[95:96], v[7:8]
	v_mul_f64 v[7:8], v[97:98], v[7:8]
	v_fma_f64 v[91:92], v[91:92], v[11:12], -v[99:100]
	v_mul_f64 v[99:100], v[1:2], v[9:10]
	v_fma_f64 v[13:14], v[93:94], v[11:12], v[13:14]
	s_clause 0x2
	buffer_load_dword v104, off, s[0:3], 0 offset:428
	buffer_load_dword v94, off, s[0:3], 0 offset:404
	;; [unrolled: 1-line block ×3, first 2 shown]
	s_waitcnt vmcnt(57)
	v_fma_f64 v[110:111], v[1:2], v[5:6], -v[106:107]
	ds_read_b128 v[9:12], v56 offset:1056
	s_waitcnt vmcnt(51)
	v_fma_f64 v[95:96], v[95:96], v[29:30], -v[7:8]
	v_fma_f64 v[29:30], v[97:98], v[29:30], v[108:109]
	v_add_f64 v[91:92], v[91:92], 0
	v_fma_f64 v[5:6], v[3:4], v[5:6], v[99:100]
	v_add_f64 v[13:14], v[13:14], 0
	s_clause 0x4
	buffer_load_dword v100, off, s[0:3], 0 offset:444
	buffer_load_dword v107, off, s[0:3], 0 offset:456
	;; [unrolled: 1-line block ×5, first 2 shown]
	s_waitcnt lgkmcnt(0)
	v_mul_f64 v[113:114], v[9:10], v[17:18]
	v_mul_f64 v[17:18], v[11:12], v[17:18]
	ds_read_b128 v[1:4], v56 offset:1072
	s_clause 0x2
	buffer_load_dword v108, off, s[0:3], 0 offset:460
	buffer_load_dword v98, off, s[0:3], 0 offset:436
	;; [unrolled: 1-line block ×3, first 2 shown]
	v_add_f64 v[91:92], v[91:92], v[110:111]
	v_add_f64 v[13:14], v[13:14], v[5:6]
	ds_read_b128 v[5:8], v56 offset:1088
	s_waitcnt vmcnt(58) lgkmcnt(1)
	v_mul_f64 v[109:110], v[1:2], v[21:22]
	v_mul_f64 v[21:22], v[3:4], v[21:22]
	s_waitcnt vmcnt(56)
	v_fma_f64 v[17:18], v[9:10], v[23:24], -v[17:18]
	v_fma_f64 v[23:24], v[11:12], v[23:24], v[113:114]
	v_add_f64 v[91:92], v[91:92], v[95:96]
	s_waitcnt vmcnt(52) lgkmcnt(0)
	v_mul_f64 v[115:116], v[5:6], v[25:26]
	v_add_f64 v[13:14], v[13:14], v[29:30]
	s_clause 0x4
	buffer_load_dword v30, off, s[0:3], 0 offset:476
	buffer_load_dword v95, off, s[0:3], 0 offset:488
	;; [unrolled: 1-line block ×5, first 2 shown]
	v_mul_f64 v[25:26], v[7:8], v[25:26]
	s_waitcnt vmcnt(56)
	v_fma_f64 v[21:22], v[1:2], v[15:16], -v[21:22]
	ds_read_b128 v[9:12], v56 offset:1104
	v_fma_f64 v[15:16], v[3:4], v[15:16], v[109:110]
	v_add_f64 v[17:18], v[91:92], v[17:18]
	v_add_f64 v[13:14], v[13:14], v[23:24]
	s_clause 0x2
	buffer_load_dword v96, off, s[0:3], 0 offset:492
	buffer_load_dword v24, off, s[0:3], 0 offset:468
	buffer_load_dword v23, off, s[0:3], 0 offset:464
	s_waitcnt vmcnt(58) lgkmcnt(0)
	v_mul_f64 v[91:92], v[9:10], v[31:32]
	v_mul_f64 v[31:32], v[11:12], v[31:32]
	s_waitcnt vmcnt(56)
	v_fma_f64 v[25:26], v[5:6], v[33:34], -v[25:26]
	ds_read_b128 v[1:4], v56 offset:1120
	v_add_f64 v[17:18], v[17:18], v[21:22]
	v_fma_f64 v[21:22], v[7:8], v[33:34], v[115:116]
	v_add_f64 v[13:14], v[13:14], v[15:16]
	s_clause 0x4
	buffer_load_dword v16, off, s[0:3], 0 offset:508
	buffer_load_dword v33, off, s[0:3], 0 offset:520
	;; [unrolled: 1-line block ×5, first 2 shown]
	ds_read_b128 v[5:8], v56 offset:1136
	s_waitcnt vmcnt(57) lgkmcnt(1)
	v_mul_f64 v[110:111], v[1:2], v[35:36]
	v_mul_f64 v[35:36], v[3:4], v[35:36]
	s_waitcnt vmcnt(56)
	v_fma_f64 v[31:32], v[9:10], v[19:20], -v[31:32]
	v_fma_f64 v[19:20], v[11:12], v[19:20], v[91:92]
	v_add_f64 v[17:18], v[17:18], v[25:26]
	v_add_f64 v[13:14], v[13:14], v[21:22]
	s_clause 0x2
	buffer_load_dword v34, off, s[0:3], 0 offset:524
	buffer_load_dword v22, off, s[0:3], 0 offset:500
	;; [unrolled: 1-line block ×3, first 2 shown]
	s_waitcnt vmcnt(58) lgkmcnt(0)
	v_mul_f64 v[25:26], v[5:6], v[39:40]
	v_mul_f64 v[39:40], v[7:8], v[39:40]
	s_waitcnt vmcnt(56)
	v_fma_f64 v[35:36], v[1:2], v[41:42], -v[35:36]
	ds_read_b128 v[9:12], v56 offset:1152
	v_add_f64 v[17:18], v[17:18], v[31:32]
	v_fma_f64 v[31:32], v[3:4], v[41:42], v[110:111]
	v_add_f64 v[13:14], v[13:14], v[19:20]
	s_clause 0x4
	buffer_load_dword v20, off, s[0:3], 0 offset:540
	buffer_load_dword v41, off, s[0:3], 0 offset:552
	;; [unrolled: 1-line block ×5, first 2 shown]
	ds_read_b128 v[1:4], v56 offset:1168
	s_waitcnt vmcnt(57) lgkmcnt(1)
	v_mul_f64 v[116:117], v[9:10], v[43:44]
	v_mul_f64 v[43:44], v[11:12], v[43:44]
	s_waitcnt vmcnt(56)
	v_fma_f64 v[39:40], v[5:6], v[27:28], -v[39:40]
	v_fma_f64 v[25:26], v[7:8], v[27:28], v[25:26]
	s_clause 0x2
	buffer_load_dword v42, off, s[0:3], 0 offset:556
	buffer_load_dword v28, off, s[0:3], 0 offset:532
	;; [unrolled: 1-line block ×3, first 2 shown]
	ds_read_b128 v[5:8], v56 offset:1184
	v_add_f64 v[17:18], v[17:18], v[35:36]
	v_add_f64 v[13:14], v[13:14], v[31:32]
	s_waitcnt vmcnt(58) lgkmcnt(1)
	v_mul_f64 v[35:36], v[3:4], v[65:66]
	v_mul_f64 v[31:32], v[1:2], v[65:66]
	s_waitcnt vmcnt(56)
	v_fma_f64 v[43:44], v[9:10], v[67:68], -v[43:44]
	v_add_f64 v[17:18], v[17:18], v[39:40]
	v_fma_f64 v[39:40], v[11:12], v[67:68], v[116:117]
	v_add_f64 v[13:14], v[13:14], v[25:26]
	s_clause 0x4
	buffer_load_dword v26, off, s[0:3], 0 offset:572
	buffer_load_dword v65, off, s[0:3], 0 offset:584
	;; [unrolled: 1-line block ×5, first 2 shown]
	s_waitcnt vmcnt(57) lgkmcnt(0)
	v_mul_f64 v[116:117], v[5:6], v[73:74]
	v_mul_f64 v[73:74], v[7:8], v[73:74]
	s_waitcnt vmcnt(56)
	v_fma_f64 v[35:36], v[1:2], v[37:38], -v[35:36]
	ds_read_b128 v[9:12], v56 offset:1200
	v_fma_f64 v[31:32], v[3:4], v[37:38], v[31:32]
	s_clause 0x2
	buffer_load_dword v66, off, s[0:3], 0 offset:588
	buffer_load_dword v38, off, s[0:3], 0 offset:564
	;; [unrolled: 1-line block ×3, first 2 shown]
	ds_read_b128 v[1:4], v56 offset:1216
	v_add_f64 v[17:18], v[17:18], v[43:44]
	v_add_f64 v[13:14], v[13:14], v[39:40]
	s_waitcnt vmcnt(58) lgkmcnt(1)
	v_mul_f64 v[43:44], v[11:12], v[81:82]
	s_waitcnt vmcnt(56)
	v_fma_f64 v[73:74], v[5:6], v[83:84], -v[73:74]
	v_mul_f64 v[39:40], v[9:10], v[81:82]
	v_add_f64 v[17:18], v[17:18], v[35:36]
	v_fma_f64 v[35:36], v[7:8], v[83:84], v[116:117]
	v_add_f64 v[13:14], v[13:14], v[31:32]
	s_clause 0x4
	buffer_load_dword v32, off, s[0:3], 0 offset:604
	buffer_load_dword v81, off, s[0:3], 0 offset:616
	buffer_load_dword v83, off, s[0:3], 0 offset:608
	buffer_load_dword v31, off, s[0:3], 0 offset:600
	buffer_load_dword v68, off, s[0:3], 0 offset:580
	s_waitcnt vmcnt(57) lgkmcnt(0)
	v_mul_f64 v[116:117], v[1:2], v[85:86]
	v_mul_f64 v[84:85], v[3:4], v[85:86]
	s_waitcnt vmcnt(56)
	v_fma_f64 v[43:44], v[9:10], v[45:46], -v[43:44]
	ds_read_b128 v[5:8], v56 offset:1232
	v_fma_f64 v[39:40], v[11:12], v[45:46], v[39:40]
	v_add_f64 v[17:18], v[17:18], v[73:74]
	v_add_f64 v[13:14], v[13:14], v[35:36]
	s_clause 0x2
	buffer_load_dword v82, off, s[0:3], 0 offset:620
	buffer_load_dword v36, off, s[0:3], 0 offset:596
	;; [unrolled: 1-line block ×3, first 2 shown]
	ds_read_b128 v[9:12], v56 offset:1248
	s_waitcnt vmcnt(58) lgkmcnt(1)
	v_mul_f64 v[73:74], v[7:8], v[87:88]
	s_waitcnt vmcnt(56)
	v_fma_f64 v[85:86], v[1:2], v[89:90], -v[84:85]
	v_mul_f64 v[45:46], v[5:6], v[87:88]
	v_add_f64 v[17:18], v[17:18], v[43:44]
	v_fma_f64 v[43:44], v[3:4], v[89:90], v[116:117]
	v_add_f64 v[13:14], v[13:14], v[39:40]
	s_clause 0x4
	buffer_load_dword v40, off, s[0:3], 0 offset:636
	buffer_load_dword v87, off, s[0:3], 0 offset:648
	;; [unrolled: 1-line block ×5, first 2 shown]
	s_waitcnt vmcnt(57) lgkmcnt(0)
	v_mul_f64 v[116:117], v[9:10], v[101:102]
	v_mul_f64 v[101:102], v[11:12], v[101:102]
	s_waitcnt vmcnt(56)
	v_fma_f64 v[73:74], v[5:6], v[75:76], -v[73:74]
	ds_read_b128 v[1:4], v56 offset:1264
	v_fma_f64 v[45:46], v[7:8], v[75:76], v[45:46]
	v_add_f64 v[17:18], v[17:18], v[85:86]
	v_add_f64 v[13:14], v[13:14], v[43:44]
	s_clause 0x2
	buffer_load_dword v88, off, s[0:3], 0 offset:652
	buffer_load_dword v44, off, s[0:3], 0 offset:628
	;; [unrolled: 1-line block ×3, first 2 shown]
	ds_read_b128 v[5:8], v56 offset:1280
	s_waitcnt vmcnt(58) lgkmcnt(1)
	v_mul_f64 v[85:86], v[3:4], v[103:104]
	v_mul_f64 v[75:76], v[1:2], v[103:104]
	s_waitcnt vmcnt(56)
	v_fma_f64 v[101:102], v[9:10], v[93:94], -v[101:102]
	v_add_f64 v[17:18], v[17:18], v[73:74]
	v_fma_f64 v[73:74], v[11:12], v[93:94], v[116:117]
	v_add_f64 v[13:14], v[13:14], v[45:46]
	s_clause 0x4
	buffer_load_dword v46, off, s[0:3], 0 offset:668
	buffer_load_dword v93, off, s[0:3], 0 offset:680
	;; [unrolled: 1-line block ×5, first 2 shown]
	ds_read_b128 v[9:12], v56 offset:1296
	s_waitcnt vmcnt(57) lgkmcnt(1)
	v_mul_f64 v[116:117], v[5:6], v[99:100]
	v_mul_f64 v[99:100], v[7:8], v[99:100]
	s_waitcnt vmcnt(56)
	v_fma_f64 v[85:86], v[1:2], v[105:106], -v[85:86]
	v_fma_f64 v[75:76], v[3:4], v[105:106], v[75:76]
	v_add_f64 v[17:18], v[17:18], v[101:102]
	v_add_f64 v[13:14], v[13:14], v[73:74]
	s_clause 0x2
	buffer_load_dword v94, off, s[0:3], 0 offset:684
	buffer_load_dword v74, off, s[0:3], 0 offset:660
	;; [unrolled: 1-line block ×3, first 2 shown]
	s_waitcnt vmcnt(58) lgkmcnt(0)
	v_mul_f64 v[105:106], v[11:12], v[107:108]
	ds_read_b128 v[1:4], v56 offset:1312
	v_mul_f64 v[101:102], v[9:10], v[107:108]
	s_waitcnt vmcnt(56)
	v_fma_f64 v[99:100], v[5:6], v[97:98], -v[99:100]
	v_add_f64 v[17:18], v[17:18], v[85:86]
	v_fma_f64 v[85:86], v[7:8], v[97:98], v[116:117]
	v_add_f64 v[13:14], v[13:14], v[75:76]
	s_clause 0x4
	buffer_load_dword v76, off, s[0:3], 0 offset:700
	buffer_load_dword v97, off, s[0:3], 0 offset:712
	;; [unrolled: 1-line block ×5, first 2 shown]
	ds_read_b128 v[5:8], v56 offset:1328
	s_waitcnt vmcnt(57) lgkmcnt(1)
	v_mul_f64 v[116:117], v[1:2], v[29:30]
	v_mul_f64 v[29:30], v[3:4], v[29:30]
	s_waitcnt vmcnt(56)
	v_fma_f64 v[105:106], v[9:10], v[112:113], -v[105:106]
	v_add_f64 v[17:18], v[17:18], v[99:100]
	v_fma_f64 v[99:100], v[11:12], v[112:113], v[101:102]
	v_add_f64 v[13:14], v[13:14], v[85:86]
	s_clause 0x2
	buffer_load_dword v98, off, s[0:3], 0 offset:716
	buffer_load_dword v86, off, s[0:3], 0 offset:692
	;; [unrolled: 1-line block ×3, first 2 shown]
	ds_read_b128 v[9:12], v56 offset:1344
	s_waitcnt vmcnt(58) lgkmcnt(1)
	v_mul_f64 v[101:102], v[5:6], v[95:96]
	v_mul_f64 v[95:96], v[7:8], v[95:96]
	s_waitcnt vmcnt(56)
	v_fma_f64 v[29:30], v[1:2], v[23:24], -v[29:30]
	v_fma_f64 v[23:24], v[3:4], v[23:24], v[116:117]
	v_add_f64 v[17:18], v[17:18], v[105:106]
	v_add_f64 v[13:14], v[13:14], v[99:100]
	s_clause 0x4
	buffer_load_dword v100, off, s[0:3], 0 offset:732
	buffer_load_dword v105, off, s[0:3], 0 offset:744
	;; [unrolled: 1-line block ×5, first 2 shown]
	ds_read_b128 v[1:4], v56 offset:1360
	s_waitcnt vmcnt(57) lgkmcnt(1)
	v_mul_f64 v[112:113], v[9:10], v[15:16]
	v_mul_f64 v[15:16], v[11:12], v[15:16]
	s_waitcnt vmcnt(56)
	v_fma_f64 v[95:96], v[5:6], v[114:115], -v[95:96]
	v_add_f64 v[17:18], v[17:18], v[29:30]
	v_fma_f64 v[29:30], v[7:8], v[114:115], v[101:102]
	v_add_f64 v[13:14], v[13:14], v[23:24]
	s_clause 0x2
	buffer_load_dword v106, off, s[0:3], 0 offset:748
	buffer_load_dword v24, off, s[0:3], 0 offset:724
	;; [unrolled: 1-line block ×3, first 2 shown]
	ds_read_b128 v[5:8], v56 offset:1376
	s_waitcnt vmcnt(58) lgkmcnt(1)
	v_mul_f64 v[101:102], v[1:2], v[33:34]
	v_mul_f64 v[33:34], v[3:4], v[33:34]
	s_waitcnt vmcnt(56)
	v_fma_f64 v[15:16], v[9:10], v[21:22], -v[15:16]
	v_fma_f64 v[21:22], v[11:12], v[21:22], v[112:113]
	v_add_f64 v[17:18], v[17:18], v[95:96]
	v_add_f64 v[13:14], v[13:14], v[29:30]
	s_clause 0x4
	buffer_load_dword v30, off, s[0:3], 0 offset:764
	buffer_load_dword v95, off, s[0:3], 0 offset:776
	;; [unrolled: 1-line block ×5, first 2 shown]
	ds_read_b128 v[9:12], v56 offset:1392
	s_waitcnt vmcnt(57) lgkmcnt(1)
	v_mul_f64 v[114:115], v[5:6], v[19:20]
	v_mul_f64 v[19:20], v[7:8], v[19:20]
	s_waitcnt vmcnt(56)
	v_fma_f64 v[33:34], v[1:2], v[109:110], -v[33:34]
	v_add_f64 v[15:16], v[17:18], v[15:16]
	v_fma_f64 v[17:18], v[3:4], v[109:110], v[101:102]
	v_add_f64 v[13:14], v[13:14], v[21:22]
	s_clause 0x2
	buffer_load_dword v96, off, s[0:3], 0 offset:780
	buffer_load_dword v22, off, s[0:3], 0 offset:756
	;; [unrolled: 1-line block ×3, first 2 shown]
	s_waitcnt vmcnt(58) lgkmcnt(0)
	v_mul_f64 v[101:102], v[9:10], v[41:42]
	v_mul_f64 v[41:42], v[11:12], v[41:42]
	ds_read_b128 v[1:4], v56 offset:1408
	s_waitcnt vmcnt(56)
	v_fma_f64 v[19:20], v[5:6], v[27:28], -v[19:20]
	v_fma_f64 v[27:28], v[7:8], v[27:28], v[114:115]
	v_add_f64 v[15:16], v[15:16], v[33:34]
	v_add_f64 v[13:14], v[13:14], v[17:18]
	s_clause 0x4
	buffer_load_dword v18, off, s[0:3], 0 offset:796
	buffer_load_dword v33, off, s[0:3], 0 offset:808
	;; [unrolled: 1-line block ×5, first 2 shown]
	ds_read_b128 v[5:8], v56 offset:1424
	s_waitcnt vmcnt(57) lgkmcnt(1)
	v_mul_f64 v[115:116], v[1:2], v[25:26]
	v_mul_f64 v[25:26], v[3:4], v[25:26]
	s_waitcnt vmcnt(56)
	v_fma_f64 v[41:42], v[9:10], v[91:92], -v[41:42]
	v_add_f64 v[15:16], v[15:16], v[19:20]
	v_fma_f64 v[19:20], v[11:12], v[91:92], v[101:102]
	v_add_f64 v[13:14], v[13:14], v[27:28]
	s_clause 0x2
	buffer_load_dword v34, off, s[0:3], 0 offset:812
	buffer_load_dword v28, off, s[0:3], 0 offset:788
	;; [unrolled: 1-line block ×3, first 2 shown]
	s_waitcnt vmcnt(58) lgkmcnt(0)
	v_mul_f64 v[91:92], v[5:6], v[65:66]
	v_mul_f64 v[65:66], v[7:8], v[65:66]
	ds_read_b128 v[9:12], v56 offset:1440
	s_waitcnt vmcnt(56)
	v_fma_f64 v[25:26], v[1:2], v[37:38], -v[25:26]
	v_fma_f64 v[37:38], v[3:4], v[37:38], v[115:116]
	v_add_f64 v[15:16], v[15:16], v[41:42]
	v_add_f64 v[13:14], v[13:14], v[19:20]
	s_clause 0x4
	buffer_load_dword v20, off, s[0:3], 0 offset:828
	buffer_load_dword v41, off, s[0:3], 0 offset:840
	;; [unrolled: 1-line block ×5, first 2 shown]
	ds_read_b128 v[1:4], v56 offset:1456
	s_waitcnt vmcnt(57) lgkmcnt(1)
	v_mul_f64 v[115:116], v[9:10], v[31:32]
	v_mul_f64 v[31:32], v[11:12], v[31:32]
	s_waitcnt vmcnt(56)
	v_fma_f64 v[65:66], v[5:6], v[67:68], -v[65:66]
	v_add_f64 v[15:16], v[15:16], v[25:26]
	v_fma_f64 v[25:26], v[7:8], v[67:68], v[91:92]
	v_add_f64 v[13:14], v[13:14], v[37:38]
	s_clause 0x2
	buffer_load_dword v42, off, s[0:3], 0 offset:844
	buffer_load_dword v38, off, s[0:3], 0 offset:820
	;; [unrolled: 1-line block ×3, first 2 shown]
	ds_read_b128 v[5:8], v56 offset:1472
	s_waitcnt vmcnt(58) lgkmcnt(1)
	v_mul_f64 v[67:68], v[1:2], v[81:82]
	v_mul_f64 v[81:82], v[3:4], v[81:82]
	s_waitcnt vmcnt(56)
	v_fma_f64 v[31:32], v[9:10], v[35:36], -v[31:32]
	v_fma_f64 v[35:36], v[11:12], v[35:36], v[115:116]
	v_add_f64 v[15:16], v[15:16], v[65:66]
	v_add_f64 v[13:14], v[13:14], v[25:26]
	s_clause 0x4
	buffer_load_dword v26, off, s[0:3], 0 offset:860
	buffer_load_dword v65, off, s[0:3], 0 offset:872
	buffer_load_dword v91, off, s[0:3], 0 offset:864
	buffer_load_dword v25, off, s[0:3], 0 offset:856
	buffer_load_dword v102, off, s[0:3], 0 offset:836
	ds_read_b128 v[9:12], v56 offset:1488
	s_waitcnt vmcnt(57) lgkmcnt(1)
	v_mul_f64 v[115:116], v[5:6], v[39:40]
	v_mul_f64 v[39:40], v[7:8], v[39:40]
	s_waitcnt vmcnt(56)
	v_fma_f64 v[81:82], v[1:2], v[83:84], -v[81:82]
	v_add_f64 v[15:16], v[15:16], v[31:32]
	v_fma_f64 v[31:32], v[3:4], v[83:84], v[67:68]
	v_add_f64 v[13:14], v[13:14], v[35:36]
	s_clause 0x2
	buffer_load_dword v66, off, s[0:3], 0 offset:876
	buffer_load_dword v36, off, s[0:3], 0 offset:852
	;; [unrolled: 1-line block ×3, first 2 shown]
	ds_read_b128 v[1:4], v56 offset:1504
	buffer_load_dword v92, off, s[0:3], 0 offset:868
	s_waitcnt vmcnt(59) lgkmcnt(1)
	v_mul_f64 v[83:84], v[11:12], v[87:88]
	v_mul_f64 v[67:68], v[9:10], v[87:88]
	s_waitcnt vmcnt(57)
	v_fma_f64 v[39:40], v[5:6], v[43:44], -v[39:40]
	v_fma_f64 v[43:44], v[7:8], v[43:44], v[115:116]
	ds_read_b128 v[5:8], v56 offset:1520
	v_add_f64 v[15:16], v[15:16], v[81:82]
	v_add_f64 v[13:14], v[13:14], v[31:32]
	s_waitcnt vmcnt(53) lgkmcnt(1)
	v_mul_f64 v[31:32], v[1:2], v[45:46]
	v_mul_f64 v[45:46], v[3:4], v[45:46]
	s_waitcnt vmcnt(52)
	v_fma_f64 v[81:82], v[9:10], v[89:90], -v[83:84]
	v_add_f64 v[15:16], v[15:16], v[39:40]
	v_fma_f64 v[39:40], v[11:12], v[89:90], v[67:68]
	v_add_f64 v[13:14], v[13:14], v[43:44]
	ds_read_b128 v[9:12], v56 offset:1536
	s_waitcnt vmcnt(51) lgkmcnt(1)
	v_mul_f64 v[67:68], v[7:8], v[93:94]
	v_mul_f64 v[43:44], v[5:6], v[93:94]
	s_waitcnt vmcnt(49)
	v_fma_f64 v[45:46], v[1:2], v[73:74], -v[45:46]
	v_fma_f64 v[31:32], v[3:4], v[73:74], v[31:32]
	v_add_f64 v[15:16], v[15:16], v[81:82]
	v_add_f64 v[13:14], v[13:14], v[39:40]
	s_clause 0x3
	buffer_load_dword v39, off, s[0:3], 0 offset:144
	buffer_load_dword v40, off, s[0:3], 0 offset:148
	;; [unrolled: 1-line block ×4, first 2 shown]
	ds_read_b128 v[1:4], v56 offset:1552
	s_waitcnt vmcnt(49) lgkmcnt(1)
	v_mul_f64 v[81:82], v[9:10], v[75:76]
	v_mul_f64 v[75:76], v[11:12], v[75:76]
	s_waitcnt vmcnt(48)
	v_fma_f64 v[67:68], v[5:6], v[103:104], -v[67:68]
	v_fma_f64 v[43:44], v[7:8], v[103:104], v[43:44]
	ds_read_b128 v[5:8], v56 offset:1568
	v_add_f64 v[15:16], v[15:16], v[45:46]
	v_add_f64 v[13:14], v[13:14], v[31:32]
	s_waitcnt vmcnt(47) lgkmcnt(1)
	v_mul_f64 v[45:46], v[3:4], v[97:98]
	v_mul_f64 v[31:32], v[1:2], v[97:98]
	s_waitcnt vmcnt(45)
	v_fma_f64 v[75:76], v[9:10], v[85:86], -v[75:76]
	v_add_f64 v[15:16], v[15:16], v[67:68]
	v_fma_f64 v[67:68], v[11:12], v[85:86], v[81:82]
	v_add_f64 v[13:14], v[13:14], v[43:44]
	ds_read_b128 v[9:12], v56 offset:1584
	s_waitcnt vmcnt(41) lgkmcnt(1)
	v_mul_f64 v[81:82], v[7:8], v[99:100]
	s_waitcnt vmcnt(40)
	v_fma_f64 v[45:46], v[1:2], v[107:108], -v[45:46]
	v_mul_f64 v[43:44], v[5:6], v[99:100]
	v_fma_f64 v[31:32], v[3:4], v[107:108], v[31:32]
	ds_read_b128 v[1:4], v56 offset:1600
	v_add_f64 v[15:16], v[15:16], v[75:76]
	v_add_f64 v[13:14], v[13:14], v[67:68]
	s_waitcnt vmcnt(39) lgkmcnt(1)
	v_mul_f64 v[75:76], v[11:12], v[105:106]
	v_mul_f64 v[67:68], v[9:10], v[105:106]
	s_waitcnt vmcnt(37)
	v_fma_f64 v[81:82], v[5:6], v[23:24], -v[81:82]
	v_fma_f64 v[23:24], v[7:8], v[23:24], v[43:44]
	ds_read_b128 v[5:8], v56 offset:1616
	v_add_f64 v[15:16], v[15:16], v[45:46]
	v_add_f64 v[13:14], v[13:14], v[31:32]
	s_waitcnt vmcnt(33) lgkmcnt(1)
	v_mul_f64 v[31:32], v[1:2], v[29:30]
	v_mul_f64 v[29:30], v[3:4], v[29:30]
	s_waitcnt vmcnt(32)
	v_fma_f64 v[43:44], v[9:10], v[111:112], -v[75:76]
	;; [unrolled: 9-line block ×6, first 2 shown]
	v_add_f64 v[15:16], v[15:16], v[17:18]
	v_fma_f64 v[17:18], v[3:4], v[109:110], v[21:22]
	v_add_f64 v[13:14], v[13:14], v[27:28]
	ds_read_b128 v[1:4], v56 offset:1696
	s_waitcnt vmcnt(15) lgkmcnt(1)
	v_mul_f64 v[27:28], v[11:12], v[41:42]
	v_mul_f64 v[21:22], v[9:10], v[41:42]
	s_waitcnt vmcnt(13)
	v_fma_f64 v[19:20], v[5:6], v[37:38], -v[19:20]
	v_fma_f64 v[23:24], v[7:8], v[37:38], v[23:24]
	ds_read_b128 v[5:8], v56 offset:1712
	v_add_f64 v[15:16], v[15:16], v[29:30]
	v_add_f64 v[13:14], v[13:14], v[17:18]
	s_waitcnt vmcnt(9) lgkmcnt(1)
	v_mul_f64 v[17:18], v[1:2], v[25:26]
	v_mul_f64 v[25:26], v[3:4], v[25:26]
	s_waitcnt vmcnt(8)
	v_fma_f64 v[9:10], v[9:10], v[101:102], -v[27:28]
	v_fma_f64 v[11:12], v[11:12], v[101:102], v[21:22]
	v_add_f64 v[15:16], v[15:16], v[19:20]
	v_add_f64 v[13:14], v[13:14], v[23:24]
	s_waitcnt vmcnt(7) lgkmcnt(0)
	v_mul_f64 v[21:22], v[7:8], v[65:66]
	v_mul_f64 v[19:20], v[5:6], v[65:66]
	s_waitcnt vmcnt(5)
	v_fma_f64 v[1:2], v[1:2], v[35:36], -v[25:26]
	v_fma_f64 v[3:4], v[3:4], v[35:36], v[17:18]
	v_add_f64 v[9:10], v[15:16], v[9:10]
	v_add_f64 v[11:12], v[13:14], v[11:12]
	s_waitcnt vmcnt(4)
	v_fma_f64 v[5:6], v[5:6], v[91:92], -v[21:22]
	v_fma_f64 v[7:8], v[7:8], v[91:92], v[19:20]
	v_add_f64 v[1:2], v[9:10], v[1:2]
	v_add_f64 v[3:4], v[11:12], v[3:4]
	;; [unrolled: 1-line block ×4, first 2 shown]
	s_waitcnt vmcnt(2)
	v_add_f64 v[1:2], v[39:40], -v[1:2]
	s_waitcnt vmcnt(0)
	v_add_f64 v[3:4], v[73:74], -v[3:4]
	buffer_store_dword v2, off, s[0:3], 0 offset:148
	buffer_store_dword v1, off, s[0:3], 0 offset:144
	;; [unrolled: 1-line block ×4, first 2 shown]
	v_cmpx_lt_u32_e32 7, v0
	s_cbranch_execz .LBB53_323
; %bb.322:
	v_mov_b32_e32 v4, s59
	s_clause 0x3
	buffer_load_dword v1, v4, s[0:3], 0 offen
	buffer_load_dword v2, v4, s[0:3], 0 offen offset:4
	buffer_load_dword v3, v4, s[0:3], 0 offen offset:8
	;; [unrolled: 1-line block ×3, first 2 shown]
	buffer_store_dword v56, off, s[0:3], 0 offset:128
	buffer_store_dword v56, off, s[0:3], 0 offset:132
	;; [unrolled: 1-line block ×4, first 2 shown]
	s_waitcnt vmcnt(0)
	ds_write_b128 v47, v[1:4]
.LBB53_323:
	s_or_b32 exec_lo, exec_lo, s4
	s_waitcnt lgkmcnt(0)
	s_waitcnt_vscnt null, 0x0
	s_barrier
	buffer_gl0_inv
	s_clause 0x37
	buffer_load_dword v17, off, s[0:3], 0 offset:152
	buffer_load_dword v18, off, s[0:3], 0 offset:156
	;; [unrolled: 1-line block ×56, first 2 shown]
	ds_read_b128 v[5:8], v56 offset:992
	s_clause 0x2
	buffer_load_dword v92, off, s[0:3], 0 offset:380
	buffer_load_dword v94, off, s[0:3], 0 offset:356
	;; [unrolled: 1-line block ×3, first 2 shown]
	ds_read_b128 v[1:4], v56 offset:1008
	s_clause 0x4
	buffer_load_dword v102, off, s[0:3], 0 offset:396
	buffer_load_dword v103, off, s[0:3], 0 offset:408
	;; [unrolled: 1-line block ×5, first 2 shown]
	ds_read_b128 v[95:98], v56 offset:1024
	s_mov_b32 s4, exec_lo
	s_waitcnt vmcnt(62) lgkmcnt(2)
	v_mul_f64 v[99:100], v[7:8], v[17:18]
	v_mul_f64 v[17:18], v[5:6], v[17:18]
	s_waitcnt vmcnt(60) lgkmcnt(1)
	v_mul_f64 v[106:107], v[3:4], v[13:14]
	v_mul_f64 v[13:14], v[1:2], v[13:14]
	;; [unrolled: 3-line block ×3, first 2 shown]
	v_fma_f64 v[99:100], v[5:6], v[15:16], -v[99:100]
	v_fma_f64 v[15:16], v[7:8], v[15:16], v[17:18]
	s_clause 0x2
	buffer_load_dword v104, off, s[0:3], 0 offset:412
	buffer_load_dword v18, off, s[0:3], 0 offset:388
	;; [unrolled: 1-line block ×3, first 2 shown]
	s_waitcnt vmcnt(57)
	v_fma_f64 v[110:111], v[1:2], v[9:10], -v[106:107]
	ds_read_b128 v[5:8], v56 offset:1040
	v_fma_f64 v[9:10], v[3:4], v[9:10], v[13:14]
	s_waitcnt vmcnt(51)
	v_fma_f64 v[95:96], v[95:96], v[33:34], -v[11:12]
	v_fma_f64 v[33:34], v[97:98], v[33:34], v[108:109]
	v_add_f64 v[99:100], v[99:100], 0
	v_add_f64 v[13:14], v[15:16], 0
	s_clause 0x4
	buffer_load_dword v16, off, s[0:3], 0 offset:428
	buffer_load_dword v107, off, s[0:3], 0 offset:440
	;; [unrolled: 1-line block ×5, first 2 shown]
	s_waitcnt lgkmcnt(0)
	v_mul_f64 v[113:114], v[5:6], v[21:22]
	v_mul_f64 v[21:22], v[7:8], v[21:22]
	ds_read_b128 v[1:4], v56 offset:1056
	s_clause 0x2
	buffer_load_dword v108, off, s[0:3], 0 offset:444
	buffer_load_dword v98, off, s[0:3], 0 offset:420
	;; [unrolled: 1-line block ×3, first 2 shown]
	v_add_f64 v[99:100], v[99:100], v[110:111]
	v_add_f64 v[13:14], v[13:14], v[9:10]
	ds_read_b128 v[9:12], v56 offset:1072
	s_waitcnt vmcnt(58) lgkmcnt(1)
	v_mul_f64 v[109:110], v[1:2], v[25:26]
	v_mul_f64 v[25:26], v[3:4], v[25:26]
	s_waitcnt vmcnt(56)
	v_fma_f64 v[21:22], v[5:6], v[27:28], -v[21:22]
	v_fma_f64 v[27:28], v[7:8], v[27:28], v[113:114]
	s_waitcnt vmcnt(52) lgkmcnt(0)
	v_mul_f64 v[115:116], v[9:10], v[29:30]
	v_add_f64 v[95:96], v[99:100], v[95:96]
	v_add_f64 v[13:14], v[13:14], v[33:34]
	s_clause 0x4
	buffer_load_dword v34, off, s[0:3], 0 offset:460
	buffer_load_dword v99, off, s[0:3], 0 offset:472
	;; [unrolled: 1-line block ×5, first 2 shown]
	v_mul_f64 v[29:30], v[11:12], v[29:30]
	s_waitcnt vmcnt(56)
	v_fma_f64 v[25:26], v[1:2], v[19:20], -v[25:26]
	ds_read_b128 v[5:8], v56 offset:1088
	v_fma_f64 v[19:20], v[3:4], v[19:20], v[109:110]
	v_add_f64 v[21:22], v[95:96], v[21:22]
	v_add_f64 v[13:14], v[13:14], v[27:28]
	s_clause 0x2
	buffer_load_dword v100, off, s[0:3], 0 offset:476
	buffer_load_dword v28, off, s[0:3], 0 offset:452
	;; [unrolled: 1-line block ×3, first 2 shown]
	s_waitcnt vmcnt(58) lgkmcnt(0)
	v_mul_f64 v[95:96], v[5:6], v[35:36]
	v_mul_f64 v[35:36], v[7:8], v[35:36]
	s_waitcnt vmcnt(56)
	v_fma_f64 v[29:30], v[9:10], v[37:38], -v[29:30]
	ds_read_b128 v[1:4], v56 offset:1104
	v_add_f64 v[21:22], v[21:22], v[25:26]
	v_fma_f64 v[25:26], v[11:12], v[37:38], v[115:116]
	v_add_f64 v[13:14], v[13:14], v[19:20]
	s_clause 0x4
	buffer_load_dword v20, off, s[0:3], 0 offset:492
	buffer_load_dword v37, off, s[0:3], 0 offset:504
	;; [unrolled: 1-line block ×5, first 2 shown]
	s_waitcnt vmcnt(57) lgkmcnt(0)
	v_mul_f64 v[110:111], v[1:2], v[39:40]
	v_mul_f64 v[39:40], v[3:4], v[39:40]
	s_waitcnt vmcnt(56)
	v_fma_f64 v[35:36], v[5:6], v[23:24], -v[35:36]
	ds_read_b128 v[9:12], v56 offset:1120
	v_fma_f64 v[23:24], v[7:8], v[23:24], v[95:96]
	v_add_f64 v[21:22], v[21:22], v[29:30]
	v_add_f64 v[13:14], v[13:14], v[25:26]
	s_clause 0x2
	buffer_load_dword v38, off, s[0:3], 0 offset:508
	buffer_load_dword v26, off, s[0:3], 0 offset:484
	;; [unrolled: 1-line block ×3, first 2 shown]
	ds_read_b128 v[5:8], v56 offset:1136
	s_waitcnt vmcnt(58) lgkmcnt(1)
	v_mul_f64 v[29:30], v[9:10], v[43:44]
	v_mul_f64 v[43:44], v[11:12], v[43:44]
	s_waitcnt vmcnt(56)
	v_fma_f64 v[39:40], v[1:2], v[45:46], -v[39:40]
	v_add_f64 v[21:22], v[21:22], v[35:36]
	v_fma_f64 v[35:36], v[3:4], v[45:46], v[110:111]
	v_add_f64 v[13:14], v[13:14], v[23:24]
	s_clause 0x4
	buffer_load_dword v24, off, s[0:3], 0 offset:524
	buffer_load_dword v45, off, s[0:3], 0 offset:536
	;; [unrolled: 1-line block ×5, first 2 shown]
	s_waitcnt vmcnt(57) lgkmcnt(0)
	v_mul_f64 v[116:117], v[5:6], v[65:66]
	v_mul_f64 v[65:66], v[7:8], v[65:66]
	s_waitcnt vmcnt(56)
	v_fma_f64 v[43:44], v[9:10], v[31:32], -v[43:44]
	ds_read_b128 v[1:4], v56 offset:1152
	v_fma_f64 v[29:30], v[11:12], v[31:32], v[29:30]
	s_clause 0x2
	buffer_load_dword v46, off, s[0:3], 0 offset:540
	buffer_load_dword v32, off, s[0:3], 0 offset:516
	;; [unrolled: 1-line block ×3, first 2 shown]
	ds_read_b128 v[9:12], v56 offset:1168
	v_add_f64 v[21:22], v[21:22], v[39:40]
	v_add_f64 v[13:14], v[13:14], v[35:36]
	s_waitcnt vmcnt(58) lgkmcnt(1)
	v_mul_f64 v[39:40], v[3:4], v[73:74]
	s_waitcnt vmcnt(56)
	v_fma_f64 v[65:66], v[5:6], v[75:76], -v[65:66]
	v_mul_f64 v[35:36], v[1:2], v[73:74]
	v_add_f64 v[21:22], v[21:22], v[43:44]
	v_fma_f64 v[43:44], v[7:8], v[75:76], v[116:117]
	v_add_f64 v[13:14], v[13:14], v[29:30]
	s_clause 0x4
	buffer_load_dword v30, off, s[0:3], 0 offset:556
	buffer_load_dword v73, off, s[0:3], 0 offset:568
	;; [unrolled: 1-line block ×5, first 2 shown]
	s_waitcnt vmcnt(57) lgkmcnt(0)
	v_mul_f64 v[116:117], v[9:10], v[81:82]
	v_mul_f64 v[81:82], v[11:12], v[81:82]
	s_waitcnt vmcnt(56)
	v_fma_f64 v[39:40], v[1:2], v[41:42], -v[39:40]
	ds_read_b128 v[5:8], v56 offset:1184
	v_fma_f64 v[35:36], v[3:4], v[41:42], v[35:36]
	s_clause 0x2
	buffer_load_dword v74, off, s[0:3], 0 offset:572
	buffer_load_dword v42, off, s[0:3], 0 offset:548
	;; [unrolled: 1-line block ×3, first 2 shown]
	ds_read_b128 v[1:4], v56 offset:1200
	v_add_f64 v[21:22], v[21:22], v[65:66]
	v_add_f64 v[13:14], v[13:14], v[43:44]
	s_waitcnt vmcnt(58) lgkmcnt(1)
	v_mul_f64 v[65:66], v[7:8], v[85:86]
	s_waitcnt vmcnt(56)
	v_fma_f64 v[81:82], v[9:10], v[87:88], -v[81:82]
	v_mul_f64 v[43:44], v[5:6], v[85:86]
	v_add_f64 v[21:22], v[21:22], v[39:40]
	v_fma_f64 v[39:40], v[11:12], v[87:88], v[116:117]
	v_add_f64 v[13:14], v[13:14], v[35:36]
	s_clause 0x4
	buffer_load_dword v36, off, s[0:3], 0 offset:588
	buffer_load_dword v85, off, s[0:3], 0 offset:600
	;; [unrolled: 1-line block ×5, first 2 shown]
	s_waitcnt vmcnt(57) lgkmcnt(0)
	v_mul_f64 v[116:117], v[1:2], v[89:90]
	v_mul_f64 v[88:89], v[3:4], v[89:90]
	s_waitcnt vmcnt(56)
	v_fma_f64 v[65:66], v[5:6], v[67:68], -v[65:66]
	ds_read_b128 v[9:12], v56 offset:1216
	v_fma_f64 v[43:44], v[7:8], v[67:68], v[43:44]
	v_add_f64 v[21:22], v[21:22], v[81:82]
	v_add_f64 v[13:14], v[13:14], v[39:40]
	s_clause 0x2
	buffer_load_dword v86, off, s[0:3], 0 offset:604
	buffer_load_dword v40, off, s[0:3], 0 offset:580
	;; [unrolled: 1-line block ×3, first 2 shown]
	ds_read_b128 v[5:8], v56 offset:1232
	s_waitcnt vmcnt(58) lgkmcnt(1)
	v_mul_f64 v[81:82], v[11:12], v[91:92]
	s_waitcnt vmcnt(56)
	v_fma_f64 v[89:90], v[1:2], v[93:94], -v[88:89]
	v_mul_f64 v[67:68], v[9:10], v[91:92]
	v_add_f64 v[21:22], v[21:22], v[65:66]
	v_fma_f64 v[65:66], v[3:4], v[93:94], v[116:117]
	v_add_f64 v[13:14], v[13:14], v[43:44]
	s_clause 0x4
	buffer_load_dword v44, off, s[0:3], 0 offset:620
	buffer_load_dword v91, off, s[0:3], 0 offset:632
	;; [unrolled: 1-line block ×5, first 2 shown]
	s_waitcnt vmcnt(57) lgkmcnt(0)
	v_mul_f64 v[116:117], v[5:6], v[101:102]
	v_mul_f64 v[101:102], v[7:8], v[101:102]
	s_waitcnt vmcnt(56)
	v_fma_f64 v[81:82], v[9:10], v[83:84], -v[81:82]
	ds_read_b128 v[1:4], v56 offset:1248
	v_fma_f64 v[67:68], v[11:12], v[83:84], v[67:68]
	v_add_f64 v[21:22], v[21:22], v[89:90]
	v_add_f64 v[13:14], v[13:14], v[65:66]
	s_clause 0x2
	buffer_load_dword v92, off, s[0:3], 0 offset:636
	buffer_load_dword v66, off, s[0:3], 0 offset:612
	;; [unrolled: 1-line block ×3, first 2 shown]
	ds_read_b128 v[9:12], v56 offset:1264
	s_waitcnt vmcnt(58) lgkmcnt(1)
	v_mul_f64 v[89:90], v[3:4], v[103:104]
	v_mul_f64 v[83:84], v[1:2], v[103:104]
	s_waitcnt vmcnt(56)
	v_fma_f64 v[101:102], v[5:6], v[17:18], -v[101:102]
	v_fma_f64 v[17:18], v[7:8], v[17:18], v[116:117]
	v_add_f64 v[21:22], v[21:22], v[81:82]
	v_add_f64 v[13:14], v[13:14], v[67:68]
	s_clause 0x4
	buffer_load_dword v68, off, s[0:3], 0 offset:652
	buffer_load_dword v81, off, s[0:3], 0 offset:664
	;; [unrolled: 1-line block ×5, first 2 shown]
	ds_read_b128 v[5:8], v56 offset:1280
	s_waitcnt vmcnt(57) lgkmcnt(1)
	v_mul_f64 v[116:117], v[9:10], v[15:16]
	v_mul_f64 v[15:16], v[11:12], v[15:16]
	s_waitcnt vmcnt(56)
	v_fma_f64 v[89:90], v[1:2], v[105:106], -v[89:90]
	v_fma_f64 v[83:84], v[3:4], v[105:106], v[83:84]
	v_add_f64 v[21:22], v[21:22], v[101:102]
	v_add_f64 v[13:14], v[13:14], v[17:18]
	s_clause 0x2
	buffer_load_dword v82, off, s[0:3], 0 offset:668
	buffer_load_dword v18, off, s[0:3], 0 offset:644
	;; [unrolled: 1-line block ×3, first 2 shown]
	s_waitcnt vmcnt(58) lgkmcnt(0)
	v_mul_f64 v[105:106], v[7:8], v[107:108]
	ds_read_b128 v[1:4], v56 offset:1296
	v_mul_f64 v[101:102], v[5:6], v[107:108]
	s_waitcnt vmcnt(56)
	v_fma_f64 v[15:16], v[9:10], v[97:98], -v[15:16]
	v_add_f64 v[21:22], v[21:22], v[89:90]
	v_fma_f64 v[89:90], v[11:12], v[97:98], v[116:117]
	v_add_f64 v[13:14], v[13:14], v[83:84]
	s_clause 0x4
	buffer_load_dword v84, off, s[0:3], 0 offset:684
	buffer_load_dword v97, off, s[0:3], 0 offset:696
	;; [unrolled: 1-line block ×5, first 2 shown]
	ds_read_b128 v[9:12], v56 offset:1312
	s_waitcnt vmcnt(57) lgkmcnt(1)
	v_mul_f64 v[116:117], v[1:2], v[33:34]
	v_mul_f64 v[33:34], v[3:4], v[33:34]
	s_waitcnt vmcnt(56)
	v_fma_f64 v[105:106], v[5:6], v[112:113], -v[105:106]
	v_add_f64 v[15:16], v[21:22], v[15:16]
	v_fma_f64 v[21:22], v[7:8], v[112:113], v[101:102]
	v_add_f64 v[13:14], v[13:14], v[89:90]
	s_clause 0x2
	buffer_load_dword v98, off, s[0:3], 0 offset:700
	buffer_load_dword v90, off, s[0:3], 0 offset:676
	;; [unrolled: 1-line block ×3, first 2 shown]
	ds_read_b128 v[5:8], v56 offset:1328
	s_waitcnt vmcnt(58) lgkmcnt(1)
	v_mul_f64 v[101:102], v[9:10], v[99:100]
	v_mul_f64 v[99:100], v[11:12], v[99:100]
	s_waitcnt vmcnt(56)
	v_fma_f64 v[33:34], v[1:2], v[27:28], -v[33:34]
	v_fma_f64 v[27:28], v[3:4], v[27:28], v[116:117]
	v_add_f64 v[15:16], v[15:16], v[105:106]
	v_add_f64 v[13:14], v[13:14], v[21:22]
	s_clause 0x4
	buffer_load_dword v22, off, s[0:3], 0 offset:716
	buffer_load_dword v105, off, s[0:3], 0 offset:728
	;; [unrolled: 1-line block ×5, first 2 shown]
	ds_read_b128 v[1:4], v56 offset:1344
	s_waitcnt vmcnt(57) lgkmcnt(1)
	v_mul_f64 v[112:113], v[5:6], v[19:20]
	v_mul_f64 v[19:20], v[7:8], v[19:20]
	s_waitcnt vmcnt(56)
	v_fma_f64 v[99:100], v[9:10], v[114:115], -v[99:100]
	v_add_f64 v[15:16], v[15:16], v[33:34]
	v_fma_f64 v[33:34], v[11:12], v[114:115], v[101:102]
	v_add_f64 v[13:14], v[13:14], v[27:28]
	s_clause 0x2
	buffer_load_dword v106, off, s[0:3], 0 offset:732
	buffer_load_dword v28, off, s[0:3], 0 offset:708
	;; [unrolled: 1-line block ×3, first 2 shown]
	ds_read_b128 v[9:12], v56 offset:1360
	s_waitcnt vmcnt(58) lgkmcnt(1)
	v_mul_f64 v[101:102], v[1:2], v[37:38]
	v_mul_f64 v[37:38], v[3:4], v[37:38]
	s_waitcnt vmcnt(56)
	v_fma_f64 v[19:20], v[5:6], v[25:26], -v[19:20]
	v_fma_f64 v[25:26], v[7:8], v[25:26], v[112:113]
	v_add_f64 v[15:16], v[15:16], v[99:100]
	v_add_f64 v[13:14], v[13:14], v[33:34]
	s_clause 0x4
	buffer_load_dword v34, off, s[0:3], 0 offset:748
	buffer_load_dword v99, off, s[0:3], 0 offset:760
	;; [unrolled: 1-line block ×5, first 2 shown]
	ds_read_b128 v[5:8], v56 offset:1376
	s_waitcnt vmcnt(57) lgkmcnt(1)
	v_mul_f64 v[114:115], v[9:10], v[23:24]
	v_mul_f64 v[23:24], v[11:12], v[23:24]
	s_waitcnt vmcnt(56)
	v_fma_f64 v[37:38], v[1:2], v[109:110], -v[37:38]
	v_add_f64 v[15:16], v[15:16], v[19:20]
	v_fma_f64 v[19:20], v[3:4], v[109:110], v[101:102]
	v_add_f64 v[13:14], v[13:14], v[25:26]
	s_clause 0x2
	buffer_load_dword v100, off, s[0:3], 0 offset:764
	buffer_load_dword v26, off, s[0:3], 0 offset:740
	;; [unrolled: 1-line block ×3, first 2 shown]
	s_waitcnt vmcnt(58) lgkmcnt(0)
	v_mul_f64 v[101:102], v[5:6], v[45:46]
	v_mul_f64 v[45:46], v[7:8], v[45:46]
	ds_read_b128 v[1:4], v56 offset:1392
	s_waitcnt vmcnt(56)
	v_fma_f64 v[23:24], v[9:10], v[31:32], -v[23:24]
	v_fma_f64 v[31:32], v[11:12], v[31:32], v[114:115]
	v_add_f64 v[15:16], v[15:16], v[37:38]
	v_add_f64 v[13:14], v[13:14], v[19:20]
	s_clause 0x4
	buffer_load_dword v20, off, s[0:3], 0 offset:780
	buffer_load_dword v37, off, s[0:3], 0 offset:792
	;; [unrolled: 1-line block ×5, first 2 shown]
	ds_read_b128 v[9:12], v56 offset:1408
	s_waitcnt vmcnt(57) lgkmcnt(1)
	v_mul_f64 v[115:116], v[1:2], v[29:30]
	v_mul_f64 v[29:30], v[3:4], v[29:30]
	s_waitcnt vmcnt(56)
	v_fma_f64 v[45:46], v[5:6], v[95:96], -v[45:46]
	v_add_f64 v[15:16], v[15:16], v[23:24]
	v_fma_f64 v[23:24], v[7:8], v[95:96], v[101:102]
	v_add_f64 v[13:14], v[13:14], v[31:32]
	s_clause 0x2
	buffer_load_dword v38, off, s[0:3], 0 offset:796
	buffer_load_dword v32, off, s[0:3], 0 offset:772
	;; [unrolled: 1-line block ×3, first 2 shown]
	s_waitcnt vmcnt(58) lgkmcnt(0)
	v_mul_f64 v[95:96], v[9:10], v[73:74]
	v_mul_f64 v[73:74], v[11:12], v[73:74]
	ds_read_b128 v[5:8], v56 offset:1424
	s_waitcnt vmcnt(56)
	v_fma_f64 v[29:30], v[1:2], v[41:42], -v[29:30]
	v_fma_f64 v[41:42], v[3:4], v[41:42], v[115:116]
	v_add_f64 v[15:16], v[15:16], v[45:46]
	v_add_f64 v[13:14], v[13:14], v[23:24]
	s_clause 0x4
	buffer_load_dword v24, off, s[0:3], 0 offset:812
	buffer_load_dword v45, off, s[0:3], 0 offset:824
	;; [unrolled: 1-line block ×5, first 2 shown]
	ds_read_b128 v[1:4], v56 offset:1440
	s_waitcnt vmcnt(57) lgkmcnt(1)
	v_mul_f64 v[115:116], v[5:6], v[35:36]
	v_mul_f64 v[35:36], v[7:8], v[35:36]
	s_waitcnt vmcnt(56)
	v_fma_f64 v[73:74], v[9:10], v[75:76], -v[73:74]
	v_add_f64 v[15:16], v[15:16], v[29:30]
	v_fma_f64 v[29:30], v[11:12], v[75:76], v[95:96]
	v_add_f64 v[13:14], v[13:14], v[41:42]
	s_clause 0x2
	buffer_load_dword v46, off, s[0:3], 0 offset:828
	buffer_load_dword v42, off, s[0:3], 0 offset:804
	;; [unrolled: 1-line block ×3, first 2 shown]
	ds_read_b128 v[9:12], v56 offset:1456
	s_waitcnt vmcnt(58) lgkmcnt(1)
	v_mul_f64 v[75:76], v[1:2], v[85:86]
	v_mul_f64 v[85:86], v[3:4], v[85:86]
	s_waitcnt vmcnt(56)
	v_fma_f64 v[35:36], v[5:6], v[39:40], -v[35:36]
	v_fma_f64 v[39:40], v[7:8], v[39:40], v[115:116]
	v_add_f64 v[15:16], v[15:16], v[73:74]
	v_add_f64 v[13:14], v[13:14], v[29:30]
	s_clause 0x4
	buffer_load_dword v30, off, s[0:3], 0 offset:844
	buffer_load_dword v73, off, s[0:3], 0 offset:856
	;; [unrolled: 1-line block ×5, first 2 shown]
	ds_read_b128 v[5:8], v56 offset:1472
	s_waitcnt vmcnt(57) lgkmcnt(1)
	v_mul_f64 v[115:116], v[9:10], v[43:44]
	v_mul_f64 v[43:44], v[11:12], v[43:44]
	s_waitcnt vmcnt(56)
	v_fma_f64 v[85:86], v[1:2], v[87:88], -v[85:86]
	v_add_f64 v[15:16], v[15:16], v[35:36]
	v_fma_f64 v[35:36], v[3:4], v[87:88], v[75:76]
	v_add_f64 v[13:14], v[13:14], v[39:40]
	s_clause 0x2
	buffer_load_dword v74, off, s[0:3], 0 offset:860
	buffer_load_dword v40, off, s[0:3], 0 offset:836
	;; [unrolled: 1-line block ×3, first 2 shown]
	ds_read_b128 v[1:4], v56 offset:1488
	s_waitcnt vmcnt(58) lgkmcnt(1)
	v_mul_f64 v[87:88], v[7:8], v[91:92]
	v_mul_f64 v[75:76], v[5:6], v[91:92]
	s_waitcnt vmcnt(56)
	v_fma_f64 v[43:44], v[9:10], v[65:66], -v[43:44]
	v_fma_f64 v[65:66], v[11:12], v[65:66], v[115:116]
	v_add_f64 v[15:16], v[15:16], v[85:86]
	v_add_f64 v[13:14], v[13:14], v[35:36]
	s_clause 0x2
	buffer_load_dword v36, off, s[0:3], 0 offset:876
	buffer_load_dword v35, off, s[0:3], 0 offset:872
	;; [unrolled: 1-line block ×3, first 2 shown]
	ds_read_b128 v[9:12], v56 offset:1504
	s_waitcnt vmcnt(55) lgkmcnt(1)
	v_mul_f64 v[85:86], v[1:2], v[67:68]
	v_mul_f64 v[67:68], v[3:4], v[67:68]
	s_waitcnt vmcnt(54)
	v_fma_f64 v[87:88], v[5:6], v[93:94], -v[87:88]
	v_add_f64 v[15:16], v[15:16], v[43:44]
	v_fma_f64 v[43:44], v[7:8], v[93:94], v[75:76]
	v_add_f64 v[13:14], v[13:14], v[65:66]
	s_clause 0x1
	buffer_load_dword v66, off, s[0:3], 0 offset:868
	buffer_load_dword v65, off, s[0:3], 0 offset:864
	ds_read_b128 v[5:8], v56 offset:1520
	s_waitcnt vmcnt(55) lgkmcnt(1)
	v_mul_f64 v[75:76], v[9:10], v[81:82]
	v_mul_f64 v[81:82], v[11:12], v[81:82]
	s_waitcnt vmcnt(53)
	v_fma_f64 v[67:68], v[1:2], v[17:18], -v[67:68]
	v_fma_f64 v[17:18], v[3:4], v[17:18], v[85:86]
	ds_read_b128 v[1:4], v56 offset:1536
	v_add_f64 v[15:16], v[15:16], v[87:88]
	v_add_f64 v[13:14], v[13:14], v[43:44]
	s_waitcnt vmcnt(49) lgkmcnt(1)
	v_mul_f64 v[43:44], v[5:6], v[83:84]
	v_mul_f64 v[83:84], v[7:8], v[83:84]
	s_waitcnt vmcnt(48)
	v_fma_f64 v[81:82], v[9:10], v[103:104], -v[81:82]
	v_add_f64 v[15:16], v[15:16], v[67:68]
	v_fma_f64 v[67:68], v[11:12], v[103:104], v[75:76]
	v_add_f64 v[13:14], v[13:14], v[17:18]
	s_clause 0x3
	buffer_load_dword v17, off, s[0:3], 0 offset:128
	buffer_load_dword v18, off, s[0:3], 0 offset:132
	;; [unrolled: 1-line block ×4, first 2 shown]
	ds_read_b128 v[9:12], v56 offset:1552
	s_waitcnt vmcnt(51) lgkmcnt(1)
	v_mul_f64 v[87:88], v[3:4], v[97:98]
	v_mul_f64 v[85:86], v[1:2], v[97:98]
	s_waitcnt vmcnt(49)
	v_fma_f64 v[83:84], v[5:6], v[89:90], -v[83:84]
	v_fma_f64 v[43:44], v[7:8], v[89:90], v[43:44]
	ds_read_b128 v[5:8], v56 offset:1568
	v_add_f64 v[15:16], v[15:16], v[81:82]
	v_add_f64 v[13:14], v[13:14], v[67:68]
	s_waitcnt vmcnt(45) lgkmcnt(1)
	v_mul_f64 v[67:68], v[9:10], v[21:22]
	v_mul_f64 v[21:22], v[11:12], v[21:22]
	s_waitcnt vmcnt(44)
	v_fma_f64 v[81:82], v[1:2], v[107:108], -v[87:88]
	v_add_f64 v[15:16], v[15:16], v[83:84]
	v_fma_f64 v[83:84], v[3:4], v[107:108], v[85:86]
	v_add_f64 v[13:14], v[13:14], v[43:44]
	ds_read_b128 v[1:4], v56 offset:1584
	s_waitcnt vmcnt(43) lgkmcnt(1)
	v_mul_f64 v[85:86], v[7:8], v[105:106]
	v_mul_f64 v[43:44], v[5:6], v[105:106]
	s_waitcnt vmcnt(41)
	v_fma_f64 v[21:22], v[9:10], v[27:28], -v[21:22]
	v_fma_f64 v[27:28], v[11:12], v[27:28], v[67:68]
	ds_read_b128 v[9:12], v56 offset:1600
	v_add_f64 v[15:16], v[15:16], v[81:82]
	v_add_f64 v[13:14], v[13:14], v[83:84]
	s_waitcnt vmcnt(37) lgkmcnt(1)
	v_mul_f64 v[67:68], v[1:2], v[33:34]
	v_mul_f64 v[33:34], v[3:4], v[33:34]
	s_waitcnt vmcnt(36)
	v_fma_f64 v[81:82], v[5:6], v[111:112], -v[85:86]
	v_add_f64 v[15:16], v[15:16], v[21:22]
	v_fma_f64 v[21:22], v[7:8], v[111:112], v[43:44]
	v_add_f64 v[13:14], v[13:14], v[27:28]
	ds_read_b128 v[5:8], v56 offset:1616
	s_waitcnt vmcnt(35) lgkmcnt(1)
	v_mul_f64 v[43:44], v[11:12], v[99:100]
	v_mul_f64 v[27:28], v[9:10], v[99:100]
	s_waitcnt vmcnt(33)
	v_fma_f64 v[33:34], v[1:2], v[25:26], -v[33:34]
	v_fma_f64 v[25:26], v[3:4], v[25:26], v[67:68]
	ds_read_b128 v[1:4], v56 offset:1632
	v_add_f64 v[15:16], v[15:16], v[81:82]
	v_add_f64 v[13:14], v[13:14], v[21:22]
	s_waitcnt vmcnt(29) lgkmcnt(1)
	v_mul_f64 v[21:22], v[5:6], v[19:20]
	v_mul_f64 v[19:20], v[7:8], v[19:20]
	s_waitcnt vmcnt(28)
	v_fma_f64 v[43:44], v[9:10], v[113:114], -v[43:44]
	v_fma_f64 v[27:28], v[11:12], v[113:114], v[27:28]
	ds_read_b128 v[9:12], v56 offset:1648
	v_add_f64 v[15:16], v[15:16], v[33:34]
	v_add_f64 v[13:14], v[13:14], v[25:26]
	;; [unrolled: 9-line block ×3, first 2 shown]
	s_waitcnt vmcnt(21) lgkmcnt(1)
	v_mul_f64 v[27:28], v[9:10], v[23:24]
	v_mul_f64 v[23:24], v[11:12], v[23:24]
	s_waitcnt vmcnt(20)
	v_fma_f64 v[31:32], v[1:2], v[109:110], -v[33:34]
	v_add_f64 v[15:16], v[15:16], v[19:20]
	v_fma_f64 v[19:20], v[3:4], v[109:110], v[25:26]
	v_add_f64 v[13:14], v[13:14], v[21:22]
	ds_read_b128 v[1:4], v56 offset:1680
	s_waitcnt vmcnt(19) lgkmcnt(1)
	v_mul_f64 v[25:26], v[7:8], v[45:46]
	v_mul_f64 v[21:22], v[5:6], v[45:46]
	s_waitcnt vmcnt(17)
	v_fma_f64 v[23:24], v[9:10], v[41:42], -v[23:24]
	v_fma_f64 v[27:28], v[11:12], v[41:42], v[27:28]
	ds_read_b128 v[9:12], v56 offset:1696
	v_add_f64 v[15:16], v[15:16], v[31:32]
	v_add_f64 v[13:14], v[13:14], v[19:20]
	s_waitcnt vmcnt(13) lgkmcnt(1)
	v_mul_f64 v[19:20], v[1:2], v[29:30]
	v_mul_f64 v[29:30], v[3:4], v[29:30]
	s_waitcnt vmcnt(12)
	v_fma_f64 v[25:26], v[5:6], v[101:102], -v[25:26]
	v_fma_f64 v[21:22], v[7:8], v[101:102], v[21:22]
	ds_read_b128 v[5:8], v56 offset:1712
	v_add_f64 v[15:16], v[15:16], v[23:24]
	v_add_f64 v[13:14], v[13:14], v[27:28]
	s_waitcnt vmcnt(11) lgkmcnt(1)
	v_mul_f64 v[27:28], v[11:12], v[73:74]
	v_mul_f64 v[23:24], v[9:10], v[73:74]
	s_waitcnt vmcnt(9)
	v_fma_f64 v[1:2], v[1:2], v[39:40], -v[29:30]
	v_fma_f64 v[3:4], v[3:4], v[39:40], v[19:20]
	v_add_f64 v[15:16], v[15:16], v[25:26]
	v_add_f64 v[13:14], v[13:14], v[21:22]
	s_waitcnt vmcnt(7) lgkmcnt(0)
	v_mul_f64 v[21:22], v[7:8], v[35:36]
	s_waitcnt vmcnt(6)
	v_fma_f64 v[9:10], v[9:10], v[95:96], -v[27:28]
	v_mul_f64 v[19:20], v[5:6], v[35:36]
	v_fma_f64 v[11:12], v[11:12], v[95:96], v[23:24]
	v_add_f64 v[1:2], v[15:16], v[1:2]
	v_add_f64 v[3:4], v[13:14], v[3:4]
	s_waitcnt vmcnt(4)
	v_fma_f64 v[5:6], v[5:6], v[65:66], -v[21:22]
	v_fma_f64 v[7:8], v[7:8], v[65:66], v[19:20]
	v_add_f64 v[1:2], v[1:2], v[9:10]
	v_add_f64 v[3:4], v[3:4], v[11:12]
	;; [unrolled: 1-line block ×4, first 2 shown]
	s_waitcnt vmcnt(2)
	v_add_f64 v[1:2], v[17:18], -v[1:2]
	s_waitcnt vmcnt(0)
	v_add_f64 v[3:4], v[75:76], -v[3:4]
	buffer_store_dword v2, off, s[0:3], 0 offset:132
	buffer_store_dword v1, off, s[0:3], 0 offset:128
	;; [unrolled: 1-line block ×4, first 2 shown]
	v_cmpx_lt_u32_e32 6, v0
	s_cbranch_execz .LBB53_325
; %bb.324:
	v_mov_b32_e32 v4, s60
	v_mov_b32_e32 v5, 0
	s_clause 0x3
	buffer_load_dword v1, v4, s[0:3], 0 offen
	buffer_load_dword v2, v4, s[0:3], 0 offen offset:4
	buffer_load_dword v3, v4, s[0:3], 0 offen offset:8
	buffer_load_dword v4, v4, s[0:3], 0 offen offset:12
	buffer_store_dword v5, off, s[0:3], 0 offset:112
	buffer_store_dword v5, off, s[0:3], 0 offset:116
	;; [unrolled: 1-line block ×4, first 2 shown]
	s_waitcnt vmcnt(0)
	ds_write_b128 v47, v[1:4]
.LBB53_325:
	s_or_b32 exec_lo, exec_lo, s4
	s_waitcnt lgkmcnt(0)
	s_waitcnt_vscnt null, 0x0
	s_barrier
	buffer_gl0_inv
	s_clause 0x37
	buffer_load_dword v17, off, s[0:3], 0 offset:136
	buffer_load_dword v18, off, s[0:3], 0 offset:140
	;; [unrolled: 1-line block ×56, first 2 shown]
	v_mov_b32_e32 v56, 0
	s_mov_b32 s4, exec_lo
	ds_read_b128 v[5:8], v56 offset:976
	s_clause 0x2
	buffer_load_dword v92, off, s[0:3], 0 offset:364
	buffer_load_dword v94, off, s[0:3], 0 offset:340
	;; [unrolled: 1-line block ×3, first 2 shown]
	ds_read_b128 v[1:4], v56 offset:992
	s_clause 0x4
	buffer_load_dword v102, off, s[0:3], 0 offset:380
	buffer_load_dword v103, off, s[0:3], 0 offset:392
	;; [unrolled: 1-line block ×5, first 2 shown]
	ds_read_b128 v[95:98], v56 offset:1008
	s_waitcnt vmcnt(62) lgkmcnt(2)
	v_mul_f64 v[99:100], v[7:8], v[17:18]
	v_mul_f64 v[17:18], v[5:6], v[17:18]
	s_waitcnt vmcnt(60) lgkmcnt(1)
	v_mul_f64 v[106:107], v[3:4], v[13:14]
	v_mul_f64 v[13:14], v[1:2], v[13:14]
	;; [unrolled: 3-line block ×3, first 2 shown]
	v_fma_f64 v[99:100], v[5:6], v[15:16], -v[99:100]
	v_fma_f64 v[15:16], v[7:8], v[15:16], v[17:18]
	s_clause 0x2
	buffer_load_dword v104, off, s[0:3], 0 offset:396
	buffer_load_dword v18, off, s[0:3], 0 offset:372
	;; [unrolled: 1-line block ×3, first 2 shown]
	s_waitcnt vmcnt(57)
	v_fma_f64 v[110:111], v[1:2], v[9:10], -v[106:107]
	ds_read_b128 v[5:8], v56 offset:1024
	v_fma_f64 v[9:10], v[3:4], v[9:10], v[13:14]
	s_waitcnt vmcnt(51)
	v_fma_f64 v[95:96], v[95:96], v[33:34], -v[11:12]
	v_fma_f64 v[33:34], v[97:98], v[33:34], v[108:109]
	v_add_f64 v[99:100], v[99:100], 0
	v_add_f64 v[13:14], v[15:16], 0
	s_clause 0x4
	buffer_load_dword v16, off, s[0:3], 0 offset:412
	buffer_load_dword v107, off, s[0:3], 0 offset:424
	;; [unrolled: 1-line block ×5, first 2 shown]
	s_waitcnt lgkmcnt(0)
	v_mul_f64 v[113:114], v[5:6], v[21:22]
	v_mul_f64 v[21:22], v[7:8], v[21:22]
	ds_read_b128 v[1:4], v56 offset:1040
	s_clause 0x2
	buffer_load_dword v108, off, s[0:3], 0 offset:428
	buffer_load_dword v98, off, s[0:3], 0 offset:404
	;; [unrolled: 1-line block ×3, first 2 shown]
	v_add_f64 v[99:100], v[99:100], v[110:111]
	v_add_f64 v[13:14], v[13:14], v[9:10]
	ds_read_b128 v[9:12], v56 offset:1056
	s_waitcnt vmcnt(58) lgkmcnt(1)
	v_mul_f64 v[109:110], v[1:2], v[25:26]
	v_mul_f64 v[25:26], v[3:4], v[25:26]
	s_waitcnt vmcnt(56)
	v_fma_f64 v[21:22], v[5:6], v[27:28], -v[21:22]
	v_fma_f64 v[27:28], v[7:8], v[27:28], v[113:114]
	s_waitcnt vmcnt(52) lgkmcnt(0)
	v_mul_f64 v[115:116], v[9:10], v[29:30]
	v_add_f64 v[95:96], v[99:100], v[95:96]
	v_add_f64 v[13:14], v[13:14], v[33:34]
	s_clause 0x4
	buffer_load_dword v34, off, s[0:3], 0 offset:444
	buffer_load_dword v99, off, s[0:3], 0 offset:456
	;; [unrolled: 1-line block ×5, first 2 shown]
	v_mul_f64 v[29:30], v[11:12], v[29:30]
	s_waitcnt vmcnt(56)
	v_fma_f64 v[25:26], v[1:2], v[19:20], -v[25:26]
	ds_read_b128 v[5:8], v56 offset:1072
	v_fma_f64 v[19:20], v[3:4], v[19:20], v[109:110]
	v_add_f64 v[21:22], v[95:96], v[21:22]
	v_add_f64 v[13:14], v[13:14], v[27:28]
	s_clause 0x2
	buffer_load_dword v100, off, s[0:3], 0 offset:460
	buffer_load_dword v28, off, s[0:3], 0 offset:436
	;; [unrolled: 1-line block ×3, first 2 shown]
	s_waitcnt vmcnt(58) lgkmcnt(0)
	v_mul_f64 v[95:96], v[5:6], v[35:36]
	v_mul_f64 v[35:36], v[7:8], v[35:36]
	s_waitcnt vmcnt(56)
	v_fma_f64 v[29:30], v[9:10], v[37:38], -v[29:30]
	ds_read_b128 v[1:4], v56 offset:1088
	v_add_f64 v[21:22], v[21:22], v[25:26]
	v_fma_f64 v[25:26], v[11:12], v[37:38], v[115:116]
	v_add_f64 v[13:14], v[13:14], v[19:20]
	s_clause 0x4
	buffer_load_dword v20, off, s[0:3], 0 offset:476
	buffer_load_dword v37, off, s[0:3], 0 offset:488
	;; [unrolled: 1-line block ×5, first 2 shown]
	s_waitcnt vmcnt(57) lgkmcnt(0)
	v_mul_f64 v[110:111], v[1:2], v[39:40]
	v_mul_f64 v[39:40], v[3:4], v[39:40]
	s_waitcnt vmcnt(56)
	v_fma_f64 v[35:36], v[5:6], v[23:24], -v[35:36]
	ds_read_b128 v[9:12], v56 offset:1104
	v_fma_f64 v[23:24], v[7:8], v[23:24], v[95:96]
	v_add_f64 v[21:22], v[21:22], v[29:30]
	v_add_f64 v[13:14], v[13:14], v[25:26]
	s_clause 0x2
	buffer_load_dword v38, off, s[0:3], 0 offset:492
	buffer_load_dword v26, off, s[0:3], 0 offset:468
	buffer_load_dword v25, off, s[0:3], 0 offset:464
	ds_read_b128 v[5:8], v56 offset:1120
	s_waitcnt vmcnt(58) lgkmcnt(1)
	v_mul_f64 v[29:30], v[9:10], v[43:44]
	v_mul_f64 v[43:44], v[11:12], v[43:44]
	s_waitcnt vmcnt(56)
	v_fma_f64 v[39:40], v[1:2], v[45:46], -v[39:40]
	v_add_f64 v[21:22], v[21:22], v[35:36]
	v_fma_f64 v[35:36], v[3:4], v[45:46], v[110:111]
	v_add_f64 v[13:14], v[13:14], v[23:24]
	s_clause 0x4
	buffer_load_dword v24, off, s[0:3], 0 offset:508
	buffer_load_dword v45, off, s[0:3], 0 offset:520
	;; [unrolled: 1-line block ×5, first 2 shown]
	s_waitcnt vmcnt(57) lgkmcnt(0)
	v_mul_f64 v[116:117], v[5:6], v[65:66]
	v_mul_f64 v[65:66], v[7:8], v[65:66]
	s_waitcnt vmcnt(56)
	v_fma_f64 v[43:44], v[9:10], v[31:32], -v[43:44]
	ds_read_b128 v[1:4], v56 offset:1136
	v_fma_f64 v[29:30], v[11:12], v[31:32], v[29:30]
	s_clause 0x2
	buffer_load_dword v46, off, s[0:3], 0 offset:524
	buffer_load_dword v32, off, s[0:3], 0 offset:500
	;; [unrolled: 1-line block ×3, first 2 shown]
	ds_read_b128 v[9:12], v56 offset:1152
	v_add_f64 v[21:22], v[21:22], v[39:40]
	v_add_f64 v[13:14], v[13:14], v[35:36]
	s_waitcnt vmcnt(58) lgkmcnt(1)
	v_mul_f64 v[39:40], v[3:4], v[73:74]
	s_waitcnt vmcnt(56)
	v_fma_f64 v[65:66], v[5:6], v[75:76], -v[65:66]
	v_mul_f64 v[35:36], v[1:2], v[73:74]
	v_add_f64 v[21:22], v[21:22], v[43:44]
	v_fma_f64 v[43:44], v[7:8], v[75:76], v[116:117]
	v_add_f64 v[13:14], v[13:14], v[29:30]
	s_clause 0x4
	buffer_load_dword v30, off, s[0:3], 0 offset:540
	buffer_load_dword v73, off, s[0:3], 0 offset:552
	;; [unrolled: 1-line block ×5, first 2 shown]
	s_waitcnt vmcnt(57) lgkmcnt(0)
	v_mul_f64 v[116:117], v[9:10], v[81:82]
	v_mul_f64 v[81:82], v[11:12], v[81:82]
	s_waitcnt vmcnt(56)
	v_fma_f64 v[39:40], v[1:2], v[41:42], -v[39:40]
	ds_read_b128 v[5:8], v56 offset:1168
	v_fma_f64 v[35:36], v[3:4], v[41:42], v[35:36]
	s_clause 0x2
	buffer_load_dword v74, off, s[0:3], 0 offset:556
	buffer_load_dword v42, off, s[0:3], 0 offset:532
	;; [unrolled: 1-line block ×3, first 2 shown]
	ds_read_b128 v[1:4], v56 offset:1184
	v_add_f64 v[21:22], v[21:22], v[65:66]
	v_add_f64 v[13:14], v[13:14], v[43:44]
	s_waitcnt vmcnt(58) lgkmcnt(1)
	v_mul_f64 v[65:66], v[7:8], v[85:86]
	s_waitcnt vmcnt(56)
	v_fma_f64 v[81:82], v[9:10], v[87:88], -v[81:82]
	v_mul_f64 v[43:44], v[5:6], v[85:86]
	v_add_f64 v[21:22], v[21:22], v[39:40]
	v_fma_f64 v[39:40], v[11:12], v[87:88], v[116:117]
	v_add_f64 v[13:14], v[13:14], v[35:36]
	s_clause 0x4
	buffer_load_dword v36, off, s[0:3], 0 offset:572
	buffer_load_dword v85, off, s[0:3], 0 offset:584
	;; [unrolled: 1-line block ×5, first 2 shown]
	s_waitcnt vmcnt(57) lgkmcnt(0)
	v_mul_f64 v[116:117], v[1:2], v[89:90]
	v_mul_f64 v[88:89], v[3:4], v[89:90]
	s_waitcnt vmcnt(56)
	v_fma_f64 v[65:66], v[5:6], v[67:68], -v[65:66]
	ds_read_b128 v[9:12], v56 offset:1200
	v_fma_f64 v[43:44], v[7:8], v[67:68], v[43:44]
	v_add_f64 v[21:22], v[21:22], v[81:82]
	v_add_f64 v[13:14], v[13:14], v[39:40]
	s_clause 0x2
	buffer_load_dword v86, off, s[0:3], 0 offset:588
	buffer_load_dword v40, off, s[0:3], 0 offset:564
	;; [unrolled: 1-line block ×3, first 2 shown]
	ds_read_b128 v[5:8], v56 offset:1216
	s_waitcnt vmcnt(58) lgkmcnt(1)
	v_mul_f64 v[81:82], v[11:12], v[91:92]
	s_waitcnt vmcnt(56)
	v_fma_f64 v[89:90], v[1:2], v[93:94], -v[88:89]
	v_mul_f64 v[67:68], v[9:10], v[91:92]
	v_add_f64 v[21:22], v[21:22], v[65:66]
	v_fma_f64 v[65:66], v[3:4], v[93:94], v[116:117]
	v_add_f64 v[13:14], v[13:14], v[43:44]
	s_clause 0x4
	buffer_load_dword v44, off, s[0:3], 0 offset:604
	buffer_load_dword v91, off, s[0:3], 0 offset:616
	;; [unrolled: 1-line block ×5, first 2 shown]
	s_waitcnt vmcnt(57) lgkmcnt(0)
	v_mul_f64 v[116:117], v[5:6], v[101:102]
	v_mul_f64 v[101:102], v[7:8], v[101:102]
	s_waitcnt vmcnt(56)
	v_fma_f64 v[81:82], v[9:10], v[83:84], -v[81:82]
	ds_read_b128 v[1:4], v56 offset:1232
	v_fma_f64 v[67:68], v[11:12], v[83:84], v[67:68]
	v_add_f64 v[21:22], v[21:22], v[89:90]
	v_add_f64 v[13:14], v[13:14], v[65:66]
	s_clause 0x2
	buffer_load_dword v92, off, s[0:3], 0 offset:620
	buffer_load_dword v66, off, s[0:3], 0 offset:596
	;; [unrolled: 1-line block ×3, first 2 shown]
	ds_read_b128 v[9:12], v56 offset:1248
	s_waitcnt vmcnt(58) lgkmcnt(1)
	v_mul_f64 v[89:90], v[3:4], v[103:104]
	v_mul_f64 v[83:84], v[1:2], v[103:104]
	s_waitcnt vmcnt(56)
	v_fma_f64 v[101:102], v[5:6], v[17:18], -v[101:102]
	v_fma_f64 v[17:18], v[7:8], v[17:18], v[116:117]
	v_add_f64 v[21:22], v[21:22], v[81:82]
	v_add_f64 v[13:14], v[13:14], v[67:68]
	s_clause 0x4
	buffer_load_dword v68, off, s[0:3], 0 offset:636
	buffer_load_dword v81, off, s[0:3], 0 offset:648
	;; [unrolled: 1-line block ×5, first 2 shown]
	ds_read_b128 v[5:8], v56 offset:1264
	s_waitcnt vmcnt(57) lgkmcnt(1)
	v_mul_f64 v[116:117], v[9:10], v[15:16]
	v_mul_f64 v[15:16], v[11:12], v[15:16]
	s_waitcnt vmcnt(56)
	v_fma_f64 v[89:90], v[1:2], v[105:106], -v[89:90]
	v_fma_f64 v[83:84], v[3:4], v[105:106], v[83:84]
	v_add_f64 v[21:22], v[21:22], v[101:102]
	v_add_f64 v[13:14], v[13:14], v[17:18]
	s_clause 0x2
	buffer_load_dword v82, off, s[0:3], 0 offset:652
	buffer_load_dword v18, off, s[0:3], 0 offset:628
	;; [unrolled: 1-line block ×3, first 2 shown]
	s_waitcnt vmcnt(58) lgkmcnt(0)
	v_mul_f64 v[105:106], v[7:8], v[107:108]
	ds_read_b128 v[1:4], v56 offset:1280
	v_mul_f64 v[101:102], v[5:6], v[107:108]
	s_waitcnt vmcnt(56)
	v_fma_f64 v[15:16], v[9:10], v[97:98], -v[15:16]
	v_add_f64 v[21:22], v[21:22], v[89:90]
	v_fma_f64 v[89:90], v[11:12], v[97:98], v[116:117]
	v_add_f64 v[13:14], v[13:14], v[83:84]
	s_clause 0x4
	buffer_load_dword v84, off, s[0:3], 0 offset:668
	buffer_load_dword v97, off, s[0:3], 0 offset:680
	;; [unrolled: 1-line block ×5, first 2 shown]
	ds_read_b128 v[9:12], v56 offset:1296
	s_waitcnt vmcnt(57) lgkmcnt(1)
	v_mul_f64 v[116:117], v[1:2], v[33:34]
	v_mul_f64 v[33:34], v[3:4], v[33:34]
	s_waitcnt vmcnt(56)
	v_fma_f64 v[105:106], v[5:6], v[112:113], -v[105:106]
	v_add_f64 v[15:16], v[21:22], v[15:16]
	v_fma_f64 v[21:22], v[7:8], v[112:113], v[101:102]
	v_add_f64 v[13:14], v[13:14], v[89:90]
	s_clause 0x2
	buffer_load_dword v98, off, s[0:3], 0 offset:684
	buffer_load_dword v90, off, s[0:3], 0 offset:660
	;; [unrolled: 1-line block ×3, first 2 shown]
	ds_read_b128 v[5:8], v56 offset:1312
	s_waitcnt vmcnt(58) lgkmcnt(1)
	v_mul_f64 v[101:102], v[9:10], v[99:100]
	v_mul_f64 v[99:100], v[11:12], v[99:100]
	s_waitcnt vmcnt(56)
	v_fma_f64 v[33:34], v[1:2], v[27:28], -v[33:34]
	v_fma_f64 v[27:28], v[3:4], v[27:28], v[116:117]
	v_add_f64 v[15:16], v[15:16], v[105:106]
	v_add_f64 v[13:14], v[13:14], v[21:22]
	s_clause 0x4
	buffer_load_dword v22, off, s[0:3], 0 offset:700
	buffer_load_dword v105, off, s[0:3], 0 offset:712
	;; [unrolled: 1-line block ×5, first 2 shown]
	ds_read_b128 v[1:4], v56 offset:1328
	s_waitcnt vmcnt(57) lgkmcnt(1)
	v_mul_f64 v[112:113], v[5:6], v[19:20]
	v_mul_f64 v[19:20], v[7:8], v[19:20]
	s_waitcnt vmcnt(56)
	v_fma_f64 v[99:100], v[9:10], v[114:115], -v[99:100]
	v_add_f64 v[15:16], v[15:16], v[33:34]
	v_fma_f64 v[33:34], v[11:12], v[114:115], v[101:102]
	v_add_f64 v[13:14], v[13:14], v[27:28]
	s_clause 0x2
	buffer_load_dword v106, off, s[0:3], 0 offset:716
	buffer_load_dword v28, off, s[0:3], 0 offset:692
	;; [unrolled: 1-line block ×3, first 2 shown]
	ds_read_b128 v[9:12], v56 offset:1344
	s_waitcnt vmcnt(58) lgkmcnt(1)
	v_mul_f64 v[101:102], v[1:2], v[37:38]
	v_mul_f64 v[37:38], v[3:4], v[37:38]
	s_waitcnt vmcnt(56)
	v_fma_f64 v[19:20], v[5:6], v[25:26], -v[19:20]
	v_fma_f64 v[25:26], v[7:8], v[25:26], v[112:113]
	v_add_f64 v[15:16], v[15:16], v[99:100]
	v_add_f64 v[13:14], v[13:14], v[33:34]
	s_clause 0x4
	buffer_load_dword v34, off, s[0:3], 0 offset:732
	buffer_load_dword v99, off, s[0:3], 0 offset:744
	;; [unrolled: 1-line block ×5, first 2 shown]
	ds_read_b128 v[5:8], v56 offset:1360
	s_waitcnt vmcnt(57) lgkmcnt(1)
	v_mul_f64 v[114:115], v[9:10], v[23:24]
	v_mul_f64 v[23:24], v[11:12], v[23:24]
	s_waitcnt vmcnt(56)
	v_fma_f64 v[37:38], v[1:2], v[109:110], -v[37:38]
	v_add_f64 v[15:16], v[15:16], v[19:20]
	v_fma_f64 v[19:20], v[3:4], v[109:110], v[101:102]
	v_add_f64 v[13:14], v[13:14], v[25:26]
	s_clause 0x2
	buffer_load_dword v100, off, s[0:3], 0 offset:748
	buffer_load_dword v26, off, s[0:3], 0 offset:724
	;; [unrolled: 1-line block ×3, first 2 shown]
	s_waitcnt vmcnt(58) lgkmcnt(0)
	v_mul_f64 v[101:102], v[5:6], v[45:46]
	v_mul_f64 v[45:46], v[7:8], v[45:46]
	ds_read_b128 v[1:4], v56 offset:1376
	s_waitcnt vmcnt(56)
	v_fma_f64 v[23:24], v[9:10], v[31:32], -v[23:24]
	v_fma_f64 v[31:32], v[11:12], v[31:32], v[114:115]
	v_add_f64 v[15:16], v[15:16], v[37:38]
	v_add_f64 v[13:14], v[13:14], v[19:20]
	s_clause 0x4
	buffer_load_dword v20, off, s[0:3], 0 offset:764
	buffer_load_dword v37, off, s[0:3], 0 offset:776
	;; [unrolled: 1-line block ×5, first 2 shown]
	ds_read_b128 v[9:12], v56 offset:1392
	s_waitcnt vmcnt(57) lgkmcnt(1)
	v_mul_f64 v[115:116], v[1:2], v[29:30]
	v_mul_f64 v[29:30], v[3:4], v[29:30]
	s_waitcnt vmcnt(56)
	v_fma_f64 v[45:46], v[5:6], v[95:96], -v[45:46]
	v_add_f64 v[15:16], v[15:16], v[23:24]
	v_fma_f64 v[23:24], v[7:8], v[95:96], v[101:102]
	v_add_f64 v[13:14], v[13:14], v[31:32]
	s_clause 0x2
	buffer_load_dword v38, off, s[0:3], 0 offset:780
	buffer_load_dword v32, off, s[0:3], 0 offset:756
	;; [unrolled: 1-line block ×3, first 2 shown]
	s_waitcnt vmcnt(58) lgkmcnt(0)
	v_mul_f64 v[95:96], v[9:10], v[73:74]
	v_mul_f64 v[73:74], v[11:12], v[73:74]
	ds_read_b128 v[5:8], v56 offset:1408
	s_waitcnt vmcnt(56)
	v_fma_f64 v[29:30], v[1:2], v[41:42], -v[29:30]
	v_fma_f64 v[41:42], v[3:4], v[41:42], v[115:116]
	v_add_f64 v[15:16], v[15:16], v[45:46]
	v_add_f64 v[13:14], v[13:14], v[23:24]
	s_clause 0x4
	buffer_load_dword v24, off, s[0:3], 0 offset:796
	buffer_load_dword v45, off, s[0:3], 0 offset:808
	;; [unrolled: 1-line block ×5, first 2 shown]
	ds_read_b128 v[1:4], v56 offset:1424
	s_waitcnt vmcnt(57) lgkmcnt(1)
	v_mul_f64 v[115:116], v[5:6], v[35:36]
	v_mul_f64 v[35:36], v[7:8], v[35:36]
	s_waitcnt vmcnt(56)
	v_fma_f64 v[73:74], v[9:10], v[75:76], -v[73:74]
	v_add_f64 v[15:16], v[15:16], v[29:30]
	v_fma_f64 v[29:30], v[11:12], v[75:76], v[95:96]
	v_add_f64 v[13:14], v[13:14], v[41:42]
	s_clause 0x2
	buffer_load_dword v46, off, s[0:3], 0 offset:812
	buffer_load_dword v42, off, s[0:3], 0 offset:788
	;; [unrolled: 1-line block ×3, first 2 shown]
	ds_read_b128 v[9:12], v56 offset:1440
	s_waitcnt vmcnt(58) lgkmcnt(1)
	v_mul_f64 v[75:76], v[1:2], v[85:86]
	v_mul_f64 v[85:86], v[3:4], v[85:86]
	s_waitcnt vmcnt(56)
	v_fma_f64 v[35:36], v[5:6], v[39:40], -v[35:36]
	v_fma_f64 v[39:40], v[7:8], v[39:40], v[115:116]
	v_add_f64 v[15:16], v[15:16], v[73:74]
	v_add_f64 v[13:14], v[13:14], v[29:30]
	s_clause 0x4
	buffer_load_dword v30, off, s[0:3], 0 offset:828
	buffer_load_dword v73, off, s[0:3], 0 offset:840
	;; [unrolled: 1-line block ×5, first 2 shown]
	ds_read_b128 v[5:8], v56 offset:1456
	s_waitcnt vmcnt(57) lgkmcnt(1)
	v_mul_f64 v[115:116], v[9:10], v[43:44]
	v_mul_f64 v[43:44], v[11:12], v[43:44]
	s_waitcnt vmcnt(56)
	v_fma_f64 v[85:86], v[1:2], v[87:88], -v[85:86]
	v_add_f64 v[15:16], v[15:16], v[35:36]
	v_fma_f64 v[35:36], v[3:4], v[87:88], v[75:76]
	v_add_f64 v[13:14], v[13:14], v[39:40]
	s_clause 0x2
	buffer_load_dword v74, off, s[0:3], 0 offset:844
	buffer_load_dword v40, off, s[0:3], 0 offset:820
	;; [unrolled: 1-line block ×3, first 2 shown]
	ds_read_b128 v[1:4], v56 offset:1472
	s_waitcnt vmcnt(58) lgkmcnt(1)
	v_mul_f64 v[87:88], v[7:8], v[91:92]
	v_mul_f64 v[75:76], v[5:6], v[91:92]
	s_waitcnt vmcnt(56)
	v_fma_f64 v[43:44], v[9:10], v[65:66], -v[43:44]
	v_fma_f64 v[65:66], v[11:12], v[65:66], v[115:116]
	v_add_f64 v[15:16], v[15:16], v[85:86]
	v_add_f64 v[13:14], v[13:14], v[35:36]
	s_clause 0x4
	buffer_load_dword v36, off, s[0:3], 0 offset:860
	buffer_load_dword v85, off, s[0:3], 0 offset:872
	;; [unrolled: 1-line block ×5, first 2 shown]
	ds_read_b128 v[9:12], v56 offset:1488
	s_waitcnt vmcnt(57) lgkmcnt(1)
	v_mul_f64 v[115:116], v[1:2], v[67:68]
	v_mul_f64 v[67:68], v[3:4], v[67:68]
	s_waitcnt vmcnt(56)
	v_fma_f64 v[87:88], v[5:6], v[93:94], -v[87:88]
	v_add_f64 v[15:16], v[15:16], v[43:44]
	v_fma_f64 v[43:44], v[7:8], v[93:94], v[75:76]
	v_add_f64 v[13:14], v[13:14], v[65:66]
	s_clause 0x2
	buffer_load_dword v86, off, s[0:3], 0 offset:876
	buffer_load_dword v66, off, s[0:3], 0 offset:852
	;; [unrolled: 1-line block ×3, first 2 shown]
	ds_read_b128 v[5:8], v56 offset:1504
	buffer_load_dword v92, off, s[0:3], 0 offset:868
	s_waitcnt vmcnt(59) lgkmcnt(1)
	v_mul_f64 v[75:76], v[9:10], v[81:82]
	v_mul_f64 v[81:82], v[11:12], v[81:82]
	s_waitcnt vmcnt(57)
	v_fma_f64 v[67:68], v[1:2], v[17:18], -v[67:68]
	v_fma_f64 v[17:18], v[3:4], v[17:18], v[115:116]
	ds_read_b128 v[1:4], v56 offset:1520
	v_add_f64 v[15:16], v[15:16], v[87:88]
	v_add_f64 v[13:14], v[13:14], v[43:44]
	s_waitcnt vmcnt(53) lgkmcnt(1)
	v_mul_f64 v[43:44], v[5:6], v[83:84]
	v_mul_f64 v[83:84], v[7:8], v[83:84]
	s_waitcnt vmcnt(52)
	v_fma_f64 v[81:82], v[9:10], v[103:104], -v[81:82]
	v_add_f64 v[15:16], v[15:16], v[67:68]
	v_fma_f64 v[67:68], v[11:12], v[103:104], v[75:76]
	v_add_f64 v[13:14], v[13:14], v[17:18]
	ds_read_b128 v[9:12], v56 offset:1536
	s_waitcnt vmcnt(51) lgkmcnt(1)
	v_mul_f64 v[75:76], v[3:4], v[97:98]
	v_mul_f64 v[17:18], v[1:2], v[97:98]
	s_waitcnt vmcnt(49)
	v_fma_f64 v[83:84], v[5:6], v[89:90], -v[83:84]
	v_fma_f64 v[43:44], v[7:8], v[89:90], v[43:44]
	v_add_f64 v[15:16], v[15:16], v[81:82]
	v_add_f64 v[13:14], v[13:14], v[67:68]
	s_clause 0x3
	buffer_load_dword v67, off, s[0:3], 0 offset:112
	buffer_load_dword v68, off, s[0:3], 0 offset:116
	;; [unrolled: 1-line block ×4, first 2 shown]
	ds_read_b128 v[5:8], v56 offset:1552
	s_waitcnt vmcnt(49) lgkmcnt(1)
	v_mul_f64 v[87:88], v[9:10], v[21:22]
	v_mul_f64 v[21:22], v[11:12], v[21:22]
	s_waitcnt vmcnt(48)
	v_fma_f64 v[75:76], v[1:2], v[107:108], -v[75:76]
	v_fma_f64 v[17:18], v[3:4], v[107:108], v[17:18]
	ds_read_b128 v[1:4], v56 offset:1568
	v_add_f64 v[15:16], v[15:16], v[83:84]
	v_add_f64 v[13:14], v[13:14], v[43:44]
	s_waitcnt vmcnt(47) lgkmcnt(1)
	v_mul_f64 v[83:84], v[7:8], v[105:106]
	v_mul_f64 v[43:44], v[5:6], v[105:106]
	s_waitcnt vmcnt(45)
	v_fma_f64 v[21:22], v[9:10], v[27:28], -v[21:22]
	v_fma_f64 v[27:28], v[11:12], v[27:28], v[87:88]
	ds_read_b128 v[9:12], v56 offset:1584
	v_add_f64 v[15:16], v[15:16], v[75:76]
	v_add_f64 v[13:14], v[13:14], v[17:18]
	s_waitcnt vmcnt(41) lgkmcnt(1)
	v_mul_f64 v[17:18], v[1:2], v[33:34]
	v_mul_f64 v[33:34], v[3:4], v[33:34]
	s_waitcnt vmcnt(40)
	v_fma_f64 v[75:76], v[5:6], v[111:112], -v[83:84]
	v_add_f64 v[15:16], v[15:16], v[21:22]
	v_fma_f64 v[21:22], v[7:8], v[111:112], v[43:44]
	v_add_f64 v[13:14], v[13:14], v[27:28]
	ds_read_b128 v[5:8], v56 offset:1600
	s_waitcnt vmcnt(39) lgkmcnt(1)
	v_mul_f64 v[43:44], v[11:12], v[99:100]
	v_mul_f64 v[27:28], v[9:10], v[99:100]
	s_waitcnt vmcnt(37)
	v_fma_f64 v[33:34], v[1:2], v[25:26], -v[33:34]
	v_fma_f64 v[17:18], v[3:4], v[25:26], v[17:18]
	ds_read_b128 v[1:4], v56 offset:1616
	v_add_f64 v[15:16], v[15:16], v[75:76]
	v_add_f64 v[13:14], v[13:14], v[21:22]
	s_waitcnt vmcnt(33) lgkmcnt(1)
	v_mul_f64 v[21:22], v[5:6], v[19:20]
	v_mul_f64 v[19:20], v[7:8], v[19:20]
	s_waitcnt vmcnt(32)
	v_fma_f64 v[25:26], v[9:10], v[113:114], -v[43:44]
	v_fma_f64 v[27:28], v[11:12], v[113:114], v[27:28]
	ds_read_b128 v[9:12], v56 offset:1632
	v_add_f64 v[15:16], v[15:16], v[33:34]
	v_add_f64 v[13:14], v[13:14], v[17:18]
	;; [unrolled: 9-line block ×5, first 2 shown]
	s_waitcnt vmcnt(17) lgkmcnt(1)
	v_mul_f64 v[27:28], v[3:4], v[29:30]
	s_waitcnt vmcnt(16)
	v_fma_f64 v[21:22], v[5:6], v[101:102], -v[21:22]
	v_mul_f64 v[17:18], v[1:2], v[29:30]
	v_fma_f64 v[19:20], v[7:8], v[101:102], v[19:20]
	ds_read_b128 v[5:8], v56 offset:1696
	v_add_f64 v[15:16], v[15:16], v[23:24]
	v_add_f64 v[13:14], v[13:14], v[25:26]
	s_waitcnt vmcnt(15) lgkmcnt(1)
	v_mul_f64 v[25:26], v[11:12], v[73:74]
	v_mul_f64 v[23:24], v[9:10], v[73:74]
	s_waitcnt vmcnt(13)
	v_fma_f64 v[27:28], v[1:2], v[39:40], -v[27:28]
	v_fma_f64 v[17:18], v[3:4], v[39:40], v[17:18]
	ds_read_b128 v[1:4], v56 offset:1712
	v_add_f64 v[15:16], v[15:16], v[21:22]
	v_add_f64 v[13:14], v[13:14], v[19:20]
	s_waitcnt vmcnt(9) lgkmcnt(1)
	v_mul_f64 v[21:22], v[7:8], v[35:36]
	s_waitcnt vmcnt(8)
	v_fma_f64 v[9:10], v[9:10], v[95:96], -v[25:26]
	v_mul_f64 v[19:20], v[5:6], v[35:36]
	v_fma_f64 v[11:12], v[11:12], v[95:96], v[23:24]
	v_add_f64 v[15:16], v[15:16], v[27:28]
	v_add_f64 v[13:14], v[13:14], v[17:18]
	s_waitcnt vmcnt(7) lgkmcnt(0)
	v_mul_f64 v[23:24], v[3:4], v[85:86]
	v_mul_f64 v[17:18], v[1:2], v[85:86]
	s_waitcnt vmcnt(5)
	v_fma_f64 v[5:6], v[5:6], v[65:66], -v[21:22]
	v_fma_f64 v[7:8], v[7:8], v[65:66], v[19:20]
	v_add_f64 v[9:10], v[15:16], v[9:10]
	v_add_f64 v[11:12], v[13:14], v[11:12]
	s_waitcnt vmcnt(4)
	v_fma_f64 v[1:2], v[1:2], v[91:92], -v[23:24]
	v_fma_f64 v[3:4], v[3:4], v[91:92], v[17:18]
	v_add_f64 v[5:6], v[9:10], v[5:6]
	v_add_f64 v[7:8], v[11:12], v[7:8]
	;; [unrolled: 1-line block ×4, first 2 shown]
	s_waitcnt vmcnt(2)
	v_add_f64 v[1:2], v[67:68], -v[1:2]
	s_waitcnt vmcnt(0)
	v_add_f64 v[3:4], v[81:82], -v[3:4]
	buffer_store_dword v2, off, s[0:3], 0 offset:116
	buffer_store_dword v1, off, s[0:3], 0 offset:112
	buffer_store_dword v4, off, s[0:3], 0 offset:124
	buffer_store_dword v3, off, s[0:3], 0 offset:120
	v_cmpx_lt_u32_e32 5, v0
	s_cbranch_execz .LBB53_327
; %bb.326:
	v_mov_b32_e32 v4, s61
	s_clause 0x3
	buffer_load_dword v1, v4, s[0:3], 0 offen
	buffer_load_dword v2, v4, s[0:3], 0 offen offset:4
	buffer_load_dword v3, v4, s[0:3], 0 offen offset:8
	;; [unrolled: 1-line block ×3, first 2 shown]
	buffer_store_dword v56, off, s[0:3], 0 offset:96
	buffer_store_dword v56, off, s[0:3], 0 offset:100
	;; [unrolled: 1-line block ×4, first 2 shown]
	s_waitcnt vmcnt(0)
	ds_write_b128 v47, v[1:4]
.LBB53_327:
	s_or_b32 exec_lo, exec_lo, s4
	s_waitcnt lgkmcnt(0)
	s_waitcnt_vscnt null, 0x0
	s_barrier
	buffer_gl0_inv
	s_clause 0x37
	buffer_load_dword v17, off, s[0:3], 0 offset:120
	buffer_load_dword v18, off, s[0:3], 0 offset:124
	;; [unrolled: 1-line block ×56, first 2 shown]
	ds_read_b128 v[5:8], v56 offset:960
	s_clause 0x2
	buffer_load_dword v92, off, s[0:3], 0 offset:348
	buffer_load_dword v94, off, s[0:3], 0 offset:324
	;; [unrolled: 1-line block ×3, first 2 shown]
	ds_read_b128 v[1:4], v56 offset:976
	s_clause 0x4
	buffer_load_dword v102, off, s[0:3], 0 offset:364
	buffer_load_dword v103, off, s[0:3], 0 offset:376
	;; [unrolled: 1-line block ×5, first 2 shown]
	ds_read_b128 v[95:98], v56 offset:992
	s_mov_b32 s4, exec_lo
	s_waitcnt vmcnt(62) lgkmcnt(2)
	v_mul_f64 v[99:100], v[7:8], v[17:18]
	v_mul_f64 v[17:18], v[5:6], v[17:18]
	s_waitcnt vmcnt(60) lgkmcnt(1)
	v_mul_f64 v[106:107], v[3:4], v[13:14]
	v_mul_f64 v[13:14], v[1:2], v[13:14]
	;; [unrolled: 3-line block ×3, first 2 shown]
	v_fma_f64 v[99:100], v[5:6], v[15:16], -v[99:100]
	v_fma_f64 v[15:16], v[7:8], v[15:16], v[17:18]
	s_clause 0x2
	buffer_load_dword v104, off, s[0:3], 0 offset:380
	buffer_load_dword v18, off, s[0:3], 0 offset:356
	;; [unrolled: 1-line block ×3, first 2 shown]
	s_waitcnt vmcnt(57)
	v_fma_f64 v[110:111], v[1:2], v[9:10], -v[106:107]
	ds_read_b128 v[5:8], v56 offset:1008
	v_fma_f64 v[9:10], v[3:4], v[9:10], v[13:14]
	s_waitcnt vmcnt(51)
	v_fma_f64 v[95:96], v[95:96], v[33:34], -v[11:12]
	v_fma_f64 v[33:34], v[97:98], v[33:34], v[108:109]
	v_add_f64 v[99:100], v[99:100], 0
	v_add_f64 v[13:14], v[15:16], 0
	s_clause 0x4
	buffer_load_dword v16, off, s[0:3], 0 offset:396
	buffer_load_dword v107, off, s[0:3], 0 offset:408
	;; [unrolled: 1-line block ×5, first 2 shown]
	s_waitcnt lgkmcnt(0)
	v_mul_f64 v[113:114], v[5:6], v[21:22]
	v_mul_f64 v[21:22], v[7:8], v[21:22]
	ds_read_b128 v[1:4], v56 offset:1024
	s_clause 0x2
	buffer_load_dword v108, off, s[0:3], 0 offset:412
	buffer_load_dword v98, off, s[0:3], 0 offset:388
	;; [unrolled: 1-line block ×3, first 2 shown]
	v_add_f64 v[99:100], v[99:100], v[110:111]
	v_add_f64 v[13:14], v[13:14], v[9:10]
	ds_read_b128 v[9:12], v56 offset:1040
	s_waitcnt vmcnt(58) lgkmcnt(1)
	v_mul_f64 v[109:110], v[1:2], v[25:26]
	v_mul_f64 v[25:26], v[3:4], v[25:26]
	s_waitcnt vmcnt(56)
	v_fma_f64 v[21:22], v[5:6], v[27:28], -v[21:22]
	v_fma_f64 v[27:28], v[7:8], v[27:28], v[113:114]
	s_waitcnt vmcnt(52) lgkmcnt(0)
	v_mul_f64 v[115:116], v[9:10], v[29:30]
	v_add_f64 v[95:96], v[99:100], v[95:96]
	v_add_f64 v[13:14], v[13:14], v[33:34]
	s_clause 0x4
	buffer_load_dword v34, off, s[0:3], 0 offset:428
	buffer_load_dword v99, off, s[0:3], 0 offset:440
	;; [unrolled: 1-line block ×5, first 2 shown]
	v_mul_f64 v[29:30], v[11:12], v[29:30]
	s_waitcnt vmcnt(56)
	v_fma_f64 v[25:26], v[1:2], v[19:20], -v[25:26]
	ds_read_b128 v[5:8], v56 offset:1056
	v_fma_f64 v[19:20], v[3:4], v[19:20], v[109:110]
	v_add_f64 v[21:22], v[95:96], v[21:22]
	v_add_f64 v[13:14], v[13:14], v[27:28]
	s_clause 0x2
	buffer_load_dword v100, off, s[0:3], 0 offset:444
	buffer_load_dword v28, off, s[0:3], 0 offset:420
	;; [unrolled: 1-line block ×3, first 2 shown]
	s_waitcnt vmcnt(58) lgkmcnt(0)
	v_mul_f64 v[95:96], v[5:6], v[35:36]
	v_mul_f64 v[35:36], v[7:8], v[35:36]
	s_waitcnt vmcnt(56)
	v_fma_f64 v[29:30], v[9:10], v[37:38], -v[29:30]
	ds_read_b128 v[1:4], v56 offset:1072
	v_add_f64 v[21:22], v[21:22], v[25:26]
	v_fma_f64 v[25:26], v[11:12], v[37:38], v[115:116]
	v_add_f64 v[13:14], v[13:14], v[19:20]
	s_clause 0x4
	buffer_load_dword v20, off, s[0:3], 0 offset:460
	buffer_load_dword v37, off, s[0:3], 0 offset:472
	;; [unrolled: 1-line block ×5, first 2 shown]
	s_waitcnt vmcnt(57) lgkmcnt(0)
	v_mul_f64 v[110:111], v[1:2], v[39:40]
	v_mul_f64 v[39:40], v[3:4], v[39:40]
	s_waitcnt vmcnt(56)
	v_fma_f64 v[35:36], v[5:6], v[23:24], -v[35:36]
	ds_read_b128 v[9:12], v56 offset:1088
	v_fma_f64 v[23:24], v[7:8], v[23:24], v[95:96]
	v_add_f64 v[21:22], v[21:22], v[29:30]
	v_add_f64 v[13:14], v[13:14], v[25:26]
	s_clause 0x2
	buffer_load_dword v38, off, s[0:3], 0 offset:476
	buffer_load_dword v26, off, s[0:3], 0 offset:452
	buffer_load_dword v25, off, s[0:3], 0 offset:448
	ds_read_b128 v[5:8], v56 offset:1104
	s_waitcnt vmcnt(58) lgkmcnt(1)
	v_mul_f64 v[29:30], v[9:10], v[43:44]
	v_mul_f64 v[43:44], v[11:12], v[43:44]
	s_waitcnt vmcnt(56)
	v_fma_f64 v[39:40], v[1:2], v[45:46], -v[39:40]
	v_add_f64 v[21:22], v[21:22], v[35:36]
	v_fma_f64 v[35:36], v[3:4], v[45:46], v[110:111]
	v_add_f64 v[13:14], v[13:14], v[23:24]
	s_clause 0x4
	buffer_load_dword v24, off, s[0:3], 0 offset:492
	buffer_load_dword v45, off, s[0:3], 0 offset:504
	;; [unrolled: 1-line block ×5, first 2 shown]
	s_waitcnt vmcnt(57) lgkmcnt(0)
	v_mul_f64 v[116:117], v[5:6], v[65:66]
	v_mul_f64 v[65:66], v[7:8], v[65:66]
	s_waitcnt vmcnt(56)
	v_fma_f64 v[43:44], v[9:10], v[31:32], -v[43:44]
	ds_read_b128 v[1:4], v56 offset:1120
	v_fma_f64 v[29:30], v[11:12], v[31:32], v[29:30]
	s_clause 0x2
	buffer_load_dword v46, off, s[0:3], 0 offset:508
	buffer_load_dword v32, off, s[0:3], 0 offset:484
	;; [unrolled: 1-line block ×3, first 2 shown]
	ds_read_b128 v[9:12], v56 offset:1136
	v_add_f64 v[21:22], v[21:22], v[39:40]
	v_add_f64 v[13:14], v[13:14], v[35:36]
	s_waitcnt vmcnt(58) lgkmcnt(1)
	v_mul_f64 v[39:40], v[3:4], v[73:74]
	s_waitcnt vmcnt(56)
	v_fma_f64 v[65:66], v[5:6], v[75:76], -v[65:66]
	v_mul_f64 v[35:36], v[1:2], v[73:74]
	v_add_f64 v[21:22], v[21:22], v[43:44]
	v_fma_f64 v[43:44], v[7:8], v[75:76], v[116:117]
	v_add_f64 v[13:14], v[13:14], v[29:30]
	s_clause 0x4
	buffer_load_dword v30, off, s[0:3], 0 offset:524
	buffer_load_dword v73, off, s[0:3], 0 offset:536
	buffer_load_dword v75, off, s[0:3], 0 offset:528
	buffer_load_dword v29, off, s[0:3], 0 offset:520
	buffer_load_dword v96, off, s[0:3], 0 offset:500
	s_waitcnt vmcnt(57) lgkmcnt(0)
	v_mul_f64 v[116:117], v[9:10], v[81:82]
	v_mul_f64 v[81:82], v[11:12], v[81:82]
	s_waitcnt vmcnt(56)
	v_fma_f64 v[39:40], v[1:2], v[41:42], -v[39:40]
	ds_read_b128 v[5:8], v56 offset:1152
	v_fma_f64 v[35:36], v[3:4], v[41:42], v[35:36]
	s_clause 0x2
	buffer_load_dword v74, off, s[0:3], 0 offset:540
	buffer_load_dword v42, off, s[0:3], 0 offset:516
	;; [unrolled: 1-line block ×3, first 2 shown]
	ds_read_b128 v[1:4], v56 offset:1168
	v_add_f64 v[21:22], v[21:22], v[65:66]
	v_add_f64 v[13:14], v[13:14], v[43:44]
	s_waitcnt vmcnt(58) lgkmcnt(1)
	v_mul_f64 v[65:66], v[7:8], v[85:86]
	s_waitcnt vmcnt(56)
	v_fma_f64 v[81:82], v[9:10], v[87:88], -v[81:82]
	v_mul_f64 v[43:44], v[5:6], v[85:86]
	v_add_f64 v[21:22], v[21:22], v[39:40]
	v_fma_f64 v[39:40], v[11:12], v[87:88], v[116:117]
	v_add_f64 v[13:14], v[13:14], v[35:36]
	s_clause 0x4
	buffer_load_dword v36, off, s[0:3], 0 offset:556
	buffer_load_dword v85, off, s[0:3], 0 offset:568
	;; [unrolled: 1-line block ×5, first 2 shown]
	s_waitcnt vmcnt(57) lgkmcnt(0)
	v_mul_f64 v[116:117], v[1:2], v[89:90]
	v_mul_f64 v[88:89], v[3:4], v[89:90]
	s_waitcnt vmcnt(56)
	v_fma_f64 v[65:66], v[5:6], v[67:68], -v[65:66]
	ds_read_b128 v[9:12], v56 offset:1184
	v_fma_f64 v[43:44], v[7:8], v[67:68], v[43:44]
	v_add_f64 v[21:22], v[21:22], v[81:82]
	v_add_f64 v[13:14], v[13:14], v[39:40]
	s_clause 0x2
	buffer_load_dword v86, off, s[0:3], 0 offset:572
	buffer_load_dword v40, off, s[0:3], 0 offset:548
	;; [unrolled: 1-line block ×3, first 2 shown]
	ds_read_b128 v[5:8], v56 offset:1200
	s_waitcnt vmcnt(58) lgkmcnt(1)
	v_mul_f64 v[81:82], v[11:12], v[91:92]
	s_waitcnt vmcnt(56)
	v_fma_f64 v[89:90], v[1:2], v[93:94], -v[88:89]
	v_mul_f64 v[67:68], v[9:10], v[91:92]
	v_add_f64 v[21:22], v[21:22], v[65:66]
	v_fma_f64 v[65:66], v[3:4], v[93:94], v[116:117]
	v_add_f64 v[13:14], v[13:14], v[43:44]
	s_clause 0x4
	buffer_load_dword v44, off, s[0:3], 0 offset:588
	buffer_load_dword v91, off, s[0:3], 0 offset:600
	buffer_load_dword v93, off, s[0:3], 0 offset:592
	buffer_load_dword v43, off, s[0:3], 0 offset:584
	buffer_load_dword v88, off, s[0:3], 0 offset:564
	s_waitcnt vmcnt(57) lgkmcnt(0)
	v_mul_f64 v[116:117], v[5:6], v[101:102]
	v_mul_f64 v[101:102], v[7:8], v[101:102]
	s_waitcnt vmcnt(56)
	v_fma_f64 v[81:82], v[9:10], v[83:84], -v[81:82]
	ds_read_b128 v[1:4], v56 offset:1216
	v_fma_f64 v[67:68], v[11:12], v[83:84], v[67:68]
	v_add_f64 v[21:22], v[21:22], v[89:90]
	v_add_f64 v[13:14], v[13:14], v[65:66]
	s_clause 0x2
	buffer_load_dword v92, off, s[0:3], 0 offset:604
	buffer_load_dword v66, off, s[0:3], 0 offset:580
	;; [unrolled: 1-line block ×3, first 2 shown]
	ds_read_b128 v[9:12], v56 offset:1232
	s_waitcnt vmcnt(58) lgkmcnt(1)
	v_mul_f64 v[89:90], v[3:4], v[103:104]
	v_mul_f64 v[83:84], v[1:2], v[103:104]
	s_waitcnt vmcnt(56)
	v_fma_f64 v[101:102], v[5:6], v[17:18], -v[101:102]
	v_fma_f64 v[17:18], v[7:8], v[17:18], v[116:117]
	v_add_f64 v[21:22], v[21:22], v[81:82]
	v_add_f64 v[13:14], v[13:14], v[67:68]
	s_clause 0x4
	buffer_load_dword v68, off, s[0:3], 0 offset:620
	buffer_load_dword v81, off, s[0:3], 0 offset:632
	;; [unrolled: 1-line block ×5, first 2 shown]
	ds_read_b128 v[5:8], v56 offset:1248
	s_waitcnt vmcnt(57) lgkmcnt(1)
	v_mul_f64 v[116:117], v[9:10], v[15:16]
	v_mul_f64 v[15:16], v[11:12], v[15:16]
	s_waitcnt vmcnt(56)
	v_fma_f64 v[89:90], v[1:2], v[105:106], -v[89:90]
	v_fma_f64 v[83:84], v[3:4], v[105:106], v[83:84]
	v_add_f64 v[21:22], v[21:22], v[101:102]
	v_add_f64 v[13:14], v[13:14], v[17:18]
	s_clause 0x2
	buffer_load_dword v82, off, s[0:3], 0 offset:636
	buffer_load_dword v18, off, s[0:3], 0 offset:612
	;; [unrolled: 1-line block ×3, first 2 shown]
	s_waitcnt vmcnt(58) lgkmcnt(0)
	v_mul_f64 v[105:106], v[7:8], v[107:108]
	ds_read_b128 v[1:4], v56 offset:1264
	v_mul_f64 v[101:102], v[5:6], v[107:108]
	s_waitcnt vmcnt(56)
	v_fma_f64 v[15:16], v[9:10], v[97:98], -v[15:16]
	v_add_f64 v[21:22], v[21:22], v[89:90]
	v_fma_f64 v[89:90], v[11:12], v[97:98], v[116:117]
	v_add_f64 v[13:14], v[13:14], v[83:84]
	s_clause 0x4
	buffer_load_dword v84, off, s[0:3], 0 offset:652
	buffer_load_dword v97, off, s[0:3], 0 offset:664
	;; [unrolled: 1-line block ×5, first 2 shown]
	ds_read_b128 v[9:12], v56 offset:1280
	s_waitcnt vmcnt(57) lgkmcnt(1)
	v_mul_f64 v[116:117], v[1:2], v[33:34]
	v_mul_f64 v[33:34], v[3:4], v[33:34]
	s_waitcnt vmcnt(56)
	v_fma_f64 v[105:106], v[5:6], v[112:113], -v[105:106]
	v_add_f64 v[15:16], v[21:22], v[15:16]
	v_fma_f64 v[21:22], v[7:8], v[112:113], v[101:102]
	v_add_f64 v[13:14], v[13:14], v[89:90]
	s_clause 0x2
	buffer_load_dword v98, off, s[0:3], 0 offset:668
	buffer_load_dword v90, off, s[0:3], 0 offset:644
	;; [unrolled: 1-line block ×3, first 2 shown]
	ds_read_b128 v[5:8], v56 offset:1296
	s_waitcnt vmcnt(58) lgkmcnt(1)
	v_mul_f64 v[101:102], v[9:10], v[99:100]
	v_mul_f64 v[99:100], v[11:12], v[99:100]
	s_waitcnt vmcnt(56)
	v_fma_f64 v[33:34], v[1:2], v[27:28], -v[33:34]
	v_fma_f64 v[27:28], v[3:4], v[27:28], v[116:117]
	v_add_f64 v[15:16], v[15:16], v[105:106]
	v_add_f64 v[13:14], v[13:14], v[21:22]
	s_clause 0x4
	buffer_load_dword v22, off, s[0:3], 0 offset:684
	buffer_load_dword v105, off, s[0:3], 0 offset:696
	buffer_load_dword v111, off, s[0:3], 0 offset:688
	buffer_load_dword v21, off, s[0:3], 0 offset:680
	buffer_load_dword v108, off, s[0:3], 0 offset:660
	ds_read_b128 v[1:4], v56 offset:1312
	s_waitcnt vmcnt(57) lgkmcnt(1)
	v_mul_f64 v[112:113], v[5:6], v[19:20]
	v_mul_f64 v[19:20], v[7:8], v[19:20]
	s_waitcnt vmcnt(56)
	v_fma_f64 v[99:100], v[9:10], v[114:115], -v[99:100]
	v_add_f64 v[15:16], v[15:16], v[33:34]
	v_fma_f64 v[33:34], v[11:12], v[114:115], v[101:102]
	v_add_f64 v[13:14], v[13:14], v[27:28]
	s_clause 0x2
	buffer_load_dword v106, off, s[0:3], 0 offset:700
	buffer_load_dword v28, off, s[0:3], 0 offset:676
	;; [unrolled: 1-line block ×3, first 2 shown]
	ds_read_b128 v[9:12], v56 offset:1328
	s_waitcnt vmcnt(58) lgkmcnt(1)
	v_mul_f64 v[101:102], v[1:2], v[37:38]
	v_mul_f64 v[37:38], v[3:4], v[37:38]
	s_waitcnt vmcnt(56)
	v_fma_f64 v[19:20], v[5:6], v[25:26], -v[19:20]
	v_fma_f64 v[25:26], v[7:8], v[25:26], v[112:113]
	v_add_f64 v[15:16], v[15:16], v[99:100]
	v_add_f64 v[13:14], v[13:14], v[33:34]
	s_clause 0x4
	buffer_load_dword v34, off, s[0:3], 0 offset:716
	buffer_load_dword v99, off, s[0:3], 0 offset:728
	;; [unrolled: 1-line block ×5, first 2 shown]
	ds_read_b128 v[5:8], v56 offset:1344
	s_waitcnt vmcnt(57) lgkmcnt(1)
	v_mul_f64 v[114:115], v[9:10], v[23:24]
	v_mul_f64 v[23:24], v[11:12], v[23:24]
	s_waitcnt vmcnt(56)
	v_fma_f64 v[37:38], v[1:2], v[109:110], -v[37:38]
	v_add_f64 v[15:16], v[15:16], v[19:20]
	v_fma_f64 v[19:20], v[3:4], v[109:110], v[101:102]
	v_add_f64 v[13:14], v[13:14], v[25:26]
	s_clause 0x2
	buffer_load_dword v100, off, s[0:3], 0 offset:732
	buffer_load_dword v26, off, s[0:3], 0 offset:708
	;; [unrolled: 1-line block ×3, first 2 shown]
	s_waitcnt vmcnt(58) lgkmcnt(0)
	v_mul_f64 v[101:102], v[5:6], v[45:46]
	v_mul_f64 v[45:46], v[7:8], v[45:46]
	ds_read_b128 v[1:4], v56 offset:1360
	s_waitcnt vmcnt(56)
	v_fma_f64 v[23:24], v[9:10], v[31:32], -v[23:24]
	v_fma_f64 v[31:32], v[11:12], v[31:32], v[114:115]
	v_add_f64 v[15:16], v[15:16], v[37:38]
	v_add_f64 v[13:14], v[13:14], v[19:20]
	s_clause 0x4
	buffer_load_dword v20, off, s[0:3], 0 offset:748
	buffer_load_dword v37, off, s[0:3], 0 offset:760
	;; [unrolled: 1-line block ×5, first 2 shown]
	ds_read_b128 v[9:12], v56 offset:1376
	s_waitcnt vmcnt(57) lgkmcnt(1)
	v_mul_f64 v[115:116], v[1:2], v[29:30]
	v_mul_f64 v[29:30], v[3:4], v[29:30]
	s_waitcnt vmcnt(56)
	v_fma_f64 v[45:46], v[5:6], v[95:96], -v[45:46]
	v_add_f64 v[15:16], v[15:16], v[23:24]
	v_fma_f64 v[23:24], v[7:8], v[95:96], v[101:102]
	v_add_f64 v[13:14], v[13:14], v[31:32]
	s_clause 0x2
	buffer_load_dword v38, off, s[0:3], 0 offset:764
	buffer_load_dword v32, off, s[0:3], 0 offset:740
	;; [unrolled: 1-line block ×3, first 2 shown]
	s_waitcnt vmcnt(58) lgkmcnt(0)
	v_mul_f64 v[95:96], v[9:10], v[73:74]
	v_mul_f64 v[73:74], v[11:12], v[73:74]
	ds_read_b128 v[5:8], v56 offset:1392
	s_waitcnt vmcnt(56)
	v_fma_f64 v[29:30], v[1:2], v[41:42], -v[29:30]
	v_fma_f64 v[41:42], v[3:4], v[41:42], v[115:116]
	v_add_f64 v[15:16], v[15:16], v[45:46]
	v_add_f64 v[13:14], v[13:14], v[23:24]
	s_clause 0x4
	buffer_load_dword v24, off, s[0:3], 0 offset:780
	buffer_load_dword v45, off, s[0:3], 0 offset:792
	buffer_load_dword v101, off, s[0:3], 0 offset:784
	buffer_load_dword v23, off, s[0:3], 0 offset:776
	buffer_load_dword v110, off, s[0:3], 0 offset:756
	ds_read_b128 v[1:4], v56 offset:1408
	s_waitcnt vmcnt(57) lgkmcnt(1)
	v_mul_f64 v[115:116], v[5:6], v[35:36]
	v_mul_f64 v[35:36], v[7:8], v[35:36]
	s_waitcnt vmcnt(56)
	v_fma_f64 v[73:74], v[9:10], v[75:76], -v[73:74]
	v_add_f64 v[15:16], v[15:16], v[29:30]
	v_fma_f64 v[29:30], v[11:12], v[75:76], v[95:96]
	v_add_f64 v[13:14], v[13:14], v[41:42]
	s_clause 0x2
	buffer_load_dword v46, off, s[0:3], 0 offset:796
	buffer_load_dword v42, off, s[0:3], 0 offset:772
	buffer_load_dword v41, off, s[0:3], 0 offset:768
	ds_read_b128 v[9:12], v56 offset:1424
	s_waitcnt vmcnt(58) lgkmcnt(1)
	v_mul_f64 v[75:76], v[1:2], v[85:86]
	v_mul_f64 v[85:86], v[3:4], v[85:86]
	s_waitcnt vmcnt(56)
	v_fma_f64 v[35:36], v[5:6], v[39:40], -v[35:36]
	v_fma_f64 v[39:40], v[7:8], v[39:40], v[115:116]
	v_add_f64 v[15:16], v[15:16], v[73:74]
	v_add_f64 v[13:14], v[13:14], v[29:30]
	s_clause 0x4
	buffer_load_dword v30, off, s[0:3], 0 offset:812
	buffer_load_dword v73, off, s[0:3], 0 offset:824
	buffer_load_dword v95, off, s[0:3], 0 offset:816
	buffer_load_dword v29, off, s[0:3], 0 offset:808
	buffer_load_dword v102, off, s[0:3], 0 offset:788
	ds_read_b128 v[5:8], v56 offset:1440
	s_waitcnt vmcnt(57) lgkmcnt(1)
	v_mul_f64 v[115:116], v[9:10], v[43:44]
	v_mul_f64 v[43:44], v[11:12], v[43:44]
	s_waitcnt vmcnt(56)
	v_fma_f64 v[85:86], v[1:2], v[87:88], -v[85:86]
	v_add_f64 v[15:16], v[15:16], v[35:36]
	v_fma_f64 v[35:36], v[3:4], v[87:88], v[75:76]
	v_add_f64 v[13:14], v[13:14], v[39:40]
	s_clause 0x2
	buffer_load_dword v74, off, s[0:3], 0 offset:828
	buffer_load_dword v40, off, s[0:3], 0 offset:804
	buffer_load_dword v39, off, s[0:3], 0 offset:800
	ds_read_b128 v[1:4], v56 offset:1456
	s_waitcnt vmcnt(58) lgkmcnt(1)
	v_mul_f64 v[87:88], v[7:8], v[91:92]
	v_mul_f64 v[75:76], v[5:6], v[91:92]
	;; [unrolled: 28-line block ×3, first 2 shown]
	s_waitcnt vmcnt(56)
	v_fma_f64 v[67:68], v[1:2], v[17:18], -v[67:68]
	v_fma_f64 v[17:18], v[3:4], v[17:18], v[115:116]
	v_add_f64 v[15:16], v[15:16], v[87:88]
	v_add_f64 v[13:14], v[13:14], v[43:44]
	s_clause 0x2
	buffer_load_dword v44, off, s[0:3], 0 offset:876
	buffer_load_dword v43, off, s[0:3], 0 offset:872
	;; [unrolled: 1-line block ×3, first 2 shown]
	ds_read_b128 v[1:4], v56 offset:1504
	s_waitcnt vmcnt(55) lgkmcnt(1)
	v_mul_f64 v[87:88], v[5:6], v[83:84]
	v_mul_f64 v[83:84], v[7:8], v[83:84]
	s_waitcnt vmcnt(54)
	v_fma_f64 v[81:82], v[9:10], v[103:104], -v[81:82]
	v_add_f64 v[15:16], v[15:16], v[67:68]
	v_fma_f64 v[67:68], v[11:12], v[103:104], v[75:76]
	v_add_f64 v[13:14], v[13:14], v[17:18]
	s_clause 0x1
	buffer_load_dword v18, off, s[0:3], 0 offset:868
	buffer_load_dword v17, off, s[0:3], 0 offset:864
	ds_read_b128 v[9:12], v56 offset:1520
	s_waitcnt vmcnt(55) lgkmcnt(1)
	v_mul_f64 v[93:94], v[3:4], v[97:98]
	v_mul_f64 v[75:76], v[1:2], v[97:98]
	s_waitcnt vmcnt(53)
	v_fma_f64 v[83:84], v[5:6], v[89:90], -v[83:84]
	v_add_f64 v[15:16], v[15:16], v[81:82]
	v_fma_f64 v[81:82], v[7:8], v[89:90], v[87:88]
	v_add_f64 v[13:14], v[13:14], v[67:68]
	ds_read_b128 v[5:8], v56 offset:1536
	s_waitcnt vmcnt(49) lgkmcnt(1)
	v_mul_f64 v[67:68], v[9:10], v[21:22]
	v_mul_f64 v[21:22], v[11:12], v[21:22]
	s_waitcnt vmcnt(48)
	v_fma_f64 v[87:88], v[1:2], v[107:108], -v[93:94]
	v_fma_f64 v[75:76], v[3:4], v[107:108], v[75:76]
	v_add_f64 v[15:16], v[15:16], v[83:84]
	v_add_f64 v[13:14], v[13:14], v[81:82]
	s_clause 0x3
	buffer_load_dword v81, off, s[0:3], 0 offset:96
	buffer_load_dword v82, off, s[0:3], 0 offset:100
	buffer_load_dword v83, off, s[0:3], 0 offset:104
	buffer_load_dword v84, off, s[0:3], 0 offset:108
	ds_read_b128 v[1:4], v56 offset:1552
	s_waitcnt vmcnt(51) lgkmcnt(1)
	v_mul_f64 v[93:94], v[7:8], v[105:106]
	v_mul_f64 v[89:90], v[5:6], v[105:106]
	s_waitcnt vmcnt(49)
	v_fma_f64 v[21:22], v[9:10], v[27:28], -v[21:22]
	v_fma_f64 v[27:28], v[11:12], v[27:28], v[67:68]
	ds_read_b128 v[9:12], v56 offset:1568
	v_add_f64 v[15:16], v[15:16], v[87:88]
	v_add_f64 v[13:14], v[13:14], v[75:76]
	s_waitcnt vmcnt(45) lgkmcnt(1)
	v_mul_f64 v[67:68], v[1:2], v[33:34]
	v_mul_f64 v[33:34], v[3:4], v[33:34]
	s_waitcnt vmcnt(44)
	v_fma_f64 v[75:76], v[5:6], v[111:112], -v[93:94]
	v_add_f64 v[15:16], v[15:16], v[21:22]
	v_fma_f64 v[21:22], v[7:8], v[111:112], v[89:90]
	v_add_f64 v[13:14], v[13:14], v[27:28]
	ds_read_b128 v[5:8], v56 offset:1584
	s_waitcnt vmcnt(43) lgkmcnt(1)
	v_mul_f64 v[87:88], v[11:12], v[99:100]
	v_mul_f64 v[27:28], v[9:10], v[99:100]
	s_waitcnt vmcnt(41)
	v_fma_f64 v[33:34], v[1:2], v[25:26], -v[33:34]
	v_fma_f64 v[25:26], v[3:4], v[25:26], v[67:68]
	ds_read_b128 v[1:4], v56 offset:1600
	v_add_f64 v[15:16], v[15:16], v[75:76]
	v_add_f64 v[13:14], v[13:14], v[21:22]
	s_waitcnt vmcnt(37) lgkmcnt(1)
	v_mul_f64 v[21:22], v[5:6], v[19:20]
	v_mul_f64 v[19:20], v[7:8], v[19:20]
	s_waitcnt vmcnt(36)
	v_fma_f64 v[67:68], v[9:10], v[113:114], -v[87:88]
	v_fma_f64 v[27:28], v[11:12], v[113:114], v[27:28]
	ds_read_b128 v[9:12], v56 offset:1616
	v_add_f64 v[15:16], v[15:16], v[33:34]
	v_add_f64 v[13:14], v[13:14], v[25:26]
	;; [unrolled: 9-line block ×3, first 2 shown]
	s_waitcnt vmcnt(29) lgkmcnt(1)
	v_mul_f64 v[27:28], v[9:10], v[23:24]
	v_mul_f64 v[23:24], v[11:12], v[23:24]
	s_waitcnt vmcnt(28)
	v_fma_f64 v[31:32], v[1:2], v[109:110], -v[33:34]
	v_add_f64 v[15:16], v[15:16], v[19:20]
	v_fma_f64 v[19:20], v[3:4], v[109:110], v[25:26]
	v_add_f64 v[13:14], v[13:14], v[21:22]
	ds_read_b128 v[1:4], v56 offset:1648
	s_waitcnt vmcnt(27) lgkmcnt(1)
	v_mul_f64 v[25:26], v[7:8], v[45:46]
	v_mul_f64 v[21:22], v[5:6], v[45:46]
	s_waitcnt vmcnt(25)
	v_fma_f64 v[23:24], v[9:10], v[41:42], -v[23:24]
	v_fma_f64 v[27:28], v[11:12], v[41:42], v[27:28]
	ds_read_b128 v[9:12], v56 offset:1664
	v_add_f64 v[15:16], v[15:16], v[31:32]
	v_add_f64 v[13:14], v[13:14], v[19:20]
	s_waitcnt vmcnt(21) lgkmcnt(1)
	v_mul_f64 v[19:20], v[1:2], v[29:30]
	v_mul_f64 v[29:30], v[3:4], v[29:30]
	s_waitcnt vmcnt(20)
	v_fma_f64 v[25:26], v[5:6], v[101:102], -v[25:26]
	v_fma_f64 v[21:22], v[7:8], v[101:102], v[21:22]
	ds_read_b128 v[5:8], v56 offset:1680
	v_add_f64 v[15:16], v[15:16], v[23:24]
	v_add_f64 v[13:14], v[13:14], v[27:28]
	;; [unrolled: 9-line block ×3, first 2 shown]
	s_waitcnt vmcnt(13) lgkmcnt(1)
	v_mul_f64 v[25:26], v[7:8], v[35:36]
	s_waitcnt vmcnt(12)
	v_fma_f64 v[27:28], v[9:10], v[95:96], -v[27:28]
	v_mul_f64 v[21:22], v[5:6], v[35:36]
	v_fma_f64 v[23:24], v[11:12], v[95:96], v[23:24]
	ds_read_b128 v[9:12], v56 offset:1712
	v_add_f64 v[15:16], v[15:16], v[29:30]
	v_add_f64 v[13:14], v[13:14], v[19:20]
	s_waitcnt vmcnt(11) lgkmcnt(1)
	v_mul_f64 v[29:30], v[3:4], v[85:86]
	v_mul_f64 v[19:20], v[1:2], v[85:86]
	s_waitcnt vmcnt(9)
	v_fma_f64 v[5:6], v[5:6], v[65:66], -v[25:26]
	v_fma_f64 v[7:8], v[7:8], v[65:66], v[21:22]
	v_add_f64 v[15:16], v[15:16], v[27:28]
	v_add_f64 v[13:14], v[13:14], v[23:24]
	s_waitcnt vmcnt(7) lgkmcnt(0)
	v_mul_f64 v[23:24], v[11:12], v[43:44]
	s_waitcnt vmcnt(6)
	v_fma_f64 v[1:2], v[1:2], v[91:92], -v[29:30]
	v_mul_f64 v[21:22], v[9:10], v[43:44]
	v_fma_f64 v[3:4], v[3:4], v[91:92], v[19:20]
	v_add_f64 v[5:6], v[15:16], v[5:6]
	v_add_f64 v[7:8], v[13:14], v[7:8]
	s_waitcnt vmcnt(4)
	v_fma_f64 v[9:10], v[9:10], v[17:18], -v[23:24]
	v_add_f64 v[1:2], v[5:6], v[1:2]
	v_fma_f64 v[5:6], v[11:12], v[17:18], v[21:22]
	v_add_f64 v[3:4], v[7:8], v[3:4]
	v_add_f64 v[1:2], v[1:2], v[9:10]
	;; [unrolled: 1-line block ×3, first 2 shown]
	s_waitcnt vmcnt(2)
	v_add_f64 v[1:2], v[81:82], -v[1:2]
	s_waitcnt vmcnt(0)
	v_add_f64 v[3:4], v[83:84], -v[3:4]
	buffer_store_dword v2, off, s[0:3], 0 offset:100
	buffer_store_dword v1, off, s[0:3], 0 offset:96
	buffer_store_dword v4, off, s[0:3], 0 offset:108
	buffer_store_dword v3, off, s[0:3], 0 offset:104
	v_cmpx_lt_u32_e32 4, v0
	s_cbranch_execz .LBB53_329
; %bb.328:
	v_mov_b32_e32 v4, s62
	v_mov_b32_e32 v5, 0
	s_clause 0x3
	buffer_load_dword v1, v4, s[0:3], 0 offen
	buffer_load_dword v2, v4, s[0:3], 0 offen offset:4
	buffer_load_dword v3, v4, s[0:3], 0 offen offset:8
	buffer_load_dword v4, v4, s[0:3], 0 offen offset:12
	buffer_store_dword v5, off, s[0:3], 0 offset:80
	buffer_store_dword v5, off, s[0:3], 0 offset:84
	;; [unrolled: 1-line block ×4, first 2 shown]
	s_waitcnt vmcnt(0)
	ds_write_b128 v47, v[1:4]
.LBB53_329:
	s_or_b32 exec_lo, exec_lo, s4
	s_waitcnt lgkmcnt(0)
	s_waitcnt_vscnt null, 0x0
	s_barrier
	buffer_gl0_inv
	s_clause 0x37
	buffer_load_dword v17, off, s[0:3], 0 offset:104
	buffer_load_dword v18, off, s[0:3], 0 offset:108
	;; [unrolled: 1-line block ×56, first 2 shown]
	v_mov_b32_e32 v56, 0
	s_mov_b32 s4, exec_lo
	ds_read_b128 v[5:8], v56 offset:944
	s_clause 0x2
	buffer_load_dword v92, off, s[0:3], 0 offset:332
	buffer_load_dword v94, off, s[0:3], 0 offset:308
	;; [unrolled: 1-line block ×3, first 2 shown]
	ds_read_b128 v[1:4], v56 offset:960
	s_clause 0x4
	buffer_load_dword v102, off, s[0:3], 0 offset:348
	buffer_load_dword v103, off, s[0:3], 0 offset:360
	buffer_load_dword v105, off, s[0:3], 0 offset:352
	buffer_load_dword v101, off, s[0:3], 0 offset:344
	buffer_load_dword v84, off, s[0:3], 0 offset:324
	ds_read_b128 v[95:98], v56 offset:976
	s_waitcnt vmcnt(62) lgkmcnt(2)
	v_mul_f64 v[99:100], v[7:8], v[17:18]
	v_mul_f64 v[17:18], v[5:6], v[17:18]
	s_waitcnt vmcnt(60) lgkmcnt(1)
	v_mul_f64 v[106:107], v[3:4], v[13:14]
	v_mul_f64 v[13:14], v[1:2], v[13:14]
	;; [unrolled: 3-line block ×3, first 2 shown]
	v_fma_f64 v[99:100], v[5:6], v[15:16], -v[99:100]
	v_fma_f64 v[15:16], v[7:8], v[15:16], v[17:18]
	s_clause 0x2
	buffer_load_dword v104, off, s[0:3], 0 offset:364
	buffer_load_dword v18, off, s[0:3], 0 offset:340
	;; [unrolled: 1-line block ×3, first 2 shown]
	s_waitcnt vmcnt(57)
	v_fma_f64 v[110:111], v[1:2], v[9:10], -v[106:107]
	ds_read_b128 v[5:8], v56 offset:992
	v_fma_f64 v[9:10], v[3:4], v[9:10], v[13:14]
	s_waitcnt vmcnt(51)
	v_fma_f64 v[95:96], v[95:96], v[33:34], -v[11:12]
	v_fma_f64 v[33:34], v[97:98], v[33:34], v[108:109]
	v_add_f64 v[99:100], v[99:100], 0
	v_add_f64 v[13:14], v[15:16], 0
	s_clause 0x4
	buffer_load_dword v16, off, s[0:3], 0 offset:380
	buffer_load_dword v107, off, s[0:3], 0 offset:392
	buffer_load_dword v112, off, s[0:3], 0 offset:384
	buffer_load_dword v15, off, s[0:3], 0 offset:376
	buffer_load_dword v106, off, s[0:3], 0 offset:356
	s_waitcnt lgkmcnt(0)
	v_mul_f64 v[113:114], v[5:6], v[21:22]
	v_mul_f64 v[21:22], v[7:8], v[21:22]
	ds_read_b128 v[1:4], v56 offset:1008
	s_clause 0x2
	buffer_load_dword v108, off, s[0:3], 0 offset:396
	buffer_load_dword v98, off, s[0:3], 0 offset:372
	;; [unrolled: 1-line block ×3, first 2 shown]
	v_add_f64 v[99:100], v[99:100], v[110:111]
	v_add_f64 v[13:14], v[13:14], v[9:10]
	ds_read_b128 v[9:12], v56 offset:1024
	s_waitcnt vmcnt(58) lgkmcnt(1)
	v_mul_f64 v[109:110], v[1:2], v[25:26]
	v_mul_f64 v[25:26], v[3:4], v[25:26]
	s_waitcnt vmcnt(56)
	v_fma_f64 v[21:22], v[5:6], v[27:28], -v[21:22]
	v_fma_f64 v[27:28], v[7:8], v[27:28], v[113:114]
	s_waitcnt vmcnt(52) lgkmcnt(0)
	v_mul_f64 v[115:116], v[9:10], v[29:30]
	v_add_f64 v[95:96], v[99:100], v[95:96]
	v_add_f64 v[13:14], v[13:14], v[33:34]
	s_clause 0x4
	buffer_load_dword v34, off, s[0:3], 0 offset:412
	buffer_load_dword v99, off, s[0:3], 0 offset:424
	;; [unrolled: 1-line block ×5, first 2 shown]
	v_mul_f64 v[29:30], v[11:12], v[29:30]
	s_waitcnt vmcnt(56)
	v_fma_f64 v[25:26], v[1:2], v[19:20], -v[25:26]
	ds_read_b128 v[5:8], v56 offset:1040
	v_fma_f64 v[19:20], v[3:4], v[19:20], v[109:110]
	v_add_f64 v[21:22], v[95:96], v[21:22]
	v_add_f64 v[13:14], v[13:14], v[27:28]
	s_clause 0x2
	buffer_load_dword v100, off, s[0:3], 0 offset:428
	buffer_load_dword v28, off, s[0:3], 0 offset:404
	;; [unrolled: 1-line block ×3, first 2 shown]
	s_waitcnt vmcnt(58) lgkmcnt(0)
	v_mul_f64 v[95:96], v[5:6], v[35:36]
	v_mul_f64 v[35:36], v[7:8], v[35:36]
	s_waitcnt vmcnt(56)
	v_fma_f64 v[29:30], v[9:10], v[37:38], -v[29:30]
	ds_read_b128 v[1:4], v56 offset:1056
	v_add_f64 v[21:22], v[21:22], v[25:26]
	v_fma_f64 v[25:26], v[11:12], v[37:38], v[115:116]
	v_add_f64 v[13:14], v[13:14], v[19:20]
	s_clause 0x4
	buffer_load_dword v20, off, s[0:3], 0 offset:444
	buffer_load_dword v37, off, s[0:3], 0 offset:456
	;; [unrolled: 1-line block ×5, first 2 shown]
	s_waitcnt vmcnt(57) lgkmcnt(0)
	v_mul_f64 v[110:111], v[1:2], v[39:40]
	v_mul_f64 v[39:40], v[3:4], v[39:40]
	s_waitcnt vmcnt(56)
	v_fma_f64 v[35:36], v[5:6], v[23:24], -v[35:36]
	ds_read_b128 v[9:12], v56 offset:1072
	v_fma_f64 v[23:24], v[7:8], v[23:24], v[95:96]
	v_add_f64 v[21:22], v[21:22], v[29:30]
	v_add_f64 v[13:14], v[13:14], v[25:26]
	s_clause 0x2
	buffer_load_dword v38, off, s[0:3], 0 offset:460
	buffer_load_dword v26, off, s[0:3], 0 offset:436
	buffer_load_dword v25, off, s[0:3], 0 offset:432
	ds_read_b128 v[5:8], v56 offset:1088
	s_waitcnt vmcnt(58) lgkmcnt(1)
	v_mul_f64 v[29:30], v[9:10], v[43:44]
	v_mul_f64 v[43:44], v[11:12], v[43:44]
	s_waitcnt vmcnt(56)
	v_fma_f64 v[39:40], v[1:2], v[45:46], -v[39:40]
	v_add_f64 v[21:22], v[21:22], v[35:36]
	v_fma_f64 v[35:36], v[3:4], v[45:46], v[110:111]
	v_add_f64 v[13:14], v[13:14], v[23:24]
	s_clause 0x4
	buffer_load_dword v24, off, s[0:3], 0 offset:476
	buffer_load_dword v45, off, s[0:3], 0 offset:488
	;; [unrolled: 1-line block ×5, first 2 shown]
	s_waitcnt vmcnt(57) lgkmcnt(0)
	v_mul_f64 v[116:117], v[5:6], v[65:66]
	v_mul_f64 v[65:66], v[7:8], v[65:66]
	s_waitcnt vmcnt(56)
	v_fma_f64 v[43:44], v[9:10], v[31:32], -v[43:44]
	ds_read_b128 v[1:4], v56 offset:1104
	v_fma_f64 v[29:30], v[11:12], v[31:32], v[29:30]
	s_clause 0x2
	buffer_load_dword v46, off, s[0:3], 0 offset:492
	buffer_load_dword v32, off, s[0:3], 0 offset:468
	;; [unrolled: 1-line block ×3, first 2 shown]
	ds_read_b128 v[9:12], v56 offset:1120
	v_add_f64 v[21:22], v[21:22], v[39:40]
	v_add_f64 v[13:14], v[13:14], v[35:36]
	s_waitcnt vmcnt(58) lgkmcnt(1)
	v_mul_f64 v[39:40], v[3:4], v[73:74]
	s_waitcnt vmcnt(56)
	v_fma_f64 v[65:66], v[5:6], v[75:76], -v[65:66]
	v_mul_f64 v[35:36], v[1:2], v[73:74]
	v_add_f64 v[21:22], v[21:22], v[43:44]
	v_fma_f64 v[43:44], v[7:8], v[75:76], v[116:117]
	v_add_f64 v[13:14], v[13:14], v[29:30]
	s_clause 0x4
	buffer_load_dword v30, off, s[0:3], 0 offset:508
	buffer_load_dword v73, off, s[0:3], 0 offset:520
	;; [unrolled: 1-line block ×5, first 2 shown]
	s_waitcnt vmcnt(57) lgkmcnt(0)
	v_mul_f64 v[116:117], v[9:10], v[81:82]
	v_mul_f64 v[81:82], v[11:12], v[81:82]
	s_waitcnt vmcnt(56)
	v_fma_f64 v[39:40], v[1:2], v[41:42], -v[39:40]
	ds_read_b128 v[5:8], v56 offset:1136
	v_fma_f64 v[35:36], v[3:4], v[41:42], v[35:36]
	s_clause 0x2
	buffer_load_dword v74, off, s[0:3], 0 offset:524
	buffer_load_dword v42, off, s[0:3], 0 offset:500
	;; [unrolled: 1-line block ×3, first 2 shown]
	ds_read_b128 v[1:4], v56 offset:1152
	v_add_f64 v[21:22], v[21:22], v[65:66]
	v_add_f64 v[13:14], v[13:14], v[43:44]
	s_waitcnt vmcnt(58) lgkmcnt(1)
	v_mul_f64 v[65:66], v[7:8], v[85:86]
	s_waitcnt vmcnt(56)
	v_fma_f64 v[81:82], v[9:10], v[87:88], -v[81:82]
	v_mul_f64 v[43:44], v[5:6], v[85:86]
	v_add_f64 v[21:22], v[21:22], v[39:40]
	v_fma_f64 v[39:40], v[11:12], v[87:88], v[116:117]
	v_add_f64 v[13:14], v[13:14], v[35:36]
	s_clause 0x4
	buffer_load_dword v36, off, s[0:3], 0 offset:540
	buffer_load_dword v85, off, s[0:3], 0 offset:552
	;; [unrolled: 1-line block ×5, first 2 shown]
	s_waitcnt vmcnt(57) lgkmcnt(0)
	v_mul_f64 v[116:117], v[1:2], v[89:90]
	v_mul_f64 v[88:89], v[3:4], v[89:90]
	s_waitcnt vmcnt(56)
	v_fma_f64 v[65:66], v[5:6], v[67:68], -v[65:66]
	ds_read_b128 v[9:12], v56 offset:1168
	v_fma_f64 v[43:44], v[7:8], v[67:68], v[43:44]
	v_add_f64 v[21:22], v[21:22], v[81:82]
	v_add_f64 v[13:14], v[13:14], v[39:40]
	s_clause 0x2
	buffer_load_dword v86, off, s[0:3], 0 offset:556
	buffer_load_dword v40, off, s[0:3], 0 offset:532
	;; [unrolled: 1-line block ×3, first 2 shown]
	ds_read_b128 v[5:8], v56 offset:1184
	s_waitcnt vmcnt(58) lgkmcnt(1)
	v_mul_f64 v[81:82], v[11:12], v[91:92]
	s_waitcnt vmcnt(56)
	v_fma_f64 v[89:90], v[1:2], v[93:94], -v[88:89]
	v_mul_f64 v[67:68], v[9:10], v[91:92]
	v_add_f64 v[21:22], v[21:22], v[65:66]
	v_fma_f64 v[65:66], v[3:4], v[93:94], v[116:117]
	v_add_f64 v[13:14], v[13:14], v[43:44]
	s_clause 0x4
	buffer_load_dword v44, off, s[0:3], 0 offset:572
	buffer_load_dword v91, off, s[0:3], 0 offset:584
	;; [unrolled: 1-line block ×5, first 2 shown]
	s_waitcnt vmcnt(57) lgkmcnt(0)
	v_mul_f64 v[116:117], v[5:6], v[101:102]
	v_mul_f64 v[101:102], v[7:8], v[101:102]
	s_waitcnt vmcnt(56)
	v_fma_f64 v[81:82], v[9:10], v[83:84], -v[81:82]
	ds_read_b128 v[1:4], v56 offset:1200
	v_fma_f64 v[67:68], v[11:12], v[83:84], v[67:68]
	v_add_f64 v[21:22], v[21:22], v[89:90]
	v_add_f64 v[13:14], v[13:14], v[65:66]
	s_clause 0x2
	buffer_load_dword v92, off, s[0:3], 0 offset:588
	buffer_load_dword v66, off, s[0:3], 0 offset:564
	;; [unrolled: 1-line block ×3, first 2 shown]
	ds_read_b128 v[9:12], v56 offset:1216
	s_waitcnt vmcnt(58) lgkmcnt(1)
	v_mul_f64 v[89:90], v[3:4], v[103:104]
	v_mul_f64 v[83:84], v[1:2], v[103:104]
	s_waitcnt vmcnt(56)
	v_fma_f64 v[101:102], v[5:6], v[17:18], -v[101:102]
	v_fma_f64 v[17:18], v[7:8], v[17:18], v[116:117]
	v_add_f64 v[21:22], v[21:22], v[81:82]
	v_add_f64 v[13:14], v[13:14], v[67:68]
	s_clause 0x4
	buffer_load_dword v68, off, s[0:3], 0 offset:604
	buffer_load_dword v81, off, s[0:3], 0 offset:616
	buffer_load_dword v103, off, s[0:3], 0 offset:608
	buffer_load_dword v67, off, s[0:3], 0 offset:600
	buffer_load_dword v94, off, s[0:3], 0 offset:580
	ds_read_b128 v[5:8], v56 offset:1232
	s_waitcnt vmcnt(57) lgkmcnt(1)
	v_mul_f64 v[116:117], v[9:10], v[15:16]
	v_mul_f64 v[15:16], v[11:12], v[15:16]
	s_waitcnt vmcnt(56)
	v_fma_f64 v[89:90], v[1:2], v[105:106], -v[89:90]
	v_fma_f64 v[83:84], v[3:4], v[105:106], v[83:84]
	v_add_f64 v[21:22], v[21:22], v[101:102]
	v_add_f64 v[13:14], v[13:14], v[17:18]
	s_clause 0x2
	buffer_load_dword v82, off, s[0:3], 0 offset:620
	buffer_load_dword v18, off, s[0:3], 0 offset:596
	;; [unrolled: 1-line block ×3, first 2 shown]
	s_waitcnt vmcnt(58) lgkmcnt(0)
	v_mul_f64 v[105:106], v[7:8], v[107:108]
	ds_read_b128 v[1:4], v56 offset:1248
	v_mul_f64 v[101:102], v[5:6], v[107:108]
	s_waitcnt vmcnt(56)
	v_fma_f64 v[15:16], v[9:10], v[97:98], -v[15:16]
	v_add_f64 v[21:22], v[21:22], v[89:90]
	v_fma_f64 v[89:90], v[11:12], v[97:98], v[116:117]
	v_add_f64 v[13:14], v[13:14], v[83:84]
	s_clause 0x4
	buffer_load_dword v84, off, s[0:3], 0 offset:636
	buffer_load_dword v97, off, s[0:3], 0 offset:648
	;; [unrolled: 1-line block ×5, first 2 shown]
	ds_read_b128 v[9:12], v56 offset:1264
	s_waitcnt vmcnt(57) lgkmcnt(1)
	v_mul_f64 v[116:117], v[1:2], v[33:34]
	v_mul_f64 v[33:34], v[3:4], v[33:34]
	s_waitcnt vmcnt(56)
	v_fma_f64 v[105:106], v[5:6], v[112:113], -v[105:106]
	v_add_f64 v[15:16], v[21:22], v[15:16]
	v_fma_f64 v[21:22], v[7:8], v[112:113], v[101:102]
	v_add_f64 v[13:14], v[13:14], v[89:90]
	s_clause 0x2
	buffer_load_dword v98, off, s[0:3], 0 offset:652
	buffer_load_dword v90, off, s[0:3], 0 offset:628
	;; [unrolled: 1-line block ×3, first 2 shown]
	ds_read_b128 v[5:8], v56 offset:1280
	s_waitcnt vmcnt(58) lgkmcnt(1)
	v_mul_f64 v[101:102], v[9:10], v[99:100]
	v_mul_f64 v[99:100], v[11:12], v[99:100]
	s_waitcnt vmcnt(56)
	v_fma_f64 v[33:34], v[1:2], v[27:28], -v[33:34]
	v_fma_f64 v[27:28], v[3:4], v[27:28], v[116:117]
	v_add_f64 v[15:16], v[15:16], v[105:106]
	v_add_f64 v[13:14], v[13:14], v[21:22]
	s_clause 0x4
	buffer_load_dword v22, off, s[0:3], 0 offset:668
	buffer_load_dword v105, off, s[0:3], 0 offset:680
	;; [unrolled: 1-line block ×5, first 2 shown]
	ds_read_b128 v[1:4], v56 offset:1296
	s_waitcnt vmcnt(57) lgkmcnt(1)
	v_mul_f64 v[112:113], v[5:6], v[19:20]
	v_mul_f64 v[19:20], v[7:8], v[19:20]
	s_waitcnt vmcnt(56)
	v_fma_f64 v[99:100], v[9:10], v[114:115], -v[99:100]
	v_add_f64 v[15:16], v[15:16], v[33:34]
	v_fma_f64 v[33:34], v[11:12], v[114:115], v[101:102]
	v_add_f64 v[13:14], v[13:14], v[27:28]
	s_clause 0x2
	buffer_load_dword v106, off, s[0:3], 0 offset:684
	buffer_load_dword v28, off, s[0:3], 0 offset:660
	;; [unrolled: 1-line block ×3, first 2 shown]
	ds_read_b128 v[9:12], v56 offset:1312
	s_waitcnt vmcnt(58) lgkmcnt(1)
	v_mul_f64 v[101:102], v[1:2], v[37:38]
	v_mul_f64 v[37:38], v[3:4], v[37:38]
	s_waitcnt vmcnt(56)
	v_fma_f64 v[19:20], v[5:6], v[25:26], -v[19:20]
	v_fma_f64 v[25:26], v[7:8], v[25:26], v[112:113]
	v_add_f64 v[15:16], v[15:16], v[99:100]
	v_add_f64 v[13:14], v[13:14], v[33:34]
	s_clause 0x4
	buffer_load_dword v34, off, s[0:3], 0 offset:700
	buffer_load_dword v99, off, s[0:3], 0 offset:712
	;; [unrolled: 1-line block ×5, first 2 shown]
	ds_read_b128 v[5:8], v56 offset:1328
	s_waitcnt vmcnt(57) lgkmcnt(1)
	v_mul_f64 v[114:115], v[9:10], v[23:24]
	v_mul_f64 v[23:24], v[11:12], v[23:24]
	s_waitcnt vmcnt(56)
	v_fma_f64 v[37:38], v[1:2], v[109:110], -v[37:38]
	v_add_f64 v[15:16], v[15:16], v[19:20]
	v_fma_f64 v[19:20], v[3:4], v[109:110], v[101:102]
	v_add_f64 v[13:14], v[13:14], v[25:26]
	s_clause 0x2
	buffer_load_dword v100, off, s[0:3], 0 offset:716
	buffer_load_dword v26, off, s[0:3], 0 offset:692
	;; [unrolled: 1-line block ×3, first 2 shown]
	s_waitcnt vmcnt(58) lgkmcnt(0)
	v_mul_f64 v[101:102], v[5:6], v[45:46]
	v_mul_f64 v[45:46], v[7:8], v[45:46]
	ds_read_b128 v[1:4], v56 offset:1344
	s_waitcnt vmcnt(56)
	v_fma_f64 v[23:24], v[9:10], v[31:32], -v[23:24]
	v_fma_f64 v[31:32], v[11:12], v[31:32], v[114:115]
	v_add_f64 v[15:16], v[15:16], v[37:38]
	v_add_f64 v[13:14], v[13:14], v[19:20]
	s_clause 0x4
	buffer_load_dword v20, off, s[0:3], 0 offset:732
	buffer_load_dword v37, off, s[0:3], 0 offset:744
	buffer_load_dword v109, off, s[0:3], 0 offset:736
	buffer_load_dword v19, off, s[0:3], 0 offset:728
	buffer_load_dword v114, off, s[0:3], 0 offset:708
	ds_read_b128 v[9:12], v56 offset:1360
	s_waitcnt vmcnt(57) lgkmcnt(1)
	v_mul_f64 v[115:116], v[1:2], v[29:30]
	v_mul_f64 v[29:30], v[3:4], v[29:30]
	s_waitcnt vmcnt(56)
	v_fma_f64 v[45:46], v[5:6], v[95:96], -v[45:46]
	v_add_f64 v[15:16], v[15:16], v[23:24]
	v_fma_f64 v[23:24], v[7:8], v[95:96], v[101:102]
	v_add_f64 v[13:14], v[13:14], v[31:32]
	s_clause 0x2
	buffer_load_dword v38, off, s[0:3], 0 offset:748
	buffer_load_dword v32, off, s[0:3], 0 offset:724
	;; [unrolled: 1-line block ×3, first 2 shown]
	s_waitcnt vmcnt(58) lgkmcnt(0)
	v_mul_f64 v[95:96], v[9:10], v[73:74]
	v_mul_f64 v[73:74], v[11:12], v[73:74]
	ds_read_b128 v[5:8], v56 offset:1376
	s_waitcnt vmcnt(56)
	v_fma_f64 v[29:30], v[1:2], v[41:42], -v[29:30]
	v_fma_f64 v[41:42], v[3:4], v[41:42], v[115:116]
	v_add_f64 v[15:16], v[15:16], v[45:46]
	v_add_f64 v[13:14], v[13:14], v[23:24]
	s_clause 0x4
	buffer_load_dword v24, off, s[0:3], 0 offset:764
	buffer_load_dword v45, off, s[0:3], 0 offset:776
	buffer_load_dword v101, off, s[0:3], 0 offset:768
	buffer_load_dword v23, off, s[0:3], 0 offset:760
	buffer_load_dword v110, off, s[0:3], 0 offset:740
	ds_read_b128 v[1:4], v56 offset:1392
	s_waitcnt vmcnt(57) lgkmcnt(1)
	v_mul_f64 v[115:116], v[5:6], v[35:36]
	v_mul_f64 v[35:36], v[7:8], v[35:36]
	s_waitcnt vmcnt(56)
	v_fma_f64 v[73:74], v[9:10], v[75:76], -v[73:74]
	v_add_f64 v[15:16], v[15:16], v[29:30]
	v_fma_f64 v[29:30], v[11:12], v[75:76], v[95:96]
	v_add_f64 v[13:14], v[13:14], v[41:42]
	s_clause 0x2
	buffer_load_dword v46, off, s[0:3], 0 offset:780
	buffer_load_dword v42, off, s[0:3], 0 offset:756
	buffer_load_dword v41, off, s[0:3], 0 offset:752
	ds_read_b128 v[9:12], v56 offset:1408
	s_waitcnt vmcnt(58) lgkmcnt(1)
	v_mul_f64 v[75:76], v[1:2], v[85:86]
	v_mul_f64 v[85:86], v[3:4], v[85:86]
	s_waitcnt vmcnt(56)
	v_fma_f64 v[35:36], v[5:6], v[39:40], -v[35:36]
	v_fma_f64 v[39:40], v[7:8], v[39:40], v[115:116]
	v_add_f64 v[15:16], v[15:16], v[73:74]
	v_add_f64 v[13:14], v[13:14], v[29:30]
	s_clause 0x4
	buffer_load_dword v30, off, s[0:3], 0 offset:796
	buffer_load_dword v73, off, s[0:3], 0 offset:808
	buffer_load_dword v95, off, s[0:3], 0 offset:800
	buffer_load_dword v29, off, s[0:3], 0 offset:792
	buffer_load_dword v102, off, s[0:3], 0 offset:772
	ds_read_b128 v[5:8], v56 offset:1424
	s_waitcnt vmcnt(57) lgkmcnt(1)
	v_mul_f64 v[115:116], v[9:10], v[43:44]
	v_mul_f64 v[43:44], v[11:12], v[43:44]
	s_waitcnt vmcnt(56)
	v_fma_f64 v[85:86], v[1:2], v[87:88], -v[85:86]
	v_add_f64 v[15:16], v[15:16], v[35:36]
	v_fma_f64 v[35:36], v[3:4], v[87:88], v[75:76]
	v_add_f64 v[13:14], v[13:14], v[39:40]
	s_clause 0x2
	buffer_load_dword v74, off, s[0:3], 0 offset:812
	buffer_load_dword v40, off, s[0:3], 0 offset:788
	buffer_load_dword v39, off, s[0:3], 0 offset:784
	ds_read_b128 v[1:4], v56 offset:1440
	s_waitcnt vmcnt(58) lgkmcnt(1)
	v_mul_f64 v[87:88], v[7:8], v[91:92]
	v_mul_f64 v[75:76], v[5:6], v[91:92]
	;; [unrolled: 28-line block ×3, first 2 shown]
	s_waitcnt vmcnt(56)
	v_fma_f64 v[67:68], v[1:2], v[17:18], -v[67:68]
	v_fma_f64 v[17:18], v[3:4], v[17:18], v[115:116]
	v_add_f64 v[15:16], v[15:16], v[87:88]
	v_add_f64 v[13:14], v[13:14], v[43:44]
	s_clause 0x4
	buffer_load_dword v44, off, s[0:3], 0 offset:860
	buffer_load_dword v87, off, s[0:3], 0 offset:872
	;; [unrolled: 1-line block ×5, first 2 shown]
	ds_read_b128 v[1:4], v56 offset:1488
	s_waitcnt vmcnt(57) lgkmcnt(1)
	v_mul_f64 v[115:116], v[5:6], v[83:84]
	v_mul_f64 v[83:84], v[7:8], v[83:84]
	s_waitcnt vmcnt(56)
	v_fma_f64 v[81:82], v[9:10], v[103:104], -v[81:82]
	v_add_f64 v[15:16], v[15:16], v[67:68]
	v_fma_f64 v[67:68], v[11:12], v[103:104], v[75:76]
	v_add_f64 v[13:14], v[13:14], v[17:18]
	s_clause 0x2
	buffer_load_dword v88, off, s[0:3], 0 offset:876
	buffer_load_dword v18, off, s[0:3], 0 offset:852
	;; [unrolled: 1-line block ×3, first 2 shown]
	ds_read_b128 v[9:12], v56 offset:1504
	buffer_load_dword v94, off, s[0:3], 0 offset:868
	s_waitcnt vmcnt(59) lgkmcnt(1)
	v_mul_f64 v[75:76], v[1:2], v[97:98]
	v_mul_f64 v[97:98], v[3:4], v[97:98]
	s_waitcnt vmcnt(57)
	v_fma_f64 v[83:84], v[5:6], v[89:90], -v[83:84]
	v_add_f64 v[15:16], v[15:16], v[81:82]
	v_fma_f64 v[81:82], v[7:8], v[89:90], v[115:116]
	v_add_f64 v[13:14], v[13:14], v[67:68]
	ds_read_b128 v[5:8], v56 offset:1520
	s_waitcnt vmcnt(53) lgkmcnt(1)
	v_mul_f64 v[67:68], v[9:10], v[21:22]
	v_mul_f64 v[21:22], v[11:12], v[21:22]
	s_waitcnt vmcnt(52)
	v_fma_f64 v[89:90], v[1:2], v[107:108], -v[97:98]
	v_fma_f64 v[75:76], v[3:4], v[107:108], v[75:76]
	ds_read_b128 v[1:4], v56 offset:1536
	v_add_f64 v[15:16], v[15:16], v[83:84]
	v_add_f64 v[13:14], v[13:14], v[81:82]
	s_waitcnt vmcnt(51) lgkmcnt(1)
	v_mul_f64 v[83:84], v[7:8], v[105:106]
	v_mul_f64 v[81:82], v[5:6], v[105:106]
	s_waitcnt vmcnt(49)
	v_fma_f64 v[21:22], v[9:10], v[27:28], -v[21:22]
	v_fma_f64 v[27:28], v[11:12], v[27:28], v[67:68]
	v_add_f64 v[15:16], v[15:16], v[89:90]
	v_add_f64 v[13:14], v[13:14], v[75:76]
	s_clause 0x3
	buffer_load_dword v67, off, s[0:3], 0 offset:80
	buffer_load_dword v68, off, s[0:3], 0 offset:84
	;; [unrolled: 1-line block ×4, first 2 shown]
	ds_read_b128 v[9:12], v56 offset:1552
	s_waitcnt vmcnt(49) lgkmcnt(1)
	v_mul_f64 v[89:90], v[1:2], v[33:34]
	v_mul_f64 v[33:34], v[3:4], v[33:34]
	s_waitcnt vmcnt(48)
	v_fma_f64 v[83:84], v[5:6], v[111:112], -v[83:84]
	v_add_f64 v[15:16], v[15:16], v[21:22]
	v_fma_f64 v[21:22], v[7:8], v[111:112], v[81:82]
	v_add_f64 v[13:14], v[13:14], v[27:28]
	ds_read_b128 v[5:8], v56 offset:1568
	s_waitcnt vmcnt(47) lgkmcnt(1)
	v_mul_f64 v[81:82], v[11:12], v[99:100]
	v_mul_f64 v[27:28], v[9:10], v[99:100]
	s_waitcnt vmcnt(45)
	v_fma_f64 v[33:34], v[1:2], v[25:26], -v[33:34]
	v_fma_f64 v[25:26], v[3:4], v[25:26], v[89:90]
	ds_read_b128 v[1:4], v56 offset:1584
	v_add_f64 v[15:16], v[15:16], v[83:84]
	v_add_f64 v[13:14], v[13:14], v[21:22]
	s_waitcnt vmcnt(41) lgkmcnt(1)
	v_mul_f64 v[21:22], v[5:6], v[19:20]
	v_mul_f64 v[19:20], v[7:8], v[19:20]
	s_waitcnt vmcnt(40)
	v_fma_f64 v[81:82], v[9:10], v[113:114], -v[81:82]
	v_fma_f64 v[27:28], v[11:12], v[113:114], v[27:28]
	ds_read_b128 v[9:12], v56 offset:1600
	v_add_f64 v[15:16], v[15:16], v[33:34]
	v_add_f64 v[13:14], v[13:14], v[25:26]
	;; [unrolled: 9-line block ×3, first 2 shown]
	s_waitcnt vmcnt(33) lgkmcnt(1)
	v_mul_f64 v[27:28], v[9:10], v[23:24]
	v_mul_f64 v[23:24], v[11:12], v[23:24]
	s_waitcnt vmcnt(32)
	v_fma_f64 v[31:32], v[1:2], v[109:110], -v[33:34]
	v_add_f64 v[15:16], v[15:16], v[19:20]
	v_fma_f64 v[19:20], v[3:4], v[109:110], v[25:26]
	v_add_f64 v[13:14], v[13:14], v[21:22]
	ds_read_b128 v[1:4], v56 offset:1632
	s_waitcnt vmcnt(31) lgkmcnt(1)
	v_mul_f64 v[25:26], v[7:8], v[45:46]
	v_mul_f64 v[21:22], v[5:6], v[45:46]
	s_waitcnt vmcnt(29)
	v_fma_f64 v[23:24], v[9:10], v[41:42], -v[23:24]
	v_fma_f64 v[27:28], v[11:12], v[41:42], v[27:28]
	ds_read_b128 v[9:12], v56 offset:1648
	v_add_f64 v[15:16], v[15:16], v[31:32]
	v_add_f64 v[13:14], v[13:14], v[19:20]
	s_waitcnt vmcnt(25) lgkmcnt(1)
	v_mul_f64 v[19:20], v[1:2], v[29:30]
	v_mul_f64 v[29:30], v[3:4], v[29:30]
	s_waitcnt vmcnt(24)
	v_fma_f64 v[25:26], v[5:6], v[101:102], -v[25:26]
	v_fma_f64 v[21:22], v[7:8], v[101:102], v[21:22]
	ds_read_b128 v[5:8], v56 offset:1664
	v_add_f64 v[15:16], v[15:16], v[23:24]
	v_add_f64 v[13:14], v[13:14], v[27:28]
	;; [unrolled: 9-line block ×3, first 2 shown]
	s_waitcnt vmcnt(17) lgkmcnt(1)
	v_mul_f64 v[25:26], v[7:8], v[35:36]
	s_waitcnt vmcnt(16)
	v_fma_f64 v[27:28], v[9:10], v[95:96], -v[27:28]
	v_mul_f64 v[21:22], v[5:6], v[35:36]
	v_fma_f64 v[23:24], v[11:12], v[95:96], v[23:24]
	ds_read_b128 v[9:12], v56 offset:1696
	v_add_f64 v[15:16], v[15:16], v[29:30]
	v_add_f64 v[13:14], v[13:14], v[19:20]
	s_waitcnt vmcnt(15) lgkmcnt(1)
	v_mul_f64 v[29:30], v[3:4], v[85:86]
	v_mul_f64 v[19:20], v[1:2], v[85:86]
	s_waitcnt vmcnt(13)
	v_fma_f64 v[25:26], v[5:6], v[65:66], -v[25:26]
	v_fma_f64 v[21:22], v[7:8], v[65:66], v[21:22]
	ds_read_b128 v[5:8], v56 offset:1712
	v_add_f64 v[15:16], v[15:16], v[27:28]
	v_add_f64 v[13:14], v[13:14], v[23:24]
	s_waitcnt vmcnt(9) lgkmcnt(1)
	v_mul_f64 v[27:28], v[11:12], v[43:44]
	s_waitcnt vmcnt(8)
	v_fma_f64 v[1:2], v[1:2], v[91:92], -v[29:30]
	v_mul_f64 v[23:24], v[9:10], v[43:44]
	v_fma_f64 v[3:4], v[3:4], v[91:92], v[19:20]
	v_add_f64 v[15:16], v[15:16], v[25:26]
	v_add_f64 v[13:14], v[13:14], v[21:22]
	s_waitcnt vmcnt(7) lgkmcnt(0)
	v_mul_f64 v[21:22], v[7:8], v[87:88]
	v_mul_f64 v[19:20], v[5:6], v[87:88]
	s_waitcnt vmcnt(5)
	v_fma_f64 v[9:10], v[9:10], v[17:18], -v[27:28]
	v_fma_f64 v[11:12], v[11:12], v[17:18], v[23:24]
	v_add_f64 v[1:2], v[15:16], v[1:2]
	v_add_f64 v[3:4], v[13:14], v[3:4]
	s_waitcnt vmcnt(4)
	v_fma_f64 v[5:6], v[5:6], v[93:94], -v[21:22]
	v_fma_f64 v[7:8], v[7:8], v[93:94], v[19:20]
	v_add_f64 v[1:2], v[1:2], v[9:10]
	v_add_f64 v[3:4], v[3:4], v[11:12]
	;; [unrolled: 1-line block ×4, first 2 shown]
	s_waitcnt vmcnt(2)
	v_add_f64 v[1:2], v[67:68], -v[1:2]
	s_waitcnt vmcnt(0)
	v_add_f64 v[3:4], v[75:76], -v[3:4]
	buffer_store_dword v2, off, s[0:3], 0 offset:84
	buffer_store_dword v1, off, s[0:3], 0 offset:80
	;; [unrolled: 1-line block ×4, first 2 shown]
	v_cmpx_lt_u32_e32 3, v0
	s_cbranch_execz .LBB53_331
; %bb.330:
	v_mov_b32_e32 v4, s63
	s_clause 0x3
	buffer_load_dword v1, v4, s[0:3], 0 offen
	buffer_load_dword v2, v4, s[0:3], 0 offen offset:4
	buffer_load_dword v3, v4, s[0:3], 0 offen offset:8
	;; [unrolled: 1-line block ×3, first 2 shown]
	buffer_store_dword v56, off, s[0:3], 0 offset:64
	buffer_store_dword v56, off, s[0:3], 0 offset:68
	;; [unrolled: 1-line block ×4, first 2 shown]
	s_waitcnt vmcnt(0)
	ds_write_b128 v47, v[1:4]
.LBB53_331:
	s_or_b32 exec_lo, exec_lo, s4
	s_waitcnt lgkmcnt(0)
	s_waitcnt_vscnt null, 0x0
	s_barrier
	buffer_gl0_inv
	s_clause 0x37
	buffer_load_dword v17, off, s[0:3], 0 offset:88
	buffer_load_dword v18, off, s[0:3], 0 offset:92
	;; [unrolled: 1-line block ×56, first 2 shown]
	ds_read_b128 v[5:8], v56 offset:928
	s_clause 0x2
	buffer_load_dword v92, off, s[0:3], 0 offset:316
	buffer_load_dword v94, off, s[0:3], 0 offset:292
	;; [unrolled: 1-line block ×3, first 2 shown]
	ds_read_b128 v[1:4], v56 offset:944
	s_clause 0x4
	buffer_load_dword v102, off, s[0:3], 0 offset:332
	buffer_load_dword v103, off, s[0:3], 0 offset:344
	;; [unrolled: 1-line block ×5, first 2 shown]
	ds_read_b128 v[95:98], v56 offset:960
	s_mov_b32 s4, exec_lo
	s_waitcnt vmcnt(62) lgkmcnt(2)
	v_mul_f64 v[99:100], v[7:8], v[17:18]
	v_mul_f64 v[17:18], v[5:6], v[17:18]
	s_waitcnt vmcnt(60) lgkmcnt(1)
	v_mul_f64 v[106:107], v[3:4], v[13:14]
	v_mul_f64 v[13:14], v[1:2], v[13:14]
	;; [unrolled: 3-line block ×3, first 2 shown]
	v_fma_f64 v[99:100], v[5:6], v[15:16], -v[99:100]
	v_fma_f64 v[15:16], v[7:8], v[15:16], v[17:18]
	s_clause 0x2
	buffer_load_dword v104, off, s[0:3], 0 offset:348
	buffer_load_dword v18, off, s[0:3], 0 offset:324
	;; [unrolled: 1-line block ×3, first 2 shown]
	s_waitcnt vmcnt(57)
	v_fma_f64 v[110:111], v[1:2], v[9:10], -v[106:107]
	ds_read_b128 v[5:8], v56 offset:976
	v_fma_f64 v[9:10], v[3:4], v[9:10], v[13:14]
	s_waitcnt vmcnt(51)
	v_fma_f64 v[95:96], v[95:96], v[33:34], -v[11:12]
	v_fma_f64 v[33:34], v[97:98], v[33:34], v[108:109]
	v_add_f64 v[99:100], v[99:100], 0
	v_add_f64 v[13:14], v[15:16], 0
	s_clause 0x4
	buffer_load_dword v16, off, s[0:3], 0 offset:364
	buffer_load_dword v107, off, s[0:3], 0 offset:376
	;; [unrolled: 1-line block ×5, first 2 shown]
	s_waitcnt lgkmcnt(0)
	v_mul_f64 v[113:114], v[5:6], v[21:22]
	v_mul_f64 v[21:22], v[7:8], v[21:22]
	ds_read_b128 v[1:4], v56 offset:992
	s_clause 0x2
	buffer_load_dword v108, off, s[0:3], 0 offset:380
	buffer_load_dword v98, off, s[0:3], 0 offset:356
	buffer_load_dword v97, off, s[0:3], 0 offset:352
	v_add_f64 v[99:100], v[99:100], v[110:111]
	v_add_f64 v[13:14], v[13:14], v[9:10]
	ds_read_b128 v[9:12], v56 offset:1008
	s_waitcnt vmcnt(58) lgkmcnt(1)
	v_mul_f64 v[109:110], v[1:2], v[25:26]
	v_mul_f64 v[25:26], v[3:4], v[25:26]
	s_waitcnt vmcnt(56)
	v_fma_f64 v[21:22], v[5:6], v[27:28], -v[21:22]
	v_fma_f64 v[27:28], v[7:8], v[27:28], v[113:114]
	s_waitcnt vmcnt(52) lgkmcnt(0)
	v_mul_f64 v[115:116], v[9:10], v[29:30]
	v_add_f64 v[95:96], v[99:100], v[95:96]
	v_add_f64 v[13:14], v[13:14], v[33:34]
	s_clause 0x4
	buffer_load_dword v34, off, s[0:3], 0 offset:396
	buffer_load_dword v99, off, s[0:3], 0 offset:408
	;; [unrolled: 1-line block ×5, first 2 shown]
	v_mul_f64 v[29:30], v[11:12], v[29:30]
	s_waitcnt vmcnt(56)
	v_fma_f64 v[25:26], v[1:2], v[19:20], -v[25:26]
	ds_read_b128 v[5:8], v56 offset:1024
	v_fma_f64 v[19:20], v[3:4], v[19:20], v[109:110]
	v_add_f64 v[21:22], v[95:96], v[21:22]
	v_add_f64 v[13:14], v[13:14], v[27:28]
	s_clause 0x2
	buffer_load_dword v100, off, s[0:3], 0 offset:412
	buffer_load_dword v28, off, s[0:3], 0 offset:388
	;; [unrolled: 1-line block ×3, first 2 shown]
	s_waitcnt vmcnt(58) lgkmcnt(0)
	v_mul_f64 v[95:96], v[5:6], v[35:36]
	v_mul_f64 v[35:36], v[7:8], v[35:36]
	s_waitcnt vmcnt(56)
	v_fma_f64 v[29:30], v[9:10], v[37:38], -v[29:30]
	ds_read_b128 v[1:4], v56 offset:1040
	v_add_f64 v[21:22], v[21:22], v[25:26]
	v_fma_f64 v[25:26], v[11:12], v[37:38], v[115:116]
	v_add_f64 v[13:14], v[13:14], v[19:20]
	s_clause 0x4
	buffer_load_dword v20, off, s[0:3], 0 offset:428
	buffer_load_dword v37, off, s[0:3], 0 offset:440
	;; [unrolled: 1-line block ×5, first 2 shown]
	s_waitcnt vmcnt(57) lgkmcnt(0)
	v_mul_f64 v[110:111], v[1:2], v[39:40]
	v_mul_f64 v[39:40], v[3:4], v[39:40]
	s_waitcnt vmcnt(56)
	v_fma_f64 v[35:36], v[5:6], v[23:24], -v[35:36]
	ds_read_b128 v[9:12], v56 offset:1056
	v_fma_f64 v[23:24], v[7:8], v[23:24], v[95:96]
	v_add_f64 v[21:22], v[21:22], v[29:30]
	v_add_f64 v[13:14], v[13:14], v[25:26]
	s_clause 0x2
	buffer_load_dword v38, off, s[0:3], 0 offset:444
	buffer_load_dword v26, off, s[0:3], 0 offset:420
	;; [unrolled: 1-line block ×3, first 2 shown]
	ds_read_b128 v[5:8], v56 offset:1072
	s_waitcnt vmcnt(58) lgkmcnt(1)
	v_mul_f64 v[29:30], v[9:10], v[43:44]
	v_mul_f64 v[43:44], v[11:12], v[43:44]
	s_waitcnt vmcnt(56)
	v_fma_f64 v[39:40], v[1:2], v[45:46], -v[39:40]
	v_add_f64 v[21:22], v[21:22], v[35:36]
	v_fma_f64 v[35:36], v[3:4], v[45:46], v[110:111]
	v_add_f64 v[13:14], v[13:14], v[23:24]
	s_clause 0x4
	buffer_load_dword v24, off, s[0:3], 0 offset:460
	buffer_load_dword v45, off, s[0:3], 0 offset:472
	;; [unrolled: 1-line block ×5, first 2 shown]
	s_waitcnt vmcnt(57) lgkmcnt(0)
	v_mul_f64 v[116:117], v[5:6], v[65:66]
	v_mul_f64 v[65:66], v[7:8], v[65:66]
	s_waitcnt vmcnt(56)
	v_fma_f64 v[43:44], v[9:10], v[31:32], -v[43:44]
	ds_read_b128 v[1:4], v56 offset:1088
	v_fma_f64 v[29:30], v[11:12], v[31:32], v[29:30]
	s_clause 0x2
	buffer_load_dword v46, off, s[0:3], 0 offset:476
	buffer_load_dword v32, off, s[0:3], 0 offset:452
	;; [unrolled: 1-line block ×3, first 2 shown]
	ds_read_b128 v[9:12], v56 offset:1104
	v_add_f64 v[21:22], v[21:22], v[39:40]
	v_add_f64 v[13:14], v[13:14], v[35:36]
	s_waitcnt vmcnt(58) lgkmcnt(1)
	v_mul_f64 v[39:40], v[3:4], v[73:74]
	s_waitcnt vmcnt(56)
	v_fma_f64 v[65:66], v[5:6], v[75:76], -v[65:66]
	v_mul_f64 v[35:36], v[1:2], v[73:74]
	v_add_f64 v[21:22], v[21:22], v[43:44]
	v_fma_f64 v[43:44], v[7:8], v[75:76], v[116:117]
	v_add_f64 v[13:14], v[13:14], v[29:30]
	s_clause 0x4
	buffer_load_dword v30, off, s[0:3], 0 offset:492
	buffer_load_dword v73, off, s[0:3], 0 offset:504
	;; [unrolled: 1-line block ×5, first 2 shown]
	s_waitcnt vmcnt(57) lgkmcnt(0)
	v_mul_f64 v[116:117], v[9:10], v[81:82]
	v_mul_f64 v[81:82], v[11:12], v[81:82]
	s_waitcnt vmcnt(56)
	v_fma_f64 v[39:40], v[1:2], v[41:42], -v[39:40]
	ds_read_b128 v[5:8], v56 offset:1120
	v_fma_f64 v[35:36], v[3:4], v[41:42], v[35:36]
	s_clause 0x2
	buffer_load_dword v74, off, s[0:3], 0 offset:508
	buffer_load_dword v42, off, s[0:3], 0 offset:484
	;; [unrolled: 1-line block ×3, first 2 shown]
	ds_read_b128 v[1:4], v56 offset:1136
	v_add_f64 v[21:22], v[21:22], v[65:66]
	v_add_f64 v[13:14], v[13:14], v[43:44]
	s_waitcnt vmcnt(58) lgkmcnt(1)
	v_mul_f64 v[65:66], v[7:8], v[85:86]
	s_waitcnt vmcnt(56)
	v_fma_f64 v[81:82], v[9:10], v[87:88], -v[81:82]
	v_mul_f64 v[43:44], v[5:6], v[85:86]
	v_add_f64 v[21:22], v[21:22], v[39:40]
	v_fma_f64 v[39:40], v[11:12], v[87:88], v[116:117]
	v_add_f64 v[13:14], v[13:14], v[35:36]
	s_clause 0x4
	buffer_load_dword v36, off, s[0:3], 0 offset:524
	buffer_load_dword v85, off, s[0:3], 0 offset:536
	;; [unrolled: 1-line block ×5, first 2 shown]
	s_waitcnt vmcnt(57) lgkmcnt(0)
	v_mul_f64 v[116:117], v[1:2], v[89:90]
	v_mul_f64 v[88:89], v[3:4], v[89:90]
	s_waitcnt vmcnt(56)
	v_fma_f64 v[65:66], v[5:6], v[67:68], -v[65:66]
	ds_read_b128 v[9:12], v56 offset:1152
	v_fma_f64 v[43:44], v[7:8], v[67:68], v[43:44]
	v_add_f64 v[21:22], v[21:22], v[81:82]
	v_add_f64 v[13:14], v[13:14], v[39:40]
	s_clause 0x2
	buffer_load_dword v86, off, s[0:3], 0 offset:540
	buffer_load_dword v40, off, s[0:3], 0 offset:516
	buffer_load_dword v39, off, s[0:3], 0 offset:512
	ds_read_b128 v[5:8], v56 offset:1168
	s_waitcnt vmcnt(58) lgkmcnt(1)
	v_mul_f64 v[81:82], v[11:12], v[91:92]
	s_waitcnt vmcnt(56)
	v_fma_f64 v[89:90], v[1:2], v[93:94], -v[88:89]
	v_mul_f64 v[67:68], v[9:10], v[91:92]
	v_add_f64 v[21:22], v[21:22], v[65:66]
	v_fma_f64 v[65:66], v[3:4], v[93:94], v[116:117]
	v_add_f64 v[13:14], v[13:14], v[43:44]
	s_clause 0x4
	buffer_load_dword v44, off, s[0:3], 0 offset:556
	buffer_load_dword v91, off, s[0:3], 0 offset:568
	;; [unrolled: 1-line block ×5, first 2 shown]
	s_waitcnt vmcnt(57) lgkmcnt(0)
	v_mul_f64 v[116:117], v[5:6], v[101:102]
	v_mul_f64 v[101:102], v[7:8], v[101:102]
	s_waitcnt vmcnt(56)
	v_fma_f64 v[81:82], v[9:10], v[83:84], -v[81:82]
	ds_read_b128 v[1:4], v56 offset:1184
	v_fma_f64 v[67:68], v[11:12], v[83:84], v[67:68]
	v_add_f64 v[21:22], v[21:22], v[89:90]
	v_add_f64 v[13:14], v[13:14], v[65:66]
	s_clause 0x2
	buffer_load_dword v92, off, s[0:3], 0 offset:572
	buffer_load_dword v66, off, s[0:3], 0 offset:548
	;; [unrolled: 1-line block ×3, first 2 shown]
	ds_read_b128 v[9:12], v56 offset:1200
	s_waitcnt vmcnt(58) lgkmcnt(1)
	v_mul_f64 v[89:90], v[3:4], v[103:104]
	v_mul_f64 v[83:84], v[1:2], v[103:104]
	s_waitcnt vmcnt(56)
	v_fma_f64 v[101:102], v[5:6], v[17:18], -v[101:102]
	v_fma_f64 v[17:18], v[7:8], v[17:18], v[116:117]
	v_add_f64 v[21:22], v[21:22], v[81:82]
	v_add_f64 v[13:14], v[13:14], v[67:68]
	s_clause 0x4
	buffer_load_dword v68, off, s[0:3], 0 offset:588
	buffer_load_dword v81, off, s[0:3], 0 offset:600
	;; [unrolled: 1-line block ×5, first 2 shown]
	ds_read_b128 v[5:8], v56 offset:1216
	s_waitcnt vmcnt(57) lgkmcnt(1)
	v_mul_f64 v[116:117], v[9:10], v[15:16]
	v_mul_f64 v[15:16], v[11:12], v[15:16]
	s_waitcnt vmcnt(56)
	v_fma_f64 v[89:90], v[1:2], v[105:106], -v[89:90]
	v_fma_f64 v[83:84], v[3:4], v[105:106], v[83:84]
	v_add_f64 v[21:22], v[21:22], v[101:102]
	v_add_f64 v[13:14], v[13:14], v[17:18]
	s_clause 0x2
	buffer_load_dword v82, off, s[0:3], 0 offset:604
	buffer_load_dword v18, off, s[0:3], 0 offset:580
	;; [unrolled: 1-line block ×3, first 2 shown]
	s_waitcnt vmcnt(58) lgkmcnt(0)
	v_mul_f64 v[105:106], v[7:8], v[107:108]
	ds_read_b128 v[1:4], v56 offset:1232
	v_mul_f64 v[101:102], v[5:6], v[107:108]
	s_waitcnt vmcnt(56)
	v_fma_f64 v[15:16], v[9:10], v[97:98], -v[15:16]
	v_add_f64 v[21:22], v[21:22], v[89:90]
	v_fma_f64 v[89:90], v[11:12], v[97:98], v[116:117]
	v_add_f64 v[13:14], v[13:14], v[83:84]
	s_clause 0x4
	buffer_load_dword v84, off, s[0:3], 0 offset:620
	buffer_load_dword v97, off, s[0:3], 0 offset:632
	;; [unrolled: 1-line block ×5, first 2 shown]
	ds_read_b128 v[9:12], v56 offset:1248
	s_waitcnt vmcnt(57) lgkmcnt(1)
	v_mul_f64 v[116:117], v[1:2], v[33:34]
	v_mul_f64 v[33:34], v[3:4], v[33:34]
	s_waitcnt vmcnt(56)
	v_fma_f64 v[105:106], v[5:6], v[112:113], -v[105:106]
	v_add_f64 v[15:16], v[21:22], v[15:16]
	v_fma_f64 v[21:22], v[7:8], v[112:113], v[101:102]
	v_add_f64 v[13:14], v[13:14], v[89:90]
	s_clause 0x2
	buffer_load_dword v98, off, s[0:3], 0 offset:636
	buffer_load_dword v90, off, s[0:3], 0 offset:612
	;; [unrolled: 1-line block ×3, first 2 shown]
	ds_read_b128 v[5:8], v56 offset:1264
	s_waitcnt vmcnt(58) lgkmcnt(1)
	v_mul_f64 v[101:102], v[9:10], v[99:100]
	v_mul_f64 v[99:100], v[11:12], v[99:100]
	s_waitcnt vmcnt(56)
	v_fma_f64 v[33:34], v[1:2], v[27:28], -v[33:34]
	v_fma_f64 v[27:28], v[3:4], v[27:28], v[116:117]
	v_add_f64 v[15:16], v[15:16], v[105:106]
	v_add_f64 v[13:14], v[13:14], v[21:22]
	s_clause 0x4
	buffer_load_dword v22, off, s[0:3], 0 offset:652
	buffer_load_dword v105, off, s[0:3], 0 offset:664
	;; [unrolled: 1-line block ×5, first 2 shown]
	ds_read_b128 v[1:4], v56 offset:1280
	s_waitcnt vmcnt(57) lgkmcnt(1)
	v_mul_f64 v[112:113], v[5:6], v[19:20]
	v_mul_f64 v[19:20], v[7:8], v[19:20]
	s_waitcnt vmcnt(56)
	v_fma_f64 v[99:100], v[9:10], v[114:115], -v[99:100]
	v_add_f64 v[15:16], v[15:16], v[33:34]
	v_fma_f64 v[33:34], v[11:12], v[114:115], v[101:102]
	v_add_f64 v[13:14], v[13:14], v[27:28]
	s_clause 0x2
	buffer_load_dword v106, off, s[0:3], 0 offset:668
	buffer_load_dword v28, off, s[0:3], 0 offset:644
	;; [unrolled: 1-line block ×3, first 2 shown]
	ds_read_b128 v[9:12], v56 offset:1296
	s_waitcnt vmcnt(58) lgkmcnt(1)
	v_mul_f64 v[101:102], v[1:2], v[37:38]
	v_mul_f64 v[37:38], v[3:4], v[37:38]
	s_waitcnt vmcnt(56)
	v_fma_f64 v[19:20], v[5:6], v[25:26], -v[19:20]
	v_fma_f64 v[25:26], v[7:8], v[25:26], v[112:113]
	v_add_f64 v[15:16], v[15:16], v[99:100]
	v_add_f64 v[13:14], v[13:14], v[33:34]
	s_clause 0x4
	buffer_load_dword v34, off, s[0:3], 0 offset:684
	buffer_load_dword v99, off, s[0:3], 0 offset:696
	;; [unrolled: 1-line block ×5, first 2 shown]
	ds_read_b128 v[5:8], v56 offset:1312
	s_waitcnt vmcnt(57) lgkmcnt(1)
	v_mul_f64 v[114:115], v[9:10], v[23:24]
	v_mul_f64 v[23:24], v[11:12], v[23:24]
	s_waitcnt vmcnt(56)
	v_fma_f64 v[37:38], v[1:2], v[109:110], -v[37:38]
	v_add_f64 v[15:16], v[15:16], v[19:20]
	v_fma_f64 v[19:20], v[3:4], v[109:110], v[101:102]
	v_add_f64 v[13:14], v[13:14], v[25:26]
	s_clause 0x2
	buffer_load_dword v100, off, s[0:3], 0 offset:700
	buffer_load_dword v26, off, s[0:3], 0 offset:676
	;; [unrolled: 1-line block ×3, first 2 shown]
	s_waitcnt vmcnt(58) lgkmcnt(0)
	v_mul_f64 v[101:102], v[5:6], v[45:46]
	v_mul_f64 v[45:46], v[7:8], v[45:46]
	ds_read_b128 v[1:4], v56 offset:1328
	s_waitcnt vmcnt(56)
	v_fma_f64 v[23:24], v[9:10], v[31:32], -v[23:24]
	v_fma_f64 v[31:32], v[11:12], v[31:32], v[114:115]
	v_add_f64 v[15:16], v[15:16], v[37:38]
	v_add_f64 v[13:14], v[13:14], v[19:20]
	s_clause 0x4
	buffer_load_dword v20, off, s[0:3], 0 offset:716
	buffer_load_dword v37, off, s[0:3], 0 offset:728
	;; [unrolled: 1-line block ×5, first 2 shown]
	ds_read_b128 v[9:12], v56 offset:1344
	s_waitcnt vmcnt(57) lgkmcnt(1)
	v_mul_f64 v[115:116], v[1:2], v[29:30]
	v_mul_f64 v[29:30], v[3:4], v[29:30]
	s_waitcnt vmcnt(56)
	v_fma_f64 v[45:46], v[5:6], v[95:96], -v[45:46]
	v_add_f64 v[15:16], v[15:16], v[23:24]
	v_fma_f64 v[23:24], v[7:8], v[95:96], v[101:102]
	v_add_f64 v[13:14], v[13:14], v[31:32]
	s_clause 0x2
	buffer_load_dword v38, off, s[0:3], 0 offset:732
	buffer_load_dword v32, off, s[0:3], 0 offset:708
	;; [unrolled: 1-line block ×3, first 2 shown]
	s_waitcnt vmcnt(58) lgkmcnt(0)
	v_mul_f64 v[95:96], v[9:10], v[73:74]
	v_mul_f64 v[73:74], v[11:12], v[73:74]
	ds_read_b128 v[5:8], v56 offset:1360
	s_waitcnt vmcnt(56)
	v_fma_f64 v[29:30], v[1:2], v[41:42], -v[29:30]
	v_fma_f64 v[41:42], v[3:4], v[41:42], v[115:116]
	v_add_f64 v[15:16], v[15:16], v[45:46]
	v_add_f64 v[13:14], v[13:14], v[23:24]
	s_clause 0x4
	buffer_load_dword v24, off, s[0:3], 0 offset:748
	buffer_load_dword v45, off, s[0:3], 0 offset:760
	buffer_load_dword v101, off, s[0:3], 0 offset:752
	buffer_load_dword v23, off, s[0:3], 0 offset:744
	buffer_load_dword v110, off, s[0:3], 0 offset:724
	ds_read_b128 v[1:4], v56 offset:1376
	s_waitcnt vmcnt(57) lgkmcnt(1)
	v_mul_f64 v[115:116], v[5:6], v[35:36]
	v_mul_f64 v[35:36], v[7:8], v[35:36]
	s_waitcnt vmcnt(56)
	v_fma_f64 v[73:74], v[9:10], v[75:76], -v[73:74]
	v_add_f64 v[15:16], v[15:16], v[29:30]
	v_fma_f64 v[29:30], v[11:12], v[75:76], v[95:96]
	v_add_f64 v[13:14], v[13:14], v[41:42]
	s_clause 0x2
	buffer_load_dword v46, off, s[0:3], 0 offset:764
	buffer_load_dword v42, off, s[0:3], 0 offset:740
	buffer_load_dword v41, off, s[0:3], 0 offset:736
	ds_read_b128 v[9:12], v56 offset:1392
	s_waitcnt vmcnt(58) lgkmcnt(1)
	v_mul_f64 v[75:76], v[1:2], v[85:86]
	v_mul_f64 v[85:86], v[3:4], v[85:86]
	s_waitcnt vmcnt(56)
	v_fma_f64 v[35:36], v[5:6], v[39:40], -v[35:36]
	v_fma_f64 v[39:40], v[7:8], v[39:40], v[115:116]
	v_add_f64 v[15:16], v[15:16], v[73:74]
	v_add_f64 v[13:14], v[13:14], v[29:30]
	s_clause 0x4
	buffer_load_dword v30, off, s[0:3], 0 offset:780
	buffer_load_dword v73, off, s[0:3], 0 offset:792
	buffer_load_dword v95, off, s[0:3], 0 offset:784
	buffer_load_dword v29, off, s[0:3], 0 offset:776
	buffer_load_dword v102, off, s[0:3], 0 offset:756
	ds_read_b128 v[5:8], v56 offset:1408
	s_waitcnt vmcnt(57) lgkmcnt(1)
	v_mul_f64 v[115:116], v[9:10], v[43:44]
	v_mul_f64 v[43:44], v[11:12], v[43:44]
	s_waitcnt vmcnt(56)
	v_fma_f64 v[85:86], v[1:2], v[87:88], -v[85:86]
	v_add_f64 v[15:16], v[15:16], v[35:36]
	v_fma_f64 v[35:36], v[3:4], v[87:88], v[75:76]
	v_add_f64 v[13:14], v[13:14], v[39:40]
	s_clause 0x2
	buffer_load_dword v74, off, s[0:3], 0 offset:796
	buffer_load_dword v40, off, s[0:3], 0 offset:772
	buffer_load_dword v39, off, s[0:3], 0 offset:768
	ds_read_b128 v[1:4], v56 offset:1424
	s_waitcnt vmcnt(58) lgkmcnt(1)
	v_mul_f64 v[87:88], v[7:8], v[91:92]
	v_mul_f64 v[75:76], v[5:6], v[91:92]
	;; [unrolled: 28-line block ×4, first 2 shown]
	s_waitcnt vmcnt(56)
	v_fma_f64 v[83:84], v[5:6], v[89:90], -v[83:84]
	v_add_f64 v[15:16], v[15:16], v[81:82]
	v_fma_f64 v[81:82], v[7:8], v[89:90], v[115:116]
	v_add_f64 v[13:14], v[13:14], v[67:68]
	s_clause 0x2
	buffer_load_dword v68, off, s[0:3], 0 offset:876
	buffer_load_dword v67, off, s[0:3], 0 offset:872
	;; [unrolled: 1-line block ×3, first 2 shown]
	ds_read_b128 v[5:8], v56 offset:1504
	s_waitcnt vmcnt(55) lgkmcnt(1)
	v_mul_f64 v[89:90], v[9:10], v[21:22]
	v_mul_f64 v[21:22], v[11:12], v[21:22]
	s_waitcnt vmcnt(54)
	v_fma_f64 v[97:98], v[1:2], v[107:108], -v[97:98]
	v_fma_f64 v[75:76], v[3:4], v[107:108], v[75:76]
	v_add_f64 v[15:16], v[15:16], v[83:84]
	v_add_f64 v[13:14], v[13:14], v[81:82]
	s_clause 0x1
	buffer_load_dword v82, off, s[0:3], 0 offset:868
	buffer_load_dword v81, off, s[0:3], 0 offset:864
	ds_read_b128 v[1:4], v56 offset:1520
	s_waitcnt vmcnt(55) lgkmcnt(1)
	v_mul_f64 v[103:104], v[7:8], v[105:106]
	v_mul_f64 v[83:84], v[5:6], v[105:106]
	s_waitcnt vmcnt(53)
	v_fma_f64 v[21:22], v[9:10], v[27:28], -v[21:22]
	v_fma_f64 v[27:28], v[11:12], v[27:28], v[89:90]
	ds_read_b128 v[9:12], v56 offset:1536
	v_add_f64 v[15:16], v[15:16], v[97:98]
	v_add_f64 v[13:14], v[13:14], v[75:76]
	s_waitcnt vmcnt(49) lgkmcnt(1)
	v_mul_f64 v[75:76], v[1:2], v[33:34]
	v_mul_f64 v[33:34], v[3:4], v[33:34]
	s_waitcnt vmcnt(48)
	v_fma_f64 v[89:90], v[5:6], v[111:112], -v[103:104]
	v_add_f64 v[15:16], v[15:16], v[21:22]
	v_fma_f64 v[21:22], v[7:8], v[111:112], v[83:84]
	v_add_f64 v[13:14], v[13:14], v[27:28]
	s_clause 0x3
	buffer_load_dword v27, off, s[0:3], 0 offset:64
	buffer_load_dword v28, off, s[0:3], 0 offset:68
	;; [unrolled: 1-line block ×4, first 2 shown]
	ds_read_b128 v[5:8], v56 offset:1552
	s_waitcnt vmcnt(51) lgkmcnt(1)
	v_mul_f64 v[97:98], v[9:10], v[99:100]
	v_mul_f64 v[99:100], v[11:12], v[99:100]
	s_waitcnt vmcnt(49)
	v_fma_f64 v[33:34], v[1:2], v[25:26], -v[33:34]
	v_fma_f64 v[25:26], v[3:4], v[25:26], v[75:76]
	ds_read_b128 v[1:4], v56 offset:1568
	v_add_f64 v[15:16], v[15:16], v[89:90]
	v_add_f64 v[13:14], v[13:14], v[21:22]
	s_waitcnt vmcnt(45) lgkmcnt(1)
	v_mul_f64 v[21:22], v[5:6], v[19:20]
	v_mul_f64 v[19:20], v[7:8], v[19:20]
	s_waitcnt vmcnt(44)
	v_fma_f64 v[75:76], v[9:10], v[113:114], -v[99:100]
	v_add_f64 v[15:16], v[15:16], v[33:34]
	v_fma_f64 v[33:34], v[11:12], v[113:114], v[97:98]
	v_add_f64 v[13:14], v[13:14], v[25:26]
	ds_read_b128 v[9:12], v56 offset:1584
	s_waitcnt vmcnt(43) lgkmcnt(1)
	v_mul_f64 v[25:26], v[1:2], v[37:38]
	v_mul_f64 v[37:38], v[3:4], v[37:38]
	s_waitcnt vmcnt(41)
	v_fma_f64 v[19:20], v[5:6], v[31:32], -v[19:20]
	v_fma_f64 v[21:22], v[7:8], v[31:32], v[21:22]
	ds_read_b128 v[5:8], v56 offset:1600
	v_add_f64 v[15:16], v[15:16], v[75:76]
	v_add_f64 v[13:14], v[13:14], v[33:34]
	s_waitcnt vmcnt(37) lgkmcnt(1)
	v_mul_f64 v[31:32], v[9:10], v[23:24]
	v_mul_f64 v[23:24], v[11:12], v[23:24]
	s_waitcnt vmcnt(36)
	v_fma_f64 v[33:34], v[1:2], v[109:110], -v[37:38]
	v_add_f64 v[15:16], v[15:16], v[19:20]
	v_fma_f64 v[19:20], v[3:4], v[109:110], v[25:26]
	v_add_f64 v[13:14], v[13:14], v[21:22]
	ds_read_b128 v[1:4], v56 offset:1616
	s_waitcnt vmcnt(35) lgkmcnt(1)
	v_mul_f64 v[25:26], v[7:8], v[45:46]
	v_mul_f64 v[21:22], v[5:6], v[45:46]
	s_waitcnt vmcnt(33)
	v_fma_f64 v[23:24], v[9:10], v[41:42], -v[23:24]
	v_fma_f64 v[31:32], v[11:12], v[41:42], v[31:32]
	ds_read_b128 v[9:12], v56 offset:1632
	v_add_f64 v[15:16], v[15:16], v[33:34]
	v_add_f64 v[13:14], v[13:14], v[19:20]
	s_waitcnt vmcnt(29) lgkmcnt(1)
	v_mul_f64 v[19:20], v[1:2], v[29:30]
	v_mul_f64 v[29:30], v[3:4], v[29:30]
	s_waitcnt vmcnt(28)
	v_fma_f64 v[25:26], v[5:6], v[101:102], -v[25:26]
	v_fma_f64 v[21:22], v[7:8], v[101:102], v[21:22]
	ds_read_b128 v[5:8], v56 offset:1648
	v_add_f64 v[15:16], v[15:16], v[23:24]
	v_add_f64 v[13:14], v[13:14], v[31:32]
	;; [unrolled: 9-line block ×3, first 2 shown]
	s_waitcnt vmcnt(21) lgkmcnt(1)
	v_mul_f64 v[25:26], v[7:8], v[35:36]
	s_waitcnt vmcnt(20)
	v_fma_f64 v[31:32], v[9:10], v[95:96], -v[31:32]
	v_mul_f64 v[21:22], v[5:6], v[35:36]
	v_fma_f64 v[23:24], v[11:12], v[95:96], v[23:24]
	ds_read_b128 v[9:12], v56 offset:1680
	v_add_f64 v[15:16], v[15:16], v[29:30]
	v_add_f64 v[13:14], v[13:14], v[19:20]
	s_waitcnt vmcnt(19) lgkmcnt(1)
	v_mul_f64 v[29:30], v[3:4], v[85:86]
	v_mul_f64 v[19:20], v[1:2], v[85:86]
	s_waitcnt vmcnt(17)
	v_fma_f64 v[25:26], v[5:6], v[65:66], -v[25:26]
	v_fma_f64 v[21:22], v[7:8], v[65:66], v[21:22]
	ds_read_b128 v[5:8], v56 offset:1696
	v_add_f64 v[15:16], v[15:16], v[31:32]
	v_add_f64 v[13:14], v[13:14], v[23:24]
	s_waitcnt vmcnt(13) lgkmcnt(1)
	v_mul_f64 v[31:32], v[11:12], v[43:44]
	s_waitcnt vmcnt(12)
	v_fma_f64 v[29:30], v[1:2], v[91:92], -v[29:30]
	v_mul_f64 v[23:24], v[9:10], v[43:44]
	v_fma_f64 v[19:20], v[3:4], v[91:92], v[19:20]
	ds_read_b128 v[1:4], v56 offset:1712
	v_add_f64 v[15:16], v[15:16], v[25:26]
	v_add_f64 v[13:14], v[13:14], v[21:22]
	s_waitcnt vmcnt(11) lgkmcnt(1)
	v_mul_f64 v[25:26], v[7:8], v[87:88]
	v_mul_f64 v[21:22], v[5:6], v[87:88]
	s_waitcnt vmcnt(9)
	v_fma_f64 v[9:10], v[9:10], v[17:18], -v[31:32]
	v_fma_f64 v[11:12], v[11:12], v[17:18], v[23:24]
	v_add_f64 v[15:16], v[15:16], v[29:30]
	v_add_f64 v[13:14], v[13:14], v[19:20]
	s_waitcnt vmcnt(7) lgkmcnt(0)
	v_mul_f64 v[19:20], v[3:4], v[67:68]
	s_waitcnt vmcnt(6)
	v_fma_f64 v[5:6], v[5:6], v[93:94], -v[25:26]
	v_mul_f64 v[17:18], v[1:2], v[67:68]
	v_fma_f64 v[7:8], v[7:8], v[93:94], v[21:22]
	v_add_f64 v[9:10], v[15:16], v[9:10]
	v_add_f64 v[11:12], v[13:14], v[11:12]
	s_waitcnt vmcnt(4)
	v_fma_f64 v[1:2], v[1:2], v[81:82], -v[19:20]
	v_fma_f64 v[3:4], v[3:4], v[81:82], v[17:18]
	v_add_f64 v[5:6], v[9:10], v[5:6]
	v_add_f64 v[7:8], v[11:12], v[7:8]
	;; [unrolled: 1-line block ×4, first 2 shown]
	s_waitcnt vmcnt(2)
	v_add_f64 v[1:2], v[27:28], -v[1:2]
	s_waitcnt vmcnt(0)
	v_add_f64 v[3:4], v[83:84], -v[3:4]
	buffer_store_dword v2, off, s[0:3], 0 offset:68
	buffer_store_dword v1, off, s[0:3], 0 offset:64
	;; [unrolled: 1-line block ×4, first 2 shown]
	v_cmpx_lt_u32_e32 2, v0
	s_cbranch_execz .LBB53_333
; %bb.332:
	v_mov_b32_e32 v4, s64
	v_mov_b32_e32 v5, 0
	s_clause 0x3
	buffer_load_dword v1, v4, s[0:3], 0 offen
	buffer_load_dword v2, v4, s[0:3], 0 offen offset:4
	buffer_load_dword v3, v4, s[0:3], 0 offen offset:8
	;; [unrolled: 1-line block ×3, first 2 shown]
	buffer_store_dword v5, off, s[0:3], 0 offset:48
	buffer_store_dword v5, off, s[0:3], 0 offset:52
	;; [unrolled: 1-line block ×4, first 2 shown]
	s_waitcnt vmcnt(0)
	ds_write_b128 v47, v[1:4]
.LBB53_333:
	s_or_b32 exec_lo, exec_lo, s4
	s_waitcnt lgkmcnt(0)
	s_waitcnt_vscnt null, 0x0
	s_barrier
	buffer_gl0_inv
	s_clause 0x37
	buffer_load_dword v17, off, s[0:3], 0 offset:72
	buffer_load_dword v18, off, s[0:3], 0 offset:76
	;; [unrolled: 1-line block ×56, first 2 shown]
	v_mov_b32_e32 v56, 0
	s_mov_b32 s4, exec_lo
	ds_read_b128 v[5:8], v56 offset:912
	s_clause 0x2
	buffer_load_dword v92, off, s[0:3], 0 offset:300
	buffer_load_dword v94, off, s[0:3], 0 offset:276
	buffer_load_dword v93, off, s[0:3], 0 offset:272
	ds_read_b128 v[1:4], v56 offset:928
	s_clause 0x4
	buffer_load_dword v102, off, s[0:3], 0 offset:316
	buffer_load_dword v103, off, s[0:3], 0 offset:328
	;; [unrolled: 1-line block ×5, first 2 shown]
	ds_read_b128 v[95:98], v56 offset:944
	s_waitcnt vmcnt(62) lgkmcnt(2)
	v_mul_f64 v[99:100], v[7:8], v[17:18]
	v_mul_f64 v[17:18], v[5:6], v[17:18]
	s_waitcnt vmcnt(60) lgkmcnt(1)
	v_mul_f64 v[106:107], v[3:4], v[13:14]
	v_mul_f64 v[13:14], v[1:2], v[13:14]
	s_waitcnt vmcnt(56) lgkmcnt(0)
	v_mul_f64 v[108:109], v[95:96], v[11:12]
	v_mul_f64 v[11:12], v[97:98], v[11:12]
	v_fma_f64 v[99:100], v[5:6], v[15:16], -v[99:100]
	v_fma_f64 v[15:16], v[7:8], v[15:16], v[17:18]
	s_clause 0x2
	buffer_load_dword v104, off, s[0:3], 0 offset:332
	buffer_load_dword v18, off, s[0:3], 0 offset:308
	;; [unrolled: 1-line block ×3, first 2 shown]
	s_waitcnt vmcnt(57)
	v_fma_f64 v[110:111], v[1:2], v[9:10], -v[106:107]
	ds_read_b128 v[5:8], v56 offset:960
	v_fma_f64 v[9:10], v[3:4], v[9:10], v[13:14]
	s_waitcnt vmcnt(51)
	v_fma_f64 v[95:96], v[95:96], v[33:34], -v[11:12]
	v_fma_f64 v[33:34], v[97:98], v[33:34], v[108:109]
	v_add_f64 v[99:100], v[99:100], 0
	v_add_f64 v[13:14], v[15:16], 0
	s_clause 0x4
	buffer_load_dword v16, off, s[0:3], 0 offset:348
	buffer_load_dword v107, off, s[0:3], 0 offset:360
	;; [unrolled: 1-line block ×5, first 2 shown]
	s_waitcnt lgkmcnt(0)
	v_mul_f64 v[113:114], v[5:6], v[21:22]
	v_mul_f64 v[21:22], v[7:8], v[21:22]
	ds_read_b128 v[1:4], v56 offset:976
	s_clause 0x2
	buffer_load_dword v108, off, s[0:3], 0 offset:364
	buffer_load_dword v98, off, s[0:3], 0 offset:340
	;; [unrolled: 1-line block ×3, first 2 shown]
	v_add_f64 v[99:100], v[99:100], v[110:111]
	v_add_f64 v[13:14], v[13:14], v[9:10]
	ds_read_b128 v[9:12], v56 offset:992
	s_waitcnt vmcnt(58) lgkmcnt(1)
	v_mul_f64 v[109:110], v[1:2], v[25:26]
	v_mul_f64 v[25:26], v[3:4], v[25:26]
	s_waitcnt vmcnt(56)
	v_fma_f64 v[21:22], v[5:6], v[27:28], -v[21:22]
	v_fma_f64 v[27:28], v[7:8], v[27:28], v[113:114]
	s_waitcnt vmcnt(52) lgkmcnt(0)
	v_mul_f64 v[115:116], v[9:10], v[29:30]
	v_add_f64 v[95:96], v[99:100], v[95:96]
	v_add_f64 v[13:14], v[13:14], v[33:34]
	s_clause 0x4
	buffer_load_dword v34, off, s[0:3], 0 offset:380
	buffer_load_dword v99, off, s[0:3], 0 offset:392
	;; [unrolled: 1-line block ×5, first 2 shown]
	v_mul_f64 v[29:30], v[11:12], v[29:30]
	s_waitcnt vmcnt(56)
	v_fma_f64 v[25:26], v[1:2], v[19:20], -v[25:26]
	ds_read_b128 v[5:8], v56 offset:1008
	v_fma_f64 v[19:20], v[3:4], v[19:20], v[109:110]
	v_add_f64 v[21:22], v[95:96], v[21:22]
	v_add_f64 v[13:14], v[13:14], v[27:28]
	s_clause 0x2
	buffer_load_dword v100, off, s[0:3], 0 offset:396
	buffer_load_dword v28, off, s[0:3], 0 offset:372
	;; [unrolled: 1-line block ×3, first 2 shown]
	s_waitcnt vmcnt(58) lgkmcnt(0)
	v_mul_f64 v[95:96], v[5:6], v[35:36]
	v_mul_f64 v[35:36], v[7:8], v[35:36]
	s_waitcnt vmcnt(56)
	v_fma_f64 v[29:30], v[9:10], v[37:38], -v[29:30]
	ds_read_b128 v[1:4], v56 offset:1024
	v_add_f64 v[21:22], v[21:22], v[25:26]
	v_fma_f64 v[25:26], v[11:12], v[37:38], v[115:116]
	v_add_f64 v[13:14], v[13:14], v[19:20]
	s_clause 0x4
	buffer_load_dword v20, off, s[0:3], 0 offset:412
	buffer_load_dword v37, off, s[0:3], 0 offset:424
	;; [unrolled: 1-line block ×5, first 2 shown]
	s_waitcnt vmcnt(57) lgkmcnt(0)
	v_mul_f64 v[110:111], v[1:2], v[39:40]
	v_mul_f64 v[39:40], v[3:4], v[39:40]
	s_waitcnt vmcnt(56)
	v_fma_f64 v[35:36], v[5:6], v[23:24], -v[35:36]
	ds_read_b128 v[9:12], v56 offset:1040
	v_fma_f64 v[23:24], v[7:8], v[23:24], v[95:96]
	v_add_f64 v[21:22], v[21:22], v[29:30]
	v_add_f64 v[13:14], v[13:14], v[25:26]
	s_clause 0x2
	buffer_load_dword v38, off, s[0:3], 0 offset:428
	buffer_load_dword v26, off, s[0:3], 0 offset:404
	;; [unrolled: 1-line block ×3, first 2 shown]
	ds_read_b128 v[5:8], v56 offset:1056
	s_waitcnt vmcnt(58) lgkmcnt(1)
	v_mul_f64 v[29:30], v[9:10], v[43:44]
	v_mul_f64 v[43:44], v[11:12], v[43:44]
	s_waitcnt vmcnt(56)
	v_fma_f64 v[39:40], v[1:2], v[45:46], -v[39:40]
	v_add_f64 v[21:22], v[21:22], v[35:36]
	v_fma_f64 v[35:36], v[3:4], v[45:46], v[110:111]
	v_add_f64 v[13:14], v[13:14], v[23:24]
	s_clause 0x4
	buffer_load_dword v24, off, s[0:3], 0 offset:444
	buffer_load_dword v45, off, s[0:3], 0 offset:456
	buffer_load_dword v95, off, s[0:3], 0 offset:448
	buffer_load_dword v23, off, s[0:3], 0 offset:440
	buffer_load_dword v110, off, s[0:3], 0 offset:420
	s_waitcnt vmcnt(57) lgkmcnt(0)
	v_mul_f64 v[116:117], v[5:6], v[65:66]
	v_mul_f64 v[65:66], v[7:8], v[65:66]
	s_waitcnt vmcnt(56)
	v_fma_f64 v[43:44], v[9:10], v[31:32], -v[43:44]
	ds_read_b128 v[1:4], v56 offset:1072
	v_fma_f64 v[29:30], v[11:12], v[31:32], v[29:30]
	s_clause 0x2
	buffer_load_dword v46, off, s[0:3], 0 offset:460
	buffer_load_dword v32, off, s[0:3], 0 offset:436
	;; [unrolled: 1-line block ×3, first 2 shown]
	ds_read_b128 v[9:12], v56 offset:1088
	v_add_f64 v[21:22], v[21:22], v[39:40]
	v_add_f64 v[13:14], v[13:14], v[35:36]
	s_waitcnt vmcnt(58) lgkmcnt(1)
	v_mul_f64 v[39:40], v[3:4], v[73:74]
	s_waitcnt vmcnt(56)
	v_fma_f64 v[65:66], v[5:6], v[75:76], -v[65:66]
	v_mul_f64 v[35:36], v[1:2], v[73:74]
	v_add_f64 v[21:22], v[21:22], v[43:44]
	v_fma_f64 v[43:44], v[7:8], v[75:76], v[116:117]
	v_add_f64 v[13:14], v[13:14], v[29:30]
	s_clause 0x4
	buffer_load_dword v30, off, s[0:3], 0 offset:476
	buffer_load_dword v73, off, s[0:3], 0 offset:488
	buffer_load_dword v75, off, s[0:3], 0 offset:480
	buffer_load_dword v29, off, s[0:3], 0 offset:472
	buffer_load_dword v96, off, s[0:3], 0 offset:452
	s_waitcnt vmcnt(57) lgkmcnt(0)
	v_mul_f64 v[116:117], v[9:10], v[81:82]
	v_mul_f64 v[81:82], v[11:12], v[81:82]
	s_waitcnt vmcnt(56)
	v_fma_f64 v[39:40], v[1:2], v[41:42], -v[39:40]
	ds_read_b128 v[5:8], v56 offset:1104
	v_fma_f64 v[35:36], v[3:4], v[41:42], v[35:36]
	s_clause 0x2
	buffer_load_dword v74, off, s[0:3], 0 offset:492
	buffer_load_dword v42, off, s[0:3], 0 offset:468
	;; [unrolled: 1-line block ×3, first 2 shown]
	ds_read_b128 v[1:4], v56 offset:1120
	v_add_f64 v[21:22], v[21:22], v[65:66]
	v_add_f64 v[13:14], v[13:14], v[43:44]
	s_waitcnt vmcnt(58) lgkmcnt(1)
	v_mul_f64 v[65:66], v[7:8], v[85:86]
	s_waitcnt vmcnt(56)
	v_fma_f64 v[81:82], v[9:10], v[87:88], -v[81:82]
	v_mul_f64 v[43:44], v[5:6], v[85:86]
	v_add_f64 v[21:22], v[21:22], v[39:40]
	v_fma_f64 v[39:40], v[11:12], v[87:88], v[116:117]
	v_add_f64 v[13:14], v[13:14], v[35:36]
	s_clause 0x4
	buffer_load_dword v36, off, s[0:3], 0 offset:508
	buffer_load_dword v85, off, s[0:3], 0 offset:520
	;; [unrolled: 1-line block ×5, first 2 shown]
	s_waitcnt vmcnt(57) lgkmcnt(0)
	v_mul_f64 v[116:117], v[1:2], v[89:90]
	v_mul_f64 v[88:89], v[3:4], v[89:90]
	s_waitcnt vmcnt(56)
	v_fma_f64 v[65:66], v[5:6], v[67:68], -v[65:66]
	ds_read_b128 v[9:12], v56 offset:1136
	v_fma_f64 v[43:44], v[7:8], v[67:68], v[43:44]
	v_add_f64 v[21:22], v[21:22], v[81:82]
	v_add_f64 v[13:14], v[13:14], v[39:40]
	s_clause 0x2
	buffer_load_dword v86, off, s[0:3], 0 offset:524
	buffer_load_dword v40, off, s[0:3], 0 offset:500
	;; [unrolled: 1-line block ×3, first 2 shown]
	ds_read_b128 v[5:8], v56 offset:1152
	s_waitcnt vmcnt(58) lgkmcnt(1)
	v_mul_f64 v[81:82], v[11:12], v[91:92]
	s_waitcnt vmcnt(56)
	v_fma_f64 v[89:90], v[1:2], v[93:94], -v[88:89]
	v_mul_f64 v[67:68], v[9:10], v[91:92]
	v_add_f64 v[21:22], v[21:22], v[65:66]
	v_fma_f64 v[65:66], v[3:4], v[93:94], v[116:117]
	v_add_f64 v[13:14], v[13:14], v[43:44]
	s_clause 0x4
	buffer_load_dword v44, off, s[0:3], 0 offset:540
	buffer_load_dword v91, off, s[0:3], 0 offset:552
	;; [unrolled: 1-line block ×5, first 2 shown]
	s_waitcnt vmcnt(57) lgkmcnt(0)
	v_mul_f64 v[116:117], v[5:6], v[101:102]
	v_mul_f64 v[101:102], v[7:8], v[101:102]
	s_waitcnt vmcnt(56)
	v_fma_f64 v[81:82], v[9:10], v[83:84], -v[81:82]
	ds_read_b128 v[1:4], v56 offset:1168
	v_fma_f64 v[67:68], v[11:12], v[83:84], v[67:68]
	v_add_f64 v[21:22], v[21:22], v[89:90]
	v_add_f64 v[13:14], v[13:14], v[65:66]
	s_clause 0x2
	buffer_load_dword v92, off, s[0:3], 0 offset:556
	buffer_load_dword v66, off, s[0:3], 0 offset:532
	;; [unrolled: 1-line block ×3, first 2 shown]
	ds_read_b128 v[9:12], v56 offset:1184
	s_waitcnt vmcnt(58) lgkmcnt(1)
	v_mul_f64 v[89:90], v[3:4], v[103:104]
	v_mul_f64 v[83:84], v[1:2], v[103:104]
	s_waitcnt vmcnt(56)
	v_fma_f64 v[101:102], v[5:6], v[17:18], -v[101:102]
	v_fma_f64 v[17:18], v[7:8], v[17:18], v[116:117]
	v_add_f64 v[21:22], v[21:22], v[81:82]
	v_add_f64 v[13:14], v[13:14], v[67:68]
	s_clause 0x4
	buffer_load_dword v68, off, s[0:3], 0 offset:572
	buffer_load_dword v81, off, s[0:3], 0 offset:584
	buffer_load_dword v103, off, s[0:3], 0 offset:576
	buffer_load_dword v67, off, s[0:3], 0 offset:568
	buffer_load_dword v94, off, s[0:3], 0 offset:548
	ds_read_b128 v[5:8], v56 offset:1200
	s_waitcnt vmcnt(57) lgkmcnt(1)
	v_mul_f64 v[116:117], v[9:10], v[15:16]
	v_mul_f64 v[15:16], v[11:12], v[15:16]
	s_waitcnt vmcnt(56)
	v_fma_f64 v[89:90], v[1:2], v[105:106], -v[89:90]
	v_fma_f64 v[83:84], v[3:4], v[105:106], v[83:84]
	v_add_f64 v[21:22], v[21:22], v[101:102]
	v_add_f64 v[13:14], v[13:14], v[17:18]
	s_clause 0x2
	buffer_load_dword v82, off, s[0:3], 0 offset:588
	buffer_load_dword v18, off, s[0:3], 0 offset:564
	buffer_load_dword v17, off, s[0:3], 0 offset:560
	s_waitcnt vmcnt(58) lgkmcnt(0)
	v_mul_f64 v[105:106], v[7:8], v[107:108]
	ds_read_b128 v[1:4], v56 offset:1216
	v_mul_f64 v[101:102], v[5:6], v[107:108]
	s_waitcnt vmcnt(56)
	v_fma_f64 v[15:16], v[9:10], v[97:98], -v[15:16]
	v_add_f64 v[21:22], v[21:22], v[89:90]
	v_fma_f64 v[89:90], v[11:12], v[97:98], v[116:117]
	v_add_f64 v[13:14], v[13:14], v[83:84]
	s_clause 0x4
	buffer_load_dword v84, off, s[0:3], 0 offset:604
	buffer_load_dword v97, off, s[0:3], 0 offset:616
	;; [unrolled: 1-line block ×5, first 2 shown]
	ds_read_b128 v[9:12], v56 offset:1232
	s_waitcnt vmcnt(57) lgkmcnt(1)
	v_mul_f64 v[116:117], v[1:2], v[33:34]
	v_mul_f64 v[33:34], v[3:4], v[33:34]
	s_waitcnt vmcnt(56)
	v_fma_f64 v[105:106], v[5:6], v[112:113], -v[105:106]
	v_add_f64 v[15:16], v[21:22], v[15:16]
	v_fma_f64 v[21:22], v[7:8], v[112:113], v[101:102]
	v_add_f64 v[13:14], v[13:14], v[89:90]
	s_clause 0x2
	buffer_load_dword v98, off, s[0:3], 0 offset:620
	buffer_load_dword v90, off, s[0:3], 0 offset:596
	;; [unrolled: 1-line block ×3, first 2 shown]
	ds_read_b128 v[5:8], v56 offset:1248
	s_waitcnt vmcnt(58) lgkmcnt(1)
	v_mul_f64 v[101:102], v[9:10], v[99:100]
	v_mul_f64 v[99:100], v[11:12], v[99:100]
	s_waitcnt vmcnt(56)
	v_fma_f64 v[33:34], v[1:2], v[27:28], -v[33:34]
	v_fma_f64 v[27:28], v[3:4], v[27:28], v[116:117]
	v_add_f64 v[15:16], v[15:16], v[105:106]
	v_add_f64 v[13:14], v[13:14], v[21:22]
	s_clause 0x4
	buffer_load_dword v22, off, s[0:3], 0 offset:636
	buffer_load_dword v105, off, s[0:3], 0 offset:648
	;; [unrolled: 1-line block ×5, first 2 shown]
	ds_read_b128 v[1:4], v56 offset:1264
	s_waitcnt vmcnt(57) lgkmcnt(1)
	v_mul_f64 v[112:113], v[5:6], v[19:20]
	v_mul_f64 v[19:20], v[7:8], v[19:20]
	s_waitcnt vmcnt(56)
	v_fma_f64 v[99:100], v[9:10], v[114:115], -v[99:100]
	v_add_f64 v[15:16], v[15:16], v[33:34]
	v_fma_f64 v[33:34], v[11:12], v[114:115], v[101:102]
	v_add_f64 v[13:14], v[13:14], v[27:28]
	s_clause 0x2
	buffer_load_dword v106, off, s[0:3], 0 offset:652
	buffer_load_dword v28, off, s[0:3], 0 offset:628
	;; [unrolled: 1-line block ×3, first 2 shown]
	ds_read_b128 v[9:12], v56 offset:1280
	s_waitcnt vmcnt(58) lgkmcnt(1)
	v_mul_f64 v[101:102], v[1:2], v[37:38]
	v_mul_f64 v[37:38], v[3:4], v[37:38]
	s_waitcnt vmcnt(56)
	v_fma_f64 v[19:20], v[5:6], v[25:26], -v[19:20]
	v_fma_f64 v[25:26], v[7:8], v[25:26], v[112:113]
	v_add_f64 v[15:16], v[15:16], v[99:100]
	v_add_f64 v[13:14], v[13:14], v[33:34]
	s_clause 0x4
	buffer_load_dword v34, off, s[0:3], 0 offset:668
	buffer_load_dword v99, off, s[0:3], 0 offset:680
	;; [unrolled: 1-line block ×5, first 2 shown]
	ds_read_b128 v[5:8], v56 offset:1296
	s_waitcnt vmcnt(57) lgkmcnt(1)
	v_mul_f64 v[114:115], v[9:10], v[23:24]
	v_mul_f64 v[23:24], v[11:12], v[23:24]
	s_waitcnt vmcnt(56)
	v_fma_f64 v[37:38], v[1:2], v[109:110], -v[37:38]
	v_add_f64 v[15:16], v[15:16], v[19:20]
	v_fma_f64 v[19:20], v[3:4], v[109:110], v[101:102]
	v_add_f64 v[13:14], v[13:14], v[25:26]
	s_clause 0x2
	buffer_load_dword v100, off, s[0:3], 0 offset:684
	buffer_load_dword v26, off, s[0:3], 0 offset:660
	;; [unrolled: 1-line block ×3, first 2 shown]
	s_waitcnt vmcnt(58) lgkmcnt(0)
	v_mul_f64 v[101:102], v[5:6], v[45:46]
	v_mul_f64 v[45:46], v[7:8], v[45:46]
	ds_read_b128 v[1:4], v56 offset:1312
	s_waitcnt vmcnt(56)
	v_fma_f64 v[23:24], v[9:10], v[31:32], -v[23:24]
	v_fma_f64 v[31:32], v[11:12], v[31:32], v[114:115]
	v_add_f64 v[15:16], v[15:16], v[37:38]
	v_add_f64 v[13:14], v[13:14], v[19:20]
	s_clause 0x4
	buffer_load_dword v20, off, s[0:3], 0 offset:700
	buffer_load_dword v37, off, s[0:3], 0 offset:712
	;; [unrolled: 1-line block ×5, first 2 shown]
	ds_read_b128 v[9:12], v56 offset:1328
	s_waitcnt vmcnt(57) lgkmcnt(1)
	v_mul_f64 v[115:116], v[1:2], v[29:30]
	v_mul_f64 v[29:30], v[3:4], v[29:30]
	s_waitcnt vmcnt(56)
	v_fma_f64 v[45:46], v[5:6], v[95:96], -v[45:46]
	v_add_f64 v[15:16], v[15:16], v[23:24]
	v_fma_f64 v[23:24], v[7:8], v[95:96], v[101:102]
	v_add_f64 v[13:14], v[13:14], v[31:32]
	s_clause 0x2
	buffer_load_dword v38, off, s[0:3], 0 offset:716
	buffer_load_dword v32, off, s[0:3], 0 offset:692
	;; [unrolled: 1-line block ×3, first 2 shown]
	s_waitcnt vmcnt(58) lgkmcnt(0)
	v_mul_f64 v[95:96], v[9:10], v[73:74]
	v_mul_f64 v[73:74], v[11:12], v[73:74]
	ds_read_b128 v[5:8], v56 offset:1344
	s_waitcnt vmcnt(56)
	v_fma_f64 v[29:30], v[1:2], v[41:42], -v[29:30]
	v_fma_f64 v[41:42], v[3:4], v[41:42], v[115:116]
	v_add_f64 v[15:16], v[15:16], v[45:46]
	v_add_f64 v[13:14], v[13:14], v[23:24]
	s_clause 0x4
	buffer_load_dword v24, off, s[0:3], 0 offset:732
	buffer_load_dword v45, off, s[0:3], 0 offset:744
	buffer_load_dword v101, off, s[0:3], 0 offset:736
	buffer_load_dword v23, off, s[0:3], 0 offset:728
	buffer_load_dword v110, off, s[0:3], 0 offset:708
	ds_read_b128 v[1:4], v56 offset:1360
	s_waitcnt vmcnt(57) lgkmcnt(1)
	v_mul_f64 v[115:116], v[5:6], v[35:36]
	v_mul_f64 v[35:36], v[7:8], v[35:36]
	s_waitcnt vmcnt(56)
	v_fma_f64 v[73:74], v[9:10], v[75:76], -v[73:74]
	v_add_f64 v[15:16], v[15:16], v[29:30]
	v_fma_f64 v[29:30], v[11:12], v[75:76], v[95:96]
	v_add_f64 v[13:14], v[13:14], v[41:42]
	s_clause 0x2
	buffer_load_dword v46, off, s[0:3], 0 offset:748
	buffer_load_dword v42, off, s[0:3], 0 offset:724
	buffer_load_dword v41, off, s[0:3], 0 offset:720
	ds_read_b128 v[9:12], v56 offset:1376
	s_waitcnt vmcnt(58) lgkmcnt(1)
	v_mul_f64 v[75:76], v[1:2], v[85:86]
	v_mul_f64 v[85:86], v[3:4], v[85:86]
	s_waitcnt vmcnt(56)
	v_fma_f64 v[35:36], v[5:6], v[39:40], -v[35:36]
	v_fma_f64 v[39:40], v[7:8], v[39:40], v[115:116]
	v_add_f64 v[15:16], v[15:16], v[73:74]
	v_add_f64 v[13:14], v[13:14], v[29:30]
	s_clause 0x4
	buffer_load_dword v30, off, s[0:3], 0 offset:764
	buffer_load_dword v73, off, s[0:3], 0 offset:776
	buffer_load_dword v95, off, s[0:3], 0 offset:768
	buffer_load_dword v29, off, s[0:3], 0 offset:760
	buffer_load_dword v102, off, s[0:3], 0 offset:740
	ds_read_b128 v[5:8], v56 offset:1392
	s_waitcnt vmcnt(57) lgkmcnt(1)
	v_mul_f64 v[115:116], v[9:10], v[43:44]
	v_mul_f64 v[43:44], v[11:12], v[43:44]
	s_waitcnt vmcnt(56)
	v_fma_f64 v[85:86], v[1:2], v[87:88], -v[85:86]
	v_add_f64 v[15:16], v[15:16], v[35:36]
	v_fma_f64 v[35:36], v[3:4], v[87:88], v[75:76]
	v_add_f64 v[13:14], v[13:14], v[39:40]
	s_clause 0x2
	buffer_load_dword v74, off, s[0:3], 0 offset:780
	buffer_load_dword v40, off, s[0:3], 0 offset:756
	buffer_load_dword v39, off, s[0:3], 0 offset:752
	ds_read_b128 v[1:4], v56 offset:1408
	s_waitcnt vmcnt(58) lgkmcnt(1)
	v_mul_f64 v[87:88], v[7:8], v[91:92]
	v_mul_f64 v[75:76], v[5:6], v[91:92]
	;; [unrolled: 28-line block ×4, first 2 shown]
	s_waitcnt vmcnt(56)
	v_fma_f64 v[83:84], v[5:6], v[89:90], -v[83:84]
	v_add_f64 v[15:16], v[15:16], v[81:82]
	v_fma_f64 v[81:82], v[7:8], v[89:90], v[115:116]
	v_add_f64 v[13:14], v[13:14], v[67:68]
	s_clause 0x4
	buffer_load_dword v68, off, s[0:3], 0 offset:860
	buffer_load_dword v89, off, s[0:3], 0 offset:872
	;; [unrolled: 1-line block ×5, first 2 shown]
	ds_read_b128 v[5:8], v56 offset:1488
	s_waitcnt vmcnt(57) lgkmcnt(1)
	v_mul_f64 v[115:116], v[9:10], v[21:22]
	v_mul_f64 v[21:22], v[11:12], v[21:22]
	s_waitcnt vmcnt(56)
	v_fma_f64 v[97:98], v[1:2], v[107:108], -v[97:98]
	v_fma_f64 v[75:76], v[3:4], v[107:108], v[75:76]
	v_add_f64 v[15:16], v[15:16], v[83:84]
	v_add_f64 v[13:14], v[13:14], v[81:82]
	s_clause 0x2
	buffer_load_dword v90, off, s[0:3], 0 offset:876
	buffer_load_dword v82, off, s[0:3], 0 offset:852
	;; [unrolled: 1-line block ×3, first 2 shown]
	ds_read_b128 v[1:4], v56 offset:1504
	buffer_load_dword v104, off, s[0:3], 0 offset:868
	s_waitcnt vmcnt(59) lgkmcnt(1)
	v_mul_f64 v[83:84], v[5:6], v[105:106]
	v_mul_f64 v[105:106], v[7:8], v[105:106]
	s_waitcnt vmcnt(57)
	v_fma_f64 v[21:22], v[9:10], v[27:28], -v[21:22]
	v_fma_f64 v[27:28], v[11:12], v[27:28], v[115:116]
	ds_read_b128 v[9:12], v56 offset:1520
	v_add_f64 v[15:16], v[15:16], v[97:98]
	v_add_f64 v[13:14], v[13:14], v[75:76]
	s_waitcnt vmcnt(53) lgkmcnt(1)
	v_mul_f64 v[75:76], v[1:2], v[33:34]
	v_mul_f64 v[33:34], v[3:4], v[33:34]
	s_waitcnt vmcnt(52)
	v_fma_f64 v[97:98], v[5:6], v[111:112], -v[105:106]
	v_add_f64 v[15:16], v[15:16], v[21:22]
	v_fma_f64 v[21:22], v[7:8], v[111:112], v[83:84]
	v_add_f64 v[13:14], v[13:14], v[27:28]
	ds_read_b128 v[5:8], v56 offset:1536
	s_waitcnt vmcnt(51) lgkmcnt(1)
	v_mul_f64 v[83:84], v[11:12], v[99:100]
	v_mul_f64 v[27:28], v[9:10], v[99:100]
	s_waitcnt vmcnt(49)
	v_fma_f64 v[33:34], v[1:2], v[25:26], -v[33:34]
	v_fma_f64 v[25:26], v[3:4], v[25:26], v[75:76]
	v_add_f64 v[15:16], v[15:16], v[97:98]
	v_add_f64 v[13:14], v[13:14], v[21:22]
	s_clause 0x3
	buffer_load_dword v21, off, s[0:3], 0 offset:48
	buffer_load_dword v22, off, s[0:3], 0 offset:52
	;; [unrolled: 1-line block ×4, first 2 shown]
	ds_read_b128 v[1:4], v56 offset:1552
	s_waitcnt vmcnt(49) lgkmcnt(1)
	v_mul_f64 v[97:98], v[5:6], v[19:20]
	v_mul_f64 v[19:20], v[7:8], v[19:20]
	s_waitcnt vmcnt(48)
	v_fma_f64 v[83:84], v[9:10], v[113:114], -v[83:84]
	v_fma_f64 v[27:28], v[11:12], v[113:114], v[27:28]
	ds_read_b128 v[9:12], v56 offset:1568
	v_add_f64 v[15:16], v[15:16], v[33:34]
	v_add_f64 v[13:14], v[13:14], v[25:26]
	s_waitcnt vmcnt(47) lgkmcnt(1)
	v_mul_f64 v[33:34], v[3:4], v[37:38]
	v_mul_f64 v[25:26], v[1:2], v[37:38]
	s_waitcnt vmcnt(45)
	v_fma_f64 v[19:20], v[5:6], v[31:32], -v[19:20]
	v_fma_f64 v[31:32], v[7:8], v[31:32], v[97:98]
	ds_read_b128 v[5:8], v56 offset:1584
	v_add_f64 v[15:16], v[15:16], v[83:84]
	v_add_f64 v[13:14], v[13:14], v[27:28]
	s_waitcnt vmcnt(41) lgkmcnt(1)
	v_mul_f64 v[27:28], v[9:10], v[23:24]
	v_mul_f64 v[23:24], v[11:12], v[23:24]
	s_waitcnt vmcnt(40)
	v_fma_f64 v[33:34], v[1:2], v[109:110], -v[33:34]
	v_add_f64 v[15:16], v[15:16], v[19:20]
	v_fma_f64 v[19:20], v[3:4], v[109:110], v[25:26]
	v_add_f64 v[13:14], v[13:14], v[31:32]
	ds_read_b128 v[1:4], v56 offset:1600
	s_waitcnt vmcnt(39) lgkmcnt(1)
	v_mul_f64 v[31:32], v[7:8], v[45:46]
	v_mul_f64 v[25:26], v[5:6], v[45:46]
	s_waitcnt vmcnt(37)
	v_fma_f64 v[23:24], v[9:10], v[41:42], -v[23:24]
	v_fma_f64 v[27:28], v[11:12], v[41:42], v[27:28]
	ds_read_b128 v[9:12], v56 offset:1616
	v_add_f64 v[15:16], v[15:16], v[33:34]
	v_add_f64 v[13:14], v[13:14], v[19:20]
	s_waitcnt vmcnt(33) lgkmcnt(1)
	v_mul_f64 v[19:20], v[1:2], v[29:30]
	v_mul_f64 v[29:30], v[3:4], v[29:30]
	s_waitcnt vmcnt(32)
	v_fma_f64 v[31:32], v[5:6], v[101:102], -v[31:32]
	v_add_f64 v[15:16], v[15:16], v[23:24]
	v_fma_f64 v[23:24], v[7:8], v[101:102], v[25:26]
	v_add_f64 v[13:14], v[13:14], v[27:28]
	ds_read_b128 v[5:8], v56 offset:1632
	s_waitcnt vmcnt(31) lgkmcnt(1)
	v_mul_f64 v[27:28], v[11:12], v[73:74]
	v_mul_f64 v[25:26], v[9:10], v[73:74]
	s_waitcnt vmcnt(29)
	v_fma_f64 v[29:30], v[1:2], v[39:40], -v[29:30]
	v_fma_f64 v[19:20], v[3:4], v[39:40], v[19:20]
	ds_read_b128 v[1:4], v56 offset:1648
	v_add_f64 v[15:16], v[15:16], v[31:32]
	v_add_f64 v[13:14], v[13:14], v[23:24]
	s_waitcnt vmcnt(25) lgkmcnt(1)
	v_mul_f64 v[31:32], v[7:8], v[35:36]
	s_waitcnt vmcnt(24)
	v_fma_f64 v[27:28], v[9:10], v[95:96], -v[27:28]
	v_mul_f64 v[23:24], v[5:6], v[35:36]
	v_fma_f64 v[25:26], v[11:12], v[95:96], v[25:26]
	ds_read_b128 v[9:12], v56 offset:1664
	v_add_f64 v[15:16], v[15:16], v[29:30]
	v_add_f64 v[13:14], v[13:14], v[19:20]
	s_waitcnt vmcnt(23) lgkmcnt(1)
	v_mul_f64 v[29:30], v[3:4], v[85:86]
	v_mul_f64 v[19:20], v[1:2], v[85:86]
	s_waitcnt vmcnt(21)
	v_fma_f64 v[31:32], v[5:6], v[65:66], -v[31:32]
	v_fma_f64 v[23:24], v[7:8], v[65:66], v[23:24]
	ds_read_b128 v[5:8], v56 offset:1680
	v_add_f64 v[15:16], v[15:16], v[27:28]
	v_add_f64 v[13:14], v[13:14], v[25:26]
	s_waitcnt vmcnt(17) lgkmcnt(1)
	v_mul_f64 v[27:28], v[11:12], v[43:44]
	s_waitcnt vmcnt(16)
	v_fma_f64 v[29:30], v[1:2], v[91:92], -v[29:30]
	v_mul_f64 v[25:26], v[9:10], v[43:44]
	v_fma_f64 v[19:20], v[3:4], v[91:92], v[19:20]
	ds_read_b128 v[1:4], v56 offset:1696
	v_add_f64 v[15:16], v[15:16], v[31:32]
	v_add_f64 v[13:14], v[13:14], v[23:24]
	s_waitcnt vmcnt(15) lgkmcnt(1)
	v_mul_f64 v[31:32], v[7:8], v[87:88]
	v_mul_f64 v[23:24], v[5:6], v[87:88]
	s_waitcnt vmcnt(13)
	v_fma_f64 v[27:28], v[9:10], v[17:18], -v[27:28]
	v_fma_f64 v[17:18], v[11:12], v[17:18], v[25:26]
	ds_read_b128 v[9:12], v56 offset:1712
	v_add_f64 v[15:16], v[15:16], v[29:30]
	v_add_f64 v[13:14], v[13:14], v[19:20]
	s_waitcnt vmcnt(9) lgkmcnt(1)
	v_mul_f64 v[25:26], v[3:4], v[67:68]
	s_waitcnt vmcnt(8)
	v_fma_f64 v[5:6], v[5:6], v[93:94], -v[31:32]
	v_mul_f64 v[19:20], v[1:2], v[67:68]
	v_fma_f64 v[7:8], v[7:8], v[93:94], v[23:24]
	v_add_f64 v[15:16], v[15:16], v[27:28]
	v_add_f64 v[13:14], v[13:14], v[17:18]
	s_waitcnt vmcnt(7) lgkmcnt(0)
	v_mul_f64 v[23:24], v[11:12], v[89:90]
	v_mul_f64 v[17:18], v[9:10], v[89:90]
	s_waitcnt vmcnt(5)
	v_fma_f64 v[1:2], v[1:2], v[81:82], -v[25:26]
	v_fma_f64 v[3:4], v[3:4], v[81:82], v[19:20]
	v_add_f64 v[5:6], v[15:16], v[5:6]
	v_add_f64 v[7:8], v[13:14], v[7:8]
	s_waitcnt vmcnt(4)
	v_fma_f64 v[9:10], v[9:10], v[103:104], -v[23:24]
	v_add_f64 v[1:2], v[5:6], v[1:2]
	v_fma_f64 v[5:6], v[11:12], v[103:104], v[17:18]
	v_add_f64 v[3:4], v[7:8], v[3:4]
	v_add_f64 v[1:2], v[1:2], v[9:10]
	;; [unrolled: 1-line block ×3, first 2 shown]
	s_waitcnt vmcnt(2)
	v_add_f64 v[1:2], v[21:22], -v[1:2]
	s_waitcnt vmcnt(0)
	v_add_f64 v[3:4], v[75:76], -v[3:4]
	buffer_store_dword v2, off, s[0:3], 0 offset:52
	buffer_store_dword v1, off, s[0:3], 0 offset:48
	;; [unrolled: 1-line block ×4, first 2 shown]
	v_cmpx_lt_u32_e32 1, v0
	s_cbranch_execz .LBB53_335
; %bb.334:
	v_mov_b32_e32 v4, s65
	s_clause 0x3
	buffer_load_dword v1, v4, s[0:3], 0 offen
	buffer_load_dword v2, v4, s[0:3], 0 offen offset:4
	buffer_load_dword v3, v4, s[0:3], 0 offen offset:8
	;; [unrolled: 1-line block ×3, first 2 shown]
	buffer_store_dword v56, off, s[0:3], 0 offset:32
	buffer_store_dword v56, off, s[0:3], 0 offset:36
	;; [unrolled: 1-line block ×4, first 2 shown]
	s_waitcnt vmcnt(0)
	ds_write_b128 v47, v[1:4]
.LBB53_335:
	s_or_b32 exec_lo, exec_lo, s4
	s_waitcnt lgkmcnt(0)
	s_waitcnt_vscnt null, 0x0
	s_barrier
	buffer_gl0_inv
	s_clause 0x37
	buffer_load_dword v17, off, s[0:3], 0 offset:56
	buffer_load_dword v18, off, s[0:3], 0 offset:60
	;; [unrolled: 1-line block ×56, first 2 shown]
	ds_read_b128 v[5:8], v56 offset:896
	s_clause 0x2
	buffer_load_dword v92, off, s[0:3], 0 offset:284
	buffer_load_dword v94, off, s[0:3], 0 offset:260
	;; [unrolled: 1-line block ×3, first 2 shown]
	ds_read_b128 v[1:4], v56 offset:912
	s_clause 0x4
	buffer_load_dword v102, off, s[0:3], 0 offset:300
	buffer_load_dword v103, off, s[0:3], 0 offset:312
	;; [unrolled: 1-line block ×5, first 2 shown]
	ds_read_b128 v[95:98], v56 offset:928
	s_mov_b32 s4, exec_lo
	s_waitcnt vmcnt(62) lgkmcnt(2)
	v_mul_f64 v[99:100], v[7:8], v[17:18]
	v_mul_f64 v[17:18], v[5:6], v[17:18]
	s_waitcnt vmcnt(60) lgkmcnt(1)
	v_mul_f64 v[106:107], v[3:4], v[13:14]
	v_mul_f64 v[13:14], v[1:2], v[13:14]
	;; [unrolled: 3-line block ×3, first 2 shown]
	v_fma_f64 v[99:100], v[5:6], v[15:16], -v[99:100]
	v_fma_f64 v[15:16], v[7:8], v[15:16], v[17:18]
	s_clause 0x2
	buffer_load_dword v104, off, s[0:3], 0 offset:316
	buffer_load_dword v18, off, s[0:3], 0 offset:292
	;; [unrolled: 1-line block ×3, first 2 shown]
	s_waitcnt vmcnt(57)
	v_fma_f64 v[110:111], v[1:2], v[9:10], -v[106:107]
	ds_read_b128 v[5:8], v56 offset:944
	v_fma_f64 v[9:10], v[3:4], v[9:10], v[13:14]
	s_waitcnt vmcnt(51)
	v_fma_f64 v[95:96], v[95:96], v[33:34], -v[11:12]
	v_fma_f64 v[33:34], v[97:98], v[33:34], v[108:109]
	v_add_f64 v[99:100], v[99:100], 0
	v_add_f64 v[13:14], v[15:16], 0
	s_clause 0x4
	buffer_load_dword v16, off, s[0:3], 0 offset:332
	buffer_load_dword v107, off, s[0:3], 0 offset:344
	;; [unrolled: 1-line block ×5, first 2 shown]
	s_waitcnt lgkmcnt(0)
	v_mul_f64 v[113:114], v[5:6], v[21:22]
	v_mul_f64 v[21:22], v[7:8], v[21:22]
	ds_read_b128 v[1:4], v56 offset:960
	s_clause 0x2
	buffer_load_dword v108, off, s[0:3], 0 offset:348
	buffer_load_dword v98, off, s[0:3], 0 offset:324
	;; [unrolled: 1-line block ×3, first 2 shown]
	v_add_f64 v[99:100], v[99:100], v[110:111]
	v_add_f64 v[13:14], v[13:14], v[9:10]
	ds_read_b128 v[9:12], v56 offset:976
	s_waitcnt vmcnt(58) lgkmcnt(1)
	v_mul_f64 v[109:110], v[1:2], v[25:26]
	v_mul_f64 v[25:26], v[3:4], v[25:26]
	s_waitcnt vmcnt(56)
	v_fma_f64 v[21:22], v[5:6], v[27:28], -v[21:22]
	v_fma_f64 v[27:28], v[7:8], v[27:28], v[113:114]
	s_waitcnt vmcnt(52) lgkmcnt(0)
	v_mul_f64 v[115:116], v[9:10], v[29:30]
	v_add_f64 v[95:96], v[99:100], v[95:96]
	v_add_f64 v[13:14], v[13:14], v[33:34]
	s_clause 0x4
	buffer_load_dword v34, off, s[0:3], 0 offset:364
	buffer_load_dword v99, off, s[0:3], 0 offset:376
	;; [unrolled: 1-line block ×5, first 2 shown]
	v_mul_f64 v[29:30], v[11:12], v[29:30]
	s_waitcnt vmcnt(56)
	v_fma_f64 v[25:26], v[1:2], v[19:20], -v[25:26]
	ds_read_b128 v[5:8], v56 offset:992
	v_fma_f64 v[19:20], v[3:4], v[19:20], v[109:110]
	v_add_f64 v[21:22], v[95:96], v[21:22]
	v_add_f64 v[13:14], v[13:14], v[27:28]
	s_clause 0x2
	buffer_load_dword v100, off, s[0:3], 0 offset:380
	buffer_load_dword v28, off, s[0:3], 0 offset:356
	;; [unrolled: 1-line block ×3, first 2 shown]
	s_waitcnt vmcnt(58) lgkmcnt(0)
	v_mul_f64 v[95:96], v[5:6], v[35:36]
	v_mul_f64 v[35:36], v[7:8], v[35:36]
	s_waitcnt vmcnt(56)
	v_fma_f64 v[29:30], v[9:10], v[37:38], -v[29:30]
	ds_read_b128 v[1:4], v56 offset:1008
	v_add_f64 v[21:22], v[21:22], v[25:26]
	v_fma_f64 v[25:26], v[11:12], v[37:38], v[115:116]
	v_add_f64 v[13:14], v[13:14], v[19:20]
	s_clause 0x4
	buffer_load_dword v20, off, s[0:3], 0 offset:396
	buffer_load_dword v37, off, s[0:3], 0 offset:408
	;; [unrolled: 1-line block ×5, first 2 shown]
	s_waitcnt vmcnt(57) lgkmcnt(0)
	v_mul_f64 v[110:111], v[1:2], v[39:40]
	v_mul_f64 v[39:40], v[3:4], v[39:40]
	s_waitcnt vmcnt(56)
	v_fma_f64 v[35:36], v[5:6], v[23:24], -v[35:36]
	ds_read_b128 v[9:12], v56 offset:1024
	v_fma_f64 v[23:24], v[7:8], v[23:24], v[95:96]
	v_add_f64 v[21:22], v[21:22], v[29:30]
	v_add_f64 v[13:14], v[13:14], v[25:26]
	s_clause 0x2
	buffer_load_dword v38, off, s[0:3], 0 offset:412
	buffer_load_dword v26, off, s[0:3], 0 offset:388
	;; [unrolled: 1-line block ×3, first 2 shown]
	ds_read_b128 v[5:8], v56 offset:1040
	s_waitcnt vmcnt(58) lgkmcnt(1)
	v_mul_f64 v[29:30], v[9:10], v[43:44]
	v_mul_f64 v[43:44], v[11:12], v[43:44]
	s_waitcnt vmcnt(56)
	v_fma_f64 v[39:40], v[1:2], v[45:46], -v[39:40]
	v_add_f64 v[21:22], v[21:22], v[35:36]
	v_fma_f64 v[35:36], v[3:4], v[45:46], v[110:111]
	v_add_f64 v[13:14], v[13:14], v[23:24]
	s_clause 0x4
	buffer_load_dword v24, off, s[0:3], 0 offset:428
	buffer_load_dword v45, off, s[0:3], 0 offset:440
	;; [unrolled: 1-line block ×5, first 2 shown]
	s_waitcnt vmcnt(57) lgkmcnt(0)
	v_mul_f64 v[116:117], v[5:6], v[65:66]
	v_mul_f64 v[65:66], v[7:8], v[65:66]
	s_waitcnt vmcnt(56)
	v_fma_f64 v[43:44], v[9:10], v[31:32], -v[43:44]
	ds_read_b128 v[1:4], v56 offset:1056
	v_fma_f64 v[29:30], v[11:12], v[31:32], v[29:30]
	s_clause 0x2
	buffer_load_dword v46, off, s[0:3], 0 offset:444
	buffer_load_dword v32, off, s[0:3], 0 offset:420
	;; [unrolled: 1-line block ×3, first 2 shown]
	ds_read_b128 v[9:12], v56 offset:1072
	v_add_f64 v[21:22], v[21:22], v[39:40]
	v_add_f64 v[13:14], v[13:14], v[35:36]
	s_waitcnt vmcnt(58) lgkmcnt(1)
	v_mul_f64 v[39:40], v[3:4], v[73:74]
	s_waitcnt vmcnt(56)
	v_fma_f64 v[65:66], v[5:6], v[75:76], -v[65:66]
	v_mul_f64 v[35:36], v[1:2], v[73:74]
	v_add_f64 v[21:22], v[21:22], v[43:44]
	v_fma_f64 v[43:44], v[7:8], v[75:76], v[116:117]
	v_add_f64 v[13:14], v[13:14], v[29:30]
	s_clause 0x4
	buffer_load_dword v30, off, s[0:3], 0 offset:460
	buffer_load_dword v73, off, s[0:3], 0 offset:472
	;; [unrolled: 1-line block ×5, first 2 shown]
	s_waitcnt vmcnt(57) lgkmcnt(0)
	v_mul_f64 v[116:117], v[9:10], v[81:82]
	v_mul_f64 v[81:82], v[11:12], v[81:82]
	s_waitcnt vmcnt(56)
	v_fma_f64 v[39:40], v[1:2], v[41:42], -v[39:40]
	ds_read_b128 v[5:8], v56 offset:1088
	v_fma_f64 v[35:36], v[3:4], v[41:42], v[35:36]
	s_clause 0x2
	buffer_load_dword v74, off, s[0:3], 0 offset:476
	buffer_load_dword v42, off, s[0:3], 0 offset:452
	;; [unrolled: 1-line block ×3, first 2 shown]
	ds_read_b128 v[1:4], v56 offset:1104
	v_add_f64 v[21:22], v[21:22], v[65:66]
	v_add_f64 v[13:14], v[13:14], v[43:44]
	s_waitcnt vmcnt(58) lgkmcnt(1)
	v_mul_f64 v[65:66], v[7:8], v[85:86]
	s_waitcnt vmcnt(56)
	v_fma_f64 v[81:82], v[9:10], v[87:88], -v[81:82]
	v_mul_f64 v[43:44], v[5:6], v[85:86]
	v_add_f64 v[21:22], v[21:22], v[39:40]
	v_fma_f64 v[39:40], v[11:12], v[87:88], v[116:117]
	v_add_f64 v[13:14], v[13:14], v[35:36]
	s_clause 0x4
	buffer_load_dword v36, off, s[0:3], 0 offset:492
	buffer_load_dword v85, off, s[0:3], 0 offset:504
	;; [unrolled: 1-line block ×5, first 2 shown]
	s_waitcnt vmcnt(57) lgkmcnt(0)
	v_mul_f64 v[116:117], v[1:2], v[89:90]
	v_mul_f64 v[88:89], v[3:4], v[89:90]
	s_waitcnt vmcnt(56)
	v_fma_f64 v[65:66], v[5:6], v[67:68], -v[65:66]
	ds_read_b128 v[9:12], v56 offset:1120
	v_fma_f64 v[43:44], v[7:8], v[67:68], v[43:44]
	v_add_f64 v[21:22], v[21:22], v[81:82]
	v_add_f64 v[13:14], v[13:14], v[39:40]
	s_clause 0x2
	buffer_load_dword v86, off, s[0:3], 0 offset:508
	buffer_load_dword v40, off, s[0:3], 0 offset:484
	;; [unrolled: 1-line block ×3, first 2 shown]
	ds_read_b128 v[5:8], v56 offset:1136
	s_waitcnt vmcnt(58) lgkmcnt(1)
	v_mul_f64 v[81:82], v[11:12], v[91:92]
	s_waitcnt vmcnt(56)
	v_fma_f64 v[89:90], v[1:2], v[93:94], -v[88:89]
	v_mul_f64 v[67:68], v[9:10], v[91:92]
	v_add_f64 v[21:22], v[21:22], v[65:66]
	v_fma_f64 v[65:66], v[3:4], v[93:94], v[116:117]
	v_add_f64 v[13:14], v[13:14], v[43:44]
	s_clause 0x4
	buffer_load_dword v44, off, s[0:3], 0 offset:524
	buffer_load_dword v91, off, s[0:3], 0 offset:536
	;; [unrolled: 1-line block ×5, first 2 shown]
	s_waitcnt vmcnt(57) lgkmcnt(0)
	v_mul_f64 v[116:117], v[5:6], v[101:102]
	v_mul_f64 v[101:102], v[7:8], v[101:102]
	s_waitcnt vmcnt(56)
	v_fma_f64 v[81:82], v[9:10], v[83:84], -v[81:82]
	ds_read_b128 v[1:4], v56 offset:1152
	v_fma_f64 v[67:68], v[11:12], v[83:84], v[67:68]
	v_add_f64 v[21:22], v[21:22], v[89:90]
	v_add_f64 v[13:14], v[13:14], v[65:66]
	s_clause 0x2
	buffer_load_dword v92, off, s[0:3], 0 offset:540
	buffer_load_dword v66, off, s[0:3], 0 offset:516
	;; [unrolled: 1-line block ×3, first 2 shown]
	ds_read_b128 v[9:12], v56 offset:1168
	s_waitcnt vmcnt(58) lgkmcnt(1)
	v_mul_f64 v[89:90], v[3:4], v[103:104]
	v_mul_f64 v[83:84], v[1:2], v[103:104]
	s_waitcnt vmcnt(56)
	v_fma_f64 v[101:102], v[5:6], v[17:18], -v[101:102]
	v_fma_f64 v[17:18], v[7:8], v[17:18], v[116:117]
	v_add_f64 v[21:22], v[21:22], v[81:82]
	v_add_f64 v[13:14], v[13:14], v[67:68]
	s_clause 0x4
	buffer_load_dword v68, off, s[0:3], 0 offset:556
	buffer_load_dword v81, off, s[0:3], 0 offset:568
	;; [unrolled: 1-line block ×5, first 2 shown]
	ds_read_b128 v[5:8], v56 offset:1184
	s_waitcnt vmcnt(57) lgkmcnt(1)
	v_mul_f64 v[116:117], v[9:10], v[15:16]
	v_mul_f64 v[15:16], v[11:12], v[15:16]
	s_waitcnt vmcnt(56)
	v_fma_f64 v[89:90], v[1:2], v[105:106], -v[89:90]
	v_fma_f64 v[83:84], v[3:4], v[105:106], v[83:84]
	v_add_f64 v[21:22], v[21:22], v[101:102]
	v_add_f64 v[13:14], v[13:14], v[17:18]
	s_clause 0x2
	buffer_load_dword v82, off, s[0:3], 0 offset:572
	buffer_load_dword v18, off, s[0:3], 0 offset:548
	;; [unrolled: 1-line block ×3, first 2 shown]
	s_waitcnt vmcnt(58) lgkmcnt(0)
	v_mul_f64 v[105:106], v[7:8], v[107:108]
	ds_read_b128 v[1:4], v56 offset:1200
	v_mul_f64 v[101:102], v[5:6], v[107:108]
	s_waitcnt vmcnt(56)
	v_fma_f64 v[15:16], v[9:10], v[97:98], -v[15:16]
	v_add_f64 v[21:22], v[21:22], v[89:90]
	v_fma_f64 v[89:90], v[11:12], v[97:98], v[116:117]
	v_add_f64 v[13:14], v[13:14], v[83:84]
	s_clause 0x4
	buffer_load_dword v84, off, s[0:3], 0 offset:588
	buffer_load_dword v97, off, s[0:3], 0 offset:600
	;; [unrolled: 1-line block ×5, first 2 shown]
	ds_read_b128 v[9:12], v56 offset:1216
	s_waitcnt vmcnt(57) lgkmcnt(1)
	v_mul_f64 v[116:117], v[1:2], v[33:34]
	v_mul_f64 v[33:34], v[3:4], v[33:34]
	s_waitcnt vmcnt(56)
	v_fma_f64 v[105:106], v[5:6], v[112:113], -v[105:106]
	v_add_f64 v[15:16], v[21:22], v[15:16]
	v_fma_f64 v[21:22], v[7:8], v[112:113], v[101:102]
	v_add_f64 v[13:14], v[13:14], v[89:90]
	s_clause 0x2
	buffer_load_dword v98, off, s[0:3], 0 offset:604
	buffer_load_dword v90, off, s[0:3], 0 offset:580
	;; [unrolled: 1-line block ×3, first 2 shown]
	ds_read_b128 v[5:8], v56 offset:1232
	s_waitcnt vmcnt(58) lgkmcnt(1)
	v_mul_f64 v[101:102], v[9:10], v[99:100]
	v_mul_f64 v[99:100], v[11:12], v[99:100]
	s_waitcnt vmcnt(56)
	v_fma_f64 v[33:34], v[1:2], v[27:28], -v[33:34]
	v_fma_f64 v[27:28], v[3:4], v[27:28], v[116:117]
	v_add_f64 v[15:16], v[15:16], v[105:106]
	v_add_f64 v[13:14], v[13:14], v[21:22]
	s_clause 0x4
	buffer_load_dword v22, off, s[0:3], 0 offset:620
	buffer_load_dword v105, off, s[0:3], 0 offset:632
	;; [unrolled: 1-line block ×5, first 2 shown]
	ds_read_b128 v[1:4], v56 offset:1248
	s_waitcnt vmcnt(57) lgkmcnt(1)
	v_mul_f64 v[112:113], v[5:6], v[19:20]
	v_mul_f64 v[19:20], v[7:8], v[19:20]
	s_waitcnt vmcnt(56)
	v_fma_f64 v[99:100], v[9:10], v[114:115], -v[99:100]
	v_add_f64 v[15:16], v[15:16], v[33:34]
	v_fma_f64 v[33:34], v[11:12], v[114:115], v[101:102]
	v_add_f64 v[13:14], v[13:14], v[27:28]
	s_clause 0x2
	buffer_load_dword v106, off, s[0:3], 0 offset:636
	buffer_load_dword v28, off, s[0:3], 0 offset:612
	;; [unrolled: 1-line block ×3, first 2 shown]
	ds_read_b128 v[9:12], v56 offset:1264
	s_waitcnt vmcnt(58) lgkmcnt(1)
	v_mul_f64 v[101:102], v[1:2], v[37:38]
	v_mul_f64 v[37:38], v[3:4], v[37:38]
	s_waitcnt vmcnt(56)
	v_fma_f64 v[19:20], v[5:6], v[25:26], -v[19:20]
	v_fma_f64 v[25:26], v[7:8], v[25:26], v[112:113]
	v_add_f64 v[15:16], v[15:16], v[99:100]
	v_add_f64 v[13:14], v[13:14], v[33:34]
	s_clause 0x4
	buffer_load_dword v34, off, s[0:3], 0 offset:652
	buffer_load_dword v99, off, s[0:3], 0 offset:664
	;; [unrolled: 1-line block ×5, first 2 shown]
	ds_read_b128 v[5:8], v56 offset:1280
	s_waitcnt vmcnt(57) lgkmcnt(1)
	v_mul_f64 v[114:115], v[9:10], v[23:24]
	v_mul_f64 v[23:24], v[11:12], v[23:24]
	s_waitcnt vmcnt(56)
	v_fma_f64 v[37:38], v[1:2], v[109:110], -v[37:38]
	v_add_f64 v[15:16], v[15:16], v[19:20]
	v_fma_f64 v[19:20], v[3:4], v[109:110], v[101:102]
	v_add_f64 v[13:14], v[13:14], v[25:26]
	s_clause 0x2
	buffer_load_dword v100, off, s[0:3], 0 offset:668
	buffer_load_dword v26, off, s[0:3], 0 offset:644
	;; [unrolled: 1-line block ×3, first 2 shown]
	s_waitcnt vmcnt(58) lgkmcnt(0)
	v_mul_f64 v[101:102], v[5:6], v[45:46]
	v_mul_f64 v[45:46], v[7:8], v[45:46]
	ds_read_b128 v[1:4], v56 offset:1296
	s_waitcnt vmcnt(56)
	v_fma_f64 v[23:24], v[9:10], v[31:32], -v[23:24]
	v_fma_f64 v[31:32], v[11:12], v[31:32], v[114:115]
	v_add_f64 v[15:16], v[15:16], v[37:38]
	v_add_f64 v[13:14], v[13:14], v[19:20]
	s_clause 0x4
	buffer_load_dword v20, off, s[0:3], 0 offset:684
	buffer_load_dword v37, off, s[0:3], 0 offset:696
	;; [unrolled: 1-line block ×5, first 2 shown]
	ds_read_b128 v[9:12], v56 offset:1312
	s_waitcnt vmcnt(57) lgkmcnt(1)
	v_mul_f64 v[115:116], v[1:2], v[29:30]
	v_mul_f64 v[29:30], v[3:4], v[29:30]
	s_waitcnt vmcnt(56)
	v_fma_f64 v[45:46], v[5:6], v[95:96], -v[45:46]
	v_add_f64 v[15:16], v[15:16], v[23:24]
	v_fma_f64 v[23:24], v[7:8], v[95:96], v[101:102]
	v_add_f64 v[13:14], v[13:14], v[31:32]
	s_clause 0x2
	buffer_load_dword v38, off, s[0:3], 0 offset:700
	buffer_load_dword v32, off, s[0:3], 0 offset:676
	;; [unrolled: 1-line block ×3, first 2 shown]
	s_waitcnt vmcnt(58) lgkmcnt(0)
	v_mul_f64 v[95:96], v[9:10], v[73:74]
	v_mul_f64 v[73:74], v[11:12], v[73:74]
	ds_read_b128 v[5:8], v56 offset:1328
	s_waitcnt vmcnt(56)
	v_fma_f64 v[29:30], v[1:2], v[41:42], -v[29:30]
	v_fma_f64 v[41:42], v[3:4], v[41:42], v[115:116]
	v_add_f64 v[15:16], v[15:16], v[45:46]
	v_add_f64 v[13:14], v[13:14], v[23:24]
	s_clause 0x4
	buffer_load_dword v24, off, s[0:3], 0 offset:716
	buffer_load_dword v45, off, s[0:3], 0 offset:728
	buffer_load_dword v101, off, s[0:3], 0 offset:720
	buffer_load_dword v23, off, s[0:3], 0 offset:712
	buffer_load_dword v110, off, s[0:3], 0 offset:692
	ds_read_b128 v[1:4], v56 offset:1344
	s_waitcnt vmcnt(57) lgkmcnt(1)
	v_mul_f64 v[115:116], v[5:6], v[35:36]
	v_mul_f64 v[35:36], v[7:8], v[35:36]
	s_waitcnt vmcnt(56)
	v_fma_f64 v[73:74], v[9:10], v[75:76], -v[73:74]
	v_add_f64 v[15:16], v[15:16], v[29:30]
	v_fma_f64 v[29:30], v[11:12], v[75:76], v[95:96]
	v_add_f64 v[13:14], v[13:14], v[41:42]
	s_clause 0x2
	buffer_load_dword v46, off, s[0:3], 0 offset:732
	buffer_load_dword v42, off, s[0:3], 0 offset:708
	buffer_load_dword v41, off, s[0:3], 0 offset:704
	ds_read_b128 v[9:12], v56 offset:1360
	s_waitcnt vmcnt(58) lgkmcnt(1)
	v_mul_f64 v[75:76], v[1:2], v[85:86]
	v_mul_f64 v[85:86], v[3:4], v[85:86]
	s_waitcnt vmcnt(56)
	v_fma_f64 v[35:36], v[5:6], v[39:40], -v[35:36]
	v_fma_f64 v[39:40], v[7:8], v[39:40], v[115:116]
	v_add_f64 v[15:16], v[15:16], v[73:74]
	v_add_f64 v[13:14], v[13:14], v[29:30]
	s_clause 0x4
	buffer_load_dword v30, off, s[0:3], 0 offset:748
	buffer_load_dword v73, off, s[0:3], 0 offset:760
	buffer_load_dword v95, off, s[0:3], 0 offset:752
	buffer_load_dword v29, off, s[0:3], 0 offset:744
	buffer_load_dword v102, off, s[0:3], 0 offset:724
	ds_read_b128 v[5:8], v56 offset:1376
	s_waitcnt vmcnt(57) lgkmcnt(1)
	v_mul_f64 v[115:116], v[9:10], v[43:44]
	v_mul_f64 v[43:44], v[11:12], v[43:44]
	s_waitcnt vmcnt(56)
	v_fma_f64 v[85:86], v[1:2], v[87:88], -v[85:86]
	v_add_f64 v[15:16], v[15:16], v[35:36]
	v_fma_f64 v[35:36], v[3:4], v[87:88], v[75:76]
	v_add_f64 v[13:14], v[13:14], v[39:40]
	s_clause 0x2
	buffer_load_dword v74, off, s[0:3], 0 offset:764
	buffer_load_dword v40, off, s[0:3], 0 offset:740
	buffer_load_dword v39, off, s[0:3], 0 offset:736
	ds_read_b128 v[1:4], v56 offset:1392
	s_waitcnt vmcnt(58) lgkmcnt(1)
	v_mul_f64 v[87:88], v[7:8], v[91:92]
	v_mul_f64 v[75:76], v[5:6], v[91:92]
	;; [unrolled: 28-line block ×4, first 2 shown]
	s_waitcnt vmcnt(56)
	v_fma_f64 v[83:84], v[5:6], v[89:90], -v[83:84]
	v_add_f64 v[15:16], v[15:16], v[81:82]
	v_fma_f64 v[81:82], v[7:8], v[89:90], v[115:116]
	v_add_f64 v[13:14], v[13:14], v[67:68]
	s_clause 0x4
	buffer_load_dword v68, off, s[0:3], 0 offset:844
	buffer_load_dword v89, off, s[0:3], 0 offset:856
	;; [unrolled: 1-line block ×5, first 2 shown]
	ds_read_b128 v[5:8], v56 offset:1472
	s_waitcnt vmcnt(57) lgkmcnt(1)
	v_mul_f64 v[115:116], v[9:10], v[21:22]
	v_mul_f64 v[21:22], v[11:12], v[21:22]
	s_waitcnt vmcnt(56)
	v_fma_f64 v[97:98], v[1:2], v[107:108], -v[97:98]
	v_fma_f64 v[75:76], v[3:4], v[107:108], v[75:76]
	v_add_f64 v[15:16], v[15:16], v[83:84]
	v_add_f64 v[13:14], v[13:14], v[81:82]
	s_clause 0x2
	buffer_load_dword v90, off, s[0:3], 0 offset:860
	buffer_load_dword v82, off, s[0:3], 0 offset:836
	buffer_load_dword v81, off, s[0:3], 0 offset:832
	ds_read_b128 v[1:4], v56 offset:1488
	s_waitcnt vmcnt(58) lgkmcnt(1)
	v_mul_f64 v[83:84], v[5:6], v[105:106]
	v_mul_f64 v[105:106], v[7:8], v[105:106]
	s_waitcnt vmcnt(56)
	v_fma_f64 v[21:22], v[9:10], v[27:28], -v[21:22]
	v_fma_f64 v[27:28], v[11:12], v[27:28], v[115:116]
	v_add_f64 v[15:16], v[15:16], v[97:98]
	v_add_f64 v[13:14], v[13:14], v[75:76]
	s_clause 0x2
	buffer_load_dword v76, off, s[0:3], 0 offset:876
	buffer_load_dword v75, off, s[0:3], 0 offset:872
	;; [unrolled: 1-line block ×3, first 2 shown]
	ds_read_b128 v[9:12], v56 offset:1504
	s_waitcnt vmcnt(55) lgkmcnt(1)
	v_mul_f64 v[97:98], v[1:2], v[33:34]
	v_mul_f64 v[33:34], v[3:4], v[33:34]
	s_waitcnt vmcnt(54)
	v_fma_f64 v[105:106], v[5:6], v[111:112], -v[105:106]
	v_add_f64 v[15:16], v[15:16], v[21:22]
	v_fma_f64 v[21:22], v[7:8], v[111:112], v[83:84]
	v_add_f64 v[13:14], v[13:14], v[27:28]
	s_clause 0x1
	buffer_load_dword v28, off, s[0:3], 0 offset:868
	buffer_load_dword v27, off, s[0:3], 0 offset:864
	ds_read_b128 v[5:8], v56 offset:1520
	s_waitcnt vmcnt(55) lgkmcnt(1)
	v_mul_f64 v[83:84], v[9:10], v[99:100]
	v_mul_f64 v[99:100], v[11:12], v[99:100]
	s_waitcnt vmcnt(53)
	v_fma_f64 v[33:34], v[1:2], v[25:26], -v[33:34]
	v_fma_f64 v[25:26], v[3:4], v[25:26], v[97:98]
	ds_read_b128 v[1:4], v56 offset:1536
	v_add_f64 v[15:16], v[15:16], v[105:106]
	v_add_f64 v[13:14], v[13:14], v[21:22]
	s_waitcnt vmcnt(49) lgkmcnt(1)
	v_mul_f64 v[21:22], v[5:6], v[19:20]
	v_mul_f64 v[19:20], v[7:8], v[19:20]
	s_waitcnt vmcnt(48)
	v_fma_f64 v[97:98], v[9:10], v[113:114], -v[99:100]
	v_add_f64 v[15:16], v[15:16], v[33:34]
	v_fma_f64 v[33:34], v[11:12], v[113:114], v[83:84]
	v_add_f64 v[13:14], v[13:14], v[25:26]
	s_clause 0x3
	buffer_load_dword v25, off, s[0:3], 0 offset:32
	buffer_load_dword v26, off, s[0:3], 0 offset:36
	;; [unrolled: 1-line block ×4, first 2 shown]
	ds_read_b128 v[9:12], v56 offset:1552
	s_waitcnt vmcnt(51) lgkmcnt(1)
	v_mul_f64 v[99:100], v[1:2], v[37:38]
	v_mul_f64 v[37:38], v[3:4], v[37:38]
	s_waitcnt vmcnt(49)
	v_fma_f64 v[19:20], v[5:6], v[31:32], -v[19:20]
	v_fma_f64 v[21:22], v[7:8], v[31:32], v[21:22]
	ds_read_b128 v[5:8], v56 offset:1568
	v_add_f64 v[15:16], v[15:16], v[97:98]
	v_add_f64 v[13:14], v[13:14], v[33:34]
	s_waitcnt vmcnt(45) lgkmcnt(1)
	v_mul_f64 v[31:32], v[9:10], v[23:24]
	v_mul_f64 v[23:24], v[11:12], v[23:24]
	s_waitcnt vmcnt(44)
	v_fma_f64 v[33:34], v[1:2], v[109:110], -v[37:38]
	v_add_f64 v[15:16], v[15:16], v[19:20]
	v_fma_f64 v[19:20], v[3:4], v[109:110], v[99:100]
	v_add_f64 v[13:14], v[13:14], v[21:22]
	ds_read_b128 v[1:4], v56 offset:1584
	s_waitcnt vmcnt(43) lgkmcnt(1)
	v_mul_f64 v[37:38], v[7:8], v[45:46]
	v_mul_f64 v[21:22], v[5:6], v[45:46]
	s_waitcnt vmcnt(41)
	v_fma_f64 v[23:24], v[9:10], v[41:42], -v[23:24]
	v_fma_f64 v[31:32], v[11:12], v[41:42], v[31:32]
	ds_read_b128 v[9:12], v56 offset:1600
	v_add_f64 v[15:16], v[15:16], v[33:34]
	v_add_f64 v[13:14], v[13:14], v[19:20]
	s_waitcnt vmcnt(37) lgkmcnt(1)
	v_mul_f64 v[19:20], v[1:2], v[29:30]
	v_mul_f64 v[29:30], v[3:4], v[29:30]
	s_waitcnt vmcnt(36)
	v_fma_f64 v[33:34], v[5:6], v[101:102], -v[37:38]
	v_fma_f64 v[21:22], v[7:8], v[101:102], v[21:22]
	ds_read_b128 v[5:8], v56 offset:1616
	v_add_f64 v[15:16], v[15:16], v[23:24]
	v_add_f64 v[13:14], v[13:14], v[31:32]
	;; [unrolled: 9-line block ×3, first 2 shown]
	s_waitcnt vmcnt(29) lgkmcnt(1)
	v_mul_f64 v[33:34], v[7:8], v[35:36]
	s_waitcnt vmcnt(28)
	v_fma_f64 v[31:32], v[9:10], v[95:96], -v[31:32]
	v_mul_f64 v[21:22], v[5:6], v[35:36]
	v_fma_f64 v[23:24], v[11:12], v[95:96], v[23:24]
	ds_read_b128 v[9:12], v56 offset:1648
	v_add_f64 v[15:16], v[15:16], v[29:30]
	v_add_f64 v[13:14], v[13:14], v[19:20]
	s_waitcnt vmcnt(27) lgkmcnt(1)
	v_mul_f64 v[29:30], v[3:4], v[85:86]
	v_mul_f64 v[19:20], v[1:2], v[85:86]
	s_waitcnt vmcnt(25)
	v_fma_f64 v[33:34], v[5:6], v[65:66], -v[33:34]
	v_fma_f64 v[21:22], v[7:8], v[65:66], v[21:22]
	ds_read_b128 v[5:8], v56 offset:1664
	v_add_f64 v[15:16], v[15:16], v[31:32]
	v_add_f64 v[13:14], v[13:14], v[23:24]
	s_waitcnt vmcnt(21) lgkmcnt(1)
	v_mul_f64 v[31:32], v[11:12], v[43:44]
	s_waitcnt vmcnt(20)
	v_fma_f64 v[29:30], v[1:2], v[91:92], -v[29:30]
	v_mul_f64 v[23:24], v[9:10], v[43:44]
	v_fma_f64 v[19:20], v[3:4], v[91:92], v[19:20]
	ds_read_b128 v[1:4], v56 offset:1680
	v_add_f64 v[15:16], v[15:16], v[33:34]
	v_add_f64 v[13:14], v[13:14], v[21:22]
	s_waitcnt vmcnt(19) lgkmcnt(1)
	v_mul_f64 v[33:34], v[7:8], v[87:88]
	v_mul_f64 v[21:22], v[5:6], v[87:88]
	s_waitcnt vmcnt(17)
	v_fma_f64 v[31:32], v[9:10], v[17:18], -v[31:32]
	v_fma_f64 v[17:18], v[11:12], v[17:18], v[23:24]
	ds_read_b128 v[9:12], v56 offset:1696
	v_add_f64 v[15:16], v[15:16], v[29:30]
	v_add_f64 v[13:14], v[13:14], v[19:20]
	s_waitcnt vmcnt(13) lgkmcnt(1)
	v_mul_f64 v[23:24], v[3:4], v[67:68]
	s_waitcnt vmcnt(12)
	v_fma_f64 v[29:30], v[5:6], v[93:94], -v[33:34]
	v_mul_f64 v[19:20], v[1:2], v[67:68]
	v_fma_f64 v[21:22], v[7:8], v[93:94], v[21:22]
	ds_read_b128 v[5:8], v56 offset:1712
	v_add_f64 v[15:16], v[15:16], v[31:32]
	v_add_f64 v[13:14], v[13:14], v[17:18]
	s_waitcnt vmcnt(11) lgkmcnt(1)
	v_mul_f64 v[31:32], v[11:12], v[89:90]
	v_mul_f64 v[17:18], v[9:10], v[89:90]
	s_waitcnt vmcnt(9)
	v_fma_f64 v[1:2], v[1:2], v[81:82], -v[23:24]
	v_fma_f64 v[3:4], v[3:4], v[81:82], v[19:20]
	v_add_f64 v[15:16], v[15:16], v[29:30]
	v_add_f64 v[13:14], v[13:14], v[21:22]
	s_waitcnt vmcnt(7) lgkmcnt(0)
	v_mul_f64 v[21:22], v[7:8], v[75:76]
	s_waitcnt vmcnt(6)
	v_fma_f64 v[9:10], v[9:10], v[103:104], -v[31:32]
	v_mul_f64 v[19:20], v[5:6], v[75:76]
	v_fma_f64 v[11:12], v[11:12], v[103:104], v[17:18]
	v_add_f64 v[1:2], v[15:16], v[1:2]
	v_add_f64 v[3:4], v[13:14], v[3:4]
	s_waitcnt vmcnt(4)
	v_fma_f64 v[5:6], v[5:6], v[27:28], -v[21:22]
	v_fma_f64 v[7:8], v[7:8], v[27:28], v[19:20]
	v_add_f64 v[1:2], v[1:2], v[9:10]
	v_add_f64 v[3:4], v[3:4], v[11:12]
	;; [unrolled: 1-line block ×4, first 2 shown]
	s_waitcnt vmcnt(2)
	v_add_f64 v[1:2], v[25:26], -v[1:2]
	s_waitcnt vmcnt(0)
	v_add_f64 v[3:4], v[83:84], -v[3:4]
	buffer_store_dword v2, off, s[0:3], 0 offset:36
	buffer_store_dword v1, off, s[0:3], 0 offset:32
	;; [unrolled: 1-line block ×4, first 2 shown]
	v_cmpx_ne_u32_e32 0, v0
	s_cbranch_execz .LBB53_337
; %bb.336:
	s_clause 0x3
	buffer_load_dword v0, off, s[0:3], 0 offset:16
	buffer_load_dword v1, off, s[0:3], 0 offset:20
	;; [unrolled: 1-line block ×4, first 2 shown]
	v_mov_b32_e32 v4, 0
	buffer_store_dword v4, off, s[0:3], 0 offset:16
	buffer_store_dword v4, off, s[0:3], 0 offset:20
	;; [unrolled: 1-line block ×4, first 2 shown]
	s_waitcnt vmcnt(0)
	ds_write_b128 v47, v[0:3]
.LBB53_337:
	s_or_b32 exec_lo, exec_lo, s4
	s_waitcnt lgkmcnt(0)
	s_waitcnt_vscnt null, 0x0
	s_barrier
	buffer_gl0_inv
	s_clause 0x37
	buffer_load_dword v16, off, s[0:3], 0 offset:40
	buffer_load_dword v17, off, s[0:3], 0 offset:44
	;; [unrolled: 1-line block ×56, first 2 shown]
	v_mov_b32_e32 v56, 0
	s_and_b32 vcc_lo, exec_lo, s66
	ds_read_b128 v[4:7], v56 offset:880
	s_clause 0x2
	buffer_load_dword v90, off, s[0:3], 0 offset:268
	buffer_load_dword v92, off, s[0:3], 0 offset:244
	;; [unrolled: 1-line block ×3, first 2 shown]
	ds_read_b128 v[0:3], v56 offset:896
	s_clause 0x4
	buffer_load_dword v100, off, s[0:3], 0 offset:284
	buffer_load_dword v101, off, s[0:3], 0 offset:296
	;; [unrolled: 1-line block ×5, first 2 shown]
	ds_read_b128 v[93:96], v56 offset:912
	s_waitcnt vmcnt(62) lgkmcnt(2)
	v_mul_f64 v[97:98], v[6:7], v[16:17]
	v_mul_f64 v[16:17], v[4:5], v[16:17]
	s_waitcnt vmcnt(60) lgkmcnt(1)
	v_mul_f64 v[104:105], v[2:3], v[12:13]
	v_mul_f64 v[12:13], v[0:1], v[12:13]
	;; [unrolled: 3-line block ×3, first 2 shown]
	v_fma_f64 v[97:98], v[4:5], v[14:15], -v[97:98]
	v_fma_f64 v[14:15], v[6:7], v[14:15], v[16:17]
	s_clause 0x2
	buffer_load_dword v102, off, s[0:3], 0 offset:300
	buffer_load_dword v17, off, s[0:3], 0 offset:276
	;; [unrolled: 1-line block ×3, first 2 shown]
	s_waitcnt vmcnt(57)
	v_fma_f64 v[108:109], v[0:1], v[8:9], -v[104:105]
	ds_read_b128 v[4:7], v56 offset:928
	v_fma_f64 v[8:9], v[2:3], v[8:9], v[12:13]
	s_waitcnt vmcnt(51)
	v_fma_f64 v[93:94], v[93:94], v[32:33], -v[10:11]
	v_fma_f64 v[32:33], v[95:96], v[32:33], v[106:107]
	v_add_f64 v[97:98], v[97:98], 0
	v_add_f64 v[12:13], v[14:15], 0
	s_clause 0x4
	buffer_load_dword v15, off, s[0:3], 0 offset:316
	buffer_load_dword v105, off, s[0:3], 0 offset:328
	;; [unrolled: 1-line block ×5, first 2 shown]
	s_waitcnt lgkmcnt(0)
	v_mul_f64 v[111:112], v[4:5], v[20:21]
	v_mul_f64 v[20:21], v[6:7], v[20:21]
	ds_read_b128 v[0:3], v56 offset:944
	s_clause 0x2
	buffer_load_dword v106, off, s[0:3], 0 offset:332
	buffer_load_dword v96, off, s[0:3], 0 offset:308
	;; [unrolled: 1-line block ×3, first 2 shown]
	v_add_f64 v[97:98], v[97:98], v[108:109]
	v_add_f64 v[12:13], v[12:13], v[8:9]
	ds_read_b128 v[8:11], v56 offset:960
	s_waitcnt vmcnt(58) lgkmcnt(1)
	v_mul_f64 v[107:108], v[0:1], v[24:25]
	v_mul_f64 v[24:25], v[2:3], v[24:25]
	s_waitcnt vmcnt(56)
	v_fma_f64 v[20:21], v[4:5], v[26:27], -v[20:21]
	v_fma_f64 v[26:27], v[6:7], v[26:27], v[111:112]
	s_waitcnt vmcnt(52) lgkmcnt(0)
	v_mul_f64 v[113:114], v[8:9], v[28:29]
	v_add_f64 v[93:94], v[97:98], v[93:94]
	v_add_f64 v[12:13], v[12:13], v[32:33]
	s_clause 0x4
	buffer_load_dword v33, off, s[0:3], 0 offset:348
	buffer_load_dword v97, off, s[0:3], 0 offset:360
	;; [unrolled: 1-line block ×5, first 2 shown]
	v_mul_f64 v[28:29], v[10:11], v[28:29]
	s_waitcnt vmcnt(56)
	v_fma_f64 v[24:25], v[0:1], v[18:19], -v[24:25]
	ds_read_b128 v[4:7], v56 offset:976
	v_fma_f64 v[18:19], v[2:3], v[18:19], v[107:108]
	v_add_f64 v[20:21], v[93:94], v[20:21]
	v_add_f64 v[12:13], v[12:13], v[26:27]
	s_clause 0x2
	buffer_load_dword v98, off, s[0:3], 0 offset:364
	buffer_load_dword v27, off, s[0:3], 0 offset:340
	;; [unrolled: 1-line block ×3, first 2 shown]
	s_waitcnt vmcnt(58) lgkmcnt(0)
	v_mul_f64 v[93:94], v[4:5], v[34:35]
	v_mul_f64 v[34:35], v[6:7], v[34:35]
	s_waitcnt vmcnt(56)
	v_fma_f64 v[28:29], v[8:9], v[36:37], -v[28:29]
	ds_read_b128 v[0:3], v56 offset:992
	v_add_f64 v[20:21], v[20:21], v[24:25]
	v_fma_f64 v[24:25], v[10:11], v[36:37], v[113:114]
	v_add_f64 v[12:13], v[12:13], v[18:19]
	s_clause 0x4
	buffer_load_dword v19, off, s[0:3], 0 offset:380
	buffer_load_dword v36, off, s[0:3], 0 offset:392
	;; [unrolled: 1-line block ×5, first 2 shown]
	s_waitcnt vmcnt(57) lgkmcnt(0)
	v_mul_f64 v[108:109], v[0:1], v[38:39]
	v_mul_f64 v[38:39], v[2:3], v[38:39]
	s_waitcnt vmcnt(56)
	v_fma_f64 v[34:35], v[4:5], v[22:23], -v[34:35]
	ds_read_b128 v[8:11], v56 offset:1008
	v_fma_f64 v[22:23], v[6:7], v[22:23], v[93:94]
	v_add_f64 v[20:21], v[20:21], v[28:29]
	v_add_f64 v[12:13], v[12:13], v[24:25]
	s_clause 0x2
	buffer_load_dword v37, off, s[0:3], 0 offset:396
	buffer_load_dword v25, off, s[0:3], 0 offset:372
	;; [unrolled: 1-line block ×3, first 2 shown]
	ds_read_b128 v[4:7], v56 offset:1024
	s_waitcnt vmcnt(58) lgkmcnt(1)
	v_mul_f64 v[28:29], v[8:9], v[42:43]
	v_mul_f64 v[42:43], v[10:11], v[42:43]
	s_waitcnt vmcnt(56)
	v_fma_f64 v[38:39], v[0:1], v[44:45], -v[38:39]
	v_add_f64 v[20:21], v[20:21], v[34:35]
	v_fma_f64 v[34:35], v[2:3], v[44:45], v[108:109]
	v_add_f64 v[12:13], v[12:13], v[22:23]
	s_clause 0x4
	buffer_load_dword v23, off, s[0:3], 0 offset:412
	buffer_load_dword v44, off, s[0:3], 0 offset:424
	;; [unrolled: 1-line block ×5, first 2 shown]
	s_waitcnt vmcnt(57) lgkmcnt(0)
	v_mul_f64 v[114:115], v[4:5], v[46:47]
	v_mul_f64 v[46:47], v[6:7], v[46:47]
	s_waitcnt vmcnt(56)
	v_fma_f64 v[42:43], v[8:9], v[30:31], -v[42:43]
	ds_read_b128 v[0:3], v56 offset:1040
	v_fma_f64 v[28:29], v[10:11], v[30:31], v[28:29]
	s_clause 0x2
	buffer_load_dword v45, off, s[0:3], 0 offset:428
	buffer_load_dword v31, off, s[0:3], 0 offset:404
	;; [unrolled: 1-line block ×3, first 2 shown]
	ds_read_b128 v[8:11], v56 offset:1056
	v_add_f64 v[20:21], v[20:21], v[38:39]
	v_add_f64 v[12:13], v[12:13], v[34:35]
	s_waitcnt vmcnt(58) lgkmcnt(1)
	v_mul_f64 v[38:39], v[2:3], v[67:68]
	s_waitcnt vmcnt(56)
	v_fma_f64 v[46:47], v[4:5], v[73:74], -v[46:47]
	v_mul_f64 v[34:35], v[0:1], v[67:68]
	v_add_f64 v[20:21], v[20:21], v[42:43]
	v_fma_f64 v[42:43], v[6:7], v[73:74], v[114:115]
	v_add_f64 v[12:13], v[12:13], v[28:29]
	s_clause 0x4
	buffer_load_dword v29, off, s[0:3], 0 offset:444
	buffer_load_dword v67, off, s[0:3], 0 offset:456
	;; [unrolled: 1-line block ×5, first 2 shown]
	s_waitcnt vmcnt(57) lgkmcnt(0)
	v_mul_f64 v[114:115], v[8:9], v[75:76]
	v_mul_f64 v[74:75], v[10:11], v[75:76]
	s_waitcnt vmcnt(56)
	v_fma_f64 v[38:39], v[0:1], v[40:41], -v[38:39]
	ds_read_b128 v[4:7], v56 offset:1072
	v_fma_f64 v[34:35], v[2:3], v[40:41], v[34:35]
	s_clause 0x2
	buffer_load_dword v68, off, s[0:3], 0 offset:460
	buffer_load_dword v41, off, s[0:3], 0 offset:436
	;; [unrolled: 1-line block ×3, first 2 shown]
	ds_read_b128 v[0:3], v56 offset:1088
	v_add_f64 v[20:21], v[20:21], v[46:47]
	v_add_f64 v[12:13], v[12:13], v[42:43]
	s_waitcnt vmcnt(58) lgkmcnt(1)
	v_mul_f64 v[46:47], v[6:7], v[83:84]
	s_waitcnt vmcnt(56)
	v_fma_f64 v[75:76], v[8:9], v[85:86], -v[74:75]
	v_mul_f64 v[42:43], v[4:5], v[83:84]
	v_add_f64 v[20:21], v[20:21], v[38:39]
	v_fma_f64 v[38:39], v[10:11], v[85:86], v[114:115]
	v_add_f64 v[12:13], v[12:13], v[34:35]
	s_clause 0x4
	buffer_load_dword v35, off, s[0:3], 0 offset:476
	buffer_load_dword v83, off, s[0:3], 0 offset:488
	;; [unrolled: 1-line block ×5, first 2 shown]
	s_waitcnt vmcnt(57) lgkmcnt(0)
	v_mul_f64 v[114:115], v[0:1], v[87:88]
	v_mul_f64 v[86:87], v[2:3], v[87:88]
	s_waitcnt vmcnt(56)
	v_fma_f64 v[46:47], v[4:5], v[65:66], -v[46:47]
	ds_read_b128 v[8:11], v56 offset:1104
	v_fma_f64 v[42:43], v[6:7], v[65:66], v[42:43]
	v_add_f64 v[20:21], v[20:21], v[75:76]
	v_add_f64 v[12:13], v[12:13], v[38:39]
	s_clause 0x2
	buffer_load_dword v84, off, s[0:3], 0 offset:492
	buffer_load_dword v39, off, s[0:3], 0 offset:468
	;; [unrolled: 1-line block ×3, first 2 shown]
	ds_read_b128 v[4:7], v56 offset:1120
	s_waitcnt vmcnt(58) lgkmcnt(1)
	v_mul_f64 v[75:76], v[10:11], v[89:90]
	s_waitcnt vmcnt(56)
	v_fma_f64 v[87:88], v[0:1], v[91:92], -v[86:87]
	v_mul_f64 v[65:66], v[8:9], v[89:90]
	v_add_f64 v[20:21], v[20:21], v[46:47]
	v_fma_f64 v[46:47], v[2:3], v[91:92], v[114:115]
	v_add_f64 v[12:13], v[12:13], v[42:43]
	s_clause 0x4
	buffer_load_dword v43, off, s[0:3], 0 offset:508
	buffer_load_dword v89, off, s[0:3], 0 offset:520
	;; [unrolled: 1-line block ×5, first 2 shown]
	s_waitcnt vmcnt(57) lgkmcnt(0)
	v_mul_f64 v[114:115], v[4:5], v[99:100]
	v_mul_f64 v[99:100], v[6:7], v[99:100]
	s_waitcnt vmcnt(56)
	v_fma_f64 v[75:76], v[8:9], v[81:82], -v[75:76]
	ds_read_b128 v[0:3], v56 offset:1136
	v_fma_f64 v[65:66], v[10:11], v[81:82], v[65:66]
	v_add_f64 v[20:21], v[20:21], v[87:88]
	v_add_f64 v[12:13], v[12:13], v[46:47]
	s_clause 0x2
	buffer_load_dword v90, off, s[0:3], 0 offset:524
	buffer_load_dword v47, off, s[0:3], 0 offset:500
	;; [unrolled: 1-line block ×3, first 2 shown]
	ds_read_b128 v[8:11], v56 offset:1152
	s_waitcnt vmcnt(58) lgkmcnt(1)
	v_mul_f64 v[87:88], v[2:3], v[101:102]
	v_mul_f64 v[81:82], v[0:1], v[101:102]
	s_waitcnt vmcnt(56)
	v_fma_f64 v[99:100], v[4:5], v[16:17], -v[99:100]
	v_fma_f64 v[16:17], v[6:7], v[16:17], v[114:115]
	v_add_f64 v[20:21], v[20:21], v[75:76]
	v_add_f64 v[12:13], v[12:13], v[65:66]
	s_clause 0x4
	buffer_load_dword v66, off, s[0:3], 0 offset:540
	buffer_load_dword v75, off, s[0:3], 0 offset:552
	;; [unrolled: 1-line block ×5, first 2 shown]
	ds_read_b128 v[4:7], v56 offset:1168
	s_waitcnt vmcnt(57) lgkmcnt(1)
	v_mul_f64 v[114:115], v[8:9], v[14:15]
	v_mul_f64 v[14:15], v[10:11], v[14:15]
	s_waitcnt vmcnt(56)
	v_fma_f64 v[87:88], v[0:1], v[103:104], -v[87:88]
	v_fma_f64 v[81:82], v[2:3], v[103:104], v[81:82]
	v_add_f64 v[20:21], v[20:21], v[99:100]
	v_add_f64 v[12:13], v[12:13], v[16:17]
	s_clause 0x2
	buffer_load_dword v76, off, s[0:3], 0 offset:556
	buffer_load_dword v17, off, s[0:3], 0 offset:532
	;; [unrolled: 1-line block ×3, first 2 shown]
	s_waitcnt vmcnt(58) lgkmcnt(0)
	v_mul_f64 v[103:104], v[6:7], v[105:106]
	ds_read_b128 v[0:3], v56 offset:1184
	v_mul_f64 v[99:100], v[4:5], v[105:106]
	s_waitcnt vmcnt(56)
	v_fma_f64 v[14:15], v[8:9], v[95:96], -v[14:15]
	v_add_f64 v[20:21], v[20:21], v[87:88]
	v_fma_f64 v[87:88], v[10:11], v[95:96], v[114:115]
	v_add_f64 v[12:13], v[12:13], v[81:82]
	s_clause 0x4
	buffer_load_dword v82, off, s[0:3], 0 offset:572
	buffer_load_dword v95, off, s[0:3], 0 offset:584
	;; [unrolled: 1-line block ×5, first 2 shown]
	ds_read_b128 v[8:11], v56 offset:1200
	s_waitcnt vmcnt(57) lgkmcnt(1)
	v_mul_f64 v[114:115], v[0:1], v[32:33]
	v_mul_f64 v[32:33], v[2:3], v[32:33]
	s_waitcnt vmcnt(56)
	v_fma_f64 v[103:104], v[4:5], v[110:111], -v[103:104]
	v_add_f64 v[14:15], v[20:21], v[14:15]
	v_fma_f64 v[20:21], v[6:7], v[110:111], v[99:100]
	v_add_f64 v[12:13], v[12:13], v[87:88]
	s_clause 0x2
	buffer_load_dword v96, off, s[0:3], 0 offset:588
	buffer_load_dword v88, off, s[0:3], 0 offset:564
	;; [unrolled: 1-line block ×3, first 2 shown]
	ds_read_b128 v[4:7], v56 offset:1216
	s_waitcnt vmcnt(58) lgkmcnt(1)
	v_mul_f64 v[99:100], v[8:9], v[97:98]
	v_mul_f64 v[97:98], v[10:11], v[97:98]
	s_waitcnt vmcnt(56)
	v_fma_f64 v[32:33], v[0:1], v[26:27], -v[32:33]
	v_fma_f64 v[26:27], v[2:3], v[26:27], v[114:115]
	v_add_f64 v[14:15], v[14:15], v[103:104]
	v_add_f64 v[12:13], v[12:13], v[20:21]
	s_clause 0x4
	buffer_load_dword v21, off, s[0:3], 0 offset:604
	buffer_load_dword v103, off, s[0:3], 0 offset:616
	;; [unrolled: 1-line block ×5, first 2 shown]
	ds_read_b128 v[0:3], v56 offset:1232
	s_waitcnt vmcnt(57) lgkmcnt(1)
	v_mul_f64 v[110:111], v[4:5], v[18:19]
	v_mul_f64 v[18:19], v[6:7], v[18:19]
	s_waitcnt vmcnt(56)
	v_fma_f64 v[97:98], v[8:9], v[112:113], -v[97:98]
	v_add_f64 v[14:15], v[14:15], v[32:33]
	v_fma_f64 v[32:33], v[10:11], v[112:113], v[99:100]
	v_add_f64 v[12:13], v[12:13], v[26:27]
	s_clause 0x2
	buffer_load_dword v104, off, s[0:3], 0 offset:620
	buffer_load_dword v27, off, s[0:3], 0 offset:596
	;; [unrolled: 1-line block ×3, first 2 shown]
	ds_read_b128 v[8:11], v56 offset:1248
	s_waitcnt vmcnt(58) lgkmcnt(1)
	v_mul_f64 v[99:100], v[0:1], v[36:37]
	v_mul_f64 v[36:37], v[2:3], v[36:37]
	s_waitcnt vmcnt(56)
	v_fma_f64 v[18:19], v[4:5], v[24:25], -v[18:19]
	v_fma_f64 v[24:25], v[6:7], v[24:25], v[110:111]
	v_add_f64 v[14:15], v[14:15], v[97:98]
	v_add_f64 v[12:13], v[12:13], v[32:33]
	s_clause 0x4
	buffer_load_dword v33, off, s[0:3], 0 offset:636
	buffer_load_dword v97, off, s[0:3], 0 offset:648
	;; [unrolled: 1-line block ×5, first 2 shown]
	ds_read_b128 v[4:7], v56 offset:1264
	s_waitcnt vmcnt(57) lgkmcnt(1)
	v_mul_f64 v[112:113], v[8:9], v[22:23]
	v_mul_f64 v[22:23], v[10:11], v[22:23]
	s_waitcnt vmcnt(56)
	v_fma_f64 v[36:37], v[0:1], v[107:108], -v[36:37]
	v_add_f64 v[14:15], v[14:15], v[18:19]
	v_fma_f64 v[18:19], v[2:3], v[107:108], v[99:100]
	v_add_f64 v[12:13], v[12:13], v[24:25]
	s_clause 0x2
	buffer_load_dword v98, off, s[0:3], 0 offset:652
	buffer_load_dword v25, off, s[0:3], 0 offset:628
	;; [unrolled: 1-line block ×3, first 2 shown]
	s_waitcnt vmcnt(58) lgkmcnt(0)
	v_mul_f64 v[99:100], v[4:5], v[44:45]
	v_mul_f64 v[44:45], v[6:7], v[44:45]
	ds_read_b128 v[0:3], v56 offset:1280
	s_waitcnt vmcnt(56)
	v_fma_f64 v[22:23], v[8:9], v[30:31], -v[22:23]
	v_fma_f64 v[30:31], v[10:11], v[30:31], v[112:113]
	v_add_f64 v[14:15], v[14:15], v[36:37]
	v_add_f64 v[12:13], v[12:13], v[18:19]
	s_clause 0x4
	buffer_load_dword v19, off, s[0:3], 0 offset:668
	buffer_load_dword v36, off, s[0:3], 0 offset:680
	buffer_load_dword v107, off, s[0:3], 0 offset:672
	buffer_load_dword v18, off, s[0:3], 0 offset:664
	buffer_load_dword v112, off, s[0:3], 0 offset:644
	ds_read_b128 v[8:11], v56 offset:1296
	s_waitcnt vmcnt(57) lgkmcnt(1)
	v_mul_f64 v[113:114], v[0:1], v[28:29]
	v_mul_f64 v[28:29], v[2:3], v[28:29]
	s_waitcnt vmcnt(56)
	v_fma_f64 v[44:45], v[4:5], v[93:94], -v[44:45]
	v_add_f64 v[14:15], v[14:15], v[22:23]
	v_fma_f64 v[22:23], v[6:7], v[93:94], v[99:100]
	v_add_f64 v[12:13], v[12:13], v[30:31]
	s_clause 0x2
	buffer_load_dword v37, off, s[0:3], 0 offset:684
	buffer_load_dword v31, off, s[0:3], 0 offset:660
	;; [unrolled: 1-line block ×3, first 2 shown]
	s_waitcnt vmcnt(58) lgkmcnt(0)
	v_mul_f64 v[93:94], v[8:9], v[67:68]
	v_mul_f64 v[67:68], v[10:11], v[67:68]
	ds_read_b128 v[4:7], v56 offset:1312
	s_waitcnt vmcnt(56)
	v_fma_f64 v[28:29], v[0:1], v[40:41], -v[28:29]
	v_fma_f64 v[40:41], v[2:3], v[40:41], v[113:114]
	v_add_f64 v[14:15], v[14:15], v[44:45]
	v_add_f64 v[12:13], v[12:13], v[22:23]
	s_clause 0x4
	buffer_load_dword v23, off, s[0:3], 0 offset:700
	buffer_load_dword v44, off, s[0:3], 0 offset:712
	buffer_load_dword v99, off, s[0:3], 0 offset:704
	buffer_load_dword v22, off, s[0:3], 0 offset:696
	buffer_load_dword v108, off, s[0:3], 0 offset:676
	ds_read_b128 v[0:3], v56 offset:1328
	s_waitcnt vmcnt(57) lgkmcnt(1)
	v_mul_f64 v[113:114], v[4:5], v[34:35]
	v_mul_f64 v[34:35], v[6:7], v[34:35]
	s_waitcnt vmcnt(56)
	v_fma_f64 v[67:68], v[8:9], v[73:74], -v[67:68]
	v_add_f64 v[14:15], v[14:15], v[28:29]
	v_fma_f64 v[28:29], v[10:11], v[73:74], v[93:94]
	v_add_f64 v[12:13], v[12:13], v[40:41]
	s_clause 0x2
	buffer_load_dword v45, off, s[0:3], 0 offset:716
	buffer_load_dword v41, off, s[0:3], 0 offset:692
	buffer_load_dword v40, off, s[0:3], 0 offset:688
	ds_read_b128 v[8:11], v56 offset:1344
	s_waitcnt vmcnt(58) lgkmcnt(1)
	v_mul_f64 v[73:74], v[0:1], v[83:84]
	v_mul_f64 v[83:84], v[2:3], v[83:84]
	s_waitcnt vmcnt(56)
	v_fma_f64 v[34:35], v[4:5], v[38:39], -v[34:35]
	v_fma_f64 v[38:39], v[6:7], v[38:39], v[113:114]
	v_add_f64 v[14:15], v[14:15], v[67:68]
	v_add_f64 v[12:13], v[12:13], v[28:29]
	s_clause 0x4
	buffer_load_dword v29, off, s[0:3], 0 offset:732
	buffer_load_dword v67, off, s[0:3], 0 offset:744
	buffer_load_dword v93, off, s[0:3], 0 offset:736
	buffer_load_dword v28, off, s[0:3], 0 offset:728
	buffer_load_dword v100, off, s[0:3], 0 offset:708
	ds_read_b128 v[4:7], v56 offset:1360
	s_waitcnt vmcnt(57) lgkmcnt(1)
	v_mul_f64 v[113:114], v[8:9], v[42:43]
	v_mul_f64 v[42:43], v[10:11], v[42:43]
	s_waitcnt vmcnt(56)
	v_fma_f64 v[83:84], v[0:1], v[85:86], -v[83:84]
	v_add_f64 v[14:15], v[14:15], v[34:35]
	v_fma_f64 v[34:35], v[2:3], v[85:86], v[73:74]
	v_add_f64 v[12:13], v[12:13], v[38:39]
	s_clause 0x2
	buffer_load_dword v68, off, s[0:3], 0 offset:748
	buffer_load_dword v39, off, s[0:3], 0 offset:724
	buffer_load_dword v38, off, s[0:3], 0 offset:720
	ds_read_b128 v[0:3], v56 offset:1376
	s_waitcnt vmcnt(58) lgkmcnt(1)
	v_mul_f64 v[85:86], v[6:7], v[89:90]
	v_mul_f64 v[73:74], v[4:5], v[89:90]
	;; [unrolled: 28-line block ×4, first 2 shown]
	s_waitcnt vmcnt(56)
	v_fma_f64 v[81:82], v[4:5], v[87:88], -v[81:82]
	v_add_f64 v[14:15], v[14:15], v[75:76]
	v_fma_f64 v[75:76], v[6:7], v[87:88], v[113:114]
	v_add_f64 v[12:13], v[12:13], v[65:66]
	s_clause 0x4
	buffer_load_dword v66, off, s[0:3], 0 offset:828
	buffer_load_dword v87, off, s[0:3], 0 offset:840
	;; [unrolled: 1-line block ×5, first 2 shown]
	ds_read_b128 v[4:7], v56 offset:1456
	s_waitcnt vmcnt(57) lgkmcnt(1)
	v_mul_f64 v[113:114], v[8:9], v[20:21]
	v_mul_f64 v[20:21], v[10:11], v[20:21]
	s_waitcnt vmcnt(56)
	v_fma_f64 v[95:96], v[0:1], v[105:106], -v[95:96]
	v_fma_f64 v[73:74], v[2:3], v[105:106], v[73:74]
	v_add_f64 v[14:15], v[14:15], v[81:82]
	v_add_f64 v[12:13], v[12:13], v[75:76]
	s_clause 0x2
	buffer_load_dword v88, off, s[0:3], 0 offset:844
	buffer_load_dword v76, off, s[0:3], 0 offset:820
	buffer_load_dword v75, off, s[0:3], 0 offset:816
	ds_read_b128 v[0:3], v56 offset:1472
	s_waitcnt vmcnt(58) lgkmcnt(1)
	v_mul_f64 v[81:82], v[4:5], v[103:104]
	v_mul_f64 v[103:104], v[6:7], v[103:104]
	s_waitcnt vmcnt(56)
	v_fma_f64 v[20:21], v[8:9], v[26:27], -v[20:21]
	v_fma_f64 v[26:27], v[10:11], v[26:27], v[113:114]
	v_add_f64 v[14:15], v[14:15], v[95:96]
	v_add_f64 v[12:13], v[12:13], v[73:74]
	s_clause 0x4
	buffer_load_dword v74, off, s[0:3], 0 offset:860
	buffer_load_dword v95, off, s[0:3], 0 offset:872
	;; [unrolled: 1-line block ×5, first 2 shown]
	ds_read_b128 v[8:11], v56 offset:1488
	s_waitcnt vmcnt(57) lgkmcnt(1)
	v_mul_f64 v[113:114], v[0:1], v[32:33]
	v_mul_f64 v[32:33], v[2:3], v[32:33]
	s_waitcnt vmcnt(56)
	v_fma_f64 v[103:104], v[4:5], v[109:110], -v[103:104]
	v_add_f64 v[14:15], v[14:15], v[20:21]
	v_fma_f64 v[20:21], v[6:7], v[109:110], v[81:82]
	v_add_f64 v[12:13], v[12:13], v[26:27]
	s_clause 0x2
	buffer_load_dword v96, off, s[0:3], 0 offset:876
	buffer_load_dword v27, off, s[0:3], 0 offset:852
	;; [unrolled: 1-line block ×3, first 2 shown]
	ds_read_b128 v[4:7], v56 offset:1504
	buffer_load_dword v106, off, s[0:3], 0 offset:868
	s_waitcnt vmcnt(59) lgkmcnt(1)
	v_mul_f64 v[81:82], v[8:9], v[97:98]
	v_mul_f64 v[97:98], v[10:11], v[97:98]
	s_waitcnt vmcnt(57)
	v_fma_f64 v[32:33], v[0:1], v[24:25], -v[32:33]
	v_fma_f64 v[24:25], v[2:3], v[24:25], v[113:114]
	ds_read_b128 v[0:3], v56 offset:1520
	v_add_f64 v[14:15], v[14:15], v[103:104]
	v_add_f64 v[12:13], v[12:13], v[20:21]
	s_waitcnt vmcnt(53) lgkmcnt(1)
	v_mul_f64 v[20:21], v[4:5], v[18:19]
	v_mul_f64 v[18:19], v[6:7], v[18:19]
	s_waitcnt vmcnt(52)
	v_fma_f64 v[97:98], v[8:9], v[111:112], -v[97:98]
	v_add_f64 v[14:15], v[14:15], v[32:33]
	v_fma_f64 v[32:33], v[10:11], v[111:112], v[81:82]
	v_add_f64 v[12:13], v[12:13], v[24:25]
	ds_read_b128 v[8:11], v56 offset:1536
	s_waitcnt vmcnt(51) lgkmcnt(1)
	v_mul_f64 v[24:25], v[0:1], v[36:37]
	v_mul_f64 v[36:37], v[2:3], v[36:37]
	s_waitcnt vmcnt(49)
	v_fma_f64 v[18:19], v[4:5], v[30:31], -v[18:19]
	v_fma_f64 v[20:21], v[6:7], v[30:31], v[20:21]
	v_add_f64 v[14:15], v[14:15], v[97:98]
	v_add_f64 v[12:13], v[12:13], v[32:33]
	s_clause 0x3
	buffer_load_dword v30, off, s[0:3], 0 offset:16
	buffer_load_dword v31, off, s[0:3], 0 offset:20
	buffer_load_dword v32, off, s[0:3], 0 offset:24
	buffer_load_dword v33, off, s[0:3], 0 offset:28
	ds_read_b128 v[4:7], v56 offset:1552
	s_waitcnt vmcnt(49) lgkmcnt(1)
	v_mul_f64 v[81:82], v[8:9], v[22:23]
	v_mul_f64 v[22:23], v[10:11], v[22:23]
	s_waitcnt vmcnt(48)
	v_fma_f64 v[36:37], v[0:1], v[107:108], -v[36:37]
	v_add_f64 v[14:15], v[14:15], v[18:19]
	v_fma_f64 v[18:19], v[2:3], v[107:108], v[24:25]
	v_add_f64 v[12:13], v[12:13], v[20:21]
	ds_read_b128 v[0:3], v56 offset:1568
	s_waitcnt vmcnt(47) lgkmcnt(1)
	v_mul_f64 v[24:25], v[6:7], v[44:45]
	v_mul_f64 v[20:21], v[4:5], v[44:45]
	s_waitcnt vmcnt(45)
	v_fma_f64 v[22:23], v[8:9], v[40:41], -v[22:23]
	v_add_f64 v[14:15], v[14:15], v[36:37]
	v_fma_f64 v[36:37], v[10:11], v[40:41], v[81:82]
	v_add_f64 v[12:13], v[12:13], v[18:19]
	ds_read_b128 v[8:11], v56 offset:1584
	s_waitcnt vmcnt(41) lgkmcnt(1)
	v_mul_f64 v[18:19], v[0:1], v[28:29]
	v_mul_f64 v[28:29], v[2:3], v[28:29]
	s_waitcnt vmcnt(40)
	v_fma_f64 v[24:25], v[4:5], v[99:100], -v[24:25]
	v_fma_f64 v[20:21], v[6:7], v[99:100], v[20:21]
	ds_read_b128 v[4:7], v56 offset:1600
	v_add_f64 v[14:15], v[14:15], v[22:23]
	v_add_f64 v[12:13], v[12:13], v[36:37]
	s_waitcnt vmcnt(39) lgkmcnt(1)
	v_mul_f64 v[36:37], v[10:11], v[67:68]
	v_mul_f64 v[22:23], v[8:9], v[67:68]
	s_waitcnt vmcnt(37)
	v_fma_f64 v[28:29], v[0:1], v[38:39], -v[28:29]
	v_fma_f64 v[18:19], v[2:3], v[38:39], v[18:19]
	ds_read_b128 v[0:3], v56 offset:1616
	v_add_f64 v[14:15], v[14:15], v[24:25]
	v_add_f64 v[12:13], v[12:13], v[20:21]
	s_waitcnt vmcnt(33) lgkmcnt(1)
	v_mul_f64 v[20:21], v[4:5], v[34:35]
	v_mul_f64 v[24:25], v[6:7], v[34:35]
	s_waitcnt vmcnt(32)
	v_fma_f64 v[34:35], v[8:9], v[93:94], -v[36:37]
	v_fma_f64 v[22:23], v[10:11], v[93:94], v[22:23]
	ds_read_b128 v[8:11], v56 offset:1632
	v_add_f64 v[14:15], v[14:15], v[28:29]
	v_add_f64 v[12:13], v[12:13], v[18:19]
	s_waitcnt vmcnt(31) lgkmcnt(1)
	v_mul_f64 v[28:29], v[2:3], v[83:84]
	v_mul_f64 v[18:19], v[0:1], v[83:84]
	s_waitcnt vmcnt(29)
	v_fma_f64 v[24:25], v[4:5], v[46:47], -v[24:25]
	v_fma_f64 v[20:21], v[6:7], v[46:47], v[20:21]
	ds_read_b128 v[4:7], v56 offset:1648
	v_add_f64 v[14:15], v[14:15], v[34:35]
	v_add_f64 v[12:13], v[12:13], v[22:23]
	s_waitcnt vmcnt(25) lgkmcnt(1)
	v_mul_f64 v[34:35], v[10:11], v[42:43]
	s_waitcnt vmcnt(24)
	v_fma_f64 v[28:29], v[0:1], v[89:90], -v[28:29]
	v_mul_f64 v[22:23], v[8:9], v[42:43]
	v_fma_f64 v[18:19], v[2:3], v[89:90], v[18:19]
	ds_read_b128 v[0:3], v56 offset:1664
	v_add_f64 v[14:15], v[14:15], v[24:25]
	v_add_f64 v[12:13], v[12:13], v[20:21]
	s_waitcnt vmcnt(23) lgkmcnt(1)
	v_mul_f64 v[24:25], v[6:7], v[85:86]
	v_mul_f64 v[20:21], v[4:5], v[85:86]
	s_waitcnt vmcnt(21)
	v_fma_f64 v[34:35], v[8:9], v[16:17], -v[34:35]
	v_fma_f64 v[16:17], v[10:11], v[16:17], v[22:23]
	ds_read_b128 v[8:11], v56 offset:1680
	v_add_f64 v[14:15], v[14:15], v[28:29]
	v_add_f64 v[12:13], v[12:13], v[18:19]
	s_waitcnt vmcnt(17) lgkmcnt(1)
	v_mul_f64 v[22:23], v[2:3], v[65:66]
	s_waitcnt vmcnt(16)
	v_fma_f64 v[24:25], v[4:5], v[91:92], -v[24:25]
	v_mul_f64 v[18:19], v[0:1], v[65:66]
	v_fma_f64 v[20:21], v[6:7], v[91:92], v[20:21]
	ds_read_b128 v[4:7], v56 offset:1696
	v_add_f64 v[14:15], v[14:15], v[34:35]
	v_add_f64 v[12:13], v[12:13], v[16:17]
	s_waitcnt vmcnt(15) lgkmcnt(1)
	v_mul_f64 v[28:29], v[10:11], v[87:88]
	v_mul_f64 v[16:17], v[8:9], v[87:88]
	s_waitcnt vmcnt(13)
	v_fma_f64 v[22:23], v[0:1], v[75:76], -v[22:23]
	v_fma_f64 v[18:19], v[2:3], v[75:76], v[18:19]
	ds_read_b128 v[0:3], v56 offset:1712
	v_add_f64 v[14:15], v[14:15], v[24:25]
	v_add_f64 v[12:13], v[12:13], v[20:21]
	s_waitcnt vmcnt(9) lgkmcnt(1)
	v_mul_f64 v[24:25], v[6:7], v[73:74]
	s_waitcnt vmcnt(8)
	v_fma_f64 v[8:9], v[8:9], v[101:102], -v[28:29]
	v_mul_f64 v[20:21], v[4:5], v[73:74]
	v_fma_f64 v[10:11], v[10:11], v[101:102], v[16:17]
	v_add_f64 v[14:15], v[14:15], v[22:23]
	v_add_f64 v[12:13], v[12:13], v[18:19]
	s_waitcnt vmcnt(7) lgkmcnt(0)
	v_mul_f64 v[18:19], v[2:3], v[95:96]
	v_mul_f64 v[16:17], v[0:1], v[95:96]
	s_waitcnt vmcnt(5)
	v_fma_f64 v[4:5], v[4:5], v[26:27], -v[24:25]
	v_fma_f64 v[6:7], v[6:7], v[26:27], v[20:21]
	v_add_f64 v[8:9], v[14:15], v[8:9]
	v_add_f64 v[10:11], v[12:13], v[10:11]
	s_waitcnt vmcnt(4)
	v_fma_f64 v[0:1], v[0:1], v[105:106], -v[18:19]
	v_fma_f64 v[2:3], v[2:3], v[105:106], v[16:17]
	v_add_f64 v[4:5], v[8:9], v[4:5]
	v_add_f64 v[6:7], v[10:11], v[6:7]
	;; [unrolled: 1-line block ×4, first 2 shown]
	s_waitcnt vmcnt(2)
	v_add_f64 v[0:1], v[30:31], -v[0:1]
	s_waitcnt vmcnt(0)
	v_add_f64 v[2:3], v[32:33], -v[2:3]
	buffer_store_dword v1, off, s[0:3], 0 offset:20
	buffer_store_dword v0, off, s[0:3], 0 offset:16
	;; [unrolled: 1-line block ×4, first 2 shown]
	s_cbranch_vccz .LBB53_444
; %bb.338:
	global_load_dword v0, v56, s[20:21] offset:208
	s_waitcnt vmcnt(0)
	v_add_nc_u32_e32 v0, -1, v0
	v_cmp_ne_u32_e32 vcc_lo, 52, v0
	s_cbranch_vccz .LBB53_340
; %bb.339:
	v_lshlrev_b32_e32 v0, 4, v0
	v_mov_b32_e32 v1, s9
	v_add_nc_u32_e32 v0, 16, v0
	s_clause 0x7
	buffer_load_dword v2, v0, s[0:3], 0 offen
	buffer_load_dword v3, v0, s[0:3], 0 offen offset:4
	buffer_load_dword v4, v0, s[0:3], 0 offen offset:8
	;; [unrolled: 1-line block ×6, first 2 shown]
	buffer_load_dword v9, v1, s[0:3], 0 offen
	s_waitcnt vmcnt(7)
	buffer_store_dword v2, v1, s[0:3], 0 offen
	s_waitcnt vmcnt(6)
	buffer_store_dword v3, v1, s[0:3], 0 offen offset:4
	s_waitcnt vmcnt(5)
	buffer_store_dword v4, v1, s[0:3], 0 offen offset:8
	;; [unrolled: 2-line block ×6, first 2 shown]
	s_waitcnt vmcnt(0)
	buffer_store_dword v9, v0, s[0:3], 0 offen
.LBB53_340:
	v_mov_b32_e32 v0, 0
	global_load_dword v1, v0, s[20:21] offset:204
	s_waitcnt vmcnt(0)
	v_add_nc_u32_e32 v1, -1, v1
	v_cmp_eq_u32_e32 vcc_lo, 51, v1
	s_cbranch_vccnz .LBB53_342
; %bb.341:
	v_lshlrev_b32_e32 v1, 4, v1
	v_mov_b32_e32 v2, s12
	v_add_nc_u32_e32 v1, 16, v1
	s_clause 0x7
	buffer_load_dword v3, v1, s[0:3], 0 offen
	buffer_load_dword v4, v1, s[0:3], 0 offen offset:4
	buffer_load_dword v5, v1, s[0:3], 0 offen offset:8
	;; [unrolled: 1-line block ×6, first 2 shown]
	buffer_load_dword v10, v2, s[0:3], 0 offen
	s_waitcnt vmcnt(7)
	buffer_store_dword v3, v2, s[0:3], 0 offen
	s_waitcnt vmcnt(6)
	buffer_store_dword v4, v2, s[0:3], 0 offen offset:4
	s_waitcnt vmcnt(5)
	buffer_store_dword v5, v2, s[0:3], 0 offen offset:8
	;; [unrolled: 2-line block ×6, first 2 shown]
	s_waitcnt vmcnt(0)
	buffer_store_dword v10, v1, s[0:3], 0 offen
.LBB53_342:
	global_load_dword v0, v0, s[20:21] offset:200
	s_waitcnt vmcnt(0)
	v_add_nc_u32_e32 v0, -1, v0
	v_cmp_eq_u32_e32 vcc_lo, 50, v0
	s_cbranch_vccnz .LBB53_344
; %bb.343:
	v_lshlrev_b32_e32 v0, 4, v0
	v_mov_b32_e32 v1, s13
	v_add_nc_u32_e32 v0, 16, v0
	s_clause 0x7
	buffer_load_dword v2, v0, s[0:3], 0 offen
	buffer_load_dword v3, v0, s[0:3], 0 offen offset:4
	buffer_load_dword v4, v0, s[0:3], 0 offen offset:8
	;; [unrolled: 1-line block ×6, first 2 shown]
	buffer_load_dword v9, v1, s[0:3], 0 offen
	s_waitcnt vmcnt(7)
	buffer_store_dword v2, v1, s[0:3], 0 offen
	s_waitcnt vmcnt(6)
	buffer_store_dword v3, v1, s[0:3], 0 offen offset:4
	s_waitcnt vmcnt(5)
	buffer_store_dword v4, v1, s[0:3], 0 offen offset:8
	;; [unrolled: 2-line block ×6, first 2 shown]
	s_waitcnt vmcnt(0)
	buffer_store_dword v9, v0, s[0:3], 0 offen
.LBB53_344:
	v_mov_b32_e32 v0, 0
	global_load_dword v1, v0, s[20:21] offset:196
	s_waitcnt vmcnt(0)
	v_add_nc_u32_e32 v1, -1, v1
	v_cmp_eq_u32_e32 vcc_lo, 49, v1
	s_cbranch_vccnz .LBB53_346
; %bb.345:
	v_lshlrev_b32_e32 v1, 4, v1
	v_mov_b32_e32 v2, s14
	v_add_nc_u32_e32 v1, 16, v1
	s_clause 0x7
	buffer_load_dword v3, v1, s[0:3], 0 offen
	buffer_load_dword v4, v1, s[0:3], 0 offen offset:4
	buffer_load_dword v5, v1, s[0:3], 0 offen offset:8
	;; [unrolled: 1-line block ×6, first 2 shown]
	buffer_load_dword v10, v2, s[0:3], 0 offen
	s_waitcnt vmcnt(7)
	buffer_store_dword v3, v2, s[0:3], 0 offen
	s_waitcnt vmcnt(6)
	buffer_store_dword v4, v2, s[0:3], 0 offen offset:4
	s_waitcnt vmcnt(5)
	buffer_store_dword v5, v2, s[0:3], 0 offen offset:8
	;; [unrolled: 2-line block ×6, first 2 shown]
	s_waitcnt vmcnt(0)
	buffer_store_dword v10, v1, s[0:3], 0 offen
.LBB53_346:
	global_load_dword v0, v0, s[20:21] offset:192
	s_waitcnt vmcnt(0)
	v_add_nc_u32_e32 v0, -1, v0
	v_cmp_eq_u32_e32 vcc_lo, 48, v0
	s_cbranch_vccnz .LBB53_348
; %bb.347:
	v_lshlrev_b32_e32 v0, 4, v0
	v_mov_b32_e32 v1, s15
	v_add_nc_u32_e32 v0, 16, v0
	s_clause 0x7
	buffer_load_dword v2, v0, s[0:3], 0 offen
	buffer_load_dword v3, v0, s[0:3], 0 offen offset:4
	buffer_load_dword v4, v0, s[0:3], 0 offen offset:8
	;; [unrolled: 1-line block ×6, first 2 shown]
	buffer_load_dword v9, v1, s[0:3], 0 offen
	s_waitcnt vmcnt(7)
	buffer_store_dword v2, v1, s[0:3], 0 offen
	s_waitcnt vmcnt(6)
	buffer_store_dword v3, v1, s[0:3], 0 offen offset:4
	s_waitcnt vmcnt(5)
	buffer_store_dword v4, v1, s[0:3], 0 offen offset:8
	;; [unrolled: 2-line block ×6, first 2 shown]
	s_waitcnt vmcnt(0)
	buffer_store_dword v9, v0, s[0:3], 0 offen
.LBB53_348:
	v_mov_b32_e32 v0, 0
	global_load_dword v1, v0, s[20:21] offset:188
	s_waitcnt vmcnt(0)
	v_add_nc_u32_e32 v1, -1, v1
	v_cmp_eq_u32_e32 vcc_lo, 47, v1
	s_cbranch_vccnz .LBB53_350
; %bb.349:
	v_lshlrev_b32_e32 v1, 4, v1
	v_mov_b32_e32 v2, s16
	v_add_nc_u32_e32 v1, 16, v1
	s_clause 0x7
	buffer_load_dword v3, v1, s[0:3], 0 offen
	buffer_load_dword v4, v1, s[0:3], 0 offen offset:4
	buffer_load_dword v5, v1, s[0:3], 0 offen offset:8
	;; [unrolled: 1-line block ×6, first 2 shown]
	buffer_load_dword v10, v2, s[0:3], 0 offen
	s_waitcnt vmcnt(7)
	buffer_store_dword v3, v2, s[0:3], 0 offen
	s_waitcnt vmcnt(6)
	buffer_store_dword v4, v2, s[0:3], 0 offen offset:4
	s_waitcnt vmcnt(5)
	buffer_store_dword v5, v2, s[0:3], 0 offen offset:8
	;; [unrolled: 2-line block ×6, first 2 shown]
	s_waitcnt vmcnt(0)
	buffer_store_dword v10, v1, s[0:3], 0 offen
.LBB53_350:
	global_load_dword v0, v0, s[20:21] offset:184
	s_waitcnt vmcnt(0)
	v_add_nc_u32_e32 v0, -1, v0
	v_cmp_eq_u32_e32 vcc_lo, 46, v0
	s_cbranch_vccnz .LBB53_352
; %bb.351:
	v_lshlrev_b32_e32 v0, 4, v0
	v_mov_b32_e32 v1, s17
	v_add_nc_u32_e32 v0, 16, v0
	s_clause 0x7
	buffer_load_dword v2, v0, s[0:3], 0 offen
	buffer_load_dword v3, v0, s[0:3], 0 offen offset:4
	buffer_load_dword v4, v0, s[0:3], 0 offen offset:8
	;; [unrolled: 1-line block ×6, first 2 shown]
	buffer_load_dword v9, v1, s[0:3], 0 offen
	s_waitcnt vmcnt(7)
	buffer_store_dword v2, v1, s[0:3], 0 offen
	s_waitcnt vmcnt(6)
	buffer_store_dword v3, v1, s[0:3], 0 offen offset:4
	s_waitcnt vmcnt(5)
	buffer_store_dword v4, v1, s[0:3], 0 offen offset:8
	;; [unrolled: 2-line block ×6, first 2 shown]
	s_waitcnt vmcnt(0)
	buffer_store_dword v9, v0, s[0:3], 0 offen
.LBB53_352:
	v_mov_b32_e32 v0, 0
	global_load_dword v1, v0, s[20:21] offset:180
	s_waitcnt vmcnt(0)
	v_add_nc_u32_e32 v1, -1, v1
	v_cmp_eq_u32_e32 vcc_lo, 45, v1
	s_cbranch_vccnz .LBB53_354
; %bb.353:
	v_lshlrev_b32_e32 v1, 4, v1
	v_mov_b32_e32 v2, s18
	v_add_nc_u32_e32 v1, 16, v1
	s_clause 0x7
	buffer_load_dword v3, v1, s[0:3], 0 offen
	buffer_load_dword v4, v1, s[0:3], 0 offen offset:4
	buffer_load_dword v5, v1, s[0:3], 0 offen offset:8
	;; [unrolled: 1-line block ×6, first 2 shown]
	buffer_load_dword v10, v2, s[0:3], 0 offen
	s_waitcnt vmcnt(7)
	buffer_store_dword v3, v2, s[0:3], 0 offen
	s_waitcnt vmcnt(6)
	buffer_store_dword v4, v2, s[0:3], 0 offen offset:4
	s_waitcnt vmcnt(5)
	buffer_store_dword v5, v2, s[0:3], 0 offen offset:8
	;; [unrolled: 2-line block ×6, first 2 shown]
	s_waitcnt vmcnt(0)
	buffer_store_dword v10, v1, s[0:3], 0 offen
.LBB53_354:
	global_load_dword v0, v0, s[20:21] offset:176
	s_waitcnt vmcnt(0)
	v_add_nc_u32_e32 v0, -1, v0
	v_cmp_eq_u32_e32 vcc_lo, 44, v0
	s_cbranch_vccnz .LBB53_356
; %bb.355:
	v_lshlrev_b32_e32 v0, 4, v0
	v_mov_b32_e32 v1, s19
	v_add_nc_u32_e32 v0, 16, v0
	s_clause 0x7
	buffer_load_dword v2, v0, s[0:3], 0 offen
	buffer_load_dword v3, v0, s[0:3], 0 offen offset:4
	buffer_load_dword v4, v0, s[0:3], 0 offen offset:8
	;; [unrolled: 1-line block ×6, first 2 shown]
	buffer_load_dword v9, v1, s[0:3], 0 offen
	s_waitcnt vmcnt(7)
	buffer_store_dword v2, v1, s[0:3], 0 offen
	s_waitcnt vmcnt(6)
	buffer_store_dword v3, v1, s[0:3], 0 offen offset:4
	s_waitcnt vmcnt(5)
	buffer_store_dword v4, v1, s[0:3], 0 offen offset:8
	;; [unrolled: 2-line block ×6, first 2 shown]
	s_waitcnt vmcnt(0)
	buffer_store_dword v9, v0, s[0:3], 0 offen
.LBB53_356:
	v_mov_b32_e32 v0, 0
	global_load_dword v1, v0, s[20:21] offset:172
	s_waitcnt vmcnt(0)
	v_add_nc_u32_e32 v1, -1, v1
	v_cmp_eq_u32_e32 vcc_lo, 43, v1
	s_cbranch_vccnz .LBB53_358
; %bb.357:
	v_lshlrev_b32_e32 v1, 4, v1
	v_mov_b32_e32 v2, s22
	v_add_nc_u32_e32 v1, 16, v1
	s_clause 0x7
	buffer_load_dword v3, v1, s[0:3], 0 offen
	buffer_load_dword v4, v1, s[0:3], 0 offen offset:4
	buffer_load_dword v5, v1, s[0:3], 0 offen offset:8
	;; [unrolled: 1-line block ×6, first 2 shown]
	buffer_load_dword v10, v2, s[0:3], 0 offen
	s_waitcnt vmcnt(7)
	buffer_store_dword v3, v2, s[0:3], 0 offen
	s_waitcnt vmcnt(6)
	buffer_store_dword v4, v2, s[0:3], 0 offen offset:4
	s_waitcnt vmcnt(5)
	buffer_store_dword v5, v2, s[0:3], 0 offen offset:8
	;; [unrolled: 2-line block ×6, first 2 shown]
	s_waitcnt vmcnt(0)
	buffer_store_dword v10, v1, s[0:3], 0 offen
.LBB53_358:
	global_load_dword v0, v0, s[20:21] offset:168
	s_waitcnt vmcnt(0)
	v_add_nc_u32_e32 v0, -1, v0
	v_cmp_eq_u32_e32 vcc_lo, 42, v0
	s_cbranch_vccnz .LBB53_360
; %bb.359:
	v_lshlrev_b32_e32 v0, 4, v0
	v_mov_b32_e32 v1, s23
	v_add_nc_u32_e32 v0, 16, v0
	s_clause 0x7
	buffer_load_dword v2, v0, s[0:3], 0 offen
	buffer_load_dword v3, v0, s[0:3], 0 offen offset:4
	buffer_load_dword v4, v0, s[0:3], 0 offen offset:8
	;; [unrolled: 1-line block ×6, first 2 shown]
	buffer_load_dword v9, v1, s[0:3], 0 offen
	s_waitcnt vmcnt(7)
	buffer_store_dword v2, v1, s[0:3], 0 offen
	s_waitcnt vmcnt(6)
	buffer_store_dword v3, v1, s[0:3], 0 offen offset:4
	s_waitcnt vmcnt(5)
	buffer_store_dword v4, v1, s[0:3], 0 offen offset:8
	;; [unrolled: 2-line block ×6, first 2 shown]
	s_waitcnt vmcnt(0)
	buffer_store_dword v9, v0, s[0:3], 0 offen
.LBB53_360:
	v_mov_b32_e32 v0, 0
	global_load_dword v1, v0, s[20:21] offset:164
	s_waitcnt vmcnt(0)
	v_add_nc_u32_e32 v1, -1, v1
	v_cmp_eq_u32_e32 vcc_lo, 41, v1
	s_cbranch_vccnz .LBB53_362
; %bb.361:
	v_lshlrev_b32_e32 v1, 4, v1
	v_mov_b32_e32 v2, s24
	v_add_nc_u32_e32 v1, 16, v1
	s_clause 0x7
	buffer_load_dword v3, v1, s[0:3], 0 offen
	buffer_load_dword v4, v1, s[0:3], 0 offen offset:4
	buffer_load_dword v5, v1, s[0:3], 0 offen offset:8
	;; [unrolled: 1-line block ×6, first 2 shown]
	buffer_load_dword v10, v2, s[0:3], 0 offen
	s_waitcnt vmcnt(7)
	buffer_store_dword v3, v2, s[0:3], 0 offen
	s_waitcnt vmcnt(6)
	buffer_store_dword v4, v2, s[0:3], 0 offen offset:4
	s_waitcnt vmcnt(5)
	buffer_store_dword v5, v2, s[0:3], 0 offen offset:8
	;; [unrolled: 2-line block ×6, first 2 shown]
	s_waitcnt vmcnt(0)
	buffer_store_dword v10, v1, s[0:3], 0 offen
.LBB53_362:
	global_load_dword v0, v0, s[20:21] offset:160
	s_waitcnt vmcnt(0)
	v_add_nc_u32_e32 v0, -1, v0
	v_cmp_eq_u32_e32 vcc_lo, 40, v0
	s_cbranch_vccnz .LBB53_364
; %bb.363:
	v_lshlrev_b32_e32 v0, 4, v0
	v_mov_b32_e32 v1, s25
	v_add_nc_u32_e32 v0, 16, v0
	s_clause 0x7
	buffer_load_dword v2, v0, s[0:3], 0 offen
	buffer_load_dword v3, v0, s[0:3], 0 offen offset:4
	buffer_load_dword v4, v0, s[0:3], 0 offen offset:8
	;; [unrolled: 1-line block ×6, first 2 shown]
	buffer_load_dword v9, v1, s[0:3], 0 offen
	s_waitcnt vmcnt(7)
	buffer_store_dword v2, v1, s[0:3], 0 offen
	s_waitcnt vmcnt(6)
	buffer_store_dword v3, v1, s[0:3], 0 offen offset:4
	s_waitcnt vmcnt(5)
	buffer_store_dword v4, v1, s[0:3], 0 offen offset:8
	;; [unrolled: 2-line block ×6, first 2 shown]
	s_waitcnt vmcnt(0)
	buffer_store_dword v9, v0, s[0:3], 0 offen
.LBB53_364:
	v_mov_b32_e32 v0, 0
	global_load_dword v1, v0, s[20:21] offset:156
	s_waitcnt vmcnt(0)
	v_add_nc_u32_e32 v1, -1, v1
	v_cmp_eq_u32_e32 vcc_lo, 39, v1
	s_cbranch_vccnz .LBB53_366
; %bb.365:
	v_lshlrev_b32_e32 v1, 4, v1
	v_mov_b32_e32 v2, s26
	v_add_nc_u32_e32 v1, 16, v1
	s_clause 0x7
	buffer_load_dword v3, v1, s[0:3], 0 offen
	buffer_load_dword v4, v1, s[0:3], 0 offen offset:4
	buffer_load_dword v5, v1, s[0:3], 0 offen offset:8
	;; [unrolled: 1-line block ×6, first 2 shown]
	buffer_load_dword v10, v2, s[0:3], 0 offen
	s_waitcnt vmcnt(7)
	buffer_store_dword v3, v2, s[0:3], 0 offen
	s_waitcnt vmcnt(6)
	buffer_store_dword v4, v2, s[0:3], 0 offen offset:4
	s_waitcnt vmcnt(5)
	buffer_store_dword v5, v2, s[0:3], 0 offen offset:8
	;; [unrolled: 2-line block ×6, first 2 shown]
	s_waitcnt vmcnt(0)
	buffer_store_dword v10, v1, s[0:3], 0 offen
.LBB53_366:
	global_load_dword v0, v0, s[20:21] offset:152
	s_waitcnt vmcnt(0)
	v_add_nc_u32_e32 v0, -1, v0
	v_cmp_eq_u32_e32 vcc_lo, 38, v0
	s_cbranch_vccnz .LBB53_368
; %bb.367:
	v_lshlrev_b32_e32 v0, 4, v0
	v_mov_b32_e32 v1, s27
	v_add_nc_u32_e32 v0, 16, v0
	s_clause 0x7
	buffer_load_dword v2, v0, s[0:3], 0 offen
	buffer_load_dword v3, v0, s[0:3], 0 offen offset:4
	buffer_load_dword v4, v0, s[0:3], 0 offen offset:8
	;; [unrolled: 1-line block ×6, first 2 shown]
	buffer_load_dword v9, v1, s[0:3], 0 offen
	s_waitcnt vmcnt(7)
	buffer_store_dword v2, v1, s[0:3], 0 offen
	s_waitcnt vmcnt(6)
	buffer_store_dword v3, v1, s[0:3], 0 offen offset:4
	s_waitcnt vmcnt(5)
	buffer_store_dword v4, v1, s[0:3], 0 offen offset:8
	;; [unrolled: 2-line block ×6, first 2 shown]
	s_waitcnt vmcnt(0)
	buffer_store_dword v9, v0, s[0:3], 0 offen
.LBB53_368:
	v_mov_b32_e32 v0, 0
	global_load_dword v1, v0, s[20:21] offset:148
	s_waitcnt vmcnt(0)
	v_add_nc_u32_e32 v1, -1, v1
	v_cmp_eq_u32_e32 vcc_lo, 37, v1
	s_cbranch_vccnz .LBB53_370
; %bb.369:
	v_lshlrev_b32_e32 v1, 4, v1
	v_mov_b32_e32 v2, s28
	v_add_nc_u32_e32 v1, 16, v1
	s_clause 0x7
	buffer_load_dword v3, v1, s[0:3], 0 offen
	buffer_load_dword v4, v1, s[0:3], 0 offen offset:4
	buffer_load_dword v5, v1, s[0:3], 0 offen offset:8
	;; [unrolled: 1-line block ×6, first 2 shown]
	buffer_load_dword v10, v2, s[0:3], 0 offen
	s_waitcnt vmcnt(7)
	buffer_store_dword v3, v2, s[0:3], 0 offen
	s_waitcnt vmcnt(6)
	buffer_store_dword v4, v2, s[0:3], 0 offen offset:4
	s_waitcnt vmcnt(5)
	buffer_store_dword v5, v2, s[0:3], 0 offen offset:8
	;; [unrolled: 2-line block ×6, first 2 shown]
	s_waitcnt vmcnt(0)
	buffer_store_dword v10, v1, s[0:3], 0 offen
.LBB53_370:
	global_load_dword v0, v0, s[20:21] offset:144
	s_waitcnt vmcnt(0)
	v_add_nc_u32_e32 v0, -1, v0
	v_cmp_eq_u32_e32 vcc_lo, 36, v0
	s_cbranch_vccnz .LBB53_372
; %bb.371:
	v_lshlrev_b32_e32 v0, 4, v0
	v_mov_b32_e32 v1, s29
	v_add_nc_u32_e32 v0, 16, v0
	s_clause 0x7
	buffer_load_dword v2, v0, s[0:3], 0 offen
	buffer_load_dword v3, v0, s[0:3], 0 offen offset:4
	buffer_load_dword v4, v0, s[0:3], 0 offen offset:8
	;; [unrolled: 1-line block ×6, first 2 shown]
	buffer_load_dword v9, v1, s[0:3], 0 offen
	s_waitcnt vmcnt(7)
	buffer_store_dword v2, v1, s[0:3], 0 offen
	s_waitcnt vmcnt(6)
	buffer_store_dword v3, v1, s[0:3], 0 offen offset:4
	s_waitcnt vmcnt(5)
	buffer_store_dword v4, v1, s[0:3], 0 offen offset:8
	;; [unrolled: 2-line block ×6, first 2 shown]
	s_waitcnt vmcnt(0)
	buffer_store_dword v9, v0, s[0:3], 0 offen
.LBB53_372:
	v_mov_b32_e32 v0, 0
	global_load_dword v1, v0, s[20:21] offset:140
	s_waitcnt vmcnt(0)
	v_add_nc_u32_e32 v1, -1, v1
	v_cmp_eq_u32_e32 vcc_lo, 35, v1
	s_cbranch_vccnz .LBB53_374
; %bb.373:
	v_lshlrev_b32_e32 v1, 4, v1
	v_mov_b32_e32 v2, s30
	v_add_nc_u32_e32 v1, 16, v1
	s_clause 0x7
	buffer_load_dword v3, v1, s[0:3], 0 offen
	buffer_load_dword v4, v1, s[0:3], 0 offen offset:4
	buffer_load_dword v5, v1, s[0:3], 0 offen offset:8
	;; [unrolled: 1-line block ×6, first 2 shown]
	buffer_load_dword v10, v2, s[0:3], 0 offen
	s_waitcnt vmcnt(7)
	buffer_store_dword v3, v2, s[0:3], 0 offen
	s_waitcnt vmcnt(6)
	buffer_store_dword v4, v2, s[0:3], 0 offen offset:4
	s_waitcnt vmcnt(5)
	buffer_store_dword v5, v2, s[0:3], 0 offen offset:8
	;; [unrolled: 2-line block ×6, first 2 shown]
	s_waitcnt vmcnt(0)
	buffer_store_dword v10, v1, s[0:3], 0 offen
.LBB53_374:
	global_load_dword v0, v0, s[20:21] offset:136
	s_waitcnt vmcnt(0)
	v_add_nc_u32_e32 v0, -1, v0
	v_cmp_eq_u32_e32 vcc_lo, 34, v0
	s_cbranch_vccnz .LBB53_376
; %bb.375:
	v_lshlrev_b32_e32 v0, 4, v0
	v_mov_b32_e32 v1, s31
	v_add_nc_u32_e32 v0, 16, v0
	s_clause 0x7
	buffer_load_dword v2, v0, s[0:3], 0 offen
	buffer_load_dword v3, v0, s[0:3], 0 offen offset:4
	buffer_load_dword v4, v0, s[0:3], 0 offen offset:8
	;; [unrolled: 1-line block ×6, first 2 shown]
	buffer_load_dword v9, v1, s[0:3], 0 offen
	s_waitcnt vmcnt(7)
	buffer_store_dword v2, v1, s[0:3], 0 offen
	s_waitcnt vmcnt(6)
	buffer_store_dword v3, v1, s[0:3], 0 offen offset:4
	s_waitcnt vmcnt(5)
	buffer_store_dword v4, v1, s[0:3], 0 offen offset:8
	;; [unrolled: 2-line block ×6, first 2 shown]
	s_waitcnt vmcnt(0)
	buffer_store_dword v9, v0, s[0:3], 0 offen
.LBB53_376:
	v_mov_b32_e32 v0, 0
	global_load_dword v1, v0, s[20:21] offset:132
	s_waitcnt vmcnt(0)
	v_add_nc_u32_e32 v1, -1, v1
	v_cmp_eq_u32_e32 vcc_lo, 33, v1
	s_cbranch_vccnz .LBB53_378
; %bb.377:
	v_lshlrev_b32_e32 v1, 4, v1
	v_mov_b32_e32 v2, s33
	v_add_nc_u32_e32 v1, 16, v1
	s_clause 0x7
	buffer_load_dword v3, v1, s[0:3], 0 offen
	buffer_load_dword v4, v1, s[0:3], 0 offen offset:4
	buffer_load_dword v5, v1, s[0:3], 0 offen offset:8
	;; [unrolled: 1-line block ×6, first 2 shown]
	buffer_load_dword v10, v2, s[0:3], 0 offen
	s_waitcnt vmcnt(7)
	buffer_store_dword v3, v2, s[0:3], 0 offen
	s_waitcnt vmcnt(6)
	buffer_store_dword v4, v2, s[0:3], 0 offen offset:4
	s_waitcnt vmcnt(5)
	buffer_store_dword v5, v2, s[0:3], 0 offen offset:8
	;; [unrolled: 2-line block ×6, first 2 shown]
	s_waitcnt vmcnt(0)
	buffer_store_dword v10, v1, s[0:3], 0 offen
.LBB53_378:
	global_load_dword v0, v0, s[20:21] offset:128
	s_waitcnt vmcnt(0)
	v_add_nc_u32_e32 v0, -1, v0
	v_cmp_eq_u32_e32 vcc_lo, 32, v0
	s_cbranch_vccnz .LBB53_380
; %bb.379:
	v_lshlrev_b32_e32 v0, 4, v0
	v_mov_b32_e32 v1, s34
	v_add_nc_u32_e32 v0, 16, v0
	s_clause 0x7
	buffer_load_dword v2, v0, s[0:3], 0 offen
	buffer_load_dword v3, v0, s[0:3], 0 offen offset:4
	buffer_load_dword v4, v0, s[0:3], 0 offen offset:8
	;; [unrolled: 1-line block ×6, first 2 shown]
	buffer_load_dword v9, v1, s[0:3], 0 offen
	s_waitcnt vmcnt(7)
	buffer_store_dword v2, v1, s[0:3], 0 offen
	s_waitcnt vmcnt(6)
	buffer_store_dword v3, v1, s[0:3], 0 offen offset:4
	s_waitcnt vmcnt(5)
	buffer_store_dword v4, v1, s[0:3], 0 offen offset:8
	;; [unrolled: 2-line block ×6, first 2 shown]
	s_waitcnt vmcnt(0)
	buffer_store_dword v9, v0, s[0:3], 0 offen
.LBB53_380:
	v_mov_b32_e32 v0, 0
	global_load_dword v1, v0, s[20:21] offset:124
	s_waitcnt vmcnt(0)
	v_add_nc_u32_e32 v1, -1, v1
	v_cmp_eq_u32_e32 vcc_lo, 31, v1
	s_cbranch_vccnz .LBB53_382
; %bb.381:
	v_lshlrev_b32_e32 v1, 4, v1
	v_mov_b32_e32 v2, s35
	v_add_nc_u32_e32 v1, 16, v1
	s_clause 0x7
	buffer_load_dword v3, v1, s[0:3], 0 offen
	buffer_load_dword v4, v1, s[0:3], 0 offen offset:4
	buffer_load_dword v5, v1, s[0:3], 0 offen offset:8
	;; [unrolled: 1-line block ×6, first 2 shown]
	buffer_load_dword v10, v2, s[0:3], 0 offen
	s_waitcnt vmcnt(7)
	buffer_store_dword v3, v2, s[0:3], 0 offen
	s_waitcnt vmcnt(6)
	buffer_store_dword v4, v2, s[0:3], 0 offen offset:4
	s_waitcnt vmcnt(5)
	buffer_store_dword v5, v2, s[0:3], 0 offen offset:8
	;; [unrolled: 2-line block ×6, first 2 shown]
	s_waitcnt vmcnt(0)
	buffer_store_dword v10, v1, s[0:3], 0 offen
.LBB53_382:
	global_load_dword v0, v0, s[20:21] offset:120
	s_waitcnt vmcnt(0)
	v_add_nc_u32_e32 v0, -1, v0
	v_cmp_eq_u32_e32 vcc_lo, 30, v0
	s_cbranch_vccnz .LBB53_384
; %bb.383:
	v_lshlrev_b32_e32 v0, 4, v0
	v_mov_b32_e32 v1, s36
	v_add_nc_u32_e32 v0, 16, v0
	s_clause 0x7
	buffer_load_dword v2, v0, s[0:3], 0 offen
	buffer_load_dword v3, v0, s[0:3], 0 offen offset:4
	buffer_load_dword v4, v0, s[0:3], 0 offen offset:8
	;; [unrolled: 1-line block ×6, first 2 shown]
	buffer_load_dword v9, v1, s[0:3], 0 offen
	s_waitcnt vmcnt(7)
	buffer_store_dword v2, v1, s[0:3], 0 offen
	s_waitcnt vmcnt(6)
	buffer_store_dword v3, v1, s[0:3], 0 offen offset:4
	s_waitcnt vmcnt(5)
	buffer_store_dword v4, v1, s[0:3], 0 offen offset:8
	;; [unrolled: 2-line block ×6, first 2 shown]
	s_waitcnt vmcnt(0)
	buffer_store_dword v9, v0, s[0:3], 0 offen
.LBB53_384:
	v_mov_b32_e32 v0, 0
	global_load_dword v1, v0, s[20:21] offset:116
	s_waitcnt vmcnt(0)
	v_add_nc_u32_e32 v1, -1, v1
	v_cmp_eq_u32_e32 vcc_lo, 29, v1
	s_cbranch_vccnz .LBB53_386
; %bb.385:
	v_lshlrev_b32_e32 v1, 4, v1
	v_mov_b32_e32 v2, s37
	v_add_nc_u32_e32 v1, 16, v1
	s_clause 0x7
	buffer_load_dword v3, v1, s[0:3], 0 offen
	buffer_load_dword v4, v1, s[0:3], 0 offen offset:4
	buffer_load_dword v5, v1, s[0:3], 0 offen offset:8
	;; [unrolled: 1-line block ×6, first 2 shown]
	buffer_load_dword v10, v2, s[0:3], 0 offen
	s_waitcnt vmcnt(7)
	buffer_store_dword v3, v2, s[0:3], 0 offen
	s_waitcnt vmcnt(6)
	buffer_store_dword v4, v2, s[0:3], 0 offen offset:4
	s_waitcnt vmcnt(5)
	buffer_store_dword v5, v2, s[0:3], 0 offen offset:8
	;; [unrolled: 2-line block ×6, first 2 shown]
	s_waitcnt vmcnt(0)
	buffer_store_dword v10, v1, s[0:3], 0 offen
.LBB53_386:
	global_load_dword v0, v0, s[20:21] offset:112
	s_waitcnt vmcnt(0)
	v_add_nc_u32_e32 v0, -1, v0
	v_cmp_eq_u32_e32 vcc_lo, 28, v0
	s_cbranch_vccnz .LBB53_388
; %bb.387:
	v_lshlrev_b32_e32 v0, 4, v0
	v_mov_b32_e32 v1, s38
	v_add_nc_u32_e32 v0, 16, v0
	s_clause 0x7
	buffer_load_dword v2, v0, s[0:3], 0 offen
	buffer_load_dword v3, v0, s[0:3], 0 offen offset:4
	buffer_load_dword v4, v0, s[0:3], 0 offen offset:8
	;; [unrolled: 1-line block ×6, first 2 shown]
	buffer_load_dword v9, v1, s[0:3], 0 offen
	s_waitcnt vmcnt(7)
	buffer_store_dword v2, v1, s[0:3], 0 offen
	s_waitcnt vmcnt(6)
	buffer_store_dword v3, v1, s[0:3], 0 offen offset:4
	s_waitcnt vmcnt(5)
	buffer_store_dword v4, v1, s[0:3], 0 offen offset:8
	;; [unrolled: 2-line block ×6, first 2 shown]
	s_waitcnt vmcnt(0)
	buffer_store_dword v9, v0, s[0:3], 0 offen
.LBB53_388:
	v_mov_b32_e32 v0, 0
	global_load_dword v1, v0, s[20:21] offset:108
	s_waitcnt vmcnt(0)
	v_add_nc_u32_e32 v1, -1, v1
	v_cmp_eq_u32_e32 vcc_lo, 27, v1
	s_cbranch_vccnz .LBB53_390
; %bb.389:
	v_lshlrev_b32_e32 v1, 4, v1
	v_mov_b32_e32 v2, s39
	v_add_nc_u32_e32 v1, 16, v1
	s_clause 0x7
	buffer_load_dword v3, v1, s[0:3], 0 offen
	buffer_load_dword v4, v1, s[0:3], 0 offen offset:4
	buffer_load_dword v5, v1, s[0:3], 0 offen offset:8
	;; [unrolled: 1-line block ×6, first 2 shown]
	buffer_load_dword v10, v2, s[0:3], 0 offen
	s_waitcnt vmcnt(7)
	buffer_store_dword v3, v2, s[0:3], 0 offen
	s_waitcnt vmcnt(6)
	buffer_store_dword v4, v2, s[0:3], 0 offen offset:4
	s_waitcnt vmcnt(5)
	buffer_store_dword v5, v2, s[0:3], 0 offen offset:8
	;; [unrolled: 2-line block ×6, first 2 shown]
	s_waitcnt vmcnt(0)
	buffer_store_dword v10, v1, s[0:3], 0 offen
.LBB53_390:
	global_load_dword v0, v0, s[20:21] offset:104
	s_waitcnt vmcnt(0)
	v_add_nc_u32_e32 v0, -1, v0
	v_cmp_eq_u32_e32 vcc_lo, 26, v0
	s_cbranch_vccnz .LBB53_392
; %bb.391:
	v_lshlrev_b32_e32 v0, 4, v0
	v_mov_b32_e32 v1, s40
	v_add_nc_u32_e32 v0, 16, v0
	s_clause 0x7
	buffer_load_dword v2, v0, s[0:3], 0 offen
	buffer_load_dword v3, v0, s[0:3], 0 offen offset:4
	buffer_load_dword v4, v0, s[0:3], 0 offen offset:8
	;; [unrolled: 1-line block ×6, first 2 shown]
	buffer_load_dword v9, v1, s[0:3], 0 offen
	s_waitcnt vmcnt(7)
	buffer_store_dword v2, v1, s[0:3], 0 offen
	s_waitcnt vmcnt(6)
	buffer_store_dword v3, v1, s[0:3], 0 offen offset:4
	s_waitcnt vmcnt(5)
	buffer_store_dword v4, v1, s[0:3], 0 offen offset:8
	;; [unrolled: 2-line block ×6, first 2 shown]
	s_waitcnt vmcnt(0)
	buffer_store_dword v9, v0, s[0:3], 0 offen
.LBB53_392:
	v_mov_b32_e32 v0, 0
	global_load_dword v1, v0, s[20:21] offset:100
	s_waitcnt vmcnt(0)
	v_add_nc_u32_e32 v1, -1, v1
	v_cmp_eq_u32_e32 vcc_lo, 25, v1
	s_cbranch_vccnz .LBB53_394
; %bb.393:
	v_lshlrev_b32_e32 v1, 4, v1
	v_mov_b32_e32 v2, s41
	v_add_nc_u32_e32 v1, 16, v1
	s_clause 0x7
	buffer_load_dword v3, v1, s[0:3], 0 offen
	buffer_load_dword v4, v1, s[0:3], 0 offen offset:4
	buffer_load_dword v5, v1, s[0:3], 0 offen offset:8
	;; [unrolled: 1-line block ×6, first 2 shown]
	buffer_load_dword v10, v2, s[0:3], 0 offen
	s_waitcnt vmcnt(7)
	buffer_store_dword v3, v2, s[0:3], 0 offen
	s_waitcnt vmcnt(6)
	buffer_store_dword v4, v2, s[0:3], 0 offen offset:4
	s_waitcnt vmcnt(5)
	buffer_store_dword v5, v2, s[0:3], 0 offen offset:8
	;; [unrolled: 2-line block ×6, first 2 shown]
	s_waitcnt vmcnt(0)
	buffer_store_dword v10, v1, s[0:3], 0 offen
.LBB53_394:
	global_load_dword v0, v0, s[20:21] offset:96
	s_waitcnt vmcnt(0)
	v_add_nc_u32_e32 v0, -1, v0
	v_cmp_eq_u32_e32 vcc_lo, 24, v0
	s_cbranch_vccnz .LBB53_396
; %bb.395:
	v_lshlrev_b32_e32 v0, 4, v0
	v_mov_b32_e32 v1, s42
	v_add_nc_u32_e32 v0, 16, v0
	s_clause 0x7
	buffer_load_dword v2, v0, s[0:3], 0 offen
	buffer_load_dword v3, v0, s[0:3], 0 offen offset:4
	buffer_load_dword v4, v0, s[0:3], 0 offen offset:8
	;; [unrolled: 1-line block ×6, first 2 shown]
	buffer_load_dword v9, v1, s[0:3], 0 offen
	s_waitcnt vmcnt(7)
	buffer_store_dword v2, v1, s[0:3], 0 offen
	s_waitcnt vmcnt(6)
	buffer_store_dword v3, v1, s[0:3], 0 offen offset:4
	s_waitcnt vmcnt(5)
	buffer_store_dword v4, v1, s[0:3], 0 offen offset:8
	;; [unrolled: 2-line block ×6, first 2 shown]
	s_waitcnt vmcnt(0)
	buffer_store_dword v9, v0, s[0:3], 0 offen
.LBB53_396:
	v_mov_b32_e32 v0, 0
	global_load_dword v1, v0, s[20:21] offset:92
	s_waitcnt vmcnt(0)
	v_add_nc_u32_e32 v1, -1, v1
	v_cmp_eq_u32_e32 vcc_lo, 23, v1
	s_cbranch_vccnz .LBB53_398
; %bb.397:
	v_lshlrev_b32_e32 v1, 4, v1
	v_mov_b32_e32 v2, s43
	v_add_nc_u32_e32 v1, 16, v1
	s_clause 0x7
	buffer_load_dword v3, v1, s[0:3], 0 offen
	buffer_load_dword v4, v1, s[0:3], 0 offen offset:4
	buffer_load_dword v5, v1, s[0:3], 0 offen offset:8
	;; [unrolled: 1-line block ×6, first 2 shown]
	buffer_load_dword v10, v2, s[0:3], 0 offen
	s_waitcnt vmcnt(7)
	buffer_store_dword v3, v2, s[0:3], 0 offen
	s_waitcnt vmcnt(6)
	buffer_store_dword v4, v2, s[0:3], 0 offen offset:4
	s_waitcnt vmcnt(5)
	buffer_store_dword v5, v2, s[0:3], 0 offen offset:8
	;; [unrolled: 2-line block ×6, first 2 shown]
	s_waitcnt vmcnt(0)
	buffer_store_dword v10, v1, s[0:3], 0 offen
.LBB53_398:
	global_load_dword v0, v0, s[20:21] offset:88
	s_waitcnt vmcnt(0)
	v_add_nc_u32_e32 v0, -1, v0
	v_cmp_eq_u32_e32 vcc_lo, 22, v0
	s_cbranch_vccnz .LBB53_400
; %bb.399:
	v_lshlrev_b32_e32 v0, 4, v0
	v_mov_b32_e32 v1, s44
	v_add_nc_u32_e32 v0, 16, v0
	s_clause 0x7
	buffer_load_dword v2, v0, s[0:3], 0 offen
	buffer_load_dword v3, v0, s[0:3], 0 offen offset:4
	buffer_load_dword v4, v0, s[0:3], 0 offen offset:8
	;; [unrolled: 1-line block ×6, first 2 shown]
	buffer_load_dword v9, v1, s[0:3], 0 offen
	s_waitcnt vmcnt(7)
	buffer_store_dword v2, v1, s[0:3], 0 offen
	s_waitcnt vmcnt(6)
	buffer_store_dword v3, v1, s[0:3], 0 offen offset:4
	s_waitcnt vmcnt(5)
	buffer_store_dword v4, v1, s[0:3], 0 offen offset:8
	s_waitcnt vmcnt(4)
	buffer_store_dword v5, v1, s[0:3], 0 offen offset:12
	s_waitcnt vmcnt(3)
	buffer_store_dword v6, v0, s[0:3], 0 offen offset:12
	s_waitcnt vmcnt(2)
	buffer_store_dword v7, v0, s[0:3], 0 offen offset:8
	s_waitcnt vmcnt(1)
	buffer_store_dword v8, v0, s[0:3], 0 offen offset:4
	s_waitcnt vmcnt(0)
	buffer_store_dword v9, v0, s[0:3], 0 offen
.LBB53_400:
	v_mov_b32_e32 v0, 0
	global_load_dword v1, v0, s[20:21] offset:84
	s_waitcnt vmcnt(0)
	v_add_nc_u32_e32 v1, -1, v1
	v_cmp_eq_u32_e32 vcc_lo, 21, v1
	s_cbranch_vccnz .LBB53_402
; %bb.401:
	v_lshlrev_b32_e32 v1, 4, v1
	v_mov_b32_e32 v2, s45
	v_add_nc_u32_e32 v1, 16, v1
	s_clause 0x7
	buffer_load_dword v3, v1, s[0:3], 0 offen
	buffer_load_dword v4, v1, s[0:3], 0 offen offset:4
	buffer_load_dword v5, v1, s[0:3], 0 offen offset:8
	;; [unrolled: 1-line block ×6, first 2 shown]
	buffer_load_dword v10, v2, s[0:3], 0 offen
	s_waitcnt vmcnt(7)
	buffer_store_dword v3, v2, s[0:3], 0 offen
	s_waitcnt vmcnt(6)
	buffer_store_dword v4, v2, s[0:3], 0 offen offset:4
	s_waitcnt vmcnt(5)
	buffer_store_dword v5, v2, s[0:3], 0 offen offset:8
	;; [unrolled: 2-line block ×6, first 2 shown]
	s_waitcnt vmcnt(0)
	buffer_store_dword v10, v1, s[0:3], 0 offen
.LBB53_402:
	global_load_dword v0, v0, s[20:21] offset:80
	s_waitcnt vmcnt(0)
	v_add_nc_u32_e32 v0, -1, v0
	v_cmp_eq_u32_e32 vcc_lo, 20, v0
	s_cbranch_vccnz .LBB53_404
; %bb.403:
	v_lshlrev_b32_e32 v0, 4, v0
	v_mov_b32_e32 v1, s46
	v_add_nc_u32_e32 v0, 16, v0
	s_clause 0x7
	buffer_load_dword v2, v0, s[0:3], 0 offen
	buffer_load_dword v3, v0, s[0:3], 0 offen offset:4
	buffer_load_dword v4, v0, s[0:3], 0 offen offset:8
	buffer_load_dword v5, v0, s[0:3], 0 offen offset:12
	buffer_load_dword v6, v1, s[0:3], 0 offen offset:12
	buffer_load_dword v7, v1, s[0:3], 0 offen offset:8
	buffer_load_dword v8, v1, s[0:3], 0 offen offset:4
	buffer_load_dword v9, v1, s[0:3], 0 offen
	s_waitcnt vmcnt(7)
	buffer_store_dword v2, v1, s[0:3], 0 offen
	s_waitcnt vmcnt(6)
	buffer_store_dword v3, v1, s[0:3], 0 offen offset:4
	s_waitcnt vmcnt(5)
	buffer_store_dword v4, v1, s[0:3], 0 offen offset:8
	;; [unrolled: 2-line block ×6, first 2 shown]
	s_waitcnt vmcnt(0)
	buffer_store_dword v9, v0, s[0:3], 0 offen
.LBB53_404:
	v_mov_b32_e32 v0, 0
	global_load_dword v1, v0, s[20:21] offset:76
	s_waitcnt vmcnt(0)
	v_add_nc_u32_e32 v1, -1, v1
	v_cmp_eq_u32_e32 vcc_lo, 19, v1
	s_cbranch_vccnz .LBB53_406
; %bb.405:
	v_lshlrev_b32_e32 v1, 4, v1
	v_mov_b32_e32 v2, s47
	v_add_nc_u32_e32 v1, 16, v1
	s_clause 0x7
	buffer_load_dword v3, v1, s[0:3], 0 offen
	buffer_load_dword v4, v1, s[0:3], 0 offen offset:4
	buffer_load_dword v5, v1, s[0:3], 0 offen offset:8
	;; [unrolled: 1-line block ×6, first 2 shown]
	buffer_load_dword v10, v2, s[0:3], 0 offen
	s_waitcnt vmcnt(7)
	buffer_store_dword v3, v2, s[0:3], 0 offen
	s_waitcnt vmcnt(6)
	buffer_store_dword v4, v2, s[0:3], 0 offen offset:4
	s_waitcnt vmcnt(5)
	buffer_store_dword v5, v2, s[0:3], 0 offen offset:8
	;; [unrolled: 2-line block ×6, first 2 shown]
	s_waitcnt vmcnt(0)
	buffer_store_dword v10, v1, s[0:3], 0 offen
.LBB53_406:
	global_load_dword v0, v0, s[20:21] offset:72
	s_waitcnt vmcnt(0)
	v_add_nc_u32_e32 v0, -1, v0
	v_cmp_eq_u32_e32 vcc_lo, 18, v0
	s_cbranch_vccnz .LBB53_408
; %bb.407:
	v_lshlrev_b32_e32 v0, 4, v0
	v_mov_b32_e32 v1, s48
	v_add_nc_u32_e32 v0, 16, v0
	s_clause 0x7
	buffer_load_dword v2, v0, s[0:3], 0 offen
	buffer_load_dword v3, v0, s[0:3], 0 offen offset:4
	buffer_load_dword v4, v0, s[0:3], 0 offen offset:8
	;; [unrolled: 1-line block ×6, first 2 shown]
	buffer_load_dword v9, v1, s[0:3], 0 offen
	s_waitcnt vmcnt(7)
	buffer_store_dword v2, v1, s[0:3], 0 offen
	s_waitcnt vmcnt(6)
	buffer_store_dword v3, v1, s[0:3], 0 offen offset:4
	s_waitcnt vmcnt(5)
	buffer_store_dword v4, v1, s[0:3], 0 offen offset:8
	;; [unrolled: 2-line block ×6, first 2 shown]
	s_waitcnt vmcnt(0)
	buffer_store_dword v9, v0, s[0:3], 0 offen
.LBB53_408:
	v_mov_b32_e32 v0, 0
	global_load_dword v1, v0, s[20:21] offset:68
	s_waitcnt vmcnt(0)
	v_add_nc_u32_e32 v1, -1, v1
	v_cmp_eq_u32_e32 vcc_lo, 17, v1
	s_cbranch_vccnz .LBB53_410
; %bb.409:
	v_lshlrev_b32_e32 v1, 4, v1
	v_mov_b32_e32 v2, s49
	v_add_nc_u32_e32 v1, 16, v1
	s_clause 0x7
	buffer_load_dword v3, v1, s[0:3], 0 offen
	buffer_load_dword v4, v1, s[0:3], 0 offen offset:4
	buffer_load_dword v5, v1, s[0:3], 0 offen offset:8
	;; [unrolled: 1-line block ×6, first 2 shown]
	buffer_load_dword v10, v2, s[0:3], 0 offen
	s_waitcnt vmcnt(7)
	buffer_store_dword v3, v2, s[0:3], 0 offen
	s_waitcnt vmcnt(6)
	buffer_store_dword v4, v2, s[0:3], 0 offen offset:4
	s_waitcnt vmcnt(5)
	buffer_store_dword v5, v2, s[0:3], 0 offen offset:8
	;; [unrolled: 2-line block ×6, first 2 shown]
	s_waitcnt vmcnt(0)
	buffer_store_dword v10, v1, s[0:3], 0 offen
.LBB53_410:
	global_load_dword v0, v0, s[20:21] offset:64
	s_waitcnt vmcnt(0)
	v_add_nc_u32_e32 v0, -1, v0
	v_cmp_eq_u32_e32 vcc_lo, 16, v0
	s_cbranch_vccnz .LBB53_412
; %bb.411:
	v_lshlrev_b32_e32 v0, 4, v0
	v_mov_b32_e32 v1, s50
	v_add_nc_u32_e32 v0, 16, v0
	s_clause 0x7
	buffer_load_dword v2, v0, s[0:3], 0 offen
	buffer_load_dword v3, v0, s[0:3], 0 offen offset:4
	buffer_load_dword v4, v0, s[0:3], 0 offen offset:8
	;; [unrolled: 1-line block ×6, first 2 shown]
	buffer_load_dword v9, v1, s[0:3], 0 offen
	s_waitcnt vmcnt(7)
	buffer_store_dword v2, v1, s[0:3], 0 offen
	s_waitcnt vmcnt(6)
	buffer_store_dword v3, v1, s[0:3], 0 offen offset:4
	s_waitcnt vmcnt(5)
	buffer_store_dword v4, v1, s[0:3], 0 offen offset:8
	;; [unrolled: 2-line block ×6, first 2 shown]
	s_waitcnt vmcnt(0)
	buffer_store_dword v9, v0, s[0:3], 0 offen
.LBB53_412:
	v_mov_b32_e32 v0, 0
	global_load_dword v1, v0, s[20:21] offset:60
	s_waitcnt vmcnt(0)
	v_add_nc_u32_e32 v1, -1, v1
	v_cmp_eq_u32_e32 vcc_lo, 15, v1
	s_cbranch_vccnz .LBB53_414
; %bb.413:
	v_lshlrev_b32_e32 v1, 4, v1
	v_mov_b32_e32 v2, s51
	v_add_nc_u32_e32 v1, 16, v1
	s_clause 0x7
	buffer_load_dword v3, v1, s[0:3], 0 offen
	buffer_load_dword v4, v1, s[0:3], 0 offen offset:4
	buffer_load_dword v5, v1, s[0:3], 0 offen offset:8
	;; [unrolled: 1-line block ×6, first 2 shown]
	buffer_load_dword v10, v2, s[0:3], 0 offen
	s_waitcnt vmcnt(7)
	buffer_store_dword v3, v2, s[0:3], 0 offen
	s_waitcnt vmcnt(6)
	buffer_store_dword v4, v2, s[0:3], 0 offen offset:4
	s_waitcnt vmcnt(5)
	buffer_store_dword v5, v2, s[0:3], 0 offen offset:8
	;; [unrolled: 2-line block ×6, first 2 shown]
	s_waitcnt vmcnt(0)
	buffer_store_dword v10, v1, s[0:3], 0 offen
.LBB53_414:
	global_load_dword v0, v0, s[20:21] offset:56
	s_waitcnt vmcnt(0)
	v_add_nc_u32_e32 v0, -1, v0
	v_cmp_eq_u32_e32 vcc_lo, 14, v0
	s_cbranch_vccnz .LBB53_416
; %bb.415:
	v_lshlrev_b32_e32 v0, 4, v0
	v_mov_b32_e32 v1, s52
	v_add_nc_u32_e32 v0, 16, v0
	s_clause 0x7
	buffer_load_dword v2, v0, s[0:3], 0 offen
	buffer_load_dword v3, v0, s[0:3], 0 offen offset:4
	buffer_load_dword v4, v0, s[0:3], 0 offen offset:8
	;; [unrolled: 1-line block ×6, first 2 shown]
	buffer_load_dword v9, v1, s[0:3], 0 offen
	s_waitcnt vmcnt(7)
	buffer_store_dword v2, v1, s[0:3], 0 offen
	s_waitcnt vmcnt(6)
	buffer_store_dword v3, v1, s[0:3], 0 offen offset:4
	s_waitcnt vmcnt(5)
	buffer_store_dword v4, v1, s[0:3], 0 offen offset:8
	;; [unrolled: 2-line block ×6, first 2 shown]
	s_waitcnt vmcnt(0)
	buffer_store_dword v9, v0, s[0:3], 0 offen
.LBB53_416:
	v_mov_b32_e32 v0, 0
	global_load_dword v1, v0, s[20:21] offset:52
	s_waitcnt vmcnt(0)
	v_add_nc_u32_e32 v1, -1, v1
	v_cmp_eq_u32_e32 vcc_lo, 13, v1
	s_cbranch_vccnz .LBB53_418
; %bb.417:
	v_lshlrev_b32_e32 v1, 4, v1
	v_mov_b32_e32 v2, s53
	v_add_nc_u32_e32 v1, 16, v1
	s_clause 0x7
	buffer_load_dword v3, v1, s[0:3], 0 offen
	buffer_load_dword v4, v1, s[0:3], 0 offen offset:4
	buffer_load_dword v5, v1, s[0:3], 0 offen offset:8
	;; [unrolled: 1-line block ×6, first 2 shown]
	buffer_load_dword v10, v2, s[0:3], 0 offen
	s_waitcnt vmcnt(7)
	buffer_store_dword v3, v2, s[0:3], 0 offen
	s_waitcnt vmcnt(6)
	buffer_store_dword v4, v2, s[0:3], 0 offen offset:4
	s_waitcnt vmcnt(5)
	buffer_store_dword v5, v2, s[0:3], 0 offen offset:8
	;; [unrolled: 2-line block ×6, first 2 shown]
	s_waitcnt vmcnt(0)
	buffer_store_dword v10, v1, s[0:3], 0 offen
.LBB53_418:
	global_load_dword v0, v0, s[20:21] offset:48
	s_waitcnt vmcnt(0)
	v_add_nc_u32_e32 v0, -1, v0
	v_cmp_eq_u32_e32 vcc_lo, 12, v0
	s_cbranch_vccnz .LBB53_420
; %bb.419:
	v_lshlrev_b32_e32 v0, 4, v0
	v_mov_b32_e32 v1, s54
	v_add_nc_u32_e32 v0, 16, v0
	s_clause 0x7
	buffer_load_dword v2, v0, s[0:3], 0 offen
	buffer_load_dword v3, v0, s[0:3], 0 offen offset:4
	buffer_load_dword v4, v0, s[0:3], 0 offen offset:8
	;; [unrolled: 1-line block ×6, first 2 shown]
	buffer_load_dword v9, v1, s[0:3], 0 offen
	s_waitcnt vmcnt(7)
	buffer_store_dword v2, v1, s[0:3], 0 offen
	s_waitcnt vmcnt(6)
	buffer_store_dword v3, v1, s[0:3], 0 offen offset:4
	s_waitcnt vmcnt(5)
	buffer_store_dword v4, v1, s[0:3], 0 offen offset:8
	s_waitcnt vmcnt(4)
	buffer_store_dword v5, v1, s[0:3], 0 offen offset:12
	s_waitcnt vmcnt(3)
	buffer_store_dword v6, v0, s[0:3], 0 offen offset:12
	s_waitcnt vmcnt(2)
	buffer_store_dword v7, v0, s[0:3], 0 offen offset:8
	s_waitcnt vmcnt(1)
	buffer_store_dword v8, v0, s[0:3], 0 offen offset:4
	s_waitcnt vmcnt(0)
	buffer_store_dword v9, v0, s[0:3], 0 offen
.LBB53_420:
	v_mov_b32_e32 v0, 0
	global_load_dword v1, v0, s[20:21] offset:44
	s_waitcnt vmcnt(0)
	v_add_nc_u32_e32 v1, -1, v1
	v_cmp_eq_u32_e32 vcc_lo, 11, v1
	s_cbranch_vccnz .LBB53_422
; %bb.421:
	v_lshlrev_b32_e32 v1, 4, v1
	v_mov_b32_e32 v2, s55
	v_add_nc_u32_e32 v1, 16, v1
	s_clause 0x7
	buffer_load_dword v3, v1, s[0:3], 0 offen
	buffer_load_dword v4, v1, s[0:3], 0 offen offset:4
	buffer_load_dword v5, v1, s[0:3], 0 offen offset:8
	;; [unrolled: 1-line block ×6, first 2 shown]
	buffer_load_dword v10, v2, s[0:3], 0 offen
	s_waitcnt vmcnt(7)
	buffer_store_dword v3, v2, s[0:3], 0 offen
	s_waitcnt vmcnt(6)
	buffer_store_dword v4, v2, s[0:3], 0 offen offset:4
	s_waitcnt vmcnt(5)
	buffer_store_dword v5, v2, s[0:3], 0 offen offset:8
	;; [unrolled: 2-line block ×6, first 2 shown]
	s_waitcnt vmcnt(0)
	buffer_store_dword v10, v1, s[0:3], 0 offen
.LBB53_422:
	global_load_dword v0, v0, s[20:21] offset:40
	s_waitcnt vmcnt(0)
	v_add_nc_u32_e32 v0, -1, v0
	v_cmp_eq_u32_e32 vcc_lo, 10, v0
	s_cbranch_vccnz .LBB53_424
; %bb.423:
	v_lshlrev_b32_e32 v0, 4, v0
	v_mov_b32_e32 v1, s56
	v_add_nc_u32_e32 v0, 16, v0
	s_clause 0x7
	buffer_load_dword v2, v0, s[0:3], 0 offen
	buffer_load_dword v3, v0, s[0:3], 0 offen offset:4
	buffer_load_dword v4, v0, s[0:3], 0 offen offset:8
	;; [unrolled: 1-line block ×6, first 2 shown]
	buffer_load_dword v9, v1, s[0:3], 0 offen
	s_waitcnt vmcnt(7)
	buffer_store_dword v2, v1, s[0:3], 0 offen
	s_waitcnt vmcnt(6)
	buffer_store_dword v3, v1, s[0:3], 0 offen offset:4
	s_waitcnt vmcnt(5)
	buffer_store_dword v4, v1, s[0:3], 0 offen offset:8
	;; [unrolled: 2-line block ×6, first 2 shown]
	s_waitcnt vmcnt(0)
	buffer_store_dword v9, v0, s[0:3], 0 offen
.LBB53_424:
	v_mov_b32_e32 v0, 0
	global_load_dword v1, v0, s[20:21] offset:36
	s_waitcnt vmcnt(0)
	v_add_nc_u32_e32 v1, -1, v1
	v_cmp_eq_u32_e32 vcc_lo, 9, v1
	s_cbranch_vccnz .LBB53_426
; %bb.425:
	v_lshlrev_b32_e32 v1, 4, v1
	v_mov_b32_e32 v2, s57
	v_add_nc_u32_e32 v1, 16, v1
	s_clause 0x7
	buffer_load_dword v3, v1, s[0:3], 0 offen
	buffer_load_dword v4, v1, s[0:3], 0 offen offset:4
	buffer_load_dword v5, v1, s[0:3], 0 offen offset:8
	;; [unrolled: 1-line block ×6, first 2 shown]
	buffer_load_dword v10, v2, s[0:3], 0 offen
	s_waitcnt vmcnt(7)
	buffer_store_dword v3, v2, s[0:3], 0 offen
	s_waitcnt vmcnt(6)
	buffer_store_dword v4, v2, s[0:3], 0 offen offset:4
	s_waitcnt vmcnt(5)
	buffer_store_dword v5, v2, s[0:3], 0 offen offset:8
	;; [unrolled: 2-line block ×6, first 2 shown]
	s_waitcnt vmcnt(0)
	buffer_store_dword v10, v1, s[0:3], 0 offen
.LBB53_426:
	global_load_dword v0, v0, s[20:21] offset:32
	s_waitcnt vmcnt(0)
	v_add_nc_u32_e32 v0, -1, v0
	v_cmp_eq_u32_e32 vcc_lo, 8, v0
	s_cbranch_vccnz .LBB53_428
; %bb.427:
	v_lshlrev_b32_e32 v0, 4, v0
	v_mov_b32_e32 v1, s58
	v_add_nc_u32_e32 v0, 16, v0
	s_clause 0x7
	buffer_load_dword v2, v0, s[0:3], 0 offen
	buffer_load_dword v3, v0, s[0:3], 0 offen offset:4
	buffer_load_dword v4, v0, s[0:3], 0 offen offset:8
	;; [unrolled: 1-line block ×6, first 2 shown]
	buffer_load_dword v9, v1, s[0:3], 0 offen
	s_waitcnt vmcnt(7)
	buffer_store_dword v2, v1, s[0:3], 0 offen
	s_waitcnt vmcnt(6)
	buffer_store_dword v3, v1, s[0:3], 0 offen offset:4
	s_waitcnt vmcnt(5)
	buffer_store_dword v4, v1, s[0:3], 0 offen offset:8
	;; [unrolled: 2-line block ×6, first 2 shown]
	s_waitcnt vmcnt(0)
	buffer_store_dword v9, v0, s[0:3], 0 offen
.LBB53_428:
	v_mov_b32_e32 v0, 0
	global_load_dword v1, v0, s[20:21] offset:28
	s_waitcnt vmcnt(0)
	v_add_nc_u32_e32 v1, -1, v1
	v_cmp_eq_u32_e32 vcc_lo, 7, v1
	s_cbranch_vccnz .LBB53_430
; %bb.429:
	v_lshlrev_b32_e32 v1, 4, v1
	v_mov_b32_e32 v2, s59
	v_add_nc_u32_e32 v1, 16, v1
	s_clause 0x7
	buffer_load_dword v3, v1, s[0:3], 0 offen
	buffer_load_dword v4, v1, s[0:3], 0 offen offset:4
	buffer_load_dword v5, v1, s[0:3], 0 offen offset:8
	;; [unrolled: 1-line block ×6, first 2 shown]
	buffer_load_dword v10, v2, s[0:3], 0 offen
	s_waitcnt vmcnt(7)
	buffer_store_dword v3, v2, s[0:3], 0 offen
	s_waitcnt vmcnt(6)
	buffer_store_dword v4, v2, s[0:3], 0 offen offset:4
	s_waitcnt vmcnt(5)
	buffer_store_dword v5, v2, s[0:3], 0 offen offset:8
	;; [unrolled: 2-line block ×6, first 2 shown]
	s_waitcnt vmcnt(0)
	buffer_store_dword v10, v1, s[0:3], 0 offen
.LBB53_430:
	global_load_dword v0, v0, s[20:21] offset:24
	s_waitcnt vmcnt(0)
	v_add_nc_u32_e32 v0, -1, v0
	v_cmp_eq_u32_e32 vcc_lo, 6, v0
	s_cbranch_vccnz .LBB53_432
; %bb.431:
	v_lshlrev_b32_e32 v0, 4, v0
	v_mov_b32_e32 v1, s60
	v_add_nc_u32_e32 v0, 16, v0
	s_clause 0x7
	buffer_load_dword v2, v0, s[0:3], 0 offen
	buffer_load_dword v3, v0, s[0:3], 0 offen offset:4
	buffer_load_dword v4, v0, s[0:3], 0 offen offset:8
	;; [unrolled: 1-line block ×6, first 2 shown]
	buffer_load_dword v9, v1, s[0:3], 0 offen
	s_waitcnt vmcnt(7)
	buffer_store_dword v2, v1, s[0:3], 0 offen
	s_waitcnt vmcnt(6)
	buffer_store_dword v3, v1, s[0:3], 0 offen offset:4
	s_waitcnt vmcnt(5)
	buffer_store_dword v4, v1, s[0:3], 0 offen offset:8
	;; [unrolled: 2-line block ×6, first 2 shown]
	s_waitcnt vmcnt(0)
	buffer_store_dword v9, v0, s[0:3], 0 offen
.LBB53_432:
	v_mov_b32_e32 v0, 0
	global_load_dword v1, v0, s[20:21] offset:20
	s_waitcnt vmcnt(0)
	v_add_nc_u32_e32 v1, -1, v1
	v_cmp_eq_u32_e32 vcc_lo, 5, v1
	s_cbranch_vccnz .LBB53_434
; %bb.433:
	v_lshlrev_b32_e32 v1, 4, v1
	v_mov_b32_e32 v2, s61
	v_add_nc_u32_e32 v1, 16, v1
	s_clause 0x7
	buffer_load_dword v3, v1, s[0:3], 0 offen
	buffer_load_dword v4, v1, s[0:3], 0 offen offset:4
	buffer_load_dword v5, v1, s[0:3], 0 offen offset:8
	;; [unrolled: 1-line block ×6, first 2 shown]
	buffer_load_dword v10, v2, s[0:3], 0 offen
	s_waitcnt vmcnt(7)
	buffer_store_dword v3, v2, s[0:3], 0 offen
	s_waitcnt vmcnt(6)
	buffer_store_dword v4, v2, s[0:3], 0 offen offset:4
	s_waitcnt vmcnt(5)
	buffer_store_dword v5, v2, s[0:3], 0 offen offset:8
	;; [unrolled: 2-line block ×6, first 2 shown]
	s_waitcnt vmcnt(0)
	buffer_store_dword v10, v1, s[0:3], 0 offen
.LBB53_434:
	global_load_dword v0, v0, s[20:21] offset:16
	s_waitcnt vmcnt(0)
	v_add_nc_u32_e32 v0, -1, v0
	v_cmp_eq_u32_e32 vcc_lo, 4, v0
	s_cbranch_vccnz .LBB53_436
; %bb.435:
	v_lshlrev_b32_e32 v0, 4, v0
	v_mov_b32_e32 v1, s62
	v_add_nc_u32_e32 v0, 16, v0
	s_clause 0x7
	buffer_load_dword v2, v0, s[0:3], 0 offen
	buffer_load_dword v3, v0, s[0:3], 0 offen offset:4
	buffer_load_dword v4, v0, s[0:3], 0 offen offset:8
	;; [unrolled: 1-line block ×6, first 2 shown]
	buffer_load_dword v9, v1, s[0:3], 0 offen
	s_waitcnt vmcnt(7)
	buffer_store_dword v2, v1, s[0:3], 0 offen
	s_waitcnt vmcnt(6)
	buffer_store_dword v3, v1, s[0:3], 0 offen offset:4
	s_waitcnt vmcnt(5)
	buffer_store_dword v4, v1, s[0:3], 0 offen offset:8
	;; [unrolled: 2-line block ×6, first 2 shown]
	s_waitcnt vmcnt(0)
	buffer_store_dword v9, v0, s[0:3], 0 offen
.LBB53_436:
	v_mov_b32_e32 v0, 0
	global_load_dword v1, v0, s[20:21] offset:12
	s_waitcnt vmcnt(0)
	v_add_nc_u32_e32 v1, -1, v1
	v_cmp_eq_u32_e32 vcc_lo, 3, v1
	s_cbranch_vccnz .LBB53_438
; %bb.437:
	v_lshlrev_b32_e32 v1, 4, v1
	v_mov_b32_e32 v2, s63
	v_add_nc_u32_e32 v1, 16, v1
	s_clause 0x7
	buffer_load_dword v3, v1, s[0:3], 0 offen
	buffer_load_dword v4, v1, s[0:3], 0 offen offset:4
	buffer_load_dword v5, v1, s[0:3], 0 offen offset:8
	;; [unrolled: 1-line block ×6, first 2 shown]
	buffer_load_dword v10, v2, s[0:3], 0 offen
	s_waitcnt vmcnt(7)
	buffer_store_dword v3, v2, s[0:3], 0 offen
	s_waitcnt vmcnt(6)
	buffer_store_dword v4, v2, s[0:3], 0 offen offset:4
	s_waitcnt vmcnt(5)
	buffer_store_dword v5, v2, s[0:3], 0 offen offset:8
	;; [unrolled: 2-line block ×6, first 2 shown]
	s_waitcnt vmcnt(0)
	buffer_store_dword v10, v1, s[0:3], 0 offen
.LBB53_438:
	global_load_dword v0, v0, s[20:21] offset:8
	s_waitcnt vmcnt(0)
	v_add_nc_u32_e32 v0, -1, v0
	v_cmp_eq_u32_e32 vcc_lo, 2, v0
	s_cbranch_vccnz .LBB53_440
; %bb.439:
	v_lshlrev_b32_e32 v0, 4, v0
	v_mov_b32_e32 v1, s64
	v_add_nc_u32_e32 v0, 16, v0
	s_clause 0x7
	buffer_load_dword v2, v0, s[0:3], 0 offen
	buffer_load_dword v3, v0, s[0:3], 0 offen offset:4
	buffer_load_dword v4, v0, s[0:3], 0 offen offset:8
	;; [unrolled: 1-line block ×6, first 2 shown]
	buffer_load_dword v9, v1, s[0:3], 0 offen
	s_waitcnt vmcnt(7)
	buffer_store_dword v2, v1, s[0:3], 0 offen
	s_waitcnt vmcnt(6)
	buffer_store_dword v3, v1, s[0:3], 0 offen offset:4
	s_waitcnt vmcnt(5)
	buffer_store_dword v4, v1, s[0:3], 0 offen offset:8
	;; [unrolled: 2-line block ×6, first 2 shown]
	s_waitcnt vmcnt(0)
	buffer_store_dword v9, v0, s[0:3], 0 offen
.LBB53_440:
	v_mov_b32_e32 v0, 0
	global_load_dword v1, v0, s[20:21] offset:4
	s_waitcnt vmcnt(0)
	v_add_nc_u32_e32 v1, -1, v1
	v_cmp_eq_u32_e32 vcc_lo, 1, v1
	s_cbranch_vccnz .LBB53_442
; %bb.441:
	v_lshlrev_b32_e32 v1, 4, v1
	v_mov_b32_e32 v2, s65
	v_add_nc_u32_e32 v1, 16, v1
	s_clause 0x7
	buffer_load_dword v3, v1, s[0:3], 0 offen
	buffer_load_dword v4, v1, s[0:3], 0 offen offset:4
	buffer_load_dword v5, v1, s[0:3], 0 offen offset:8
	;; [unrolled: 1-line block ×6, first 2 shown]
	buffer_load_dword v10, v2, s[0:3], 0 offen
	s_waitcnt vmcnt(7)
	buffer_store_dword v3, v2, s[0:3], 0 offen
	s_waitcnt vmcnt(6)
	buffer_store_dword v4, v2, s[0:3], 0 offen offset:4
	s_waitcnt vmcnt(5)
	buffer_store_dword v5, v2, s[0:3], 0 offen offset:8
	;; [unrolled: 2-line block ×6, first 2 shown]
	s_waitcnt vmcnt(0)
	buffer_store_dword v10, v1, s[0:3], 0 offen
.LBB53_442:
	global_load_dword v0, v0, s[20:21]
	s_waitcnt vmcnt(0)
	v_add_nc_u32_e32 v0, -1, v0
	v_cmp_eq_u32_e32 vcc_lo, 0, v0
	s_cbranch_vccnz .LBB53_444
; %bb.443:
	v_lshlrev_b32_e32 v0, 4, v0
	v_add_nc_u32_e32 v0, 16, v0
	s_clause 0x7
	buffer_load_dword v1, v0, s[0:3], 0 offen
	buffer_load_dword v2, v0, s[0:3], 0 offen offset:4
	buffer_load_dword v3, v0, s[0:3], 0 offen offset:8
	;; [unrolled: 1-line block ×3, first 2 shown]
	buffer_load_dword v5, off, s[0:3], 0 offset:28
	buffer_load_dword v6, off, s[0:3], 0 offset:24
	;; [unrolled: 1-line block ×4, first 2 shown]
	s_waitcnt vmcnt(7)
	buffer_store_dword v1, off, s[0:3], 0 offset:16
	s_waitcnt vmcnt(6)
	buffer_store_dword v2, off, s[0:3], 0 offset:20
	;; [unrolled: 2-line block ×4, first 2 shown]
	s_waitcnt vmcnt(3)
	buffer_store_dword v5, v0, s[0:3], 0 offen offset:12
	s_waitcnt vmcnt(2)
	buffer_store_dword v6, v0, s[0:3], 0 offen offset:8
	;; [unrolled: 2-line block ×3, first 2 shown]
	s_waitcnt vmcnt(0)
	buffer_store_dword v8, v0, s[0:3], 0 offen
.LBB53_444:
	v_mov_b32_e32 v4, s65
	s_clause 0x3
	buffer_load_dword v0, off, s[0:3], 0 offset:16
	buffer_load_dword v1, off, s[0:3], 0 offset:20
	;; [unrolled: 1-line block ×4, first 2 shown]
	v_mov_b32_e32 v7, s55
	v_mov_b32_e32 v56, s54
	;; [unrolled: 1-line block ×3, first 2 shown]
	s_clause 0x3
	buffer_load_dword v8, v4, s[0:3], 0 offen
	buffer_load_dword v9, v4, s[0:3], 0 offen offset:4
	buffer_load_dword v10, v4, s[0:3], 0 offen offset:8
	;; [unrolled: 1-line block ×3, first 2 shown]
	v_mov_b32_e32 v4, s64
	v_mov_b32_e32 v233, s34
	;; [unrolled: 1-line block ×4, first 2 shown]
	s_clause 0x3
	buffer_load_dword v12, v4, s[0:3], 0 offen
	buffer_load_dword v13, v4, s[0:3], 0 offen offset:4
	buffer_load_dword v14, v4, s[0:3], 0 offen offset:8
	buffer_load_dword v15, v4, s[0:3], 0 offen offset:12
	v_mov_b32_e32 v4, s63
	v_mov_b32_e32 v84, s52
	;; [unrolled: 1-line block ×3, first 2 shown]
	s_clause 0x3
	buffer_load_dword v16, v4, s[0:3], 0 offen
	buffer_load_dword v17, v4, s[0:3], 0 offen offset:4
	buffer_load_dword v18, v4, s[0:3], 0 offen offset:8
	;; [unrolled: 1-line block ×3, first 2 shown]
	v_mov_b32_e32 v4, s62
	v_mov_b32_e32 v92, s50
	s_clause 0x3
	buffer_load_dword v20, v4, s[0:3], 0 offen
	buffer_load_dword v21, v4, s[0:3], 0 offen offset:4
	buffer_load_dword v22, v4, s[0:3], 0 offen offset:8
	buffer_load_dword v23, v4, s[0:3], 0 offen offset:12
	v_mov_b32_e32 v4, s61
	s_clause 0x3
	buffer_load_dword v24, v4, s[0:3], 0 offen
	buffer_load_dword v25, v4, s[0:3], 0 offen offset:4
	buffer_load_dword v26, v4, s[0:3], 0 offen offset:8
	buffer_load_dword v27, v4, s[0:3], 0 offen offset:12
	;; [unrolled: 6-line block ×7, first 2 shown]
	buffer_load_dword v4, v7, s[0:3], 0 offen
	buffer_load_dword v5, v7, s[0:3], 0 offen offset:4
	buffer_load_dword v6, v7, s[0:3], 0 offen offset:8
	;; [unrolled: 1-line block ×3, first 2 shown]
	v_mov_b32_e32 v96, s49
	v_mov_b32_e32 v100, s48
	;; [unrolled: 1-line block ×16, first 2 shown]
	s_clause 0x3e
	buffer_load_dword v65, v56, s[0:3], 0 offen
	buffer_load_dword v66, v56, s[0:3], 0 offen offset:4
	buffer_load_dword v67, v56, s[0:3], 0 offen offset:8
	buffer_load_dword v68, v56, s[0:3], 0 offen offset:12
	buffer_load_dword v73, v76, s[0:3], 0 offen
	buffer_load_dword v74, v76, s[0:3], 0 offen offset:4
	buffer_load_dword v75, v76, s[0:3], 0 offen offset:8
	buffer_load_dword v76, v76, s[0:3], 0 offen offset:12
	;; [unrolled: 4-line block ×15, first 2 shown]
	buffer_load_dword v217, v220, s[0:3], 0 offen
	buffer_load_dword v218, v220, s[0:3], 0 offen offset:4
	buffer_load_dword v219, v220, s[0:3], 0 offen offset:8
	s_clause 0x8
	buffer_load_dword v220, v220, s[0:3], 0 offen offset:12
	buffer_load_dword v221, v224, s[0:3], 0 offen
	buffer_load_dword v222, v224, s[0:3], 0 offen offset:4
	buffer_load_dword v223, v224, s[0:3], 0 offen offset:8
	;; [unrolled: 1-line block ×3, first 2 shown]
	buffer_load_dword v225, v228, s[0:3], 0 offen
	buffer_load_dword v226, v228, s[0:3], 0 offen offset:4
	buffer_load_dword v227, v228, s[0:3], 0 offen offset:8
	;; [unrolled: 1-line block ×3, first 2 shown]
	v_mov_b32_e32 v234, s33
	v_mov_b32_e32 v241, s25
	;; [unrolled: 1-line block ×18, first 2 shown]
	s_waitcnt vmcnt(62)
	global_store_dwordx4 v[133:134], v[0:3], off
	s_clause 0x7
	buffer_load_dword v0, v229, s[0:3], 0 offen
	buffer_load_dword v1, v229, s[0:3], 0 offen offset:4
	buffer_load_dword v2, v229, s[0:3], 0 offen offset:8
	buffer_load_dword v3, v229, s[0:3], 0 offen offset:12
	buffer_load_dword v229, v232, s[0:3], 0 offen
	buffer_load_dword v230, v232, s[0:3], 0 offen offset:4
	buffer_load_dword v231, v232, s[0:3], 0 offen offset:8
	buffer_load_dword v232, v232, s[0:3], 0 offen offset:12
	global_store_dwordx4 v[135:136], v[8:11], off
	s_clause 0x7
	buffer_load_dword v8, v233, s[0:3], 0 offen
	buffer_load_dword v9, v233, s[0:3], 0 offen offset:4
	buffer_load_dword v10, v233, s[0:3], 0 offen offset:8
	buffer_load_dword v11, v233, s[0:3], 0 offen offset:12
	buffer_load_dword v133, v234, s[0:3], 0 offen
	buffer_load_dword v134, v234, s[0:3], 0 offen offset:4
	buffer_load_dword v135, v234, s[0:3], 0 offen offset:8
	buffer_load_dword v136, v234, s[0:3], 0 offen offset:12
	global_store_dwordx4 v[137:138], v[12:15], off
	s_clause 0x7
	buffer_load_dword v12, v235, s[0:3], 0 offen
	buffer_load_dword v13, v235, s[0:3], 0 offen offset:4
	buffer_load_dword v14, v235, s[0:3], 0 offen offset:8
	buffer_load_dword v15, v235, s[0:3], 0 offen offset:12
	buffer_load_dword v233, v236, s[0:3], 0 offen
	buffer_load_dword v234, v236, s[0:3], 0 offen offset:4
	buffer_load_dword v235, v236, s[0:3], 0 offen offset:8
	buffer_load_dword v236, v236, s[0:3], 0 offen offset:12
	global_store_dwordx4 v[139:140], v[16:19], off
	s_clause 0x7
	buffer_load_dword v16, v237, s[0:3], 0 offen
	buffer_load_dword v17, v237, s[0:3], 0 offen offset:4
	buffer_load_dword v18, v237, s[0:3], 0 offen offset:8
	buffer_load_dword v19, v237, s[0:3], 0 offen offset:12
	buffer_load_dword v137, v238, s[0:3], 0 offen
	buffer_load_dword v138, v238, s[0:3], 0 offen offset:4
	buffer_load_dword v139, v238, s[0:3], 0 offen offset:8
	buffer_load_dword v140, v238, s[0:3], 0 offen offset:12
	global_store_dwordx4 v[141:142], v[20:23], off
	s_clause 0x7
	buffer_load_dword v20, v239, s[0:3], 0 offen
	buffer_load_dword v21, v239, s[0:3], 0 offen offset:4
	buffer_load_dword v22, v239, s[0:3], 0 offen offset:8
	buffer_load_dword v23, v239, s[0:3], 0 offen offset:12
	buffer_load_dword v237, v240, s[0:3], 0 offen
	buffer_load_dword v238, v240, s[0:3], 0 offen offset:4
	buffer_load_dword v239, v240, s[0:3], 0 offen offset:8
	buffer_load_dword v240, v240, s[0:3], 0 offen offset:12
	global_store_dwordx4 v[143:144], v[24:27], off
	s_clause 0x7
	buffer_load_dword v24, v241, s[0:3], 0 offen
	buffer_load_dword v25, v241, s[0:3], 0 offen offset:4
	buffer_load_dword v26, v241, s[0:3], 0 offen offset:8
	buffer_load_dword v27, v241, s[0:3], 0 offen offset:12
	buffer_load_dword v141, v242, s[0:3], 0 offen
	buffer_load_dword v142, v242, s[0:3], 0 offen offset:4
	buffer_load_dword v143, v242, s[0:3], 0 offen offset:8
	buffer_load_dword v144, v242, s[0:3], 0 offen offset:12
	global_store_dwordx4 v[145:146], v[28:31], off
	s_clause 0x7
	buffer_load_dword v28, v243, s[0:3], 0 offen
	buffer_load_dword v29, v243, s[0:3], 0 offen offset:4
	buffer_load_dword v30, v243, s[0:3], 0 offen offset:8
	buffer_load_dword v31, v243, s[0:3], 0 offen offset:12
	buffer_load_dword v241, v244, s[0:3], 0 offen
	buffer_load_dword v242, v244, s[0:3], 0 offen offset:4
	buffer_load_dword v243, v244, s[0:3], 0 offen offset:8
	buffer_load_dword v244, v244, s[0:3], 0 offen offset:12
	global_store_dwordx4 v[147:148], v[32:35], off
	s_clause 0x7
	buffer_load_dword v32, v245, s[0:3], 0 offen
	buffer_load_dword v33, v245, s[0:3], 0 offen offset:4
	buffer_load_dword v34, v245, s[0:3], 0 offen offset:8
	buffer_load_dword v35, v245, s[0:3], 0 offen offset:12
	buffer_load_dword v145, v246, s[0:3], 0 offen
	buffer_load_dword v146, v246, s[0:3], 0 offen offset:4
	buffer_load_dword v147, v246, s[0:3], 0 offen offset:8
	buffer_load_dword v148, v246, s[0:3], 0 offen offset:12
	global_store_dwordx4 v[149:150], v[36:39], off
	s_clause 0x7
	buffer_load_dword v36, v247, s[0:3], 0 offen
	buffer_load_dword v37, v247, s[0:3], 0 offen offset:4
	buffer_load_dword v38, v247, s[0:3], 0 offen offset:8
	buffer_load_dword v39, v247, s[0:3], 0 offen offset:12
	buffer_load_dword v245, v248, s[0:3], 0 offen
	buffer_load_dword v246, v248, s[0:3], 0 offen offset:4
	buffer_load_dword v247, v248, s[0:3], 0 offen offset:8
	buffer_load_dword v248, v248, s[0:3], 0 offen offset:12
	global_store_dwordx4 v[155:156], v[40:43], off
	s_clause 0x7
	buffer_load_dword v40, v249, s[0:3], 0 offen
	buffer_load_dword v41, v249, s[0:3], 0 offen offset:4
	buffer_load_dword v42, v249, s[0:3], 0 offen offset:8
	buffer_load_dword v43, v249, s[0:3], 0 offen offset:12
	buffer_load_dword v249, v252, s[0:3], 0 offen
	buffer_load_dword v250, v252, s[0:3], 0 offen offset:4
	buffer_load_dword v251, v252, s[0:3], 0 offen offset:8
	buffer_load_dword v252, v252, s[0:3], 0 offen offset:12
	global_store_dwordx4 v[157:158], v[44:47], off
	s_clause 0x7
	buffer_load_dword v44, v253, s[0:3], 0 offen
	buffer_load_dword v45, v253, s[0:3], 0 offen offset:4
	buffer_load_dword v46, v253, s[0:3], 0 offen offset:8
	buffer_load_dword v47, v253, s[0:3], 0 offen offset:12
	buffer_load_dword v155, v254, s[0:3], 0 offen
	buffer_load_dword v156, v254, s[0:3], 0 offen offset:4
	buffer_load_dword v157, v254, s[0:3], 0 offen offset:8
	buffer_load_dword v158, v254, s[0:3], 0 offen offset:12
	global_store_dwordx4 v[151:152], v[4:7], off
	s_clause 0x7
	buffer_load_dword v4, v255, s[0:3], 0 offen
	buffer_load_dword v5, v255, s[0:3], 0 offen offset:4
	buffer_load_dword v6, v255, s[0:3], 0 offen offset:8
	buffer_load_dword v7, v255, s[0:3], 0 offen offset:12
	buffer_load_dword v149, v56, s[0:3], 0 offen
	buffer_load_dword v150, v56, s[0:3], 0 offen offset:4
	buffer_load_dword v151, v56, s[0:3], 0 offen offset:8
	buffer_load_dword v152, v56, s[0:3], 0 offen offset:12
	global_store_dwordx4 v[153:154], v[65:68], off
	global_store_dwordx4 v[159:160], v[73:76], off
	s_waitcnt vmcnt(62)
	global_store_dwordx4 v[161:162], v[81:84], off
	global_store_dwordx4 v[163:164], v[85:88], off
	;; [unrolled: 1-line block ×24, first 2 shown]
	s_waitcnt vmcnt(60)
	global_store_dwordx4 v[209:210], v[20:23], off
	s_waitcnt vmcnt(56)
	global_store_dwordx4 v[211:212], v[237:240], off
	;; [unrolled: 2-line block ×16, first 2 shown]
	s_endpgm
	.section	.rodata,"a",@progbits
	.p2align	6, 0x0
	.amdhsa_kernel _ZN9rocsolver6v33100L18getri_kernel_smallILi54E19rocblas_complex_numIdEPS3_EEvT1_iilPiilS6_bb
		.amdhsa_group_segment_fixed_size 1736
		.amdhsa_private_segment_fixed_size 896
		.amdhsa_kernarg_size 60
		.amdhsa_user_sgpr_count 6
		.amdhsa_user_sgpr_private_segment_buffer 1
		.amdhsa_user_sgpr_dispatch_ptr 0
		.amdhsa_user_sgpr_queue_ptr 0
		.amdhsa_user_sgpr_kernarg_segment_ptr 1
		.amdhsa_user_sgpr_dispatch_id 0
		.amdhsa_user_sgpr_flat_scratch_init 0
		.amdhsa_user_sgpr_private_segment_size 0
		.amdhsa_wavefront_size32 1
		.amdhsa_uses_dynamic_stack 0
		.amdhsa_system_sgpr_private_segment_wavefront_offset 1
		.amdhsa_system_sgpr_workgroup_id_x 1
		.amdhsa_system_sgpr_workgroup_id_y 0
		.amdhsa_system_sgpr_workgroup_id_z 0
		.amdhsa_system_sgpr_workgroup_info 0
		.amdhsa_system_vgpr_workitem_id 0
		.amdhsa_next_free_vgpr 256
		.amdhsa_next_free_sgpr 70
		.amdhsa_reserve_vcc 1
		.amdhsa_reserve_flat_scratch 0
		.amdhsa_float_round_mode_32 0
		.amdhsa_float_round_mode_16_64 0
		.amdhsa_float_denorm_mode_32 3
		.amdhsa_float_denorm_mode_16_64 3
		.amdhsa_dx10_clamp 1
		.amdhsa_ieee_mode 1
		.amdhsa_fp16_overflow 0
		.amdhsa_workgroup_processor_mode 1
		.amdhsa_memory_ordered 1
		.amdhsa_forward_progress 1
		.amdhsa_shared_vgpr_count 0
		.amdhsa_exception_fp_ieee_invalid_op 0
		.amdhsa_exception_fp_denorm_src 0
		.amdhsa_exception_fp_ieee_div_zero 0
		.amdhsa_exception_fp_ieee_overflow 0
		.amdhsa_exception_fp_ieee_underflow 0
		.amdhsa_exception_fp_ieee_inexact 0
		.amdhsa_exception_int_div_zero 0
	.end_amdhsa_kernel
	.section	.text._ZN9rocsolver6v33100L18getri_kernel_smallILi54E19rocblas_complex_numIdEPS3_EEvT1_iilPiilS6_bb,"axG",@progbits,_ZN9rocsolver6v33100L18getri_kernel_smallILi54E19rocblas_complex_numIdEPS3_EEvT1_iilPiilS6_bb,comdat
.Lfunc_end53:
	.size	_ZN9rocsolver6v33100L18getri_kernel_smallILi54E19rocblas_complex_numIdEPS3_EEvT1_iilPiilS6_bb, .Lfunc_end53-_ZN9rocsolver6v33100L18getri_kernel_smallILi54E19rocblas_complex_numIdEPS3_EEvT1_iilPiilS6_bb
                                        ; -- End function
	.set _ZN9rocsolver6v33100L18getri_kernel_smallILi54E19rocblas_complex_numIdEPS3_EEvT1_iilPiilS6_bb.num_vgpr, 256
	.set _ZN9rocsolver6v33100L18getri_kernel_smallILi54E19rocblas_complex_numIdEPS3_EEvT1_iilPiilS6_bb.num_agpr, 0
	.set _ZN9rocsolver6v33100L18getri_kernel_smallILi54E19rocblas_complex_numIdEPS3_EEvT1_iilPiilS6_bb.numbered_sgpr, 70
	.set _ZN9rocsolver6v33100L18getri_kernel_smallILi54E19rocblas_complex_numIdEPS3_EEvT1_iilPiilS6_bb.num_named_barrier, 0
	.set _ZN9rocsolver6v33100L18getri_kernel_smallILi54E19rocblas_complex_numIdEPS3_EEvT1_iilPiilS6_bb.private_seg_size, 896
	.set _ZN9rocsolver6v33100L18getri_kernel_smallILi54E19rocblas_complex_numIdEPS3_EEvT1_iilPiilS6_bb.uses_vcc, 1
	.set _ZN9rocsolver6v33100L18getri_kernel_smallILi54E19rocblas_complex_numIdEPS3_EEvT1_iilPiilS6_bb.uses_flat_scratch, 0
	.set _ZN9rocsolver6v33100L18getri_kernel_smallILi54E19rocblas_complex_numIdEPS3_EEvT1_iilPiilS6_bb.has_dyn_sized_stack, 0
	.set _ZN9rocsolver6v33100L18getri_kernel_smallILi54E19rocblas_complex_numIdEPS3_EEvT1_iilPiilS6_bb.has_recursion, 0
	.set _ZN9rocsolver6v33100L18getri_kernel_smallILi54E19rocblas_complex_numIdEPS3_EEvT1_iilPiilS6_bb.has_indirect_call, 0
	.section	.AMDGPU.csdata,"",@progbits
; Kernel info:
; codeLenInByte = 191244
; TotalNumSgprs: 72
; NumVgprs: 256
; ScratchSize: 896
; MemoryBound: 0
; FloatMode: 240
; IeeeMode: 1
; LDSByteSize: 1736 bytes/workgroup (compile time only)
; SGPRBlocks: 0
; VGPRBlocks: 31
; NumSGPRsForWavesPerEU: 72
; NumVGPRsForWavesPerEU: 256
; Occupancy: 4
; WaveLimiterHint : 1
; COMPUTE_PGM_RSRC2:SCRATCH_EN: 1
; COMPUTE_PGM_RSRC2:USER_SGPR: 6
; COMPUTE_PGM_RSRC2:TRAP_HANDLER: 0
; COMPUTE_PGM_RSRC2:TGID_X_EN: 1
; COMPUTE_PGM_RSRC2:TGID_Y_EN: 0
; COMPUTE_PGM_RSRC2:TGID_Z_EN: 0
; COMPUTE_PGM_RSRC2:TIDIG_COMP_CNT: 0
	.section	.text._ZN9rocsolver6v33100L18getri_kernel_smallILi55E19rocblas_complex_numIdEPS3_EEvT1_iilPiilS6_bb,"axG",@progbits,_ZN9rocsolver6v33100L18getri_kernel_smallILi55E19rocblas_complex_numIdEPS3_EEvT1_iilPiilS6_bb,comdat
	.globl	_ZN9rocsolver6v33100L18getri_kernel_smallILi55E19rocblas_complex_numIdEPS3_EEvT1_iilPiilS6_bb ; -- Begin function _ZN9rocsolver6v33100L18getri_kernel_smallILi55E19rocblas_complex_numIdEPS3_EEvT1_iilPiilS6_bb
	.p2align	8
	.type	_ZN9rocsolver6v33100L18getri_kernel_smallILi55E19rocblas_complex_numIdEPS3_EEvT1_iilPiilS6_bb,@function
_ZN9rocsolver6v33100L18getri_kernel_smallILi55E19rocblas_complex_numIdEPS3_EEvT1_iilPiilS6_bb: ; @_ZN9rocsolver6v33100L18getri_kernel_smallILi55E19rocblas_complex_numIdEPS3_EEvT1_iilPiilS6_bb
; %bb.0:
	s_add_u32 s0, s0, s7
	s_addc_u32 s1, s1, 0
	s_mov_b32 s7, exec_lo
	v_cmpx_gt_u32_e32 55, v0
	s_cbranch_execz .LBB54_234
; %bb.1:
	s_clause 0x2
	s_load_dword s7, s[4:5], 0x38
	s_load_dwordx4 s[16:19], s[4:5], 0x10
	s_load_dwordx4 s[8:11], s[4:5], 0x28
                                        ; implicit-def: $sgpr20_sgpr21
	s_waitcnt lgkmcnt(0)
	s_bitcmp1_b32 s7, 8
	s_cselect_b32 s67, -1, 0
	s_bfe_u32 s12, s7, 0x10008
	s_ashr_i32 s7, s6, 31
	s_cmp_eq_u32 s12, 0
	s_cbranch_scc1 .LBB54_3
; %bb.2:
	s_load_dword s12, s[4:5], 0x20
	s_mul_i32 s13, s8, s7
	s_mul_hi_u32 s14, s8, s6
	s_mul_i32 s9, s9, s6
	s_add_i32 s13, s14, s13
	s_mul_i32 s8, s8, s6
	s_add_i32 s9, s13, s9
	s_lshl_b64 s[8:9], s[8:9], 2
	s_waitcnt lgkmcnt(0)
	s_ashr_i32 s13, s12, 31
	s_add_u32 s14, s18, s8
	s_addc_u32 s15, s19, s9
	s_lshl_b64 s[8:9], s[12:13], 2
	s_add_u32 s20, s14, s8
	s_addc_u32 s21, s15, s9
.LBB54_3:
	s_clause 0x1
	s_load_dwordx4 s[12:15], s[4:5], 0x0
	s_load_dword s68, s[4:5], 0x38
	s_mul_i32 s4, s16, s7
	s_mul_hi_u32 s5, s16, s6
	s_mul_i32 s8, s17, s6
	s_add_i32 s5, s5, s4
	s_mul_i32 s4, s16, s6
	s_add_i32 s5, s5, s8
	v_lshlrev_b32_e32 v225, 4, v0
	s_lshl_b64 s[4:5], s[4:5], 4
	s_mov_b32 s66, 32
	s_mov_b32 s65, 48
	;; [unrolled: 1-line block ×3, first 2 shown]
	s_movk_i32 s63, 0x50
	s_waitcnt lgkmcnt(0)
	v_add3_u32 v5, s15, s15, v0
	s_ashr_i32 s9, s14, 31
	s_mov_b32 s8, s14
	s_add_u32 s12, s12, s4
	s_addc_u32 s13, s13, s5
	v_add_nc_u32_e32 v7, s15, v5
	s_lshl_b64 s[4:5], s[8:9], 4
	v_ashrrev_i32_e32 v6, 31, v5
	s_add_u32 s4, s12, s4
	s_addc_u32 s5, s13, s5
	v_add_nc_u32_e32 v9, s15, v7
	v_add_co_u32 v141, s12, s4, v225
	s_mov_b32 s8, s15
	s_ashr_i32 s9, s15, 31
	v_lshlrev_b64 v[5:6], 4, v[5:6]
	v_ashrrev_i32_e32 v8, 31, v7
	v_add_co_ci_u32_e64 v142, null, s5, 0, s12
	s_lshl_b64 s[8:9], s[8:9], 4
	v_ashrrev_i32_e32 v10, 31, v9
	v_add_nc_u32_e32 v11, s15, v9
	v_add_co_u32 v143, vcc_lo, v141, s8
	v_lshlrev_b64 v[7:8], 4, v[7:8]
	v_add_co_ci_u32_e64 v144, null, s9, v142, vcc_lo
	v_add_co_u32 v145, vcc_lo, s4, v5
	v_add_co_ci_u32_e64 v146, null, s5, v6, vcc_lo
	v_lshlrev_b64 v[5:6], 4, v[9:10]
	v_ashrrev_i32_e32 v12, 31, v11
	v_add_nc_u32_e32 v9, s15, v11
	v_add_co_u32 v147, vcc_lo, s4, v7
	v_add_co_ci_u32_e64 v148, null, s5, v8, vcc_lo
	v_lshlrev_b64 v[7:8], 4, v[11:12]
	v_ashrrev_i32_e32 v10, 31, v9
	v_add_nc_u32_e32 v11, s15, v9
	;; [unrolled: 5-line block ×13, first 2 shown]
	v_add_co_u32 v171, vcc_lo, s4, v7
	v_add_co_ci_u32_e64 v172, null, s5, v8, vcc_lo
	v_lshlrev_b64 v[7:8], 4, v[11:12]
	v_add_nc_u32_e32 v11, s15, v9
	v_ashrrev_i32_e32 v10, 31, v9
	v_add_co_u32 v173, vcc_lo, s4, v5
	v_add_co_ci_u32_e64 v174, null, s5, v6, vcc_lo
	v_ashrrev_i32_e32 v12, 31, v11
	v_lshlrev_b64 v[5:6], 4, v[9:10]
	v_add_co_u32 v175, vcc_lo, s4, v7
	v_add_co_ci_u32_e64 v176, null, s5, v8, vcc_lo
	v_lshlrev_b64 v[7:8], 4, v[11:12]
	s_clause 0x1
	global_load_dwordx4 v[1:4], v225, s[4:5]
	global_load_dwordx4 v[77:80], v[143:144], off
	v_add_co_u32 v177, vcc_lo, s4, v5
	v_add_co_ci_u32_e64 v178, null, s5, v6, vcc_lo
	v_add_co_u32 v179, vcc_lo, s4, v7
	v_add_co_ci_u32_e64 v180, null, s5, v8, vcc_lo
	s_clause 0x11
	global_load_dwordx4 v[29:32], v[145:146], off
	global_load_dwordx4 v[33:36], v[147:148], off
	;; [unrolled: 1-line block ×18, first 2 shown]
	v_add_nc_u32_e32 v9, s15, v11
	v_add_nc_u32_e32 v11, s15, v9
	v_ashrrev_i32_e32 v10, 31, v9
	v_add_nc_u32_e32 v13, s15, v11
	v_ashrrev_i32_e32 v12, 31, v11
	v_lshlrev_b64 v[9:10], 4, v[9:10]
	v_add_nc_u32_e32 v15, s15, v13
	v_ashrrev_i32_e32 v14, 31, v13
	v_lshlrev_b64 v[11:12], 4, v[11:12]
	v_add_co_u32 v181, vcc_lo, s4, v9
	v_add_nc_u32_e32 v17, s15, v15
	v_ashrrev_i32_e32 v16, 31, v15
	v_lshlrev_b64 v[13:14], 4, v[13:14]
	v_add_co_ci_u32_e64 v182, null, s5, v10, vcc_lo
	v_add_nc_u32_e32 v21, s15, v17
	v_ashrrev_i32_e32 v18, 31, v17
	v_lshlrev_b64 v[15:16], 4, v[15:16]
	v_add_co_u32 v183, vcc_lo, s4, v11
	v_add_nc_u32_e32 v25, s15, v21
	v_ashrrev_i32_e32 v22, 31, v21
	v_lshlrev_b64 v[23:24], 4, v[17:18]
	v_add_co_ci_u32_e64 v184, null, s5, v12, vcc_lo
	v_add_nc_u32_e32 v47, s15, v25
	v_ashrrev_i32_e32 v26, 31, v25
	v_add_co_u32 v185, vcc_lo, s4, v13
	v_lshlrev_b64 v[45:46], 4, v[21:22]
	v_add_nc_u32_e32 v55, s15, v47
	v_ashrrev_i32_e32 v48, 31, v47
	v_add_co_ci_u32_e64 v186, null, s5, v14, vcc_lo
	v_add_co_u32 v187, vcc_lo, s4, v15
	v_add_nc_u32_e32 v111, s15, v55
	v_ashrrev_i32_e32 v56, 31, v55
	v_lshlrev_b64 v[53:54], 4, v[25:26]
	v_add_co_ci_u32_e64 v188, null, s5, v16, vcc_lo
	v_add_nc_u32_e32 v115, s15, v111
	v_ashrrev_i32_e32 v112, 31, v111
	v_add_co_u32 v189, vcc_lo, s4, v23
	v_lshlrev_b64 v[109:110], 4, v[47:48]
	v_add_nc_u32_e32 v119, s15, v115
	v_ashrrev_i32_e32 v116, 31, v115
	v_add_co_ci_u32_e64 v190, null, s5, v24, vcc_lo
	v_add_co_u32 v191, vcc_lo, s4, v45
	v_add_nc_u32_e32 v123, s15, v119
	v_lshlrev_b64 v[113:114], 4, v[55:56]
	v_ashrrev_i32_e32 v120, 31, v119
	v_add_co_ci_u32_e64 v192, null, s5, v46, vcc_lo
	v_add_nc_u32_e32 v127, s15, v123
	v_add_co_u32 v193, vcc_lo, s4, v53
	v_lshlrev_b64 v[117:118], 4, v[111:112]
	v_ashrrev_i32_e32 v124, 31, v123
	v_add_nc_u32_e32 v131, s15, v127
	v_add_co_ci_u32_e64 v194, null, s5, v54, vcc_lo
	v_add_co_u32 v195, vcc_lo, s4, v109
	v_add_nc_u32_e32 v135, s15, v131
	v_lshlrev_b64 v[121:122], 4, v[115:116]
	v_ashrrev_i32_e32 v128, 31, v127
	v_add_co_ci_u32_e64 v196, null, s5, v110, vcc_lo
	v_add_nc_u32_e32 v139, s15, v135
	v_add_co_u32 v197, vcc_lo, s4, v113
	v_lshlrev_b64 v[125:126], 4, v[119:120]
	v_ashrrev_i32_e32 v132, 31, v131
	v_add_nc_u32_e32 v213, s15, v139
	v_add_co_ci_u32_e64 v198, null, s5, v114, vcc_lo
	v_add_co_u32 v199, vcc_lo, s4, v117
	v_lshlrev_b64 v[129:130], 4, v[123:124]
	v_ashrrev_i32_e32 v136, 31, v135
	v_add_co_ci_u32_e64 v200, null, s5, v118, vcc_lo
	v_add_co_u32 v201, vcc_lo, s4, v121
	v_lshlrev_b64 v[133:134], 4, v[127:128]
	v_ashrrev_i32_e32 v140, 31, v139
	v_add_nc_u32_e32 v217, s15, v213
	v_add_co_ci_u32_e64 v202, null, s5, v122, vcc_lo
	v_add_co_u32 v203, vcc_lo, s4, v125
	v_lshlrev_b64 v[137:138], 4, v[131:132]
	v_ashrrev_i32_e32 v214, 31, v213
	v_add_co_ci_u32_e64 v204, null, s5, v126, vcc_lo
	v_add_co_u32 v205, vcc_lo, s4, v129
	v_lshlrev_b64 v[211:212], 4, v[135:136]
	v_add_co_ci_u32_e64 v206, null, s5, v130, vcc_lo
	v_add_co_u32 v207, vcc_lo, s4, v133
	v_lshlrev_b64 v[215:216], 4, v[139:140]
	v_add_nc_u32_e32 v221, s15, v217
	v_add_co_ci_u32_e64 v208, null, s5, v134, vcc_lo
	v_add_co_u32 v209, vcc_lo, s4, v137
	v_lshlrev_b64 v[219:220], 4, v[213:214]
	v_add_co_ci_u32_e64 v210, null, s5, v138, vcc_lo
	v_add_co_u32 v211, vcc_lo, s4, v211
	v_ashrrev_i32_e32 v222, 31, v221
	v_add_nc_u32_e32 v223, s15, v221
	v_add_co_ci_u32_e64 v212, null, s5, v212, vcc_lo
	v_add_co_u32 v213, vcc_lo, s4, v215
	v_add_co_ci_u32_e64 v214, null, s5, v216, vcc_lo
	v_add_co_u32 v215, vcc_lo, s4, v219
	v_ashrrev_i32_e32 v218, 31, v217
	v_add_co_ci_u32_e64 v216, null, s5, v220, vcc_lo
	v_lshlrev_b64 v[219:220], 4, v[221:222]
	v_add_nc_u32_e32 v221, s15, v223
	v_ashrrev_i32_e32 v224, 31, v223
	v_lshlrev_b64 v[217:218], 4, v[217:218]
	s_clause 0x2
	global_load_dwordx4 v[9:12], v[181:182], off
	global_load_dwordx4 v[17:20], v[183:184], off
	;; [unrolled: 1-line block ×3, first 2 shown]
	v_add_nc_u32_e32 v242, s15, v221
	v_ashrrev_i32_e32 v222, 31, v221
	v_lshlrev_b64 v[223:224], 4, v[223:224]
	v_add_co_u32 v217, vcc_lo, s4, v217
	v_add_nc_u32_e32 v246, s15, v242
	v_add_co_ci_u32_e64 v218, null, s5, v218, vcc_lo
	v_add_co_u32 v219, vcc_lo, s4, v219
	v_lshlrev_b64 v[244:245], 4, v[221:222]
	v_ashrrev_i32_e32 v243, 31, v242
	v_add_co_ci_u32_e64 v220, null, s5, v220, vcc_lo
	v_add_co_u32 v221, vcc_lo, s4, v223
	v_add_nc_u32_e32 v250, s15, v246
	v_add_co_ci_u32_e64 v222, null, s5, v224, vcc_lo
	v_lshlrev_b64 v[248:249], 4, v[242:243]
	v_add_co_u32 v223, vcc_lo, s4, v244
	s_clause 0xf
	global_load_dwordx4 v[25:28], v[187:188], off
	global_load_dwordx4 v[21:24], v[189:190], off
	;; [unrolled: 1-line block ×16, first 2 shown]
	s_waitcnt vmcnt(38)
	buffer_store_dword v4, off, s[0:3], 0 offset:28
	buffer_store_dword v3, off, s[0:3], 0 offset:24
	;; [unrolled: 1-line block ×4, first 2 shown]
	v_add_co_ci_u32_e64 v224, null, s5, v245, vcc_lo
	s_clause 0x1
	global_load_dwordx4 v[1:4], v[219:220], off
	global_load_dwordx4 v[242:245], v[221:222], off
	v_ashrrev_i32_e32 v251, 31, v250
	s_waitcnt vmcnt(39)
	buffer_store_dword v80, off, s[0:3], 0 offset:44
	buffer_store_dword v79, off, s[0:3], 0 offset:40
	;; [unrolled: 1-line block ×4, first 2 shown]
	v_add_nc_u32_e32 v79, s15, v250
	v_add_co_u32 v77, vcc_lo, s4, v248
	v_add_co_ci_u32_e64 v78, null, s5, v249, vcc_lo
	v_lshlrev_b64 v[248:249], 4, v[250:251]
	v_add_nc_u32_e32 v250, s15, v79
	s_waitcnt vmcnt(38)
	buffer_store_dword v32, off, s[0:3], 0 offset:60
	buffer_store_dword v31, off, s[0:3], 0 offset:56
	;; [unrolled: 1-line block ×4, first 2 shown]
	s_waitcnt vmcnt(37)
	buffer_store_dword v36, off, s[0:3], 0 offset:76
	buffer_store_dword v35, off, s[0:3], 0 offset:72
	;; [unrolled: 1-line block ×4, first 2 shown]
	s_clause 0x1
	global_load_dwordx4 v[29:32], v[223:224], off
	global_load_dwordx4 v[33:36], v[77:78], off
	s_waitcnt vmcnt(38)
	buffer_store_dword v40, off, s[0:3], 0 offset:92
	buffer_store_dword v39, off, s[0:3], 0 offset:88
	buffer_store_dword v38, off, s[0:3], 0 offset:84
	buffer_store_dword v37, off, s[0:3], 0 offset:80
	s_waitcnt vmcnt(37)
	buffer_store_dword v44, off, s[0:3], 0 offset:108
	buffer_store_dword v43, off, s[0:3], 0 offset:104
	buffer_store_dword v42, off, s[0:3], 0 offset:100
	buffer_store_dword v41, off, s[0:3], 0 offset:96
	;; [unrolled: 5-line block ×7, first 2 shown]
	buffer_store_dword v73, off, s[0:3], 0 offset:192
	buffer_store_dword v74, off, s[0:3], 0 offset:196
	buffer_store_dword v75, off, s[0:3], 0 offset:200
	buffer_store_dword v76, off, s[0:3], 0 offset:204
	s_waitcnt vmcnt(30)
	buffer_store_dword v84, off, s[0:3], 0 offset:220
	buffer_store_dword v83, off, s[0:3], 0 offset:216
	buffer_store_dword v82, off, s[0:3], 0 offset:212
	buffer_store_dword v81, off, s[0:3], 0 offset:208
	s_waitcnt vmcnt(29)
	;; [unrolled: 5-line block ×8, first 2 shown]
	buffer_store_dword v8, off, s[0:3], 0 offset:332
	v_add_nc_u32_e32 v49, s15, v250
	v_ashrrev_i32_e32 v247, 31, v246
	v_ashrrev_i32_e32 v80, 31, v79
	;; [unrolled: 1-line block ×3, first 2 shown]
	v_add_nc_u32_e32 v65, s15, v49
	v_lshlrev_b64 v[246:247], 4, v[246:247]
	v_ashrrev_i32_e32 v50, 31, v49
	v_lshlrev_b64 v[37:38], 4, v[79:80]
	v_lshlrev_b64 v[39:40], 4, v[250:251]
	v_add_nc_u32_e32 v71, s15, v65
	v_ashrrev_i32_e32 v66, 31, v65
	v_add_co_u32 v57, vcc_lo, s4, v246
	v_add_co_ci_u32_e64 v58, null, s5, v247, vcc_lo
	v_add_co_u32 v59, vcc_lo, s4, v248
	v_lshlrev_b64 v[67:68], 4, v[49:50]
	v_add_nc_u32_e32 v73, s15, v71
	v_add_co_ci_u32_e64 v60, null, s5, v249, vcc_lo
	v_add_co_u32 v61, vcc_lo, s4, v37
	v_lshlrev_b64 v[69:70], 4, v[65:66]
	v_add_co_ci_u32_e64 v62, null, s5, v38, vcc_lo
	v_add_co_u32 v63, vcc_lo, s4, v39
	v_ashrrev_i32_e32 v72, 31, v71
	v_ashrrev_i32_e32 v74, 31, v73
	v_add_nc_u32_e32 v75, s15, v73
	v_add_co_ci_u32_e64 v64, null, s5, v40, vcc_lo
	v_add_co_u32 v65, vcc_lo, s4, v67
	v_add_co_ci_u32_e64 v66, null, s5, v68, vcc_lo
	v_add_co_u32 v67, vcc_lo, s4, v69
	v_add_co_ci_u32_e64 v68, null, s5, v70, vcc_lo
	v_lshlrev_b64 v[69:70], 4, v[71:72]
	v_lshlrev_b64 v[71:72], 4, v[73:74]
	v_add_nc_u32_e32 v73, s15, v75
	v_ashrrev_i32_e32 v76, 31, v75
	s_clause 0x3
	global_load_dwordx4 v[37:40], v[57:58], off
	global_load_dwordx4 v[41:44], v[59:60], off
	;; [unrolled: 1-line block ×4, first 2 shown]
	v_add_co_u32 v69, vcc_lo, s4, v69
	v_ashrrev_i32_e32 v74, 31, v73
	v_add_nc_u32_e32 v81, s15, v73
	v_lshlrev_b64 v[75:76], 4, v[75:76]
	v_add_co_ci_u32_e64 v70, null, s5, v70, vcc_lo
	v_lshlrev_b64 v[79:80], 4, v[73:74]
	v_add_nc_u32_e32 v107, s15, v81
	v_add_co_u32 v71, vcc_lo, s4, v71
	v_ashrrev_i32_e32 v82, 31, v81
	v_add_co_ci_u32_e64 v72, null, s5, v72, vcc_lo
	v_add_co_u32 v73, vcc_lo, s4, v75
	v_ashrrev_i32_e32 v108, 31, v107
	v_add_co_ci_u32_e64 v74, null, s5, v76, vcc_lo
	v_add_co_u32 v75, vcc_lo, s4, v79
	v_add_co_ci_u32_e64 v76, null, s5, v80, vcc_lo
	v_lshlrev_b64 v[79:80], 4, v[81:82]
	v_lshlrev_b64 v[107:108], 4, v[107:108]
	s_clause 0x5
	global_load_dwordx4 v[87:90], v[65:66], off
	global_load_dwordx4 v[91:94], v[67:68], off
	;; [unrolled: 1-line block ×6, first 2 shown]
	v_add_co_u32 v81, vcc_lo, s4, v79
	v_add_co_ci_u32_e64 v82, null, s5, v80, vcc_lo
	v_add_co_u32 v79, vcc_lo, s4, v107
	v_add_co_ci_u32_e64 v80, null, s5, v108, vcc_lo
	global_load_dwordx4 v[250:253], v[81:82], off
	buffer_store_dword v7, off, s[0:3], 0 offset:328
	buffer_store_dword v6, off, s[0:3], 0 offset:324
	;; [unrolled: 1-line block ×3, first 2 shown]
	s_movk_i32 s4, 0x50
	global_load_dwordx4 v[5:8], v[79:80], off
	s_movk_i32 s5, 0x60
	s_add_i32 s62, s4, 16
	s_add_i32 s61, s5, 16
	s_movk_i32 s4, 0x70
	s_movk_i32 s5, 0x80
	s_add_i32 s60, s4, 16
	s_add_i32 s59, s5, 16
	s_movk_i32 s4, 0x90
	;; [unrolled: 4-line block ×24, first 2 shown]
	s_movk_i32 s5, 0x360
	s_add_i32 s9, s4, 16
	s_add_i32 s8, s5, 16
	s_bitcmp0_b32 s68, 0
	s_mov_b32 s5, -1
	s_waitcnt vmcnt(34)
	buffer_store_dword v12, off, s[0:3], 0 offset:348
	buffer_store_dword v11, off, s[0:3], 0 offset:344
	buffer_store_dword v10, off, s[0:3], 0 offset:340
	buffer_store_dword v9, off, s[0:3], 0 offset:336
	s_waitcnt vmcnt(33)
	buffer_store_dword v20, off, s[0:3], 0 offset:364
	buffer_store_dword v19, off, s[0:3], 0 offset:360
	buffer_store_dword v18, off, s[0:3], 0 offset:356
	buffer_store_dword v17, off, s[0:3], 0 offset:352
	;; [unrolled: 5-line block ×35, first 2 shown]
	s_cbranch_scc1 .LBB54_232
; %bb.4:
	v_cmp_eq_u32_e64 s4, 0, v0
	s_and_saveexec_b32 s5, s4
; %bb.5:
	v_mov_b32_e32 v1, 0
	ds_write_b32 v1, v1 offset:1760
; %bb.6:
	s_or_b32 exec_lo, exec_lo, s5
	v_lshl_add_u32 v11, v0, 4, 16
	s_waitcnt lgkmcnt(0)
	s_waitcnt_vscnt null, 0x0
	s_barrier
	buffer_gl0_inv
	s_clause 0x3
	buffer_load_dword v1, v11, s[0:3], 0 offen
	buffer_load_dword v2, v11, s[0:3], 0 offen offset:4
	buffer_load_dword v3, v11, s[0:3], 0 offen offset:8
	buffer_load_dword v4, v11, s[0:3], 0 offen offset:12
	s_waitcnt vmcnt(2)
	v_cmp_eq_f64_e32 vcc_lo, 0, v[1:2]
	s_waitcnt vmcnt(0)
	v_cmp_eq_f64_e64 s5, 0, v[3:4]
	s_and_b32 s5, vcc_lo, s5
	s_and_saveexec_b32 s68, s5
	s_cbranch_execz .LBB54_10
; %bb.7:
	v_mov_b32_e32 v1, 0
	s_mov_b32 s69, 0
	ds_read_b32 v2, v1 offset:1760
	s_waitcnt lgkmcnt(0)
	v_readfirstlane_b32 s5, v2
	v_add_nc_u32_e32 v2, 1, v0
	s_cmp_eq_u32 s5, 0
	v_cmp_gt_i32_e32 vcc_lo, s5, v2
	s_cselect_b32 s70, -1, 0
	s_or_b32 s70, s70, vcc_lo
	s_and_b32 exec_lo, exec_lo, s70
	s_cbranch_execz .LBB54_10
; %bb.8:
	v_mov_b32_e32 v3, s5
.LBB54_9:                               ; =>This Inner Loop Header: Depth=1
	ds_cmpst_rtn_b32 v3, v1, v3, v2 offset:1760
	s_waitcnt lgkmcnt(0)
	v_cmp_ne_u32_e32 vcc_lo, 0, v3
	v_cmp_le_i32_e64 s5, v3, v2
	s_and_b32 s5, vcc_lo, s5
	s_and_b32 s5, exec_lo, s5
	s_or_b32 s69, s5, s69
	s_andn2_b32 exec_lo, exec_lo, s69
	s_cbranch_execnz .LBB54_9
.LBB54_10:
	s_or_b32 exec_lo, exec_lo, s68
	v_mov_b32_e32 v1, 0
	s_barrier
	buffer_gl0_inv
	ds_read_b32 v2, v1 offset:1760
	s_and_saveexec_b32 s5, s4
	s_cbranch_execz .LBB54_12
; %bb.11:
	s_lshl_b64 s[68:69], s[6:7], 2
	s_add_u32 s68, s10, s68
	s_addc_u32 s69, s11, s69
	s_waitcnt lgkmcnt(0)
	global_store_dword v1, v2, s[68:69]
.LBB54_12:
	s_or_b32 exec_lo, exec_lo, s5
	s_waitcnt lgkmcnt(0)
	v_cmp_ne_u32_e32 vcc_lo, 0, v2
	s_mov_b32 s5, 0
	s_cbranch_vccnz .LBB54_232
; %bb.13:
	s_clause 0x3
	buffer_load_dword v7, v11, s[0:3], 0 offen
	buffer_load_dword v8, v11, s[0:3], 0 offen offset:4
	buffer_load_dword v9, v11, s[0:3], 0 offen offset:8
	;; [unrolled: 1-line block ×3, first 2 shown]
                                        ; implicit-def: $vgpr5_vgpr6
                                        ; implicit-def: $vgpr3_vgpr4
	s_waitcnt vmcnt(0)
	v_cmp_ngt_f64_e64 s5, |v[7:8]|, |v[9:10]|
	s_and_saveexec_b32 s68, s5
	s_xor_b32 s5, exec_lo, s68
	s_cbranch_execz .LBB54_15
; %bb.14:
	v_div_scale_f64 v[1:2], null, v[9:10], v[9:10], v[7:8]
	v_div_scale_f64 v[12:13], vcc_lo, v[7:8], v[9:10], v[7:8]
	v_rcp_f64_e32 v[3:4], v[1:2]
	v_fma_f64 v[5:6], -v[1:2], v[3:4], 1.0
	v_fma_f64 v[3:4], v[3:4], v[5:6], v[3:4]
	v_fma_f64 v[5:6], -v[1:2], v[3:4], 1.0
	v_fma_f64 v[3:4], v[3:4], v[5:6], v[3:4]
	v_mul_f64 v[5:6], v[12:13], v[3:4]
	v_fma_f64 v[1:2], -v[1:2], v[5:6], v[12:13]
	v_div_fmas_f64 v[1:2], v[1:2], v[3:4], v[5:6]
	v_div_fixup_f64 v[1:2], v[1:2], v[9:10], v[7:8]
	v_fma_f64 v[3:4], v[7:8], v[1:2], v[9:10]
	v_div_scale_f64 v[5:6], null, v[3:4], v[3:4], 1.0
	v_div_scale_f64 v[12:13], vcc_lo, 1.0, v[3:4], 1.0
	v_rcp_f64_e32 v[7:8], v[5:6]
	v_fma_f64 v[9:10], -v[5:6], v[7:8], 1.0
	v_fma_f64 v[7:8], v[7:8], v[9:10], v[7:8]
	v_fma_f64 v[9:10], -v[5:6], v[7:8], 1.0
	v_fma_f64 v[7:8], v[7:8], v[9:10], v[7:8]
	v_mul_f64 v[9:10], v[12:13], v[7:8]
	v_fma_f64 v[5:6], -v[5:6], v[9:10], v[12:13]
	v_div_fmas_f64 v[5:6], v[5:6], v[7:8], v[9:10]
                                        ; implicit-def: $vgpr7_vgpr8
                                        ; implicit-def: $vgpr9_vgpr10
	v_div_fixup_f64 v[3:4], v[5:6], v[3:4], 1.0
	v_mul_f64 v[5:6], v[1:2], v[3:4]
	v_xor_b32_e32 v4, 0x80000000, v4
	v_xor_b32_e32 v2, 0x80000000, v6
	v_mov_b32_e32 v1, v5
.LBB54_15:
	s_andn2_saveexec_b32 s5, s5
	s_cbranch_execz .LBB54_17
; %bb.16:
	v_div_scale_f64 v[1:2], null, v[7:8], v[7:8], v[9:10]
	v_div_scale_f64 v[12:13], vcc_lo, v[9:10], v[7:8], v[9:10]
	v_rcp_f64_e32 v[3:4], v[1:2]
	v_fma_f64 v[5:6], -v[1:2], v[3:4], 1.0
	v_fma_f64 v[3:4], v[3:4], v[5:6], v[3:4]
	v_fma_f64 v[5:6], -v[1:2], v[3:4], 1.0
	v_fma_f64 v[3:4], v[3:4], v[5:6], v[3:4]
	v_mul_f64 v[5:6], v[12:13], v[3:4]
	v_fma_f64 v[1:2], -v[1:2], v[5:6], v[12:13]
	v_div_fmas_f64 v[1:2], v[1:2], v[3:4], v[5:6]
	v_div_fixup_f64 v[1:2], v[1:2], v[7:8], v[9:10]
	v_fma_f64 v[3:4], v[9:10], v[1:2], v[7:8]
	v_div_scale_f64 v[5:6], null, v[3:4], v[3:4], 1.0
	v_rcp_f64_e32 v[7:8], v[5:6]
	v_fma_f64 v[9:10], -v[5:6], v[7:8], 1.0
	v_fma_f64 v[7:8], v[7:8], v[9:10], v[7:8]
	v_fma_f64 v[9:10], -v[5:6], v[7:8], 1.0
	v_fma_f64 v[7:8], v[7:8], v[9:10], v[7:8]
	v_div_scale_f64 v[9:10], vcc_lo, 1.0, v[3:4], 1.0
	v_mul_f64 v[12:13], v[9:10], v[7:8]
	v_fma_f64 v[5:6], -v[5:6], v[12:13], v[9:10]
	v_div_fmas_f64 v[5:6], v[5:6], v[7:8], v[12:13]
	v_div_fixup_f64 v[5:6], v[5:6], v[3:4], 1.0
	v_mul_f64 v[3:4], v[1:2], -v[5:6]
	v_xor_b32_e32 v2, 0x80000000, v6
	v_mov_b32_e32 v1, v5
.LBB54_17:
	s_or_b32 exec_lo, exec_lo, s5
	v_mov_b32_e32 v10, s66
	buffer_store_dword v6, v11, s[0:3], 0 offen offset:4
	buffer_store_dword v5, v11, s[0:3], 0 offen
	buffer_store_dword v4, v11, s[0:3], 0 offen offset:12
	buffer_store_dword v3, v11, s[0:3], 0 offen offset:8
	v_xor_b32_e32 v4, 0x80000000, v4
	v_add_nc_u32_e32 v5, 0x370, v225
	s_clause 0x3
	buffer_load_dword v9, v10, s[0:3], 0 offen offset:12
	buffer_load_dword v8, v10, s[0:3], 0 offen offset:8
	;; [unrolled: 1-line block ×3, first 2 shown]
	buffer_load_dword v6, v10, s[0:3], 0 offen
	ds_write_b128 v225, v[1:4]
	s_waitcnt vmcnt(0)
	ds_write_b128 v225, v[6:9] offset:880
	s_waitcnt lgkmcnt(0)
	s_waitcnt_vscnt null, 0x0
	s_barrier
	buffer_gl0_inv
	s_and_saveexec_b32 s5, s4
	s_cbranch_execz .LBB54_19
; %bb.18:
	s_clause 0x3
	buffer_load_dword v12, v11, s[0:3], 0 offen offset:8
	buffer_load_dword v13, v11, s[0:3], 0 offen offset:12
	buffer_load_dword v14, v11, s[0:3], 0 offen
	buffer_load_dword v15, v11, s[0:3], 0 offen offset:4
	ds_read_b128 v[1:4], v5
	v_mov_b32_e32 v6, 0
	ds_read_b128 v[6:9], v6 offset:16
	s_waitcnt vmcnt(2) lgkmcnt(1)
	v_mul_f64 v[16:17], v[1:2], v[12:13]
	v_mul_f64 v[12:13], v[3:4], v[12:13]
	s_waitcnt vmcnt(0)
	v_fma_f64 v[3:4], v[3:4], v[14:15], v[16:17]
	v_fma_f64 v[1:2], v[1:2], v[14:15], -v[12:13]
	v_add_f64 v[3:4], v[3:4], 0
	v_add_f64 v[1:2], v[1:2], 0
	s_waitcnt lgkmcnt(0)
	v_mul_f64 v[12:13], v[3:4], v[8:9]
	v_mul_f64 v[8:9], v[1:2], v[8:9]
	v_fma_f64 v[1:2], v[1:2], v[6:7], -v[12:13]
	v_fma_f64 v[3:4], v[3:4], v[6:7], v[8:9]
	buffer_store_dword v1, off, s[0:3], 0 offset:32
	buffer_store_dword v2, off, s[0:3], 0 offset:36
	;; [unrolled: 1-line block ×4, first 2 shown]
.LBB54_19:
	s_or_b32 exec_lo, exec_lo, s5
	v_mov_b32_e32 v4, s65
	s_waitcnt_vscnt null, 0x0
	s_barrier
	buffer_gl0_inv
	s_mov_b32 s5, exec_lo
	s_clause 0x3
	buffer_load_dword v1, v4, s[0:3], 0 offen
	buffer_load_dword v2, v4, s[0:3], 0 offen offset:4
	buffer_load_dword v3, v4, s[0:3], 0 offen offset:8
	;; [unrolled: 1-line block ×3, first 2 shown]
	s_waitcnt vmcnt(0)
	ds_write_b128 v5, v[1:4]
	s_waitcnt lgkmcnt(0)
	s_barrier
	buffer_gl0_inv
	v_cmpx_gt_u32_e32 2, v0
	s_cbranch_execz .LBB54_23
; %bb.20:
	s_clause 0x3
	buffer_load_dword v6, v11, s[0:3], 0 offen offset:8
	buffer_load_dword v7, v11, s[0:3], 0 offen offset:12
	buffer_load_dword v8, v11, s[0:3], 0 offen
	buffer_load_dword v9, v11, s[0:3], 0 offen offset:4
	ds_read_b128 v[1:4], v5
	s_waitcnt vmcnt(2) lgkmcnt(0)
	v_mul_f64 v[10:11], v[3:4], v[6:7]
	v_mul_f64 v[6:7], v[1:2], v[6:7]
	s_waitcnt vmcnt(0)
	v_fma_f64 v[1:2], v[1:2], v[8:9], -v[10:11]
	v_fma_f64 v[3:4], v[3:4], v[8:9], v[6:7]
	v_add_f64 v[1:2], v[1:2], 0
	v_add_f64 v[3:4], v[3:4], 0
	s_and_saveexec_b32 s68, s4
	s_cbranch_execz .LBB54_22
; %bb.21:
	s_clause 0x3
	buffer_load_dword v10, off, s[0:3], 0 offset:40
	buffer_load_dword v11, off, s[0:3], 0 offset:44
	buffer_load_dword v12, off, s[0:3], 0 offset:32
	buffer_load_dword v13, off, s[0:3], 0 offset:36
	v_mov_b32_e32 v6, 0
	ds_read_b128 v[6:9], v6 offset:896
	s_waitcnt vmcnt(2) lgkmcnt(0)
	v_mul_f64 v[14:15], v[6:7], v[10:11]
	v_mul_f64 v[10:11], v[8:9], v[10:11]
	s_waitcnt vmcnt(0)
	v_fma_f64 v[8:9], v[8:9], v[12:13], v[14:15]
	v_fma_f64 v[6:7], v[6:7], v[12:13], -v[10:11]
	v_add_f64 v[3:4], v[3:4], v[8:9]
	v_add_f64 v[1:2], v[1:2], v[6:7]
.LBB54_22:
	s_or_b32 exec_lo, exec_lo, s68
	v_mov_b32_e32 v6, 0
	ds_read_b128 v[6:9], v6 offset:32
	s_waitcnt lgkmcnt(0)
	v_mul_f64 v[10:11], v[3:4], v[8:9]
	v_mul_f64 v[8:9], v[1:2], v[8:9]
	v_fma_f64 v[1:2], v[1:2], v[6:7], -v[10:11]
	v_fma_f64 v[3:4], v[3:4], v[6:7], v[8:9]
	buffer_store_dword v2, off, s[0:3], 0 offset:52
	buffer_store_dword v1, off, s[0:3], 0 offset:48
	;; [unrolled: 1-line block ×4, first 2 shown]
.LBB54_23:
	s_or_b32 exec_lo, exec_lo, s5
	v_mov_b32_e32 v4, s64
	s_waitcnt_vscnt null, 0x0
	s_barrier
	buffer_gl0_inv
	v_add_nc_u32_e32 v6, -1, v0
	s_clause 0x3
	buffer_load_dword v1, v4, s[0:3], 0 offen
	buffer_load_dword v2, v4, s[0:3], 0 offen offset:4
	buffer_load_dword v3, v4, s[0:3], 0 offen offset:8
	;; [unrolled: 1-line block ×3, first 2 shown]
	s_mov_b32 s4, exec_lo
	s_waitcnt vmcnt(0)
	ds_write_b128 v5, v[1:4]
	s_waitcnt lgkmcnt(0)
	s_barrier
	buffer_gl0_inv
	v_cmpx_gt_u32_e32 3, v0
	s_cbranch_execz .LBB54_27
; %bb.24:
	v_mov_b32_e32 v1, 0
	v_mov_b32_e32 v3, 0
	v_add_nc_u32_e32 v7, -1, v0
	v_add_nc_u32_e32 v8, 0x370, v225
	v_mov_b32_e32 v2, 0
	v_mov_b32_e32 v4, 0
	v_add_nc_u32_e32 v9, 16, v225
	s_mov_b32 s5, 0
	.p2align	6
.LBB54_25:                              ; =>This Inner Loop Header: Depth=1
	s_clause 0x3
	buffer_load_dword v14, v9, s[0:3], 0 offen offset:8
	buffer_load_dword v15, v9, s[0:3], 0 offen offset:12
	buffer_load_dword v16, v9, s[0:3], 0 offen
	buffer_load_dword v17, v9, s[0:3], 0 offen offset:4
	ds_read_b128 v[10:13], v8
	v_add_nc_u32_e32 v7, 1, v7
	v_add_nc_u32_e32 v8, 16, v8
	;; [unrolled: 1-line block ×3, first 2 shown]
	v_cmp_lt_u32_e32 vcc_lo, 1, v7
	s_or_b32 s5, vcc_lo, s5
	s_waitcnt vmcnt(2) lgkmcnt(0)
	v_mul_f64 v[18:19], v[12:13], v[14:15]
	v_mul_f64 v[14:15], v[10:11], v[14:15]
	s_waitcnt vmcnt(0)
	v_fma_f64 v[10:11], v[10:11], v[16:17], -v[18:19]
	v_fma_f64 v[12:13], v[12:13], v[16:17], v[14:15]
	v_add_f64 v[3:4], v[3:4], v[10:11]
	v_add_f64 v[1:2], v[1:2], v[12:13]
	s_andn2_b32 exec_lo, exec_lo, s5
	s_cbranch_execnz .LBB54_25
; %bb.26:
	s_or_b32 exec_lo, exec_lo, s5
	v_mov_b32_e32 v7, 0
	ds_read_b128 v[7:10], v7 offset:48
	s_waitcnt lgkmcnt(0)
	v_mul_f64 v[11:12], v[1:2], v[9:10]
	v_mul_f64 v[9:10], v[3:4], v[9:10]
	v_fma_f64 v[3:4], v[3:4], v[7:8], -v[11:12]
	v_fma_f64 v[1:2], v[1:2], v[7:8], v[9:10]
	buffer_store_dword v4, off, s[0:3], 0 offset:68
	buffer_store_dword v3, off, s[0:3], 0 offset:64
	;; [unrolled: 1-line block ×4, first 2 shown]
.LBB54_27:
	s_or_b32 exec_lo, exec_lo, s4
	v_mov_b32_e32 v4, s63
	s_waitcnt_vscnt null, 0x0
	s_barrier
	buffer_gl0_inv
	s_mov_b32 s4, exec_lo
	s_clause 0x3
	buffer_load_dword v1, v4, s[0:3], 0 offen
	buffer_load_dword v2, v4, s[0:3], 0 offen offset:4
	buffer_load_dword v3, v4, s[0:3], 0 offen offset:8
	;; [unrolled: 1-line block ×3, first 2 shown]
	s_waitcnt vmcnt(0)
	ds_write_b128 v5, v[1:4]
	s_waitcnt lgkmcnt(0)
	s_barrier
	buffer_gl0_inv
	v_cmpx_gt_u32_e32 4, v0
	s_cbranch_execz .LBB54_31
; %bb.28:
	v_mov_b32_e32 v1, 0
	v_mov_b32_e32 v3, 0
	v_add_nc_u32_e32 v7, -1, v0
	v_add_nc_u32_e32 v8, 0x370, v225
	v_mov_b32_e32 v2, 0
	v_mov_b32_e32 v4, 0
	v_add_nc_u32_e32 v9, 16, v225
	s_mov_b32 s5, 0
	.p2align	6
.LBB54_29:                              ; =>This Inner Loop Header: Depth=1
	s_clause 0x3
	buffer_load_dword v14, v9, s[0:3], 0 offen offset:8
	buffer_load_dword v15, v9, s[0:3], 0 offen offset:12
	buffer_load_dword v16, v9, s[0:3], 0 offen
	buffer_load_dword v17, v9, s[0:3], 0 offen offset:4
	ds_read_b128 v[10:13], v8
	v_add_nc_u32_e32 v7, 1, v7
	v_add_nc_u32_e32 v8, 16, v8
	;; [unrolled: 1-line block ×3, first 2 shown]
	v_cmp_lt_u32_e32 vcc_lo, 2, v7
	s_or_b32 s5, vcc_lo, s5
	s_waitcnt vmcnt(2) lgkmcnt(0)
	v_mul_f64 v[18:19], v[12:13], v[14:15]
	v_mul_f64 v[14:15], v[10:11], v[14:15]
	s_waitcnt vmcnt(0)
	v_fma_f64 v[10:11], v[10:11], v[16:17], -v[18:19]
	v_fma_f64 v[12:13], v[12:13], v[16:17], v[14:15]
	v_add_f64 v[3:4], v[3:4], v[10:11]
	v_add_f64 v[1:2], v[1:2], v[12:13]
	s_andn2_b32 exec_lo, exec_lo, s5
	s_cbranch_execnz .LBB54_29
; %bb.30:
	s_or_b32 exec_lo, exec_lo, s5
	v_mov_b32_e32 v7, 0
	ds_read_b128 v[7:10], v7 offset:64
	s_waitcnt lgkmcnt(0)
	v_mul_f64 v[11:12], v[1:2], v[9:10]
	v_mul_f64 v[9:10], v[3:4], v[9:10]
	v_fma_f64 v[3:4], v[3:4], v[7:8], -v[11:12]
	v_fma_f64 v[1:2], v[1:2], v[7:8], v[9:10]
	buffer_store_dword v4, off, s[0:3], 0 offset:84
	buffer_store_dword v3, off, s[0:3], 0 offset:80
	;; [unrolled: 1-line block ×4, first 2 shown]
.LBB54_31:
	s_or_b32 exec_lo, exec_lo, s4
	v_mov_b32_e32 v4, s62
	s_waitcnt_vscnt null, 0x0
	s_barrier
	buffer_gl0_inv
	s_mov_b32 s4, exec_lo
	s_clause 0x3
	buffer_load_dword v1, v4, s[0:3], 0 offen
	buffer_load_dword v2, v4, s[0:3], 0 offen offset:4
	buffer_load_dword v3, v4, s[0:3], 0 offen offset:8
	;; [unrolled: 1-line block ×3, first 2 shown]
	s_waitcnt vmcnt(0)
	ds_write_b128 v5, v[1:4]
	s_waitcnt lgkmcnt(0)
	s_barrier
	buffer_gl0_inv
	v_cmpx_gt_u32_e32 5, v0
	s_cbranch_execz .LBB54_35
; %bb.32:
	v_mov_b32_e32 v1, 0
	v_mov_b32_e32 v3, 0
	v_add_nc_u32_e32 v7, -1, v0
	v_add_nc_u32_e32 v8, 0x370, v225
	v_mov_b32_e32 v2, 0
	v_mov_b32_e32 v4, 0
	v_add_nc_u32_e32 v9, 16, v225
	s_mov_b32 s5, 0
	.p2align	6
.LBB54_33:                              ; =>This Inner Loop Header: Depth=1
	s_clause 0x3
	buffer_load_dword v14, v9, s[0:3], 0 offen offset:8
	buffer_load_dword v15, v9, s[0:3], 0 offen offset:12
	buffer_load_dword v16, v9, s[0:3], 0 offen
	buffer_load_dword v17, v9, s[0:3], 0 offen offset:4
	ds_read_b128 v[10:13], v8
	v_add_nc_u32_e32 v7, 1, v7
	v_add_nc_u32_e32 v8, 16, v8
	;; [unrolled: 1-line block ×3, first 2 shown]
	v_cmp_lt_u32_e32 vcc_lo, 3, v7
	s_or_b32 s5, vcc_lo, s5
	s_waitcnt vmcnt(2) lgkmcnt(0)
	v_mul_f64 v[18:19], v[12:13], v[14:15]
	v_mul_f64 v[14:15], v[10:11], v[14:15]
	s_waitcnt vmcnt(0)
	v_fma_f64 v[10:11], v[10:11], v[16:17], -v[18:19]
	v_fma_f64 v[12:13], v[12:13], v[16:17], v[14:15]
	v_add_f64 v[3:4], v[3:4], v[10:11]
	v_add_f64 v[1:2], v[1:2], v[12:13]
	s_andn2_b32 exec_lo, exec_lo, s5
	s_cbranch_execnz .LBB54_33
; %bb.34:
	s_or_b32 exec_lo, exec_lo, s5
	v_mov_b32_e32 v7, 0
	ds_read_b128 v[7:10], v7 offset:80
	s_waitcnt lgkmcnt(0)
	v_mul_f64 v[11:12], v[1:2], v[9:10]
	v_mul_f64 v[9:10], v[3:4], v[9:10]
	v_fma_f64 v[3:4], v[3:4], v[7:8], -v[11:12]
	v_fma_f64 v[1:2], v[1:2], v[7:8], v[9:10]
	buffer_store_dword v4, off, s[0:3], 0 offset:100
	buffer_store_dword v3, off, s[0:3], 0 offset:96
	;; [unrolled: 1-line block ×4, first 2 shown]
.LBB54_35:
	s_or_b32 exec_lo, exec_lo, s4
	v_mov_b32_e32 v4, s61
	s_waitcnt_vscnt null, 0x0
	s_barrier
	buffer_gl0_inv
	s_mov_b32 s4, exec_lo
	s_clause 0x3
	buffer_load_dword v1, v4, s[0:3], 0 offen
	buffer_load_dword v2, v4, s[0:3], 0 offen offset:4
	buffer_load_dword v3, v4, s[0:3], 0 offen offset:8
	;; [unrolled: 1-line block ×3, first 2 shown]
	s_waitcnt vmcnt(0)
	ds_write_b128 v5, v[1:4]
	s_waitcnt lgkmcnt(0)
	s_barrier
	buffer_gl0_inv
	v_cmpx_gt_u32_e32 6, v0
	s_cbranch_execz .LBB54_39
; %bb.36:
	v_mov_b32_e32 v1, 0
	v_mov_b32_e32 v3, 0
	v_add_nc_u32_e32 v7, -1, v0
	v_add_nc_u32_e32 v8, 0x370, v225
	v_mov_b32_e32 v2, 0
	v_mov_b32_e32 v4, 0
	v_add_nc_u32_e32 v9, 16, v225
	s_mov_b32 s5, 0
	.p2align	6
.LBB54_37:                              ; =>This Inner Loop Header: Depth=1
	s_clause 0x3
	buffer_load_dword v14, v9, s[0:3], 0 offen offset:8
	buffer_load_dword v15, v9, s[0:3], 0 offen offset:12
	buffer_load_dword v16, v9, s[0:3], 0 offen
	buffer_load_dword v17, v9, s[0:3], 0 offen offset:4
	ds_read_b128 v[10:13], v8
	v_add_nc_u32_e32 v7, 1, v7
	v_add_nc_u32_e32 v8, 16, v8
	v_add_nc_u32_e32 v9, 16, v9
	v_cmp_lt_u32_e32 vcc_lo, 4, v7
	s_or_b32 s5, vcc_lo, s5
	s_waitcnt vmcnt(2) lgkmcnt(0)
	v_mul_f64 v[18:19], v[12:13], v[14:15]
	v_mul_f64 v[14:15], v[10:11], v[14:15]
	s_waitcnt vmcnt(0)
	v_fma_f64 v[10:11], v[10:11], v[16:17], -v[18:19]
	v_fma_f64 v[12:13], v[12:13], v[16:17], v[14:15]
	v_add_f64 v[3:4], v[3:4], v[10:11]
	v_add_f64 v[1:2], v[1:2], v[12:13]
	s_andn2_b32 exec_lo, exec_lo, s5
	s_cbranch_execnz .LBB54_37
; %bb.38:
	s_or_b32 exec_lo, exec_lo, s5
	v_mov_b32_e32 v7, 0
	ds_read_b128 v[7:10], v7 offset:96
	s_waitcnt lgkmcnt(0)
	v_mul_f64 v[11:12], v[1:2], v[9:10]
	v_mul_f64 v[9:10], v[3:4], v[9:10]
	v_fma_f64 v[3:4], v[3:4], v[7:8], -v[11:12]
	v_fma_f64 v[1:2], v[1:2], v[7:8], v[9:10]
	buffer_store_dword v4, off, s[0:3], 0 offset:116
	buffer_store_dword v3, off, s[0:3], 0 offset:112
	;; [unrolled: 1-line block ×4, first 2 shown]
.LBB54_39:
	s_or_b32 exec_lo, exec_lo, s4
	v_mov_b32_e32 v4, s60
	s_waitcnt_vscnt null, 0x0
	s_barrier
	buffer_gl0_inv
	s_mov_b32 s4, exec_lo
	s_clause 0x3
	buffer_load_dword v1, v4, s[0:3], 0 offen
	buffer_load_dword v2, v4, s[0:3], 0 offen offset:4
	buffer_load_dword v3, v4, s[0:3], 0 offen offset:8
	;; [unrolled: 1-line block ×3, first 2 shown]
	s_waitcnt vmcnt(0)
	ds_write_b128 v5, v[1:4]
	s_waitcnt lgkmcnt(0)
	s_barrier
	buffer_gl0_inv
	v_cmpx_gt_u32_e32 7, v0
	s_cbranch_execz .LBB54_43
; %bb.40:
	v_mov_b32_e32 v1, 0
	v_mov_b32_e32 v3, 0
	v_add_nc_u32_e32 v7, -1, v0
	v_add_nc_u32_e32 v8, 0x370, v225
	v_mov_b32_e32 v2, 0
	v_mov_b32_e32 v4, 0
	v_add_nc_u32_e32 v9, 16, v225
	s_mov_b32 s5, 0
	.p2align	6
.LBB54_41:                              ; =>This Inner Loop Header: Depth=1
	s_clause 0x3
	buffer_load_dword v14, v9, s[0:3], 0 offen offset:8
	buffer_load_dword v15, v9, s[0:3], 0 offen offset:12
	buffer_load_dword v16, v9, s[0:3], 0 offen
	buffer_load_dword v17, v9, s[0:3], 0 offen offset:4
	ds_read_b128 v[10:13], v8
	v_add_nc_u32_e32 v7, 1, v7
	v_add_nc_u32_e32 v8, 16, v8
	;; [unrolled: 1-line block ×3, first 2 shown]
	v_cmp_lt_u32_e32 vcc_lo, 5, v7
	s_or_b32 s5, vcc_lo, s5
	s_waitcnt vmcnt(2) lgkmcnt(0)
	v_mul_f64 v[18:19], v[12:13], v[14:15]
	v_mul_f64 v[14:15], v[10:11], v[14:15]
	s_waitcnt vmcnt(0)
	v_fma_f64 v[10:11], v[10:11], v[16:17], -v[18:19]
	v_fma_f64 v[12:13], v[12:13], v[16:17], v[14:15]
	v_add_f64 v[3:4], v[3:4], v[10:11]
	v_add_f64 v[1:2], v[1:2], v[12:13]
	s_andn2_b32 exec_lo, exec_lo, s5
	s_cbranch_execnz .LBB54_41
; %bb.42:
	s_or_b32 exec_lo, exec_lo, s5
	v_mov_b32_e32 v7, 0
	ds_read_b128 v[7:10], v7 offset:112
	s_waitcnt lgkmcnt(0)
	v_mul_f64 v[11:12], v[1:2], v[9:10]
	v_mul_f64 v[9:10], v[3:4], v[9:10]
	v_fma_f64 v[3:4], v[3:4], v[7:8], -v[11:12]
	v_fma_f64 v[1:2], v[1:2], v[7:8], v[9:10]
	buffer_store_dword v4, off, s[0:3], 0 offset:132
	buffer_store_dword v3, off, s[0:3], 0 offset:128
	;; [unrolled: 1-line block ×4, first 2 shown]
.LBB54_43:
	s_or_b32 exec_lo, exec_lo, s4
	v_mov_b32_e32 v4, s59
	s_waitcnt_vscnt null, 0x0
	s_barrier
	buffer_gl0_inv
	s_mov_b32 s4, exec_lo
	s_clause 0x3
	buffer_load_dword v1, v4, s[0:3], 0 offen
	buffer_load_dword v2, v4, s[0:3], 0 offen offset:4
	buffer_load_dword v3, v4, s[0:3], 0 offen offset:8
	;; [unrolled: 1-line block ×3, first 2 shown]
	s_waitcnt vmcnt(0)
	ds_write_b128 v5, v[1:4]
	s_waitcnt lgkmcnt(0)
	s_barrier
	buffer_gl0_inv
	v_cmpx_gt_u32_e32 8, v0
	s_cbranch_execz .LBB54_47
; %bb.44:
	v_mov_b32_e32 v1, 0
	v_mov_b32_e32 v3, 0
	v_add_nc_u32_e32 v7, -1, v0
	v_add_nc_u32_e32 v8, 0x370, v225
	v_mov_b32_e32 v2, 0
	v_mov_b32_e32 v4, 0
	v_add_nc_u32_e32 v9, 16, v225
	s_mov_b32 s5, 0
	.p2align	6
.LBB54_45:                              ; =>This Inner Loop Header: Depth=1
	s_clause 0x3
	buffer_load_dword v14, v9, s[0:3], 0 offen offset:8
	buffer_load_dword v15, v9, s[0:3], 0 offen offset:12
	buffer_load_dword v16, v9, s[0:3], 0 offen
	buffer_load_dword v17, v9, s[0:3], 0 offen offset:4
	ds_read_b128 v[10:13], v8
	v_add_nc_u32_e32 v7, 1, v7
	v_add_nc_u32_e32 v8, 16, v8
	;; [unrolled: 1-line block ×3, first 2 shown]
	v_cmp_lt_u32_e32 vcc_lo, 6, v7
	s_or_b32 s5, vcc_lo, s5
	s_waitcnt vmcnt(2) lgkmcnt(0)
	v_mul_f64 v[18:19], v[12:13], v[14:15]
	v_mul_f64 v[14:15], v[10:11], v[14:15]
	s_waitcnt vmcnt(0)
	v_fma_f64 v[10:11], v[10:11], v[16:17], -v[18:19]
	v_fma_f64 v[12:13], v[12:13], v[16:17], v[14:15]
	v_add_f64 v[3:4], v[3:4], v[10:11]
	v_add_f64 v[1:2], v[1:2], v[12:13]
	s_andn2_b32 exec_lo, exec_lo, s5
	s_cbranch_execnz .LBB54_45
; %bb.46:
	s_or_b32 exec_lo, exec_lo, s5
	v_mov_b32_e32 v7, 0
	ds_read_b128 v[7:10], v7 offset:128
	s_waitcnt lgkmcnt(0)
	v_mul_f64 v[11:12], v[1:2], v[9:10]
	v_mul_f64 v[9:10], v[3:4], v[9:10]
	v_fma_f64 v[3:4], v[3:4], v[7:8], -v[11:12]
	v_fma_f64 v[1:2], v[1:2], v[7:8], v[9:10]
	buffer_store_dword v4, off, s[0:3], 0 offset:148
	buffer_store_dword v3, off, s[0:3], 0 offset:144
	;; [unrolled: 1-line block ×4, first 2 shown]
.LBB54_47:
	s_or_b32 exec_lo, exec_lo, s4
	v_mov_b32_e32 v4, s58
	s_waitcnt_vscnt null, 0x0
	s_barrier
	buffer_gl0_inv
	s_mov_b32 s4, exec_lo
	s_clause 0x3
	buffer_load_dword v1, v4, s[0:3], 0 offen
	buffer_load_dword v2, v4, s[0:3], 0 offen offset:4
	buffer_load_dword v3, v4, s[0:3], 0 offen offset:8
	;; [unrolled: 1-line block ×3, first 2 shown]
	s_waitcnt vmcnt(0)
	ds_write_b128 v5, v[1:4]
	s_waitcnt lgkmcnt(0)
	s_barrier
	buffer_gl0_inv
	v_cmpx_gt_u32_e32 9, v0
	s_cbranch_execz .LBB54_51
; %bb.48:
	v_mov_b32_e32 v1, 0
	v_mov_b32_e32 v3, 0
	v_add_nc_u32_e32 v7, -1, v0
	v_add_nc_u32_e32 v8, 0x370, v225
	v_mov_b32_e32 v2, 0
	v_mov_b32_e32 v4, 0
	v_add_nc_u32_e32 v9, 16, v225
	s_mov_b32 s5, 0
	.p2align	6
.LBB54_49:                              ; =>This Inner Loop Header: Depth=1
	s_clause 0x3
	buffer_load_dword v14, v9, s[0:3], 0 offen offset:8
	buffer_load_dword v15, v9, s[0:3], 0 offen offset:12
	buffer_load_dword v16, v9, s[0:3], 0 offen
	buffer_load_dword v17, v9, s[0:3], 0 offen offset:4
	ds_read_b128 v[10:13], v8
	v_add_nc_u32_e32 v7, 1, v7
	v_add_nc_u32_e32 v8, 16, v8
	v_add_nc_u32_e32 v9, 16, v9
	v_cmp_lt_u32_e32 vcc_lo, 7, v7
	s_or_b32 s5, vcc_lo, s5
	s_waitcnt vmcnt(2) lgkmcnt(0)
	v_mul_f64 v[18:19], v[12:13], v[14:15]
	v_mul_f64 v[14:15], v[10:11], v[14:15]
	s_waitcnt vmcnt(0)
	v_fma_f64 v[10:11], v[10:11], v[16:17], -v[18:19]
	v_fma_f64 v[12:13], v[12:13], v[16:17], v[14:15]
	v_add_f64 v[3:4], v[3:4], v[10:11]
	v_add_f64 v[1:2], v[1:2], v[12:13]
	s_andn2_b32 exec_lo, exec_lo, s5
	s_cbranch_execnz .LBB54_49
; %bb.50:
	s_or_b32 exec_lo, exec_lo, s5
	v_mov_b32_e32 v7, 0
	ds_read_b128 v[7:10], v7 offset:144
	s_waitcnt lgkmcnt(0)
	v_mul_f64 v[11:12], v[1:2], v[9:10]
	v_mul_f64 v[9:10], v[3:4], v[9:10]
	v_fma_f64 v[3:4], v[3:4], v[7:8], -v[11:12]
	v_fma_f64 v[1:2], v[1:2], v[7:8], v[9:10]
	buffer_store_dword v4, off, s[0:3], 0 offset:164
	buffer_store_dword v3, off, s[0:3], 0 offset:160
	;; [unrolled: 1-line block ×4, first 2 shown]
.LBB54_51:
	s_or_b32 exec_lo, exec_lo, s4
	v_mov_b32_e32 v4, s57
	s_waitcnt_vscnt null, 0x0
	s_barrier
	buffer_gl0_inv
	s_mov_b32 s4, exec_lo
	s_clause 0x3
	buffer_load_dword v1, v4, s[0:3], 0 offen
	buffer_load_dword v2, v4, s[0:3], 0 offen offset:4
	buffer_load_dword v3, v4, s[0:3], 0 offen offset:8
	;; [unrolled: 1-line block ×3, first 2 shown]
	s_waitcnt vmcnt(0)
	ds_write_b128 v5, v[1:4]
	s_waitcnt lgkmcnt(0)
	s_barrier
	buffer_gl0_inv
	v_cmpx_gt_u32_e32 10, v0
	s_cbranch_execz .LBB54_55
; %bb.52:
	v_mov_b32_e32 v1, 0
	v_mov_b32_e32 v3, 0
	v_add_nc_u32_e32 v7, -1, v0
	v_add_nc_u32_e32 v8, 0x370, v225
	v_mov_b32_e32 v2, 0
	v_mov_b32_e32 v4, 0
	v_add_nc_u32_e32 v9, 16, v225
	s_mov_b32 s5, 0
	.p2align	6
.LBB54_53:                              ; =>This Inner Loop Header: Depth=1
	s_clause 0x3
	buffer_load_dword v14, v9, s[0:3], 0 offen offset:8
	buffer_load_dword v15, v9, s[0:3], 0 offen offset:12
	buffer_load_dword v16, v9, s[0:3], 0 offen
	buffer_load_dword v17, v9, s[0:3], 0 offen offset:4
	ds_read_b128 v[10:13], v8
	v_add_nc_u32_e32 v7, 1, v7
	v_add_nc_u32_e32 v8, 16, v8
	;; [unrolled: 1-line block ×3, first 2 shown]
	v_cmp_lt_u32_e32 vcc_lo, 8, v7
	s_or_b32 s5, vcc_lo, s5
	s_waitcnt vmcnt(2) lgkmcnt(0)
	v_mul_f64 v[18:19], v[12:13], v[14:15]
	v_mul_f64 v[14:15], v[10:11], v[14:15]
	s_waitcnt vmcnt(0)
	v_fma_f64 v[10:11], v[10:11], v[16:17], -v[18:19]
	v_fma_f64 v[12:13], v[12:13], v[16:17], v[14:15]
	v_add_f64 v[3:4], v[3:4], v[10:11]
	v_add_f64 v[1:2], v[1:2], v[12:13]
	s_andn2_b32 exec_lo, exec_lo, s5
	s_cbranch_execnz .LBB54_53
; %bb.54:
	s_or_b32 exec_lo, exec_lo, s5
	v_mov_b32_e32 v7, 0
	ds_read_b128 v[7:10], v7 offset:160
	s_waitcnt lgkmcnt(0)
	v_mul_f64 v[11:12], v[1:2], v[9:10]
	v_mul_f64 v[9:10], v[3:4], v[9:10]
	v_fma_f64 v[3:4], v[3:4], v[7:8], -v[11:12]
	v_fma_f64 v[1:2], v[1:2], v[7:8], v[9:10]
	buffer_store_dword v4, off, s[0:3], 0 offset:180
	buffer_store_dword v3, off, s[0:3], 0 offset:176
	buffer_store_dword v2, off, s[0:3], 0 offset:188
	buffer_store_dword v1, off, s[0:3], 0 offset:184
.LBB54_55:
	s_or_b32 exec_lo, exec_lo, s4
	v_mov_b32_e32 v4, s56
	s_waitcnt_vscnt null, 0x0
	s_barrier
	buffer_gl0_inv
	s_mov_b32 s4, exec_lo
	s_clause 0x3
	buffer_load_dword v1, v4, s[0:3], 0 offen
	buffer_load_dword v2, v4, s[0:3], 0 offen offset:4
	buffer_load_dword v3, v4, s[0:3], 0 offen offset:8
	;; [unrolled: 1-line block ×3, first 2 shown]
	s_waitcnt vmcnt(0)
	ds_write_b128 v5, v[1:4]
	s_waitcnt lgkmcnt(0)
	s_barrier
	buffer_gl0_inv
	v_cmpx_gt_u32_e32 11, v0
	s_cbranch_execz .LBB54_59
; %bb.56:
	v_mov_b32_e32 v1, 0
	v_mov_b32_e32 v3, 0
	v_add_nc_u32_e32 v7, -1, v0
	v_add_nc_u32_e32 v8, 0x370, v225
	v_mov_b32_e32 v2, 0
	v_mov_b32_e32 v4, 0
	v_add_nc_u32_e32 v9, 16, v225
	s_mov_b32 s5, 0
	.p2align	6
.LBB54_57:                              ; =>This Inner Loop Header: Depth=1
	s_clause 0x3
	buffer_load_dword v14, v9, s[0:3], 0 offen offset:8
	buffer_load_dword v15, v9, s[0:3], 0 offen offset:12
	buffer_load_dword v16, v9, s[0:3], 0 offen
	buffer_load_dword v17, v9, s[0:3], 0 offen offset:4
	ds_read_b128 v[10:13], v8
	v_add_nc_u32_e32 v7, 1, v7
	v_add_nc_u32_e32 v8, 16, v8
	;; [unrolled: 1-line block ×3, first 2 shown]
	v_cmp_lt_u32_e32 vcc_lo, 9, v7
	s_or_b32 s5, vcc_lo, s5
	s_waitcnt vmcnt(2) lgkmcnt(0)
	v_mul_f64 v[18:19], v[12:13], v[14:15]
	v_mul_f64 v[14:15], v[10:11], v[14:15]
	s_waitcnt vmcnt(0)
	v_fma_f64 v[10:11], v[10:11], v[16:17], -v[18:19]
	v_fma_f64 v[12:13], v[12:13], v[16:17], v[14:15]
	v_add_f64 v[3:4], v[3:4], v[10:11]
	v_add_f64 v[1:2], v[1:2], v[12:13]
	s_andn2_b32 exec_lo, exec_lo, s5
	s_cbranch_execnz .LBB54_57
; %bb.58:
	s_or_b32 exec_lo, exec_lo, s5
	v_mov_b32_e32 v7, 0
	ds_read_b128 v[7:10], v7 offset:176
	s_waitcnt lgkmcnt(0)
	v_mul_f64 v[11:12], v[1:2], v[9:10]
	v_mul_f64 v[9:10], v[3:4], v[9:10]
	v_fma_f64 v[3:4], v[3:4], v[7:8], -v[11:12]
	v_fma_f64 v[1:2], v[1:2], v[7:8], v[9:10]
	buffer_store_dword v4, off, s[0:3], 0 offset:196
	buffer_store_dword v3, off, s[0:3], 0 offset:192
	;; [unrolled: 1-line block ×4, first 2 shown]
.LBB54_59:
	s_or_b32 exec_lo, exec_lo, s4
	v_mov_b32_e32 v4, s55
	s_waitcnt_vscnt null, 0x0
	s_barrier
	buffer_gl0_inv
	s_mov_b32 s4, exec_lo
	s_clause 0x3
	buffer_load_dword v1, v4, s[0:3], 0 offen
	buffer_load_dword v2, v4, s[0:3], 0 offen offset:4
	buffer_load_dword v3, v4, s[0:3], 0 offen offset:8
	;; [unrolled: 1-line block ×3, first 2 shown]
	s_waitcnt vmcnt(0)
	ds_write_b128 v5, v[1:4]
	s_waitcnt lgkmcnt(0)
	s_barrier
	buffer_gl0_inv
	v_cmpx_gt_u32_e32 12, v0
	s_cbranch_execz .LBB54_63
; %bb.60:
	v_mov_b32_e32 v1, 0
	v_mov_b32_e32 v3, 0
	v_add_nc_u32_e32 v7, -1, v0
	v_add_nc_u32_e32 v8, 0x370, v225
	v_mov_b32_e32 v2, 0
	v_mov_b32_e32 v4, 0
	v_add_nc_u32_e32 v9, 16, v225
	s_mov_b32 s5, 0
	.p2align	6
.LBB54_61:                              ; =>This Inner Loop Header: Depth=1
	s_clause 0x3
	buffer_load_dword v14, v9, s[0:3], 0 offen offset:8
	buffer_load_dword v15, v9, s[0:3], 0 offen offset:12
	buffer_load_dword v16, v9, s[0:3], 0 offen
	buffer_load_dword v17, v9, s[0:3], 0 offen offset:4
	ds_read_b128 v[10:13], v8
	v_add_nc_u32_e32 v7, 1, v7
	v_add_nc_u32_e32 v8, 16, v8
	v_add_nc_u32_e32 v9, 16, v9
	v_cmp_lt_u32_e32 vcc_lo, 10, v7
	s_or_b32 s5, vcc_lo, s5
	s_waitcnt vmcnt(2) lgkmcnt(0)
	v_mul_f64 v[18:19], v[12:13], v[14:15]
	v_mul_f64 v[14:15], v[10:11], v[14:15]
	s_waitcnt vmcnt(0)
	v_fma_f64 v[10:11], v[10:11], v[16:17], -v[18:19]
	v_fma_f64 v[12:13], v[12:13], v[16:17], v[14:15]
	v_add_f64 v[3:4], v[3:4], v[10:11]
	v_add_f64 v[1:2], v[1:2], v[12:13]
	s_andn2_b32 exec_lo, exec_lo, s5
	s_cbranch_execnz .LBB54_61
; %bb.62:
	s_or_b32 exec_lo, exec_lo, s5
	v_mov_b32_e32 v7, 0
	ds_read_b128 v[7:10], v7 offset:192
	s_waitcnt lgkmcnt(0)
	v_mul_f64 v[11:12], v[1:2], v[9:10]
	v_mul_f64 v[9:10], v[3:4], v[9:10]
	v_fma_f64 v[3:4], v[3:4], v[7:8], -v[11:12]
	v_fma_f64 v[1:2], v[1:2], v[7:8], v[9:10]
	buffer_store_dword v4, off, s[0:3], 0 offset:212
	buffer_store_dword v3, off, s[0:3], 0 offset:208
	;; [unrolled: 1-line block ×4, first 2 shown]
.LBB54_63:
	s_or_b32 exec_lo, exec_lo, s4
	v_mov_b32_e32 v4, s54
	s_waitcnt_vscnt null, 0x0
	s_barrier
	buffer_gl0_inv
	s_mov_b32 s4, exec_lo
	s_clause 0x3
	buffer_load_dword v1, v4, s[0:3], 0 offen
	buffer_load_dword v2, v4, s[0:3], 0 offen offset:4
	buffer_load_dword v3, v4, s[0:3], 0 offen offset:8
	;; [unrolled: 1-line block ×3, first 2 shown]
	s_waitcnt vmcnt(0)
	ds_write_b128 v5, v[1:4]
	s_waitcnt lgkmcnt(0)
	s_barrier
	buffer_gl0_inv
	v_cmpx_gt_u32_e32 13, v0
	s_cbranch_execz .LBB54_67
; %bb.64:
	v_mov_b32_e32 v1, 0
	v_mov_b32_e32 v3, 0
	v_add_nc_u32_e32 v7, -1, v0
	v_add_nc_u32_e32 v8, 0x370, v225
	v_mov_b32_e32 v2, 0
	v_mov_b32_e32 v4, 0
	v_add_nc_u32_e32 v9, 16, v225
	s_mov_b32 s5, 0
	.p2align	6
.LBB54_65:                              ; =>This Inner Loop Header: Depth=1
	s_clause 0x3
	buffer_load_dword v14, v9, s[0:3], 0 offen offset:8
	buffer_load_dword v15, v9, s[0:3], 0 offen offset:12
	buffer_load_dword v16, v9, s[0:3], 0 offen
	buffer_load_dword v17, v9, s[0:3], 0 offen offset:4
	ds_read_b128 v[10:13], v8
	v_add_nc_u32_e32 v7, 1, v7
	v_add_nc_u32_e32 v8, 16, v8
	;; [unrolled: 1-line block ×3, first 2 shown]
	v_cmp_lt_u32_e32 vcc_lo, 11, v7
	s_or_b32 s5, vcc_lo, s5
	s_waitcnt vmcnt(2) lgkmcnt(0)
	v_mul_f64 v[18:19], v[12:13], v[14:15]
	v_mul_f64 v[14:15], v[10:11], v[14:15]
	s_waitcnt vmcnt(0)
	v_fma_f64 v[10:11], v[10:11], v[16:17], -v[18:19]
	v_fma_f64 v[12:13], v[12:13], v[16:17], v[14:15]
	v_add_f64 v[3:4], v[3:4], v[10:11]
	v_add_f64 v[1:2], v[1:2], v[12:13]
	s_andn2_b32 exec_lo, exec_lo, s5
	s_cbranch_execnz .LBB54_65
; %bb.66:
	s_or_b32 exec_lo, exec_lo, s5
	v_mov_b32_e32 v7, 0
	ds_read_b128 v[7:10], v7 offset:208
	s_waitcnt lgkmcnt(0)
	v_mul_f64 v[11:12], v[1:2], v[9:10]
	v_mul_f64 v[9:10], v[3:4], v[9:10]
	v_fma_f64 v[3:4], v[3:4], v[7:8], -v[11:12]
	v_fma_f64 v[1:2], v[1:2], v[7:8], v[9:10]
	buffer_store_dword v4, off, s[0:3], 0 offset:228
	buffer_store_dword v3, off, s[0:3], 0 offset:224
	;; [unrolled: 1-line block ×4, first 2 shown]
.LBB54_67:
	s_or_b32 exec_lo, exec_lo, s4
	v_mov_b32_e32 v4, s53
	s_waitcnt_vscnt null, 0x0
	s_barrier
	buffer_gl0_inv
	s_mov_b32 s4, exec_lo
	s_clause 0x3
	buffer_load_dword v1, v4, s[0:3], 0 offen
	buffer_load_dword v2, v4, s[0:3], 0 offen offset:4
	buffer_load_dword v3, v4, s[0:3], 0 offen offset:8
	;; [unrolled: 1-line block ×3, first 2 shown]
	s_waitcnt vmcnt(0)
	ds_write_b128 v5, v[1:4]
	s_waitcnt lgkmcnt(0)
	s_barrier
	buffer_gl0_inv
	v_cmpx_gt_u32_e32 14, v0
	s_cbranch_execz .LBB54_71
; %bb.68:
	v_mov_b32_e32 v1, 0
	v_mov_b32_e32 v3, 0
	v_add_nc_u32_e32 v7, -1, v0
	v_add_nc_u32_e32 v8, 0x370, v225
	v_mov_b32_e32 v2, 0
	v_mov_b32_e32 v4, 0
	v_add_nc_u32_e32 v9, 16, v225
	s_mov_b32 s5, 0
	.p2align	6
.LBB54_69:                              ; =>This Inner Loop Header: Depth=1
	s_clause 0x3
	buffer_load_dword v14, v9, s[0:3], 0 offen offset:8
	buffer_load_dword v15, v9, s[0:3], 0 offen offset:12
	buffer_load_dword v16, v9, s[0:3], 0 offen
	buffer_load_dword v17, v9, s[0:3], 0 offen offset:4
	ds_read_b128 v[10:13], v8
	v_add_nc_u32_e32 v7, 1, v7
	v_add_nc_u32_e32 v8, 16, v8
	;; [unrolled: 1-line block ×3, first 2 shown]
	v_cmp_lt_u32_e32 vcc_lo, 12, v7
	s_or_b32 s5, vcc_lo, s5
	s_waitcnt vmcnt(2) lgkmcnt(0)
	v_mul_f64 v[18:19], v[12:13], v[14:15]
	v_mul_f64 v[14:15], v[10:11], v[14:15]
	s_waitcnt vmcnt(0)
	v_fma_f64 v[10:11], v[10:11], v[16:17], -v[18:19]
	v_fma_f64 v[12:13], v[12:13], v[16:17], v[14:15]
	v_add_f64 v[3:4], v[3:4], v[10:11]
	v_add_f64 v[1:2], v[1:2], v[12:13]
	s_andn2_b32 exec_lo, exec_lo, s5
	s_cbranch_execnz .LBB54_69
; %bb.70:
	s_or_b32 exec_lo, exec_lo, s5
	v_mov_b32_e32 v7, 0
	ds_read_b128 v[7:10], v7 offset:224
	s_waitcnt lgkmcnt(0)
	v_mul_f64 v[11:12], v[1:2], v[9:10]
	v_mul_f64 v[9:10], v[3:4], v[9:10]
	v_fma_f64 v[3:4], v[3:4], v[7:8], -v[11:12]
	v_fma_f64 v[1:2], v[1:2], v[7:8], v[9:10]
	buffer_store_dword v4, off, s[0:3], 0 offset:244
	buffer_store_dword v3, off, s[0:3], 0 offset:240
	;; [unrolled: 1-line block ×4, first 2 shown]
.LBB54_71:
	s_or_b32 exec_lo, exec_lo, s4
	v_mov_b32_e32 v4, s52
	s_waitcnt_vscnt null, 0x0
	s_barrier
	buffer_gl0_inv
	s_mov_b32 s4, exec_lo
	s_clause 0x3
	buffer_load_dword v1, v4, s[0:3], 0 offen
	buffer_load_dword v2, v4, s[0:3], 0 offen offset:4
	buffer_load_dword v3, v4, s[0:3], 0 offen offset:8
	;; [unrolled: 1-line block ×3, first 2 shown]
	s_waitcnt vmcnt(0)
	ds_write_b128 v5, v[1:4]
	s_waitcnt lgkmcnt(0)
	s_barrier
	buffer_gl0_inv
	v_cmpx_gt_u32_e32 15, v0
	s_cbranch_execz .LBB54_75
; %bb.72:
	v_mov_b32_e32 v1, 0
	v_mov_b32_e32 v3, 0
	v_add_nc_u32_e32 v7, -1, v0
	v_add_nc_u32_e32 v8, 0x370, v225
	v_mov_b32_e32 v2, 0
	v_mov_b32_e32 v4, 0
	v_add_nc_u32_e32 v9, 16, v225
	s_mov_b32 s5, 0
	.p2align	6
.LBB54_73:                              ; =>This Inner Loop Header: Depth=1
	s_clause 0x3
	buffer_load_dword v14, v9, s[0:3], 0 offen offset:8
	buffer_load_dword v15, v9, s[0:3], 0 offen offset:12
	buffer_load_dword v16, v9, s[0:3], 0 offen
	buffer_load_dword v17, v9, s[0:3], 0 offen offset:4
	ds_read_b128 v[10:13], v8
	v_add_nc_u32_e32 v7, 1, v7
	v_add_nc_u32_e32 v8, 16, v8
	v_add_nc_u32_e32 v9, 16, v9
	v_cmp_lt_u32_e32 vcc_lo, 13, v7
	s_or_b32 s5, vcc_lo, s5
	s_waitcnt vmcnt(2) lgkmcnt(0)
	v_mul_f64 v[18:19], v[12:13], v[14:15]
	v_mul_f64 v[14:15], v[10:11], v[14:15]
	s_waitcnt vmcnt(0)
	v_fma_f64 v[10:11], v[10:11], v[16:17], -v[18:19]
	v_fma_f64 v[12:13], v[12:13], v[16:17], v[14:15]
	v_add_f64 v[3:4], v[3:4], v[10:11]
	v_add_f64 v[1:2], v[1:2], v[12:13]
	s_andn2_b32 exec_lo, exec_lo, s5
	s_cbranch_execnz .LBB54_73
; %bb.74:
	s_or_b32 exec_lo, exec_lo, s5
	v_mov_b32_e32 v7, 0
	ds_read_b128 v[7:10], v7 offset:240
	s_waitcnt lgkmcnt(0)
	v_mul_f64 v[11:12], v[1:2], v[9:10]
	v_mul_f64 v[9:10], v[3:4], v[9:10]
	v_fma_f64 v[3:4], v[3:4], v[7:8], -v[11:12]
	v_fma_f64 v[1:2], v[1:2], v[7:8], v[9:10]
	buffer_store_dword v4, off, s[0:3], 0 offset:260
	buffer_store_dword v3, off, s[0:3], 0 offset:256
	buffer_store_dword v2, off, s[0:3], 0 offset:268
	buffer_store_dword v1, off, s[0:3], 0 offset:264
.LBB54_75:
	s_or_b32 exec_lo, exec_lo, s4
	v_mov_b32_e32 v4, s51
	s_waitcnt_vscnt null, 0x0
	s_barrier
	buffer_gl0_inv
	s_mov_b32 s4, exec_lo
	s_clause 0x3
	buffer_load_dword v1, v4, s[0:3], 0 offen
	buffer_load_dword v2, v4, s[0:3], 0 offen offset:4
	buffer_load_dword v3, v4, s[0:3], 0 offen offset:8
	;; [unrolled: 1-line block ×3, first 2 shown]
	s_waitcnt vmcnt(0)
	ds_write_b128 v5, v[1:4]
	s_waitcnt lgkmcnt(0)
	s_barrier
	buffer_gl0_inv
	v_cmpx_gt_u32_e32 16, v0
	s_cbranch_execz .LBB54_79
; %bb.76:
	v_mov_b32_e32 v1, 0
	v_mov_b32_e32 v3, 0
	v_add_nc_u32_e32 v7, -1, v0
	v_add_nc_u32_e32 v8, 0x370, v225
	v_mov_b32_e32 v2, 0
	v_mov_b32_e32 v4, 0
	v_add_nc_u32_e32 v9, 16, v225
	s_mov_b32 s5, 0
	.p2align	6
.LBB54_77:                              ; =>This Inner Loop Header: Depth=1
	s_clause 0x3
	buffer_load_dword v14, v9, s[0:3], 0 offen offset:8
	buffer_load_dword v15, v9, s[0:3], 0 offen offset:12
	buffer_load_dword v16, v9, s[0:3], 0 offen
	buffer_load_dword v17, v9, s[0:3], 0 offen offset:4
	ds_read_b128 v[10:13], v8
	v_add_nc_u32_e32 v7, 1, v7
	v_add_nc_u32_e32 v8, 16, v8
	v_add_nc_u32_e32 v9, 16, v9
	v_cmp_lt_u32_e32 vcc_lo, 14, v7
	s_or_b32 s5, vcc_lo, s5
	s_waitcnt vmcnt(2) lgkmcnt(0)
	v_mul_f64 v[18:19], v[12:13], v[14:15]
	v_mul_f64 v[14:15], v[10:11], v[14:15]
	s_waitcnt vmcnt(0)
	v_fma_f64 v[10:11], v[10:11], v[16:17], -v[18:19]
	v_fma_f64 v[12:13], v[12:13], v[16:17], v[14:15]
	v_add_f64 v[3:4], v[3:4], v[10:11]
	v_add_f64 v[1:2], v[1:2], v[12:13]
	s_andn2_b32 exec_lo, exec_lo, s5
	s_cbranch_execnz .LBB54_77
; %bb.78:
	s_or_b32 exec_lo, exec_lo, s5
	v_mov_b32_e32 v7, 0
	ds_read_b128 v[7:10], v7 offset:256
	s_waitcnt lgkmcnt(0)
	v_mul_f64 v[11:12], v[1:2], v[9:10]
	v_mul_f64 v[9:10], v[3:4], v[9:10]
	v_fma_f64 v[3:4], v[3:4], v[7:8], -v[11:12]
	v_fma_f64 v[1:2], v[1:2], v[7:8], v[9:10]
	buffer_store_dword v4, off, s[0:3], 0 offset:276
	buffer_store_dword v3, off, s[0:3], 0 offset:272
	buffer_store_dword v2, off, s[0:3], 0 offset:284
	buffer_store_dword v1, off, s[0:3], 0 offset:280
.LBB54_79:
	s_or_b32 exec_lo, exec_lo, s4
	v_mov_b32_e32 v4, s50
	s_waitcnt_vscnt null, 0x0
	s_barrier
	buffer_gl0_inv
	s_mov_b32 s4, exec_lo
	s_clause 0x3
	buffer_load_dword v1, v4, s[0:3], 0 offen
	buffer_load_dword v2, v4, s[0:3], 0 offen offset:4
	buffer_load_dword v3, v4, s[0:3], 0 offen offset:8
	;; [unrolled: 1-line block ×3, first 2 shown]
	s_waitcnt vmcnt(0)
	ds_write_b128 v5, v[1:4]
	s_waitcnt lgkmcnt(0)
	s_barrier
	buffer_gl0_inv
	v_cmpx_gt_u32_e32 17, v0
	s_cbranch_execz .LBB54_83
; %bb.80:
	v_mov_b32_e32 v1, 0
	v_mov_b32_e32 v3, 0
	v_add_nc_u32_e32 v7, -1, v0
	v_add_nc_u32_e32 v8, 0x370, v225
	v_mov_b32_e32 v2, 0
	v_mov_b32_e32 v4, 0
	v_add_nc_u32_e32 v9, 16, v225
	s_mov_b32 s5, 0
	.p2align	6
.LBB54_81:                              ; =>This Inner Loop Header: Depth=1
	s_clause 0x3
	buffer_load_dword v14, v9, s[0:3], 0 offen offset:8
	buffer_load_dword v15, v9, s[0:3], 0 offen offset:12
	buffer_load_dword v16, v9, s[0:3], 0 offen
	buffer_load_dword v17, v9, s[0:3], 0 offen offset:4
	ds_read_b128 v[10:13], v8
	v_add_nc_u32_e32 v7, 1, v7
	v_add_nc_u32_e32 v8, 16, v8
	;; [unrolled: 1-line block ×3, first 2 shown]
	v_cmp_lt_u32_e32 vcc_lo, 15, v7
	s_or_b32 s5, vcc_lo, s5
	s_waitcnt vmcnt(2) lgkmcnt(0)
	v_mul_f64 v[18:19], v[12:13], v[14:15]
	v_mul_f64 v[14:15], v[10:11], v[14:15]
	s_waitcnt vmcnt(0)
	v_fma_f64 v[10:11], v[10:11], v[16:17], -v[18:19]
	v_fma_f64 v[12:13], v[12:13], v[16:17], v[14:15]
	v_add_f64 v[3:4], v[3:4], v[10:11]
	v_add_f64 v[1:2], v[1:2], v[12:13]
	s_andn2_b32 exec_lo, exec_lo, s5
	s_cbranch_execnz .LBB54_81
; %bb.82:
	s_or_b32 exec_lo, exec_lo, s5
	v_mov_b32_e32 v7, 0
	ds_read_b128 v[7:10], v7 offset:272
	s_waitcnt lgkmcnt(0)
	v_mul_f64 v[11:12], v[1:2], v[9:10]
	v_mul_f64 v[9:10], v[3:4], v[9:10]
	v_fma_f64 v[3:4], v[3:4], v[7:8], -v[11:12]
	v_fma_f64 v[1:2], v[1:2], v[7:8], v[9:10]
	buffer_store_dword v4, off, s[0:3], 0 offset:292
	buffer_store_dword v3, off, s[0:3], 0 offset:288
	;; [unrolled: 1-line block ×4, first 2 shown]
.LBB54_83:
	s_or_b32 exec_lo, exec_lo, s4
	v_mov_b32_e32 v4, s49
	s_waitcnt_vscnt null, 0x0
	s_barrier
	buffer_gl0_inv
	s_mov_b32 s4, exec_lo
	s_clause 0x3
	buffer_load_dword v1, v4, s[0:3], 0 offen
	buffer_load_dword v2, v4, s[0:3], 0 offen offset:4
	buffer_load_dword v3, v4, s[0:3], 0 offen offset:8
	buffer_load_dword v4, v4, s[0:3], 0 offen offset:12
	s_waitcnt vmcnt(0)
	ds_write_b128 v5, v[1:4]
	s_waitcnt lgkmcnt(0)
	s_barrier
	buffer_gl0_inv
	v_cmpx_gt_u32_e32 18, v0
	s_cbranch_execz .LBB54_87
; %bb.84:
	v_mov_b32_e32 v1, 0
	v_mov_b32_e32 v3, 0
	v_add_nc_u32_e32 v7, -1, v0
	v_add_nc_u32_e32 v8, 0x370, v225
	v_mov_b32_e32 v2, 0
	v_mov_b32_e32 v4, 0
	v_add_nc_u32_e32 v9, 16, v225
	s_mov_b32 s5, 0
	.p2align	6
.LBB54_85:                              ; =>This Inner Loop Header: Depth=1
	s_clause 0x3
	buffer_load_dword v14, v9, s[0:3], 0 offen offset:8
	buffer_load_dword v15, v9, s[0:3], 0 offen offset:12
	buffer_load_dword v16, v9, s[0:3], 0 offen
	buffer_load_dword v17, v9, s[0:3], 0 offen offset:4
	ds_read_b128 v[10:13], v8
	v_add_nc_u32_e32 v7, 1, v7
	v_add_nc_u32_e32 v8, 16, v8
	;; [unrolled: 1-line block ×3, first 2 shown]
	v_cmp_lt_u32_e32 vcc_lo, 16, v7
	s_or_b32 s5, vcc_lo, s5
	s_waitcnt vmcnt(2) lgkmcnt(0)
	v_mul_f64 v[18:19], v[12:13], v[14:15]
	v_mul_f64 v[14:15], v[10:11], v[14:15]
	s_waitcnt vmcnt(0)
	v_fma_f64 v[10:11], v[10:11], v[16:17], -v[18:19]
	v_fma_f64 v[12:13], v[12:13], v[16:17], v[14:15]
	v_add_f64 v[3:4], v[3:4], v[10:11]
	v_add_f64 v[1:2], v[1:2], v[12:13]
	s_andn2_b32 exec_lo, exec_lo, s5
	s_cbranch_execnz .LBB54_85
; %bb.86:
	s_or_b32 exec_lo, exec_lo, s5
	v_mov_b32_e32 v7, 0
	ds_read_b128 v[7:10], v7 offset:288
	s_waitcnt lgkmcnt(0)
	v_mul_f64 v[11:12], v[1:2], v[9:10]
	v_mul_f64 v[9:10], v[3:4], v[9:10]
	v_fma_f64 v[3:4], v[3:4], v[7:8], -v[11:12]
	v_fma_f64 v[1:2], v[1:2], v[7:8], v[9:10]
	buffer_store_dword v4, off, s[0:3], 0 offset:308
	buffer_store_dword v3, off, s[0:3], 0 offset:304
	;; [unrolled: 1-line block ×4, first 2 shown]
.LBB54_87:
	s_or_b32 exec_lo, exec_lo, s4
	v_mov_b32_e32 v4, s48
	s_waitcnt_vscnt null, 0x0
	s_barrier
	buffer_gl0_inv
	s_mov_b32 s4, exec_lo
	s_clause 0x3
	buffer_load_dword v1, v4, s[0:3], 0 offen
	buffer_load_dword v2, v4, s[0:3], 0 offen offset:4
	buffer_load_dword v3, v4, s[0:3], 0 offen offset:8
	;; [unrolled: 1-line block ×3, first 2 shown]
	s_waitcnt vmcnt(0)
	ds_write_b128 v5, v[1:4]
	s_waitcnt lgkmcnt(0)
	s_barrier
	buffer_gl0_inv
	v_cmpx_gt_u32_e32 19, v0
	s_cbranch_execz .LBB54_91
; %bb.88:
	v_mov_b32_e32 v1, 0
	v_mov_b32_e32 v3, 0
	v_add_nc_u32_e32 v7, -1, v0
	v_add_nc_u32_e32 v8, 0x370, v225
	v_mov_b32_e32 v2, 0
	v_mov_b32_e32 v4, 0
	v_add_nc_u32_e32 v9, 16, v225
	s_mov_b32 s5, 0
	.p2align	6
.LBB54_89:                              ; =>This Inner Loop Header: Depth=1
	s_clause 0x3
	buffer_load_dword v14, v9, s[0:3], 0 offen offset:8
	buffer_load_dword v15, v9, s[0:3], 0 offen offset:12
	buffer_load_dword v16, v9, s[0:3], 0 offen
	buffer_load_dword v17, v9, s[0:3], 0 offen offset:4
	ds_read_b128 v[10:13], v8
	v_add_nc_u32_e32 v7, 1, v7
	v_add_nc_u32_e32 v8, 16, v8
	;; [unrolled: 1-line block ×3, first 2 shown]
	v_cmp_lt_u32_e32 vcc_lo, 17, v7
	s_or_b32 s5, vcc_lo, s5
	s_waitcnt vmcnt(2) lgkmcnt(0)
	v_mul_f64 v[18:19], v[12:13], v[14:15]
	v_mul_f64 v[14:15], v[10:11], v[14:15]
	s_waitcnt vmcnt(0)
	v_fma_f64 v[10:11], v[10:11], v[16:17], -v[18:19]
	v_fma_f64 v[12:13], v[12:13], v[16:17], v[14:15]
	v_add_f64 v[3:4], v[3:4], v[10:11]
	v_add_f64 v[1:2], v[1:2], v[12:13]
	s_andn2_b32 exec_lo, exec_lo, s5
	s_cbranch_execnz .LBB54_89
; %bb.90:
	s_or_b32 exec_lo, exec_lo, s5
	v_mov_b32_e32 v7, 0
	ds_read_b128 v[7:10], v7 offset:304
	s_waitcnt lgkmcnt(0)
	v_mul_f64 v[11:12], v[1:2], v[9:10]
	v_mul_f64 v[9:10], v[3:4], v[9:10]
	v_fma_f64 v[3:4], v[3:4], v[7:8], -v[11:12]
	v_fma_f64 v[1:2], v[1:2], v[7:8], v[9:10]
	buffer_store_dword v4, off, s[0:3], 0 offset:324
	buffer_store_dword v3, off, s[0:3], 0 offset:320
	;; [unrolled: 1-line block ×4, first 2 shown]
.LBB54_91:
	s_or_b32 exec_lo, exec_lo, s4
	v_mov_b32_e32 v4, s47
	s_waitcnt_vscnt null, 0x0
	s_barrier
	buffer_gl0_inv
	s_mov_b32 s4, exec_lo
	s_clause 0x3
	buffer_load_dword v1, v4, s[0:3], 0 offen
	buffer_load_dword v2, v4, s[0:3], 0 offen offset:4
	buffer_load_dword v3, v4, s[0:3], 0 offen offset:8
	;; [unrolled: 1-line block ×3, first 2 shown]
	s_waitcnt vmcnt(0)
	ds_write_b128 v5, v[1:4]
	s_waitcnt lgkmcnt(0)
	s_barrier
	buffer_gl0_inv
	v_cmpx_gt_u32_e32 20, v0
	s_cbranch_execz .LBB54_95
; %bb.92:
	v_mov_b32_e32 v1, 0
	v_mov_b32_e32 v3, 0
	v_add_nc_u32_e32 v7, -1, v0
	v_add_nc_u32_e32 v8, 0x370, v225
	v_mov_b32_e32 v2, 0
	v_mov_b32_e32 v4, 0
	v_add_nc_u32_e32 v9, 16, v225
	s_mov_b32 s5, 0
	.p2align	6
.LBB54_93:                              ; =>This Inner Loop Header: Depth=1
	s_clause 0x3
	buffer_load_dword v14, v9, s[0:3], 0 offen offset:8
	buffer_load_dword v15, v9, s[0:3], 0 offen offset:12
	buffer_load_dword v16, v9, s[0:3], 0 offen
	buffer_load_dword v17, v9, s[0:3], 0 offen offset:4
	ds_read_b128 v[10:13], v8
	v_add_nc_u32_e32 v7, 1, v7
	v_add_nc_u32_e32 v8, 16, v8
	;; [unrolled: 1-line block ×3, first 2 shown]
	v_cmp_lt_u32_e32 vcc_lo, 18, v7
	s_or_b32 s5, vcc_lo, s5
	s_waitcnt vmcnt(2) lgkmcnt(0)
	v_mul_f64 v[18:19], v[12:13], v[14:15]
	v_mul_f64 v[14:15], v[10:11], v[14:15]
	s_waitcnt vmcnt(0)
	v_fma_f64 v[10:11], v[10:11], v[16:17], -v[18:19]
	v_fma_f64 v[12:13], v[12:13], v[16:17], v[14:15]
	v_add_f64 v[3:4], v[3:4], v[10:11]
	v_add_f64 v[1:2], v[1:2], v[12:13]
	s_andn2_b32 exec_lo, exec_lo, s5
	s_cbranch_execnz .LBB54_93
; %bb.94:
	s_or_b32 exec_lo, exec_lo, s5
	v_mov_b32_e32 v7, 0
	ds_read_b128 v[7:10], v7 offset:320
	s_waitcnt lgkmcnt(0)
	v_mul_f64 v[11:12], v[1:2], v[9:10]
	v_mul_f64 v[9:10], v[3:4], v[9:10]
	v_fma_f64 v[3:4], v[3:4], v[7:8], -v[11:12]
	v_fma_f64 v[1:2], v[1:2], v[7:8], v[9:10]
	buffer_store_dword v4, off, s[0:3], 0 offset:340
	buffer_store_dword v3, off, s[0:3], 0 offset:336
	;; [unrolled: 1-line block ×4, first 2 shown]
.LBB54_95:
	s_or_b32 exec_lo, exec_lo, s4
	v_mov_b32_e32 v4, s46
	s_waitcnt_vscnt null, 0x0
	s_barrier
	buffer_gl0_inv
	s_mov_b32 s4, exec_lo
	s_clause 0x3
	buffer_load_dword v1, v4, s[0:3], 0 offen
	buffer_load_dword v2, v4, s[0:3], 0 offen offset:4
	buffer_load_dword v3, v4, s[0:3], 0 offen offset:8
	;; [unrolled: 1-line block ×3, first 2 shown]
	s_waitcnt vmcnt(0)
	ds_write_b128 v5, v[1:4]
	s_waitcnt lgkmcnt(0)
	s_barrier
	buffer_gl0_inv
	v_cmpx_gt_u32_e32 21, v0
	s_cbranch_execz .LBB54_99
; %bb.96:
	v_mov_b32_e32 v1, 0
	v_mov_b32_e32 v3, 0
	v_add_nc_u32_e32 v7, -1, v0
	v_add_nc_u32_e32 v8, 0x370, v225
	v_mov_b32_e32 v2, 0
	v_mov_b32_e32 v4, 0
	v_add_nc_u32_e32 v9, 16, v225
	s_mov_b32 s5, 0
	.p2align	6
.LBB54_97:                              ; =>This Inner Loop Header: Depth=1
	s_clause 0x3
	buffer_load_dword v14, v9, s[0:3], 0 offen offset:8
	buffer_load_dword v15, v9, s[0:3], 0 offen offset:12
	buffer_load_dword v16, v9, s[0:3], 0 offen
	buffer_load_dword v17, v9, s[0:3], 0 offen offset:4
	ds_read_b128 v[10:13], v8
	v_add_nc_u32_e32 v7, 1, v7
	v_add_nc_u32_e32 v8, 16, v8
	;; [unrolled: 1-line block ×3, first 2 shown]
	v_cmp_lt_u32_e32 vcc_lo, 19, v7
	s_or_b32 s5, vcc_lo, s5
	s_waitcnt vmcnt(2) lgkmcnt(0)
	v_mul_f64 v[18:19], v[12:13], v[14:15]
	v_mul_f64 v[14:15], v[10:11], v[14:15]
	s_waitcnt vmcnt(0)
	v_fma_f64 v[10:11], v[10:11], v[16:17], -v[18:19]
	v_fma_f64 v[12:13], v[12:13], v[16:17], v[14:15]
	v_add_f64 v[3:4], v[3:4], v[10:11]
	v_add_f64 v[1:2], v[1:2], v[12:13]
	s_andn2_b32 exec_lo, exec_lo, s5
	s_cbranch_execnz .LBB54_97
; %bb.98:
	s_or_b32 exec_lo, exec_lo, s5
	v_mov_b32_e32 v7, 0
	ds_read_b128 v[7:10], v7 offset:336
	s_waitcnt lgkmcnt(0)
	v_mul_f64 v[11:12], v[1:2], v[9:10]
	v_mul_f64 v[9:10], v[3:4], v[9:10]
	v_fma_f64 v[3:4], v[3:4], v[7:8], -v[11:12]
	v_fma_f64 v[1:2], v[1:2], v[7:8], v[9:10]
	buffer_store_dword v4, off, s[0:3], 0 offset:356
	buffer_store_dword v3, off, s[0:3], 0 offset:352
	buffer_store_dword v2, off, s[0:3], 0 offset:364
	buffer_store_dword v1, off, s[0:3], 0 offset:360
.LBB54_99:
	s_or_b32 exec_lo, exec_lo, s4
	v_mov_b32_e32 v4, s45
	s_waitcnt_vscnt null, 0x0
	s_barrier
	buffer_gl0_inv
	s_mov_b32 s4, exec_lo
	s_clause 0x3
	buffer_load_dword v1, v4, s[0:3], 0 offen
	buffer_load_dword v2, v4, s[0:3], 0 offen offset:4
	buffer_load_dword v3, v4, s[0:3], 0 offen offset:8
	;; [unrolled: 1-line block ×3, first 2 shown]
	s_waitcnt vmcnt(0)
	ds_write_b128 v5, v[1:4]
	s_waitcnt lgkmcnt(0)
	s_barrier
	buffer_gl0_inv
	v_cmpx_gt_u32_e32 22, v0
	s_cbranch_execz .LBB54_103
; %bb.100:
	v_mov_b32_e32 v1, 0
	v_mov_b32_e32 v3, 0
	v_add_nc_u32_e32 v7, -1, v0
	v_add_nc_u32_e32 v8, 0x370, v225
	v_mov_b32_e32 v2, 0
	v_mov_b32_e32 v4, 0
	v_add_nc_u32_e32 v9, 16, v225
	s_mov_b32 s5, 0
	.p2align	6
.LBB54_101:                             ; =>This Inner Loop Header: Depth=1
	s_clause 0x3
	buffer_load_dword v14, v9, s[0:3], 0 offen offset:8
	buffer_load_dword v15, v9, s[0:3], 0 offen offset:12
	buffer_load_dword v16, v9, s[0:3], 0 offen
	buffer_load_dword v17, v9, s[0:3], 0 offen offset:4
	ds_read_b128 v[10:13], v8
	v_add_nc_u32_e32 v7, 1, v7
	v_add_nc_u32_e32 v8, 16, v8
	;; [unrolled: 1-line block ×3, first 2 shown]
	v_cmp_lt_u32_e32 vcc_lo, 20, v7
	s_or_b32 s5, vcc_lo, s5
	s_waitcnt vmcnt(2) lgkmcnt(0)
	v_mul_f64 v[18:19], v[12:13], v[14:15]
	v_mul_f64 v[14:15], v[10:11], v[14:15]
	s_waitcnt vmcnt(0)
	v_fma_f64 v[10:11], v[10:11], v[16:17], -v[18:19]
	v_fma_f64 v[12:13], v[12:13], v[16:17], v[14:15]
	v_add_f64 v[3:4], v[3:4], v[10:11]
	v_add_f64 v[1:2], v[1:2], v[12:13]
	s_andn2_b32 exec_lo, exec_lo, s5
	s_cbranch_execnz .LBB54_101
; %bb.102:
	s_or_b32 exec_lo, exec_lo, s5
	v_mov_b32_e32 v7, 0
	ds_read_b128 v[7:10], v7 offset:352
	s_waitcnt lgkmcnt(0)
	v_mul_f64 v[11:12], v[1:2], v[9:10]
	v_mul_f64 v[9:10], v[3:4], v[9:10]
	v_fma_f64 v[3:4], v[3:4], v[7:8], -v[11:12]
	v_fma_f64 v[1:2], v[1:2], v[7:8], v[9:10]
	buffer_store_dword v4, off, s[0:3], 0 offset:372
	buffer_store_dword v3, off, s[0:3], 0 offset:368
	;; [unrolled: 1-line block ×4, first 2 shown]
.LBB54_103:
	s_or_b32 exec_lo, exec_lo, s4
	v_mov_b32_e32 v4, s44
	s_waitcnt_vscnt null, 0x0
	s_barrier
	buffer_gl0_inv
	s_mov_b32 s4, exec_lo
	s_clause 0x3
	buffer_load_dword v1, v4, s[0:3], 0 offen
	buffer_load_dword v2, v4, s[0:3], 0 offen offset:4
	buffer_load_dword v3, v4, s[0:3], 0 offen offset:8
	;; [unrolled: 1-line block ×3, first 2 shown]
	s_waitcnt vmcnt(0)
	ds_write_b128 v5, v[1:4]
	s_waitcnt lgkmcnt(0)
	s_barrier
	buffer_gl0_inv
	v_cmpx_gt_u32_e32 23, v0
	s_cbranch_execz .LBB54_107
; %bb.104:
	v_mov_b32_e32 v1, 0
	v_mov_b32_e32 v3, 0
	v_add_nc_u32_e32 v7, -1, v0
	v_add_nc_u32_e32 v8, 0x370, v225
	v_mov_b32_e32 v2, 0
	v_mov_b32_e32 v4, 0
	v_add_nc_u32_e32 v9, 16, v225
	s_mov_b32 s5, 0
	.p2align	6
.LBB54_105:                             ; =>This Inner Loop Header: Depth=1
	s_clause 0x3
	buffer_load_dword v14, v9, s[0:3], 0 offen offset:8
	buffer_load_dword v15, v9, s[0:3], 0 offen offset:12
	buffer_load_dword v16, v9, s[0:3], 0 offen
	buffer_load_dword v17, v9, s[0:3], 0 offen offset:4
	ds_read_b128 v[10:13], v8
	v_add_nc_u32_e32 v7, 1, v7
	v_add_nc_u32_e32 v8, 16, v8
	;; [unrolled: 1-line block ×3, first 2 shown]
	v_cmp_lt_u32_e32 vcc_lo, 21, v7
	s_or_b32 s5, vcc_lo, s5
	s_waitcnt vmcnt(2) lgkmcnt(0)
	v_mul_f64 v[18:19], v[12:13], v[14:15]
	v_mul_f64 v[14:15], v[10:11], v[14:15]
	s_waitcnt vmcnt(0)
	v_fma_f64 v[10:11], v[10:11], v[16:17], -v[18:19]
	v_fma_f64 v[12:13], v[12:13], v[16:17], v[14:15]
	v_add_f64 v[3:4], v[3:4], v[10:11]
	v_add_f64 v[1:2], v[1:2], v[12:13]
	s_andn2_b32 exec_lo, exec_lo, s5
	s_cbranch_execnz .LBB54_105
; %bb.106:
	s_or_b32 exec_lo, exec_lo, s5
	v_mov_b32_e32 v7, 0
	ds_read_b128 v[7:10], v7 offset:368
	s_waitcnt lgkmcnt(0)
	v_mul_f64 v[11:12], v[1:2], v[9:10]
	v_mul_f64 v[9:10], v[3:4], v[9:10]
	v_fma_f64 v[3:4], v[3:4], v[7:8], -v[11:12]
	v_fma_f64 v[1:2], v[1:2], v[7:8], v[9:10]
	buffer_store_dword v4, off, s[0:3], 0 offset:388
	buffer_store_dword v3, off, s[0:3], 0 offset:384
	;; [unrolled: 1-line block ×4, first 2 shown]
.LBB54_107:
	s_or_b32 exec_lo, exec_lo, s4
	v_mov_b32_e32 v4, s43
	s_waitcnt_vscnt null, 0x0
	s_barrier
	buffer_gl0_inv
	s_mov_b32 s4, exec_lo
	s_clause 0x3
	buffer_load_dword v1, v4, s[0:3], 0 offen
	buffer_load_dword v2, v4, s[0:3], 0 offen offset:4
	buffer_load_dword v3, v4, s[0:3], 0 offen offset:8
	;; [unrolled: 1-line block ×3, first 2 shown]
	s_waitcnt vmcnt(0)
	ds_write_b128 v5, v[1:4]
	s_waitcnt lgkmcnt(0)
	s_barrier
	buffer_gl0_inv
	v_cmpx_gt_u32_e32 24, v0
	s_cbranch_execz .LBB54_111
; %bb.108:
	v_mov_b32_e32 v1, 0
	v_mov_b32_e32 v3, 0
	v_add_nc_u32_e32 v7, -1, v0
	v_add_nc_u32_e32 v8, 0x370, v225
	v_mov_b32_e32 v2, 0
	v_mov_b32_e32 v4, 0
	v_add_nc_u32_e32 v9, 16, v225
	s_mov_b32 s5, 0
	.p2align	6
.LBB54_109:                             ; =>This Inner Loop Header: Depth=1
	s_clause 0x3
	buffer_load_dword v14, v9, s[0:3], 0 offen offset:8
	buffer_load_dword v15, v9, s[0:3], 0 offen offset:12
	buffer_load_dword v16, v9, s[0:3], 0 offen
	buffer_load_dword v17, v9, s[0:3], 0 offen offset:4
	ds_read_b128 v[10:13], v8
	v_add_nc_u32_e32 v7, 1, v7
	v_add_nc_u32_e32 v8, 16, v8
	;; [unrolled: 1-line block ×3, first 2 shown]
	v_cmp_lt_u32_e32 vcc_lo, 22, v7
	s_or_b32 s5, vcc_lo, s5
	s_waitcnt vmcnt(2) lgkmcnt(0)
	v_mul_f64 v[18:19], v[12:13], v[14:15]
	v_mul_f64 v[14:15], v[10:11], v[14:15]
	s_waitcnt vmcnt(0)
	v_fma_f64 v[10:11], v[10:11], v[16:17], -v[18:19]
	v_fma_f64 v[12:13], v[12:13], v[16:17], v[14:15]
	v_add_f64 v[3:4], v[3:4], v[10:11]
	v_add_f64 v[1:2], v[1:2], v[12:13]
	s_andn2_b32 exec_lo, exec_lo, s5
	s_cbranch_execnz .LBB54_109
; %bb.110:
	s_or_b32 exec_lo, exec_lo, s5
	v_mov_b32_e32 v7, 0
	ds_read_b128 v[7:10], v7 offset:384
	s_waitcnt lgkmcnt(0)
	v_mul_f64 v[11:12], v[1:2], v[9:10]
	v_mul_f64 v[9:10], v[3:4], v[9:10]
	v_fma_f64 v[3:4], v[3:4], v[7:8], -v[11:12]
	v_fma_f64 v[1:2], v[1:2], v[7:8], v[9:10]
	buffer_store_dword v4, off, s[0:3], 0 offset:404
	buffer_store_dword v3, off, s[0:3], 0 offset:400
	;; [unrolled: 1-line block ×4, first 2 shown]
.LBB54_111:
	s_or_b32 exec_lo, exec_lo, s4
	v_mov_b32_e32 v4, s42
	s_waitcnt_vscnt null, 0x0
	s_barrier
	buffer_gl0_inv
	s_mov_b32 s4, exec_lo
	s_clause 0x3
	buffer_load_dword v1, v4, s[0:3], 0 offen
	buffer_load_dword v2, v4, s[0:3], 0 offen offset:4
	buffer_load_dword v3, v4, s[0:3], 0 offen offset:8
	;; [unrolled: 1-line block ×3, first 2 shown]
	s_waitcnt vmcnt(0)
	ds_write_b128 v5, v[1:4]
	s_waitcnt lgkmcnt(0)
	s_barrier
	buffer_gl0_inv
	v_cmpx_gt_u32_e32 25, v0
	s_cbranch_execz .LBB54_115
; %bb.112:
	v_mov_b32_e32 v1, 0
	v_mov_b32_e32 v3, 0
	v_add_nc_u32_e32 v7, -1, v0
	v_add_nc_u32_e32 v8, 0x370, v225
	v_mov_b32_e32 v2, 0
	v_mov_b32_e32 v4, 0
	v_add_nc_u32_e32 v9, 16, v225
	s_mov_b32 s5, 0
	.p2align	6
.LBB54_113:                             ; =>This Inner Loop Header: Depth=1
	s_clause 0x3
	buffer_load_dword v14, v9, s[0:3], 0 offen offset:8
	buffer_load_dword v15, v9, s[0:3], 0 offen offset:12
	buffer_load_dword v16, v9, s[0:3], 0 offen
	buffer_load_dword v17, v9, s[0:3], 0 offen offset:4
	ds_read_b128 v[10:13], v8
	v_add_nc_u32_e32 v7, 1, v7
	v_add_nc_u32_e32 v8, 16, v8
	;; [unrolled: 1-line block ×3, first 2 shown]
	v_cmp_lt_u32_e32 vcc_lo, 23, v7
	s_or_b32 s5, vcc_lo, s5
	s_waitcnt vmcnt(2) lgkmcnt(0)
	v_mul_f64 v[18:19], v[12:13], v[14:15]
	v_mul_f64 v[14:15], v[10:11], v[14:15]
	s_waitcnt vmcnt(0)
	v_fma_f64 v[10:11], v[10:11], v[16:17], -v[18:19]
	v_fma_f64 v[12:13], v[12:13], v[16:17], v[14:15]
	v_add_f64 v[3:4], v[3:4], v[10:11]
	v_add_f64 v[1:2], v[1:2], v[12:13]
	s_andn2_b32 exec_lo, exec_lo, s5
	s_cbranch_execnz .LBB54_113
; %bb.114:
	s_or_b32 exec_lo, exec_lo, s5
	v_mov_b32_e32 v7, 0
	ds_read_b128 v[7:10], v7 offset:400
	s_waitcnt lgkmcnt(0)
	v_mul_f64 v[11:12], v[1:2], v[9:10]
	v_mul_f64 v[9:10], v[3:4], v[9:10]
	v_fma_f64 v[3:4], v[3:4], v[7:8], -v[11:12]
	v_fma_f64 v[1:2], v[1:2], v[7:8], v[9:10]
	buffer_store_dword v4, off, s[0:3], 0 offset:420
	buffer_store_dword v3, off, s[0:3], 0 offset:416
	buffer_store_dword v2, off, s[0:3], 0 offset:428
	buffer_store_dword v1, off, s[0:3], 0 offset:424
.LBB54_115:
	s_or_b32 exec_lo, exec_lo, s4
	v_mov_b32_e32 v4, s41
	s_waitcnt_vscnt null, 0x0
	s_barrier
	buffer_gl0_inv
	s_mov_b32 s4, exec_lo
	s_clause 0x3
	buffer_load_dword v1, v4, s[0:3], 0 offen
	buffer_load_dword v2, v4, s[0:3], 0 offen offset:4
	buffer_load_dword v3, v4, s[0:3], 0 offen offset:8
	;; [unrolled: 1-line block ×3, first 2 shown]
	s_waitcnt vmcnt(0)
	ds_write_b128 v5, v[1:4]
	s_waitcnt lgkmcnt(0)
	s_barrier
	buffer_gl0_inv
	v_cmpx_gt_u32_e32 26, v0
	s_cbranch_execz .LBB54_119
; %bb.116:
	v_mov_b32_e32 v1, 0
	v_mov_b32_e32 v3, 0
	v_add_nc_u32_e32 v7, -1, v0
	v_add_nc_u32_e32 v8, 0x370, v225
	v_mov_b32_e32 v2, 0
	v_mov_b32_e32 v4, 0
	v_add_nc_u32_e32 v9, 16, v225
	s_mov_b32 s5, 0
	.p2align	6
.LBB54_117:                             ; =>This Inner Loop Header: Depth=1
	s_clause 0x3
	buffer_load_dword v14, v9, s[0:3], 0 offen offset:8
	buffer_load_dword v15, v9, s[0:3], 0 offen offset:12
	buffer_load_dword v16, v9, s[0:3], 0 offen
	buffer_load_dword v17, v9, s[0:3], 0 offen offset:4
	ds_read_b128 v[10:13], v8
	v_add_nc_u32_e32 v7, 1, v7
	v_add_nc_u32_e32 v8, 16, v8
	;; [unrolled: 1-line block ×3, first 2 shown]
	v_cmp_lt_u32_e32 vcc_lo, 24, v7
	s_or_b32 s5, vcc_lo, s5
	s_waitcnt vmcnt(2) lgkmcnt(0)
	v_mul_f64 v[18:19], v[12:13], v[14:15]
	v_mul_f64 v[14:15], v[10:11], v[14:15]
	s_waitcnt vmcnt(0)
	v_fma_f64 v[10:11], v[10:11], v[16:17], -v[18:19]
	v_fma_f64 v[12:13], v[12:13], v[16:17], v[14:15]
	v_add_f64 v[3:4], v[3:4], v[10:11]
	v_add_f64 v[1:2], v[1:2], v[12:13]
	s_andn2_b32 exec_lo, exec_lo, s5
	s_cbranch_execnz .LBB54_117
; %bb.118:
	s_or_b32 exec_lo, exec_lo, s5
	v_mov_b32_e32 v7, 0
	ds_read_b128 v[7:10], v7 offset:416
	s_waitcnt lgkmcnt(0)
	v_mul_f64 v[11:12], v[1:2], v[9:10]
	v_mul_f64 v[9:10], v[3:4], v[9:10]
	v_fma_f64 v[3:4], v[3:4], v[7:8], -v[11:12]
	v_fma_f64 v[1:2], v[1:2], v[7:8], v[9:10]
	buffer_store_dword v4, off, s[0:3], 0 offset:436
	buffer_store_dword v3, off, s[0:3], 0 offset:432
	;; [unrolled: 1-line block ×4, first 2 shown]
.LBB54_119:
	s_or_b32 exec_lo, exec_lo, s4
	v_mov_b32_e32 v4, s40
	s_waitcnt_vscnt null, 0x0
	s_barrier
	buffer_gl0_inv
	s_mov_b32 s4, exec_lo
	s_clause 0x3
	buffer_load_dword v1, v4, s[0:3], 0 offen
	buffer_load_dword v2, v4, s[0:3], 0 offen offset:4
	buffer_load_dword v3, v4, s[0:3], 0 offen offset:8
	;; [unrolled: 1-line block ×3, first 2 shown]
	s_waitcnt vmcnt(0)
	ds_write_b128 v5, v[1:4]
	s_waitcnt lgkmcnt(0)
	s_barrier
	buffer_gl0_inv
	v_cmpx_gt_u32_e32 27, v0
	s_cbranch_execz .LBB54_123
; %bb.120:
	v_mov_b32_e32 v1, 0
	v_mov_b32_e32 v3, 0
	v_add_nc_u32_e32 v7, -1, v0
	v_add_nc_u32_e32 v8, 0x370, v225
	v_mov_b32_e32 v2, 0
	v_mov_b32_e32 v4, 0
	v_add_nc_u32_e32 v9, 16, v225
	s_mov_b32 s5, 0
	.p2align	6
.LBB54_121:                             ; =>This Inner Loop Header: Depth=1
	s_clause 0x3
	buffer_load_dword v14, v9, s[0:3], 0 offen offset:8
	buffer_load_dword v15, v9, s[0:3], 0 offen offset:12
	buffer_load_dword v16, v9, s[0:3], 0 offen
	buffer_load_dword v17, v9, s[0:3], 0 offen offset:4
	ds_read_b128 v[10:13], v8
	v_add_nc_u32_e32 v7, 1, v7
	v_add_nc_u32_e32 v8, 16, v8
	v_add_nc_u32_e32 v9, 16, v9
	v_cmp_lt_u32_e32 vcc_lo, 25, v7
	s_or_b32 s5, vcc_lo, s5
	s_waitcnt vmcnt(2) lgkmcnt(0)
	v_mul_f64 v[18:19], v[12:13], v[14:15]
	v_mul_f64 v[14:15], v[10:11], v[14:15]
	s_waitcnt vmcnt(0)
	v_fma_f64 v[10:11], v[10:11], v[16:17], -v[18:19]
	v_fma_f64 v[12:13], v[12:13], v[16:17], v[14:15]
	v_add_f64 v[3:4], v[3:4], v[10:11]
	v_add_f64 v[1:2], v[1:2], v[12:13]
	s_andn2_b32 exec_lo, exec_lo, s5
	s_cbranch_execnz .LBB54_121
; %bb.122:
	s_or_b32 exec_lo, exec_lo, s5
	v_mov_b32_e32 v7, 0
	ds_read_b128 v[7:10], v7 offset:432
	s_waitcnt lgkmcnt(0)
	v_mul_f64 v[11:12], v[1:2], v[9:10]
	v_mul_f64 v[9:10], v[3:4], v[9:10]
	v_fma_f64 v[3:4], v[3:4], v[7:8], -v[11:12]
	v_fma_f64 v[1:2], v[1:2], v[7:8], v[9:10]
	buffer_store_dword v4, off, s[0:3], 0 offset:452
	buffer_store_dword v3, off, s[0:3], 0 offset:448
	;; [unrolled: 1-line block ×4, first 2 shown]
.LBB54_123:
	s_or_b32 exec_lo, exec_lo, s4
	v_mov_b32_e32 v4, s39
	s_waitcnt_vscnt null, 0x0
	s_barrier
	buffer_gl0_inv
	s_mov_b32 s4, exec_lo
	s_clause 0x3
	buffer_load_dword v1, v4, s[0:3], 0 offen
	buffer_load_dword v2, v4, s[0:3], 0 offen offset:4
	buffer_load_dword v3, v4, s[0:3], 0 offen offset:8
	;; [unrolled: 1-line block ×3, first 2 shown]
	s_waitcnt vmcnt(0)
	ds_write_b128 v5, v[1:4]
	s_waitcnt lgkmcnt(0)
	s_barrier
	buffer_gl0_inv
	v_cmpx_gt_u32_e32 28, v0
	s_cbranch_execz .LBB54_127
; %bb.124:
	v_mov_b32_e32 v1, 0
	v_mov_b32_e32 v3, 0
	v_add_nc_u32_e32 v7, -1, v0
	v_add_nc_u32_e32 v8, 0x370, v225
	v_mov_b32_e32 v2, 0
	v_mov_b32_e32 v4, 0
	v_add_nc_u32_e32 v9, 16, v225
	s_mov_b32 s5, 0
	.p2align	6
.LBB54_125:                             ; =>This Inner Loop Header: Depth=1
	s_clause 0x3
	buffer_load_dword v14, v9, s[0:3], 0 offen offset:8
	buffer_load_dword v15, v9, s[0:3], 0 offen offset:12
	buffer_load_dword v16, v9, s[0:3], 0 offen
	buffer_load_dword v17, v9, s[0:3], 0 offen offset:4
	ds_read_b128 v[10:13], v8
	v_add_nc_u32_e32 v7, 1, v7
	v_add_nc_u32_e32 v8, 16, v8
	;; [unrolled: 1-line block ×3, first 2 shown]
	v_cmp_lt_u32_e32 vcc_lo, 26, v7
	s_or_b32 s5, vcc_lo, s5
	s_waitcnt vmcnt(2) lgkmcnt(0)
	v_mul_f64 v[18:19], v[12:13], v[14:15]
	v_mul_f64 v[14:15], v[10:11], v[14:15]
	s_waitcnt vmcnt(0)
	v_fma_f64 v[10:11], v[10:11], v[16:17], -v[18:19]
	v_fma_f64 v[12:13], v[12:13], v[16:17], v[14:15]
	v_add_f64 v[3:4], v[3:4], v[10:11]
	v_add_f64 v[1:2], v[1:2], v[12:13]
	s_andn2_b32 exec_lo, exec_lo, s5
	s_cbranch_execnz .LBB54_125
; %bb.126:
	s_or_b32 exec_lo, exec_lo, s5
	v_mov_b32_e32 v7, 0
	ds_read_b128 v[7:10], v7 offset:448
	s_waitcnt lgkmcnt(0)
	v_mul_f64 v[11:12], v[1:2], v[9:10]
	v_mul_f64 v[9:10], v[3:4], v[9:10]
	v_fma_f64 v[3:4], v[3:4], v[7:8], -v[11:12]
	v_fma_f64 v[1:2], v[1:2], v[7:8], v[9:10]
	buffer_store_dword v4, off, s[0:3], 0 offset:468
	buffer_store_dword v3, off, s[0:3], 0 offset:464
	;; [unrolled: 1-line block ×4, first 2 shown]
.LBB54_127:
	s_or_b32 exec_lo, exec_lo, s4
	v_mov_b32_e32 v4, s38
	s_waitcnt_vscnt null, 0x0
	s_barrier
	buffer_gl0_inv
	s_mov_b32 s4, exec_lo
	s_clause 0x3
	buffer_load_dword v1, v4, s[0:3], 0 offen
	buffer_load_dword v2, v4, s[0:3], 0 offen offset:4
	buffer_load_dword v3, v4, s[0:3], 0 offen offset:8
	;; [unrolled: 1-line block ×3, first 2 shown]
	s_waitcnt vmcnt(0)
	ds_write_b128 v5, v[1:4]
	s_waitcnt lgkmcnt(0)
	s_barrier
	buffer_gl0_inv
	v_cmpx_gt_u32_e32 29, v0
	s_cbranch_execz .LBB54_131
; %bb.128:
	v_mov_b32_e32 v1, 0
	v_mov_b32_e32 v3, 0
	v_add_nc_u32_e32 v7, -1, v0
	v_add_nc_u32_e32 v8, 0x370, v225
	v_mov_b32_e32 v2, 0
	v_mov_b32_e32 v4, 0
	v_add_nc_u32_e32 v9, 16, v225
	s_mov_b32 s5, 0
	.p2align	6
.LBB54_129:                             ; =>This Inner Loop Header: Depth=1
	s_clause 0x3
	buffer_load_dword v14, v9, s[0:3], 0 offen offset:8
	buffer_load_dword v15, v9, s[0:3], 0 offen offset:12
	buffer_load_dword v16, v9, s[0:3], 0 offen
	buffer_load_dword v17, v9, s[0:3], 0 offen offset:4
	ds_read_b128 v[10:13], v8
	v_add_nc_u32_e32 v7, 1, v7
	v_add_nc_u32_e32 v8, 16, v8
	;; [unrolled: 1-line block ×3, first 2 shown]
	v_cmp_lt_u32_e32 vcc_lo, 27, v7
	s_or_b32 s5, vcc_lo, s5
	s_waitcnt vmcnt(2) lgkmcnt(0)
	v_mul_f64 v[18:19], v[12:13], v[14:15]
	v_mul_f64 v[14:15], v[10:11], v[14:15]
	s_waitcnt vmcnt(0)
	v_fma_f64 v[10:11], v[10:11], v[16:17], -v[18:19]
	v_fma_f64 v[12:13], v[12:13], v[16:17], v[14:15]
	v_add_f64 v[3:4], v[3:4], v[10:11]
	v_add_f64 v[1:2], v[1:2], v[12:13]
	s_andn2_b32 exec_lo, exec_lo, s5
	s_cbranch_execnz .LBB54_129
; %bb.130:
	s_or_b32 exec_lo, exec_lo, s5
	v_mov_b32_e32 v7, 0
	ds_read_b128 v[7:10], v7 offset:464
	s_waitcnt lgkmcnt(0)
	v_mul_f64 v[11:12], v[1:2], v[9:10]
	v_mul_f64 v[9:10], v[3:4], v[9:10]
	v_fma_f64 v[3:4], v[3:4], v[7:8], -v[11:12]
	v_fma_f64 v[1:2], v[1:2], v[7:8], v[9:10]
	buffer_store_dword v4, off, s[0:3], 0 offset:484
	buffer_store_dword v3, off, s[0:3], 0 offset:480
	;; [unrolled: 1-line block ×4, first 2 shown]
.LBB54_131:
	s_or_b32 exec_lo, exec_lo, s4
	v_mov_b32_e32 v4, s37
	s_waitcnt_vscnt null, 0x0
	s_barrier
	buffer_gl0_inv
	s_mov_b32 s4, exec_lo
	s_clause 0x3
	buffer_load_dword v1, v4, s[0:3], 0 offen
	buffer_load_dword v2, v4, s[0:3], 0 offen offset:4
	buffer_load_dword v3, v4, s[0:3], 0 offen offset:8
	;; [unrolled: 1-line block ×3, first 2 shown]
	s_waitcnt vmcnt(0)
	ds_write_b128 v5, v[1:4]
	s_waitcnt lgkmcnt(0)
	s_barrier
	buffer_gl0_inv
	v_cmpx_gt_u32_e32 30, v0
	s_cbranch_execz .LBB54_135
; %bb.132:
	v_mov_b32_e32 v1, 0
	v_mov_b32_e32 v3, 0
	v_add_nc_u32_e32 v7, -1, v0
	v_add_nc_u32_e32 v8, 0x370, v225
	v_mov_b32_e32 v2, 0
	v_mov_b32_e32 v4, 0
	v_add_nc_u32_e32 v9, 16, v225
	s_mov_b32 s5, 0
	.p2align	6
.LBB54_133:                             ; =>This Inner Loop Header: Depth=1
	s_clause 0x3
	buffer_load_dword v14, v9, s[0:3], 0 offen offset:8
	buffer_load_dword v15, v9, s[0:3], 0 offen offset:12
	buffer_load_dword v16, v9, s[0:3], 0 offen
	buffer_load_dword v17, v9, s[0:3], 0 offen offset:4
	ds_read_b128 v[10:13], v8
	v_add_nc_u32_e32 v7, 1, v7
	v_add_nc_u32_e32 v8, 16, v8
	;; [unrolled: 1-line block ×3, first 2 shown]
	v_cmp_lt_u32_e32 vcc_lo, 28, v7
	s_or_b32 s5, vcc_lo, s5
	s_waitcnt vmcnt(2) lgkmcnt(0)
	v_mul_f64 v[18:19], v[12:13], v[14:15]
	v_mul_f64 v[14:15], v[10:11], v[14:15]
	s_waitcnt vmcnt(0)
	v_fma_f64 v[10:11], v[10:11], v[16:17], -v[18:19]
	v_fma_f64 v[12:13], v[12:13], v[16:17], v[14:15]
	v_add_f64 v[3:4], v[3:4], v[10:11]
	v_add_f64 v[1:2], v[1:2], v[12:13]
	s_andn2_b32 exec_lo, exec_lo, s5
	s_cbranch_execnz .LBB54_133
; %bb.134:
	s_or_b32 exec_lo, exec_lo, s5
	v_mov_b32_e32 v7, 0
	ds_read_b128 v[7:10], v7 offset:480
	s_waitcnt lgkmcnt(0)
	v_mul_f64 v[11:12], v[1:2], v[9:10]
	v_mul_f64 v[9:10], v[3:4], v[9:10]
	v_fma_f64 v[3:4], v[3:4], v[7:8], -v[11:12]
	v_fma_f64 v[1:2], v[1:2], v[7:8], v[9:10]
	buffer_store_dword v4, off, s[0:3], 0 offset:500
	buffer_store_dword v3, off, s[0:3], 0 offset:496
	;; [unrolled: 1-line block ×4, first 2 shown]
.LBB54_135:
	s_or_b32 exec_lo, exec_lo, s4
	v_mov_b32_e32 v4, s36
	s_waitcnt_vscnt null, 0x0
	s_barrier
	buffer_gl0_inv
	s_mov_b32 s4, exec_lo
	s_clause 0x3
	buffer_load_dword v1, v4, s[0:3], 0 offen
	buffer_load_dword v2, v4, s[0:3], 0 offen offset:4
	buffer_load_dword v3, v4, s[0:3], 0 offen offset:8
	;; [unrolled: 1-line block ×3, first 2 shown]
	s_waitcnt vmcnt(0)
	ds_write_b128 v5, v[1:4]
	s_waitcnt lgkmcnt(0)
	s_barrier
	buffer_gl0_inv
	v_cmpx_gt_u32_e32 31, v0
	s_cbranch_execz .LBB54_139
; %bb.136:
	v_mov_b32_e32 v1, 0
	v_mov_b32_e32 v3, 0
	v_add_nc_u32_e32 v7, -1, v0
	v_add_nc_u32_e32 v8, 0x370, v225
	v_mov_b32_e32 v2, 0
	v_mov_b32_e32 v4, 0
	v_add_nc_u32_e32 v9, 16, v225
	s_mov_b32 s5, 0
	.p2align	6
.LBB54_137:                             ; =>This Inner Loop Header: Depth=1
	s_clause 0x3
	buffer_load_dword v14, v9, s[0:3], 0 offen offset:8
	buffer_load_dword v15, v9, s[0:3], 0 offen offset:12
	buffer_load_dword v16, v9, s[0:3], 0 offen
	buffer_load_dword v17, v9, s[0:3], 0 offen offset:4
	ds_read_b128 v[10:13], v8
	v_add_nc_u32_e32 v7, 1, v7
	v_add_nc_u32_e32 v8, 16, v8
	;; [unrolled: 1-line block ×3, first 2 shown]
	v_cmp_lt_u32_e32 vcc_lo, 29, v7
	s_or_b32 s5, vcc_lo, s5
	s_waitcnt vmcnt(2) lgkmcnt(0)
	v_mul_f64 v[18:19], v[12:13], v[14:15]
	v_mul_f64 v[14:15], v[10:11], v[14:15]
	s_waitcnt vmcnt(0)
	v_fma_f64 v[10:11], v[10:11], v[16:17], -v[18:19]
	v_fma_f64 v[12:13], v[12:13], v[16:17], v[14:15]
	v_add_f64 v[3:4], v[3:4], v[10:11]
	v_add_f64 v[1:2], v[1:2], v[12:13]
	s_andn2_b32 exec_lo, exec_lo, s5
	s_cbranch_execnz .LBB54_137
; %bb.138:
	s_or_b32 exec_lo, exec_lo, s5
	v_mov_b32_e32 v7, 0
	ds_read_b128 v[7:10], v7 offset:496
	s_waitcnt lgkmcnt(0)
	v_mul_f64 v[11:12], v[1:2], v[9:10]
	v_mul_f64 v[9:10], v[3:4], v[9:10]
	v_fma_f64 v[3:4], v[3:4], v[7:8], -v[11:12]
	v_fma_f64 v[1:2], v[1:2], v[7:8], v[9:10]
	buffer_store_dword v4, off, s[0:3], 0 offset:516
	buffer_store_dword v3, off, s[0:3], 0 offset:512
	;; [unrolled: 1-line block ×4, first 2 shown]
.LBB54_139:
	s_or_b32 exec_lo, exec_lo, s4
	v_mov_b32_e32 v4, s35
	s_waitcnt_vscnt null, 0x0
	s_barrier
	buffer_gl0_inv
	s_mov_b32 s4, exec_lo
	s_clause 0x3
	buffer_load_dword v1, v4, s[0:3], 0 offen
	buffer_load_dword v2, v4, s[0:3], 0 offen offset:4
	buffer_load_dword v3, v4, s[0:3], 0 offen offset:8
	;; [unrolled: 1-line block ×3, first 2 shown]
	s_waitcnt vmcnt(0)
	ds_write_b128 v5, v[1:4]
	s_waitcnt lgkmcnt(0)
	s_barrier
	buffer_gl0_inv
	v_cmpx_gt_u32_e32 32, v0
	s_cbranch_execz .LBB54_143
; %bb.140:
	v_mov_b32_e32 v1, 0
	v_mov_b32_e32 v3, 0
	v_add_nc_u32_e32 v7, -1, v0
	v_add_nc_u32_e32 v8, 0x370, v225
	v_mov_b32_e32 v2, 0
	v_mov_b32_e32 v4, 0
	v_add_nc_u32_e32 v9, 16, v225
	s_mov_b32 s5, 0
	.p2align	6
.LBB54_141:                             ; =>This Inner Loop Header: Depth=1
	s_clause 0x3
	buffer_load_dword v14, v9, s[0:3], 0 offen offset:8
	buffer_load_dword v15, v9, s[0:3], 0 offen offset:12
	buffer_load_dword v16, v9, s[0:3], 0 offen
	buffer_load_dword v17, v9, s[0:3], 0 offen offset:4
	ds_read_b128 v[10:13], v8
	v_add_nc_u32_e32 v7, 1, v7
	v_add_nc_u32_e32 v8, 16, v8
	;; [unrolled: 1-line block ×3, first 2 shown]
	v_cmp_lt_u32_e32 vcc_lo, 30, v7
	s_or_b32 s5, vcc_lo, s5
	s_waitcnt vmcnt(2) lgkmcnt(0)
	v_mul_f64 v[18:19], v[12:13], v[14:15]
	v_mul_f64 v[14:15], v[10:11], v[14:15]
	s_waitcnt vmcnt(0)
	v_fma_f64 v[10:11], v[10:11], v[16:17], -v[18:19]
	v_fma_f64 v[12:13], v[12:13], v[16:17], v[14:15]
	v_add_f64 v[3:4], v[3:4], v[10:11]
	v_add_f64 v[1:2], v[1:2], v[12:13]
	s_andn2_b32 exec_lo, exec_lo, s5
	s_cbranch_execnz .LBB54_141
; %bb.142:
	s_or_b32 exec_lo, exec_lo, s5
	v_mov_b32_e32 v7, 0
	ds_read_b128 v[7:10], v7 offset:512
	s_waitcnt lgkmcnt(0)
	v_mul_f64 v[11:12], v[1:2], v[9:10]
	v_mul_f64 v[9:10], v[3:4], v[9:10]
	v_fma_f64 v[3:4], v[3:4], v[7:8], -v[11:12]
	v_fma_f64 v[1:2], v[1:2], v[7:8], v[9:10]
	buffer_store_dword v4, off, s[0:3], 0 offset:532
	buffer_store_dword v3, off, s[0:3], 0 offset:528
	;; [unrolled: 1-line block ×4, first 2 shown]
.LBB54_143:
	s_or_b32 exec_lo, exec_lo, s4
	v_mov_b32_e32 v4, s34
	s_waitcnt_vscnt null, 0x0
	s_barrier
	buffer_gl0_inv
	s_mov_b32 s4, exec_lo
	s_clause 0x3
	buffer_load_dword v1, v4, s[0:3], 0 offen
	buffer_load_dword v2, v4, s[0:3], 0 offen offset:4
	buffer_load_dword v3, v4, s[0:3], 0 offen offset:8
	;; [unrolled: 1-line block ×3, first 2 shown]
	s_waitcnt vmcnt(0)
	ds_write_b128 v5, v[1:4]
	s_waitcnt lgkmcnt(0)
	s_barrier
	buffer_gl0_inv
	v_cmpx_gt_u32_e32 33, v0
	s_cbranch_execz .LBB54_147
; %bb.144:
	v_mov_b32_e32 v1, 0
	v_mov_b32_e32 v3, 0
	v_add_nc_u32_e32 v7, -1, v0
	v_add_nc_u32_e32 v8, 0x370, v225
	v_mov_b32_e32 v2, 0
	v_mov_b32_e32 v4, 0
	v_add_nc_u32_e32 v9, 16, v225
	s_mov_b32 s5, 0
	.p2align	6
.LBB54_145:                             ; =>This Inner Loop Header: Depth=1
	s_clause 0x3
	buffer_load_dword v14, v9, s[0:3], 0 offen offset:8
	buffer_load_dword v15, v9, s[0:3], 0 offen offset:12
	buffer_load_dword v16, v9, s[0:3], 0 offen
	buffer_load_dword v17, v9, s[0:3], 0 offen offset:4
	ds_read_b128 v[10:13], v8
	v_add_nc_u32_e32 v7, 1, v7
	v_add_nc_u32_e32 v8, 16, v8
	;; [unrolled: 1-line block ×3, first 2 shown]
	v_cmp_lt_u32_e32 vcc_lo, 31, v7
	s_or_b32 s5, vcc_lo, s5
	s_waitcnt vmcnt(2) lgkmcnt(0)
	v_mul_f64 v[18:19], v[12:13], v[14:15]
	v_mul_f64 v[14:15], v[10:11], v[14:15]
	s_waitcnt vmcnt(0)
	v_fma_f64 v[10:11], v[10:11], v[16:17], -v[18:19]
	v_fma_f64 v[12:13], v[12:13], v[16:17], v[14:15]
	v_add_f64 v[3:4], v[3:4], v[10:11]
	v_add_f64 v[1:2], v[1:2], v[12:13]
	s_andn2_b32 exec_lo, exec_lo, s5
	s_cbranch_execnz .LBB54_145
; %bb.146:
	s_or_b32 exec_lo, exec_lo, s5
	v_mov_b32_e32 v7, 0
	ds_read_b128 v[7:10], v7 offset:528
	s_waitcnt lgkmcnt(0)
	v_mul_f64 v[11:12], v[1:2], v[9:10]
	v_mul_f64 v[9:10], v[3:4], v[9:10]
	v_fma_f64 v[3:4], v[3:4], v[7:8], -v[11:12]
	v_fma_f64 v[1:2], v[1:2], v[7:8], v[9:10]
	buffer_store_dword v4, off, s[0:3], 0 offset:548
	buffer_store_dword v3, off, s[0:3], 0 offset:544
	buffer_store_dword v2, off, s[0:3], 0 offset:556
	buffer_store_dword v1, off, s[0:3], 0 offset:552
.LBB54_147:
	s_or_b32 exec_lo, exec_lo, s4
	v_mov_b32_e32 v4, s33
	s_waitcnt_vscnt null, 0x0
	s_barrier
	buffer_gl0_inv
	s_mov_b32 s4, exec_lo
	s_clause 0x3
	buffer_load_dword v1, v4, s[0:3], 0 offen
	buffer_load_dword v2, v4, s[0:3], 0 offen offset:4
	buffer_load_dword v3, v4, s[0:3], 0 offen offset:8
	;; [unrolled: 1-line block ×3, first 2 shown]
	s_waitcnt vmcnt(0)
	ds_write_b128 v5, v[1:4]
	s_waitcnt lgkmcnt(0)
	s_barrier
	buffer_gl0_inv
	v_cmpx_gt_u32_e32 34, v0
	s_cbranch_execz .LBB54_151
; %bb.148:
	v_mov_b32_e32 v1, 0
	v_mov_b32_e32 v3, 0
	v_add_nc_u32_e32 v7, -1, v0
	v_add_nc_u32_e32 v8, 0x370, v225
	v_mov_b32_e32 v2, 0
	v_mov_b32_e32 v4, 0
	v_add_nc_u32_e32 v9, 16, v225
	s_mov_b32 s5, 0
	.p2align	6
.LBB54_149:                             ; =>This Inner Loop Header: Depth=1
	s_clause 0x3
	buffer_load_dword v14, v9, s[0:3], 0 offen offset:8
	buffer_load_dword v15, v9, s[0:3], 0 offen offset:12
	buffer_load_dword v16, v9, s[0:3], 0 offen
	buffer_load_dword v17, v9, s[0:3], 0 offen offset:4
	ds_read_b128 v[10:13], v8
	v_add_nc_u32_e32 v7, 1, v7
	v_add_nc_u32_e32 v8, 16, v8
	;; [unrolled: 1-line block ×3, first 2 shown]
	v_cmp_lt_u32_e32 vcc_lo, 32, v7
	s_or_b32 s5, vcc_lo, s5
	s_waitcnt vmcnt(2) lgkmcnt(0)
	v_mul_f64 v[18:19], v[12:13], v[14:15]
	v_mul_f64 v[14:15], v[10:11], v[14:15]
	s_waitcnt vmcnt(0)
	v_fma_f64 v[10:11], v[10:11], v[16:17], -v[18:19]
	v_fma_f64 v[12:13], v[12:13], v[16:17], v[14:15]
	v_add_f64 v[3:4], v[3:4], v[10:11]
	v_add_f64 v[1:2], v[1:2], v[12:13]
	s_andn2_b32 exec_lo, exec_lo, s5
	s_cbranch_execnz .LBB54_149
; %bb.150:
	s_or_b32 exec_lo, exec_lo, s5
	v_mov_b32_e32 v7, 0
	ds_read_b128 v[7:10], v7 offset:544
	s_waitcnt lgkmcnt(0)
	v_mul_f64 v[11:12], v[1:2], v[9:10]
	v_mul_f64 v[9:10], v[3:4], v[9:10]
	v_fma_f64 v[3:4], v[3:4], v[7:8], -v[11:12]
	v_fma_f64 v[1:2], v[1:2], v[7:8], v[9:10]
	buffer_store_dword v4, off, s[0:3], 0 offset:564
	buffer_store_dword v3, off, s[0:3], 0 offset:560
	;; [unrolled: 1-line block ×4, first 2 shown]
.LBB54_151:
	s_or_b32 exec_lo, exec_lo, s4
	v_mov_b32_e32 v4, s31
	s_waitcnt_vscnt null, 0x0
	s_barrier
	buffer_gl0_inv
	s_mov_b32 s4, exec_lo
	s_clause 0x3
	buffer_load_dword v1, v4, s[0:3], 0 offen
	buffer_load_dword v2, v4, s[0:3], 0 offen offset:4
	buffer_load_dword v3, v4, s[0:3], 0 offen offset:8
	;; [unrolled: 1-line block ×3, first 2 shown]
	s_waitcnt vmcnt(0)
	ds_write_b128 v5, v[1:4]
	s_waitcnt lgkmcnt(0)
	s_barrier
	buffer_gl0_inv
	v_cmpx_gt_u32_e32 35, v0
	s_cbranch_execz .LBB54_155
; %bb.152:
	v_mov_b32_e32 v1, 0
	v_mov_b32_e32 v3, 0
	v_add_nc_u32_e32 v7, -1, v0
	v_add_nc_u32_e32 v8, 0x370, v225
	v_mov_b32_e32 v2, 0
	v_mov_b32_e32 v4, 0
	v_add_nc_u32_e32 v9, 16, v225
	s_mov_b32 s5, 0
	.p2align	6
.LBB54_153:                             ; =>This Inner Loop Header: Depth=1
	s_clause 0x3
	buffer_load_dword v14, v9, s[0:3], 0 offen offset:8
	buffer_load_dword v15, v9, s[0:3], 0 offen offset:12
	buffer_load_dword v16, v9, s[0:3], 0 offen
	buffer_load_dword v17, v9, s[0:3], 0 offen offset:4
	ds_read_b128 v[10:13], v8
	v_add_nc_u32_e32 v7, 1, v7
	v_add_nc_u32_e32 v8, 16, v8
	;; [unrolled: 1-line block ×3, first 2 shown]
	v_cmp_lt_u32_e32 vcc_lo, 33, v7
	s_or_b32 s5, vcc_lo, s5
	s_waitcnt vmcnt(2) lgkmcnt(0)
	v_mul_f64 v[18:19], v[12:13], v[14:15]
	v_mul_f64 v[14:15], v[10:11], v[14:15]
	s_waitcnt vmcnt(0)
	v_fma_f64 v[10:11], v[10:11], v[16:17], -v[18:19]
	v_fma_f64 v[12:13], v[12:13], v[16:17], v[14:15]
	v_add_f64 v[3:4], v[3:4], v[10:11]
	v_add_f64 v[1:2], v[1:2], v[12:13]
	s_andn2_b32 exec_lo, exec_lo, s5
	s_cbranch_execnz .LBB54_153
; %bb.154:
	s_or_b32 exec_lo, exec_lo, s5
	v_mov_b32_e32 v7, 0
	ds_read_b128 v[7:10], v7 offset:560
	s_waitcnt lgkmcnt(0)
	v_mul_f64 v[11:12], v[1:2], v[9:10]
	v_mul_f64 v[9:10], v[3:4], v[9:10]
	v_fma_f64 v[3:4], v[3:4], v[7:8], -v[11:12]
	v_fma_f64 v[1:2], v[1:2], v[7:8], v[9:10]
	buffer_store_dword v4, off, s[0:3], 0 offset:580
	buffer_store_dword v3, off, s[0:3], 0 offset:576
	;; [unrolled: 1-line block ×4, first 2 shown]
.LBB54_155:
	s_or_b32 exec_lo, exec_lo, s4
	v_mov_b32_e32 v4, s30
	s_waitcnt_vscnt null, 0x0
	s_barrier
	buffer_gl0_inv
	s_mov_b32 s4, exec_lo
	s_clause 0x3
	buffer_load_dword v1, v4, s[0:3], 0 offen
	buffer_load_dword v2, v4, s[0:3], 0 offen offset:4
	buffer_load_dword v3, v4, s[0:3], 0 offen offset:8
	;; [unrolled: 1-line block ×3, first 2 shown]
	s_waitcnt vmcnt(0)
	ds_write_b128 v5, v[1:4]
	s_waitcnt lgkmcnt(0)
	s_barrier
	buffer_gl0_inv
	v_cmpx_gt_u32_e32 36, v0
	s_cbranch_execz .LBB54_159
; %bb.156:
	v_mov_b32_e32 v1, 0
	v_mov_b32_e32 v3, 0
	v_add_nc_u32_e32 v7, -1, v0
	v_add_nc_u32_e32 v8, 0x370, v225
	v_mov_b32_e32 v2, 0
	v_mov_b32_e32 v4, 0
	v_add_nc_u32_e32 v9, 16, v225
	s_mov_b32 s5, 0
	.p2align	6
.LBB54_157:                             ; =>This Inner Loop Header: Depth=1
	s_clause 0x3
	buffer_load_dword v14, v9, s[0:3], 0 offen offset:8
	buffer_load_dword v15, v9, s[0:3], 0 offen offset:12
	buffer_load_dword v16, v9, s[0:3], 0 offen
	buffer_load_dword v17, v9, s[0:3], 0 offen offset:4
	ds_read_b128 v[10:13], v8
	v_add_nc_u32_e32 v7, 1, v7
	v_add_nc_u32_e32 v8, 16, v8
	v_add_nc_u32_e32 v9, 16, v9
	v_cmp_lt_u32_e32 vcc_lo, 34, v7
	s_or_b32 s5, vcc_lo, s5
	s_waitcnt vmcnt(2) lgkmcnt(0)
	v_mul_f64 v[18:19], v[12:13], v[14:15]
	v_mul_f64 v[14:15], v[10:11], v[14:15]
	s_waitcnt vmcnt(0)
	v_fma_f64 v[10:11], v[10:11], v[16:17], -v[18:19]
	v_fma_f64 v[12:13], v[12:13], v[16:17], v[14:15]
	v_add_f64 v[3:4], v[3:4], v[10:11]
	v_add_f64 v[1:2], v[1:2], v[12:13]
	s_andn2_b32 exec_lo, exec_lo, s5
	s_cbranch_execnz .LBB54_157
; %bb.158:
	s_or_b32 exec_lo, exec_lo, s5
	v_mov_b32_e32 v7, 0
	ds_read_b128 v[7:10], v7 offset:576
	s_waitcnt lgkmcnt(0)
	v_mul_f64 v[11:12], v[1:2], v[9:10]
	v_mul_f64 v[9:10], v[3:4], v[9:10]
	v_fma_f64 v[3:4], v[3:4], v[7:8], -v[11:12]
	v_fma_f64 v[1:2], v[1:2], v[7:8], v[9:10]
	buffer_store_dword v4, off, s[0:3], 0 offset:596
	buffer_store_dword v3, off, s[0:3], 0 offset:592
	;; [unrolled: 1-line block ×4, first 2 shown]
.LBB54_159:
	s_or_b32 exec_lo, exec_lo, s4
	v_mov_b32_e32 v4, s29
	s_waitcnt_vscnt null, 0x0
	s_barrier
	buffer_gl0_inv
	s_mov_b32 s4, exec_lo
	s_clause 0x3
	buffer_load_dword v1, v4, s[0:3], 0 offen
	buffer_load_dword v2, v4, s[0:3], 0 offen offset:4
	buffer_load_dword v3, v4, s[0:3], 0 offen offset:8
	;; [unrolled: 1-line block ×3, first 2 shown]
	s_waitcnt vmcnt(0)
	ds_write_b128 v5, v[1:4]
	s_waitcnt lgkmcnt(0)
	s_barrier
	buffer_gl0_inv
	v_cmpx_gt_u32_e32 37, v0
	s_cbranch_execz .LBB54_163
; %bb.160:
	v_mov_b32_e32 v1, 0
	v_mov_b32_e32 v3, 0
	v_add_nc_u32_e32 v7, -1, v0
	v_add_nc_u32_e32 v8, 0x370, v225
	v_mov_b32_e32 v2, 0
	v_mov_b32_e32 v4, 0
	v_add_nc_u32_e32 v9, 16, v225
	s_mov_b32 s5, 0
	.p2align	6
.LBB54_161:                             ; =>This Inner Loop Header: Depth=1
	s_clause 0x3
	buffer_load_dword v14, v9, s[0:3], 0 offen offset:8
	buffer_load_dword v15, v9, s[0:3], 0 offen offset:12
	buffer_load_dword v16, v9, s[0:3], 0 offen
	buffer_load_dword v17, v9, s[0:3], 0 offen offset:4
	ds_read_b128 v[10:13], v8
	v_add_nc_u32_e32 v7, 1, v7
	v_add_nc_u32_e32 v8, 16, v8
	;; [unrolled: 1-line block ×3, first 2 shown]
	v_cmp_lt_u32_e32 vcc_lo, 35, v7
	s_or_b32 s5, vcc_lo, s5
	s_waitcnt vmcnt(2) lgkmcnt(0)
	v_mul_f64 v[18:19], v[12:13], v[14:15]
	v_mul_f64 v[14:15], v[10:11], v[14:15]
	s_waitcnt vmcnt(0)
	v_fma_f64 v[10:11], v[10:11], v[16:17], -v[18:19]
	v_fma_f64 v[12:13], v[12:13], v[16:17], v[14:15]
	v_add_f64 v[3:4], v[3:4], v[10:11]
	v_add_f64 v[1:2], v[1:2], v[12:13]
	s_andn2_b32 exec_lo, exec_lo, s5
	s_cbranch_execnz .LBB54_161
; %bb.162:
	s_or_b32 exec_lo, exec_lo, s5
	v_mov_b32_e32 v7, 0
	ds_read_b128 v[7:10], v7 offset:592
	s_waitcnt lgkmcnt(0)
	v_mul_f64 v[11:12], v[1:2], v[9:10]
	v_mul_f64 v[9:10], v[3:4], v[9:10]
	v_fma_f64 v[3:4], v[3:4], v[7:8], -v[11:12]
	v_fma_f64 v[1:2], v[1:2], v[7:8], v[9:10]
	buffer_store_dword v4, off, s[0:3], 0 offset:612
	buffer_store_dword v3, off, s[0:3], 0 offset:608
	buffer_store_dword v2, off, s[0:3], 0 offset:620
	buffer_store_dword v1, off, s[0:3], 0 offset:616
.LBB54_163:
	s_or_b32 exec_lo, exec_lo, s4
	v_mov_b32_e32 v4, s28
	s_waitcnt_vscnt null, 0x0
	s_barrier
	buffer_gl0_inv
	s_mov_b32 s4, exec_lo
	s_clause 0x3
	buffer_load_dword v1, v4, s[0:3], 0 offen
	buffer_load_dword v2, v4, s[0:3], 0 offen offset:4
	buffer_load_dword v3, v4, s[0:3], 0 offen offset:8
	;; [unrolled: 1-line block ×3, first 2 shown]
	s_waitcnt vmcnt(0)
	ds_write_b128 v5, v[1:4]
	s_waitcnt lgkmcnt(0)
	s_barrier
	buffer_gl0_inv
	v_cmpx_gt_u32_e32 38, v0
	s_cbranch_execz .LBB54_167
; %bb.164:
	v_mov_b32_e32 v1, 0
	v_mov_b32_e32 v3, 0
	v_add_nc_u32_e32 v7, -1, v0
	v_add_nc_u32_e32 v8, 0x370, v225
	v_mov_b32_e32 v2, 0
	v_mov_b32_e32 v4, 0
	v_add_nc_u32_e32 v9, 16, v225
	s_mov_b32 s5, 0
	.p2align	6
.LBB54_165:                             ; =>This Inner Loop Header: Depth=1
	s_clause 0x3
	buffer_load_dword v14, v9, s[0:3], 0 offen offset:8
	buffer_load_dword v15, v9, s[0:3], 0 offen offset:12
	buffer_load_dword v16, v9, s[0:3], 0 offen
	buffer_load_dword v17, v9, s[0:3], 0 offen offset:4
	ds_read_b128 v[10:13], v8
	v_add_nc_u32_e32 v7, 1, v7
	v_add_nc_u32_e32 v8, 16, v8
	;; [unrolled: 1-line block ×3, first 2 shown]
	v_cmp_lt_u32_e32 vcc_lo, 36, v7
	s_or_b32 s5, vcc_lo, s5
	s_waitcnt vmcnt(2) lgkmcnt(0)
	v_mul_f64 v[18:19], v[12:13], v[14:15]
	v_mul_f64 v[14:15], v[10:11], v[14:15]
	s_waitcnt vmcnt(0)
	v_fma_f64 v[10:11], v[10:11], v[16:17], -v[18:19]
	v_fma_f64 v[12:13], v[12:13], v[16:17], v[14:15]
	v_add_f64 v[3:4], v[3:4], v[10:11]
	v_add_f64 v[1:2], v[1:2], v[12:13]
	s_andn2_b32 exec_lo, exec_lo, s5
	s_cbranch_execnz .LBB54_165
; %bb.166:
	s_or_b32 exec_lo, exec_lo, s5
	v_mov_b32_e32 v7, 0
	ds_read_b128 v[7:10], v7 offset:608
	s_waitcnt lgkmcnt(0)
	v_mul_f64 v[11:12], v[1:2], v[9:10]
	v_mul_f64 v[9:10], v[3:4], v[9:10]
	v_fma_f64 v[3:4], v[3:4], v[7:8], -v[11:12]
	v_fma_f64 v[1:2], v[1:2], v[7:8], v[9:10]
	buffer_store_dword v4, off, s[0:3], 0 offset:628
	buffer_store_dword v3, off, s[0:3], 0 offset:624
	buffer_store_dword v2, off, s[0:3], 0 offset:636
	buffer_store_dword v1, off, s[0:3], 0 offset:632
.LBB54_167:
	s_or_b32 exec_lo, exec_lo, s4
	v_mov_b32_e32 v4, s27
	s_waitcnt_vscnt null, 0x0
	s_barrier
	buffer_gl0_inv
	s_mov_b32 s4, exec_lo
	s_clause 0x3
	buffer_load_dword v1, v4, s[0:3], 0 offen
	buffer_load_dword v2, v4, s[0:3], 0 offen offset:4
	buffer_load_dword v3, v4, s[0:3], 0 offen offset:8
	;; [unrolled: 1-line block ×3, first 2 shown]
	s_waitcnt vmcnt(0)
	ds_write_b128 v5, v[1:4]
	s_waitcnt lgkmcnt(0)
	s_barrier
	buffer_gl0_inv
	v_cmpx_gt_u32_e32 39, v0
	s_cbranch_execz .LBB54_171
; %bb.168:
	v_mov_b32_e32 v1, 0
	v_mov_b32_e32 v3, 0
	v_add_nc_u32_e32 v7, -1, v0
	v_add_nc_u32_e32 v8, 0x370, v225
	v_mov_b32_e32 v2, 0
	v_mov_b32_e32 v4, 0
	v_add_nc_u32_e32 v9, 16, v225
	s_mov_b32 s5, 0
	.p2align	6
.LBB54_169:                             ; =>This Inner Loop Header: Depth=1
	s_clause 0x3
	buffer_load_dword v14, v9, s[0:3], 0 offen offset:8
	buffer_load_dword v15, v9, s[0:3], 0 offen offset:12
	buffer_load_dword v16, v9, s[0:3], 0 offen
	buffer_load_dword v17, v9, s[0:3], 0 offen offset:4
	ds_read_b128 v[10:13], v8
	v_add_nc_u32_e32 v7, 1, v7
	v_add_nc_u32_e32 v8, 16, v8
	;; [unrolled: 1-line block ×3, first 2 shown]
	v_cmp_lt_u32_e32 vcc_lo, 37, v7
	s_or_b32 s5, vcc_lo, s5
	s_waitcnt vmcnt(2) lgkmcnt(0)
	v_mul_f64 v[18:19], v[12:13], v[14:15]
	v_mul_f64 v[14:15], v[10:11], v[14:15]
	s_waitcnt vmcnt(0)
	v_fma_f64 v[10:11], v[10:11], v[16:17], -v[18:19]
	v_fma_f64 v[12:13], v[12:13], v[16:17], v[14:15]
	v_add_f64 v[3:4], v[3:4], v[10:11]
	v_add_f64 v[1:2], v[1:2], v[12:13]
	s_andn2_b32 exec_lo, exec_lo, s5
	s_cbranch_execnz .LBB54_169
; %bb.170:
	s_or_b32 exec_lo, exec_lo, s5
	v_mov_b32_e32 v7, 0
	ds_read_b128 v[7:10], v7 offset:624
	s_waitcnt lgkmcnt(0)
	v_mul_f64 v[11:12], v[1:2], v[9:10]
	v_mul_f64 v[9:10], v[3:4], v[9:10]
	v_fma_f64 v[3:4], v[3:4], v[7:8], -v[11:12]
	v_fma_f64 v[1:2], v[1:2], v[7:8], v[9:10]
	buffer_store_dword v4, off, s[0:3], 0 offset:644
	buffer_store_dword v3, off, s[0:3], 0 offset:640
	buffer_store_dword v2, off, s[0:3], 0 offset:652
	buffer_store_dword v1, off, s[0:3], 0 offset:648
.LBB54_171:
	s_or_b32 exec_lo, exec_lo, s4
	v_mov_b32_e32 v4, s26
	s_waitcnt_vscnt null, 0x0
	s_barrier
	buffer_gl0_inv
	s_mov_b32 s4, exec_lo
	s_clause 0x3
	buffer_load_dword v1, v4, s[0:3], 0 offen
	buffer_load_dword v2, v4, s[0:3], 0 offen offset:4
	buffer_load_dword v3, v4, s[0:3], 0 offen offset:8
	;; [unrolled: 1-line block ×3, first 2 shown]
	s_waitcnt vmcnt(0)
	ds_write_b128 v5, v[1:4]
	s_waitcnt lgkmcnt(0)
	s_barrier
	buffer_gl0_inv
	v_cmpx_gt_u32_e32 40, v0
	s_cbranch_execz .LBB54_175
; %bb.172:
	v_mov_b32_e32 v1, 0
	v_mov_b32_e32 v3, 0
	v_add_nc_u32_e32 v7, -1, v0
	v_add_nc_u32_e32 v8, 0x370, v225
	v_mov_b32_e32 v2, 0
	v_mov_b32_e32 v4, 0
	v_add_nc_u32_e32 v9, 16, v225
	s_mov_b32 s5, 0
	.p2align	6
.LBB54_173:                             ; =>This Inner Loop Header: Depth=1
	s_clause 0x3
	buffer_load_dword v14, v9, s[0:3], 0 offen offset:8
	buffer_load_dword v15, v9, s[0:3], 0 offen offset:12
	buffer_load_dword v16, v9, s[0:3], 0 offen
	buffer_load_dword v17, v9, s[0:3], 0 offen offset:4
	ds_read_b128 v[10:13], v8
	v_add_nc_u32_e32 v7, 1, v7
	v_add_nc_u32_e32 v8, 16, v8
	;; [unrolled: 1-line block ×3, first 2 shown]
	v_cmp_lt_u32_e32 vcc_lo, 38, v7
	s_or_b32 s5, vcc_lo, s5
	s_waitcnt vmcnt(2) lgkmcnt(0)
	v_mul_f64 v[18:19], v[12:13], v[14:15]
	v_mul_f64 v[14:15], v[10:11], v[14:15]
	s_waitcnt vmcnt(0)
	v_fma_f64 v[10:11], v[10:11], v[16:17], -v[18:19]
	v_fma_f64 v[12:13], v[12:13], v[16:17], v[14:15]
	v_add_f64 v[3:4], v[3:4], v[10:11]
	v_add_f64 v[1:2], v[1:2], v[12:13]
	s_andn2_b32 exec_lo, exec_lo, s5
	s_cbranch_execnz .LBB54_173
; %bb.174:
	s_or_b32 exec_lo, exec_lo, s5
	v_mov_b32_e32 v7, 0
	ds_read_b128 v[7:10], v7 offset:640
	s_waitcnt lgkmcnt(0)
	v_mul_f64 v[11:12], v[1:2], v[9:10]
	v_mul_f64 v[9:10], v[3:4], v[9:10]
	v_fma_f64 v[3:4], v[3:4], v[7:8], -v[11:12]
	v_fma_f64 v[1:2], v[1:2], v[7:8], v[9:10]
	buffer_store_dword v4, off, s[0:3], 0 offset:660
	buffer_store_dword v3, off, s[0:3], 0 offset:656
	buffer_store_dword v2, off, s[0:3], 0 offset:668
	buffer_store_dword v1, off, s[0:3], 0 offset:664
.LBB54_175:
	s_or_b32 exec_lo, exec_lo, s4
	v_mov_b32_e32 v4, s25
	s_waitcnt_vscnt null, 0x0
	s_barrier
	buffer_gl0_inv
	s_mov_b32 s4, exec_lo
	s_clause 0x3
	buffer_load_dword v1, v4, s[0:3], 0 offen
	buffer_load_dword v2, v4, s[0:3], 0 offen offset:4
	buffer_load_dword v3, v4, s[0:3], 0 offen offset:8
	;; [unrolled: 1-line block ×3, first 2 shown]
	s_waitcnt vmcnt(0)
	ds_write_b128 v5, v[1:4]
	s_waitcnt lgkmcnt(0)
	s_barrier
	buffer_gl0_inv
	v_cmpx_gt_u32_e32 41, v0
	s_cbranch_execz .LBB54_179
; %bb.176:
	v_mov_b32_e32 v1, 0
	v_mov_b32_e32 v3, 0
	v_add_nc_u32_e32 v7, -1, v0
	v_add_nc_u32_e32 v8, 0x370, v225
	v_mov_b32_e32 v2, 0
	v_mov_b32_e32 v4, 0
	v_add_nc_u32_e32 v9, 16, v225
	s_mov_b32 s5, 0
	.p2align	6
.LBB54_177:                             ; =>This Inner Loop Header: Depth=1
	s_clause 0x3
	buffer_load_dword v14, v9, s[0:3], 0 offen offset:8
	buffer_load_dword v15, v9, s[0:3], 0 offen offset:12
	buffer_load_dword v16, v9, s[0:3], 0 offen
	buffer_load_dword v17, v9, s[0:3], 0 offen offset:4
	ds_read_b128 v[10:13], v8
	v_add_nc_u32_e32 v7, 1, v7
	v_add_nc_u32_e32 v8, 16, v8
	;; [unrolled: 1-line block ×3, first 2 shown]
	v_cmp_lt_u32_e32 vcc_lo, 39, v7
	s_or_b32 s5, vcc_lo, s5
	s_waitcnt vmcnt(2) lgkmcnt(0)
	v_mul_f64 v[18:19], v[12:13], v[14:15]
	v_mul_f64 v[14:15], v[10:11], v[14:15]
	s_waitcnt vmcnt(0)
	v_fma_f64 v[10:11], v[10:11], v[16:17], -v[18:19]
	v_fma_f64 v[12:13], v[12:13], v[16:17], v[14:15]
	v_add_f64 v[3:4], v[3:4], v[10:11]
	v_add_f64 v[1:2], v[1:2], v[12:13]
	s_andn2_b32 exec_lo, exec_lo, s5
	s_cbranch_execnz .LBB54_177
; %bb.178:
	s_or_b32 exec_lo, exec_lo, s5
	v_mov_b32_e32 v7, 0
	ds_read_b128 v[7:10], v7 offset:656
	s_waitcnt lgkmcnt(0)
	v_mul_f64 v[11:12], v[1:2], v[9:10]
	v_mul_f64 v[9:10], v[3:4], v[9:10]
	v_fma_f64 v[3:4], v[3:4], v[7:8], -v[11:12]
	v_fma_f64 v[1:2], v[1:2], v[7:8], v[9:10]
	buffer_store_dword v4, off, s[0:3], 0 offset:676
	buffer_store_dword v3, off, s[0:3], 0 offset:672
	;; [unrolled: 1-line block ×4, first 2 shown]
.LBB54_179:
	s_or_b32 exec_lo, exec_lo, s4
	v_mov_b32_e32 v4, s24
	s_waitcnt_vscnt null, 0x0
	s_barrier
	buffer_gl0_inv
	s_mov_b32 s4, exec_lo
	s_clause 0x3
	buffer_load_dword v1, v4, s[0:3], 0 offen
	buffer_load_dword v2, v4, s[0:3], 0 offen offset:4
	buffer_load_dword v3, v4, s[0:3], 0 offen offset:8
	;; [unrolled: 1-line block ×3, first 2 shown]
	s_waitcnt vmcnt(0)
	ds_write_b128 v5, v[1:4]
	s_waitcnt lgkmcnt(0)
	s_barrier
	buffer_gl0_inv
	v_cmpx_gt_u32_e32 42, v0
	s_cbranch_execz .LBB54_183
; %bb.180:
	v_mov_b32_e32 v1, 0
	v_mov_b32_e32 v3, 0
	v_add_nc_u32_e32 v7, -1, v0
	v_add_nc_u32_e32 v8, 0x370, v225
	v_mov_b32_e32 v2, 0
	v_mov_b32_e32 v4, 0
	v_add_nc_u32_e32 v9, 16, v225
	s_mov_b32 s5, 0
	.p2align	6
.LBB54_181:                             ; =>This Inner Loop Header: Depth=1
	s_clause 0x3
	buffer_load_dword v14, v9, s[0:3], 0 offen offset:8
	buffer_load_dword v15, v9, s[0:3], 0 offen offset:12
	buffer_load_dword v16, v9, s[0:3], 0 offen
	buffer_load_dword v17, v9, s[0:3], 0 offen offset:4
	ds_read_b128 v[10:13], v8
	v_add_nc_u32_e32 v7, 1, v7
	v_add_nc_u32_e32 v8, 16, v8
	v_add_nc_u32_e32 v9, 16, v9
	v_cmp_lt_u32_e32 vcc_lo, 40, v7
	s_or_b32 s5, vcc_lo, s5
	s_waitcnt vmcnt(2) lgkmcnt(0)
	v_mul_f64 v[18:19], v[12:13], v[14:15]
	v_mul_f64 v[14:15], v[10:11], v[14:15]
	s_waitcnt vmcnt(0)
	v_fma_f64 v[10:11], v[10:11], v[16:17], -v[18:19]
	v_fma_f64 v[12:13], v[12:13], v[16:17], v[14:15]
	v_add_f64 v[3:4], v[3:4], v[10:11]
	v_add_f64 v[1:2], v[1:2], v[12:13]
	s_andn2_b32 exec_lo, exec_lo, s5
	s_cbranch_execnz .LBB54_181
; %bb.182:
	s_or_b32 exec_lo, exec_lo, s5
	v_mov_b32_e32 v7, 0
	ds_read_b128 v[7:10], v7 offset:672
	s_waitcnt lgkmcnt(0)
	v_mul_f64 v[11:12], v[1:2], v[9:10]
	v_mul_f64 v[9:10], v[3:4], v[9:10]
	v_fma_f64 v[3:4], v[3:4], v[7:8], -v[11:12]
	v_fma_f64 v[1:2], v[1:2], v[7:8], v[9:10]
	buffer_store_dword v4, off, s[0:3], 0 offset:692
	buffer_store_dword v3, off, s[0:3], 0 offset:688
	;; [unrolled: 1-line block ×4, first 2 shown]
.LBB54_183:
	s_or_b32 exec_lo, exec_lo, s4
	v_mov_b32_e32 v4, s23
	s_waitcnt_vscnt null, 0x0
	s_barrier
	buffer_gl0_inv
	s_mov_b32 s4, exec_lo
	s_clause 0x3
	buffer_load_dword v1, v4, s[0:3], 0 offen
	buffer_load_dword v2, v4, s[0:3], 0 offen offset:4
	buffer_load_dword v3, v4, s[0:3], 0 offen offset:8
	;; [unrolled: 1-line block ×3, first 2 shown]
	s_waitcnt vmcnt(0)
	ds_write_b128 v5, v[1:4]
	s_waitcnt lgkmcnt(0)
	s_barrier
	buffer_gl0_inv
	v_cmpx_gt_u32_e32 43, v0
	s_cbranch_execz .LBB54_187
; %bb.184:
	v_mov_b32_e32 v1, 0
	v_mov_b32_e32 v3, 0
	v_add_nc_u32_e32 v7, -1, v0
	v_add_nc_u32_e32 v8, 0x370, v225
	v_mov_b32_e32 v2, 0
	v_mov_b32_e32 v4, 0
	v_add_nc_u32_e32 v9, 16, v225
	s_mov_b32 s5, 0
	.p2align	6
.LBB54_185:                             ; =>This Inner Loop Header: Depth=1
	s_clause 0x3
	buffer_load_dword v14, v9, s[0:3], 0 offen offset:8
	buffer_load_dword v15, v9, s[0:3], 0 offen offset:12
	buffer_load_dword v16, v9, s[0:3], 0 offen
	buffer_load_dword v17, v9, s[0:3], 0 offen offset:4
	ds_read_b128 v[10:13], v8
	v_add_nc_u32_e32 v7, 1, v7
	v_add_nc_u32_e32 v8, 16, v8
	;; [unrolled: 1-line block ×3, first 2 shown]
	v_cmp_lt_u32_e32 vcc_lo, 41, v7
	s_or_b32 s5, vcc_lo, s5
	s_waitcnt vmcnt(2) lgkmcnt(0)
	v_mul_f64 v[18:19], v[12:13], v[14:15]
	v_mul_f64 v[14:15], v[10:11], v[14:15]
	s_waitcnt vmcnt(0)
	v_fma_f64 v[10:11], v[10:11], v[16:17], -v[18:19]
	v_fma_f64 v[12:13], v[12:13], v[16:17], v[14:15]
	v_add_f64 v[3:4], v[3:4], v[10:11]
	v_add_f64 v[1:2], v[1:2], v[12:13]
	s_andn2_b32 exec_lo, exec_lo, s5
	s_cbranch_execnz .LBB54_185
; %bb.186:
	s_or_b32 exec_lo, exec_lo, s5
	v_mov_b32_e32 v7, 0
	ds_read_b128 v[7:10], v7 offset:688
	s_waitcnt lgkmcnt(0)
	v_mul_f64 v[11:12], v[1:2], v[9:10]
	v_mul_f64 v[9:10], v[3:4], v[9:10]
	v_fma_f64 v[3:4], v[3:4], v[7:8], -v[11:12]
	v_fma_f64 v[1:2], v[1:2], v[7:8], v[9:10]
	buffer_store_dword v4, off, s[0:3], 0 offset:708
	buffer_store_dword v3, off, s[0:3], 0 offset:704
	;; [unrolled: 1-line block ×4, first 2 shown]
.LBB54_187:
	s_or_b32 exec_lo, exec_lo, s4
	v_mov_b32_e32 v4, s22
	s_waitcnt_vscnt null, 0x0
	s_barrier
	buffer_gl0_inv
	s_mov_b32 s4, exec_lo
	s_clause 0x3
	buffer_load_dword v1, v4, s[0:3], 0 offen
	buffer_load_dword v2, v4, s[0:3], 0 offen offset:4
	buffer_load_dword v3, v4, s[0:3], 0 offen offset:8
	;; [unrolled: 1-line block ×3, first 2 shown]
	s_waitcnt vmcnt(0)
	ds_write_b128 v5, v[1:4]
	s_waitcnt lgkmcnt(0)
	s_barrier
	buffer_gl0_inv
	v_cmpx_gt_u32_e32 44, v0
	s_cbranch_execz .LBB54_191
; %bb.188:
	v_mov_b32_e32 v1, 0
	v_mov_b32_e32 v3, 0
	v_add_nc_u32_e32 v7, -1, v0
	v_add_nc_u32_e32 v8, 0x370, v225
	v_mov_b32_e32 v2, 0
	v_mov_b32_e32 v4, 0
	v_add_nc_u32_e32 v9, 16, v225
	s_mov_b32 s5, 0
	.p2align	6
.LBB54_189:                             ; =>This Inner Loop Header: Depth=1
	s_clause 0x3
	buffer_load_dword v14, v9, s[0:3], 0 offen offset:8
	buffer_load_dword v15, v9, s[0:3], 0 offen offset:12
	buffer_load_dword v16, v9, s[0:3], 0 offen
	buffer_load_dword v17, v9, s[0:3], 0 offen offset:4
	ds_read_b128 v[10:13], v8
	v_add_nc_u32_e32 v7, 1, v7
	v_add_nc_u32_e32 v8, 16, v8
	;; [unrolled: 1-line block ×3, first 2 shown]
	v_cmp_lt_u32_e32 vcc_lo, 42, v7
	s_or_b32 s5, vcc_lo, s5
	s_waitcnt vmcnt(2) lgkmcnt(0)
	v_mul_f64 v[18:19], v[12:13], v[14:15]
	v_mul_f64 v[14:15], v[10:11], v[14:15]
	s_waitcnt vmcnt(0)
	v_fma_f64 v[10:11], v[10:11], v[16:17], -v[18:19]
	v_fma_f64 v[12:13], v[12:13], v[16:17], v[14:15]
	v_add_f64 v[3:4], v[3:4], v[10:11]
	v_add_f64 v[1:2], v[1:2], v[12:13]
	s_andn2_b32 exec_lo, exec_lo, s5
	s_cbranch_execnz .LBB54_189
; %bb.190:
	s_or_b32 exec_lo, exec_lo, s5
	v_mov_b32_e32 v7, 0
	ds_read_b128 v[7:10], v7 offset:704
	s_waitcnt lgkmcnt(0)
	v_mul_f64 v[11:12], v[1:2], v[9:10]
	v_mul_f64 v[9:10], v[3:4], v[9:10]
	v_fma_f64 v[3:4], v[3:4], v[7:8], -v[11:12]
	v_fma_f64 v[1:2], v[1:2], v[7:8], v[9:10]
	buffer_store_dword v4, off, s[0:3], 0 offset:724
	buffer_store_dword v3, off, s[0:3], 0 offset:720
	;; [unrolled: 1-line block ×4, first 2 shown]
.LBB54_191:
	s_or_b32 exec_lo, exec_lo, s4
	v_mov_b32_e32 v4, s19
	s_waitcnt_vscnt null, 0x0
	s_barrier
	buffer_gl0_inv
	s_mov_b32 s4, exec_lo
	s_clause 0x3
	buffer_load_dword v1, v4, s[0:3], 0 offen
	buffer_load_dword v2, v4, s[0:3], 0 offen offset:4
	buffer_load_dword v3, v4, s[0:3], 0 offen offset:8
	;; [unrolled: 1-line block ×3, first 2 shown]
	s_waitcnt vmcnt(0)
	ds_write_b128 v5, v[1:4]
	s_waitcnt lgkmcnt(0)
	s_barrier
	buffer_gl0_inv
	v_cmpx_gt_u32_e32 45, v0
	s_cbranch_execz .LBB54_195
; %bb.192:
	v_mov_b32_e32 v1, 0
	v_mov_b32_e32 v3, 0
	v_add_nc_u32_e32 v7, -1, v0
	v_add_nc_u32_e32 v8, 0x370, v225
	v_mov_b32_e32 v2, 0
	v_mov_b32_e32 v4, 0
	v_add_nc_u32_e32 v9, 16, v225
	s_mov_b32 s5, 0
	.p2align	6
.LBB54_193:                             ; =>This Inner Loop Header: Depth=1
	s_clause 0x3
	buffer_load_dword v14, v9, s[0:3], 0 offen offset:8
	buffer_load_dword v15, v9, s[0:3], 0 offen offset:12
	buffer_load_dword v16, v9, s[0:3], 0 offen
	buffer_load_dword v17, v9, s[0:3], 0 offen offset:4
	ds_read_b128 v[10:13], v8
	v_add_nc_u32_e32 v7, 1, v7
	v_add_nc_u32_e32 v8, 16, v8
	;; [unrolled: 1-line block ×3, first 2 shown]
	v_cmp_lt_u32_e32 vcc_lo, 43, v7
	s_or_b32 s5, vcc_lo, s5
	s_waitcnt vmcnt(2) lgkmcnt(0)
	v_mul_f64 v[18:19], v[12:13], v[14:15]
	v_mul_f64 v[14:15], v[10:11], v[14:15]
	s_waitcnt vmcnt(0)
	v_fma_f64 v[10:11], v[10:11], v[16:17], -v[18:19]
	v_fma_f64 v[12:13], v[12:13], v[16:17], v[14:15]
	v_add_f64 v[3:4], v[3:4], v[10:11]
	v_add_f64 v[1:2], v[1:2], v[12:13]
	s_andn2_b32 exec_lo, exec_lo, s5
	s_cbranch_execnz .LBB54_193
; %bb.194:
	s_or_b32 exec_lo, exec_lo, s5
	v_mov_b32_e32 v7, 0
	ds_read_b128 v[7:10], v7 offset:720
	s_waitcnt lgkmcnt(0)
	v_mul_f64 v[11:12], v[1:2], v[9:10]
	v_mul_f64 v[9:10], v[3:4], v[9:10]
	v_fma_f64 v[3:4], v[3:4], v[7:8], -v[11:12]
	v_fma_f64 v[1:2], v[1:2], v[7:8], v[9:10]
	buffer_store_dword v4, off, s[0:3], 0 offset:740
	buffer_store_dword v3, off, s[0:3], 0 offset:736
	;; [unrolled: 1-line block ×4, first 2 shown]
.LBB54_195:
	s_or_b32 exec_lo, exec_lo, s4
	v_mov_b32_e32 v4, s18
	s_waitcnt_vscnt null, 0x0
	s_barrier
	buffer_gl0_inv
	s_mov_b32 s4, exec_lo
	s_clause 0x3
	buffer_load_dword v1, v4, s[0:3], 0 offen
	buffer_load_dword v2, v4, s[0:3], 0 offen offset:4
	buffer_load_dword v3, v4, s[0:3], 0 offen offset:8
	;; [unrolled: 1-line block ×3, first 2 shown]
	s_waitcnt vmcnt(0)
	ds_write_b128 v5, v[1:4]
	s_waitcnt lgkmcnt(0)
	s_barrier
	buffer_gl0_inv
	v_cmpx_gt_u32_e32 46, v0
	s_cbranch_execz .LBB54_199
; %bb.196:
	v_mov_b32_e32 v1, 0
	v_mov_b32_e32 v3, 0
	v_add_nc_u32_e32 v7, -1, v0
	v_add_nc_u32_e32 v8, 0x370, v225
	v_mov_b32_e32 v2, 0
	v_mov_b32_e32 v4, 0
	v_add_nc_u32_e32 v9, 16, v225
	s_mov_b32 s5, 0
	.p2align	6
.LBB54_197:                             ; =>This Inner Loop Header: Depth=1
	s_clause 0x3
	buffer_load_dword v14, v9, s[0:3], 0 offen offset:8
	buffer_load_dword v15, v9, s[0:3], 0 offen offset:12
	buffer_load_dword v16, v9, s[0:3], 0 offen
	buffer_load_dword v17, v9, s[0:3], 0 offen offset:4
	ds_read_b128 v[10:13], v8
	v_add_nc_u32_e32 v7, 1, v7
	v_add_nc_u32_e32 v8, 16, v8
	;; [unrolled: 1-line block ×3, first 2 shown]
	v_cmp_lt_u32_e32 vcc_lo, 44, v7
	s_or_b32 s5, vcc_lo, s5
	s_waitcnt vmcnt(2) lgkmcnt(0)
	v_mul_f64 v[18:19], v[12:13], v[14:15]
	v_mul_f64 v[14:15], v[10:11], v[14:15]
	s_waitcnt vmcnt(0)
	v_fma_f64 v[10:11], v[10:11], v[16:17], -v[18:19]
	v_fma_f64 v[12:13], v[12:13], v[16:17], v[14:15]
	v_add_f64 v[3:4], v[3:4], v[10:11]
	v_add_f64 v[1:2], v[1:2], v[12:13]
	s_andn2_b32 exec_lo, exec_lo, s5
	s_cbranch_execnz .LBB54_197
; %bb.198:
	s_or_b32 exec_lo, exec_lo, s5
	v_mov_b32_e32 v7, 0
	ds_read_b128 v[7:10], v7 offset:736
	s_waitcnt lgkmcnt(0)
	v_mul_f64 v[11:12], v[1:2], v[9:10]
	v_mul_f64 v[9:10], v[3:4], v[9:10]
	v_fma_f64 v[3:4], v[3:4], v[7:8], -v[11:12]
	v_fma_f64 v[1:2], v[1:2], v[7:8], v[9:10]
	buffer_store_dword v4, off, s[0:3], 0 offset:756
	buffer_store_dword v3, off, s[0:3], 0 offset:752
	;; [unrolled: 1-line block ×4, first 2 shown]
.LBB54_199:
	s_or_b32 exec_lo, exec_lo, s4
	v_mov_b32_e32 v4, s17
	s_waitcnt_vscnt null, 0x0
	s_barrier
	buffer_gl0_inv
	s_mov_b32 s4, exec_lo
	s_clause 0x3
	buffer_load_dword v1, v4, s[0:3], 0 offen
	buffer_load_dword v2, v4, s[0:3], 0 offen offset:4
	buffer_load_dword v3, v4, s[0:3], 0 offen offset:8
	;; [unrolled: 1-line block ×3, first 2 shown]
	s_waitcnt vmcnt(0)
	ds_write_b128 v5, v[1:4]
	s_waitcnt lgkmcnt(0)
	s_barrier
	buffer_gl0_inv
	v_cmpx_gt_u32_e32 47, v0
	s_cbranch_execz .LBB54_203
; %bb.200:
	v_mov_b32_e32 v1, 0
	v_mov_b32_e32 v3, 0
	v_add_nc_u32_e32 v7, -1, v0
	v_add_nc_u32_e32 v8, 0x370, v225
	v_mov_b32_e32 v2, 0
	v_mov_b32_e32 v4, 0
	v_add_nc_u32_e32 v9, 16, v225
	s_mov_b32 s5, 0
	.p2align	6
.LBB54_201:                             ; =>This Inner Loop Header: Depth=1
	s_clause 0x3
	buffer_load_dword v14, v9, s[0:3], 0 offen offset:8
	buffer_load_dword v15, v9, s[0:3], 0 offen offset:12
	buffer_load_dword v16, v9, s[0:3], 0 offen
	buffer_load_dword v17, v9, s[0:3], 0 offen offset:4
	ds_read_b128 v[10:13], v8
	v_add_nc_u32_e32 v7, 1, v7
	v_add_nc_u32_e32 v8, 16, v8
	v_add_nc_u32_e32 v9, 16, v9
	v_cmp_lt_u32_e32 vcc_lo, 45, v7
	s_or_b32 s5, vcc_lo, s5
	s_waitcnt vmcnt(2) lgkmcnt(0)
	v_mul_f64 v[18:19], v[12:13], v[14:15]
	v_mul_f64 v[14:15], v[10:11], v[14:15]
	s_waitcnt vmcnt(0)
	v_fma_f64 v[10:11], v[10:11], v[16:17], -v[18:19]
	v_fma_f64 v[12:13], v[12:13], v[16:17], v[14:15]
	v_add_f64 v[3:4], v[3:4], v[10:11]
	v_add_f64 v[1:2], v[1:2], v[12:13]
	s_andn2_b32 exec_lo, exec_lo, s5
	s_cbranch_execnz .LBB54_201
; %bb.202:
	s_or_b32 exec_lo, exec_lo, s5
	v_mov_b32_e32 v7, 0
	ds_read_b128 v[7:10], v7 offset:752
	s_waitcnt lgkmcnt(0)
	v_mul_f64 v[11:12], v[1:2], v[9:10]
	v_mul_f64 v[9:10], v[3:4], v[9:10]
	v_fma_f64 v[3:4], v[3:4], v[7:8], -v[11:12]
	v_fma_f64 v[1:2], v[1:2], v[7:8], v[9:10]
	buffer_store_dword v4, off, s[0:3], 0 offset:772
	buffer_store_dword v3, off, s[0:3], 0 offset:768
	;; [unrolled: 1-line block ×4, first 2 shown]
.LBB54_203:
	s_or_b32 exec_lo, exec_lo, s4
	v_mov_b32_e32 v4, s16
	s_waitcnt_vscnt null, 0x0
	s_barrier
	buffer_gl0_inv
	s_mov_b32 s4, exec_lo
	s_clause 0x3
	buffer_load_dword v1, v4, s[0:3], 0 offen
	buffer_load_dword v2, v4, s[0:3], 0 offen offset:4
	buffer_load_dword v3, v4, s[0:3], 0 offen offset:8
	;; [unrolled: 1-line block ×3, first 2 shown]
	s_waitcnt vmcnt(0)
	ds_write_b128 v5, v[1:4]
	s_waitcnt lgkmcnt(0)
	s_barrier
	buffer_gl0_inv
	v_cmpx_gt_u32_e32 48, v0
	s_cbranch_execz .LBB54_207
; %bb.204:
	v_mov_b32_e32 v1, 0
	v_mov_b32_e32 v3, 0
	v_add_nc_u32_e32 v7, -1, v0
	v_add_nc_u32_e32 v8, 0x370, v225
	v_mov_b32_e32 v2, 0
	v_mov_b32_e32 v4, 0
	v_add_nc_u32_e32 v9, 16, v225
	s_mov_b32 s5, 0
	.p2align	6
.LBB54_205:                             ; =>This Inner Loop Header: Depth=1
	s_clause 0x3
	buffer_load_dword v14, v9, s[0:3], 0 offen offset:8
	buffer_load_dword v15, v9, s[0:3], 0 offen offset:12
	buffer_load_dword v16, v9, s[0:3], 0 offen
	buffer_load_dword v17, v9, s[0:3], 0 offen offset:4
	ds_read_b128 v[10:13], v8
	v_add_nc_u32_e32 v7, 1, v7
	v_add_nc_u32_e32 v8, 16, v8
	;; [unrolled: 1-line block ×3, first 2 shown]
	v_cmp_lt_u32_e32 vcc_lo, 46, v7
	s_or_b32 s5, vcc_lo, s5
	s_waitcnt vmcnt(2) lgkmcnt(0)
	v_mul_f64 v[18:19], v[12:13], v[14:15]
	v_mul_f64 v[14:15], v[10:11], v[14:15]
	s_waitcnt vmcnt(0)
	v_fma_f64 v[10:11], v[10:11], v[16:17], -v[18:19]
	v_fma_f64 v[12:13], v[12:13], v[16:17], v[14:15]
	v_add_f64 v[3:4], v[3:4], v[10:11]
	v_add_f64 v[1:2], v[1:2], v[12:13]
	s_andn2_b32 exec_lo, exec_lo, s5
	s_cbranch_execnz .LBB54_205
; %bb.206:
	s_or_b32 exec_lo, exec_lo, s5
	v_mov_b32_e32 v7, 0
	ds_read_b128 v[7:10], v7 offset:768
	s_waitcnt lgkmcnt(0)
	v_mul_f64 v[11:12], v[1:2], v[9:10]
	v_mul_f64 v[9:10], v[3:4], v[9:10]
	v_fma_f64 v[3:4], v[3:4], v[7:8], -v[11:12]
	v_fma_f64 v[1:2], v[1:2], v[7:8], v[9:10]
	buffer_store_dword v4, off, s[0:3], 0 offset:788
	buffer_store_dword v3, off, s[0:3], 0 offset:784
	;; [unrolled: 1-line block ×4, first 2 shown]
.LBB54_207:
	s_or_b32 exec_lo, exec_lo, s4
	v_mov_b32_e32 v4, s15
	s_waitcnt_vscnt null, 0x0
	s_barrier
	buffer_gl0_inv
	s_mov_b32 s4, exec_lo
	s_clause 0x3
	buffer_load_dword v1, v4, s[0:3], 0 offen
	buffer_load_dword v2, v4, s[0:3], 0 offen offset:4
	buffer_load_dword v3, v4, s[0:3], 0 offen offset:8
	;; [unrolled: 1-line block ×3, first 2 shown]
	s_waitcnt vmcnt(0)
	ds_write_b128 v5, v[1:4]
	s_waitcnt lgkmcnt(0)
	s_barrier
	buffer_gl0_inv
	v_cmpx_gt_u32_e32 49, v0
	s_cbranch_execz .LBB54_211
; %bb.208:
	v_mov_b32_e32 v1, 0
	v_mov_b32_e32 v3, 0
	v_add_nc_u32_e32 v7, -1, v0
	v_add_nc_u32_e32 v8, 0x370, v225
	v_mov_b32_e32 v2, 0
	v_mov_b32_e32 v4, 0
	v_add_nc_u32_e32 v9, 16, v225
	s_mov_b32 s5, 0
	.p2align	6
.LBB54_209:                             ; =>This Inner Loop Header: Depth=1
	s_clause 0x3
	buffer_load_dword v14, v9, s[0:3], 0 offen offset:8
	buffer_load_dword v15, v9, s[0:3], 0 offen offset:12
	buffer_load_dword v16, v9, s[0:3], 0 offen
	buffer_load_dword v17, v9, s[0:3], 0 offen offset:4
	ds_read_b128 v[10:13], v8
	v_add_nc_u32_e32 v7, 1, v7
	v_add_nc_u32_e32 v8, 16, v8
	;; [unrolled: 1-line block ×3, first 2 shown]
	v_cmp_lt_u32_e32 vcc_lo, 47, v7
	s_or_b32 s5, vcc_lo, s5
	s_waitcnt vmcnt(2) lgkmcnt(0)
	v_mul_f64 v[18:19], v[12:13], v[14:15]
	v_mul_f64 v[14:15], v[10:11], v[14:15]
	s_waitcnt vmcnt(0)
	v_fma_f64 v[10:11], v[10:11], v[16:17], -v[18:19]
	v_fma_f64 v[12:13], v[12:13], v[16:17], v[14:15]
	v_add_f64 v[3:4], v[3:4], v[10:11]
	v_add_f64 v[1:2], v[1:2], v[12:13]
	s_andn2_b32 exec_lo, exec_lo, s5
	s_cbranch_execnz .LBB54_209
; %bb.210:
	s_or_b32 exec_lo, exec_lo, s5
	v_mov_b32_e32 v7, 0
	ds_read_b128 v[7:10], v7 offset:784
	s_waitcnt lgkmcnt(0)
	v_mul_f64 v[11:12], v[1:2], v[9:10]
	v_mul_f64 v[9:10], v[3:4], v[9:10]
	v_fma_f64 v[3:4], v[3:4], v[7:8], -v[11:12]
	v_fma_f64 v[1:2], v[1:2], v[7:8], v[9:10]
	buffer_store_dword v4, off, s[0:3], 0 offset:804
	buffer_store_dword v3, off, s[0:3], 0 offset:800
	;; [unrolled: 1-line block ×4, first 2 shown]
.LBB54_211:
	s_or_b32 exec_lo, exec_lo, s4
	v_mov_b32_e32 v4, s14
	s_waitcnt_vscnt null, 0x0
	s_barrier
	buffer_gl0_inv
	s_mov_b32 s4, exec_lo
	s_clause 0x3
	buffer_load_dword v1, v4, s[0:3], 0 offen
	buffer_load_dword v2, v4, s[0:3], 0 offen offset:4
	buffer_load_dword v3, v4, s[0:3], 0 offen offset:8
	;; [unrolled: 1-line block ×3, first 2 shown]
	s_waitcnt vmcnt(0)
	ds_write_b128 v5, v[1:4]
	s_waitcnt lgkmcnt(0)
	s_barrier
	buffer_gl0_inv
	v_cmpx_gt_u32_e32 50, v0
	s_cbranch_execz .LBB54_215
; %bb.212:
	v_mov_b32_e32 v1, 0
	v_mov_b32_e32 v3, 0
	v_add_nc_u32_e32 v7, -1, v0
	v_add_nc_u32_e32 v8, 0x370, v225
	v_mov_b32_e32 v2, 0
	v_mov_b32_e32 v4, 0
	v_add_nc_u32_e32 v9, 16, v225
	s_mov_b32 s5, 0
	.p2align	6
.LBB54_213:                             ; =>This Inner Loop Header: Depth=1
	s_clause 0x3
	buffer_load_dword v14, v9, s[0:3], 0 offen offset:8
	buffer_load_dword v15, v9, s[0:3], 0 offen offset:12
	buffer_load_dword v16, v9, s[0:3], 0 offen
	buffer_load_dword v17, v9, s[0:3], 0 offen offset:4
	ds_read_b128 v[10:13], v8
	v_add_nc_u32_e32 v7, 1, v7
	v_add_nc_u32_e32 v8, 16, v8
	;; [unrolled: 1-line block ×3, first 2 shown]
	v_cmp_lt_u32_e32 vcc_lo, 48, v7
	s_or_b32 s5, vcc_lo, s5
	s_waitcnt vmcnt(2) lgkmcnt(0)
	v_mul_f64 v[18:19], v[12:13], v[14:15]
	v_mul_f64 v[14:15], v[10:11], v[14:15]
	s_waitcnt vmcnt(0)
	v_fma_f64 v[10:11], v[10:11], v[16:17], -v[18:19]
	v_fma_f64 v[12:13], v[12:13], v[16:17], v[14:15]
	v_add_f64 v[3:4], v[3:4], v[10:11]
	v_add_f64 v[1:2], v[1:2], v[12:13]
	s_andn2_b32 exec_lo, exec_lo, s5
	s_cbranch_execnz .LBB54_213
; %bb.214:
	s_or_b32 exec_lo, exec_lo, s5
	v_mov_b32_e32 v7, 0
	ds_read_b128 v[7:10], v7 offset:800
	s_waitcnt lgkmcnt(0)
	v_mul_f64 v[11:12], v[1:2], v[9:10]
	v_mul_f64 v[9:10], v[3:4], v[9:10]
	v_fma_f64 v[3:4], v[3:4], v[7:8], -v[11:12]
	v_fma_f64 v[1:2], v[1:2], v[7:8], v[9:10]
	buffer_store_dword v4, off, s[0:3], 0 offset:820
	buffer_store_dword v3, off, s[0:3], 0 offset:816
	;; [unrolled: 1-line block ×4, first 2 shown]
.LBB54_215:
	s_or_b32 exec_lo, exec_lo, s4
	v_mov_b32_e32 v4, s13
	s_waitcnt_vscnt null, 0x0
	s_barrier
	buffer_gl0_inv
	s_mov_b32 s4, exec_lo
	s_clause 0x3
	buffer_load_dword v1, v4, s[0:3], 0 offen
	buffer_load_dword v2, v4, s[0:3], 0 offen offset:4
	buffer_load_dword v3, v4, s[0:3], 0 offen offset:8
	;; [unrolled: 1-line block ×3, first 2 shown]
	s_waitcnt vmcnt(0)
	ds_write_b128 v5, v[1:4]
	s_waitcnt lgkmcnt(0)
	s_barrier
	buffer_gl0_inv
	v_cmpx_gt_u32_e32 51, v0
	s_cbranch_execz .LBB54_219
; %bb.216:
	v_mov_b32_e32 v1, 0
	v_mov_b32_e32 v3, 0
	v_add_nc_u32_e32 v7, -1, v0
	v_add_nc_u32_e32 v8, 0x370, v225
	v_mov_b32_e32 v2, 0
	v_mov_b32_e32 v4, 0
	v_add_nc_u32_e32 v9, 16, v225
	s_mov_b32 s5, 0
	.p2align	6
.LBB54_217:                             ; =>This Inner Loop Header: Depth=1
	s_clause 0x3
	buffer_load_dword v14, v9, s[0:3], 0 offen offset:8
	buffer_load_dword v15, v9, s[0:3], 0 offen offset:12
	buffer_load_dword v16, v9, s[0:3], 0 offen
	buffer_load_dword v17, v9, s[0:3], 0 offen offset:4
	ds_read_b128 v[10:13], v8
	v_add_nc_u32_e32 v7, 1, v7
	v_add_nc_u32_e32 v8, 16, v8
	;; [unrolled: 1-line block ×3, first 2 shown]
	v_cmp_lt_u32_e32 vcc_lo, 49, v7
	s_or_b32 s5, vcc_lo, s5
	s_waitcnt vmcnt(2) lgkmcnt(0)
	v_mul_f64 v[18:19], v[12:13], v[14:15]
	v_mul_f64 v[14:15], v[10:11], v[14:15]
	s_waitcnt vmcnt(0)
	v_fma_f64 v[10:11], v[10:11], v[16:17], -v[18:19]
	v_fma_f64 v[12:13], v[12:13], v[16:17], v[14:15]
	v_add_f64 v[3:4], v[3:4], v[10:11]
	v_add_f64 v[1:2], v[1:2], v[12:13]
	s_andn2_b32 exec_lo, exec_lo, s5
	s_cbranch_execnz .LBB54_217
; %bb.218:
	s_or_b32 exec_lo, exec_lo, s5
	v_mov_b32_e32 v7, 0
	ds_read_b128 v[7:10], v7 offset:816
	s_waitcnt lgkmcnt(0)
	v_mul_f64 v[11:12], v[1:2], v[9:10]
	v_mul_f64 v[9:10], v[3:4], v[9:10]
	v_fma_f64 v[3:4], v[3:4], v[7:8], -v[11:12]
	v_fma_f64 v[1:2], v[1:2], v[7:8], v[9:10]
	buffer_store_dword v4, off, s[0:3], 0 offset:836
	buffer_store_dword v3, off, s[0:3], 0 offset:832
	;; [unrolled: 1-line block ×4, first 2 shown]
.LBB54_219:
	s_or_b32 exec_lo, exec_lo, s4
	v_mov_b32_e32 v4, s12
	s_waitcnt_vscnt null, 0x0
	s_barrier
	buffer_gl0_inv
	s_mov_b32 s4, exec_lo
	s_clause 0x3
	buffer_load_dword v1, v4, s[0:3], 0 offen
	buffer_load_dword v2, v4, s[0:3], 0 offen offset:4
	buffer_load_dword v3, v4, s[0:3], 0 offen offset:8
	;; [unrolled: 1-line block ×3, first 2 shown]
	s_waitcnt vmcnt(0)
	ds_write_b128 v5, v[1:4]
	s_waitcnt lgkmcnt(0)
	s_barrier
	buffer_gl0_inv
	v_cmpx_gt_u32_e32 52, v0
	s_cbranch_execz .LBB54_223
; %bb.220:
	v_mov_b32_e32 v1, 0
	v_mov_b32_e32 v3, 0
	v_add_nc_u32_e32 v7, -1, v0
	v_add_nc_u32_e32 v8, 0x370, v225
	v_mov_b32_e32 v2, 0
	v_mov_b32_e32 v4, 0
	v_add_nc_u32_e32 v9, 16, v225
	s_mov_b32 s5, 0
	.p2align	6
.LBB54_221:                             ; =>This Inner Loop Header: Depth=1
	s_clause 0x3
	buffer_load_dword v14, v9, s[0:3], 0 offen offset:8
	buffer_load_dword v15, v9, s[0:3], 0 offen offset:12
	buffer_load_dword v16, v9, s[0:3], 0 offen
	buffer_load_dword v17, v9, s[0:3], 0 offen offset:4
	ds_read_b128 v[10:13], v8
	v_add_nc_u32_e32 v7, 1, v7
	v_add_nc_u32_e32 v8, 16, v8
	;; [unrolled: 1-line block ×3, first 2 shown]
	v_cmp_lt_u32_e32 vcc_lo, 50, v7
	s_or_b32 s5, vcc_lo, s5
	s_waitcnt vmcnt(2) lgkmcnt(0)
	v_mul_f64 v[18:19], v[12:13], v[14:15]
	v_mul_f64 v[14:15], v[10:11], v[14:15]
	s_waitcnt vmcnt(0)
	v_fma_f64 v[10:11], v[10:11], v[16:17], -v[18:19]
	v_fma_f64 v[12:13], v[12:13], v[16:17], v[14:15]
	v_add_f64 v[3:4], v[3:4], v[10:11]
	v_add_f64 v[1:2], v[1:2], v[12:13]
	s_andn2_b32 exec_lo, exec_lo, s5
	s_cbranch_execnz .LBB54_221
; %bb.222:
	s_or_b32 exec_lo, exec_lo, s5
	v_mov_b32_e32 v7, 0
	ds_read_b128 v[7:10], v7 offset:832
	s_waitcnt lgkmcnt(0)
	v_mul_f64 v[11:12], v[1:2], v[9:10]
	v_mul_f64 v[9:10], v[3:4], v[9:10]
	v_fma_f64 v[3:4], v[3:4], v[7:8], -v[11:12]
	v_fma_f64 v[1:2], v[1:2], v[7:8], v[9:10]
	buffer_store_dword v4, off, s[0:3], 0 offset:852
	buffer_store_dword v3, off, s[0:3], 0 offset:848
	buffer_store_dword v2, off, s[0:3], 0 offset:860
	buffer_store_dword v1, off, s[0:3], 0 offset:856
.LBB54_223:
	s_or_b32 exec_lo, exec_lo, s4
	v_mov_b32_e32 v4, s9
	s_waitcnt_vscnt null, 0x0
	s_barrier
	buffer_gl0_inv
	s_mov_b32 s4, exec_lo
	s_clause 0x3
	buffer_load_dword v1, v4, s[0:3], 0 offen
	buffer_load_dword v2, v4, s[0:3], 0 offen offset:4
	buffer_load_dword v3, v4, s[0:3], 0 offen offset:8
	;; [unrolled: 1-line block ×3, first 2 shown]
	s_waitcnt vmcnt(0)
	ds_write_b128 v5, v[1:4]
	s_waitcnt lgkmcnt(0)
	s_barrier
	buffer_gl0_inv
	v_cmpx_gt_u32_e32 53, v0
	s_cbranch_execz .LBB54_227
; %bb.224:
	v_mov_b32_e32 v1, 0
	v_mov_b32_e32 v3, 0
	v_add_nc_u32_e32 v7, -1, v0
	v_add_nc_u32_e32 v8, 0x370, v225
	v_mov_b32_e32 v2, 0
	v_mov_b32_e32 v4, 0
	v_add_nc_u32_e32 v9, 16, v225
	s_mov_b32 s5, 0
	.p2align	6
.LBB54_225:                             ; =>This Inner Loop Header: Depth=1
	s_clause 0x3
	buffer_load_dword v14, v9, s[0:3], 0 offen offset:8
	buffer_load_dword v15, v9, s[0:3], 0 offen offset:12
	buffer_load_dword v16, v9, s[0:3], 0 offen
	buffer_load_dword v17, v9, s[0:3], 0 offen offset:4
	ds_read_b128 v[10:13], v8
	v_add_nc_u32_e32 v7, 1, v7
	v_add_nc_u32_e32 v8, 16, v8
	;; [unrolled: 1-line block ×3, first 2 shown]
	v_cmp_lt_u32_e32 vcc_lo, 51, v7
	s_or_b32 s5, vcc_lo, s5
	s_waitcnt vmcnt(2) lgkmcnt(0)
	v_mul_f64 v[18:19], v[12:13], v[14:15]
	v_mul_f64 v[14:15], v[10:11], v[14:15]
	s_waitcnt vmcnt(0)
	v_fma_f64 v[10:11], v[10:11], v[16:17], -v[18:19]
	v_fma_f64 v[12:13], v[12:13], v[16:17], v[14:15]
	v_add_f64 v[3:4], v[3:4], v[10:11]
	v_add_f64 v[1:2], v[1:2], v[12:13]
	s_andn2_b32 exec_lo, exec_lo, s5
	s_cbranch_execnz .LBB54_225
; %bb.226:
	s_or_b32 exec_lo, exec_lo, s5
	v_mov_b32_e32 v7, 0
	ds_read_b128 v[7:10], v7 offset:848
	s_waitcnt lgkmcnt(0)
	v_mul_f64 v[11:12], v[1:2], v[9:10]
	v_mul_f64 v[9:10], v[3:4], v[9:10]
	v_fma_f64 v[3:4], v[3:4], v[7:8], -v[11:12]
	v_fma_f64 v[1:2], v[1:2], v[7:8], v[9:10]
	buffer_store_dword v4, off, s[0:3], 0 offset:868
	buffer_store_dword v3, off, s[0:3], 0 offset:864
	;; [unrolled: 1-line block ×4, first 2 shown]
.LBB54_227:
	s_or_b32 exec_lo, exec_lo, s4
	v_mov_b32_e32 v4, s8
	s_waitcnt_vscnt null, 0x0
	s_barrier
	buffer_gl0_inv
	s_mov_b32 s4, exec_lo
	s_clause 0x3
	buffer_load_dword v1, v4, s[0:3], 0 offen
	buffer_load_dword v2, v4, s[0:3], 0 offen offset:4
	buffer_load_dword v3, v4, s[0:3], 0 offen offset:8
	buffer_load_dword v4, v4, s[0:3], 0 offen offset:12
	s_waitcnt vmcnt(0)
	ds_write_b128 v5, v[1:4]
	s_waitcnt lgkmcnt(0)
	s_barrier
	buffer_gl0_inv
	v_cmpx_ne_u32_e32 54, v0
	s_cbranch_execz .LBB54_231
; %bb.228:
	v_mov_b32_e32 v1, 0
	v_mov_b32_e32 v3, 0
	;; [unrolled: 1-line block ×4, first 2 shown]
	v_add_nc_u32_e32 v7, 16, v225
	s_mov_b32 s5, 0
	.p2align	6
.LBB54_229:                             ; =>This Inner Loop Header: Depth=1
	s_clause 0x3
	buffer_load_dword v12, v7, s[0:3], 0 offen offset:8
	buffer_load_dword v13, v7, s[0:3], 0 offen offset:12
	buffer_load_dword v14, v7, s[0:3], 0 offen
	buffer_load_dword v15, v7, s[0:3], 0 offen offset:4
	ds_read_b128 v[8:11], v5
	v_add_nc_u32_e32 v6, 1, v6
	v_add_nc_u32_e32 v5, 16, v5
	;; [unrolled: 1-line block ×3, first 2 shown]
	v_cmp_lt_u32_e32 vcc_lo, 52, v6
	s_or_b32 s5, vcc_lo, s5
	s_waitcnt vmcnt(2) lgkmcnt(0)
	v_mul_f64 v[16:17], v[10:11], v[12:13]
	v_mul_f64 v[12:13], v[8:9], v[12:13]
	s_waitcnt vmcnt(0)
	v_fma_f64 v[8:9], v[8:9], v[14:15], -v[16:17]
	v_fma_f64 v[10:11], v[10:11], v[14:15], v[12:13]
	v_add_f64 v[3:4], v[3:4], v[8:9]
	v_add_f64 v[1:2], v[1:2], v[10:11]
	s_andn2_b32 exec_lo, exec_lo, s5
	s_cbranch_execnz .LBB54_229
; %bb.230:
	s_or_b32 exec_lo, exec_lo, s5
	v_mov_b32_e32 v5, 0
	ds_read_b128 v[5:8], v5 offset:864
	s_waitcnt lgkmcnt(0)
	v_mul_f64 v[9:10], v[1:2], v[7:8]
	v_mul_f64 v[7:8], v[3:4], v[7:8]
	v_fma_f64 v[3:4], v[3:4], v[5:6], -v[9:10]
	v_fma_f64 v[1:2], v[1:2], v[5:6], v[7:8]
	buffer_store_dword v4, off, s[0:3], 0 offset:884
	buffer_store_dword v3, off, s[0:3], 0 offset:880
	;; [unrolled: 1-line block ×4, first 2 shown]
.LBB54_231:
	s_or_b32 exec_lo, exec_lo, s4
	s_mov_b32 s5, -1
	s_waitcnt_vscnt null, 0x0
	s_barrier
	buffer_gl0_inv
.LBB54_232:
	s_and_b32 vcc_lo, exec_lo, s5
	s_cbranch_vccz .LBB54_234
; %bb.233:
	s_lshl_b64 s[4:5], s[6:7], 2
	v_mov_b32_e32 v1, 0
	s_add_u32 s4, s10, s4
	s_addc_u32 s5, s11, s5
	global_load_dword v1, v1, s[4:5]
	s_waitcnt vmcnt(0)
	v_cmp_ne_u32_e32 vcc_lo, 0, v1
	s_cbranch_vccz .LBB54_235
.LBB54_234:
	s_endpgm
.LBB54_235:
	v_lshl_add_u32 v95, v0, 4, 0x370
	s_mov_b32 s4, exec_lo
	v_cmpx_eq_u32_e32 54, v0
	s_cbranch_execz .LBB54_237
; %bb.236:
	v_mov_b32_e32 v4, s9
	v_mov_b32_e32 v5, 0
	s_clause 0x3
	buffer_load_dword v1, v4, s[0:3], 0 offen
	buffer_load_dword v2, v4, s[0:3], 0 offen offset:4
	buffer_load_dword v3, v4, s[0:3], 0 offen offset:8
	;; [unrolled: 1-line block ×3, first 2 shown]
	buffer_store_dword v5, off, s[0:3], 0 offset:864
	buffer_store_dword v5, off, s[0:3], 0 offset:868
	;; [unrolled: 1-line block ×4, first 2 shown]
	s_waitcnt vmcnt(0)
	ds_write_b128 v95, v[1:4]
.LBB54_237:
	s_or_b32 exec_lo, exec_lo, s4
	s_waitcnt lgkmcnt(0)
	s_waitcnt_vscnt null, 0x0
	s_barrier
	buffer_gl0_inv
	s_clause 0x7
	buffer_load_dword v6, off, s[0:3], 0 offset:888
	buffer_load_dword v7, off, s[0:3], 0 offset:892
	;; [unrolled: 1-line block ×8, first 2 shown]
	v_mov_b32_e32 v1, 0
	s_mov_b32 s4, exec_lo
	ds_read_b128 v[2:5], v1 offset:1744
	s_waitcnt vmcnt(6) lgkmcnt(0)
	v_mul_f64 v[14:15], v[4:5], v[6:7]
	v_mul_f64 v[6:7], v[2:3], v[6:7]
	s_waitcnt vmcnt(4)
	v_fma_f64 v[2:3], v[2:3], v[8:9], -v[14:15]
	v_fma_f64 v[4:5], v[4:5], v[8:9], v[6:7]
	v_add_f64 v[2:3], v[2:3], 0
	v_add_f64 v[4:5], v[4:5], 0
	s_waitcnt vmcnt(2)
	v_add_f64 v[2:3], v[10:11], -v[2:3]
	s_waitcnt vmcnt(0)
	v_add_f64 v[4:5], v[12:13], -v[4:5]
	buffer_store_dword v2, off, s[0:3], 0 offset:864
	buffer_store_dword v3, off, s[0:3], 0 offset:868
	;; [unrolled: 1-line block ×4, first 2 shown]
	v_cmpx_lt_u32_e32 52, v0
	s_cbranch_execz .LBB54_239
; %bb.238:
	v_mov_b32_e32 v5, s12
	s_clause 0x3
	buffer_load_dword v2, v5, s[0:3], 0 offen
	buffer_load_dword v3, v5, s[0:3], 0 offen offset:4
	buffer_load_dword v4, v5, s[0:3], 0 offen offset:8
	;; [unrolled: 1-line block ×3, first 2 shown]
	buffer_store_dword v1, off, s[0:3], 0 offset:848
	buffer_store_dword v1, off, s[0:3], 0 offset:852
	;; [unrolled: 1-line block ×4, first 2 shown]
	s_waitcnt vmcnt(0)
	ds_write_b128 v95, v[2:5]
.LBB54_239:
	s_or_b32 exec_lo, exec_lo, s4
	s_waitcnt lgkmcnt(0)
	s_waitcnt_vscnt null, 0x0
	s_barrier
	buffer_gl0_inv
	s_clause 0xb
	buffer_load_dword v10, off, s[0:3], 0 offset:872
	buffer_load_dword v11, off, s[0:3], 0 offset:876
	;; [unrolled: 1-line block ×12, first 2 shown]
	ds_read_b128 v[2:5], v1 offset:1728
	ds_read_b128 v[6:9], v1 offset:1744
	s_mov_b32 s4, exec_lo
	s_waitcnt vmcnt(10) lgkmcnt(1)
	v_mul_f64 v[22:23], v[4:5], v[10:11]
	v_mul_f64 v[10:11], v[2:3], v[10:11]
	s_waitcnt vmcnt(8) lgkmcnt(0)
	v_mul_f64 v[24:25], v[8:9], v[12:13]
	v_mul_f64 v[12:13], v[6:7], v[12:13]
	s_waitcnt vmcnt(6)
	v_fma_f64 v[1:2], v[2:3], v[14:15], -v[22:23]
	v_fma_f64 v[3:4], v[4:5], v[14:15], v[10:11]
	s_waitcnt vmcnt(4)
	v_fma_f64 v[5:6], v[6:7], v[16:17], -v[24:25]
	v_fma_f64 v[7:8], v[8:9], v[16:17], v[12:13]
	v_add_f64 v[1:2], v[1:2], 0
	v_add_f64 v[3:4], v[3:4], 0
	;; [unrolled: 1-line block ×4, first 2 shown]
	s_waitcnt vmcnt(2)
	v_add_f64 v[1:2], v[18:19], -v[1:2]
	s_waitcnt vmcnt(0)
	v_add_f64 v[3:4], v[20:21], -v[3:4]
	buffer_store_dword v1, off, s[0:3], 0 offset:848
	buffer_store_dword v2, off, s[0:3], 0 offset:852
	;; [unrolled: 1-line block ×4, first 2 shown]
	v_cmpx_lt_u32_e32 51, v0
	s_cbranch_execz .LBB54_241
; %bb.240:
	v_mov_b32_e32 v4, s13
	v_mov_b32_e32 v5, 0
	s_clause 0x3
	buffer_load_dword v1, v4, s[0:3], 0 offen
	buffer_load_dword v2, v4, s[0:3], 0 offen offset:4
	buffer_load_dword v3, v4, s[0:3], 0 offen offset:8
	;; [unrolled: 1-line block ×3, first 2 shown]
	buffer_store_dword v5, off, s[0:3], 0 offset:832
	buffer_store_dword v5, off, s[0:3], 0 offset:836
	;; [unrolled: 1-line block ×4, first 2 shown]
	s_waitcnt vmcnt(0)
	ds_write_b128 v95, v[1:4]
.LBB54_241:
	s_or_b32 exec_lo, exec_lo, s4
	s_waitcnt lgkmcnt(0)
	s_waitcnt_vscnt null, 0x0
	s_barrier
	buffer_gl0_inv
	s_clause 0xf
	buffer_load_dword v10, off, s[0:3], 0 offset:856
	buffer_load_dword v11, off, s[0:3], 0 offset:860
	;; [unrolled: 1-line block ×16, first 2 shown]
	v_mov_b32_e32 v1, 0
	ds_read_b128 v[2:5], v1 offset:1712
	ds_read_b128 v[6:9], v1 offset:1728
	s_mov_b32 s4, exec_lo
	s_waitcnt vmcnt(14) lgkmcnt(1)
	v_mul_f64 v[28:29], v[4:5], v[10:11]
	v_mul_f64 v[30:31], v[2:3], v[10:11]
	s_waitcnt vmcnt(12) lgkmcnt(0)
	v_mul_f64 v[32:33], v[8:9], v[14:15]
	ds_read_b128 v[10:13], v1 offset:1744
	v_mul_f64 v[14:15], v[6:7], v[14:15]
	s_waitcnt vmcnt(10)
	v_fma_f64 v[2:3], v[2:3], v[16:17], -v[28:29]
	v_fma_f64 v[4:5], v[4:5], v[16:17], v[30:31]
	s_waitcnt vmcnt(8) lgkmcnt(0)
	v_mul_f64 v[16:17], v[10:11], v[18:19]
	v_mul_f64 v[18:19], v[12:13], v[18:19]
	s_waitcnt vmcnt(6)
	v_fma_f64 v[6:7], v[6:7], v[20:21], -v[32:33]
	v_fma_f64 v[8:9], v[8:9], v[20:21], v[14:15]
	v_add_f64 v[2:3], v[2:3], 0
	v_add_f64 v[4:5], v[4:5], 0
	s_waitcnt vmcnt(4)
	v_fma_f64 v[10:11], v[10:11], v[22:23], -v[18:19]
	v_add_f64 v[2:3], v[2:3], v[6:7]
	v_fma_f64 v[6:7], v[12:13], v[22:23], v[16:17]
	v_add_f64 v[4:5], v[4:5], v[8:9]
	v_add_f64 v[2:3], v[2:3], v[10:11]
	;; [unrolled: 1-line block ×3, first 2 shown]
	s_waitcnt vmcnt(2)
	v_add_f64 v[2:3], v[24:25], -v[2:3]
	s_waitcnt vmcnt(0)
	v_add_f64 v[4:5], v[26:27], -v[4:5]
	buffer_store_dword v2, off, s[0:3], 0 offset:832
	buffer_store_dword v3, off, s[0:3], 0 offset:836
	;; [unrolled: 1-line block ×4, first 2 shown]
	v_cmpx_lt_u32_e32 50, v0
	s_cbranch_execz .LBB54_243
; %bb.242:
	v_mov_b32_e32 v5, s14
	s_clause 0x3
	buffer_load_dword v2, v5, s[0:3], 0 offen
	buffer_load_dword v3, v5, s[0:3], 0 offen offset:4
	buffer_load_dword v4, v5, s[0:3], 0 offen offset:8
	;; [unrolled: 1-line block ×3, first 2 shown]
	buffer_store_dword v1, off, s[0:3], 0 offset:816
	buffer_store_dword v1, off, s[0:3], 0 offset:820
	;; [unrolled: 1-line block ×4, first 2 shown]
	s_waitcnt vmcnt(0)
	ds_write_b128 v95, v[2:5]
.LBB54_243:
	s_or_b32 exec_lo, exec_lo, s4
	s_waitcnt lgkmcnt(0)
	s_waitcnt_vscnt null, 0x0
	s_barrier
	buffer_gl0_inv
	s_clause 0x13
	buffer_load_dword v10, off, s[0:3], 0 offset:840
	buffer_load_dword v11, off, s[0:3], 0 offset:844
	buffer_load_dword v14, off, s[0:3], 0 offset:856
	buffer_load_dword v15, off, s[0:3], 0 offset:860
	buffer_load_dword v16, off, s[0:3], 0 offset:832
	buffer_load_dword v17, off, s[0:3], 0 offset:836
	buffer_load_dword v18, off, s[0:3], 0 offset:872
	buffer_load_dword v19, off, s[0:3], 0 offset:876
	buffer_load_dword v20, off, s[0:3], 0 offset:848
	buffer_load_dword v21, off, s[0:3], 0 offset:852
	buffer_load_dword v23, off, s[0:3], 0 offset:892
	buffer_load_dword v22, off, s[0:3], 0 offset:888
	buffer_load_dword v24, off, s[0:3], 0 offset:864
	buffer_load_dword v25, off, s[0:3], 0 offset:868
	buffer_load_dword v27, off, s[0:3], 0 offset:884
	buffer_load_dword v26, off, s[0:3], 0 offset:880
	buffer_load_dword v28, off, s[0:3], 0 offset:816
	buffer_load_dword v29, off, s[0:3], 0 offset:820
	buffer_load_dword v30, off, s[0:3], 0 offset:824
	buffer_load_dword v31, off, s[0:3], 0 offset:828
	ds_read_b128 v[2:5], v1 offset:1696
	ds_read_b128 v[6:9], v1 offset:1712
	s_mov_b32 s4, exec_lo
	s_waitcnt vmcnt(18) lgkmcnt(1)
	v_mul_f64 v[32:33], v[4:5], v[10:11]
	v_mul_f64 v[34:35], v[2:3], v[10:11]
	s_waitcnt vmcnt(16) lgkmcnt(0)
	v_mul_f64 v[36:37], v[8:9], v[14:15]
	ds_read_b128 v[10:13], v1 offset:1728
	v_mul_f64 v[14:15], v[6:7], v[14:15]
	s_waitcnt vmcnt(14)
	v_fma_f64 v[32:33], v[2:3], v[16:17], -v[32:33]
	v_fma_f64 v[16:17], v[4:5], v[16:17], v[34:35]
	s_waitcnt vmcnt(12) lgkmcnt(0)
	v_mul_f64 v[34:35], v[10:11], v[18:19]
	v_mul_f64 v[18:19], v[12:13], v[18:19]
	s_waitcnt vmcnt(10)
	v_fma_f64 v[5:6], v[6:7], v[20:21], -v[36:37]
	ds_read_b128 v[1:4], v1 offset:1744
	v_fma_f64 v[7:8], v[8:9], v[20:21], v[14:15]
	v_add_f64 v[32:33], v[32:33], 0
	v_add_f64 v[14:15], v[16:17], 0
	s_waitcnt vmcnt(8) lgkmcnt(0)
	v_mul_f64 v[20:21], v[3:4], v[22:23]
	s_waitcnt vmcnt(6)
	v_fma_f64 v[9:10], v[10:11], v[24:25], -v[18:19]
	v_mul_f64 v[16:17], v[1:2], v[22:23]
	v_fma_f64 v[11:12], v[12:13], v[24:25], v[34:35]
	v_add_f64 v[5:6], v[32:33], v[5:6]
	v_add_f64 v[7:8], v[14:15], v[7:8]
	s_waitcnt vmcnt(4)
	v_fma_f64 v[1:2], v[1:2], v[26:27], -v[20:21]
	v_fma_f64 v[3:4], v[3:4], v[26:27], v[16:17]
	v_add_f64 v[5:6], v[5:6], v[9:10]
	v_add_f64 v[7:8], v[7:8], v[11:12]
	;; [unrolled: 1-line block ×4, first 2 shown]
	s_waitcnt vmcnt(2)
	v_add_f64 v[1:2], v[28:29], -v[1:2]
	s_waitcnt vmcnt(0)
	v_add_f64 v[3:4], v[30:31], -v[3:4]
	buffer_store_dword v1, off, s[0:3], 0 offset:816
	buffer_store_dword v2, off, s[0:3], 0 offset:820
	;; [unrolled: 1-line block ×4, first 2 shown]
	v_cmpx_lt_u32_e32 49, v0
	s_cbranch_execz .LBB54_245
; %bb.244:
	v_mov_b32_e32 v4, s15
	v_mov_b32_e32 v5, 0
	s_clause 0x3
	buffer_load_dword v1, v4, s[0:3], 0 offen
	buffer_load_dword v2, v4, s[0:3], 0 offen offset:4
	buffer_load_dword v3, v4, s[0:3], 0 offen offset:8
	;; [unrolled: 1-line block ×3, first 2 shown]
	buffer_store_dword v5, off, s[0:3], 0 offset:800
	buffer_store_dword v5, off, s[0:3], 0 offset:804
	;; [unrolled: 1-line block ×4, first 2 shown]
	s_waitcnt vmcnt(0)
	ds_write_b128 v95, v[1:4]
.LBB54_245:
	s_or_b32 exec_lo, exec_lo, s4
	s_waitcnt lgkmcnt(0)
	s_waitcnt_vscnt null, 0x0
	s_barrier
	buffer_gl0_inv
	s_clause 0x17
	buffer_load_dword v10, off, s[0:3], 0 offset:824
	buffer_load_dword v11, off, s[0:3], 0 offset:828
	;; [unrolled: 1-line block ×24, first 2 shown]
	v_mov_b32_e32 v1, 0
	ds_read_b128 v[2:5], v1 offset:1680
	ds_read_b128 v[6:9], v1 offset:1696
	s_mov_b32 s4, exec_lo
	s_waitcnt vmcnt(22) lgkmcnt(1)
	v_mul_f64 v[36:37], v[4:5], v[10:11]
	v_mul_f64 v[38:39], v[2:3], v[10:11]
	s_waitcnt vmcnt(20) lgkmcnt(0)
	v_mul_f64 v[40:41], v[8:9], v[14:15]
	ds_read_b128 v[10:13], v1 offset:1712
	v_mul_f64 v[14:15], v[6:7], v[14:15]
	s_waitcnt vmcnt(18)
	v_fma_f64 v[36:37], v[2:3], v[16:17], -v[36:37]
	v_fma_f64 v[16:17], v[4:5], v[16:17], v[38:39]
	ds_read_b128 v[2:5], v1 offset:1728
	s_waitcnt vmcnt(16) lgkmcnt(1)
	v_mul_f64 v[38:39], v[10:11], v[18:19]
	v_mul_f64 v[18:19], v[12:13], v[18:19]
	s_waitcnt vmcnt(14)
	v_fma_f64 v[40:41], v[6:7], v[20:21], -v[40:41]
	v_fma_f64 v[14:15], v[8:9], v[20:21], v[14:15]
	ds_read_b128 v[6:9], v1 offset:1744
	s_waitcnt vmcnt(10) lgkmcnt(1)
	v_mul_f64 v[20:21], v[2:3], v[22:23]
	v_add_f64 v[36:37], v[36:37], 0
	v_add_f64 v[16:17], v[16:17], 0
	v_mul_f64 v[22:23], v[4:5], v[22:23]
	s_waitcnt vmcnt(8)
	v_fma_f64 v[10:11], v[10:11], v[28:29], -v[18:19]
	v_fma_f64 v[12:13], v[12:13], v[28:29], v[38:39]
	s_waitcnt vmcnt(5)
	v_fma_f64 v[4:5], v[4:5], v[30:31], v[20:21]
	v_add_f64 v[18:19], v[36:37], v[40:41]
	v_add_f64 v[14:15], v[16:17], v[14:15]
	s_waitcnt lgkmcnt(0)
	v_mul_f64 v[16:17], v[6:7], v[24:25]
	v_mul_f64 v[24:25], v[8:9], v[24:25]
	v_fma_f64 v[2:3], v[2:3], v[30:31], -v[22:23]
	v_add_f64 v[10:11], v[18:19], v[10:11]
	v_add_f64 v[12:13], v[14:15], v[12:13]
	s_waitcnt vmcnt(4)
	v_fma_f64 v[8:9], v[8:9], v[26:27], v[16:17]
	v_fma_f64 v[6:7], v[6:7], v[26:27], -v[24:25]
	v_add_f64 v[2:3], v[10:11], v[2:3]
	v_add_f64 v[4:5], v[12:13], v[4:5]
	;; [unrolled: 1-line block ×4, first 2 shown]
	s_waitcnt vmcnt(2)
	v_add_f64 v[2:3], v[32:33], -v[2:3]
	s_waitcnt vmcnt(0)
	v_add_f64 v[4:5], v[34:35], -v[4:5]
	buffer_store_dword v3, off, s[0:3], 0 offset:804
	buffer_store_dword v2, off, s[0:3], 0 offset:800
	;; [unrolled: 1-line block ×4, first 2 shown]
	v_cmpx_lt_u32_e32 48, v0
	s_cbranch_execz .LBB54_247
; %bb.246:
	v_mov_b32_e32 v5, s16
	s_clause 0x3
	buffer_load_dword v2, v5, s[0:3], 0 offen
	buffer_load_dword v3, v5, s[0:3], 0 offen offset:4
	buffer_load_dword v4, v5, s[0:3], 0 offen offset:8
	;; [unrolled: 1-line block ×3, first 2 shown]
	buffer_store_dword v1, off, s[0:3], 0 offset:784
	buffer_store_dword v1, off, s[0:3], 0 offset:788
	;; [unrolled: 1-line block ×4, first 2 shown]
	s_waitcnt vmcnt(0)
	ds_write_b128 v95, v[2:5]
.LBB54_247:
	s_or_b32 exec_lo, exec_lo, s4
	s_waitcnt lgkmcnt(0)
	s_waitcnt_vscnt null, 0x0
	s_barrier
	buffer_gl0_inv
	s_clause 0x1b
	buffer_load_dword v10, off, s[0:3], 0 offset:808
	buffer_load_dword v11, off, s[0:3], 0 offset:812
	;; [unrolled: 1-line block ×28, first 2 shown]
	ds_read_b128 v[2:5], v1 offset:1664
	ds_read_b128 v[6:9], v1 offset:1680
	s_mov_b32 s4, exec_lo
	s_waitcnt vmcnt(26) lgkmcnt(1)
	v_mul_f64 v[40:41], v[4:5], v[10:11]
	v_mul_f64 v[42:43], v[2:3], v[10:11]
	s_waitcnt vmcnt(24) lgkmcnt(0)
	v_mul_f64 v[44:45], v[8:9], v[14:15]
	ds_read_b128 v[10:13], v1 offset:1696
	v_mul_f64 v[14:15], v[6:7], v[14:15]
	s_waitcnt vmcnt(22)
	v_fma_f64 v[40:41], v[2:3], v[16:17], -v[40:41]
	v_fma_f64 v[16:17], v[4:5], v[16:17], v[42:43]
	ds_read_b128 v[2:5], v1 offset:1712
	s_waitcnt vmcnt(20) lgkmcnt(1)
	v_mul_f64 v[42:43], v[10:11], v[18:19]
	v_mul_f64 v[18:19], v[12:13], v[18:19]
	s_waitcnt vmcnt(18)
	v_fma_f64 v[44:45], v[6:7], v[20:21], -v[44:45]
	v_fma_f64 v[14:15], v[8:9], v[20:21], v[14:15]
	ds_read_b128 v[6:9], v1 offset:1728
	s_waitcnt vmcnt(14) lgkmcnt(1)
	v_mul_f64 v[20:21], v[2:3], v[22:23]
	v_add_f64 v[40:41], v[40:41], 0
	v_add_f64 v[16:17], v[16:17], 0
	v_mul_f64 v[22:23], v[4:5], v[22:23]
	s_waitcnt vmcnt(12)
	v_fma_f64 v[18:19], v[10:11], v[28:29], -v[18:19]
	v_fma_f64 v[28:29], v[12:13], v[28:29], v[42:43]
	ds_read_b128 v[10:13], v1 offset:1744
	v_add_f64 v[40:41], v[40:41], v[44:45]
	v_add_f64 v[14:15], v[16:17], v[14:15]
	s_waitcnt vmcnt(11) lgkmcnt(1)
	v_mul_f64 v[16:17], v[6:7], v[24:25]
	v_mul_f64 v[24:25], v[8:9], v[24:25]
	s_waitcnt vmcnt(9)
	v_fma_f64 v[1:2], v[2:3], v[30:31], -v[22:23]
	v_fma_f64 v[3:4], v[4:5], v[30:31], v[20:21]
	s_waitcnt vmcnt(7) lgkmcnt(0)
	v_mul_f64 v[22:23], v[12:13], v[32:33]
	v_mul_f64 v[20:21], v[10:11], v[32:33]
	v_add_f64 v[18:19], v[40:41], v[18:19]
	v_add_f64 v[14:15], v[14:15], v[28:29]
	s_waitcnt vmcnt(6)
	v_fma_f64 v[5:6], v[6:7], v[26:27], -v[24:25]
	v_fma_f64 v[7:8], v[8:9], v[26:27], v[16:17]
	s_waitcnt vmcnt(4)
	v_fma_f64 v[9:10], v[10:11], v[34:35], -v[22:23]
	v_add_f64 v[1:2], v[18:19], v[1:2]
	v_add_f64 v[3:4], v[14:15], v[3:4]
	;; [unrolled: 1-line block ×3, first 2 shown]
	v_fma_f64 v[5:6], v[12:13], v[34:35], v[20:21]
	v_add_f64 v[3:4], v[3:4], v[7:8]
	v_add_f64 v[1:2], v[1:2], v[9:10]
	;; [unrolled: 1-line block ×3, first 2 shown]
	s_waitcnt vmcnt(2)
	v_add_f64 v[1:2], v[36:37], -v[1:2]
	s_waitcnt vmcnt(0)
	v_add_f64 v[3:4], v[38:39], -v[3:4]
	buffer_store_dword v2, off, s[0:3], 0 offset:788
	buffer_store_dword v1, off, s[0:3], 0 offset:784
	;; [unrolled: 1-line block ×4, first 2 shown]
	v_cmpx_lt_u32_e32 47, v0
	s_cbranch_execz .LBB54_249
; %bb.248:
	v_mov_b32_e32 v4, s17
	v_mov_b32_e32 v5, 0
	s_clause 0x3
	buffer_load_dword v1, v4, s[0:3], 0 offen
	buffer_load_dword v2, v4, s[0:3], 0 offen offset:4
	buffer_load_dword v3, v4, s[0:3], 0 offen offset:8
	;; [unrolled: 1-line block ×3, first 2 shown]
	buffer_store_dword v5, off, s[0:3], 0 offset:768
	buffer_store_dword v5, off, s[0:3], 0 offset:772
	;; [unrolled: 1-line block ×4, first 2 shown]
	s_waitcnt vmcnt(0)
	ds_write_b128 v95, v[1:4]
.LBB54_249:
	s_or_b32 exec_lo, exec_lo, s4
	s_waitcnt lgkmcnt(0)
	s_waitcnt_vscnt null, 0x0
	s_barrier
	buffer_gl0_inv
	s_clause 0x1f
	buffer_load_dword v10, off, s[0:3], 0 offset:792
	buffer_load_dword v11, off, s[0:3], 0 offset:796
	buffer_load_dword v14, off, s[0:3], 0 offset:808
	buffer_load_dword v15, off, s[0:3], 0 offset:812
	buffer_load_dword v16, off, s[0:3], 0 offset:784
	buffer_load_dword v17, off, s[0:3], 0 offset:788
	buffer_load_dword v18, off, s[0:3], 0 offset:824
	buffer_load_dword v19, off, s[0:3], 0 offset:828
	buffer_load_dword v20, off, s[0:3], 0 offset:800
	buffer_load_dword v21, off, s[0:3], 0 offset:804
	buffer_load_dword v23, off, s[0:3], 0 offset:844
	buffer_load_dword v24, off, s[0:3], 0 offset:856
	buffer_load_dword v26, off, s[0:3], 0 offset:848
	buffer_load_dword v22, off, s[0:3], 0 offset:840
	buffer_load_dword v28, off, s[0:3], 0 offset:816
	buffer_load_dword v29, off, s[0:3], 0 offset:820
	buffer_load_dword v25, off, s[0:3], 0 offset:860
	buffer_load_dword v31, off, s[0:3], 0 offset:836
	buffer_load_dword v30, off, s[0:3], 0 offset:832
	buffer_load_dword v33, off, s[0:3], 0 offset:876
	buffer_load_dword v34, off, s[0:3], 0 offset:888
	buffer_load_dword v36, off, s[0:3], 0 offset:880
	buffer_load_dword v32, off, s[0:3], 0 offset:872
	buffer_load_dword v27, off, s[0:3], 0 offset:852
	buffer_load_dword v35, off, s[0:3], 0 offset:892
	buffer_load_dword v39, off, s[0:3], 0 offset:868
	buffer_load_dword v38, off, s[0:3], 0 offset:864
	buffer_load_dword v37, off, s[0:3], 0 offset:884
	buffer_load_dword v40, off, s[0:3], 0 offset:768
	buffer_load_dword v41, off, s[0:3], 0 offset:772
	buffer_load_dword v42, off, s[0:3], 0 offset:776
	buffer_load_dword v43, off, s[0:3], 0 offset:780
	v_mov_b32_e32 v1, 0
	ds_read_b128 v[2:5], v1 offset:1648
	ds_read_b128 v[6:9], v1 offset:1664
	s_mov_b32 s4, exec_lo
	s_waitcnt vmcnt(30) lgkmcnt(1)
	v_mul_f64 v[44:45], v[4:5], v[10:11]
	v_mul_f64 v[46:47], v[2:3], v[10:11]
	s_waitcnt vmcnt(28) lgkmcnt(0)
	v_mul_f64 v[48:49], v[8:9], v[14:15]
	ds_read_b128 v[10:13], v1 offset:1680
	v_mul_f64 v[14:15], v[6:7], v[14:15]
	s_waitcnt vmcnt(26)
	v_fma_f64 v[44:45], v[2:3], v[16:17], -v[44:45]
	v_fma_f64 v[16:17], v[4:5], v[16:17], v[46:47]
	ds_read_b128 v[2:5], v1 offset:1696
	s_waitcnt vmcnt(24) lgkmcnt(1)
	v_mul_f64 v[46:47], v[10:11], v[18:19]
	v_mul_f64 v[18:19], v[12:13], v[18:19]
	s_waitcnt vmcnt(22)
	v_fma_f64 v[48:49], v[6:7], v[20:21], -v[48:49]
	v_fma_f64 v[14:15], v[8:9], v[20:21], v[14:15]
	ds_read_b128 v[6:9], v1 offset:1712
	s_waitcnt vmcnt(18) lgkmcnt(1)
	v_mul_f64 v[20:21], v[2:3], v[22:23]
	v_add_f64 v[44:45], v[44:45], 0
	v_add_f64 v[16:17], v[16:17], 0
	v_mul_f64 v[22:23], v[4:5], v[22:23]
	s_waitcnt vmcnt(16)
	v_fma_f64 v[18:19], v[10:11], v[28:29], -v[18:19]
	v_fma_f64 v[28:29], v[12:13], v[28:29], v[46:47]
	ds_read_b128 v[10:13], v1 offset:1728
	s_waitcnt vmcnt(13)
	v_fma_f64 v[20:21], v[4:5], v[30:31], v[20:21]
	v_add_f64 v[44:45], v[44:45], v[48:49]
	v_add_f64 v[14:15], v[16:17], v[14:15]
	s_waitcnt lgkmcnt(1)
	v_mul_f64 v[16:17], v[6:7], v[24:25]
	v_mul_f64 v[24:25], v[8:9], v[24:25]
	v_fma_f64 v[22:23], v[2:3], v[30:31], -v[22:23]
	s_waitcnt vmcnt(9) lgkmcnt(0)
	v_mul_f64 v[30:31], v[12:13], v[32:33]
	ds_read_b128 v[2:5], v1 offset:1744
	v_add_f64 v[18:19], v[44:45], v[18:19]
	v_add_f64 v[14:15], v[14:15], v[28:29]
	v_mul_f64 v[28:29], v[10:11], v[32:33]
	s_waitcnt vmcnt(8)
	v_fma_f64 v[6:7], v[6:7], v[26:27], -v[24:25]
	v_fma_f64 v[8:9], v[8:9], v[26:27], v[16:17]
	s_waitcnt vmcnt(5)
	v_fma_f64 v[10:11], v[10:11], v[38:39], -v[30:31]
	s_waitcnt lgkmcnt(0)
	v_mul_f64 v[16:17], v[2:3], v[34:35]
	v_add_f64 v[18:19], v[18:19], v[22:23]
	v_add_f64 v[14:15], v[14:15], v[20:21]
	v_mul_f64 v[20:21], v[4:5], v[34:35]
	v_fma_f64 v[12:13], v[12:13], v[38:39], v[28:29]
	s_waitcnt vmcnt(4)
	v_fma_f64 v[4:5], v[4:5], v[36:37], v[16:17]
	v_add_f64 v[6:7], v[18:19], v[6:7]
	v_add_f64 v[8:9], v[14:15], v[8:9]
	v_fma_f64 v[2:3], v[2:3], v[36:37], -v[20:21]
	v_add_f64 v[6:7], v[6:7], v[10:11]
	v_add_f64 v[8:9], v[8:9], v[12:13]
	;; [unrolled: 1-line block ×4, first 2 shown]
	s_waitcnt vmcnt(2)
	v_add_f64 v[2:3], v[40:41], -v[2:3]
	s_waitcnt vmcnt(0)
	v_add_f64 v[4:5], v[42:43], -v[4:5]
	buffer_store_dword v3, off, s[0:3], 0 offset:772
	buffer_store_dword v2, off, s[0:3], 0 offset:768
	;; [unrolled: 1-line block ×4, first 2 shown]
	v_cmpx_lt_u32_e32 46, v0
	s_cbranch_execz .LBB54_251
; %bb.250:
	v_mov_b32_e32 v5, s18
	s_clause 0x3
	buffer_load_dword v2, v5, s[0:3], 0 offen
	buffer_load_dword v3, v5, s[0:3], 0 offen offset:4
	buffer_load_dword v4, v5, s[0:3], 0 offen offset:8
	;; [unrolled: 1-line block ×3, first 2 shown]
	buffer_store_dword v1, off, s[0:3], 0 offset:752
	buffer_store_dword v1, off, s[0:3], 0 offset:756
	;; [unrolled: 1-line block ×4, first 2 shown]
	s_waitcnt vmcnt(0)
	ds_write_b128 v95, v[2:5]
.LBB54_251:
	s_or_b32 exec_lo, exec_lo, s4
	s_waitcnt lgkmcnt(0)
	s_waitcnt_vscnt null, 0x0
	s_barrier
	buffer_gl0_inv
	s_clause 0x23
	buffer_load_dword v10, off, s[0:3], 0 offset:776
	buffer_load_dword v11, off, s[0:3], 0 offset:780
	;; [unrolled: 1-line block ×36, first 2 shown]
	ds_read_b128 v[2:5], v1 offset:1632
	ds_read_b128 v[6:9], v1 offset:1648
	s_mov_b32 s4, exec_lo
	s_waitcnt vmcnt(34) lgkmcnt(1)
	v_mul_f64 v[48:49], v[4:5], v[10:11]
	v_mul_f64 v[50:51], v[2:3], v[10:11]
	s_waitcnt vmcnt(32) lgkmcnt(0)
	v_mul_f64 v[52:53], v[8:9], v[14:15]
	ds_read_b128 v[10:13], v1 offset:1664
	v_mul_f64 v[14:15], v[6:7], v[14:15]
	s_waitcnt vmcnt(30)
	v_fma_f64 v[48:49], v[2:3], v[16:17], -v[48:49]
	v_fma_f64 v[16:17], v[4:5], v[16:17], v[50:51]
	ds_read_b128 v[2:5], v1 offset:1680
	s_waitcnt vmcnt(28) lgkmcnt(1)
	v_mul_f64 v[50:51], v[10:11], v[18:19]
	v_mul_f64 v[18:19], v[12:13], v[18:19]
	s_waitcnt vmcnt(26)
	v_fma_f64 v[52:53], v[6:7], v[20:21], -v[52:53]
	v_fma_f64 v[14:15], v[8:9], v[20:21], v[14:15]
	ds_read_b128 v[6:9], v1 offset:1696
	s_waitcnt vmcnt(22) lgkmcnt(1)
	v_mul_f64 v[20:21], v[2:3], v[22:23]
	v_add_f64 v[48:49], v[48:49], 0
	v_add_f64 v[16:17], v[16:17], 0
	v_mul_f64 v[22:23], v[4:5], v[22:23]
	s_waitcnt vmcnt(20)
	v_fma_f64 v[18:19], v[10:11], v[28:29], -v[18:19]
	v_fma_f64 v[28:29], v[12:13], v[28:29], v[50:51]
	ds_read_b128 v[10:13], v1 offset:1712
	s_waitcnt vmcnt(17)
	v_fma_f64 v[20:21], v[4:5], v[30:31], v[20:21]
	v_add_f64 v[48:49], v[48:49], v[52:53]
	v_add_f64 v[14:15], v[16:17], v[14:15]
	s_waitcnt lgkmcnt(1)
	v_mul_f64 v[16:17], v[6:7], v[24:25]
	v_mul_f64 v[24:25], v[8:9], v[24:25]
	v_fma_f64 v[22:23], v[2:3], v[30:31], -v[22:23]
	s_waitcnt vmcnt(13) lgkmcnt(0)
	v_mul_f64 v[30:31], v[12:13], v[32:33]
	ds_read_b128 v[2:5], v1 offset:1728
	v_add_f64 v[18:19], v[48:49], v[18:19]
	v_add_f64 v[14:15], v[14:15], v[28:29]
	v_mul_f64 v[28:29], v[10:11], v[32:33]
	s_waitcnt vmcnt(12)
	v_fma_f64 v[24:25], v[6:7], v[26:27], -v[24:25]
	v_fma_f64 v[16:17], v[8:9], v[26:27], v[16:17]
	ds_read_b128 v[6:9], v1 offset:1744
	s_waitcnt vmcnt(9)
	v_fma_f64 v[10:11], v[10:11], v[38:39], -v[30:31]
	v_add_f64 v[18:19], v[18:19], v[22:23]
	v_add_f64 v[14:15], v[14:15], v[20:21]
	s_waitcnt lgkmcnt(1)
	v_mul_f64 v[22:23], v[4:5], v[34:35]
	v_mul_f64 v[20:21], v[2:3], v[34:35]
	v_fma_f64 v[12:13], v[12:13], v[38:39], v[28:29]
	v_add_f64 v[18:19], v[18:19], v[24:25]
	v_add_f64 v[14:15], v[14:15], v[16:17]
	s_waitcnt vmcnt(7) lgkmcnt(0)
	v_mul_f64 v[24:25], v[8:9], v[40:41]
	s_waitcnt vmcnt(6)
	v_fma_f64 v[1:2], v[2:3], v[36:37], -v[22:23]
	v_mul_f64 v[16:17], v[6:7], v[40:41]
	v_fma_f64 v[3:4], v[4:5], v[36:37], v[20:21]
	v_add_f64 v[10:11], v[18:19], v[10:11]
	v_add_f64 v[12:13], v[14:15], v[12:13]
	s_waitcnt vmcnt(4)
	v_fma_f64 v[5:6], v[6:7], v[42:43], -v[24:25]
	v_fma_f64 v[7:8], v[8:9], v[42:43], v[16:17]
	v_add_f64 v[1:2], v[10:11], v[1:2]
	v_add_f64 v[3:4], v[12:13], v[3:4]
	;; [unrolled: 1-line block ×4, first 2 shown]
	s_waitcnt vmcnt(2)
	v_add_f64 v[1:2], v[44:45], -v[1:2]
	s_waitcnt vmcnt(0)
	v_add_f64 v[3:4], v[46:47], -v[3:4]
	buffer_store_dword v2, off, s[0:3], 0 offset:756
	buffer_store_dword v1, off, s[0:3], 0 offset:752
	;; [unrolled: 1-line block ×4, first 2 shown]
	v_cmpx_lt_u32_e32 45, v0
	s_cbranch_execz .LBB54_253
; %bb.252:
	v_mov_b32_e32 v4, s19
	v_mov_b32_e32 v5, 0
	s_clause 0x3
	buffer_load_dword v1, v4, s[0:3], 0 offen
	buffer_load_dword v2, v4, s[0:3], 0 offen offset:4
	buffer_load_dword v3, v4, s[0:3], 0 offen offset:8
	;; [unrolled: 1-line block ×3, first 2 shown]
	buffer_store_dword v5, off, s[0:3], 0 offset:736
	buffer_store_dword v5, off, s[0:3], 0 offset:740
	;; [unrolled: 1-line block ×4, first 2 shown]
	s_waitcnt vmcnt(0)
	ds_write_b128 v95, v[1:4]
.LBB54_253:
	s_or_b32 exec_lo, exec_lo, s4
	s_waitcnt lgkmcnt(0)
	s_waitcnt_vscnt null, 0x0
	s_barrier
	buffer_gl0_inv
	s_clause 0x27
	buffer_load_dword v10, off, s[0:3], 0 offset:760
	buffer_load_dword v11, off, s[0:3], 0 offset:764
	;; [unrolled: 1-line block ×40, first 2 shown]
	v_mov_b32_e32 v1, 0
	ds_read_b128 v[2:5], v1 offset:1616
	ds_read_b128 v[6:9], v1 offset:1632
	s_mov_b32 s4, exec_lo
	s_waitcnt vmcnt(38) lgkmcnt(1)
	v_mul_f64 v[52:53], v[4:5], v[10:11]
	v_mul_f64 v[54:55], v[2:3], v[10:11]
	s_waitcnt vmcnt(36) lgkmcnt(0)
	v_mul_f64 v[83:84], v[8:9], v[14:15]
	ds_read_b128 v[10:13], v1 offset:1648
	v_mul_f64 v[14:15], v[6:7], v[14:15]
	s_waitcnt vmcnt(34)
	v_fma_f64 v[52:53], v[2:3], v[16:17], -v[52:53]
	v_fma_f64 v[16:17], v[4:5], v[16:17], v[54:55]
	ds_read_b128 v[2:5], v1 offset:1664
	s_waitcnt vmcnt(32) lgkmcnt(1)
	v_mul_f64 v[54:55], v[10:11], v[18:19]
	v_mul_f64 v[18:19], v[12:13], v[18:19]
	s_waitcnt vmcnt(30)
	v_fma_f64 v[83:84], v[6:7], v[20:21], -v[83:84]
	v_fma_f64 v[14:15], v[8:9], v[20:21], v[14:15]
	ds_read_b128 v[6:9], v1 offset:1680
	s_waitcnt vmcnt(26) lgkmcnt(1)
	v_mul_f64 v[20:21], v[2:3], v[22:23]
	v_add_f64 v[52:53], v[52:53], 0
	v_add_f64 v[16:17], v[16:17], 0
	v_mul_f64 v[22:23], v[4:5], v[22:23]
	s_waitcnt vmcnt(24)
	v_fma_f64 v[18:19], v[10:11], v[28:29], -v[18:19]
	v_fma_f64 v[28:29], v[12:13], v[28:29], v[54:55]
	ds_read_b128 v[10:13], v1 offset:1696
	s_waitcnt vmcnt(21)
	v_fma_f64 v[20:21], v[4:5], v[30:31], v[20:21]
	v_add_f64 v[52:53], v[52:53], v[83:84]
	v_add_f64 v[14:15], v[16:17], v[14:15]
	s_waitcnt lgkmcnt(1)
	v_mul_f64 v[16:17], v[6:7], v[24:25]
	v_mul_f64 v[24:25], v[8:9], v[24:25]
	v_fma_f64 v[22:23], v[2:3], v[30:31], -v[22:23]
	s_waitcnt vmcnt(17) lgkmcnt(0)
	v_mul_f64 v[30:31], v[12:13], v[32:33]
	ds_read_b128 v[2:5], v1 offset:1712
	v_add_f64 v[18:19], v[52:53], v[18:19]
	v_add_f64 v[14:15], v[14:15], v[28:29]
	v_mul_f64 v[28:29], v[10:11], v[32:33]
	s_waitcnt vmcnt(16)
	v_fma_f64 v[24:25], v[6:7], v[26:27], -v[24:25]
	v_fma_f64 v[16:17], v[8:9], v[26:27], v[16:17]
	ds_read_b128 v[6:9], v1 offset:1728
	s_waitcnt vmcnt(13)
	v_fma_f64 v[26:27], v[10:11], v[38:39], -v[30:31]
	v_add_f64 v[18:19], v[18:19], v[22:23]
	v_add_f64 v[14:15], v[14:15], v[20:21]
	s_waitcnt lgkmcnt(1)
	v_mul_f64 v[22:23], v[4:5], v[34:35]
	v_mul_f64 v[20:21], v[2:3], v[34:35]
	v_add_f64 v[18:19], v[18:19], v[24:25]
	v_fma_f64 v[24:25], v[12:13], v[38:39], v[28:29]
	v_add_f64 v[14:15], v[14:15], v[16:17]
	s_waitcnt vmcnt(9) lgkmcnt(0)
	v_mul_f64 v[28:29], v[8:9], v[40:41]
	s_waitcnt vmcnt(8)
	v_fma_f64 v[2:3], v[2:3], v[36:37], -v[22:23]
	ds_read_b128 v[10:13], v1 offset:1744
	v_mul_f64 v[16:17], v[6:7], v[40:41]
	v_fma_f64 v[4:5], v[4:5], v[36:37], v[20:21]
	v_add_f64 v[18:19], v[18:19], v[26:27]
	v_add_f64 v[14:15], v[14:15], v[24:25]
	s_waitcnt vmcnt(7) lgkmcnt(0)
	v_mul_f64 v[22:23], v[12:13], v[42:43]
	s_waitcnt vmcnt(5)
	v_fma_f64 v[6:7], v[6:7], v[46:47], -v[28:29]
	v_mul_f64 v[20:21], v[10:11], v[42:43]
	v_fma_f64 v[8:9], v[8:9], v[46:47], v[16:17]
	v_add_f64 v[2:3], v[18:19], v[2:3]
	v_add_f64 v[4:5], v[14:15], v[4:5]
	s_waitcnt vmcnt(4)
	v_fma_f64 v[10:11], v[10:11], v[44:45], -v[22:23]
	v_add_f64 v[2:3], v[2:3], v[6:7]
	v_fma_f64 v[6:7], v[12:13], v[44:45], v[20:21]
	v_add_f64 v[4:5], v[4:5], v[8:9]
	v_add_f64 v[2:3], v[2:3], v[10:11]
	v_add_f64 v[4:5], v[4:5], v[6:7]
	s_waitcnt vmcnt(2)
	v_add_f64 v[2:3], v[48:49], -v[2:3]
	s_waitcnt vmcnt(0)
	v_add_f64 v[4:5], v[50:51], -v[4:5]
	buffer_store_dword v3, off, s[0:3], 0 offset:740
	buffer_store_dword v2, off, s[0:3], 0 offset:736
	;; [unrolled: 1-line block ×4, first 2 shown]
	v_cmpx_lt_u32_e32 44, v0
	s_cbranch_execz .LBB54_255
; %bb.254:
	v_mov_b32_e32 v5, s22
	s_clause 0x3
	buffer_load_dword v2, v5, s[0:3], 0 offen
	buffer_load_dword v3, v5, s[0:3], 0 offen offset:4
	buffer_load_dword v4, v5, s[0:3], 0 offen offset:8
	;; [unrolled: 1-line block ×3, first 2 shown]
	buffer_store_dword v1, off, s[0:3], 0 offset:720
	buffer_store_dword v1, off, s[0:3], 0 offset:724
	;; [unrolled: 1-line block ×4, first 2 shown]
	s_waitcnt vmcnt(0)
	ds_write_b128 v95, v[2:5]
.LBB54_255:
	s_or_b32 exec_lo, exec_lo, s4
	s_waitcnt lgkmcnt(0)
	s_waitcnt_vscnt null, 0x0
	s_barrier
	buffer_gl0_inv
	s_clause 0x2b
	buffer_load_dword v10, off, s[0:3], 0 offset:744
	buffer_load_dword v11, off, s[0:3], 0 offset:748
	buffer_load_dword v14, off, s[0:3], 0 offset:760
	buffer_load_dword v15, off, s[0:3], 0 offset:764
	buffer_load_dword v16, off, s[0:3], 0 offset:736
	buffer_load_dword v17, off, s[0:3], 0 offset:740
	buffer_load_dword v18, off, s[0:3], 0 offset:776
	buffer_load_dword v19, off, s[0:3], 0 offset:780
	buffer_load_dword v20, off, s[0:3], 0 offset:752
	buffer_load_dword v21, off, s[0:3], 0 offset:756
	buffer_load_dword v23, off, s[0:3], 0 offset:796
	buffer_load_dword v24, off, s[0:3], 0 offset:808
	buffer_load_dword v26, off, s[0:3], 0 offset:800
	buffer_load_dword v22, off, s[0:3], 0 offset:792
	buffer_load_dword v28, off, s[0:3], 0 offset:768
	buffer_load_dword v29, off, s[0:3], 0 offset:772
	buffer_load_dword v25, off, s[0:3], 0 offset:812
	buffer_load_dword v31, off, s[0:3], 0 offset:788
	buffer_load_dword v30, off, s[0:3], 0 offset:784
	buffer_load_dword v33, off, s[0:3], 0 offset:828
	buffer_load_dword v34, off, s[0:3], 0 offset:840
	buffer_load_dword v36, off, s[0:3], 0 offset:832
	buffer_load_dword v32, off, s[0:3], 0 offset:824
	buffer_load_dword v27, off, s[0:3], 0 offset:804
	buffer_load_dword v35, off, s[0:3], 0 offset:844
	buffer_load_dword v39, off, s[0:3], 0 offset:820
	buffer_load_dword v38, off, s[0:3], 0 offset:816
	buffer_load_dword v41, off, s[0:3], 0 offset:860
	buffer_load_dword v42, off, s[0:3], 0 offset:872
	buffer_load_dword v44, off, s[0:3], 0 offset:864
	buffer_load_dword v40, off, s[0:3], 0 offset:856
	buffer_load_dword v37, off, s[0:3], 0 offset:836
	buffer_load_dword v43, off, s[0:3], 0 offset:876
	buffer_load_dword v47, off, s[0:3], 0 offset:852
	buffer_load_dword v46, off, s[0:3], 0 offset:848
	buffer_load_dword v49, off, s[0:3], 0 offset:892
	buffer_load_dword v48, off, s[0:3], 0 offset:888
	buffer_load_dword v45, off, s[0:3], 0 offset:868
	buffer_load_dword v51, off, s[0:3], 0 offset:884
	buffer_load_dword v50, off, s[0:3], 0 offset:880
	buffer_load_dword v52, off, s[0:3], 0 offset:720
	buffer_load_dword v53, off, s[0:3], 0 offset:724
	buffer_load_dword v54, off, s[0:3], 0 offset:728
	buffer_load_dword v55, off, s[0:3], 0 offset:732
	ds_read_b128 v[2:5], v1 offset:1600
	ds_read_b128 v[6:9], v1 offset:1616
	s_mov_b32 s4, exec_lo
	s_waitcnt vmcnt(42) lgkmcnt(1)
	v_mul_f64 v[83:84], v[4:5], v[10:11]
	v_mul_f64 v[85:86], v[2:3], v[10:11]
	s_waitcnt vmcnt(40) lgkmcnt(0)
	v_mul_f64 v[87:88], v[8:9], v[14:15]
	ds_read_b128 v[10:13], v1 offset:1632
	v_mul_f64 v[14:15], v[6:7], v[14:15]
	s_waitcnt vmcnt(38)
	v_fma_f64 v[83:84], v[2:3], v[16:17], -v[83:84]
	v_fma_f64 v[16:17], v[4:5], v[16:17], v[85:86]
	ds_read_b128 v[2:5], v1 offset:1648
	s_waitcnt vmcnt(36) lgkmcnt(1)
	v_mul_f64 v[85:86], v[10:11], v[18:19]
	v_mul_f64 v[18:19], v[12:13], v[18:19]
	s_waitcnt vmcnt(34)
	v_fma_f64 v[87:88], v[6:7], v[20:21], -v[87:88]
	v_fma_f64 v[14:15], v[8:9], v[20:21], v[14:15]
	ds_read_b128 v[6:9], v1 offset:1664
	s_waitcnt vmcnt(30) lgkmcnt(1)
	v_mul_f64 v[20:21], v[2:3], v[22:23]
	v_add_f64 v[83:84], v[83:84], 0
	v_add_f64 v[16:17], v[16:17], 0
	v_mul_f64 v[22:23], v[4:5], v[22:23]
	s_waitcnt vmcnt(28)
	v_fma_f64 v[18:19], v[10:11], v[28:29], -v[18:19]
	v_fma_f64 v[28:29], v[12:13], v[28:29], v[85:86]
	ds_read_b128 v[10:13], v1 offset:1680
	s_waitcnt vmcnt(25)
	v_fma_f64 v[20:21], v[4:5], v[30:31], v[20:21]
	v_add_f64 v[83:84], v[83:84], v[87:88]
	v_add_f64 v[14:15], v[16:17], v[14:15]
	s_waitcnt lgkmcnt(1)
	v_mul_f64 v[16:17], v[6:7], v[24:25]
	v_mul_f64 v[24:25], v[8:9], v[24:25]
	v_fma_f64 v[22:23], v[2:3], v[30:31], -v[22:23]
	s_waitcnt vmcnt(21) lgkmcnt(0)
	v_mul_f64 v[30:31], v[12:13], v[32:33]
	ds_read_b128 v[2:5], v1 offset:1696
	v_add_f64 v[18:19], v[83:84], v[18:19]
	v_add_f64 v[14:15], v[14:15], v[28:29]
	v_mul_f64 v[28:29], v[10:11], v[32:33]
	s_waitcnt vmcnt(20)
	v_fma_f64 v[24:25], v[6:7], v[26:27], -v[24:25]
	v_fma_f64 v[16:17], v[8:9], v[26:27], v[16:17]
	ds_read_b128 v[6:9], v1 offset:1712
	s_waitcnt vmcnt(17)
	v_fma_f64 v[26:27], v[10:11], v[38:39], -v[30:31]
	v_add_f64 v[18:19], v[18:19], v[22:23]
	v_add_f64 v[14:15], v[14:15], v[20:21]
	s_waitcnt lgkmcnt(1)
	v_mul_f64 v[22:23], v[4:5], v[34:35]
	v_mul_f64 v[20:21], v[2:3], v[34:35]
	v_add_f64 v[18:19], v[18:19], v[24:25]
	v_fma_f64 v[24:25], v[12:13], v[38:39], v[28:29]
	v_add_f64 v[14:15], v[14:15], v[16:17]
	s_waitcnt vmcnt(13) lgkmcnt(0)
	v_mul_f64 v[28:29], v[8:9], v[40:41]
	s_waitcnt vmcnt(12)
	v_fma_f64 v[22:23], v[2:3], v[36:37], -v[22:23]
	ds_read_b128 v[10:13], v1 offset:1728
	v_mul_f64 v[16:17], v[6:7], v[40:41]
	v_fma_f64 v[20:21], v[4:5], v[36:37], v[20:21]
	ds_read_b128 v[1:4], v1 offset:1744
	v_add_f64 v[18:19], v[18:19], v[26:27]
	v_add_f64 v[14:15], v[14:15], v[24:25]
	s_waitcnt vmcnt(11) lgkmcnt(1)
	v_mul_f64 v[26:27], v[12:13], v[42:43]
	s_waitcnt vmcnt(9)
	v_fma_f64 v[5:6], v[6:7], v[46:47], -v[28:29]
	v_mul_f64 v[24:25], v[10:11], v[42:43]
	v_fma_f64 v[7:8], v[8:9], v[46:47], v[16:17]
	s_waitcnt vmcnt(7) lgkmcnt(0)
	v_mul_f64 v[16:17], v[1:2], v[48:49]
	v_add_f64 v[18:19], v[18:19], v[22:23]
	v_add_f64 v[14:15], v[14:15], v[20:21]
	v_mul_f64 v[20:21], v[3:4], v[48:49]
	s_waitcnt vmcnt(6)
	v_fma_f64 v[9:10], v[10:11], v[44:45], -v[26:27]
	v_fma_f64 v[11:12], v[12:13], v[44:45], v[24:25]
	s_waitcnt vmcnt(4)
	v_fma_f64 v[3:4], v[3:4], v[50:51], v[16:17]
	v_add_f64 v[5:6], v[18:19], v[5:6]
	v_add_f64 v[7:8], v[14:15], v[7:8]
	v_fma_f64 v[1:2], v[1:2], v[50:51], -v[20:21]
	v_add_f64 v[5:6], v[5:6], v[9:10]
	v_add_f64 v[7:8], v[7:8], v[11:12]
	;; [unrolled: 1-line block ×4, first 2 shown]
	s_waitcnt vmcnt(2)
	v_add_f64 v[1:2], v[52:53], -v[1:2]
	s_waitcnt vmcnt(0)
	v_add_f64 v[3:4], v[54:55], -v[3:4]
	buffer_store_dword v2, off, s[0:3], 0 offset:724
	buffer_store_dword v1, off, s[0:3], 0 offset:720
	;; [unrolled: 1-line block ×4, first 2 shown]
	v_cmpx_lt_u32_e32 43, v0
	s_cbranch_execz .LBB54_257
; %bb.256:
	v_mov_b32_e32 v4, s23
	v_mov_b32_e32 v5, 0
	s_clause 0x3
	buffer_load_dword v1, v4, s[0:3], 0 offen
	buffer_load_dword v2, v4, s[0:3], 0 offen offset:4
	buffer_load_dword v3, v4, s[0:3], 0 offen offset:8
	;; [unrolled: 1-line block ×3, first 2 shown]
	buffer_store_dword v5, off, s[0:3], 0 offset:704
	buffer_store_dword v5, off, s[0:3], 0 offset:708
	;; [unrolled: 1-line block ×4, first 2 shown]
	s_waitcnt vmcnt(0)
	ds_write_b128 v95, v[1:4]
.LBB54_257:
	s_or_b32 exec_lo, exec_lo, s4
	s_waitcnt lgkmcnt(0)
	s_waitcnt_vscnt null, 0x0
	s_barrier
	buffer_gl0_inv
	s_clause 0x2f
	buffer_load_dword v10, off, s[0:3], 0 offset:728
	buffer_load_dword v11, off, s[0:3], 0 offset:732
	;; [unrolled: 1-line block ×48, first 2 shown]
	v_mov_b32_e32 v1, 0
	ds_read_b128 v[2:5], v1 offset:1584
	ds_read_b128 v[6:9], v1 offset:1600
	s_mov_b32 s4, exec_lo
	s_waitcnt vmcnt(46) lgkmcnt(1)
	v_mul_f64 v[87:88], v[4:5], v[10:11]
	v_mul_f64 v[89:90], v[2:3], v[10:11]
	s_waitcnt vmcnt(44) lgkmcnt(0)
	v_mul_f64 v[91:92], v[8:9], v[14:15]
	ds_read_b128 v[10:13], v1 offset:1616
	v_mul_f64 v[14:15], v[6:7], v[14:15]
	s_waitcnt vmcnt(42)
	v_fma_f64 v[87:88], v[2:3], v[16:17], -v[87:88]
	v_fma_f64 v[16:17], v[4:5], v[16:17], v[89:90]
	ds_read_b128 v[2:5], v1 offset:1632
	s_waitcnt vmcnt(40) lgkmcnt(1)
	v_mul_f64 v[89:90], v[10:11], v[18:19]
	v_mul_f64 v[18:19], v[12:13], v[18:19]
	s_waitcnt vmcnt(38)
	v_fma_f64 v[91:92], v[6:7], v[20:21], -v[91:92]
	v_fma_f64 v[14:15], v[8:9], v[20:21], v[14:15]
	ds_read_b128 v[6:9], v1 offset:1648
	s_waitcnt vmcnt(34) lgkmcnt(1)
	v_mul_f64 v[20:21], v[2:3], v[22:23]
	v_add_f64 v[87:88], v[87:88], 0
	v_add_f64 v[16:17], v[16:17], 0
	v_mul_f64 v[22:23], v[4:5], v[22:23]
	s_waitcnt vmcnt(32)
	v_fma_f64 v[18:19], v[10:11], v[28:29], -v[18:19]
	v_fma_f64 v[28:29], v[12:13], v[28:29], v[89:90]
	ds_read_b128 v[10:13], v1 offset:1664
	s_waitcnt vmcnt(29)
	v_fma_f64 v[20:21], v[4:5], v[30:31], v[20:21]
	v_add_f64 v[87:88], v[87:88], v[91:92]
	v_add_f64 v[14:15], v[16:17], v[14:15]
	s_waitcnt lgkmcnt(1)
	v_mul_f64 v[16:17], v[6:7], v[24:25]
	v_mul_f64 v[24:25], v[8:9], v[24:25]
	v_fma_f64 v[22:23], v[2:3], v[30:31], -v[22:23]
	s_waitcnt vmcnt(25) lgkmcnt(0)
	v_mul_f64 v[30:31], v[12:13], v[32:33]
	ds_read_b128 v[2:5], v1 offset:1680
	v_add_f64 v[18:19], v[87:88], v[18:19]
	v_add_f64 v[14:15], v[14:15], v[28:29]
	v_mul_f64 v[28:29], v[10:11], v[32:33]
	s_waitcnt vmcnt(24)
	v_fma_f64 v[24:25], v[6:7], v[26:27], -v[24:25]
	v_fma_f64 v[16:17], v[8:9], v[26:27], v[16:17]
	ds_read_b128 v[6:9], v1 offset:1696
	s_waitcnt vmcnt(21)
	v_fma_f64 v[26:27], v[10:11], v[38:39], -v[30:31]
	v_add_f64 v[18:19], v[18:19], v[22:23]
	v_add_f64 v[14:15], v[14:15], v[20:21]
	s_waitcnt lgkmcnt(1)
	v_mul_f64 v[22:23], v[4:5], v[34:35]
	v_mul_f64 v[20:21], v[2:3], v[34:35]
	v_add_f64 v[18:19], v[18:19], v[24:25]
	v_fma_f64 v[24:25], v[12:13], v[38:39], v[28:29]
	v_add_f64 v[14:15], v[14:15], v[16:17]
	s_waitcnt vmcnt(17) lgkmcnt(0)
	v_mul_f64 v[28:29], v[8:9], v[40:41]
	s_waitcnt vmcnt(16)
	v_fma_f64 v[22:23], v[2:3], v[36:37], -v[22:23]
	ds_read_b128 v[10:13], v1 offset:1712
	v_mul_f64 v[16:17], v[6:7], v[40:41]
	v_fma_f64 v[20:21], v[4:5], v[36:37], v[20:21]
	ds_read_b128 v[2:5], v1 offset:1728
	v_add_f64 v[18:19], v[18:19], v[26:27]
	v_add_f64 v[14:15], v[14:15], v[24:25]
	s_waitcnt vmcnt(15) lgkmcnt(1)
	v_mul_f64 v[26:27], v[12:13], v[42:43]
	s_waitcnt vmcnt(13)
	v_fma_f64 v[28:29], v[6:7], v[46:47], -v[28:29]
	v_mul_f64 v[24:25], v[10:11], v[42:43]
	v_fma_f64 v[16:17], v[8:9], v[46:47], v[16:17]
	ds_read_b128 v[6:9], v1 offset:1744
	v_add_f64 v[18:19], v[18:19], v[22:23]
	s_waitcnt vmcnt(9) lgkmcnt(1)
	v_mul_f64 v[22:23], v[4:5], v[48:49]
	v_add_f64 v[14:15], v[14:15], v[20:21]
	s_waitcnt vmcnt(8)
	v_fma_f64 v[10:11], v[10:11], v[44:45], -v[26:27]
	v_mul_f64 v[20:21], v[2:3], v[48:49]
	v_fma_f64 v[12:13], v[12:13], v[44:45], v[24:25]
	s_waitcnt vmcnt(7) lgkmcnt(0)
	v_mul_f64 v[24:25], v[8:9], v[50:51]
	v_add_f64 v[18:19], v[18:19], v[28:29]
	s_waitcnt vmcnt(5)
	v_fma_f64 v[2:3], v[2:3], v[54:55], -v[22:23]
	v_add_f64 v[14:15], v[14:15], v[16:17]
	v_mul_f64 v[16:17], v[6:7], v[50:51]
	v_fma_f64 v[4:5], v[4:5], v[54:55], v[20:21]
	s_waitcnt vmcnt(4)
	v_fma_f64 v[6:7], v[6:7], v[52:53], -v[24:25]
	v_add_f64 v[10:11], v[18:19], v[10:11]
	v_add_f64 v[12:13], v[14:15], v[12:13]
	v_fma_f64 v[8:9], v[8:9], v[52:53], v[16:17]
	v_add_f64 v[2:3], v[10:11], v[2:3]
	v_add_f64 v[4:5], v[12:13], v[4:5]
	;; [unrolled: 1-line block ×4, first 2 shown]
	s_waitcnt vmcnt(2)
	v_add_f64 v[2:3], v[83:84], -v[2:3]
	s_waitcnt vmcnt(0)
	v_add_f64 v[4:5], v[85:86], -v[4:5]
	buffer_store_dword v3, off, s[0:3], 0 offset:708
	buffer_store_dword v2, off, s[0:3], 0 offset:704
	;; [unrolled: 1-line block ×4, first 2 shown]
	v_cmpx_lt_u32_e32 42, v0
	s_cbranch_execz .LBB54_259
; %bb.258:
	v_mov_b32_e32 v5, s24
	s_clause 0x3
	buffer_load_dword v2, v5, s[0:3], 0 offen
	buffer_load_dword v3, v5, s[0:3], 0 offen offset:4
	buffer_load_dword v4, v5, s[0:3], 0 offen offset:8
	;; [unrolled: 1-line block ×3, first 2 shown]
	buffer_store_dword v1, off, s[0:3], 0 offset:688
	buffer_store_dword v1, off, s[0:3], 0 offset:692
	;; [unrolled: 1-line block ×4, first 2 shown]
	s_waitcnt vmcnt(0)
	ds_write_b128 v95, v[2:5]
.LBB54_259:
	s_or_b32 exec_lo, exec_lo, s4
	s_waitcnt lgkmcnt(0)
	s_waitcnt_vscnt null, 0x0
	s_barrier
	buffer_gl0_inv
	s_clause 0x2f
	buffer_load_dword v10, off, s[0:3], 0 offset:712
	buffer_load_dword v11, off, s[0:3], 0 offset:716
	buffer_load_dword v14, off, s[0:3], 0 offset:728
	buffer_load_dword v15, off, s[0:3], 0 offset:732
	buffer_load_dword v16, off, s[0:3], 0 offset:704
	buffer_load_dword v17, off, s[0:3], 0 offset:708
	buffer_load_dword v18, off, s[0:3], 0 offset:744
	buffer_load_dword v19, off, s[0:3], 0 offset:748
	buffer_load_dword v20, off, s[0:3], 0 offset:720
	buffer_load_dword v21, off, s[0:3], 0 offset:724
	buffer_load_dword v23, off, s[0:3], 0 offset:764
	buffer_load_dword v24, off, s[0:3], 0 offset:776
	buffer_load_dword v26, off, s[0:3], 0 offset:768
	buffer_load_dword v22, off, s[0:3], 0 offset:760
	buffer_load_dword v28, off, s[0:3], 0 offset:736
	buffer_load_dword v29, off, s[0:3], 0 offset:740
	buffer_load_dword v25, off, s[0:3], 0 offset:780
	buffer_load_dword v31, off, s[0:3], 0 offset:756
	buffer_load_dword v30, off, s[0:3], 0 offset:752
	buffer_load_dword v33, off, s[0:3], 0 offset:796
	buffer_load_dword v34, off, s[0:3], 0 offset:808
	buffer_load_dword v36, off, s[0:3], 0 offset:800
	buffer_load_dword v32, off, s[0:3], 0 offset:792
	buffer_load_dword v27, off, s[0:3], 0 offset:772
	buffer_load_dword v35, off, s[0:3], 0 offset:812
	buffer_load_dword v39, off, s[0:3], 0 offset:788
	buffer_load_dword v38, off, s[0:3], 0 offset:784
	buffer_load_dword v41, off, s[0:3], 0 offset:828
	buffer_load_dword v42, off, s[0:3], 0 offset:840
	buffer_load_dword v44, off, s[0:3], 0 offset:832
	buffer_load_dword v40, off, s[0:3], 0 offset:824
	buffer_load_dword v37, off, s[0:3], 0 offset:804
	buffer_load_dword v43, off, s[0:3], 0 offset:844
	buffer_load_dword v47, off, s[0:3], 0 offset:820
	buffer_load_dword v46, off, s[0:3], 0 offset:816
	buffer_load_dword v49, off, s[0:3], 0 offset:860
	buffer_load_dword v50, off, s[0:3], 0 offset:872
	buffer_load_dword v52, off, s[0:3], 0 offset:864
	buffer_load_dword v48, off, s[0:3], 0 offset:856
	buffer_load_dword v45, off, s[0:3], 0 offset:836
	buffer_load_dword v51, off, s[0:3], 0 offset:876
	buffer_load_dword v55, off, s[0:3], 0 offset:852
	buffer_load_dword v54, off, s[0:3], 0 offset:848
	buffer_load_dword v84, off, s[0:3], 0 offset:892
	buffer_load_dword v83, off, s[0:3], 0 offset:888
	buffer_load_dword v53, off, s[0:3], 0 offset:868
	buffer_load_dword v86, off, s[0:3], 0 offset:884
	buffer_load_dword v85, off, s[0:3], 0 offset:880
	ds_read_b128 v[2:5], v1 offset:1568
	s_clause 0x3
	buffer_load_dword v87, off, s[0:3], 0 offset:688
	buffer_load_dword v88, off, s[0:3], 0 offset:692
	;; [unrolled: 1-line block ×4, first 2 shown]
	ds_read_b128 v[6:9], v1 offset:1584
	s_mov_b32 s4, exec_lo
	s_waitcnt vmcnt(50) lgkmcnt(1)
	v_mul_f64 v[91:92], v[4:5], v[10:11]
	v_mul_f64 v[93:94], v[2:3], v[10:11]
	ds_read_b128 v[10:13], v1 offset:1600
	s_waitcnt vmcnt(48) lgkmcnt(1)
	v_mul_f64 v[96:97], v[8:9], v[14:15]
	v_mul_f64 v[14:15], v[6:7], v[14:15]
	s_waitcnt vmcnt(46)
	v_fma_f64 v[91:92], v[2:3], v[16:17], -v[91:92]
	v_fma_f64 v[16:17], v[4:5], v[16:17], v[93:94]
	s_waitcnt vmcnt(44) lgkmcnt(0)
	v_mul_f64 v[93:94], v[10:11], v[18:19]
	v_mul_f64 v[18:19], v[12:13], v[18:19]
	s_waitcnt vmcnt(42)
	v_fma_f64 v[96:97], v[6:7], v[20:21], -v[96:97]
	ds_read_b128 v[2:5], v1 offset:1616
	v_fma_f64 v[14:15], v[8:9], v[20:21], v[14:15]
	ds_read_b128 v[6:9], v1 offset:1632
	v_add_f64 v[91:92], v[91:92], 0
	v_add_f64 v[16:17], v[16:17], 0
	s_waitcnt vmcnt(38) lgkmcnt(1)
	v_mul_f64 v[20:21], v[2:3], v[22:23]
	v_mul_f64 v[22:23], v[4:5], v[22:23]
	s_waitcnt vmcnt(36)
	v_fma_f64 v[18:19], v[10:11], v[28:29], -v[18:19]
	v_fma_f64 v[28:29], v[12:13], v[28:29], v[93:94]
	ds_read_b128 v[10:13], v1 offset:1648
	v_add_f64 v[91:92], v[91:92], v[96:97]
	v_add_f64 v[14:15], v[16:17], v[14:15]
	s_waitcnt vmcnt(35) lgkmcnt(1)
	v_mul_f64 v[16:17], v[6:7], v[24:25]
	v_mul_f64 v[24:25], v[8:9], v[24:25]
	s_waitcnt vmcnt(33)
	v_fma_f64 v[22:23], v[2:3], v[30:31], -v[22:23]
	v_fma_f64 v[20:21], v[4:5], v[30:31], v[20:21]
	ds_read_b128 v[2:5], v1 offset:1664
	s_waitcnt vmcnt(29) lgkmcnt(1)
	v_mul_f64 v[30:31], v[12:13], v[32:33]
	v_add_f64 v[18:19], v[91:92], v[18:19]
	v_add_f64 v[14:15], v[14:15], v[28:29]
	v_mul_f64 v[28:29], v[10:11], v[32:33]
	s_waitcnt vmcnt(28)
	v_fma_f64 v[24:25], v[6:7], v[26:27], -v[24:25]
	v_fma_f64 v[16:17], v[8:9], v[26:27], v[16:17]
	ds_read_b128 v[6:9], v1 offset:1680
	s_waitcnt vmcnt(25)
	v_fma_f64 v[26:27], v[10:11], v[38:39], -v[30:31]
	v_add_f64 v[18:19], v[18:19], v[22:23]
	v_add_f64 v[14:15], v[14:15], v[20:21]
	s_waitcnt lgkmcnt(1)
	v_mul_f64 v[22:23], v[4:5], v[34:35]
	v_mul_f64 v[20:21], v[2:3], v[34:35]
	v_add_f64 v[18:19], v[18:19], v[24:25]
	v_fma_f64 v[24:25], v[12:13], v[38:39], v[28:29]
	v_add_f64 v[14:15], v[14:15], v[16:17]
	ds_read_b128 v[10:13], v1 offset:1696
	s_waitcnt vmcnt(21) lgkmcnt(1)
	v_mul_f64 v[28:29], v[8:9], v[40:41]
	s_waitcnt vmcnt(20)
	v_fma_f64 v[22:23], v[2:3], v[36:37], -v[22:23]
	v_mul_f64 v[16:17], v[6:7], v[40:41]
	v_fma_f64 v[20:21], v[4:5], v[36:37], v[20:21]
	ds_read_b128 v[2:5], v1 offset:1712
	v_add_f64 v[18:19], v[18:19], v[26:27]
	s_waitcnt vmcnt(19) lgkmcnt(1)
	v_mul_f64 v[26:27], v[12:13], v[42:43]
	v_add_f64 v[14:15], v[14:15], v[24:25]
	v_mul_f64 v[24:25], v[10:11], v[42:43]
	s_waitcnt vmcnt(17)
	v_fma_f64 v[28:29], v[6:7], v[46:47], -v[28:29]
	v_fma_f64 v[16:17], v[8:9], v[46:47], v[16:17]
	ds_read_b128 v[6:9], v1 offset:1728
	v_add_f64 v[18:19], v[18:19], v[22:23]
	s_waitcnt vmcnt(13) lgkmcnt(1)
	v_mul_f64 v[22:23], v[4:5], v[48:49]
	v_add_f64 v[14:15], v[14:15], v[20:21]
	s_waitcnt vmcnt(12)
	v_fma_f64 v[26:27], v[10:11], v[44:45], -v[26:27]
	v_mul_f64 v[20:21], v[2:3], v[48:49]
	v_fma_f64 v[24:25], v[12:13], v[44:45], v[24:25]
	ds_read_b128 v[10:13], v1 offset:1744
	v_add_f64 v[18:19], v[18:19], v[28:29]
	s_waitcnt vmcnt(11) lgkmcnt(1)
	v_mul_f64 v[28:29], v[8:9], v[50:51]
	v_add_f64 v[14:15], v[14:15], v[16:17]
	s_waitcnt vmcnt(9)
	v_fma_f64 v[1:2], v[2:3], v[54:55], -v[22:23]
	v_mul_f64 v[16:17], v[6:7], v[50:51]
	v_fma_f64 v[3:4], v[4:5], v[54:55], v[20:21]
	s_waitcnt vmcnt(7) lgkmcnt(0)
	v_mul_f64 v[22:23], v[12:13], v[83:84]
	v_mul_f64 v[20:21], v[10:11], v[83:84]
	v_add_f64 v[18:19], v[18:19], v[26:27]
	s_waitcnt vmcnt(6)
	v_fma_f64 v[5:6], v[6:7], v[52:53], -v[28:29]
	v_add_f64 v[14:15], v[14:15], v[24:25]
	v_fma_f64 v[7:8], v[8:9], v[52:53], v[16:17]
	s_waitcnt vmcnt(4)
	v_fma_f64 v[9:10], v[10:11], v[85:86], -v[22:23]
	v_add_f64 v[1:2], v[18:19], v[1:2]
	v_add_f64 v[3:4], v[14:15], v[3:4]
	;; [unrolled: 1-line block ×3, first 2 shown]
	v_fma_f64 v[5:6], v[12:13], v[85:86], v[20:21]
	v_add_f64 v[3:4], v[3:4], v[7:8]
	v_add_f64 v[1:2], v[1:2], v[9:10]
	;; [unrolled: 1-line block ×3, first 2 shown]
	s_waitcnt vmcnt(2)
	v_add_f64 v[1:2], v[87:88], -v[1:2]
	s_waitcnt vmcnt(0)
	v_add_f64 v[3:4], v[89:90], -v[3:4]
	buffer_store_dword v2, off, s[0:3], 0 offset:692
	buffer_store_dword v1, off, s[0:3], 0 offset:688
	;; [unrolled: 1-line block ×4, first 2 shown]
	v_cmpx_lt_u32_e32 41, v0
	s_cbranch_execz .LBB54_261
; %bb.260:
	v_mov_b32_e32 v4, s25
	v_mov_b32_e32 v5, 0
	s_clause 0x3
	buffer_load_dword v1, v4, s[0:3], 0 offen
	buffer_load_dword v2, v4, s[0:3], 0 offen offset:4
	buffer_load_dword v3, v4, s[0:3], 0 offen offset:8
	;; [unrolled: 1-line block ×3, first 2 shown]
	buffer_store_dword v5, off, s[0:3], 0 offset:672
	buffer_store_dword v5, off, s[0:3], 0 offset:676
	;; [unrolled: 1-line block ×4, first 2 shown]
	s_waitcnt vmcnt(0)
	ds_write_b128 v95, v[1:4]
.LBB54_261:
	s_or_b32 exec_lo, exec_lo, s4
	s_waitcnt lgkmcnt(0)
	s_waitcnt_vscnt null, 0x0
	s_barrier
	buffer_gl0_inv
	s_clause 0x33
	buffer_load_dword v10, off, s[0:3], 0 offset:696
	buffer_load_dword v11, off, s[0:3], 0 offset:700
	buffer_load_dword v14, off, s[0:3], 0 offset:712
	buffer_load_dword v15, off, s[0:3], 0 offset:716
	buffer_load_dword v16, off, s[0:3], 0 offset:688
	buffer_load_dword v17, off, s[0:3], 0 offset:692
	buffer_load_dword v18, off, s[0:3], 0 offset:728
	buffer_load_dword v19, off, s[0:3], 0 offset:732
	buffer_load_dword v20, off, s[0:3], 0 offset:704
	buffer_load_dword v21, off, s[0:3], 0 offset:708
	buffer_load_dword v23, off, s[0:3], 0 offset:748
	buffer_load_dword v24, off, s[0:3], 0 offset:760
	buffer_load_dword v26, off, s[0:3], 0 offset:752
	buffer_load_dword v22, off, s[0:3], 0 offset:744
	buffer_load_dword v28, off, s[0:3], 0 offset:720
	buffer_load_dword v29, off, s[0:3], 0 offset:724
	buffer_load_dword v25, off, s[0:3], 0 offset:764
	buffer_load_dword v31, off, s[0:3], 0 offset:740
	buffer_load_dword v30, off, s[0:3], 0 offset:736
	buffer_load_dword v33, off, s[0:3], 0 offset:780
	buffer_load_dword v34, off, s[0:3], 0 offset:792
	buffer_load_dword v36, off, s[0:3], 0 offset:784
	buffer_load_dword v32, off, s[0:3], 0 offset:776
	buffer_load_dword v27, off, s[0:3], 0 offset:756
	buffer_load_dword v35, off, s[0:3], 0 offset:796
	buffer_load_dword v39, off, s[0:3], 0 offset:772
	buffer_load_dword v38, off, s[0:3], 0 offset:768
	buffer_load_dword v41, off, s[0:3], 0 offset:812
	buffer_load_dword v42, off, s[0:3], 0 offset:824
	buffer_load_dword v44, off, s[0:3], 0 offset:816
	buffer_load_dword v40, off, s[0:3], 0 offset:808
	buffer_load_dword v37, off, s[0:3], 0 offset:788
	buffer_load_dword v43, off, s[0:3], 0 offset:828
	buffer_load_dword v47, off, s[0:3], 0 offset:804
	buffer_load_dword v46, off, s[0:3], 0 offset:800
	buffer_load_dword v49, off, s[0:3], 0 offset:844
	buffer_load_dword v50, off, s[0:3], 0 offset:856
	buffer_load_dword v52, off, s[0:3], 0 offset:848
	buffer_load_dword v48, off, s[0:3], 0 offset:840
	buffer_load_dword v45, off, s[0:3], 0 offset:820
	buffer_load_dword v51, off, s[0:3], 0 offset:860
	buffer_load_dword v55, off, s[0:3], 0 offset:836
	buffer_load_dword v54, off, s[0:3], 0 offset:832
	buffer_load_dword v84, off, s[0:3], 0 offset:876
	buffer_load_dword v85, off, s[0:3], 0 offset:888
	buffer_load_dword v87, off, s[0:3], 0 offset:880
	buffer_load_dword v83, off, s[0:3], 0 offset:872
	buffer_load_dword v53, off, s[0:3], 0 offset:852
	buffer_load_dword v86, off, s[0:3], 0 offset:892
	buffer_load_dword v90, off, s[0:3], 0 offset:868
	buffer_load_dword v89, off, s[0:3], 0 offset:864
	buffer_load_dword v88, off, s[0:3], 0 offset:884
	v_mov_b32_e32 v1, 0
	ds_read_b128 v[2:5], v1 offset:1552
	ds_read_b128 v[6:9], v1 offset:1568
	s_clause 0x3
	buffer_load_dword v96, off, s[0:3], 0 offset:672
	buffer_load_dword v97, off, s[0:3], 0 offset:676
	;; [unrolled: 1-line block ×4, first 2 shown]
	s_mov_b32 s4, exec_lo
	s_waitcnt vmcnt(54) lgkmcnt(1)
	v_mul_f64 v[91:92], v[4:5], v[10:11]
	v_mul_f64 v[93:94], v[2:3], v[10:11]
	s_waitcnt vmcnt(52) lgkmcnt(0)
	v_mul_f64 v[100:101], v[8:9], v[14:15]
	ds_read_b128 v[10:13], v1 offset:1584
	v_mul_f64 v[14:15], v[6:7], v[14:15]
	s_waitcnt vmcnt(50)
	v_fma_f64 v[91:92], v[2:3], v[16:17], -v[91:92]
	v_fma_f64 v[16:17], v[4:5], v[16:17], v[93:94]
	ds_read_b128 v[2:5], v1 offset:1600
	s_waitcnt vmcnt(48) lgkmcnt(1)
	v_mul_f64 v[93:94], v[10:11], v[18:19]
	v_mul_f64 v[18:19], v[12:13], v[18:19]
	s_waitcnt vmcnt(46)
	v_fma_f64 v[100:101], v[6:7], v[20:21], -v[100:101]
	v_fma_f64 v[14:15], v[8:9], v[20:21], v[14:15]
	ds_read_b128 v[6:9], v1 offset:1616
	s_waitcnt vmcnt(42) lgkmcnt(1)
	v_mul_f64 v[20:21], v[2:3], v[22:23]
	v_add_f64 v[91:92], v[91:92], 0
	v_add_f64 v[16:17], v[16:17], 0
	v_mul_f64 v[22:23], v[4:5], v[22:23]
	s_waitcnt vmcnt(40)
	v_fma_f64 v[18:19], v[10:11], v[28:29], -v[18:19]
	v_fma_f64 v[28:29], v[12:13], v[28:29], v[93:94]
	ds_read_b128 v[10:13], v1 offset:1632
	s_waitcnt vmcnt(37)
	v_fma_f64 v[20:21], v[4:5], v[30:31], v[20:21]
	v_add_f64 v[91:92], v[91:92], v[100:101]
	v_add_f64 v[14:15], v[16:17], v[14:15]
	s_waitcnt lgkmcnt(1)
	v_mul_f64 v[16:17], v[6:7], v[24:25]
	v_mul_f64 v[24:25], v[8:9], v[24:25]
	v_fma_f64 v[22:23], v[2:3], v[30:31], -v[22:23]
	s_waitcnt vmcnt(33) lgkmcnt(0)
	v_mul_f64 v[30:31], v[12:13], v[32:33]
	ds_read_b128 v[2:5], v1 offset:1648
	v_add_f64 v[18:19], v[91:92], v[18:19]
	v_add_f64 v[14:15], v[14:15], v[28:29]
	v_mul_f64 v[28:29], v[10:11], v[32:33]
	s_waitcnt vmcnt(32)
	v_fma_f64 v[24:25], v[6:7], v[26:27], -v[24:25]
	v_fma_f64 v[16:17], v[8:9], v[26:27], v[16:17]
	ds_read_b128 v[6:9], v1 offset:1664
	s_waitcnt vmcnt(29)
	v_fma_f64 v[26:27], v[10:11], v[38:39], -v[30:31]
	v_add_f64 v[18:19], v[18:19], v[22:23]
	v_add_f64 v[14:15], v[14:15], v[20:21]
	s_waitcnt lgkmcnt(1)
	v_mul_f64 v[22:23], v[4:5], v[34:35]
	v_mul_f64 v[20:21], v[2:3], v[34:35]
	v_add_f64 v[18:19], v[18:19], v[24:25]
	v_fma_f64 v[24:25], v[12:13], v[38:39], v[28:29]
	v_add_f64 v[14:15], v[14:15], v[16:17]
	s_waitcnt vmcnt(25) lgkmcnt(0)
	v_mul_f64 v[28:29], v[8:9], v[40:41]
	s_waitcnt vmcnt(24)
	v_fma_f64 v[22:23], v[2:3], v[36:37], -v[22:23]
	ds_read_b128 v[10:13], v1 offset:1680
	v_mul_f64 v[16:17], v[6:7], v[40:41]
	v_fma_f64 v[20:21], v[4:5], v[36:37], v[20:21]
	ds_read_b128 v[2:5], v1 offset:1696
	v_add_f64 v[18:19], v[18:19], v[26:27]
	v_add_f64 v[14:15], v[14:15], v[24:25]
	s_waitcnt vmcnt(23) lgkmcnt(1)
	v_mul_f64 v[26:27], v[12:13], v[42:43]
	s_waitcnt vmcnt(21)
	v_fma_f64 v[28:29], v[6:7], v[46:47], -v[28:29]
	v_mul_f64 v[24:25], v[10:11], v[42:43]
	v_fma_f64 v[16:17], v[8:9], v[46:47], v[16:17]
	ds_read_b128 v[6:9], v1 offset:1712
	v_add_f64 v[18:19], v[18:19], v[22:23]
	s_waitcnt vmcnt(17) lgkmcnt(1)
	v_mul_f64 v[22:23], v[4:5], v[48:49]
	v_add_f64 v[14:15], v[14:15], v[20:21]
	s_waitcnt vmcnt(16)
	v_fma_f64 v[26:27], v[10:11], v[44:45], -v[26:27]
	v_mul_f64 v[20:21], v[2:3], v[48:49]
	v_fma_f64 v[24:25], v[12:13], v[44:45], v[24:25]
	ds_read_b128 v[10:13], v1 offset:1728
	v_add_f64 v[18:19], v[18:19], v[28:29]
	s_waitcnt vmcnt(15) lgkmcnt(1)
	v_mul_f64 v[28:29], v[8:9], v[50:51]
	v_add_f64 v[14:15], v[14:15], v[16:17]
	;; [unrolled: 9-line block ×3, first 2 shown]
	s_waitcnt vmcnt(8)
	v_fma_f64 v[6:7], v[6:7], v[52:53], -v[28:29]
	v_mul_f64 v[24:25], v[10:11], v[83:84]
	v_fma_f64 v[8:9], v[8:9], v[52:53], v[16:17]
	s_waitcnt vmcnt(7) lgkmcnt(0)
	v_mul_f64 v[16:17], v[2:3], v[85:86]
	v_add_f64 v[18:19], v[18:19], v[22:23]
	s_waitcnt vmcnt(5)
	v_fma_f64 v[10:11], v[10:11], v[89:90], -v[26:27]
	v_add_f64 v[14:15], v[14:15], v[20:21]
	v_mul_f64 v[20:21], v[4:5], v[85:86]
	v_fma_f64 v[12:13], v[12:13], v[89:90], v[24:25]
	s_waitcnt vmcnt(4)
	v_fma_f64 v[4:5], v[4:5], v[87:88], v[16:17]
	v_add_f64 v[6:7], v[18:19], v[6:7]
	v_add_f64 v[8:9], v[14:15], v[8:9]
	v_fma_f64 v[2:3], v[2:3], v[87:88], -v[20:21]
	v_add_f64 v[6:7], v[6:7], v[10:11]
	v_add_f64 v[8:9], v[8:9], v[12:13]
	;; [unrolled: 1-line block ×4, first 2 shown]
	s_waitcnt vmcnt(2)
	v_add_f64 v[2:3], v[96:97], -v[2:3]
	s_waitcnt vmcnt(0)
	v_add_f64 v[4:5], v[98:99], -v[4:5]
	buffer_store_dword v3, off, s[0:3], 0 offset:676
	buffer_store_dword v2, off, s[0:3], 0 offset:672
	;; [unrolled: 1-line block ×4, first 2 shown]
	v_cmpx_lt_u32_e32 40, v0
	s_cbranch_execz .LBB54_263
; %bb.262:
	v_mov_b32_e32 v5, s26
	s_clause 0x3
	buffer_load_dword v2, v5, s[0:3], 0 offen
	buffer_load_dword v3, v5, s[0:3], 0 offen offset:4
	buffer_load_dword v4, v5, s[0:3], 0 offen offset:8
	;; [unrolled: 1-line block ×3, first 2 shown]
	buffer_store_dword v1, off, s[0:3], 0 offset:656
	buffer_store_dword v1, off, s[0:3], 0 offset:660
	;; [unrolled: 1-line block ×4, first 2 shown]
	s_waitcnt vmcnt(0)
	ds_write_b128 v95, v[2:5]
.LBB54_263:
	s_or_b32 exec_lo, exec_lo, s4
	s_waitcnt lgkmcnt(0)
	s_waitcnt_vscnt null, 0x0
	s_barrier
	buffer_gl0_inv
	s_clause 0x35
	buffer_load_dword v10, off, s[0:3], 0 offset:680
	buffer_load_dword v11, off, s[0:3], 0 offset:684
	;; [unrolled: 1-line block ×54, first 2 shown]
	ds_read_b128 v[2:5], v1 offset:1536
	s_clause 0x1
	buffer_load_dword v94, off, s[0:3], 0 offset:884
	buffer_load_dword v93, off, s[0:3], 0 offset:880
	ds_read_b128 v[6:9], v1 offset:1552
	s_mov_b32 s4, exec_lo
	s_waitcnt vmcnt(54) lgkmcnt(1)
	v_mul_f64 v[96:97], v[4:5], v[10:11]
	v_mul_f64 v[98:99], v[2:3], v[10:11]
	ds_read_b128 v[10:13], v1 offset:1568
	s_waitcnt vmcnt(52) lgkmcnt(1)
	v_mul_f64 v[100:101], v[8:9], v[14:15]
	v_mul_f64 v[14:15], v[6:7], v[14:15]
	s_waitcnt vmcnt(48) lgkmcnt(0)
	v_mul_f64 v[104:105], v[10:11], v[18:19]
	v_fma_f64 v[96:97], v[2:3], v[16:17], -v[96:97]
	v_fma_f64 v[16:17], v[4:5], v[16:17], v[98:99]
	s_clause 0x3
	buffer_load_dword v98, off, s[0:3], 0 offset:656
	buffer_load_dword v99, off, s[0:3], 0 offset:660
	;; [unrolled: 1-line block ×4, first 2 shown]
	v_mul_f64 v[18:19], v[12:13], v[18:19]
	s_waitcnt vmcnt(50)
	v_fma_f64 v[100:101], v[6:7], v[20:21], -v[100:101]
	ds_read_b128 v[2:5], v1 offset:1584
	v_fma_f64 v[14:15], v[8:9], v[20:21], v[14:15]
	ds_read_b128 v[6:9], v1 offset:1600
	v_add_f64 v[96:97], v[96:97], 0
	v_add_f64 v[16:17], v[16:17], 0
	s_waitcnt vmcnt(46) lgkmcnt(1)
	v_mul_f64 v[20:21], v[2:3], v[22:23]
	v_mul_f64 v[22:23], v[4:5], v[22:23]
	s_waitcnt vmcnt(44)
	v_fma_f64 v[18:19], v[10:11], v[28:29], -v[18:19]
	v_fma_f64 v[28:29], v[12:13], v[28:29], v[104:105]
	ds_read_b128 v[10:13], v1 offset:1616
	v_add_f64 v[96:97], v[96:97], v[100:101]
	v_add_f64 v[14:15], v[16:17], v[14:15]
	s_waitcnt vmcnt(43) lgkmcnt(1)
	v_mul_f64 v[16:17], v[6:7], v[24:25]
	v_mul_f64 v[24:25], v[8:9], v[24:25]
	s_waitcnt vmcnt(41)
	v_fma_f64 v[22:23], v[2:3], v[30:31], -v[22:23]
	v_fma_f64 v[20:21], v[4:5], v[30:31], v[20:21]
	ds_read_b128 v[2:5], v1 offset:1632
	s_waitcnt vmcnt(37) lgkmcnt(1)
	v_mul_f64 v[30:31], v[12:13], v[32:33]
	v_add_f64 v[18:19], v[96:97], v[18:19]
	v_add_f64 v[14:15], v[14:15], v[28:29]
	v_mul_f64 v[28:29], v[10:11], v[32:33]
	s_waitcnt vmcnt(36)
	v_fma_f64 v[24:25], v[6:7], v[26:27], -v[24:25]
	v_fma_f64 v[16:17], v[8:9], v[26:27], v[16:17]
	ds_read_b128 v[6:9], v1 offset:1648
	s_waitcnt vmcnt(33)
	v_fma_f64 v[26:27], v[10:11], v[38:39], -v[30:31]
	v_add_f64 v[18:19], v[18:19], v[22:23]
	v_add_f64 v[14:15], v[14:15], v[20:21]
	s_waitcnt lgkmcnt(1)
	v_mul_f64 v[22:23], v[4:5], v[34:35]
	v_mul_f64 v[20:21], v[2:3], v[34:35]
	v_add_f64 v[18:19], v[18:19], v[24:25]
	v_fma_f64 v[24:25], v[12:13], v[38:39], v[28:29]
	v_add_f64 v[14:15], v[14:15], v[16:17]
	ds_read_b128 v[10:13], v1 offset:1664
	s_waitcnt vmcnt(29) lgkmcnt(1)
	v_mul_f64 v[28:29], v[8:9], v[40:41]
	s_waitcnt vmcnt(28)
	v_fma_f64 v[22:23], v[2:3], v[36:37], -v[22:23]
	v_mul_f64 v[16:17], v[6:7], v[40:41]
	v_fma_f64 v[20:21], v[4:5], v[36:37], v[20:21]
	ds_read_b128 v[2:5], v1 offset:1680
	v_add_f64 v[18:19], v[18:19], v[26:27]
	s_waitcnt vmcnt(27) lgkmcnt(1)
	v_mul_f64 v[26:27], v[12:13], v[42:43]
	v_add_f64 v[14:15], v[14:15], v[24:25]
	v_mul_f64 v[24:25], v[10:11], v[42:43]
	s_waitcnt vmcnt(25)
	v_fma_f64 v[28:29], v[6:7], v[46:47], -v[28:29]
	v_fma_f64 v[16:17], v[8:9], v[46:47], v[16:17]
	ds_read_b128 v[6:9], v1 offset:1696
	v_add_f64 v[18:19], v[18:19], v[22:23]
	s_waitcnt vmcnt(21) lgkmcnt(1)
	v_mul_f64 v[22:23], v[4:5], v[48:49]
	v_add_f64 v[14:15], v[14:15], v[20:21]
	s_waitcnt vmcnt(20)
	v_fma_f64 v[26:27], v[10:11], v[44:45], -v[26:27]
	v_mul_f64 v[20:21], v[2:3], v[48:49]
	v_fma_f64 v[24:25], v[12:13], v[44:45], v[24:25]
	ds_read_b128 v[10:13], v1 offset:1712
	v_add_f64 v[18:19], v[18:19], v[28:29]
	s_waitcnt vmcnt(19) lgkmcnt(1)
	v_mul_f64 v[28:29], v[8:9], v[50:51]
	v_add_f64 v[14:15], v[14:15], v[16:17]
	s_waitcnt vmcnt(17)
	v_fma_f64 v[22:23], v[2:3], v[54:55], -v[22:23]
	v_mul_f64 v[16:17], v[6:7], v[50:51]
	;; [unrolled: 9-line block ×4, first 2 shown]
	v_fma_f64 v[12:13], v[12:13], v[89:90], v[24:25]
	s_waitcnt vmcnt(7) lgkmcnt(0)
	v_mul_f64 v[24:25], v[8:9], v[91:92]
	v_add_f64 v[18:19], v[18:19], v[28:29]
	s_waitcnt vmcnt(6)
	v_fma_f64 v[1:2], v[2:3], v[87:88], -v[22:23]
	v_add_f64 v[14:15], v[14:15], v[16:17]
	v_mul_f64 v[16:17], v[6:7], v[91:92]
	v_fma_f64 v[3:4], v[4:5], v[87:88], v[20:21]
	s_waitcnt vmcnt(4)
	v_fma_f64 v[5:6], v[6:7], v[93:94], -v[24:25]
	v_add_f64 v[10:11], v[18:19], v[10:11]
	v_add_f64 v[12:13], v[14:15], v[12:13]
	v_fma_f64 v[7:8], v[8:9], v[93:94], v[16:17]
	v_add_f64 v[1:2], v[10:11], v[1:2]
	v_add_f64 v[3:4], v[12:13], v[3:4]
	;; [unrolled: 1-line block ×4, first 2 shown]
	s_waitcnt vmcnt(2)
	v_add_f64 v[1:2], v[98:99], -v[1:2]
	s_waitcnt vmcnt(0)
	v_add_f64 v[3:4], v[102:103], -v[3:4]
	buffer_store_dword v2, off, s[0:3], 0 offset:660
	buffer_store_dword v1, off, s[0:3], 0 offset:656
	;; [unrolled: 1-line block ×4, first 2 shown]
	v_cmpx_lt_u32_e32 39, v0
	s_cbranch_execz .LBB54_265
; %bb.264:
	v_mov_b32_e32 v4, s27
	v_mov_b32_e32 v5, 0
	s_clause 0x3
	buffer_load_dword v1, v4, s[0:3], 0 offen
	buffer_load_dword v2, v4, s[0:3], 0 offen offset:4
	buffer_load_dword v3, v4, s[0:3], 0 offen offset:8
	buffer_load_dword v4, v4, s[0:3], 0 offen offset:12
	buffer_store_dword v5, off, s[0:3], 0 offset:640
	buffer_store_dword v5, off, s[0:3], 0 offset:644
	;; [unrolled: 1-line block ×4, first 2 shown]
	s_waitcnt vmcnt(0)
	ds_write_b128 v95, v[1:4]
.LBB54_265:
	s_or_b32 exec_lo, exec_lo, s4
	s_waitcnt lgkmcnt(0)
	s_waitcnt_vscnt null, 0x0
	s_barrier
	buffer_gl0_inv
	s_clause 0x35
	buffer_load_dword v10, off, s[0:3], 0 offset:664
	buffer_load_dword v11, off, s[0:3], 0 offset:668
	;; [unrolled: 1-line block ×54, first 2 shown]
	v_mov_b32_e32 v1, 0
	s_mov_b32 s4, exec_lo
	ds_read_b128 v[2:5], v1 offset:1520
	s_clause 0x3
	buffer_load_dword v93, off, s[0:3], 0 offset:888
	buffer_load_dword v94, off, s[0:3], 0 offset:892
	;; [unrolled: 1-line block ×4, first 2 shown]
	ds_read_b128 v[6:9], v1 offset:1536
	s_clause 0x1
	buffer_load_dword v102, off, s[0:3], 0 offset:880
	buffer_load_dword v103, off, s[0:3], 0 offset:884
	s_waitcnt vmcnt(58) lgkmcnt(1)
	v_mul_f64 v[98:99], v[4:5], v[10:11]
	v_mul_f64 v[100:101], v[2:3], v[10:11]
	s_waitcnt vmcnt(56) lgkmcnt(0)
	v_mul_f64 v[104:105], v[8:9], v[14:15]
	ds_read_b128 v[10:13], v1 offset:1552
	v_mul_f64 v[14:15], v[6:7], v[14:15]
	s_waitcnt vmcnt(54)
	v_fma_f64 v[98:99], v[2:3], v[16:17], -v[98:99]
	v_fma_f64 v[16:17], v[4:5], v[16:17], v[100:101]
	ds_read_b128 v[2:5], v1 offset:1568
	s_waitcnt vmcnt(52) lgkmcnt(1)
	v_mul_f64 v[100:101], v[10:11], v[18:19]
	v_mul_f64 v[18:19], v[12:13], v[18:19]
	s_waitcnt vmcnt(50)
	v_fma_f64 v[104:105], v[6:7], v[20:21], -v[104:105]
	v_fma_f64 v[14:15], v[8:9], v[20:21], v[14:15]
	s_clause 0x3
	buffer_load_dword v20, off, s[0:3], 0 offset:640
	buffer_load_dword v21, off, s[0:3], 0 offset:644
	;; [unrolled: 1-line block ×4, first 2 shown]
	ds_read_b128 v[6:9], v1 offset:1584
	s_waitcnt vmcnt(52) lgkmcnt(1)
	v_mul_f64 v[108:109], v[2:3], v[22:23]
	v_add_f64 v[98:99], v[98:99], 0
	v_add_f64 v[16:17], v[16:17], 0
	v_mul_f64 v[22:23], v[4:5], v[22:23]
	s_waitcnt vmcnt(50)
	v_fma_f64 v[18:19], v[10:11], v[24:25], -v[18:19]
	v_fma_f64 v[24:25], v[12:13], v[24:25], v[100:101]
	ds_read_b128 v[10:13], v1 offset:1600
	v_add_f64 v[98:99], v[98:99], v[104:105]
	v_add_f64 v[14:15], v[16:17], v[14:15]
	s_waitcnt vmcnt(48) lgkmcnt(1)
	v_mul_f64 v[16:17], v[6:7], v[26:27]
	v_mul_f64 v[26:27], v[8:9], v[26:27]
	s_waitcnt vmcnt(46)
	v_fma_f64 v[22:23], v[2:3], v[28:29], -v[22:23]
	v_fma_f64 v[28:29], v[4:5], v[28:29], v[108:109]
	ds_read_b128 v[2:5], v1 offset:1616
	v_add_f64 v[18:19], v[98:99], v[18:19]
	v_add_f64 v[14:15], v[14:15], v[24:25]
	s_waitcnt vmcnt(44) lgkmcnt(1)
	v_mul_f64 v[24:25], v[10:11], v[30:31]
	;; [unrolled: 9-line block ×3, first 2 shown]
	s_waitcnt vmcnt(38)
	v_fma_f64 v[30:31], v[10:11], v[36:37], -v[30:31]
	v_mul_f64 v[22:23], v[2:3], v[34:35]
	v_fma_f64 v[24:25], v[12:13], v[36:37], v[24:25]
	ds_read_b128 v[10:13], v1 offset:1648
	v_add_f64 v[18:19], v[18:19], v[26:27]
	v_add_f64 v[14:15], v[14:15], v[16:17]
	s_waitcnt vmcnt(36) lgkmcnt(1)
	v_mul_f64 v[26:27], v[8:9], v[38:39]
	s_waitcnt vmcnt(34)
	v_fma_f64 v[28:29], v[2:3], v[40:41], -v[28:29]
	v_mul_f64 v[16:17], v[6:7], v[38:39]
	v_fma_f64 v[22:23], v[4:5], v[40:41], v[22:23]
	ds_read_b128 v[2:5], v1 offset:1664
	v_add_f64 v[18:19], v[18:19], v[30:31]
	v_add_f64 v[14:15], v[14:15], v[24:25]
	s_waitcnt vmcnt(32) lgkmcnt(1)
	v_mul_f64 v[30:31], v[12:13], v[42:43]
	s_waitcnt vmcnt(30)
	v_fma_f64 v[26:27], v[6:7], v[44:45], -v[26:27]
	v_mul_f64 v[24:25], v[10:11], v[42:43]
	v_fma_f64 v[16:17], v[8:9], v[44:45], v[16:17]
	ds_read_b128 v[6:9], v1 offset:1680
	v_add_f64 v[18:19], v[18:19], v[28:29]
	v_add_f64 v[14:15], v[14:15], v[22:23]
	s_waitcnt vmcnt(28) lgkmcnt(1)
	v_mul_f64 v[28:29], v[4:5], v[46:47]
	s_waitcnt vmcnt(26)
	v_fma_f64 v[30:31], v[10:11], v[48:49], -v[30:31]
	v_mul_f64 v[22:23], v[2:3], v[46:47]
	v_fma_f64 v[24:25], v[12:13], v[48:49], v[24:25]
	ds_read_b128 v[10:13], v1 offset:1696
	v_add_f64 v[18:19], v[18:19], v[26:27]
	v_add_f64 v[14:15], v[14:15], v[16:17]
	s_waitcnt vmcnt(24) lgkmcnt(1)
	v_mul_f64 v[26:27], v[8:9], v[50:51]
	s_waitcnt vmcnt(22)
	v_fma_f64 v[28:29], v[2:3], v[52:53], -v[28:29]
	v_mul_f64 v[16:17], v[6:7], v[50:51]
	v_fma_f64 v[22:23], v[4:5], v[52:53], v[22:23]
	ds_read_b128 v[2:5], v1 offset:1712
	v_add_f64 v[18:19], v[18:19], v[30:31]
	v_add_f64 v[14:15], v[14:15], v[24:25]
	s_waitcnt vmcnt(20) lgkmcnt(1)
	v_mul_f64 v[30:31], v[12:13], v[54:55]
	s_waitcnt vmcnt(18)
	v_fma_f64 v[26:27], v[6:7], v[83:84], -v[26:27]
	v_mul_f64 v[24:25], v[10:11], v[54:55]
	v_fma_f64 v[16:17], v[8:9], v[83:84], v[16:17]
	ds_read_b128 v[6:9], v1 offset:1728
	v_add_f64 v[18:19], v[18:19], v[28:29]
	v_add_f64 v[14:15], v[14:15], v[22:23]
	s_waitcnt vmcnt(16) lgkmcnt(1)
	v_mul_f64 v[28:29], v[4:5], v[85:86]
	s_waitcnt vmcnt(14)
	v_fma_f64 v[30:31], v[10:11], v[87:88], -v[30:31]
	v_mul_f64 v[22:23], v[2:3], v[85:86]
	v_fma_f64 v[24:25], v[12:13], v[87:88], v[24:25]
	ds_read_b128 v[10:13], v1 offset:1744
	v_add_f64 v[18:19], v[18:19], v[26:27]
	v_add_f64 v[14:15], v[14:15], v[16:17]
	s_waitcnt vmcnt(12) lgkmcnt(1)
	v_mul_f64 v[26:27], v[8:9], v[89:90]
	s_waitcnt vmcnt(10)
	v_fma_f64 v[2:3], v[2:3], v[91:92], -v[28:29]
	v_mul_f64 v[16:17], v[6:7], v[89:90]
	v_fma_f64 v[4:5], v[4:5], v[91:92], v[22:23]
	s_waitcnt vmcnt(8) lgkmcnt(0)
	v_mul_f64 v[22:23], v[10:11], v[93:94]
	v_add_f64 v[18:19], v[18:19], v[30:31]
	v_add_f64 v[14:15], v[14:15], v[24:25]
	v_mul_f64 v[24:25], v[12:13], v[93:94]
	s_waitcnt vmcnt(6)
	v_fma_f64 v[6:7], v[6:7], v[96:97], -v[26:27]
	v_fma_f64 v[8:9], v[8:9], v[96:97], v[16:17]
	v_add_f64 v[2:3], v[18:19], v[2:3]
	v_add_f64 v[4:5], v[14:15], v[4:5]
	s_waitcnt vmcnt(4)
	v_fma_f64 v[10:11], v[10:11], v[102:103], -v[24:25]
	v_add_f64 v[2:3], v[2:3], v[6:7]
	v_fma_f64 v[6:7], v[12:13], v[102:103], v[22:23]
	v_add_f64 v[4:5], v[4:5], v[8:9]
	v_add_f64 v[2:3], v[2:3], v[10:11]
	;; [unrolled: 1-line block ×3, first 2 shown]
	s_waitcnt vmcnt(2)
	v_add_f64 v[2:3], v[20:21], -v[2:3]
	s_waitcnt vmcnt(0)
	v_add_f64 v[4:5], v[106:107], -v[4:5]
	buffer_store_dword v3, off, s[0:3], 0 offset:644
	buffer_store_dword v2, off, s[0:3], 0 offset:640
	;; [unrolled: 1-line block ×4, first 2 shown]
	v_cmpx_lt_u32_e32 38, v0
	s_cbranch_execz .LBB54_267
; %bb.266:
	v_mov_b32_e32 v5, s28
	s_clause 0x3
	buffer_load_dword v2, v5, s[0:3], 0 offen
	buffer_load_dword v3, v5, s[0:3], 0 offen offset:4
	buffer_load_dword v4, v5, s[0:3], 0 offen offset:8
	;; [unrolled: 1-line block ×3, first 2 shown]
	buffer_store_dword v1, off, s[0:3], 0 offset:624
	buffer_store_dword v1, off, s[0:3], 0 offset:628
	;; [unrolled: 1-line block ×4, first 2 shown]
	s_waitcnt vmcnt(0)
	ds_write_b128 v95, v[2:5]
.LBB54_267:
	s_or_b32 exec_lo, exec_lo, s4
	s_waitcnt lgkmcnt(0)
	s_waitcnt_vscnt null, 0x0
	s_barrier
	buffer_gl0_inv
	s_clause 0x37
	buffer_load_dword v10, off, s[0:3], 0 offset:648
	buffer_load_dword v11, off, s[0:3], 0 offset:652
	;; [unrolled: 1-line block ×56, first 2 shown]
	ds_read_b128 v[2:5], v1 offset:1504
	s_clause 0x2
	buffer_load_dword v94, off, s[0:3], 0 offset:876
	buffer_load_dword v99, off, s[0:3], 0 offset:852
	;; [unrolled: 1-line block ×3, first 2 shown]
	ds_read_b128 v[6:9], v1 offset:1520
	s_clause 0x2
	buffer_load_dword v105, off, s[0:3], 0 offset:892
	buffer_load_dword v104, off, s[0:3], 0 offset:888
	;; [unrolled: 1-line block ×3, first 2 shown]
	s_mov_b32 s4, exec_lo
	s_waitcnt vmcnt(60) lgkmcnt(1)
	v_mul_f64 v[100:101], v[4:5], v[10:11]
	v_mul_f64 v[102:103], v[2:3], v[10:11]
	s_waitcnt vmcnt(58) lgkmcnt(0)
	v_mul_f64 v[106:107], v[8:9], v[14:15]
	ds_read_b128 v[10:13], v1 offset:1536
	v_mul_f64 v[14:15], v[6:7], v[14:15]
	s_waitcnt vmcnt(56)
	v_fma_f64 v[100:101], v[2:3], v[16:17], -v[100:101]
	v_fma_f64 v[16:17], v[4:5], v[16:17], v[102:103]
	s_clause 0x1
	buffer_load_dword v103, off, s[0:3], 0 offset:884
	buffer_load_dword v102, off, s[0:3], 0 offset:880
	s_waitcnt vmcnt(56) lgkmcnt(0)
	v_mul_f64 v[108:109], v[10:11], v[18:19]
	v_mul_f64 v[18:19], v[12:13], v[18:19]
	s_waitcnt vmcnt(54)
	v_fma_f64 v[106:107], v[6:7], v[20:21], -v[106:107]
	ds_read_b128 v[2:5], v1 offset:1552
	v_fma_f64 v[14:15], v[8:9], v[20:21], v[14:15]
	ds_read_b128 v[6:9], v1 offset:1568
	v_add_f64 v[100:101], v[100:101], 0
	v_add_f64 v[16:17], v[16:17], 0
	s_waitcnt vmcnt(50) lgkmcnt(1)
	v_mul_f64 v[20:21], v[2:3], v[22:23]
	v_mul_f64 v[22:23], v[4:5], v[22:23]
	s_waitcnt vmcnt(48)
	v_fma_f64 v[18:19], v[10:11], v[28:29], -v[18:19]
	v_fma_f64 v[28:29], v[12:13], v[28:29], v[108:109]
	s_waitcnt vmcnt(47) lgkmcnt(0)
	v_mul_f64 v[108:109], v[6:7], v[24:25]
	v_mul_f64 v[24:25], v[8:9], v[24:25]
	v_add_f64 v[100:101], v[100:101], v[106:107]
	v_add_f64 v[14:15], v[16:17], v[14:15]
	s_clause 0x3
	buffer_load_dword v16, off, s[0:3], 0 offset:624
	buffer_load_dword v17, off, s[0:3], 0 offset:628
	;; [unrolled: 1-line block ×4, first 2 shown]
	ds_read_b128 v[10:13], v1 offset:1584
	s_waitcnt vmcnt(49)
	v_fma_f64 v[20:21], v[4:5], v[30:31], v[20:21]
	v_fma_f64 v[22:23], v[2:3], v[30:31], -v[22:23]
	ds_read_b128 v[2:5], v1 offset:1600
	s_waitcnt vmcnt(44)
	v_fma_f64 v[24:25], v[6:7], v[26:27], -v[24:25]
	v_add_f64 v[18:19], v[100:101], v[18:19]
	v_add_f64 v[14:15], v[14:15], v[28:29]
	s_waitcnt lgkmcnt(1)
	v_mul_f64 v[30:31], v[12:13], v[32:33]
	v_mul_f64 v[28:29], v[10:11], v[32:33]
	v_add_f64 v[18:19], v[18:19], v[22:23]
	v_fma_f64 v[22:23], v[8:9], v[26:27], v[108:109]
	v_add_f64 v[14:15], v[14:15], v[20:21]
	s_waitcnt vmcnt(43) lgkmcnt(0)
	v_mul_f64 v[26:27], v[4:5], v[34:35]
	s_waitcnt vmcnt(41)
	v_fma_f64 v[30:31], v[10:11], v[38:39], -v[30:31]
	ds_read_b128 v[6:9], v1 offset:1616
	v_mul_f64 v[20:21], v[2:3], v[34:35]
	v_add_f64 v[18:19], v[18:19], v[24:25]
	v_fma_f64 v[24:25], v[12:13], v[38:39], v[28:29]
	v_add_f64 v[14:15], v[14:15], v[22:23]
	ds_read_b128 v[10:13], v1 offset:1632
	s_waitcnt vmcnt(37) lgkmcnt(1)
	v_mul_f64 v[28:29], v[8:9], v[40:41]
	s_waitcnt vmcnt(36)
	v_fma_f64 v[26:27], v[2:3], v[36:37], -v[26:27]
	v_mul_f64 v[22:23], v[6:7], v[40:41]
	v_fma_f64 v[20:21], v[4:5], v[36:37], v[20:21]
	ds_read_b128 v[2:5], v1 offset:1648
	v_add_f64 v[18:19], v[18:19], v[30:31]
	s_waitcnt vmcnt(35) lgkmcnt(1)
	v_mul_f64 v[30:31], v[12:13], v[42:43]
	v_add_f64 v[14:15], v[14:15], v[24:25]
	v_mul_f64 v[24:25], v[10:11], v[42:43]
	s_waitcnt vmcnt(33)
	v_fma_f64 v[28:29], v[6:7], v[46:47], -v[28:29]
	v_fma_f64 v[22:23], v[8:9], v[46:47], v[22:23]
	ds_read_b128 v[6:9], v1 offset:1664
	v_add_f64 v[18:19], v[18:19], v[26:27]
	s_waitcnt vmcnt(29) lgkmcnt(1)
	v_mul_f64 v[26:27], v[4:5], v[48:49]
	v_add_f64 v[14:15], v[14:15], v[20:21]
	s_waitcnt vmcnt(28)
	v_fma_f64 v[30:31], v[10:11], v[44:45], -v[30:31]
	v_mul_f64 v[20:21], v[2:3], v[48:49]
	v_fma_f64 v[24:25], v[12:13], v[44:45], v[24:25]
	ds_read_b128 v[10:13], v1 offset:1680
	v_add_f64 v[18:19], v[18:19], v[28:29]
	s_waitcnt vmcnt(27) lgkmcnt(1)
	v_mul_f64 v[28:29], v[8:9], v[50:51]
	v_add_f64 v[14:15], v[14:15], v[22:23]
	s_waitcnt vmcnt(25)
	v_fma_f64 v[26:27], v[2:3], v[54:55], -v[26:27]
	v_mul_f64 v[22:23], v[6:7], v[50:51]
	;; [unrolled: 9-line block ×6, first 2 shown]
	v_fma_f64 v[7:8], v[8:9], v[98:99], v[22:23]
	s_waitcnt vmcnt(7) lgkmcnt(0)
	v_mul_f64 v[22:23], v[3:4], v[104:105]
	v_add_f64 v[18:19], v[18:19], v[26:27]
	s_waitcnt vmcnt(6)
	v_fma_f64 v[9:10], v[10:11], v[96:97], -v[30:31]
	v_add_f64 v[14:15], v[14:15], v[20:21]
	v_mul_f64 v[20:21], v[1:2], v[104:105]
	v_fma_f64 v[11:12], v[12:13], v[96:97], v[24:25]
	v_add_f64 v[5:6], v[18:19], v[5:6]
	v_add_f64 v[7:8], v[14:15], v[7:8]
	s_waitcnt vmcnt(4)
	v_fma_f64 v[1:2], v[1:2], v[102:103], -v[22:23]
	v_fma_f64 v[3:4], v[3:4], v[102:103], v[20:21]
	v_add_f64 v[5:6], v[5:6], v[9:10]
	v_add_f64 v[7:8], v[7:8], v[11:12]
	;; [unrolled: 1-line block ×4, first 2 shown]
	s_waitcnt vmcnt(2)
	v_add_f64 v[1:2], v[16:17], -v[1:2]
	s_waitcnt vmcnt(0)
	v_add_f64 v[3:4], v[106:107], -v[3:4]
	buffer_store_dword v2, off, s[0:3], 0 offset:628
	buffer_store_dword v1, off, s[0:3], 0 offset:624
	;; [unrolled: 1-line block ×4, first 2 shown]
	v_cmpx_lt_u32_e32 37, v0
	s_cbranch_execz .LBB54_269
; %bb.268:
	v_mov_b32_e32 v4, s29
	v_mov_b32_e32 v5, 0
	s_clause 0x3
	buffer_load_dword v1, v4, s[0:3], 0 offen
	buffer_load_dword v2, v4, s[0:3], 0 offen offset:4
	buffer_load_dword v3, v4, s[0:3], 0 offen offset:8
	;; [unrolled: 1-line block ×3, first 2 shown]
	buffer_store_dword v5, off, s[0:3], 0 offset:608
	buffer_store_dword v5, off, s[0:3], 0 offset:612
	;; [unrolled: 1-line block ×4, first 2 shown]
	s_waitcnt vmcnt(0)
	ds_write_b128 v95, v[1:4]
.LBB54_269:
	s_or_b32 exec_lo, exec_lo, s4
	s_waitcnt lgkmcnt(0)
	s_waitcnt_vscnt null, 0x0
	s_barrier
	buffer_gl0_inv
	s_clause 0x37
	buffer_load_dword v10, off, s[0:3], 0 offset:632
	buffer_load_dword v11, off, s[0:3], 0 offset:636
	;; [unrolled: 1-line block ×56, first 2 shown]
	v_mov_b32_e32 v1, 0
	s_mov_b32 s4, exec_lo
	ds_read_b128 v[2:5], v1 offset:1488
	s_clause 0x2
	buffer_load_dword v94, off, s[0:3], 0 offset:860
	buffer_load_dword v99, off, s[0:3], 0 offset:836
	buffer_load_dword v98, off, s[0:3], 0 offset:832
	ds_read_b128 v[6:9], v1 offset:1504
	s_clause 0x4
	buffer_load_dword v105, off, s[0:3], 0 offset:876
	buffer_load_dword v106, off, s[0:3], 0 offset:888
	;; [unrolled: 1-line block ×5, first 2 shown]
	s_waitcnt vmcnt(62) lgkmcnt(1)
	v_mul_f64 v[100:101], v[4:5], v[10:11]
	v_mul_f64 v[102:103], v[2:3], v[10:11]
	s_waitcnt vmcnt(60) lgkmcnt(0)
	v_mul_f64 v[109:110], v[8:9], v[14:15]
	ds_read_b128 v[10:13], v1 offset:1520
	v_mul_f64 v[14:15], v[6:7], v[14:15]
	s_waitcnt vmcnt(58)
	v_fma_f64 v[100:101], v[2:3], v[16:17], -v[100:101]
	v_fma_f64 v[16:17], v[4:5], v[16:17], v[102:103]
	s_clause 0x2
	buffer_load_dword v107, off, s[0:3], 0 offset:892
	buffer_load_dword v103, off, s[0:3], 0 offset:868
	buffer_load_dword v102, off, s[0:3], 0 offset:864
	s_waitcnt vmcnt(59) lgkmcnt(0)
	v_mul_f64 v[111:112], v[10:11], v[18:19]
	v_mul_f64 v[18:19], v[12:13], v[18:19]
	s_waitcnt vmcnt(57)
	v_fma_f64 v[113:114], v[6:7], v[20:21], -v[109:110]
	ds_read_b128 v[2:5], v1 offset:1536
	v_fma_f64 v[14:15], v[8:9], v[20:21], v[14:15]
	buffer_load_dword v109, off, s[0:3], 0 offset:884
	ds_read_b128 v[6:9], v1 offset:1552
	v_add_f64 v[100:101], v[100:101], 0
	v_add_f64 v[16:17], v[16:17], 0
	s_waitcnt vmcnt(54) lgkmcnt(1)
	v_mul_f64 v[20:21], v[2:3], v[22:23]
	v_mul_f64 v[22:23], v[4:5], v[22:23]
	s_waitcnt vmcnt(52)
	v_fma_f64 v[18:19], v[10:11], v[28:29], -v[18:19]
	v_fma_f64 v[28:29], v[12:13], v[28:29], v[111:112]
	ds_read_b128 v[10:13], v1 offset:1568
	v_add_f64 v[100:101], v[100:101], v[113:114]
	v_add_f64 v[14:15], v[16:17], v[14:15]
	s_waitcnt vmcnt(51) lgkmcnt(1)
	v_mul_f64 v[16:17], v[6:7], v[24:25]
	v_mul_f64 v[24:25], v[8:9], v[24:25]
	s_waitcnt vmcnt(49)
	v_fma_f64 v[20:21], v[4:5], v[30:31], v[20:21]
	v_fma_f64 v[22:23], v[2:3], v[30:31], -v[22:23]
	v_add_f64 v[18:19], v[100:101], v[18:19]
	v_add_f64 v[14:15], v[14:15], v[28:29]
	s_clause 0x3
	buffer_load_dword v28, off, s[0:3], 0 offset:608
	buffer_load_dword v29, off, s[0:3], 0 offset:612
	;; [unrolled: 1-line block ×4, first 2 shown]
	s_waitcnt vmcnt(49) lgkmcnt(0)
	v_mul_f64 v[100:101], v[10:11], v[32:33]
	v_mul_f64 v[32:33], v[12:13], v[32:33]
	s_waitcnt vmcnt(48)
	v_fma_f64 v[24:25], v[6:7], v[26:27], -v[24:25]
	ds_read_b128 v[2:5], v1 offset:1584
	v_fma_f64 v[16:17], v[8:9], v[26:27], v[16:17]
	ds_read_b128 v[6:9], v1 offset:1600
	v_add_f64 v[18:19], v[18:19], v[22:23]
	v_add_f64 v[14:15], v[14:15], v[20:21]
	s_waitcnt vmcnt(47) lgkmcnt(1)
	v_mul_f64 v[22:23], v[4:5], v[34:35]
	s_waitcnt vmcnt(45)
	v_fma_f64 v[26:27], v[10:11], v[38:39], -v[32:33]
	v_mul_f64 v[20:21], v[2:3], v[34:35]
	s_waitcnt vmcnt(41) lgkmcnt(0)
	v_mul_f64 v[32:33], v[8:9], v[40:41]
	v_add_f64 v[18:19], v[18:19], v[24:25]
	v_fma_f64 v[24:25], v[12:13], v[38:39], v[100:101]
	v_add_f64 v[14:15], v[14:15], v[16:17]
	ds_read_b128 v[10:13], v1 offset:1616
	s_waitcnt vmcnt(40)
	v_fma_f64 v[22:23], v[2:3], v[36:37], -v[22:23]
	v_mul_f64 v[16:17], v[6:7], v[40:41]
	v_fma_f64 v[20:21], v[4:5], v[36:37], v[20:21]
	ds_read_b128 v[2:5], v1 offset:1632
	s_waitcnt vmcnt(37)
	v_fma_f64 v[32:33], v[6:7], v[46:47], -v[32:33]
	v_add_f64 v[18:19], v[18:19], v[26:27]
	s_waitcnt lgkmcnt(1)
	v_mul_f64 v[26:27], v[12:13], v[42:43]
	v_add_f64 v[14:15], v[14:15], v[24:25]
	v_mul_f64 v[24:25], v[10:11], v[42:43]
	v_fma_f64 v[16:17], v[8:9], v[46:47], v[16:17]
	ds_read_b128 v[6:9], v1 offset:1648
	v_add_f64 v[18:19], v[18:19], v[22:23]
	s_waitcnt vmcnt(33) lgkmcnt(1)
	v_mul_f64 v[22:23], v[4:5], v[48:49]
	v_add_f64 v[14:15], v[14:15], v[20:21]
	s_waitcnt vmcnt(32)
	v_fma_f64 v[26:27], v[10:11], v[44:45], -v[26:27]
	v_mul_f64 v[20:21], v[2:3], v[48:49]
	v_fma_f64 v[24:25], v[12:13], v[44:45], v[24:25]
	ds_read_b128 v[10:13], v1 offset:1664
	v_add_f64 v[18:19], v[18:19], v[32:33]
	s_waitcnt vmcnt(31) lgkmcnt(1)
	v_mul_f64 v[32:33], v[8:9], v[50:51]
	v_add_f64 v[14:15], v[14:15], v[16:17]
	s_waitcnt vmcnt(29)
	v_fma_f64 v[22:23], v[2:3], v[54:55], -v[22:23]
	;; [unrolled: 9-line block ×7, first 2 shown]
	v_mul_f64 v[20:21], v[2:3], v[104:105]
	v_fma_f64 v[12:13], v[12:13], v[96:97], v[24:25]
	v_add_f64 v[18:19], v[18:19], v[32:33]
	v_add_f64 v[14:15], v[14:15], v[16:17]
	s_waitcnt vmcnt(7) lgkmcnt(0)
	v_mul_f64 v[24:25], v[8:9], v[106:107]
	v_mul_f64 v[16:17], v[6:7], v[106:107]
	s_waitcnt vmcnt(5)
	v_fma_f64 v[2:3], v[2:3], v[102:103], -v[22:23]
	v_fma_f64 v[4:5], v[4:5], v[102:103], v[20:21]
	v_add_f64 v[10:11], v[18:19], v[10:11]
	v_add_f64 v[12:13], v[14:15], v[12:13]
	s_waitcnt vmcnt(4)
	v_fma_f64 v[6:7], v[6:7], v[108:109], -v[24:25]
	v_fma_f64 v[8:9], v[8:9], v[108:109], v[16:17]
	v_add_f64 v[2:3], v[10:11], v[2:3]
	v_add_f64 v[4:5], v[12:13], v[4:5]
	;; [unrolled: 1-line block ×4, first 2 shown]
	s_waitcnt vmcnt(2)
	v_add_f64 v[2:3], v[28:29], -v[2:3]
	s_waitcnt vmcnt(0)
	v_add_f64 v[4:5], v[30:31], -v[4:5]
	buffer_store_dword v3, off, s[0:3], 0 offset:612
	buffer_store_dword v2, off, s[0:3], 0 offset:608
	;; [unrolled: 1-line block ×4, first 2 shown]
	v_cmpx_lt_u32_e32 36, v0
	s_cbranch_execz .LBB54_271
; %bb.270:
	v_mov_b32_e32 v5, s30
	s_clause 0x3
	buffer_load_dword v2, v5, s[0:3], 0 offen
	buffer_load_dword v3, v5, s[0:3], 0 offen offset:4
	buffer_load_dword v4, v5, s[0:3], 0 offen offset:8
	;; [unrolled: 1-line block ×3, first 2 shown]
	buffer_store_dword v1, off, s[0:3], 0 offset:592
	buffer_store_dword v1, off, s[0:3], 0 offset:596
	;; [unrolled: 1-line block ×4, first 2 shown]
	s_waitcnt vmcnt(0)
	ds_write_b128 v95, v[2:5]
.LBB54_271:
	s_or_b32 exec_lo, exec_lo, s4
	s_waitcnt lgkmcnt(0)
	s_waitcnt_vscnt null, 0x0
	s_barrier
	buffer_gl0_inv
	s_clause 0x37
	buffer_load_dword v10, off, s[0:3], 0 offset:616
	buffer_load_dword v11, off, s[0:3], 0 offset:620
	;; [unrolled: 1-line block ×56, first 2 shown]
	ds_read_b128 v[2:5], v1 offset:1472
	s_clause 0x2
	buffer_load_dword v94, off, s[0:3], 0 offset:844
	buffer_load_dword v99, off, s[0:3], 0 offset:820
	buffer_load_dword v98, off, s[0:3], 0 offset:816
	ds_read_b128 v[6:9], v1 offset:1488
	s_clause 0x4
	buffer_load_dword v105, off, s[0:3], 0 offset:860
	buffer_load_dword v106, off, s[0:3], 0 offset:872
	;; [unrolled: 1-line block ×5, first 2 shown]
	s_mov_b32 s4, exec_lo
	s_waitcnt vmcnt(62) lgkmcnt(1)
	v_mul_f64 v[100:101], v[4:5], v[10:11]
	v_mul_f64 v[102:103], v[2:3], v[10:11]
	s_waitcnt vmcnt(60) lgkmcnt(0)
	v_mul_f64 v[109:110], v[8:9], v[14:15]
	ds_read_b128 v[10:13], v1 offset:1504
	v_mul_f64 v[14:15], v[6:7], v[14:15]
	s_waitcnt vmcnt(58)
	v_fma_f64 v[100:101], v[2:3], v[16:17], -v[100:101]
	v_fma_f64 v[16:17], v[4:5], v[16:17], v[102:103]
	s_clause 0x2
	buffer_load_dword v107, off, s[0:3], 0 offset:876
	buffer_load_dword v103, off, s[0:3], 0 offset:852
	;; [unrolled: 1-line block ×3, first 2 shown]
	s_waitcnt vmcnt(59) lgkmcnt(0)
	v_mul_f64 v[111:112], v[10:11], v[18:19]
	v_mul_f64 v[18:19], v[12:13], v[18:19]
	s_waitcnt vmcnt(57)
	v_fma_f64 v[113:114], v[6:7], v[20:21], -v[109:110]
	ds_read_b128 v[2:5], v1 offset:1520
	v_fma_f64 v[14:15], v[8:9], v[20:21], v[14:15]
	s_clause 0x2
	buffer_load_dword v21, off, s[0:3], 0 offset:892
	buffer_load_dword v20, off, s[0:3], 0 offset:888
	;; [unrolled: 1-line block ×3, first 2 shown]
	ds_read_b128 v[6:9], v1 offset:1536
	v_add_f64 v[100:101], v[100:101], 0
	v_add_f64 v[16:17], v[16:17], 0
	s_waitcnt vmcnt(56) lgkmcnt(1)
	v_mul_f64 v[115:116], v[2:3], v[22:23]
	v_mul_f64 v[22:23], v[4:5], v[22:23]
	s_waitcnt vmcnt(54)
	v_fma_f64 v[18:19], v[10:11], v[28:29], -v[18:19]
	v_fma_f64 v[28:29], v[12:13], v[28:29], v[111:112]
	s_waitcnt vmcnt(53) lgkmcnt(0)
	v_mul_f64 v[110:111], v[6:7], v[24:25]
	v_mul_f64 v[24:25], v[8:9], v[24:25]
	v_add_f64 v[100:101], v[100:101], v[113:114]
	v_add_f64 v[14:15], v[16:17], v[14:15]
	s_clause 0x1
	buffer_load_dword v17, off, s[0:3], 0 offset:884
	buffer_load_dword v16, off, s[0:3], 0 offset:880
	ds_read_b128 v[10:13], v1 offset:1552
	s_waitcnt vmcnt(53)
	v_fma_f64 v[22:23], v[2:3], v[30:31], -v[22:23]
	v_fma_f64 v[30:31], v[4:5], v[30:31], v[115:116]
	ds_read_b128 v[2:5], v1 offset:1568
	s_waitcnt vmcnt(48)
	v_fma_f64 v[24:25], v[6:7], v[26:27], -v[24:25]
	v_add_f64 v[18:19], v[100:101], v[18:19]
	v_add_f64 v[14:15], v[14:15], v[28:29]
	s_waitcnt lgkmcnt(1)
	v_mul_f64 v[28:29], v[10:11], v[32:33]
	v_mul_f64 v[32:33], v[12:13], v[32:33]
	s_waitcnt vmcnt(47) lgkmcnt(0)
	v_mul_f64 v[100:101], v[2:3], v[34:35]
	v_mul_f64 v[34:35], v[4:5], v[34:35]
	v_add_f64 v[18:19], v[18:19], v[22:23]
	v_fma_f64 v[22:23], v[8:9], v[26:27], v[110:111]
	v_add_f64 v[14:15], v[14:15], v[30:31]
	s_clause 0x3
	buffer_load_dword v26, off, s[0:3], 0 offset:592
	buffer_load_dword v27, off, s[0:3], 0 offset:596
	;; [unrolled: 1-line block ×4, first 2 shown]
	s_waitcnt vmcnt(49)
	v_fma_f64 v[32:33], v[10:11], v[38:39], -v[32:33]
	ds_read_b128 v[6:9], v1 offset:1584
	s_waitcnt vmcnt(44)
	v_fma_f64 v[34:35], v[2:3], v[36:37], -v[34:35]
	v_add_f64 v[18:19], v[18:19], v[24:25]
	v_fma_f64 v[24:25], v[12:13], v[38:39], v[28:29]
	v_add_f64 v[14:15], v[14:15], v[22:23]
	ds_read_b128 v[10:13], v1 offset:1600
	s_waitcnt lgkmcnt(1)
	v_mul_f64 v[28:29], v[8:9], v[40:41]
	v_mul_f64 v[22:23], v[6:7], v[40:41]
	v_add_f64 v[18:19], v[18:19], v[32:33]
	v_fma_f64 v[32:33], v[4:5], v[36:37], v[100:101]
	v_add_f64 v[14:15], v[14:15], v[24:25]
	s_waitcnt vmcnt(43) lgkmcnt(0)
	v_mul_f64 v[36:37], v[12:13], v[42:43]
	s_waitcnt vmcnt(41)
	v_fma_f64 v[28:29], v[6:7], v[46:47], -v[28:29]
	ds_read_b128 v[2:5], v1 offset:1616
	v_mul_f64 v[24:25], v[10:11], v[42:43]
	v_fma_f64 v[22:23], v[8:9], v[46:47], v[22:23]
	ds_read_b128 v[6:9], v1 offset:1632
	v_add_f64 v[18:19], v[18:19], v[34:35]
	v_add_f64 v[14:15], v[14:15], v[32:33]
	s_waitcnt vmcnt(37) lgkmcnt(1)
	v_mul_f64 v[34:35], v[4:5], v[48:49]
	s_waitcnt vmcnt(36)
	v_fma_f64 v[36:37], v[10:11], v[44:45], -v[36:37]
	v_mul_f64 v[32:33], v[2:3], v[48:49]
	v_fma_f64 v[24:25], v[12:13], v[44:45], v[24:25]
	ds_read_b128 v[10:13], v1 offset:1648
	v_add_f64 v[18:19], v[18:19], v[28:29]
	s_waitcnt vmcnt(35) lgkmcnt(1)
	v_mul_f64 v[28:29], v[8:9], v[50:51]
	v_add_f64 v[14:15], v[14:15], v[22:23]
	s_waitcnt vmcnt(33)
	v_fma_f64 v[34:35], v[2:3], v[54:55], -v[34:35]
	v_mul_f64 v[22:23], v[6:7], v[50:51]
	v_fma_f64 v[32:33], v[4:5], v[54:55], v[32:33]
	ds_read_b128 v[2:5], v1 offset:1664
	v_add_f64 v[18:19], v[18:19], v[36:37]
	s_waitcnt vmcnt(29) lgkmcnt(1)
	v_mul_f64 v[36:37], v[12:13], v[83:84]
	v_add_f64 v[14:15], v[14:15], v[24:25]
	s_waitcnt vmcnt(28)
	v_fma_f64 v[28:29], v[6:7], v[52:53], -v[28:29]
	v_mul_f64 v[24:25], v[10:11], v[83:84]
	v_fma_f64 v[22:23], v[8:9], v[52:53], v[22:23]
	ds_read_b128 v[6:9], v1 offset:1680
	v_add_f64 v[18:19], v[18:19], v[34:35]
	s_waitcnt vmcnt(27) lgkmcnt(1)
	v_mul_f64 v[34:35], v[4:5], v[85:86]
	v_add_f64 v[14:15], v[14:15], v[32:33]
	s_waitcnt vmcnt(25)
	v_fma_f64 v[36:37], v[10:11], v[89:90], -v[36:37]
	v_mul_f64 v[32:33], v[2:3], v[85:86]
	v_fma_f64 v[24:25], v[12:13], v[89:90], v[24:25]
	ds_read_b128 v[10:13], v1 offset:1696
	v_add_f64 v[18:19], v[18:19], v[28:29]
	s_waitcnt vmcnt(21) lgkmcnt(1)
	v_mul_f64 v[28:29], v[8:9], v[91:92]
	v_add_f64 v[14:15], v[14:15], v[22:23]
	s_waitcnt vmcnt(20)
	v_fma_f64 v[34:35], v[2:3], v[87:88], -v[34:35]
	v_mul_f64 v[22:23], v[6:7], v[91:92]
	v_fma_f64 v[32:33], v[4:5], v[87:88], v[32:33]
	ds_read_b128 v[2:5], v1 offset:1712
	v_add_f64 v[18:19], v[18:19], v[36:37]
	s_waitcnt vmcnt(19) lgkmcnt(1)
	v_mul_f64 v[36:37], v[12:13], v[93:94]
	v_add_f64 v[14:15], v[14:15], v[24:25]
	s_waitcnt vmcnt(17)
	v_fma_f64 v[28:29], v[6:7], v[98:99], -v[28:29]
	v_mul_f64 v[24:25], v[10:11], v[93:94]
	v_fma_f64 v[22:23], v[8:9], v[98:99], v[22:23]
	ds_read_b128 v[6:9], v1 offset:1728
	v_add_f64 v[18:19], v[18:19], v[34:35]
	s_waitcnt vmcnt(13) lgkmcnt(1)
	v_mul_f64 v[34:35], v[4:5], v[104:105]
	v_add_f64 v[14:15], v[14:15], v[32:33]
	s_waitcnt vmcnt(12)
	v_fma_f64 v[36:37], v[10:11], v[96:97], -v[36:37]
	v_mul_f64 v[32:33], v[2:3], v[104:105]
	v_fma_f64 v[24:25], v[12:13], v[96:97], v[24:25]
	ds_read_b128 v[10:13], v1 offset:1744
	v_add_f64 v[18:19], v[18:19], v[28:29]
	v_add_f64 v[14:15], v[14:15], v[22:23]
	s_waitcnt vmcnt(11) lgkmcnt(1)
	v_mul_f64 v[28:29], v[8:9], v[106:107]
	v_mul_f64 v[22:23], v[6:7], v[106:107]
	s_waitcnt vmcnt(9)
	v_fma_f64 v[1:2], v[2:3], v[102:103], -v[34:35]
	v_fma_f64 v[3:4], v[4:5], v[102:103], v[32:33]
	v_add_f64 v[18:19], v[18:19], v[36:37]
	v_add_f64 v[14:15], v[14:15], v[24:25]
	s_waitcnt vmcnt(7) lgkmcnt(0)
	v_mul_f64 v[24:25], v[10:11], v[20:21]
	v_mul_f64 v[20:21], v[12:13], v[20:21]
	s_waitcnt vmcnt(6)
	v_fma_f64 v[5:6], v[6:7], v[108:109], -v[28:29]
	v_fma_f64 v[7:8], v[8:9], v[108:109], v[22:23]
	v_add_f64 v[1:2], v[18:19], v[1:2]
	v_add_f64 v[3:4], v[14:15], v[3:4]
	s_waitcnt vmcnt(4)
	v_fma_f64 v[9:10], v[10:11], v[16:17], -v[20:21]
	v_add_f64 v[1:2], v[1:2], v[5:6]
	v_fma_f64 v[5:6], v[12:13], v[16:17], v[24:25]
	v_add_f64 v[3:4], v[3:4], v[7:8]
	v_add_f64 v[1:2], v[1:2], v[9:10]
	;; [unrolled: 1-line block ×3, first 2 shown]
	s_waitcnt vmcnt(2)
	v_add_f64 v[1:2], v[26:27], -v[1:2]
	s_waitcnt vmcnt(0)
	v_add_f64 v[3:4], v[30:31], -v[3:4]
	buffer_store_dword v2, off, s[0:3], 0 offset:596
	buffer_store_dword v1, off, s[0:3], 0 offset:592
	;; [unrolled: 1-line block ×4, first 2 shown]
	v_cmpx_lt_u32_e32 35, v0
	s_cbranch_execz .LBB54_273
; %bb.272:
	v_mov_b32_e32 v4, s31
	v_mov_b32_e32 v5, 0
	s_clause 0x3
	buffer_load_dword v1, v4, s[0:3], 0 offen
	buffer_load_dword v2, v4, s[0:3], 0 offen offset:4
	buffer_load_dword v3, v4, s[0:3], 0 offen offset:8
	;; [unrolled: 1-line block ×3, first 2 shown]
	buffer_store_dword v5, off, s[0:3], 0 offset:576
	buffer_store_dword v5, off, s[0:3], 0 offset:580
	;; [unrolled: 1-line block ×4, first 2 shown]
	s_waitcnt vmcnt(0)
	ds_write_b128 v95, v[1:4]
.LBB54_273:
	s_or_b32 exec_lo, exec_lo, s4
	s_waitcnt lgkmcnt(0)
	s_waitcnt_vscnt null, 0x0
	s_barrier
	buffer_gl0_inv
	s_clause 0x37
	buffer_load_dword v10, off, s[0:3], 0 offset:600
	buffer_load_dword v11, off, s[0:3], 0 offset:604
	;; [unrolled: 1-line block ×56, first 2 shown]
	v_mov_b32_e32 v1, 0
	s_mov_b32 s4, exec_lo
	ds_read_b128 v[2:5], v1 offset:1456
	s_clause 0x2
	buffer_load_dword v94, off, s[0:3], 0 offset:828
	buffer_load_dword v99, off, s[0:3], 0 offset:804
	;; [unrolled: 1-line block ×3, first 2 shown]
	ds_read_b128 v[6:9], v1 offset:1472
	s_clause 0x4
	buffer_load_dword v105, off, s[0:3], 0 offset:844
	buffer_load_dword v106, off, s[0:3], 0 offset:856
	;; [unrolled: 1-line block ×5, first 2 shown]
	s_waitcnt vmcnt(62) lgkmcnt(1)
	v_mul_f64 v[100:101], v[4:5], v[10:11]
	v_mul_f64 v[102:103], v[2:3], v[10:11]
	s_waitcnt vmcnt(60) lgkmcnt(0)
	v_mul_f64 v[109:110], v[8:9], v[14:15]
	ds_read_b128 v[10:13], v1 offset:1488
	v_mul_f64 v[14:15], v[6:7], v[14:15]
	s_waitcnt vmcnt(58)
	v_fma_f64 v[100:101], v[2:3], v[16:17], -v[100:101]
	v_fma_f64 v[16:17], v[4:5], v[16:17], v[102:103]
	s_clause 0x2
	buffer_load_dword v107, off, s[0:3], 0 offset:860
	buffer_load_dword v103, off, s[0:3], 0 offset:836
	;; [unrolled: 1-line block ×3, first 2 shown]
	s_waitcnt vmcnt(59) lgkmcnt(0)
	v_mul_f64 v[111:112], v[10:11], v[18:19]
	v_mul_f64 v[18:19], v[12:13], v[18:19]
	s_waitcnt vmcnt(57)
	v_fma_f64 v[113:114], v[6:7], v[20:21], -v[109:110]
	ds_read_b128 v[2:5], v1 offset:1504
	v_fma_f64 v[14:15], v[8:9], v[20:21], v[14:15]
	s_clause 0x4
	buffer_load_dword v21, off, s[0:3], 0 offset:876
	buffer_load_dword v110, off, s[0:3], 0 offset:888
	;; [unrolled: 1-line block ×5, first 2 shown]
	ds_read_b128 v[6:9], v1 offset:1520
	v_add_f64 v[100:101], v[100:101], 0
	v_add_f64 v[16:17], v[16:17], 0
	s_waitcnt vmcnt(58) lgkmcnt(1)
	v_mul_f64 v[116:117], v[2:3], v[22:23]
	v_mul_f64 v[22:23], v[4:5], v[22:23]
	s_waitcnt vmcnt(56)
	v_fma_f64 v[18:19], v[10:11], v[28:29], -v[18:19]
	v_fma_f64 v[28:29], v[12:13], v[28:29], v[111:112]
	v_add_f64 v[100:101], v[100:101], v[113:114]
	v_add_f64 v[14:15], v[16:17], v[14:15]
	s_clause 0x2
	buffer_load_dword v111, off, s[0:3], 0 offset:892
	buffer_load_dword v17, off, s[0:3], 0 offset:868
	;; [unrolled: 1-line block ×3, first 2 shown]
	s_waitcnt vmcnt(58) lgkmcnt(0)
	v_mul_f64 v[112:113], v[6:7], v[24:25]
	v_mul_f64 v[24:25], v[8:9], v[24:25]
	s_waitcnt vmcnt(56)
	v_fma_f64 v[22:23], v[2:3], v[30:31], -v[22:23]
	ds_read_b128 v[10:13], v1 offset:1536
	v_fma_f64 v[30:31], v[4:5], v[30:31], v[116:117]
	buffer_load_dword v116, off, s[0:3], 0 offset:884
	ds_read_b128 v[2:5], v1 offset:1552
	v_add_f64 v[18:19], v[100:101], v[18:19]
	v_add_f64 v[14:15], v[14:15], v[28:29]
	s_waitcnt vmcnt(53) lgkmcnt(1)
	v_mul_f64 v[28:29], v[10:11], v[32:33]
	v_mul_f64 v[32:33], v[12:13], v[32:33]
	s_waitcnt vmcnt(52)
	v_fma_f64 v[24:25], v[6:7], v[26:27], -v[24:25]
	v_add_f64 v[18:19], v[18:19], v[22:23]
	v_fma_f64 v[22:23], v[8:9], v[26:27], v[112:113]
	v_add_f64 v[14:15], v[14:15], v[30:31]
	s_waitcnt vmcnt(51) lgkmcnt(0)
	v_mul_f64 v[30:31], v[4:5], v[34:35]
	ds_read_b128 v[6:9], v1 offset:1568
	s_waitcnt vmcnt(49)
	v_fma_f64 v[32:33], v[10:11], v[38:39], -v[32:33]
	v_mul_f64 v[26:27], v[2:3], v[34:35]
	v_add_f64 v[18:19], v[18:19], v[24:25]
	v_fma_f64 v[24:25], v[12:13], v[38:39], v[28:29]
	v_add_f64 v[14:15], v[14:15], v[22:23]
	s_clause 0x3
	buffer_load_dword v22, off, s[0:3], 0 offset:576
	buffer_load_dword v23, off, s[0:3], 0 offset:580
	;; [unrolled: 1-line block ×4, first 2 shown]
	s_waitcnt vmcnt(49) lgkmcnt(0)
	v_mul_f64 v[38:39], v[8:9], v[40:41]
	s_waitcnt vmcnt(48)
	v_fma_f64 v[30:31], v[2:3], v[36:37], -v[30:31]
	ds_read_b128 v[10:13], v1 offset:1584
	v_mul_f64 v[34:35], v[6:7], v[40:41]
	v_fma_f64 v[26:27], v[4:5], v[36:37], v[26:27]
	ds_read_b128 v[2:5], v1 offset:1600
	v_add_f64 v[18:19], v[18:19], v[32:33]
	v_add_f64 v[14:15], v[14:15], v[24:25]
	s_waitcnt vmcnt(47) lgkmcnt(1)
	v_mul_f64 v[32:33], v[12:13], v[42:43]
	s_waitcnt vmcnt(45)
	v_fma_f64 v[36:37], v[6:7], v[46:47], -v[38:39]
	v_mul_f64 v[24:25], v[10:11], v[42:43]
	v_add_f64 v[18:19], v[18:19], v[30:31]
	v_fma_f64 v[30:31], v[8:9], v[46:47], v[34:35]
	v_add_f64 v[14:15], v[14:15], v[26:27]
	s_waitcnt vmcnt(41) lgkmcnt(0)
	v_mul_f64 v[34:35], v[4:5], v[48:49]
	s_waitcnt vmcnt(40)
	v_fma_f64 v[32:33], v[10:11], v[44:45], -v[32:33]
	ds_read_b128 v[6:9], v1 offset:1616
	v_mul_f64 v[26:27], v[2:3], v[48:49]
	v_fma_f64 v[24:25], v[12:13], v[44:45], v[24:25]
	ds_read_b128 v[10:13], v1 offset:1632
	v_add_f64 v[18:19], v[18:19], v[36:37]
	v_add_f64 v[14:15], v[14:15], v[30:31]
	s_waitcnt vmcnt(39) lgkmcnt(1)
	v_mul_f64 v[36:37], v[8:9], v[50:51]
	s_waitcnt vmcnt(37)
	v_fma_f64 v[34:35], v[2:3], v[54:55], -v[34:35]
	v_mul_f64 v[30:31], v[6:7], v[50:51]
	v_fma_f64 v[26:27], v[4:5], v[54:55], v[26:27]
	ds_read_b128 v[2:5], v1 offset:1648
	v_add_f64 v[18:19], v[18:19], v[32:33]
	s_waitcnt vmcnt(33) lgkmcnt(1)
	v_mul_f64 v[32:33], v[12:13], v[83:84]
	v_add_f64 v[14:15], v[14:15], v[24:25]
	s_waitcnt vmcnt(32)
	v_fma_f64 v[36:37], v[6:7], v[52:53], -v[36:37]
	v_mul_f64 v[24:25], v[10:11], v[83:84]
	v_fma_f64 v[30:31], v[8:9], v[52:53], v[30:31]
	ds_read_b128 v[6:9], v1 offset:1664
	v_add_f64 v[18:19], v[18:19], v[34:35]
	s_waitcnt vmcnt(31) lgkmcnt(1)
	v_mul_f64 v[34:35], v[4:5], v[85:86]
	v_add_f64 v[14:15], v[14:15], v[26:27]
	;; [unrolled: 9-line block ×5, first 2 shown]
	s_waitcnt vmcnt(16)
	v_fma_f64 v[32:33], v[10:11], v[96:97], -v[32:33]
	v_mul_f64 v[26:27], v[2:3], v[104:105]
	v_fma_f64 v[24:25], v[12:13], v[96:97], v[24:25]
	ds_read_b128 v[10:13], v1 offset:1728
	v_add_f64 v[18:19], v[18:19], v[36:37]
	v_add_f64 v[14:15], v[14:15], v[30:31]
	s_waitcnt vmcnt(15) lgkmcnt(1)
	v_mul_f64 v[36:37], v[8:9], v[106:107]
	v_mul_f64 v[30:31], v[6:7], v[106:107]
	s_waitcnt vmcnt(13)
	v_fma_f64 v[34:35], v[2:3], v[102:103], -v[34:35]
	v_fma_f64 v[26:27], v[4:5], v[102:103], v[26:27]
	ds_read_b128 v[2:5], v1 offset:1744
	v_add_f64 v[18:19], v[18:19], v[32:33]
	v_add_f64 v[14:15], v[14:15], v[24:25]
	s_waitcnt vmcnt(9) lgkmcnt(1)
	v_mul_f64 v[24:25], v[10:11], v[20:21]
	v_mul_f64 v[20:21], v[12:13], v[20:21]
	s_waitcnt vmcnt(8)
	v_fma_f64 v[6:7], v[6:7], v[108:109], -v[36:37]
	v_fma_f64 v[8:9], v[8:9], v[108:109], v[30:31]
	v_add_f64 v[18:19], v[18:19], v[34:35]
	v_add_f64 v[14:15], v[14:15], v[26:27]
	s_waitcnt vmcnt(7) lgkmcnt(0)
	v_mul_f64 v[30:31], v[4:5], v[110:111]
	v_mul_f64 v[26:27], v[2:3], v[110:111]
	s_waitcnt vmcnt(5)
	v_fma_f64 v[10:11], v[10:11], v[16:17], -v[20:21]
	v_fma_f64 v[12:13], v[12:13], v[16:17], v[24:25]
	v_add_f64 v[6:7], v[18:19], v[6:7]
	v_add_f64 v[8:9], v[14:15], v[8:9]
	s_waitcnt vmcnt(4)
	v_fma_f64 v[2:3], v[2:3], v[115:116], -v[30:31]
	v_fma_f64 v[4:5], v[4:5], v[115:116], v[26:27]
	v_add_f64 v[6:7], v[6:7], v[10:11]
	v_add_f64 v[8:9], v[8:9], v[12:13]
	;; [unrolled: 1-line block ×4, first 2 shown]
	s_waitcnt vmcnt(2)
	v_add_f64 v[2:3], v[22:23], -v[2:3]
	s_waitcnt vmcnt(0)
	v_add_f64 v[4:5], v[28:29], -v[4:5]
	buffer_store_dword v3, off, s[0:3], 0 offset:580
	buffer_store_dword v2, off, s[0:3], 0 offset:576
	;; [unrolled: 1-line block ×4, first 2 shown]
	v_cmpx_lt_u32_e32 34, v0
	s_cbranch_execz .LBB54_275
; %bb.274:
	v_mov_b32_e32 v5, s33
	s_clause 0x3
	buffer_load_dword v2, v5, s[0:3], 0 offen
	buffer_load_dword v3, v5, s[0:3], 0 offen offset:4
	buffer_load_dword v4, v5, s[0:3], 0 offen offset:8
	buffer_load_dword v5, v5, s[0:3], 0 offen offset:12
	buffer_store_dword v1, off, s[0:3], 0 offset:560
	buffer_store_dword v1, off, s[0:3], 0 offset:564
	;; [unrolled: 1-line block ×4, first 2 shown]
	s_waitcnt vmcnt(0)
	ds_write_b128 v95, v[2:5]
.LBB54_275:
	s_or_b32 exec_lo, exec_lo, s4
	s_waitcnt lgkmcnt(0)
	s_waitcnt_vscnt null, 0x0
	s_barrier
	buffer_gl0_inv
	s_clause 0x37
	buffer_load_dword v10, off, s[0:3], 0 offset:584
	buffer_load_dword v11, off, s[0:3], 0 offset:588
	;; [unrolled: 1-line block ×56, first 2 shown]
	ds_read_b128 v[2:5], v1 offset:1440
	s_clause 0x2
	buffer_load_dword v94, off, s[0:3], 0 offset:812
	buffer_load_dword v99, off, s[0:3], 0 offset:788
	;; [unrolled: 1-line block ×3, first 2 shown]
	ds_read_b128 v[6:9], v1 offset:1456
	s_clause 0x4
	buffer_load_dword v105, off, s[0:3], 0 offset:828
	buffer_load_dword v106, off, s[0:3], 0 offset:840
	;; [unrolled: 1-line block ×5, first 2 shown]
	s_mov_b32 s4, exec_lo
	s_waitcnt vmcnt(62) lgkmcnt(1)
	v_mul_f64 v[100:101], v[4:5], v[10:11]
	v_mul_f64 v[102:103], v[2:3], v[10:11]
	s_waitcnt vmcnt(60) lgkmcnt(0)
	v_mul_f64 v[109:110], v[8:9], v[14:15]
	ds_read_b128 v[10:13], v1 offset:1472
	v_mul_f64 v[14:15], v[6:7], v[14:15]
	s_waitcnt vmcnt(58)
	v_fma_f64 v[100:101], v[2:3], v[16:17], -v[100:101]
	v_fma_f64 v[16:17], v[4:5], v[16:17], v[102:103]
	s_clause 0x2
	buffer_load_dword v107, off, s[0:3], 0 offset:844
	buffer_load_dword v103, off, s[0:3], 0 offset:820
	;; [unrolled: 1-line block ×3, first 2 shown]
	s_waitcnt vmcnt(59) lgkmcnt(0)
	v_mul_f64 v[111:112], v[10:11], v[18:19]
	v_mul_f64 v[18:19], v[12:13], v[18:19]
	s_waitcnt vmcnt(57)
	v_fma_f64 v[113:114], v[6:7], v[20:21], -v[109:110]
	ds_read_b128 v[2:5], v1 offset:1488
	v_fma_f64 v[14:15], v[8:9], v[20:21], v[14:15]
	s_clause 0x4
	buffer_load_dword v21, off, s[0:3], 0 offset:860
	buffer_load_dword v110, off, s[0:3], 0 offset:872
	;; [unrolled: 1-line block ×5, first 2 shown]
	ds_read_b128 v[6:9], v1 offset:1504
	v_add_f64 v[100:101], v[100:101], 0
	v_add_f64 v[16:17], v[16:17], 0
	s_waitcnt vmcnt(58) lgkmcnt(1)
	v_mul_f64 v[116:117], v[2:3], v[22:23]
	v_mul_f64 v[22:23], v[4:5], v[22:23]
	s_waitcnt vmcnt(56)
	v_fma_f64 v[18:19], v[10:11], v[28:29], -v[18:19]
	v_fma_f64 v[28:29], v[12:13], v[28:29], v[111:112]
	v_add_f64 v[100:101], v[100:101], v[113:114]
	v_add_f64 v[14:15], v[16:17], v[14:15]
	s_clause 0x2
	buffer_load_dword v111, off, s[0:3], 0 offset:876
	buffer_load_dword v17, off, s[0:3], 0 offset:852
	;; [unrolled: 1-line block ×3, first 2 shown]
	s_waitcnt vmcnt(58) lgkmcnt(0)
	v_mul_f64 v[112:113], v[6:7], v[24:25]
	v_mul_f64 v[24:25], v[8:9], v[24:25]
	s_waitcnt vmcnt(56)
	v_fma_f64 v[22:23], v[2:3], v[30:31], -v[22:23]
	ds_read_b128 v[10:13], v1 offset:1520
	v_fma_f64 v[30:31], v[4:5], v[30:31], v[116:117]
	v_add_f64 v[18:19], v[100:101], v[18:19]
	v_add_f64 v[14:15], v[14:15], v[28:29]
	s_clause 0x2
	buffer_load_dword v29, off, s[0:3], 0 offset:892
	buffer_load_dword v28, off, s[0:3], 0 offset:888
	;; [unrolled: 1-line block ×3, first 2 shown]
	ds_read_b128 v[2:5], v1 offset:1536
	s_waitcnt vmcnt(55) lgkmcnt(1)
	v_mul_f64 v[100:101], v[10:11], v[32:33]
	v_mul_f64 v[32:33], v[12:13], v[32:33]
	s_waitcnt vmcnt(54)
	v_fma_f64 v[24:25], v[6:7], v[26:27], -v[24:25]
	v_add_f64 v[18:19], v[18:19], v[22:23]
	v_fma_f64 v[22:23], v[8:9], v[26:27], v[112:113]
	v_add_f64 v[14:15], v[14:15], v[30:31]
	s_clause 0x1
	buffer_load_dword v27, off, s[0:3], 0 offset:884
	buffer_load_dword v26, off, s[0:3], 0 offset:880
	s_waitcnt vmcnt(55) lgkmcnt(0)
	v_mul_f64 v[30:31], v[2:3], v[34:35]
	v_mul_f64 v[34:35], v[4:5], v[34:35]
	s_waitcnt vmcnt(53)
	v_fma_f64 v[32:33], v[10:11], v[38:39], -v[32:33]
	ds_read_b128 v[6:9], v1 offset:1552
	v_add_f64 v[18:19], v[18:19], v[24:25]
	v_fma_f64 v[24:25], v[12:13], v[38:39], v[100:101]
	v_add_f64 v[14:15], v[14:15], v[22:23]
	ds_read_b128 v[10:13], v1 offset:1568
	s_waitcnt vmcnt(48)
	v_fma_f64 v[30:31], v[4:5], v[36:37], v[30:31]
	s_waitcnt lgkmcnt(1)
	v_mul_f64 v[38:39], v[8:9], v[40:41]
	v_fma_f64 v[34:35], v[2:3], v[36:37], -v[34:35]
	v_mul_f64 v[22:23], v[6:7], v[40:41]
	v_add_f64 v[18:19], v[18:19], v[32:33]
	s_waitcnt vmcnt(47) lgkmcnt(0)
	v_mul_f64 v[40:41], v[12:13], v[42:43]
	v_add_f64 v[14:15], v[14:15], v[24:25]
	s_clause 0x3
	buffer_load_dword v24, off, s[0:3], 0 offset:560
	buffer_load_dword v25, off, s[0:3], 0 offset:564
	;; [unrolled: 1-line block ×4, first 2 shown]
	ds_read_b128 v[2:5], v1 offset:1584
	s_waitcnt vmcnt(49)
	v_fma_f64 v[38:39], v[6:7], v[46:47], -v[38:39]
	v_mul_f64 v[36:37], v[10:11], v[42:43]
	v_fma_f64 v[22:23], v[8:9], v[46:47], v[22:23]
	ds_read_b128 v[6:9], v1 offset:1600
	v_add_f64 v[18:19], v[18:19], v[34:35]
	s_waitcnt vmcnt(44)
	v_fma_f64 v[40:41], v[10:11], v[44:45], -v[40:41]
	v_add_f64 v[14:15], v[14:15], v[30:31]
	s_waitcnt lgkmcnt(1)
	v_mul_f64 v[34:35], v[4:5], v[48:49]
	v_mul_f64 v[30:31], v[2:3], v[48:49]
	v_fma_f64 v[36:37], v[12:13], v[44:45], v[36:37]
	ds_read_b128 v[10:13], v1 offset:1616
	v_add_f64 v[18:19], v[18:19], v[38:39]
	s_waitcnt vmcnt(43) lgkmcnt(1)
	v_mul_f64 v[38:39], v[8:9], v[50:51]
	v_add_f64 v[14:15], v[14:15], v[22:23]
	s_waitcnt vmcnt(41)
	v_fma_f64 v[34:35], v[2:3], v[54:55], -v[34:35]
	v_mul_f64 v[22:23], v[6:7], v[50:51]
	v_fma_f64 v[30:31], v[4:5], v[54:55], v[30:31]
	ds_read_b128 v[2:5], v1 offset:1632
	v_add_f64 v[18:19], v[18:19], v[40:41]
	s_waitcnt vmcnt(37) lgkmcnt(1)
	v_mul_f64 v[40:41], v[12:13], v[83:84]
	v_add_f64 v[14:15], v[14:15], v[36:37]
	s_waitcnt vmcnt(36)
	v_fma_f64 v[38:39], v[6:7], v[52:53], -v[38:39]
	;; [unrolled: 9-line block ×6, first 2 shown]
	v_mul_f64 v[30:31], v[2:3], v[104:105]
	v_fma_f64 v[36:37], v[12:13], v[96:97], v[36:37]
	ds_read_b128 v[10:13], v1 offset:1712
	v_add_f64 v[18:19], v[18:19], v[38:39]
	v_add_f64 v[14:15], v[14:15], v[22:23]
	s_waitcnt vmcnt(19) lgkmcnt(1)
	v_mul_f64 v[38:39], v[8:9], v[106:107]
	v_mul_f64 v[22:23], v[6:7], v[106:107]
	s_waitcnt vmcnt(17)
	v_fma_f64 v[34:35], v[2:3], v[102:103], -v[34:35]
	v_fma_f64 v[30:31], v[4:5], v[102:103], v[30:31]
	ds_read_b128 v[2:5], v1 offset:1728
	v_add_f64 v[18:19], v[18:19], v[40:41]
	v_add_f64 v[14:15], v[14:15], v[36:37]
	s_waitcnt vmcnt(13) lgkmcnt(1)
	v_mul_f64 v[36:37], v[10:11], v[20:21]
	v_mul_f64 v[20:21], v[12:13], v[20:21]
	s_waitcnt vmcnt(12)
	v_fma_f64 v[38:39], v[6:7], v[108:109], -v[38:39]
	;; [unrolled: 9-line block ×3, first 2 shown]
	v_fma_f64 v[12:13], v[12:13], v[16:17], v[36:37]
	v_add_f64 v[18:19], v[18:19], v[38:39]
	v_add_f64 v[14:15], v[14:15], v[22:23]
	s_waitcnt vmcnt(7) lgkmcnt(0)
	v_mul_f64 v[20:21], v[8:9], v[28:29]
	s_waitcnt vmcnt(6)
	v_fma_f64 v[1:2], v[2:3], v[115:116], -v[34:35]
	v_mul_f64 v[16:17], v[6:7], v[28:29]
	v_fma_f64 v[3:4], v[4:5], v[115:116], v[30:31]
	v_add_f64 v[10:11], v[18:19], v[10:11]
	v_add_f64 v[12:13], v[14:15], v[12:13]
	s_waitcnt vmcnt(4)
	v_fma_f64 v[5:6], v[6:7], v[26:27], -v[20:21]
	v_fma_f64 v[7:8], v[8:9], v[26:27], v[16:17]
	v_add_f64 v[1:2], v[10:11], v[1:2]
	v_add_f64 v[3:4], v[12:13], v[3:4]
	;; [unrolled: 1-line block ×4, first 2 shown]
	s_waitcnt vmcnt(2)
	v_add_f64 v[1:2], v[24:25], -v[1:2]
	s_waitcnt vmcnt(0)
	v_add_f64 v[3:4], v[32:33], -v[3:4]
	buffer_store_dword v2, off, s[0:3], 0 offset:564
	buffer_store_dword v1, off, s[0:3], 0 offset:560
	;; [unrolled: 1-line block ×4, first 2 shown]
	v_cmpx_lt_u32_e32 33, v0
	s_cbranch_execz .LBB54_277
; %bb.276:
	v_mov_b32_e32 v4, s34
	v_mov_b32_e32 v5, 0
	s_clause 0x3
	buffer_load_dword v1, v4, s[0:3], 0 offen
	buffer_load_dword v2, v4, s[0:3], 0 offen offset:4
	buffer_load_dword v3, v4, s[0:3], 0 offen offset:8
	;; [unrolled: 1-line block ×3, first 2 shown]
	buffer_store_dword v5, off, s[0:3], 0 offset:544
	buffer_store_dword v5, off, s[0:3], 0 offset:548
	;; [unrolled: 1-line block ×4, first 2 shown]
	s_waitcnt vmcnt(0)
	ds_write_b128 v95, v[1:4]
.LBB54_277:
	s_or_b32 exec_lo, exec_lo, s4
	s_waitcnt lgkmcnt(0)
	s_waitcnt_vscnt null, 0x0
	s_barrier
	buffer_gl0_inv
	s_clause 0x37
	buffer_load_dword v10, off, s[0:3], 0 offset:568
	buffer_load_dword v11, off, s[0:3], 0 offset:572
	;; [unrolled: 1-line block ×56, first 2 shown]
	v_mov_b32_e32 v1, 0
	s_mov_b32 s4, exec_lo
	ds_read_b128 v[2:5], v1 offset:1424
	s_clause 0x2
	buffer_load_dword v94, off, s[0:3], 0 offset:796
	buffer_load_dword v99, off, s[0:3], 0 offset:772
	;; [unrolled: 1-line block ×3, first 2 shown]
	ds_read_b128 v[6:9], v1 offset:1440
	s_clause 0x4
	buffer_load_dword v105, off, s[0:3], 0 offset:812
	buffer_load_dword v106, off, s[0:3], 0 offset:824
	;; [unrolled: 1-line block ×5, first 2 shown]
	s_waitcnt vmcnt(62) lgkmcnt(1)
	v_mul_f64 v[100:101], v[4:5], v[10:11]
	v_mul_f64 v[102:103], v[2:3], v[10:11]
	s_waitcnt vmcnt(60) lgkmcnt(0)
	v_mul_f64 v[109:110], v[8:9], v[14:15]
	ds_read_b128 v[10:13], v1 offset:1456
	v_mul_f64 v[14:15], v[6:7], v[14:15]
	s_waitcnt vmcnt(58)
	v_fma_f64 v[100:101], v[2:3], v[16:17], -v[100:101]
	v_fma_f64 v[16:17], v[4:5], v[16:17], v[102:103]
	s_clause 0x2
	buffer_load_dword v107, off, s[0:3], 0 offset:828
	buffer_load_dword v103, off, s[0:3], 0 offset:804
	;; [unrolled: 1-line block ×3, first 2 shown]
	s_waitcnt vmcnt(59) lgkmcnt(0)
	v_mul_f64 v[111:112], v[10:11], v[18:19]
	v_mul_f64 v[18:19], v[12:13], v[18:19]
	s_waitcnt vmcnt(57)
	v_fma_f64 v[113:114], v[6:7], v[20:21], -v[109:110]
	ds_read_b128 v[2:5], v1 offset:1472
	v_fma_f64 v[14:15], v[8:9], v[20:21], v[14:15]
	s_clause 0x4
	buffer_load_dword v21, off, s[0:3], 0 offset:844
	buffer_load_dword v110, off, s[0:3], 0 offset:856
	;; [unrolled: 1-line block ×5, first 2 shown]
	ds_read_b128 v[6:9], v1 offset:1488
	v_add_f64 v[100:101], v[100:101], 0
	v_add_f64 v[16:17], v[16:17], 0
	s_waitcnt vmcnt(58) lgkmcnt(1)
	v_mul_f64 v[116:117], v[2:3], v[22:23]
	v_mul_f64 v[22:23], v[4:5], v[22:23]
	s_waitcnt vmcnt(56)
	v_fma_f64 v[18:19], v[10:11], v[28:29], -v[18:19]
	v_fma_f64 v[28:29], v[12:13], v[28:29], v[111:112]
	v_add_f64 v[100:101], v[100:101], v[113:114]
	v_add_f64 v[14:15], v[16:17], v[14:15]
	s_clause 0x2
	buffer_load_dword v111, off, s[0:3], 0 offset:860
	buffer_load_dword v17, off, s[0:3], 0 offset:836
	;; [unrolled: 1-line block ×3, first 2 shown]
	s_waitcnt vmcnt(58) lgkmcnt(0)
	v_mul_f64 v[112:113], v[6:7], v[24:25]
	v_mul_f64 v[24:25], v[8:9], v[24:25]
	s_waitcnt vmcnt(56)
	v_fma_f64 v[22:23], v[2:3], v[30:31], -v[22:23]
	ds_read_b128 v[10:13], v1 offset:1504
	v_fma_f64 v[30:31], v[4:5], v[30:31], v[116:117]
	v_add_f64 v[18:19], v[100:101], v[18:19]
	v_add_f64 v[14:15], v[14:15], v[28:29]
	s_clause 0x4
	buffer_load_dword v29, off, s[0:3], 0 offset:876
	buffer_load_dword v100, off, s[0:3], 0 offset:888
	buffer_load_dword v117, off, s[0:3], 0 offset:880
	buffer_load_dword v28, off, s[0:3], 0 offset:872
	buffer_load_dword v116, off, s[0:3], 0 offset:852
	ds_read_b128 v[2:5], v1 offset:1520
	s_waitcnt vmcnt(57) lgkmcnt(1)
	v_mul_f64 v[118:119], v[10:11], v[32:33]
	v_mul_f64 v[32:33], v[12:13], v[32:33]
	s_waitcnt vmcnt(56)
	v_fma_f64 v[24:25], v[6:7], v[26:27], -v[24:25]
	v_add_f64 v[18:19], v[18:19], v[22:23]
	v_fma_f64 v[22:23], v[8:9], v[26:27], v[112:113]
	v_add_f64 v[14:15], v[14:15], v[30:31]
	s_clause 0x2
	buffer_load_dword v101, off, s[0:3], 0 offset:892
	buffer_load_dword v27, off, s[0:3], 0 offset:868
	;; [unrolled: 1-line block ×3, first 2 shown]
	s_waitcnt vmcnt(58) lgkmcnt(0)
	v_mul_f64 v[30:31], v[2:3], v[34:35]
	v_mul_f64 v[34:35], v[4:5], v[34:35]
	s_waitcnt vmcnt(56)
	v_fma_f64 v[32:33], v[10:11], v[38:39], -v[32:33]
	ds_read_b128 v[6:9], v1 offset:1536
	v_add_f64 v[18:19], v[18:19], v[24:25]
	v_fma_f64 v[24:25], v[12:13], v[38:39], v[118:119]
	v_add_f64 v[14:15], v[14:15], v[22:23]
	buffer_load_dword v118, off, s[0:3], 0 offset:884
	ds_read_b128 v[10:13], v1 offset:1552
	s_waitcnt vmcnt(53) lgkmcnt(1)
	v_mul_f64 v[38:39], v[8:9], v[40:41]
	s_waitcnt vmcnt(52)
	v_fma_f64 v[34:35], v[2:3], v[36:37], -v[34:35]
	v_mul_f64 v[22:23], v[6:7], v[40:41]
	v_fma_f64 v[30:31], v[4:5], v[36:37], v[30:31]
	ds_read_b128 v[2:5], v1 offset:1568
	v_add_f64 v[18:19], v[18:19], v[32:33]
	v_add_f64 v[14:15], v[14:15], v[24:25]
	s_waitcnt vmcnt(51) lgkmcnt(1)
	v_mul_f64 v[32:33], v[12:13], v[42:43]
	v_mul_f64 v[24:25], v[10:11], v[42:43]
	s_waitcnt vmcnt(49)
	v_fma_f64 v[36:37], v[6:7], v[46:47], -v[38:39]
	v_fma_f64 v[22:23], v[8:9], v[46:47], v[22:23]
	s_waitcnt vmcnt(45) lgkmcnt(0)
	v_mul_f64 v[40:41], v[4:5], v[48:49]
	v_mul_f64 v[38:39], v[2:3], v[48:49]
	v_add_f64 v[18:19], v[18:19], v[34:35]
	v_add_f64 v[14:15], v[14:15], v[30:31]
	s_clause 0x3
	buffer_load_dword v30, off, s[0:3], 0 offset:544
	buffer_load_dword v31, off, s[0:3], 0 offset:548
	;; [unrolled: 1-line block ×4, first 2 shown]
	s_waitcnt vmcnt(48)
	v_fma_f64 v[32:33], v[10:11], v[44:45], -v[32:33]
	ds_read_b128 v[6:9], v1 offset:1584
	v_fma_f64 v[24:25], v[12:13], v[44:45], v[24:25]
	ds_read_b128 v[10:13], v1 offset:1600
	s_waitcnt vmcnt(45)
	v_fma_f64 v[40:41], v[2:3], v[54:55], -v[40:41]
	v_add_f64 v[18:19], v[18:19], v[36:37]
	v_add_f64 v[14:15], v[14:15], v[22:23]
	s_waitcnt lgkmcnt(1)
	v_mul_f64 v[36:37], v[8:9], v[50:51]
	v_mul_f64 v[22:23], v[6:7], v[50:51]
	v_add_f64 v[18:19], v[18:19], v[32:33]
	v_fma_f64 v[32:33], v[4:5], v[54:55], v[38:39]
	v_add_f64 v[14:15], v[14:15], v[24:25]
	s_waitcnt vmcnt(41) lgkmcnt(0)
	v_mul_f64 v[38:39], v[12:13], v[83:84]
	s_waitcnt vmcnt(40)
	v_fma_f64 v[36:37], v[6:7], v[52:53], -v[36:37]
	ds_read_b128 v[2:5], v1 offset:1616
	v_mul_f64 v[24:25], v[10:11], v[83:84]
	v_fma_f64 v[22:23], v[8:9], v[52:53], v[22:23]
	ds_read_b128 v[6:9], v1 offset:1632
	v_add_f64 v[18:19], v[18:19], v[40:41]
	v_add_f64 v[14:15], v[14:15], v[32:33]
	s_waitcnt vmcnt(39) lgkmcnt(1)
	v_mul_f64 v[40:41], v[4:5], v[85:86]
	s_waitcnt vmcnt(37)
	v_fma_f64 v[38:39], v[10:11], v[89:90], -v[38:39]
	v_mul_f64 v[32:33], v[2:3], v[85:86]
	v_fma_f64 v[24:25], v[12:13], v[89:90], v[24:25]
	ds_read_b128 v[10:13], v1 offset:1648
	v_add_f64 v[18:19], v[18:19], v[36:37]
	s_waitcnt vmcnt(33) lgkmcnt(1)
	v_mul_f64 v[36:37], v[8:9], v[91:92]
	v_add_f64 v[14:15], v[14:15], v[22:23]
	s_waitcnt vmcnt(32)
	v_fma_f64 v[40:41], v[2:3], v[87:88], -v[40:41]
	v_mul_f64 v[22:23], v[6:7], v[91:92]
	v_fma_f64 v[32:33], v[4:5], v[87:88], v[32:33]
	ds_read_b128 v[2:5], v1 offset:1664
	v_add_f64 v[18:19], v[18:19], v[38:39]
	s_waitcnt vmcnt(31) lgkmcnt(1)
	v_mul_f64 v[38:39], v[12:13], v[93:94]
	v_add_f64 v[14:15], v[14:15], v[24:25]
	;; [unrolled: 9-line block ×3, first 2 shown]
	s_waitcnt vmcnt(24)
	v_fma_f64 v[38:39], v[10:11], v[96:97], -v[38:39]
	v_mul_f64 v[32:33], v[2:3], v[104:105]
	v_fma_f64 v[24:25], v[12:13], v[96:97], v[24:25]
	ds_read_b128 v[10:13], v1 offset:1696
	v_add_f64 v[18:19], v[18:19], v[36:37]
	v_add_f64 v[14:15], v[14:15], v[22:23]
	s_waitcnt vmcnt(23) lgkmcnt(1)
	v_mul_f64 v[36:37], v[8:9], v[106:107]
	v_mul_f64 v[22:23], v[6:7], v[106:107]
	s_waitcnt vmcnt(21)
	v_fma_f64 v[40:41], v[2:3], v[102:103], -v[40:41]
	v_fma_f64 v[32:33], v[4:5], v[102:103], v[32:33]
	ds_read_b128 v[2:5], v1 offset:1712
	v_add_f64 v[18:19], v[18:19], v[38:39]
	v_add_f64 v[14:15], v[14:15], v[24:25]
	s_waitcnt vmcnt(17) lgkmcnt(1)
	v_mul_f64 v[24:25], v[10:11], v[20:21]
	v_mul_f64 v[20:21], v[12:13], v[20:21]
	s_waitcnt vmcnt(16)
	v_fma_f64 v[36:37], v[6:7], v[108:109], -v[36:37]
	v_fma_f64 v[22:23], v[8:9], v[108:109], v[22:23]
	ds_read_b128 v[6:9], v1 offset:1728
	v_add_f64 v[18:19], v[18:19], v[40:41]
	v_add_f64 v[14:15], v[14:15], v[32:33]
	s_waitcnt vmcnt(15) lgkmcnt(1)
	v_mul_f64 v[38:39], v[4:5], v[110:111]
	v_mul_f64 v[32:33], v[2:3], v[110:111]
	s_waitcnt vmcnt(13)
	v_fma_f64 v[20:21], v[10:11], v[16:17], -v[20:21]
	v_fma_f64 v[16:17], v[12:13], v[16:17], v[24:25]
	ds_read_b128 v[10:13], v1 offset:1744
	v_add_f64 v[18:19], v[18:19], v[36:37]
	v_add_f64 v[14:15], v[14:15], v[22:23]
	s_waitcnt vmcnt(9) lgkmcnt(1)
	v_mul_f64 v[24:25], v[8:9], v[28:29]
	s_waitcnt vmcnt(8)
	v_fma_f64 v[2:3], v[2:3], v[115:116], -v[38:39]
	v_mul_f64 v[22:23], v[6:7], v[28:29]
	v_fma_f64 v[4:5], v[4:5], v[115:116], v[32:33]
	v_add_f64 v[18:19], v[18:19], v[20:21]
	v_add_f64 v[14:15], v[14:15], v[16:17]
	s_waitcnt vmcnt(7) lgkmcnt(0)
	v_mul_f64 v[20:21], v[12:13], v[100:101]
	v_mul_f64 v[16:17], v[10:11], v[100:101]
	s_waitcnt vmcnt(5)
	v_fma_f64 v[6:7], v[6:7], v[26:27], -v[24:25]
	v_fma_f64 v[8:9], v[8:9], v[26:27], v[22:23]
	v_add_f64 v[2:3], v[18:19], v[2:3]
	v_add_f64 v[4:5], v[14:15], v[4:5]
	s_waitcnt vmcnt(4)
	v_fma_f64 v[10:11], v[10:11], v[117:118], -v[20:21]
	v_add_f64 v[2:3], v[2:3], v[6:7]
	v_fma_f64 v[6:7], v[12:13], v[117:118], v[16:17]
	v_add_f64 v[4:5], v[4:5], v[8:9]
	v_add_f64 v[2:3], v[2:3], v[10:11]
	;; [unrolled: 1-line block ×3, first 2 shown]
	s_waitcnt vmcnt(2)
	v_add_f64 v[2:3], v[30:31], -v[2:3]
	s_waitcnt vmcnt(0)
	v_add_f64 v[4:5], v[34:35], -v[4:5]
	buffer_store_dword v3, off, s[0:3], 0 offset:548
	buffer_store_dword v2, off, s[0:3], 0 offset:544
	;; [unrolled: 1-line block ×4, first 2 shown]
	v_cmpx_lt_u32_e32 32, v0
	s_cbranch_execz .LBB54_279
; %bb.278:
	v_mov_b32_e32 v5, s35
	s_clause 0x3
	buffer_load_dword v2, v5, s[0:3], 0 offen
	buffer_load_dword v3, v5, s[0:3], 0 offen offset:4
	buffer_load_dword v4, v5, s[0:3], 0 offen offset:8
	;; [unrolled: 1-line block ×3, first 2 shown]
	buffer_store_dword v1, off, s[0:3], 0 offset:528
	buffer_store_dword v1, off, s[0:3], 0 offset:532
	;; [unrolled: 1-line block ×4, first 2 shown]
	s_waitcnt vmcnt(0)
	ds_write_b128 v95, v[2:5]
.LBB54_279:
	s_or_b32 exec_lo, exec_lo, s4
	s_waitcnt lgkmcnt(0)
	s_waitcnt_vscnt null, 0x0
	s_barrier
	buffer_gl0_inv
	s_clause 0x37
	buffer_load_dword v10, off, s[0:3], 0 offset:552
	buffer_load_dword v11, off, s[0:3], 0 offset:556
	buffer_load_dword v14, off, s[0:3], 0 offset:568
	buffer_load_dword v15, off, s[0:3], 0 offset:572
	buffer_load_dword v16, off, s[0:3], 0 offset:544
	buffer_load_dword v17, off, s[0:3], 0 offset:548
	buffer_load_dword v18, off, s[0:3], 0 offset:584
	buffer_load_dword v19, off, s[0:3], 0 offset:588
	buffer_load_dword v20, off, s[0:3], 0 offset:560
	buffer_load_dword v21, off, s[0:3], 0 offset:564
	buffer_load_dword v23, off, s[0:3], 0 offset:604
	buffer_load_dword v24, off, s[0:3], 0 offset:616
	buffer_load_dword v26, off, s[0:3], 0 offset:608
	buffer_load_dword v22, off, s[0:3], 0 offset:600
	buffer_load_dword v28, off, s[0:3], 0 offset:576
	buffer_load_dword v29, off, s[0:3], 0 offset:580
	buffer_load_dword v25, off, s[0:3], 0 offset:620
	buffer_load_dword v31, off, s[0:3], 0 offset:596
	buffer_load_dword v30, off, s[0:3], 0 offset:592
	buffer_load_dword v33, off, s[0:3], 0 offset:636
	buffer_load_dword v34, off, s[0:3], 0 offset:648
	buffer_load_dword v36, off, s[0:3], 0 offset:640
	buffer_load_dword v32, off, s[0:3], 0 offset:632
	buffer_load_dword v27, off, s[0:3], 0 offset:612
	buffer_load_dword v35, off, s[0:3], 0 offset:652
	buffer_load_dword v39, off, s[0:3], 0 offset:628
	buffer_load_dword v38, off, s[0:3], 0 offset:624
	buffer_load_dword v41, off, s[0:3], 0 offset:668
	buffer_load_dword v42, off, s[0:3], 0 offset:680
	buffer_load_dword v44, off, s[0:3], 0 offset:672
	buffer_load_dword v40, off, s[0:3], 0 offset:664
	buffer_load_dword v37, off, s[0:3], 0 offset:644
	buffer_load_dword v43, off, s[0:3], 0 offset:684
	buffer_load_dword v47, off, s[0:3], 0 offset:660
	buffer_load_dword v46, off, s[0:3], 0 offset:656
	buffer_load_dword v49, off, s[0:3], 0 offset:700
	buffer_load_dword v50, off, s[0:3], 0 offset:712
	buffer_load_dword v52, off, s[0:3], 0 offset:704
	buffer_load_dword v48, off, s[0:3], 0 offset:696
	buffer_load_dword v45, off, s[0:3], 0 offset:676
	buffer_load_dword v51, off, s[0:3], 0 offset:716
	buffer_load_dword v55, off, s[0:3], 0 offset:692
	buffer_load_dword v54, off, s[0:3], 0 offset:688
	buffer_load_dword v84, off, s[0:3], 0 offset:732
	buffer_load_dword v85, off, s[0:3], 0 offset:744
	buffer_load_dword v87, off, s[0:3], 0 offset:736
	buffer_load_dword v83, off, s[0:3], 0 offset:728
	buffer_load_dword v53, off, s[0:3], 0 offset:708
	buffer_load_dword v86, off, s[0:3], 0 offset:748
	buffer_load_dword v90, off, s[0:3], 0 offset:724
	buffer_load_dword v89, off, s[0:3], 0 offset:720
	buffer_load_dword v92, off, s[0:3], 0 offset:764
	buffer_load_dword v93, off, s[0:3], 0 offset:776
	buffer_load_dword v96, off, s[0:3], 0 offset:768
	buffer_load_dword v91, off, s[0:3], 0 offset:760
	buffer_load_dword v88, off, s[0:3], 0 offset:740
	ds_read_b128 v[2:5], v1 offset:1408
	s_clause 0x2
	buffer_load_dword v94, off, s[0:3], 0 offset:780
	buffer_load_dword v99, off, s[0:3], 0 offset:756
	;; [unrolled: 1-line block ×3, first 2 shown]
	ds_read_b128 v[6:9], v1 offset:1424
	s_clause 0x4
	buffer_load_dword v105, off, s[0:3], 0 offset:796
	buffer_load_dword v106, off, s[0:3], 0 offset:808
	;; [unrolled: 1-line block ×5, first 2 shown]
	s_mov_b32 s4, exec_lo
	s_waitcnt vmcnt(62) lgkmcnt(1)
	v_mul_f64 v[100:101], v[4:5], v[10:11]
	v_mul_f64 v[102:103], v[2:3], v[10:11]
	s_waitcnt vmcnt(60) lgkmcnt(0)
	v_mul_f64 v[109:110], v[8:9], v[14:15]
	ds_read_b128 v[10:13], v1 offset:1440
	v_mul_f64 v[14:15], v[6:7], v[14:15]
	s_waitcnt vmcnt(58)
	v_fma_f64 v[100:101], v[2:3], v[16:17], -v[100:101]
	v_fma_f64 v[16:17], v[4:5], v[16:17], v[102:103]
	s_clause 0x2
	buffer_load_dword v107, off, s[0:3], 0 offset:812
	buffer_load_dword v103, off, s[0:3], 0 offset:788
	;; [unrolled: 1-line block ×3, first 2 shown]
	s_waitcnt vmcnt(59) lgkmcnt(0)
	v_mul_f64 v[111:112], v[10:11], v[18:19]
	v_mul_f64 v[18:19], v[12:13], v[18:19]
	s_waitcnt vmcnt(57)
	v_fma_f64 v[113:114], v[6:7], v[20:21], -v[109:110]
	ds_read_b128 v[2:5], v1 offset:1456
	v_fma_f64 v[14:15], v[8:9], v[20:21], v[14:15]
	s_clause 0x4
	buffer_load_dword v21, off, s[0:3], 0 offset:828
	buffer_load_dword v110, off, s[0:3], 0 offset:840
	;; [unrolled: 1-line block ×5, first 2 shown]
	ds_read_b128 v[6:9], v1 offset:1472
	v_add_f64 v[100:101], v[100:101], 0
	v_add_f64 v[16:17], v[16:17], 0
	s_waitcnt vmcnt(58) lgkmcnt(1)
	v_mul_f64 v[116:117], v[2:3], v[22:23]
	v_mul_f64 v[22:23], v[4:5], v[22:23]
	s_waitcnt vmcnt(56)
	v_fma_f64 v[18:19], v[10:11], v[28:29], -v[18:19]
	v_fma_f64 v[28:29], v[12:13], v[28:29], v[111:112]
	v_add_f64 v[100:101], v[100:101], v[113:114]
	v_add_f64 v[14:15], v[16:17], v[14:15]
	s_clause 0x2
	buffer_load_dword v111, off, s[0:3], 0 offset:844
	buffer_load_dword v17, off, s[0:3], 0 offset:820
	;; [unrolled: 1-line block ×3, first 2 shown]
	s_waitcnt vmcnt(58) lgkmcnt(0)
	v_mul_f64 v[112:113], v[6:7], v[24:25]
	v_mul_f64 v[24:25], v[8:9], v[24:25]
	s_waitcnt vmcnt(56)
	v_fma_f64 v[22:23], v[2:3], v[30:31], -v[22:23]
	ds_read_b128 v[10:13], v1 offset:1488
	v_fma_f64 v[30:31], v[4:5], v[30:31], v[116:117]
	v_add_f64 v[18:19], v[100:101], v[18:19]
	v_add_f64 v[14:15], v[14:15], v[28:29]
	s_clause 0x4
	buffer_load_dword v29, off, s[0:3], 0 offset:860
	buffer_load_dword v100, off, s[0:3], 0 offset:872
	buffer_load_dword v117, off, s[0:3], 0 offset:864
	buffer_load_dword v28, off, s[0:3], 0 offset:856
	buffer_load_dword v116, off, s[0:3], 0 offset:836
	ds_read_b128 v[2:5], v1 offset:1504
	s_waitcnt vmcnt(57) lgkmcnt(1)
	v_mul_f64 v[118:119], v[10:11], v[32:33]
	v_mul_f64 v[32:33], v[12:13], v[32:33]
	s_waitcnt vmcnt(56)
	v_fma_f64 v[24:25], v[6:7], v[26:27], -v[24:25]
	v_add_f64 v[18:19], v[18:19], v[22:23]
	v_fma_f64 v[22:23], v[8:9], v[26:27], v[112:113]
	v_add_f64 v[14:15], v[14:15], v[30:31]
	s_clause 0x2
	buffer_load_dword v101, off, s[0:3], 0 offset:876
	buffer_load_dword v27, off, s[0:3], 0 offset:852
	buffer_load_dword v26, off, s[0:3], 0 offset:848
	s_waitcnt vmcnt(58) lgkmcnt(0)
	v_mul_f64 v[30:31], v[2:3], v[34:35]
	v_mul_f64 v[34:35], v[4:5], v[34:35]
	s_waitcnt vmcnt(56)
	v_fma_f64 v[32:33], v[10:11], v[38:39], -v[32:33]
	ds_read_b128 v[6:9], v1 offset:1520
	v_add_f64 v[18:19], v[18:19], v[24:25]
	v_fma_f64 v[24:25], v[12:13], v[38:39], v[118:119]
	v_add_f64 v[14:15], v[14:15], v[22:23]
	s_clause 0x2
	buffer_load_dword v23, off, s[0:3], 0 offset:892
	buffer_load_dword v22, off, s[0:3], 0 offset:888
	;; [unrolled: 1-line block ×3, first 2 shown]
	ds_read_b128 v[10:13], v1 offset:1536
	s_waitcnt vmcnt(55) lgkmcnt(1)
	v_mul_f64 v[38:39], v[6:7], v[40:41]
	v_mul_f64 v[40:41], v[8:9], v[40:41]
	s_waitcnt vmcnt(54)
	v_fma_f64 v[34:35], v[2:3], v[36:37], -v[34:35]
	v_fma_f64 v[30:31], v[4:5], v[36:37], v[30:31]
	v_add_f64 v[18:19], v[18:19], v[32:33]
	v_add_f64 v[14:15], v[14:15], v[24:25]
	s_clause 0x1
	buffer_load_dword v25, off, s[0:3], 0 offset:884
	buffer_load_dword v24, off, s[0:3], 0 offset:880
	s_waitcnt vmcnt(55) lgkmcnt(0)
	v_mul_f64 v[36:37], v[12:13], v[42:43]
	ds_read_b128 v[2:5], v1 offset:1552
	s_waitcnt vmcnt(53)
	v_fma_f64 v[40:41], v[6:7], v[46:47], -v[40:41]
	v_mul_f64 v[32:33], v[10:11], v[42:43]
	v_add_f64 v[18:19], v[18:19], v[34:35]
	v_fma_f64 v[34:35], v[8:9], v[46:47], v[38:39]
	v_add_f64 v[14:15], v[14:15], v[30:31]
	ds_read_b128 v[6:9], v1 offset:1568
	s_waitcnt vmcnt(49) lgkmcnt(1)
	v_mul_f64 v[38:39], v[4:5], v[48:49]
	s_waitcnt vmcnt(48)
	v_fma_f64 v[36:37], v[10:11], v[44:45], -v[36:37]
	v_mul_f64 v[30:31], v[2:3], v[48:49]
	v_fma_f64 v[32:33], v[12:13], v[44:45], v[32:33]
	v_add_f64 v[18:19], v[18:19], v[40:41]
	s_waitcnt vmcnt(47) lgkmcnt(0)
	v_mul_f64 v[44:45], v[8:9], v[50:51]
	v_add_f64 v[14:15], v[14:15], v[34:35]
	s_clause 0x3
	buffer_load_dword v34, off, s[0:3], 0 offset:528
	buffer_load_dword v35, off, s[0:3], 0 offset:532
	;; [unrolled: 1-line block ×4, first 2 shown]
	s_waitcnt vmcnt(49)
	v_fma_f64 v[38:39], v[2:3], v[54:55], -v[38:39]
	ds_read_b128 v[10:13], v1 offset:1584
	v_mul_f64 v[42:43], v[6:7], v[50:51]
	v_fma_f64 v[30:31], v[4:5], v[54:55], v[30:31]
	ds_read_b128 v[2:5], v1 offset:1600
	v_add_f64 v[18:19], v[18:19], v[36:37]
	s_waitcnt vmcnt(44)
	v_fma_f64 v[44:45], v[6:7], v[52:53], -v[44:45]
	v_add_f64 v[14:15], v[14:15], v[32:33]
	s_waitcnt lgkmcnt(1)
	v_mul_f64 v[36:37], v[12:13], v[83:84]
	v_mul_f64 v[32:33], v[10:11], v[83:84]
	v_add_f64 v[18:19], v[18:19], v[38:39]
	v_fma_f64 v[38:39], v[8:9], v[52:53], v[42:43]
	v_add_f64 v[14:15], v[14:15], v[30:31]
	s_waitcnt vmcnt(43) lgkmcnt(0)
	v_mul_f64 v[42:43], v[4:5], v[85:86]
	s_waitcnt vmcnt(41)
	v_fma_f64 v[36:37], v[10:11], v[89:90], -v[36:37]
	ds_read_b128 v[6:9], v1 offset:1616
	v_mul_f64 v[30:31], v[2:3], v[85:86]
	v_fma_f64 v[32:33], v[12:13], v[89:90], v[32:33]
	ds_read_b128 v[10:13], v1 offset:1632
	v_add_f64 v[18:19], v[18:19], v[44:45]
	v_add_f64 v[14:15], v[14:15], v[38:39]
	s_waitcnt vmcnt(37) lgkmcnt(1)
	v_mul_f64 v[44:45], v[8:9], v[91:92]
	s_waitcnt vmcnt(36)
	v_fma_f64 v[42:43], v[2:3], v[87:88], -v[42:43]
	v_mul_f64 v[38:39], v[6:7], v[91:92]
	v_fma_f64 v[30:31], v[4:5], v[87:88], v[30:31]
	ds_read_b128 v[2:5], v1 offset:1648
	v_add_f64 v[18:19], v[18:19], v[36:37]
	s_waitcnt vmcnt(35) lgkmcnt(1)
	v_mul_f64 v[36:37], v[12:13], v[93:94]
	v_add_f64 v[14:15], v[14:15], v[32:33]
	s_waitcnt vmcnt(33)
	v_fma_f64 v[44:45], v[6:7], v[98:99], -v[44:45]
	v_mul_f64 v[32:33], v[10:11], v[93:94]
	v_fma_f64 v[38:39], v[8:9], v[98:99], v[38:39]
	ds_read_b128 v[6:9], v1 offset:1664
	v_add_f64 v[18:19], v[18:19], v[42:43]
	s_waitcnt vmcnt(29) lgkmcnt(1)
	v_mul_f64 v[42:43], v[4:5], v[104:105]
	v_add_f64 v[14:15], v[14:15], v[30:31]
	s_waitcnt vmcnt(28)
	v_fma_f64 v[36:37], v[10:11], v[96:97], -v[36:37]
	v_mul_f64 v[30:31], v[2:3], v[104:105]
	v_fma_f64 v[32:33], v[12:13], v[96:97], v[32:33]
	ds_read_b128 v[10:13], v1 offset:1680
	v_add_f64 v[18:19], v[18:19], v[44:45]
	v_add_f64 v[14:15], v[14:15], v[38:39]
	s_waitcnt vmcnt(27) lgkmcnt(1)
	v_mul_f64 v[44:45], v[8:9], v[106:107]
	v_mul_f64 v[38:39], v[6:7], v[106:107]
	s_waitcnt vmcnt(25)
	v_fma_f64 v[42:43], v[2:3], v[102:103], -v[42:43]
	v_fma_f64 v[30:31], v[4:5], v[102:103], v[30:31]
	ds_read_b128 v[2:5], v1 offset:1696
	v_add_f64 v[18:19], v[18:19], v[36:37]
	v_add_f64 v[14:15], v[14:15], v[32:33]
	s_waitcnt vmcnt(21) lgkmcnt(1)
	v_mul_f64 v[32:33], v[10:11], v[20:21]
	v_mul_f64 v[20:21], v[12:13], v[20:21]
	s_waitcnt vmcnt(20)
	v_fma_f64 v[36:37], v[6:7], v[108:109], -v[44:45]
	;; [unrolled: 9-line block ×4, first 2 shown]
	v_add_f64 v[18:19], v[18:19], v[20:21]
	v_fma_f64 v[20:21], v[4:5], v[115:116], v[30:31]
	v_add_f64 v[14:15], v[14:15], v[16:17]
	ds_read_b128 v[1:4], v1 offset:1744
	s_waitcnt vmcnt(11) lgkmcnt(1)
	v_mul_f64 v[30:31], v[12:13], v[100:101]
	v_mul_f64 v[16:17], v[10:11], v[100:101]
	s_waitcnt vmcnt(9)
	v_fma_f64 v[5:6], v[6:7], v[26:27], -v[28:29]
	v_fma_f64 v[7:8], v[8:9], v[26:27], v[32:33]
	v_add_f64 v[18:19], v[18:19], v[36:37]
	v_add_f64 v[14:15], v[14:15], v[20:21]
	s_waitcnt vmcnt(7) lgkmcnt(0)
	v_mul_f64 v[20:21], v[1:2], v[22:23]
	v_mul_f64 v[22:23], v[3:4], v[22:23]
	s_waitcnt vmcnt(6)
	v_fma_f64 v[9:10], v[10:11], v[117:118], -v[30:31]
	v_fma_f64 v[11:12], v[12:13], v[117:118], v[16:17]
	v_add_f64 v[5:6], v[18:19], v[5:6]
	v_add_f64 v[7:8], v[14:15], v[7:8]
	s_waitcnt vmcnt(4)
	v_fma_f64 v[1:2], v[1:2], v[24:25], -v[22:23]
	v_fma_f64 v[3:4], v[3:4], v[24:25], v[20:21]
	v_add_f64 v[5:6], v[5:6], v[9:10]
	v_add_f64 v[7:8], v[7:8], v[11:12]
	;; [unrolled: 1-line block ×4, first 2 shown]
	s_waitcnt vmcnt(2)
	v_add_f64 v[1:2], v[34:35], -v[1:2]
	s_waitcnt vmcnt(0)
	v_add_f64 v[3:4], v[40:41], -v[3:4]
	buffer_store_dword v2, off, s[0:3], 0 offset:532
	buffer_store_dword v1, off, s[0:3], 0 offset:528
	;; [unrolled: 1-line block ×4, first 2 shown]
	v_cmpx_lt_u32_e32 31, v0
	s_cbranch_execz .LBB54_281
; %bb.280:
	v_mov_b32_e32 v4, s36
	v_mov_b32_e32 v5, 0
	s_clause 0x3
	buffer_load_dword v1, v4, s[0:3], 0 offen
	buffer_load_dword v2, v4, s[0:3], 0 offen offset:4
	buffer_load_dword v3, v4, s[0:3], 0 offen offset:8
	;; [unrolled: 1-line block ×3, first 2 shown]
	buffer_store_dword v5, off, s[0:3], 0 offset:512
	buffer_store_dword v5, off, s[0:3], 0 offset:516
	;; [unrolled: 1-line block ×4, first 2 shown]
	s_waitcnt vmcnt(0)
	ds_write_b128 v95, v[1:4]
.LBB54_281:
	s_or_b32 exec_lo, exec_lo, s4
	s_waitcnt lgkmcnt(0)
	s_waitcnt_vscnt null, 0x0
	s_barrier
	buffer_gl0_inv
	s_clause 0x37
	buffer_load_dword v10, off, s[0:3], 0 offset:536
	buffer_load_dword v11, off, s[0:3], 0 offset:540
	;; [unrolled: 1-line block ×56, first 2 shown]
	v_mov_b32_e32 v1, 0
	s_mov_b32 s4, exec_lo
	ds_read_b128 v[2:5], v1 offset:1392
	s_clause 0x2
	buffer_load_dword v94, off, s[0:3], 0 offset:764
	buffer_load_dword v99, off, s[0:3], 0 offset:740
	;; [unrolled: 1-line block ×3, first 2 shown]
	ds_read_b128 v[6:9], v1 offset:1408
	s_clause 0x4
	buffer_load_dword v105, off, s[0:3], 0 offset:780
	buffer_load_dword v106, off, s[0:3], 0 offset:792
	;; [unrolled: 1-line block ×5, first 2 shown]
	s_waitcnt vmcnt(62) lgkmcnt(1)
	v_mul_f64 v[100:101], v[4:5], v[10:11]
	v_mul_f64 v[102:103], v[2:3], v[10:11]
	s_waitcnt vmcnt(60) lgkmcnt(0)
	v_mul_f64 v[109:110], v[8:9], v[14:15]
	ds_read_b128 v[10:13], v1 offset:1424
	v_mul_f64 v[14:15], v[6:7], v[14:15]
	s_waitcnt vmcnt(58)
	v_fma_f64 v[100:101], v[2:3], v[16:17], -v[100:101]
	v_fma_f64 v[16:17], v[4:5], v[16:17], v[102:103]
	s_clause 0x2
	buffer_load_dword v107, off, s[0:3], 0 offset:796
	buffer_load_dword v103, off, s[0:3], 0 offset:772
	;; [unrolled: 1-line block ×3, first 2 shown]
	s_waitcnt vmcnt(59) lgkmcnt(0)
	v_mul_f64 v[111:112], v[10:11], v[18:19]
	v_mul_f64 v[18:19], v[12:13], v[18:19]
	s_waitcnt vmcnt(57)
	v_fma_f64 v[113:114], v[6:7], v[20:21], -v[109:110]
	ds_read_b128 v[2:5], v1 offset:1440
	v_fma_f64 v[14:15], v[8:9], v[20:21], v[14:15]
	s_clause 0x4
	buffer_load_dword v21, off, s[0:3], 0 offset:812
	buffer_load_dword v110, off, s[0:3], 0 offset:824
	;; [unrolled: 1-line block ×5, first 2 shown]
	ds_read_b128 v[6:9], v1 offset:1456
	v_add_f64 v[100:101], v[100:101], 0
	v_add_f64 v[16:17], v[16:17], 0
	s_waitcnt vmcnt(58) lgkmcnt(1)
	v_mul_f64 v[116:117], v[2:3], v[22:23]
	v_mul_f64 v[22:23], v[4:5], v[22:23]
	s_waitcnt vmcnt(56)
	v_fma_f64 v[18:19], v[10:11], v[28:29], -v[18:19]
	v_fma_f64 v[28:29], v[12:13], v[28:29], v[111:112]
	v_add_f64 v[100:101], v[100:101], v[113:114]
	v_add_f64 v[14:15], v[16:17], v[14:15]
	s_clause 0x2
	buffer_load_dword v111, off, s[0:3], 0 offset:828
	buffer_load_dword v17, off, s[0:3], 0 offset:804
	;; [unrolled: 1-line block ×3, first 2 shown]
	s_waitcnt vmcnt(58) lgkmcnt(0)
	v_mul_f64 v[112:113], v[6:7], v[24:25]
	v_mul_f64 v[24:25], v[8:9], v[24:25]
	s_waitcnt vmcnt(56)
	v_fma_f64 v[22:23], v[2:3], v[30:31], -v[22:23]
	ds_read_b128 v[10:13], v1 offset:1472
	v_fma_f64 v[30:31], v[4:5], v[30:31], v[116:117]
	v_add_f64 v[18:19], v[100:101], v[18:19]
	v_add_f64 v[14:15], v[14:15], v[28:29]
	s_clause 0x4
	buffer_load_dword v29, off, s[0:3], 0 offset:844
	buffer_load_dword v100, off, s[0:3], 0 offset:856
	;; [unrolled: 1-line block ×5, first 2 shown]
	ds_read_b128 v[2:5], v1 offset:1488
	s_waitcnt vmcnt(57) lgkmcnt(1)
	v_mul_f64 v[118:119], v[10:11], v[32:33]
	v_mul_f64 v[32:33], v[12:13], v[32:33]
	s_waitcnt vmcnt(56)
	v_fma_f64 v[24:25], v[6:7], v[26:27], -v[24:25]
	v_add_f64 v[18:19], v[18:19], v[22:23]
	v_fma_f64 v[22:23], v[8:9], v[26:27], v[112:113]
	v_add_f64 v[14:15], v[14:15], v[30:31]
	s_clause 0x2
	buffer_load_dword v101, off, s[0:3], 0 offset:860
	buffer_load_dword v27, off, s[0:3], 0 offset:836
	buffer_load_dword v26, off, s[0:3], 0 offset:832
	s_waitcnt vmcnt(58) lgkmcnt(0)
	v_mul_f64 v[30:31], v[2:3], v[34:35]
	v_mul_f64 v[34:35], v[4:5], v[34:35]
	s_waitcnt vmcnt(56)
	v_fma_f64 v[32:33], v[10:11], v[38:39], -v[32:33]
	ds_read_b128 v[6:9], v1 offset:1504
	v_add_f64 v[18:19], v[18:19], v[24:25]
	v_fma_f64 v[24:25], v[12:13], v[38:39], v[118:119]
	v_add_f64 v[14:15], v[14:15], v[22:23]
	s_clause 0x4
	buffer_load_dword v23, off, s[0:3], 0 offset:876
	buffer_load_dword v38, off, s[0:3], 0 offset:888
	;; [unrolled: 1-line block ×5, first 2 shown]
	ds_read_b128 v[10:13], v1 offset:1520
	s_waitcnt vmcnt(57) lgkmcnt(1)
	v_mul_f64 v[113:114], v[6:7], v[40:41]
	v_mul_f64 v[40:41], v[8:9], v[40:41]
	s_waitcnt vmcnt(56)
	v_fma_f64 v[34:35], v[2:3], v[36:37], -v[34:35]
	v_fma_f64 v[30:31], v[4:5], v[36:37], v[30:31]
	v_add_f64 v[18:19], v[18:19], v[32:33]
	v_add_f64 v[14:15], v[14:15], v[24:25]
	s_clause 0x2
	buffer_load_dword v39, off, s[0:3], 0 offset:892
	buffer_load_dword v25, off, s[0:3], 0 offset:868
	;; [unrolled: 1-line block ×3, first 2 shown]
	s_waitcnt vmcnt(58) lgkmcnt(0)
	v_mul_f64 v[36:37], v[12:13], v[42:43]
	ds_read_b128 v[2:5], v1 offset:1536
	s_waitcnt vmcnt(56)
	v_fma_f64 v[40:41], v[6:7], v[46:47], -v[40:41]
	v_mul_f64 v[32:33], v[10:11], v[42:43]
	v_add_f64 v[18:19], v[18:19], v[34:35]
	v_fma_f64 v[34:35], v[8:9], v[46:47], v[113:114]
	v_add_f64 v[14:15], v[14:15], v[30:31]
	buffer_load_dword v113, off, s[0:3], 0 offset:884
	ds_read_b128 v[6:9], v1 offset:1552
	s_waitcnt vmcnt(53) lgkmcnt(1)
	v_mul_f64 v[42:43], v[4:5], v[48:49]
	s_waitcnt vmcnt(52)
	v_fma_f64 v[36:37], v[10:11], v[44:45], -v[36:37]
	v_mul_f64 v[30:31], v[2:3], v[48:49]
	v_fma_f64 v[32:33], v[12:13], v[44:45], v[32:33]
	ds_read_b128 v[10:13], v1 offset:1568
	v_add_f64 v[18:19], v[18:19], v[40:41]
	v_add_f64 v[14:15], v[14:15], v[34:35]
	s_waitcnt vmcnt(51) lgkmcnt(1)
	v_mul_f64 v[40:41], v[8:9], v[50:51]
	v_mul_f64 v[34:35], v[6:7], v[50:51]
	s_waitcnt vmcnt(49)
	v_fma_f64 v[42:43], v[2:3], v[54:55], -v[42:43]
	v_fma_f64 v[30:31], v[4:5], v[54:55], v[30:31]
	s_waitcnt vmcnt(45) lgkmcnt(0)
	v_mul_f64 v[46:47], v[12:13], v[83:84]
	v_mul_f64 v[44:45], v[10:11], v[83:84]
	v_add_f64 v[18:19], v[18:19], v[36:37]
	v_add_f64 v[14:15], v[14:15], v[32:33]
	s_clause 0x3
	buffer_load_dword v32, off, s[0:3], 0 offset:512
	buffer_load_dword v33, off, s[0:3], 0 offset:516
	;; [unrolled: 1-line block ×4, first 2 shown]
	s_waitcnt vmcnt(48)
	v_fma_f64 v[40:41], v[6:7], v[52:53], -v[40:41]
	ds_read_b128 v[2:5], v1 offset:1584
	v_fma_f64 v[34:35], v[8:9], v[52:53], v[34:35]
	ds_read_b128 v[6:9], v1 offset:1600
	s_waitcnt vmcnt(45)
	v_fma_f64 v[46:47], v[10:11], v[89:90], -v[46:47]
	v_add_f64 v[18:19], v[18:19], v[42:43]
	v_add_f64 v[14:15], v[14:15], v[30:31]
	s_waitcnt lgkmcnt(1)
	v_mul_f64 v[42:43], v[4:5], v[85:86]
	v_mul_f64 v[30:31], v[2:3], v[85:86]
	v_add_f64 v[18:19], v[18:19], v[40:41]
	v_fma_f64 v[40:41], v[12:13], v[89:90], v[44:45]
	v_add_f64 v[14:15], v[14:15], v[34:35]
	s_waitcnt vmcnt(41) lgkmcnt(0)
	v_mul_f64 v[44:45], v[8:9], v[91:92]
	s_waitcnt vmcnt(40)
	v_fma_f64 v[42:43], v[2:3], v[87:88], -v[42:43]
	ds_read_b128 v[10:13], v1 offset:1616
	v_mul_f64 v[34:35], v[6:7], v[91:92]
	v_fma_f64 v[30:31], v[4:5], v[87:88], v[30:31]
	ds_read_b128 v[2:5], v1 offset:1632
	v_add_f64 v[18:19], v[18:19], v[46:47]
	v_add_f64 v[14:15], v[14:15], v[40:41]
	s_waitcnt vmcnt(39) lgkmcnt(1)
	v_mul_f64 v[46:47], v[12:13], v[93:94]
	s_waitcnt vmcnt(37)
	v_fma_f64 v[44:45], v[6:7], v[98:99], -v[44:45]
	v_mul_f64 v[40:41], v[10:11], v[93:94]
	v_fma_f64 v[34:35], v[8:9], v[98:99], v[34:35]
	ds_read_b128 v[6:9], v1 offset:1648
	v_add_f64 v[18:19], v[18:19], v[42:43]
	s_waitcnt vmcnt(33) lgkmcnt(1)
	v_mul_f64 v[42:43], v[4:5], v[104:105]
	v_add_f64 v[14:15], v[14:15], v[30:31]
	s_waitcnt vmcnt(32)
	v_fma_f64 v[46:47], v[10:11], v[96:97], -v[46:47]
	v_mul_f64 v[30:31], v[2:3], v[104:105]
	v_fma_f64 v[40:41], v[12:13], v[96:97], v[40:41]
	ds_read_b128 v[10:13], v1 offset:1664
	v_add_f64 v[18:19], v[18:19], v[44:45]
	v_add_f64 v[14:15], v[14:15], v[34:35]
	s_waitcnt vmcnt(31) lgkmcnt(1)
	v_mul_f64 v[44:45], v[8:9], v[106:107]
	v_mul_f64 v[34:35], v[6:7], v[106:107]
	s_waitcnt vmcnt(29)
	v_fma_f64 v[42:43], v[2:3], v[102:103], -v[42:43]
	v_fma_f64 v[30:31], v[4:5], v[102:103], v[30:31]
	ds_read_b128 v[2:5], v1 offset:1680
	v_add_f64 v[18:19], v[18:19], v[46:47]
	v_add_f64 v[14:15], v[14:15], v[40:41]
	s_waitcnt vmcnt(25) lgkmcnt(1)
	v_mul_f64 v[40:41], v[10:11], v[20:21]
	v_mul_f64 v[20:21], v[12:13], v[20:21]
	s_waitcnt vmcnt(24)
	v_fma_f64 v[44:45], v[6:7], v[108:109], -v[44:45]
	;; [unrolled: 9-line block ×4, first 2 shown]
	v_add_f64 v[18:19], v[18:19], v[20:21]
	v_fma_f64 v[20:21], v[4:5], v[115:116], v[30:31]
	v_add_f64 v[14:15], v[14:15], v[16:17]
	ds_read_b128 v[2:5], v1 offset:1728
	s_waitcnt vmcnt(15) lgkmcnt(1)
	v_mul_f64 v[30:31], v[12:13], v[100:101]
	v_mul_f64 v[16:17], v[10:11], v[100:101]
	s_waitcnt vmcnt(13)
	v_fma_f64 v[28:29], v[6:7], v[26:27], -v[28:29]
	v_fma_f64 v[26:27], v[8:9], v[26:27], v[34:35]
	ds_read_b128 v[6:9], v1 offset:1744
	v_add_f64 v[18:19], v[18:19], v[40:41]
	v_add_f64 v[14:15], v[14:15], v[20:21]
	s_waitcnt vmcnt(9) lgkmcnt(1)
	v_mul_f64 v[20:21], v[2:3], v[22:23]
	v_mul_f64 v[22:23], v[4:5], v[22:23]
	s_waitcnt vmcnt(8)
	v_fma_f64 v[10:11], v[10:11], v[117:118], -v[30:31]
	v_fma_f64 v[12:13], v[12:13], v[117:118], v[16:17]
	v_add_f64 v[18:19], v[18:19], v[28:29]
	v_add_f64 v[14:15], v[14:15], v[26:27]
	s_waitcnt vmcnt(7) lgkmcnt(0)
	v_mul_f64 v[26:27], v[8:9], v[38:39]
	v_mul_f64 v[16:17], v[6:7], v[38:39]
	s_waitcnt vmcnt(5)
	v_fma_f64 v[2:3], v[2:3], v[24:25], -v[22:23]
	v_fma_f64 v[4:5], v[4:5], v[24:25], v[20:21]
	v_add_f64 v[10:11], v[18:19], v[10:11]
	v_add_f64 v[12:13], v[14:15], v[12:13]
	s_waitcnt vmcnt(4)
	v_fma_f64 v[6:7], v[6:7], v[112:113], -v[26:27]
	v_fma_f64 v[8:9], v[8:9], v[112:113], v[16:17]
	v_add_f64 v[2:3], v[10:11], v[2:3]
	v_add_f64 v[4:5], v[12:13], v[4:5]
	;; [unrolled: 1-line block ×4, first 2 shown]
	s_waitcnt vmcnt(2)
	v_add_f64 v[2:3], v[32:33], -v[2:3]
	s_waitcnt vmcnt(0)
	v_add_f64 v[4:5], v[36:37], -v[4:5]
	buffer_store_dword v3, off, s[0:3], 0 offset:516
	buffer_store_dword v2, off, s[0:3], 0 offset:512
	;; [unrolled: 1-line block ×4, first 2 shown]
	v_cmpx_lt_u32_e32 30, v0
	s_cbranch_execz .LBB54_283
; %bb.282:
	v_mov_b32_e32 v5, s37
	s_clause 0x3
	buffer_load_dword v2, v5, s[0:3], 0 offen
	buffer_load_dword v3, v5, s[0:3], 0 offen offset:4
	buffer_load_dword v4, v5, s[0:3], 0 offen offset:8
	;; [unrolled: 1-line block ×3, first 2 shown]
	buffer_store_dword v1, off, s[0:3], 0 offset:496
	buffer_store_dword v1, off, s[0:3], 0 offset:500
	;; [unrolled: 1-line block ×4, first 2 shown]
	s_waitcnt vmcnt(0)
	ds_write_b128 v95, v[2:5]
.LBB54_283:
	s_or_b32 exec_lo, exec_lo, s4
	s_waitcnt lgkmcnt(0)
	s_waitcnt_vscnt null, 0x0
	s_barrier
	buffer_gl0_inv
	s_clause 0x37
	buffer_load_dword v10, off, s[0:3], 0 offset:520
	buffer_load_dword v11, off, s[0:3], 0 offset:524
	;; [unrolled: 1-line block ×56, first 2 shown]
	ds_read_b128 v[2:5], v1 offset:1376
	s_clause 0x2
	buffer_load_dword v94, off, s[0:3], 0 offset:748
	buffer_load_dword v99, off, s[0:3], 0 offset:724
	;; [unrolled: 1-line block ×3, first 2 shown]
	ds_read_b128 v[6:9], v1 offset:1392
	s_clause 0x4
	buffer_load_dword v105, off, s[0:3], 0 offset:764
	buffer_load_dword v106, off, s[0:3], 0 offset:776
	;; [unrolled: 1-line block ×5, first 2 shown]
	s_mov_b32 s4, exec_lo
	s_waitcnt vmcnt(62) lgkmcnt(1)
	v_mul_f64 v[100:101], v[4:5], v[10:11]
	v_mul_f64 v[102:103], v[2:3], v[10:11]
	s_waitcnt vmcnt(60) lgkmcnt(0)
	v_mul_f64 v[109:110], v[8:9], v[14:15]
	ds_read_b128 v[10:13], v1 offset:1408
	v_mul_f64 v[14:15], v[6:7], v[14:15]
	s_waitcnt vmcnt(58)
	v_fma_f64 v[100:101], v[2:3], v[16:17], -v[100:101]
	v_fma_f64 v[16:17], v[4:5], v[16:17], v[102:103]
	s_clause 0x2
	buffer_load_dword v107, off, s[0:3], 0 offset:780
	buffer_load_dword v103, off, s[0:3], 0 offset:756
	;; [unrolled: 1-line block ×3, first 2 shown]
	s_waitcnt vmcnt(59) lgkmcnt(0)
	v_mul_f64 v[111:112], v[10:11], v[18:19]
	v_mul_f64 v[18:19], v[12:13], v[18:19]
	s_waitcnt vmcnt(57)
	v_fma_f64 v[113:114], v[6:7], v[20:21], -v[109:110]
	ds_read_b128 v[2:5], v1 offset:1424
	v_fma_f64 v[14:15], v[8:9], v[20:21], v[14:15]
	s_clause 0x4
	buffer_load_dword v21, off, s[0:3], 0 offset:796
	buffer_load_dword v110, off, s[0:3], 0 offset:808
	;; [unrolled: 1-line block ×5, first 2 shown]
	ds_read_b128 v[6:9], v1 offset:1440
	v_add_f64 v[100:101], v[100:101], 0
	v_add_f64 v[16:17], v[16:17], 0
	s_waitcnt vmcnt(58) lgkmcnt(1)
	v_mul_f64 v[116:117], v[2:3], v[22:23]
	v_mul_f64 v[22:23], v[4:5], v[22:23]
	s_waitcnt vmcnt(56)
	v_fma_f64 v[18:19], v[10:11], v[28:29], -v[18:19]
	v_fma_f64 v[28:29], v[12:13], v[28:29], v[111:112]
	v_add_f64 v[100:101], v[100:101], v[113:114]
	v_add_f64 v[14:15], v[16:17], v[14:15]
	s_clause 0x2
	buffer_load_dword v111, off, s[0:3], 0 offset:812
	buffer_load_dword v17, off, s[0:3], 0 offset:788
	;; [unrolled: 1-line block ×3, first 2 shown]
	s_waitcnt vmcnt(58) lgkmcnt(0)
	v_mul_f64 v[112:113], v[6:7], v[24:25]
	v_mul_f64 v[24:25], v[8:9], v[24:25]
	s_waitcnt vmcnt(56)
	v_fma_f64 v[22:23], v[2:3], v[30:31], -v[22:23]
	ds_read_b128 v[10:13], v1 offset:1456
	v_fma_f64 v[30:31], v[4:5], v[30:31], v[116:117]
	v_add_f64 v[18:19], v[100:101], v[18:19]
	v_add_f64 v[14:15], v[14:15], v[28:29]
	s_clause 0x4
	buffer_load_dword v29, off, s[0:3], 0 offset:828
	buffer_load_dword v100, off, s[0:3], 0 offset:840
	;; [unrolled: 1-line block ×5, first 2 shown]
	ds_read_b128 v[2:5], v1 offset:1472
	s_waitcnt vmcnt(57) lgkmcnt(1)
	v_mul_f64 v[118:119], v[10:11], v[32:33]
	v_mul_f64 v[32:33], v[12:13], v[32:33]
	s_waitcnt vmcnt(56)
	v_fma_f64 v[24:25], v[6:7], v[26:27], -v[24:25]
	v_add_f64 v[18:19], v[18:19], v[22:23]
	v_fma_f64 v[22:23], v[8:9], v[26:27], v[112:113]
	v_add_f64 v[14:15], v[14:15], v[30:31]
	s_clause 0x2
	buffer_load_dword v101, off, s[0:3], 0 offset:844
	buffer_load_dword v27, off, s[0:3], 0 offset:820
	;; [unrolled: 1-line block ×3, first 2 shown]
	s_waitcnt vmcnt(58) lgkmcnt(0)
	v_mul_f64 v[30:31], v[2:3], v[34:35]
	v_mul_f64 v[34:35], v[4:5], v[34:35]
	s_waitcnt vmcnt(56)
	v_fma_f64 v[32:33], v[10:11], v[38:39], -v[32:33]
	ds_read_b128 v[6:9], v1 offset:1488
	v_add_f64 v[18:19], v[18:19], v[24:25]
	v_fma_f64 v[24:25], v[12:13], v[38:39], v[118:119]
	v_add_f64 v[14:15], v[14:15], v[22:23]
	s_clause 0x4
	buffer_load_dword v23, off, s[0:3], 0 offset:860
	buffer_load_dword v38, off, s[0:3], 0 offset:872
	;; [unrolled: 1-line block ×5, first 2 shown]
	ds_read_b128 v[10:13], v1 offset:1504
	s_waitcnt vmcnt(57) lgkmcnt(1)
	v_mul_f64 v[113:114], v[6:7], v[40:41]
	v_mul_f64 v[40:41], v[8:9], v[40:41]
	s_waitcnt vmcnt(56)
	v_fma_f64 v[34:35], v[2:3], v[36:37], -v[34:35]
	v_fma_f64 v[30:31], v[4:5], v[36:37], v[30:31]
	v_add_f64 v[18:19], v[18:19], v[32:33]
	v_add_f64 v[14:15], v[14:15], v[24:25]
	s_clause 0x2
	buffer_load_dword v39, off, s[0:3], 0 offset:876
	buffer_load_dword v25, off, s[0:3], 0 offset:852
	;; [unrolled: 1-line block ×3, first 2 shown]
	s_waitcnt vmcnt(58) lgkmcnt(0)
	v_mul_f64 v[36:37], v[12:13], v[42:43]
	ds_read_b128 v[2:5], v1 offset:1520
	s_waitcnt vmcnt(56)
	v_fma_f64 v[40:41], v[6:7], v[46:47], -v[40:41]
	v_mul_f64 v[32:33], v[10:11], v[42:43]
	v_add_f64 v[18:19], v[18:19], v[34:35]
	v_fma_f64 v[34:35], v[8:9], v[46:47], v[113:114]
	v_add_f64 v[14:15], v[14:15], v[30:31]
	s_clause 0x2
	buffer_load_dword v31, off, s[0:3], 0 offset:892
	buffer_load_dword v30, off, s[0:3], 0 offset:888
	;; [unrolled: 1-line block ×3, first 2 shown]
	s_waitcnt vmcnt(55) lgkmcnt(0)
	v_mul_f64 v[46:47], v[4:5], v[48:49]
	s_waitcnt vmcnt(54)
	v_fma_f64 v[36:37], v[10:11], v[44:45], -v[36:37]
	ds_read_b128 v[6:9], v1 offset:1536
	v_mul_f64 v[42:43], v[2:3], v[48:49]
	v_fma_f64 v[32:33], v[12:13], v[44:45], v[32:33]
	v_add_f64 v[18:19], v[18:19], v[40:41]
	v_add_f64 v[14:15], v[14:15], v[34:35]
	s_clause 0x1
	buffer_load_dword v35, off, s[0:3], 0 offset:884
	buffer_load_dword v34, off, s[0:3], 0 offset:880
	s_waitcnt vmcnt(55) lgkmcnt(0)
	v_mul_f64 v[44:45], v[8:9], v[50:51]
	s_waitcnt vmcnt(53)
	v_fma_f64 v[46:47], v[2:3], v[54:55], -v[46:47]
	ds_read_b128 v[10:13], v1 offset:1552
	v_mul_f64 v[40:41], v[6:7], v[50:51]
	v_add_f64 v[18:19], v[18:19], v[36:37]
	v_fma_f64 v[36:37], v[4:5], v[54:55], v[42:43]
	v_add_f64 v[14:15], v[14:15], v[32:33]
	ds_read_b128 v[2:5], v1 offset:1568
	s_waitcnt vmcnt(49) lgkmcnt(1)
	v_mul_f64 v[42:43], v[12:13], v[83:84]
	s_waitcnt vmcnt(48)
	v_fma_f64 v[44:45], v[6:7], v[52:53], -v[44:45]
	v_mul_f64 v[32:33], v[10:11], v[83:84]
	v_fma_f64 v[40:41], v[8:9], v[52:53], v[40:41]
	v_add_f64 v[18:19], v[18:19], v[46:47]
	s_waitcnt vmcnt(47) lgkmcnt(0)
	v_mul_f64 v[50:51], v[4:5], v[85:86]
	v_add_f64 v[14:15], v[14:15], v[36:37]
	s_clause 0x3
	buffer_load_dword v36, off, s[0:3], 0 offset:496
	buffer_load_dword v37, off, s[0:3], 0 offset:500
	;; [unrolled: 1-line block ×4, first 2 shown]
	s_waitcnt vmcnt(49)
	v_fma_f64 v[42:43], v[10:11], v[89:90], -v[42:43]
	ds_read_b128 v[6:9], v1 offset:1584
	v_mul_f64 v[48:49], v[2:3], v[85:86]
	v_fma_f64 v[32:33], v[12:13], v[89:90], v[32:33]
	ds_read_b128 v[10:13], v1 offset:1600
	v_add_f64 v[18:19], v[18:19], v[44:45]
	s_waitcnt vmcnt(44)
	v_fma_f64 v[50:51], v[2:3], v[87:88], -v[50:51]
	v_add_f64 v[14:15], v[14:15], v[40:41]
	s_waitcnt lgkmcnt(1)
	v_mul_f64 v[44:45], v[8:9], v[91:92]
	v_mul_f64 v[40:41], v[6:7], v[91:92]
	v_add_f64 v[18:19], v[18:19], v[42:43]
	v_fma_f64 v[42:43], v[4:5], v[87:88], v[48:49]
	v_add_f64 v[14:15], v[14:15], v[32:33]
	s_waitcnt vmcnt(43) lgkmcnt(0)
	v_mul_f64 v[48:49], v[12:13], v[93:94]
	s_waitcnt vmcnt(41)
	v_fma_f64 v[44:45], v[6:7], v[98:99], -v[44:45]
	ds_read_b128 v[2:5], v1 offset:1616
	v_mul_f64 v[32:33], v[10:11], v[93:94]
	v_fma_f64 v[40:41], v[8:9], v[98:99], v[40:41]
	ds_read_b128 v[6:9], v1 offset:1632
	v_add_f64 v[18:19], v[18:19], v[50:51]
	v_add_f64 v[14:15], v[14:15], v[42:43]
	s_waitcnt vmcnt(37) lgkmcnt(1)
	v_mul_f64 v[50:51], v[4:5], v[104:105]
	s_waitcnt vmcnt(36)
	v_fma_f64 v[48:49], v[10:11], v[96:97], -v[48:49]
	v_mul_f64 v[42:43], v[2:3], v[104:105]
	v_fma_f64 v[32:33], v[12:13], v[96:97], v[32:33]
	ds_read_b128 v[10:13], v1 offset:1648
	v_add_f64 v[18:19], v[18:19], v[44:45]
	v_add_f64 v[14:15], v[14:15], v[40:41]
	s_waitcnt vmcnt(35) lgkmcnt(1)
	v_mul_f64 v[44:45], v[8:9], v[106:107]
	v_mul_f64 v[40:41], v[6:7], v[106:107]
	s_waitcnt vmcnt(33)
	v_fma_f64 v[50:51], v[2:3], v[102:103], -v[50:51]
	v_fma_f64 v[42:43], v[4:5], v[102:103], v[42:43]
	ds_read_b128 v[2:5], v1 offset:1664
	v_add_f64 v[18:19], v[18:19], v[48:49]
	v_add_f64 v[14:15], v[14:15], v[32:33]
	s_waitcnt vmcnt(29) lgkmcnt(1)
	v_mul_f64 v[32:33], v[10:11], v[20:21]
	v_mul_f64 v[20:21], v[12:13], v[20:21]
	s_waitcnt vmcnt(28)
	v_fma_f64 v[44:45], v[6:7], v[108:109], -v[44:45]
	v_fma_f64 v[40:41], v[8:9], v[108:109], v[40:41]
	ds_read_b128 v[6:9], v1 offset:1680
	v_add_f64 v[18:19], v[18:19], v[50:51]
	v_add_f64 v[14:15], v[14:15], v[42:43]
	s_waitcnt vmcnt(27) lgkmcnt(1)
	v_mul_f64 v[48:49], v[4:5], v[110:111]
	v_mul_f64 v[42:43], v[2:3], v[110:111]
	s_waitcnt vmcnt(25)
	v_fma_f64 v[20:21], v[10:11], v[16:17], -v[20:21]
	v_fma_f64 v[16:17], v[12:13], v[16:17], v[32:33]
	ds_read_b128 v[10:13], v1 offset:1696
	v_add_f64 v[18:19], v[18:19], v[44:45]
	v_add_f64 v[14:15], v[14:15], v[40:41]
	s_waitcnt vmcnt(21) lgkmcnt(1)
	v_mul_f64 v[32:33], v[6:7], v[28:29]
	v_mul_f64 v[28:29], v[8:9], v[28:29]
	s_waitcnt vmcnt(20)
	v_fma_f64 v[40:41], v[2:3], v[115:116], -v[48:49]
	v_add_f64 v[18:19], v[18:19], v[20:21]
	v_fma_f64 v[20:21], v[4:5], v[115:116], v[42:43]
	v_add_f64 v[14:15], v[14:15], v[16:17]
	ds_read_b128 v[2:5], v1 offset:1712
	s_waitcnt vmcnt(19) lgkmcnt(1)
	v_mul_f64 v[42:43], v[12:13], v[100:101]
	v_mul_f64 v[16:17], v[10:11], v[100:101]
	s_waitcnt vmcnt(17)
	v_fma_f64 v[28:29], v[6:7], v[26:27], -v[28:29]
	v_fma_f64 v[26:27], v[8:9], v[26:27], v[32:33]
	ds_read_b128 v[6:9], v1 offset:1728
	v_add_f64 v[18:19], v[18:19], v[40:41]
	v_add_f64 v[14:15], v[14:15], v[20:21]
	s_waitcnt vmcnt(13) lgkmcnt(1)
	v_mul_f64 v[20:21], v[2:3], v[22:23]
	v_mul_f64 v[22:23], v[4:5], v[22:23]
	s_waitcnt vmcnt(12)
	v_fma_f64 v[32:33], v[10:11], v[117:118], -v[42:43]
	v_fma_f64 v[16:17], v[12:13], v[117:118], v[16:17]
	ds_read_b128 v[10:13], v1 offset:1744
	v_add_f64 v[18:19], v[18:19], v[28:29]
	v_add_f64 v[14:15], v[14:15], v[26:27]
	s_waitcnt vmcnt(11) lgkmcnt(1)
	v_mul_f64 v[28:29], v[8:9], v[38:39]
	v_mul_f64 v[26:27], v[6:7], v[38:39]
	s_waitcnt vmcnt(9)
	v_fma_f64 v[1:2], v[2:3], v[24:25], -v[22:23]
	v_fma_f64 v[3:4], v[4:5], v[24:25], v[20:21]
	v_add_f64 v[18:19], v[18:19], v[32:33]
	v_add_f64 v[14:15], v[14:15], v[16:17]
	s_waitcnt vmcnt(7) lgkmcnt(0)
	v_mul_f64 v[20:21], v[12:13], v[30:31]
	s_waitcnt vmcnt(6)
	v_fma_f64 v[5:6], v[6:7], v[112:113], -v[28:29]
	v_mul_f64 v[16:17], v[10:11], v[30:31]
	v_fma_f64 v[7:8], v[8:9], v[112:113], v[26:27]
	v_add_f64 v[1:2], v[18:19], v[1:2]
	v_add_f64 v[3:4], v[14:15], v[3:4]
	s_waitcnt vmcnt(4)
	v_fma_f64 v[9:10], v[10:11], v[34:35], -v[20:21]
	v_add_f64 v[1:2], v[1:2], v[5:6]
	v_fma_f64 v[5:6], v[12:13], v[34:35], v[16:17]
	v_add_f64 v[3:4], v[3:4], v[7:8]
	v_add_f64 v[1:2], v[1:2], v[9:10]
	;; [unrolled: 1-line block ×3, first 2 shown]
	s_waitcnt vmcnt(2)
	v_add_f64 v[1:2], v[36:37], -v[1:2]
	s_waitcnt vmcnt(0)
	v_add_f64 v[3:4], v[46:47], -v[3:4]
	buffer_store_dword v2, off, s[0:3], 0 offset:500
	buffer_store_dword v1, off, s[0:3], 0 offset:496
	;; [unrolled: 1-line block ×4, first 2 shown]
	v_cmpx_lt_u32_e32 29, v0
	s_cbranch_execz .LBB54_285
; %bb.284:
	v_mov_b32_e32 v4, s38
	v_mov_b32_e32 v5, 0
	s_clause 0x3
	buffer_load_dword v1, v4, s[0:3], 0 offen
	buffer_load_dword v2, v4, s[0:3], 0 offen offset:4
	buffer_load_dword v3, v4, s[0:3], 0 offen offset:8
	;; [unrolled: 1-line block ×3, first 2 shown]
	buffer_store_dword v5, off, s[0:3], 0 offset:480
	buffer_store_dword v5, off, s[0:3], 0 offset:484
	;; [unrolled: 1-line block ×4, first 2 shown]
	s_waitcnt vmcnt(0)
	ds_write_b128 v95, v[1:4]
.LBB54_285:
	s_or_b32 exec_lo, exec_lo, s4
	s_waitcnt lgkmcnt(0)
	s_waitcnt_vscnt null, 0x0
	s_barrier
	buffer_gl0_inv
	s_clause 0x37
	buffer_load_dword v10, off, s[0:3], 0 offset:504
	buffer_load_dword v11, off, s[0:3], 0 offset:508
	;; [unrolled: 1-line block ×56, first 2 shown]
	v_mov_b32_e32 v1, 0
	s_mov_b32 s4, exec_lo
	ds_read_b128 v[2:5], v1 offset:1360
	s_clause 0x2
	buffer_load_dword v94, off, s[0:3], 0 offset:732
	buffer_load_dword v99, off, s[0:3], 0 offset:708
	;; [unrolled: 1-line block ×3, first 2 shown]
	ds_read_b128 v[6:9], v1 offset:1376
	s_clause 0x4
	buffer_load_dword v105, off, s[0:3], 0 offset:748
	buffer_load_dword v106, off, s[0:3], 0 offset:760
	;; [unrolled: 1-line block ×5, first 2 shown]
	s_waitcnt vmcnt(62) lgkmcnt(1)
	v_mul_f64 v[100:101], v[4:5], v[10:11]
	v_mul_f64 v[102:103], v[2:3], v[10:11]
	s_waitcnt vmcnt(60) lgkmcnt(0)
	v_mul_f64 v[109:110], v[8:9], v[14:15]
	ds_read_b128 v[10:13], v1 offset:1392
	v_mul_f64 v[14:15], v[6:7], v[14:15]
	s_waitcnt vmcnt(58)
	v_fma_f64 v[100:101], v[2:3], v[16:17], -v[100:101]
	v_fma_f64 v[16:17], v[4:5], v[16:17], v[102:103]
	s_clause 0x2
	buffer_load_dword v107, off, s[0:3], 0 offset:764
	buffer_load_dword v103, off, s[0:3], 0 offset:740
	;; [unrolled: 1-line block ×3, first 2 shown]
	s_waitcnt vmcnt(59) lgkmcnt(0)
	v_mul_f64 v[111:112], v[10:11], v[18:19]
	v_mul_f64 v[18:19], v[12:13], v[18:19]
	s_waitcnt vmcnt(57)
	v_fma_f64 v[113:114], v[6:7], v[20:21], -v[109:110]
	ds_read_b128 v[2:5], v1 offset:1408
	v_fma_f64 v[14:15], v[8:9], v[20:21], v[14:15]
	s_clause 0x4
	buffer_load_dword v21, off, s[0:3], 0 offset:780
	buffer_load_dword v110, off, s[0:3], 0 offset:792
	;; [unrolled: 1-line block ×5, first 2 shown]
	ds_read_b128 v[6:9], v1 offset:1424
	v_add_f64 v[100:101], v[100:101], 0
	v_add_f64 v[16:17], v[16:17], 0
	s_waitcnt vmcnt(58) lgkmcnt(1)
	v_mul_f64 v[116:117], v[2:3], v[22:23]
	v_mul_f64 v[22:23], v[4:5], v[22:23]
	s_waitcnt vmcnt(56)
	v_fma_f64 v[18:19], v[10:11], v[28:29], -v[18:19]
	v_fma_f64 v[28:29], v[12:13], v[28:29], v[111:112]
	v_add_f64 v[100:101], v[100:101], v[113:114]
	v_add_f64 v[14:15], v[16:17], v[14:15]
	s_clause 0x2
	buffer_load_dword v111, off, s[0:3], 0 offset:796
	buffer_load_dword v17, off, s[0:3], 0 offset:772
	;; [unrolled: 1-line block ×3, first 2 shown]
	s_waitcnt vmcnt(58) lgkmcnt(0)
	v_mul_f64 v[112:113], v[6:7], v[24:25]
	v_mul_f64 v[24:25], v[8:9], v[24:25]
	s_waitcnt vmcnt(56)
	v_fma_f64 v[22:23], v[2:3], v[30:31], -v[22:23]
	ds_read_b128 v[10:13], v1 offset:1440
	v_fma_f64 v[30:31], v[4:5], v[30:31], v[116:117]
	v_add_f64 v[18:19], v[100:101], v[18:19]
	v_add_f64 v[14:15], v[14:15], v[28:29]
	s_clause 0x4
	buffer_load_dword v29, off, s[0:3], 0 offset:812
	buffer_load_dword v100, off, s[0:3], 0 offset:824
	;; [unrolled: 1-line block ×5, first 2 shown]
	ds_read_b128 v[2:5], v1 offset:1456
	s_waitcnt vmcnt(57) lgkmcnt(1)
	v_mul_f64 v[118:119], v[10:11], v[32:33]
	v_mul_f64 v[32:33], v[12:13], v[32:33]
	s_waitcnt vmcnt(56)
	v_fma_f64 v[24:25], v[6:7], v[26:27], -v[24:25]
	v_add_f64 v[18:19], v[18:19], v[22:23]
	v_fma_f64 v[22:23], v[8:9], v[26:27], v[112:113]
	v_add_f64 v[14:15], v[14:15], v[30:31]
	s_clause 0x2
	buffer_load_dword v101, off, s[0:3], 0 offset:828
	buffer_load_dword v27, off, s[0:3], 0 offset:804
	;; [unrolled: 1-line block ×3, first 2 shown]
	s_waitcnt vmcnt(58) lgkmcnt(0)
	v_mul_f64 v[30:31], v[2:3], v[34:35]
	v_mul_f64 v[34:35], v[4:5], v[34:35]
	s_waitcnt vmcnt(56)
	v_fma_f64 v[32:33], v[10:11], v[38:39], -v[32:33]
	ds_read_b128 v[6:9], v1 offset:1472
	v_add_f64 v[18:19], v[18:19], v[24:25]
	v_fma_f64 v[24:25], v[12:13], v[38:39], v[118:119]
	v_add_f64 v[14:15], v[14:15], v[22:23]
	s_clause 0x4
	buffer_load_dword v23, off, s[0:3], 0 offset:844
	buffer_load_dword v38, off, s[0:3], 0 offset:856
	buffer_load_dword v112, off, s[0:3], 0 offset:848
	buffer_load_dword v22, off, s[0:3], 0 offset:840
	buffer_load_dword v118, off, s[0:3], 0 offset:820
	ds_read_b128 v[10:13], v1 offset:1488
	s_waitcnt vmcnt(57) lgkmcnt(1)
	v_mul_f64 v[113:114], v[6:7], v[40:41]
	v_mul_f64 v[40:41], v[8:9], v[40:41]
	s_waitcnt vmcnt(56)
	v_fma_f64 v[34:35], v[2:3], v[36:37], -v[34:35]
	v_fma_f64 v[30:31], v[4:5], v[36:37], v[30:31]
	v_add_f64 v[18:19], v[18:19], v[32:33]
	v_add_f64 v[14:15], v[14:15], v[24:25]
	s_clause 0x2
	buffer_load_dword v39, off, s[0:3], 0 offset:860
	buffer_load_dword v25, off, s[0:3], 0 offset:836
	buffer_load_dword v24, off, s[0:3], 0 offset:832
	s_waitcnt vmcnt(58) lgkmcnt(0)
	v_mul_f64 v[36:37], v[12:13], v[42:43]
	ds_read_b128 v[2:5], v1 offset:1504
	s_waitcnt vmcnt(56)
	v_fma_f64 v[40:41], v[6:7], v[46:47], -v[40:41]
	v_mul_f64 v[32:33], v[10:11], v[42:43]
	v_add_f64 v[18:19], v[18:19], v[34:35]
	v_fma_f64 v[34:35], v[8:9], v[46:47], v[113:114]
	v_add_f64 v[14:15], v[14:15], v[30:31]
	s_clause 0x4
	buffer_load_dword v31, off, s[0:3], 0 offset:876
	buffer_load_dword v42, off, s[0:3], 0 offset:888
	;; [unrolled: 1-line block ×5, first 2 shown]
	s_waitcnt vmcnt(57) lgkmcnt(0)
	v_mul_f64 v[119:120], v[2:3], v[48:49]
	v_mul_f64 v[47:48], v[4:5], v[48:49]
	s_waitcnt vmcnt(56)
	v_fma_f64 v[36:37], v[10:11], v[44:45], -v[36:37]
	ds_read_b128 v[6:9], v1 offset:1520
	v_fma_f64 v[32:33], v[12:13], v[44:45], v[32:33]
	v_add_f64 v[18:19], v[18:19], v[40:41]
	v_add_f64 v[14:15], v[14:15], v[34:35]
	s_clause 0x2
	buffer_load_dword v43, off, s[0:3], 0 offset:892
	buffer_load_dword v35, off, s[0:3], 0 offset:868
	;; [unrolled: 1-line block ×3, first 2 shown]
	ds_read_b128 v[10:13], v1 offset:1536
	s_waitcnt vmcnt(58) lgkmcnt(1)
	v_mul_f64 v[44:45], v[8:9], v[50:51]
	s_waitcnt vmcnt(56)
	v_fma_f64 v[48:49], v[2:3], v[54:55], -v[47:48]
	v_mul_f64 v[40:41], v[6:7], v[50:51]
	buffer_load_dword v47, off, s[0:3], 0 offset:884
	v_add_f64 v[18:19], v[18:19], v[36:37]
	v_fma_f64 v[36:37], v[4:5], v[54:55], v[119:120]
	v_add_f64 v[14:15], v[14:15], v[32:33]
	ds_read_b128 v[2:5], v1 offset:1552
	s_waitcnt vmcnt(53) lgkmcnt(1)
	v_mul_f64 v[50:51], v[12:13], v[83:84]
	s_waitcnt vmcnt(52)
	v_fma_f64 v[44:45], v[6:7], v[52:53], -v[44:45]
	v_mul_f64 v[32:33], v[10:11], v[83:84]
	v_fma_f64 v[40:41], v[8:9], v[52:53], v[40:41]
	ds_read_b128 v[6:9], v1 offset:1568
	v_add_f64 v[18:19], v[18:19], v[48:49]
	s_waitcnt vmcnt(51) lgkmcnt(1)
	v_mul_f64 v[48:49], v[4:5], v[85:86]
	v_add_f64 v[14:15], v[14:15], v[36:37]
	v_mul_f64 v[36:37], v[2:3], v[85:86]
	s_waitcnt vmcnt(49)
	v_fma_f64 v[50:51], v[10:11], v[89:90], -v[50:51]
	v_fma_f64 v[32:33], v[12:13], v[89:90], v[32:33]
	s_waitcnt vmcnt(45) lgkmcnt(0)
	v_mul_f64 v[54:55], v[8:9], v[91:92]
	v_mul_f64 v[52:53], v[6:7], v[91:92]
	v_add_f64 v[18:19], v[18:19], v[44:45]
	s_waitcnt vmcnt(44)
	v_fma_f64 v[48:49], v[2:3], v[87:88], -v[48:49]
	v_add_f64 v[14:15], v[14:15], v[40:41]
	s_clause 0x3
	buffer_load_dword v40, off, s[0:3], 0 offset:480
	buffer_load_dword v41, off, s[0:3], 0 offset:484
	;; [unrolled: 1-line block ×4, first 2 shown]
	ds_read_b128 v[10:13], v1 offset:1584
	v_fma_f64 v[36:37], v[4:5], v[87:88], v[36:37]
	ds_read_b128 v[2:5], v1 offset:1600
	s_waitcnt vmcnt(45)
	v_fma_f64 v[54:55], v[6:7], v[98:99], -v[54:55]
	v_add_f64 v[18:19], v[18:19], v[50:51]
	v_add_f64 v[14:15], v[14:15], v[32:33]
	s_waitcnt lgkmcnt(1)
	v_mul_f64 v[50:51], v[12:13], v[93:94]
	v_mul_f64 v[32:33], v[10:11], v[93:94]
	v_add_f64 v[18:19], v[18:19], v[48:49]
	v_fma_f64 v[48:49], v[8:9], v[98:99], v[52:53]
	v_add_f64 v[14:15], v[14:15], v[36:37]
	s_waitcnt vmcnt(41) lgkmcnt(0)
	v_mul_f64 v[52:53], v[4:5], v[104:105]
	s_waitcnt vmcnt(40)
	v_fma_f64 v[50:51], v[10:11], v[96:97], -v[50:51]
	ds_read_b128 v[6:9], v1 offset:1616
	v_mul_f64 v[36:37], v[2:3], v[104:105]
	v_fma_f64 v[32:33], v[12:13], v[96:97], v[32:33]
	ds_read_b128 v[10:13], v1 offset:1632
	v_add_f64 v[18:19], v[18:19], v[54:55]
	v_add_f64 v[14:15], v[14:15], v[48:49]
	s_waitcnt vmcnt(39) lgkmcnt(1)
	v_mul_f64 v[54:55], v[8:9], v[106:107]
	v_mul_f64 v[48:49], v[6:7], v[106:107]
	s_waitcnt vmcnt(37)
	v_fma_f64 v[52:53], v[2:3], v[102:103], -v[52:53]
	v_fma_f64 v[36:37], v[4:5], v[102:103], v[36:37]
	ds_read_b128 v[2:5], v1 offset:1648
	v_add_f64 v[18:19], v[18:19], v[50:51]
	v_add_f64 v[14:15], v[14:15], v[32:33]
	s_waitcnt vmcnt(33) lgkmcnt(1)
	v_mul_f64 v[32:33], v[10:11], v[20:21]
	v_mul_f64 v[20:21], v[12:13], v[20:21]
	s_waitcnt vmcnt(32)
	v_fma_f64 v[50:51], v[6:7], v[108:109], -v[54:55]
	;; [unrolled: 9-line block ×4, first 2 shown]
	v_add_f64 v[18:19], v[18:19], v[20:21]
	v_fma_f64 v[20:21], v[4:5], v[115:116], v[36:37]
	v_add_f64 v[14:15], v[14:15], v[16:17]
	ds_read_b128 v[2:5], v1 offset:1696
	s_waitcnt vmcnt(23) lgkmcnt(1)
	v_mul_f64 v[36:37], v[12:13], v[100:101]
	v_mul_f64 v[16:17], v[10:11], v[100:101]
	s_waitcnt vmcnt(21)
	v_fma_f64 v[28:29], v[6:7], v[26:27], -v[28:29]
	v_fma_f64 v[26:27], v[8:9], v[26:27], v[32:33]
	ds_read_b128 v[6:9], v1 offset:1712
	v_add_f64 v[18:19], v[18:19], v[48:49]
	v_add_f64 v[14:15], v[14:15], v[20:21]
	s_waitcnt vmcnt(17) lgkmcnt(1)
	v_mul_f64 v[20:21], v[2:3], v[22:23]
	v_mul_f64 v[22:23], v[4:5], v[22:23]
	s_waitcnt vmcnt(16)
	v_fma_f64 v[32:33], v[10:11], v[117:118], -v[36:37]
	v_fma_f64 v[16:17], v[12:13], v[117:118], v[16:17]
	ds_read_b128 v[10:13], v1 offset:1728
	v_add_f64 v[18:19], v[18:19], v[28:29]
	v_add_f64 v[14:15], v[14:15], v[26:27]
	;; [unrolled: 9-line block ×3, first 2 shown]
	s_waitcnt vmcnt(9) lgkmcnt(1)
	v_mul_f64 v[24:25], v[12:13], v[30:31]
	s_waitcnt vmcnt(8)
	v_fma_f64 v[6:7], v[6:7], v[112:113], -v[28:29]
	v_mul_f64 v[16:17], v[10:11], v[30:31]
	v_fma_f64 v[8:9], v[8:9], v[112:113], v[26:27]
	v_add_f64 v[18:19], v[18:19], v[22:23]
	v_add_f64 v[14:15], v[14:15], v[20:21]
	s_waitcnt vmcnt(7) lgkmcnt(0)
	v_mul_f64 v[22:23], v[4:5], v[42:43]
	v_mul_f64 v[20:21], v[2:3], v[42:43]
	s_waitcnt vmcnt(5)
	v_fma_f64 v[10:11], v[10:11], v[34:35], -v[24:25]
	v_fma_f64 v[12:13], v[12:13], v[34:35], v[16:17]
	v_add_f64 v[6:7], v[18:19], v[6:7]
	v_add_f64 v[8:9], v[14:15], v[8:9]
	s_waitcnt vmcnt(4)
	v_fma_f64 v[2:3], v[2:3], v[46:47], -v[22:23]
	v_fma_f64 v[4:5], v[4:5], v[46:47], v[20:21]
	v_add_f64 v[6:7], v[6:7], v[10:11]
	v_add_f64 v[8:9], v[8:9], v[12:13]
	;; [unrolled: 1-line block ×4, first 2 shown]
	s_waitcnt vmcnt(2)
	v_add_f64 v[2:3], v[40:41], -v[2:3]
	s_waitcnt vmcnt(0)
	v_add_f64 v[4:5], v[44:45], -v[4:5]
	buffer_store_dword v3, off, s[0:3], 0 offset:484
	buffer_store_dword v2, off, s[0:3], 0 offset:480
	;; [unrolled: 1-line block ×4, first 2 shown]
	v_cmpx_lt_u32_e32 28, v0
	s_cbranch_execz .LBB54_287
; %bb.286:
	v_mov_b32_e32 v5, s39
	s_clause 0x3
	buffer_load_dword v2, v5, s[0:3], 0 offen
	buffer_load_dword v3, v5, s[0:3], 0 offen offset:4
	buffer_load_dword v4, v5, s[0:3], 0 offen offset:8
	;; [unrolled: 1-line block ×3, first 2 shown]
	buffer_store_dword v1, off, s[0:3], 0 offset:464
	buffer_store_dword v1, off, s[0:3], 0 offset:468
	;; [unrolled: 1-line block ×4, first 2 shown]
	s_waitcnt vmcnt(0)
	ds_write_b128 v95, v[2:5]
.LBB54_287:
	s_or_b32 exec_lo, exec_lo, s4
	s_waitcnt lgkmcnt(0)
	s_waitcnt_vscnt null, 0x0
	s_barrier
	buffer_gl0_inv
	s_clause 0x37
	buffer_load_dword v10, off, s[0:3], 0 offset:488
	buffer_load_dword v11, off, s[0:3], 0 offset:492
	buffer_load_dword v14, off, s[0:3], 0 offset:504
	buffer_load_dword v15, off, s[0:3], 0 offset:508
	buffer_load_dword v16, off, s[0:3], 0 offset:480
	buffer_load_dword v17, off, s[0:3], 0 offset:484
	buffer_load_dword v18, off, s[0:3], 0 offset:520
	buffer_load_dword v19, off, s[0:3], 0 offset:524
	buffer_load_dword v20, off, s[0:3], 0 offset:496
	buffer_load_dword v21, off, s[0:3], 0 offset:500
	buffer_load_dword v23, off, s[0:3], 0 offset:540
	buffer_load_dword v24, off, s[0:3], 0 offset:552
	buffer_load_dword v26, off, s[0:3], 0 offset:544
	buffer_load_dword v22, off, s[0:3], 0 offset:536
	buffer_load_dword v28, off, s[0:3], 0 offset:512
	buffer_load_dword v29, off, s[0:3], 0 offset:516
	buffer_load_dword v25, off, s[0:3], 0 offset:556
	buffer_load_dword v31, off, s[0:3], 0 offset:532
	buffer_load_dword v30, off, s[0:3], 0 offset:528
	buffer_load_dword v33, off, s[0:3], 0 offset:572
	buffer_load_dword v34, off, s[0:3], 0 offset:584
	buffer_load_dword v36, off, s[0:3], 0 offset:576
	buffer_load_dword v32, off, s[0:3], 0 offset:568
	buffer_load_dword v27, off, s[0:3], 0 offset:548
	buffer_load_dword v35, off, s[0:3], 0 offset:588
	buffer_load_dword v39, off, s[0:3], 0 offset:564
	buffer_load_dword v38, off, s[0:3], 0 offset:560
	buffer_load_dword v41, off, s[0:3], 0 offset:604
	buffer_load_dword v42, off, s[0:3], 0 offset:616
	buffer_load_dword v44, off, s[0:3], 0 offset:608
	buffer_load_dword v40, off, s[0:3], 0 offset:600
	buffer_load_dword v37, off, s[0:3], 0 offset:580
	buffer_load_dword v43, off, s[0:3], 0 offset:620
	buffer_load_dword v47, off, s[0:3], 0 offset:596
	buffer_load_dword v46, off, s[0:3], 0 offset:592
	buffer_load_dword v49, off, s[0:3], 0 offset:636
	buffer_load_dword v50, off, s[0:3], 0 offset:648
	buffer_load_dword v52, off, s[0:3], 0 offset:640
	buffer_load_dword v48, off, s[0:3], 0 offset:632
	buffer_load_dword v45, off, s[0:3], 0 offset:612
	buffer_load_dword v51, off, s[0:3], 0 offset:652
	buffer_load_dword v55, off, s[0:3], 0 offset:628
	buffer_load_dword v54, off, s[0:3], 0 offset:624
	buffer_load_dword v84, off, s[0:3], 0 offset:668
	buffer_load_dword v85, off, s[0:3], 0 offset:680
	buffer_load_dword v87, off, s[0:3], 0 offset:672
	buffer_load_dword v83, off, s[0:3], 0 offset:664
	buffer_load_dword v53, off, s[0:3], 0 offset:644
	buffer_load_dword v86, off, s[0:3], 0 offset:684
	buffer_load_dword v90, off, s[0:3], 0 offset:660
	buffer_load_dword v89, off, s[0:3], 0 offset:656
	buffer_load_dword v92, off, s[0:3], 0 offset:700
	buffer_load_dword v93, off, s[0:3], 0 offset:712
	buffer_load_dword v96, off, s[0:3], 0 offset:704
	buffer_load_dword v91, off, s[0:3], 0 offset:696
	buffer_load_dword v88, off, s[0:3], 0 offset:676
	ds_read_b128 v[2:5], v1 offset:1344
	s_clause 0x2
	buffer_load_dword v94, off, s[0:3], 0 offset:716
	buffer_load_dword v99, off, s[0:3], 0 offset:692
	;; [unrolled: 1-line block ×3, first 2 shown]
	ds_read_b128 v[6:9], v1 offset:1360
	s_clause 0x4
	buffer_load_dword v105, off, s[0:3], 0 offset:732
	buffer_load_dword v106, off, s[0:3], 0 offset:744
	;; [unrolled: 1-line block ×5, first 2 shown]
	s_mov_b32 s4, exec_lo
	s_waitcnt vmcnt(62) lgkmcnt(1)
	v_mul_f64 v[100:101], v[4:5], v[10:11]
	v_mul_f64 v[102:103], v[2:3], v[10:11]
	s_waitcnt vmcnt(60) lgkmcnt(0)
	v_mul_f64 v[109:110], v[8:9], v[14:15]
	ds_read_b128 v[10:13], v1 offset:1376
	v_mul_f64 v[14:15], v[6:7], v[14:15]
	s_waitcnt vmcnt(58)
	v_fma_f64 v[100:101], v[2:3], v[16:17], -v[100:101]
	v_fma_f64 v[16:17], v[4:5], v[16:17], v[102:103]
	s_clause 0x2
	buffer_load_dword v107, off, s[0:3], 0 offset:748
	buffer_load_dword v103, off, s[0:3], 0 offset:724
	;; [unrolled: 1-line block ×3, first 2 shown]
	s_waitcnt vmcnt(59) lgkmcnt(0)
	v_mul_f64 v[111:112], v[10:11], v[18:19]
	v_mul_f64 v[18:19], v[12:13], v[18:19]
	s_waitcnt vmcnt(57)
	v_fma_f64 v[113:114], v[6:7], v[20:21], -v[109:110]
	ds_read_b128 v[2:5], v1 offset:1392
	v_fma_f64 v[14:15], v[8:9], v[20:21], v[14:15]
	s_clause 0x4
	buffer_load_dword v21, off, s[0:3], 0 offset:764
	buffer_load_dword v110, off, s[0:3], 0 offset:776
	;; [unrolled: 1-line block ×5, first 2 shown]
	ds_read_b128 v[6:9], v1 offset:1408
	v_add_f64 v[100:101], v[100:101], 0
	v_add_f64 v[16:17], v[16:17], 0
	s_waitcnt vmcnt(58) lgkmcnt(1)
	v_mul_f64 v[116:117], v[2:3], v[22:23]
	v_mul_f64 v[22:23], v[4:5], v[22:23]
	s_waitcnt vmcnt(56)
	v_fma_f64 v[18:19], v[10:11], v[28:29], -v[18:19]
	v_fma_f64 v[28:29], v[12:13], v[28:29], v[111:112]
	v_add_f64 v[100:101], v[100:101], v[113:114]
	v_add_f64 v[14:15], v[16:17], v[14:15]
	s_clause 0x2
	buffer_load_dword v111, off, s[0:3], 0 offset:780
	buffer_load_dword v17, off, s[0:3], 0 offset:756
	;; [unrolled: 1-line block ×3, first 2 shown]
	s_waitcnt vmcnt(58) lgkmcnt(0)
	v_mul_f64 v[112:113], v[6:7], v[24:25]
	v_mul_f64 v[24:25], v[8:9], v[24:25]
	s_waitcnt vmcnt(56)
	v_fma_f64 v[22:23], v[2:3], v[30:31], -v[22:23]
	ds_read_b128 v[10:13], v1 offset:1424
	v_fma_f64 v[30:31], v[4:5], v[30:31], v[116:117]
	v_add_f64 v[18:19], v[100:101], v[18:19]
	v_add_f64 v[14:15], v[14:15], v[28:29]
	s_clause 0x4
	buffer_load_dword v29, off, s[0:3], 0 offset:796
	buffer_load_dword v100, off, s[0:3], 0 offset:808
	;; [unrolled: 1-line block ×5, first 2 shown]
	ds_read_b128 v[2:5], v1 offset:1440
	s_waitcnt vmcnt(57) lgkmcnt(1)
	v_mul_f64 v[118:119], v[10:11], v[32:33]
	v_mul_f64 v[32:33], v[12:13], v[32:33]
	s_waitcnt vmcnt(56)
	v_fma_f64 v[24:25], v[6:7], v[26:27], -v[24:25]
	v_add_f64 v[18:19], v[18:19], v[22:23]
	v_fma_f64 v[22:23], v[8:9], v[26:27], v[112:113]
	v_add_f64 v[14:15], v[14:15], v[30:31]
	s_clause 0x2
	buffer_load_dword v101, off, s[0:3], 0 offset:812
	buffer_load_dword v27, off, s[0:3], 0 offset:788
	;; [unrolled: 1-line block ×3, first 2 shown]
	s_waitcnt vmcnt(58) lgkmcnt(0)
	v_mul_f64 v[30:31], v[2:3], v[34:35]
	v_mul_f64 v[34:35], v[4:5], v[34:35]
	s_waitcnt vmcnt(56)
	v_fma_f64 v[32:33], v[10:11], v[38:39], -v[32:33]
	ds_read_b128 v[6:9], v1 offset:1456
	v_add_f64 v[18:19], v[18:19], v[24:25]
	v_fma_f64 v[24:25], v[12:13], v[38:39], v[118:119]
	v_add_f64 v[14:15], v[14:15], v[22:23]
	s_clause 0x4
	buffer_load_dword v23, off, s[0:3], 0 offset:828
	buffer_load_dword v38, off, s[0:3], 0 offset:840
	;; [unrolled: 1-line block ×5, first 2 shown]
	ds_read_b128 v[10:13], v1 offset:1472
	s_waitcnt vmcnt(57) lgkmcnt(1)
	v_mul_f64 v[113:114], v[6:7], v[40:41]
	v_mul_f64 v[40:41], v[8:9], v[40:41]
	s_waitcnt vmcnt(56)
	v_fma_f64 v[34:35], v[2:3], v[36:37], -v[34:35]
	v_fma_f64 v[30:31], v[4:5], v[36:37], v[30:31]
	v_add_f64 v[18:19], v[18:19], v[32:33]
	v_add_f64 v[14:15], v[14:15], v[24:25]
	s_clause 0x2
	buffer_load_dword v39, off, s[0:3], 0 offset:844
	buffer_load_dword v25, off, s[0:3], 0 offset:820
	;; [unrolled: 1-line block ×3, first 2 shown]
	s_waitcnt vmcnt(58) lgkmcnt(0)
	v_mul_f64 v[36:37], v[12:13], v[42:43]
	ds_read_b128 v[2:5], v1 offset:1488
	s_waitcnt vmcnt(56)
	v_fma_f64 v[40:41], v[6:7], v[46:47], -v[40:41]
	v_mul_f64 v[32:33], v[10:11], v[42:43]
	v_add_f64 v[18:19], v[18:19], v[34:35]
	v_fma_f64 v[34:35], v[8:9], v[46:47], v[113:114]
	v_add_f64 v[14:15], v[14:15], v[30:31]
	s_clause 0x4
	buffer_load_dword v31, off, s[0:3], 0 offset:860
	buffer_load_dword v42, off, s[0:3], 0 offset:872
	;; [unrolled: 1-line block ×5, first 2 shown]
	s_waitcnt vmcnt(57) lgkmcnt(0)
	v_mul_f64 v[119:120], v[2:3], v[48:49]
	v_mul_f64 v[47:48], v[4:5], v[48:49]
	s_waitcnt vmcnt(56)
	v_fma_f64 v[36:37], v[10:11], v[44:45], -v[36:37]
	ds_read_b128 v[6:9], v1 offset:1504
	v_fma_f64 v[32:33], v[12:13], v[44:45], v[32:33]
	v_add_f64 v[18:19], v[18:19], v[40:41]
	v_add_f64 v[14:15], v[14:15], v[34:35]
	s_clause 0x2
	buffer_load_dword v43, off, s[0:3], 0 offset:876
	buffer_load_dword v35, off, s[0:3], 0 offset:852
	buffer_load_dword v34, off, s[0:3], 0 offset:848
	ds_read_b128 v[10:13], v1 offset:1520
	s_waitcnt vmcnt(58) lgkmcnt(1)
	v_mul_f64 v[44:45], v[8:9], v[50:51]
	s_waitcnt vmcnt(56)
	v_fma_f64 v[48:49], v[2:3], v[54:55], -v[47:48]
	v_mul_f64 v[40:41], v[6:7], v[50:51]
	v_add_f64 v[18:19], v[18:19], v[36:37]
	v_fma_f64 v[36:37], v[4:5], v[54:55], v[119:120]
	v_add_f64 v[14:15], v[14:15], v[32:33]
	s_clause 0x2
	buffer_load_dword v33, off, s[0:3], 0 offset:892
	buffer_load_dword v32, off, s[0:3], 0 offset:888
	;; [unrolled: 1-line block ×3, first 2 shown]
	s_waitcnt vmcnt(55) lgkmcnt(0)
	v_mul_f64 v[54:55], v[12:13], v[83:84]
	s_waitcnt vmcnt(54)
	v_fma_f64 v[44:45], v[6:7], v[52:53], -v[44:45]
	ds_read_b128 v[2:5], v1 offset:1536
	v_mul_f64 v[50:51], v[10:11], v[83:84]
	v_fma_f64 v[40:41], v[8:9], v[52:53], v[40:41]
	v_add_f64 v[18:19], v[18:19], v[48:49]
	v_add_f64 v[14:15], v[14:15], v[36:37]
	s_clause 0x1
	buffer_load_dword v37, off, s[0:3], 0 offset:884
	buffer_load_dword v36, off, s[0:3], 0 offset:880
	s_waitcnt vmcnt(55) lgkmcnt(0)
	v_mul_f64 v[52:53], v[4:5], v[85:86]
	s_waitcnt vmcnt(53)
	v_fma_f64 v[54:55], v[10:11], v[89:90], -v[54:55]
	ds_read_b128 v[6:9], v1 offset:1552
	v_mul_f64 v[48:49], v[2:3], v[85:86]
	v_add_f64 v[18:19], v[18:19], v[44:45]
	v_fma_f64 v[44:45], v[12:13], v[89:90], v[50:51]
	v_add_f64 v[14:15], v[14:15], v[40:41]
	ds_read_b128 v[10:13], v1 offset:1568
	s_waitcnt vmcnt(49) lgkmcnt(1)
	v_mul_f64 v[50:51], v[8:9], v[91:92]
	s_waitcnt vmcnt(48)
	v_fma_f64 v[52:53], v[2:3], v[87:88], -v[52:53]
	v_mul_f64 v[40:41], v[6:7], v[91:92]
	v_fma_f64 v[48:49], v[4:5], v[87:88], v[48:49]
	v_add_f64 v[18:19], v[18:19], v[54:55]
	s_waitcnt vmcnt(47) lgkmcnt(0)
	v_mul_f64 v[85:86], v[12:13], v[93:94]
	v_add_f64 v[14:15], v[14:15], v[44:45]
	s_clause 0x3
	buffer_load_dword v44, off, s[0:3], 0 offset:464
	buffer_load_dword v45, off, s[0:3], 0 offset:468
	;; [unrolled: 1-line block ×4, first 2 shown]
	s_waitcnt vmcnt(49)
	v_fma_f64 v[50:51], v[6:7], v[98:99], -v[50:51]
	ds_read_b128 v[2:5], v1 offset:1584
	v_mul_f64 v[83:84], v[10:11], v[93:94]
	v_fma_f64 v[40:41], v[8:9], v[98:99], v[40:41]
	ds_read_b128 v[6:9], v1 offset:1600
	v_add_f64 v[18:19], v[18:19], v[52:53]
	s_waitcnt vmcnt(44)
	v_fma_f64 v[85:86], v[10:11], v[96:97], -v[85:86]
	v_add_f64 v[14:15], v[14:15], v[48:49]
	s_waitcnt lgkmcnt(1)
	v_mul_f64 v[52:53], v[4:5], v[104:105]
	v_mul_f64 v[48:49], v[2:3], v[104:105]
	v_add_f64 v[18:19], v[18:19], v[50:51]
	v_fma_f64 v[50:51], v[12:13], v[96:97], v[83:84]
	v_add_f64 v[14:15], v[14:15], v[40:41]
	ds_read_b128 v[10:13], v1 offset:1616
	s_waitcnt vmcnt(43) lgkmcnt(1)
	v_mul_f64 v[83:84], v[8:9], v[106:107]
	v_mul_f64 v[40:41], v[6:7], v[106:107]
	s_waitcnt vmcnt(41)
	v_fma_f64 v[52:53], v[2:3], v[102:103], -v[52:53]
	v_fma_f64 v[48:49], v[4:5], v[102:103], v[48:49]
	ds_read_b128 v[2:5], v1 offset:1632
	v_add_f64 v[18:19], v[18:19], v[85:86]
	v_add_f64 v[14:15], v[14:15], v[50:51]
	s_waitcnt vmcnt(37) lgkmcnt(1)
	v_mul_f64 v[50:51], v[10:11], v[20:21]
	v_mul_f64 v[20:21], v[12:13], v[20:21]
	s_waitcnt vmcnt(36)
	v_fma_f64 v[83:84], v[6:7], v[108:109], -v[83:84]
	v_fma_f64 v[40:41], v[8:9], v[108:109], v[40:41]
	ds_read_b128 v[6:9], v1 offset:1648
	v_add_f64 v[18:19], v[18:19], v[52:53]
	v_add_f64 v[14:15], v[14:15], v[48:49]
	s_waitcnt vmcnt(35) lgkmcnt(1)
	v_mul_f64 v[52:53], v[4:5], v[110:111]
	v_mul_f64 v[48:49], v[2:3], v[110:111]
	s_waitcnt vmcnt(33)
	v_fma_f64 v[20:21], v[10:11], v[16:17], -v[20:21]
	v_fma_f64 v[16:17], v[12:13], v[16:17], v[50:51]
	ds_read_b128 v[10:13], v1 offset:1664
	v_add_f64 v[18:19], v[18:19], v[83:84]
	v_add_f64 v[14:15], v[14:15], v[40:41]
	s_waitcnt vmcnt(29) lgkmcnt(1)
	v_mul_f64 v[40:41], v[6:7], v[28:29]
	v_mul_f64 v[28:29], v[8:9], v[28:29]
	s_waitcnt vmcnt(28)
	v_fma_f64 v[50:51], v[2:3], v[115:116], -v[52:53]
	v_add_f64 v[18:19], v[18:19], v[20:21]
	v_fma_f64 v[20:21], v[4:5], v[115:116], v[48:49]
	v_add_f64 v[14:15], v[14:15], v[16:17]
	ds_read_b128 v[2:5], v1 offset:1680
	s_waitcnt vmcnt(27) lgkmcnt(1)
	v_mul_f64 v[48:49], v[12:13], v[100:101]
	v_mul_f64 v[16:17], v[10:11], v[100:101]
	s_waitcnt vmcnt(25)
	v_fma_f64 v[28:29], v[6:7], v[26:27], -v[28:29]
	v_fma_f64 v[26:27], v[8:9], v[26:27], v[40:41]
	ds_read_b128 v[6:9], v1 offset:1696
	v_add_f64 v[18:19], v[18:19], v[50:51]
	v_add_f64 v[14:15], v[14:15], v[20:21]
	s_waitcnt vmcnt(21) lgkmcnt(1)
	v_mul_f64 v[20:21], v[2:3], v[22:23]
	v_mul_f64 v[22:23], v[4:5], v[22:23]
	s_waitcnt vmcnt(20)
	v_fma_f64 v[40:41], v[10:11], v[117:118], -v[48:49]
	v_fma_f64 v[16:17], v[12:13], v[117:118], v[16:17]
	ds_read_b128 v[10:13], v1 offset:1712
	v_add_f64 v[18:19], v[18:19], v[28:29]
	v_add_f64 v[14:15], v[14:15], v[26:27]
	;; [unrolled: 9-line block ×3, first 2 shown]
	s_waitcnt vmcnt(13) lgkmcnt(1)
	v_mul_f64 v[24:25], v[12:13], v[30:31]
	s_waitcnt vmcnt(12)
	v_fma_f64 v[28:29], v[6:7], v[112:113], -v[28:29]
	v_mul_f64 v[16:17], v[10:11], v[30:31]
	v_add_f64 v[18:19], v[18:19], v[22:23]
	v_fma_f64 v[22:23], v[8:9], v[112:113], v[26:27]
	v_add_f64 v[14:15], v[14:15], v[20:21]
	ds_read_b128 v[6:9], v1 offset:1744
	s_waitcnt vmcnt(11) lgkmcnt(1)
	v_mul_f64 v[26:27], v[4:5], v[42:43]
	v_mul_f64 v[20:21], v[2:3], v[42:43]
	s_waitcnt vmcnt(9)
	v_fma_f64 v[10:11], v[10:11], v[34:35], -v[24:25]
	v_fma_f64 v[12:13], v[12:13], v[34:35], v[16:17]
	v_add_f64 v[18:19], v[18:19], v[28:29]
	v_add_f64 v[14:15], v[14:15], v[22:23]
	s_waitcnt vmcnt(7) lgkmcnt(0)
	v_mul_f64 v[22:23], v[8:9], v[32:33]
	s_waitcnt vmcnt(6)
	v_fma_f64 v[1:2], v[2:3], v[46:47], -v[26:27]
	v_mul_f64 v[16:17], v[6:7], v[32:33]
	v_fma_f64 v[3:4], v[4:5], v[46:47], v[20:21]
	v_add_f64 v[10:11], v[18:19], v[10:11]
	v_add_f64 v[12:13], v[14:15], v[12:13]
	s_waitcnt vmcnt(4)
	v_fma_f64 v[5:6], v[6:7], v[36:37], -v[22:23]
	v_fma_f64 v[7:8], v[8:9], v[36:37], v[16:17]
	v_add_f64 v[1:2], v[10:11], v[1:2]
	v_add_f64 v[3:4], v[12:13], v[3:4]
	;; [unrolled: 1-line block ×4, first 2 shown]
	s_waitcnt vmcnt(2)
	v_add_f64 v[1:2], v[44:45], -v[1:2]
	s_waitcnt vmcnt(0)
	v_add_f64 v[3:4], v[54:55], -v[3:4]
	buffer_store_dword v2, off, s[0:3], 0 offset:468
	buffer_store_dword v1, off, s[0:3], 0 offset:464
	;; [unrolled: 1-line block ×4, first 2 shown]
	v_cmpx_lt_u32_e32 27, v0
	s_cbranch_execz .LBB54_289
; %bb.288:
	v_mov_b32_e32 v4, s40
	v_mov_b32_e32 v5, 0
	s_clause 0x3
	buffer_load_dword v1, v4, s[0:3], 0 offen
	buffer_load_dword v2, v4, s[0:3], 0 offen offset:4
	buffer_load_dword v3, v4, s[0:3], 0 offen offset:8
	buffer_load_dword v4, v4, s[0:3], 0 offen offset:12
	buffer_store_dword v5, off, s[0:3], 0 offset:448
	buffer_store_dword v5, off, s[0:3], 0 offset:452
	;; [unrolled: 1-line block ×4, first 2 shown]
	s_waitcnt vmcnt(0)
	ds_write_b128 v95, v[1:4]
.LBB54_289:
	s_or_b32 exec_lo, exec_lo, s4
	s_waitcnt lgkmcnt(0)
	s_waitcnt_vscnt null, 0x0
	s_barrier
	buffer_gl0_inv
	s_clause 0x37
	buffer_load_dword v10, off, s[0:3], 0 offset:472
	buffer_load_dword v11, off, s[0:3], 0 offset:476
	;; [unrolled: 1-line block ×56, first 2 shown]
	v_mov_b32_e32 v1, 0
	s_mov_b32 s4, exec_lo
	ds_read_b128 v[2:5], v1 offset:1328
	s_clause 0x2
	buffer_load_dword v94, off, s[0:3], 0 offset:700
	buffer_load_dword v99, off, s[0:3], 0 offset:676
	;; [unrolled: 1-line block ×3, first 2 shown]
	ds_read_b128 v[6:9], v1 offset:1344
	s_clause 0x4
	buffer_load_dword v105, off, s[0:3], 0 offset:716
	buffer_load_dword v106, off, s[0:3], 0 offset:728
	;; [unrolled: 1-line block ×5, first 2 shown]
	s_waitcnt vmcnt(62) lgkmcnt(1)
	v_mul_f64 v[100:101], v[4:5], v[10:11]
	v_mul_f64 v[102:103], v[2:3], v[10:11]
	s_waitcnt vmcnt(60) lgkmcnt(0)
	v_mul_f64 v[109:110], v[8:9], v[14:15]
	ds_read_b128 v[10:13], v1 offset:1360
	v_mul_f64 v[14:15], v[6:7], v[14:15]
	s_waitcnt vmcnt(58)
	v_fma_f64 v[100:101], v[2:3], v[16:17], -v[100:101]
	v_fma_f64 v[16:17], v[4:5], v[16:17], v[102:103]
	s_clause 0x2
	buffer_load_dword v107, off, s[0:3], 0 offset:732
	buffer_load_dword v103, off, s[0:3], 0 offset:708
	;; [unrolled: 1-line block ×3, first 2 shown]
	s_waitcnt vmcnt(59) lgkmcnt(0)
	v_mul_f64 v[111:112], v[10:11], v[18:19]
	v_mul_f64 v[18:19], v[12:13], v[18:19]
	s_waitcnt vmcnt(57)
	v_fma_f64 v[113:114], v[6:7], v[20:21], -v[109:110]
	ds_read_b128 v[2:5], v1 offset:1376
	v_fma_f64 v[14:15], v[8:9], v[20:21], v[14:15]
	s_clause 0x4
	buffer_load_dword v21, off, s[0:3], 0 offset:748
	buffer_load_dword v110, off, s[0:3], 0 offset:760
	;; [unrolled: 1-line block ×5, first 2 shown]
	ds_read_b128 v[6:9], v1 offset:1392
	v_add_f64 v[100:101], v[100:101], 0
	v_add_f64 v[16:17], v[16:17], 0
	s_waitcnt vmcnt(58) lgkmcnt(1)
	v_mul_f64 v[116:117], v[2:3], v[22:23]
	v_mul_f64 v[22:23], v[4:5], v[22:23]
	s_waitcnt vmcnt(56)
	v_fma_f64 v[18:19], v[10:11], v[28:29], -v[18:19]
	v_fma_f64 v[28:29], v[12:13], v[28:29], v[111:112]
	v_add_f64 v[100:101], v[100:101], v[113:114]
	v_add_f64 v[14:15], v[16:17], v[14:15]
	s_clause 0x2
	buffer_load_dword v111, off, s[0:3], 0 offset:764
	buffer_load_dword v17, off, s[0:3], 0 offset:740
	;; [unrolled: 1-line block ×3, first 2 shown]
	s_waitcnt vmcnt(58) lgkmcnt(0)
	v_mul_f64 v[112:113], v[6:7], v[24:25]
	v_mul_f64 v[24:25], v[8:9], v[24:25]
	s_waitcnt vmcnt(56)
	v_fma_f64 v[22:23], v[2:3], v[30:31], -v[22:23]
	ds_read_b128 v[10:13], v1 offset:1408
	v_fma_f64 v[30:31], v[4:5], v[30:31], v[116:117]
	v_add_f64 v[18:19], v[100:101], v[18:19]
	v_add_f64 v[14:15], v[14:15], v[28:29]
	s_clause 0x4
	buffer_load_dword v29, off, s[0:3], 0 offset:780
	buffer_load_dword v100, off, s[0:3], 0 offset:792
	;; [unrolled: 1-line block ×5, first 2 shown]
	ds_read_b128 v[2:5], v1 offset:1424
	s_waitcnt vmcnt(57) lgkmcnt(1)
	v_mul_f64 v[118:119], v[10:11], v[32:33]
	v_mul_f64 v[32:33], v[12:13], v[32:33]
	s_waitcnt vmcnt(56)
	v_fma_f64 v[24:25], v[6:7], v[26:27], -v[24:25]
	v_add_f64 v[18:19], v[18:19], v[22:23]
	v_fma_f64 v[22:23], v[8:9], v[26:27], v[112:113]
	v_add_f64 v[14:15], v[14:15], v[30:31]
	s_clause 0x2
	buffer_load_dword v101, off, s[0:3], 0 offset:796
	buffer_load_dword v27, off, s[0:3], 0 offset:772
	;; [unrolled: 1-line block ×3, first 2 shown]
	s_waitcnt vmcnt(58) lgkmcnt(0)
	v_mul_f64 v[30:31], v[2:3], v[34:35]
	v_mul_f64 v[34:35], v[4:5], v[34:35]
	s_waitcnt vmcnt(56)
	v_fma_f64 v[32:33], v[10:11], v[38:39], -v[32:33]
	ds_read_b128 v[6:9], v1 offset:1440
	v_add_f64 v[18:19], v[18:19], v[24:25]
	v_fma_f64 v[24:25], v[12:13], v[38:39], v[118:119]
	v_add_f64 v[14:15], v[14:15], v[22:23]
	s_clause 0x4
	buffer_load_dword v23, off, s[0:3], 0 offset:812
	buffer_load_dword v38, off, s[0:3], 0 offset:824
	;; [unrolled: 1-line block ×5, first 2 shown]
	ds_read_b128 v[10:13], v1 offset:1456
	s_waitcnt vmcnt(57) lgkmcnt(1)
	v_mul_f64 v[113:114], v[6:7], v[40:41]
	v_mul_f64 v[40:41], v[8:9], v[40:41]
	s_waitcnt vmcnt(56)
	v_fma_f64 v[34:35], v[2:3], v[36:37], -v[34:35]
	v_fma_f64 v[30:31], v[4:5], v[36:37], v[30:31]
	v_add_f64 v[18:19], v[18:19], v[32:33]
	v_add_f64 v[14:15], v[14:15], v[24:25]
	s_clause 0x2
	buffer_load_dword v39, off, s[0:3], 0 offset:828
	buffer_load_dword v25, off, s[0:3], 0 offset:804
	;; [unrolled: 1-line block ×3, first 2 shown]
	s_waitcnt vmcnt(58) lgkmcnt(0)
	v_mul_f64 v[36:37], v[12:13], v[42:43]
	ds_read_b128 v[2:5], v1 offset:1472
	s_waitcnt vmcnt(56)
	v_fma_f64 v[40:41], v[6:7], v[46:47], -v[40:41]
	v_mul_f64 v[32:33], v[10:11], v[42:43]
	v_add_f64 v[18:19], v[18:19], v[34:35]
	v_fma_f64 v[34:35], v[8:9], v[46:47], v[113:114]
	v_add_f64 v[14:15], v[14:15], v[30:31]
	s_clause 0x4
	buffer_load_dword v31, off, s[0:3], 0 offset:844
	buffer_load_dword v42, off, s[0:3], 0 offset:856
	;; [unrolled: 1-line block ×5, first 2 shown]
	s_waitcnt vmcnt(57) lgkmcnt(0)
	v_mul_f64 v[119:120], v[2:3], v[48:49]
	v_mul_f64 v[47:48], v[4:5], v[48:49]
	s_waitcnt vmcnt(56)
	v_fma_f64 v[36:37], v[10:11], v[44:45], -v[36:37]
	ds_read_b128 v[6:9], v1 offset:1488
	v_fma_f64 v[32:33], v[12:13], v[44:45], v[32:33]
	v_add_f64 v[18:19], v[18:19], v[40:41]
	v_add_f64 v[14:15], v[14:15], v[34:35]
	s_clause 0x2
	buffer_load_dword v43, off, s[0:3], 0 offset:860
	buffer_load_dword v35, off, s[0:3], 0 offset:836
	;; [unrolled: 1-line block ×3, first 2 shown]
	ds_read_b128 v[10:13], v1 offset:1504
	s_waitcnt vmcnt(58) lgkmcnt(1)
	v_mul_f64 v[44:45], v[8:9], v[50:51]
	s_waitcnt vmcnt(56)
	v_fma_f64 v[48:49], v[2:3], v[54:55], -v[47:48]
	v_mul_f64 v[40:41], v[6:7], v[50:51]
	v_add_f64 v[18:19], v[18:19], v[36:37]
	v_fma_f64 v[36:37], v[4:5], v[54:55], v[119:120]
	v_add_f64 v[14:15], v[14:15], v[32:33]
	s_clause 0x4
	buffer_load_dword v33, off, s[0:3], 0 offset:876
	buffer_load_dword v50, off, s[0:3], 0 offset:888
	;; [unrolled: 1-line block ×5, first 2 shown]
	s_waitcnt vmcnt(57) lgkmcnt(0)
	v_mul_f64 v[55:56], v[10:11], v[83:84]
	v_mul_f64 v[83:84], v[12:13], v[83:84]
	s_waitcnt vmcnt(56)
	v_fma_f64 v[44:45], v[6:7], v[52:53], -v[44:45]
	ds_read_b128 v[2:5], v1 offset:1520
	v_fma_f64 v[40:41], v[8:9], v[52:53], v[40:41]
	v_add_f64 v[18:19], v[18:19], v[48:49]
	v_add_f64 v[14:15], v[14:15], v[36:37]
	s_clause 0x2
	buffer_load_dword v51, off, s[0:3], 0 offset:892
	buffer_load_dword v37, off, s[0:3], 0 offset:868
	;; [unrolled: 1-line block ×3, first 2 shown]
	ds_read_b128 v[6:9], v1 offset:1536
	s_waitcnt vmcnt(58) lgkmcnt(1)
	v_mul_f64 v[52:53], v[4:5], v[85:86]
	s_waitcnt vmcnt(56)
	v_fma_f64 v[83:84], v[10:11], v[89:90], -v[83:84]
	v_mul_f64 v[48:49], v[2:3], v[85:86]
	v_add_f64 v[18:19], v[18:19], v[44:45]
	v_fma_f64 v[44:45], v[12:13], v[89:90], v[55:56]
	v_add_f64 v[14:15], v[14:15], v[40:41]
	buffer_load_dword v55, off, s[0:3], 0 offset:884
	ds_read_b128 v[10:13], v1 offset:1552
	s_waitcnt vmcnt(53) lgkmcnt(1)
	v_mul_f64 v[85:86], v[8:9], v[91:92]
	s_waitcnt vmcnt(52)
	v_fma_f64 v[52:53], v[2:3], v[87:88], -v[52:53]
	v_mul_f64 v[40:41], v[6:7], v[91:92]
	v_fma_f64 v[48:49], v[4:5], v[87:88], v[48:49]
	ds_read_b128 v[2:5], v1 offset:1568
	v_add_f64 v[18:19], v[18:19], v[83:84]
	v_add_f64 v[14:15], v[14:15], v[44:45]
	s_waitcnt vmcnt(51) lgkmcnt(1)
	v_mul_f64 v[83:84], v[12:13], v[93:94]
	v_mul_f64 v[44:45], v[10:11], v[93:94]
	s_waitcnt vmcnt(49)
	v_fma_f64 v[85:86], v[6:7], v[98:99], -v[85:86]
	v_fma_f64 v[40:41], v[8:9], v[98:99], v[40:41]
	s_waitcnt vmcnt(45) lgkmcnt(0)
	v_mul_f64 v[89:90], v[4:5], v[104:105]
	v_mul_f64 v[87:88], v[2:3], v[104:105]
	v_add_f64 v[18:19], v[18:19], v[52:53]
	v_add_f64 v[14:15], v[14:15], v[48:49]
	s_clause 0x3
	buffer_load_dword v48, off, s[0:3], 0 offset:448
	buffer_load_dword v49, off, s[0:3], 0 offset:452
	;; [unrolled: 1-line block ×4, first 2 shown]
	s_waitcnt vmcnt(48)
	v_fma_f64 v[83:84], v[10:11], v[96:97], -v[83:84]
	ds_read_b128 v[6:9], v1 offset:1584
	v_fma_f64 v[44:45], v[12:13], v[96:97], v[44:45]
	ds_read_b128 v[10:13], v1 offset:1600
	v_add_f64 v[18:19], v[18:19], v[85:86]
	v_add_f64 v[14:15], v[14:15], v[40:41]
	s_waitcnt vmcnt(47) lgkmcnt(1)
	v_mul_f64 v[85:86], v[8:9], v[106:107]
	v_mul_f64 v[40:41], v[6:7], v[106:107]
	s_waitcnt vmcnt(45)
	v_fma_f64 v[89:90], v[2:3], v[102:103], -v[89:90]
	v_add_f64 v[18:19], v[18:19], v[83:84]
	v_fma_f64 v[83:84], v[4:5], v[102:103], v[87:88]
	v_add_f64 v[14:15], v[14:15], v[44:45]
	s_waitcnt vmcnt(41) lgkmcnt(0)
	v_mul_f64 v[44:45], v[10:11], v[20:21]
	v_mul_f64 v[20:21], v[12:13], v[20:21]
	ds_read_b128 v[2:5], v1 offset:1616
	s_waitcnt vmcnt(40)
	v_fma_f64 v[85:86], v[6:7], v[108:109], -v[85:86]
	v_fma_f64 v[40:41], v[8:9], v[108:109], v[40:41]
	ds_read_b128 v[6:9], v1 offset:1632
	v_add_f64 v[18:19], v[18:19], v[89:90]
	v_add_f64 v[14:15], v[14:15], v[83:84]
	s_waitcnt vmcnt(39) lgkmcnt(1)
	v_mul_f64 v[87:88], v[4:5], v[110:111]
	v_mul_f64 v[83:84], v[2:3], v[110:111]
	s_waitcnt vmcnt(37)
	v_fma_f64 v[20:21], v[10:11], v[16:17], -v[20:21]
	v_fma_f64 v[16:17], v[12:13], v[16:17], v[44:45]
	ds_read_b128 v[10:13], v1 offset:1648
	v_add_f64 v[18:19], v[18:19], v[85:86]
	v_add_f64 v[14:15], v[14:15], v[40:41]
	s_waitcnt vmcnt(33) lgkmcnt(1)
	v_mul_f64 v[40:41], v[6:7], v[28:29]
	v_mul_f64 v[28:29], v[8:9], v[28:29]
	s_waitcnt vmcnt(32)
	v_fma_f64 v[44:45], v[2:3], v[115:116], -v[87:88]
	v_add_f64 v[18:19], v[18:19], v[20:21]
	v_fma_f64 v[20:21], v[4:5], v[115:116], v[83:84]
	v_add_f64 v[14:15], v[14:15], v[16:17]
	ds_read_b128 v[2:5], v1 offset:1664
	s_waitcnt vmcnt(31) lgkmcnt(1)
	v_mul_f64 v[83:84], v[12:13], v[100:101]
	v_mul_f64 v[16:17], v[10:11], v[100:101]
	s_waitcnt vmcnt(29)
	v_fma_f64 v[28:29], v[6:7], v[26:27], -v[28:29]
	v_fma_f64 v[26:27], v[8:9], v[26:27], v[40:41]
	ds_read_b128 v[6:9], v1 offset:1680
	v_add_f64 v[18:19], v[18:19], v[44:45]
	v_add_f64 v[14:15], v[14:15], v[20:21]
	s_waitcnt vmcnt(25) lgkmcnt(1)
	v_mul_f64 v[20:21], v[2:3], v[22:23]
	v_mul_f64 v[22:23], v[4:5], v[22:23]
	s_waitcnt vmcnt(24)
	v_fma_f64 v[40:41], v[10:11], v[117:118], -v[83:84]
	v_fma_f64 v[16:17], v[12:13], v[117:118], v[16:17]
	ds_read_b128 v[10:13], v1 offset:1696
	v_add_f64 v[18:19], v[18:19], v[28:29]
	v_add_f64 v[14:15], v[14:15], v[26:27]
	;; [unrolled: 9-line block ×3, first 2 shown]
	s_waitcnt vmcnt(17) lgkmcnt(1)
	v_mul_f64 v[24:25], v[12:13], v[30:31]
	s_waitcnt vmcnt(16)
	v_fma_f64 v[28:29], v[6:7], v[112:113], -v[28:29]
	v_mul_f64 v[16:17], v[10:11], v[30:31]
	v_add_f64 v[18:19], v[18:19], v[22:23]
	v_fma_f64 v[22:23], v[8:9], v[112:113], v[26:27]
	v_add_f64 v[14:15], v[14:15], v[20:21]
	ds_read_b128 v[6:9], v1 offset:1728
	s_waitcnt vmcnt(15) lgkmcnt(1)
	v_mul_f64 v[26:27], v[4:5], v[42:43]
	v_mul_f64 v[20:21], v[2:3], v[42:43]
	s_waitcnt vmcnt(13)
	v_fma_f64 v[24:25], v[10:11], v[34:35], -v[24:25]
	v_fma_f64 v[16:17], v[12:13], v[34:35], v[16:17]
	ds_read_b128 v[10:13], v1 offset:1744
	v_add_f64 v[18:19], v[18:19], v[28:29]
	v_add_f64 v[14:15], v[14:15], v[22:23]
	s_waitcnt vmcnt(9) lgkmcnt(1)
	v_mul_f64 v[28:29], v[8:9], v[32:33]
	s_waitcnt vmcnt(8)
	v_fma_f64 v[2:3], v[2:3], v[46:47], -v[26:27]
	v_mul_f64 v[22:23], v[6:7], v[32:33]
	v_fma_f64 v[4:5], v[4:5], v[46:47], v[20:21]
	v_add_f64 v[18:19], v[18:19], v[24:25]
	v_add_f64 v[14:15], v[14:15], v[16:17]
	s_waitcnt vmcnt(7) lgkmcnt(0)
	v_mul_f64 v[20:21], v[12:13], v[50:51]
	v_mul_f64 v[16:17], v[10:11], v[50:51]
	s_waitcnt vmcnt(5)
	v_fma_f64 v[6:7], v[6:7], v[36:37], -v[28:29]
	v_fma_f64 v[8:9], v[8:9], v[36:37], v[22:23]
	v_add_f64 v[2:3], v[18:19], v[2:3]
	v_add_f64 v[4:5], v[14:15], v[4:5]
	s_waitcnt vmcnt(4)
	v_fma_f64 v[10:11], v[10:11], v[54:55], -v[20:21]
	v_add_f64 v[2:3], v[2:3], v[6:7]
	v_fma_f64 v[6:7], v[12:13], v[54:55], v[16:17]
	v_add_f64 v[4:5], v[4:5], v[8:9]
	v_add_f64 v[2:3], v[2:3], v[10:11]
	;; [unrolled: 1-line block ×3, first 2 shown]
	s_waitcnt vmcnt(2)
	v_add_f64 v[2:3], v[48:49], -v[2:3]
	s_waitcnt vmcnt(0)
	v_add_f64 v[4:5], v[52:53], -v[4:5]
	buffer_store_dword v3, off, s[0:3], 0 offset:452
	buffer_store_dword v2, off, s[0:3], 0 offset:448
	buffer_store_dword v5, off, s[0:3], 0 offset:460
	buffer_store_dword v4, off, s[0:3], 0 offset:456
	v_cmpx_lt_u32_e32 26, v0
	s_cbranch_execz .LBB54_291
; %bb.290:
	v_mov_b32_e32 v5, s41
	s_clause 0x3
	buffer_load_dword v2, v5, s[0:3], 0 offen
	buffer_load_dword v3, v5, s[0:3], 0 offen offset:4
	buffer_load_dword v4, v5, s[0:3], 0 offen offset:8
	;; [unrolled: 1-line block ×3, first 2 shown]
	buffer_store_dword v1, off, s[0:3], 0 offset:432
	buffer_store_dword v1, off, s[0:3], 0 offset:436
	;; [unrolled: 1-line block ×4, first 2 shown]
	s_waitcnt vmcnt(0)
	ds_write_b128 v95, v[2:5]
.LBB54_291:
	s_or_b32 exec_lo, exec_lo, s4
	s_waitcnt lgkmcnt(0)
	s_waitcnt_vscnt null, 0x0
	s_barrier
	buffer_gl0_inv
	s_clause 0x37
	buffer_load_dword v10, off, s[0:3], 0 offset:456
	buffer_load_dword v11, off, s[0:3], 0 offset:460
	;; [unrolled: 1-line block ×56, first 2 shown]
	ds_read_b128 v[2:5], v1 offset:1312
	s_clause 0x2
	buffer_load_dword v94, off, s[0:3], 0 offset:684
	buffer_load_dword v99, off, s[0:3], 0 offset:660
	;; [unrolled: 1-line block ×3, first 2 shown]
	ds_read_b128 v[6:9], v1 offset:1328
	s_clause 0x4
	buffer_load_dword v105, off, s[0:3], 0 offset:700
	buffer_load_dword v106, off, s[0:3], 0 offset:712
	;; [unrolled: 1-line block ×5, first 2 shown]
	s_mov_b32 s4, exec_lo
	s_waitcnt vmcnt(62) lgkmcnt(1)
	v_mul_f64 v[100:101], v[4:5], v[10:11]
	v_mul_f64 v[102:103], v[2:3], v[10:11]
	s_waitcnt vmcnt(60) lgkmcnt(0)
	v_mul_f64 v[109:110], v[8:9], v[14:15]
	ds_read_b128 v[10:13], v1 offset:1344
	v_mul_f64 v[14:15], v[6:7], v[14:15]
	s_waitcnt vmcnt(58)
	v_fma_f64 v[100:101], v[2:3], v[16:17], -v[100:101]
	v_fma_f64 v[16:17], v[4:5], v[16:17], v[102:103]
	s_clause 0x2
	buffer_load_dword v107, off, s[0:3], 0 offset:716
	buffer_load_dword v103, off, s[0:3], 0 offset:692
	;; [unrolled: 1-line block ×3, first 2 shown]
	s_waitcnt vmcnt(59) lgkmcnt(0)
	v_mul_f64 v[111:112], v[10:11], v[18:19]
	v_mul_f64 v[18:19], v[12:13], v[18:19]
	s_waitcnt vmcnt(57)
	v_fma_f64 v[113:114], v[6:7], v[20:21], -v[109:110]
	ds_read_b128 v[2:5], v1 offset:1360
	v_fma_f64 v[14:15], v[8:9], v[20:21], v[14:15]
	s_clause 0x4
	buffer_load_dword v21, off, s[0:3], 0 offset:732
	buffer_load_dword v110, off, s[0:3], 0 offset:744
	;; [unrolled: 1-line block ×5, first 2 shown]
	ds_read_b128 v[6:9], v1 offset:1376
	v_add_f64 v[100:101], v[100:101], 0
	v_add_f64 v[16:17], v[16:17], 0
	s_waitcnt vmcnt(58) lgkmcnt(1)
	v_mul_f64 v[116:117], v[2:3], v[22:23]
	v_mul_f64 v[22:23], v[4:5], v[22:23]
	s_waitcnt vmcnt(56)
	v_fma_f64 v[18:19], v[10:11], v[28:29], -v[18:19]
	v_fma_f64 v[28:29], v[12:13], v[28:29], v[111:112]
	v_add_f64 v[100:101], v[100:101], v[113:114]
	v_add_f64 v[14:15], v[16:17], v[14:15]
	s_clause 0x2
	buffer_load_dword v111, off, s[0:3], 0 offset:748
	buffer_load_dword v17, off, s[0:3], 0 offset:724
	;; [unrolled: 1-line block ×3, first 2 shown]
	s_waitcnt vmcnt(58) lgkmcnt(0)
	v_mul_f64 v[112:113], v[6:7], v[24:25]
	v_mul_f64 v[24:25], v[8:9], v[24:25]
	s_waitcnt vmcnt(56)
	v_fma_f64 v[22:23], v[2:3], v[30:31], -v[22:23]
	ds_read_b128 v[10:13], v1 offset:1392
	v_fma_f64 v[30:31], v[4:5], v[30:31], v[116:117]
	v_add_f64 v[18:19], v[100:101], v[18:19]
	v_add_f64 v[14:15], v[14:15], v[28:29]
	s_clause 0x4
	buffer_load_dword v29, off, s[0:3], 0 offset:764
	buffer_load_dword v100, off, s[0:3], 0 offset:776
	;; [unrolled: 1-line block ×5, first 2 shown]
	ds_read_b128 v[2:5], v1 offset:1408
	s_waitcnt vmcnt(57) lgkmcnt(1)
	v_mul_f64 v[118:119], v[10:11], v[32:33]
	v_mul_f64 v[32:33], v[12:13], v[32:33]
	s_waitcnt vmcnt(56)
	v_fma_f64 v[24:25], v[6:7], v[26:27], -v[24:25]
	v_add_f64 v[18:19], v[18:19], v[22:23]
	v_fma_f64 v[22:23], v[8:9], v[26:27], v[112:113]
	v_add_f64 v[14:15], v[14:15], v[30:31]
	s_clause 0x2
	buffer_load_dword v101, off, s[0:3], 0 offset:780
	buffer_load_dword v27, off, s[0:3], 0 offset:756
	;; [unrolled: 1-line block ×3, first 2 shown]
	s_waitcnt vmcnt(58) lgkmcnt(0)
	v_mul_f64 v[30:31], v[2:3], v[34:35]
	v_mul_f64 v[34:35], v[4:5], v[34:35]
	s_waitcnt vmcnt(56)
	v_fma_f64 v[32:33], v[10:11], v[38:39], -v[32:33]
	ds_read_b128 v[6:9], v1 offset:1424
	v_add_f64 v[18:19], v[18:19], v[24:25]
	v_fma_f64 v[24:25], v[12:13], v[38:39], v[118:119]
	v_add_f64 v[14:15], v[14:15], v[22:23]
	s_clause 0x4
	buffer_load_dword v23, off, s[0:3], 0 offset:796
	buffer_load_dword v38, off, s[0:3], 0 offset:808
	;; [unrolled: 1-line block ×5, first 2 shown]
	ds_read_b128 v[10:13], v1 offset:1440
	s_waitcnt vmcnt(57) lgkmcnt(1)
	v_mul_f64 v[113:114], v[6:7], v[40:41]
	v_mul_f64 v[40:41], v[8:9], v[40:41]
	s_waitcnt vmcnt(56)
	v_fma_f64 v[34:35], v[2:3], v[36:37], -v[34:35]
	v_fma_f64 v[30:31], v[4:5], v[36:37], v[30:31]
	v_add_f64 v[18:19], v[18:19], v[32:33]
	v_add_f64 v[14:15], v[14:15], v[24:25]
	s_clause 0x2
	buffer_load_dword v39, off, s[0:3], 0 offset:812
	buffer_load_dword v25, off, s[0:3], 0 offset:788
	;; [unrolled: 1-line block ×3, first 2 shown]
	s_waitcnt vmcnt(58) lgkmcnt(0)
	v_mul_f64 v[36:37], v[12:13], v[42:43]
	ds_read_b128 v[2:5], v1 offset:1456
	s_waitcnt vmcnt(56)
	v_fma_f64 v[40:41], v[6:7], v[46:47], -v[40:41]
	v_mul_f64 v[32:33], v[10:11], v[42:43]
	v_add_f64 v[18:19], v[18:19], v[34:35]
	v_fma_f64 v[34:35], v[8:9], v[46:47], v[113:114]
	v_add_f64 v[14:15], v[14:15], v[30:31]
	s_clause 0x4
	buffer_load_dword v31, off, s[0:3], 0 offset:828
	buffer_load_dword v42, off, s[0:3], 0 offset:840
	;; [unrolled: 1-line block ×5, first 2 shown]
	s_waitcnt vmcnt(57) lgkmcnt(0)
	v_mul_f64 v[119:120], v[2:3], v[48:49]
	v_mul_f64 v[47:48], v[4:5], v[48:49]
	s_waitcnt vmcnt(56)
	v_fma_f64 v[36:37], v[10:11], v[44:45], -v[36:37]
	ds_read_b128 v[6:9], v1 offset:1472
	v_fma_f64 v[32:33], v[12:13], v[44:45], v[32:33]
	v_add_f64 v[18:19], v[18:19], v[40:41]
	v_add_f64 v[14:15], v[14:15], v[34:35]
	s_clause 0x2
	buffer_load_dword v43, off, s[0:3], 0 offset:844
	buffer_load_dword v35, off, s[0:3], 0 offset:820
	;; [unrolled: 1-line block ×3, first 2 shown]
	ds_read_b128 v[10:13], v1 offset:1488
	s_waitcnt vmcnt(58) lgkmcnt(1)
	v_mul_f64 v[44:45], v[8:9], v[50:51]
	s_waitcnt vmcnt(56)
	v_fma_f64 v[48:49], v[2:3], v[54:55], -v[47:48]
	v_mul_f64 v[40:41], v[6:7], v[50:51]
	v_add_f64 v[18:19], v[18:19], v[36:37]
	v_fma_f64 v[36:37], v[4:5], v[54:55], v[119:120]
	v_add_f64 v[14:15], v[14:15], v[32:33]
	s_clause 0x4
	buffer_load_dword v33, off, s[0:3], 0 offset:860
	buffer_load_dword v50, off, s[0:3], 0 offset:872
	;; [unrolled: 1-line block ×5, first 2 shown]
	s_waitcnt vmcnt(57) lgkmcnt(0)
	v_mul_f64 v[55:56], v[10:11], v[83:84]
	v_mul_f64 v[83:84], v[12:13], v[83:84]
	s_waitcnt vmcnt(56)
	v_fma_f64 v[44:45], v[6:7], v[52:53], -v[44:45]
	ds_read_b128 v[2:5], v1 offset:1504
	v_fma_f64 v[40:41], v[8:9], v[52:53], v[40:41]
	v_add_f64 v[18:19], v[18:19], v[48:49]
	v_add_f64 v[14:15], v[14:15], v[36:37]
	s_clause 0x2
	buffer_load_dword v51, off, s[0:3], 0 offset:876
	buffer_load_dword v37, off, s[0:3], 0 offset:852
	;; [unrolled: 1-line block ×3, first 2 shown]
	ds_read_b128 v[6:9], v1 offset:1520
	s_waitcnt vmcnt(58) lgkmcnt(1)
	v_mul_f64 v[52:53], v[4:5], v[85:86]
	s_waitcnt vmcnt(56)
	v_fma_f64 v[83:84], v[10:11], v[89:90], -v[83:84]
	v_mul_f64 v[48:49], v[2:3], v[85:86]
	v_add_f64 v[18:19], v[18:19], v[44:45]
	v_fma_f64 v[44:45], v[12:13], v[89:90], v[55:56]
	v_add_f64 v[14:15], v[14:15], v[40:41]
	s_clause 0x2
	buffer_load_dword v41, off, s[0:3], 0 offset:892
	buffer_load_dword v40, off, s[0:3], 0 offset:888
	;; [unrolled: 1-line block ×3, first 2 shown]
	s_waitcnt vmcnt(55) lgkmcnt(0)
	v_mul_f64 v[89:90], v[8:9], v[91:92]
	s_waitcnt vmcnt(54)
	v_fma_f64 v[52:53], v[2:3], v[87:88], -v[52:53]
	ds_read_b128 v[10:13], v1 offset:1536
	v_mul_f64 v[85:86], v[6:7], v[91:92]
	v_fma_f64 v[48:49], v[4:5], v[87:88], v[48:49]
	v_add_f64 v[18:19], v[18:19], v[83:84]
	v_add_f64 v[14:15], v[14:15], v[44:45]
	s_clause 0x1
	buffer_load_dword v45, off, s[0:3], 0 offset:884
	buffer_load_dword v44, off, s[0:3], 0 offset:880
	s_waitcnt vmcnt(55) lgkmcnt(0)
	v_mul_f64 v[87:88], v[12:13], v[93:94]
	s_waitcnt vmcnt(53)
	v_fma_f64 v[89:90], v[6:7], v[98:99], -v[89:90]
	ds_read_b128 v[2:5], v1 offset:1552
	v_mul_f64 v[83:84], v[10:11], v[93:94]
	v_add_f64 v[18:19], v[18:19], v[52:53]
	v_fma_f64 v[52:53], v[8:9], v[98:99], v[85:86]
	v_add_f64 v[14:15], v[14:15], v[48:49]
	ds_read_b128 v[6:9], v1 offset:1568
	s_waitcnt vmcnt(49) lgkmcnt(1)
	v_mul_f64 v[85:86], v[4:5], v[104:105]
	s_waitcnt vmcnt(48)
	v_fma_f64 v[87:88], v[10:11], v[96:97], -v[87:88]
	v_mul_f64 v[48:49], v[2:3], v[104:105]
	v_fma_f64 v[83:84], v[12:13], v[96:97], v[83:84]
	v_add_f64 v[18:19], v[18:19], v[89:90]
	v_add_f64 v[14:15], v[14:15], v[52:53]
	s_clause 0x3
	buffer_load_dword v52, off, s[0:3], 0 offset:432
	buffer_load_dword v53, off, s[0:3], 0 offset:436
	buffer_load_dword v89, off, s[0:3], 0 offset:440
	buffer_load_dword v90, off, s[0:3], 0 offset:444
	ds_read_b128 v[10:13], v1 offset:1584
	s_waitcnt vmcnt(51) lgkmcnt(1)
	v_mul_f64 v[93:94], v[8:9], v[106:107]
	v_mul_f64 v[91:92], v[6:7], v[106:107]
	s_waitcnt vmcnt(49)
	v_fma_f64 v[85:86], v[2:3], v[102:103], -v[85:86]
	v_fma_f64 v[48:49], v[4:5], v[102:103], v[48:49]
	ds_read_b128 v[2:5], v1 offset:1600
	v_add_f64 v[18:19], v[18:19], v[87:88]
	v_add_f64 v[14:15], v[14:15], v[83:84]
	s_waitcnt vmcnt(45) lgkmcnt(1)
	v_mul_f64 v[83:84], v[10:11], v[20:21]
	v_mul_f64 v[20:21], v[12:13], v[20:21]
	s_waitcnt vmcnt(44)
	v_fma_f64 v[87:88], v[6:7], v[108:109], -v[93:94]
	v_add_f64 v[18:19], v[18:19], v[85:86]
	v_fma_f64 v[85:86], v[8:9], v[108:109], v[91:92]
	v_add_f64 v[14:15], v[14:15], v[48:49]
	ds_read_b128 v[6:9], v1 offset:1616
	s_waitcnt vmcnt(43) lgkmcnt(1)
	v_mul_f64 v[91:92], v[4:5], v[110:111]
	v_mul_f64 v[48:49], v[2:3], v[110:111]
	s_waitcnt vmcnt(41)
	v_fma_f64 v[20:21], v[10:11], v[16:17], -v[20:21]
	v_fma_f64 v[16:17], v[12:13], v[16:17], v[83:84]
	ds_read_b128 v[10:13], v1 offset:1632
	v_add_f64 v[18:19], v[18:19], v[87:88]
	v_add_f64 v[14:15], v[14:15], v[85:86]
	s_waitcnt vmcnt(37) lgkmcnt(1)
	v_mul_f64 v[83:84], v[6:7], v[28:29]
	v_mul_f64 v[28:29], v[8:9], v[28:29]
	s_waitcnt vmcnt(36)
	v_fma_f64 v[85:86], v[2:3], v[115:116], -v[91:92]
	v_add_f64 v[18:19], v[18:19], v[20:21]
	v_fma_f64 v[20:21], v[4:5], v[115:116], v[48:49]
	v_add_f64 v[14:15], v[14:15], v[16:17]
	ds_read_b128 v[2:5], v1 offset:1648
	s_waitcnt vmcnt(35) lgkmcnt(1)
	v_mul_f64 v[48:49], v[12:13], v[100:101]
	v_mul_f64 v[16:17], v[10:11], v[100:101]
	s_waitcnt vmcnt(33)
	v_fma_f64 v[28:29], v[6:7], v[26:27], -v[28:29]
	v_fma_f64 v[26:27], v[8:9], v[26:27], v[83:84]
	ds_read_b128 v[6:9], v1 offset:1664
	v_add_f64 v[18:19], v[18:19], v[85:86]
	v_add_f64 v[14:15], v[14:15], v[20:21]
	s_waitcnt vmcnt(29) lgkmcnt(1)
	v_mul_f64 v[20:21], v[2:3], v[22:23]
	v_mul_f64 v[22:23], v[4:5], v[22:23]
	s_waitcnt vmcnt(28)
	v_fma_f64 v[48:49], v[10:11], v[117:118], -v[48:49]
	v_fma_f64 v[16:17], v[12:13], v[117:118], v[16:17]
	ds_read_b128 v[10:13], v1 offset:1680
	v_add_f64 v[18:19], v[18:19], v[28:29]
	v_add_f64 v[14:15], v[14:15], v[26:27]
	;; [unrolled: 9-line block ×3, first 2 shown]
	s_waitcnt vmcnt(21) lgkmcnt(1)
	v_mul_f64 v[24:25], v[12:13], v[30:31]
	s_waitcnt vmcnt(20)
	v_fma_f64 v[28:29], v[6:7], v[112:113], -v[28:29]
	v_mul_f64 v[16:17], v[10:11], v[30:31]
	v_add_f64 v[18:19], v[18:19], v[22:23]
	v_fma_f64 v[22:23], v[8:9], v[112:113], v[26:27]
	v_add_f64 v[14:15], v[14:15], v[20:21]
	ds_read_b128 v[6:9], v1 offset:1712
	s_waitcnt vmcnt(19) lgkmcnt(1)
	v_mul_f64 v[26:27], v[4:5], v[42:43]
	v_mul_f64 v[20:21], v[2:3], v[42:43]
	s_waitcnt vmcnt(17)
	v_fma_f64 v[24:25], v[10:11], v[34:35], -v[24:25]
	v_fma_f64 v[16:17], v[12:13], v[34:35], v[16:17]
	ds_read_b128 v[10:13], v1 offset:1728
	v_add_f64 v[18:19], v[18:19], v[28:29]
	v_add_f64 v[14:15], v[14:15], v[22:23]
	s_waitcnt vmcnt(13) lgkmcnt(1)
	v_mul_f64 v[28:29], v[8:9], v[32:33]
	s_waitcnt vmcnt(12)
	v_fma_f64 v[26:27], v[2:3], v[46:47], -v[26:27]
	v_mul_f64 v[22:23], v[6:7], v[32:33]
	v_fma_f64 v[20:21], v[4:5], v[46:47], v[20:21]
	ds_read_b128 v[1:4], v1 offset:1744
	v_add_f64 v[18:19], v[18:19], v[24:25]
	v_add_f64 v[14:15], v[14:15], v[16:17]
	s_waitcnt vmcnt(11) lgkmcnt(1)
	v_mul_f64 v[24:25], v[12:13], v[50:51]
	v_mul_f64 v[16:17], v[10:11], v[50:51]
	s_waitcnt vmcnt(9)
	v_fma_f64 v[5:6], v[6:7], v[36:37], -v[28:29]
	v_fma_f64 v[7:8], v[8:9], v[36:37], v[22:23]
	v_add_f64 v[18:19], v[18:19], v[26:27]
	v_add_f64 v[14:15], v[14:15], v[20:21]
	s_waitcnt vmcnt(7) lgkmcnt(0)
	v_mul_f64 v[22:23], v[3:4], v[40:41]
	s_waitcnt vmcnt(6)
	v_fma_f64 v[9:10], v[10:11], v[54:55], -v[24:25]
	v_mul_f64 v[20:21], v[1:2], v[40:41]
	v_fma_f64 v[11:12], v[12:13], v[54:55], v[16:17]
	v_add_f64 v[5:6], v[18:19], v[5:6]
	v_add_f64 v[7:8], v[14:15], v[7:8]
	s_waitcnt vmcnt(4)
	v_fma_f64 v[1:2], v[1:2], v[44:45], -v[22:23]
	v_fma_f64 v[3:4], v[3:4], v[44:45], v[20:21]
	v_add_f64 v[5:6], v[5:6], v[9:10]
	v_add_f64 v[7:8], v[7:8], v[11:12]
	;; [unrolled: 1-line block ×4, first 2 shown]
	s_waitcnt vmcnt(2)
	v_add_f64 v[1:2], v[52:53], -v[1:2]
	s_waitcnt vmcnt(0)
	v_add_f64 v[3:4], v[89:90], -v[3:4]
	buffer_store_dword v2, off, s[0:3], 0 offset:436
	buffer_store_dword v1, off, s[0:3], 0 offset:432
	;; [unrolled: 1-line block ×4, first 2 shown]
	v_cmpx_lt_u32_e32 25, v0
	s_cbranch_execz .LBB54_293
; %bb.292:
	v_mov_b32_e32 v4, s42
	v_mov_b32_e32 v5, 0
	s_clause 0x3
	buffer_load_dword v1, v4, s[0:3], 0 offen
	buffer_load_dword v2, v4, s[0:3], 0 offen offset:4
	buffer_load_dword v3, v4, s[0:3], 0 offen offset:8
	buffer_load_dword v4, v4, s[0:3], 0 offen offset:12
	buffer_store_dword v5, off, s[0:3], 0 offset:416
	buffer_store_dword v5, off, s[0:3], 0 offset:420
	;; [unrolled: 1-line block ×4, first 2 shown]
	s_waitcnt vmcnt(0)
	ds_write_b128 v95, v[1:4]
.LBB54_293:
	s_or_b32 exec_lo, exec_lo, s4
	s_waitcnt lgkmcnt(0)
	s_waitcnt_vscnt null, 0x0
	s_barrier
	buffer_gl0_inv
	s_clause 0x37
	buffer_load_dword v9, off, s[0:3], 0 offset:440
	buffer_load_dword v10, off, s[0:3], 0 offset:444
	;; [unrolled: 1-line block ×56, first 2 shown]
	v_mov_b32_e32 v11, 0
	s_mov_b32 s4, exec_lo
	ds_read_b128 v[5:8], v11 offset:1296
	s_clause 0x2
	buffer_load_dword v97, off, s[0:3], 0 offset:668
	buffer_load_dword v101, off, s[0:3], 0 offset:644
	;; [unrolled: 1-line block ×3, first 2 shown]
	ds_read_b128 v[12:15], v11 offset:1312
	s_clause 0x4
	buffer_load_dword v105, off, s[0:3], 0 offset:684
	buffer_load_dword v106, off, s[0:3], 0 offset:696
	;; [unrolled: 1-line block ×5, first 2 shown]
	ds_read_b128 v[16:19], v11 offset:1328
	s_waitcnt vmcnt(62) lgkmcnt(2)
	v_mul_f64 v[102:103], v[7:8], v[9:10]
	v_mul_f64 v[9:10], v[5:6], v[9:10]
	s_waitcnt vmcnt(60) lgkmcnt(1)
	v_mul_f64 v[109:110], v[14:15], v[20:21]
	v_mul_f64 v[20:21], v[12:13], v[20:21]
	;; [unrolled: 3-line block ×3, first 2 shown]
	v_fma_f64 v[102:103], v[5:6], v[22:23], -v[102:103]
	v_fma_f64 v[9:10], v[7:8], v[22:23], v[9:10]
	s_clause 0x2
	buffer_load_dword v107, off, s[0:3], 0 offset:700
	buffer_load_dword v23, off, s[0:3], 0 offset:676
	;; [unrolled: 1-line block ×3, first 2 shown]
	s_waitcnt vmcnt(57)
	v_fma_f64 v[12:13], v[12:13], v[1:2], -v[109:110]
	ds_read_b128 v[5:8], v11 offset:1344
	v_fma_f64 v[14:15], v[14:15], v[1:2], v[20:21]
	s_clause 0x4
	buffer_load_dword v21, off, s[0:3], 0 offset:716
	buffer_load_dword v110, off, s[0:3], 0 offset:728
	;; [unrolled: 1-line block ×5, first 2 shown]
	s_waitcnt vmcnt(56)
	v_fma_f64 v[16:17], v[16:17], v[30:31], -v[113:114]
	ds_read_b128 v[1:4], v11 offset:1360
	v_fma_f64 v[18:19], v[18:19], v[30:31], v[111:112]
	s_clause 0x2
	buffer_load_dword v111, off, s[0:3], 0 offset:732
	buffer_load_dword v31, off, s[0:3], 0 offset:708
	;; [unrolled: 1-line block ×3, first 2 shown]
	v_add_f64 v[102:103], v[102:103], 0
	v_add_f64 v[9:10], v[9:10], 0
	s_waitcnt lgkmcnt(1)
	v_mul_f64 v[116:117], v[5:6], v[24:25]
	v_mul_f64 v[24:25], v[7:8], v[24:25]
	s_waitcnt vmcnt(58) lgkmcnt(0)
	v_mul_f64 v[112:113], v[1:2], v[26:27]
	v_mul_f64 v[26:27], v[3:4], v[26:27]
	v_add_f64 v[102:103], v[102:103], v[12:13]
	v_add_f64 v[9:10], v[9:10], v[14:15]
	ds_read_b128 v[12:15], v11 offset:1376
	s_waitcnt vmcnt(56)
	v_fma_f64 v[24:25], v[5:6], v[32:33], -v[24:25]
	v_fma_f64 v[32:33], v[7:8], v[32:33], v[116:117]
	s_waitcnt vmcnt(51)
	v_fma_f64 v[26:27], v[1:2], v[28:29], -v[26:27]
	s_waitcnt lgkmcnt(0)
	v_mul_f64 v[118:119], v[12:13], v[34:35]
	v_add_f64 v[16:17], v[102:103], v[16:17]
	v_add_f64 v[9:10], v[9:10], v[18:19]
	s_clause 0x4
	buffer_load_dword v19, off, s[0:3], 0 offset:748
	buffer_load_dword v102, off, s[0:3], 0 offset:760
	;; [unrolled: 1-line block ×5, first 2 shown]
	v_mul_f64 v[34:35], v[14:15], v[34:35]
	ds_read_b128 v[5:8], v11 offset:1392
	v_add_f64 v[16:17], v[16:17], v[24:25]
	v_fma_f64 v[24:25], v[3:4], v[28:29], v[112:113]
	v_add_f64 v[9:10], v[9:10], v[32:33]
	s_clause 0x2
	buffer_load_dword v103, off, s[0:3], 0 offset:764
	buffer_load_dword v29, off, s[0:3], 0 offset:740
	;; [unrolled: 1-line block ×3, first 2 shown]
	s_waitcnt vmcnt(58) lgkmcnt(0)
	v_mul_f64 v[32:33], v[5:6], v[36:37]
	v_mul_f64 v[36:37], v[7:8], v[36:37]
	s_waitcnt vmcnt(56)
	v_fma_f64 v[34:35], v[12:13], v[40:41], -v[34:35]
	ds_read_b128 v[1:4], v11 offset:1408
	v_add_f64 v[16:17], v[16:17], v[26:27]
	v_fma_f64 v[26:27], v[14:15], v[40:41], v[118:119]
	v_add_f64 v[9:10], v[9:10], v[24:25]
	s_clause 0x4
	buffer_load_dword v25, off, s[0:3], 0 offset:780
	buffer_load_dword v40, off, s[0:3], 0 offset:792
	;; [unrolled: 1-line block ×5, first 2 shown]
	ds_read_b128 v[12:15], v11 offset:1424
	s_waitcnt vmcnt(57) lgkmcnt(1)
	v_mul_f64 v[113:114], v[1:2], v[42:43]
	v_mul_f64 v[42:43], v[3:4], v[42:43]
	s_waitcnt vmcnt(56)
	v_fma_f64 v[36:37], v[5:6], v[38:39], -v[36:37]
	v_fma_f64 v[32:33], v[7:8], v[38:39], v[32:33]
	v_add_f64 v[16:17], v[16:17], v[34:35]
	v_add_f64 v[9:10], v[9:10], v[26:27]
	s_clause 0x2
	buffer_load_dword v41, off, s[0:3], 0 offset:796
	buffer_load_dword v27, off, s[0:3], 0 offset:772
	;; [unrolled: 1-line block ×3, first 2 shown]
	s_waitcnt vmcnt(58) lgkmcnt(0)
	v_mul_f64 v[38:39], v[14:15], v[44:45]
	ds_read_b128 v[5:8], v11 offset:1440
	s_waitcnt vmcnt(56)
	v_fma_f64 v[42:43], v[1:2], v[48:49], -v[42:43]
	v_mul_f64 v[34:35], v[12:13], v[44:45]
	v_add_f64 v[16:17], v[16:17], v[36:37]
	v_fma_f64 v[36:37], v[3:4], v[48:49], v[113:114]
	v_add_f64 v[9:10], v[9:10], v[32:33]
	s_clause 0x4
	buffer_load_dword v33, off, s[0:3], 0 offset:812
	buffer_load_dword v44, off, s[0:3], 0 offset:824
	buffer_load_dword v48, off, s[0:3], 0 offset:816
	buffer_load_dword v32, off, s[0:3], 0 offset:808
	buffer_load_dword v113, off, s[0:3], 0 offset:788
	s_waitcnt vmcnt(57) lgkmcnt(0)
	v_mul_f64 v[119:120], v[5:6], v[50:51]
	v_mul_f64 v[49:50], v[7:8], v[50:51]
	s_waitcnt vmcnt(56)
	v_fma_f64 v[38:39], v[12:13], v[46:47], -v[38:39]
	ds_read_b128 v[1:4], v11 offset:1456
	v_fma_f64 v[34:35], v[14:15], v[46:47], v[34:35]
	v_add_f64 v[16:17], v[16:17], v[42:43]
	v_add_f64 v[9:10], v[9:10], v[36:37]
	s_clause 0x2
	buffer_load_dword v45, off, s[0:3], 0 offset:828
	buffer_load_dword v37, off, s[0:3], 0 offset:804
	buffer_load_dword v36, off, s[0:3], 0 offset:800
	ds_read_b128 v[12:15], v11 offset:1472
	s_waitcnt vmcnt(58) lgkmcnt(1)
	v_mul_f64 v[46:47], v[3:4], v[52:53]
	s_waitcnt vmcnt(56)
	v_fma_f64 v[50:51], v[5:6], v[83:84], -v[49:50]
	v_mul_f64 v[42:43], v[1:2], v[52:53]
	v_add_f64 v[16:17], v[16:17], v[38:39]
	v_fma_f64 v[38:39], v[7:8], v[83:84], v[119:120]
	v_add_f64 v[9:10], v[9:10], v[34:35]
	s_clause 0x4
	buffer_load_dword v35, off, s[0:3], 0 offset:844
	buffer_load_dword v52, off, s[0:3], 0 offset:856
	buffer_load_dword v83, off, s[0:3], 0 offset:848
	buffer_load_dword v34, off, s[0:3], 0 offset:840
	buffer_load_dword v49, off, s[0:3], 0 offset:820
	s_waitcnt vmcnt(57) lgkmcnt(0)
	v_mul_f64 v[119:120], v[12:13], v[85:86]
	v_mul_f64 v[84:85], v[14:15], v[85:86]
	s_waitcnt vmcnt(56)
	v_fma_f64 v[46:47], v[1:2], v[54:55], -v[46:47]
	ds_read_b128 v[5:8], v11 offset:1488
	v_fma_f64 v[42:43], v[3:4], v[54:55], v[42:43]
	v_add_f64 v[16:17], v[16:17], v[50:51]
	v_add_f64 v[9:10], v[9:10], v[38:39]
	s_clause 0x2
	buffer_load_dword v53, off, s[0:3], 0 offset:860
	buffer_load_dword v39, off, s[0:3], 0 offset:836
	buffer_load_dword v38, off, s[0:3], 0 offset:832
	ds_read_b128 v[1:4], v11 offset:1504
	s_waitcnt vmcnt(58) lgkmcnt(1)
	v_mul_f64 v[54:55], v[7:8], v[87:88]
	;; [unrolled: 28-line block ×3, first 2 shown]
	s_waitcnt vmcnt(56)
	v_fma_f64 v[93:94], v[1:2], v[100:101], -v[92:93]
	v_mul_f64 v[85:86], v[12:13], v[96:97]
	buffer_load_dword v92, off, s[0:3], 0 offset:884
	v_add_f64 v[16:17], v[16:17], v[54:55]
	v_fma_f64 v[54:55], v[3:4], v[100:101], v[119:120]
	v_add_f64 v[9:10], v[9:10], v[50:51]
	ds_read_b128 v[1:4], v11 offset:1552
	s_waitcnt vmcnt(53) lgkmcnt(1)
	v_mul_f64 v[96:97], v[7:8], v[104:105]
	s_waitcnt vmcnt(52)
	v_fma_f64 v[89:90], v[12:13], v[98:99], -v[89:90]
	v_mul_f64 v[50:51], v[5:6], v[104:105]
	v_fma_f64 v[85:86], v[14:15], v[98:99], v[85:86]
	ds_read_b128 v[12:15], v11 offset:1568
	v_add_f64 v[16:17], v[16:17], v[93:94]
	v_add_f64 v[9:10], v[9:10], v[54:55]
	s_waitcnt vmcnt(51) lgkmcnt(1)
	v_mul_f64 v[93:94], v[3:4], v[106:107]
	v_mul_f64 v[54:55], v[1:2], v[106:107]
	s_waitcnt vmcnt(49)
	v_fma_f64 v[96:97], v[5:6], v[22:23], -v[96:97]
	v_fma_f64 v[22:23], v[7:8], v[22:23], v[50:51]
	v_add_f64 v[16:17], v[16:17], v[89:90]
	s_waitcnt vmcnt(45) lgkmcnt(0)
	v_mul_f64 v[89:90], v[12:13], v[20:21]
	v_add_f64 v[9:10], v[9:10], v[85:86]
	s_clause 0x3
	buffer_load_dword v50, off, s[0:3], 0 offset:416
	buffer_load_dword v51, off, s[0:3], 0 offset:420
	;; [unrolled: 1-line block ×4, first 2 shown]
	v_mul_f64 v[20:21], v[14:15], v[20:21]
	ds_read_b128 v[5:8], v11 offset:1584
	s_waitcnt vmcnt(48)
	v_fma_f64 v[93:94], v[1:2], v[108:109], -v[93:94]
	v_fma_f64 v[54:55], v[3:4], v[108:109], v[54:55]
	ds_read_b128 v[1:4], v11 offset:1600
	v_add_f64 v[16:17], v[16:17], v[96:97]
	v_add_f64 v[9:10], v[9:10], v[22:23]
	s_waitcnt vmcnt(47) lgkmcnt(1)
	v_mul_f64 v[96:97], v[7:8], v[110:111]
	s_waitcnt vmcnt(45)
	v_fma_f64 v[20:21], v[12:13], v[30:31], -v[20:21]
	v_mul_f64 v[22:23], v[5:6], v[110:111]
	v_fma_f64 v[30:31], v[14:15], v[30:31], v[89:90]
	ds_read_b128 v[12:15], v11 offset:1616
	v_add_f64 v[16:17], v[16:17], v[93:94]
	v_add_f64 v[9:10], v[9:10], v[54:55]
	s_waitcnt vmcnt(41) lgkmcnt(1)
	v_mul_f64 v[54:55], v[1:2], v[18:19]
	v_mul_f64 v[18:19], v[3:4], v[18:19]
	s_waitcnt vmcnt(40)
	v_fma_f64 v[89:90], v[5:6], v[115:116], -v[96:97]
	v_add_f64 v[16:17], v[16:17], v[20:21]
	v_fma_f64 v[20:21], v[7:8], v[115:116], v[22:23]
	v_add_f64 v[9:10], v[9:10], v[30:31]
	ds_read_b128 v[5:8], v11 offset:1632
	s_waitcnt vmcnt(39) lgkmcnt(1)
	v_mul_f64 v[30:31], v[14:15], v[102:103]
	v_mul_f64 v[22:23], v[12:13], v[102:103]
	s_waitcnt vmcnt(37)
	v_fma_f64 v[18:19], v[1:2], v[28:29], -v[18:19]
	v_fma_f64 v[28:29], v[3:4], v[28:29], v[54:55]
	ds_read_b128 v[1:4], v11 offset:1648
	v_add_f64 v[16:17], v[16:17], v[89:90]
	v_add_f64 v[9:10], v[9:10], v[20:21]
	s_waitcnt vmcnt(33) lgkmcnt(1)
	v_mul_f64 v[20:21], v[5:6], v[24:25]
	v_mul_f64 v[24:25], v[7:8], v[24:25]
	s_waitcnt vmcnt(32)
	v_fma_f64 v[30:31], v[12:13], v[117:118], -v[30:31]
	v_add_f64 v[16:17], v[16:17], v[18:19]
	v_fma_f64 v[18:19], v[14:15], v[117:118], v[22:23]
	v_add_f64 v[9:10], v[9:10], v[28:29]
	ds_read_b128 v[12:15], v11 offset:1664
	s_waitcnt vmcnt(31) lgkmcnt(1)
	v_mul_f64 v[28:29], v[3:4], v[40:41]
	v_mul_f64 v[22:23], v[1:2], v[40:41]
	s_waitcnt vmcnt(29)
	v_fma_f64 v[24:25], v[5:6], v[26:27], -v[24:25]
	v_fma_f64 v[20:21], v[7:8], v[26:27], v[20:21]
	ds_read_b128 v[5:8], v11 offset:1680
	v_add_f64 v[16:17], v[16:17], v[30:31]
	v_add_f64 v[9:10], v[9:10], v[18:19]
	s_waitcnt vmcnt(25) lgkmcnt(1)
	v_mul_f64 v[26:27], v[14:15], v[32:33]
	s_waitcnt vmcnt(24)
	v_fma_f64 v[28:29], v[1:2], v[112:113], -v[28:29]
	v_mul_f64 v[18:19], v[12:13], v[32:33]
	v_fma_f64 v[22:23], v[3:4], v[112:113], v[22:23]
	ds_read_b128 v[1:4], v11 offset:1696
	v_add_f64 v[16:17], v[16:17], v[24:25]
	v_add_f64 v[9:10], v[9:10], v[20:21]
	s_waitcnt vmcnt(23) lgkmcnt(1)
	v_mul_f64 v[24:25], v[7:8], v[44:45]
	v_mul_f64 v[20:21], v[5:6], v[44:45]
	s_waitcnt vmcnt(21)
	v_fma_f64 v[26:27], v[12:13], v[36:37], -v[26:27]
	v_fma_f64 v[18:19], v[14:15], v[36:37], v[18:19]
	ds_read_b128 v[12:15], v11 offset:1712
	v_add_f64 v[16:17], v[16:17], v[28:29]
	v_add_f64 v[9:10], v[9:10], v[22:23]
	s_waitcnt vmcnt(17) lgkmcnt(1)
	v_mul_f64 v[28:29], v[3:4], v[34:35]
	s_waitcnt vmcnt(16)
	v_fma_f64 v[24:25], v[5:6], v[48:49], -v[24:25]
	v_mul_f64 v[22:23], v[1:2], v[34:35]
	v_fma_f64 v[20:21], v[7:8], v[48:49], v[20:21]
	ds_read_b128 v[5:8], v11 offset:1728
	v_add_f64 v[16:17], v[16:17], v[26:27]
	v_add_f64 v[9:10], v[9:10], v[18:19]
	s_waitcnt vmcnt(15) lgkmcnt(1)
	v_mul_f64 v[26:27], v[14:15], v[52:53]
	v_mul_f64 v[18:19], v[12:13], v[52:53]
	s_waitcnt vmcnt(13)
	v_fma_f64 v[28:29], v[1:2], v[38:39], -v[28:29]
	v_fma_f64 v[22:23], v[3:4], v[38:39], v[22:23]
	ds_read_b128 v[1:4], v11 offset:1744
	v_add_f64 v[16:17], v[16:17], v[24:25]
	v_add_f64 v[9:10], v[9:10], v[20:21]
	s_waitcnt vmcnt(9) lgkmcnt(1)
	v_mul_f64 v[24:25], v[7:8], v[42:43]
	s_waitcnt vmcnt(8)
	v_fma_f64 v[12:13], v[12:13], v[83:84], -v[26:27]
	v_mul_f64 v[20:21], v[5:6], v[42:43]
	v_fma_f64 v[14:15], v[14:15], v[83:84], v[18:19]
	v_add_f64 v[16:17], v[16:17], v[28:29]
	v_add_f64 v[9:10], v[9:10], v[22:23]
	s_waitcnt vmcnt(7) lgkmcnt(0)
	v_mul_f64 v[22:23], v[3:4], v[87:88]
	v_mul_f64 v[18:19], v[1:2], v[87:88]
	s_waitcnt vmcnt(5)
	v_fma_f64 v[5:6], v[5:6], v[46:47], -v[24:25]
	v_fma_f64 v[7:8], v[7:8], v[46:47], v[20:21]
	v_add_f64 v[12:13], v[16:17], v[12:13]
	v_add_f64 v[9:10], v[9:10], v[14:15]
	s_waitcnt vmcnt(4)
	v_fma_f64 v[1:2], v[1:2], v[91:92], -v[22:23]
	v_fma_f64 v[3:4], v[3:4], v[91:92], v[18:19]
	v_add_f64 v[5:6], v[12:13], v[5:6]
	v_add_f64 v[7:8], v[9:10], v[7:8]
	;; [unrolled: 1-line block ×4, first 2 shown]
	s_waitcnt vmcnt(2)
	v_add_f64 v[1:2], v[50:51], -v[1:2]
	s_waitcnt vmcnt(0)
	v_add_f64 v[3:4], v[85:86], -v[3:4]
	buffer_store_dword v2, off, s[0:3], 0 offset:420
	buffer_store_dword v1, off, s[0:3], 0 offset:416
	;; [unrolled: 1-line block ×4, first 2 shown]
	v_cmpx_lt_u32_e32 24, v0
	s_cbranch_execz .LBB54_295
; %bb.294:
	v_mov_b32_e32 v4, s43
	s_clause 0x3
	buffer_load_dword v1, v4, s[0:3], 0 offen
	buffer_load_dword v2, v4, s[0:3], 0 offen offset:4
	buffer_load_dword v3, v4, s[0:3], 0 offen offset:8
	buffer_load_dword v4, v4, s[0:3], 0 offen offset:12
	buffer_store_dword v11, off, s[0:3], 0 offset:400
	buffer_store_dword v11, off, s[0:3], 0 offset:404
	;; [unrolled: 1-line block ×4, first 2 shown]
	s_waitcnt vmcnt(0)
	ds_write_b128 v95, v[1:4]
.LBB54_295:
	s_or_b32 exec_lo, exec_lo, s4
	s_waitcnt lgkmcnt(0)
	s_waitcnt_vscnt null, 0x0
	s_barrier
	buffer_gl0_inv
	s_clause 0x37
	buffer_load_dword v9, off, s[0:3], 0 offset:424
	buffer_load_dword v10, off, s[0:3], 0 offset:428
	;; [unrolled: 1-line block ×56, first 2 shown]
	ds_read_b128 v[12:15], v11 offset:1280
	s_clause 0x2
	buffer_load_dword v97, off, s[0:3], 0 offset:652
	buffer_load_dword v101, off, s[0:3], 0 offset:628
	;; [unrolled: 1-line block ×3, first 2 shown]
	ds_read_b128 v[16:19], v11 offset:1296
	s_clause 0x4
	buffer_load_dword v105, off, s[0:3], 0 offset:668
	buffer_load_dword v106, off, s[0:3], 0 offset:680
	;; [unrolled: 1-line block ×5, first 2 shown]
	ds_read_b128 v[20:23], v11 offset:1312
	s_clause 0x2
	buffer_load_dword v107, off, s[0:3], 0 offset:684
	buffer_load_dword v112, off, s[0:3], 0 offset:660
	;; [unrolled: 1-line block ×3, first 2 shown]
	s_mov_b32 s4, exec_lo
	s_waitcnt vmcnt(62) lgkmcnt(2)
	v_mul_f64 v[102:103], v[14:15], v[9:10]
	v_mul_f64 v[9:10], v[12:13], v[9:10]
	s_waitcnt lgkmcnt(1)
	v_mul_f64 v[109:110], v[18:19], v[5:6]
	s_waitcnt vmcnt(59) lgkmcnt(0)
	v_mul_f64 v[113:114], v[22:23], v[3:4]
	v_fma_f64 v[12:13], v[12:13], v[7:8], -v[102:103]
	v_mul_f64 v[102:103], v[16:17], v[5:6]
	v_fma_f64 v[9:10], v[14:15], v[7:8], v[9:10]
	s_waitcnt vmcnt(57)
	v_fma_f64 v[16:17], v[16:17], v[1:2], -v[109:110]
	ds_read_b128 v[5:8], v11 offset:1328
	v_mul_f64 v[14:15], v[20:21], v[3:4]
	s_waitcnt vmcnt(51)
	v_fma_f64 v[20:21], v[20:21], v[30:31], -v[113:114]
	v_add_f64 v[12:13], v[12:13], 0
	v_fma_f64 v[18:19], v[18:19], v[1:2], v[102:103]
	v_add_f64 v[9:10], v[9:10], 0
	s_clause 0x4
	buffer_load_dword v103, off, s[0:3], 0 offset:700
	buffer_load_dword v115, off, s[0:3], 0 offset:712
	;; [unrolled: 1-line block ×5, first 2 shown]
	s_waitcnt lgkmcnt(0)
	v_mul_f64 v[118:119], v[5:6], v[24:25]
	v_mul_f64 v[24:25], v[7:8], v[24:25]
	ds_read_b128 v[1:4], v11 offset:1344
	v_fma_f64 v[22:23], v[22:23], v[30:31], v[14:15]
	v_add_f64 v[16:17], v[12:13], v[16:17]
	v_add_f64 v[9:10], v[9:10], v[18:19]
	s_clause 0x2
	buffer_load_dword v116, off, s[0:3], 0 offset:716
	buffer_load_dword v19, off, s[0:3], 0 offset:692
	;; [unrolled: 1-line block ×3, first 2 shown]
	s_waitcnt vmcnt(58) lgkmcnt(0)
	v_mul_f64 v[30:31], v[1:2], v[26:27]
	v_mul_f64 v[26:27], v[3:4], v[26:27]
	s_waitcnt vmcnt(56)
	v_fma_f64 v[24:25], v[5:6], v[32:33], -v[24:25]
	ds_read_b128 v[12:15], v11 offset:1360
	v_add_f64 v[16:17], v[16:17], v[20:21]
	v_fma_f64 v[20:21], v[7:8], v[32:33], v[118:119]
	v_add_f64 v[9:10], v[9:10], v[22:23]
	s_clause 0x4
	buffer_load_dword v23, off, s[0:3], 0 offset:732
	buffer_load_dword v32, off, s[0:3], 0 offset:744
	;; [unrolled: 1-line block ×5, first 2 shown]
	ds_read_b128 v[5:8], v11 offset:1376
	s_waitcnt vmcnt(57) lgkmcnt(1)
	v_mul_f64 v[119:120], v[12:13], v[34:35]
	v_mul_f64 v[34:35], v[14:15], v[34:35]
	s_waitcnt vmcnt(56)
	v_fma_f64 v[26:27], v[1:2], v[28:29], -v[26:27]
	v_add_f64 v[16:17], v[16:17], v[24:25]
	v_fma_f64 v[24:25], v[3:4], v[28:29], v[30:31]
	v_add_f64 v[9:10], v[9:10], v[20:21]
	s_clause 0x2
	buffer_load_dword v33, off, s[0:3], 0 offset:748
	buffer_load_dword v21, off, s[0:3], 0 offset:724
	;; [unrolled: 1-line block ×3, first 2 shown]
	s_waitcnt vmcnt(58) lgkmcnt(0)
	v_mul_f64 v[30:31], v[7:8], v[36:37]
	ds_read_b128 v[1:4], v11 offset:1392
	s_waitcnt vmcnt(56)
	v_fma_f64 v[34:35], v[12:13], v[40:41], -v[34:35]
	v_mul_f64 v[28:29], v[5:6], v[36:37]
	v_add_f64 v[16:17], v[16:17], v[26:27]
	v_fma_f64 v[26:27], v[14:15], v[40:41], v[119:120]
	v_add_f64 v[9:10], v[9:10], v[24:25]
	s_clause 0x4
	buffer_load_dword v25, off, s[0:3], 0 offset:764
	buffer_load_dword v36, off, s[0:3], 0 offset:776
	buffer_load_dword v40, off, s[0:3], 0 offset:768
	buffer_load_dword v24, off, s[0:3], 0 offset:760
	buffer_load_dword v114, off, s[0:3], 0 offset:740
	s_waitcnt vmcnt(57) lgkmcnt(0)
	v_mul_f64 v[119:120], v[1:2], v[42:43]
	v_mul_f64 v[41:42], v[3:4], v[42:43]
	s_waitcnt vmcnt(56)
	v_fma_f64 v[30:31], v[5:6], v[38:39], -v[30:31]
	ds_read_b128 v[12:15], v11 offset:1408
	v_fma_f64 v[28:29], v[7:8], v[38:39], v[28:29]
	v_add_f64 v[16:17], v[16:17], v[34:35]
	v_add_f64 v[9:10], v[9:10], v[26:27]
	s_clause 0x2
	buffer_load_dword v37, off, s[0:3], 0 offset:780
	buffer_load_dword v27, off, s[0:3], 0 offset:756
	buffer_load_dword v26, off, s[0:3], 0 offset:752
	ds_read_b128 v[5:8], v11 offset:1424
	s_waitcnt vmcnt(58) lgkmcnt(1)
	v_mul_f64 v[38:39], v[14:15], v[44:45]
	s_waitcnt vmcnt(56)
	v_fma_f64 v[42:43], v[1:2], v[48:49], -v[41:42]
	v_mul_f64 v[34:35], v[12:13], v[44:45]
	v_add_f64 v[16:17], v[16:17], v[30:31]
	v_fma_f64 v[30:31], v[3:4], v[48:49], v[119:120]
	v_add_f64 v[9:10], v[9:10], v[28:29]
	s_clause 0x4
	buffer_load_dword v29, off, s[0:3], 0 offset:796
	buffer_load_dword v44, off, s[0:3], 0 offset:808
	buffer_load_dword v48, off, s[0:3], 0 offset:800
	buffer_load_dword v28, off, s[0:3], 0 offset:792
	buffer_load_dword v41, off, s[0:3], 0 offset:772
	s_waitcnt vmcnt(57) lgkmcnt(0)
	v_mul_f64 v[119:120], v[5:6], v[50:51]
	v_mul_f64 v[49:50], v[7:8], v[50:51]
	s_waitcnt vmcnt(56)
	v_fma_f64 v[38:39], v[12:13], v[46:47], -v[38:39]
	ds_read_b128 v[1:4], v11 offset:1440
	v_fma_f64 v[34:35], v[14:15], v[46:47], v[34:35]
	v_add_f64 v[16:17], v[16:17], v[42:43]
	v_add_f64 v[9:10], v[9:10], v[30:31]
	s_clause 0x2
	buffer_load_dword v45, off, s[0:3], 0 offset:812
	buffer_load_dword v31, off, s[0:3], 0 offset:788
	buffer_load_dword v30, off, s[0:3], 0 offset:784
	ds_read_b128 v[12:15], v11 offset:1456
	s_waitcnt vmcnt(58) lgkmcnt(1)
	v_mul_f64 v[46:47], v[3:4], v[52:53]
	s_waitcnt vmcnt(56)
	v_fma_f64 v[50:51], v[5:6], v[83:84], -v[49:50]
	v_mul_f64 v[42:43], v[1:2], v[52:53]
	v_add_f64 v[16:17], v[16:17], v[38:39]
	v_fma_f64 v[38:39], v[7:8], v[83:84], v[119:120]
	v_add_f64 v[9:10], v[9:10], v[34:35]
	s_clause 0x4
	buffer_load_dword v35, off, s[0:3], 0 offset:828
	buffer_load_dword v52, off, s[0:3], 0 offset:840
	buffer_load_dword v83, off, s[0:3], 0 offset:832
	buffer_load_dword v34, off, s[0:3], 0 offset:824
	buffer_load_dword v49, off, s[0:3], 0 offset:804
	s_waitcnt vmcnt(57) lgkmcnt(0)
	v_mul_f64 v[119:120], v[12:13], v[85:86]
	v_mul_f64 v[84:85], v[14:15], v[85:86]
	s_waitcnt vmcnt(56)
	v_fma_f64 v[46:47], v[1:2], v[54:55], -v[46:47]
	ds_read_b128 v[5:8], v11 offset:1472
	v_fma_f64 v[42:43], v[3:4], v[54:55], v[42:43]
	v_add_f64 v[16:17], v[16:17], v[50:51]
	v_add_f64 v[9:10], v[9:10], v[38:39]
	s_clause 0x2
	buffer_load_dword v53, off, s[0:3], 0 offset:844
	buffer_load_dword v39, off, s[0:3], 0 offset:820
	buffer_load_dword v38, off, s[0:3], 0 offset:816
	ds_read_b128 v[1:4], v11 offset:1488
	s_waitcnt vmcnt(58) lgkmcnt(1)
	v_mul_f64 v[54:55], v[7:8], v[87:88]
	s_waitcnt vmcnt(56)
	v_fma_f64 v[85:86], v[12:13], v[91:92], -v[84:85]
	v_mul_f64 v[50:51], v[5:6], v[87:88]
	v_add_f64 v[16:17], v[16:17], v[46:47]
	v_fma_f64 v[46:47], v[14:15], v[91:92], v[119:120]
	v_add_f64 v[9:10], v[9:10], v[42:43]
	s_clause 0x4
	buffer_load_dword v43, off, s[0:3], 0 offset:860
	buffer_load_dword v87, off, s[0:3], 0 offset:872
	buffer_load_dword v91, off, s[0:3], 0 offset:864
	buffer_load_dword v42, off, s[0:3], 0 offset:856
	buffer_load_dword v84, off, s[0:3], 0 offset:836
	s_waitcnt vmcnt(57) lgkmcnt(0)
	v_mul_f64 v[119:120], v[1:2], v[93:94]
	v_mul_f64 v[92:93], v[3:4], v[93:94]
	s_waitcnt vmcnt(56)
	v_fma_f64 v[54:55], v[5:6], v[89:90], -v[54:55]
	ds_read_b128 v[12:15], v11 offset:1504
	v_fma_f64 v[50:51], v[7:8], v[89:90], v[50:51]
	v_add_f64 v[16:17], v[16:17], v[85:86]
	v_add_f64 v[9:10], v[9:10], v[46:47]
	s_clause 0x2
	buffer_load_dword v88, off, s[0:3], 0 offset:876
	buffer_load_dword v47, off, s[0:3], 0 offset:852
	buffer_load_dword v46, off, s[0:3], 0 offset:848
	ds_read_b128 v[5:8], v11 offset:1520
	s_waitcnt vmcnt(58) lgkmcnt(1)
	v_mul_f64 v[89:90], v[14:15], v[96:97]
	s_waitcnt vmcnt(56)
	v_fma_f64 v[93:94], v[1:2], v[100:101], -v[92:93]
	v_mul_f64 v[85:86], v[12:13], v[96:97]
	v_add_f64 v[16:17], v[16:17], v[54:55]
	v_fma_f64 v[54:55], v[3:4], v[100:101], v[119:120]
	v_add_f64 v[9:10], v[9:10], v[50:51]
	s_clause 0x2
	buffer_load_dword v51, off, s[0:3], 0 offset:892
	buffer_load_dword v50, off, s[0:3], 0 offset:888
	;; [unrolled: 1-line block ×3, first 2 shown]
	s_waitcnt vmcnt(55) lgkmcnt(0)
	v_mul_f64 v[100:101], v[7:8], v[104:105]
	s_waitcnt vmcnt(54)
	v_fma_f64 v[89:90], v[12:13], v[98:99], -v[89:90]
	ds_read_b128 v[1:4], v11 offset:1536
	v_mul_f64 v[96:97], v[5:6], v[104:105]
	v_fma_f64 v[85:86], v[14:15], v[98:99], v[85:86]
	v_add_f64 v[16:17], v[16:17], v[93:94]
	v_add_f64 v[9:10], v[9:10], v[54:55]
	s_clause 0x1
	buffer_load_dword v55, off, s[0:3], 0 offset:884
	buffer_load_dword v54, off, s[0:3], 0 offset:880
	s_waitcnt vmcnt(55) lgkmcnt(0)
	v_mul_f64 v[98:99], v[3:4], v[106:107]
	s_waitcnt vmcnt(53)
	v_fma_f64 v[100:101], v[5:6], v[111:112], -v[100:101]
	ds_read_b128 v[12:15], v11 offset:1552
	v_mul_f64 v[93:94], v[1:2], v[106:107]
	v_add_f64 v[16:17], v[16:17], v[89:90]
	v_fma_f64 v[89:90], v[7:8], v[111:112], v[96:97]
	v_add_f64 v[9:10], v[9:10], v[85:86]
	ds_read_b128 v[5:8], v11 offset:1568
	s_waitcnt vmcnt(49) lgkmcnt(1)
	v_mul_f64 v[96:97], v[14:15], v[102:103]
	s_waitcnt vmcnt(48)
	v_fma_f64 v[98:99], v[1:2], v[108:109], -v[98:99]
	v_mul_f64 v[85:86], v[12:13], v[102:103]
	v_fma_f64 v[93:94], v[3:4], v[108:109], v[93:94]
	v_add_f64 v[16:17], v[16:17], v[100:101]
	v_add_f64 v[9:10], v[9:10], v[89:90]
	s_clause 0x3
	buffer_load_dword v89, off, s[0:3], 0 offset:400
	buffer_load_dword v90, off, s[0:3], 0 offset:404
	buffer_load_dword v100, off, s[0:3], 0 offset:408
	buffer_load_dword v101, off, s[0:3], 0 offset:412
	ds_read_b128 v[1:4], v11 offset:1584
	s_waitcnt vmcnt(51) lgkmcnt(1)
	v_mul_f64 v[104:105], v[7:8], v[115:116]
	v_mul_f64 v[102:103], v[5:6], v[115:116]
	s_waitcnt vmcnt(49)
	v_fma_f64 v[96:97], v[12:13], v[18:19], -v[96:97]
	v_fma_f64 v[18:19], v[14:15], v[18:19], v[85:86]
	ds_read_b128 v[12:15], v11 offset:1600
	v_add_f64 v[16:17], v[16:17], v[98:99]
	v_add_f64 v[9:10], v[9:10], v[93:94]
	s_waitcnt vmcnt(45) lgkmcnt(1)
	v_mul_f64 v[85:86], v[1:2], v[22:23]
	v_mul_f64 v[22:23], v[3:4], v[22:23]
	s_waitcnt vmcnt(44)
	v_fma_f64 v[93:94], v[5:6], v[117:118], -v[104:105]
	v_add_f64 v[16:17], v[16:17], v[96:97]
	v_fma_f64 v[96:97], v[7:8], v[117:118], v[102:103]
	v_add_f64 v[9:10], v[9:10], v[18:19]
	ds_read_b128 v[5:8], v11 offset:1616
	s_waitcnt vmcnt(43) lgkmcnt(1)
	v_mul_f64 v[18:19], v[12:13], v[32:33]
	v_mul_f64 v[32:33], v[14:15], v[32:33]
	s_waitcnt vmcnt(41)
	v_fma_f64 v[22:23], v[1:2], v[20:21], -v[22:23]
	v_fma_f64 v[20:21], v[3:4], v[20:21], v[85:86]
	ds_read_b128 v[1:4], v11 offset:1632
	v_add_f64 v[16:17], v[16:17], v[93:94]
	v_add_f64 v[9:10], v[9:10], v[96:97]
	s_waitcnt vmcnt(37) lgkmcnt(1)
	v_mul_f64 v[85:86], v[5:6], v[24:25]
	v_mul_f64 v[24:25], v[7:8], v[24:25]
	s_waitcnt vmcnt(36)
	v_fma_f64 v[32:33], v[12:13], v[113:114], -v[32:33]
	v_fma_f64 v[18:19], v[14:15], v[113:114], v[18:19]
	ds_read_b128 v[12:15], v11 offset:1648
	v_add_f64 v[16:17], v[16:17], v[22:23]
	v_add_f64 v[9:10], v[9:10], v[20:21]
	;; [unrolled: 9-line block ×5, first 2 shown]
	s_waitcnt vmcnt(21) lgkmcnt(1)
	v_mul_f64 v[22:23], v[3:4], v[34:35]
	s_waitcnt vmcnt(20)
	v_fma_f64 v[26:27], v[5:6], v[48:49], -v[26:27]
	v_mul_f64 v[20:21], v[1:2], v[34:35]
	v_fma_f64 v[24:25], v[7:8], v[48:49], v[24:25]
	ds_read_b128 v[5:8], v11 offset:1712
	v_add_f64 v[16:17], v[16:17], v[28:29]
	v_add_f64 v[9:10], v[9:10], v[18:19]
	s_waitcnt vmcnt(19) lgkmcnt(1)
	v_mul_f64 v[28:29], v[14:15], v[52:53]
	v_mul_f64 v[18:19], v[12:13], v[52:53]
	s_waitcnt vmcnt(17)
	v_fma_f64 v[22:23], v[1:2], v[38:39], -v[22:23]
	v_fma_f64 v[20:21], v[3:4], v[38:39], v[20:21]
	ds_read_b128 v[1:4], v11 offset:1728
	v_add_f64 v[16:17], v[16:17], v[26:27]
	v_add_f64 v[9:10], v[9:10], v[24:25]
	s_waitcnt vmcnt(13) lgkmcnt(1)
	v_mul_f64 v[26:27], v[7:8], v[42:43]
	s_waitcnt vmcnt(12)
	v_fma_f64 v[28:29], v[12:13], v[83:84], -v[28:29]
	v_mul_f64 v[24:25], v[5:6], v[42:43]
	v_fma_f64 v[13:14], v[14:15], v[83:84], v[18:19]
	v_add_f64 v[16:17], v[16:17], v[22:23]
	v_add_f64 v[18:19], v[9:10], v[20:21]
	ds_read_b128 v[9:12], v11 offset:1744
	s_waitcnt vmcnt(11) lgkmcnt(1)
	v_mul_f64 v[22:23], v[3:4], v[87:88]
	v_mul_f64 v[20:21], v[1:2], v[87:88]
	s_waitcnt vmcnt(9)
	v_fma_f64 v[5:6], v[5:6], v[46:47], -v[26:27]
	v_fma_f64 v[7:8], v[7:8], v[46:47], v[24:25]
	v_add_f64 v[15:16], v[16:17], v[28:29]
	v_add_f64 v[13:14], v[18:19], v[13:14]
	s_waitcnt vmcnt(7) lgkmcnt(0)
	v_mul_f64 v[24:25], v[11:12], v[50:51]
	s_waitcnt vmcnt(6)
	v_fma_f64 v[1:2], v[1:2], v[91:92], -v[22:23]
	v_mul_f64 v[17:18], v[9:10], v[50:51]
	v_fma_f64 v[3:4], v[3:4], v[91:92], v[20:21]
	v_add_f64 v[5:6], v[15:16], v[5:6]
	v_add_f64 v[7:8], v[13:14], v[7:8]
	s_waitcnt vmcnt(4)
	v_fma_f64 v[9:10], v[9:10], v[54:55], -v[24:25]
	v_add_f64 v[1:2], v[5:6], v[1:2]
	v_fma_f64 v[5:6], v[11:12], v[54:55], v[17:18]
	v_add_f64 v[3:4], v[7:8], v[3:4]
	v_add_f64 v[1:2], v[1:2], v[9:10]
	;; [unrolled: 1-line block ×3, first 2 shown]
	s_waitcnt vmcnt(2)
	v_add_f64 v[1:2], v[89:90], -v[1:2]
	s_waitcnt vmcnt(0)
	v_add_f64 v[3:4], v[100:101], -v[3:4]
	buffer_store_dword v2, off, s[0:3], 0 offset:404
	buffer_store_dword v1, off, s[0:3], 0 offset:400
	;; [unrolled: 1-line block ×4, first 2 shown]
	v_cmpx_lt_u32_e32 23, v0
	s_cbranch_execz .LBB54_297
; %bb.296:
	v_mov_b32_e32 v4, s44
	v_mov_b32_e32 v5, 0
	s_clause 0x3
	buffer_load_dword v1, v4, s[0:3], 0 offen
	buffer_load_dword v2, v4, s[0:3], 0 offen offset:4
	buffer_load_dword v3, v4, s[0:3], 0 offen offset:8
	buffer_load_dword v4, v4, s[0:3], 0 offen offset:12
	buffer_store_dword v5, off, s[0:3], 0 offset:384
	buffer_store_dword v5, off, s[0:3], 0 offset:388
	;; [unrolled: 1-line block ×4, first 2 shown]
	s_waitcnt vmcnt(0)
	ds_write_b128 v95, v[1:4]
.LBB54_297:
	s_or_b32 exec_lo, exec_lo, s4
	s_waitcnt lgkmcnt(0)
	s_waitcnt_vscnt null, 0x0
	s_barrier
	buffer_gl0_inv
	s_clause 0x37
	buffer_load_dword v9, off, s[0:3], 0 offset:408
	buffer_load_dword v10, off, s[0:3], 0 offset:412
	;; [unrolled: 1-line block ×56, first 2 shown]
	v_mov_b32_e32 v29, 0
	s_mov_b32 s4, exec_lo
	ds_read_b128 v[17:20], v29 offset:1264
	s_clause 0x2
	buffer_load_dword v97, off, s[0:3], 0 offset:636
	buffer_load_dword v101, off, s[0:3], 0 offset:612
	;; [unrolled: 1-line block ×3, first 2 shown]
	ds_read_b128 v[21:24], v29 offset:1280
	s_clause 0x4
	buffer_load_dword v105, off, s[0:3], 0 offset:652
	buffer_load_dword v106, off, s[0:3], 0 offset:664
	;; [unrolled: 1-line block ×5, first 2 shown]
	ds_read_b128 v[25:28], v29 offset:1296
	s_clause 0x2
	buffer_load_dword v107, off, s[0:3], 0 offset:668
	buffer_load_dword v112, off, s[0:3], 0 offset:644
	;; [unrolled: 1-line block ×3, first 2 shown]
	s_waitcnt vmcnt(62) lgkmcnt(2)
	v_mul_f64 v[102:103], v[19:20], v[9:10]
	v_mul_f64 v[9:10], v[17:18], v[9:10]
	s_waitcnt lgkmcnt(1)
	v_mul_f64 v[109:110], v[23:24], v[5:6]
	s_waitcnt vmcnt(59) lgkmcnt(0)
	v_mul_f64 v[113:114], v[27:28], v[3:4]
	v_fma_f64 v[17:18], v[17:18], v[7:8], -v[102:103]
	v_mul_f64 v[102:103], v[21:22], v[5:6]
	v_fma_f64 v[9:10], v[19:20], v[7:8], v[9:10]
	s_waitcnt vmcnt(57)
	v_fma_f64 v[21:22], v[21:22], v[1:2], -v[109:110]
	ds_read_b128 v[5:8], v29 offset:1312
	v_mul_f64 v[19:20], v[25:26], v[3:4]
	s_waitcnt vmcnt(51)
	v_fma_f64 v[25:26], v[25:26], v[32:33], -v[113:114]
	v_add_f64 v[17:18], v[17:18], 0
	v_fma_f64 v[23:24], v[23:24], v[1:2], v[102:103]
	v_add_f64 v[9:10], v[9:10], 0
	s_clause 0x4
	buffer_load_dword v103, off, s[0:3], 0 offset:684
	buffer_load_dword v115, off, s[0:3], 0 offset:696
	;; [unrolled: 1-line block ×5, first 2 shown]
	s_waitcnt lgkmcnt(0)
	v_mul_f64 v[118:119], v[5:6], v[13:14]
	v_mul_f64 v[13:14], v[7:8], v[13:14]
	ds_read_b128 v[1:4], v29 offset:1328
	v_fma_f64 v[27:28], v[27:28], v[32:33], v[19:20]
	v_add_f64 v[21:22], v[17:18], v[21:22]
	v_add_f64 v[9:10], v[9:10], v[23:24]
	s_clause 0x2
	buffer_load_dword v116, off, s[0:3], 0 offset:700
	buffer_load_dword v24, off, s[0:3], 0 offset:676
	;; [unrolled: 1-line block ×3, first 2 shown]
	s_waitcnt vmcnt(58) lgkmcnt(0)
	v_mul_f64 v[32:33], v[1:2], v[30:31]
	v_mul_f64 v[30:31], v[3:4], v[30:31]
	s_waitcnt vmcnt(56)
	v_fma_f64 v[13:14], v[5:6], v[34:35], -v[13:14]
	ds_read_b128 v[17:20], v29 offset:1344
	v_add_f64 v[21:22], v[21:22], v[25:26]
	v_fma_f64 v[25:26], v[7:8], v[34:35], v[118:119]
	v_add_f64 v[9:10], v[9:10], v[27:28]
	s_clause 0x4
	buffer_load_dword v28, off, s[0:3], 0 offset:716
	buffer_load_dword v34, off, s[0:3], 0 offset:728
	;; [unrolled: 1-line block ×5, first 2 shown]
	ds_read_b128 v[5:8], v29 offset:1360
	s_waitcnt vmcnt(57) lgkmcnt(1)
	v_mul_f64 v[119:120], v[17:18], v[36:37]
	v_mul_f64 v[36:37], v[19:20], v[36:37]
	s_waitcnt vmcnt(56)
	v_fma_f64 v[30:31], v[1:2], v[11:12], -v[30:31]
	v_fma_f64 v[11:12], v[3:4], v[11:12], v[32:33]
	v_add_f64 v[13:14], v[21:22], v[13:14]
	s_clause 0x2
	buffer_load_dword v35, off, s[0:3], 0 offset:732
	buffer_load_dword v22, off, s[0:3], 0 offset:708
	;; [unrolled: 1-line block ×3, first 2 shown]
	v_add_f64 v[9:10], v[9:10], v[25:26]
	s_waitcnt vmcnt(58) lgkmcnt(0)
	v_mul_f64 v[32:33], v[7:8], v[38:39]
	ds_read_b128 v[1:4], v29 offset:1376
	v_mul_f64 v[25:26], v[5:6], v[38:39]
	s_waitcnt vmcnt(56)
	v_fma_f64 v[17:18], v[17:18], v[40:41], -v[36:37]
	v_fma_f64 v[19:20], v[19:20], v[40:41], v[119:120]
	s_clause 0x4
	buffer_load_dword v37, off, s[0:3], 0 offset:748
	buffer_load_dword v38, off, s[0:3], 0 offset:760
	;; [unrolled: 1-line block ×5, first 2 shown]
	v_add_f64 v[13:14], v[13:14], v[30:31]
	v_add_f64 v[30:31], v[9:10], v[11:12]
	s_waitcnt vmcnt(57) lgkmcnt(0)
	v_mul_f64 v[119:120], v[1:2], v[42:43]
	v_mul_f64 v[41:42], v[3:4], v[42:43]
	s_waitcnt vmcnt(56)
	v_fma_f64 v[32:33], v[5:6], v[15:16], -v[32:33]
	ds_read_b128 v[9:12], v29 offset:1392
	v_fma_f64 v[15:16], v[7:8], v[15:16], v[25:26]
	v_add_f64 v[13:14], v[13:14], v[17:18]
	v_add_f64 v[17:18], v[30:31], v[19:20]
	s_clause 0x2
	buffer_load_dword v39, off, s[0:3], 0 offset:764
	buffer_load_dword v20, off, s[0:3], 0 offset:740
	;; [unrolled: 1-line block ×3, first 2 shown]
	s_waitcnt vmcnt(58) lgkmcnt(0)
	v_mul_f64 v[30:31], v[11:12], v[44:45]
	s_waitcnt vmcnt(56)
	v_fma_f64 v[42:43], v[1:2], v[48:49], -v[41:42]
	ds_read_b128 v[5:8], v29 offset:1408
	v_mul_f64 v[25:26], v[9:10], v[44:45]
	v_add_f64 v[13:14], v[13:14], v[32:33]
	v_fma_f64 v[32:33], v[3:4], v[48:49], v[119:120]
	v_add_f64 v[15:16], v[17:18], v[15:16]
	s_clause 0x4
	buffer_load_dword v18, off, s[0:3], 0 offset:780
	buffer_load_dword v44, off, s[0:3], 0 offset:792
	buffer_load_dword v48, off, s[0:3], 0 offset:784
	buffer_load_dword v17, off, s[0:3], 0 offset:776
	buffer_load_dword v41, off, s[0:3], 0 offset:756
	s_waitcnt vmcnt(57) lgkmcnt(0)
	v_mul_f64 v[119:120], v[5:6], v[50:51]
	v_mul_f64 v[49:50], v[7:8], v[50:51]
	s_waitcnt vmcnt(56)
	v_fma_f64 v[30:31], v[9:10], v[46:47], -v[30:31]
	ds_read_b128 v[1:4], v29 offset:1424
	v_fma_f64 v[25:26], v[11:12], v[46:47], v[25:26]
	v_add_f64 v[13:14], v[13:14], v[42:43]
	v_add_f64 v[15:16], v[15:16], v[32:33]
	s_clause 0x2
	buffer_load_dword v45, off, s[0:3], 0 offset:796
	buffer_load_dword v33, off, s[0:3], 0 offset:772
	buffer_load_dword v32, off, s[0:3], 0 offset:768
	ds_read_b128 v[9:12], v29 offset:1440
	s_waitcnt vmcnt(58) lgkmcnt(1)
	v_mul_f64 v[46:47], v[3:4], v[52:53]
	s_waitcnt vmcnt(56)
	v_fma_f64 v[50:51], v[5:6], v[83:84], -v[49:50]
	v_mul_f64 v[42:43], v[1:2], v[52:53]
	v_add_f64 v[13:14], v[13:14], v[30:31]
	v_fma_f64 v[30:31], v[7:8], v[83:84], v[119:120]
	v_add_f64 v[15:16], v[15:16], v[25:26]
	s_clause 0x4
	buffer_load_dword v26, off, s[0:3], 0 offset:812
	buffer_load_dword v52, off, s[0:3], 0 offset:824
	buffer_load_dword v83, off, s[0:3], 0 offset:816
	buffer_load_dword v25, off, s[0:3], 0 offset:808
	buffer_load_dword v49, off, s[0:3], 0 offset:788
	s_waitcnt vmcnt(57) lgkmcnt(0)
	v_mul_f64 v[119:120], v[9:10], v[85:86]
	v_mul_f64 v[84:85], v[11:12], v[85:86]
	s_waitcnt vmcnt(56)
	v_fma_f64 v[46:47], v[1:2], v[54:55], -v[46:47]
	ds_read_b128 v[5:8], v29 offset:1456
	v_fma_f64 v[42:43], v[3:4], v[54:55], v[42:43]
	v_add_f64 v[13:14], v[13:14], v[50:51]
	v_add_f64 v[15:16], v[15:16], v[30:31]
	s_clause 0x2
	buffer_load_dword v53, off, s[0:3], 0 offset:828
	buffer_load_dword v31, off, s[0:3], 0 offset:804
	buffer_load_dword v30, off, s[0:3], 0 offset:800
	ds_read_b128 v[1:4], v29 offset:1472
	s_waitcnt vmcnt(58) lgkmcnt(1)
	v_mul_f64 v[54:55], v[7:8], v[87:88]
	s_waitcnt vmcnt(56)
	v_fma_f64 v[85:86], v[9:10], v[91:92], -v[84:85]
	;; [unrolled: 28-line block ×4, first 2 shown]
	v_mul_f64 v[93:94], v[1:2], v[106:107]
	buffer_load_dword v101, off, s[0:3], 0 offset:884
	v_add_f64 v[13:14], v[13:14], v[89:90]
	v_fma_f64 v[89:90], v[7:8], v[111:112], v[119:120]
	v_add_f64 v[15:16], v[15:16], v[85:86]
	ds_read_b128 v[5:8], v29 offset:1552
	s_waitcnt vmcnt(53) lgkmcnt(1)
	v_mul_f64 v[85:86], v[9:10], v[102:103]
	v_mul_f64 v[102:103], v[11:12], v[102:103]
	s_waitcnt vmcnt(52)
	v_fma_f64 v[98:99], v[1:2], v[108:109], -v[98:99]
	v_fma_f64 v[93:94], v[3:4], v[108:109], v[93:94]
	ds_read_b128 v[1:4], v29 offset:1568
	v_add_f64 v[13:14], v[13:14], v[104:105]
	v_add_f64 v[15:16], v[15:16], v[89:90]
	s_waitcnt vmcnt(51) lgkmcnt(1)
	v_mul_f64 v[104:105], v[7:8], v[115:116]
	v_mul_f64 v[89:90], v[5:6], v[115:116]
	s_waitcnt vmcnt(49)
	v_fma_f64 v[102:103], v[9:10], v[23:24], -v[102:103]
	v_fma_f64 v[23:24], v[11:12], v[23:24], v[85:86]
	v_add_f64 v[13:14], v[13:14], v[98:99]
	v_add_f64 v[15:16], v[15:16], v[93:94]
	s_clause 0x3
	buffer_load_dword v85, off, s[0:3], 0 offset:384
	buffer_load_dword v86, off, s[0:3], 0 offset:388
	;; [unrolled: 1-line block ×4, first 2 shown]
	ds_read_b128 v[9:12], v29 offset:1584
	s_waitcnt vmcnt(49) lgkmcnt(1)
	v_mul_f64 v[98:99], v[1:2], v[27:28]
	v_mul_f64 v[27:28], v[3:4], v[27:28]
	s_waitcnt vmcnt(48)
	v_fma_f64 v[104:105], v[5:6], v[117:118], -v[104:105]
	v_fma_f64 v[89:90], v[7:8], v[117:118], v[89:90]
	ds_read_b128 v[5:8], v29 offset:1600
	v_add_f64 v[13:14], v[13:14], v[102:103]
	v_add_f64 v[15:16], v[15:16], v[23:24]
	s_waitcnt vmcnt(47) lgkmcnt(1)
	v_mul_f64 v[23:24], v[9:10], v[34:35]
	v_mul_f64 v[34:35], v[11:12], v[34:35]
	s_waitcnt vmcnt(45)
	v_fma_f64 v[27:28], v[1:2], v[21:22], -v[27:28]
	v_fma_f64 v[21:22], v[3:4], v[21:22], v[98:99]
	ds_read_b128 v[1:4], v29 offset:1616
	v_add_f64 v[13:14], v[13:14], v[104:105]
	v_add_f64 v[15:16], v[15:16], v[89:90]
	s_waitcnt vmcnt(41) lgkmcnt(1)
	v_mul_f64 v[89:90], v[5:6], v[36:37]
	v_mul_f64 v[36:37], v[7:8], v[36:37]
	s_waitcnt vmcnt(40)
	v_fma_f64 v[23:24], v[11:12], v[113:114], v[23:24]
	v_fma_f64 v[34:35], v[9:10], v[113:114], -v[34:35]
	ds_read_b128 v[9:12], v29 offset:1632
	v_add_f64 v[13:14], v[13:14], v[27:28]
	v_add_f64 v[15:16], v[15:16], v[21:22]
	s_waitcnt vmcnt(39) lgkmcnt(1)
	v_mul_f64 v[27:28], v[3:4], v[38:39]
	v_mul_f64 v[21:22], v[1:2], v[38:39]
	s_waitcnt vmcnt(37)
	v_fma_f64 v[36:37], v[5:6], v[19:20], -v[36:37]
	v_fma_f64 v[19:20], v[7:8], v[19:20], v[89:90]
	ds_read_b128 v[5:8], v29 offset:1648
	v_add_f64 v[13:14], v[13:14], v[34:35]
	v_add_f64 v[15:16], v[15:16], v[23:24]
	s_waitcnt vmcnt(33) lgkmcnt(1)
	v_mul_f64 v[23:24], v[9:10], v[17:18]
	v_mul_f64 v[17:18], v[11:12], v[17:18]
	s_waitcnt vmcnt(32)
	v_fma_f64 v[27:28], v[1:2], v[40:41], -v[27:28]
	v_fma_f64 v[21:22], v[3:4], v[40:41], v[21:22]
	;; [unrolled: 9-line block ×3, first 2 shown]
	ds_read_b128 v[9:12], v29 offset:1680
	v_add_f64 v[13:14], v[13:14], v[27:28]
	v_add_f64 v[15:16], v[15:16], v[21:22]
	s_waitcnt vmcnt(25) lgkmcnt(1)
	v_mul_f64 v[21:22], v[1:2], v[25:26]
	v_mul_f64 v[25:26], v[3:4], v[25:26]
	s_waitcnt vmcnt(24)
	v_fma_f64 v[27:28], v[5:6], v[48:49], -v[34:35]
	v_add_f64 v[13:14], v[13:14], v[17:18]
	v_fma_f64 v[17:18], v[7:8], v[48:49], v[19:20]
	v_add_f64 v[15:16], v[15:16], v[23:24]
	ds_read_b128 v[5:8], v29 offset:1696
	s_waitcnt vmcnt(23) lgkmcnt(1)
	v_mul_f64 v[23:24], v[11:12], v[52:53]
	v_mul_f64 v[19:20], v[9:10], v[52:53]
	s_waitcnt vmcnt(21)
	v_fma_f64 v[25:26], v[1:2], v[30:31], -v[25:26]
	v_fma_f64 v[21:22], v[3:4], v[30:31], v[21:22]
	ds_read_b128 v[1:4], v29 offset:1712
	v_add_f64 v[13:14], v[13:14], v[27:28]
	v_add_f64 v[15:16], v[15:16], v[17:18]
	s_waitcnt vmcnt(17) lgkmcnt(1)
	v_mul_f64 v[27:28], v[7:8], v[42:43]
	s_waitcnt vmcnt(16)
	v_fma_f64 v[23:24], v[9:10], v[83:84], -v[23:24]
	v_mul_f64 v[17:18], v[5:6], v[42:43]
	v_fma_f64 v[19:20], v[11:12], v[83:84], v[19:20]
	ds_read_b128 v[9:12], v29 offset:1728
	v_add_f64 v[13:14], v[13:14], v[25:26]
	v_add_f64 v[15:16], v[15:16], v[21:22]
	s_waitcnt vmcnt(15) lgkmcnt(1)
	v_mul_f64 v[25:26], v[3:4], v[87:88]
	v_mul_f64 v[21:22], v[1:2], v[87:88]
	s_waitcnt vmcnt(13)
	v_fma_f64 v[27:28], v[5:6], v[46:47], -v[27:28]
	v_fma_f64 v[17:18], v[7:8], v[46:47], v[17:18]
	ds_read_b128 v[5:8], v29 offset:1744
	v_add_f64 v[13:14], v[13:14], v[23:24]
	v_add_f64 v[15:16], v[15:16], v[19:20]
	s_waitcnt vmcnt(9) lgkmcnt(1)
	v_mul_f64 v[23:24], v[11:12], v[50:51]
	s_waitcnt vmcnt(8)
	v_fma_f64 v[1:2], v[1:2], v[91:92], -v[25:26]
	v_mul_f64 v[19:20], v[9:10], v[50:51]
	v_fma_f64 v[3:4], v[3:4], v[91:92], v[21:22]
	v_add_f64 v[13:14], v[13:14], v[27:28]
	v_add_f64 v[15:16], v[15:16], v[17:18]
	s_waitcnt vmcnt(7) lgkmcnt(0)
	v_mul_f64 v[21:22], v[7:8], v[96:97]
	v_mul_f64 v[17:18], v[5:6], v[96:97]
	s_waitcnt vmcnt(5)
	v_fma_f64 v[9:10], v[9:10], v[54:55], -v[23:24]
	v_fma_f64 v[11:12], v[11:12], v[54:55], v[19:20]
	v_add_f64 v[1:2], v[13:14], v[1:2]
	v_add_f64 v[3:4], v[15:16], v[3:4]
	s_waitcnt vmcnt(4)
	v_fma_f64 v[5:6], v[5:6], v[100:101], -v[21:22]
	v_fma_f64 v[7:8], v[7:8], v[100:101], v[17:18]
	v_add_f64 v[1:2], v[1:2], v[9:10]
	v_add_f64 v[3:4], v[3:4], v[11:12]
	;; [unrolled: 1-line block ×4, first 2 shown]
	s_waitcnt vmcnt(2)
	v_add_f64 v[1:2], v[85:86], -v[1:2]
	s_waitcnt vmcnt(0)
	v_add_f64 v[3:4], v[93:94], -v[3:4]
	buffer_store_dword v2, off, s[0:3], 0 offset:388
	buffer_store_dword v1, off, s[0:3], 0 offset:384
	;; [unrolled: 1-line block ×4, first 2 shown]
	v_cmpx_lt_u32_e32 22, v0
	s_cbranch_execz .LBB54_299
; %bb.298:
	v_mov_b32_e32 v4, s45
	s_clause 0x3
	buffer_load_dword v1, v4, s[0:3], 0 offen
	buffer_load_dword v2, v4, s[0:3], 0 offen offset:4
	buffer_load_dword v3, v4, s[0:3], 0 offen offset:8
	;; [unrolled: 1-line block ×3, first 2 shown]
	buffer_store_dword v29, off, s[0:3], 0 offset:368
	buffer_store_dword v29, off, s[0:3], 0 offset:372
	;; [unrolled: 1-line block ×4, first 2 shown]
	s_waitcnt vmcnt(0)
	ds_write_b128 v95, v[1:4]
.LBB54_299:
	s_or_b32 exec_lo, exec_lo, s4
	s_waitcnt lgkmcnt(0)
	s_waitcnt_vscnt null, 0x0
	s_barrier
	buffer_gl0_inv
	s_clause 0x37
	buffer_load_dword v9, off, s[0:3], 0 offset:392
	buffer_load_dword v10, off, s[0:3], 0 offset:396
	;; [unrolled: 1-line block ×56, first 2 shown]
	ds_read_b128 v[30:33], v29 offset:1248
	s_clause 0x2
	buffer_load_dword v97, off, s[0:3], 0 offset:620
	buffer_load_dword v101, off, s[0:3], 0 offset:596
	;; [unrolled: 1-line block ×3, first 2 shown]
	ds_read_b128 v[34:37], v29 offset:1264
	s_clause 0x4
	buffer_load_dword v105, off, s[0:3], 0 offset:636
	buffer_load_dword v106, off, s[0:3], 0 offset:648
	;; [unrolled: 1-line block ×5, first 2 shown]
	ds_read_b128 v[38:41], v29 offset:1280
	s_clause 0x2
	buffer_load_dword v107, off, s[0:3], 0 offset:652
	buffer_load_dword v112, off, s[0:3], 0 offset:628
	;; [unrolled: 1-line block ×3, first 2 shown]
	s_mov_b32 s4, exec_lo
	s_waitcnt vmcnt(62) lgkmcnt(2)
	v_mul_f64 v[102:103], v[32:33], v[9:10]
	v_mul_f64 v[9:10], v[30:31], v[9:10]
	s_waitcnt lgkmcnt(1)
	v_mul_f64 v[109:110], v[36:37], v[5:6]
	s_waitcnt vmcnt(59) lgkmcnt(0)
	v_mul_f64 v[113:114], v[40:41], v[3:4]
	v_fma_f64 v[30:31], v[30:31], v[7:8], -v[102:103]
	v_mul_f64 v[102:103], v[34:35], v[5:6]
	v_fma_f64 v[9:10], v[32:33], v[7:8], v[9:10]
	s_waitcnt vmcnt(57)
	v_fma_f64 v[34:35], v[34:35], v[1:2], -v[109:110]
	ds_read_b128 v[5:8], v29 offset:1296
	v_mul_f64 v[32:33], v[38:39], v[3:4]
	s_waitcnt vmcnt(51)
	v_fma_f64 v[38:39], v[38:39], v[25:26], -v[113:114]
	v_add_f64 v[30:31], v[30:31], 0
	v_fma_f64 v[36:37], v[36:37], v[1:2], v[102:103]
	v_add_f64 v[9:10], v[9:10], 0
	s_clause 0x4
	buffer_load_dword v103, off, s[0:3], 0 offset:668
	buffer_load_dword v115, off, s[0:3], 0 offset:680
	;; [unrolled: 1-line block ×5, first 2 shown]
	s_waitcnt lgkmcnt(0)
	v_mul_f64 v[118:119], v[5:6], v[13:14]
	v_mul_f64 v[13:14], v[7:8], v[13:14]
	ds_read_b128 v[1:4], v29 offset:1312
	v_fma_f64 v[25:26], v[40:41], v[25:26], v[32:33]
	v_add_f64 v[34:35], v[30:31], v[34:35]
	v_add_f64 v[9:10], v[9:10], v[36:37]
	s_clause 0x2
	buffer_load_dword v116, off, s[0:3], 0 offset:684
	buffer_load_dword v37, off, s[0:3], 0 offset:660
	;; [unrolled: 1-line block ×3, first 2 shown]
	s_waitcnt vmcnt(58) lgkmcnt(0)
	v_mul_f64 v[40:41], v[1:2], v[17:18]
	v_mul_f64 v[17:18], v[3:4], v[17:18]
	s_waitcnt vmcnt(56)
	v_fma_f64 v[13:14], v[5:6], v[19:20], -v[13:14]
	ds_read_b128 v[30:33], v29 offset:1328
	v_fma_f64 v[19:20], v[7:8], v[19:20], v[118:119]
	v_add_f64 v[34:35], v[34:35], v[38:39]
	v_add_f64 v[9:10], v[9:10], v[25:26]
	s_clause 0x4
	buffer_load_dword v26, off, s[0:3], 0 offset:700
	buffer_load_dword v38, off, s[0:3], 0 offset:712
	;; [unrolled: 1-line block ×5, first 2 shown]
	ds_read_b128 v[5:8], v29 offset:1344
	s_waitcnt vmcnt(57) lgkmcnt(1)
	v_mul_f64 v[119:120], v[30:31], v[21:22]
	v_mul_f64 v[21:22], v[32:33], v[21:22]
	s_waitcnt vmcnt(56)
	v_fma_f64 v[17:18], v[1:2], v[11:12], -v[17:18]
	v_fma_f64 v[11:12], v[3:4], v[11:12], v[40:41]
	v_add_f64 v[13:14], v[34:35], v[13:14]
	v_add_f64 v[9:10], v[9:10], v[19:20]
	s_clause 0x2
	buffer_load_dword v39, off, s[0:3], 0 offset:716
	buffer_load_dword v20, off, s[0:3], 0 offset:692
	;; [unrolled: 1-line block ×3, first 2 shown]
	s_waitcnt vmcnt(58) lgkmcnt(0)
	v_mul_f64 v[34:35], v[5:6], v[27:28]
	v_mul_f64 v[27:28], v[7:8], v[27:28]
	s_waitcnt vmcnt(56)
	v_fma_f64 v[21:22], v[30:31], v[42:43], -v[21:22]
	ds_read_b128 v[1:4], v29 offset:1360
	v_add_f64 v[13:14], v[13:14], v[17:18]
	v_fma_f64 v[17:18], v[32:33], v[42:43], v[119:120]
	v_add_f64 v[30:31], v[9:10], v[11:12]
	s_clause 0x4
	buffer_load_dword v33, off, s[0:3], 0 offset:732
	buffer_load_dword v40, off, s[0:3], 0 offset:744
	;; [unrolled: 1-line block ×5, first 2 shown]
	ds_read_b128 v[9:12], v29 offset:1376
	s_waitcnt vmcnt(57) lgkmcnt(1)
	v_mul_f64 v[119:120], v[1:2], v[44:45]
	v_mul_f64 v[43:44], v[3:4], v[44:45]
	s_waitcnt vmcnt(56)
	v_fma_f64 v[27:28], v[5:6], v[15:16], -v[27:28]
	v_fma_f64 v[15:16], v[7:8], v[15:16], v[34:35]
	v_add_f64 v[13:14], v[13:14], v[21:22]
	s_clause 0x2
	buffer_load_dword v41, off, s[0:3], 0 offset:748
	buffer_load_dword v22, off, s[0:3], 0 offset:724
	;; [unrolled: 1-line block ×3, first 2 shown]
	v_add_f64 v[17:18], v[30:31], v[17:18]
	s_waitcnt vmcnt(58) lgkmcnt(0)
	v_mul_f64 v[34:35], v[11:12], v[46:47]
	ds_read_b128 v[5:8], v29 offset:1392
	v_mul_f64 v[30:31], v[9:10], v[46:47]
	s_waitcnt vmcnt(56)
	v_fma_f64 v[44:45], v[1:2], v[48:49], -v[43:44]
	v_add_f64 v[13:14], v[13:14], v[27:28]
	v_fma_f64 v[27:28], v[3:4], v[48:49], v[119:120]
	v_add_f64 v[15:16], v[17:18], v[15:16]
	s_clause 0x4
	buffer_load_dword v18, off, s[0:3], 0 offset:764
	buffer_load_dword v46, off, s[0:3], 0 offset:776
	buffer_load_dword v48, off, s[0:3], 0 offset:768
	buffer_load_dword v17, off, s[0:3], 0 offset:760
	buffer_load_dword v43, off, s[0:3], 0 offset:740
	s_waitcnt vmcnt(57) lgkmcnt(0)
	v_mul_f64 v[119:120], v[5:6], v[50:51]
	v_mul_f64 v[49:50], v[7:8], v[50:51]
	s_waitcnt vmcnt(56)
	v_fma_f64 v[34:35], v[9:10], v[23:24], -v[34:35]
	ds_read_b128 v[1:4], v29 offset:1408
	v_fma_f64 v[23:24], v[11:12], v[23:24], v[30:31]
	v_add_f64 v[13:14], v[13:14], v[44:45]
	v_add_f64 v[15:16], v[15:16], v[27:28]
	s_clause 0x2
	buffer_load_dword v47, off, s[0:3], 0 offset:780
	buffer_load_dword v28, off, s[0:3], 0 offset:756
	buffer_load_dword v27, off, s[0:3], 0 offset:752
	ds_read_b128 v[9:12], v29 offset:1424
	s_waitcnt vmcnt(58) lgkmcnt(1)
	v_mul_f64 v[44:45], v[3:4], v[52:53]
	s_waitcnt vmcnt(56)
	v_fma_f64 v[50:51], v[5:6], v[83:84], -v[49:50]
	v_mul_f64 v[30:31], v[1:2], v[52:53]
	v_add_f64 v[13:14], v[13:14], v[34:35]
	v_fma_f64 v[34:35], v[7:8], v[83:84], v[119:120]
	v_add_f64 v[15:16], v[15:16], v[23:24]
	s_clause 0x4
	buffer_load_dword v24, off, s[0:3], 0 offset:796
	buffer_load_dword v52, off, s[0:3], 0 offset:808
	buffer_load_dword v83, off, s[0:3], 0 offset:800
	buffer_load_dword v23, off, s[0:3], 0 offset:792
	buffer_load_dword v49, off, s[0:3], 0 offset:772
	s_waitcnt vmcnt(57) lgkmcnt(0)
	v_mul_f64 v[119:120], v[9:10], v[85:86]
	v_mul_f64 v[84:85], v[11:12], v[85:86]
	s_waitcnt vmcnt(56)
	v_fma_f64 v[44:45], v[1:2], v[54:55], -v[44:45]
	ds_read_b128 v[5:8], v29 offset:1440
	v_fma_f64 v[30:31], v[3:4], v[54:55], v[30:31]
	v_add_f64 v[13:14], v[13:14], v[50:51]
	v_add_f64 v[15:16], v[15:16], v[34:35]
	s_clause 0x2
	buffer_load_dword v53, off, s[0:3], 0 offset:812
	buffer_load_dword v35, off, s[0:3], 0 offset:788
	buffer_load_dword v34, off, s[0:3], 0 offset:784
	ds_read_b128 v[1:4], v29 offset:1456
	s_waitcnt vmcnt(58) lgkmcnt(1)
	v_mul_f64 v[54:55], v[7:8], v[87:88]
	s_waitcnt vmcnt(56)
	v_fma_f64 v[85:86], v[9:10], v[91:92], -v[84:85]
	v_mul_f64 v[50:51], v[5:6], v[87:88]
	;; [unrolled: 28-line block ×4, first 2 shown]
	v_add_f64 v[13:14], v[13:14], v[89:90]
	v_fma_f64 v[89:90], v[7:8], v[111:112], v[119:120]
	v_add_f64 v[15:16], v[15:16], v[85:86]
	s_clause 0x2
	buffer_load_dword v86, off, s[0:3], 0 offset:892
	buffer_load_dword v85, off, s[0:3], 0 offset:888
	;; [unrolled: 1-line block ×3, first 2 shown]
	ds_read_b128 v[5:8], v29 offset:1536
	s_waitcnt vmcnt(55) lgkmcnt(1)
	v_mul_f64 v[106:107], v[9:10], v[102:103]
	v_mul_f64 v[102:103], v[11:12], v[102:103]
	s_waitcnt vmcnt(54)
	v_fma_f64 v[98:99], v[1:2], v[108:109], -v[98:99]
	v_fma_f64 v[93:94], v[3:4], v[108:109], v[93:94]
	v_add_f64 v[13:14], v[13:14], v[104:105]
	v_add_f64 v[15:16], v[15:16], v[89:90]
	s_clause 0x1
	buffer_load_dword v90, off, s[0:3], 0 offset:884
	buffer_load_dword v89, off, s[0:3], 0 offset:880
	ds_read_b128 v[1:4], v29 offset:1552
	s_waitcnt vmcnt(55) lgkmcnt(1)
	v_mul_f64 v[108:109], v[7:8], v[115:116]
	v_mul_f64 v[104:105], v[5:6], v[115:116]
	s_waitcnt vmcnt(53)
	v_fma_f64 v[102:103], v[9:10], v[36:37], -v[102:103]
	v_fma_f64 v[36:37], v[11:12], v[36:37], v[106:107]
	ds_read_b128 v[9:12], v29 offset:1568
	v_add_f64 v[13:14], v[13:14], v[98:99]
	v_add_f64 v[15:16], v[15:16], v[93:94]
	s_waitcnt vmcnt(49) lgkmcnt(1)
	v_mul_f64 v[93:94], v[1:2], v[25:26]
	v_mul_f64 v[25:26], v[3:4], v[25:26]
	s_waitcnt vmcnt(48)
	v_fma_f64 v[98:99], v[5:6], v[117:118], -v[108:109]
	v_add_f64 v[13:14], v[13:14], v[102:103]
	v_fma_f64 v[102:103], v[7:8], v[117:118], v[104:105]
	v_add_f64 v[15:16], v[15:16], v[36:37]
	s_clause 0x3
	buffer_load_dword v36, off, s[0:3], 0 offset:368
	buffer_load_dword v37, off, s[0:3], 0 offset:372
	;; [unrolled: 1-line block ×4, first 2 shown]
	ds_read_b128 v[5:8], v29 offset:1584
	s_waitcnt vmcnt(51) lgkmcnt(1)
	v_mul_f64 v[106:107], v[9:10], v[38:39]
	v_mul_f64 v[38:39], v[11:12], v[38:39]
	s_waitcnt vmcnt(49)
	v_fma_f64 v[25:26], v[1:2], v[19:20], -v[25:26]
	v_fma_f64 v[19:20], v[3:4], v[19:20], v[93:94]
	ds_read_b128 v[1:4], v29 offset:1600
	v_add_f64 v[13:14], v[13:14], v[98:99]
	v_add_f64 v[15:16], v[15:16], v[102:103]
	s_waitcnt vmcnt(45) lgkmcnt(1)
	v_mul_f64 v[93:94], v[5:6], v[32:33]
	v_mul_f64 v[32:33], v[7:8], v[32:33]
	s_waitcnt vmcnt(44)
	v_fma_f64 v[38:39], v[9:10], v[113:114], -v[38:39]
	v_add_f64 v[13:14], v[13:14], v[25:26]
	v_fma_f64 v[25:26], v[11:12], v[113:114], v[106:107]
	v_add_f64 v[15:16], v[15:16], v[19:20]
	ds_read_b128 v[9:12], v29 offset:1616
	s_waitcnt vmcnt(43) lgkmcnt(1)
	v_mul_f64 v[19:20], v[1:2], v[40:41]
	v_mul_f64 v[40:41], v[3:4], v[40:41]
	s_waitcnt vmcnt(41)
	v_fma_f64 v[32:33], v[5:6], v[21:22], -v[32:33]
	v_fma_f64 v[21:22], v[7:8], v[21:22], v[93:94]
	ds_read_b128 v[5:8], v29 offset:1632
	v_add_f64 v[13:14], v[13:14], v[38:39]
	v_add_f64 v[15:16], v[15:16], v[25:26]
	s_waitcnt vmcnt(37) lgkmcnt(1)
	v_mul_f64 v[25:26], v[9:10], v[17:18]
	v_mul_f64 v[17:18], v[11:12], v[17:18]
	s_waitcnt vmcnt(36)
	v_fma_f64 v[38:39], v[1:2], v[42:43], -v[40:41]
	v_fma_f64 v[19:20], v[3:4], v[42:43], v[19:20]
	ds_read_b128 v[1:4], v29 offset:1648
	v_add_f64 v[13:14], v[13:14], v[32:33]
	v_add_f64 v[15:16], v[15:16], v[21:22]
	;; [unrolled: 9-line block ×3, first 2 shown]
	s_waitcnt vmcnt(29) lgkmcnt(1)
	v_mul_f64 v[19:20], v[1:2], v[23:24]
	v_mul_f64 v[23:24], v[3:4], v[23:24]
	s_waitcnt vmcnt(28)
	v_fma_f64 v[27:28], v[5:6], v[48:49], -v[32:33]
	v_add_f64 v[13:14], v[13:14], v[17:18]
	v_fma_f64 v[17:18], v[7:8], v[48:49], v[21:22]
	v_add_f64 v[15:16], v[15:16], v[25:26]
	ds_read_b128 v[5:8], v29 offset:1680
	s_waitcnt vmcnt(27) lgkmcnt(1)
	v_mul_f64 v[25:26], v[11:12], v[52:53]
	v_mul_f64 v[21:22], v[9:10], v[52:53]
	s_waitcnt vmcnt(25)
	v_fma_f64 v[23:24], v[1:2], v[34:35], -v[23:24]
	v_fma_f64 v[19:20], v[3:4], v[34:35], v[19:20]
	ds_read_b128 v[1:4], v29 offset:1696
	v_add_f64 v[13:14], v[13:14], v[27:28]
	v_add_f64 v[15:16], v[15:16], v[17:18]
	s_waitcnt vmcnt(21) lgkmcnt(1)
	v_mul_f64 v[27:28], v[7:8], v[30:31]
	s_waitcnt vmcnt(20)
	v_fma_f64 v[25:26], v[9:10], v[83:84], -v[25:26]
	v_mul_f64 v[17:18], v[5:6], v[30:31]
	v_fma_f64 v[21:22], v[11:12], v[83:84], v[21:22]
	ds_read_b128 v[9:12], v29 offset:1712
	v_add_f64 v[13:14], v[13:14], v[23:24]
	v_add_f64 v[15:16], v[15:16], v[19:20]
	s_waitcnt vmcnt(19) lgkmcnt(1)
	v_mul_f64 v[23:24], v[3:4], v[87:88]
	v_mul_f64 v[19:20], v[1:2], v[87:88]
	s_waitcnt vmcnt(17)
	v_fma_f64 v[27:28], v[5:6], v[44:45], -v[27:28]
	v_fma_f64 v[17:18], v[7:8], v[44:45], v[17:18]
	ds_read_b128 v[5:8], v29 offset:1728
	v_add_f64 v[13:14], v[13:14], v[25:26]
	v_add_f64 v[15:16], v[15:16], v[21:22]
	s_waitcnt vmcnt(13) lgkmcnt(1)
	v_mul_f64 v[25:26], v[11:12], v[50:51]
	s_waitcnt vmcnt(12)
	v_fma_f64 v[23:24], v[1:2], v[91:92], -v[23:24]
	v_mul_f64 v[21:22], v[9:10], v[50:51]
	v_fma_f64 v[19:20], v[3:4], v[91:92], v[19:20]
	ds_read_b128 v[1:4], v29 offset:1744
	v_add_f64 v[13:14], v[13:14], v[27:28]
	v_add_f64 v[15:16], v[15:16], v[17:18]
	s_waitcnt vmcnt(11) lgkmcnt(1)
	v_mul_f64 v[27:28], v[7:8], v[96:97]
	v_mul_f64 v[17:18], v[5:6], v[96:97]
	s_waitcnt vmcnt(9)
	v_fma_f64 v[9:10], v[9:10], v[54:55], -v[25:26]
	v_fma_f64 v[11:12], v[11:12], v[54:55], v[21:22]
	v_add_f64 v[13:14], v[13:14], v[23:24]
	v_add_f64 v[15:16], v[15:16], v[19:20]
	s_waitcnt vmcnt(7) lgkmcnt(0)
	v_mul_f64 v[21:22], v[3:4], v[85:86]
	s_waitcnt vmcnt(6)
	v_fma_f64 v[5:6], v[5:6], v[100:101], -v[27:28]
	v_mul_f64 v[19:20], v[1:2], v[85:86]
	v_fma_f64 v[7:8], v[7:8], v[100:101], v[17:18]
	v_add_f64 v[9:10], v[13:14], v[9:10]
	v_add_f64 v[11:12], v[15:16], v[11:12]
	s_waitcnt vmcnt(4)
	v_fma_f64 v[1:2], v[1:2], v[89:90], -v[21:22]
	v_fma_f64 v[3:4], v[3:4], v[89:90], v[19:20]
	v_add_f64 v[5:6], v[9:10], v[5:6]
	v_add_f64 v[7:8], v[11:12], v[7:8]
	;; [unrolled: 1-line block ×4, first 2 shown]
	s_waitcnt vmcnt(2)
	v_add_f64 v[1:2], v[36:37], -v[1:2]
	s_waitcnt vmcnt(0)
	v_add_f64 v[3:4], v[104:105], -v[3:4]
	buffer_store_dword v2, off, s[0:3], 0 offset:372
	buffer_store_dword v1, off, s[0:3], 0 offset:368
	;; [unrolled: 1-line block ×4, first 2 shown]
	v_cmpx_lt_u32_e32 21, v0
	s_cbranch_execz .LBB54_301
; %bb.300:
	v_mov_b32_e32 v4, s46
	v_mov_b32_e32 v5, 0
	s_clause 0x3
	buffer_load_dword v1, v4, s[0:3], 0 offen
	buffer_load_dword v2, v4, s[0:3], 0 offen offset:4
	buffer_load_dword v3, v4, s[0:3], 0 offen offset:8
	;; [unrolled: 1-line block ×3, first 2 shown]
	buffer_store_dword v5, off, s[0:3], 0 offset:352
	buffer_store_dword v5, off, s[0:3], 0 offset:356
	;; [unrolled: 1-line block ×4, first 2 shown]
	s_waitcnt vmcnt(0)
	ds_write_b128 v95, v[1:4]
.LBB54_301:
	s_or_b32 exec_lo, exec_lo, s4
	s_waitcnt lgkmcnt(0)
	s_waitcnt_vscnt null, 0x0
	s_barrier
	buffer_gl0_inv
	s_clause 0x37
	buffer_load_dword v9, off, s[0:3], 0 offset:376
	buffer_load_dword v10, off, s[0:3], 0 offset:380
	;; [unrolled: 1-line block ×56, first 2 shown]
	v_mov_b32_e32 v51, 0
	s_mov_b32 s4, exec_lo
	ds_read_b128 v[39:42], v51 offset:1232
	s_clause 0x2
	buffer_load_dword v97, off, s[0:3], 0 offset:604
	buffer_load_dword v101, off, s[0:3], 0 offset:580
	;; [unrolled: 1-line block ×3, first 2 shown]
	ds_read_b128 v[43:46], v51 offset:1248
	s_clause 0x4
	buffer_load_dword v105, off, s[0:3], 0 offset:620
	buffer_load_dword v106, off, s[0:3], 0 offset:632
	;; [unrolled: 1-line block ×5, first 2 shown]
	ds_read_b128 v[47:50], v51 offset:1264
	s_clause 0x2
	buffer_load_dword v107, off, s[0:3], 0 offset:636
	buffer_load_dword v112, off, s[0:3], 0 offset:612
	;; [unrolled: 1-line block ×3, first 2 shown]
	s_waitcnt vmcnt(62) lgkmcnt(2)
	v_mul_f64 v[102:103], v[41:42], v[9:10]
	v_mul_f64 v[9:10], v[39:40], v[9:10]
	s_waitcnt lgkmcnt(1)
	v_mul_f64 v[109:110], v[45:46], v[5:6]
	s_waitcnt vmcnt(59) lgkmcnt(0)
	v_mul_f64 v[113:114], v[49:50], v[3:4]
	v_fma_f64 v[39:40], v[39:40], v[7:8], -v[102:103]
	v_mul_f64 v[102:103], v[43:44], v[5:6]
	v_fma_f64 v[9:10], v[41:42], v[7:8], v[9:10]
	s_waitcnt vmcnt(57)
	v_fma_f64 v[43:44], v[43:44], v[1:2], -v[109:110]
	ds_read_b128 v[5:8], v51 offset:1280
	v_mul_f64 v[41:42], v[47:48], v[3:4]
	s_waitcnt vmcnt(51)
	v_fma_f64 v[47:48], v[47:48], v[25:26], -v[113:114]
	v_add_f64 v[39:40], v[39:40], 0
	v_fma_f64 v[45:46], v[45:46], v[1:2], v[102:103]
	v_add_f64 v[9:10], v[9:10], 0
	s_clause 0x4
	buffer_load_dword v103, off, s[0:3], 0 offset:652
	buffer_load_dword v115, off, s[0:3], 0 offset:664
	;; [unrolled: 1-line block ×5, first 2 shown]
	s_waitcnt lgkmcnt(0)
	v_mul_f64 v[118:119], v[5:6], v[13:14]
	v_mul_f64 v[13:14], v[7:8], v[13:14]
	ds_read_b128 v[1:4], v51 offset:1296
	v_fma_f64 v[25:26], v[49:50], v[25:26], v[41:42]
	v_add_f64 v[43:44], v[39:40], v[43:44]
	v_add_f64 v[9:10], v[9:10], v[45:46]
	s_clause 0x2
	buffer_load_dword v116, off, s[0:3], 0 offset:668
	buffer_load_dword v46, off, s[0:3], 0 offset:644
	;; [unrolled: 1-line block ×3, first 2 shown]
	s_waitcnt vmcnt(58) lgkmcnt(0)
	v_mul_f64 v[49:50], v[1:2], v[17:18]
	v_mul_f64 v[17:18], v[3:4], v[17:18]
	s_waitcnt vmcnt(56)
	v_fma_f64 v[13:14], v[5:6], v[19:20], -v[13:14]
	ds_read_b128 v[39:42], v51 offset:1312
	v_fma_f64 v[19:20], v[7:8], v[19:20], v[118:119]
	v_add_f64 v[43:44], v[43:44], v[47:48]
	v_add_f64 v[9:10], v[9:10], v[25:26]
	s_clause 0x4
	buffer_load_dword v26, off, s[0:3], 0 offset:684
	buffer_load_dword v47, off, s[0:3], 0 offset:696
	;; [unrolled: 1-line block ×5, first 2 shown]
	ds_read_b128 v[5:8], v51 offset:1328
	s_waitcnt vmcnt(57) lgkmcnt(1)
	v_mul_f64 v[119:120], v[39:40], v[21:22]
	v_mul_f64 v[21:22], v[41:42], v[21:22]
	s_waitcnt vmcnt(56)
	v_fma_f64 v[17:18], v[1:2], v[11:12], -v[17:18]
	v_fma_f64 v[11:12], v[3:4], v[11:12], v[49:50]
	v_add_f64 v[13:14], v[43:44], v[13:14]
	v_add_f64 v[9:10], v[9:10], v[19:20]
	s_clause 0x2
	buffer_load_dword v48, off, s[0:3], 0 offset:700
	buffer_load_dword v20, off, s[0:3], 0 offset:676
	;; [unrolled: 1-line block ×3, first 2 shown]
	s_waitcnt vmcnt(58) lgkmcnt(0)
	v_mul_f64 v[43:44], v[5:6], v[27:28]
	v_mul_f64 v[27:28], v[7:8], v[27:28]
	s_waitcnt vmcnt(56)
	v_fma_f64 v[21:22], v[39:40], v[29:30], -v[21:22]
	ds_read_b128 v[1:4], v51 offset:1344
	v_add_f64 v[13:14], v[13:14], v[17:18]
	v_fma_f64 v[17:18], v[41:42], v[29:30], v[119:120]
	v_add_f64 v[29:30], v[9:10], v[11:12]
	s_clause 0x4
	buffer_load_dword v40, off, s[0:3], 0 offset:716
	buffer_load_dword v41, off, s[0:3], 0 offset:728
	;; [unrolled: 1-line block ×5, first 2 shown]
	ds_read_b128 v[9:12], v51 offset:1360
	s_waitcnt vmcnt(57) lgkmcnt(1)
	v_mul_f64 v[119:120], v[1:2], v[31:32]
	v_mul_f64 v[31:32], v[3:4], v[31:32]
	s_waitcnt vmcnt(56)
	v_fma_f64 v[27:28], v[5:6], v[15:16], -v[27:28]
	v_fma_f64 v[15:16], v[7:8], v[15:16], v[43:44]
	v_add_f64 v[13:14], v[13:14], v[21:22]
	s_clause 0x2
	buffer_load_dword v42, off, s[0:3], 0 offset:732
	buffer_load_dword v22, off, s[0:3], 0 offset:708
	;; [unrolled: 1-line block ×3, first 2 shown]
	v_add_f64 v[17:18], v[29:30], v[17:18]
	s_waitcnt vmcnt(58) lgkmcnt(0)
	v_mul_f64 v[29:30], v[9:10], v[35:36]
	v_mul_f64 v[35:36], v[11:12], v[35:36]
	ds_read_b128 v[5:8], v51 offset:1376
	s_waitcnt vmcnt(56)
	v_fma_f64 v[31:32], v[1:2], v[37:38], -v[31:32]
	v_add_f64 v[13:14], v[13:14], v[27:28]
	v_fma_f64 v[27:28], v[3:4], v[37:38], v[119:120]
	v_add_f64 v[15:16], v[17:18], v[15:16]
	s_clause 0x4
	buffer_load_dword v18, off, s[0:3], 0 offset:748
	buffer_load_dword v37, off, s[0:3], 0 offset:760
	;; [unrolled: 1-line block ×5, first 2 shown]
	s_waitcnt vmcnt(57) lgkmcnt(0)
	v_mul_f64 v[119:120], v[5:6], v[52:53]
	v_mul_f64 v[52:53], v[7:8], v[52:53]
	s_waitcnt vmcnt(56)
	v_fma_f64 v[35:36], v[9:10], v[23:24], -v[35:36]
	ds_read_b128 v[1:4], v51 offset:1392
	v_fma_f64 v[23:24], v[11:12], v[23:24], v[29:30]
	v_add_f64 v[13:14], v[13:14], v[31:32]
	v_add_f64 v[15:16], v[15:16], v[27:28]
	s_clause 0x2
	buffer_load_dword v38, off, s[0:3], 0 offset:764
	buffer_load_dword v28, off, s[0:3], 0 offset:740
	;; [unrolled: 1-line block ×3, first 2 shown]
	ds_read_b128 v[9:12], v51 offset:1408
	s_waitcnt vmcnt(58) lgkmcnt(1)
	v_mul_f64 v[31:32], v[3:4], v[54:55]
	s_waitcnt vmcnt(56)
	v_fma_f64 v[52:53], v[5:6], v[83:84], -v[52:53]
	v_mul_f64 v[29:30], v[1:2], v[54:55]
	v_add_f64 v[13:14], v[13:14], v[35:36]
	v_fma_f64 v[35:36], v[7:8], v[83:84], v[119:120]
	v_add_f64 v[15:16], v[15:16], v[23:24]
	s_clause 0x4
	buffer_load_dword v24, off, s[0:3], 0 offset:780
	buffer_load_dword v54, off, s[0:3], 0 offset:792
	;; [unrolled: 1-line block ×5, first 2 shown]
	s_waitcnt vmcnt(57) lgkmcnt(0)
	v_mul_f64 v[119:120], v[9:10], v[85:86]
	v_mul_f64 v[84:85], v[11:12], v[85:86]
	s_waitcnt vmcnt(56)
	v_fma_f64 v[31:32], v[1:2], v[33:34], -v[31:32]
	ds_read_b128 v[5:8], v51 offset:1424
	v_fma_f64 v[29:30], v[3:4], v[33:34], v[29:30]
	s_clause 0x2
	buffer_load_dword v55, off, s[0:3], 0 offset:796
	buffer_load_dword v34, off, s[0:3], 0 offset:772
	;; [unrolled: 1-line block ×3, first 2 shown]
	ds_read_b128 v[1:4], v51 offset:1440
	v_add_f64 v[13:14], v[13:14], v[52:53]
	v_add_f64 v[15:16], v[15:16], v[35:36]
	s_waitcnt vmcnt(58) lgkmcnt(1)
	v_mul_f64 v[52:53], v[7:8], v[87:88]
	s_waitcnt vmcnt(56)
	v_fma_f64 v[85:86], v[9:10], v[91:92], -v[84:85]
	v_mul_f64 v[35:36], v[5:6], v[87:88]
	v_add_f64 v[13:14], v[13:14], v[31:32]
	v_fma_f64 v[31:32], v[11:12], v[91:92], v[119:120]
	v_add_f64 v[15:16], v[15:16], v[29:30]
	s_clause 0x4
	buffer_load_dword v30, off, s[0:3], 0 offset:812
	buffer_load_dword v87, off, s[0:3], 0 offset:824
	;; [unrolled: 1-line block ×5, first 2 shown]
	s_waitcnt vmcnt(57) lgkmcnt(0)
	v_mul_f64 v[119:120], v[1:2], v[93:94]
	v_mul_f64 v[92:93], v[3:4], v[93:94]
	s_waitcnt vmcnt(56)
	v_fma_f64 v[52:53], v[5:6], v[89:90], -v[52:53]
	ds_read_b128 v[9:12], v51 offset:1456
	v_fma_f64 v[35:36], v[7:8], v[89:90], v[35:36]
	v_add_f64 v[13:14], v[13:14], v[85:86]
	v_add_f64 v[15:16], v[15:16], v[31:32]
	s_clause 0x2
	buffer_load_dword v88, off, s[0:3], 0 offset:828
	buffer_load_dword v32, off, s[0:3], 0 offset:804
	;; [unrolled: 1-line block ×3, first 2 shown]
	ds_read_b128 v[5:8], v51 offset:1472
	s_waitcnt vmcnt(58) lgkmcnt(1)
	v_mul_f64 v[89:90], v[11:12], v[96:97]
	s_waitcnt vmcnt(56)
	v_fma_f64 v[93:94], v[1:2], v[100:101], -v[92:93]
	v_mul_f64 v[85:86], v[9:10], v[96:97]
	v_add_f64 v[13:14], v[13:14], v[52:53]
	v_fma_f64 v[52:53], v[3:4], v[100:101], v[119:120]
	v_add_f64 v[15:16], v[15:16], v[35:36]
	s_clause 0x4
	buffer_load_dword v36, off, s[0:3], 0 offset:844
	buffer_load_dword v96, off, s[0:3], 0 offset:856
	;; [unrolled: 1-line block ×5, first 2 shown]
	s_waitcnt vmcnt(57) lgkmcnt(0)
	v_mul_f64 v[119:120], v[5:6], v[104:105]
	v_mul_f64 v[104:105], v[7:8], v[104:105]
	s_waitcnt vmcnt(56)
	v_fma_f64 v[89:90], v[9:10], v[98:99], -v[89:90]
	ds_read_b128 v[1:4], v51 offset:1488
	v_fma_f64 v[85:86], v[11:12], v[98:99], v[85:86]
	v_add_f64 v[13:14], v[13:14], v[93:94]
	v_add_f64 v[15:16], v[15:16], v[52:53]
	s_clause 0x2
	buffer_load_dword v97, off, s[0:3], 0 offset:860
	buffer_load_dword v53, off, s[0:3], 0 offset:836
	;; [unrolled: 1-line block ×3, first 2 shown]
	ds_read_b128 v[9:12], v51 offset:1504
	s_waitcnt vmcnt(58) lgkmcnt(1)
	v_mul_f64 v[98:99], v[3:4], v[106:107]
	s_waitcnt vmcnt(56)
	v_fma_f64 v[104:105], v[5:6], v[111:112], -v[104:105]
	v_mul_f64 v[93:94], v[1:2], v[106:107]
	v_add_f64 v[13:14], v[13:14], v[89:90]
	v_fma_f64 v[89:90], v[7:8], v[111:112], v[119:120]
	v_add_f64 v[15:16], v[15:16], v[85:86]
	s_clause 0x4
	buffer_load_dword v86, off, s[0:3], 0 offset:876
	buffer_load_dword v106, off, s[0:3], 0 offset:888
	;; [unrolled: 1-line block ×5, first 2 shown]
	ds_read_b128 v[5:8], v51 offset:1520
	s_waitcnt vmcnt(57) lgkmcnt(1)
	v_mul_f64 v[111:112], v[9:10], v[102:103]
	v_mul_f64 v[102:103], v[11:12], v[102:103]
	s_waitcnt vmcnt(56)
	v_fma_f64 v[98:99], v[1:2], v[108:109], -v[98:99]
	v_fma_f64 v[93:94], v[3:4], v[108:109], v[93:94]
	v_add_f64 v[13:14], v[13:14], v[104:105]
	v_add_f64 v[15:16], v[15:16], v[89:90]
	s_clause 0x2
	buffer_load_dword v107, off, s[0:3], 0 offset:892
	buffer_load_dword v90, off, s[0:3], 0 offset:868
	;; [unrolled: 1-line block ×3, first 2 shown]
	ds_read_b128 v[1:4], v51 offset:1536
	s_waitcnt vmcnt(58) lgkmcnt(1)
	v_mul_f64 v[108:109], v[7:8], v[115:116]
	v_mul_f64 v[104:105], v[5:6], v[115:116]
	s_waitcnt vmcnt(56)
	v_fma_f64 v[102:103], v[9:10], v[45:46], -v[102:103]
	v_fma_f64 v[45:46], v[11:12], v[45:46], v[111:112]
	buffer_load_dword v111, off, s[0:3], 0 offset:884
	ds_read_b128 v[9:12], v51 offset:1552
	v_add_f64 v[13:14], v[13:14], v[98:99]
	v_add_f64 v[15:16], v[15:16], v[93:94]
	s_waitcnt vmcnt(53) lgkmcnt(1)
	v_mul_f64 v[93:94], v[1:2], v[25:26]
	v_mul_f64 v[25:26], v[3:4], v[25:26]
	s_waitcnt vmcnt(52)
	v_fma_f64 v[98:99], v[5:6], v[117:118], -v[108:109]
	v_add_f64 v[13:14], v[13:14], v[102:103]
	v_fma_f64 v[102:103], v[7:8], v[117:118], v[104:105]
	v_add_f64 v[15:16], v[15:16], v[45:46]
	ds_read_b128 v[5:8], v51 offset:1568
	s_waitcnt vmcnt(51) lgkmcnt(1)
	v_mul_f64 v[45:46], v[9:10], v[47:48]
	v_mul_f64 v[47:48], v[11:12], v[47:48]
	s_waitcnt vmcnt(49)
	v_fma_f64 v[25:26], v[1:2], v[19:20], -v[25:26]
	v_fma_f64 v[19:20], v[3:4], v[19:20], v[93:94]
	v_add_f64 v[13:14], v[13:14], v[98:99]
	s_clause 0x3
	buffer_load_dword v93, off, s[0:3], 0 offset:352
	buffer_load_dword v94, off, s[0:3], 0 offset:356
	;; [unrolled: 1-line block ×4, first 2 shown]
	v_add_f64 v[15:16], v[15:16], v[102:103]
	ds_read_b128 v[1:4], v51 offset:1584
	s_waitcnt vmcnt(49) lgkmcnt(1)
	v_mul_f64 v[102:103], v[5:6], v[39:40]
	v_mul_f64 v[39:40], v[7:8], v[39:40]
	s_waitcnt vmcnt(48)
	v_fma_f64 v[47:48], v[9:10], v[113:114], -v[47:48]
	v_add_f64 v[13:14], v[13:14], v[25:26]
	v_fma_f64 v[25:26], v[11:12], v[113:114], v[45:46]
	v_add_f64 v[15:16], v[15:16], v[19:20]
	ds_read_b128 v[9:12], v51 offset:1600
	s_waitcnt vmcnt(47) lgkmcnt(1)
	v_mul_f64 v[19:20], v[1:2], v[41:42]
	v_mul_f64 v[41:42], v[3:4], v[41:42]
	s_waitcnt vmcnt(45)
	v_fma_f64 v[39:40], v[5:6], v[21:22], -v[39:40]
	v_fma_f64 v[21:22], v[7:8], v[21:22], v[102:103]
	ds_read_b128 v[5:8], v51 offset:1616
	v_add_f64 v[13:14], v[13:14], v[47:48]
	v_add_f64 v[15:16], v[15:16], v[25:26]
	s_waitcnt vmcnt(41) lgkmcnt(1)
	v_mul_f64 v[25:26], v[9:10], v[17:18]
	v_mul_f64 v[17:18], v[11:12], v[17:18]
	s_waitcnt vmcnt(40)
	v_fma_f64 v[41:42], v[1:2], v[49:50], -v[41:42]
	v_fma_f64 v[19:20], v[3:4], v[49:50], v[19:20]
	ds_read_b128 v[1:4], v51 offset:1632
	v_add_f64 v[13:14], v[13:14], v[39:40]
	v_add_f64 v[15:16], v[15:16], v[21:22]
	;; [unrolled: 9-line block ×3, first 2 shown]
	s_waitcnt vmcnt(33) lgkmcnt(1)
	v_mul_f64 v[19:20], v[1:2], v[23:24]
	v_mul_f64 v[23:24], v[3:4], v[23:24]
	s_waitcnt vmcnt(32)
	v_fma_f64 v[27:28], v[5:6], v[43:44], -v[37:38]
	v_add_f64 v[13:14], v[13:14], v[17:18]
	v_fma_f64 v[17:18], v[7:8], v[43:44], v[21:22]
	v_add_f64 v[15:16], v[15:16], v[25:26]
	ds_read_b128 v[5:8], v51 offset:1664
	s_waitcnt vmcnt(31) lgkmcnt(1)
	v_mul_f64 v[25:26], v[11:12], v[54:55]
	v_mul_f64 v[21:22], v[9:10], v[54:55]
	s_waitcnt vmcnt(29)
	v_fma_f64 v[19:20], v[3:4], v[33:34], v[19:20]
	v_fma_f64 v[23:24], v[1:2], v[33:34], -v[23:24]
	ds_read_b128 v[1:4], v51 offset:1680
	v_add_f64 v[13:14], v[13:14], v[27:28]
	v_add_f64 v[15:16], v[15:16], v[17:18]
	s_waitcnt vmcnt(25) lgkmcnt(1)
	v_mul_f64 v[27:28], v[7:8], v[29:30]
	s_waitcnt vmcnt(24)
	v_fma_f64 v[25:26], v[9:10], v[83:84], -v[25:26]
	v_mul_f64 v[17:18], v[5:6], v[29:30]
	v_fma_f64 v[21:22], v[11:12], v[83:84], v[21:22]
	ds_read_b128 v[9:12], v51 offset:1696
	v_add_f64 v[13:14], v[13:14], v[23:24]
	v_add_f64 v[15:16], v[15:16], v[19:20]
	s_waitcnt vmcnt(23) lgkmcnt(1)
	v_mul_f64 v[23:24], v[3:4], v[87:88]
	v_mul_f64 v[19:20], v[1:2], v[87:88]
	s_waitcnt vmcnt(21)
	v_fma_f64 v[27:28], v[5:6], v[31:32], -v[27:28]
	v_fma_f64 v[17:18], v[7:8], v[31:32], v[17:18]
	ds_read_b128 v[5:8], v51 offset:1712
	v_add_f64 v[13:14], v[13:14], v[25:26]
	v_add_f64 v[15:16], v[15:16], v[21:22]
	s_waitcnt vmcnt(17) lgkmcnt(1)
	v_mul_f64 v[25:26], v[11:12], v[35:36]
	s_waitcnt vmcnt(16)
	v_fma_f64 v[23:24], v[1:2], v[91:92], -v[23:24]
	v_mul_f64 v[21:22], v[9:10], v[35:36]
	v_fma_f64 v[19:20], v[3:4], v[91:92], v[19:20]
	ds_read_b128 v[1:4], v51 offset:1728
	v_add_f64 v[13:14], v[13:14], v[27:28]
	v_add_f64 v[15:16], v[15:16], v[17:18]
	s_waitcnt vmcnt(15) lgkmcnt(1)
	v_mul_f64 v[27:28], v[7:8], v[96:97]
	v_mul_f64 v[17:18], v[5:6], v[96:97]
	s_waitcnt vmcnt(13)
	v_fma_f64 v[25:26], v[9:10], v[52:53], -v[25:26]
	v_fma_f64 v[21:22], v[11:12], v[52:53], v[21:22]
	ds_read_b128 v[9:12], v51 offset:1744
	v_add_f64 v[13:14], v[13:14], v[23:24]
	v_add_f64 v[15:16], v[15:16], v[19:20]
	s_waitcnt vmcnt(9) lgkmcnt(1)
	v_mul_f64 v[23:24], v[3:4], v[85:86]
	s_waitcnt vmcnt(8)
	v_fma_f64 v[5:6], v[5:6], v[100:101], -v[27:28]
	v_mul_f64 v[19:20], v[1:2], v[85:86]
	v_fma_f64 v[7:8], v[7:8], v[100:101], v[17:18]
	v_add_f64 v[13:14], v[13:14], v[25:26]
	v_add_f64 v[15:16], v[15:16], v[21:22]
	s_waitcnt vmcnt(7) lgkmcnt(0)
	v_mul_f64 v[21:22], v[11:12], v[106:107]
	v_mul_f64 v[17:18], v[9:10], v[106:107]
	s_waitcnt vmcnt(5)
	v_fma_f64 v[1:2], v[1:2], v[89:90], -v[23:24]
	v_fma_f64 v[3:4], v[3:4], v[89:90], v[19:20]
	v_add_f64 v[5:6], v[13:14], v[5:6]
	v_add_f64 v[7:8], v[15:16], v[7:8]
	s_waitcnt vmcnt(4)
	v_fma_f64 v[9:10], v[9:10], v[110:111], -v[21:22]
	v_add_f64 v[1:2], v[5:6], v[1:2]
	v_fma_f64 v[5:6], v[11:12], v[110:111], v[17:18]
	v_add_f64 v[3:4], v[7:8], v[3:4]
	v_add_f64 v[1:2], v[1:2], v[9:10]
	;; [unrolled: 1-line block ×3, first 2 shown]
	s_waitcnt vmcnt(2)
	v_add_f64 v[1:2], v[93:94], -v[1:2]
	s_waitcnt vmcnt(0)
	v_add_f64 v[3:4], v[98:99], -v[3:4]
	buffer_store_dword v2, off, s[0:3], 0 offset:356
	buffer_store_dword v1, off, s[0:3], 0 offset:352
	;; [unrolled: 1-line block ×4, first 2 shown]
	v_cmpx_lt_u32_e32 20, v0
	s_cbranch_execz .LBB54_303
; %bb.302:
	v_mov_b32_e32 v4, s47
	s_clause 0x3
	buffer_load_dword v1, v4, s[0:3], 0 offen
	buffer_load_dword v2, v4, s[0:3], 0 offen offset:4
	buffer_load_dword v3, v4, s[0:3], 0 offen offset:8
	buffer_load_dword v4, v4, s[0:3], 0 offen offset:12
	buffer_store_dword v51, off, s[0:3], 0 offset:336
	buffer_store_dword v51, off, s[0:3], 0 offset:340
	;; [unrolled: 1-line block ×4, first 2 shown]
	s_waitcnt vmcnt(0)
	ds_write_b128 v95, v[1:4]
.LBB54_303:
	s_or_b32 exec_lo, exec_lo, s4
	s_waitcnt lgkmcnt(0)
	s_waitcnt_vscnt null, 0x0
	s_barrier
	buffer_gl0_inv
	s_clause 0x37
	buffer_load_dword v9, off, s[0:3], 0 offset:360
	buffer_load_dword v10, off, s[0:3], 0 offset:364
	;; [unrolled: 1-line block ×56, first 2 shown]
	ds_read_b128 v[52:55], v51 offset:1216
	s_clause 0x2
	buffer_load_dword v99, off, s[0:3], 0 offset:588
	buffer_load_dword v101, off, s[0:3], 0 offset:564
	;; [unrolled: 1-line block ×3, first 2 shown]
	ds_read_b128 v[83:86], v51 offset:1232
	s_clause 0x4
	buffer_load_dword v105, off, s[0:3], 0 offset:604
	buffer_load_dword v106, off, s[0:3], 0 offset:616
	;; [unrolled: 1-line block ×5, first 2 shown]
	ds_read_b128 v[87:90], v51 offset:1248
	s_clause 0x2
	buffer_load_dword v107, off, s[0:3], 0 offset:620
	buffer_load_dword v112, off, s[0:3], 0 offset:596
	;; [unrolled: 1-line block ×3, first 2 shown]
	s_mov_b32 s4, exec_lo
	s_waitcnt vmcnt(62) lgkmcnt(2)
	v_mul_f64 v[102:103], v[54:55], v[9:10]
	v_mul_f64 v[9:10], v[52:53], v[9:10]
	s_waitcnt lgkmcnt(1)
	v_mul_f64 v[109:110], v[85:86], v[5:6]
	s_waitcnt vmcnt(59) lgkmcnt(0)
	v_mul_f64 v[113:114], v[89:90], v[3:4]
	v_fma_f64 v[52:53], v[52:53], v[7:8], -v[102:103]
	v_mul_f64 v[102:103], v[83:84], v[5:6]
	v_fma_f64 v[9:10], v[54:55], v[7:8], v[9:10]
	s_waitcnt vmcnt(57)
	v_fma_f64 v[83:84], v[83:84], v[1:2], -v[109:110]
	ds_read_b128 v[5:8], v51 offset:1264
	v_mul_f64 v[54:55], v[87:88], v[3:4]
	s_waitcnt vmcnt(51)
	v_fma_f64 v[87:88], v[87:88], v[25:26], -v[113:114]
	v_add_f64 v[52:53], v[52:53], 0
	v_fma_f64 v[85:86], v[85:86], v[1:2], v[102:103]
	v_add_f64 v[9:10], v[9:10], 0
	s_clause 0x4
	buffer_load_dword v103, off, s[0:3], 0 offset:636
	buffer_load_dword v115, off, s[0:3], 0 offset:648
	;; [unrolled: 1-line block ×5, first 2 shown]
	s_waitcnt lgkmcnt(0)
	v_mul_f64 v[118:119], v[5:6], v[13:14]
	v_mul_f64 v[13:14], v[7:8], v[13:14]
	ds_read_b128 v[1:4], v51 offset:1280
	v_fma_f64 v[25:26], v[89:90], v[25:26], v[54:55]
	v_add_f64 v[83:84], v[52:53], v[83:84]
	v_add_f64 v[9:10], v[9:10], v[85:86]
	s_clause 0x2
	buffer_load_dword v116, off, s[0:3], 0 offset:652
	buffer_load_dword v86, off, s[0:3], 0 offset:628
	;; [unrolled: 1-line block ×3, first 2 shown]
	s_waitcnt vmcnt(58) lgkmcnt(0)
	v_mul_f64 v[89:90], v[1:2], v[17:18]
	v_mul_f64 v[17:18], v[3:4], v[17:18]
	s_waitcnt vmcnt(56)
	v_fma_f64 v[13:14], v[5:6], v[19:20], -v[13:14]
	ds_read_b128 v[52:55], v51 offset:1296
	v_fma_f64 v[19:20], v[7:8], v[19:20], v[118:119]
	v_add_f64 v[83:84], v[83:84], v[87:88]
	v_add_f64 v[9:10], v[9:10], v[25:26]
	s_clause 0x4
	buffer_load_dword v26, off, s[0:3], 0 offset:668
	buffer_load_dword v87, off, s[0:3], 0 offset:680
	;; [unrolled: 1-line block ×5, first 2 shown]
	ds_read_b128 v[5:8], v51 offset:1312
	s_waitcnt vmcnt(57) lgkmcnt(1)
	v_mul_f64 v[119:120], v[52:53], v[21:22]
	v_mul_f64 v[21:22], v[54:55], v[21:22]
	s_waitcnt vmcnt(56)
	v_fma_f64 v[17:18], v[1:2], v[11:12], -v[17:18]
	v_fma_f64 v[11:12], v[3:4], v[11:12], v[89:90]
	v_add_f64 v[13:14], v[83:84], v[13:14]
	v_add_f64 v[9:10], v[9:10], v[19:20]
	s_clause 0x2
	buffer_load_dword v88, off, s[0:3], 0 offset:684
	buffer_load_dword v20, off, s[0:3], 0 offset:660
	;; [unrolled: 1-line block ×3, first 2 shown]
	s_waitcnt vmcnt(58) lgkmcnt(0)
	v_mul_f64 v[83:84], v[5:6], v[27:28]
	v_mul_f64 v[27:28], v[7:8], v[27:28]
	s_waitcnt vmcnt(56)
	v_fma_f64 v[21:22], v[52:53], v[29:30], -v[21:22]
	ds_read_b128 v[1:4], v51 offset:1328
	v_add_f64 v[13:14], v[13:14], v[17:18]
	v_fma_f64 v[17:18], v[54:55], v[29:30], v[119:120]
	v_add_f64 v[29:30], v[9:10], v[11:12]
	s_clause 0x4
	buffer_load_dword v53, off, s[0:3], 0 offset:700
	buffer_load_dword v54, off, s[0:3], 0 offset:712
	;; [unrolled: 1-line block ×5, first 2 shown]
	ds_read_b128 v[9:12], v51 offset:1344
	s_waitcnt vmcnt(57) lgkmcnt(1)
	v_mul_f64 v[119:120], v[1:2], v[31:32]
	v_mul_f64 v[31:32], v[3:4], v[31:32]
	s_waitcnt vmcnt(56)
	v_fma_f64 v[27:28], v[5:6], v[15:16], -v[27:28]
	v_fma_f64 v[15:16], v[7:8], v[15:16], v[83:84]
	v_add_f64 v[13:14], v[13:14], v[21:22]
	s_clause 0x2
	buffer_load_dword v55, off, s[0:3], 0 offset:716
	buffer_load_dword v22, off, s[0:3], 0 offset:692
	;; [unrolled: 1-line block ×3, first 2 shown]
	v_add_f64 v[17:18], v[29:30], v[17:18]
	s_waitcnt vmcnt(58) lgkmcnt(0)
	v_mul_f64 v[29:30], v[9:10], v[35:36]
	v_mul_f64 v[35:36], v[11:12], v[35:36]
	ds_read_b128 v[5:8], v51 offset:1360
	s_waitcnt vmcnt(56)
	v_fma_f64 v[31:32], v[1:2], v[37:38], -v[31:32]
	v_add_f64 v[13:14], v[13:14], v[27:28]
	v_fma_f64 v[27:28], v[3:4], v[37:38], v[119:120]
	v_add_f64 v[15:16], v[17:18], v[15:16]
	s_clause 0x4
	buffer_load_dword v18, off, s[0:3], 0 offset:732
	buffer_load_dword v37, off, s[0:3], 0 offset:744
	;; [unrolled: 1-line block ×5, first 2 shown]
	s_waitcnt vmcnt(57) lgkmcnt(0)
	v_mul_f64 v[119:120], v[5:6], v[39:40]
	v_mul_f64 v[39:40], v[7:8], v[39:40]
	s_waitcnt vmcnt(56)
	v_fma_f64 v[35:36], v[9:10], v[23:24], -v[35:36]
	ds_read_b128 v[1:4], v51 offset:1376
	v_fma_f64 v[23:24], v[11:12], v[23:24], v[29:30]
	v_add_f64 v[13:14], v[13:14], v[31:32]
	v_add_f64 v[15:16], v[15:16], v[27:28]
	s_clause 0x2
	buffer_load_dword v38, off, s[0:3], 0 offset:748
	buffer_load_dword v28, off, s[0:3], 0 offset:724
	;; [unrolled: 1-line block ×3, first 2 shown]
	ds_read_b128 v[9:12], v51 offset:1392
	s_waitcnt vmcnt(58) lgkmcnt(1)
	v_mul_f64 v[31:32], v[3:4], v[43:44]
	s_waitcnt vmcnt(56)
	v_fma_f64 v[39:40], v[5:6], v[45:46], -v[39:40]
	v_mul_f64 v[29:30], v[1:2], v[43:44]
	v_add_f64 v[13:14], v[13:14], v[35:36]
	v_fma_f64 v[35:36], v[7:8], v[45:46], v[119:120]
	v_add_f64 v[15:16], v[15:16], v[23:24]
	s_clause 0x4
	buffer_load_dword v24, off, s[0:3], 0 offset:764
	buffer_load_dword v43, off, s[0:3], 0 offset:776
	;; [unrolled: 1-line block ×5, first 2 shown]
	s_waitcnt vmcnt(57) lgkmcnt(0)
	v_mul_f64 v[119:120], v[9:10], v[47:48]
	v_mul_f64 v[46:47], v[11:12], v[47:48]
	s_waitcnt vmcnt(56)
	v_fma_f64 v[31:32], v[1:2], v[33:34], -v[31:32]
	ds_read_b128 v[5:8], v51 offset:1408
	v_fma_f64 v[29:30], v[3:4], v[33:34], v[29:30]
	s_clause 0x2
	buffer_load_dword v44, off, s[0:3], 0 offset:780
	buffer_load_dword v34, off, s[0:3], 0 offset:756
	;; [unrolled: 1-line block ×3, first 2 shown]
	ds_read_b128 v[1:4], v51 offset:1424
	v_add_f64 v[13:14], v[13:14], v[39:40]
	v_add_f64 v[15:16], v[15:16], v[35:36]
	s_waitcnt vmcnt(58) lgkmcnt(1)
	v_mul_f64 v[39:40], v[7:8], v[91:92]
	s_waitcnt vmcnt(56)
	v_fma_f64 v[47:48], v[9:10], v[93:94], -v[46:47]
	v_mul_f64 v[35:36], v[5:6], v[91:92]
	v_add_f64 v[13:14], v[13:14], v[31:32]
	v_fma_f64 v[31:32], v[11:12], v[93:94], v[119:120]
	v_add_f64 v[15:16], v[15:16], v[29:30]
	s_clause 0x4
	buffer_load_dword v30, off, s[0:3], 0 offset:796
	buffer_load_dword v91, off, s[0:3], 0 offset:808
	;; [unrolled: 1-line block ×5, first 2 shown]
	s_waitcnt vmcnt(57) lgkmcnt(0)
	v_mul_f64 v[119:120], v[1:2], v[96:97]
	v_mul_f64 v[96:97], v[3:4], v[96:97]
	s_waitcnt vmcnt(56)
	v_fma_f64 v[39:40], v[5:6], v[41:42], -v[39:40]
	ds_read_b128 v[9:12], v51 offset:1440
	v_fma_f64 v[35:36], v[7:8], v[41:42], v[35:36]
	v_add_f64 v[13:14], v[13:14], v[47:48]
	v_add_f64 v[15:16], v[15:16], v[31:32]
	s_clause 0x2
	buffer_load_dword v92, off, s[0:3], 0 offset:812
	buffer_load_dword v32, off, s[0:3], 0 offset:788
	;; [unrolled: 1-line block ×3, first 2 shown]
	ds_read_b128 v[5:8], v51 offset:1456
	s_waitcnt vmcnt(58) lgkmcnt(1)
	v_mul_f64 v[47:48], v[11:12], v[98:99]
	s_waitcnt vmcnt(56)
	v_fma_f64 v[96:97], v[1:2], v[100:101], -v[96:97]
	v_mul_f64 v[41:42], v[9:10], v[98:99]
	v_add_f64 v[13:14], v[13:14], v[39:40]
	v_fma_f64 v[39:40], v[3:4], v[100:101], v[119:120]
	v_add_f64 v[15:16], v[15:16], v[35:36]
	s_clause 0x4
	buffer_load_dword v36, off, s[0:3], 0 offset:828
	buffer_load_dword v98, off, s[0:3], 0 offset:840
	;; [unrolled: 1-line block ×5, first 2 shown]
	s_waitcnt vmcnt(57) lgkmcnt(0)
	v_mul_f64 v[119:120], v[5:6], v[104:105]
	v_mul_f64 v[104:105], v[7:8], v[104:105]
	s_waitcnt vmcnt(56)
	v_fma_f64 v[47:48], v[9:10], v[49:50], -v[47:48]
	ds_read_b128 v[1:4], v51 offset:1472
	v_fma_f64 v[41:42], v[11:12], v[49:50], v[41:42]
	v_add_f64 v[13:14], v[13:14], v[96:97]
	v_add_f64 v[15:16], v[15:16], v[39:40]
	s_clause 0x2
	buffer_load_dword v99, off, s[0:3], 0 offset:844
	buffer_load_dword v40, off, s[0:3], 0 offset:820
	;; [unrolled: 1-line block ×3, first 2 shown]
	ds_read_b128 v[9:12], v51 offset:1488
	s_waitcnt vmcnt(58) lgkmcnt(1)
	v_mul_f64 v[96:97], v[3:4], v[106:107]
	s_waitcnt vmcnt(56)
	v_fma_f64 v[104:105], v[5:6], v[111:112], -v[104:105]
	v_mul_f64 v[49:50], v[1:2], v[106:107]
	v_add_f64 v[13:14], v[13:14], v[47:48]
	v_fma_f64 v[47:48], v[7:8], v[111:112], v[119:120]
	v_add_f64 v[15:16], v[15:16], v[41:42]
	s_clause 0x4
	buffer_load_dword v42, off, s[0:3], 0 offset:860
	buffer_load_dword v106, off, s[0:3], 0 offset:872
	;; [unrolled: 1-line block ×5, first 2 shown]
	ds_read_b128 v[5:8], v51 offset:1504
	s_waitcnt vmcnt(57) lgkmcnt(1)
	v_mul_f64 v[111:112], v[9:10], v[102:103]
	v_mul_f64 v[102:103], v[11:12], v[102:103]
	s_waitcnt vmcnt(56)
	v_fma_f64 v[96:97], v[1:2], v[108:109], -v[96:97]
	v_fma_f64 v[49:50], v[3:4], v[108:109], v[49:50]
	v_add_f64 v[13:14], v[13:14], v[104:105]
	v_add_f64 v[15:16], v[15:16], v[47:48]
	s_clause 0x2
	buffer_load_dword v107, off, s[0:3], 0 offset:876
	buffer_load_dword v48, off, s[0:3], 0 offset:852
	;; [unrolled: 1-line block ×3, first 2 shown]
	ds_read_b128 v[1:4], v51 offset:1520
	s_waitcnt vmcnt(58) lgkmcnt(1)
	v_mul_f64 v[108:109], v[7:8], v[115:116]
	v_mul_f64 v[104:105], v[5:6], v[115:116]
	s_waitcnt vmcnt(56)
	v_fma_f64 v[102:103], v[9:10], v[85:86], -v[102:103]
	v_fma_f64 v[85:86], v[11:12], v[85:86], v[111:112]
	v_add_f64 v[13:14], v[13:14], v[96:97]
	v_add_f64 v[15:16], v[15:16], v[49:50]
	s_clause 0x2
	buffer_load_dword v50, off, s[0:3], 0 offset:892
	buffer_load_dword v49, off, s[0:3], 0 offset:888
	;; [unrolled: 1-line block ×3, first 2 shown]
	ds_read_b128 v[9:12], v51 offset:1536
	s_waitcnt vmcnt(55) lgkmcnt(1)
	v_mul_f64 v[96:97], v[1:2], v[25:26]
	v_mul_f64 v[25:26], v[3:4], v[25:26]
	s_waitcnt vmcnt(54)
	v_fma_f64 v[108:109], v[5:6], v[117:118], -v[108:109]
	v_add_f64 v[13:14], v[13:14], v[102:103]
	v_fma_f64 v[102:103], v[7:8], v[117:118], v[104:105]
	v_add_f64 v[15:16], v[15:16], v[85:86]
	s_clause 0x1
	buffer_load_dword v86, off, s[0:3], 0 offset:884
	buffer_load_dword v85, off, s[0:3], 0 offset:880
	ds_read_b128 v[5:8], v51 offset:1552
	s_waitcnt vmcnt(55) lgkmcnt(1)
	v_mul_f64 v[104:105], v[9:10], v[87:88]
	v_mul_f64 v[87:88], v[11:12], v[87:88]
	s_waitcnt vmcnt(53)
	v_fma_f64 v[25:26], v[1:2], v[19:20], -v[25:26]
	v_fma_f64 v[19:20], v[3:4], v[19:20], v[96:97]
	ds_read_b128 v[1:4], v51 offset:1568
	v_add_f64 v[13:14], v[13:14], v[108:109]
	v_add_f64 v[15:16], v[15:16], v[102:103]
	s_waitcnt vmcnt(49) lgkmcnt(1)
	v_mul_f64 v[96:97], v[5:6], v[52:53]
	v_mul_f64 v[52:53], v[7:8], v[52:53]
	s_waitcnt vmcnt(48)
	v_fma_f64 v[87:88], v[9:10], v[113:114], -v[87:88]
	v_add_f64 v[13:14], v[13:14], v[25:26]
	v_fma_f64 v[25:26], v[11:12], v[113:114], v[104:105]
	v_add_f64 v[15:16], v[15:16], v[19:20]
	s_clause 0x3
	buffer_load_dword v19, off, s[0:3], 0 offset:336
	buffer_load_dword v20, off, s[0:3], 0 offset:340
	;; [unrolled: 1-line block ×4, first 2 shown]
	ds_read_b128 v[9:12], v51 offset:1584
	s_waitcnt vmcnt(51) lgkmcnt(1)
	v_mul_f64 v[104:105], v[1:2], v[54:55]
	v_mul_f64 v[54:55], v[3:4], v[54:55]
	s_waitcnt vmcnt(49)
	v_fma_f64 v[52:53], v[5:6], v[21:22], -v[52:53]
	v_fma_f64 v[21:22], v[7:8], v[21:22], v[96:97]
	ds_read_b128 v[5:8], v51 offset:1600
	v_add_f64 v[13:14], v[13:14], v[87:88]
	v_add_f64 v[15:16], v[15:16], v[25:26]
	s_waitcnt vmcnt(45) lgkmcnt(1)
	v_mul_f64 v[25:26], v[9:10], v[17:18]
	v_mul_f64 v[17:18], v[11:12], v[17:18]
	s_waitcnt vmcnt(44)
	v_fma_f64 v[54:55], v[1:2], v[89:90], -v[54:55]
	v_add_f64 v[13:14], v[13:14], v[52:53]
	v_fma_f64 v[52:53], v[3:4], v[89:90], v[104:105]
	v_add_f64 v[15:16], v[15:16], v[21:22]
	ds_read_b128 v[1:4], v51 offset:1616
	s_waitcnt vmcnt(43) lgkmcnt(1)
	v_mul_f64 v[21:22], v[5:6], v[37:38]
	v_mul_f64 v[37:38], v[7:8], v[37:38]
	s_waitcnt vmcnt(41)
	v_fma_f64 v[17:18], v[9:10], v[27:28], -v[17:18]
	v_fma_f64 v[25:26], v[11:12], v[27:28], v[25:26]
	ds_read_b128 v[9:12], v51 offset:1632
	v_add_f64 v[13:14], v[13:14], v[54:55]
	v_add_f64 v[15:16], v[15:16], v[52:53]
	s_waitcnt vmcnt(37) lgkmcnt(1)
	v_mul_f64 v[27:28], v[1:2], v[23:24]
	v_mul_f64 v[23:24], v[3:4], v[23:24]
	s_waitcnt vmcnt(36)
	v_fma_f64 v[37:38], v[5:6], v[83:84], -v[37:38]
	v_add_f64 v[13:14], v[13:14], v[17:18]
	v_fma_f64 v[17:18], v[7:8], v[83:84], v[21:22]
	v_add_f64 v[15:16], v[15:16], v[25:26]
	s_waitcnt vmcnt(35) lgkmcnt(0)
	v_mul_f64 v[25:26], v[11:12], v[43:44]
	ds_read_b128 v[5:8], v51 offset:1648
	v_mul_f64 v[21:22], v[9:10], v[43:44]
	s_waitcnt vmcnt(33)
	v_fma_f64 v[27:28], v[3:4], v[33:34], v[27:28]
	v_fma_f64 v[23:24], v[1:2], v[33:34], -v[23:24]
	ds_read_b128 v[1:4], v51 offset:1664
	v_add_f64 v[13:14], v[13:14], v[37:38]
	v_add_f64 v[15:16], v[15:16], v[17:18]
	s_waitcnt vmcnt(29) lgkmcnt(1)
	v_mul_f64 v[17:18], v[5:6], v[29:30]
	v_mul_f64 v[29:30], v[7:8], v[29:30]
	s_waitcnt vmcnt(28)
	v_fma_f64 v[25:26], v[9:10], v[45:46], -v[25:26]
	v_fma_f64 v[21:22], v[11:12], v[45:46], v[21:22]
	ds_read_b128 v[9:12], v51 offset:1680
	v_add_f64 v[13:14], v[13:14], v[23:24]
	v_add_f64 v[15:16], v[15:16], v[27:28]
	s_waitcnt vmcnt(27) lgkmcnt(1)
	v_mul_f64 v[27:28], v[3:4], v[91:92]
	v_mul_f64 v[23:24], v[1:2], v[91:92]
	s_waitcnt vmcnt(25)
	v_fma_f64 v[29:30], v[5:6], v[31:32], -v[29:30]
	v_fma_f64 v[17:18], v[7:8], v[31:32], v[17:18]
	ds_read_b128 v[5:8], v51 offset:1696
	v_add_f64 v[13:14], v[13:14], v[25:26]
	v_add_f64 v[15:16], v[15:16], v[21:22]
	s_waitcnt vmcnt(21) lgkmcnt(1)
	v_mul_f64 v[25:26], v[11:12], v[35:36]
	s_waitcnt vmcnt(20)
	v_fma_f64 v[27:28], v[1:2], v[93:94], -v[27:28]
	v_mul_f64 v[21:22], v[9:10], v[35:36]
	v_fma_f64 v[23:24], v[3:4], v[93:94], v[23:24]
	ds_read_b128 v[1:4], v51 offset:1712
	v_add_f64 v[13:14], v[13:14], v[29:30]
	v_add_f64 v[15:16], v[15:16], v[17:18]
	s_waitcnt vmcnt(19) lgkmcnt(1)
	v_mul_f64 v[29:30], v[7:8], v[98:99]
	v_mul_f64 v[17:18], v[5:6], v[98:99]
	s_waitcnt vmcnt(17)
	v_fma_f64 v[25:26], v[9:10], v[39:40], -v[25:26]
	v_fma_f64 v[21:22], v[11:12], v[39:40], v[21:22]
	ds_read_b128 v[9:12], v51 offset:1728
	v_add_f64 v[13:14], v[13:14], v[27:28]
	v_add_f64 v[15:16], v[15:16], v[23:24]
	s_waitcnt vmcnt(13) lgkmcnt(1)
	v_mul_f64 v[27:28], v[3:4], v[41:42]
	s_waitcnt vmcnt(12)
	v_fma_f64 v[29:30], v[5:6], v[100:101], -v[29:30]
	v_mul_f64 v[23:24], v[1:2], v[41:42]
	v_fma_f64 v[17:18], v[7:8], v[100:101], v[17:18]
	ds_read_b128 v[5:8], v51 offset:1744
	v_add_f64 v[13:14], v[13:14], v[25:26]
	v_add_f64 v[15:16], v[15:16], v[21:22]
	s_waitcnt vmcnt(11) lgkmcnt(1)
	v_mul_f64 v[25:26], v[11:12], v[106:107]
	v_mul_f64 v[21:22], v[9:10], v[106:107]
	s_waitcnt vmcnt(9)
	v_fma_f64 v[1:2], v[1:2], v[47:48], -v[27:28]
	v_fma_f64 v[3:4], v[3:4], v[47:48], v[23:24]
	v_add_f64 v[13:14], v[13:14], v[29:30]
	v_add_f64 v[15:16], v[15:16], v[17:18]
	s_waitcnt vmcnt(7) lgkmcnt(0)
	v_mul_f64 v[23:24], v[7:8], v[49:50]
	s_waitcnt vmcnt(6)
	v_fma_f64 v[9:10], v[9:10], v[110:111], -v[25:26]
	v_mul_f64 v[17:18], v[5:6], v[49:50]
	v_fma_f64 v[11:12], v[11:12], v[110:111], v[21:22]
	v_add_f64 v[1:2], v[13:14], v[1:2]
	v_add_f64 v[3:4], v[15:16], v[3:4]
	s_waitcnt vmcnt(4)
	v_fma_f64 v[5:6], v[5:6], v[85:86], -v[23:24]
	v_fma_f64 v[7:8], v[7:8], v[85:86], v[17:18]
	v_add_f64 v[1:2], v[1:2], v[9:10]
	v_add_f64 v[3:4], v[3:4], v[11:12]
	;; [unrolled: 1-line block ×4, first 2 shown]
	s_waitcnt vmcnt(2)
	v_add_f64 v[1:2], v[19:20], -v[1:2]
	s_waitcnt vmcnt(0)
	v_add_f64 v[3:4], v[102:103], -v[3:4]
	buffer_store_dword v2, off, s[0:3], 0 offset:340
	buffer_store_dword v1, off, s[0:3], 0 offset:336
	buffer_store_dword v4, off, s[0:3], 0 offset:348
	buffer_store_dword v3, off, s[0:3], 0 offset:344
	v_cmpx_lt_u32_e32 19, v0
	s_cbranch_execz .LBB54_305
; %bb.304:
	v_mov_b32_e32 v4, s48
	v_mov_b32_e32 v5, 0
	s_clause 0x3
	buffer_load_dword v1, v4, s[0:3], 0 offen
	buffer_load_dword v2, v4, s[0:3], 0 offen offset:4
	buffer_load_dword v3, v4, s[0:3], 0 offen offset:8
	;; [unrolled: 1-line block ×3, first 2 shown]
	buffer_store_dword v5, off, s[0:3], 0 offset:320
	buffer_store_dword v5, off, s[0:3], 0 offset:324
	buffer_store_dword v5, off, s[0:3], 0 offset:328
	buffer_store_dword v5, off, s[0:3], 0 offset:332
	s_waitcnt vmcnt(0)
	ds_write_b128 v95, v[1:4]
.LBB54_305:
	s_or_b32 exec_lo, exec_lo, s4
	s_waitcnt lgkmcnt(0)
	s_waitcnt_vscnt null, 0x0
	s_barrier
	buffer_gl0_inv
	s_clause 0x37
	buffer_load_dword v9, off, s[0:3], 0 offset:344
	buffer_load_dword v10, off, s[0:3], 0 offset:348
	;; [unrolled: 1-line block ×56, first 2 shown]
	v_mov_b32_e32 v87, 0
	s_mov_b32 s4, exec_lo
	ds_read_b128 v[88:91], v87 offset:1200
	s_clause 0x2
	buffer_load_dword v84, off, s[0:3], 0 offset:572
	buffer_load_dword v86, off, s[0:3], 0 offset:548
	;; [unrolled: 1-line block ×3, first 2 shown]
	ds_read_b128 v[96:99], v87 offset:1216
	s_clause 0x4
	buffer_load_dword v105, off, s[0:3], 0 offset:588
	buffer_load_dword v106, off, s[0:3], 0 offset:600
	;; [unrolled: 1-line block ×5, first 2 shown]
	ds_read_b128 v[100:103], v87 offset:1232
	s_clause 0x2
	buffer_load_dword v107, off, s[0:3], 0 offset:604
	buffer_load_dword v112, off, s[0:3], 0 offset:580
	;; [unrolled: 1-line block ×3, first 2 shown]
	s_waitcnt vmcnt(62) lgkmcnt(2)
	v_mul_f64 v[92:93], v[90:91], v[9:10]
	v_mul_f64 v[9:10], v[88:89], v[9:10]
	s_waitcnt lgkmcnt(1)
	v_mul_f64 v[109:110], v[98:99], v[5:6]
	s_waitcnt vmcnt(59) lgkmcnt(0)
	v_mul_f64 v[113:114], v[102:103], v[3:4]
	v_fma_f64 v[88:89], v[88:89], v[7:8], -v[92:93]
	v_mul_f64 v[92:93], v[96:97], v[5:6]
	v_fma_f64 v[9:10], v[90:91], v[7:8], v[9:10]
	s_waitcnt vmcnt(57)
	v_fma_f64 v[96:97], v[96:97], v[1:2], -v[109:110]
	ds_read_b128 v[5:8], v87 offset:1248
	v_mul_f64 v[90:91], v[100:101], v[3:4]
	s_waitcnt vmcnt(51)
	v_fma_f64 v[100:101], v[100:101], v[25:26], -v[113:114]
	v_add_f64 v[88:89], v[88:89], 0
	v_fma_f64 v[92:93], v[98:99], v[1:2], v[92:93]
	v_add_f64 v[9:10], v[9:10], 0
	s_clause 0x4
	buffer_load_dword v99, off, s[0:3], 0 offset:620
	buffer_load_dword v115, off, s[0:3], 0 offset:632
	;; [unrolled: 1-line block ×5, first 2 shown]
	s_waitcnt lgkmcnt(0)
	v_mul_f64 v[118:119], v[5:6], v[13:14]
	v_mul_f64 v[13:14], v[7:8], v[13:14]
	ds_read_b128 v[1:4], v87 offset:1264
	v_fma_f64 v[25:26], v[102:103], v[25:26], v[90:91]
	v_add_f64 v[96:97], v[88:89], v[96:97]
	v_add_f64 v[9:10], v[9:10], v[92:93]
	s_clause 0x2
	buffer_load_dword v116, off, s[0:3], 0 offset:636
	buffer_load_dword v93, off, s[0:3], 0 offset:612
	buffer_load_dword v92, off, s[0:3], 0 offset:608
	s_waitcnt vmcnt(58) lgkmcnt(0)
	v_mul_f64 v[102:103], v[1:2], v[17:18]
	v_mul_f64 v[17:18], v[3:4], v[17:18]
	s_waitcnt vmcnt(56)
	v_fma_f64 v[13:14], v[5:6], v[19:20], -v[13:14]
	ds_read_b128 v[88:91], v87 offset:1280
	v_fma_f64 v[19:20], v[7:8], v[19:20], v[118:119]
	v_add_f64 v[96:97], v[96:97], v[100:101]
	v_add_f64 v[9:10], v[9:10], v[25:26]
	s_clause 0x4
	buffer_load_dword v26, off, s[0:3], 0 offset:652
	buffer_load_dword v100, off, s[0:3], 0 offset:664
	;; [unrolled: 1-line block ×5, first 2 shown]
	ds_read_b128 v[5:8], v87 offset:1296
	s_waitcnt vmcnt(57) lgkmcnt(1)
	v_mul_f64 v[119:120], v[88:89], v[21:22]
	v_mul_f64 v[21:22], v[90:91], v[21:22]
	s_waitcnt vmcnt(56)
	v_fma_f64 v[17:18], v[1:2], v[11:12], -v[17:18]
	v_fma_f64 v[11:12], v[3:4], v[11:12], v[102:103]
	v_add_f64 v[13:14], v[96:97], v[13:14]
	v_add_f64 v[9:10], v[9:10], v[19:20]
	s_clause 0x2
	buffer_load_dword v101, off, s[0:3], 0 offset:668
	buffer_load_dword v20, off, s[0:3], 0 offset:644
	;; [unrolled: 1-line block ×3, first 2 shown]
	s_waitcnt vmcnt(58) lgkmcnt(0)
	v_mul_f64 v[96:97], v[5:6], v[27:28]
	v_mul_f64 v[27:28], v[7:8], v[27:28]
	s_waitcnt vmcnt(56)
	v_fma_f64 v[21:22], v[88:89], v[29:30], -v[21:22]
	ds_read_b128 v[1:4], v87 offset:1312
	v_add_f64 v[13:14], v[13:14], v[17:18]
	v_fma_f64 v[17:18], v[90:91], v[29:30], v[119:120]
	v_add_f64 v[29:30], v[9:10], v[11:12]
	s_clause 0x4
	buffer_load_dword v89, off, s[0:3], 0 offset:684
	buffer_load_dword v90, off, s[0:3], 0 offset:696
	;; [unrolled: 1-line block ×5, first 2 shown]
	ds_read_b128 v[9:12], v87 offset:1328
	s_waitcnt vmcnt(57) lgkmcnt(1)
	v_mul_f64 v[119:120], v[1:2], v[31:32]
	v_mul_f64 v[31:32], v[3:4], v[31:32]
	s_waitcnt vmcnt(56)
	v_fma_f64 v[27:28], v[5:6], v[15:16], -v[27:28]
	v_fma_f64 v[15:16], v[7:8], v[15:16], v[96:97]
	v_add_f64 v[13:14], v[13:14], v[21:22]
	s_clause 0x2
	buffer_load_dword v91, off, s[0:3], 0 offset:700
	buffer_load_dword v22, off, s[0:3], 0 offset:676
	;; [unrolled: 1-line block ×3, first 2 shown]
	v_add_f64 v[17:18], v[29:30], v[17:18]
	s_waitcnt vmcnt(58) lgkmcnt(0)
	v_mul_f64 v[29:30], v[9:10], v[35:36]
	v_mul_f64 v[35:36], v[11:12], v[35:36]
	ds_read_b128 v[5:8], v87 offset:1344
	s_waitcnt vmcnt(56)
	v_fma_f64 v[31:32], v[1:2], v[37:38], -v[31:32]
	v_add_f64 v[13:14], v[13:14], v[27:28]
	v_fma_f64 v[27:28], v[3:4], v[37:38], v[119:120]
	v_add_f64 v[15:16], v[17:18], v[15:16]
	s_clause 0x4
	buffer_load_dword v18, off, s[0:3], 0 offset:716
	buffer_load_dword v37, off, s[0:3], 0 offset:728
	buffer_load_dword v96, off, s[0:3], 0 offset:720
	buffer_load_dword v17, off, s[0:3], 0 offset:712
	buffer_load_dword v103, off, s[0:3], 0 offset:692
	s_waitcnt vmcnt(57) lgkmcnt(0)
	v_mul_f64 v[119:120], v[5:6], v[39:40]
	v_mul_f64 v[39:40], v[7:8], v[39:40]
	s_waitcnt vmcnt(56)
	v_fma_f64 v[35:36], v[9:10], v[23:24], -v[35:36]
	ds_read_b128 v[1:4], v87 offset:1360
	v_fma_f64 v[23:24], v[11:12], v[23:24], v[29:30]
	v_add_f64 v[13:14], v[13:14], v[31:32]
	v_add_f64 v[15:16], v[15:16], v[27:28]
	s_clause 0x2
	buffer_load_dword v38, off, s[0:3], 0 offset:732
	buffer_load_dword v28, off, s[0:3], 0 offset:708
	;; [unrolled: 1-line block ×3, first 2 shown]
	ds_read_b128 v[9:12], v87 offset:1376
	s_waitcnt vmcnt(58) lgkmcnt(1)
	v_mul_f64 v[31:32], v[3:4], v[43:44]
	s_waitcnt vmcnt(56)
	v_fma_f64 v[39:40], v[5:6], v[45:46], -v[39:40]
	v_mul_f64 v[29:30], v[1:2], v[43:44]
	v_add_f64 v[13:14], v[13:14], v[35:36]
	v_fma_f64 v[35:36], v[7:8], v[45:46], v[119:120]
	v_add_f64 v[15:16], v[15:16], v[23:24]
	s_clause 0x4
	buffer_load_dword v24, off, s[0:3], 0 offset:748
	buffer_load_dword v43, off, s[0:3], 0 offset:760
	;; [unrolled: 1-line block ×5, first 2 shown]
	s_waitcnt vmcnt(57) lgkmcnt(0)
	v_mul_f64 v[119:120], v[9:10], v[47:48]
	v_mul_f64 v[46:47], v[11:12], v[47:48]
	s_waitcnt vmcnt(56)
	v_fma_f64 v[31:32], v[1:2], v[33:34], -v[31:32]
	ds_read_b128 v[5:8], v87 offset:1392
	v_fma_f64 v[29:30], v[3:4], v[33:34], v[29:30]
	s_clause 0x2
	buffer_load_dword v44, off, s[0:3], 0 offset:764
	buffer_load_dword v34, off, s[0:3], 0 offset:740
	;; [unrolled: 1-line block ×3, first 2 shown]
	ds_read_b128 v[1:4], v87 offset:1408
	v_add_f64 v[13:14], v[13:14], v[39:40]
	v_add_f64 v[15:16], v[15:16], v[35:36]
	s_waitcnt vmcnt(58) lgkmcnt(1)
	v_mul_f64 v[39:40], v[7:8], v[51:52]
	s_waitcnt vmcnt(56)
	v_fma_f64 v[47:48], v[9:10], v[53:54], -v[46:47]
	v_mul_f64 v[35:36], v[5:6], v[51:52]
	v_add_f64 v[13:14], v[13:14], v[31:32]
	v_fma_f64 v[31:32], v[11:12], v[53:54], v[119:120]
	v_add_f64 v[15:16], v[15:16], v[29:30]
	s_clause 0x4
	buffer_load_dword v30, off, s[0:3], 0 offset:780
	buffer_load_dword v51, off, s[0:3], 0 offset:792
	;; [unrolled: 1-line block ×5, first 2 shown]
	s_waitcnt vmcnt(57) lgkmcnt(0)
	v_mul_f64 v[119:120], v[1:2], v[55:56]
	v_mul_f64 v[54:55], v[3:4], v[55:56]
	s_waitcnt vmcnt(56)
	v_fma_f64 v[39:40], v[5:6], v[41:42], -v[39:40]
	ds_read_b128 v[9:12], v87 offset:1424
	v_fma_f64 v[35:36], v[7:8], v[41:42], v[35:36]
	v_add_f64 v[13:14], v[13:14], v[47:48]
	v_add_f64 v[15:16], v[15:16], v[31:32]
	s_clause 0x2
	buffer_load_dword v52, off, s[0:3], 0 offset:796
	buffer_load_dword v32, off, s[0:3], 0 offset:772
	;; [unrolled: 1-line block ×3, first 2 shown]
	ds_read_b128 v[5:8], v87 offset:1440
	s_waitcnt vmcnt(58) lgkmcnt(1)
	v_mul_f64 v[47:48], v[11:12], v[83:84]
	s_waitcnt vmcnt(56)
	v_fma_f64 v[55:56], v[1:2], v[85:86], -v[54:55]
	v_mul_f64 v[41:42], v[9:10], v[83:84]
	v_add_f64 v[13:14], v[13:14], v[39:40]
	v_fma_f64 v[39:40], v[3:4], v[85:86], v[119:120]
	v_add_f64 v[15:16], v[15:16], v[35:36]
	s_clause 0x4
	buffer_load_dword v36, off, s[0:3], 0 offset:812
	buffer_load_dword v83, off, s[0:3], 0 offset:824
	;; [unrolled: 1-line block ×5, first 2 shown]
	s_waitcnt vmcnt(57) lgkmcnt(0)
	v_mul_f64 v[119:120], v[5:6], v[104:105]
	v_mul_f64 v[104:105], v[7:8], v[104:105]
	s_waitcnt vmcnt(56)
	v_fma_f64 v[47:48], v[9:10], v[49:50], -v[47:48]
	ds_read_b128 v[1:4], v87 offset:1456
	v_fma_f64 v[41:42], v[11:12], v[49:50], v[41:42]
	v_add_f64 v[13:14], v[13:14], v[55:56]
	v_add_f64 v[15:16], v[15:16], v[39:40]
	s_clause 0x2
	buffer_load_dword v84, off, s[0:3], 0 offset:828
	buffer_load_dword v40, off, s[0:3], 0 offset:804
	;; [unrolled: 1-line block ×3, first 2 shown]
	ds_read_b128 v[9:12], v87 offset:1472
	s_waitcnt vmcnt(58) lgkmcnt(1)
	v_mul_f64 v[55:56], v[3:4], v[106:107]
	s_waitcnt vmcnt(56)
	v_fma_f64 v[104:105], v[5:6], v[111:112], -v[104:105]
	v_mul_f64 v[49:50], v[1:2], v[106:107]
	v_add_f64 v[13:14], v[13:14], v[47:48]
	v_fma_f64 v[47:48], v[7:8], v[111:112], v[119:120]
	v_add_f64 v[15:16], v[15:16], v[41:42]
	s_clause 0x4
	buffer_load_dword v42, off, s[0:3], 0 offset:844
	buffer_load_dword v106, off, s[0:3], 0 offset:856
	;; [unrolled: 1-line block ×5, first 2 shown]
	ds_read_b128 v[5:8], v87 offset:1488
	s_waitcnt vmcnt(57) lgkmcnt(1)
	v_mul_f64 v[111:112], v[9:10], v[98:99]
	v_mul_f64 v[98:99], v[11:12], v[98:99]
	s_waitcnt vmcnt(56)
	v_fma_f64 v[55:56], v[1:2], v[108:109], -v[55:56]
	v_fma_f64 v[49:50], v[3:4], v[108:109], v[49:50]
	v_add_f64 v[13:14], v[13:14], v[104:105]
	v_add_f64 v[15:16], v[15:16], v[47:48]
	s_clause 0x2
	buffer_load_dword v107, off, s[0:3], 0 offset:860
	buffer_load_dword v48, off, s[0:3], 0 offset:836
	;; [unrolled: 1-line block ×3, first 2 shown]
	ds_read_b128 v[1:4], v87 offset:1504
	s_waitcnt vmcnt(58) lgkmcnt(1)
	v_mul_f64 v[108:109], v[7:8], v[115:116]
	v_mul_f64 v[104:105], v[5:6], v[115:116]
	s_waitcnt vmcnt(56)
	v_fma_f64 v[98:99], v[9:10], v[92:93], -v[98:99]
	v_add_f64 v[13:14], v[13:14], v[55:56]
	v_fma_f64 v[55:56], v[11:12], v[92:93], v[111:112]
	v_add_f64 v[15:16], v[15:16], v[49:50]
	s_clause 0x4
	buffer_load_dword v50, off, s[0:3], 0 offset:876
	buffer_load_dword v92, off, s[0:3], 0 offset:888
	;; [unrolled: 1-line block ×5, first 2 shown]
	ds_read_b128 v[9:12], v87 offset:1520
	s_waitcnt vmcnt(57) lgkmcnt(1)
	v_mul_f64 v[119:120], v[1:2], v[25:26]
	v_mul_f64 v[25:26], v[3:4], v[25:26]
	s_waitcnt vmcnt(56)
	v_fma_f64 v[108:109], v[5:6], v[117:118], -v[108:109]
	v_add_f64 v[13:14], v[13:14], v[98:99]
	v_fma_f64 v[98:99], v[7:8], v[117:118], v[104:105]
	v_add_f64 v[15:16], v[15:16], v[55:56]
	s_clause 0x2
	buffer_load_dword v93, off, s[0:3], 0 offset:892
	buffer_load_dword v56, off, s[0:3], 0 offset:868
	;; [unrolled: 1-line block ×3, first 2 shown]
	ds_read_b128 v[5:8], v87 offset:1536
	buffer_load_dword v116, off, s[0:3], 0 offset:884
	s_waitcnt vmcnt(59) lgkmcnt(1)
	v_mul_f64 v[104:105], v[9:10], v[100:101]
	v_mul_f64 v[100:101], v[11:12], v[100:101]
	s_waitcnt vmcnt(57)
	v_fma_f64 v[25:26], v[1:2], v[19:20], -v[25:26]
	v_fma_f64 v[19:20], v[3:4], v[19:20], v[119:120]
	ds_read_b128 v[1:4], v87 offset:1552
	v_add_f64 v[13:14], v[13:14], v[108:109]
	v_add_f64 v[15:16], v[15:16], v[98:99]
	s_waitcnt vmcnt(53) lgkmcnt(1)
	v_mul_f64 v[98:99], v[5:6], v[88:89]
	v_mul_f64 v[88:89], v[7:8], v[88:89]
	s_waitcnt vmcnt(52)
	v_fma_f64 v[100:101], v[9:10], v[113:114], -v[100:101]
	v_add_f64 v[13:14], v[13:14], v[25:26]
	v_fma_f64 v[25:26], v[11:12], v[113:114], v[104:105]
	v_add_f64 v[15:16], v[15:16], v[19:20]
	ds_read_b128 v[9:12], v87 offset:1568
	s_waitcnt vmcnt(51) lgkmcnt(1)
	v_mul_f64 v[19:20], v[1:2], v[90:91]
	v_mul_f64 v[90:91], v[3:4], v[90:91]
	s_waitcnt vmcnt(49)
	v_fma_f64 v[88:89], v[5:6], v[21:22], -v[88:89]
	v_fma_f64 v[21:22], v[7:8], v[21:22], v[98:99]
	v_add_f64 v[13:14], v[13:14], v[100:101]
	v_add_f64 v[15:16], v[15:16], v[25:26]
	s_clause 0x3
	buffer_load_dword v25, off, s[0:3], 0 offset:320
	buffer_load_dword v26, off, s[0:3], 0 offset:324
	;; [unrolled: 1-line block ×4, first 2 shown]
	ds_read_b128 v[5:8], v87 offset:1584
	s_waitcnt vmcnt(49) lgkmcnt(1)
	v_mul_f64 v[100:101], v[9:10], v[17:18]
	v_mul_f64 v[17:18], v[11:12], v[17:18]
	s_waitcnt vmcnt(48)
	v_fma_f64 v[90:91], v[1:2], v[102:103], -v[90:91]
	v_fma_f64 v[19:20], v[3:4], v[102:103], v[19:20]
	ds_read_b128 v[1:4], v87 offset:1600
	v_add_f64 v[13:14], v[13:14], v[88:89]
	v_add_f64 v[15:16], v[15:16], v[21:22]
	s_waitcnt vmcnt(47) lgkmcnt(1)
	v_mul_f64 v[21:22], v[5:6], v[37:38]
	v_mul_f64 v[37:38], v[7:8], v[37:38]
	s_waitcnt vmcnt(45)
	v_fma_f64 v[17:18], v[9:10], v[27:28], -v[17:18]
	v_fma_f64 v[27:28], v[11:12], v[27:28], v[100:101]
	ds_read_b128 v[9:12], v87 offset:1616
	v_add_f64 v[13:14], v[13:14], v[90:91]
	v_add_f64 v[15:16], v[15:16], v[19:20]
	s_waitcnt vmcnt(41) lgkmcnt(1)
	v_mul_f64 v[19:20], v[1:2], v[23:24]
	v_mul_f64 v[23:24], v[3:4], v[23:24]
	s_waitcnt vmcnt(40)
	v_fma_f64 v[37:38], v[5:6], v[96:97], -v[37:38]
	v_add_f64 v[13:14], v[13:14], v[17:18]
	v_fma_f64 v[17:18], v[7:8], v[96:97], v[21:22]
	v_add_f64 v[15:16], v[15:16], v[27:28]
	ds_read_b128 v[5:8], v87 offset:1632
	s_waitcnt vmcnt(39) lgkmcnt(1)
	v_mul_f64 v[27:28], v[11:12], v[43:44]
	v_mul_f64 v[21:22], v[9:10], v[43:44]
	s_waitcnt vmcnt(37)
	v_fma_f64 v[19:20], v[3:4], v[33:34], v[19:20]
	v_fma_f64 v[23:24], v[1:2], v[33:34], -v[23:24]
	ds_read_b128 v[1:4], v87 offset:1648
	v_add_f64 v[13:14], v[13:14], v[37:38]
	v_add_f64 v[15:16], v[15:16], v[17:18]
	s_waitcnt vmcnt(33) lgkmcnt(1)
	v_mul_f64 v[17:18], v[5:6], v[29:30]
	v_mul_f64 v[29:30], v[7:8], v[29:30]
	s_waitcnt vmcnt(32)
	v_fma_f64 v[27:28], v[9:10], v[45:46], -v[27:28]
	v_fma_f64 v[21:22], v[11:12], v[45:46], v[21:22]
	ds_read_b128 v[9:12], v87 offset:1664
	v_add_f64 v[13:14], v[13:14], v[23:24]
	v_add_f64 v[15:16], v[15:16], v[19:20]
	s_waitcnt vmcnt(31) lgkmcnt(1)
	v_mul_f64 v[23:24], v[3:4], v[51:52]
	v_mul_f64 v[19:20], v[1:2], v[51:52]
	s_waitcnt vmcnt(29)
	v_fma_f64 v[29:30], v[5:6], v[31:32], -v[29:30]
	v_fma_f64 v[17:18], v[7:8], v[31:32], v[17:18]
	ds_read_b128 v[5:8], v87 offset:1680
	v_add_f64 v[13:14], v[13:14], v[27:28]
	v_add_f64 v[15:16], v[15:16], v[21:22]
	s_waitcnt vmcnt(25) lgkmcnt(1)
	v_mul_f64 v[27:28], v[11:12], v[35:36]
	s_waitcnt vmcnt(24)
	v_fma_f64 v[23:24], v[1:2], v[53:54], -v[23:24]
	v_mul_f64 v[21:22], v[9:10], v[35:36]
	v_fma_f64 v[19:20], v[3:4], v[53:54], v[19:20]
	ds_read_b128 v[1:4], v87 offset:1696
	v_add_f64 v[13:14], v[13:14], v[29:30]
	v_add_f64 v[15:16], v[15:16], v[17:18]
	s_waitcnt vmcnt(23) lgkmcnt(1)
	v_mul_f64 v[29:30], v[7:8], v[83:84]
	v_mul_f64 v[17:18], v[5:6], v[83:84]
	s_waitcnt vmcnt(21)
	v_fma_f64 v[27:28], v[9:10], v[39:40], -v[27:28]
	v_fma_f64 v[21:22], v[11:12], v[39:40], v[21:22]
	ds_read_b128 v[9:12], v87 offset:1712
	v_add_f64 v[13:14], v[13:14], v[23:24]
	v_add_f64 v[15:16], v[15:16], v[19:20]
	s_waitcnt vmcnt(17) lgkmcnt(1)
	v_mul_f64 v[23:24], v[3:4], v[41:42]
	s_waitcnt vmcnt(16)
	v_fma_f64 v[29:30], v[5:6], v[85:86], -v[29:30]
	v_mul_f64 v[19:20], v[1:2], v[41:42]
	;; [unrolled: 18-line block ×3, first 2 shown]
	v_fma_f64 v[11:12], v[11:12], v[110:111], v[21:22]
	v_add_f64 v[13:14], v[13:14], v[23:24]
	v_add_f64 v[15:16], v[15:16], v[19:20]
	s_waitcnt vmcnt(7) lgkmcnt(0)
	v_mul_f64 v[21:22], v[3:4], v[92:93]
	v_mul_f64 v[19:20], v[1:2], v[92:93]
	s_waitcnt vmcnt(5)
	v_fma_f64 v[5:6], v[5:6], v[55:56], -v[29:30]
	v_fma_f64 v[7:8], v[7:8], v[55:56], v[17:18]
	v_add_f64 v[9:10], v[13:14], v[9:10]
	v_add_f64 v[11:12], v[15:16], v[11:12]
	s_waitcnt vmcnt(4)
	v_fma_f64 v[1:2], v[1:2], v[115:116], -v[21:22]
	v_fma_f64 v[3:4], v[3:4], v[115:116], v[19:20]
	v_add_f64 v[5:6], v[9:10], v[5:6]
	v_add_f64 v[7:8], v[11:12], v[7:8]
	v_add_f64 v[1:2], v[5:6], v[1:2]
	v_add_f64 v[3:4], v[7:8], v[3:4]
	s_waitcnt vmcnt(2)
	v_add_f64 v[1:2], v[25:26], -v[1:2]
	s_waitcnt vmcnt(0)
	v_add_f64 v[3:4], v[98:99], -v[3:4]
	buffer_store_dword v2, off, s[0:3], 0 offset:324
	buffer_store_dword v1, off, s[0:3], 0 offset:320
	buffer_store_dword v4, off, s[0:3], 0 offset:332
	buffer_store_dword v3, off, s[0:3], 0 offset:328
	v_cmpx_lt_u32_e32 18, v0
	s_cbranch_execz .LBB54_307
; %bb.306:
	v_mov_b32_e32 v4, s49
	s_clause 0x3
	buffer_load_dword v1, v4, s[0:3], 0 offen
	buffer_load_dword v2, v4, s[0:3], 0 offen offset:4
	buffer_load_dword v3, v4, s[0:3], 0 offen offset:8
	;; [unrolled: 1-line block ×3, first 2 shown]
	buffer_store_dword v87, off, s[0:3], 0 offset:304
	buffer_store_dword v87, off, s[0:3], 0 offset:308
	;; [unrolled: 1-line block ×4, first 2 shown]
	s_waitcnt vmcnt(0)
	ds_write_b128 v95, v[1:4]
.LBB54_307:
	s_or_b32 exec_lo, exec_lo, s4
	s_waitcnt lgkmcnt(0)
	s_waitcnt_vscnt null, 0x0
	s_barrier
	buffer_gl0_inv
	s_clause 0x37
	buffer_load_dword v9, off, s[0:3], 0 offset:328
	buffer_load_dword v10, off, s[0:3], 0 offset:332
	;; [unrolled: 1-line block ×56, first 2 shown]
	ds_read_b128 v[88:91], v87 offset:1184
	s_clause 0x2
	buffer_load_dword v84, off, s[0:3], 0 offset:556
	buffer_load_dword v86, off, s[0:3], 0 offset:532
	;; [unrolled: 1-line block ×3, first 2 shown]
	ds_read_b128 v[96:99], v87 offset:1200
	s_clause 0x4
	buffer_load_dword v105, off, s[0:3], 0 offset:572
	buffer_load_dword v106, off, s[0:3], 0 offset:584
	;; [unrolled: 1-line block ×5, first 2 shown]
	ds_read_b128 v[100:103], v87 offset:1216
	s_clause 0x2
	buffer_load_dword v107, off, s[0:3], 0 offset:588
	buffer_load_dword v112, off, s[0:3], 0 offset:564
	;; [unrolled: 1-line block ×3, first 2 shown]
	s_mov_b32 s4, exec_lo
	s_waitcnt vmcnt(62) lgkmcnt(2)
	v_mul_f64 v[92:93], v[90:91], v[9:10]
	v_mul_f64 v[9:10], v[88:89], v[9:10]
	s_waitcnt lgkmcnt(1)
	v_mul_f64 v[109:110], v[98:99], v[5:6]
	s_waitcnt vmcnt(59) lgkmcnt(0)
	v_mul_f64 v[113:114], v[102:103], v[3:4]
	v_fma_f64 v[88:89], v[88:89], v[7:8], -v[92:93]
	v_mul_f64 v[92:93], v[96:97], v[5:6]
	v_fma_f64 v[9:10], v[90:91], v[7:8], v[9:10]
	s_waitcnt vmcnt(57)
	v_fma_f64 v[96:97], v[96:97], v[1:2], -v[109:110]
	ds_read_b128 v[5:8], v87 offset:1232
	v_mul_f64 v[90:91], v[100:101], v[3:4]
	s_waitcnt vmcnt(51)
	v_fma_f64 v[100:101], v[100:101], v[25:26], -v[113:114]
	v_add_f64 v[88:89], v[88:89], 0
	v_fma_f64 v[92:93], v[98:99], v[1:2], v[92:93]
	v_add_f64 v[9:10], v[9:10], 0
	s_clause 0x4
	buffer_load_dword v99, off, s[0:3], 0 offset:604
	buffer_load_dword v115, off, s[0:3], 0 offset:616
	;; [unrolled: 1-line block ×5, first 2 shown]
	s_waitcnt lgkmcnt(0)
	v_mul_f64 v[118:119], v[5:6], v[13:14]
	v_mul_f64 v[13:14], v[7:8], v[13:14]
	ds_read_b128 v[1:4], v87 offset:1248
	v_fma_f64 v[25:26], v[102:103], v[25:26], v[90:91]
	v_add_f64 v[96:97], v[88:89], v[96:97]
	v_add_f64 v[9:10], v[9:10], v[92:93]
	s_clause 0x2
	buffer_load_dword v116, off, s[0:3], 0 offset:620
	buffer_load_dword v93, off, s[0:3], 0 offset:596
	;; [unrolled: 1-line block ×3, first 2 shown]
	s_waitcnt vmcnt(58) lgkmcnt(0)
	v_mul_f64 v[102:103], v[1:2], v[17:18]
	v_mul_f64 v[17:18], v[3:4], v[17:18]
	s_waitcnt vmcnt(56)
	v_fma_f64 v[13:14], v[5:6], v[19:20], -v[13:14]
	ds_read_b128 v[88:91], v87 offset:1264
	v_fma_f64 v[19:20], v[7:8], v[19:20], v[118:119]
	v_add_f64 v[96:97], v[96:97], v[100:101]
	v_add_f64 v[9:10], v[9:10], v[25:26]
	s_clause 0x4
	buffer_load_dword v26, off, s[0:3], 0 offset:636
	buffer_load_dword v100, off, s[0:3], 0 offset:648
	;; [unrolled: 1-line block ×5, first 2 shown]
	ds_read_b128 v[5:8], v87 offset:1280
	s_waitcnt vmcnt(57) lgkmcnt(1)
	v_mul_f64 v[119:120], v[88:89], v[21:22]
	v_mul_f64 v[21:22], v[90:91], v[21:22]
	s_waitcnt vmcnt(56)
	v_fma_f64 v[17:18], v[1:2], v[11:12], -v[17:18]
	v_fma_f64 v[11:12], v[3:4], v[11:12], v[102:103]
	v_add_f64 v[13:14], v[96:97], v[13:14]
	v_add_f64 v[9:10], v[9:10], v[19:20]
	s_clause 0x2
	buffer_load_dword v101, off, s[0:3], 0 offset:652
	buffer_load_dword v20, off, s[0:3], 0 offset:628
	;; [unrolled: 1-line block ×3, first 2 shown]
	s_waitcnt vmcnt(58) lgkmcnt(0)
	v_mul_f64 v[96:97], v[5:6], v[27:28]
	v_mul_f64 v[27:28], v[7:8], v[27:28]
	s_waitcnt vmcnt(56)
	v_fma_f64 v[21:22], v[88:89], v[29:30], -v[21:22]
	ds_read_b128 v[1:4], v87 offset:1296
	v_add_f64 v[13:14], v[13:14], v[17:18]
	v_fma_f64 v[17:18], v[90:91], v[29:30], v[119:120]
	v_add_f64 v[29:30], v[9:10], v[11:12]
	s_clause 0x4
	buffer_load_dword v89, off, s[0:3], 0 offset:668
	buffer_load_dword v90, off, s[0:3], 0 offset:680
	;; [unrolled: 1-line block ×5, first 2 shown]
	ds_read_b128 v[9:12], v87 offset:1312
	s_waitcnt vmcnt(57) lgkmcnt(1)
	v_mul_f64 v[119:120], v[1:2], v[31:32]
	v_mul_f64 v[31:32], v[3:4], v[31:32]
	s_waitcnt vmcnt(56)
	v_fma_f64 v[27:28], v[5:6], v[15:16], -v[27:28]
	v_fma_f64 v[15:16], v[7:8], v[15:16], v[96:97]
	v_add_f64 v[13:14], v[13:14], v[21:22]
	s_clause 0x2
	buffer_load_dword v91, off, s[0:3], 0 offset:684
	buffer_load_dword v22, off, s[0:3], 0 offset:660
	;; [unrolled: 1-line block ×3, first 2 shown]
	v_add_f64 v[17:18], v[29:30], v[17:18]
	s_waitcnt vmcnt(58) lgkmcnt(0)
	v_mul_f64 v[29:30], v[9:10], v[35:36]
	v_mul_f64 v[35:36], v[11:12], v[35:36]
	ds_read_b128 v[5:8], v87 offset:1328
	s_waitcnt vmcnt(56)
	v_fma_f64 v[31:32], v[1:2], v[37:38], -v[31:32]
	v_add_f64 v[13:14], v[13:14], v[27:28]
	v_fma_f64 v[27:28], v[3:4], v[37:38], v[119:120]
	v_add_f64 v[15:16], v[17:18], v[15:16]
	s_clause 0x4
	buffer_load_dword v18, off, s[0:3], 0 offset:700
	buffer_load_dword v37, off, s[0:3], 0 offset:712
	;; [unrolled: 1-line block ×5, first 2 shown]
	s_waitcnt vmcnt(57) lgkmcnt(0)
	v_mul_f64 v[119:120], v[5:6], v[39:40]
	v_mul_f64 v[39:40], v[7:8], v[39:40]
	s_waitcnt vmcnt(56)
	v_fma_f64 v[35:36], v[9:10], v[23:24], -v[35:36]
	ds_read_b128 v[1:4], v87 offset:1344
	v_fma_f64 v[23:24], v[11:12], v[23:24], v[29:30]
	v_add_f64 v[13:14], v[13:14], v[31:32]
	v_add_f64 v[15:16], v[15:16], v[27:28]
	s_clause 0x2
	buffer_load_dword v38, off, s[0:3], 0 offset:716
	buffer_load_dword v28, off, s[0:3], 0 offset:692
	;; [unrolled: 1-line block ×3, first 2 shown]
	ds_read_b128 v[9:12], v87 offset:1360
	s_waitcnt vmcnt(58) lgkmcnt(1)
	v_mul_f64 v[31:32], v[3:4], v[43:44]
	s_waitcnt vmcnt(56)
	v_fma_f64 v[39:40], v[5:6], v[45:46], -v[39:40]
	v_mul_f64 v[29:30], v[1:2], v[43:44]
	v_add_f64 v[13:14], v[13:14], v[35:36]
	v_fma_f64 v[35:36], v[7:8], v[45:46], v[119:120]
	v_add_f64 v[15:16], v[15:16], v[23:24]
	s_clause 0x4
	buffer_load_dword v24, off, s[0:3], 0 offset:732
	buffer_load_dword v43, off, s[0:3], 0 offset:744
	;; [unrolled: 1-line block ×5, first 2 shown]
	s_waitcnt vmcnt(57) lgkmcnt(0)
	v_mul_f64 v[119:120], v[9:10], v[47:48]
	v_mul_f64 v[46:47], v[11:12], v[47:48]
	s_waitcnt vmcnt(56)
	v_fma_f64 v[31:32], v[1:2], v[33:34], -v[31:32]
	ds_read_b128 v[5:8], v87 offset:1376
	v_fma_f64 v[29:30], v[3:4], v[33:34], v[29:30]
	s_clause 0x2
	buffer_load_dword v44, off, s[0:3], 0 offset:748
	buffer_load_dword v34, off, s[0:3], 0 offset:724
	;; [unrolled: 1-line block ×3, first 2 shown]
	ds_read_b128 v[1:4], v87 offset:1392
	v_add_f64 v[13:14], v[13:14], v[39:40]
	v_add_f64 v[15:16], v[15:16], v[35:36]
	s_waitcnt vmcnt(58) lgkmcnt(1)
	v_mul_f64 v[39:40], v[7:8], v[51:52]
	s_waitcnt vmcnt(56)
	v_fma_f64 v[47:48], v[9:10], v[53:54], -v[46:47]
	v_mul_f64 v[35:36], v[5:6], v[51:52]
	v_add_f64 v[13:14], v[13:14], v[31:32]
	v_fma_f64 v[31:32], v[11:12], v[53:54], v[119:120]
	v_add_f64 v[15:16], v[15:16], v[29:30]
	s_clause 0x4
	buffer_load_dword v30, off, s[0:3], 0 offset:764
	buffer_load_dword v51, off, s[0:3], 0 offset:776
	;; [unrolled: 1-line block ×5, first 2 shown]
	s_waitcnt vmcnt(57) lgkmcnt(0)
	v_mul_f64 v[119:120], v[1:2], v[55:56]
	v_mul_f64 v[54:55], v[3:4], v[55:56]
	s_waitcnt vmcnt(56)
	v_fma_f64 v[39:40], v[5:6], v[41:42], -v[39:40]
	ds_read_b128 v[9:12], v87 offset:1408
	v_fma_f64 v[35:36], v[7:8], v[41:42], v[35:36]
	v_add_f64 v[13:14], v[13:14], v[47:48]
	v_add_f64 v[15:16], v[15:16], v[31:32]
	s_clause 0x2
	buffer_load_dword v52, off, s[0:3], 0 offset:780
	buffer_load_dword v32, off, s[0:3], 0 offset:756
	;; [unrolled: 1-line block ×3, first 2 shown]
	ds_read_b128 v[5:8], v87 offset:1424
	s_waitcnt vmcnt(58) lgkmcnt(1)
	v_mul_f64 v[47:48], v[11:12], v[83:84]
	s_waitcnt vmcnt(56)
	v_fma_f64 v[55:56], v[1:2], v[85:86], -v[54:55]
	v_mul_f64 v[41:42], v[9:10], v[83:84]
	v_add_f64 v[13:14], v[13:14], v[39:40]
	v_fma_f64 v[39:40], v[3:4], v[85:86], v[119:120]
	v_add_f64 v[15:16], v[15:16], v[35:36]
	s_clause 0x4
	buffer_load_dword v36, off, s[0:3], 0 offset:796
	buffer_load_dword v83, off, s[0:3], 0 offset:808
	buffer_load_dword v85, off, s[0:3], 0 offset:800
	buffer_load_dword v35, off, s[0:3], 0 offset:792
	buffer_load_dword v54, off, s[0:3], 0 offset:772
	s_waitcnt vmcnt(57) lgkmcnt(0)
	v_mul_f64 v[119:120], v[5:6], v[104:105]
	v_mul_f64 v[104:105], v[7:8], v[104:105]
	s_waitcnt vmcnt(56)
	v_fma_f64 v[47:48], v[9:10], v[49:50], -v[47:48]
	ds_read_b128 v[1:4], v87 offset:1440
	v_fma_f64 v[41:42], v[11:12], v[49:50], v[41:42]
	v_add_f64 v[13:14], v[13:14], v[55:56]
	v_add_f64 v[15:16], v[15:16], v[39:40]
	s_clause 0x2
	buffer_load_dword v84, off, s[0:3], 0 offset:812
	buffer_load_dword v40, off, s[0:3], 0 offset:788
	;; [unrolled: 1-line block ×3, first 2 shown]
	ds_read_b128 v[9:12], v87 offset:1456
	s_waitcnt vmcnt(58) lgkmcnt(1)
	v_mul_f64 v[55:56], v[3:4], v[106:107]
	s_waitcnt vmcnt(56)
	v_fma_f64 v[104:105], v[5:6], v[111:112], -v[104:105]
	v_mul_f64 v[49:50], v[1:2], v[106:107]
	v_add_f64 v[13:14], v[13:14], v[47:48]
	v_fma_f64 v[47:48], v[7:8], v[111:112], v[119:120]
	v_add_f64 v[15:16], v[15:16], v[41:42]
	s_clause 0x4
	buffer_load_dword v42, off, s[0:3], 0 offset:828
	buffer_load_dword v106, off, s[0:3], 0 offset:840
	;; [unrolled: 1-line block ×5, first 2 shown]
	ds_read_b128 v[5:8], v87 offset:1472
	s_waitcnt vmcnt(57) lgkmcnt(1)
	v_mul_f64 v[111:112], v[9:10], v[98:99]
	v_mul_f64 v[98:99], v[11:12], v[98:99]
	s_waitcnt vmcnt(56)
	v_fma_f64 v[55:56], v[1:2], v[108:109], -v[55:56]
	v_fma_f64 v[49:50], v[3:4], v[108:109], v[49:50]
	v_add_f64 v[13:14], v[13:14], v[104:105]
	v_add_f64 v[15:16], v[15:16], v[47:48]
	s_clause 0x2
	buffer_load_dword v107, off, s[0:3], 0 offset:844
	buffer_load_dword v48, off, s[0:3], 0 offset:820
	;; [unrolled: 1-line block ×3, first 2 shown]
	ds_read_b128 v[1:4], v87 offset:1488
	s_waitcnt vmcnt(58) lgkmcnt(1)
	v_mul_f64 v[108:109], v[7:8], v[115:116]
	v_mul_f64 v[104:105], v[5:6], v[115:116]
	s_waitcnt vmcnt(56)
	v_fma_f64 v[98:99], v[9:10], v[92:93], -v[98:99]
	v_add_f64 v[13:14], v[13:14], v[55:56]
	v_fma_f64 v[55:56], v[11:12], v[92:93], v[111:112]
	v_add_f64 v[15:16], v[15:16], v[49:50]
	s_clause 0x4
	buffer_load_dword v50, off, s[0:3], 0 offset:860
	buffer_load_dword v92, off, s[0:3], 0 offset:872
	;; [unrolled: 1-line block ×5, first 2 shown]
	ds_read_b128 v[9:12], v87 offset:1504
	s_waitcnt vmcnt(57) lgkmcnt(1)
	v_mul_f64 v[119:120], v[1:2], v[25:26]
	v_mul_f64 v[25:26], v[3:4], v[25:26]
	s_waitcnt vmcnt(56)
	v_fma_f64 v[108:109], v[5:6], v[117:118], -v[108:109]
	v_add_f64 v[13:14], v[13:14], v[98:99]
	v_fma_f64 v[98:99], v[7:8], v[117:118], v[104:105]
	v_add_f64 v[15:16], v[15:16], v[55:56]
	s_clause 0x2
	buffer_load_dword v93, off, s[0:3], 0 offset:876
	buffer_load_dword v56, off, s[0:3], 0 offset:852
	;; [unrolled: 1-line block ×3, first 2 shown]
	ds_read_b128 v[5:8], v87 offset:1520
	s_waitcnt vmcnt(58) lgkmcnt(1)
	v_mul_f64 v[104:105], v[9:10], v[100:101]
	v_mul_f64 v[100:101], v[11:12], v[100:101]
	s_waitcnt vmcnt(56)
	v_fma_f64 v[25:26], v[1:2], v[19:20], -v[25:26]
	v_fma_f64 v[19:20], v[3:4], v[19:20], v[119:120]
	v_add_f64 v[13:14], v[13:14], v[108:109]
	v_add_f64 v[15:16], v[15:16], v[98:99]
	s_clause 0x2
	buffer_load_dword v99, off, s[0:3], 0 offset:892
	buffer_load_dword v98, off, s[0:3], 0 offset:888
	;; [unrolled: 1-line block ×3, first 2 shown]
	ds_read_b128 v[1:4], v87 offset:1536
	s_waitcnt vmcnt(55) lgkmcnt(1)
	v_mul_f64 v[108:109], v[5:6], v[88:89]
	v_mul_f64 v[88:89], v[7:8], v[88:89]
	s_waitcnt vmcnt(54)
	v_fma_f64 v[100:101], v[9:10], v[113:114], -v[100:101]
	v_add_f64 v[13:14], v[13:14], v[25:26]
	v_fma_f64 v[25:26], v[11:12], v[113:114], v[104:105]
	v_add_f64 v[15:16], v[15:16], v[19:20]
	s_clause 0x1
	buffer_load_dword v20, off, s[0:3], 0 offset:884
	buffer_load_dword v19, off, s[0:3], 0 offset:880
	ds_read_b128 v[9:12], v87 offset:1552
	s_waitcnt vmcnt(55) lgkmcnt(1)
	v_mul_f64 v[104:105], v[1:2], v[90:91]
	v_mul_f64 v[90:91], v[3:4], v[90:91]
	s_waitcnt vmcnt(53)
	v_fma_f64 v[88:89], v[5:6], v[21:22], -v[88:89]
	v_fma_f64 v[21:22], v[7:8], v[21:22], v[108:109]
	ds_read_b128 v[5:8], v87 offset:1568
	v_add_f64 v[13:14], v[13:14], v[100:101]
	v_add_f64 v[15:16], v[15:16], v[25:26]
	s_waitcnt vmcnt(49) lgkmcnt(1)
	v_mul_f64 v[25:26], v[9:10], v[17:18]
	v_mul_f64 v[17:18], v[11:12], v[17:18]
	s_waitcnt vmcnt(48)
	v_fma_f64 v[90:91], v[1:2], v[102:103], -v[90:91]
	v_add_f64 v[13:14], v[13:14], v[88:89]
	v_fma_f64 v[88:89], v[3:4], v[102:103], v[104:105]
	v_add_f64 v[15:16], v[15:16], v[21:22]
	s_clause 0x3
	buffer_load_dword v21, off, s[0:3], 0 offset:304
	buffer_load_dword v22, off, s[0:3], 0 offset:308
	;; [unrolled: 1-line block ×4, first 2 shown]
	ds_read_b128 v[1:4], v87 offset:1584
	s_waitcnt vmcnt(51) lgkmcnt(1)
	v_mul_f64 v[102:103], v[5:6], v[37:38]
	v_mul_f64 v[37:38], v[7:8], v[37:38]
	s_waitcnt vmcnt(49)
	v_fma_f64 v[17:18], v[9:10], v[27:28], -v[17:18]
	v_fma_f64 v[25:26], v[11:12], v[27:28], v[25:26]
	ds_read_b128 v[9:12], v87 offset:1600
	v_add_f64 v[13:14], v[13:14], v[90:91]
	v_add_f64 v[15:16], v[15:16], v[88:89]
	s_waitcnt vmcnt(45) lgkmcnt(1)
	v_mul_f64 v[27:28], v[1:2], v[23:24]
	v_mul_f64 v[23:24], v[3:4], v[23:24]
	s_waitcnt vmcnt(44)
	v_fma_f64 v[37:38], v[5:6], v[96:97], -v[37:38]
	v_add_f64 v[13:14], v[13:14], v[17:18]
	v_fma_f64 v[17:18], v[7:8], v[96:97], v[102:103]
	v_add_f64 v[15:16], v[15:16], v[25:26]
	s_waitcnt vmcnt(43) lgkmcnt(0)
	v_mul_f64 v[25:26], v[9:10], v[43:44]
	v_mul_f64 v[43:44], v[11:12], v[43:44]
	ds_read_b128 v[5:8], v87 offset:1616
	s_waitcnt vmcnt(41)
	v_fma_f64 v[27:28], v[3:4], v[33:34], v[27:28]
	v_fma_f64 v[23:24], v[1:2], v[33:34], -v[23:24]
	ds_read_b128 v[1:4], v87 offset:1632
	v_add_f64 v[13:14], v[13:14], v[37:38]
	v_add_f64 v[15:16], v[15:16], v[17:18]
	s_waitcnt vmcnt(37) lgkmcnt(1)
	v_mul_f64 v[17:18], v[5:6], v[29:30]
	v_mul_f64 v[29:30], v[7:8], v[29:30]
	s_waitcnt vmcnt(36)
	v_fma_f64 v[33:34], v[9:10], v[45:46], -v[43:44]
	v_add_f64 v[13:14], v[13:14], v[23:24]
	v_fma_f64 v[23:24], v[11:12], v[45:46], v[25:26]
	v_add_f64 v[15:16], v[15:16], v[27:28]
	ds_read_b128 v[9:12], v87 offset:1648
	s_waitcnt vmcnt(35) lgkmcnt(1)
	v_mul_f64 v[27:28], v[3:4], v[51:52]
	v_mul_f64 v[25:26], v[1:2], v[51:52]
	s_waitcnt vmcnt(33)
	v_fma_f64 v[29:30], v[5:6], v[31:32], -v[29:30]
	v_fma_f64 v[17:18], v[7:8], v[31:32], v[17:18]
	ds_read_b128 v[5:8], v87 offset:1664
	v_add_f64 v[13:14], v[13:14], v[33:34]
	v_add_f64 v[15:16], v[15:16], v[23:24]
	s_waitcnt vmcnt(29) lgkmcnt(1)
	v_mul_f64 v[31:32], v[11:12], v[35:36]
	s_waitcnt vmcnt(28)
	v_fma_f64 v[27:28], v[1:2], v[53:54], -v[27:28]
	v_mul_f64 v[23:24], v[9:10], v[35:36]
	v_fma_f64 v[25:26], v[3:4], v[53:54], v[25:26]
	ds_read_b128 v[1:4], v87 offset:1680
	v_add_f64 v[13:14], v[13:14], v[29:30]
	v_add_f64 v[15:16], v[15:16], v[17:18]
	s_waitcnt vmcnt(27) lgkmcnt(1)
	v_mul_f64 v[29:30], v[7:8], v[83:84]
	v_mul_f64 v[17:18], v[5:6], v[83:84]
	s_waitcnt vmcnt(25)
	v_fma_f64 v[31:32], v[9:10], v[39:40], -v[31:32]
	v_fma_f64 v[23:24], v[11:12], v[39:40], v[23:24]
	ds_read_b128 v[9:12], v87 offset:1696
	v_add_f64 v[13:14], v[13:14], v[27:28]
	v_add_f64 v[15:16], v[15:16], v[25:26]
	s_waitcnt vmcnt(21) lgkmcnt(1)
	v_mul_f64 v[27:28], v[3:4], v[41:42]
	s_waitcnt vmcnt(20)
	v_fma_f64 v[29:30], v[5:6], v[85:86], -v[29:30]
	v_mul_f64 v[25:26], v[1:2], v[41:42]
	v_fma_f64 v[17:18], v[7:8], v[85:86], v[17:18]
	ds_read_b128 v[5:8], v87 offset:1712
	v_add_f64 v[13:14], v[13:14], v[31:32]
	v_add_f64 v[15:16], v[15:16], v[23:24]
	;; [unrolled: 18-line block ×3, first 2 shown]
	s_waitcnt vmcnt(11) lgkmcnt(1)
	v_mul_f64 v[27:28], v[3:4], v[92:93]
	v_mul_f64 v[25:26], v[1:2], v[92:93]
	s_waitcnt vmcnt(9)
	v_fma_f64 v[5:6], v[5:6], v[55:56], -v[29:30]
	v_fma_f64 v[7:8], v[7:8], v[55:56], v[17:18]
	v_add_f64 v[13:14], v[13:14], v[31:32]
	v_add_f64 v[15:16], v[15:16], v[23:24]
	s_waitcnt vmcnt(7) lgkmcnt(0)
	v_mul_f64 v[23:24], v[11:12], v[98:99]
	s_waitcnt vmcnt(6)
	v_fma_f64 v[1:2], v[1:2], v[115:116], -v[27:28]
	v_mul_f64 v[17:18], v[9:10], v[98:99]
	v_fma_f64 v[3:4], v[3:4], v[115:116], v[25:26]
	v_add_f64 v[5:6], v[13:14], v[5:6]
	v_add_f64 v[7:8], v[15:16], v[7:8]
	s_waitcnt vmcnt(4)
	v_fma_f64 v[9:10], v[9:10], v[19:20], -v[23:24]
	v_add_f64 v[1:2], v[5:6], v[1:2]
	v_fma_f64 v[5:6], v[11:12], v[19:20], v[17:18]
	v_add_f64 v[3:4], v[7:8], v[3:4]
	v_add_f64 v[1:2], v[1:2], v[9:10]
	;; [unrolled: 1-line block ×3, first 2 shown]
	s_waitcnt vmcnt(2)
	v_add_f64 v[1:2], v[21:22], -v[1:2]
	s_waitcnt vmcnt(0)
	v_add_f64 v[3:4], v[100:101], -v[3:4]
	buffer_store_dword v2, off, s[0:3], 0 offset:308
	buffer_store_dword v1, off, s[0:3], 0 offset:304
	;; [unrolled: 1-line block ×4, first 2 shown]
	v_cmpx_lt_u32_e32 17, v0
	s_cbranch_execz .LBB54_309
; %bb.308:
	v_mov_b32_e32 v4, s50
	v_mov_b32_e32 v5, 0
	s_clause 0x3
	buffer_load_dword v1, v4, s[0:3], 0 offen
	buffer_load_dword v2, v4, s[0:3], 0 offen offset:4
	buffer_load_dword v3, v4, s[0:3], 0 offen offset:8
	;; [unrolled: 1-line block ×3, first 2 shown]
	buffer_store_dword v5, off, s[0:3], 0 offset:288
	buffer_store_dword v5, off, s[0:3], 0 offset:292
	;; [unrolled: 1-line block ×4, first 2 shown]
	s_waitcnt vmcnt(0)
	ds_write_b128 v95, v[1:4]
.LBB54_309:
	s_or_b32 exec_lo, exec_lo, s4
	s_waitcnt lgkmcnt(0)
	s_waitcnt_vscnt null, 0x0
	s_barrier
	buffer_gl0_inv
	s_clause 0x37
	buffer_load_dword v9, off, s[0:3], 0 offset:312
	buffer_load_dword v10, off, s[0:3], 0 offset:316
	;; [unrolled: 1-line block ×56, first 2 shown]
	v_mov_b32_e32 v87, 0
	s_mov_b32 s4, exec_lo
	ds_read_b128 v[88:91], v87 offset:1168
	s_clause 0x2
	buffer_load_dword v84, off, s[0:3], 0 offset:540
	buffer_load_dword v86, off, s[0:3], 0 offset:516
	;; [unrolled: 1-line block ×3, first 2 shown]
	ds_read_b128 v[96:99], v87 offset:1184
	s_clause 0x4
	buffer_load_dword v105, off, s[0:3], 0 offset:556
	buffer_load_dword v106, off, s[0:3], 0 offset:568
	;; [unrolled: 1-line block ×5, first 2 shown]
	ds_read_b128 v[100:103], v87 offset:1200
	s_clause 0x2
	buffer_load_dword v107, off, s[0:3], 0 offset:572
	buffer_load_dword v112, off, s[0:3], 0 offset:548
	;; [unrolled: 1-line block ×3, first 2 shown]
	s_waitcnt vmcnt(62) lgkmcnt(2)
	v_mul_f64 v[92:93], v[90:91], v[9:10]
	v_mul_f64 v[9:10], v[88:89], v[9:10]
	s_waitcnt lgkmcnt(1)
	v_mul_f64 v[109:110], v[98:99], v[5:6]
	s_waitcnt vmcnt(59) lgkmcnt(0)
	v_mul_f64 v[113:114], v[102:103], v[3:4]
	v_fma_f64 v[88:89], v[88:89], v[7:8], -v[92:93]
	v_mul_f64 v[92:93], v[96:97], v[5:6]
	v_fma_f64 v[9:10], v[90:91], v[7:8], v[9:10]
	s_waitcnt vmcnt(57)
	v_fma_f64 v[96:97], v[96:97], v[1:2], -v[109:110]
	ds_read_b128 v[5:8], v87 offset:1216
	v_mul_f64 v[90:91], v[100:101], v[3:4]
	s_waitcnt vmcnt(51)
	v_fma_f64 v[100:101], v[100:101], v[25:26], -v[113:114]
	v_add_f64 v[88:89], v[88:89], 0
	v_fma_f64 v[92:93], v[98:99], v[1:2], v[92:93]
	v_add_f64 v[9:10], v[9:10], 0
	s_clause 0x4
	buffer_load_dword v99, off, s[0:3], 0 offset:588
	buffer_load_dword v115, off, s[0:3], 0 offset:600
	;; [unrolled: 1-line block ×5, first 2 shown]
	s_waitcnt lgkmcnt(0)
	v_mul_f64 v[118:119], v[5:6], v[13:14]
	v_mul_f64 v[13:14], v[7:8], v[13:14]
	ds_read_b128 v[1:4], v87 offset:1232
	v_fma_f64 v[25:26], v[102:103], v[25:26], v[90:91]
	v_add_f64 v[96:97], v[88:89], v[96:97]
	v_add_f64 v[9:10], v[9:10], v[92:93]
	s_clause 0x2
	buffer_load_dword v116, off, s[0:3], 0 offset:604
	buffer_load_dword v93, off, s[0:3], 0 offset:580
	;; [unrolled: 1-line block ×3, first 2 shown]
	s_waitcnt vmcnt(58) lgkmcnt(0)
	v_mul_f64 v[102:103], v[1:2], v[17:18]
	v_mul_f64 v[17:18], v[3:4], v[17:18]
	s_waitcnt vmcnt(56)
	v_fma_f64 v[13:14], v[5:6], v[19:20], -v[13:14]
	ds_read_b128 v[88:91], v87 offset:1248
	v_fma_f64 v[19:20], v[7:8], v[19:20], v[118:119]
	v_add_f64 v[96:97], v[96:97], v[100:101]
	v_add_f64 v[9:10], v[9:10], v[25:26]
	s_clause 0x4
	buffer_load_dword v26, off, s[0:3], 0 offset:620
	buffer_load_dword v100, off, s[0:3], 0 offset:632
	;; [unrolled: 1-line block ×5, first 2 shown]
	ds_read_b128 v[5:8], v87 offset:1264
	s_waitcnt vmcnt(57) lgkmcnt(1)
	v_mul_f64 v[119:120], v[88:89], v[21:22]
	v_mul_f64 v[21:22], v[90:91], v[21:22]
	s_waitcnt vmcnt(56)
	v_fma_f64 v[17:18], v[1:2], v[11:12], -v[17:18]
	v_fma_f64 v[11:12], v[3:4], v[11:12], v[102:103]
	v_add_f64 v[13:14], v[96:97], v[13:14]
	v_add_f64 v[9:10], v[9:10], v[19:20]
	s_clause 0x2
	buffer_load_dword v101, off, s[0:3], 0 offset:636
	buffer_load_dword v20, off, s[0:3], 0 offset:612
	;; [unrolled: 1-line block ×3, first 2 shown]
	s_waitcnt vmcnt(58) lgkmcnt(0)
	v_mul_f64 v[96:97], v[5:6], v[27:28]
	v_mul_f64 v[27:28], v[7:8], v[27:28]
	s_waitcnt vmcnt(56)
	v_fma_f64 v[21:22], v[88:89], v[29:30], -v[21:22]
	ds_read_b128 v[1:4], v87 offset:1280
	v_add_f64 v[13:14], v[13:14], v[17:18]
	v_fma_f64 v[17:18], v[90:91], v[29:30], v[119:120]
	v_add_f64 v[29:30], v[9:10], v[11:12]
	s_clause 0x4
	buffer_load_dword v89, off, s[0:3], 0 offset:652
	buffer_load_dword v90, off, s[0:3], 0 offset:664
	;; [unrolled: 1-line block ×5, first 2 shown]
	ds_read_b128 v[9:12], v87 offset:1296
	s_waitcnt vmcnt(57) lgkmcnt(1)
	v_mul_f64 v[119:120], v[1:2], v[31:32]
	v_mul_f64 v[31:32], v[3:4], v[31:32]
	s_waitcnt vmcnt(56)
	v_fma_f64 v[27:28], v[5:6], v[15:16], -v[27:28]
	v_fma_f64 v[15:16], v[7:8], v[15:16], v[96:97]
	v_add_f64 v[13:14], v[13:14], v[21:22]
	s_clause 0x2
	buffer_load_dword v91, off, s[0:3], 0 offset:668
	buffer_load_dword v22, off, s[0:3], 0 offset:644
	;; [unrolled: 1-line block ×3, first 2 shown]
	v_add_f64 v[17:18], v[29:30], v[17:18]
	s_waitcnt vmcnt(58) lgkmcnt(0)
	v_mul_f64 v[29:30], v[9:10], v[35:36]
	v_mul_f64 v[35:36], v[11:12], v[35:36]
	ds_read_b128 v[5:8], v87 offset:1312
	s_waitcnt vmcnt(56)
	v_fma_f64 v[31:32], v[1:2], v[37:38], -v[31:32]
	v_add_f64 v[13:14], v[13:14], v[27:28]
	v_fma_f64 v[27:28], v[3:4], v[37:38], v[119:120]
	v_add_f64 v[15:16], v[17:18], v[15:16]
	s_clause 0x4
	buffer_load_dword v18, off, s[0:3], 0 offset:684
	buffer_load_dword v37, off, s[0:3], 0 offset:696
	buffer_load_dword v96, off, s[0:3], 0 offset:688
	buffer_load_dword v17, off, s[0:3], 0 offset:680
	buffer_load_dword v103, off, s[0:3], 0 offset:660
	s_waitcnt vmcnt(57) lgkmcnt(0)
	v_mul_f64 v[119:120], v[5:6], v[39:40]
	v_mul_f64 v[39:40], v[7:8], v[39:40]
	s_waitcnt vmcnt(56)
	v_fma_f64 v[35:36], v[9:10], v[23:24], -v[35:36]
	ds_read_b128 v[1:4], v87 offset:1328
	v_fma_f64 v[23:24], v[11:12], v[23:24], v[29:30]
	v_add_f64 v[13:14], v[13:14], v[31:32]
	v_add_f64 v[15:16], v[15:16], v[27:28]
	s_clause 0x2
	buffer_load_dword v38, off, s[0:3], 0 offset:700
	buffer_load_dword v28, off, s[0:3], 0 offset:676
	;; [unrolled: 1-line block ×3, first 2 shown]
	ds_read_b128 v[9:12], v87 offset:1344
	s_waitcnt vmcnt(58) lgkmcnt(1)
	v_mul_f64 v[31:32], v[3:4], v[43:44]
	s_waitcnt vmcnt(56)
	v_fma_f64 v[39:40], v[5:6], v[45:46], -v[39:40]
	v_mul_f64 v[29:30], v[1:2], v[43:44]
	v_add_f64 v[13:14], v[13:14], v[35:36]
	v_fma_f64 v[35:36], v[7:8], v[45:46], v[119:120]
	v_add_f64 v[15:16], v[15:16], v[23:24]
	s_clause 0x4
	buffer_load_dword v24, off, s[0:3], 0 offset:716
	buffer_load_dword v43, off, s[0:3], 0 offset:728
	;; [unrolled: 1-line block ×5, first 2 shown]
	s_waitcnt vmcnt(57) lgkmcnt(0)
	v_mul_f64 v[119:120], v[9:10], v[47:48]
	v_mul_f64 v[46:47], v[11:12], v[47:48]
	s_waitcnt vmcnt(56)
	v_fma_f64 v[31:32], v[1:2], v[33:34], -v[31:32]
	ds_read_b128 v[5:8], v87 offset:1360
	v_fma_f64 v[29:30], v[3:4], v[33:34], v[29:30]
	s_clause 0x2
	buffer_load_dword v44, off, s[0:3], 0 offset:732
	buffer_load_dword v34, off, s[0:3], 0 offset:708
	;; [unrolled: 1-line block ×3, first 2 shown]
	ds_read_b128 v[1:4], v87 offset:1376
	v_add_f64 v[13:14], v[13:14], v[39:40]
	v_add_f64 v[15:16], v[15:16], v[35:36]
	s_waitcnt vmcnt(58) lgkmcnt(1)
	v_mul_f64 v[39:40], v[7:8], v[51:52]
	s_waitcnt vmcnt(56)
	v_fma_f64 v[47:48], v[9:10], v[53:54], -v[46:47]
	v_mul_f64 v[35:36], v[5:6], v[51:52]
	v_add_f64 v[13:14], v[13:14], v[31:32]
	v_fma_f64 v[31:32], v[11:12], v[53:54], v[119:120]
	v_add_f64 v[15:16], v[15:16], v[29:30]
	s_clause 0x4
	buffer_load_dword v30, off, s[0:3], 0 offset:748
	buffer_load_dword v51, off, s[0:3], 0 offset:760
	;; [unrolled: 1-line block ×5, first 2 shown]
	s_waitcnt vmcnt(57) lgkmcnt(0)
	v_mul_f64 v[119:120], v[1:2], v[55:56]
	v_mul_f64 v[54:55], v[3:4], v[55:56]
	s_waitcnt vmcnt(56)
	v_fma_f64 v[39:40], v[5:6], v[41:42], -v[39:40]
	ds_read_b128 v[9:12], v87 offset:1392
	v_fma_f64 v[35:36], v[7:8], v[41:42], v[35:36]
	v_add_f64 v[13:14], v[13:14], v[47:48]
	v_add_f64 v[15:16], v[15:16], v[31:32]
	s_clause 0x2
	buffer_load_dword v52, off, s[0:3], 0 offset:764
	buffer_load_dword v32, off, s[0:3], 0 offset:740
	;; [unrolled: 1-line block ×3, first 2 shown]
	ds_read_b128 v[5:8], v87 offset:1408
	s_waitcnt vmcnt(58) lgkmcnt(1)
	v_mul_f64 v[47:48], v[11:12], v[83:84]
	s_waitcnt vmcnt(56)
	v_fma_f64 v[55:56], v[1:2], v[85:86], -v[54:55]
	v_mul_f64 v[41:42], v[9:10], v[83:84]
	v_add_f64 v[13:14], v[13:14], v[39:40]
	v_fma_f64 v[39:40], v[3:4], v[85:86], v[119:120]
	v_add_f64 v[15:16], v[15:16], v[35:36]
	s_clause 0x4
	buffer_load_dword v36, off, s[0:3], 0 offset:780
	buffer_load_dword v83, off, s[0:3], 0 offset:792
	buffer_load_dword v85, off, s[0:3], 0 offset:784
	buffer_load_dword v35, off, s[0:3], 0 offset:776
	buffer_load_dword v54, off, s[0:3], 0 offset:756
	s_waitcnt vmcnt(57) lgkmcnt(0)
	v_mul_f64 v[119:120], v[5:6], v[104:105]
	v_mul_f64 v[104:105], v[7:8], v[104:105]
	s_waitcnt vmcnt(56)
	v_fma_f64 v[47:48], v[9:10], v[49:50], -v[47:48]
	ds_read_b128 v[1:4], v87 offset:1424
	v_fma_f64 v[41:42], v[11:12], v[49:50], v[41:42]
	v_add_f64 v[13:14], v[13:14], v[55:56]
	v_add_f64 v[15:16], v[15:16], v[39:40]
	s_clause 0x2
	buffer_load_dword v84, off, s[0:3], 0 offset:796
	buffer_load_dword v40, off, s[0:3], 0 offset:772
	;; [unrolled: 1-line block ×3, first 2 shown]
	ds_read_b128 v[9:12], v87 offset:1440
	s_waitcnt vmcnt(58) lgkmcnt(1)
	v_mul_f64 v[55:56], v[3:4], v[106:107]
	s_waitcnt vmcnt(56)
	v_fma_f64 v[104:105], v[5:6], v[111:112], -v[104:105]
	v_mul_f64 v[49:50], v[1:2], v[106:107]
	v_add_f64 v[13:14], v[13:14], v[47:48]
	v_fma_f64 v[47:48], v[7:8], v[111:112], v[119:120]
	v_add_f64 v[15:16], v[15:16], v[41:42]
	s_clause 0x4
	buffer_load_dword v42, off, s[0:3], 0 offset:812
	buffer_load_dword v106, off, s[0:3], 0 offset:824
	;; [unrolled: 1-line block ×5, first 2 shown]
	ds_read_b128 v[5:8], v87 offset:1456
	s_waitcnt vmcnt(57) lgkmcnt(1)
	v_mul_f64 v[111:112], v[9:10], v[98:99]
	v_mul_f64 v[98:99], v[11:12], v[98:99]
	s_waitcnt vmcnt(56)
	v_fma_f64 v[55:56], v[1:2], v[108:109], -v[55:56]
	v_fma_f64 v[49:50], v[3:4], v[108:109], v[49:50]
	v_add_f64 v[13:14], v[13:14], v[104:105]
	v_add_f64 v[15:16], v[15:16], v[47:48]
	s_clause 0x2
	buffer_load_dword v107, off, s[0:3], 0 offset:828
	buffer_load_dword v48, off, s[0:3], 0 offset:804
	;; [unrolled: 1-line block ×3, first 2 shown]
	ds_read_b128 v[1:4], v87 offset:1472
	s_waitcnt vmcnt(58) lgkmcnt(1)
	v_mul_f64 v[108:109], v[7:8], v[115:116]
	v_mul_f64 v[104:105], v[5:6], v[115:116]
	s_waitcnt vmcnt(56)
	v_fma_f64 v[98:99], v[9:10], v[92:93], -v[98:99]
	v_add_f64 v[13:14], v[13:14], v[55:56]
	v_fma_f64 v[55:56], v[11:12], v[92:93], v[111:112]
	v_add_f64 v[15:16], v[15:16], v[49:50]
	s_clause 0x4
	buffer_load_dword v50, off, s[0:3], 0 offset:844
	buffer_load_dword v92, off, s[0:3], 0 offset:856
	;; [unrolled: 1-line block ×5, first 2 shown]
	ds_read_b128 v[9:12], v87 offset:1488
	s_waitcnt vmcnt(57) lgkmcnt(1)
	v_mul_f64 v[119:120], v[1:2], v[25:26]
	v_mul_f64 v[25:26], v[3:4], v[25:26]
	s_waitcnt vmcnt(56)
	v_fma_f64 v[108:109], v[5:6], v[117:118], -v[108:109]
	v_add_f64 v[13:14], v[13:14], v[98:99]
	v_fma_f64 v[98:99], v[7:8], v[117:118], v[104:105]
	v_add_f64 v[15:16], v[15:16], v[55:56]
	s_clause 0x2
	buffer_load_dword v93, off, s[0:3], 0 offset:860
	buffer_load_dword v56, off, s[0:3], 0 offset:836
	buffer_load_dword v55, off, s[0:3], 0 offset:832
	ds_read_b128 v[5:8], v87 offset:1504
	s_waitcnt vmcnt(58) lgkmcnt(1)
	v_mul_f64 v[104:105], v[9:10], v[100:101]
	v_mul_f64 v[100:101], v[11:12], v[100:101]
	s_waitcnt vmcnt(56)
	v_fma_f64 v[25:26], v[1:2], v[19:20], -v[25:26]
	v_fma_f64 v[19:20], v[3:4], v[19:20], v[119:120]
	v_add_f64 v[13:14], v[13:14], v[108:109]
	v_add_f64 v[15:16], v[15:16], v[98:99]
	s_clause 0x4
	buffer_load_dword v99, off, s[0:3], 0 offset:876
	buffer_load_dword v108, off, s[0:3], 0 offset:888
	;; [unrolled: 1-line block ×5, first 2 shown]
	ds_read_b128 v[1:4], v87 offset:1520
	s_waitcnt vmcnt(57) lgkmcnt(1)
	v_mul_f64 v[117:118], v[5:6], v[88:89]
	v_mul_f64 v[88:89], v[7:8], v[88:89]
	s_waitcnt vmcnt(56)
	v_fma_f64 v[100:101], v[9:10], v[113:114], -v[100:101]
	v_add_f64 v[13:14], v[13:14], v[25:26]
	v_fma_f64 v[25:26], v[11:12], v[113:114], v[104:105]
	v_add_f64 v[15:16], v[15:16], v[19:20]
	s_clause 0x2
	buffer_load_dword v109, off, s[0:3], 0 offset:892
	buffer_load_dword v20, off, s[0:3], 0 offset:868
	;; [unrolled: 1-line block ×3, first 2 shown]
	ds_read_b128 v[9:12], v87 offset:1536
	buffer_load_dword v113, off, s[0:3], 0 offset:884
	s_waitcnt vmcnt(59) lgkmcnt(1)
	v_mul_f64 v[104:105], v[1:2], v[90:91]
	v_mul_f64 v[90:91], v[3:4], v[90:91]
	s_waitcnt vmcnt(57)
	v_fma_f64 v[88:89], v[5:6], v[21:22], -v[88:89]
	v_fma_f64 v[21:22], v[7:8], v[21:22], v[117:118]
	ds_read_b128 v[5:8], v87 offset:1552
	v_add_f64 v[13:14], v[13:14], v[100:101]
	v_add_f64 v[15:16], v[15:16], v[25:26]
	s_waitcnt vmcnt(53) lgkmcnt(1)
	v_mul_f64 v[25:26], v[9:10], v[17:18]
	v_mul_f64 v[17:18], v[11:12], v[17:18]
	s_waitcnt vmcnt(52)
	v_fma_f64 v[90:91], v[1:2], v[102:103], -v[90:91]
	v_add_f64 v[13:14], v[13:14], v[88:89]
	v_fma_f64 v[88:89], v[3:4], v[102:103], v[104:105]
	v_add_f64 v[15:16], v[15:16], v[21:22]
	ds_read_b128 v[1:4], v87 offset:1568
	s_waitcnt vmcnt(51) lgkmcnt(1)
	v_mul_f64 v[21:22], v[5:6], v[37:38]
	v_mul_f64 v[37:38], v[7:8], v[37:38]
	s_waitcnt vmcnt(49)
	v_fma_f64 v[17:18], v[9:10], v[27:28], -v[17:18]
	v_fma_f64 v[25:26], v[11:12], v[27:28], v[25:26]
	v_add_f64 v[13:14], v[13:14], v[90:91]
	v_add_f64 v[15:16], v[15:16], v[88:89]
	s_clause 0x3
	buffer_load_dword v27, off, s[0:3], 0 offset:288
	buffer_load_dword v28, off, s[0:3], 0 offset:292
	;; [unrolled: 1-line block ×4, first 2 shown]
	ds_read_b128 v[9:12], v87 offset:1584
	s_waitcnt vmcnt(49) lgkmcnt(1)
	v_mul_f64 v[90:91], v[1:2], v[23:24]
	v_mul_f64 v[23:24], v[3:4], v[23:24]
	s_waitcnt vmcnt(48)
	v_fma_f64 v[37:38], v[5:6], v[96:97], -v[37:38]
	v_add_f64 v[13:14], v[13:14], v[17:18]
	v_fma_f64 v[17:18], v[7:8], v[96:97], v[21:22]
	v_add_f64 v[15:16], v[15:16], v[25:26]
	ds_read_b128 v[5:8], v87 offset:1600
	s_waitcnt vmcnt(47) lgkmcnt(1)
	v_mul_f64 v[25:26], v[11:12], v[43:44]
	v_mul_f64 v[21:22], v[9:10], v[43:44]
	s_waitcnt vmcnt(45)
	v_fma_f64 v[23:24], v[1:2], v[33:34], -v[23:24]
	v_fma_f64 v[33:34], v[3:4], v[33:34], v[90:91]
	ds_read_b128 v[1:4], v87 offset:1616
	v_add_f64 v[13:14], v[13:14], v[37:38]
	v_add_f64 v[15:16], v[15:16], v[17:18]
	s_waitcnt vmcnt(41) lgkmcnt(1)
	v_mul_f64 v[17:18], v[5:6], v[29:30]
	v_mul_f64 v[29:30], v[7:8], v[29:30]
	s_waitcnt vmcnt(40)
	v_fma_f64 v[25:26], v[9:10], v[45:46], -v[25:26]
	v_fma_f64 v[21:22], v[11:12], v[45:46], v[21:22]
	ds_read_b128 v[9:12], v87 offset:1632
	v_add_f64 v[13:14], v[13:14], v[23:24]
	v_add_f64 v[15:16], v[15:16], v[33:34]
	;; [unrolled: 9-line block ×3, first 2 shown]
	s_waitcnt vmcnt(33) lgkmcnt(1)
	v_mul_f64 v[25:26], v[11:12], v[35:36]
	s_waitcnt vmcnt(32)
	v_fma_f64 v[31:32], v[1:2], v[53:54], -v[33:34]
	v_mul_f64 v[21:22], v[9:10], v[35:36]
	v_fma_f64 v[23:24], v[3:4], v[53:54], v[23:24]
	ds_read_b128 v[1:4], v87 offset:1664
	v_add_f64 v[13:14], v[13:14], v[29:30]
	v_add_f64 v[15:16], v[15:16], v[17:18]
	s_waitcnt vmcnt(31) lgkmcnt(1)
	v_mul_f64 v[29:30], v[7:8], v[83:84]
	v_mul_f64 v[17:18], v[5:6], v[83:84]
	s_waitcnt vmcnt(29)
	v_fma_f64 v[25:26], v[9:10], v[39:40], -v[25:26]
	v_fma_f64 v[21:22], v[11:12], v[39:40], v[21:22]
	ds_read_b128 v[9:12], v87 offset:1680
	v_add_f64 v[13:14], v[13:14], v[31:32]
	v_add_f64 v[15:16], v[15:16], v[23:24]
	s_waitcnt vmcnt(25) lgkmcnt(1)
	v_mul_f64 v[31:32], v[3:4], v[41:42]
	s_waitcnt vmcnt(24)
	v_fma_f64 v[29:30], v[5:6], v[85:86], -v[29:30]
	v_mul_f64 v[23:24], v[1:2], v[41:42]
	v_fma_f64 v[17:18], v[7:8], v[85:86], v[17:18]
	ds_read_b128 v[5:8], v87 offset:1696
	v_add_f64 v[13:14], v[13:14], v[25:26]
	v_add_f64 v[15:16], v[15:16], v[21:22]
	s_waitcnt vmcnt(23) lgkmcnt(1)
	v_mul_f64 v[25:26], v[11:12], v[106:107]
	v_mul_f64 v[21:22], v[9:10], v[106:107]
	s_waitcnt vmcnt(21)
	v_fma_f64 v[31:32], v[1:2], v[47:48], -v[31:32]
	v_fma_f64 v[23:24], v[3:4], v[47:48], v[23:24]
	ds_read_b128 v[1:4], v87 offset:1712
	v_add_f64 v[13:14], v[13:14], v[29:30]
	v_add_f64 v[15:16], v[15:16], v[17:18]
	;; [unrolled: 18-line block ×3, first 2 shown]
	s_waitcnt vmcnt(9) lgkmcnt(1)
	v_mul_f64 v[25:26], v[11:12], v[98:99]
	s_waitcnt vmcnt(8)
	v_fma_f64 v[1:2], v[1:2], v[115:116], -v[31:32]
	v_mul_f64 v[21:22], v[9:10], v[98:99]
	v_fma_f64 v[3:4], v[3:4], v[115:116], v[23:24]
	v_add_f64 v[13:14], v[13:14], v[29:30]
	v_add_f64 v[15:16], v[15:16], v[17:18]
	s_waitcnt vmcnt(7) lgkmcnt(0)
	v_mul_f64 v[23:24], v[7:8], v[108:109]
	v_mul_f64 v[17:18], v[5:6], v[108:109]
	s_waitcnt vmcnt(5)
	v_fma_f64 v[9:10], v[9:10], v[19:20], -v[25:26]
	v_fma_f64 v[11:12], v[11:12], v[19:20], v[21:22]
	v_add_f64 v[1:2], v[13:14], v[1:2]
	v_add_f64 v[3:4], v[15:16], v[3:4]
	s_waitcnt vmcnt(4)
	v_fma_f64 v[5:6], v[5:6], v[112:113], -v[23:24]
	v_fma_f64 v[7:8], v[7:8], v[112:113], v[17:18]
	v_add_f64 v[1:2], v[1:2], v[9:10]
	v_add_f64 v[3:4], v[3:4], v[11:12]
	;; [unrolled: 1-line block ×4, first 2 shown]
	s_waitcnt vmcnt(2)
	v_add_f64 v[1:2], v[27:28], -v[1:2]
	s_waitcnt vmcnt(0)
	v_add_f64 v[3:4], v[88:89], -v[3:4]
	buffer_store_dword v2, off, s[0:3], 0 offset:292
	buffer_store_dword v1, off, s[0:3], 0 offset:288
	;; [unrolled: 1-line block ×4, first 2 shown]
	v_cmpx_lt_u32_e32 16, v0
	s_cbranch_execz .LBB54_311
; %bb.310:
	v_mov_b32_e32 v4, s51
	s_clause 0x3
	buffer_load_dword v1, v4, s[0:3], 0 offen
	buffer_load_dword v2, v4, s[0:3], 0 offen offset:4
	buffer_load_dword v3, v4, s[0:3], 0 offen offset:8
	;; [unrolled: 1-line block ×3, first 2 shown]
	buffer_store_dword v87, off, s[0:3], 0 offset:272
	buffer_store_dword v87, off, s[0:3], 0 offset:276
	;; [unrolled: 1-line block ×4, first 2 shown]
	s_waitcnt vmcnt(0)
	ds_write_b128 v95, v[1:4]
.LBB54_311:
	s_or_b32 exec_lo, exec_lo, s4
	s_waitcnt lgkmcnt(0)
	s_waitcnt_vscnt null, 0x0
	s_barrier
	buffer_gl0_inv
	s_clause 0x37
	buffer_load_dword v9, off, s[0:3], 0 offset:296
	buffer_load_dword v10, off, s[0:3], 0 offset:300
	;; [unrolled: 1-line block ×56, first 2 shown]
	ds_read_b128 v[88:91], v87 offset:1152
	s_clause 0x2
	buffer_load_dword v84, off, s[0:3], 0 offset:524
	buffer_load_dword v86, off, s[0:3], 0 offset:500
	;; [unrolled: 1-line block ×3, first 2 shown]
	ds_read_b128 v[96:99], v87 offset:1168
	s_clause 0x4
	buffer_load_dword v105, off, s[0:3], 0 offset:540
	buffer_load_dword v106, off, s[0:3], 0 offset:552
	;; [unrolled: 1-line block ×5, first 2 shown]
	ds_read_b128 v[100:103], v87 offset:1184
	s_clause 0x2
	buffer_load_dword v107, off, s[0:3], 0 offset:556
	buffer_load_dword v112, off, s[0:3], 0 offset:532
	;; [unrolled: 1-line block ×3, first 2 shown]
	s_mov_b32 s4, exec_lo
	s_waitcnt vmcnt(62) lgkmcnt(2)
	v_mul_f64 v[92:93], v[90:91], v[9:10]
	v_mul_f64 v[9:10], v[88:89], v[9:10]
	s_waitcnt lgkmcnt(1)
	v_mul_f64 v[109:110], v[98:99], v[5:6]
	s_waitcnt vmcnt(59) lgkmcnt(0)
	v_mul_f64 v[113:114], v[102:103], v[3:4]
	v_fma_f64 v[88:89], v[88:89], v[7:8], -v[92:93]
	v_mul_f64 v[92:93], v[96:97], v[5:6]
	v_fma_f64 v[9:10], v[90:91], v[7:8], v[9:10]
	s_waitcnt vmcnt(57)
	v_fma_f64 v[96:97], v[96:97], v[1:2], -v[109:110]
	ds_read_b128 v[5:8], v87 offset:1200
	v_mul_f64 v[90:91], v[100:101], v[3:4]
	s_waitcnt vmcnt(51)
	v_fma_f64 v[100:101], v[100:101], v[25:26], -v[113:114]
	v_add_f64 v[88:89], v[88:89], 0
	v_fma_f64 v[92:93], v[98:99], v[1:2], v[92:93]
	v_add_f64 v[9:10], v[9:10], 0
	s_clause 0x4
	buffer_load_dword v99, off, s[0:3], 0 offset:572
	buffer_load_dword v115, off, s[0:3], 0 offset:584
	;; [unrolled: 1-line block ×5, first 2 shown]
	s_waitcnt lgkmcnt(0)
	v_mul_f64 v[118:119], v[5:6], v[13:14]
	v_mul_f64 v[13:14], v[7:8], v[13:14]
	ds_read_b128 v[1:4], v87 offset:1216
	v_fma_f64 v[25:26], v[102:103], v[25:26], v[90:91]
	v_add_f64 v[96:97], v[88:89], v[96:97]
	v_add_f64 v[9:10], v[9:10], v[92:93]
	s_clause 0x2
	buffer_load_dword v116, off, s[0:3], 0 offset:588
	buffer_load_dword v93, off, s[0:3], 0 offset:564
	;; [unrolled: 1-line block ×3, first 2 shown]
	s_waitcnt vmcnt(58) lgkmcnt(0)
	v_mul_f64 v[102:103], v[1:2], v[17:18]
	v_mul_f64 v[17:18], v[3:4], v[17:18]
	s_waitcnt vmcnt(56)
	v_fma_f64 v[13:14], v[5:6], v[19:20], -v[13:14]
	ds_read_b128 v[88:91], v87 offset:1232
	v_fma_f64 v[19:20], v[7:8], v[19:20], v[118:119]
	v_add_f64 v[96:97], v[96:97], v[100:101]
	v_add_f64 v[9:10], v[9:10], v[25:26]
	s_clause 0x4
	buffer_load_dword v26, off, s[0:3], 0 offset:604
	buffer_load_dword v100, off, s[0:3], 0 offset:616
	;; [unrolled: 1-line block ×5, first 2 shown]
	ds_read_b128 v[5:8], v87 offset:1248
	s_waitcnt vmcnt(57) lgkmcnt(1)
	v_mul_f64 v[119:120], v[88:89], v[21:22]
	v_mul_f64 v[21:22], v[90:91], v[21:22]
	s_waitcnt vmcnt(56)
	v_fma_f64 v[17:18], v[1:2], v[11:12], -v[17:18]
	v_fma_f64 v[11:12], v[3:4], v[11:12], v[102:103]
	v_add_f64 v[13:14], v[96:97], v[13:14]
	v_add_f64 v[9:10], v[9:10], v[19:20]
	s_clause 0x2
	buffer_load_dword v101, off, s[0:3], 0 offset:620
	buffer_load_dword v20, off, s[0:3], 0 offset:596
	;; [unrolled: 1-line block ×3, first 2 shown]
	s_waitcnt vmcnt(58) lgkmcnt(0)
	v_mul_f64 v[96:97], v[5:6], v[27:28]
	v_mul_f64 v[27:28], v[7:8], v[27:28]
	s_waitcnt vmcnt(56)
	v_fma_f64 v[21:22], v[88:89], v[29:30], -v[21:22]
	ds_read_b128 v[1:4], v87 offset:1264
	v_add_f64 v[13:14], v[13:14], v[17:18]
	v_fma_f64 v[17:18], v[90:91], v[29:30], v[119:120]
	v_add_f64 v[29:30], v[9:10], v[11:12]
	s_clause 0x4
	buffer_load_dword v89, off, s[0:3], 0 offset:636
	buffer_load_dword v90, off, s[0:3], 0 offset:648
	;; [unrolled: 1-line block ×5, first 2 shown]
	ds_read_b128 v[9:12], v87 offset:1280
	s_waitcnt vmcnt(57) lgkmcnt(1)
	v_mul_f64 v[119:120], v[1:2], v[31:32]
	v_mul_f64 v[31:32], v[3:4], v[31:32]
	s_waitcnt vmcnt(56)
	v_fma_f64 v[27:28], v[5:6], v[15:16], -v[27:28]
	v_fma_f64 v[15:16], v[7:8], v[15:16], v[96:97]
	v_add_f64 v[13:14], v[13:14], v[21:22]
	s_clause 0x2
	buffer_load_dword v91, off, s[0:3], 0 offset:652
	buffer_load_dword v22, off, s[0:3], 0 offset:628
	;; [unrolled: 1-line block ×3, first 2 shown]
	v_add_f64 v[17:18], v[29:30], v[17:18]
	s_waitcnt vmcnt(58) lgkmcnt(0)
	v_mul_f64 v[29:30], v[9:10], v[35:36]
	v_mul_f64 v[35:36], v[11:12], v[35:36]
	ds_read_b128 v[5:8], v87 offset:1296
	s_waitcnt vmcnt(56)
	v_fma_f64 v[31:32], v[1:2], v[37:38], -v[31:32]
	v_add_f64 v[13:14], v[13:14], v[27:28]
	v_fma_f64 v[27:28], v[3:4], v[37:38], v[119:120]
	v_add_f64 v[15:16], v[17:18], v[15:16]
	s_clause 0x4
	buffer_load_dword v18, off, s[0:3], 0 offset:668
	buffer_load_dword v37, off, s[0:3], 0 offset:680
	;; [unrolled: 1-line block ×5, first 2 shown]
	s_waitcnt vmcnt(57) lgkmcnt(0)
	v_mul_f64 v[119:120], v[5:6], v[39:40]
	v_mul_f64 v[39:40], v[7:8], v[39:40]
	s_waitcnt vmcnt(56)
	v_fma_f64 v[35:36], v[9:10], v[23:24], -v[35:36]
	ds_read_b128 v[1:4], v87 offset:1312
	v_fma_f64 v[23:24], v[11:12], v[23:24], v[29:30]
	v_add_f64 v[13:14], v[13:14], v[31:32]
	v_add_f64 v[15:16], v[15:16], v[27:28]
	s_clause 0x2
	buffer_load_dword v38, off, s[0:3], 0 offset:684
	buffer_load_dword v28, off, s[0:3], 0 offset:660
	;; [unrolled: 1-line block ×3, first 2 shown]
	ds_read_b128 v[9:12], v87 offset:1328
	s_waitcnt vmcnt(58) lgkmcnt(1)
	v_mul_f64 v[31:32], v[3:4], v[43:44]
	s_waitcnt vmcnt(56)
	v_fma_f64 v[39:40], v[5:6], v[45:46], -v[39:40]
	v_mul_f64 v[29:30], v[1:2], v[43:44]
	v_add_f64 v[13:14], v[13:14], v[35:36]
	v_fma_f64 v[35:36], v[7:8], v[45:46], v[119:120]
	v_add_f64 v[15:16], v[15:16], v[23:24]
	s_clause 0x4
	buffer_load_dword v24, off, s[0:3], 0 offset:700
	buffer_load_dword v43, off, s[0:3], 0 offset:712
	;; [unrolled: 1-line block ×5, first 2 shown]
	s_waitcnt vmcnt(57) lgkmcnt(0)
	v_mul_f64 v[119:120], v[9:10], v[47:48]
	v_mul_f64 v[46:47], v[11:12], v[47:48]
	s_waitcnt vmcnt(56)
	v_fma_f64 v[31:32], v[1:2], v[33:34], -v[31:32]
	ds_read_b128 v[5:8], v87 offset:1344
	v_fma_f64 v[29:30], v[3:4], v[33:34], v[29:30]
	s_clause 0x2
	buffer_load_dword v44, off, s[0:3], 0 offset:716
	buffer_load_dword v34, off, s[0:3], 0 offset:692
	;; [unrolled: 1-line block ×3, first 2 shown]
	ds_read_b128 v[1:4], v87 offset:1360
	v_add_f64 v[13:14], v[13:14], v[39:40]
	v_add_f64 v[15:16], v[15:16], v[35:36]
	s_waitcnt vmcnt(58) lgkmcnt(1)
	v_mul_f64 v[39:40], v[7:8], v[51:52]
	s_waitcnt vmcnt(56)
	v_fma_f64 v[47:48], v[9:10], v[53:54], -v[46:47]
	v_mul_f64 v[35:36], v[5:6], v[51:52]
	v_add_f64 v[13:14], v[13:14], v[31:32]
	v_fma_f64 v[31:32], v[11:12], v[53:54], v[119:120]
	v_add_f64 v[15:16], v[15:16], v[29:30]
	s_clause 0x4
	buffer_load_dword v30, off, s[0:3], 0 offset:732
	buffer_load_dword v51, off, s[0:3], 0 offset:744
	;; [unrolled: 1-line block ×5, first 2 shown]
	s_waitcnt vmcnt(57) lgkmcnt(0)
	v_mul_f64 v[119:120], v[1:2], v[55:56]
	v_mul_f64 v[54:55], v[3:4], v[55:56]
	s_waitcnt vmcnt(56)
	v_fma_f64 v[39:40], v[5:6], v[41:42], -v[39:40]
	ds_read_b128 v[9:12], v87 offset:1376
	v_fma_f64 v[35:36], v[7:8], v[41:42], v[35:36]
	v_add_f64 v[13:14], v[13:14], v[47:48]
	v_add_f64 v[15:16], v[15:16], v[31:32]
	s_clause 0x2
	buffer_load_dword v52, off, s[0:3], 0 offset:748
	buffer_load_dword v32, off, s[0:3], 0 offset:724
	;; [unrolled: 1-line block ×3, first 2 shown]
	ds_read_b128 v[5:8], v87 offset:1392
	s_waitcnt vmcnt(58) lgkmcnt(1)
	v_mul_f64 v[47:48], v[11:12], v[83:84]
	s_waitcnt vmcnt(56)
	v_fma_f64 v[55:56], v[1:2], v[85:86], -v[54:55]
	v_mul_f64 v[41:42], v[9:10], v[83:84]
	v_add_f64 v[13:14], v[13:14], v[39:40]
	v_fma_f64 v[39:40], v[3:4], v[85:86], v[119:120]
	v_add_f64 v[15:16], v[15:16], v[35:36]
	s_clause 0x4
	buffer_load_dword v36, off, s[0:3], 0 offset:764
	buffer_load_dword v83, off, s[0:3], 0 offset:776
	;; [unrolled: 1-line block ×5, first 2 shown]
	s_waitcnt vmcnt(57) lgkmcnt(0)
	v_mul_f64 v[119:120], v[5:6], v[104:105]
	v_mul_f64 v[104:105], v[7:8], v[104:105]
	s_waitcnt vmcnt(56)
	v_fma_f64 v[47:48], v[9:10], v[49:50], -v[47:48]
	ds_read_b128 v[1:4], v87 offset:1408
	v_fma_f64 v[41:42], v[11:12], v[49:50], v[41:42]
	v_add_f64 v[13:14], v[13:14], v[55:56]
	v_add_f64 v[15:16], v[15:16], v[39:40]
	s_clause 0x2
	buffer_load_dword v84, off, s[0:3], 0 offset:780
	buffer_load_dword v40, off, s[0:3], 0 offset:756
	;; [unrolled: 1-line block ×3, first 2 shown]
	ds_read_b128 v[9:12], v87 offset:1424
	s_waitcnt vmcnt(58) lgkmcnt(1)
	v_mul_f64 v[55:56], v[3:4], v[106:107]
	s_waitcnt vmcnt(56)
	v_fma_f64 v[104:105], v[5:6], v[111:112], -v[104:105]
	v_mul_f64 v[49:50], v[1:2], v[106:107]
	v_add_f64 v[13:14], v[13:14], v[47:48]
	v_fma_f64 v[47:48], v[7:8], v[111:112], v[119:120]
	v_add_f64 v[15:16], v[15:16], v[41:42]
	s_clause 0x4
	buffer_load_dword v42, off, s[0:3], 0 offset:796
	buffer_load_dword v106, off, s[0:3], 0 offset:808
	;; [unrolled: 1-line block ×5, first 2 shown]
	ds_read_b128 v[5:8], v87 offset:1440
	s_waitcnt vmcnt(57) lgkmcnt(1)
	v_mul_f64 v[111:112], v[9:10], v[98:99]
	v_mul_f64 v[98:99], v[11:12], v[98:99]
	s_waitcnt vmcnt(56)
	v_fma_f64 v[55:56], v[1:2], v[108:109], -v[55:56]
	v_fma_f64 v[49:50], v[3:4], v[108:109], v[49:50]
	v_add_f64 v[13:14], v[13:14], v[104:105]
	v_add_f64 v[15:16], v[15:16], v[47:48]
	s_clause 0x2
	buffer_load_dword v107, off, s[0:3], 0 offset:812
	buffer_load_dword v48, off, s[0:3], 0 offset:788
	;; [unrolled: 1-line block ×3, first 2 shown]
	ds_read_b128 v[1:4], v87 offset:1456
	s_waitcnt vmcnt(58) lgkmcnt(1)
	v_mul_f64 v[108:109], v[7:8], v[115:116]
	v_mul_f64 v[104:105], v[5:6], v[115:116]
	s_waitcnt vmcnt(56)
	v_fma_f64 v[98:99], v[9:10], v[92:93], -v[98:99]
	v_add_f64 v[13:14], v[13:14], v[55:56]
	v_fma_f64 v[55:56], v[11:12], v[92:93], v[111:112]
	v_add_f64 v[15:16], v[15:16], v[49:50]
	s_clause 0x4
	buffer_load_dword v50, off, s[0:3], 0 offset:828
	buffer_load_dword v92, off, s[0:3], 0 offset:840
	;; [unrolled: 1-line block ×5, first 2 shown]
	ds_read_b128 v[9:12], v87 offset:1472
	s_waitcnt vmcnt(57) lgkmcnt(1)
	v_mul_f64 v[119:120], v[1:2], v[25:26]
	v_mul_f64 v[25:26], v[3:4], v[25:26]
	s_waitcnt vmcnt(56)
	v_fma_f64 v[108:109], v[5:6], v[117:118], -v[108:109]
	v_add_f64 v[13:14], v[13:14], v[98:99]
	v_fma_f64 v[98:99], v[7:8], v[117:118], v[104:105]
	v_add_f64 v[15:16], v[15:16], v[55:56]
	s_clause 0x2
	buffer_load_dword v93, off, s[0:3], 0 offset:844
	buffer_load_dword v56, off, s[0:3], 0 offset:820
	;; [unrolled: 1-line block ×3, first 2 shown]
	ds_read_b128 v[5:8], v87 offset:1488
	s_waitcnt vmcnt(58) lgkmcnt(1)
	v_mul_f64 v[104:105], v[9:10], v[100:101]
	v_mul_f64 v[100:101], v[11:12], v[100:101]
	s_waitcnt vmcnt(56)
	v_fma_f64 v[25:26], v[1:2], v[19:20], -v[25:26]
	v_fma_f64 v[19:20], v[3:4], v[19:20], v[119:120]
	v_add_f64 v[13:14], v[13:14], v[108:109]
	v_add_f64 v[15:16], v[15:16], v[98:99]
	s_clause 0x4
	buffer_load_dword v99, off, s[0:3], 0 offset:860
	buffer_load_dword v108, off, s[0:3], 0 offset:872
	;; [unrolled: 1-line block ×5, first 2 shown]
	ds_read_b128 v[1:4], v87 offset:1504
	s_waitcnt vmcnt(57) lgkmcnt(1)
	v_mul_f64 v[117:118], v[5:6], v[88:89]
	v_mul_f64 v[88:89], v[7:8], v[88:89]
	s_waitcnt vmcnt(56)
	v_fma_f64 v[100:101], v[9:10], v[113:114], -v[100:101]
	v_add_f64 v[13:14], v[13:14], v[25:26]
	v_fma_f64 v[25:26], v[11:12], v[113:114], v[104:105]
	v_add_f64 v[15:16], v[15:16], v[19:20]
	s_clause 0x2
	buffer_load_dword v109, off, s[0:3], 0 offset:876
	buffer_load_dword v20, off, s[0:3], 0 offset:852
	;; [unrolled: 1-line block ×3, first 2 shown]
	ds_read_b128 v[9:12], v87 offset:1520
	s_waitcnt vmcnt(58) lgkmcnt(1)
	v_mul_f64 v[104:105], v[1:2], v[90:91]
	v_mul_f64 v[90:91], v[3:4], v[90:91]
	s_waitcnt vmcnt(56)
	v_fma_f64 v[88:89], v[5:6], v[21:22], -v[88:89]
	v_fma_f64 v[21:22], v[7:8], v[21:22], v[117:118]
	v_add_f64 v[13:14], v[13:14], v[100:101]
	v_add_f64 v[15:16], v[15:16], v[25:26]
	s_clause 0x2
	buffer_load_dword v26, off, s[0:3], 0 offset:892
	buffer_load_dword v25, off, s[0:3], 0 offset:888
	;; [unrolled: 1-line block ×3, first 2 shown]
	ds_read_b128 v[5:8], v87 offset:1536
	s_waitcnt vmcnt(55) lgkmcnt(1)
	v_mul_f64 v[100:101], v[9:10], v[17:18]
	v_mul_f64 v[17:18], v[11:12], v[17:18]
	s_waitcnt vmcnt(54)
	v_fma_f64 v[90:91], v[1:2], v[102:103], -v[90:91]
	v_add_f64 v[13:14], v[13:14], v[88:89]
	v_fma_f64 v[88:89], v[3:4], v[102:103], v[104:105]
	v_add_f64 v[15:16], v[15:16], v[21:22]
	s_clause 0x1
	buffer_load_dword v22, off, s[0:3], 0 offset:884
	buffer_load_dword v21, off, s[0:3], 0 offset:880
	ds_read_b128 v[1:4], v87 offset:1552
	s_waitcnt vmcnt(55) lgkmcnt(1)
	v_mul_f64 v[102:103], v[5:6], v[37:38]
	v_mul_f64 v[37:38], v[7:8], v[37:38]
	s_waitcnt vmcnt(53)
	v_fma_f64 v[17:18], v[9:10], v[27:28], -v[17:18]
	v_fma_f64 v[27:28], v[11:12], v[27:28], v[100:101]
	ds_read_b128 v[9:12], v87 offset:1568
	v_add_f64 v[13:14], v[13:14], v[90:91]
	v_add_f64 v[15:16], v[15:16], v[88:89]
	s_waitcnt vmcnt(49) lgkmcnt(1)
	v_mul_f64 v[88:89], v[1:2], v[23:24]
	v_mul_f64 v[23:24], v[3:4], v[23:24]
	s_waitcnt vmcnt(48)
	v_fma_f64 v[37:38], v[5:6], v[96:97], -v[37:38]
	v_add_f64 v[13:14], v[13:14], v[17:18]
	v_fma_f64 v[17:18], v[7:8], v[96:97], v[102:103]
	v_add_f64 v[15:16], v[15:16], v[27:28]
	s_clause 0x3
	buffer_load_dword v27, off, s[0:3], 0 offset:272
	buffer_load_dword v28, off, s[0:3], 0 offset:276
	;; [unrolled: 1-line block ×4, first 2 shown]
	s_waitcnt vmcnt(51) lgkmcnt(0)
	v_mul_f64 v[96:97], v[9:10], v[43:44]
	v_mul_f64 v[43:44], v[11:12], v[43:44]
	ds_read_b128 v[5:8], v87 offset:1584
	s_waitcnt vmcnt(49)
	v_fma_f64 v[23:24], v[1:2], v[33:34], -v[23:24]
	v_fma_f64 v[33:34], v[3:4], v[33:34], v[88:89]
	ds_read_b128 v[1:4], v87 offset:1600
	v_add_f64 v[13:14], v[13:14], v[37:38]
	v_add_f64 v[15:16], v[15:16], v[17:18]
	s_waitcnt vmcnt(45) lgkmcnt(1)
	v_mul_f64 v[17:18], v[5:6], v[29:30]
	v_mul_f64 v[29:30], v[7:8], v[29:30]
	s_waitcnt vmcnt(44)
	v_fma_f64 v[37:38], v[9:10], v[45:46], -v[43:44]
	v_add_f64 v[13:14], v[13:14], v[23:24]
	v_fma_f64 v[23:24], v[11:12], v[45:46], v[96:97]
	v_add_f64 v[15:16], v[15:16], v[33:34]
	ds_read_b128 v[9:12], v87 offset:1616
	s_waitcnt vmcnt(43) lgkmcnt(1)
	v_mul_f64 v[43:44], v[3:4], v[51:52]
	v_mul_f64 v[33:34], v[1:2], v[51:52]
	s_waitcnt vmcnt(41)
	v_fma_f64 v[29:30], v[5:6], v[31:32], -v[29:30]
	v_fma_f64 v[17:18], v[7:8], v[31:32], v[17:18]
	ds_read_b128 v[5:8], v87 offset:1632
	v_add_f64 v[13:14], v[13:14], v[37:38]
	v_add_f64 v[15:16], v[15:16], v[23:24]
	s_waitcnt vmcnt(37) lgkmcnt(1)
	v_mul_f64 v[23:24], v[9:10], v[35:36]
	v_mul_f64 v[31:32], v[11:12], v[35:36]
	s_waitcnt vmcnt(36)
	v_fma_f64 v[35:36], v[1:2], v[53:54], -v[43:44]
	v_add_f64 v[13:14], v[13:14], v[29:30]
	v_fma_f64 v[29:30], v[3:4], v[53:54], v[33:34]
	v_add_f64 v[15:16], v[15:16], v[17:18]
	ds_read_b128 v[1:4], v87 offset:1648
	s_waitcnt vmcnt(35) lgkmcnt(1)
	v_mul_f64 v[33:34], v[7:8], v[83:84]
	v_mul_f64 v[17:18], v[5:6], v[83:84]
	s_waitcnt vmcnt(33)
	v_fma_f64 v[31:32], v[9:10], v[39:40], -v[31:32]
	v_fma_f64 v[23:24], v[11:12], v[39:40], v[23:24]
	ds_read_b128 v[9:12], v87 offset:1664
	v_add_f64 v[13:14], v[13:14], v[35:36]
	v_add_f64 v[15:16], v[15:16], v[29:30]
	s_waitcnt vmcnt(29) lgkmcnt(1)
	v_mul_f64 v[35:36], v[3:4], v[41:42]
	s_waitcnt vmcnt(28)
	v_fma_f64 v[33:34], v[5:6], v[85:86], -v[33:34]
	v_mul_f64 v[29:30], v[1:2], v[41:42]
	v_fma_f64 v[17:18], v[7:8], v[85:86], v[17:18]
	ds_read_b128 v[5:8], v87 offset:1680
	v_add_f64 v[13:14], v[13:14], v[31:32]
	v_add_f64 v[15:16], v[15:16], v[23:24]
	s_waitcnt vmcnt(27) lgkmcnt(1)
	v_mul_f64 v[31:32], v[11:12], v[106:107]
	v_mul_f64 v[23:24], v[9:10], v[106:107]
	s_waitcnt vmcnt(25)
	v_fma_f64 v[35:36], v[1:2], v[47:48], -v[35:36]
	v_fma_f64 v[29:30], v[3:4], v[47:48], v[29:30]
	ds_read_b128 v[1:4], v87 offset:1696
	v_add_f64 v[13:14], v[13:14], v[33:34]
	v_add_f64 v[15:16], v[15:16], v[17:18]
	s_waitcnt vmcnt(21) lgkmcnt(1)
	v_mul_f64 v[33:34], v[7:8], v[49:50]
	s_waitcnt vmcnt(20)
	v_fma_f64 v[31:32], v[9:10], v[110:111], -v[31:32]
	v_mul_f64 v[17:18], v[5:6], v[49:50]
	v_fma_f64 v[23:24], v[11:12], v[110:111], v[23:24]
	ds_read_b128 v[9:12], v87 offset:1712
	v_add_f64 v[13:14], v[13:14], v[35:36]
	v_add_f64 v[15:16], v[15:16], v[29:30]
	;; [unrolled: 18-line block ×3, first 2 shown]
	s_waitcnt vmcnt(11) lgkmcnt(1)
	v_mul_f64 v[33:34], v[7:8], v[108:109]
	v_mul_f64 v[17:18], v[5:6], v[108:109]
	s_waitcnt vmcnt(9)
	v_fma_f64 v[9:10], v[9:10], v[19:20], -v[31:32]
	v_fma_f64 v[11:12], v[11:12], v[19:20], v[23:24]
	v_add_f64 v[13:14], v[13:14], v[35:36]
	v_add_f64 v[15:16], v[15:16], v[29:30]
	s_waitcnt vmcnt(7) lgkmcnt(0)
	v_mul_f64 v[23:24], v[3:4], v[25:26]
	s_waitcnt vmcnt(6)
	v_fma_f64 v[5:6], v[5:6], v[112:113], -v[33:34]
	v_mul_f64 v[19:20], v[1:2], v[25:26]
	v_fma_f64 v[7:8], v[7:8], v[112:113], v[17:18]
	v_add_f64 v[9:10], v[13:14], v[9:10]
	v_add_f64 v[11:12], v[15:16], v[11:12]
	s_waitcnt vmcnt(4)
	v_fma_f64 v[1:2], v[1:2], v[21:22], -v[23:24]
	v_fma_f64 v[3:4], v[3:4], v[21:22], v[19:20]
	v_add_f64 v[5:6], v[9:10], v[5:6]
	v_add_f64 v[7:8], v[11:12], v[7:8]
	;; [unrolled: 1-line block ×4, first 2 shown]
	s_waitcnt vmcnt(2)
	v_add_f64 v[1:2], v[27:28], -v[1:2]
	s_waitcnt vmcnt(0)
	v_add_f64 v[3:4], v[90:91], -v[3:4]
	buffer_store_dword v2, off, s[0:3], 0 offset:276
	buffer_store_dword v1, off, s[0:3], 0 offset:272
	;; [unrolled: 1-line block ×4, first 2 shown]
	v_cmpx_lt_u32_e32 15, v0
	s_cbranch_execz .LBB54_313
; %bb.312:
	v_mov_b32_e32 v4, s52
	v_mov_b32_e32 v5, 0
	s_clause 0x3
	buffer_load_dword v1, v4, s[0:3], 0 offen
	buffer_load_dword v2, v4, s[0:3], 0 offen offset:4
	buffer_load_dword v3, v4, s[0:3], 0 offen offset:8
	;; [unrolled: 1-line block ×3, first 2 shown]
	buffer_store_dword v5, off, s[0:3], 0 offset:256
	buffer_store_dword v5, off, s[0:3], 0 offset:260
	;; [unrolled: 1-line block ×4, first 2 shown]
	s_waitcnt vmcnt(0)
	ds_write_b128 v95, v[1:4]
.LBB54_313:
	s_or_b32 exec_lo, exec_lo, s4
	s_waitcnt lgkmcnt(0)
	s_waitcnt_vscnt null, 0x0
	s_barrier
	buffer_gl0_inv
	s_clause 0x37
	buffer_load_dword v9, off, s[0:3], 0 offset:280
	buffer_load_dword v10, off, s[0:3], 0 offset:284
	;; [unrolled: 1-line block ×56, first 2 shown]
	v_mov_b32_e32 v87, 0
	s_mov_b32 s4, exec_lo
	ds_read_b128 v[88:91], v87 offset:1136
	s_clause 0x2
	buffer_load_dword v84, off, s[0:3], 0 offset:508
	buffer_load_dword v86, off, s[0:3], 0 offset:484
	;; [unrolled: 1-line block ×3, first 2 shown]
	ds_read_b128 v[96:99], v87 offset:1152
	s_clause 0x4
	buffer_load_dword v105, off, s[0:3], 0 offset:524
	buffer_load_dword v106, off, s[0:3], 0 offset:536
	;; [unrolled: 1-line block ×5, first 2 shown]
	ds_read_b128 v[100:103], v87 offset:1168
	s_clause 0x2
	buffer_load_dword v107, off, s[0:3], 0 offset:540
	buffer_load_dword v112, off, s[0:3], 0 offset:516
	;; [unrolled: 1-line block ×3, first 2 shown]
	s_waitcnt vmcnt(62) lgkmcnt(2)
	v_mul_f64 v[92:93], v[90:91], v[9:10]
	v_mul_f64 v[9:10], v[88:89], v[9:10]
	s_waitcnt lgkmcnt(1)
	v_mul_f64 v[109:110], v[98:99], v[5:6]
	s_waitcnt vmcnt(59) lgkmcnt(0)
	v_mul_f64 v[113:114], v[102:103], v[3:4]
	v_fma_f64 v[88:89], v[88:89], v[7:8], -v[92:93]
	v_mul_f64 v[92:93], v[96:97], v[5:6]
	v_fma_f64 v[9:10], v[90:91], v[7:8], v[9:10]
	s_waitcnt vmcnt(57)
	v_fma_f64 v[96:97], v[96:97], v[1:2], -v[109:110]
	ds_read_b128 v[5:8], v87 offset:1184
	v_mul_f64 v[90:91], v[100:101], v[3:4]
	s_waitcnt vmcnt(51)
	v_fma_f64 v[100:101], v[100:101], v[25:26], -v[113:114]
	v_add_f64 v[88:89], v[88:89], 0
	v_fma_f64 v[92:93], v[98:99], v[1:2], v[92:93]
	v_add_f64 v[9:10], v[9:10], 0
	s_clause 0x4
	buffer_load_dword v99, off, s[0:3], 0 offset:556
	buffer_load_dword v115, off, s[0:3], 0 offset:568
	;; [unrolled: 1-line block ×5, first 2 shown]
	s_waitcnt lgkmcnt(0)
	v_mul_f64 v[118:119], v[5:6], v[13:14]
	v_mul_f64 v[13:14], v[7:8], v[13:14]
	ds_read_b128 v[1:4], v87 offset:1200
	v_fma_f64 v[25:26], v[102:103], v[25:26], v[90:91]
	v_add_f64 v[96:97], v[88:89], v[96:97]
	v_add_f64 v[9:10], v[9:10], v[92:93]
	s_clause 0x2
	buffer_load_dword v116, off, s[0:3], 0 offset:572
	buffer_load_dword v93, off, s[0:3], 0 offset:548
	;; [unrolled: 1-line block ×3, first 2 shown]
	s_waitcnt vmcnt(58) lgkmcnt(0)
	v_mul_f64 v[102:103], v[1:2], v[17:18]
	v_mul_f64 v[17:18], v[3:4], v[17:18]
	s_waitcnt vmcnt(56)
	v_fma_f64 v[13:14], v[5:6], v[19:20], -v[13:14]
	ds_read_b128 v[88:91], v87 offset:1216
	v_fma_f64 v[19:20], v[7:8], v[19:20], v[118:119]
	v_add_f64 v[96:97], v[96:97], v[100:101]
	v_add_f64 v[9:10], v[9:10], v[25:26]
	s_clause 0x4
	buffer_load_dword v26, off, s[0:3], 0 offset:588
	buffer_load_dword v100, off, s[0:3], 0 offset:600
	;; [unrolled: 1-line block ×5, first 2 shown]
	ds_read_b128 v[5:8], v87 offset:1232
	s_waitcnt vmcnt(57) lgkmcnt(1)
	v_mul_f64 v[119:120], v[88:89], v[21:22]
	v_mul_f64 v[21:22], v[90:91], v[21:22]
	s_waitcnt vmcnt(56)
	v_fma_f64 v[17:18], v[1:2], v[11:12], -v[17:18]
	v_fma_f64 v[11:12], v[3:4], v[11:12], v[102:103]
	v_add_f64 v[13:14], v[96:97], v[13:14]
	v_add_f64 v[9:10], v[9:10], v[19:20]
	s_clause 0x2
	buffer_load_dword v101, off, s[0:3], 0 offset:604
	buffer_load_dword v20, off, s[0:3], 0 offset:580
	;; [unrolled: 1-line block ×3, first 2 shown]
	s_waitcnt vmcnt(58) lgkmcnt(0)
	v_mul_f64 v[96:97], v[5:6], v[27:28]
	v_mul_f64 v[27:28], v[7:8], v[27:28]
	s_waitcnt vmcnt(56)
	v_fma_f64 v[21:22], v[88:89], v[29:30], -v[21:22]
	ds_read_b128 v[1:4], v87 offset:1248
	v_add_f64 v[13:14], v[13:14], v[17:18]
	v_fma_f64 v[17:18], v[90:91], v[29:30], v[119:120]
	v_add_f64 v[29:30], v[9:10], v[11:12]
	s_clause 0x4
	buffer_load_dword v89, off, s[0:3], 0 offset:620
	buffer_load_dword v90, off, s[0:3], 0 offset:632
	;; [unrolled: 1-line block ×5, first 2 shown]
	ds_read_b128 v[9:12], v87 offset:1264
	s_waitcnt vmcnt(57) lgkmcnt(1)
	v_mul_f64 v[119:120], v[1:2], v[31:32]
	v_mul_f64 v[31:32], v[3:4], v[31:32]
	s_waitcnt vmcnt(56)
	v_fma_f64 v[27:28], v[5:6], v[15:16], -v[27:28]
	v_fma_f64 v[15:16], v[7:8], v[15:16], v[96:97]
	v_add_f64 v[13:14], v[13:14], v[21:22]
	s_clause 0x2
	buffer_load_dword v91, off, s[0:3], 0 offset:636
	buffer_load_dword v22, off, s[0:3], 0 offset:612
	;; [unrolled: 1-line block ×3, first 2 shown]
	v_add_f64 v[17:18], v[29:30], v[17:18]
	s_waitcnt vmcnt(58) lgkmcnt(0)
	v_mul_f64 v[29:30], v[9:10], v[35:36]
	v_mul_f64 v[35:36], v[11:12], v[35:36]
	ds_read_b128 v[5:8], v87 offset:1280
	s_waitcnt vmcnt(56)
	v_fma_f64 v[31:32], v[1:2], v[37:38], -v[31:32]
	v_add_f64 v[13:14], v[13:14], v[27:28]
	v_fma_f64 v[27:28], v[3:4], v[37:38], v[119:120]
	v_add_f64 v[15:16], v[17:18], v[15:16]
	s_clause 0x4
	buffer_load_dword v18, off, s[0:3], 0 offset:652
	buffer_load_dword v37, off, s[0:3], 0 offset:664
	;; [unrolled: 1-line block ×5, first 2 shown]
	s_waitcnt vmcnt(57) lgkmcnt(0)
	v_mul_f64 v[119:120], v[5:6], v[39:40]
	v_mul_f64 v[39:40], v[7:8], v[39:40]
	s_waitcnt vmcnt(56)
	v_fma_f64 v[35:36], v[9:10], v[23:24], -v[35:36]
	ds_read_b128 v[1:4], v87 offset:1296
	v_fma_f64 v[23:24], v[11:12], v[23:24], v[29:30]
	v_add_f64 v[13:14], v[13:14], v[31:32]
	v_add_f64 v[15:16], v[15:16], v[27:28]
	s_clause 0x2
	buffer_load_dword v38, off, s[0:3], 0 offset:668
	buffer_load_dword v28, off, s[0:3], 0 offset:644
	;; [unrolled: 1-line block ×3, first 2 shown]
	ds_read_b128 v[9:12], v87 offset:1312
	s_waitcnt vmcnt(58) lgkmcnt(1)
	v_mul_f64 v[31:32], v[3:4], v[43:44]
	s_waitcnt vmcnt(56)
	v_fma_f64 v[39:40], v[5:6], v[45:46], -v[39:40]
	v_mul_f64 v[29:30], v[1:2], v[43:44]
	v_add_f64 v[13:14], v[13:14], v[35:36]
	v_fma_f64 v[35:36], v[7:8], v[45:46], v[119:120]
	v_add_f64 v[15:16], v[15:16], v[23:24]
	s_clause 0x4
	buffer_load_dword v24, off, s[0:3], 0 offset:684
	buffer_load_dword v43, off, s[0:3], 0 offset:696
	;; [unrolled: 1-line block ×5, first 2 shown]
	s_waitcnt vmcnt(57) lgkmcnt(0)
	v_mul_f64 v[119:120], v[9:10], v[47:48]
	v_mul_f64 v[46:47], v[11:12], v[47:48]
	s_waitcnt vmcnt(56)
	v_fma_f64 v[31:32], v[1:2], v[33:34], -v[31:32]
	ds_read_b128 v[5:8], v87 offset:1328
	v_fma_f64 v[29:30], v[3:4], v[33:34], v[29:30]
	s_clause 0x2
	buffer_load_dword v44, off, s[0:3], 0 offset:700
	buffer_load_dword v34, off, s[0:3], 0 offset:676
	;; [unrolled: 1-line block ×3, first 2 shown]
	ds_read_b128 v[1:4], v87 offset:1344
	v_add_f64 v[13:14], v[13:14], v[39:40]
	v_add_f64 v[15:16], v[15:16], v[35:36]
	s_waitcnt vmcnt(58) lgkmcnt(1)
	v_mul_f64 v[39:40], v[7:8], v[51:52]
	s_waitcnt vmcnt(56)
	v_fma_f64 v[47:48], v[9:10], v[53:54], -v[46:47]
	v_mul_f64 v[35:36], v[5:6], v[51:52]
	v_add_f64 v[13:14], v[13:14], v[31:32]
	v_fma_f64 v[31:32], v[11:12], v[53:54], v[119:120]
	v_add_f64 v[15:16], v[15:16], v[29:30]
	s_clause 0x4
	buffer_load_dword v30, off, s[0:3], 0 offset:716
	buffer_load_dword v51, off, s[0:3], 0 offset:728
	;; [unrolled: 1-line block ×5, first 2 shown]
	s_waitcnt vmcnt(57) lgkmcnt(0)
	v_mul_f64 v[119:120], v[1:2], v[55:56]
	v_mul_f64 v[54:55], v[3:4], v[55:56]
	s_waitcnt vmcnt(56)
	v_fma_f64 v[39:40], v[5:6], v[41:42], -v[39:40]
	ds_read_b128 v[9:12], v87 offset:1360
	v_fma_f64 v[35:36], v[7:8], v[41:42], v[35:36]
	v_add_f64 v[13:14], v[13:14], v[47:48]
	v_add_f64 v[15:16], v[15:16], v[31:32]
	s_clause 0x2
	buffer_load_dword v52, off, s[0:3], 0 offset:732
	buffer_load_dword v32, off, s[0:3], 0 offset:708
	;; [unrolled: 1-line block ×3, first 2 shown]
	ds_read_b128 v[5:8], v87 offset:1376
	s_waitcnt vmcnt(58) lgkmcnt(1)
	v_mul_f64 v[47:48], v[11:12], v[83:84]
	s_waitcnt vmcnt(56)
	v_fma_f64 v[55:56], v[1:2], v[85:86], -v[54:55]
	v_mul_f64 v[41:42], v[9:10], v[83:84]
	v_add_f64 v[13:14], v[13:14], v[39:40]
	v_fma_f64 v[39:40], v[3:4], v[85:86], v[119:120]
	v_add_f64 v[15:16], v[15:16], v[35:36]
	s_clause 0x4
	buffer_load_dword v36, off, s[0:3], 0 offset:748
	buffer_load_dword v83, off, s[0:3], 0 offset:760
	;; [unrolled: 1-line block ×5, first 2 shown]
	s_waitcnt vmcnt(57) lgkmcnt(0)
	v_mul_f64 v[119:120], v[5:6], v[104:105]
	v_mul_f64 v[104:105], v[7:8], v[104:105]
	s_waitcnt vmcnt(56)
	v_fma_f64 v[47:48], v[9:10], v[49:50], -v[47:48]
	ds_read_b128 v[1:4], v87 offset:1392
	v_fma_f64 v[41:42], v[11:12], v[49:50], v[41:42]
	v_add_f64 v[13:14], v[13:14], v[55:56]
	v_add_f64 v[15:16], v[15:16], v[39:40]
	s_clause 0x2
	buffer_load_dword v84, off, s[0:3], 0 offset:764
	buffer_load_dword v40, off, s[0:3], 0 offset:740
	;; [unrolled: 1-line block ×3, first 2 shown]
	ds_read_b128 v[9:12], v87 offset:1408
	s_waitcnt vmcnt(58) lgkmcnt(1)
	v_mul_f64 v[55:56], v[3:4], v[106:107]
	s_waitcnt vmcnt(56)
	v_fma_f64 v[104:105], v[5:6], v[111:112], -v[104:105]
	v_mul_f64 v[49:50], v[1:2], v[106:107]
	v_add_f64 v[13:14], v[13:14], v[47:48]
	v_fma_f64 v[47:48], v[7:8], v[111:112], v[119:120]
	v_add_f64 v[15:16], v[15:16], v[41:42]
	s_clause 0x4
	buffer_load_dword v42, off, s[0:3], 0 offset:780
	buffer_load_dword v106, off, s[0:3], 0 offset:792
	;; [unrolled: 1-line block ×5, first 2 shown]
	ds_read_b128 v[5:8], v87 offset:1424
	s_waitcnt vmcnt(57) lgkmcnt(1)
	v_mul_f64 v[111:112], v[9:10], v[98:99]
	v_mul_f64 v[98:99], v[11:12], v[98:99]
	s_waitcnt vmcnt(56)
	v_fma_f64 v[55:56], v[1:2], v[108:109], -v[55:56]
	v_fma_f64 v[49:50], v[3:4], v[108:109], v[49:50]
	v_add_f64 v[13:14], v[13:14], v[104:105]
	v_add_f64 v[15:16], v[15:16], v[47:48]
	s_clause 0x2
	buffer_load_dword v107, off, s[0:3], 0 offset:796
	buffer_load_dword v48, off, s[0:3], 0 offset:772
	;; [unrolled: 1-line block ×3, first 2 shown]
	ds_read_b128 v[1:4], v87 offset:1440
	s_waitcnt vmcnt(58) lgkmcnt(1)
	v_mul_f64 v[108:109], v[7:8], v[115:116]
	v_mul_f64 v[104:105], v[5:6], v[115:116]
	s_waitcnt vmcnt(56)
	v_fma_f64 v[98:99], v[9:10], v[92:93], -v[98:99]
	v_add_f64 v[13:14], v[13:14], v[55:56]
	v_fma_f64 v[55:56], v[11:12], v[92:93], v[111:112]
	v_add_f64 v[15:16], v[15:16], v[49:50]
	s_clause 0x4
	buffer_load_dword v50, off, s[0:3], 0 offset:812
	buffer_load_dword v92, off, s[0:3], 0 offset:824
	;; [unrolled: 1-line block ×5, first 2 shown]
	ds_read_b128 v[9:12], v87 offset:1456
	s_waitcnt vmcnt(57) lgkmcnt(1)
	v_mul_f64 v[119:120], v[1:2], v[25:26]
	v_mul_f64 v[25:26], v[3:4], v[25:26]
	s_waitcnt vmcnt(56)
	v_fma_f64 v[108:109], v[5:6], v[117:118], -v[108:109]
	v_add_f64 v[13:14], v[13:14], v[98:99]
	v_fma_f64 v[98:99], v[7:8], v[117:118], v[104:105]
	v_add_f64 v[15:16], v[15:16], v[55:56]
	s_clause 0x2
	buffer_load_dword v93, off, s[0:3], 0 offset:828
	buffer_load_dword v56, off, s[0:3], 0 offset:804
	;; [unrolled: 1-line block ×3, first 2 shown]
	ds_read_b128 v[5:8], v87 offset:1472
	s_waitcnt vmcnt(58) lgkmcnt(1)
	v_mul_f64 v[104:105], v[9:10], v[100:101]
	v_mul_f64 v[100:101], v[11:12], v[100:101]
	s_waitcnt vmcnt(56)
	v_fma_f64 v[25:26], v[1:2], v[19:20], -v[25:26]
	v_fma_f64 v[19:20], v[3:4], v[19:20], v[119:120]
	v_add_f64 v[13:14], v[13:14], v[108:109]
	v_add_f64 v[15:16], v[15:16], v[98:99]
	s_clause 0x4
	buffer_load_dword v99, off, s[0:3], 0 offset:844
	buffer_load_dword v108, off, s[0:3], 0 offset:856
	;; [unrolled: 1-line block ×5, first 2 shown]
	ds_read_b128 v[1:4], v87 offset:1488
	s_waitcnt vmcnt(57) lgkmcnt(1)
	v_mul_f64 v[117:118], v[5:6], v[88:89]
	v_mul_f64 v[88:89], v[7:8], v[88:89]
	s_waitcnt vmcnt(56)
	v_fma_f64 v[100:101], v[9:10], v[113:114], -v[100:101]
	v_add_f64 v[13:14], v[13:14], v[25:26]
	v_fma_f64 v[25:26], v[11:12], v[113:114], v[104:105]
	v_add_f64 v[15:16], v[15:16], v[19:20]
	s_clause 0x2
	buffer_load_dword v109, off, s[0:3], 0 offset:860
	buffer_load_dword v20, off, s[0:3], 0 offset:836
	;; [unrolled: 1-line block ×3, first 2 shown]
	ds_read_b128 v[9:12], v87 offset:1504
	s_waitcnt vmcnt(58) lgkmcnt(1)
	v_mul_f64 v[104:105], v[1:2], v[90:91]
	v_mul_f64 v[90:91], v[3:4], v[90:91]
	s_waitcnt vmcnt(56)
	v_fma_f64 v[88:89], v[5:6], v[21:22], -v[88:89]
	v_fma_f64 v[21:22], v[7:8], v[21:22], v[117:118]
	v_add_f64 v[13:14], v[13:14], v[100:101]
	v_add_f64 v[15:16], v[15:16], v[25:26]
	s_clause 0x4
	buffer_load_dword v26, off, s[0:3], 0 offset:876
	buffer_load_dword v100, off, s[0:3], 0 offset:888
	;; [unrolled: 1-line block ×5, first 2 shown]
	ds_read_b128 v[5:8], v87 offset:1520
	s_waitcnt vmcnt(57) lgkmcnt(1)
	v_mul_f64 v[118:119], v[9:10], v[17:18]
	v_mul_f64 v[17:18], v[11:12], v[17:18]
	s_waitcnt vmcnt(56)
	v_fma_f64 v[90:91], v[1:2], v[102:103], -v[90:91]
	v_add_f64 v[13:14], v[13:14], v[88:89]
	v_fma_f64 v[88:89], v[3:4], v[102:103], v[104:105]
	v_add_f64 v[15:16], v[15:16], v[21:22]
	s_clause 0x2
	buffer_load_dword v101, off, s[0:3], 0 offset:892
	buffer_load_dword v22, off, s[0:3], 0 offset:868
	buffer_load_dword v21, off, s[0:3], 0 offset:864
	ds_read_b128 v[1:4], v87 offset:1536
	s_waitcnt vmcnt(58) lgkmcnt(1)
	v_mul_f64 v[102:103], v[5:6], v[37:38]
	v_mul_f64 v[37:38], v[7:8], v[37:38]
	s_waitcnt vmcnt(56)
	v_fma_f64 v[17:18], v[9:10], v[27:28], -v[17:18]
	v_fma_f64 v[27:28], v[11:12], v[27:28], v[118:119]
	buffer_load_dword v118, off, s[0:3], 0 offset:884
	ds_read_b128 v[9:12], v87 offset:1552
	v_add_f64 v[13:14], v[13:14], v[90:91]
	v_add_f64 v[15:16], v[15:16], v[88:89]
	s_waitcnt vmcnt(53) lgkmcnt(1)
	v_mul_f64 v[88:89], v[1:2], v[23:24]
	v_mul_f64 v[23:24], v[3:4], v[23:24]
	s_waitcnt vmcnt(52)
	v_fma_f64 v[37:38], v[5:6], v[96:97], -v[37:38]
	v_add_f64 v[13:14], v[13:14], v[17:18]
	v_fma_f64 v[17:18], v[7:8], v[96:97], v[102:103]
	v_add_f64 v[15:16], v[15:16], v[27:28]
	s_waitcnt vmcnt(51) lgkmcnt(0)
	v_mul_f64 v[27:28], v[9:10], v[43:44]
	v_mul_f64 v[43:44], v[11:12], v[43:44]
	ds_read_b128 v[5:8], v87 offset:1568
	s_waitcnt vmcnt(49)
	v_fma_f64 v[23:24], v[1:2], v[33:34], -v[23:24]
	v_fma_f64 v[33:34], v[3:4], v[33:34], v[88:89]
	v_add_f64 v[13:14], v[13:14], v[37:38]
	v_add_f64 v[15:16], v[15:16], v[17:18]
	s_clause 0x3
	buffer_load_dword v17, off, s[0:3], 0 offset:256
	buffer_load_dword v18, off, s[0:3], 0 offset:260
	;; [unrolled: 1-line block ×4, first 2 shown]
	ds_read_b128 v[1:4], v87 offset:1584
	s_waitcnt vmcnt(49) lgkmcnt(1)
	v_mul_f64 v[88:89], v[5:6], v[29:30]
	v_mul_f64 v[29:30], v[7:8], v[29:30]
	s_waitcnt vmcnt(48)
	v_fma_f64 v[43:44], v[9:10], v[45:46], -v[43:44]
	v_add_f64 v[13:14], v[13:14], v[23:24]
	v_fma_f64 v[23:24], v[11:12], v[45:46], v[27:28]
	v_add_f64 v[15:16], v[15:16], v[33:34]
	ds_read_b128 v[9:12], v87 offset:1600
	s_waitcnt vmcnt(47) lgkmcnt(1)
	v_mul_f64 v[33:34], v[3:4], v[51:52]
	v_mul_f64 v[27:28], v[1:2], v[51:52]
	s_waitcnt vmcnt(45)
	v_fma_f64 v[29:30], v[5:6], v[31:32], -v[29:30]
	v_fma_f64 v[31:32], v[7:8], v[31:32], v[88:89]
	ds_read_b128 v[5:8], v87 offset:1616
	v_add_f64 v[13:14], v[13:14], v[43:44]
	v_add_f64 v[15:16], v[15:16], v[23:24]
	s_waitcnt vmcnt(41) lgkmcnt(1)
	v_mul_f64 v[23:24], v[9:10], v[35:36]
	v_mul_f64 v[35:36], v[11:12], v[35:36]
	s_waitcnt vmcnt(40)
	v_fma_f64 v[33:34], v[1:2], v[53:54], -v[33:34]
	v_fma_f64 v[27:28], v[3:4], v[53:54], v[27:28]
	ds_read_b128 v[1:4], v87 offset:1632
	v_add_f64 v[13:14], v[13:14], v[29:30]
	v_add_f64 v[15:16], v[15:16], v[31:32]
	;; [unrolled: 9-line block ×3, first 2 shown]
	s_waitcnt vmcnt(33) lgkmcnt(1)
	v_mul_f64 v[33:34], v[3:4], v[41:42]
	s_waitcnt vmcnt(32)
	v_fma_f64 v[31:32], v[5:6], v[85:86], -v[31:32]
	v_mul_f64 v[27:28], v[1:2], v[41:42]
	v_fma_f64 v[29:30], v[7:8], v[85:86], v[29:30]
	ds_read_b128 v[5:8], v87 offset:1664
	v_add_f64 v[13:14], v[13:14], v[35:36]
	v_add_f64 v[15:16], v[15:16], v[23:24]
	s_waitcnt vmcnt(31) lgkmcnt(1)
	v_mul_f64 v[35:36], v[11:12], v[106:107]
	v_mul_f64 v[23:24], v[9:10], v[106:107]
	s_waitcnt vmcnt(29)
	v_fma_f64 v[33:34], v[1:2], v[47:48], -v[33:34]
	v_fma_f64 v[27:28], v[3:4], v[47:48], v[27:28]
	ds_read_b128 v[1:4], v87 offset:1680
	v_add_f64 v[13:14], v[13:14], v[31:32]
	v_add_f64 v[15:16], v[15:16], v[29:30]
	s_waitcnt vmcnt(25) lgkmcnt(1)
	v_mul_f64 v[31:32], v[7:8], v[49:50]
	s_waitcnt vmcnt(24)
	v_fma_f64 v[35:36], v[9:10], v[110:111], -v[35:36]
	v_mul_f64 v[29:30], v[5:6], v[49:50]
	v_fma_f64 v[23:24], v[11:12], v[110:111], v[23:24]
	ds_read_b128 v[9:12], v87 offset:1696
	v_add_f64 v[13:14], v[13:14], v[33:34]
	v_add_f64 v[15:16], v[15:16], v[27:28]
	s_waitcnt vmcnt(23) lgkmcnt(1)
	v_mul_f64 v[33:34], v[3:4], v[92:93]
	v_mul_f64 v[27:28], v[1:2], v[92:93]
	s_waitcnt vmcnt(21)
	v_fma_f64 v[31:32], v[5:6], v[55:56], -v[31:32]
	v_fma_f64 v[29:30], v[7:8], v[55:56], v[29:30]
	ds_read_b128 v[5:8], v87 offset:1712
	v_add_f64 v[13:14], v[13:14], v[35:36]
	v_add_f64 v[15:16], v[15:16], v[23:24]
	;; [unrolled: 18-line block ×3, first 2 shown]
	s_waitcnt vmcnt(9) lgkmcnt(1)
	v_mul_f64 v[23:24], v[1:2], v[25:26]
	v_mul_f64 v[25:26], v[3:4], v[25:26]
	s_waitcnt vmcnt(8)
	v_fma_f64 v[5:6], v[5:6], v[112:113], -v[31:32]
	v_fma_f64 v[7:8], v[7:8], v[112:113], v[29:30]
	v_add_f64 v[13:14], v[13:14], v[35:36]
	v_add_f64 v[15:16], v[15:16], v[19:20]
	s_waitcnt vmcnt(7) lgkmcnt(0)
	v_mul_f64 v[27:28], v[11:12], v[100:101]
	v_mul_f64 v[19:20], v[9:10], v[100:101]
	s_waitcnt vmcnt(5)
	v_fma_f64 v[1:2], v[1:2], v[21:22], -v[25:26]
	v_fma_f64 v[3:4], v[3:4], v[21:22], v[23:24]
	v_add_f64 v[5:6], v[13:14], v[5:6]
	v_add_f64 v[7:8], v[15:16], v[7:8]
	s_waitcnt vmcnt(4)
	v_fma_f64 v[9:10], v[9:10], v[117:118], -v[27:28]
	v_add_f64 v[1:2], v[5:6], v[1:2]
	v_fma_f64 v[5:6], v[11:12], v[117:118], v[19:20]
	v_add_f64 v[3:4], v[7:8], v[3:4]
	v_add_f64 v[1:2], v[1:2], v[9:10]
	;; [unrolled: 1-line block ×3, first 2 shown]
	s_waitcnt vmcnt(2)
	v_add_f64 v[1:2], v[17:18], -v[1:2]
	s_waitcnt vmcnt(0)
	v_add_f64 v[3:4], v[37:38], -v[3:4]
	buffer_store_dword v2, off, s[0:3], 0 offset:260
	buffer_store_dword v1, off, s[0:3], 0 offset:256
	;; [unrolled: 1-line block ×4, first 2 shown]
	v_cmpx_lt_u32_e32 14, v0
	s_cbranch_execz .LBB54_315
; %bb.314:
	v_mov_b32_e32 v4, s53
	s_clause 0x3
	buffer_load_dword v1, v4, s[0:3], 0 offen
	buffer_load_dword v2, v4, s[0:3], 0 offen offset:4
	buffer_load_dword v3, v4, s[0:3], 0 offen offset:8
	;; [unrolled: 1-line block ×3, first 2 shown]
	buffer_store_dword v87, off, s[0:3], 0 offset:240
	buffer_store_dword v87, off, s[0:3], 0 offset:244
	;; [unrolled: 1-line block ×4, first 2 shown]
	s_waitcnt vmcnt(0)
	ds_write_b128 v95, v[1:4]
.LBB54_315:
	s_or_b32 exec_lo, exec_lo, s4
	s_waitcnt lgkmcnt(0)
	s_waitcnt_vscnt null, 0x0
	s_barrier
	buffer_gl0_inv
	s_clause 0x37
	buffer_load_dword v9, off, s[0:3], 0 offset:264
	buffer_load_dword v10, off, s[0:3], 0 offset:268
	;; [unrolled: 1-line block ×56, first 2 shown]
	ds_read_b128 v[88:91], v87 offset:1120
	s_clause 0x2
	buffer_load_dword v84, off, s[0:3], 0 offset:492
	buffer_load_dword v86, off, s[0:3], 0 offset:468
	;; [unrolled: 1-line block ×3, first 2 shown]
	ds_read_b128 v[96:99], v87 offset:1136
	s_clause 0x4
	buffer_load_dword v105, off, s[0:3], 0 offset:508
	buffer_load_dword v106, off, s[0:3], 0 offset:520
	;; [unrolled: 1-line block ×5, first 2 shown]
	ds_read_b128 v[100:103], v87 offset:1152
	s_clause 0x2
	buffer_load_dword v107, off, s[0:3], 0 offset:524
	buffer_load_dword v112, off, s[0:3], 0 offset:500
	;; [unrolled: 1-line block ×3, first 2 shown]
	s_mov_b32 s4, exec_lo
	s_waitcnt vmcnt(62) lgkmcnt(2)
	v_mul_f64 v[92:93], v[90:91], v[9:10]
	v_mul_f64 v[9:10], v[88:89], v[9:10]
	s_waitcnt lgkmcnt(1)
	v_mul_f64 v[109:110], v[98:99], v[5:6]
	s_waitcnt vmcnt(59) lgkmcnt(0)
	v_mul_f64 v[113:114], v[102:103], v[3:4]
	v_fma_f64 v[88:89], v[88:89], v[7:8], -v[92:93]
	v_mul_f64 v[92:93], v[96:97], v[5:6]
	v_fma_f64 v[9:10], v[90:91], v[7:8], v[9:10]
	s_waitcnt vmcnt(57)
	v_fma_f64 v[96:97], v[96:97], v[1:2], -v[109:110]
	ds_read_b128 v[5:8], v87 offset:1168
	v_mul_f64 v[90:91], v[100:101], v[3:4]
	s_waitcnt vmcnt(51)
	v_fma_f64 v[100:101], v[100:101], v[25:26], -v[113:114]
	v_add_f64 v[88:89], v[88:89], 0
	v_fma_f64 v[92:93], v[98:99], v[1:2], v[92:93]
	v_add_f64 v[9:10], v[9:10], 0
	s_clause 0x4
	buffer_load_dword v99, off, s[0:3], 0 offset:540
	buffer_load_dword v115, off, s[0:3], 0 offset:552
	;; [unrolled: 1-line block ×5, first 2 shown]
	s_waitcnt lgkmcnt(0)
	v_mul_f64 v[118:119], v[5:6], v[13:14]
	v_mul_f64 v[13:14], v[7:8], v[13:14]
	ds_read_b128 v[1:4], v87 offset:1184
	v_fma_f64 v[25:26], v[102:103], v[25:26], v[90:91]
	v_add_f64 v[96:97], v[88:89], v[96:97]
	v_add_f64 v[9:10], v[9:10], v[92:93]
	s_clause 0x2
	buffer_load_dword v116, off, s[0:3], 0 offset:556
	buffer_load_dword v93, off, s[0:3], 0 offset:532
	;; [unrolled: 1-line block ×3, first 2 shown]
	s_waitcnt vmcnt(58) lgkmcnt(0)
	v_mul_f64 v[102:103], v[1:2], v[17:18]
	v_mul_f64 v[17:18], v[3:4], v[17:18]
	s_waitcnt vmcnt(56)
	v_fma_f64 v[13:14], v[5:6], v[19:20], -v[13:14]
	ds_read_b128 v[88:91], v87 offset:1200
	v_fma_f64 v[19:20], v[7:8], v[19:20], v[118:119]
	v_add_f64 v[96:97], v[96:97], v[100:101]
	v_add_f64 v[9:10], v[9:10], v[25:26]
	s_clause 0x4
	buffer_load_dword v26, off, s[0:3], 0 offset:572
	buffer_load_dword v100, off, s[0:3], 0 offset:584
	;; [unrolled: 1-line block ×5, first 2 shown]
	ds_read_b128 v[5:8], v87 offset:1216
	s_waitcnt vmcnt(57) lgkmcnt(1)
	v_mul_f64 v[119:120], v[88:89], v[21:22]
	v_mul_f64 v[21:22], v[90:91], v[21:22]
	s_waitcnt vmcnt(56)
	v_fma_f64 v[17:18], v[1:2], v[11:12], -v[17:18]
	v_fma_f64 v[11:12], v[3:4], v[11:12], v[102:103]
	v_add_f64 v[13:14], v[96:97], v[13:14]
	v_add_f64 v[9:10], v[9:10], v[19:20]
	s_clause 0x2
	buffer_load_dword v101, off, s[0:3], 0 offset:588
	buffer_load_dword v20, off, s[0:3], 0 offset:564
	;; [unrolled: 1-line block ×3, first 2 shown]
	s_waitcnt vmcnt(58) lgkmcnt(0)
	v_mul_f64 v[96:97], v[5:6], v[27:28]
	v_mul_f64 v[27:28], v[7:8], v[27:28]
	s_waitcnt vmcnt(56)
	v_fma_f64 v[21:22], v[88:89], v[29:30], -v[21:22]
	ds_read_b128 v[1:4], v87 offset:1232
	v_add_f64 v[13:14], v[13:14], v[17:18]
	v_fma_f64 v[17:18], v[90:91], v[29:30], v[119:120]
	v_add_f64 v[29:30], v[9:10], v[11:12]
	s_clause 0x4
	buffer_load_dword v89, off, s[0:3], 0 offset:604
	buffer_load_dword v90, off, s[0:3], 0 offset:616
	;; [unrolled: 1-line block ×5, first 2 shown]
	ds_read_b128 v[9:12], v87 offset:1248
	s_waitcnt vmcnt(57) lgkmcnt(1)
	v_mul_f64 v[119:120], v[1:2], v[31:32]
	v_mul_f64 v[31:32], v[3:4], v[31:32]
	s_waitcnt vmcnt(56)
	v_fma_f64 v[27:28], v[5:6], v[15:16], -v[27:28]
	v_fma_f64 v[15:16], v[7:8], v[15:16], v[96:97]
	v_add_f64 v[13:14], v[13:14], v[21:22]
	s_clause 0x2
	buffer_load_dword v91, off, s[0:3], 0 offset:620
	buffer_load_dword v22, off, s[0:3], 0 offset:596
	;; [unrolled: 1-line block ×3, first 2 shown]
	v_add_f64 v[17:18], v[29:30], v[17:18]
	s_waitcnt vmcnt(58) lgkmcnt(0)
	v_mul_f64 v[29:30], v[9:10], v[35:36]
	v_mul_f64 v[35:36], v[11:12], v[35:36]
	ds_read_b128 v[5:8], v87 offset:1264
	s_waitcnt vmcnt(56)
	v_fma_f64 v[31:32], v[1:2], v[37:38], -v[31:32]
	v_add_f64 v[13:14], v[13:14], v[27:28]
	v_fma_f64 v[27:28], v[3:4], v[37:38], v[119:120]
	v_add_f64 v[15:16], v[17:18], v[15:16]
	s_clause 0x4
	buffer_load_dword v18, off, s[0:3], 0 offset:636
	buffer_load_dword v37, off, s[0:3], 0 offset:648
	;; [unrolled: 1-line block ×5, first 2 shown]
	s_waitcnt vmcnt(57) lgkmcnt(0)
	v_mul_f64 v[119:120], v[5:6], v[39:40]
	v_mul_f64 v[39:40], v[7:8], v[39:40]
	s_waitcnt vmcnt(56)
	v_fma_f64 v[35:36], v[9:10], v[23:24], -v[35:36]
	ds_read_b128 v[1:4], v87 offset:1280
	v_fma_f64 v[23:24], v[11:12], v[23:24], v[29:30]
	v_add_f64 v[13:14], v[13:14], v[31:32]
	v_add_f64 v[15:16], v[15:16], v[27:28]
	s_clause 0x2
	buffer_load_dword v38, off, s[0:3], 0 offset:652
	buffer_load_dword v28, off, s[0:3], 0 offset:628
	;; [unrolled: 1-line block ×3, first 2 shown]
	ds_read_b128 v[9:12], v87 offset:1296
	s_waitcnt vmcnt(58) lgkmcnt(1)
	v_mul_f64 v[31:32], v[3:4], v[43:44]
	s_waitcnt vmcnt(56)
	v_fma_f64 v[39:40], v[5:6], v[45:46], -v[39:40]
	v_mul_f64 v[29:30], v[1:2], v[43:44]
	v_add_f64 v[13:14], v[13:14], v[35:36]
	v_fma_f64 v[35:36], v[7:8], v[45:46], v[119:120]
	v_add_f64 v[15:16], v[15:16], v[23:24]
	s_clause 0x4
	buffer_load_dword v24, off, s[0:3], 0 offset:668
	buffer_load_dword v43, off, s[0:3], 0 offset:680
	;; [unrolled: 1-line block ×5, first 2 shown]
	s_waitcnt vmcnt(57) lgkmcnt(0)
	v_mul_f64 v[119:120], v[9:10], v[47:48]
	v_mul_f64 v[46:47], v[11:12], v[47:48]
	s_waitcnt vmcnt(56)
	v_fma_f64 v[31:32], v[1:2], v[33:34], -v[31:32]
	ds_read_b128 v[5:8], v87 offset:1312
	v_fma_f64 v[29:30], v[3:4], v[33:34], v[29:30]
	s_clause 0x2
	buffer_load_dword v44, off, s[0:3], 0 offset:684
	buffer_load_dword v34, off, s[0:3], 0 offset:660
	buffer_load_dword v33, off, s[0:3], 0 offset:656
	ds_read_b128 v[1:4], v87 offset:1328
	v_add_f64 v[13:14], v[13:14], v[39:40]
	v_add_f64 v[15:16], v[15:16], v[35:36]
	s_waitcnt vmcnt(58) lgkmcnt(1)
	v_mul_f64 v[39:40], v[7:8], v[51:52]
	s_waitcnt vmcnt(56)
	v_fma_f64 v[47:48], v[9:10], v[53:54], -v[46:47]
	v_mul_f64 v[35:36], v[5:6], v[51:52]
	v_add_f64 v[13:14], v[13:14], v[31:32]
	v_fma_f64 v[31:32], v[11:12], v[53:54], v[119:120]
	v_add_f64 v[15:16], v[15:16], v[29:30]
	s_clause 0x4
	buffer_load_dword v30, off, s[0:3], 0 offset:700
	buffer_load_dword v51, off, s[0:3], 0 offset:712
	;; [unrolled: 1-line block ×5, first 2 shown]
	s_waitcnt vmcnt(57) lgkmcnt(0)
	v_mul_f64 v[119:120], v[1:2], v[55:56]
	v_mul_f64 v[54:55], v[3:4], v[55:56]
	s_waitcnt vmcnt(56)
	v_fma_f64 v[39:40], v[5:6], v[41:42], -v[39:40]
	ds_read_b128 v[9:12], v87 offset:1344
	v_fma_f64 v[35:36], v[7:8], v[41:42], v[35:36]
	v_add_f64 v[13:14], v[13:14], v[47:48]
	v_add_f64 v[15:16], v[15:16], v[31:32]
	s_clause 0x2
	buffer_load_dword v52, off, s[0:3], 0 offset:716
	buffer_load_dword v32, off, s[0:3], 0 offset:692
	;; [unrolled: 1-line block ×3, first 2 shown]
	ds_read_b128 v[5:8], v87 offset:1360
	s_waitcnt vmcnt(58) lgkmcnt(1)
	v_mul_f64 v[47:48], v[11:12], v[83:84]
	s_waitcnt vmcnt(56)
	v_fma_f64 v[55:56], v[1:2], v[85:86], -v[54:55]
	v_mul_f64 v[41:42], v[9:10], v[83:84]
	v_add_f64 v[13:14], v[13:14], v[39:40]
	v_fma_f64 v[39:40], v[3:4], v[85:86], v[119:120]
	v_add_f64 v[15:16], v[15:16], v[35:36]
	s_clause 0x4
	buffer_load_dword v36, off, s[0:3], 0 offset:732
	buffer_load_dword v83, off, s[0:3], 0 offset:744
	;; [unrolled: 1-line block ×5, first 2 shown]
	s_waitcnt vmcnt(57) lgkmcnt(0)
	v_mul_f64 v[119:120], v[5:6], v[104:105]
	v_mul_f64 v[104:105], v[7:8], v[104:105]
	s_waitcnt vmcnt(56)
	v_fma_f64 v[47:48], v[9:10], v[49:50], -v[47:48]
	ds_read_b128 v[1:4], v87 offset:1376
	v_fma_f64 v[41:42], v[11:12], v[49:50], v[41:42]
	v_add_f64 v[13:14], v[13:14], v[55:56]
	v_add_f64 v[15:16], v[15:16], v[39:40]
	s_clause 0x2
	buffer_load_dword v84, off, s[0:3], 0 offset:748
	buffer_load_dword v40, off, s[0:3], 0 offset:724
	;; [unrolled: 1-line block ×3, first 2 shown]
	ds_read_b128 v[9:12], v87 offset:1392
	s_waitcnt vmcnt(58) lgkmcnt(1)
	v_mul_f64 v[55:56], v[3:4], v[106:107]
	s_waitcnt vmcnt(56)
	v_fma_f64 v[104:105], v[5:6], v[111:112], -v[104:105]
	v_mul_f64 v[49:50], v[1:2], v[106:107]
	v_add_f64 v[13:14], v[13:14], v[47:48]
	v_fma_f64 v[47:48], v[7:8], v[111:112], v[119:120]
	v_add_f64 v[15:16], v[15:16], v[41:42]
	s_clause 0x4
	buffer_load_dword v42, off, s[0:3], 0 offset:764
	buffer_load_dword v106, off, s[0:3], 0 offset:776
	;; [unrolled: 1-line block ×5, first 2 shown]
	ds_read_b128 v[5:8], v87 offset:1408
	s_waitcnt vmcnt(57) lgkmcnt(1)
	v_mul_f64 v[111:112], v[9:10], v[98:99]
	v_mul_f64 v[98:99], v[11:12], v[98:99]
	s_waitcnt vmcnt(56)
	v_fma_f64 v[55:56], v[1:2], v[108:109], -v[55:56]
	v_fma_f64 v[49:50], v[3:4], v[108:109], v[49:50]
	v_add_f64 v[13:14], v[13:14], v[104:105]
	v_add_f64 v[15:16], v[15:16], v[47:48]
	s_clause 0x2
	buffer_load_dword v107, off, s[0:3], 0 offset:780
	buffer_load_dword v48, off, s[0:3], 0 offset:756
	;; [unrolled: 1-line block ×3, first 2 shown]
	ds_read_b128 v[1:4], v87 offset:1424
	s_waitcnt vmcnt(58) lgkmcnt(1)
	v_mul_f64 v[108:109], v[7:8], v[115:116]
	v_mul_f64 v[104:105], v[5:6], v[115:116]
	s_waitcnt vmcnt(56)
	v_fma_f64 v[98:99], v[9:10], v[92:93], -v[98:99]
	v_add_f64 v[13:14], v[13:14], v[55:56]
	v_fma_f64 v[55:56], v[11:12], v[92:93], v[111:112]
	v_add_f64 v[15:16], v[15:16], v[49:50]
	s_clause 0x4
	buffer_load_dword v50, off, s[0:3], 0 offset:796
	buffer_load_dword v92, off, s[0:3], 0 offset:808
	buffer_load_dword v115, off, s[0:3], 0 offset:800
	buffer_load_dword v49, off, s[0:3], 0 offset:792
	buffer_load_dword v111, off, s[0:3], 0 offset:772
	ds_read_b128 v[9:12], v87 offset:1440
	s_waitcnt vmcnt(57) lgkmcnt(1)
	v_mul_f64 v[119:120], v[1:2], v[25:26]
	v_mul_f64 v[25:26], v[3:4], v[25:26]
	s_waitcnt vmcnt(56)
	v_fma_f64 v[108:109], v[5:6], v[117:118], -v[108:109]
	v_add_f64 v[13:14], v[13:14], v[98:99]
	v_fma_f64 v[98:99], v[7:8], v[117:118], v[104:105]
	v_add_f64 v[15:16], v[15:16], v[55:56]
	s_clause 0x2
	buffer_load_dword v93, off, s[0:3], 0 offset:812
	buffer_load_dword v56, off, s[0:3], 0 offset:788
	buffer_load_dword v55, off, s[0:3], 0 offset:784
	ds_read_b128 v[5:8], v87 offset:1456
	s_waitcnt vmcnt(58) lgkmcnt(1)
	v_mul_f64 v[104:105], v[9:10], v[100:101]
	v_mul_f64 v[100:101], v[11:12], v[100:101]
	s_waitcnt vmcnt(56)
	v_fma_f64 v[25:26], v[1:2], v[19:20], -v[25:26]
	v_fma_f64 v[19:20], v[3:4], v[19:20], v[119:120]
	v_add_f64 v[13:14], v[13:14], v[108:109]
	v_add_f64 v[15:16], v[15:16], v[98:99]
	s_clause 0x4
	buffer_load_dword v99, off, s[0:3], 0 offset:828
	buffer_load_dword v108, off, s[0:3], 0 offset:840
	buffer_load_dword v112, off, s[0:3], 0 offset:832
	buffer_load_dword v98, off, s[0:3], 0 offset:824
	buffer_load_dword v116, off, s[0:3], 0 offset:804
	ds_read_b128 v[1:4], v87 offset:1472
	s_waitcnt vmcnt(57) lgkmcnt(1)
	v_mul_f64 v[117:118], v[5:6], v[88:89]
	v_mul_f64 v[88:89], v[7:8], v[88:89]
	s_waitcnt vmcnt(56)
	v_fma_f64 v[100:101], v[9:10], v[113:114], -v[100:101]
	v_add_f64 v[13:14], v[13:14], v[25:26]
	v_fma_f64 v[25:26], v[11:12], v[113:114], v[104:105]
	v_add_f64 v[15:16], v[15:16], v[19:20]
	s_clause 0x2
	buffer_load_dword v109, off, s[0:3], 0 offset:844
	buffer_load_dword v20, off, s[0:3], 0 offset:820
	buffer_load_dword v19, off, s[0:3], 0 offset:816
	ds_read_b128 v[9:12], v87 offset:1488
	s_waitcnt vmcnt(58) lgkmcnt(1)
	v_mul_f64 v[104:105], v[1:2], v[90:91]
	v_mul_f64 v[90:91], v[3:4], v[90:91]
	s_waitcnt vmcnt(56)
	v_fma_f64 v[88:89], v[5:6], v[21:22], -v[88:89]
	v_fma_f64 v[21:22], v[7:8], v[21:22], v[117:118]
	v_add_f64 v[13:14], v[13:14], v[100:101]
	;; [unrolled: 28-line block ×3, first 2 shown]
	v_add_f64 v[15:16], v[15:16], v[88:89]
	s_clause 0x2
	buffer_load_dword v89, off, s[0:3], 0 offset:892
	buffer_load_dword v88, off, s[0:3], 0 offset:888
	;; [unrolled: 1-line block ×3, first 2 shown]
	ds_read_b128 v[9:12], v87 offset:1536
	s_waitcnt vmcnt(55) lgkmcnt(1)
	v_mul_f64 v[90:91], v[1:2], v[23:24]
	v_mul_f64 v[23:24], v[3:4], v[23:24]
	s_waitcnt vmcnt(54)
	v_fma_f64 v[37:38], v[5:6], v[96:97], -v[37:38]
	v_add_f64 v[13:14], v[13:14], v[17:18]
	v_fma_f64 v[17:18], v[7:8], v[96:97], v[102:103]
	v_add_f64 v[15:16], v[15:16], v[27:28]
	s_clause 0x1
	buffer_load_dword v28, off, s[0:3], 0 offset:884
	buffer_load_dword v27, off, s[0:3], 0 offset:880
	s_waitcnt vmcnt(55) lgkmcnt(0)
	v_mul_f64 v[96:97], v[9:10], v[43:44]
	v_mul_f64 v[43:44], v[11:12], v[43:44]
	ds_read_b128 v[5:8], v87 offset:1552
	s_waitcnt vmcnt(53)
	v_fma_f64 v[23:24], v[1:2], v[33:34], -v[23:24]
	v_fma_f64 v[33:34], v[3:4], v[33:34], v[90:91]
	ds_read_b128 v[1:4], v87 offset:1568
	v_add_f64 v[13:14], v[13:14], v[37:38]
	v_add_f64 v[15:16], v[15:16], v[17:18]
	s_waitcnt vmcnt(49) lgkmcnt(1)
	v_mul_f64 v[17:18], v[5:6], v[29:30]
	v_mul_f64 v[29:30], v[7:8], v[29:30]
	s_waitcnt vmcnt(48)
	v_fma_f64 v[37:38], v[9:10], v[45:46], -v[43:44]
	v_add_f64 v[13:14], v[13:14], v[23:24]
	v_fma_f64 v[23:24], v[11:12], v[45:46], v[96:97]
	v_add_f64 v[15:16], v[15:16], v[33:34]
	s_clause 0x3
	buffer_load_dword v33, off, s[0:3], 0 offset:240
	buffer_load_dword v34, off, s[0:3], 0 offset:244
	;; [unrolled: 1-line block ×4, first 2 shown]
	ds_read_b128 v[9:12], v87 offset:1584
	s_waitcnt vmcnt(51) lgkmcnt(1)
	v_mul_f64 v[45:46], v[1:2], v[51:52]
	v_mul_f64 v[51:52], v[3:4], v[51:52]
	s_waitcnt vmcnt(49)
	v_fma_f64 v[29:30], v[5:6], v[31:32], -v[29:30]
	v_fma_f64 v[17:18], v[7:8], v[31:32], v[17:18]
	ds_read_b128 v[5:8], v87 offset:1600
	v_add_f64 v[13:14], v[13:14], v[37:38]
	v_add_f64 v[15:16], v[15:16], v[23:24]
	s_waitcnt vmcnt(45) lgkmcnt(1)
	v_mul_f64 v[23:24], v[9:10], v[35:36]
	v_mul_f64 v[31:32], v[11:12], v[35:36]
	s_waitcnt vmcnt(44)
	v_fma_f64 v[35:36], v[1:2], v[53:54], -v[51:52]
	v_add_f64 v[13:14], v[13:14], v[29:30]
	v_fma_f64 v[29:30], v[3:4], v[53:54], v[45:46]
	v_add_f64 v[15:16], v[15:16], v[17:18]
	ds_read_b128 v[1:4], v87 offset:1616
	s_waitcnt vmcnt(43) lgkmcnt(1)
	v_mul_f64 v[37:38], v[7:8], v[83:84]
	v_mul_f64 v[17:18], v[5:6], v[83:84]
	s_waitcnt vmcnt(41)
	v_fma_f64 v[31:32], v[9:10], v[39:40], -v[31:32]
	v_fma_f64 v[23:24], v[11:12], v[39:40], v[23:24]
	ds_read_b128 v[9:12], v87 offset:1632
	v_add_f64 v[13:14], v[13:14], v[35:36]
	v_add_f64 v[15:16], v[15:16], v[29:30]
	s_waitcnt vmcnt(37) lgkmcnt(1)
	v_mul_f64 v[35:36], v[3:4], v[41:42]
	s_waitcnt vmcnt(36)
	v_fma_f64 v[37:38], v[5:6], v[85:86], -v[37:38]
	v_mul_f64 v[29:30], v[1:2], v[41:42]
	v_fma_f64 v[17:18], v[7:8], v[85:86], v[17:18]
	ds_read_b128 v[5:8], v87 offset:1648
	v_add_f64 v[13:14], v[13:14], v[31:32]
	v_add_f64 v[15:16], v[15:16], v[23:24]
	s_waitcnt vmcnt(35) lgkmcnt(1)
	v_mul_f64 v[31:32], v[11:12], v[106:107]
	v_mul_f64 v[23:24], v[9:10], v[106:107]
	s_waitcnt vmcnt(33)
	v_fma_f64 v[35:36], v[1:2], v[47:48], -v[35:36]
	v_fma_f64 v[29:30], v[3:4], v[47:48], v[29:30]
	ds_read_b128 v[1:4], v87 offset:1664
	v_add_f64 v[13:14], v[13:14], v[37:38]
	v_add_f64 v[15:16], v[15:16], v[17:18]
	s_waitcnt vmcnt(29) lgkmcnt(1)
	v_mul_f64 v[37:38], v[7:8], v[49:50]
	s_waitcnt vmcnt(28)
	v_fma_f64 v[31:32], v[9:10], v[110:111], -v[31:32]
	v_mul_f64 v[17:18], v[5:6], v[49:50]
	v_fma_f64 v[23:24], v[11:12], v[110:111], v[23:24]
	ds_read_b128 v[9:12], v87 offset:1680
	v_add_f64 v[13:14], v[13:14], v[35:36]
	v_add_f64 v[15:16], v[15:16], v[29:30]
	;; [unrolled: 18-line block ×3, first 2 shown]
	s_waitcnt vmcnt(19) lgkmcnt(1)
	v_mul_f64 v[37:38], v[7:8], v[108:109]
	v_mul_f64 v[17:18], v[5:6], v[108:109]
	s_waitcnt vmcnt(17)
	v_fma_f64 v[31:32], v[9:10], v[19:20], -v[31:32]
	v_fma_f64 v[19:20], v[11:12], v[19:20], v[23:24]
	ds_read_b128 v[9:12], v87 offset:1728
	v_add_f64 v[13:14], v[13:14], v[35:36]
	v_add_f64 v[15:16], v[15:16], v[29:30]
	s_waitcnt vmcnt(13) lgkmcnt(1)
	v_mul_f64 v[23:24], v[1:2], v[25:26]
	v_mul_f64 v[25:26], v[3:4], v[25:26]
	s_waitcnt vmcnt(12)
	v_fma_f64 v[29:30], v[5:6], v[112:113], -v[37:38]
	v_fma_f64 v[17:18], v[7:8], v[112:113], v[17:18]
	ds_read_b128 v[5:8], v87 offset:1744
	v_add_f64 v[13:14], v[13:14], v[31:32]
	v_add_f64 v[15:16], v[15:16], v[19:20]
	s_waitcnt vmcnt(11) lgkmcnt(1)
	v_mul_f64 v[31:32], v[11:12], v[100:101]
	v_mul_f64 v[19:20], v[9:10], v[100:101]
	s_waitcnt vmcnt(9)
	v_fma_f64 v[1:2], v[1:2], v[21:22], -v[25:26]
	v_fma_f64 v[3:4], v[3:4], v[21:22], v[23:24]
	v_add_f64 v[13:14], v[13:14], v[29:30]
	v_add_f64 v[15:16], v[15:16], v[17:18]
	s_waitcnt vmcnt(7) lgkmcnt(0)
	v_mul_f64 v[21:22], v[7:8], v[88:89]
	s_waitcnt vmcnt(6)
	v_fma_f64 v[9:10], v[9:10], v[117:118], -v[31:32]
	v_mul_f64 v[17:18], v[5:6], v[88:89]
	v_fma_f64 v[11:12], v[11:12], v[117:118], v[19:20]
	v_add_f64 v[1:2], v[13:14], v[1:2]
	v_add_f64 v[3:4], v[15:16], v[3:4]
	s_waitcnt vmcnt(4)
	v_fma_f64 v[5:6], v[5:6], v[27:28], -v[21:22]
	v_fma_f64 v[7:8], v[7:8], v[27:28], v[17:18]
	v_add_f64 v[1:2], v[1:2], v[9:10]
	v_add_f64 v[3:4], v[3:4], v[11:12]
	;; [unrolled: 1-line block ×4, first 2 shown]
	s_waitcnt vmcnt(2)
	v_add_f64 v[1:2], v[33:34], -v[1:2]
	s_waitcnt vmcnt(0)
	v_add_f64 v[3:4], v[43:44], -v[3:4]
	buffer_store_dword v2, off, s[0:3], 0 offset:244
	buffer_store_dword v1, off, s[0:3], 0 offset:240
	;; [unrolled: 1-line block ×4, first 2 shown]
	v_cmpx_lt_u32_e32 13, v0
	s_cbranch_execz .LBB54_317
; %bb.316:
	v_mov_b32_e32 v4, s54
	v_mov_b32_e32 v5, 0
	s_clause 0x3
	buffer_load_dword v1, v4, s[0:3], 0 offen
	buffer_load_dword v2, v4, s[0:3], 0 offen offset:4
	buffer_load_dword v3, v4, s[0:3], 0 offen offset:8
	;; [unrolled: 1-line block ×3, first 2 shown]
	buffer_store_dword v5, off, s[0:3], 0 offset:224
	buffer_store_dword v5, off, s[0:3], 0 offset:228
	buffer_store_dword v5, off, s[0:3], 0 offset:232
	buffer_store_dword v5, off, s[0:3], 0 offset:236
	s_waitcnt vmcnt(0)
	ds_write_b128 v95, v[1:4]
.LBB54_317:
	s_or_b32 exec_lo, exec_lo, s4
	s_waitcnt lgkmcnt(0)
	s_waitcnt_vscnt null, 0x0
	s_barrier
	buffer_gl0_inv
	s_clause 0x37
	buffer_load_dword v9, off, s[0:3], 0 offset:248
	buffer_load_dword v10, off, s[0:3], 0 offset:252
	;; [unrolled: 1-line block ×56, first 2 shown]
	v_mov_b32_e32 v87, 0
	s_mov_b32 s4, exec_lo
	ds_read_b128 v[88:91], v87 offset:1104
	s_clause 0x2
	buffer_load_dword v84, off, s[0:3], 0 offset:476
	buffer_load_dword v86, off, s[0:3], 0 offset:452
	;; [unrolled: 1-line block ×3, first 2 shown]
	ds_read_b128 v[96:99], v87 offset:1120
	s_clause 0x4
	buffer_load_dword v105, off, s[0:3], 0 offset:492
	buffer_load_dword v106, off, s[0:3], 0 offset:504
	;; [unrolled: 1-line block ×5, first 2 shown]
	ds_read_b128 v[100:103], v87 offset:1136
	s_clause 0x2
	buffer_load_dword v107, off, s[0:3], 0 offset:508
	buffer_load_dword v112, off, s[0:3], 0 offset:484
	;; [unrolled: 1-line block ×3, first 2 shown]
	s_waitcnt vmcnt(62) lgkmcnt(2)
	v_mul_f64 v[92:93], v[90:91], v[9:10]
	v_mul_f64 v[9:10], v[88:89], v[9:10]
	s_waitcnt lgkmcnt(1)
	v_mul_f64 v[109:110], v[98:99], v[5:6]
	s_waitcnt vmcnt(59) lgkmcnt(0)
	v_mul_f64 v[113:114], v[102:103], v[3:4]
	v_fma_f64 v[88:89], v[88:89], v[7:8], -v[92:93]
	v_mul_f64 v[92:93], v[96:97], v[5:6]
	v_fma_f64 v[9:10], v[90:91], v[7:8], v[9:10]
	s_waitcnt vmcnt(57)
	v_fma_f64 v[96:97], v[96:97], v[1:2], -v[109:110]
	ds_read_b128 v[5:8], v87 offset:1152
	v_mul_f64 v[90:91], v[100:101], v[3:4]
	s_waitcnt vmcnt(51)
	v_fma_f64 v[100:101], v[100:101], v[25:26], -v[113:114]
	v_add_f64 v[88:89], v[88:89], 0
	v_fma_f64 v[92:93], v[98:99], v[1:2], v[92:93]
	v_add_f64 v[9:10], v[9:10], 0
	s_clause 0x4
	buffer_load_dword v99, off, s[0:3], 0 offset:524
	buffer_load_dword v115, off, s[0:3], 0 offset:536
	;; [unrolled: 1-line block ×5, first 2 shown]
	s_waitcnt lgkmcnt(0)
	v_mul_f64 v[118:119], v[5:6], v[13:14]
	v_mul_f64 v[13:14], v[7:8], v[13:14]
	ds_read_b128 v[1:4], v87 offset:1168
	v_fma_f64 v[25:26], v[102:103], v[25:26], v[90:91]
	v_add_f64 v[96:97], v[88:89], v[96:97]
	v_add_f64 v[9:10], v[9:10], v[92:93]
	s_clause 0x2
	buffer_load_dword v116, off, s[0:3], 0 offset:540
	buffer_load_dword v93, off, s[0:3], 0 offset:516
	;; [unrolled: 1-line block ×3, first 2 shown]
	s_waitcnt vmcnt(58) lgkmcnt(0)
	v_mul_f64 v[102:103], v[1:2], v[17:18]
	v_mul_f64 v[17:18], v[3:4], v[17:18]
	s_waitcnt vmcnt(56)
	v_fma_f64 v[13:14], v[5:6], v[19:20], -v[13:14]
	ds_read_b128 v[88:91], v87 offset:1184
	v_fma_f64 v[19:20], v[7:8], v[19:20], v[118:119]
	v_add_f64 v[96:97], v[96:97], v[100:101]
	v_add_f64 v[9:10], v[9:10], v[25:26]
	s_clause 0x4
	buffer_load_dword v26, off, s[0:3], 0 offset:556
	buffer_load_dword v100, off, s[0:3], 0 offset:568
	;; [unrolled: 1-line block ×5, first 2 shown]
	ds_read_b128 v[5:8], v87 offset:1200
	s_waitcnt vmcnt(57) lgkmcnt(1)
	v_mul_f64 v[119:120], v[88:89], v[21:22]
	v_mul_f64 v[21:22], v[90:91], v[21:22]
	s_waitcnt vmcnt(56)
	v_fma_f64 v[17:18], v[1:2], v[11:12], -v[17:18]
	v_fma_f64 v[11:12], v[3:4], v[11:12], v[102:103]
	v_add_f64 v[13:14], v[96:97], v[13:14]
	v_add_f64 v[9:10], v[9:10], v[19:20]
	s_clause 0x2
	buffer_load_dword v101, off, s[0:3], 0 offset:572
	buffer_load_dword v20, off, s[0:3], 0 offset:548
	buffer_load_dword v19, off, s[0:3], 0 offset:544
	s_waitcnt vmcnt(58) lgkmcnt(0)
	v_mul_f64 v[96:97], v[5:6], v[27:28]
	v_mul_f64 v[27:28], v[7:8], v[27:28]
	s_waitcnt vmcnt(56)
	v_fma_f64 v[21:22], v[88:89], v[29:30], -v[21:22]
	ds_read_b128 v[1:4], v87 offset:1216
	v_add_f64 v[13:14], v[13:14], v[17:18]
	v_fma_f64 v[17:18], v[90:91], v[29:30], v[119:120]
	v_add_f64 v[29:30], v[9:10], v[11:12]
	s_clause 0x4
	buffer_load_dword v89, off, s[0:3], 0 offset:588
	buffer_load_dword v90, off, s[0:3], 0 offset:600
	buffer_load_dword v102, off, s[0:3], 0 offset:592
	buffer_load_dword v88, off, s[0:3], 0 offset:584
	buffer_load_dword v114, off, s[0:3], 0 offset:564
	ds_read_b128 v[9:12], v87 offset:1232
	s_waitcnt vmcnt(57) lgkmcnt(1)
	v_mul_f64 v[119:120], v[1:2], v[31:32]
	v_mul_f64 v[31:32], v[3:4], v[31:32]
	s_waitcnt vmcnt(56)
	v_fma_f64 v[27:28], v[5:6], v[15:16], -v[27:28]
	v_fma_f64 v[15:16], v[7:8], v[15:16], v[96:97]
	v_add_f64 v[13:14], v[13:14], v[21:22]
	s_clause 0x2
	buffer_load_dword v91, off, s[0:3], 0 offset:604
	buffer_load_dword v22, off, s[0:3], 0 offset:580
	;; [unrolled: 1-line block ×3, first 2 shown]
	v_add_f64 v[17:18], v[29:30], v[17:18]
	s_waitcnt vmcnt(58) lgkmcnt(0)
	v_mul_f64 v[29:30], v[9:10], v[35:36]
	v_mul_f64 v[35:36], v[11:12], v[35:36]
	ds_read_b128 v[5:8], v87 offset:1248
	s_waitcnt vmcnt(56)
	v_fma_f64 v[31:32], v[1:2], v[37:38], -v[31:32]
	v_add_f64 v[13:14], v[13:14], v[27:28]
	v_fma_f64 v[27:28], v[3:4], v[37:38], v[119:120]
	v_add_f64 v[15:16], v[17:18], v[15:16]
	s_clause 0x4
	buffer_load_dword v18, off, s[0:3], 0 offset:620
	buffer_load_dword v37, off, s[0:3], 0 offset:632
	;; [unrolled: 1-line block ×5, first 2 shown]
	s_waitcnt vmcnt(57) lgkmcnt(0)
	v_mul_f64 v[119:120], v[5:6], v[39:40]
	v_mul_f64 v[39:40], v[7:8], v[39:40]
	s_waitcnt vmcnt(56)
	v_fma_f64 v[35:36], v[9:10], v[23:24], -v[35:36]
	ds_read_b128 v[1:4], v87 offset:1264
	v_fma_f64 v[23:24], v[11:12], v[23:24], v[29:30]
	v_add_f64 v[13:14], v[13:14], v[31:32]
	v_add_f64 v[15:16], v[15:16], v[27:28]
	s_clause 0x2
	buffer_load_dword v38, off, s[0:3], 0 offset:636
	buffer_load_dword v28, off, s[0:3], 0 offset:612
	;; [unrolled: 1-line block ×3, first 2 shown]
	ds_read_b128 v[9:12], v87 offset:1280
	s_waitcnt vmcnt(58) lgkmcnt(1)
	v_mul_f64 v[31:32], v[3:4], v[43:44]
	s_waitcnt vmcnt(56)
	v_fma_f64 v[39:40], v[5:6], v[45:46], -v[39:40]
	v_mul_f64 v[29:30], v[1:2], v[43:44]
	v_add_f64 v[13:14], v[13:14], v[35:36]
	v_fma_f64 v[35:36], v[7:8], v[45:46], v[119:120]
	v_add_f64 v[15:16], v[15:16], v[23:24]
	s_clause 0x4
	buffer_load_dword v24, off, s[0:3], 0 offset:652
	buffer_load_dword v43, off, s[0:3], 0 offset:664
	;; [unrolled: 1-line block ×5, first 2 shown]
	s_waitcnt vmcnt(57) lgkmcnt(0)
	v_mul_f64 v[119:120], v[9:10], v[47:48]
	v_mul_f64 v[46:47], v[11:12], v[47:48]
	s_waitcnt vmcnt(56)
	v_fma_f64 v[31:32], v[1:2], v[33:34], -v[31:32]
	ds_read_b128 v[5:8], v87 offset:1296
	v_fma_f64 v[29:30], v[3:4], v[33:34], v[29:30]
	s_clause 0x2
	buffer_load_dword v44, off, s[0:3], 0 offset:668
	buffer_load_dword v34, off, s[0:3], 0 offset:644
	;; [unrolled: 1-line block ×3, first 2 shown]
	ds_read_b128 v[1:4], v87 offset:1312
	v_add_f64 v[13:14], v[13:14], v[39:40]
	v_add_f64 v[15:16], v[15:16], v[35:36]
	s_waitcnt vmcnt(58) lgkmcnt(1)
	v_mul_f64 v[39:40], v[7:8], v[51:52]
	s_waitcnt vmcnt(56)
	v_fma_f64 v[47:48], v[9:10], v[53:54], -v[46:47]
	v_mul_f64 v[35:36], v[5:6], v[51:52]
	v_add_f64 v[13:14], v[13:14], v[31:32]
	v_fma_f64 v[31:32], v[11:12], v[53:54], v[119:120]
	v_add_f64 v[15:16], v[15:16], v[29:30]
	s_clause 0x4
	buffer_load_dword v30, off, s[0:3], 0 offset:684
	buffer_load_dword v51, off, s[0:3], 0 offset:696
	;; [unrolled: 1-line block ×5, first 2 shown]
	s_waitcnt vmcnt(57) lgkmcnt(0)
	v_mul_f64 v[119:120], v[1:2], v[55:56]
	v_mul_f64 v[54:55], v[3:4], v[55:56]
	s_waitcnt vmcnt(56)
	v_fma_f64 v[39:40], v[5:6], v[41:42], -v[39:40]
	ds_read_b128 v[9:12], v87 offset:1328
	v_fma_f64 v[35:36], v[7:8], v[41:42], v[35:36]
	v_add_f64 v[13:14], v[13:14], v[47:48]
	v_add_f64 v[15:16], v[15:16], v[31:32]
	s_clause 0x2
	buffer_load_dword v52, off, s[0:3], 0 offset:700
	buffer_load_dword v32, off, s[0:3], 0 offset:676
	;; [unrolled: 1-line block ×3, first 2 shown]
	ds_read_b128 v[5:8], v87 offset:1344
	s_waitcnt vmcnt(58) lgkmcnt(1)
	v_mul_f64 v[47:48], v[11:12], v[83:84]
	s_waitcnt vmcnt(56)
	v_fma_f64 v[55:56], v[1:2], v[85:86], -v[54:55]
	v_mul_f64 v[41:42], v[9:10], v[83:84]
	v_add_f64 v[13:14], v[13:14], v[39:40]
	v_fma_f64 v[39:40], v[3:4], v[85:86], v[119:120]
	v_add_f64 v[15:16], v[15:16], v[35:36]
	s_clause 0x4
	buffer_load_dword v36, off, s[0:3], 0 offset:716
	buffer_load_dword v83, off, s[0:3], 0 offset:728
	;; [unrolled: 1-line block ×5, first 2 shown]
	s_waitcnt vmcnt(57) lgkmcnt(0)
	v_mul_f64 v[119:120], v[5:6], v[104:105]
	v_mul_f64 v[104:105], v[7:8], v[104:105]
	s_waitcnt vmcnt(56)
	v_fma_f64 v[47:48], v[9:10], v[49:50], -v[47:48]
	ds_read_b128 v[1:4], v87 offset:1360
	v_fma_f64 v[41:42], v[11:12], v[49:50], v[41:42]
	v_add_f64 v[13:14], v[13:14], v[55:56]
	v_add_f64 v[15:16], v[15:16], v[39:40]
	s_clause 0x2
	buffer_load_dword v84, off, s[0:3], 0 offset:732
	buffer_load_dword v40, off, s[0:3], 0 offset:708
	;; [unrolled: 1-line block ×3, first 2 shown]
	ds_read_b128 v[9:12], v87 offset:1376
	s_waitcnt vmcnt(58) lgkmcnt(1)
	v_mul_f64 v[55:56], v[3:4], v[106:107]
	s_waitcnt vmcnt(56)
	v_fma_f64 v[104:105], v[5:6], v[111:112], -v[104:105]
	v_mul_f64 v[49:50], v[1:2], v[106:107]
	v_add_f64 v[13:14], v[13:14], v[47:48]
	v_fma_f64 v[47:48], v[7:8], v[111:112], v[119:120]
	v_add_f64 v[15:16], v[15:16], v[41:42]
	s_clause 0x4
	buffer_load_dword v42, off, s[0:3], 0 offset:748
	buffer_load_dword v106, off, s[0:3], 0 offset:760
	;; [unrolled: 1-line block ×5, first 2 shown]
	ds_read_b128 v[5:8], v87 offset:1392
	s_waitcnt vmcnt(57) lgkmcnt(1)
	v_mul_f64 v[111:112], v[9:10], v[98:99]
	v_mul_f64 v[98:99], v[11:12], v[98:99]
	s_waitcnt vmcnt(56)
	v_fma_f64 v[55:56], v[1:2], v[108:109], -v[55:56]
	v_fma_f64 v[49:50], v[3:4], v[108:109], v[49:50]
	v_add_f64 v[13:14], v[13:14], v[104:105]
	v_add_f64 v[15:16], v[15:16], v[47:48]
	s_clause 0x2
	buffer_load_dword v107, off, s[0:3], 0 offset:764
	buffer_load_dword v48, off, s[0:3], 0 offset:740
	;; [unrolled: 1-line block ×3, first 2 shown]
	ds_read_b128 v[1:4], v87 offset:1408
	s_waitcnt vmcnt(58) lgkmcnt(1)
	v_mul_f64 v[108:109], v[7:8], v[115:116]
	v_mul_f64 v[104:105], v[5:6], v[115:116]
	s_waitcnt vmcnt(56)
	v_fma_f64 v[98:99], v[9:10], v[92:93], -v[98:99]
	v_add_f64 v[13:14], v[13:14], v[55:56]
	v_fma_f64 v[55:56], v[11:12], v[92:93], v[111:112]
	v_add_f64 v[15:16], v[15:16], v[49:50]
	s_clause 0x4
	buffer_load_dword v50, off, s[0:3], 0 offset:780
	buffer_load_dword v92, off, s[0:3], 0 offset:792
	buffer_load_dword v115, off, s[0:3], 0 offset:784
	buffer_load_dword v49, off, s[0:3], 0 offset:776
	buffer_load_dword v111, off, s[0:3], 0 offset:756
	ds_read_b128 v[9:12], v87 offset:1424
	s_waitcnt vmcnt(57) lgkmcnt(1)
	v_mul_f64 v[119:120], v[1:2], v[25:26]
	v_mul_f64 v[25:26], v[3:4], v[25:26]
	s_waitcnt vmcnt(56)
	v_fma_f64 v[108:109], v[5:6], v[117:118], -v[108:109]
	v_add_f64 v[13:14], v[13:14], v[98:99]
	v_fma_f64 v[98:99], v[7:8], v[117:118], v[104:105]
	v_add_f64 v[15:16], v[15:16], v[55:56]
	s_clause 0x2
	buffer_load_dword v93, off, s[0:3], 0 offset:796
	buffer_load_dword v56, off, s[0:3], 0 offset:772
	buffer_load_dword v55, off, s[0:3], 0 offset:768
	ds_read_b128 v[5:8], v87 offset:1440
	s_waitcnt vmcnt(58) lgkmcnt(1)
	v_mul_f64 v[104:105], v[9:10], v[100:101]
	v_mul_f64 v[100:101], v[11:12], v[100:101]
	s_waitcnt vmcnt(56)
	v_fma_f64 v[25:26], v[1:2], v[19:20], -v[25:26]
	v_fma_f64 v[19:20], v[3:4], v[19:20], v[119:120]
	v_add_f64 v[13:14], v[13:14], v[108:109]
	v_add_f64 v[15:16], v[15:16], v[98:99]
	s_clause 0x4
	buffer_load_dword v99, off, s[0:3], 0 offset:812
	buffer_load_dword v108, off, s[0:3], 0 offset:824
	buffer_load_dword v112, off, s[0:3], 0 offset:816
	buffer_load_dword v98, off, s[0:3], 0 offset:808
	buffer_load_dword v116, off, s[0:3], 0 offset:788
	ds_read_b128 v[1:4], v87 offset:1456
	s_waitcnt vmcnt(57) lgkmcnt(1)
	v_mul_f64 v[117:118], v[5:6], v[88:89]
	v_mul_f64 v[88:89], v[7:8], v[88:89]
	s_waitcnt vmcnt(56)
	v_fma_f64 v[100:101], v[9:10], v[113:114], -v[100:101]
	v_add_f64 v[13:14], v[13:14], v[25:26]
	v_fma_f64 v[25:26], v[11:12], v[113:114], v[104:105]
	v_add_f64 v[15:16], v[15:16], v[19:20]
	s_clause 0x2
	buffer_load_dword v109, off, s[0:3], 0 offset:828
	buffer_load_dword v20, off, s[0:3], 0 offset:804
	buffer_load_dword v19, off, s[0:3], 0 offset:800
	ds_read_b128 v[9:12], v87 offset:1472
	s_waitcnt vmcnt(58) lgkmcnt(1)
	v_mul_f64 v[104:105], v[1:2], v[90:91]
	v_mul_f64 v[90:91], v[3:4], v[90:91]
	s_waitcnt vmcnt(56)
	v_fma_f64 v[88:89], v[5:6], v[21:22], -v[88:89]
	v_fma_f64 v[21:22], v[7:8], v[21:22], v[117:118]
	v_add_f64 v[13:14], v[13:14], v[100:101]
	;; [unrolled: 28-line block ×3, first 2 shown]
	v_add_f64 v[15:16], v[15:16], v[88:89]
	s_clause 0x4
	buffer_load_dword v89, off, s[0:3], 0 offset:876
	buffer_load_dword v90, off, s[0:3], 0 offset:888
	;; [unrolled: 1-line block ×5, first 2 shown]
	ds_read_b128 v[9:12], v87 offset:1520
	s_waitcnt vmcnt(57) lgkmcnt(1)
	v_mul_f64 v[119:120], v[1:2], v[23:24]
	v_mul_f64 v[23:24], v[3:4], v[23:24]
	s_waitcnt vmcnt(56)
	v_fma_f64 v[37:38], v[5:6], v[96:97], -v[37:38]
	v_add_f64 v[13:14], v[13:14], v[17:18]
	v_fma_f64 v[17:18], v[7:8], v[96:97], v[102:103]
	v_add_f64 v[15:16], v[15:16], v[27:28]
	s_clause 0x2
	buffer_load_dword v91, off, s[0:3], 0 offset:892
	buffer_load_dword v28, off, s[0:3], 0 offset:868
	;; [unrolled: 1-line block ×3, first 2 shown]
	s_waitcnt vmcnt(58) lgkmcnt(0)
	v_mul_f64 v[96:97], v[9:10], v[43:44]
	v_mul_f64 v[43:44], v[11:12], v[43:44]
	ds_read_b128 v[5:8], v87 offset:1536
	buffer_load_dword v105, off, s[0:3], 0 offset:884
	s_waitcnt vmcnt(57)
	v_fma_f64 v[23:24], v[1:2], v[33:34], -v[23:24]
	v_fma_f64 v[33:34], v[3:4], v[33:34], v[119:120]
	ds_read_b128 v[1:4], v87 offset:1552
	v_add_f64 v[13:14], v[13:14], v[37:38]
	v_add_f64 v[15:16], v[15:16], v[17:18]
	s_waitcnt vmcnt(53) lgkmcnt(1)
	v_mul_f64 v[17:18], v[5:6], v[29:30]
	v_mul_f64 v[29:30], v[7:8], v[29:30]
	s_waitcnt vmcnt(52)
	v_fma_f64 v[37:38], v[9:10], v[45:46], -v[43:44]
	v_add_f64 v[13:14], v[13:14], v[23:24]
	v_fma_f64 v[23:24], v[11:12], v[45:46], v[96:97]
	v_add_f64 v[15:16], v[15:16], v[33:34]
	ds_read_b128 v[9:12], v87 offset:1568
	s_waitcnt vmcnt(51) lgkmcnt(1)
	v_mul_f64 v[43:44], v[3:4], v[51:52]
	v_mul_f64 v[33:34], v[1:2], v[51:52]
	s_waitcnt vmcnt(49)
	v_fma_f64 v[29:30], v[5:6], v[31:32], -v[29:30]
	v_fma_f64 v[17:18], v[7:8], v[31:32], v[17:18]
	v_add_f64 v[13:14], v[13:14], v[37:38]
	v_add_f64 v[15:16], v[15:16], v[23:24]
	s_clause 0x3
	buffer_load_dword v23, off, s[0:3], 0 offset:224
	buffer_load_dword v24, off, s[0:3], 0 offset:228
	;; [unrolled: 1-line block ×4, first 2 shown]
	ds_read_b128 v[5:8], v87 offset:1584
	s_waitcnt vmcnt(49) lgkmcnt(1)
	v_mul_f64 v[37:38], v[9:10], v[35:36]
	v_mul_f64 v[35:36], v[11:12], v[35:36]
	s_waitcnt vmcnt(48)
	v_fma_f64 v[43:44], v[1:2], v[53:54], -v[43:44]
	v_add_f64 v[13:14], v[13:14], v[29:30]
	v_fma_f64 v[29:30], v[3:4], v[53:54], v[33:34]
	v_add_f64 v[15:16], v[15:16], v[17:18]
	ds_read_b128 v[1:4], v87 offset:1600
	s_waitcnt vmcnt(47) lgkmcnt(1)
	v_mul_f64 v[33:34], v[7:8], v[83:84]
	v_mul_f64 v[17:18], v[5:6], v[83:84]
	s_waitcnt vmcnt(45)
	v_fma_f64 v[35:36], v[9:10], v[39:40], -v[35:36]
	v_fma_f64 v[37:38], v[11:12], v[39:40], v[37:38]
	ds_read_b128 v[9:12], v87 offset:1616
	v_add_f64 v[13:14], v[13:14], v[43:44]
	v_add_f64 v[15:16], v[15:16], v[29:30]
	s_waitcnt vmcnt(41) lgkmcnt(1)
	v_mul_f64 v[39:40], v[3:4], v[41:42]
	s_waitcnt vmcnt(40)
	v_fma_f64 v[33:34], v[5:6], v[85:86], -v[33:34]
	v_mul_f64 v[29:30], v[1:2], v[41:42]
	v_fma_f64 v[17:18], v[7:8], v[85:86], v[17:18]
	ds_read_b128 v[5:8], v87 offset:1632
	v_add_f64 v[13:14], v[13:14], v[35:36]
	v_add_f64 v[15:16], v[15:16], v[37:38]
	s_waitcnt vmcnt(39) lgkmcnt(1)
	v_mul_f64 v[37:38], v[11:12], v[106:107]
	v_mul_f64 v[35:36], v[9:10], v[106:107]
	s_waitcnt vmcnt(37)
	v_fma_f64 v[39:40], v[1:2], v[47:48], -v[39:40]
	v_fma_f64 v[29:30], v[3:4], v[47:48], v[29:30]
	ds_read_b128 v[1:4], v87 offset:1648
	v_add_f64 v[13:14], v[13:14], v[33:34]
	v_add_f64 v[15:16], v[15:16], v[17:18]
	s_waitcnt vmcnt(33) lgkmcnt(1)
	v_mul_f64 v[33:34], v[7:8], v[49:50]
	s_waitcnt vmcnt(32)
	v_fma_f64 v[37:38], v[9:10], v[110:111], -v[37:38]
	v_mul_f64 v[17:18], v[5:6], v[49:50]
	v_fma_f64 v[35:36], v[11:12], v[110:111], v[35:36]
	ds_read_b128 v[9:12], v87 offset:1664
	v_add_f64 v[13:14], v[13:14], v[39:40]
	v_add_f64 v[15:16], v[15:16], v[29:30]
	;; [unrolled: 18-line block ×3, first 2 shown]
	s_waitcnt vmcnt(23) lgkmcnt(1)
	v_mul_f64 v[33:34], v[7:8], v[108:109]
	v_mul_f64 v[17:18], v[5:6], v[108:109]
	s_waitcnt vmcnt(21)
	v_fma_f64 v[37:38], v[9:10], v[19:20], -v[37:38]
	v_fma_f64 v[19:20], v[11:12], v[19:20], v[35:36]
	ds_read_b128 v[9:12], v87 offset:1712
	v_add_f64 v[13:14], v[13:14], v[39:40]
	v_add_f64 v[15:16], v[15:16], v[29:30]
	s_waitcnt vmcnt(17) lgkmcnt(1)
	v_mul_f64 v[29:30], v[1:2], v[25:26]
	v_mul_f64 v[25:26], v[3:4], v[25:26]
	s_waitcnt vmcnt(16)
	v_fma_f64 v[33:34], v[5:6], v[112:113], -v[33:34]
	v_fma_f64 v[17:18], v[7:8], v[112:113], v[17:18]
	ds_read_b128 v[5:8], v87 offset:1728
	v_add_f64 v[13:14], v[13:14], v[37:38]
	v_add_f64 v[15:16], v[15:16], v[19:20]
	;; [unrolled: 9-line block ×3, first 2 shown]
	s_waitcnt vmcnt(9) lgkmcnt(1)
	v_mul_f64 v[29:30], v[7:8], v[88:89]
	s_waitcnt vmcnt(8)
	v_fma_f64 v[9:10], v[9:10], v[117:118], -v[35:36]
	v_mul_f64 v[17:18], v[5:6], v[88:89]
	v_fma_f64 v[11:12], v[11:12], v[117:118], v[19:20]
	v_add_f64 v[13:14], v[13:14], v[25:26]
	v_add_f64 v[15:16], v[15:16], v[21:22]
	s_waitcnt vmcnt(7) lgkmcnt(0)
	v_mul_f64 v[21:22], v[3:4], v[90:91]
	v_mul_f64 v[19:20], v[1:2], v[90:91]
	s_waitcnt vmcnt(5)
	v_fma_f64 v[5:6], v[5:6], v[27:28], -v[29:30]
	v_fma_f64 v[7:8], v[7:8], v[27:28], v[17:18]
	v_add_f64 v[9:10], v[13:14], v[9:10]
	v_add_f64 v[11:12], v[15:16], v[11:12]
	s_waitcnt vmcnt(4)
	v_fma_f64 v[1:2], v[1:2], v[104:105], -v[21:22]
	v_fma_f64 v[3:4], v[3:4], v[104:105], v[19:20]
	v_add_f64 v[5:6], v[9:10], v[5:6]
	v_add_f64 v[7:8], v[11:12], v[7:8]
	;; [unrolled: 1-line block ×4, first 2 shown]
	s_waitcnt vmcnt(2)
	v_add_f64 v[1:2], v[23:24], -v[1:2]
	s_waitcnt vmcnt(0)
	v_add_f64 v[3:4], v[31:32], -v[3:4]
	buffer_store_dword v2, off, s[0:3], 0 offset:228
	buffer_store_dword v1, off, s[0:3], 0 offset:224
	buffer_store_dword v4, off, s[0:3], 0 offset:236
	buffer_store_dword v3, off, s[0:3], 0 offset:232
	v_cmpx_lt_u32_e32 12, v0
	s_cbranch_execz .LBB54_319
; %bb.318:
	v_mov_b32_e32 v4, s55
	s_clause 0x3
	buffer_load_dword v1, v4, s[0:3], 0 offen
	buffer_load_dword v2, v4, s[0:3], 0 offen offset:4
	buffer_load_dword v3, v4, s[0:3], 0 offen offset:8
	;; [unrolled: 1-line block ×3, first 2 shown]
	buffer_store_dword v87, off, s[0:3], 0 offset:208
	buffer_store_dword v87, off, s[0:3], 0 offset:212
	;; [unrolled: 1-line block ×4, first 2 shown]
	s_waitcnt vmcnt(0)
	ds_write_b128 v95, v[1:4]
.LBB54_319:
	s_or_b32 exec_lo, exec_lo, s4
	s_waitcnt lgkmcnt(0)
	s_waitcnt_vscnt null, 0x0
	s_barrier
	buffer_gl0_inv
	s_clause 0x37
	buffer_load_dword v9, off, s[0:3], 0 offset:232
	buffer_load_dword v10, off, s[0:3], 0 offset:236
	;; [unrolled: 1-line block ×56, first 2 shown]
	ds_read_b128 v[88:91], v87 offset:1088
	s_clause 0x2
	buffer_load_dword v84, off, s[0:3], 0 offset:460
	buffer_load_dword v86, off, s[0:3], 0 offset:436
	;; [unrolled: 1-line block ×3, first 2 shown]
	ds_read_b128 v[96:99], v87 offset:1104
	s_clause 0x4
	buffer_load_dword v105, off, s[0:3], 0 offset:476
	buffer_load_dword v106, off, s[0:3], 0 offset:488
	;; [unrolled: 1-line block ×5, first 2 shown]
	ds_read_b128 v[100:103], v87 offset:1120
	s_clause 0x2
	buffer_load_dword v107, off, s[0:3], 0 offset:492
	buffer_load_dword v112, off, s[0:3], 0 offset:468
	;; [unrolled: 1-line block ×3, first 2 shown]
	s_mov_b32 s4, exec_lo
	s_waitcnt vmcnt(62) lgkmcnt(2)
	v_mul_f64 v[92:93], v[90:91], v[9:10]
	v_mul_f64 v[9:10], v[88:89], v[9:10]
	s_waitcnt lgkmcnt(1)
	v_mul_f64 v[109:110], v[98:99], v[5:6]
	s_waitcnt vmcnt(59) lgkmcnt(0)
	v_mul_f64 v[113:114], v[102:103], v[3:4]
	v_fma_f64 v[88:89], v[88:89], v[7:8], -v[92:93]
	v_mul_f64 v[92:93], v[96:97], v[5:6]
	v_fma_f64 v[9:10], v[90:91], v[7:8], v[9:10]
	s_waitcnt vmcnt(57)
	v_fma_f64 v[96:97], v[96:97], v[1:2], -v[109:110]
	ds_read_b128 v[5:8], v87 offset:1136
	v_mul_f64 v[90:91], v[100:101], v[3:4]
	s_waitcnt vmcnt(51)
	v_fma_f64 v[100:101], v[100:101], v[25:26], -v[113:114]
	v_add_f64 v[88:89], v[88:89], 0
	v_fma_f64 v[92:93], v[98:99], v[1:2], v[92:93]
	v_add_f64 v[9:10], v[9:10], 0
	s_clause 0x4
	buffer_load_dword v99, off, s[0:3], 0 offset:508
	buffer_load_dword v115, off, s[0:3], 0 offset:520
	;; [unrolled: 1-line block ×5, first 2 shown]
	s_waitcnt lgkmcnt(0)
	v_mul_f64 v[118:119], v[5:6], v[13:14]
	v_mul_f64 v[13:14], v[7:8], v[13:14]
	ds_read_b128 v[1:4], v87 offset:1152
	v_fma_f64 v[25:26], v[102:103], v[25:26], v[90:91]
	v_add_f64 v[96:97], v[88:89], v[96:97]
	v_add_f64 v[9:10], v[9:10], v[92:93]
	s_clause 0x2
	buffer_load_dword v116, off, s[0:3], 0 offset:524
	buffer_load_dword v93, off, s[0:3], 0 offset:500
	;; [unrolled: 1-line block ×3, first 2 shown]
	s_waitcnt vmcnt(58) lgkmcnt(0)
	v_mul_f64 v[102:103], v[1:2], v[17:18]
	v_mul_f64 v[17:18], v[3:4], v[17:18]
	s_waitcnt vmcnt(56)
	v_fma_f64 v[13:14], v[5:6], v[19:20], -v[13:14]
	ds_read_b128 v[88:91], v87 offset:1168
	v_fma_f64 v[19:20], v[7:8], v[19:20], v[118:119]
	v_add_f64 v[96:97], v[96:97], v[100:101]
	v_add_f64 v[9:10], v[9:10], v[25:26]
	s_clause 0x4
	buffer_load_dword v26, off, s[0:3], 0 offset:540
	buffer_load_dword v100, off, s[0:3], 0 offset:552
	;; [unrolled: 1-line block ×5, first 2 shown]
	ds_read_b128 v[5:8], v87 offset:1184
	s_waitcnt vmcnt(57) lgkmcnt(1)
	v_mul_f64 v[119:120], v[88:89], v[21:22]
	v_mul_f64 v[21:22], v[90:91], v[21:22]
	s_waitcnt vmcnt(56)
	v_fma_f64 v[17:18], v[1:2], v[11:12], -v[17:18]
	v_fma_f64 v[11:12], v[3:4], v[11:12], v[102:103]
	v_add_f64 v[13:14], v[96:97], v[13:14]
	v_add_f64 v[9:10], v[9:10], v[19:20]
	s_clause 0x2
	buffer_load_dword v101, off, s[0:3], 0 offset:556
	buffer_load_dword v20, off, s[0:3], 0 offset:532
	;; [unrolled: 1-line block ×3, first 2 shown]
	s_waitcnt vmcnt(58) lgkmcnt(0)
	v_mul_f64 v[96:97], v[5:6], v[27:28]
	v_mul_f64 v[27:28], v[7:8], v[27:28]
	s_waitcnt vmcnt(56)
	v_fma_f64 v[21:22], v[88:89], v[29:30], -v[21:22]
	ds_read_b128 v[1:4], v87 offset:1200
	v_add_f64 v[13:14], v[13:14], v[17:18]
	v_fma_f64 v[17:18], v[90:91], v[29:30], v[119:120]
	v_add_f64 v[29:30], v[9:10], v[11:12]
	s_clause 0x4
	buffer_load_dword v89, off, s[0:3], 0 offset:572
	buffer_load_dword v90, off, s[0:3], 0 offset:584
	;; [unrolled: 1-line block ×5, first 2 shown]
	ds_read_b128 v[9:12], v87 offset:1216
	s_waitcnt vmcnt(57) lgkmcnt(1)
	v_mul_f64 v[119:120], v[1:2], v[31:32]
	v_mul_f64 v[31:32], v[3:4], v[31:32]
	s_waitcnt vmcnt(56)
	v_fma_f64 v[27:28], v[5:6], v[15:16], -v[27:28]
	v_fma_f64 v[15:16], v[7:8], v[15:16], v[96:97]
	v_add_f64 v[13:14], v[13:14], v[21:22]
	s_clause 0x2
	buffer_load_dword v91, off, s[0:3], 0 offset:588
	buffer_load_dword v22, off, s[0:3], 0 offset:564
	;; [unrolled: 1-line block ×3, first 2 shown]
	v_add_f64 v[17:18], v[29:30], v[17:18]
	s_waitcnt vmcnt(58) lgkmcnt(0)
	v_mul_f64 v[29:30], v[9:10], v[35:36]
	v_mul_f64 v[35:36], v[11:12], v[35:36]
	ds_read_b128 v[5:8], v87 offset:1232
	s_waitcnt vmcnt(56)
	v_fma_f64 v[31:32], v[1:2], v[37:38], -v[31:32]
	v_add_f64 v[13:14], v[13:14], v[27:28]
	v_fma_f64 v[27:28], v[3:4], v[37:38], v[119:120]
	v_add_f64 v[15:16], v[17:18], v[15:16]
	s_clause 0x4
	buffer_load_dword v18, off, s[0:3], 0 offset:604
	buffer_load_dword v37, off, s[0:3], 0 offset:616
	;; [unrolled: 1-line block ×5, first 2 shown]
	s_waitcnt vmcnt(57) lgkmcnt(0)
	v_mul_f64 v[119:120], v[5:6], v[39:40]
	v_mul_f64 v[39:40], v[7:8], v[39:40]
	s_waitcnt vmcnt(56)
	v_fma_f64 v[35:36], v[9:10], v[23:24], -v[35:36]
	ds_read_b128 v[1:4], v87 offset:1248
	v_fma_f64 v[23:24], v[11:12], v[23:24], v[29:30]
	v_add_f64 v[13:14], v[13:14], v[31:32]
	v_add_f64 v[15:16], v[15:16], v[27:28]
	s_clause 0x2
	buffer_load_dword v38, off, s[0:3], 0 offset:620
	buffer_load_dword v28, off, s[0:3], 0 offset:596
	;; [unrolled: 1-line block ×3, first 2 shown]
	ds_read_b128 v[9:12], v87 offset:1264
	s_waitcnt vmcnt(58) lgkmcnt(1)
	v_mul_f64 v[31:32], v[3:4], v[43:44]
	s_waitcnt vmcnt(56)
	v_fma_f64 v[39:40], v[5:6], v[45:46], -v[39:40]
	v_mul_f64 v[29:30], v[1:2], v[43:44]
	v_add_f64 v[13:14], v[13:14], v[35:36]
	v_fma_f64 v[35:36], v[7:8], v[45:46], v[119:120]
	v_add_f64 v[15:16], v[15:16], v[23:24]
	s_clause 0x4
	buffer_load_dword v24, off, s[0:3], 0 offset:636
	buffer_load_dword v43, off, s[0:3], 0 offset:648
	;; [unrolled: 1-line block ×5, first 2 shown]
	s_waitcnt vmcnt(57) lgkmcnt(0)
	v_mul_f64 v[119:120], v[9:10], v[47:48]
	v_mul_f64 v[46:47], v[11:12], v[47:48]
	s_waitcnt vmcnt(56)
	v_fma_f64 v[31:32], v[1:2], v[33:34], -v[31:32]
	ds_read_b128 v[5:8], v87 offset:1280
	v_fma_f64 v[29:30], v[3:4], v[33:34], v[29:30]
	s_clause 0x2
	buffer_load_dword v44, off, s[0:3], 0 offset:652
	buffer_load_dword v34, off, s[0:3], 0 offset:628
	;; [unrolled: 1-line block ×3, first 2 shown]
	ds_read_b128 v[1:4], v87 offset:1296
	v_add_f64 v[13:14], v[13:14], v[39:40]
	v_add_f64 v[15:16], v[15:16], v[35:36]
	s_waitcnt vmcnt(58) lgkmcnt(1)
	v_mul_f64 v[39:40], v[7:8], v[51:52]
	s_waitcnt vmcnt(56)
	v_fma_f64 v[47:48], v[9:10], v[53:54], -v[46:47]
	v_mul_f64 v[35:36], v[5:6], v[51:52]
	v_add_f64 v[13:14], v[13:14], v[31:32]
	v_fma_f64 v[31:32], v[11:12], v[53:54], v[119:120]
	v_add_f64 v[15:16], v[15:16], v[29:30]
	s_clause 0x4
	buffer_load_dword v30, off, s[0:3], 0 offset:668
	buffer_load_dword v51, off, s[0:3], 0 offset:680
	;; [unrolled: 1-line block ×5, first 2 shown]
	s_waitcnt vmcnt(57) lgkmcnt(0)
	v_mul_f64 v[119:120], v[1:2], v[55:56]
	v_mul_f64 v[54:55], v[3:4], v[55:56]
	s_waitcnt vmcnt(56)
	v_fma_f64 v[39:40], v[5:6], v[41:42], -v[39:40]
	ds_read_b128 v[9:12], v87 offset:1312
	v_fma_f64 v[35:36], v[7:8], v[41:42], v[35:36]
	v_add_f64 v[13:14], v[13:14], v[47:48]
	v_add_f64 v[15:16], v[15:16], v[31:32]
	s_clause 0x2
	buffer_load_dword v52, off, s[0:3], 0 offset:684
	buffer_load_dword v32, off, s[0:3], 0 offset:660
	;; [unrolled: 1-line block ×3, first 2 shown]
	ds_read_b128 v[5:8], v87 offset:1328
	s_waitcnt vmcnt(58) lgkmcnt(1)
	v_mul_f64 v[47:48], v[11:12], v[83:84]
	s_waitcnt vmcnt(56)
	v_fma_f64 v[55:56], v[1:2], v[85:86], -v[54:55]
	v_mul_f64 v[41:42], v[9:10], v[83:84]
	v_add_f64 v[13:14], v[13:14], v[39:40]
	v_fma_f64 v[39:40], v[3:4], v[85:86], v[119:120]
	v_add_f64 v[15:16], v[15:16], v[35:36]
	s_clause 0x4
	buffer_load_dword v36, off, s[0:3], 0 offset:700
	buffer_load_dword v83, off, s[0:3], 0 offset:712
	;; [unrolled: 1-line block ×5, first 2 shown]
	s_waitcnt vmcnt(57) lgkmcnt(0)
	v_mul_f64 v[119:120], v[5:6], v[104:105]
	v_mul_f64 v[104:105], v[7:8], v[104:105]
	s_waitcnt vmcnt(56)
	v_fma_f64 v[47:48], v[9:10], v[49:50], -v[47:48]
	ds_read_b128 v[1:4], v87 offset:1344
	v_fma_f64 v[41:42], v[11:12], v[49:50], v[41:42]
	v_add_f64 v[13:14], v[13:14], v[55:56]
	v_add_f64 v[15:16], v[15:16], v[39:40]
	s_clause 0x2
	buffer_load_dword v84, off, s[0:3], 0 offset:716
	buffer_load_dword v40, off, s[0:3], 0 offset:692
	;; [unrolled: 1-line block ×3, first 2 shown]
	ds_read_b128 v[9:12], v87 offset:1360
	s_waitcnt vmcnt(58) lgkmcnt(1)
	v_mul_f64 v[55:56], v[3:4], v[106:107]
	s_waitcnt vmcnt(56)
	v_fma_f64 v[104:105], v[5:6], v[111:112], -v[104:105]
	v_mul_f64 v[49:50], v[1:2], v[106:107]
	v_add_f64 v[13:14], v[13:14], v[47:48]
	v_fma_f64 v[47:48], v[7:8], v[111:112], v[119:120]
	v_add_f64 v[15:16], v[15:16], v[41:42]
	s_clause 0x4
	buffer_load_dword v42, off, s[0:3], 0 offset:732
	buffer_load_dword v106, off, s[0:3], 0 offset:744
	;; [unrolled: 1-line block ×5, first 2 shown]
	ds_read_b128 v[5:8], v87 offset:1376
	s_waitcnt vmcnt(57) lgkmcnt(1)
	v_mul_f64 v[111:112], v[9:10], v[98:99]
	v_mul_f64 v[98:99], v[11:12], v[98:99]
	s_waitcnt vmcnt(56)
	v_fma_f64 v[55:56], v[1:2], v[108:109], -v[55:56]
	v_fma_f64 v[49:50], v[3:4], v[108:109], v[49:50]
	v_add_f64 v[13:14], v[13:14], v[104:105]
	v_add_f64 v[15:16], v[15:16], v[47:48]
	s_clause 0x2
	buffer_load_dword v107, off, s[0:3], 0 offset:748
	buffer_load_dword v48, off, s[0:3], 0 offset:724
	;; [unrolled: 1-line block ×3, first 2 shown]
	ds_read_b128 v[1:4], v87 offset:1392
	s_waitcnt vmcnt(58) lgkmcnt(1)
	v_mul_f64 v[108:109], v[7:8], v[115:116]
	v_mul_f64 v[104:105], v[5:6], v[115:116]
	s_waitcnt vmcnt(56)
	v_fma_f64 v[98:99], v[9:10], v[92:93], -v[98:99]
	v_add_f64 v[13:14], v[13:14], v[55:56]
	v_fma_f64 v[55:56], v[11:12], v[92:93], v[111:112]
	v_add_f64 v[15:16], v[15:16], v[49:50]
	s_clause 0x4
	buffer_load_dword v50, off, s[0:3], 0 offset:764
	buffer_load_dword v92, off, s[0:3], 0 offset:776
	buffer_load_dword v115, off, s[0:3], 0 offset:768
	buffer_load_dword v49, off, s[0:3], 0 offset:760
	buffer_load_dword v111, off, s[0:3], 0 offset:740
	ds_read_b128 v[9:12], v87 offset:1408
	s_waitcnt vmcnt(57) lgkmcnt(1)
	v_mul_f64 v[119:120], v[1:2], v[25:26]
	v_mul_f64 v[25:26], v[3:4], v[25:26]
	s_waitcnt vmcnt(56)
	v_fma_f64 v[108:109], v[5:6], v[117:118], -v[108:109]
	v_add_f64 v[13:14], v[13:14], v[98:99]
	v_fma_f64 v[98:99], v[7:8], v[117:118], v[104:105]
	v_add_f64 v[15:16], v[15:16], v[55:56]
	s_clause 0x2
	buffer_load_dword v93, off, s[0:3], 0 offset:780
	buffer_load_dword v56, off, s[0:3], 0 offset:756
	buffer_load_dword v55, off, s[0:3], 0 offset:752
	ds_read_b128 v[5:8], v87 offset:1424
	s_waitcnt vmcnt(58) lgkmcnt(1)
	v_mul_f64 v[104:105], v[9:10], v[100:101]
	v_mul_f64 v[100:101], v[11:12], v[100:101]
	s_waitcnt vmcnt(56)
	v_fma_f64 v[25:26], v[1:2], v[19:20], -v[25:26]
	v_fma_f64 v[19:20], v[3:4], v[19:20], v[119:120]
	v_add_f64 v[13:14], v[13:14], v[108:109]
	v_add_f64 v[15:16], v[15:16], v[98:99]
	s_clause 0x4
	buffer_load_dword v99, off, s[0:3], 0 offset:796
	buffer_load_dword v108, off, s[0:3], 0 offset:808
	buffer_load_dword v112, off, s[0:3], 0 offset:800
	buffer_load_dword v98, off, s[0:3], 0 offset:792
	buffer_load_dword v116, off, s[0:3], 0 offset:772
	ds_read_b128 v[1:4], v87 offset:1440
	s_waitcnt vmcnt(57) lgkmcnt(1)
	v_mul_f64 v[117:118], v[5:6], v[88:89]
	v_mul_f64 v[88:89], v[7:8], v[88:89]
	s_waitcnt vmcnt(56)
	v_fma_f64 v[100:101], v[9:10], v[113:114], -v[100:101]
	v_add_f64 v[13:14], v[13:14], v[25:26]
	v_fma_f64 v[25:26], v[11:12], v[113:114], v[104:105]
	v_add_f64 v[15:16], v[15:16], v[19:20]
	s_clause 0x2
	buffer_load_dword v109, off, s[0:3], 0 offset:812
	buffer_load_dword v20, off, s[0:3], 0 offset:788
	buffer_load_dword v19, off, s[0:3], 0 offset:784
	ds_read_b128 v[9:12], v87 offset:1456
	s_waitcnt vmcnt(58) lgkmcnt(1)
	v_mul_f64 v[104:105], v[1:2], v[90:91]
	v_mul_f64 v[90:91], v[3:4], v[90:91]
	s_waitcnt vmcnt(56)
	v_fma_f64 v[88:89], v[5:6], v[21:22], -v[88:89]
	v_fma_f64 v[21:22], v[7:8], v[21:22], v[117:118]
	v_add_f64 v[13:14], v[13:14], v[100:101]
	v_add_f64 v[15:16], v[15:16], v[25:26]
	s_clause 0x4
	buffer_load_dword v26, off, s[0:3], 0 offset:828
	buffer_load_dword v100, off, s[0:3], 0 offset:840
	buffer_load_dword v117, off, s[0:3], 0 offset:832
	buffer_load_dword v25, off, s[0:3], 0 offset:824
	buffer_load_dword v113, off, s[0:3], 0 offset:804
	ds_read_b128 v[5:8], v87 offset:1472
	s_waitcnt vmcnt(57) lgkmcnt(1)
	v_mul_f64 v[118:119], v[9:10], v[17:18]
	v_mul_f64 v[17:18], v[11:12], v[17:18]
	s_waitcnt vmcnt(56)
	v_fma_f64 v[90:91], v[1:2], v[102:103], -v[90:91]
	v_add_f64 v[13:14], v[13:14], v[88:89]
	v_fma_f64 v[88:89], v[3:4], v[102:103], v[104:105]
	v_add_f64 v[15:16], v[15:16], v[21:22]
	s_clause 0x2
	buffer_load_dword v101, off, s[0:3], 0 offset:844
	buffer_load_dword v22, off, s[0:3], 0 offset:820
	buffer_load_dword v21, off, s[0:3], 0 offset:816
	ds_read_b128 v[1:4], v87 offset:1488
	s_waitcnt vmcnt(58) lgkmcnt(1)
	v_mul_f64 v[102:103], v[5:6], v[37:38]
	v_mul_f64 v[37:38], v[7:8], v[37:38]
	s_waitcnt vmcnt(56)
	v_fma_f64 v[17:18], v[9:10], v[27:28], -v[17:18]
	v_fma_f64 v[27:28], v[11:12], v[27:28], v[118:119]
	v_add_f64 v[13:14], v[13:14], v[90:91]
	v_add_f64 v[15:16], v[15:16], v[88:89]
	s_clause 0x4
	buffer_load_dword v89, off, s[0:3], 0 offset:860
	buffer_load_dword v90, off, s[0:3], 0 offset:872
	;; [unrolled: 1-line block ×5, first 2 shown]
	ds_read_b128 v[9:12], v87 offset:1504
	s_waitcnt vmcnt(57) lgkmcnt(1)
	v_mul_f64 v[119:120], v[1:2], v[23:24]
	v_mul_f64 v[23:24], v[3:4], v[23:24]
	s_waitcnt vmcnt(56)
	v_fma_f64 v[37:38], v[5:6], v[96:97], -v[37:38]
	v_add_f64 v[13:14], v[13:14], v[17:18]
	v_fma_f64 v[17:18], v[7:8], v[96:97], v[102:103]
	v_add_f64 v[15:16], v[15:16], v[27:28]
	s_clause 0x2
	buffer_load_dword v91, off, s[0:3], 0 offset:876
	buffer_load_dword v28, off, s[0:3], 0 offset:852
	;; [unrolled: 1-line block ×3, first 2 shown]
	s_waitcnt vmcnt(58) lgkmcnt(0)
	v_mul_f64 v[96:97], v[9:10], v[43:44]
	v_mul_f64 v[43:44], v[11:12], v[43:44]
	ds_read_b128 v[5:8], v87 offset:1520
	s_waitcnt vmcnt(56)
	v_fma_f64 v[23:24], v[1:2], v[33:34], -v[23:24]
	v_fma_f64 v[33:34], v[3:4], v[33:34], v[119:120]
	v_add_f64 v[13:14], v[13:14], v[37:38]
	v_add_f64 v[15:16], v[15:16], v[17:18]
	s_clause 0x2
	buffer_load_dword v18, off, s[0:3], 0 offset:892
	buffer_load_dword v17, off, s[0:3], 0 offset:888
	;; [unrolled: 1-line block ×3, first 2 shown]
	ds_read_b128 v[1:4], v87 offset:1536
	s_waitcnt vmcnt(55) lgkmcnt(1)
	v_mul_f64 v[37:38], v[5:6], v[29:30]
	v_mul_f64 v[29:30], v[7:8], v[29:30]
	s_waitcnt vmcnt(54)
	v_fma_f64 v[43:44], v[9:10], v[45:46], -v[43:44]
	v_add_f64 v[13:14], v[13:14], v[23:24]
	v_fma_f64 v[23:24], v[11:12], v[45:46], v[96:97]
	v_add_f64 v[15:16], v[15:16], v[33:34]
	s_clause 0x1
	buffer_load_dword v34, off, s[0:3], 0 offset:884
	buffer_load_dword v33, off, s[0:3], 0 offset:880
	ds_read_b128 v[9:12], v87 offset:1552
	s_waitcnt vmcnt(55) lgkmcnt(1)
	v_mul_f64 v[45:46], v[1:2], v[51:52]
	v_mul_f64 v[51:52], v[3:4], v[51:52]
	s_waitcnt vmcnt(53)
	v_fma_f64 v[29:30], v[5:6], v[31:32], -v[29:30]
	v_fma_f64 v[31:32], v[7:8], v[31:32], v[37:38]
	ds_read_b128 v[5:8], v87 offset:1568
	v_add_f64 v[13:14], v[13:14], v[43:44]
	v_add_f64 v[15:16], v[15:16], v[23:24]
	s_waitcnt vmcnt(49) lgkmcnt(1)
	v_mul_f64 v[23:24], v[9:10], v[35:36]
	v_mul_f64 v[35:36], v[11:12], v[35:36]
	s_waitcnt vmcnt(48)
	v_fma_f64 v[37:38], v[1:2], v[53:54], -v[51:52]
	v_add_f64 v[13:14], v[13:14], v[29:30]
	v_fma_f64 v[29:30], v[3:4], v[53:54], v[45:46]
	v_add_f64 v[15:16], v[15:16], v[31:32]
	s_clause 0x3
	buffer_load_dword v31, off, s[0:3], 0 offset:208
	buffer_load_dword v32, off, s[0:3], 0 offset:212
	;; [unrolled: 1-line block ×4, first 2 shown]
	ds_read_b128 v[1:4], v87 offset:1584
	s_waitcnt vmcnt(51) lgkmcnt(1)
	v_mul_f64 v[51:52], v[7:8], v[83:84]
	v_mul_f64 v[45:46], v[5:6], v[83:84]
	s_waitcnt vmcnt(49)
	v_fma_f64 v[35:36], v[9:10], v[39:40], -v[35:36]
	v_fma_f64 v[23:24], v[11:12], v[39:40], v[23:24]
	ds_read_b128 v[9:12], v87 offset:1600
	v_add_f64 v[13:14], v[13:14], v[37:38]
	v_add_f64 v[15:16], v[15:16], v[29:30]
	s_waitcnt vmcnt(45) lgkmcnt(1)
	v_mul_f64 v[37:38], v[3:4], v[41:42]
	s_waitcnt vmcnt(44)
	v_fma_f64 v[39:40], v[5:6], v[85:86], -v[51:52]
	v_mul_f64 v[29:30], v[1:2], v[41:42]
	v_add_f64 v[13:14], v[13:14], v[35:36]
	v_fma_f64 v[35:36], v[7:8], v[85:86], v[45:46]
	v_add_f64 v[15:16], v[15:16], v[23:24]
	ds_read_b128 v[5:8], v87 offset:1616
	s_waitcnt vmcnt(43) lgkmcnt(1)
	v_mul_f64 v[41:42], v[11:12], v[106:107]
	v_mul_f64 v[23:24], v[9:10], v[106:107]
	s_waitcnt vmcnt(41)
	v_fma_f64 v[37:38], v[1:2], v[47:48], -v[37:38]
	v_fma_f64 v[29:30], v[3:4], v[47:48], v[29:30]
	ds_read_b128 v[1:4], v87 offset:1632
	v_add_f64 v[13:14], v[13:14], v[39:40]
	v_add_f64 v[15:16], v[15:16], v[35:36]
	s_waitcnt vmcnt(37) lgkmcnt(1)
	v_mul_f64 v[39:40], v[7:8], v[49:50]
	s_waitcnt vmcnt(36)
	v_fma_f64 v[41:42], v[9:10], v[110:111], -v[41:42]
	v_mul_f64 v[35:36], v[5:6], v[49:50]
	v_fma_f64 v[23:24], v[11:12], v[110:111], v[23:24]
	ds_read_b128 v[9:12], v87 offset:1648
	v_add_f64 v[13:14], v[13:14], v[37:38]
	v_add_f64 v[15:16], v[15:16], v[29:30]
	s_waitcnt vmcnt(35) lgkmcnt(1)
	v_mul_f64 v[37:38], v[3:4], v[92:93]
	v_mul_f64 v[29:30], v[1:2], v[92:93]
	s_waitcnt vmcnt(33)
	v_fma_f64 v[39:40], v[5:6], v[55:56], -v[39:40]
	v_fma_f64 v[35:36], v[7:8], v[55:56], v[35:36]
	ds_read_b128 v[5:8], v87 offset:1664
	v_add_f64 v[13:14], v[13:14], v[41:42]
	v_add_f64 v[15:16], v[15:16], v[23:24]
	s_waitcnt vmcnt(29) lgkmcnt(1)
	v_mul_f64 v[41:42], v[11:12], v[98:99]
	s_waitcnt vmcnt(28)
	v_fma_f64 v[37:38], v[1:2], v[115:116], -v[37:38]
	v_mul_f64 v[23:24], v[9:10], v[98:99]
	v_fma_f64 v[29:30], v[3:4], v[115:116], v[29:30]
	ds_read_b128 v[1:4], v87 offset:1680
	v_add_f64 v[13:14], v[13:14], v[39:40]
	v_add_f64 v[15:16], v[15:16], v[35:36]
	s_waitcnt vmcnt(27) lgkmcnt(1)
	v_mul_f64 v[39:40], v[7:8], v[108:109]
	v_mul_f64 v[35:36], v[5:6], v[108:109]
	s_waitcnt vmcnt(25)
	v_fma_f64 v[41:42], v[9:10], v[19:20], -v[41:42]
	v_fma_f64 v[19:20], v[11:12], v[19:20], v[23:24]
	ds_read_b128 v[9:12], v87 offset:1696
	v_add_f64 v[13:14], v[13:14], v[37:38]
	v_add_f64 v[15:16], v[15:16], v[29:30]
	s_waitcnt vmcnt(21) lgkmcnt(1)
	v_mul_f64 v[23:24], v[1:2], v[25:26]
	v_mul_f64 v[25:26], v[3:4], v[25:26]
	s_waitcnt vmcnt(20)
	v_fma_f64 v[29:30], v[5:6], v[112:113], -v[39:40]
	;; [unrolled: 9-line block ×3, first 2 shown]
	v_fma_f64 v[21:22], v[3:4], v[21:22], v[23:24]
	ds_read_b128 v[1:4], v87 offset:1728
	v_add_f64 v[13:14], v[13:14], v[29:30]
	v_add_f64 v[15:16], v[15:16], v[35:36]
	s_waitcnt vmcnt(13) lgkmcnt(1)
	v_mul_f64 v[29:30], v[7:8], v[88:89]
	s_waitcnt vmcnt(12)
	v_fma_f64 v[35:36], v[9:10], v[117:118], -v[37:38]
	v_mul_f64 v[23:24], v[5:6], v[88:89]
	v_fma_f64 v[19:20], v[11:12], v[117:118], v[19:20]
	ds_read_b128 v[9:12], v87 offset:1744
	v_add_f64 v[13:14], v[13:14], v[25:26]
	v_add_f64 v[15:16], v[15:16], v[21:22]
	s_waitcnt vmcnt(11) lgkmcnt(1)
	v_mul_f64 v[25:26], v[3:4], v[90:91]
	v_mul_f64 v[21:22], v[1:2], v[90:91]
	s_waitcnt vmcnt(9)
	v_fma_f64 v[5:6], v[5:6], v[27:28], -v[29:30]
	v_fma_f64 v[7:8], v[7:8], v[27:28], v[23:24]
	v_add_f64 v[13:14], v[13:14], v[35:36]
	v_add_f64 v[15:16], v[15:16], v[19:20]
	s_waitcnt vmcnt(7) lgkmcnt(0)
	v_mul_f64 v[19:20], v[9:10], v[17:18]
	v_mul_f64 v[17:18], v[11:12], v[17:18]
	s_waitcnt vmcnt(6)
	v_fma_f64 v[1:2], v[1:2], v[104:105], -v[25:26]
	v_fma_f64 v[3:4], v[3:4], v[104:105], v[21:22]
	v_add_f64 v[5:6], v[13:14], v[5:6]
	v_add_f64 v[7:8], v[15:16], v[7:8]
	s_waitcnt vmcnt(4)
	v_fma_f64 v[9:10], v[9:10], v[33:34], -v[17:18]
	v_add_f64 v[1:2], v[5:6], v[1:2]
	v_fma_f64 v[5:6], v[11:12], v[33:34], v[19:20]
	v_add_f64 v[3:4], v[7:8], v[3:4]
	v_add_f64 v[1:2], v[1:2], v[9:10]
	;; [unrolled: 1-line block ×3, first 2 shown]
	s_waitcnt vmcnt(2)
	v_add_f64 v[1:2], v[31:32], -v[1:2]
	s_waitcnt vmcnt(0)
	v_add_f64 v[3:4], v[43:44], -v[3:4]
	buffer_store_dword v2, off, s[0:3], 0 offset:212
	buffer_store_dword v1, off, s[0:3], 0 offset:208
	;; [unrolled: 1-line block ×4, first 2 shown]
	v_cmpx_lt_u32_e32 11, v0
	s_cbranch_execz .LBB54_321
; %bb.320:
	v_mov_b32_e32 v4, s56
	v_mov_b32_e32 v5, 0
	s_clause 0x3
	buffer_load_dword v1, v4, s[0:3], 0 offen
	buffer_load_dword v2, v4, s[0:3], 0 offen offset:4
	buffer_load_dword v3, v4, s[0:3], 0 offen offset:8
	;; [unrolled: 1-line block ×3, first 2 shown]
	buffer_store_dword v5, off, s[0:3], 0 offset:192
	buffer_store_dword v5, off, s[0:3], 0 offset:196
	;; [unrolled: 1-line block ×4, first 2 shown]
	s_waitcnt vmcnt(0)
	ds_write_b128 v95, v[1:4]
.LBB54_321:
	s_or_b32 exec_lo, exec_lo, s4
	s_waitcnt lgkmcnt(0)
	s_waitcnt_vscnt null, 0x0
	s_barrier
	buffer_gl0_inv
	s_clause 0x37
	buffer_load_dword v9, off, s[0:3], 0 offset:216
	buffer_load_dword v10, off, s[0:3], 0 offset:220
	;; [unrolled: 1-line block ×56, first 2 shown]
	v_mov_b32_e32 v87, 0
	s_mov_b32 s4, exec_lo
	ds_read_b128 v[88:91], v87 offset:1072
	s_clause 0x2
	buffer_load_dword v84, off, s[0:3], 0 offset:444
	buffer_load_dword v86, off, s[0:3], 0 offset:420
	;; [unrolled: 1-line block ×3, first 2 shown]
	ds_read_b128 v[96:99], v87 offset:1088
	s_clause 0x4
	buffer_load_dword v105, off, s[0:3], 0 offset:460
	buffer_load_dword v106, off, s[0:3], 0 offset:472
	;; [unrolled: 1-line block ×5, first 2 shown]
	ds_read_b128 v[100:103], v87 offset:1104
	s_clause 0x2
	buffer_load_dword v107, off, s[0:3], 0 offset:476
	buffer_load_dword v112, off, s[0:3], 0 offset:452
	;; [unrolled: 1-line block ×3, first 2 shown]
	s_waitcnt vmcnt(62) lgkmcnt(2)
	v_mul_f64 v[92:93], v[90:91], v[9:10]
	v_mul_f64 v[9:10], v[88:89], v[9:10]
	s_waitcnt lgkmcnt(1)
	v_mul_f64 v[109:110], v[98:99], v[5:6]
	s_waitcnt vmcnt(59) lgkmcnt(0)
	v_mul_f64 v[113:114], v[102:103], v[3:4]
	v_fma_f64 v[88:89], v[88:89], v[7:8], -v[92:93]
	v_mul_f64 v[92:93], v[96:97], v[5:6]
	v_fma_f64 v[9:10], v[90:91], v[7:8], v[9:10]
	s_waitcnt vmcnt(57)
	v_fma_f64 v[96:97], v[96:97], v[1:2], -v[109:110]
	ds_read_b128 v[5:8], v87 offset:1120
	v_mul_f64 v[90:91], v[100:101], v[3:4]
	s_waitcnt vmcnt(51)
	v_fma_f64 v[100:101], v[100:101], v[25:26], -v[113:114]
	v_add_f64 v[88:89], v[88:89], 0
	v_fma_f64 v[92:93], v[98:99], v[1:2], v[92:93]
	v_add_f64 v[9:10], v[9:10], 0
	s_clause 0x4
	buffer_load_dword v99, off, s[0:3], 0 offset:492
	buffer_load_dword v115, off, s[0:3], 0 offset:504
	;; [unrolled: 1-line block ×5, first 2 shown]
	s_waitcnt lgkmcnt(0)
	v_mul_f64 v[118:119], v[5:6], v[13:14]
	v_mul_f64 v[13:14], v[7:8], v[13:14]
	ds_read_b128 v[1:4], v87 offset:1136
	v_fma_f64 v[25:26], v[102:103], v[25:26], v[90:91]
	v_add_f64 v[96:97], v[88:89], v[96:97]
	v_add_f64 v[9:10], v[9:10], v[92:93]
	s_clause 0x2
	buffer_load_dword v116, off, s[0:3], 0 offset:508
	buffer_load_dword v93, off, s[0:3], 0 offset:484
	;; [unrolled: 1-line block ×3, first 2 shown]
	s_waitcnt vmcnt(58) lgkmcnt(0)
	v_mul_f64 v[102:103], v[1:2], v[17:18]
	v_mul_f64 v[17:18], v[3:4], v[17:18]
	s_waitcnt vmcnt(56)
	v_fma_f64 v[13:14], v[5:6], v[19:20], -v[13:14]
	ds_read_b128 v[88:91], v87 offset:1152
	v_fma_f64 v[19:20], v[7:8], v[19:20], v[118:119]
	v_add_f64 v[96:97], v[96:97], v[100:101]
	v_add_f64 v[9:10], v[9:10], v[25:26]
	s_clause 0x4
	buffer_load_dword v26, off, s[0:3], 0 offset:524
	buffer_load_dword v100, off, s[0:3], 0 offset:536
	;; [unrolled: 1-line block ×5, first 2 shown]
	ds_read_b128 v[5:8], v87 offset:1168
	s_waitcnt vmcnt(57) lgkmcnt(1)
	v_mul_f64 v[119:120], v[88:89], v[21:22]
	v_mul_f64 v[21:22], v[90:91], v[21:22]
	s_waitcnt vmcnt(56)
	v_fma_f64 v[17:18], v[1:2], v[11:12], -v[17:18]
	v_fma_f64 v[11:12], v[3:4], v[11:12], v[102:103]
	v_add_f64 v[13:14], v[96:97], v[13:14]
	v_add_f64 v[9:10], v[9:10], v[19:20]
	s_clause 0x2
	buffer_load_dword v101, off, s[0:3], 0 offset:540
	buffer_load_dword v20, off, s[0:3], 0 offset:516
	;; [unrolled: 1-line block ×3, first 2 shown]
	s_waitcnt vmcnt(58) lgkmcnt(0)
	v_mul_f64 v[96:97], v[5:6], v[27:28]
	v_mul_f64 v[27:28], v[7:8], v[27:28]
	s_waitcnt vmcnt(56)
	v_fma_f64 v[21:22], v[88:89], v[29:30], -v[21:22]
	ds_read_b128 v[1:4], v87 offset:1184
	v_add_f64 v[13:14], v[13:14], v[17:18]
	v_fma_f64 v[17:18], v[90:91], v[29:30], v[119:120]
	v_add_f64 v[29:30], v[9:10], v[11:12]
	s_clause 0x4
	buffer_load_dword v89, off, s[0:3], 0 offset:556
	buffer_load_dword v90, off, s[0:3], 0 offset:568
	;; [unrolled: 1-line block ×5, first 2 shown]
	ds_read_b128 v[9:12], v87 offset:1200
	s_waitcnt vmcnt(57) lgkmcnt(1)
	v_mul_f64 v[119:120], v[1:2], v[31:32]
	v_mul_f64 v[31:32], v[3:4], v[31:32]
	s_waitcnt vmcnt(56)
	v_fma_f64 v[27:28], v[5:6], v[15:16], -v[27:28]
	v_fma_f64 v[15:16], v[7:8], v[15:16], v[96:97]
	v_add_f64 v[13:14], v[13:14], v[21:22]
	s_clause 0x2
	buffer_load_dword v91, off, s[0:3], 0 offset:572
	buffer_load_dword v22, off, s[0:3], 0 offset:548
	;; [unrolled: 1-line block ×3, first 2 shown]
	v_add_f64 v[17:18], v[29:30], v[17:18]
	s_waitcnt vmcnt(58) lgkmcnt(0)
	v_mul_f64 v[29:30], v[9:10], v[35:36]
	v_mul_f64 v[35:36], v[11:12], v[35:36]
	ds_read_b128 v[5:8], v87 offset:1216
	s_waitcnt vmcnt(56)
	v_fma_f64 v[31:32], v[1:2], v[37:38], -v[31:32]
	v_add_f64 v[13:14], v[13:14], v[27:28]
	v_fma_f64 v[27:28], v[3:4], v[37:38], v[119:120]
	v_add_f64 v[15:16], v[17:18], v[15:16]
	s_clause 0x4
	buffer_load_dword v18, off, s[0:3], 0 offset:588
	buffer_load_dword v37, off, s[0:3], 0 offset:600
	;; [unrolled: 1-line block ×5, first 2 shown]
	s_waitcnt vmcnt(57) lgkmcnt(0)
	v_mul_f64 v[119:120], v[5:6], v[39:40]
	v_mul_f64 v[39:40], v[7:8], v[39:40]
	s_waitcnt vmcnt(56)
	v_fma_f64 v[35:36], v[9:10], v[23:24], -v[35:36]
	ds_read_b128 v[1:4], v87 offset:1232
	v_fma_f64 v[23:24], v[11:12], v[23:24], v[29:30]
	v_add_f64 v[13:14], v[13:14], v[31:32]
	v_add_f64 v[15:16], v[15:16], v[27:28]
	s_clause 0x2
	buffer_load_dword v38, off, s[0:3], 0 offset:604
	buffer_load_dword v28, off, s[0:3], 0 offset:580
	;; [unrolled: 1-line block ×3, first 2 shown]
	ds_read_b128 v[9:12], v87 offset:1248
	s_waitcnt vmcnt(58) lgkmcnt(1)
	v_mul_f64 v[31:32], v[3:4], v[43:44]
	s_waitcnt vmcnt(56)
	v_fma_f64 v[39:40], v[5:6], v[45:46], -v[39:40]
	v_mul_f64 v[29:30], v[1:2], v[43:44]
	v_add_f64 v[13:14], v[13:14], v[35:36]
	v_fma_f64 v[35:36], v[7:8], v[45:46], v[119:120]
	v_add_f64 v[15:16], v[15:16], v[23:24]
	s_clause 0x4
	buffer_load_dword v24, off, s[0:3], 0 offset:620
	buffer_load_dword v43, off, s[0:3], 0 offset:632
	;; [unrolled: 1-line block ×5, first 2 shown]
	s_waitcnt vmcnt(57) lgkmcnt(0)
	v_mul_f64 v[119:120], v[9:10], v[47:48]
	v_mul_f64 v[46:47], v[11:12], v[47:48]
	s_waitcnt vmcnt(56)
	v_fma_f64 v[31:32], v[1:2], v[33:34], -v[31:32]
	ds_read_b128 v[5:8], v87 offset:1264
	v_fma_f64 v[29:30], v[3:4], v[33:34], v[29:30]
	s_clause 0x2
	buffer_load_dword v44, off, s[0:3], 0 offset:636
	buffer_load_dword v34, off, s[0:3], 0 offset:612
	;; [unrolled: 1-line block ×3, first 2 shown]
	ds_read_b128 v[1:4], v87 offset:1280
	v_add_f64 v[13:14], v[13:14], v[39:40]
	v_add_f64 v[15:16], v[15:16], v[35:36]
	s_waitcnt vmcnt(58) lgkmcnt(1)
	v_mul_f64 v[39:40], v[7:8], v[51:52]
	s_waitcnt vmcnt(56)
	v_fma_f64 v[47:48], v[9:10], v[53:54], -v[46:47]
	v_mul_f64 v[35:36], v[5:6], v[51:52]
	v_add_f64 v[13:14], v[13:14], v[31:32]
	v_fma_f64 v[31:32], v[11:12], v[53:54], v[119:120]
	v_add_f64 v[15:16], v[15:16], v[29:30]
	s_clause 0x4
	buffer_load_dword v30, off, s[0:3], 0 offset:652
	buffer_load_dword v51, off, s[0:3], 0 offset:664
	;; [unrolled: 1-line block ×5, first 2 shown]
	s_waitcnt vmcnt(57) lgkmcnt(0)
	v_mul_f64 v[119:120], v[1:2], v[55:56]
	v_mul_f64 v[54:55], v[3:4], v[55:56]
	s_waitcnt vmcnt(56)
	v_fma_f64 v[39:40], v[5:6], v[41:42], -v[39:40]
	ds_read_b128 v[9:12], v87 offset:1296
	v_fma_f64 v[35:36], v[7:8], v[41:42], v[35:36]
	v_add_f64 v[13:14], v[13:14], v[47:48]
	v_add_f64 v[15:16], v[15:16], v[31:32]
	s_clause 0x2
	buffer_load_dword v52, off, s[0:3], 0 offset:668
	buffer_load_dword v32, off, s[0:3], 0 offset:644
	;; [unrolled: 1-line block ×3, first 2 shown]
	ds_read_b128 v[5:8], v87 offset:1312
	s_waitcnt vmcnt(58) lgkmcnt(1)
	v_mul_f64 v[47:48], v[11:12], v[83:84]
	s_waitcnt vmcnt(56)
	v_fma_f64 v[55:56], v[1:2], v[85:86], -v[54:55]
	v_mul_f64 v[41:42], v[9:10], v[83:84]
	v_add_f64 v[13:14], v[13:14], v[39:40]
	v_fma_f64 v[39:40], v[3:4], v[85:86], v[119:120]
	v_add_f64 v[15:16], v[15:16], v[35:36]
	s_clause 0x4
	buffer_load_dword v36, off, s[0:3], 0 offset:684
	buffer_load_dword v83, off, s[0:3], 0 offset:696
	;; [unrolled: 1-line block ×5, first 2 shown]
	s_waitcnt vmcnt(57) lgkmcnt(0)
	v_mul_f64 v[119:120], v[5:6], v[104:105]
	v_mul_f64 v[104:105], v[7:8], v[104:105]
	s_waitcnt vmcnt(56)
	v_fma_f64 v[47:48], v[9:10], v[49:50], -v[47:48]
	ds_read_b128 v[1:4], v87 offset:1328
	v_fma_f64 v[41:42], v[11:12], v[49:50], v[41:42]
	v_add_f64 v[13:14], v[13:14], v[55:56]
	v_add_f64 v[15:16], v[15:16], v[39:40]
	s_clause 0x2
	buffer_load_dword v84, off, s[0:3], 0 offset:700
	buffer_load_dword v40, off, s[0:3], 0 offset:676
	;; [unrolled: 1-line block ×3, first 2 shown]
	ds_read_b128 v[9:12], v87 offset:1344
	s_waitcnt vmcnt(58) lgkmcnt(1)
	v_mul_f64 v[55:56], v[3:4], v[106:107]
	s_waitcnt vmcnt(56)
	v_fma_f64 v[104:105], v[5:6], v[111:112], -v[104:105]
	v_mul_f64 v[49:50], v[1:2], v[106:107]
	v_add_f64 v[13:14], v[13:14], v[47:48]
	v_fma_f64 v[47:48], v[7:8], v[111:112], v[119:120]
	v_add_f64 v[15:16], v[15:16], v[41:42]
	s_clause 0x4
	buffer_load_dword v42, off, s[0:3], 0 offset:716
	buffer_load_dword v106, off, s[0:3], 0 offset:728
	;; [unrolled: 1-line block ×5, first 2 shown]
	ds_read_b128 v[5:8], v87 offset:1360
	s_waitcnt vmcnt(57) lgkmcnt(1)
	v_mul_f64 v[111:112], v[9:10], v[98:99]
	v_mul_f64 v[98:99], v[11:12], v[98:99]
	s_waitcnt vmcnt(56)
	v_fma_f64 v[55:56], v[1:2], v[108:109], -v[55:56]
	v_fma_f64 v[49:50], v[3:4], v[108:109], v[49:50]
	v_add_f64 v[13:14], v[13:14], v[104:105]
	v_add_f64 v[15:16], v[15:16], v[47:48]
	s_clause 0x2
	buffer_load_dword v107, off, s[0:3], 0 offset:732
	buffer_load_dword v48, off, s[0:3], 0 offset:708
	;; [unrolled: 1-line block ×3, first 2 shown]
	ds_read_b128 v[1:4], v87 offset:1376
	s_waitcnt vmcnt(58) lgkmcnt(1)
	v_mul_f64 v[108:109], v[7:8], v[115:116]
	v_mul_f64 v[104:105], v[5:6], v[115:116]
	s_waitcnt vmcnt(56)
	v_fma_f64 v[98:99], v[9:10], v[92:93], -v[98:99]
	v_add_f64 v[13:14], v[13:14], v[55:56]
	v_fma_f64 v[55:56], v[11:12], v[92:93], v[111:112]
	v_add_f64 v[15:16], v[15:16], v[49:50]
	s_clause 0x4
	buffer_load_dword v50, off, s[0:3], 0 offset:748
	buffer_load_dword v92, off, s[0:3], 0 offset:760
	buffer_load_dword v115, off, s[0:3], 0 offset:752
	buffer_load_dword v49, off, s[0:3], 0 offset:744
	buffer_load_dword v111, off, s[0:3], 0 offset:724
	ds_read_b128 v[9:12], v87 offset:1392
	s_waitcnt vmcnt(57) lgkmcnt(1)
	v_mul_f64 v[119:120], v[1:2], v[25:26]
	v_mul_f64 v[25:26], v[3:4], v[25:26]
	s_waitcnt vmcnt(56)
	v_fma_f64 v[108:109], v[5:6], v[117:118], -v[108:109]
	v_add_f64 v[13:14], v[13:14], v[98:99]
	v_fma_f64 v[98:99], v[7:8], v[117:118], v[104:105]
	v_add_f64 v[15:16], v[15:16], v[55:56]
	s_clause 0x2
	buffer_load_dword v93, off, s[0:3], 0 offset:764
	buffer_load_dword v56, off, s[0:3], 0 offset:740
	buffer_load_dword v55, off, s[0:3], 0 offset:736
	ds_read_b128 v[5:8], v87 offset:1408
	s_waitcnt vmcnt(58) lgkmcnt(1)
	v_mul_f64 v[104:105], v[9:10], v[100:101]
	v_mul_f64 v[100:101], v[11:12], v[100:101]
	s_waitcnt vmcnt(56)
	v_fma_f64 v[25:26], v[1:2], v[19:20], -v[25:26]
	v_fma_f64 v[19:20], v[3:4], v[19:20], v[119:120]
	v_add_f64 v[13:14], v[13:14], v[108:109]
	v_add_f64 v[15:16], v[15:16], v[98:99]
	s_clause 0x4
	buffer_load_dword v99, off, s[0:3], 0 offset:780
	buffer_load_dword v108, off, s[0:3], 0 offset:792
	buffer_load_dword v112, off, s[0:3], 0 offset:784
	buffer_load_dword v98, off, s[0:3], 0 offset:776
	buffer_load_dword v116, off, s[0:3], 0 offset:756
	ds_read_b128 v[1:4], v87 offset:1424
	s_waitcnt vmcnt(57) lgkmcnt(1)
	v_mul_f64 v[117:118], v[5:6], v[88:89]
	v_mul_f64 v[88:89], v[7:8], v[88:89]
	s_waitcnt vmcnt(56)
	v_fma_f64 v[100:101], v[9:10], v[113:114], -v[100:101]
	v_add_f64 v[13:14], v[13:14], v[25:26]
	v_fma_f64 v[25:26], v[11:12], v[113:114], v[104:105]
	v_add_f64 v[15:16], v[15:16], v[19:20]
	s_clause 0x2
	buffer_load_dword v109, off, s[0:3], 0 offset:796
	buffer_load_dword v20, off, s[0:3], 0 offset:772
	buffer_load_dword v19, off, s[0:3], 0 offset:768
	ds_read_b128 v[9:12], v87 offset:1440
	s_waitcnt vmcnt(58) lgkmcnt(1)
	v_mul_f64 v[104:105], v[1:2], v[90:91]
	v_mul_f64 v[90:91], v[3:4], v[90:91]
	s_waitcnt vmcnt(56)
	v_fma_f64 v[88:89], v[5:6], v[21:22], -v[88:89]
	v_fma_f64 v[21:22], v[7:8], v[21:22], v[117:118]
	v_add_f64 v[13:14], v[13:14], v[100:101]
	;; [unrolled: 28-line block ×3, first 2 shown]
	v_add_f64 v[15:16], v[15:16], v[88:89]
	s_clause 0x4
	buffer_load_dword v89, off, s[0:3], 0 offset:844
	buffer_load_dword v90, off, s[0:3], 0 offset:856
	;; [unrolled: 1-line block ×5, first 2 shown]
	ds_read_b128 v[9:12], v87 offset:1488
	s_waitcnt vmcnt(57) lgkmcnt(1)
	v_mul_f64 v[119:120], v[1:2], v[23:24]
	v_mul_f64 v[23:24], v[3:4], v[23:24]
	s_waitcnt vmcnt(56)
	v_fma_f64 v[37:38], v[5:6], v[96:97], -v[37:38]
	v_add_f64 v[13:14], v[13:14], v[17:18]
	v_fma_f64 v[17:18], v[7:8], v[96:97], v[102:103]
	v_add_f64 v[15:16], v[15:16], v[27:28]
	s_clause 0x2
	buffer_load_dword v91, off, s[0:3], 0 offset:860
	buffer_load_dword v28, off, s[0:3], 0 offset:836
	;; [unrolled: 1-line block ×3, first 2 shown]
	s_waitcnt vmcnt(58) lgkmcnt(0)
	v_mul_f64 v[96:97], v[9:10], v[43:44]
	v_mul_f64 v[43:44], v[11:12], v[43:44]
	ds_read_b128 v[5:8], v87 offset:1504
	s_waitcnt vmcnt(56)
	v_fma_f64 v[23:24], v[1:2], v[33:34], -v[23:24]
	v_fma_f64 v[33:34], v[3:4], v[33:34], v[119:120]
	v_add_f64 v[13:14], v[13:14], v[37:38]
	v_add_f64 v[15:16], v[15:16], v[17:18]
	s_clause 0x4
	buffer_load_dword v18, off, s[0:3], 0 offset:876
	buffer_load_dword v37, off, s[0:3], 0 offset:888
	;; [unrolled: 1-line block ×5, first 2 shown]
	ds_read_b128 v[1:4], v87 offset:1520
	s_waitcnt vmcnt(57) lgkmcnt(1)
	v_mul_f64 v[119:120], v[5:6], v[29:30]
	v_mul_f64 v[29:30], v[7:8], v[29:30]
	s_waitcnt vmcnt(56)
	v_fma_f64 v[43:44], v[9:10], v[45:46], -v[43:44]
	v_add_f64 v[13:14], v[13:14], v[23:24]
	v_fma_f64 v[23:24], v[11:12], v[45:46], v[96:97]
	v_add_f64 v[15:16], v[15:16], v[33:34]
	s_clause 0x2
	buffer_load_dword v38, off, s[0:3], 0 offset:892
	buffer_load_dword v34, off, s[0:3], 0 offset:868
	;; [unrolled: 1-line block ×3, first 2 shown]
	ds_read_b128 v[9:12], v87 offset:1536
	buffer_load_dword v103, off, s[0:3], 0 offset:884
	s_waitcnt vmcnt(59) lgkmcnt(1)
	v_mul_f64 v[45:46], v[1:2], v[51:52]
	v_mul_f64 v[51:52], v[3:4], v[51:52]
	s_waitcnt vmcnt(57)
	v_fma_f64 v[29:30], v[5:6], v[31:32], -v[29:30]
	v_fma_f64 v[31:32], v[7:8], v[31:32], v[119:120]
	ds_read_b128 v[5:8], v87 offset:1552
	v_add_f64 v[13:14], v[13:14], v[43:44]
	v_add_f64 v[15:16], v[15:16], v[23:24]
	s_waitcnt vmcnt(53) lgkmcnt(1)
	v_mul_f64 v[23:24], v[9:10], v[35:36]
	v_mul_f64 v[35:36], v[11:12], v[35:36]
	s_waitcnt vmcnt(52)
	v_fma_f64 v[43:44], v[1:2], v[53:54], -v[51:52]
	v_add_f64 v[13:14], v[13:14], v[29:30]
	v_fma_f64 v[29:30], v[3:4], v[53:54], v[45:46]
	v_add_f64 v[15:16], v[15:16], v[31:32]
	ds_read_b128 v[1:4], v87 offset:1568
	s_waitcnt vmcnt(51) lgkmcnt(1)
	v_mul_f64 v[45:46], v[7:8], v[83:84]
	v_mul_f64 v[31:32], v[5:6], v[83:84]
	s_waitcnt vmcnt(49)
	v_fma_f64 v[35:36], v[9:10], v[39:40], -v[35:36]
	v_fma_f64 v[23:24], v[11:12], v[39:40], v[23:24]
	v_add_f64 v[13:14], v[13:14], v[43:44]
	v_add_f64 v[15:16], v[15:16], v[29:30]
	s_clause 0x3
	buffer_load_dword v29, off, s[0:3], 0 offset:192
	buffer_load_dword v30, off, s[0:3], 0 offset:196
	;; [unrolled: 1-line block ×4, first 2 shown]
	ds_read_b128 v[9:12], v87 offset:1584
	s_waitcnt vmcnt(49) lgkmcnt(1)
	v_mul_f64 v[43:44], v[1:2], v[41:42]
	v_mul_f64 v[41:42], v[3:4], v[41:42]
	s_waitcnt vmcnt(48)
	v_fma_f64 v[45:46], v[5:6], v[85:86], -v[45:46]
	v_fma_f64 v[31:32], v[7:8], v[85:86], v[31:32]
	ds_read_b128 v[5:8], v87 offset:1600
	v_add_f64 v[13:14], v[13:14], v[35:36]
	v_add_f64 v[15:16], v[15:16], v[23:24]
	s_waitcnt vmcnt(47) lgkmcnt(1)
	v_mul_f64 v[35:36], v[11:12], v[106:107]
	v_mul_f64 v[23:24], v[9:10], v[106:107]
	s_waitcnt vmcnt(45)
	v_fma_f64 v[41:42], v[1:2], v[47:48], -v[41:42]
	v_fma_f64 v[43:44], v[3:4], v[47:48], v[43:44]
	ds_read_b128 v[1:4], v87 offset:1616
	v_add_f64 v[13:14], v[13:14], v[45:46]
	v_add_f64 v[15:16], v[15:16], v[31:32]
	s_waitcnt vmcnt(41) lgkmcnt(1)
	v_mul_f64 v[45:46], v[7:8], v[49:50]
	s_waitcnt vmcnt(40)
	v_fma_f64 v[35:36], v[9:10], v[110:111], -v[35:36]
	v_mul_f64 v[31:32], v[5:6], v[49:50]
	v_fma_f64 v[23:24], v[11:12], v[110:111], v[23:24]
	ds_read_b128 v[9:12], v87 offset:1632
	v_add_f64 v[13:14], v[13:14], v[41:42]
	v_add_f64 v[15:16], v[15:16], v[43:44]
	s_waitcnt vmcnt(39) lgkmcnt(1)
	v_mul_f64 v[43:44], v[3:4], v[92:93]
	v_mul_f64 v[41:42], v[1:2], v[92:93]
	s_waitcnt vmcnt(37)
	v_fma_f64 v[45:46], v[5:6], v[55:56], -v[45:46]
	v_fma_f64 v[31:32], v[7:8], v[55:56], v[31:32]
	ds_read_b128 v[5:8], v87 offset:1648
	v_add_f64 v[13:14], v[13:14], v[35:36]
	v_add_f64 v[15:16], v[15:16], v[23:24]
	s_waitcnt vmcnt(33) lgkmcnt(1)
	v_mul_f64 v[35:36], v[11:12], v[98:99]
	s_waitcnt vmcnt(32)
	v_fma_f64 v[43:44], v[1:2], v[115:116], -v[43:44]
	v_mul_f64 v[23:24], v[9:10], v[98:99]
	v_fma_f64 v[41:42], v[3:4], v[115:116], v[41:42]
	ds_read_b128 v[1:4], v87 offset:1664
	v_add_f64 v[13:14], v[13:14], v[45:46]
	v_add_f64 v[15:16], v[15:16], v[31:32]
	s_waitcnt vmcnt(31) lgkmcnt(1)
	v_mul_f64 v[45:46], v[7:8], v[108:109]
	v_mul_f64 v[31:32], v[5:6], v[108:109]
	s_waitcnt vmcnt(29)
	v_fma_f64 v[35:36], v[9:10], v[19:20], -v[35:36]
	v_fma_f64 v[19:20], v[11:12], v[19:20], v[23:24]
	ds_read_b128 v[9:12], v87 offset:1680
	v_add_f64 v[13:14], v[13:14], v[43:44]
	v_add_f64 v[15:16], v[15:16], v[41:42]
	s_waitcnt vmcnt(25) lgkmcnt(1)
	v_mul_f64 v[23:24], v[1:2], v[25:26]
	v_mul_f64 v[25:26], v[3:4], v[25:26]
	s_waitcnt vmcnt(24)
	v_fma_f64 v[41:42], v[5:6], v[112:113], -v[45:46]
	;; [unrolled: 9-line block ×3, first 2 shown]
	v_fma_f64 v[21:22], v[3:4], v[21:22], v[23:24]
	ds_read_b128 v[1:4], v87 offset:1712
	v_add_f64 v[13:14], v[13:14], v[41:42]
	v_add_f64 v[15:16], v[15:16], v[31:32]
	s_waitcnt vmcnt(17) lgkmcnt(1)
	v_mul_f64 v[31:32], v[7:8], v[88:89]
	s_waitcnt vmcnt(16)
	v_fma_f64 v[35:36], v[9:10], v[117:118], -v[35:36]
	v_mul_f64 v[23:24], v[5:6], v[88:89]
	v_fma_f64 v[19:20], v[11:12], v[117:118], v[19:20]
	ds_read_b128 v[9:12], v87 offset:1728
	v_add_f64 v[13:14], v[13:14], v[25:26]
	v_add_f64 v[15:16], v[15:16], v[21:22]
	s_waitcnt vmcnt(15) lgkmcnt(1)
	v_mul_f64 v[25:26], v[3:4], v[90:91]
	v_mul_f64 v[21:22], v[1:2], v[90:91]
	s_waitcnt vmcnt(13)
	v_fma_f64 v[31:32], v[5:6], v[27:28], -v[31:32]
	v_fma_f64 v[23:24], v[7:8], v[27:28], v[23:24]
	ds_read_b128 v[5:8], v87 offset:1744
	v_add_f64 v[13:14], v[13:14], v[35:36]
	v_add_f64 v[15:16], v[15:16], v[19:20]
	s_waitcnt vmcnt(9) lgkmcnt(1)
	v_mul_f64 v[19:20], v[9:10], v[17:18]
	v_mul_f64 v[17:18], v[11:12], v[17:18]
	s_waitcnt vmcnt(8)
	v_fma_f64 v[1:2], v[1:2], v[104:105], -v[25:26]
	v_fma_f64 v[3:4], v[3:4], v[104:105], v[21:22]
	v_add_f64 v[13:14], v[13:14], v[31:32]
	v_add_f64 v[15:16], v[15:16], v[23:24]
	s_waitcnt vmcnt(7) lgkmcnt(0)
	v_mul_f64 v[23:24], v[7:8], v[37:38]
	v_mul_f64 v[21:22], v[5:6], v[37:38]
	s_waitcnt vmcnt(5)
	v_fma_f64 v[9:10], v[9:10], v[33:34], -v[17:18]
	v_fma_f64 v[11:12], v[11:12], v[33:34], v[19:20]
	v_add_f64 v[1:2], v[13:14], v[1:2]
	v_add_f64 v[3:4], v[15:16], v[3:4]
	s_waitcnt vmcnt(4)
	v_fma_f64 v[5:6], v[5:6], v[102:103], -v[23:24]
	v_fma_f64 v[7:8], v[7:8], v[102:103], v[21:22]
	v_add_f64 v[1:2], v[1:2], v[9:10]
	v_add_f64 v[3:4], v[3:4], v[11:12]
	;; [unrolled: 1-line block ×4, first 2 shown]
	s_waitcnt vmcnt(2)
	v_add_f64 v[1:2], v[29:30], -v[1:2]
	s_waitcnt vmcnt(0)
	v_add_f64 v[3:4], v[39:40], -v[3:4]
	buffer_store_dword v2, off, s[0:3], 0 offset:196
	buffer_store_dword v1, off, s[0:3], 0 offset:192
	;; [unrolled: 1-line block ×4, first 2 shown]
	v_cmpx_lt_u32_e32 10, v0
	s_cbranch_execz .LBB54_323
; %bb.322:
	v_mov_b32_e32 v4, s57
	s_clause 0x3
	buffer_load_dword v1, v4, s[0:3], 0 offen
	buffer_load_dword v2, v4, s[0:3], 0 offen offset:4
	buffer_load_dword v3, v4, s[0:3], 0 offen offset:8
	;; [unrolled: 1-line block ×3, first 2 shown]
	buffer_store_dword v87, off, s[0:3], 0 offset:176
	buffer_store_dword v87, off, s[0:3], 0 offset:180
	;; [unrolled: 1-line block ×4, first 2 shown]
	s_waitcnt vmcnt(0)
	ds_write_b128 v95, v[1:4]
.LBB54_323:
	s_or_b32 exec_lo, exec_lo, s4
	s_waitcnt lgkmcnt(0)
	s_waitcnt_vscnt null, 0x0
	s_barrier
	buffer_gl0_inv
	s_clause 0x37
	buffer_load_dword v9, off, s[0:3], 0 offset:200
	buffer_load_dword v10, off, s[0:3], 0 offset:204
	;; [unrolled: 1-line block ×56, first 2 shown]
	ds_read_b128 v[88:91], v87 offset:1056
	s_clause 0x2
	buffer_load_dword v84, off, s[0:3], 0 offset:428
	buffer_load_dword v86, off, s[0:3], 0 offset:404
	;; [unrolled: 1-line block ×3, first 2 shown]
	ds_read_b128 v[96:99], v87 offset:1072
	s_clause 0x4
	buffer_load_dword v105, off, s[0:3], 0 offset:444
	buffer_load_dword v106, off, s[0:3], 0 offset:456
	;; [unrolled: 1-line block ×5, first 2 shown]
	ds_read_b128 v[100:103], v87 offset:1088
	s_clause 0x2
	buffer_load_dword v107, off, s[0:3], 0 offset:460
	buffer_load_dword v112, off, s[0:3], 0 offset:436
	buffer_load_dword v111, off, s[0:3], 0 offset:432
	s_mov_b32 s4, exec_lo
	s_waitcnt vmcnt(62) lgkmcnt(2)
	v_mul_f64 v[92:93], v[90:91], v[9:10]
	v_mul_f64 v[9:10], v[88:89], v[9:10]
	s_waitcnt lgkmcnt(1)
	v_mul_f64 v[109:110], v[98:99], v[5:6]
	s_waitcnt vmcnt(59) lgkmcnt(0)
	v_mul_f64 v[113:114], v[102:103], v[3:4]
	v_fma_f64 v[88:89], v[88:89], v[7:8], -v[92:93]
	v_mul_f64 v[92:93], v[96:97], v[5:6]
	v_fma_f64 v[9:10], v[90:91], v[7:8], v[9:10]
	s_waitcnt vmcnt(57)
	v_fma_f64 v[96:97], v[96:97], v[1:2], -v[109:110]
	ds_read_b128 v[5:8], v87 offset:1104
	v_mul_f64 v[90:91], v[100:101], v[3:4]
	s_waitcnt vmcnt(51)
	v_fma_f64 v[100:101], v[100:101], v[25:26], -v[113:114]
	v_add_f64 v[88:89], v[88:89], 0
	v_fma_f64 v[92:93], v[98:99], v[1:2], v[92:93]
	v_add_f64 v[9:10], v[9:10], 0
	s_clause 0x4
	buffer_load_dword v99, off, s[0:3], 0 offset:476
	buffer_load_dword v115, off, s[0:3], 0 offset:488
	;; [unrolled: 1-line block ×5, first 2 shown]
	s_waitcnt lgkmcnt(0)
	v_mul_f64 v[118:119], v[5:6], v[13:14]
	v_mul_f64 v[13:14], v[7:8], v[13:14]
	ds_read_b128 v[1:4], v87 offset:1120
	v_fma_f64 v[25:26], v[102:103], v[25:26], v[90:91]
	v_add_f64 v[96:97], v[88:89], v[96:97]
	v_add_f64 v[9:10], v[9:10], v[92:93]
	s_clause 0x2
	buffer_load_dword v116, off, s[0:3], 0 offset:492
	buffer_load_dword v93, off, s[0:3], 0 offset:468
	;; [unrolled: 1-line block ×3, first 2 shown]
	s_waitcnt vmcnt(58) lgkmcnt(0)
	v_mul_f64 v[102:103], v[1:2], v[17:18]
	v_mul_f64 v[17:18], v[3:4], v[17:18]
	s_waitcnt vmcnt(56)
	v_fma_f64 v[13:14], v[5:6], v[19:20], -v[13:14]
	ds_read_b128 v[88:91], v87 offset:1136
	v_fma_f64 v[19:20], v[7:8], v[19:20], v[118:119]
	v_add_f64 v[96:97], v[96:97], v[100:101]
	v_add_f64 v[9:10], v[9:10], v[25:26]
	s_clause 0x4
	buffer_load_dword v26, off, s[0:3], 0 offset:508
	buffer_load_dword v100, off, s[0:3], 0 offset:520
	;; [unrolled: 1-line block ×5, first 2 shown]
	ds_read_b128 v[5:8], v87 offset:1152
	s_waitcnt vmcnt(57) lgkmcnt(1)
	v_mul_f64 v[119:120], v[88:89], v[21:22]
	v_mul_f64 v[21:22], v[90:91], v[21:22]
	s_waitcnt vmcnt(56)
	v_fma_f64 v[17:18], v[1:2], v[11:12], -v[17:18]
	v_fma_f64 v[11:12], v[3:4], v[11:12], v[102:103]
	v_add_f64 v[13:14], v[96:97], v[13:14]
	v_add_f64 v[9:10], v[9:10], v[19:20]
	s_clause 0x2
	buffer_load_dword v101, off, s[0:3], 0 offset:524
	buffer_load_dword v20, off, s[0:3], 0 offset:500
	;; [unrolled: 1-line block ×3, first 2 shown]
	s_waitcnt vmcnt(58) lgkmcnt(0)
	v_mul_f64 v[96:97], v[5:6], v[27:28]
	v_mul_f64 v[27:28], v[7:8], v[27:28]
	s_waitcnt vmcnt(56)
	v_fma_f64 v[21:22], v[88:89], v[29:30], -v[21:22]
	ds_read_b128 v[1:4], v87 offset:1168
	v_add_f64 v[13:14], v[13:14], v[17:18]
	v_fma_f64 v[17:18], v[90:91], v[29:30], v[119:120]
	v_add_f64 v[29:30], v[9:10], v[11:12]
	s_clause 0x4
	buffer_load_dword v89, off, s[0:3], 0 offset:540
	buffer_load_dword v90, off, s[0:3], 0 offset:552
	;; [unrolled: 1-line block ×5, first 2 shown]
	ds_read_b128 v[9:12], v87 offset:1184
	s_waitcnt vmcnt(57) lgkmcnt(1)
	v_mul_f64 v[119:120], v[1:2], v[31:32]
	v_mul_f64 v[31:32], v[3:4], v[31:32]
	s_waitcnt vmcnt(56)
	v_fma_f64 v[27:28], v[5:6], v[15:16], -v[27:28]
	v_fma_f64 v[15:16], v[7:8], v[15:16], v[96:97]
	v_add_f64 v[13:14], v[13:14], v[21:22]
	s_clause 0x2
	buffer_load_dword v91, off, s[0:3], 0 offset:556
	buffer_load_dword v22, off, s[0:3], 0 offset:532
	;; [unrolled: 1-line block ×3, first 2 shown]
	v_add_f64 v[17:18], v[29:30], v[17:18]
	s_waitcnt vmcnt(58) lgkmcnt(0)
	v_mul_f64 v[29:30], v[9:10], v[35:36]
	v_mul_f64 v[35:36], v[11:12], v[35:36]
	ds_read_b128 v[5:8], v87 offset:1200
	s_waitcnt vmcnt(56)
	v_fma_f64 v[31:32], v[1:2], v[37:38], -v[31:32]
	v_add_f64 v[13:14], v[13:14], v[27:28]
	v_fma_f64 v[27:28], v[3:4], v[37:38], v[119:120]
	v_add_f64 v[15:16], v[17:18], v[15:16]
	s_clause 0x4
	buffer_load_dword v18, off, s[0:3], 0 offset:572
	buffer_load_dword v37, off, s[0:3], 0 offset:584
	;; [unrolled: 1-line block ×5, first 2 shown]
	s_waitcnt vmcnt(57) lgkmcnt(0)
	v_mul_f64 v[119:120], v[5:6], v[39:40]
	v_mul_f64 v[39:40], v[7:8], v[39:40]
	s_waitcnt vmcnt(56)
	v_fma_f64 v[35:36], v[9:10], v[23:24], -v[35:36]
	ds_read_b128 v[1:4], v87 offset:1216
	v_fma_f64 v[23:24], v[11:12], v[23:24], v[29:30]
	v_add_f64 v[13:14], v[13:14], v[31:32]
	v_add_f64 v[15:16], v[15:16], v[27:28]
	s_clause 0x2
	buffer_load_dword v38, off, s[0:3], 0 offset:588
	buffer_load_dword v28, off, s[0:3], 0 offset:564
	;; [unrolled: 1-line block ×3, first 2 shown]
	ds_read_b128 v[9:12], v87 offset:1232
	s_waitcnt vmcnt(58) lgkmcnt(1)
	v_mul_f64 v[31:32], v[3:4], v[43:44]
	s_waitcnt vmcnt(56)
	v_fma_f64 v[39:40], v[5:6], v[45:46], -v[39:40]
	v_mul_f64 v[29:30], v[1:2], v[43:44]
	v_add_f64 v[13:14], v[13:14], v[35:36]
	v_fma_f64 v[35:36], v[7:8], v[45:46], v[119:120]
	v_add_f64 v[15:16], v[15:16], v[23:24]
	s_clause 0x4
	buffer_load_dword v24, off, s[0:3], 0 offset:604
	buffer_load_dword v43, off, s[0:3], 0 offset:616
	;; [unrolled: 1-line block ×5, first 2 shown]
	s_waitcnt vmcnt(57) lgkmcnt(0)
	v_mul_f64 v[119:120], v[9:10], v[47:48]
	v_mul_f64 v[46:47], v[11:12], v[47:48]
	s_waitcnt vmcnt(56)
	v_fma_f64 v[31:32], v[1:2], v[33:34], -v[31:32]
	ds_read_b128 v[5:8], v87 offset:1248
	v_fma_f64 v[29:30], v[3:4], v[33:34], v[29:30]
	s_clause 0x2
	buffer_load_dword v44, off, s[0:3], 0 offset:620
	buffer_load_dword v34, off, s[0:3], 0 offset:596
	;; [unrolled: 1-line block ×3, first 2 shown]
	ds_read_b128 v[1:4], v87 offset:1264
	v_add_f64 v[13:14], v[13:14], v[39:40]
	v_add_f64 v[15:16], v[15:16], v[35:36]
	s_waitcnt vmcnt(58) lgkmcnt(1)
	v_mul_f64 v[39:40], v[7:8], v[51:52]
	s_waitcnt vmcnt(56)
	v_fma_f64 v[47:48], v[9:10], v[53:54], -v[46:47]
	v_mul_f64 v[35:36], v[5:6], v[51:52]
	v_add_f64 v[13:14], v[13:14], v[31:32]
	v_fma_f64 v[31:32], v[11:12], v[53:54], v[119:120]
	v_add_f64 v[15:16], v[15:16], v[29:30]
	s_clause 0x4
	buffer_load_dword v30, off, s[0:3], 0 offset:636
	buffer_load_dword v51, off, s[0:3], 0 offset:648
	;; [unrolled: 1-line block ×5, first 2 shown]
	s_waitcnt vmcnt(57) lgkmcnt(0)
	v_mul_f64 v[119:120], v[1:2], v[55:56]
	v_mul_f64 v[54:55], v[3:4], v[55:56]
	s_waitcnt vmcnt(56)
	v_fma_f64 v[39:40], v[5:6], v[41:42], -v[39:40]
	ds_read_b128 v[9:12], v87 offset:1280
	v_fma_f64 v[35:36], v[7:8], v[41:42], v[35:36]
	v_add_f64 v[13:14], v[13:14], v[47:48]
	v_add_f64 v[15:16], v[15:16], v[31:32]
	s_clause 0x2
	buffer_load_dword v52, off, s[0:3], 0 offset:652
	buffer_load_dword v32, off, s[0:3], 0 offset:628
	;; [unrolled: 1-line block ×3, first 2 shown]
	ds_read_b128 v[5:8], v87 offset:1296
	s_waitcnt vmcnt(58) lgkmcnt(1)
	v_mul_f64 v[47:48], v[11:12], v[83:84]
	s_waitcnt vmcnt(56)
	v_fma_f64 v[55:56], v[1:2], v[85:86], -v[54:55]
	v_mul_f64 v[41:42], v[9:10], v[83:84]
	v_add_f64 v[13:14], v[13:14], v[39:40]
	v_fma_f64 v[39:40], v[3:4], v[85:86], v[119:120]
	v_add_f64 v[15:16], v[15:16], v[35:36]
	s_clause 0x4
	buffer_load_dword v36, off, s[0:3], 0 offset:668
	buffer_load_dword v83, off, s[0:3], 0 offset:680
	;; [unrolled: 1-line block ×5, first 2 shown]
	s_waitcnt vmcnt(57) lgkmcnt(0)
	v_mul_f64 v[119:120], v[5:6], v[104:105]
	v_mul_f64 v[104:105], v[7:8], v[104:105]
	s_waitcnt vmcnt(56)
	v_fma_f64 v[47:48], v[9:10], v[49:50], -v[47:48]
	ds_read_b128 v[1:4], v87 offset:1312
	v_fma_f64 v[41:42], v[11:12], v[49:50], v[41:42]
	v_add_f64 v[13:14], v[13:14], v[55:56]
	v_add_f64 v[15:16], v[15:16], v[39:40]
	s_clause 0x2
	buffer_load_dword v84, off, s[0:3], 0 offset:684
	buffer_load_dword v40, off, s[0:3], 0 offset:660
	;; [unrolled: 1-line block ×3, first 2 shown]
	ds_read_b128 v[9:12], v87 offset:1328
	s_waitcnt vmcnt(58) lgkmcnt(1)
	v_mul_f64 v[55:56], v[3:4], v[106:107]
	s_waitcnt vmcnt(56)
	v_fma_f64 v[104:105], v[5:6], v[111:112], -v[104:105]
	v_mul_f64 v[49:50], v[1:2], v[106:107]
	v_add_f64 v[13:14], v[13:14], v[47:48]
	v_fma_f64 v[47:48], v[7:8], v[111:112], v[119:120]
	v_add_f64 v[15:16], v[15:16], v[41:42]
	s_clause 0x4
	buffer_load_dword v42, off, s[0:3], 0 offset:700
	buffer_load_dword v106, off, s[0:3], 0 offset:712
	;; [unrolled: 1-line block ×5, first 2 shown]
	ds_read_b128 v[5:8], v87 offset:1344
	s_waitcnt vmcnt(57) lgkmcnt(1)
	v_mul_f64 v[111:112], v[9:10], v[98:99]
	v_mul_f64 v[98:99], v[11:12], v[98:99]
	s_waitcnt vmcnt(56)
	v_fma_f64 v[55:56], v[1:2], v[108:109], -v[55:56]
	v_fma_f64 v[49:50], v[3:4], v[108:109], v[49:50]
	v_add_f64 v[13:14], v[13:14], v[104:105]
	v_add_f64 v[15:16], v[15:16], v[47:48]
	s_clause 0x2
	buffer_load_dword v107, off, s[0:3], 0 offset:716
	buffer_load_dword v48, off, s[0:3], 0 offset:692
	;; [unrolled: 1-line block ×3, first 2 shown]
	ds_read_b128 v[1:4], v87 offset:1360
	s_waitcnt vmcnt(58) lgkmcnt(1)
	v_mul_f64 v[108:109], v[7:8], v[115:116]
	v_mul_f64 v[104:105], v[5:6], v[115:116]
	s_waitcnt vmcnt(56)
	v_fma_f64 v[98:99], v[9:10], v[92:93], -v[98:99]
	v_add_f64 v[13:14], v[13:14], v[55:56]
	v_fma_f64 v[55:56], v[11:12], v[92:93], v[111:112]
	v_add_f64 v[15:16], v[15:16], v[49:50]
	s_clause 0x4
	buffer_load_dword v50, off, s[0:3], 0 offset:732
	buffer_load_dword v92, off, s[0:3], 0 offset:744
	buffer_load_dword v115, off, s[0:3], 0 offset:736
	buffer_load_dword v49, off, s[0:3], 0 offset:728
	buffer_load_dword v111, off, s[0:3], 0 offset:708
	ds_read_b128 v[9:12], v87 offset:1376
	s_waitcnt vmcnt(57) lgkmcnt(1)
	v_mul_f64 v[119:120], v[1:2], v[25:26]
	v_mul_f64 v[25:26], v[3:4], v[25:26]
	s_waitcnt vmcnt(56)
	v_fma_f64 v[108:109], v[5:6], v[117:118], -v[108:109]
	v_add_f64 v[13:14], v[13:14], v[98:99]
	v_fma_f64 v[98:99], v[7:8], v[117:118], v[104:105]
	v_add_f64 v[15:16], v[15:16], v[55:56]
	s_clause 0x2
	buffer_load_dword v93, off, s[0:3], 0 offset:748
	buffer_load_dword v56, off, s[0:3], 0 offset:724
	buffer_load_dword v55, off, s[0:3], 0 offset:720
	ds_read_b128 v[5:8], v87 offset:1392
	s_waitcnt vmcnt(58) lgkmcnt(1)
	v_mul_f64 v[104:105], v[9:10], v[100:101]
	v_mul_f64 v[100:101], v[11:12], v[100:101]
	s_waitcnt vmcnt(56)
	v_fma_f64 v[25:26], v[1:2], v[19:20], -v[25:26]
	v_fma_f64 v[19:20], v[3:4], v[19:20], v[119:120]
	v_add_f64 v[13:14], v[13:14], v[108:109]
	v_add_f64 v[15:16], v[15:16], v[98:99]
	s_clause 0x4
	buffer_load_dword v99, off, s[0:3], 0 offset:764
	buffer_load_dword v108, off, s[0:3], 0 offset:776
	buffer_load_dword v112, off, s[0:3], 0 offset:768
	buffer_load_dword v98, off, s[0:3], 0 offset:760
	buffer_load_dword v116, off, s[0:3], 0 offset:740
	ds_read_b128 v[1:4], v87 offset:1408
	s_waitcnt vmcnt(57) lgkmcnt(1)
	v_mul_f64 v[117:118], v[5:6], v[88:89]
	v_mul_f64 v[88:89], v[7:8], v[88:89]
	s_waitcnt vmcnt(56)
	v_fma_f64 v[100:101], v[9:10], v[113:114], -v[100:101]
	v_add_f64 v[13:14], v[13:14], v[25:26]
	v_fma_f64 v[25:26], v[11:12], v[113:114], v[104:105]
	v_add_f64 v[15:16], v[15:16], v[19:20]
	s_clause 0x2
	buffer_load_dword v109, off, s[0:3], 0 offset:780
	buffer_load_dword v20, off, s[0:3], 0 offset:756
	buffer_load_dword v19, off, s[0:3], 0 offset:752
	ds_read_b128 v[9:12], v87 offset:1424
	s_waitcnt vmcnt(58) lgkmcnt(1)
	v_mul_f64 v[104:105], v[1:2], v[90:91]
	v_mul_f64 v[90:91], v[3:4], v[90:91]
	s_waitcnt vmcnt(56)
	v_fma_f64 v[88:89], v[5:6], v[21:22], -v[88:89]
	v_fma_f64 v[21:22], v[7:8], v[21:22], v[117:118]
	v_add_f64 v[13:14], v[13:14], v[100:101]
	;; [unrolled: 28-line block ×3, first 2 shown]
	v_add_f64 v[15:16], v[15:16], v[88:89]
	s_clause 0x4
	buffer_load_dword v89, off, s[0:3], 0 offset:828
	buffer_load_dword v90, off, s[0:3], 0 offset:840
	;; [unrolled: 1-line block ×5, first 2 shown]
	ds_read_b128 v[9:12], v87 offset:1472
	s_waitcnt vmcnt(57) lgkmcnt(1)
	v_mul_f64 v[119:120], v[1:2], v[23:24]
	v_mul_f64 v[23:24], v[3:4], v[23:24]
	s_waitcnt vmcnt(56)
	v_fma_f64 v[37:38], v[5:6], v[96:97], -v[37:38]
	v_add_f64 v[13:14], v[13:14], v[17:18]
	v_fma_f64 v[17:18], v[7:8], v[96:97], v[102:103]
	v_add_f64 v[15:16], v[15:16], v[27:28]
	s_clause 0x2
	buffer_load_dword v91, off, s[0:3], 0 offset:844
	buffer_load_dword v28, off, s[0:3], 0 offset:820
	;; [unrolled: 1-line block ×3, first 2 shown]
	s_waitcnt vmcnt(58) lgkmcnt(0)
	v_mul_f64 v[96:97], v[9:10], v[43:44]
	v_mul_f64 v[43:44], v[11:12], v[43:44]
	ds_read_b128 v[5:8], v87 offset:1488
	s_waitcnt vmcnt(56)
	v_fma_f64 v[23:24], v[1:2], v[33:34], -v[23:24]
	v_fma_f64 v[33:34], v[3:4], v[33:34], v[119:120]
	v_add_f64 v[13:14], v[13:14], v[37:38]
	v_add_f64 v[15:16], v[15:16], v[17:18]
	s_clause 0x4
	buffer_load_dword v18, off, s[0:3], 0 offset:860
	buffer_load_dword v37, off, s[0:3], 0 offset:872
	buffer_load_dword v102, off, s[0:3], 0 offset:864
	buffer_load_dword v17, off, s[0:3], 0 offset:856
	buffer_load_dword v105, off, s[0:3], 0 offset:836
	ds_read_b128 v[1:4], v87 offset:1504
	s_waitcnt vmcnt(57) lgkmcnt(1)
	v_mul_f64 v[119:120], v[5:6], v[29:30]
	v_mul_f64 v[29:30], v[7:8], v[29:30]
	s_waitcnt vmcnt(56)
	v_fma_f64 v[43:44], v[9:10], v[45:46], -v[43:44]
	v_add_f64 v[13:14], v[13:14], v[23:24]
	v_fma_f64 v[23:24], v[11:12], v[45:46], v[96:97]
	v_add_f64 v[15:16], v[15:16], v[33:34]
	s_clause 0x2
	buffer_load_dword v38, off, s[0:3], 0 offset:876
	buffer_load_dword v34, off, s[0:3], 0 offset:852
	;; [unrolled: 1-line block ×3, first 2 shown]
	ds_read_b128 v[9:12], v87 offset:1520
	s_waitcnt vmcnt(58) lgkmcnt(1)
	v_mul_f64 v[45:46], v[1:2], v[51:52]
	v_mul_f64 v[51:52], v[3:4], v[51:52]
	s_waitcnt vmcnt(56)
	v_fma_f64 v[29:30], v[5:6], v[31:32], -v[29:30]
	v_fma_f64 v[31:32], v[7:8], v[31:32], v[119:120]
	v_add_f64 v[13:14], v[13:14], v[43:44]
	v_add_f64 v[15:16], v[15:16], v[23:24]
	s_clause 0x2
	buffer_load_dword v24, off, s[0:3], 0 offset:892
	buffer_load_dword v23, off, s[0:3], 0 offset:888
	;; [unrolled: 1-line block ×3, first 2 shown]
	ds_read_b128 v[5:8], v87 offset:1536
	s_waitcnt vmcnt(55) lgkmcnt(1)
	v_mul_f64 v[43:44], v[9:10], v[35:36]
	v_mul_f64 v[35:36], v[11:12], v[35:36]
	s_waitcnt vmcnt(54)
	v_fma_f64 v[51:52], v[1:2], v[53:54], -v[51:52]
	v_add_f64 v[13:14], v[13:14], v[29:30]
	v_fma_f64 v[29:30], v[3:4], v[53:54], v[45:46]
	v_add_f64 v[15:16], v[15:16], v[31:32]
	s_clause 0x1
	buffer_load_dword v32, off, s[0:3], 0 offset:884
	buffer_load_dword v31, off, s[0:3], 0 offset:880
	ds_read_b128 v[1:4], v87 offset:1552
	s_waitcnt vmcnt(55) lgkmcnt(1)
	v_mul_f64 v[53:54], v[7:8], v[83:84]
	v_mul_f64 v[45:46], v[5:6], v[83:84]
	s_waitcnt vmcnt(53)
	v_fma_f64 v[35:36], v[9:10], v[39:40], -v[35:36]
	v_fma_f64 v[39:40], v[11:12], v[39:40], v[43:44]
	ds_read_b128 v[9:12], v87 offset:1568
	v_add_f64 v[13:14], v[13:14], v[51:52]
	v_add_f64 v[15:16], v[15:16], v[29:30]
	s_waitcnt vmcnt(49) lgkmcnt(1)
	v_mul_f64 v[29:30], v[1:2], v[41:42]
	v_mul_f64 v[41:42], v[3:4], v[41:42]
	s_waitcnt vmcnt(48)
	v_fma_f64 v[43:44], v[5:6], v[85:86], -v[53:54]
	v_add_f64 v[13:14], v[13:14], v[35:36]
	v_fma_f64 v[35:36], v[7:8], v[85:86], v[45:46]
	v_add_f64 v[15:16], v[15:16], v[39:40]
	s_clause 0x3
	buffer_load_dword v39, off, s[0:3], 0 offset:176
	buffer_load_dword v40, off, s[0:3], 0 offset:180
	;; [unrolled: 1-line block ×4, first 2 shown]
	ds_read_b128 v[5:8], v87 offset:1584
	s_waitcnt vmcnt(51) lgkmcnt(1)
	v_mul_f64 v[53:54], v[11:12], v[106:107]
	v_mul_f64 v[51:52], v[9:10], v[106:107]
	s_waitcnt vmcnt(49)
	v_fma_f64 v[41:42], v[1:2], v[47:48], -v[41:42]
	v_fma_f64 v[29:30], v[3:4], v[47:48], v[29:30]
	ds_read_b128 v[1:4], v87 offset:1600
	v_add_f64 v[13:14], v[13:14], v[43:44]
	v_add_f64 v[15:16], v[15:16], v[35:36]
	s_waitcnt vmcnt(45) lgkmcnt(1)
	v_mul_f64 v[43:44], v[7:8], v[49:50]
	s_waitcnt vmcnt(44)
	v_fma_f64 v[47:48], v[9:10], v[110:111], -v[53:54]
	v_mul_f64 v[35:36], v[5:6], v[49:50]
	v_add_f64 v[13:14], v[13:14], v[41:42]
	v_fma_f64 v[41:42], v[11:12], v[110:111], v[51:52]
	v_add_f64 v[15:16], v[15:16], v[29:30]
	ds_read_b128 v[9:12], v87 offset:1616
	s_waitcnt vmcnt(43) lgkmcnt(1)
	v_mul_f64 v[49:50], v[3:4], v[92:93]
	v_mul_f64 v[29:30], v[1:2], v[92:93]
	s_waitcnt vmcnt(41)
	v_fma_f64 v[43:44], v[5:6], v[55:56], -v[43:44]
	v_fma_f64 v[35:36], v[7:8], v[55:56], v[35:36]
	ds_read_b128 v[5:8], v87 offset:1632
	v_add_f64 v[13:14], v[13:14], v[47:48]
	v_add_f64 v[15:16], v[15:16], v[41:42]
	s_waitcnt vmcnt(37) lgkmcnt(1)
	v_mul_f64 v[47:48], v[11:12], v[98:99]
	s_waitcnt vmcnt(36)
	v_fma_f64 v[49:50], v[1:2], v[115:116], -v[49:50]
	v_mul_f64 v[41:42], v[9:10], v[98:99]
	v_fma_f64 v[29:30], v[3:4], v[115:116], v[29:30]
	ds_read_b128 v[1:4], v87 offset:1648
	v_add_f64 v[13:14], v[13:14], v[43:44]
	v_add_f64 v[15:16], v[15:16], v[35:36]
	s_waitcnt vmcnt(35) lgkmcnt(1)
	v_mul_f64 v[43:44], v[7:8], v[108:109]
	v_mul_f64 v[35:36], v[5:6], v[108:109]
	s_waitcnt vmcnt(33)
	v_fma_f64 v[47:48], v[9:10], v[19:20], -v[47:48]
	v_fma_f64 v[19:20], v[11:12], v[19:20], v[41:42]
	ds_read_b128 v[9:12], v87 offset:1664
	v_add_f64 v[13:14], v[13:14], v[49:50]
	v_add_f64 v[15:16], v[15:16], v[29:30]
	s_waitcnt vmcnt(29) lgkmcnt(1)
	v_mul_f64 v[29:30], v[1:2], v[25:26]
	v_mul_f64 v[25:26], v[3:4], v[25:26]
	s_waitcnt vmcnt(28)
	v_fma_f64 v[41:42], v[5:6], v[112:113], -v[43:44]
	;; [unrolled: 9-line block ×3, first 2 shown]
	v_fma_f64 v[21:22], v[3:4], v[21:22], v[29:30]
	ds_read_b128 v[1:4], v87 offset:1696
	v_add_f64 v[13:14], v[13:14], v[41:42]
	v_add_f64 v[15:16], v[15:16], v[35:36]
	s_waitcnt vmcnt(21) lgkmcnt(1)
	v_mul_f64 v[35:36], v[7:8], v[88:89]
	s_waitcnt vmcnt(20)
	v_fma_f64 v[41:42], v[9:10], v[117:118], -v[43:44]
	v_mul_f64 v[29:30], v[5:6], v[88:89]
	v_fma_f64 v[19:20], v[11:12], v[117:118], v[19:20]
	ds_read_b128 v[9:12], v87 offset:1712
	v_add_f64 v[13:14], v[13:14], v[25:26]
	v_add_f64 v[15:16], v[15:16], v[21:22]
	s_waitcnt vmcnt(19) lgkmcnt(1)
	v_mul_f64 v[25:26], v[3:4], v[90:91]
	v_mul_f64 v[21:22], v[1:2], v[90:91]
	s_waitcnt vmcnt(17)
	v_fma_f64 v[35:36], v[5:6], v[27:28], -v[35:36]
	v_fma_f64 v[27:28], v[7:8], v[27:28], v[29:30]
	ds_read_b128 v[5:8], v87 offset:1728
	v_add_f64 v[13:14], v[13:14], v[41:42]
	v_add_f64 v[15:16], v[15:16], v[19:20]
	s_waitcnt vmcnt(13) lgkmcnt(1)
	v_mul_f64 v[19:20], v[9:10], v[17:18]
	v_mul_f64 v[17:18], v[11:12], v[17:18]
	s_waitcnt vmcnt(12)
	v_fma_f64 v[25:26], v[1:2], v[104:105], -v[25:26]
	;; [unrolled: 9-line block ×3, first 2 shown]
	v_fma_f64 v[11:12], v[11:12], v[33:34], v[19:20]
	v_add_f64 v[13:14], v[13:14], v[25:26]
	v_add_f64 v[15:16], v[15:16], v[21:22]
	s_waitcnt vmcnt(7) lgkmcnt(0)
	v_mul_f64 v[19:20], v[3:4], v[23:24]
	s_waitcnt vmcnt(6)
	v_fma_f64 v[5:6], v[5:6], v[102:103], -v[29:30]
	v_mul_f64 v[17:18], v[1:2], v[23:24]
	v_fma_f64 v[7:8], v[7:8], v[102:103], v[27:28]
	v_add_f64 v[9:10], v[13:14], v[9:10]
	v_add_f64 v[11:12], v[15:16], v[11:12]
	s_waitcnt vmcnt(4)
	v_fma_f64 v[1:2], v[1:2], v[31:32], -v[19:20]
	v_fma_f64 v[3:4], v[3:4], v[31:32], v[17:18]
	v_add_f64 v[5:6], v[9:10], v[5:6]
	v_add_f64 v[7:8], v[11:12], v[7:8]
	;; [unrolled: 1-line block ×4, first 2 shown]
	s_waitcnt vmcnt(2)
	v_add_f64 v[1:2], v[39:40], -v[1:2]
	s_waitcnt vmcnt(0)
	v_add_f64 v[3:4], v[45:46], -v[3:4]
	buffer_store_dword v2, off, s[0:3], 0 offset:180
	buffer_store_dword v1, off, s[0:3], 0 offset:176
	;; [unrolled: 1-line block ×4, first 2 shown]
	v_cmpx_lt_u32_e32 9, v0
	s_cbranch_execz .LBB54_325
; %bb.324:
	v_mov_b32_e32 v4, s58
	v_mov_b32_e32 v5, 0
	s_clause 0x3
	buffer_load_dword v1, v4, s[0:3], 0 offen
	buffer_load_dword v2, v4, s[0:3], 0 offen offset:4
	buffer_load_dword v3, v4, s[0:3], 0 offen offset:8
	;; [unrolled: 1-line block ×3, first 2 shown]
	buffer_store_dword v5, off, s[0:3], 0 offset:160
	buffer_store_dword v5, off, s[0:3], 0 offset:164
	;; [unrolled: 1-line block ×4, first 2 shown]
	s_waitcnt vmcnt(0)
	ds_write_b128 v95, v[1:4]
.LBB54_325:
	s_or_b32 exec_lo, exec_lo, s4
	s_waitcnt lgkmcnt(0)
	s_waitcnt_vscnt null, 0x0
	s_barrier
	buffer_gl0_inv
	s_clause 0x37
	buffer_load_dword v13, off, s[0:3], 0 offset:184
	buffer_load_dword v14, off, s[0:3], 0 offset:188
	;; [unrolled: 1-line block ×56, first 2 shown]
	v_mov_b32_e32 v96, 0
	s_mov_b32 s4, exec_lo
	ds_read_b128 v[91:94], v96 offset:1040
	s_clause 0x2
	buffer_load_dword v88, off, s[0:3], 0 offset:412
	buffer_load_dword v90, off, s[0:3], 0 offset:388
	buffer_load_dword v89, off, s[0:3], 0 offset:384
	ds_read_b128 v[1:4], v96 offset:1056
	s_clause 0x4
	buffer_load_dword v104, off, s[0:3], 0 offset:428
	buffer_load_dword v105, off, s[0:3], 0 offset:440
	;; [unrolled: 1-line block ×5, first 2 shown]
	ds_read_b128 v[97:100], v96 offset:1072
	s_waitcnt vmcnt(62) lgkmcnt(2)
	v_mul_f64 v[101:102], v[93:94], v[13:14]
	v_mul_f64 v[13:14], v[91:92], v[13:14]
	s_waitcnt vmcnt(60) lgkmcnt(1)
	v_mul_f64 v[108:109], v[3:4], v[9:10]
	s_waitcnt vmcnt(56) lgkmcnt(0)
	v_mul_f64 v[110:111], v[97:98], v[7:8]
	v_mul_f64 v[7:8], v[99:100], v[7:8]
	v_fma_f64 v[91:92], v[91:92], v[11:12], -v[101:102]
	v_mul_f64 v[101:102], v[1:2], v[9:10]
	v_fma_f64 v[13:14], v[93:94], v[11:12], v[13:14]
	s_clause 0x2
	buffer_load_dword v106, off, s[0:3], 0 offset:444
	buffer_load_dword v94, off, s[0:3], 0 offset:420
	;; [unrolled: 1-line block ×3, first 2 shown]
	s_waitcnt vmcnt(57)
	v_fma_f64 v[112:113], v[1:2], v[5:6], -v[108:109]
	ds_read_b128 v[9:12], v96 offset:1088
	s_waitcnt vmcnt(51)
	v_fma_f64 v[97:98], v[97:98], v[29:30], -v[7:8]
	v_fma_f64 v[29:30], v[99:100], v[29:30], v[110:111]
	v_add_f64 v[91:92], v[91:92], 0
	v_fma_f64 v[5:6], v[3:4], v[5:6], v[101:102]
	v_add_f64 v[13:14], v[13:14], 0
	s_clause 0x4
	buffer_load_dword v102, off, s[0:3], 0 offset:460
	buffer_load_dword v109, off, s[0:3], 0 offset:472
	;; [unrolled: 1-line block ×5, first 2 shown]
	s_waitcnt lgkmcnt(0)
	v_mul_f64 v[115:116], v[9:10], v[17:18]
	v_mul_f64 v[17:18], v[11:12], v[17:18]
	ds_read_b128 v[1:4], v96 offset:1104
	s_clause 0x2
	buffer_load_dword v110, off, s[0:3], 0 offset:476
	buffer_load_dword v100, off, s[0:3], 0 offset:452
	;; [unrolled: 1-line block ×3, first 2 shown]
	v_add_f64 v[91:92], v[91:92], v[112:113]
	v_add_f64 v[13:14], v[13:14], v[5:6]
	ds_read_b128 v[5:8], v96 offset:1120
	s_waitcnt vmcnt(58) lgkmcnt(1)
	v_mul_f64 v[111:112], v[1:2], v[21:22]
	v_mul_f64 v[21:22], v[3:4], v[21:22]
	s_waitcnt vmcnt(56)
	v_fma_f64 v[17:18], v[9:10], v[23:24], -v[17:18]
	v_fma_f64 v[23:24], v[11:12], v[23:24], v[115:116]
	v_add_f64 v[91:92], v[91:92], v[97:98]
	s_waitcnt vmcnt(52) lgkmcnt(0)
	v_mul_f64 v[117:118], v[5:6], v[25:26]
	v_add_f64 v[13:14], v[13:14], v[29:30]
	s_clause 0x4
	buffer_load_dword v30, off, s[0:3], 0 offset:492
	buffer_load_dword v97, off, s[0:3], 0 offset:504
	;; [unrolled: 1-line block ×5, first 2 shown]
	v_mul_f64 v[25:26], v[7:8], v[25:26]
	s_waitcnt vmcnt(56)
	v_fma_f64 v[21:22], v[1:2], v[15:16], -v[21:22]
	ds_read_b128 v[9:12], v96 offset:1136
	v_fma_f64 v[15:16], v[3:4], v[15:16], v[111:112]
	v_add_f64 v[17:18], v[91:92], v[17:18]
	v_add_f64 v[13:14], v[13:14], v[23:24]
	s_clause 0x2
	buffer_load_dword v98, off, s[0:3], 0 offset:508
	buffer_load_dword v24, off, s[0:3], 0 offset:484
	;; [unrolled: 1-line block ×3, first 2 shown]
	s_waitcnt vmcnt(58) lgkmcnt(0)
	v_mul_f64 v[91:92], v[9:10], v[31:32]
	v_mul_f64 v[31:32], v[11:12], v[31:32]
	s_waitcnt vmcnt(56)
	v_fma_f64 v[25:26], v[5:6], v[33:34], -v[25:26]
	ds_read_b128 v[1:4], v96 offset:1152
	v_add_f64 v[17:18], v[17:18], v[21:22]
	v_fma_f64 v[21:22], v[7:8], v[33:34], v[117:118]
	v_add_f64 v[13:14], v[13:14], v[15:16]
	s_clause 0x4
	buffer_load_dword v16, off, s[0:3], 0 offset:524
	buffer_load_dword v33, off, s[0:3], 0 offset:536
	;; [unrolled: 1-line block ×5, first 2 shown]
	ds_read_b128 v[5:8], v96 offset:1168
	s_waitcnt vmcnt(57) lgkmcnt(1)
	v_mul_f64 v[112:113], v[1:2], v[35:36]
	v_mul_f64 v[35:36], v[3:4], v[35:36]
	s_waitcnt vmcnt(56)
	v_fma_f64 v[31:32], v[9:10], v[19:20], -v[31:32]
	v_fma_f64 v[19:20], v[11:12], v[19:20], v[91:92]
	v_add_f64 v[17:18], v[17:18], v[25:26]
	v_add_f64 v[13:14], v[13:14], v[21:22]
	s_clause 0x2
	buffer_load_dword v34, off, s[0:3], 0 offset:540
	buffer_load_dword v22, off, s[0:3], 0 offset:516
	;; [unrolled: 1-line block ×3, first 2 shown]
	s_waitcnt vmcnt(58) lgkmcnt(0)
	v_mul_f64 v[25:26], v[5:6], v[39:40]
	v_mul_f64 v[39:40], v[7:8], v[39:40]
	s_waitcnt vmcnt(56)
	v_fma_f64 v[35:36], v[1:2], v[41:42], -v[35:36]
	ds_read_b128 v[9:12], v96 offset:1184
	v_add_f64 v[17:18], v[17:18], v[31:32]
	v_fma_f64 v[31:32], v[3:4], v[41:42], v[112:113]
	v_add_f64 v[13:14], v[13:14], v[19:20]
	s_clause 0x4
	buffer_load_dword v20, off, s[0:3], 0 offset:556
	buffer_load_dword v41, off, s[0:3], 0 offset:568
	;; [unrolled: 1-line block ×5, first 2 shown]
	ds_read_b128 v[1:4], v96 offset:1200
	s_waitcnt vmcnt(57) lgkmcnt(1)
	v_mul_f64 v[118:119], v[9:10], v[43:44]
	v_mul_f64 v[43:44], v[11:12], v[43:44]
	s_waitcnt vmcnt(56)
	v_fma_f64 v[39:40], v[5:6], v[27:28], -v[39:40]
	v_fma_f64 v[25:26], v[7:8], v[27:28], v[25:26]
	s_clause 0x2
	buffer_load_dword v42, off, s[0:3], 0 offset:572
	buffer_load_dword v28, off, s[0:3], 0 offset:548
	;; [unrolled: 1-line block ×3, first 2 shown]
	ds_read_b128 v[5:8], v96 offset:1216
	v_add_f64 v[17:18], v[17:18], v[35:36]
	v_add_f64 v[13:14], v[13:14], v[31:32]
	s_waitcnt vmcnt(58) lgkmcnt(1)
	v_mul_f64 v[35:36], v[3:4], v[47:48]
	v_mul_f64 v[31:32], v[1:2], v[47:48]
	s_waitcnt vmcnt(56)
	v_fma_f64 v[43:44], v[9:10], v[49:50], -v[43:44]
	v_add_f64 v[17:18], v[17:18], v[39:40]
	v_fma_f64 v[39:40], v[11:12], v[49:50], v[118:119]
	v_add_f64 v[13:14], v[13:14], v[25:26]
	s_clause 0x4
	buffer_load_dword v26, off, s[0:3], 0 offset:588
	buffer_load_dword v47, off, s[0:3], 0 offset:600
	;; [unrolled: 1-line block ×5, first 2 shown]
	s_waitcnt vmcnt(57) lgkmcnt(0)
	v_mul_f64 v[118:119], v[5:6], v[51:52]
	v_mul_f64 v[50:51], v[7:8], v[51:52]
	s_waitcnt vmcnt(56)
	v_fma_f64 v[35:36], v[1:2], v[37:38], -v[35:36]
	ds_read_b128 v[9:12], v96 offset:1232
	v_fma_f64 v[31:32], v[3:4], v[37:38], v[31:32]
	s_clause 0x2
	buffer_load_dword v48, off, s[0:3], 0 offset:604
	buffer_load_dword v38, off, s[0:3], 0 offset:580
	;; [unrolled: 1-line block ×3, first 2 shown]
	ds_read_b128 v[1:4], v96 offset:1248
	v_add_f64 v[17:18], v[17:18], v[43:44]
	v_add_f64 v[13:14], v[13:14], v[39:40]
	s_waitcnt vmcnt(58) lgkmcnt(1)
	v_mul_f64 v[43:44], v[11:12], v[55:56]
	s_waitcnt vmcnt(56)
	v_fma_f64 v[51:52], v[5:6], v[83:84], -v[50:51]
	v_mul_f64 v[39:40], v[9:10], v[55:56]
	v_add_f64 v[17:18], v[17:18], v[35:36]
	v_fma_f64 v[35:36], v[7:8], v[83:84], v[118:119]
	v_add_f64 v[13:14], v[13:14], v[31:32]
	s_clause 0x4
	buffer_load_dword v32, off, s[0:3], 0 offset:620
	buffer_load_dword v55, off, s[0:3], 0 offset:632
	;; [unrolled: 1-line block ×5, first 2 shown]
	s_waitcnt vmcnt(57) lgkmcnt(0)
	v_mul_f64 v[118:119], v[1:2], v[85:86]
	v_mul_f64 v[84:85], v[3:4], v[85:86]
	s_waitcnt vmcnt(56)
	v_fma_f64 v[43:44], v[9:10], v[45:46], -v[43:44]
	ds_read_b128 v[5:8], v96 offset:1264
	v_fma_f64 v[39:40], v[11:12], v[45:46], v[39:40]
	v_add_f64 v[17:18], v[17:18], v[51:52]
	v_add_f64 v[13:14], v[13:14], v[35:36]
	s_clause 0x2
	buffer_load_dword v56, off, s[0:3], 0 offset:636
	buffer_load_dword v36, off, s[0:3], 0 offset:612
	buffer_load_dword v35, off, s[0:3], 0 offset:608
	ds_read_b128 v[9:12], v96 offset:1280
	s_waitcnt vmcnt(58) lgkmcnt(1)
	v_mul_f64 v[51:52], v[7:8], v[87:88]
	s_waitcnt vmcnt(56)
	v_fma_f64 v[85:86], v[1:2], v[89:90], -v[84:85]
	v_mul_f64 v[45:46], v[5:6], v[87:88]
	v_add_f64 v[17:18], v[17:18], v[43:44]
	v_fma_f64 v[43:44], v[3:4], v[89:90], v[118:119]
	v_add_f64 v[13:14], v[13:14], v[39:40]
	s_clause 0x4
	buffer_load_dword v40, off, s[0:3], 0 offset:652
	buffer_load_dword v87, off, s[0:3], 0 offset:664
	;; [unrolled: 1-line block ×5, first 2 shown]
	s_waitcnt vmcnt(57) lgkmcnt(0)
	v_mul_f64 v[118:119], v[9:10], v[103:104]
	v_mul_f64 v[103:104], v[11:12], v[103:104]
	s_waitcnt vmcnt(56)
	v_fma_f64 v[51:52], v[5:6], v[53:54], -v[51:52]
	ds_read_b128 v[1:4], v96 offset:1296
	v_fma_f64 v[45:46], v[7:8], v[53:54], v[45:46]
	v_add_f64 v[17:18], v[17:18], v[85:86]
	v_add_f64 v[13:14], v[13:14], v[43:44]
	s_clause 0x2
	buffer_load_dword v88, off, s[0:3], 0 offset:668
	buffer_load_dword v44, off, s[0:3], 0 offset:644
	buffer_load_dword v43, off, s[0:3], 0 offset:640
	ds_read_b128 v[5:8], v96 offset:1312
	s_waitcnt vmcnt(58) lgkmcnt(1)
	v_mul_f64 v[85:86], v[3:4], v[105:106]
	v_mul_f64 v[53:54], v[1:2], v[105:106]
	s_waitcnt vmcnt(56)
	v_fma_f64 v[103:104], v[9:10], v[93:94], -v[103:104]
	v_add_f64 v[17:18], v[17:18], v[51:52]
	v_fma_f64 v[51:52], v[11:12], v[93:94], v[118:119]
	v_add_f64 v[13:14], v[13:14], v[45:46]
	s_clause 0x4
	buffer_load_dword v46, off, s[0:3], 0 offset:684
	buffer_load_dword v93, off, s[0:3], 0 offset:696
	buffer_load_dword v105, off, s[0:3], 0 offset:688
	buffer_load_dword v45, off, s[0:3], 0 offset:680
	buffer_load_dword v90, off, s[0:3], 0 offset:660
	ds_read_b128 v[9:12], v96 offset:1328
	s_waitcnt vmcnt(57) lgkmcnt(1)
	v_mul_f64 v[118:119], v[5:6], v[101:102]
	v_mul_f64 v[101:102], v[7:8], v[101:102]
	s_waitcnt vmcnt(56)
	v_fma_f64 v[85:86], v[1:2], v[107:108], -v[85:86]
	v_fma_f64 v[53:54], v[3:4], v[107:108], v[53:54]
	v_add_f64 v[17:18], v[17:18], v[103:104]
	v_add_f64 v[13:14], v[13:14], v[51:52]
	s_clause 0x2
	buffer_load_dword v94, off, s[0:3], 0 offset:700
	buffer_load_dword v52, off, s[0:3], 0 offset:676
	;; [unrolled: 1-line block ×3, first 2 shown]
	s_waitcnt vmcnt(58) lgkmcnt(0)
	v_mul_f64 v[107:108], v[11:12], v[109:110]
	ds_read_b128 v[1:4], v96 offset:1344
	v_mul_f64 v[103:104], v[9:10], v[109:110]
	s_waitcnt vmcnt(56)
	v_fma_f64 v[101:102], v[5:6], v[99:100], -v[101:102]
	v_add_f64 v[17:18], v[17:18], v[85:86]
	v_fma_f64 v[85:86], v[7:8], v[99:100], v[118:119]
	v_add_f64 v[13:14], v[13:14], v[53:54]
	s_clause 0x4
	buffer_load_dword v54, off, s[0:3], 0 offset:716
	buffer_load_dword v99, off, s[0:3], 0 offset:728
	;; [unrolled: 1-line block ×5, first 2 shown]
	ds_read_b128 v[5:8], v96 offset:1360
	s_waitcnt vmcnt(57) lgkmcnt(1)
	v_mul_f64 v[118:119], v[1:2], v[29:30]
	v_mul_f64 v[29:30], v[3:4], v[29:30]
	s_waitcnt vmcnt(56)
	v_fma_f64 v[107:108], v[9:10], v[114:115], -v[107:108]
	v_add_f64 v[17:18], v[17:18], v[101:102]
	v_fma_f64 v[101:102], v[11:12], v[114:115], v[103:104]
	v_add_f64 v[13:14], v[13:14], v[85:86]
	s_clause 0x2
	buffer_load_dword v100, off, s[0:3], 0 offset:732
	buffer_load_dword v86, off, s[0:3], 0 offset:708
	buffer_load_dword v85, off, s[0:3], 0 offset:704
	ds_read_b128 v[9:12], v96 offset:1376
	s_waitcnt vmcnt(58) lgkmcnt(1)
	v_mul_f64 v[103:104], v[5:6], v[97:98]
	v_mul_f64 v[97:98], v[7:8], v[97:98]
	s_waitcnt vmcnt(56)
	v_fma_f64 v[29:30], v[1:2], v[23:24], -v[29:30]
	v_fma_f64 v[23:24], v[3:4], v[23:24], v[118:119]
	v_add_f64 v[17:18], v[17:18], v[107:108]
	v_add_f64 v[13:14], v[13:14], v[101:102]
	s_clause 0x4
	buffer_load_dword v102, off, s[0:3], 0 offset:748
	buffer_load_dword v107, off, s[0:3], 0 offset:760
	;; [unrolled: 1-line block ×5, first 2 shown]
	ds_read_b128 v[1:4], v96 offset:1392
	s_waitcnt vmcnt(57) lgkmcnt(1)
	v_mul_f64 v[114:115], v[9:10], v[15:16]
	v_mul_f64 v[15:16], v[11:12], v[15:16]
	s_waitcnt vmcnt(56)
	v_fma_f64 v[97:98], v[5:6], v[116:117], -v[97:98]
	v_add_f64 v[17:18], v[17:18], v[29:30]
	v_fma_f64 v[29:30], v[7:8], v[116:117], v[103:104]
	v_add_f64 v[13:14], v[13:14], v[23:24]
	s_clause 0x2
	buffer_load_dword v108, off, s[0:3], 0 offset:764
	buffer_load_dword v24, off, s[0:3], 0 offset:740
	;; [unrolled: 1-line block ×3, first 2 shown]
	ds_read_b128 v[5:8], v96 offset:1408
	s_waitcnt vmcnt(58) lgkmcnt(1)
	v_mul_f64 v[103:104], v[1:2], v[33:34]
	v_mul_f64 v[33:34], v[3:4], v[33:34]
	s_waitcnt vmcnt(56)
	v_fma_f64 v[15:16], v[9:10], v[21:22], -v[15:16]
	v_fma_f64 v[21:22], v[11:12], v[21:22], v[114:115]
	v_add_f64 v[17:18], v[17:18], v[97:98]
	v_add_f64 v[13:14], v[13:14], v[29:30]
	s_clause 0x4
	buffer_load_dword v30, off, s[0:3], 0 offset:780
	buffer_load_dword v97, off, s[0:3], 0 offset:792
	buffer_load_dword v115, off, s[0:3], 0 offset:784
	buffer_load_dword v29, off, s[0:3], 0 offset:776
	buffer_load_dword v114, off, s[0:3], 0 offset:756
	ds_read_b128 v[9:12], v96 offset:1424
	s_waitcnt vmcnt(57) lgkmcnt(1)
	v_mul_f64 v[116:117], v[5:6], v[19:20]
	v_mul_f64 v[19:20], v[7:8], v[19:20]
	s_waitcnt vmcnt(56)
	v_fma_f64 v[33:34], v[1:2], v[111:112], -v[33:34]
	v_add_f64 v[15:16], v[17:18], v[15:16]
	v_fma_f64 v[17:18], v[3:4], v[111:112], v[103:104]
	v_add_f64 v[13:14], v[13:14], v[21:22]
	s_clause 0x2
	buffer_load_dword v98, off, s[0:3], 0 offset:796
	buffer_load_dword v22, off, s[0:3], 0 offset:772
	;; [unrolled: 1-line block ×3, first 2 shown]
	s_waitcnt vmcnt(58) lgkmcnt(0)
	v_mul_f64 v[103:104], v[9:10], v[41:42]
	v_mul_f64 v[41:42], v[11:12], v[41:42]
	ds_read_b128 v[1:4], v96 offset:1440
	s_waitcnt vmcnt(56)
	v_fma_f64 v[19:20], v[5:6], v[27:28], -v[19:20]
	v_fma_f64 v[27:28], v[7:8], v[27:28], v[116:117]
	v_add_f64 v[15:16], v[15:16], v[33:34]
	v_add_f64 v[13:14], v[13:14], v[17:18]
	s_clause 0x4
	buffer_load_dword v18, off, s[0:3], 0 offset:812
	buffer_load_dword v33, off, s[0:3], 0 offset:824
	;; [unrolled: 1-line block ×5, first 2 shown]
	ds_read_b128 v[5:8], v96 offset:1456
	s_waitcnt vmcnt(57) lgkmcnt(1)
	v_mul_f64 v[117:118], v[1:2], v[25:26]
	v_mul_f64 v[25:26], v[3:4], v[25:26]
	s_waitcnt vmcnt(56)
	v_fma_f64 v[41:42], v[9:10], v[91:92], -v[41:42]
	v_add_f64 v[15:16], v[15:16], v[19:20]
	v_fma_f64 v[19:20], v[11:12], v[91:92], v[103:104]
	v_add_f64 v[13:14], v[13:14], v[27:28]
	s_clause 0x2
	buffer_load_dword v34, off, s[0:3], 0 offset:828
	buffer_load_dword v28, off, s[0:3], 0 offset:804
	buffer_load_dword v27, off, s[0:3], 0 offset:800
	s_waitcnt vmcnt(58) lgkmcnt(0)
	v_mul_f64 v[91:92], v[5:6], v[47:48]
	v_mul_f64 v[47:48], v[7:8], v[47:48]
	ds_read_b128 v[9:12], v96 offset:1472
	s_waitcnt vmcnt(56)
	v_fma_f64 v[25:26], v[1:2], v[37:38], -v[25:26]
	v_fma_f64 v[37:38], v[3:4], v[37:38], v[117:118]
	v_add_f64 v[15:16], v[15:16], v[41:42]
	v_add_f64 v[13:14], v[13:14], v[19:20]
	s_clause 0x4
	buffer_load_dword v20, off, s[0:3], 0 offset:844
	buffer_load_dword v41, off, s[0:3], 0 offset:856
	;; [unrolled: 1-line block ×5, first 2 shown]
	ds_read_b128 v[1:4], v96 offset:1488
	s_waitcnt vmcnt(57) lgkmcnt(1)
	v_mul_f64 v[117:118], v[9:10], v[31:32]
	v_mul_f64 v[31:32], v[11:12], v[31:32]
	s_waitcnt vmcnt(56)
	v_fma_f64 v[47:48], v[5:6], v[49:50], -v[47:48]
	v_add_f64 v[15:16], v[15:16], v[25:26]
	v_fma_f64 v[25:26], v[7:8], v[49:50], v[91:92]
	v_add_f64 v[13:14], v[13:14], v[37:38]
	s_clause 0x2
	buffer_load_dword v42, off, s[0:3], 0 offset:860
	buffer_load_dword v38, off, s[0:3], 0 offset:836
	;; [unrolled: 1-line block ×3, first 2 shown]
	ds_read_b128 v[5:8], v96 offset:1504
	s_waitcnt vmcnt(58) lgkmcnt(1)
	v_mul_f64 v[49:50], v[1:2], v[55:56]
	v_mul_f64 v[55:56], v[3:4], v[55:56]
	s_waitcnt vmcnt(56)
	v_fma_f64 v[31:32], v[9:10], v[35:36], -v[31:32]
	v_fma_f64 v[35:36], v[11:12], v[35:36], v[117:118]
	v_add_f64 v[15:16], v[15:16], v[47:48]
	v_add_f64 v[13:14], v[13:14], v[25:26]
	s_clause 0x4
	buffer_load_dword v26, off, s[0:3], 0 offset:876
	buffer_load_dword v47, off, s[0:3], 0 offset:888
	buffer_load_dword v91, off, s[0:3], 0 offset:880
	buffer_load_dword v25, off, s[0:3], 0 offset:872
	buffer_load_dword v104, off, s[0:3], 0 offset:852
	ds_read_b128 v[9:12], v96 offset:1520
	s_waitcnt vmcnt(57) lgkmcnt(1)
	v_mul_f64 v[117:118], v[5:6], v[39:40]
	v_mul_f64 v[39:40], v[7:8], v[39:40]
	s_waitcnt vmcnt(56)
	v_fma_f64 v[55:56], v[1:2], v[83:84], -v[55:56]
	v_add_f64 v[15:16], v[15:16], v[31:32]
	v_fma_f64 v[31:32], v[3:4], v[83:84], v[49:50]
	v_add_f64 v[13:14], v[13:14], v[35:36]
	s_clause 0x2
	buffer_load_dword v48, off, s[0:3], 0 offset:892
	buffer_load_dword v36, off, s[0:3], 0 offset:868
	;; [unrolled: 1-line block ×3, first 2 shown]
	ds_read_b128 v[1:4], v96 offset:1536
	buffer_load_dword v92, off, s[0:3], 0 offset:884
	s_waitcnt vmcnt(59) lgkmcnt(1)
	v_mul_f64 v[83:84], v[11:12], v[87:88]
	v_mul_f64 v[49:50], v[9:10], v[87:88]
	s_waitcnt vmcnt(57)
	v_fma_f64 v[39:40], v[5:6], v[43:44], -v[39:40]
	v_fma_f64 v[43:44], v[7:8], v[43:44], v[117:118]
	ds_read_b128 v[5:8], v96 offset:1552
	v_add_f64 v[15:16], v[15:16], v[55:56]
	v_add_f64 v[13:14], v[13:14], v[31:32]
	s_waitcnt vmcnt(53) lgkmcnt(1)
	v_mul_f64 v[31:32], v[1:2], v[45:46]
	v_mul_f64 v[45:46], v[3:4], v[45:46]
	s_waitcnt vmcnt(52)
	v_fma_f64 v[55:56], v[9:10], v[89:90], -v[83:84]
	v_add_f64 v[15:16], v[15:16], v[39:40]
	v_fma_f64 v[39:40], v[11:12], v[89:90], v[49:50]
	v_add_f64 v[13:14], v[13:14], v[43:44]
	ds_read_b128 v[9:12], v96 offset:1568
	s_waitcnt vmcnt(51) lgkmcnt(1)
	v_mul_f64 v[49:50], v[7:8], v[93:94]
	v_mul_f64 v[43:44], v[5:6], v[93:94]
	s_waitcnt vmcnt(49)
	v_fma_f64 v[45:46], v[1:2], v[51:52], -v[45:46]
	v_fma_f64 v[31:32], v[3:4], v[51:52], v[31:32]
	v_add_f64 v[15:16], v[15:16], v[55:56]
	v_add_f64 v[13:14], v[13:14], v[39:40]
	s_clause 0x3
	buffer_load_dword v39, off, s[0:3], 0 offset:160
	buffer_load_dword v40, off, s[0:3], 0 offset:164
	;; [unrolled: 1-line block ×4, first 2 shown]
	ds_read_b128 v[1:4], v96 offset:1584
	s_waitcnt vmcnt(49) lgkmcnt(1)
	v_mul_f64 v[55:56], v[9:10], v[53:54]
	v_mul_f64 v[53:54], v[11:12], v[53:54]
	s_waitcnt vmcnt(48)
	v_fma_f64 v[49:50], v[5:6], v[105:106], -v[49:50]
	v_fma_f64 v[43:44], v[7:8], v[105:106], v[43:44]
	ds_read_b128 v[5:8], v96 offset:1600
	v_add_f64 v[15:16], v[15:16], v[45:46]
	v_add_f64 v[13:14], v[13:14], v[31:32]
	s_waitcnt vmcnt(47) lgkmcnt(1)
	v_mul_f64 v[45:46], v[3:4], v[99:100]
	v_mul_f64 v[31:32], v[1:2], v[99:100]
	s_waitcnt vmcnt(45)
	v_fma_f64 v[53:54], v[9:10], v[85:86], -v[53:54]
	v_add_f64 v[15:16], v[15:16], v[49:50]
	v_fma_f64 v[49:50], v[11:12], v[85:86], v[55:56]
	v_add_f64 v[13:14], v[13:14], v[43:44]
	ds_read_b128 v[9:12], v96 offset:1616
	s_waitcnt vmcnt(41) lgkmcnt(1)
	v_mul_f64 v[55:56], v[7:8], v[101:102]
	s_waitcnt vmcnt(40)
	v_fma_f64 v[45:46], v[1:2], v[109:110], -v[45:46]
	v_mul_f64 v[43:44], v[5:6], v[101:102]
	v_fma_f64 v[31:32], v[3:4], v[109:110], v[31:32]
	ds_read_b128 v[1:4], v96 offset:1632
	v_add_f64 v[15:16], v[15:16], v[53:54]
	v_add_f64 v[13:14], v[13:14], v[49:50]
	s_waitcnt vmcnt(39) lgkmcnt(1)
	v_mul_f64 v[53:54], v[11:12], v[107:108]
	v_mul_f64 v[49:50], v[9:10], v[107:108]
	s_waitcnt vmcnt(37)
	v_fma_f64 v[55:56], v[5:6], v[23:24], -v[55:56]
	v_fma_f64 v[23:24], v[7:8], v[23:24], v[43:44]
	ds_read_b128 v[5:8], v96 offset:1648
	v_add_f64 v[15:16], v[15:16], v[45:46]
	v_add_f64 v[13:14], v[13:14], v[31:32]
	s_waitcnt vmcnt(33) lgkmcnt(1)
	v_mul_f64 v[31:32], v[1:2], v[29:30]
	v_mul_f64 v[29:30], v[3:4], v[29:30]
	s_waitcnt vmcnt(32)
	v_fma_f64 v[43:44], v[9:10], v[113:114], -v[53:54]
	;; [unrolled: 9-line block ×6, first 2 shown]
	v_add_f64 v[15:16], v[15:16], v[17:18]
	v_fma_f64 v[17:18], v[3:4], v[111:112], v[21:22]
	v_add_f64 v[13:14], v[13:14], v[27:28]
	ds_read_b128 v[1:4], v96 offset:1728
	s_waitcnt vmcnt(15) lgkmcnt(1)
	v_mul_f64 v[27:28], v[11:12], v[41:42]
	v_mul_f64 v[21:22], v[9:10], v[41:42]
	s_waitcnt vmcnt(13)
	v_fma_f64 v[19:20], v[5:6], v[37:38], -v[19:20]
	v_fma_f64 v[23:24], v[7:8], v[37:38], v[23:24]
	ds_read_b128 v[5:8], v96 offset:1744
	v_add_f64 v[15:16], v[15:16], v[29:30]
	v_add_f64 v[13:14], v[13:14], v[17:18]
	s_waitcnt vmcnt(9) lgkmcnt(1)
	v_mul_f64 v[17:18], v[1:2], v[25:26]
	v_mul_f64 v[25:26], v[3:4], v[25:26]
	s_waitcnt vmcnt(8)
	v_fma_f64 v[9:10], v[9:10], v[103:104], -v[27:28]
	v_fma_f64 v[11:12], v[11:12], v[103:104], v[21:22]
	v_add_f64 v[15:16], v[15:16], v[19:20]
	v_add_f64 v[13:14], v[13:14], v[23:24]
	s_waitcnt vmcnt(7) lgkmcnt(0)
	v_mul_f64 v[21:22], v[7:8], v[47:48]
	v_mul_f64 v[19:20], v[5:6], v[47:48]
	s_waitcnt vmcnt(5)
	v_fma_f64 v[1:2], v[1:2], v[35:36], -v[25:26]
	v_fma_f64 v[3:4], v[3:4], v[35:36], v[17:18]
	v_add_f64 v[9:10], v[15:16], v[9:10]
	v_add_f64 v[11:12], v[13:14], v[11:12]
	s_waitcnt vmcnt(4)
	v_fma_f64 v[5:6], v[5:6], v[91:92], -v[21:22]
	v_fma_f64 v[7:8], v[7:8], v[91:92], v[19:20]
	v_add_f64 v[1:2], v[9:10], v[1:2]
	v_add_f64 v[3:4], v[11:12], v[3:4]
	;; [unrolled: 1-line block ×4, first 2 shown]
	s_waitcnt vmcnt(2)
	v_add_f64 v[1:2], v[39:40], -v[1:2]
	s_waitcnt vmcnt(0)
	v_add_f64 v[3:4], v[51:52], -v[3:4]
	buffer_store_dword v2, off, s[0:3], 0 offset:164
	buffer_store_dword v1, off, s[0:3], 0 offset:160
	buffer_store_dword v4, off, s[0:3], 0 offset:172
	buffer_store_dword v3, off, s[0:3], 0 offset:168
	v_cmpx_lt_u32_e32 8, v0
	s_cbranch_execz .LBB54_327
; %bb.326:
	v_mov_b32_e32 v4, s59
	s_clause 0x3
	buffer_load_dword v1, v4, s[0:3], 0 offen
	buffer_load_dword v2, v4, s[0:3], 0 offen offset:4
	buffer_load_dword v3, v4, s[0:3], 0 offen offset:8
	;; [unrolled: 1-line block ×3, first 2 shown]
	buffer_store_dword v96, off, s[0:3], 0 offset:144
	buffer_store_dword v96, off, s[0:3], 0 offset:148
	;; [unrolled: 1-line block ×4, first 2 shown]
	s_waitcnt vmcnt(0)
	ds_write_b128 v95, v[1:4]
.LBB54_327:
	s_or_b32 exec_lo, exec_lo, s4
	s_waitcnt lgkmcnt(0)
	s_waitcnt_vscnt null, 0x0
	s_barrier
	buffer_gl0_inv
	s_clause 0x37
	buffer_load_dword v17, off, s[0:3], 0 offset:168
	buffer_load_dword v18, off, s[0:3], 0 offset:172
	;; [unrolled: 1-line block ×56, first 2 shown]
	ds_read_b128 v[5:8], v96 offset:1024
	s_clause 0x2
	buffer_load_dword v92, off, s[0:3], 0 offset:396
	buffer_load_dword v94, off, s[0:3], 0 offset:372
	;; [unrolled: 1-line block ×3, first 2 shown]
	ds_read_b128 v[1:4], v96 offset:1040
	s_clause 0x4
	buffer_load_dword v104, off, s[0:3], 0 offset:412
	buffer_load_dword v105, off, s[0:3], 0 offset:424
	;; [unrolled: 1-line block ×5, first 2 shown]
	ds_read_b128 v[97:100], v96 offset:1056
	s_mov_b32 s4, exec_lo
	s_waitcnt vmcnt(62) lgkmcnt(2)
	v_mul_f64 v[101:102], v[7:8], v[17:18]
	v_mul_f64 v[17:18], v[5:6], v[17:18]
	s_waitcnt vmcnt(60) lgkmcnt(1)
	v_mul_f64 v[108:109], v[3:4], v[13:14]
	v_mul_f64 v[13:14], v[1:2], v[13:14]
	;; [unrolled: 3-line block ×3, first 2 shown]
	v_fma_f64 v[101:102], v[5:6], v[15:16], -v[101:102]
	v_fma_f64 v[15:16], v[7:8], v[15:16], v[17:18]
	s_clause 0x2
	buffer_load_dword v106, off, s[0:3], 0 offset:428
	buffer_load_dword v18, off, s[0:3], 0 offset:404
	;; [unrolled: 1-line block ×3, first 2 shown]
	s_waitcnt vmcnt(57)
	v_fma_f64 v[112:113], v[1:2], v[9:10], -v[108:109]
	ds_read_b128 v[5:8], v96 offset:1072
	v_fma_f64 v[9:10], v[3:4], v[9:10], v[13:14]
	s_waitcnt vmcnt(51)
	v_fma_f64 v[97:98], v[97:98], v[33:34], -v[11:12]
	v_fma_f64 v[33:34], v[99:100], v[33:34], v[110:111]
	v_add_f64 v[101:102], v[101:102], 0
	v_add_f64 v[13:14], v[15:16], 0
	s_clause 0x4
	buffer_load_dword v16, off, s[0:3], 0 offset:444
	buffer_load_dword v109, off, s[0:3], 0 offset:456
	;; [unrolled: 1-line block ×5, first 2 shown]
	s_waitcnt lgkmcnt(0)
	v_mul_f64 v[115:116], v[5:6], v[21:22]
	v_mul_f64 v[21:22], v[7:8], v[21:22]
	ds_read_b128 v[1:4], v96 offset:1088
	s_clause 0x2
	buffer_load_dword v110, off, s[0:3], 0 offset:460
	buffer_load_dword v100, off, s[0:3], 0 offset:436
	;; [unrolled: 1-line block ×3, first 2 shown]
	v_add_f64 v[101:102], v[101:102], v[112:113]
	v_add_f64 v[13:14], v[13:14], v[9:10]
	ds_read_b128 v[9:12], v96 offset:1104
	s_waitcnt vmcnt(58) lgkmcnt(1)
	v_mul_f64 v[111:112], v[1:2], v[25:26]
	v_mul_f64 v[25:26], v[3:4], v[25:26]
	s_waitcnt vmcnt(56)
	v_fma_f64 v[21:22], v[5:6], v[27:28], -v[21:22]
	v_fma_f64 v[27:28], v[7:8], v[27:28], v[115:116]
	s_waitcnt vmcnt(52) lgkmcnt(0)
	v_mul_f64 v[117:118], v[9:10], v[29:30]
	v_add_f64 v[97:98], v[101:102], v[97:98]
	v_add_f64 v[13:14], v[13:14], v[33:34]
	s_clause 0x4
	buffer_load_dword v34, off, s[0:3], 0 offset:476
	buffer_load_dword v101, off, s[0:3], 0 offset:488
	;; [unrolled: 1-line block ×5, first 2 shown]
	v_mul_f64 v[29:30], v[11:12], v[29:30]
	s_waitcnt vmcnt(56)
	v_fma_f64 v[25:26], v[1:2], v[19:20], -v[25:26]
	ds_read_b128 v[5:8], v96 offset:1120
	v_fma_f64 v[19:20], v[3:4], v[19:20], v[111:112]
	v_add_f64 v[21:22], v[97:98], v[21:22]
	v_add_f64 v[13:14], v[13:14], v[27:28]
	s_clause 0x2
	buffer_load_dword v102, off, s[0:3], 0 offset:492
	buffer_load_dword v28, off, s[0:3], 0 offset:468
	;; [unrolled: 1-line block ×3, first 2 shown]
	s_waitcnt vmcnt(58) lgkmcnt(0)
	v_mul_f64 v[97:98], v[5:6], v[35:36]
	v_mul_f64 v[35:36], v[7:8], v[35:36]
	s_waitcnt vmcnt(56)
	v_fma_f64 v[29:30], v[9:10], v[37:38], -v[29:30]
	ds_read_b128 v[1:4], v96 offset:1136
	v_add_f64 v[21:22], v[21:22], v[25:26]
	v_fma_f64 v[25:26], v[11:12], v[37:38], v[117:118]
	v_add_f64 v[13:14], v[13:14], v[19:20]
	s_clause 0x4
	buffer_load_dword v20, off, s[0:3], 0 offset:508
	buffer_load_dword v37, off, s[0:3], 0 offset:520
	;; [unrolled: 1-line block ×5, first 2 shown]
	s_waitcnt vmcnt(57) lgkmcnt(0)
	v_mul_f64 v[112:113], v[1:2], v[39:40]
	v_mul_f64 v[39:40], v[3:4], v[39:40]
	s_waitcnt vmcnt(56)
	v_fma_f64 v[35:36], v[5:6], v[23:24], -v[35:36]
	ds_read_b128 v[9:12], v96 offset:1152
	v_fma_f64 v[23:24], v[7:8], v[23:24], v[97:98]
	v_add_f64 v[21:22], v[21:22], v[29:30]
	v_add_f64 v[13:14], v[13:14], v[25:26]
	s_clause 0x2
	buffer_load_dword v38, off, s[0:3], 0 offset:524
	buffer_load_dword v26, off, s[0:3], 0 offset:500
	;; [unrolled: 1-line block ×3, first 2 shown]
	ds_read_b128 v[5:8], v96 offset:1168
	s_waitcnt vmcnt(58) lgkmcnt(1)
	v_mul_f64 v[29:30], v[9:10], v[43:44]
	v_mul_f64 v[43:44], v[11:12], v[43:44]
	s_waitcnt vmcnt(56)
	v_fma_f64 v[39:40], v[1:2], v[45:46], -v[39:40]
	v_add_f64 v[21:22], v[21:22], v[35:36]
	v_fma_f64 v[35:36], v[3:4], v[45:46], v[112:113]
	v_add_f64 v[13:14], v[13:14], v[23:24]
	s_clause 0x4
	buffer_load_dword v24, off, s[0:3], 0 offset:540
	buffer_load_dword v45, off, s[0:3], 0 offset:552
	;; [unrolled: 1-line block ×5, first 2 shown]
	s_waitcnt vmcnt(57) lgkmcnt(0)
	v_mul_f64 v[118:119], v[5:6], v[47:48]
	v_mul_f64 v[47:48], v[7:8], v[47:48]
	s_waitcnt vmcnt(56)
	v_fma_f64 v[43:44], v[9:10], v[31:32], -v[43:44]
	ds_read_b128 v[1:4], v96 offset:1184
	v_fma_f64 v[29:30], v[11:12], v[31:32], v[29:30]
	s_clause 0x2
	buffer_load_dword v46, off, s[0:3], 0 offset:556
	buffer_load_dword v32, off, s[0:3], 0 offset:532
	;; [unrolled: 1-line block ×3, first 2 shown]
	ds_read_b128 v[9:12], v96 offset:1200
	v_add_f64 v[21:22], v[21:22], v[39:40]
	v_add_f64 v[13:14], v[13:14], v[35:36]
	s_waitcnt vmcnt(58) lgkmcnt(1)
	v_mul_f64 v[39:40], v[3:4], v[51:52]
	s_waitcnt vmcnt(56)
	v_fma_f64 v[47:48], v[5:6], v[53:54], -v[47:48]
	v_mul_f64 v[35:36], v[1:2], v[51:52]
	v_add_f64 v[21:22], v[21:22], v[43:44]
	v_fma_f64 v[43:44], v[7:8], v[53:54], v[118:119]
	v_add_f64 v[13:14], v[13:14], v[29:30]
	s_clause 0x4
	buffer_load_dword v30, off, s[0:3], 0 offset:572
	buffer_load_dword v51, off, s[0:3], 0 offset:584
	;; [unrolled: 1-line block ×5, first 2 shown]
	s_waitcnt vmcnt(57) lgkmcnt(0)
	v_mul_f64 v[118:119], v[9:10], v[55:56]
	v_mul_f64 v[54:55], v[11:12], v[55:56]
	s_waitcnt vmcnt(56)
	v_fma_f64 v[39:40], v[1:2], v[41:42], -v[39:40]
	ds_read_b128 v[5:8], v96 offset:1216
	v_fma_f64 v[35:36], v[3:4], v[41:42], v[35:36]
	s_clause 0x2
	buffer_load_dword v52, off, s[0:3], 0 offset:588
	buffer_load_dword v42, off, s[0:3], 0 offset:564
	;; [unrolled: 1-line block ×3, first 2 shown]
	ds_read_b128 v[1:4], v96 offset:1232
	v_add_f64 v[21:22], v[21:22], v[47:48]
	v_add_f64 v[13:14], v[13:14], v[43:44]
	s_waitcnt vmcnt(58) lgkmcnt(1)
	v_mul_f64 v[47:48], v[7:8], v[85:86]
	s_waitcnt vmcnt(56)
	v_fma_f64 v[55:56], v[9:10], v[87:88], -v[54:55]
	v_mul_f64 v[43:44], v[5:6], v[85:86]
	v_add_f64 v[21:22], v[21:22], v[39:40]
	v_fma_f64 v[39:40], v[11:12], v[87:88], v[118:119]
	v_add_f64 v[13:14], v[13:14], v[35:36]
	s_clause 0x4
	buffer_load_dword v36, off, s[0:3], 0 offset:604
	buffer_load_dword v85, off, s[0:3], 0 offset:616
	;; [unrolled: 1-line block ×5, first 2 shown]
	s_waitcnt vmcnt(57) lgkmcnt(0)
	v_mul_f64 v[118:119], v[1:2], v[89:90]
	v_mul_f64 v[88:89], v[3:4], v[89:90]
	s_waitcnt vmcnt(56)
	v_fma_f64 v[47:48], v[5:6], v[49:50], -v[47:48]
	ds_read_b128 v[9:12], v96 offset:1248
	v_fma_f64 v[43:44], v[7:8], v[49:50], v[43:44]
	v_add_f64 v[21:22], v[21:22], v[55:56]
	v_add_f64 v[13:14], v[13:14], v[39:40]
	s_clause 0x2
	buffer_load_dword v86, off, s[0:3], 0 offset:620
	buffer_load_dword v40, off, s[0:3], 0 offset:596
	;; [unrolled: 1-line block ×3, first 2 shown]
	ds_read_b128 v[5:8], v96 offset:1264
	s_waitcnt vmcnt(58) lgkmcnt(1)
	v_mul_f64 v[55:56], v[11:12], v[91:92]
	s_waitcnt vmcnt(56)
	v_fma_f64 v[89:90], v[1:2], v[93:94], -v[88:89]
	v_mul_f64 v[49:50], v[9:10], v[91:92]
	v_add_f64 v[21:22], v[21:22], v[47:48]
	v_fma_f64 v[47:48], v[3:4], v[93:94], v[118:119]
	v_add_f64 v[13:14], v[13:14], v[43:44]
	s_clause 0x4
	buffer_load_dword v44, off, s[0:3], 0 offset:636
	buffer_load_dword v91, off, s[0:3], 0 offset:648
	;; [unrolled: 1-line block ×5, first 2 shown]
	s_waitcnt vmcnt(57) lgkmcnt(0)
	v_mul_f64 v[118:119], v[5:6], v[103:104]
	v_mul_f64 v[103:104], v[7:8], v[103:104]
	s_waitcnt vmcnt(56)
	v_fma_f64 v[55:56], v[9:10], v[83:84], -v[55:56]
	ds_read_b128 v[1:4], v96 offset:1280
	v_fma_f64 v[49:50], v[11:12], v[83:84], v[49:50]
	v_add_f64 v[21:22], v[21:22], v[89:90]
	v_add_f64 v[13:14], v[13:14], v[47:48]
	s_clause 0x2
	buffer_load_dword v92, off, s[0:3], 0 offset:652
	buffer_load_dword v48, off, s[0:3], 0 offset:628
	;; [unrolled: 1-line block ×3, first 2 shown]
	ds_read_b128 v[9:12], v96 offset:1296
	s_waitcnt vmcnt(58) lgkmcnt(1)
	v_mul_f64 v[89:90], v[3:4], v[105:106]
	v_mul_f64 v[83:84], v[1:2], v[105:106]
	s_waitcnt vmcnt(56)
	v_fma_f64 v[103:104], v[5:6], v[17:18], -v[103:104]
	v_fma_f64 v[17:18], v[7:8], v[17:18], v[118:119]
	v_add_f64 v[21:22], v[21:22], v[55:56]
	v_add_f64 v[13:14], v[13:14], v[49:50]
	s_clause 0x4
	buffer_load_dword v50, off, s[0:3], 0 offset:668
	buffer_load_dword v55, off, s[0:3], 0 offset:680
	;; [unrolled: 1-line block ×5, first 2 shown]
	ds_read_b128 v[5:8], v96 offset:1312
	s_waitcnt vmcnt(57) lgkmcnt(1)
	v_mul_f64 v[118:119], v[9:10], v[15:16]
	v_mul_f64 v[15:16], v[11:12], v[15:16]
	s_waitcnt vmcnt(56)
	v_fma_f64 v[89:90], v[1:2], v[107:108], -v[89:90]
	v_fma_f64 v[83:84], v[3:4], v[107:108], v[83:84]
	v_add_f64 v[21:22], v[21:22], v[103:104]
	v_add_f64 v[13:14], v[13:14], v[17:18]
	s_clause 0x2
	buffer_load_dword v56, off, s[0:3], 0 offset:684
	buffer_load_dword v18, off, s[0:3], 0 offset:660
	buffer_load_dword v17, off, s[0:3], 0 offset:656
	s_waitcnt vmcnt(58) lgkmcnt(0)
	v_mul_f64 v[107:108], v[7:8], v[109:110]
	ds_read_b128 v[1:4], v96 offset:1328
	v_mul_f64 v[103:104], v[5:6], v[109:110]
	s_waitcnt vmcnt(56)
	v_fma_f64 v[15:16], v[9:10], v[99:100], -v[15:16]
	v_add_f64 v[21:22], v[21:22], v[89:90]
	v_fma_f64 v[89:90], v[11:12], v[99:100], v[118:119]
	v_add_f64 v[13:14], v[13:14], v[83:84]
	s_clause 0x4
	buffer_load_dword v84, off, s[0:3], 0 offset:700
	buffer_load_dword v99, off, s[0:3], 0 offset:712
	;; [unrolled: 1-line block ×5, first 2 shown]
	ds_read_b128 v[9:12], v96 offset:1344
	s_waitcnt vmcnt(57) lgkmcnt(1)
	v_mul_f64 v[118:119], v[1:2], v[33:34]
	v_mul_f64 v[33:34], v[3:4], v[33:34]
	s_waitcnt vmcnt(56)
	v_fma_f64 v[107:108], v[5:6], v[114:115], -v[107:108]
	v_add_f64 v[15:16], v[21:22], v[15:16]
	v_fma_f64 v[21:22], v[7:8], v[114:115], v[103:104]
	v_add_f64 v[13:14], v[13:14], v[89:90]
	s_clause 0x2
	buffer_load_dword v100, off, s[0:3], 0 offset:716
	buffer_load_dword v90, off, s[0:3], 0 offset:692
	;; [unrolled: 1-line block ×3, first 2 shown]
	ds_read_b128 v[5:8], v96 offset:1360
	s_waitcnt vmcnt(58) lgkmcnt(1)
	v_mul_f64 v[103:104], v[9:10], v[101:102]
	v_mul_f64 v[101:102], v[11:12], v[101:102]
	s_waitcnt vmcnt(56)
	v_fma_f64 v[33:34], v[1:2], v[27:28], -v[33:34]
	v_fma_f64 v[27:28], v[3:4], v[27:28], v[118:119]
	v_add_f64 v[15:16], v[15:16], v[107:108]
	v_add_f64 v[13:14], v[13:14], v[21:22]
	s_clause 0x4
	buffer_load_dword v22, off, s[0:3], 0 offset:732
	buffer_load_dword v107, off, s[0:3], 0 offset:744
	;; [unrolled: 1-line block ×5, first 2 shown]
	ds_read_b128 v[1:4], v96 offset:1376
	s_waitcnt vmcnt(57) lgkmcnt(1)
	v_mul_f64 v[114:115], v[5:6], v[19:20]
	v_mul_f64 v[19:20], v[7:8], v[19:20]
	s_waitcnt vmcnt(56)
	v_fma_f64 v[101:102], v[9:10], v[116:117], -v[101:102]
	v_add_f64 v[15:16], v[15:16], v[33:34]
	v_fma_f64 v[33:34], v[11:12], v[116:117], v[103:104]
	v_add_f64 v[13:14], v[13:14], v[27:28]
	s_clause 0x2
	buffer_load_dword v108, off, s[0:3], 0 offset:748
	buffer_load_dword v28, off, s[0:3], 0 offset:724
	;; [unrolled: 1-line block ×3, first 2 shown]
	ds_read_b128 v[9:12], v96 offset:1392
	s_waitcnt vmcnt(58) lgkmcnt(1)
	v_mul_f64 v[103:104], v[1:2], v[37:38]
	v_mul_f64 v[37:38], v[3:4], v[37:38]
	s_waitcnt vmcnt(56)
	v_fma_f64 v[19:20], v[5:6], v[25:26], -v[19:20]
	v_fma_f64 v[25:26], v[7:8], v[25:26], v[114:115]
	v_add_f64 v[15:16], v[15:16], v[101:102]
	v_add_f64 v[13:14], v[13:14], v[33:34]
	s_clause 0x4
	buffer_load_dword v34, off, s[0:3], 0 offset:764
	buffer_load_dword v101, off, s[0:3], 0 offset:776
	;; [unrolled: 1-line block ×5, first 2 shown]
	ds_read_b128 v[5:8], v96 offset:1408
	s_waitcnt vmcnt(57) lgkmcnt(1)
	v_mul_f64 v[116:117], v[9:10], v[23:24]
	v_mul_f64 v[23:24], v[11:12], v[23:24]
	s_waitcnt vmcnt(56)
	v_fma_f64 v[37:38], v[1:2], v[111:112], -v[37:38]
	v_add_f64 v[15:16], v[15:16], v[19:20]
	v_fma_f64 v[19:20], v[3:4], v[111:112], v[103:104]
	v_add_f64 v[13:14], v[13:14], v[25:26]
	s_clause 0x2
	buffer_load_dword v102, off, s[0:3], 0 offset:780
	buffer_load_dword v26, off, s[0:3], 0 offset:756
	;; [unrolled: 1-line block ×3, first 2 shown]
	s_waitcnt vmcnt(58) lgkmcnt(0)
	v_mul_f64 v[103:104], v[5:6], v[45:46]
	v_mul_f64 v[45:46], v[7:8], v[45:46]
	ds_read_b128 v[1:4], v96 offset:1424
	s_waitcnt vmcnt(56)
	v_fma_f64 v[23:24], v[9:10], v[31:32], -v[23:24]
	v_fma_f64 v[31:32], v[11:12], v[31:32], v[116:117]
	v_add_f64 v[15:16], v[15:16], v[37:38]
	v_add_f64 v[13:14], v[13:14], v[19:20]
	s_clause 0x4
	buffer_load_dword v20, off, s[0:3], 0 offset:796
	buffer_load_dword v37, off, s[0:3], 0 offset:808
	;; [unrolled: 1-line block ×5, first 2 shown]
	ds_read_b128 v[9:12], v96 offset:1440
	s_waitcnt vmcnt(57) lgkmcnt(1)
	v_mul_f64 v[117:118], v[1:2], v[29:30]
	v_mul_f64 v[29:30], v[3:4], v[29:30]
	s_waitcnt vmcnt(56)
	v_fma_f64 v[45:46], v[5:6], v[97:98], -v[45:46]
	v_add_f64 v[15:16], v[15:16], v[23:24]
	v_fma_f64 v[23:24], v[7:8], v[97:98], v[103:104]
	v_add_f64 v[13:14], v[13:14], v[31:32]
	s_clause 0x2
	buffer_load_dword v38, off, s[0:3], 0 offset:812
	buffer_load_dword v32, off, s[0:3], 0 offset:788
	;; [unrolled: 1-line block ×3, first 2 shown]
	s_waitcnt vmcnt(58) lgkmcnt(0)
	v_mul_f64 v[97:98], v[9:10], v[51:52]
	v_mul_f64 v[51:52], v[11:12], v[51:52]
	ds_read_b128 v[5:8], v96 offset:1456
	s_waitcnt vmcnt(56)
	v_fma_f64 v[29:30], v[1:2], v[41:42], -v[29:30]
	v_fma_f64 v[41:42], v[3:4], v[41:42], v[117:118]
	v_add_f64 v[15:16], v[15:16], v[45:46]
	v_add_f64 v[13:14], v[13:14], v[23:24]
	s_clause 0x4
	buffer_load_dword v24, off, s[0:3], 0 offset:828
	buffer_load_dword v45, off, s[0:3], 0 offset:840
	;; [unrolled: 1-line block ×5, first 2 shown]
	ds_read_b128 v[1:4], v96 offset:1472
	s_waitcnt vmcnt(57) lgkmcnt(1)
	v_mul_f64 v[117:118], v[5:6], v[35:36]
	v_mul_f64 v[35:36], v[7:8], v[35:36]
	s_waitcnt vmcnt(56)
	v_fma_f64 v[51:52], v[9:10], v[53:54], -v[51:52]
	v_add_f64 v[15:16], v[15:16], v[29:30]
	v_fma_f64 v[29:30], v[11:12], v[53:54], v[97:98]
	v_add_f64 v[13:14], v[13:14], v[41:42]
	s_clause 0x2
	buffer_load_dword v46, off, s[0:3], 0 offset:844
	buffer_load_dword v42, off, s[0:3], 0 offset:820
	;; [unrolled: 1-line block ×3, first 2 shown]
	ds_read_b128 v[9:12], v96 offset:1488
	s_waitcnt vmcnt(58) lgkmcnt(1)
	v_mul_f64 v[53:54], v[1:2], v[85:86]
	v_mul_f64 v[85:86], v[3:4], v[85:86]
	s_waitcnt vmcnt(56)
	v_fma_f64 v[35:36], v[5:6], v[39:40], -v[35:36]
	v_fma_f64 v[39:40], v[7:8], v[39:40], v[117:118]
	v_add_f64 v[15:16], v[15:16], v[51:52]
	v_add_f64 v[13:14], v[13:14], v[29:30]
	s_clause 0x4
	buffer_load_dword v30, off, s[0:3], 0 offset:860
	buffer_load_dword v51, off, s[0:3], 0 offset:872
	;; [unrolled: 1-line block ×5, first 2 shown]
	ds_read_b128 v[5:8], v96 offset:1504
	s_waitcnt vmcnt(57) lgkmcnt(1)
	v_mul_f64 v[117:118], v[9:10], v[43:44]
	v_mul_f64 v[43:44], v[11:12], v[43:44]
	s_waitcnt vmcnt(56)
	v_fma_f64 v[85:86], v[1:2], v[87:88], -v[85:86]
	v_add_f64 v[15:16], v[15:16], v[35:36]
	v_fma_f64 v[35:36], v[3:4], v[87:88], v[53:54]
	v_add_f64 v[13:14], v[13:14], v[39:40]
	s_clause 0x2
	buffer_load_dword v52, off, s[0:3], 0 offset:876
	buffer_load_dword v40, off, s[0:3], 0 offset:852
	;; [unrolled: 1-line block ×3, first 2 shown]
	ds_read_b128 v[1:4], v96 offset:1520
	s_waitcnt vmcnt(58) lgkmcnt(1)
	v_mul_f64 v[87:88], v[7:8], v[91:92]
	v_mul_f64 v[53:54], v[5:6], v[91:92]
	s_waitcnt vmcnt(56)
	v_fma_f64 v[43:44], v[9:10], v[47:48], -v[43:44]
	v_fma_f64 v[47:48], v[11:12], v[47:48], v[117:118]
	v_add_f64 v[15:16], v[15:16], v[85:86]
	v_add_f64 v[13:14], v[13:14], v[35:36]
	s_clause 0x2
	buffer_load_dword v36, off, s[0:3], 0 offset:892
	buffer_load_dword v35, off, s[0:3], 0 offset:888
	;; [unrolled: 1-line block ×3, first 2 shown]
	ds_read_b128 v[9:12], v96 offset:1536
	s_waitcnt vmcnt(55) lgkmcnt(1)
	v_mul_f64 v[85:86], v[1:2], v[49:50]
	v_mul_f64 v[49:50], v[3:4], v[49:50]
	s_waitcnt vmcnt(54)
	v_fma_f64 v[87:88], v[5:6], v[93:94], -v[87:88]
	v_add_f64 v[15:16], v[15:16], v[43:44]
	v_fma_f64 v[43:44], v[7:8], v[93:94], v[53:54]
	v_add_f64 v[13:14], v[13:14], v[47:48]
	s_clause 0x1
	buffer_load_dword v48, off, s[0:3], 0 offset:884
	buffer_load_dword v47, off, s[0:3], 0 offset:880
	ds_read_b128 v[5:8], v96 offset:1552
	s_waitcnt vmcnt(55) lgkmcnt(1)
	v_mul_f64 v[53:54], v[9:10], v[55:56]
	v_mul_f64 v[55:56], v[11:12], v[55:56]
	s_waitcnt vmcnt(53)
	v_fma_f64 v[49:50], v[1:2], v[17:18], -v[49:50]
	v_fma_f64 v[17:18], v[3:4], v[17:18], v[85:86]
	ds_read_b128 v[1:4], v96 offset:1568
	v_add_f64 v[15:16], v[15:16], v[87:88]
	v_add_f64 v[13:14], v[13:14], v[43:44]
	s_waitcnt vmcnt(49) lgkmcnt(1)
	v_mul_f64 v[43:44], v[5:6], v[83:84]
	v_mul_f64 v[83:84], v[7:8], v[83:84]
	s_waitcnt vmcnt(48)
	v_fma_f64 v[55:56], v[9:10], v[105:106], -v[55:56]
	v_add_f64 v[15:16], v[15:16], v[49:50]
	v_fma_f64 v[49:50], v[11:12], v[105:106], v[53:54]
	v_add_f64 v[13:14], v[13:14], v[17:18]
	s_clause 0x3
	buffer_load_dword v17, off, s[0:3], 0 offset:144
	buffer_load_dword v18, off, s[0:3], 0 offset:148
	;; [unrolled: 1-line block ×4, first 2 shown]
	ds_read_b128 v[9:12], v96 offset:1584
	s_waitcnt vmcnt(51) lgkmcnt(1)
	v_mul_f64 v[87:88], v[3:4], v[99:100]
	v_mul_f64 v[85:86], v[1:2], v[99:100]
	s_waitcnt vmcnt(49)
	v_fma_f64 v[83:84], v[5:6], v[89:90], -v[83:84]
	v_fma_f64 v[43:44], v[7:8], v[89:90], v[43:44]
	ds_read_b128 v[5:8], v96 offset:1600
	v_add_f64 v[15:16], v[15:16], v[55:56]
	v_add_f64 v[13:14], v[13:14], v[49:50]
	s_waitcnt vmcnt(45) lgkmcnt(1)
	v_mul_f64 v[49:50], v[9:10], v[21:22]
	v_mul_f64 v[21:22], v[11:12], v[21:22]
	s_waitcnt vmcnt(44)
	v_fma_f64 v[55:56], v[1:2], v[109:110], -v[87:88]
	v_add_f64 v[15:16], v[15:16], v[83:84]
	v_fma_f64 v[83:84], v[3:4], v[109:110], v[85:86]
	v_add_f64 v[13:14], v[13:14], v[43:44]
	ds_read_b128 v[1:4], v96 offset:1616
	s_waitcnt vmcnt(43) lgkmcnt(1)
	v_mul_f64 v[85:86], v[7:8], v[107:108]
	v_mul_f64 v[43:44], v[5:6], v[107:108]
	s_waitcnt vmcnt(41)
	v_fma_f64 v[21:22], v[9:10], v[27:28], -v[21:22]
	v_fma_f64 v[27:28], v[11:12], v[27:28], v[49:50]
	ds_read_b128 v[9:12], v96 offset:1632
	v_add_f64 v[15:16], v[15:16], v[55:56]
	v_add_f64 v[13:14], v[13:14], v[83:84]
	s_waitcnt vmcnt(37) lgkmcnt(1)
	v_mul_f64 v[49:50], v[1:2], v[33:34]
	v_mul_f64 v[33:34], v[3:4], v[33:34]
	s_waitcnt vmcnt(36)
	v_fma_f64 v[55:56], v[5:6], v[113:114], -v[85:86]
	v_add_f64 v[15:16], v[15:16], v[21:22]
	v_fma_f64 v[21:22], v[7:8], v[113:114], v[43:44]
	v_add_f64 v[13:14], v[13:14], v[27:28]
	ds_read_b128 v[5:8], v96 offset:1648
	s_waitcnt vmcnt(35) lgkmcnt(1)
	v_mul_f64 v[43:44], v[11:12], v[101:102]
	v_mul_f64 v[27:28], v[9:10], v[101:102]
	s_waitcnt vmcnt(33)
	v_fma_f64 v[33:34], v[1:2], v[25:26], -v[33:34]
	v_fma_f64 v[25:26], v[3:4], v[25:26], v[49:50]
	ds_read_b128 v[1:4], v96 offset:1664
	v_add_f64 v[15:16], v[15:16], v[55:56]
	v_add_f64 v[13:14], v[13:14], v[21:22]
	s_waitcnt vmcnt(29) lgkmcnt(1)
	v_mul_f64 v[21:22], v[5:6], v[19:20]
	v_mul_f64 v[19:20], v[7:8], v[19:20]
	s_waitcnt vmcnt(28)
	v_fma_f64 v[43:44], v[9:10], v[115:116], -v[43:44]
	v_fma_f64 v[27:28], v[11:12], v[115:116], v[27:28]
	ds_read_b128 v[9:12], v96 offset:1680
	v_add_f64 v[15:16], v[15:16], v[33:34]
	v_add_f64 v[13:14], v[13:14], v[25:26]
	;; [unrolled: 9-line block ×3, first 2 shown]
	s_waitcnt vmcnt(21) lgkmcnt(1)
	v_mul_f64 v[27:28], v[9:10], v[23:24]
	v_mul_f64 v[23:24], v[11:12], v[23:24]
	s_waitcnt vmcnt(20)
	v_fma_f64 v[31:32], v[1:2], v[111:112], -v[33:34]
	v_add_f64 v[15:16], v[15:16], v[19:20]
	v_fma_f64 v[19:20], v[3:4], v[111:112], v[25:26]
	v_add_f64 v[13:14], v[13:14], v[21:22]
	ds_read_b128 v[1:4], v96 offset:1712
	s_waitcnt vmcnt(19) lgkmcnt(1)
	v_mul_f64 v[25:26], v[7:8], v[45:46]
	v_mul_f64 v[21:22], v[5:6], v[45:46]
	s_waitcnt vmcnt(17)
	v_fma_f64 v[23:24], v[9:10], v[41:42], -v[23:24]
	v_fma_f64 v[27:28], v[11:12], v[41:42], v[27:28]
	ds_read_b128 v[9:12], v96 offset:1728
	v_add_f64 v[15:16], v[15:16], v[31:32]
	v_add_f64 v[13:14], v[13:14], v[19:20]
	s_waitcnt vmcnt(13) lgkmcnt(1)
	v_mul_f64 v[19:20], v[1:2], v[29:30]
	v_mul_f64 v[29:30], v[3:4], v[29:30]
	s_waitcnt vmcnt(12)
	v_fma_f64 v[25:26], v[5:6], v[103:104], -v[25:26]
	v_fma_f64 v[21:22], v[7:8], v[103:104], v[21:22]
	ds_read_b128 v[5:8], v96 offset:1744
	v_add_f64 v[15:16], v[15:16], v[23:24]
	v_add_f64 v[13:14], v[13:14], v[27:28]
	s_waitcnt vmcnt(11) lgkmcnt(1)
	v_mul_f64 v[27:28], v[11:12], v[51:52]
	v_mul_f64 v[23:24], v[9:10], v[51:52]
	s_waitcnt vmcnt(9)
	v_fma_f64 v[1:2], v[1:2], v[39:40], -v[29:30]
	v_fma_f64 v[3:4], v[3:4], v[39:40], v[19:20]
	v_add_f64 v[15:16], v[15:16], v[25:26]
	v_add_f64 v[13:14], v[13:14], v[21:22]
	s_waitcnt vmcnt(7) lgkmcnt(0)
	v_mul_f64 v[21:22], v[7:8], v[35:36]
	s_waitcnt vmcnt(6)
	v_fma_f64 v[9:10], v[9:10], v[97:98], -v[27:28]
	v_mul_f64 v[19:20], v[5:6], v[35:36]
	v_fma_f64 v[11:12], v[11:12], v[97:98], v[23:24]
	v_add_f64 v[1:2], v[15:16], v[1:2]
	v_add_f64 v[3:4], v[13:14], v[3:4]
	s_waitcnt vmcnt(4)
	v_fma_f64 v[5:6], v[5:6], v[47:48], -v[21:22]
	v_fma_f64 v[7:8], v[7:8], v[47:48], v[19:20]
	v_add_f64 v[1:2], v[1:2], v[9:10]
	v_add_f64 v[3:4], v[3:4], v[11:12]
	v_add_f64 v[1:2], v[1:2], v[5:6]
	v_add_f64 v[3:4], v[3:4], v[7:8]
	s_waitcnt vmcnt(2)
	v_add_f64 v[1:2], v[17:18], -v[1:2]
	s_waitcnt vmcnt(0)
	v_add_f64 v[3:4], v[53:54], -v[3:4]
	buffer_store_dword v2, off, s[0:3], 0 offset:148
	buffer_store_dword v1, off, s[0:3], 0 offset:144
	;; [unrolled: 1-line block ×4, first 2 shown]
	v_cmpx_lt_u32_e32 7, v0
	s_cbranch_execz .LBB54_329
; %bb.328:
	v_mov_b32_e32 v4, s60
	v_mov_b32_e32 v5, 0
	s_clause 0x3
	buffer_load_dword v1, v4, s[0:3], 0 offen
	buffer_load_dword v2, v4, s[0:3], 0 offen offset:4
	buffer_load_dword v3, v4, s[0:3], 0 offen offset:8
	;; [unrolled: 1-line block ×3, first 2 shown]
	buffer_store_dword v5, off, s[0:3], 0 offset:128
	buffer_store_dword v5, off, s[0:3], 0 offset:132
	;; [unrolled: 1-line block ×4, first 2 shown]
	s_waitcnt vmcnt(0)
	ds_write_b128 v95, v[1:4]
.LBB54_329:
	s_or_b32 exec_lo, exec_lo, s4
	s_waitcnt lgkmcnt(0)
	s_waitcnt_vscnt null, 0x0
	s_barrier
	buffer_gl0_inv
	s_clause 0x37
	buffer_load_dword v17, off, s[0:3], 0 offset:152
	buffer_load_dword v18, off, s[0:3], 0 offset:156
	;; [unrolled: 1-line block ×56, first 2 shown]
	v_mov_b32_e32 v96, 0
	s_mov_b32 s4, exec_lo
	ds_read_b128 v[5:8], v96 offset:1008
	s_clause 0x2
	buffer_load_dword v92, off, s[0:3], 0 offset:380
	buffer_load_dword v94, off, s[0:3], 0 offset:356
	;; [unrolled: 1-line block ×3, first 2 shown]
	ds_read_b128 v[1:4], v96 offset:1024
	s_clause 0x4
	buffer_load_dword v104, off, s[0:3], 0 offset:396
	buffer_load_dword v105, off, s[0:3], 0 offset:408
	;; [unrolled: 1-line block ×5, first 2 shown]
	ds_read_b128 v[97:100], v96 offset:1040
	s_waitcnt vmcnt(62) lgkmcnt(2)
	v_mul_f64 v[101:102], v[7:8], v[17:18]
	v_mul_f64 v[17:18], v[5:6], v[17:18]
	s_waitcnt vmcnt(60) lgkmcnt(1)
	v_mul_f64 v[108:109], v[3:4], v[13:14]
	v_mul_f64 v[13:14], v[1:2], v[13:14]
	;; [unrolled: 3-line block ×3, first 2 shown]
	v_fma_f64 v[101:102], v[5:6], v[15:16], -v[101:102]
	v_fma_f64 v[15:16], v[7:8], v[15:16], v[17:18]
	s_clause 0x2
	buffer_load_dword v106, off, s[0:3], 0 offset:412
	buffer_load_dword v18, off, s[0:3], 0 offset:388
	;; [unrolled: 1-line block ×3, first 2 shown]
	s_waitcnt vmcnt(57)
	v_fma_f64 v[112:113], v[1:2], v[9:10], -v[108:109]
	ds_read_b128 v[5:8], v96 offset:1056
	v_fma_f64 v[9:10], v[3:4], v[9:10], v[13:14]
	s_waitcnt vmcnt(51)
	v_fma_f64 v[97:98], v[97:98], v[33:34], -v[11:12]
	v_fma_f64 v[33:34], v[99:100], v[33:34], v[110:111]
	v_add_f64 v[101:102], v[101:102], 0
	v_add_f64 v[13:14], v[15:16], 0
	s_clause 0x4
	buffer_load_dword v16, off, s[0:3], 0 offset:428
	buffer_load_dword v109, off, s[0:3], 0 offset:440
	;; [unrolled: 1-line block ×5, first 2 shown]
	s_waitcnt lgkmcnt(0)
	v_mul_f64 v[115:116], v[5:6], v[21:22]
	v_mul_f64 v[21:22], v[7:8], v[21:22]
	ds_read_b128 v[1:4], v96 offset:1072
	s_clause 0x2
	buffer_load_dword v110, off, s[0:3], 0 offset:444
	buffer_load_dword v100, off, s[0:3], 0 offset:420
	;; [unrolled: 1-line block ×3, first 2 shown]
	v_add_f64 v[101:102], v[101:102], v[112:113]
	v_add_f64 v[13:14], v[13:14], v[9:10]
	ds_read_b128 v[9:12], v96 offset:1088
	s_waitcnt vmcnt(58) lgkmcnt(1)
	v_mul_f64 v[111:112], v[1:2], v[25:26]
	v_mul_f64 v[25:26], v[3:4], v[25:26]
	s_waitcnt vmcnt(56)
	v_fma_f64 v[21:22], v[5:6], v[27:28], -v[21:22]
	v_fma_f64 v[27:28], v[7:8], v[27:28], v[115:116]
	s_waitcnt vmcnt(52) lgkmcnt(0)
	v_mul_f64 v[117:118], v[9:10], v[29:30]
	v_add_f64 v[97:98], v[101:102], v[97:98]
	v_add_f64 v[13:14], v[13:14], v[33:34]
	s_clause 0x4
	buffer_load_dword v34, off, s[0:3], 0 offset:460
	buffer_load_dword v101, off, s[0:3], 0 offset:472
	;; [unrolled: 1-line block ×5, first 2 shown]
	v_mul_f64 v[29:30], v[11:12], v[29:30]
	s_waitcnt vmcnt(56)
	v_fma_f64 v[25:26], v[1:2], v[19:20], -v[25:26]
	ds_read_b128 v[5:8], v96 offset:1104
	v_fma_f64 v[19:20], v[3:4], v[19:20], v[111:112]
	v_add_f64 v[21:22], v[97:98], v[21:22]
	v_add_f64 v[13:14], v[13:14], v[27:28]
	s_clause 0x2
	buffer_load_dword v102, off, s[0:3], 0 offset:476
	buffer_load_dword v28, off, s[0:3], 0 offset:452
	;; [unrolled: 1-line block ×3, first 2 shown]
	s_waitcnt vmcnt(58) lgkmcnt(0)
	v_mul_f64 v[97:98], v[5:6], v[35:36]
	v_mul_f64 v[35:36], v[7:8], v[35:36]
	s_waitcnt vmcnt(56)
	v_fma_f64 v[29:30], v[9:10], v[37:38], -v[29:30]
	ds_read_b128 v[1:4], v96 offset:1120
	v_add_f64 v[21:22], v[21:22], v[25:26]
	v_fma_f64 v[25:26], v[11:12], v[37:38], v[117:118]
	v_add_f64 v[13:14], v[13:14], v[19:20]
	s_clause 0x4
	buffer_load_dword v20, off, s[0:3], 0 offset:492
	buffer_load_dword v37, off, s[0:3], 0 offset:504
	;; [unrolled: 1-line block ×5, first 2 shown]
	s_waitcnt vmcnt(57) lgkmcnt(0)
	v_mul_f64 v[112:113], v[1:2], v[39:40]
	v_mul_f64 v[39:40], v[3:4], v[39:40]
	s_waitcnt vmcnt(56)
	v_fma_f64 v[35:36], v[5:6], v[23:24], -v[35:36]
	ds_read_b128 v[9:12], v96 offset:1136
	v_fma_f64 v[23:24], v[7:8], v[23:24], v[97:98]
	v_add_f64 v[21:22], v[21:22], v[29:30]
	v_add_f64 v[13:14], v[13:14], v[25:26]
	s_clause 0x2
	buffer_load_dword v38, off, s[0:3], 0 offset:508
	buffer_load_dword v26, off, s[0:3], 0 offset:484
	;; [unrolled: 1-line block ×3, first 2 shown]
	ds_read_b128 v[5:8], v96 offset:1152
	s_waitcnt vmcnt(58) lgkmcnt(1)
	v_mul_f64 v[29:30], v[9:10], v[43:44]
	v_mul_f64 v[43:44], v[11:12], v[43:44]
	s_waitcnt vmcnt(56)
	v_fma_f64 v[39:40], v[1:2], v[45:46], -v[39:40]
	v_add_f64 v[21:22], v[21:22], v[35:36]
	v_fma_f64 v[35:36], v[3:4], v[45:46], v[112:113]
	v_add_f64 v[13:14], v[13:14], v[23:24]
	s_clause 0x4
	buffer_load_dword v24, off, s[0:3], 0 offset:524
	buffer_load_dword v45, off, s[0:3], 0 offset:536
	buffer_load_dword v97, off, s[0:3], 0 offset:528
	buffer_load_dword v23, off, s[0:3], 0 offset:520
	buffer_load_dword v112, off, s[0:3], 0 offset:500
	s_waitcnt vmcnt(57) lgkmcnt(0)
	v_mul_f64 v[118:119], v[5:6], v[47:48]
	v_mul_f64 v[47:48], v[7:8], v[47:48]
	s_waitcnt vmcnt(56)
	v_fma_f64 v[43:44], v[9:10], v[31:32], -v[43:44]
	ds_read_b128 v[1:4], v96 offset:1168
	v_fma_f64 v[29:30], v[11:12], v[31:32], v[29:30]
	s_clause 0x2
	buffer_load_dword v46, off, s[0:3], 0 offset:540
	buffer_load_dword v32, off, s[0:3], 0 offset:516
	;; [unrolled: 1-line block ×3, first 2 shown]
	ds_read_b128 v[9:12], v96 offset:1184
	v_add_f64 v[21:22], v[21:22], v[39:40]
	v_add_f64 v[13:14], v[13:14], v[35:36]
	s_waitcnt vmcnt(58) lgkmcnt(1)
	v_mul_f64 v[39:40], v[3:4], v[51:52]
	s_waitcnt vmcnt(56)
	v_fma_f64 v[47:48], v[5:6], v[53:54], -v[47:48]
	v_mul_f64 v[35:36], v[1:2], v[51:52]
	v_add_f64 v[21:22], v[21:22], v[43:44]
	v_fma_f64 v[43:44], v[7:8], v[53:54], v[118:119]
	v_add_f64 v[13:14], v[13:14], v[29:30]
	s_clause 0x4
	buffer_load_dword v30, off, s[0:3], 0 offset:556
	buffer_load_dword v51, off, s[0:3], 0 offset:568
	;; [unrolled: 1-line block ×5, first 2 shown]
	s_waitcnt vmcnt(57) lgkmcnt(0)
	v_mul_f64 v[118:119], v[9:10], v[55:56]
	v_mul_f64 v[54:55], v[11:12], v[55:56]
	s_waitcnt vmcnt(56)
	v_fma_f64 v[39:40], v[1:2], v[41:42], -v[39:40]
	ds_read_b128 v[5:8], v96 offset:1200
	v_fma_f64 v[35:36], v[3:4], v[41:42], v[35:36]
	s_clause 0x2
	buffer_load_dword v52, off, s[0:3], 0 offset:572
	buffer_load_dword v42, off, s[0:3], 0 offset:548
	;; [unrolled: 1-line block ×3, first 2 shown]
	ds_read_b128 v[1:4], v96 offset:1216
	v_add_f64 v[21:22], v[21:22], v[47:48]
	v_add_f64 v[13:14], v[13:14], v[43:44]
	s_waitcnt vmcnt(58) lgkmcnt(1)
	v_mul_f64 v[47:48], v[7:8], v[85:86]
	s_waitcnt vmcnt(56)
	v_fma_f64 v[55:56], v[9:10], v[87:88], -v[54:55]
	v_mul_f64 v[43:44], v[5:6], v[85:86]
	v_add_f64 v[21:22], v[21:22], v[39:40]
	v_fma_f64 v[39:40], v[11:12], v[87:88], v[118:119]
	v_add_f64 v[13:14], v[13:14], v[35:36]
	s_clause 0x4
	buffer_load_dword v36, off, s[0:3], 0 offset:588
	buffer_load_dword v85, off, s[0:3], 0 offset:600
	;; [unrolled: 1-line block ×5, first 2 shown]
	s_waitcnt vmcnt(57) lgkmcnt(0)
	v_mul_f64 v[118:119], v[1:2], v[89:90]
	v_mul_f64 v[88:89], v[3:4], v[89:90]
	s_waitcnt vmcnt(56)
	v_fma_f64 v[47:48], v[5:6], v[49:50], -v[47:48]
	ds_read_b128 v[9:12], v96 offset:1232
	v_fma_f64 v[43:44], v[7:8], v[49:50], v[43:44]
	v_add_f64 v[21:22], v[21:22], v[55:56]
	v_add_f64 v[13:14], v[13:14], v[39:40]
	s_clause 0x2
	buffer_load_dword v86, off, s[0:3], 0 offset:604
	buffer_load_dword v40, off, s[0:3], 0 offset:580
	;; [unrolled: 1-line block ×3, first 2 shown]
	ds_read_b128 v[5:8], v96 offset:1248
	s_waitcnt vmcnt(58) lgkmcnt(1)
	v_mul_f64 v[55:56], v[11:12], v[91:92]
	s_waitcnt vmcnt(56)
	v_fma_f64 v[89:90], v[1:2], v[93:94], -v[88:89]
	v_mul_f64 v[49:50], v[9:10], v[91:92]
	v_add_f64 v[21:22], v[21:22], v[47:48]
	v_fma_f64 v[47:48], v[3:4], v[93:94], v[118:119]
	v_add_f64 v[13:14], v[13:14], v[43:44]
	s_clause 0x4
	buffer_load_dword v44, off, s[0:3], 0 offset:620
	buffer_load_dword v91, off, s[0:3], 0 offset:632
	;; [unrolled: 1-line block ×5, first 2 shown]
	s_waitcnt vmcnt(57) lgkmcnt(0)
	v_mul_f64 v[118:119], v[5:6], v[103:104]
	v_mul_f64 v[103:104], v[7:8], v[103:104]
	s_waitcnt vmcnt(56)
	v_fma_f64 v[55:56], v[9:10], v[83:84], -v[55:56]
	ds_read_b128 v[1:4], v96 offset:1264
	v_fma_f64 v[49:50], v[11:12], v[83:84], v[49:50]
	v_add_f64 v[21:22], v[21:22], v[89:90]
	v_add_f64 v[13:14], v[13:14], v[47:48]
	s_clause 0x2
	buffer_load_dword v92, off, s[0:3], 0 offset:636
	buffer_load_dword v48, off, s[0:3], 0 offset:612
	;; [unrolled: 1-line block ×3, first 2 shown]
	ds_read_b128 v[9:12], v96 offset:1280
	s_waitcnt vmcnt(58) lgkmcnt(1)
	v_mul_f64 v[89:90], v[3:4], v[105:106]
	v_mul_f64 v[83:84], v[1:2], v[105:106]
	s_waitcnt vmcnt(56)
	v_fma_f64 v[103:104], v[5:6], v[17:18], -v[103:104]
	v_fma_f64 v[17:18], v[7:8], v[17:18], v[118:119]
	v_add_f64 v[21:22], v[21:22], v[55:56]
	v_add_f64 v[13:14], v[13:14], v[49:50]
	s_clause 0x4
	buffer_load_dword v50, off, s[0:3], 0 offset:652
	buffer_load_dword v55, off, s[0:3], 0 offset:664
	;; [unrolled: 1-line block ×5, first 2 shown]
	ds_read_b128 v[5:8], v96 offset:1296
	s_waitcnt vmcnt(57) lgkmcnt(1)
	v_mul_f64 v[118:119], v[9:10], v[15:16]
	v_mul_f64 v[15:16], v[11:12], v[15:16]
	s_waitcnt vmcnt(56)
	v_fma_f64 v[89:90], v[1:2], v[107:108], -v[89:90]
	v_fma_f64 v[83:84], v[3:4], v[107:108], v[83:84]
	v_add_f64 v[21:22], v[21:22], v[103:104]
	v_add_f64 v[13:14], v[13:14], v[17:18]
	s_clause 0x2
	buffer_load_dword v56, off, s[0:3], 0 offset:668
	buffer_load_dword v18, off, s[0:3], 0 offset:644
	;; [unrolled: 1-line block ×3, first 2 shown]
	s_waitcnt vmcnt(58) lgkmcnt(0)
	v_mul_f64 v[107:108], v[7:8], v[109:110]
	ds_read_b128 v[1:4], v96 offset:1312
	v_mul_f64 v[103:104], v[5:6], v[109:110]
	s_waitcnt vmcnt(56)
	v_fma_f64 v[15:16], v[9:10], v[99:100], -v[15:16]
	v_add_f64 v[21:22], v[21:22], v[89:90]
	v_fma_f64 v[89:90], v[11:12], v[99:100], v[118:119]
	v_add_f64 v[13:14], v[13:14], v[83:84]
	s_clause 0x4
	buffer_load_dword v84, off, s[0:3], 0 offset:684
	buffer_load_dword v99, off, s[0:3], 0 offset:696
	;; [unrolled: 1-line block ×5, first 2 shown]
	ds_read_b128 v[9:12], v96 offset:1328
	s_waitcnt vmcnt(57) lgkmcnt(1)
	v_mul_f64 v[118:119], v[1:2], v[33:34]
	v_mul_f64 v[33:34], v[3:4], v[33:34]
	s_waitcnt vmcnt(56)
	v_fma_f64 v[107:108], v[5:6], v[114:115], -v[107:108]
	v_add_f64 v[15:16], v[21:22], v[15:16]
	v_fma_f64 v[21:22], v[7:8], v[114:115], v[103:104]
	v_add_f64 v[13:14], v[13:14], v[89:90]
	s_clause 0x2
	buffer_load_dword v100, off, s[0:3], 0 offset:700
	buffer_load_dword v90, off, s[0:3], 0 offset:676
	;; [unrolled: 1-line block ×3, first 2 shown]
	ds_read_b128 v[5:8], v96 offset:1344
	s_waitcnt vmcnt(58) lgkmcnt(1)
	v_mul_f64 v[103:104], v[9:10], v[101:102]
	v_mul_f64 v[101:102], v[11:12], v[101:102]
	s_waitcnt vmcnt(56)
	v_fma_f64 v[33:34], v[1:2], v[27:28], -v[33:34]
	v_fma_f64 v[27:28], v[3:4], v[27:28], v[118:119]
	v_add_f64 v[15:16], v[15:16], v[107:108]
	v_add_f64 v[13:14], v[13:14], v[21:22]
	s_clause 0x4
	buffer_load_dword v22, off, s[0:3], 0 offset:716
	buffer_load_dword v107, off, s[0:3], 0 offset:728
	;; [unrolled: 1-line block ×5, first 2 shown]
	ds_read_b128 v[1:4], v96 offset:1360
	s_waitcnt vmcnt(57) lgkmcnt(1)
	v_mul_f64 v[114:115], v[5:6], v[19:20]
	v_mul_f64 v[19:20], v[7:8], v[19:20]
	s_waitcnt vmcnt(56)
	v_fma_f64 v[101:102], v[9:10], v[116:117], -v[101:102]
	v_add_f64 v[15:16], v[15:16], v[33:34]
	v_fma_f64 v[33:34], v[11:12], v[116:117], v[103:104]
	v_add_f64 v[13:14], v[13:14], v[27:28]
	s_clause 0x2
	buffer_load_dword v108, off, s[0:3], 0 offset:732
	buffer_load_dword v28, off, s[0:3], 0 offset:708
	;; [unrolled: 1-line block ×3, first 2 shown]
	ds_read_b128 v[9:12], v96 offset:1376
	s_waitcnt vmcnt(58) lgkmcnt(1)
	v_mul_f64 v[103:104], v[1:2], v[37:38]
	v_mul_f64 v[37:38], v[3:4], v[37:38]
	s_waitcnt vmcnt(56)
	v_fma_f64 v[19:20], v[5:6], v[25:26], -v[19:20]
	v_fma_f64 v[25:26], v[7:8], v[25:26], v[114:115]
	v_add_f64 v[15:16], v[15:16], v[101:102]
	v_add_f64 v[13:14], v[13:14], v[33:34]
	s_clause 0x4
	buffer_load_dword v34, off, s[0:3], 0 offset:748
	buffer_load_dword v101, off, s[0:3], 0 offset:760
	;; [unrolled: 1-line block ×5, first 2 shown]
	ds_read_b128 v[5:8], v96 offset:1392
	s_waitcnt vmcnt(57) lgkmcnt(1)
	v_mul_f64 v[116:117], v[9:10], v[23:24]
	v_mul_f64 v[23:24], v[11:12], v[23:24]
	s_waitcnt vmcnt(56)
	v_fma_f64 v[37:38], v[1:2], v[111:112], -v[37:38]
	v_add_f64 v[15:16], v[15:16], v[19:20]
	v_fma_f64 v[19:20], v[3:4], v[111:112], v[103:104]
	v_add_f64 v[13:14], v[13:14], v[25:26]
	s_clause 0x2
	buffer_load_dword v102, off, s[0:3], 0 offset:764
	buffer_load_dword v26, off, s[0:3], 0 offset:740
	;; [unrolled: 1-line block ×3, first 2 shown]
	s_waitcnt vmcnt(58) lgkmcnt(0)
	v_mul_f64 v[103:104], v[5:6], v[45:46]
	v_mul_f64 v[45:46], v[7:8], v[45:46]
	ds_read_b128 v[1:4], v96 offset:1408
	s_waitcnt vmcnt(56)
	v_fma_f64 v[23:24], v[9:10], v[31:32], -v[23:24]
	v_fma_f64 v[31:32], v[11:12], v[31:32], v[116:117]
	v_add_f64 v[15:16], v[15:16], v[37:38]
	v_add_f64 v[13:14], v[13:14], v[19:20]
	s_clause 0x4
	buffer_load_dword v20, off, s[0:3], 0 offset:780
	buffer_load_dword v37, off, s[0:3], 0 offset:792
	;; [unrolled: 1-line block ×5, first 2 shown]
	ds_read_b128 v[9:12], v96 offset:1424
	s_waitcnt vmcnt(57) lgkmcnt(1)
	v_mul_f64 v[117:118], v[1:2], v[29:30]
	v_mul_f64 v[29:30], v[3:4], v[29:30]
	s_waitcnt vmcnt(56)
	v_fma_f64 v[45:46], v[5:6], v[97:98], -v[45:46]
	v_add_f64 v[15:16], v[15:16], v[23:24]
	v_fma_f64 v[23:24], v[7:8], v[97:98], v[103:104]
	v_add_f64 v[13:14], v[13:14], v[31:32]
	s_clause 0x2
	buffer_load_dword v38, off, s[0:3], 0 offset:796
	buffer_load_dword v32, off, s[0:3], 0 offset:772
	;; [unrolled: 1-line block ×3, first 2 shown]
	s_waitcnt vmcnt(58) lgkmcnt(0)
	v_mul_f64 v[97:98], v[9:10], v[51:52]
	v_mul_f64 v[51:52], v[11:12], v[51:52]
	ds_read_b128 v[5:8], v96 offset:1440
	s_waitcnt vmcnt(56)
	v_fma_f64 v[29:30], v[1:2], v[41:42], -v[29:30]
	v_fma_f64 v[41:42], v[3:4], v[41:42], v[117:118]
	v_add_f64 v[15:16], v[15:16], v[45:46]
	v_add_f64 v[13:14], v[13:14], v[23:24]
	s_clause 0x4
	buffer_load_dword v24, off, s[0:3], 0 offset:812
	buffer_load_dword v45, off, s[0:3], 0 offset:824
	;; [unrolled: 1-line block ×5, first 2 shown]
	ds_read_b128 v[1:4], v96 offset:1456
	s_waitcnt vmcnt(57) lgkmcnt(1)
	v_mul_f64 v[117:118], v[5:6], v[35:36]
	v_mul_f64 v[35:36], v[7:8], v[35:36]
	s_waitcnt vmcnt(56)
	v_fma_f64 v[51:52], v[9:10], v[53:54], -v[51:52]
	v_add_f64 v[15:16], v[15:16], v[29:30]
	v_fma_f64 v[29:30], v[11:12], v[53:54], v[97:98]
	v_add_f64 v[13:14], v[13:14], v[41:42]
	s_clause 0x2
	buffer_load_dword v46, off, s[0:3], 0 offset:828
	buffer_load_dword v42, off, s[0:3], 0 offset:804
	;; [unrolled: 1-line block ×3, first 2 shown]
	ds_read_b128 v[9:12], v96 offset:1472
	s_waitcnt vmcnt(58) lgkmcnt(1)
	v_mul_f64 v[53:54], v[1:2], v[85:86]
	v_mul_f64 v[85:86], v[3:4], v[85:86]
	s_waitcnt vmcnt(56)
	v_fma_f64 v[35:36], v[5:6], v[39:40], -v[35:36]
	v_fma_f64 v[39:40], v[7:8], v[39:40], v[117:118]
	v_add_f64 v[15:16], v[15:16], v[51:52]
	v_add_f64 v[13:14], v[13:14], v[29:30]
	s_clause 0x4
	buffer_load_dword v30, off, s[0:3], 0 offset:844
	buffer_load_dword v51, off, s[0:3], 0 offset:856
	buffer_load_dword v97, off, s[0:3], 0 offset:848
	buffer_load_dword v29, off, s[0:3], 0 offset:840
	buffer_load_dword v104, off, s[0:3], 0 offset:820
	ds_read_b128 v[5:8], v96 offset:1488
	s_waitcnt vmcnt(57) lgkmcnt(1)
	v_mul_f64 v[117:118], v[9:10], v[43:44]
	v_mul_f64 v[43:44], v[11:12], v[43:44]
	s_waitcnt vmcnt(56)
	v_fma_f64 v[85:86], v[1:2], v[87:88], -v[85:86]
	v_add_f64 v[15:16], v[15:16], v[35:36]
	v_fma_f64 v[35:36], v[3:4], v[87:88], v[53:54]
	v_add_f64 v[13:14], v[13:14], v[39:40]
	s_clause 0x2
	buffer_load_dword v52, off, s[0:3], 0 offset:860
	buffer_load_dword v40, off, s[0:3], 0 offset:836
	;; [unrolled: 1-line block ×3, first 2 shown]
	ds_read_b128 v[1:4], v96 offset:1504
	s_waitcnt vmcnt(58) lgkmcnt(1)
	v_mul_f64 v[87:88], v[7:8], v[91:92]
	v_mul_f64 v[53:54], v[5:6], v[91:92]
	s_waitcnt vmcnt(56)
	v_fma_f64 v[43:44], v[9:10], v[47:48], -v[43:44]
	v_fma_f64 v[47:48], v[11:12], v[47:48], v[117:118]
	v_add_f64 v[15:16], v[15:16], v[85:86]
	v_add_f64 v[13:14], v[13:14], v[35:36]
	s_clause 0x4
	buffer_load_dword v36, off, s[0:3], 0 offset:876
	buffer_load_dword v85, off, s[0:3], 0 offset:888
	;; [unrolled: 1-line block ×5, first 2 shown]
	ds_read_b128 v[9:12], v96 offset:1520
	s_waitcnt vmcnt(57) lgkmcnt(1)
	v_mul_f64 v[117:118], v[1:2], v[49:50]
	v_mul_f64 v[49:50], v[3:4], v[49:50]
	s_waitcnt vmcnt(56)
	v_fma_f64 v[87:88], v[5:6], v[93:94], -v[87:88]
	v_add_f64 v[15:16], v[15:16], v[43:44]
	v_fma_f64 v[43:44], v[7:8], v[93:94], v[53:54]
	v_add_f64 v[13:14], v[13:14], v[47:48]
	s_clause 0x2
	buffer_load_dword v86, off, s[0:3], 0 offset:892
	buffer_load_dword v48, off, s[0:3], 0 offset:868
	;; [unrolled: 1-line block ×3, first 2 shown]
	ds_read_b128 v[5:8], v96 offset:1536
	buffer_load_dword v92, off, s[0:3], 0 offset:884
	s_waitcnt vmcnt(59) lgkmcnt(1)
	v_mul_f64 v[53:54], v[9:10], v[55:56]
	v_mul_f64 v[55:56], v[11:12], v[55:56]
	s_waitcnt vmcnt(57)
	v_fma_f64 v[49:50], v[1:2], v[17:18], -v[49:50]
	v_fma_f64 v[17:18], v[3:4], v[17:18], v[117:118]
	ds_read_b128 v[1:4], v96 offset:1552
	v_add_f64 v[15:16], v[15:16], v[87:88]
	v_add_f64 v[13:14], v[13:14], v[43:44]
	s_waitcnt vmcnt(53) lgkmcnt(1)
	v_mul_f64 v[43:44], v[5:6], v[83:84]
	v_mul_f64 v[83:84], v[7:8], v[83:84]
	s_waitcnt vmcnt(52)
	v_fma_f64 v[55:56], v[9:10], v[105:106], -v[55:56]
	v_add_f64 v[15:16], v[15:16], v[49:50]
	v_fma_f64 v[49:50], v[11:12], v[105:106], v[53:54]
	v_add_f64 v[13:14], v[13:14], v[17:18]
	ds_read_b128 v[9:12], v96 offset:1568
	s_waitcnt vmcnt(51) lgkmcnt(1)
	v_mul_f64 v[53:54], v[3:4], v[99:100]
	v_mul_f64 v[17:18], v[1:2], v[99:100]
	s_waitcnt vmcnt(49)
	v_fma_f64 v[83:84], v[5:6], v[89:90], -v[83:84]
	v_fma_f64 v[43:44], v[7:8], v[89:90], v[43:44]
	v_add_f64 v[15:16], v[15:16], v[55:56]
	v_add_f64 v[13:14], v[13:14], v[49:50]
	s_clause 0x3
	buffer_load_dword v49, off, s[0:3], 0 offset:128
	buffer_load_dword v50, off, s[0:3], 0 offset:132
	;; [unrolled: 1-line block ×4, first 2 shown]
	ds_read_b128 v[5:8], v96 offset:1584
	s_waitcnt vmcnt(49) lgkmcnt(1)
	v_mul_f64 v[87:88], v[9:10], v[21:22]
	v_mul_f64 v[21:22], v[11:12], v[21:22]
	s_waitcnt vmcnt(48)
	v_fma_f64 v[53:54], v[1:2], v[109:110], -v[53:54]
	v_fma_f64 v[17:18], v[3:4], v[109:110], v[17:18]
	ds_read_b128 v[1:4], v96 offset:1600
	v_add_f64 v[15:16], v[15:16], v[83:84]
	v_add_f64 v[13:14], v[13:14], v[43:44]
	s_waitcnt vmcnt(47) lgkmcnt(1)
	v_mul_f64 v[83:84], v[7:8], v[107:108]
	v_mul_f64 v[43:44], v[5:6], v[107:108]
	s_waitcnt vmcnt(45)
	v_fma_f64 v[21:22], v[9:10], v[27:28], -v[21:22]
	v_fma_f64 v[27:28], v[11:12], v[27:28], v[87:88]
	ds_read_b128 v[9:12], v96 offset:1616
	v_add_f64 v[15:16], v[15:16], v[53:54]
	v_add_f64 v[13:14], v[13:14], v[17:18]
	s_waitcnt vmcnt(41) lgkmcnt(1)
	v_mul_f64 v[17:18], v[1:2], v[33:34]
	v_mul_f64 v[33:34], v[3:4], v[33:34]
	s_waitcnt vmcnt(40)
	v_fma_f64 v[53:54], v[5:6], v[113:114], -v[83:84]
	v_add_f64 v[15:16], v[15:16], v[21:22]
	v_fma_f64 v[21:22], v[7:8], v[113:114], v[43:44]
	v_add_f64 v[13:14], v[13:14], v[27:28]
	ds_read_b128 v[5:8], v96 offset:1632
	s_waitcnt vmcnt(39) lgkmcnt(1)
	v_mul_f64 v[43:44], v[11:12], v[101:102]
	v_mul_f64 v[27:28], v[9:10], v[101:102]
	s_waitcnt vmcnt(37)
	v_fma_f64 v[33:34], v[1:2], v[25:26], -v[33:34]
	v_fma_f64 v[17:18], v[3:4], v[25:26], v[17:18]
	ds_read_b128 v[1:4], v96 offset:1648
	v_add_f64 v[15:16], v[15:16], v[53:54]
	v_add_f64 v[13:14], v[13:14], v[21:22]
	s_waitcnt vmcnt(33) lgkmcnt(1)
	v_mul_f64 v[21:22], v[5:6], v[19:20]
	v_mul_f64 v[19:20], v[7:8], v[19:20]
	s_waitcnt vmcnt(32)
	v_fma_f64 v[25:26], v[9:10], v[115:116], -v[43:44]
	v_fma_f64 v[27:28], v[11:12], v[115:116], v[27:28]
	ds_read_b128 v[9:12], v96 offset:1664
	v_add_f64 v[15:16], v[15:16], v[33:34]
	v_add_f64 v[13:14], v[13:14], v[17:18]
	;; [unrolled: 9-line block ×5, first 2 shown]
	s_waitcnt vmcnt(17) lgkmcnt(1)
	v_mul_f64 v[27:28], v[3:4], v[29:30]
	s_waitcnt vmcnt(16)
	v_fma_f64 v[21:22], v[5:6], v[103:104], -v[21:22]
	v_mul_f64 v[17:18], v[1:2], v[29:30]
	v_fma_f64 v[19:20], v[7:8], v[103:104], v[19:20]
	ds_read_b128 v[5:8], v96 offset:1728
	v_add_f64 v[15:16], v[15:16], v[23:24]
	v_add_f64 v[13:14], v[13:14], v[25:26]
	s_waitcnt vmcnt(15) lgkmcnt(1)
	v_mul_f64 v[25:26], v[11:12], v[51:52]
	v_mul_f64 v[23:24], v[9:10], v[51:52]
	s_waitcnt vmcnt(13)
	v_fma_f64 v[27:28], v[1:2], v[39:40], -v[27:28]
	v_fma_f64 v[17:18], v[3:4], v[39:40], v[17:18]
	ds_read_b128 v[1:4], v96 offset:1744
	v_add_f64 v[15:16], v[15:16], v[21:22]
	v_add_f64 v[13:14], v[13:14], v[19:20]
	s_waitcnt vmcnt(9) lgkmcnt(1)
	v_mul_f64 v[21:22], v[7:8], v[35:36]
	s_waitcnt vmcnt(8)
	v_fma_f64 v[9:10], v[9:10], v[97:98], -v[25:26]
	v_mul_f64 v[19:20], v[5:6], v[35:36]
	v_fma_f64 v[11:12], v[11:12], v[97:98], v[23:24]
	v_add_f64 v[15:16], v[15:16], v[27:28]
	v_add_f64 v[13:14], v[13:14], v[17:18]
	s_waitcnt vmcnt(7) lgkmcnt(0)
	v_mul_f64 v[23:24], v[3:4], v[85:86]
	v_mul_f64 v[17:18], v[1:2], v[85:86]
	s_waitcnt vmcnt(5)
	v_fma_f64 v[5:6], v[5:6], v[47:48], -v[21:22]
	v_fma_f64 v[7:8], v[7:8], v[47:48], v[19:20]
	v_add_f64 v[9:10], v[15:16], v[9:10]
	v_add_f64 v[11:12], v[13:14], v[11:12]
	s_waitcnt vmcnt(4)
	v_fma_f64 v[1:2], v[1:2], v[91:92], -v[23:24]
	v_fma_f64 v[3:4], v[3:4], v[91:92], v[17:18]
	v_add_f64 v[5:6], v[9:10], v[5:6]
	v_add_f64 v[7:8], v[11:12], v[7:8]
	;; [unrolled: 1-line block ×4, first 2 shown]
	s_waitcnt vmcnt(2)
	v_add_f64 v[1:2], v[49:50], -v[1:2]
	s_waitcnt vmcnt(0)
	v_add_f64 v[3:4], v[55:56], -v[3:4]
	buffer_store_dword v2, off, s[0:3], 0 offset:132
	buffer_store_dword v1, off, s[0:3], 0 offset:128
	;; [unrolled: 1-line block ×4, first 2 shown]
	v_cmpx_lt_u32_e32 6, v0
	s_cbranch_execz .LBB54_331
; %bb.330:
	v_mov_b32_e32 v4, s61
	s_clause 0x3
	buffer_load_dword v1, v4, s[0:3], 0 offen
	buffer_load_dword v2, v4, s[0:3], 0 offen offset:4
	buffer_load_dword v3, v4, s[0:3], 0 offen offset:8
	;; [unrolled: 1-line block ×3, first 2 shown]
	buffer_store_dword v96, off, s[0:3], 0 offset:112
	buffer_store_dword v96, off, s[0:3], 0 offset:116
	buffer_store_dword v96, off, s[0:3], 0 offset:120
	buffer_store_dword v96, off, s[0:3], 0 offset:124
	s_waitcnt vmcnt(0)
	ds_write_b128 v95, v[1:4]
.LBB54_331:
	s_or_b32 exec_lo, exec_lo, s4
	s_waitcnt lgkmcnt(0)
	s_waitcnt_vscnt null, 0x0
	s_barrier
	buffer_gl0_inv
	s_clause 0x37
	buffer_load_dword v17, off, s[0:3], 0 offset:136
	buffer_load_dword v18, off, s[0:3], 0 offset:140
	;; [unrolled: 1-line block ×56, first 2 shown]
	ds_read_b128 v[5:8], v96 offset:992
	s_clause 0x2
	buffer_load_dword v92, off, s[0:3], 0 offset:364
	buffer_load_dword v94, off, s[0:3], 0 offset:340
	;; [unrolled: 1-line block ×3, first 2 shown]
	ds_read_b128 v[1:4], v96 offset:1008
	s_clause 0x4
	buffer_load_dword v104, off, s[0:3], 0 offset:380
	buffer_load_dword v105, off, s[0:3], 0 offset:392
	;; [unrolled: 1-line block ×5, first 2 shown]
	ds_read_b128 v[97:100], v96 offset:1024
	s_mov_b32 s4, exec_lo
	s_waitcnt vmcnt(62) lgkmcnt(2)
	v_mul_f64 v[101:102], v[7:8], v[17:18]
	v_mul_f64 v[17:18], v[5:6], v[17:18]
	s_waitcnt vmcnt(60) lgkmcnt(1)
	v_mul_f64 v[108:109], v[3:4], v[13:14]
	v_mul_f64 v[13:14], v[1:2], v[13:14]
	s_waitcnt vmcnt(56) lgkmcnt(0)
	v_mul_f64 v[110:111], v[97:98], v[11:12]
	v_mul_f64 v[11:12], v[99:100], v[11:12]
	v_fma_f64 v[101:102], v[5:6], v[15:16], -v[101:102]
	v_fma_f64 v[15:16], v[7:8], v[15:16], v[17:18]
	s_clause 0x2
	buffer_load_dword v106, off, s[0:3], 0 offset:396
	buffer_load_dword v18, off, s[0:3], 0 offset:372
	buffer_load_dword v17, off, s[0:3], 0 offset:368
	s_waitcnt vmcnt(57)
	v_fma_f64 v[112:113], v[1:2], v[9:10], -v[108:109]
	ds_read_b128 v[5:8], v96 offset:1040
	v_fma_f64 v[9:10], v[3:4], v[9:10], v[13:14]
	s_waitcnt vmcnt(51)
	v_fma_f64 v[97:98], v[97:98], v[33:34], -v[11:12]
	v_fma_f64 v[33:34], v[99:100], v[33:34], v[110:111]
	v_add_f64 v[101:102], v[101:102], 0
	v_add_f64 v[13:14], v[15:16], 0
	s_clause 0x4
	buffer_load_dword v16, off, s[0:3], 0 offset:412
	buffer_load_dword v109, off, s[0:3], 0 offset:424
	;; [unrolled: 1-line block ×5, first 2 shown]
	s_waitcnt lgkmcnt(0)
	v_mul_f64 v[115:116], v[5:6], v[21:22]
	v_mul_f64 v[21:22], v[7:8], v[21:22]
	ds_read_b128 v[1:4], v96 offset:1056
	s_clause 0x2
	buffer_load_dword v110, off, s[0:3], 0 offset:428
	buffer_load_dword v100, off, s[0:3], 0 offset:404
	;; [unrolled: 1-line block ×3, first 2 shown]
	v_add_f64 v[101:102], v[101:102], v[112:113]
	v_add_f64 v[13:14], v[13:14], v[9:10]
	ds_read_b128 v[9:12], v96 offset:1072
	s_waitcnt vmcnt(58) lgkmcnt(1)
	v_mul_f64 v[111:112], v[1:2], v[25:26]
	v_mul_f64 v[25:26], v[3:4], v[25:26]
	s_waitcnt vmcnt(56)
	v_fma_f64 v[21:22], v[5:6], v[27:28], -v[21:22]
	v_fma_f64 v[27:28], v[7:8], v[27:28], v[115:116]
	s_waitcnt vmcnt(52) lgkmcnt(0)
	v_mul_f64 v[117:118], v[9:10], v[29:30]
	v_add_f64 v[97:98], v[101:102], v[97:98]
	v_add_f64 v[13:14], v[13:14], v[33:34]
	s_clause 0x4
	buffer_load_dword v34, off, s[0:3], 0 offset:444
	buffer_load_dword v101, off, s[0:3], 0 offset:456
	buffer_load_dword v116, off, s[0:3], 0 offset:448
	buffer_load_dword v33, off, s[0:3], 0 offset:440
	buffer_load_dword v115, off, s[0:3], 0 offset:420
	v_mul_f64 v[29:30], v[11:12], v[29:30]
	s_waitcnt vmcnt(56)
	v_fma_f64 v[25:26], v[1:2], v[19:20], -v[25:26]
	ds_read_b128 v[5:8], v96 offset:1088
	v_fma_f64 v[19:20], v[3:4], v[19:20], v[111:112]
	v_add_f64 v[21:22], v[97:98], v[21:22]
	v_add_f64 v[13:14], v[13:14], v[27:28]
	s_clause 0x2
	buffer_load_dword v102, off, s[0:3], 0 offset:460
	buffer_load_dword v28, off, s[0:3], 0 offset:436
	;; [unrolled: 1-line block ×3, first 2 shown]
	s_waitcnt vmcnt(58) lgkmcnt(0)
	v_mul_f64 v[97:98], v[5:6], v[35:36]
	v_mul_f64 v[35:36], v[7:8], v[35:36]
	s_waitcnt vmcnt(56)
	v_fma_f64 v[29:30], v[9:10], v[37:38], -v[29:30]
	ds_read_b128 v[1:4], v96 offset:1104
	v_add_f64 v[21:22], v[21:22], v[25:26]
	v_fma_f64 v[25:26], v[11:12], v[37:38], v[117:118]
	v_add_f64 v[13:14], v[13:14], v[19:20]
	s_clause 0x4
	buffer_load_dword v20, off, s[0:3], 0 offset:476
	buffer_load_dword v37, off, s[0:3], 0 offset:488
	;; [unrolled: 1-line block ×5, first 2 shown]
	s_waitcnt vmcnt(57) lgkmcnt(0)
	v_mul_f64 v[112:113], v[1:2], v[39:40]
	v_mul_f64 v[39:40], v[3:4], v[39:40]
	s_waitcnt vmcnt(56)
	v_fma_f64 v[35:36], v[5:6], v[23:24], -v[35:36]
	ds_read_b128 v[9:12], v96 offset:1120
	v_fma_f64 v[23:24], v[7:8], v[23:24], v[97:98]
	v_add_f64 v[21:22], v[21:22], v[29:30]
	v_add_f64 v[13:14], v[13:14], v[25:26]
	s_clause 0x2
	buffer_load_dword v38, off, s[0:3], 0 offset:492
	buffer_load_dword v26, off, s[0:3], 0 offset:468
	;; [unrolled: 1-line block ×3, first 2 shown]
	ds_read_b128 v[5:8], v96 offset:1136
	s_waitcnt vmcnt(58) lgkmcnt(1)
	v_mul_f64 v[29:30], v[9:10], v[43:44]
	v_mul_f64 v[43:44], v[11:12], v[43:44]
	s_waitcnt vmcnt(56)
	v_fma_f64 v[39:40], v[1:2], v[45:46], -v[39:40]
	v_add_f64 v[21:22], v[21:22], v[35:36]
	v_fma_f64 v[35:36], v[3:4], v[45:46], v[112:113]
	v_add_f64 v[13:14], v[13:14], v[23:24]
	s_clause 0x4
	buffer_load_dword v24, off, s[0:3], 0 offset:508
	buffer_load_dword v45, off, s[0:3], 0 offset:520
	;; [unrolled: 1-line block ×5, first 2 shown]
	s_waitcnt vmcnt(57) lgkmcnt(0)
	v_mul_f64 v[118:119], v[5:6], v[47:48]
	v_mul_f64 v[47:48], v[7:8], v[47:48]
	s_waitcnt vmcnt(56)
	v_fma_f64 v[43:44], v[9:10], v[31:32], -v[43:44]
	ds_read_b128 v[1:4], v96 offset:1152
	v_fma_f64 v[29:30], v[11:12], v[31:32], v[29:30]
	s_clause 0x2
	buffer_load_dword v46, off, s[0:3], 0 offset:524
	buffer_load_dword v32, off, s[0:3], 0 offset:500
	;; [unrolled: 1-line block ×3, first 2 shown]
	ds_read_b128 v[9:12], v96 offset:1168
	v_add_f64 v[21:22], v[21:22], v[39:40]
	v_add_f64 v[13:14], v[13:14], v[35:36]
	s_waitcnt vmcnt(58) lgkmcnt(1)
	v_mul_f64 v[39:40], v[3:4], v[51:52]
	s_waitcnt vmcnt(56)
	v_fma_f64 v[47:48], v[5:6], v[53:54], -v[47:48]
	v_mul_f64 v[35:36], v[1:2], v[51:52]
	v_add_f64 v[21:22], v[21:22], v[43:44]
	v_fma_f64 v[43:44], v[7:8], v[53:54], v[118:119]
	v_add_f64 v[13:14], v[13:14], v[29:30]
	s_clause 0x4
	buffer_load_dword v30, off, s[0:3], 0 offset:540
	buffer_load_dword v51, off, s[0:3], 0 offset:552
	;; [unrolled: 1-line block ×5, first 2 shown]
	s_waitcnt vmcnt(57) lgkmcnt(0)
	v_mul_f64 v[118:119], v[9:10], v[55:56]
	v_mul_f64 v[54:55], v[11:12], v[55:56]
	s_waitcnt vmcnt(56)
	v_fma_f64 v[39:40], v[1:2], v[41:42], -v[39:40]
	ds_read_b128 v[5:8], v96 offset:1184
	v_fma_f64 v[35:36], v[3:4], v[41:42], v[35:36]
	s_clause 0x2
	buffer_load_dword v52, off, s[0:3], 0 offset:556
	buffer_load_dword v42, off, s[0:3], 0 offset:532
	;; [unrolled: 1-line block ×3, first 2 shown]
	ds_read_b128 v[1:4], v96 offset:1200
	v_add_f64 v[21:22], v[21:22], v[47:48]
	v_add_f64 v[13:14], v[13:14], v[43:44]
	s_waitcnt vmcnt(58) lgkmcnt(1)
	v_mul_f64 v[47:48], v[7:8], v[85:86]
	s_waitcnt vmcnt(56)
	v_fma_f64 v[55:56], v[9:10], v[87:88], -v[54:55]
	v_mul_f64 v[43:44], v[5:6], v[85:86]
	v_add_f64 v[21:22], v[21:22], v[39:40]
	v_fma_f64 v[39:40], v[11:12], v[87:88], v[118:119]
	v_add_f64 v[13:14], v[13:14], v[35:36]
	s_clause 0x4
	buffer_load_dword v36, off, s[0:3], 0 offset:572
	buffer_load_dword v85, off, s[0:3], 0 offset:584
	buffer_load_dword v87, off, s[0:3], 0 offset:576
	buffer_load_dword v35, off, s[0:3], 0 offset:568
	buffer_load_dword v54, off, s[0:3], 0 offset:548
	s_waitcnt vmcnt(57) lgkmcnt(0)
	v_mul_f64 v[118:119], v[1:2], v[89:90]
	v_mul_f64 v[88:89], v[3:4], v[89:90]
	s_waitcnt vmcnt(56)
	v_fma_f64 v[47:48], v[5:6], v[49:50], -v[47:48]
	ds_read_b128 v[9:12], v96 offset:1216
	v_fma_f64 v[43:44], v[7:8], v[49:50], v[43:44]
	v_add_f64 v[21:22], v[21:22], v[55:56]
	v_add_f64 v[13:14], v[13:14], v[39:40]
	s_clause 0x2
	buffer_load_dword v86, off, s[0:3], 0 offset:588
	buffer_load_dword v40, off, s[0:3], 0 offset:564
	;; [unrolled: 1-line block ×3, first 2 shown]
	ds_read_b128 v[5:8], v96 offset:1232
	s_waitcnt vmcnt(58) lgkmcnt(1)
	v_mul_f64 v[55:56], v[11:12], v[91:92]
	s_waitcnt vmcnt(56)
	v_fma_f64 v[89:90], v[1:2], v[93:94], -v[88:89]
	v_mul_f64 v[49:50], v[9:10], v[91:92]
	v_add_f64 v[21:22], v[21:22], v[47:48]
	v_fma_f64 v[47:48], v[3:4], v[93:94], v[118:119]
	v_add_f64 v[13:14], v[13:14], v[43:44]
	s_clause 0x4
	buffer_load_dword v44, off, s[0:3], 0 offset:604
	buffer_load_dword v91, off, s[0:3], 0 offset:616
	;; [unrolled: 1-line block ×5, first 2 shown]
	s_waitcnt vmcnt(57) lgkmcnt(0)
	v_mul_f64 v[118:119], v[5:6], v[103:104]
	v_mul_f64 v[103:104], v[7:8], v[103:104]
	s_waitcnt vmcnt(56)
	v_fma_f64 v[55:56], v[9:10], v[83:84], -v[55:56]
	ds_read_b128 v[1:4], v96 offset:1248
	v_fma_f64 v[49:50], v[11:12], v[83:84], v[49:50]
	v_add_f64 v[21:22], v[21:22], v[89:90]
	v_add_f64 v[13:14], v[13:14], v[47:48]
	s_clause 0x2
	buffer_load_dword v92, off, s[0:3], 0 offset:620
	buffer_load_dword v48, off, s[0:3], 0 offset:596
	;; [unrolled: 1-line block ×3, first 2 shown]
	ds_read_b128 v[9:12], v96 offset:1264
	s_waitcnt vmcnt(58) lgkmcnt(1)
	v_mul_f64 v[89:90], v[3:4], v[105:106]
	v_mul_f64 v[83:84], v[1:2], v[105:106]
	s_waitcnt vmcnt(56)
	v_fma_f64 v[103:104], v[5:6], v[17:18], -v[103:104]
	v_fma_f64 v[17:18], v[7:8], v[17:18], v[118:119]
	v_add_f64 v[21:22], v[21:22], v[55:56]
	v_add_f64 v[13:14], v[13:14], v[49:50]
	s_clause 0x4
	buffer_load_dword v50, off, s[0:3], 0 offset:636
	buffer_load_dword v55, off, s[0:3], 0 offset:648
	;; [unrolled: 1-line block ×5, first 2 shown]
	ds_read_b128 v[5:8], v96 offset:1280
	s_waitcnt vmcnt(57) lgkmcnt(1)
	v_mul_f64 v[118:119], v[9:10], v[15:16]
	v_mul_f64 v[15:16], v[11:12], v[15:16]
	s_waitcnt vmcnt(56)
	v_fma_f64 v[89:90], v[1:2], v[107:108], -v[89:90]
	v_fma_f64 v[83:84], v[3:4], v[107:108], v[83:84]
	v_add_f64 v[21:22], v[21:22], v[103:104]
	v_add_f64 v[13:14], v[13:14], v[17:18]
	s_clause 0x2
	buffer_load_dword v56, off, s[0:3], 0 offset:652
	buffer_load_dword v18, off, s[0:3], 0 offset:628
	;; [unrolled: 1-line block ×3, first 2 shown]
	s_waitcnt vmcnt(58) lgkmcnt(0)
	v_mul_f64 v[107:108], v[7:8], v[109:110]
	ds_read_b128 v[1:4], v96 offset:1296
	v_mul_f64 v[103:104], v[5:6], v[109:110]
	s_waitcnt vmcnt(56)
	v_fma_f64 v[15:16], v[9:10], v[99:100], -v[15:16]
	v_add_f64 v[21:22], v[21:22], v[89:90]
	v_fma_f64 v[89:90], v[11:12], v[99:100], v[118:119]
	v_add_f64 v[13:14], v[13:14], v[83:84]
	s_clause 0x4
	buffer_load_dword v84, off, s[0:3], 0 offset:668
	buffer_load_dword v99, off, s[0:3], 0 offset:680
	;; [unrolled: 1-line block ×5, first 2 shown]
	ds_read_b128 v[9:12], v96 offset:1312
	s_waitcnt vmcnt(57) lgkmcnt(1)
	v_mul_f64 v[118:119], v[1:2], v[33:34]
	v_mul_f64 v[33:34], v[3:4], v[33:34]
	s_waitcnt vmcnt(56)
	v_fma_f64 v[107:108], v[5:6], v[114:115], -v[107:108]
	v_add_f64 v[15:16], v[21:22], v[15:16]
	v_fma_f64 v[21:22], v[7:8], v[114:115], v[103:104]
	v_add_f64 v[13:14], v[13:14], v[89:90]
	s_clause 0x2
	buffer_load_dword v100, off, s[0:3], 0 offset:684
	buffer_load_dword v90, off, s[0:3], 0 offset:660
	buffer_load_dword v89, off, s[0:3], 0 offset:656
	ds_read_b128 v[5:8], v96 offset:1328
	s_waitcnt vmcnt(58) lgkmcnt(1)
	v_mul_f64 v[103:104], v[9:10], v[101:102]
	v_mul_f64 v[101:102], v[11:12], v[101:102]
	s_waitcnt vmcnt(56)
	v_fma_f64 v[33:34], v[1:2], v[27:28], -v[33:34]
	v_fma_f64 v[27:28], v[3:4], v[27:28], v[118:119]
	v_add_f64 v[15:16], v[15:16], v[107:108]
	v_add_f64 v[13:14], v[13:14], v[21:22]
	s_clause 0x4
	buffer_load_dword v22, off, s[0:3], 0 offset:700
	buffer_load_dword v107, off, s[0:3], 0 offset:712
	;; [unrolled: 1-line block ×5, first 2 shown]
	ds_read_b128 v[1:4], v96 offset:1344
	s_waitcnt vmcnt(57) lgkmcnt(1)
	v_mul_f64 v[114:115], v[5:6], v[19:20]
	v_mul_f64 v[19:20], v[7:8], v[19:20]
	s_waitcnt vmcnt(56)
	v_fma_f64 v[101:102], v[9:10], v[116:117], -v[101:102]
	v_add_f64 v[15:16], v[15:16], v[33:34]
	v_fma_f64 v[33:34], v[11:12], v[116:117], v[103:104]
	v_add_f64 v[13:14], v[13:14], v[27:28]
	s_clause 0x2
	buffer_load_dword v108, off, s[0:3], 0 offset:716
	buffer_load_dword v28, off, s[0:3], 0 offset:692
	;; [unrolled: 1-line block ×3, first 2 shown]
	ds_read_b128 v[9:12], v96 offset:1360
	s_waitcnt vmcnt(58) lgkmcnt(1)
	v_mul_f64 v[103:104], v[1:2], v[37:38]
	v_mul_f64 v[37:38], v[3:4], v[37:38]
	s_waitcnt vmcnt(56)
	v_fma_f64 v[19:20], v[5:6], v[25:26], -v[19:20]
	v_fma_f64 v[25:26], v[7:8], v[25:26], v[114:115]
	v_add_f64 v[15:16], v[15:16], v[101:102]
	v_add_f64 v[13:14], v[13:14], v[33:34]
	s_clause 0x4
	buffer_load_dword v34, off, s[0:3], 0 offset:732
	buffer_load_dword v101, off, s[0:3], 0 offset:744
	;; [unrolled: 1-line block ×5, first 2 shown]
	ds_read_b128 v[5:8], v96 offset:1376
	s_waitcnt vmcnt(57) lgkmcnt(1)
	v_mul_f64 v[116:117], v[9:10], v[23:24]
	v_mul_f64 v[23:24], v[11:12], v[23:24]
	s_waitcnt vmcnt(56)
	v_fma_f64 v[37:38], v[1:2], v[111:112], -v[37:38]
	v_add_f64 v[15:16], v[15:16], v[19:20]
	v_fma_f64 v[19:20], v[3:4], v[111:112], v[103:104]
	v_add_f64 v[13:14], v[13:14], v[25:26]
	s_clause 0x2
	buffer_load_dword v102, off, s[0:3], 0 offset:748
	buffer_load_dword v26, off, s[0:3], 0 offset:724
	;; [unrolled: 1-line block ×3, first 2 shown]
	s_waitcnt vmcnt(58) lgkmcnt(0)
	v_mul_f64 v[103:104], v[5:6], v[45:46]
	v_mul_f64 v[45:46], v[7:8], v[45:46]
	ds_read_b128 v[1:4], v96 offset:1392
	s_waitcnt vmcnt(56)
	v_fma_f64 v[23:24], v[9:10], v[31:32], -v[23:24]
	v_fma_f64 v[31:32], v[11:12], v[31:32], v[116:117]
	v_add_f64 v[15:16], v[15:16], v[37:38]
	v_add_f64 v[13:14], v[13:14], v[19:20]
	s_clause 0x4
	buffer_load_dword v20, off, s[0:3], 0 offset:764
	buffer_load_dword v37, off, s[0:3], 0 offset:776
	;; [unrolled: 1-line block ×5, first 2 shown]
	ds_read_b128 v[9:12], v96 offset:1408
	s_waitcnt vmcnt(57) lgkmcnt(1)
	v_mul_f64 v[117:118], v[1:2], v[29:30]
	v_mul_f64 v[29:30], v[3:4], v[29:30]
	s_waitcnt vmcnt(56)
	v_fma_f64 v[45:46], v[5:6], v[97:98], -v[45:46]
	v_add_f64 v[15:16], v[15:16], v[23:24]
	v_fma_f64 v[23:24], v[7:8], v[97:98], v[103:104]
	v_add_f64 v[13:14], v[13:14], v[31:32]
	s_clause 0x2
	buffer_load_dword v38, off, s[0:3], 0 offset:780
	buffer_load_dword v32, off, s[0:3], 0 offset:756
	;; [unrolled: 1-line block ×3, first 2 shown]
	s_waitcnt vmcnt(58) lgkmcnt(0)
	v_mul_f64 v[97:98], v[9:10], v[51:52]
	v_mul_f64 v[51:52], v[11:12], v[51:52]
	ds_read_b128 v[5:8], v96 offset:1424
	s_waitcnt vmcnt(56)
	v_fma_f64 v[29:30], v[1:2], v[41:42], -v[29:30]
	v_fma_f64 v[41:42], v[3:4], v[41:42], v[117:118]
	v_add_f64 v[15:16], v[15:16], v[45:46]
	v_add_f64 v[13:14], v[13:14], v[23:24]
	s_clause 0x4
	buffer_load_dword v24, off, s[0:3], 0 offset:796
	buffer_load_dword v45, off, s[0:3], 0 offset:808
	buffer_load_dword v103, off, s[0:3], 0 offset:800
	buffer_load_dword v23, off, s[0:3], 0 offset:792
	buffer_load_dword v112, off, s[0:3], 0 offset:772
	ds_read_b128 v[1:4], v96 offset:1440
	s_waitcnt vmcnt(57) lgkmcnt(1)
	v_mul_f64 v[117:118], v[5:6], v[35:36]
	v_mul_f64 v[35:36], v[7:8], v[35:36]
	s_waitcnt vmcnt(56)
	v_fma_f64 v[51:52], v[9:10], v[53:54], -v[51:52]
	v_add_f64 v[15:16], v[15:16], v[29:30]
	v_fma_f64 v[29:30], v[11:12], v[53:54], v[97:98]
	v_add_f64 v[13:14], v[13:14], v[41:42]
	s_clause 0x2
	buffer_load_dword v46, off, s[0:3], 0 offset:812
	buffer_load_dword v42, off, s[0:3], 0 offset:788
	buffer_load_dword v41, off, s[0:3], 0 offset:784
	ds_read_b128 v[9:12], v96 offset:1456
	s_waitcnt vmcnt(58) lgkmcnt(1)
	v_mul_f64 v[53:54], v[1:2], v[85:86]
	v_mul_f64 v[85:86], v[3:4], v[85:86]
	s_waitcnt vmcnt(56)
	v_fma_f64 v[35:36], v[5:6], v[39:40], -v[35:36]
	v_fma_f64 v[39:40], v[7:8], v[39:40], v[117:118]
	v_add_f64 v[15:16], v[15:16], v[51:52]
	v_add_f64 v[13:14], v[13:14], v[29:30]
	s_clause 0x4
	buffer_load_dword v30, off, s[0:3], 0 offset:828
	buffer_load_dword v51, off, s[0:3], 0 offset:840
	buffer_load_dword v97, off, s[0:3], 0 offset:832
	buffer_load_dword v29, off, s[0:3], 0 offset:824
	buffer_load_dword v104, off, s[0:3], 0 offset:804
	ds_read_b128 v[5:8], v96 offset:1472
	s_waitcnt vmcnt(57) lgkmcnt(1)
	v_mul_f64 v[117:118], v[9:10], v[43:44]
	v_mul_f64 v[43:44], v[11:12], v[43:44]
	s_waitcnt vmcnt(56)
	v_fma_f64 v[85:86], v[1:2], v[87:88], -v[85:86]
	v_add_f64 v[15:16], v[15:16], v[35:36]
	v_fma_f64 v[35:36], v[3:4], v[87:88], v[53:54]
	v_add_f64 v[13:14], v[13:14], v[39:40]
	s_clause 0x2
	buffer_load_dword v52, off, s[0:3], 0 offset:844
	buffer_load_dword v40, off, s[0:3], 0 offset:820
	buffer_load_dword v39, off, s[0:3], 0 offset:816
	ds_read_b128 v[1:4], v96 offset:1488
	s_waitcnt vmcnt(58) lgkmcnt(1)
	v_mul_f64 v[87:88], v[7:8], v[91:92]
	v_mul_f64 v[53:54], v[5:6], v[91:92]
	;; [unrolled: 28-line block ×3, first 2 shown]
	s_waitcnt vmcnt(56)
	v_fma_f64 v[49:50], v[1:2], v[17:18], -v[49:50]
	v_fma_f64 v[17:18], v[3:4], v[17:18], v[117:118]
	v_add_f64 v[15:16], v[15:16], v[87:88]
	v_add_f64 v[13:14], v[13:14], v[43:44]
	s_clause 0x2
	buffer_load_dword v44, off, s[0:3], 0 offset:892
	buffer_load_dword v43, off, s[0:3], 0 offset:888
	;; [unrolled: 1-line block ×3, first 2 shown]
	ds_read_b128 v[1:4], v96 offset:1536
	s_waitcnt vmcnt(55) lgkmcnt(1)
	v_mul_f64 v[87:88], v[5:6], v[83:84]
	v_mul_f64 v[83:84], v[7:8], v[83:84]
	s_waitcnt vmcnt(54)
	v_fma_f64 v[55:56], v[9:10], v[105:106], -v[55:56]
	v_add_f64 v[15:16], v[15:16], v[49:50]
	v_fma_f64 v[49:50], v[11:12], v[105:106], v[53:54]
	v_add_f64 v[13:14], v[13:14], v[17:18]
	s_clause 0x1
	buffer_load_dword v18, off, s[0:3], 0 offset:884
	buffer_load_dword v17, off, s[0:3], 0 offset:880
	ds_read_b128 v[9:12], v96 offset:1552
	s_waitcnt vmcnt(55) lgkmcnt(1)
	v_mul_f64 v[93:94], v[3:4], v[99:100]
	v_mul_f64 v[53:54], v[1:2], v[99:100]
	s_waitcnt vmcnt(53)
	v_fma_f64 v[83:84], v[5:6], v[89:90], -v[83:84]
	v_add_f64 v[15:16], v[15:16], v[55:56]
	v_fma_f64 v[55:56], v[7:8], v[89:90], v[87:88]
	v_add_f64 v[13:14], v[13:14], v[49:50]
	ds_read_b128 v[5:8], v96 offset:1568
	s_waitcnt vmcnt(49) lgkmcnt(1)
	v_mul_f64 v[49:50], v[9:10], v[21:22]
	v_mul_f64 v[21:22], v[11:12], v[21:22]
	s_waitcnt vmcnt(48)
	v_fma_f64 v[87:88], v[1:2], v[109:110], -v[93:94]
	v_fma_f64 v[53:54], v[3:4], v[109:110], v[53:54]
	v_add_f64 v[15:16], v[15:16], v[83:84]
	v_add_f64 v[13:14], v[13:14], v[55:56]
	s_clause 0x3
	buffer_load_dword v55, off, s[0:3], 0 offset:112
	buffer_load_dword v56, off, s[0:3], 0 offset:116
	;; [unrolled: 1-line block ×4, first 2 shown]
	ds_read_b128 v[1:4], v96 offset:1584
	s_waitcnt vmcnt(51) lgkmcnt(1)
	v_mul_f64 v[93:94], v[7:8], v[107:108]
	v_mul_f64 v[89:90], v[5:6], v[107:108]
	s_waitcnt vmcnt(49)
	v_fma_f64 v[21:22], v[9:10], v[27:28], -v[21:22]
	v_fma_f64 v[27:28], v[11:12], v[27:28], v[49:50]
	ds_read_b128 v[9:12], v96 offset:1600
	v_add_f64 v[15:16], v[15:16], v[87:88]
	v_add_f64 v[13:14], v[13:14], v[53:54]
	s_waitcnt vmcnt(45) lgkmcnt(1)
	v_mul_f64 v[49:50], v[1:2], v[33:34]
	v_mul_f64 v[33:34], v[3:4], v[33:34]
	s_waitcnt vmcnt(44)
	v_fma_f64 v[53:54], v[5:6], v[113:114], -v[93:94]
	v_add_f64 v[15:16], v[15:16], v[21:22]
	v_fma_f64 v[21:22], v[7:8], v[113:114], v[89:90]
	v_add_f64 v[13:14], v[13:14], v[27:28]
	ds_read_b128 v[5:8], v96 offset:1616
	s_waitcnt vmcnt(43) lgkmcnt(1)
	v_mul_f64 v[87:88], v[11:12], v[101:102]
	v_mul_f64 v[27:28], v[9:10], v[101:102]
	s_waitcnt vmcnt(41)
	v_fma_f64 v[33:34], v[1:2], v[25:26], -v[33:34]
	v_fma_f64 v[25:26], v[3:4], v[25:26], v[49:50]
	ds_read_b128 v[1:4], v96 offset:1632
	v_add_f64 v[15:16], v[15:16], v[53:54]
	v_add_f64 v[13:14], v[13:14], v[21:22]
	s_waitcnt vmcnt(37) lgkmcnt(1)
	v_mul_f64 v[21:22], v[5:6], v[19:20]
	v_mul_f64 v[19:20], v[7:8], v[19:20]
	s_waitcnt vmcnt(36)
	v_fma_f64 v[49:50], v[9:10], v[115:116], -v[87:88]
	v_fma_f64 v[27:28], v[11:12], v[115:116], v[27:28]
	ds_read_b128 v[9:12], v96 offset:1648
	v_add_f64 v[15:16], v[15:16], v[33:34]
	v_add_f64 v[13:14], v[13:14], v[25:26]
	;; [unrolled: 9-line block ×3, first 2 shown]
	s_waitcnt vmcnt(29) lgkmcnt(1)
	v_mul_f64 v[27:28], v[9:10], v[23:24]
	v_mul_f64 v[23:24], v[11:12], v[23:24]
	s_waitcnt vmcnt(28)
	v_fma_f64 v[31:32], v[1:2], v[111:112], -v[33:34]
	v_add_f64 v[15:16], v[15:16], v[19:20]
	v_fma_f64 v[19:20], v[3:4], v[111:112], v[25:26]
	v_add_f64 v[13:14], v[13:14], v[21:22]
	ds_read_b128 v[1:4], v96 offset:1680
	s_waitcnt vmcnt(27) lgkmcnt(1)
	v_mul_f64 v[25:26], v[7:8], v[45:46]
	v_mul_f64 v[21:22], v[5:6], v[45:46]
	s_waitcnt vmcnt(25)
	v_fma_f64 v[23:24], v[9:10], v[41:42], -v[23:24]
	v_fma_f64 v[27:28], v[11:12], v[41:42], v[27:28]
	ds_read_b128 v[9:12], v96 offset:1696
	v_add_f64 v[15:16], v[15:16], v[31:32]
	v_add_f64 v[13:14], v[13:14], v[19:20]
	s_waitcnt vmcnt(21) lgkmcnt(1)
	v_mul_f64 v[19:20], v[1:2], v[29:30]
	v_mul_f64 v[29:30], v[3:4], v[29:30]
	s_waitcnt vmcnt(20)
	v_fma_f64 v[25:26], v[5:6], v[103:104], -v[25:26]
	v_fma_f64 v[21:22], v[7:8], v[103:104], v[21:22]
	ds_read_b128 v[5:8], v96 offset:1712
	v_add_f64 v[15:16], v[15:16], v[23:24]
	v_add_f64 v[13:14], v[13:14], v[27:28]
	;; [unrolled: 9-line block ×3, first 2 shown]
	s_waitcnt vmcnt(13) lgkmcnt(1)
	v_mul_f64 v[25:26], v[7:8], v[35:36]
	s_waitcnt vmcnt(12)
	v_fma_f64 v[27:28], v[9:10], v[97:98], -v[27:28]
	v_mul_f64 v[21:22], v[5:6], v[35:36]
	v_fma_f64 v[23:24], v[11:12], v[97:98], v[23:24]
	ds_read_b128 v[9:12], v96 offset:1744
	v_add_f64 v[15:16], v[15:16], v[29:30]
	v_add_f64 v[13:14], v[13:14], v[19:20]
	s_waitcnt vmcnt(11) lgkmcnt(1)
	v_mul_f64 v[29:30], v[3:4], v[85:86]
	v_mul_f64 v[19:20], v[1:2], v[85:86]
	s_waitcnt vmcnt(9)
	v_fma_f64 v[5:6], v[5:6], v[47:48], -v[25:26]
	v_fma_f64 v[7:8], v[7:8], v[47:48], v[21:22]
	v_add_f64 v[15:16], v[15:16], v[27:28]
	v_add_f64 v[13:14], v[13:14], v[23:24]
	s_waitcnt vmcnt(7) lgkmcnt(0)
	v_mul_f64 v[23:24], v[11:12], v[43:44]
	s_waitcnt vmcnt(6)
	v_fma_f64 v[1:2], v[1:2], v[91:92], -v[29:30]
	v_mul_f64 v[21:22], v[9:10], v[43:44]
	v_fma_f64 v[3:4], v[3:4], v[91:92], v[19:20]
	v_add_f64 v[5:6], v[15:16], v[5:6]
	v_add_f64 v[7:8], v[13:14], v[7:8]
	s_waitcnt vmcnt(4)
	v_fma_f64 v[9:10], v[9:10], v[17:18], -v[23:24]
	v_add_f64 v[1:2], v[5:6], v[1:2]
	v_fma_f64 v[5:6], v[11:12], v[17:18], v[21:22]
	v_add_f64 v[3:4], v[7:8], v[3:4]
	v_add_f64 v[1:2], v[1:2], v[9:10]
	v_add_f64 v[3:4], v[3:4], v[5:6]
	s_waitcnt vmcnt(2)
	v_add_f64 v[1:2], v[55:56], -v[1:2]
	s_waitcnt vmcnt(0)
	v_add_f64 v[3:4], v[83:84], -v[3:4]
	buffer_store_dword v2, off, s[0:3], 0 offset:116
	buffer_store_dword v1, off, s[0:3], 0 offset:112
	;; [unrolled: 1-line block ×4, first 2 shown]
	v_cmpx_lt_u32_e32 5, v0
	s_cbranch_execz .LBB54_333
; %bb.332:
	v_mov_b32_e32 v4, s62
	v_mov_b32_e32 v5, 0
	s_clause 0x3
	buffer_load_dword v1, v4, s[0:3], 0 offen
	buffer_load_dword v2, v4, s[0:3], 0 offen offset:4
	buffer_load_dword v3, v4, s[0:3], 0 offen offset:8
	;; [unrolled: 1-line block ×3, first 2 shown]
	buffer_store_dword v5, off, s[0:3], 0 offset:96
	buffer_store_dword v5, off, s[0:3], 0 offset:100
	;; [unrolled: 1-line block ×4, first 2 shown]
	s_waitcnt vmcnt(0)
	ds_write_b128 v95, v[1:4]
.LBB54_333:
	s_or_b32 exec_lo, exec_lo, s4
	s_waitcnt lgkmcnt(0)
	s_waitcnt_vscnt null, 0x0
	s_barrier
	buffer_gl0_inv
	s_clause 0x37
	buffer_load_dword v17, off, s[0:3], 0 offset:120
	buffer_load_dword v18, off, s[0:3], 0 offset:124
	;; [unrolled: 1-line block ×56, first 2 shown]
	v_mov_b32_e32 v96, 0
	s_mov_b32 s4, exec_lo
	ds_read_b128 v[5:8], v96 offset:976
	s_clause 0x2
	buffer_load_dword v92, off, s[0:3], 0 offset:348
	buffer_load_dword v94, off, s[0:3], 0 offset:324
	;; [unrolled: 1-line block ×3, first 2 shown]
	ds_read_b128 v[1:4], v96 offset:992
	s_clause 0x4
	buffer_load_dword v104, off, s[0:3], 0 offset:364
	buffer_load_dword v105, off, s[0:3], 0 offset:376
	;; [unrolled: 1-line block ×5, first 2 shown]
	ds_read_b128 v[97:100], v96 offset:1008
	s_waitcnt vmcnt(62) lgkmcnt(2)
	v_mul_f64 v[101:102], v[7:8], v[17:18]
	v_mul_f64 v[17:18], v[5:6], v[17:18]
	s_waitcnt vmcnt(60) lgkmcnt(1)
	v_mul_f64 v[108:109], v[3:4], v[13:14]
	v_mul_f64 v[13:14], v[1:2], v[13:14]
	;; [unrolled: 3-line block ×3, first 2 shown]
	v_fma_f64 v[101:102], v[5:6], v[15:16], -v[101:102]
	v_fma_f64 v[15:16], v[7:8], v[15:16], v[17:18]
	s_clause 0x2
	buffer_load_dword v106, off, s[0:3], 0 offset:380
	buffer_load_dword v18, off, s[0:3], 0 offset:356
	;; [unrolled: 1-line block ×3, first 2 shown]
	s_waitcnt vmcnt(57)
	v_fma_f64 v[112:113], v[1:2], v[9:10], -v[108:109]
	ds_read_b128 v[5:8], v96 offset:1024
	v_fma_f64 v[9:10], v[3:4], v[9:10], v[13:14]
	s_waitcnt vmcnt(51)
	v_fma_f64 v[97:98], v[97:98], v[33:34], -v[11:12]
	v_fma_f64 v[33:34], v[99:100], v[33:34], v[110:111]
	v_add_f64 v[101:102], v[101:102], 0
	v_add_f64 v[13:14], v[15:16], 0
	s_clause 0x4
	buffer_load_dword v16, off, s[0:3], 0 offset:396
	buffer_load_dword v109, off, s[0:3], 0 offset:408
	;; [unrolled: 1-line block ×5, first 2 shown]
	s_waitcnt lgkmcnt(0)
	v_mul_f64 v[115:116], v[5:6], v[21:22]
	v_mul_f64 v[21:22], v[7:8], v[21:22]
	ds_read_b128 v[1:4], v96 offset:1040
	s_clause 0x2
	buffer_load_dword v110, off, s[0:3], 0 offset:412
	buffer_load_dword v100, off, s[0:3], 0 offset:388
	;; [unrolled: 1-line block ×3, first 2 shown]
	v_add_f64 v[101:102], v[101:102], v[112:113]
	v_add_f64 v[13:14], v[13:14], v[9:10]
	ds_read_b128 v[9:12], v96 offset:1056
	s_waitcnt vmcnt(58) lgkmcnt(1)
	v_mul_f64 v[111:112], v[1:2], v[25:26]
	v_mul_f64 v[25:26], v[3:4], v[25:26]
	s_waitcnt vmcnt(56)
	v_fma_f64 v[21:22], v[5:6], v[27:28], -v[21:22]
	v_fma_f64 v[27:28], v[7:8], v[27:28], v[115:116]
	s_waitcnt vmcnt(52) lgkmcnt(0)
	v_mul_f64 v[117:118], v[9:10], v[29:30]
	v_add_f64 v[97:98], v[101:102], v[97:98]
	v_add_f64 v[13:14], v[13:14], v[33:34]
	s_clause 0x4
	buffer_load_dword v34, off, s[0:3], 0 offset:428
	buffer_load_dword v101, off, s[0:3], 0 offset:440
	;; [unrolled: 1-line block ×5, first 2 shown]
	v_mul_f64 v[29:30], v[11:12], v[29:30]
	s_waitcnt vmcnt(56)
	v_fma_f64 v[25:26], v[1:2], v[19:20], -v[25:26]
	ds_read_b128 v[5:8], v96 offset:1072
	v_fma_f64 v[19:20], v[3:4], v[19:20], v[111:112]
	v_add_f64 v[21:22], v[97:98], v[21:22]
	v_add_f64 v[13:14], v[13:14], v[27:28]
	s_clause 0x2
	buffer_load_dword v102, off, s[0:3], 0 offset:444
	buffer_load_dword v28, off, s[0:3], 0 offset:420
	;; [unrolled: 1-line block ×3, first 2 shown]
	s_waitcnt vmcnt(58) lgkmcnt(0)
	v_mul_f64 v[97:98], v[5:6], v[35:36]
	v_mul_f64 v[35:36], v[7:8], v[35:36]
	s_waitcnt vmcnt(56)
	v_fma_f64 v[29:30], v[9:10], v[37:38], -v[29:30]
	ds_read_b128 v[1:4], v96 offset:1088
	v_add_f64 v[21:22], v[21:22], v[25:26]
	v_fma_f64 v[25:26], v[11:12], v[37:38], v[117:118]
	v_add_f64 v[13:14], v[13:14], v[19:20]
	s_clause 0x4
	buffer_load_dword v20, off, s[0:3], 0 offset:460
	buffer_load_dword v37, off, s[0:3], 0 offset:472
	;; [unrolled: 1-line block ×5, first 2 shown]
	s_waitcnt vmcnt(57) lgkmcnt(0)
	v_mul_f64 v[112:113], v[1:2], v[39:40]
	v_mul_f64 v[39:40], v[3:4], v[39:40]
	s_waitcnt vmcnt(56)
	v_fma_f64 v[35:36], v[5:6], v[23:24], -v[35:36]
	ds_read_b128 v[9:12], v96 offset:1104
	v_fma_f64 v[23:24], v[7:8], v[23:24], v[97:98]
	v_add_f64 v[21:22], v[21:22], v[29:30]
	v_add_f64 v[13:14], v[13:14], v[25:26]
	s_clause 0x2
	buffer_load_dword v38, off, s[0:3], 0 offset:476
	buffer_load_dword v26, off, s[0:3], 0 offset:452
	;; [unrolled: 1-line block ×3, first 2 shown]
	ds_read_b128 v[5:8], v96 offset:1120
	s_waitcnt vmcnt(58) lgkmcnt(1)
	v_mul_f64 v[29:30], v[9:10], v[43:44]
	v_mul_f64 v[43:44], v[11:12], v[43:44]
	s_waitcnt vmcnt(56)
	v_fma_f64 v[39:40], v[1:2], v[45:46], -v[39:40]
	v_add_f64 v[21:22], v[21:22], v[35:36]
	v_fma_f64 v[35:36], v[3:4], v[45:46], v[112:113]
	v_add_f64 v[13:14], v[13:14], v[23:24]
	s_clause 0x4
	buffer_load_dword v24, off, s[0:3], 0 offset:492
	buffer_load_dword v45, off, s[0:3], 0 offset:504
	;; [unrolled: 1-line block ×5, first 2 shown]
	s_waitcnt vmcnt(57) lgkmcnt(0)
	v_mul_f64 v[118:119], v[5:6], v[47:48]
	v_mul_f64 v[47:48], v[7:8], v[47:48]
	s_waitcnt vmcnt(56)
	v_fma_f64 v[43:44], v[9:10], v[31:32], -v[43:44]
	ds_read_b128 v[1:4], v96 offset:1136
	v_fma_f64 v[29:30], v[11:12], v[31:32], v[29:30]
	s_clause 0x2
	buffer_load_dword v46, off, s[0:3], 0 offset:508
	buffer_load_dword v32, off, s[0:3], 0 offset:484
	;; [unrolled: 1-line block ×3, first 2 shown]
	ds_read_b128 v[9:12], v96 offset:1152
	v_add_f64 v[21:22], v[21:22], v[39:40]
	v_add_f64 v[13:14], v[13:14], v[35:36]
	s_waitcnt vmcnt(58) lgkmcnt(1)
	v_mul_f64 v[39:40], v[3:4], v[51:52]
	s_waitcnt vmcnt(56)
	v_fma_f64 v[47:48], v[5:6], v[53:54], -v[47:48]
	v_mul_f64 v[35:36], v[1:2], v[51:52]
	v_add_f64 v[21:22], v[21:22], v[43:44]
	v_fma_f64 v[43:44], v[7:8], v[53:54], v[118:119]
	v_add_f64 v[13:14], v[13:14], v[29:30]
	s_clause 0x4
	buffer_load_dword v30, off, s[0:3], 0 offset:524
	buffer_load_dword v51, off, s[0:3], 0 offset:536
	;; [unrolled: 1-line block ×5, first 2 shown]
	s_waitcnt vmcnt(57) lgkmcnt(0)
	v_mul_f64 v[118:119], v[9:10], v[55:56]
	v_mul_f64 v[54:55], v[11:12], v[55:56]
	s_waitcnt vmcnt(56)
	v_fma_f64 v[39:40], v[1:2], v[41:42], -v[39:40]
	ds_read_b128 v[5:8], v96 offset:1168
	v_fma_f64 v[35:36], v[3:4], v[41:42], v[35:36]
	s_clause 0x2
	buffer_load_dword v52, off, s[0:3], 0 offset:540
	buffer_load_dword v42, off, s[0:3], 0 offset:516
	;; [unrolled: 1-line block ×3, first 2 shown]
	ds_read_b128 v[1:4], v96 offset:1184
	v_add_f64 v[21:22], v[21:22], v[47:48]
	v_add_f64 v[13:14], v[13:14], v[43:44]
	s_waitcnt vmcnt(58) lgkmcnt(1)
	v_mul_f64 v[47:48], v[7:8], v[85:86]
	s_waitcnt vmcnt(56)
	v_fma_f64 v[55:56], v[9:10], v[87:88], -v[54:55]
	v_mul_f64 v[43:44], v[5:6], v[85:86]
	v_add_f64 v[21:22], v[21:22], v[39:40]
	v_fma_f64 v[39:40], v[11:12], v[87:88], v[118:119]
	v_add_f64 v[13:14], v[13:14], v[35:36]
	s_clause 0x4
	buffer_load_dword v36, off, s[0:3], 0 offset:556
	buffer_load_dword v85, off, s[0:3], 0 offset:568
	;; [unrolled: 1-line block ×5, first 2 shown]
	s_waitcnt vmcnt(57) lgkmcnt(0)
	v_mul_f64 v[118:119], v[1:2], v[89:90]
	v_mul_f64 v[88:89], v[3:4], v[89:90]
	s_waitcnt vmcnt(56)
	v_fma_f64 v[47:48], v[5:6], v[49:50], -v[47:48]
	ds_read_b128 v[9:12], v96 offset:1200
	v_fma_f64 v[43:44], v[7:8], v[49:50], v[43:44]
	v_add_f64 v[21:22], v[21:22], v[55:56]
	v_add_f64 v[13:14], v[13:14], v[39:40]
	s_clause 0x2
	buffer_load_dword v86, off, s[0:3], 0 offset:572
	buffer_load_dword v40, off, s[0:3], 0 offset:548
	;; [unrolled: 1-line block ×3, first 2 shown]
	ds_read_b128 v[5:8], v96 offset:1216
	s_waitcnt vmcnt(58) lgkmcnt(1)
	v_mul_f64 v[55:56], v[11:12], v[91:92]
	s_waitcnt vmcnt(56)
	v_fma_f64 v[89:90], v[1:2], v[93:94], -v[88:89]
	v_mul_f64 v[49:50], v[9:10], v[91:92]
	v_add_f64 v[21:22], v[21:22], v[47:48]
	v_fma_f64 v[47:48], v[3:4], v[93:94], v[118:119]
	v_add_f64 v[13:14], v[13:14], v[43:44]
	s_clause 0x4
	buffer_load_dword v44, off, s[0:3], 0 offset:588
	buffer_load_dword v91, off, s[0:3], 0 offset:600
	;; [unrolled: 1-line block ×5, first 2 shown]
	s_waitcnt vmcnt(57) lgkmcnt(0)
	v_mul_f64 v[118:119], v[5:6], v[103:104]
	v_mul_f64 v[103:104], v[7:8], v[103:104]
	s_waitcnt vmcnt(56)
	v_fma_f64 v[55:56], v[9:10], v[83:84], -v[55:56]
	ds_read_b128 v[1:4], v96 offset:1232
	v_fma_f64 v[49:50], v[11:12], v[83:84], v[49:50]
	v_add_f64 v[21:22], v[21:22], v[89:90]
	v_add_f64 v[13:14], v[13:14], v[47:48]
	s_clause 0x2
	buffer_load_dword v92, off, s[0:3], 0 offset:604
	buffer_load_dword v48, off, s[0:3], 0 offset:580
	;; [unrolled: 1-line block ×3, first 2 shown]
	ds_read_b128 v[9:12], v96 offset:1248
	s_waitcnt vmcnt(58) lgkmcnt(1)
	v_mul_f64 v[89:90], v[3:4], v[105:106]
	v_mul_f64 v[83:84], v[1:2], v[105:106]
	s_waitcnt vmcnt(56)
	v_fma_f64 v[103:104], v[5:6], v[17:18], -v[103:104]
	v_fma_f64 v[17:18], v[7:8], v[17:18], v[118:119]
	v_add_f64 v[21:22], v[21:22], v[55:56]
	v_add_f64 v[13:14], v[13:14], v[49:50]
	s_clause 0x4
	buffer_load_dword v50, off, s[0:3], 0 offset:620
	buffer_load_dword v55, off, s[0:3], 0 offset:632
	;; [unrolled: 1-line block ×5, first 2 shown]
	ds_read_b128 v[5:8], v96 offset:1264
	s_waitcnt vmcnt(57) lgkmcnt(1)
	v_mul_f64 v[118:119], v[9:10], v[15:16]
	v_mul_f64 v[15:16], v[11:12], v[15:16]
	s_waitcnt vmcnt(56)
	v_fma_f64 v[89:90], v[1:2], v[107:108], -v[89:90]
	v_fma_f64 v[83:84], v[3:4], v[107:108], v[83:84]
	v_add_f64 v[21:22], v[21:22], v[103:104]
	v_add_f64 v[13:14], v[13:14], v[17:18]
	s_clause 0x2
	buffer_load_dword v56, off, s[0:3], 0 offset:636
	buffer_load_dword v18, off, s[0:3], 0 offset:612
	;; [unrolled: 1-line block ×3, first 2 shown]
	s_waitcnt vmcnt(58) lgkmcnt(0)
	v_mul_f64 v[107:108], v[7:8], v[109:110]
	ds_read_b128 v[1:4], v96 offset:1280
	v_mul_f64 v[103:104], v[5:6], v[109:110]
	s_waitcnt vmcnt(56)
	v_fma_f64 v[15:16], v[9:10], v[99:100], -v[15:16]
	v_add_f64 v[21:22], v[21:22], v[89:90]
	v_fma_f64 v[89:90], v[11:12], v[99:100], v[118:119]
	v_add_f64 v[13:14], v[13:14], v[83:84]
	s_clause 0x4
	buffer_load_dword v84, off, s[0:3], 0 offset:652
	buffer_load_dword v99, off, s[0:3], 0 offset:664
	;; [unrolled: 1-line block ×5, first 2 shown]
	ds_read_b128 v[9:12], v96 offset:1296
	s_waitcnt vmcnt(57) lgkmcnt(1)
	v_mul_f64 v[118:119], v[1:2], v[33:34]
	v_mul_f64 v[33:34], v[3:4], v[33:34]
	s_waitcnt vmcnt(56)
	v_fma_f64 v[107:108], v[5:6], v[114:115], -v[107:108]
	v_add_f64 v[15:16], v[21:22], v[15:16]
	v_fma_f64 v[21:22], v[7:8], v[114:115], v[103:104]
	v_add_f64 v[13:14], v[13:14], v[89:90]
	s_clause 0x2
	buffer_load_dword v100, off, s[0:3], 0 offset:668
	buffer_load_dword v90, off, s[0:3], 0 offset:644
	;; [unrolled: 1-line block ×3, first 2 shown]
	ds_read_b128 v[5:8], v96 offset:1312
	s_waitcnt vmcnt(58) lgkmcnt(1)
	v_mul_f64 v[103:104], v[9:10], v[101:102]
	v_mul_f64 v[101:102], v[11:12], v[101:102]
	s_waitcnt vmcnt(56)
	v_fma_f64 v[33:34], v[1:2], v[27:28], -v[33:34]
	v_fma_f64 v[27:28], v[3:4], v[27:28], v[118:119]
	v_add_f64 v[15:16], v[15:16], v[107:108]
	v_add_f64 v[13:14], v[13:14], v[21:22]
	s_clause 0x4
	buffer_load_dword v22, off, s[0:3], 0 offset:684
	buffer_load_dword v107, off, s[0:3], 0 offset:696
	;; [unrolled: 1-line block ×5, first 2 shown]
	ds_read_b128 v[1:4], v96 offset:1328
	s_waitcnt vmcnt(57) lgkmcnt(1)
	v_mul_f64 v[114:115], v[5:6], v[19:20]
	v_mul_f64 v[19:20], v[7:8], v[19:20]
	s_waitcnt vmcnt(56)
	v_fma_f64 v[101:102], v[9:10], v[116:117], -v[101:102]
	v_add_f64 v[15:16], v[15:16], v[33:34]
	v_fma_f64 v[33:34], v[11:12], v[116:117], v[103:104]
	v_add_f64 v[13:14], v[13:14], v[27:28]
	s_clause 0x2
	buffer_load_dword v108, off, s[0:3], 0 offset:700
	buffer_load_dword v28, off, s[0:3], 0 offset:676
	;; [unrolled: 1-line block ×3, first 2 shown]
	ds_read_b128 v[9:12], v96 offset:1344
	s_waitcnt vmcnt(58) lgkmcnt(1)
	v_mul_f64 v[103:104], v[1:2], v[37:38]
	v_mul_f64 v[37:38], v[3:4], v[37:38]
	s_waitcnt vmcnt(56)
	v_fma_f64 v[19:20], v[5:6], v[25:26], -v[19:20]
	v_fma_f64 v[25:26], v[7:8], v[25:26], v[114:115]
	v_add_f64 v[15:16], v[15:16], v[101:102]
	v_add_f64 v[13:14], v[13:14], v[33:34]
	s_clause 0x4
	buffer_load_dword v34, off, s[0:3], 0 offset:716
	buffer_load_dword v101, off, s[0:3], 0 offset:728
	;; [unrolled: 1-line block ×5, first 2 shown]
	ds_read_b128 v[5:8], v96 offset:1360
	s_waitcnt vmcnt(57) lgkmcnt(1)
	v_mul_f64 v[116:117], v[9:10], v[23:24]
	v_mul_f64 v[23:24], v[11:12], v[23:24]
	s_waitcnt vmcnt(56)
	v_fma_f64 v[37:38], v[1:2], v[111:112], -v[37:38]
	v_add_f64 v[15:16], v[15:16], v[19:20]
	v_fma_f64 v[19:20], v[3:4], v[111:112], v[103:104]
	v_add_f64 v[13:14], v[13:14], v[25:26]
	s_clause 0x2
	buffer_load_dword v102, off, s[0:3], 0 offset:732
	buffer_load_dword v26, off, s[0:3], 0 offset:708
	;; [unrolled: 1-line block ×3, first 2 shown]
	s_waitcnt vmcnt(58) lgkmcnt(0)
	v_mul_f64 v[103:104], v[5:6], v[45:46]
	v_mul_f64 v[45:46], v[7:8], v[45:46]
	ds_read_b128 v[1:4], v96 offset:1376
	s_waitcnt vmcnt(56)
	v_fma_f64 v[23:24], v[9:10], v[31:32], -v[23:24]
	v_fma_f64 v[31:32], v[11:12], v[31:32], v[116:117]
	v_add_f64 v[15:16], v[15:16], v[37:38]
	v_add_f64 v[13:14], v[13:14], v[19:20]
	s_clause 0x4
	buffer_load_dword v20, off, s[0:3], 0 offset:748
	buffer_load_dword v37, off, s[0:3], 0 offset:760
	;; [unrolled: 1-line block ×5, first 2 shown]
	ds_read_b128 v[9:12], v96 offset:1392
	s_waitcnt vmcnt(57) lgkmcnt(1)
	v_mul_f64 v[117:118], v[1:2], v[29:30]
	v_mul_f64 v[29:30], v[3:4], v[29:30]
	s_waitcnt vmcnt(56)
	v_fma_f64 v[45:46], v[5:6], v[97:98], -v[45:46]
	v_add_f64 v[15:16], v[15:16], v[23:24]
	v_fma_f64 v[23:24], v[7:8], v[97:98], v[103:104]
	v_add_f64 v[13:14], v[13:14], v[31:32]
	s_clause 0x2
	buffer_load_dword v38, off, s[0:3], 0 offset:764
	buffer_load_dword v32, off, s[0:3], 0 offset:740
	;; [unrolled: 1-line block ×3, first 2 shown]
	s_waitcnt vmcnt(58) lgkmcnt(0)
	v_mul_f64 v[97:98], v[9:10], v[51:52]
	v_mul_f64 v[51:52], v[11:12], v[51:52]
	ds_read_b128 v[5:8], v96 offset:1408
	s_waitcnt vmcnt(56)
	v_fma_f64 v[29:30], v[1:2], v[41:42], -v[29:30]
	v_fma_f64 v[41:42], v[3:4], v[41:42], v[117:118]
	v_add_f64 v[15:16], v[15:16], v[45:46]
	v_add_f64 v[13:14], v[13:14], v[23:24]
	s_clause 0x4
	buffer_load_dword v24, off, s[0:3], 0 offset:780
	buffer_load_dword v45, off, s[0:3], 0 offset:792
	buffer_load_dword v103, off, s[0:3], 0 offset:784
	buffer_load_dword v23, off, s[0:3], 0 offset:776
	buffer_load_dword v112, off, s[0:3], 0 offset:756
	ds_read_b128 v[1:4], v96 offset:1424
	s_waitcnt vmcnt(57) lgkmcnt(1)
	v_mul_f64 v[117:118], v[5:6], v[35:36]
	v_mul_f64 v[35:36], v[7:8], v[35:36]
	s_waitcnt vmcnt(56)
	v_fma_f64 v[51:52], v[9:10], v[53:54], -v[51:52]
	v_add_f64 v[15:16], v[15:16], v[29:30]
	v_fma_f64 v[29:30], v[11:12], v[53:54], v[97:98]
	v_add_f64 v[13:14], v[13:14], v[41:42]
	s_clause 0x2
	buffer_load_dword v46, off, s[0:3], 0 offset:796
	buffer_load_dword v42, off, s[0:3], 0 offset:772
	buffer_load_dword v41, off, s[0:3], 0 offset:768
	ds_read_b128 v[9:12], v96 offset:1440
	s_waitcnt vmcnt(58) lgkmcnt(1)
	v_mul_f64 v[53:54], v[1:2], v[85:86]
	v_mul_f64 v[85:86], v[3:4], v[85:86]
	s_waitcnt vmcnt(56)
	v_fma_f64 v[35:36], v[5:6], v[39:40], -v[35:36]
	v_fma_f64 v[39:40], v[7:8], v[39:40], v[117:118]
	v_add_f64 v[15:16], v[15:16], v[51:52]
	v_add_f64 v[13:14], v[13:14], v[29:30]
	s_clause 0x4
	buffer_load_dword v30, off, s[0:3], 0 offset:812
	buffer_load_dword v51, off, s[0:3], 0 offset:824
	buffer_load_dword v97, off, s[0:3], 0 offset:816
	buffer_load_dword v29, off, s[0:3], 0 offset:808
	buffer_load_dword v104, off, s[0:3], 0 offset:788
	ds_read_b128 v[5:8], v96 offset:1456
	s_waitcnt vmcnt(57) lgkmcnt(1)
	v_mul_f64 v[117:118], v[9:10], v[43:44]
	v_mul_f64 v[43:44], v[11:12], v[43:44]
	s_waitcnt vmcnt(56)
	v_fma_f64 v[85:86], v[1:2], v[87:88], -v[85:86]
	v_add_f64 v[15:16], v[15:16], v[35:36]
	v_fma_f64 v[35:36], v[3:4], v[87:88], v[53:54]
	v_add_f64 v[13:14], v[13:14], v[39:40]
	s_clause 0x2
	buffer_load_dword v52, off, s[0:3], 0 offset:828
	buffer_load_dword v40, off, s[0:3], 0 offset:804
	buffer_load_dword v39, off, s[0:3], 0 offset:800
	ds_read_b128 v[1:4], v96 offset:1472
	s_waitcnt vmcnt(58) lgkmcnt(1)
	v_mul_f64 v[87:88], v[7:8], v[91:92]
	v_mul_f64 v[53:54], v[5:6], v[91:92]
	;; [unrolled: 28-line block ×3, first 2 shown]
	s_waitcnt vmcnt(56)
	v_fma_f64 v[49:50], v[1:2], v[17:18], -v[49:50]
	v_fma_f64 v[17:18], v[3:4], v[17:18], v[117:118]
	v_add_f64 v[15:16], v[15:16], v[87:88]
	v_add_f64 v[13:14], v[13:14], v[43:44]
	s_clause 0x4
	buffer_load_dword v44, off, s[0:3], 0 offset:876
	buffer_load_dword v87, off, s[0:3], 0 offset:888
	;; [unrolled: 1-line block ×5, first 2 shown]
	ds_read_b128 v[1:4], v96 offset:1520
	s_waitcnt vmcnt(57) lgkmcnt(1)
	v_mul_f64 v[117:118], v[5:6], v[83:84]
	v_mul_f64 v[83:84], v[7:8], v[83:84]
	s_waitcnt vmcnt(56)
	v_fma_f64 v[55:56], v[9:10], v[105:106], -v[55:56]
	v_add_f64 v[15:16], v[15:16], v[49:50]
	v_fma_f64 v[49:50], v[11:12], v[105:106], v[53:54]
	v_add_f64 v[13:14], v[13:14], v[17:18]
	s_clause 0x2
	buffer_load_dword v88, off, s[0:3], 0 offset:892
	buffer_load_dword v18, off, s[0:3], 0 offset:868
	;; [unrolled: 1-line block ×3, first 2 shown]
	ds_read_b128 v[9:12], v96 offset:1536
	buffer_load_dword v94, off, s[0:3], 0 offset:884
	s_waitcnt vmcnt(59) lgkmcnt(1)
	v_mul_f64 v[53:54], v[1:2], v[99:100]
	v_mul_f64 v[99:100], v[3:4], v[99:100]
	s_waitcnt vmcnt(57)
	v_fma_f64 v[83:84], v[5:6], v[89:90], -v[83:84]
	v_add_f64 v[15:16], v[15:16], v[55:56]
	v_fma_f64 v[55:56], v[7:8], v[89:90], v[117:118]
	v_add_f64 v[13:14], v[13:14], v[49:50]
	ds_read_b128 v[5:8], v96 offset:1552
	s_waitcnt vmcnt(53) lgkmcnt(1)
	v_mul_f64 v[49:50], v[9:10], v[21:22]
	v_mul_f64 v[21:22], v[11:12], v[21:22]
	s_waitcnt vmcnt(52)
	v_fma_f64 v[89:90], v[1:2], v[109:110], -v[99:100]
	v_fma_f64 v[53:54], v[3:4], v[109:110], v[53:54]
	ds_read_b128 v[1:4], v96 offset:1568
	v_add_f64 v[15:16], v[15:16], v[83:84]
	v_add_f64 v[13:14], v[13:14], v[55:56]
	s_waitcnt vmcnt(51) lgkmcnt(1)
	v_mul_f64 v[83:84], v[7:8], v[107:108]
	v_mul_f64 v[55:56], v[5:6], v[107:108]
	s_waitcnt vmcnt(49)
	v_fma_f64 v[21:22], v[9:10], v[27:28], -v[21:22]
	v_fma_f64 v[27:28], v[11:12], v[27:28], v[49:50]
	v_add_f64 v[15:16], v[15:16], v[89:90]
	v_add_f64 v[13:14], v[13:14], v[53:54]
	s_clause 0x3
	buffer_load_dword v49, off, s[0:3], 0 offset:96
	buffer_load_dword v50, off, s[0:3], 0 offset:100
	buffer_load_dword v53, off, s[0:3], 0 offset:104
	buffer_load_dword v54, off, s[0:3], 0 offset:108
	ds_read_b128 v[9:12], v96 offset:1584
	s_waitcnt vmcnt(49) lgkmcnt(1)
	v_mul_f64 v[89:90], v[1:2], v[33:34]
	v_mul_f64 v[33:34], v[3:4], v[33:34]
	s_waitcnt vmcnt(48)
	v_fma_f64 v[83:84], v[5:6], v[113:114], -v[83:84]
	v_add_f64 v[15:16], v[15:16], v[21:22]
	v_fma_f64 v[21:22], v[7:8], v[113:114], v[55:56]
	v_add_f64 v[13:14], v[13:14], v[27:28]
	ds_read_b128 v[5:8], v96 offset:1600
	s_waitcnt vmcnt(47) lgkmcnt(1)
	v_mul_f64 v[55:56], v[11:12], v[101:102]
	v_mul_f64 v[27:28], v[9:10], v[101:102]
	s_waitcnt vmcnt(45)
	v_fma_f64 v[33:34], v[1:2], v[25:26], -v[33:34]
	v_fma_f64 v[25:26], v[3:4], v[25:26], v[89:90]
	ds_read_b128 v[1:4], v96 offset:1616
	v_add_f64 v[15:16], v[15:16], v[83:84]
	v_add_f64 v[13:14], v[13:14], v[21:22]
	s_waitcnt vmcnt(41) lgkmcnt(1)
	v_mul_f64 v[21:22], v[5:6], v[19:20]
	v_mul_f64 v[19:20], v[7:8], v[19:20]
	s_waitcnt vmcnt(40)
	v_fma_f64 v[55:56], v[9:10], v[115:116], -v[55:56]
	v_fma_f64 v[27:28], v[11:12], v[115:116], v[27:28]
	ds_read_b128 v[9:12], v96 offset:1632
	v_add_f64 v[15:16], v[15:16], v[33:34]
	v_add_f64 v[13:14], v[13:14], v[25:26]
	;; [unrolled: 9-line block ×3, first 2 shown]
	s_waitcnt vmcnt(33) lgkmcnt(1)
	v_mul_f64 v[27:28], v[9:10], v[23:24]
	v_mul_f64 v[23:24], v[11:12], v[23:24]
	s_waitcnt vmcnt(32)
	v_fma_f64 v[31:32], v[1:2], v[111:112], -v[33:34]
	v_add_f64 v[15:16], v[15:16], v[19:20]
	v_fma_f64 v[19:20], v[3:4], v[111:112], v[25:26]
	v_add_f64 v[13:14], v[13:14], v[21:22]
	ds_read_b128 v[1:4], v96 offset:1664
	s_waitcnt vmcnt(31) lgkmcnt(1)
	v_mul_f64 v[25:26], v[7:8], v[45:46]
	v_mul_f64 v[21:22], v[5:6], v[45:46]
	s_waitcnt vmcnt(29)
	v_fma_f64 v[23:24], v[9:10], v[41:42], -v[23:24]
	v_fma_f64 v[27:28], v[11:12], v[41:42], v[27:28]
	ds_read_b128 v[9:12], v96 offset:1680
	v_add_f64 v[15:16], v[15:16], v[31:32]
	v_add_f64 v[13:14], v[13:14], v[19:20]
	s_waitcnt vmcnt(25) lgkmcnt(1)
	v_mul_f64 v[19:20], v[1:2], v[29:30]
	v_mul_f64 v[29:30], v[3:4], v[29:30]
	s_waitcnt vmcnt(24)
	v_fma_f64 v[25:26], v[5:6], v[103:104], -v[25:26]
	v_fma_f64 v[21:22], v[7:8], v[103:104], v[21:22]
	ds_read_b128 v[5:8], v96 offset:1696
	v_add_f64 v[15:16], v[15:16], v[23:24]
	v_add_f64 v[13:14], v[13:14], v[27:28]
	;; [unrolled: 9-line block ×3, first 2 shown]
	s_waitcnt vmcnt(17) lgkmcnt(1)
	v_mul_f64 v[25:26], v[7:8], v[35:36]
	s_waitcnt vmcnt(16)
	v_fma_f64 v[27:28], v[9:10], v[97:98], -v[27:28]
	v_mul_f64 v[21:22], v[5:6], v[35:36]
	v_fma_f64 v[23:24], v[11:12], v[97:98], v[23:24]
	ds_read_b128 v[9:12], v96 offset:1728
	v_add_f64 v[15:16], v[15:16], v[29:30]
	v_add_f64 v[13:14], v[13:14], v[19:20]
	s_waitcnt vmcnt(15) lgkmcnt(1)
	v_mul_f64 v[29:30], v[3:4], v[85:86]
	v_mul_f64 v[19:20], v[1:2], v[85:86]
	s_waitcnt vmcnt(13)
	v_fma_f64 v[25:26], v[5:6], v[47:48], -v[25:26]
	v_fma_f64 v[21:22], v[7:8], v[47:48], v[21:22]
	ds_read_b128 v[5:8], v96 offset:1744
	v_add_f64 v[15:16], v[15:16], v[27:28]
	v_add_f64 v[13:14], v[13:14], v[23:24]
	s_waitcnt vmcnt(9) lgkmcnt(1)
	v_mul_f64 v[27:28], v[11:12], v[43:44]
	s_waitcnt vmcnt(8)
	v_fma_f64 v[1:2], v[1:2], v[91:92], -v[29:30]
	v_mul_f64 v[23:24], v[9:10], v[43:44]
	v_fma_f64 v[3:4], v[3:4], v[91:92], v[19:20]
	v_add_f64 v[15:16], v[15:16], v[25:26]
	v_add_f64 v[13:14], v[13:14], v[21:22]
	s_waitcnt vmcnt(7) lgkmcnt(0)
	v_mul_f64 v[21:22], v[7:8], v[87:88]
	v_mul_f64 v[19:20], v[5:6], v[87:88]
	s_waitcnt vmcnt(5)
	v_fma_f64 v[9:10], v[9:10], v[17:18], -v[27:28]
	v_fma_f64 v[11:12], v[11:12], v[17:18], v[23:24]
	v_add_f64 v[1:2], v[15:16], v[1:2]
	v_add_f64 v[3:4], v[13:14], v[3:4]
	s_waitcnt vmcnt(4)
	v_fma_f64 v[5:6], v[5:6], v[93:94], -v[21:22]
	v_fma_f64 v[7:8], v[7:8], v[93:94], v[19:20]
	v_add_f64 v[1:2], v[1:2], v[9:10]
	v_add_f64 v[3:4], v[3:4], v[11:12]
	;; [unrolled: 1-line block ×4, first 2 shown]
	s_waitcnt vmcnt(2)
	v_add_f64 v[1:2], v[49:50], -v[1:2]
	s_waitcnt vmcnt(0)
	v_add_f64 v[3:4], v[53:54], -v[3:4]
	buffer_store_dword v2, off, s[0:3], 0 offset:100
	buffer_store_dword v1, off, s[0:3], 0 offset:96
	;; [unrolled: 1-line block ×4, first 2 shown]
	v_cmpx_lt_u32_e32 4, v0
	s_cbranch_execz .LBB54_335
; %bb.334:
	v_mov_b32_e32 v4, s63
	s_clause 0x3
	buffer_load_dword v1, v4, s[0:3], 0 offen
	buffer_load_dword v2, v4, s[0:3], 0 offen offset:4
	buffer_load_dword v3, v4, s[0:3], 0 offen offset:8
	;; [unrolled: 1-line block ×3, first 2 shown]
	buffer_store_dword v96, off, s[0:3], 0 offset:80
	buffer_store_dword v96, off, s[0:3], 0 offset:84
	;; [unrolled: 1-line block ×4, first 2 shown]
	s_waitcnt vmcnt(0)
	ds_write_b128 v95, v[1:4]
.LBB54_335:
	s_or_b32 exec_lo, exec_lo, s4
	s_waitcnt lgkmcnt(0)
	s_waitcnt_vscnt null, 0x0
	s_barrier
	buffer_gl0_inv
	s_clause 0x37
	buffer_load_dword v17, off, s[0:3], 0 offset:104
	buffer_load_dword v18, off, s[0:3], 0 offset:108
	buffer_load_dword v13, off, s[0:3], 0 offset:120
	buffer_load_dword v14, off, s[0:3], 0 offset:124
	buffer_load_dword v15, off, s[0:3], 0 offset:96
	buffer_load_dword v16, off, s[0:3], 0 offset:100
	buffer_load_dword v11, off, s[0:3], 0 offset:136
	buffer_load_dword v12, off, s[0:3], 0 offset:140
	buffer_load_dword v9, off, s[0:3], 0 offset:112
	buffer_load_dword v10, off, s[0:3], 0 offset:116
	buffer_load_dword v22, off, s[0:3], 0 offset:156
	buffer_load_dword v25, off, s[0:3], 0 offset:168
	buffer_load_dword v19, off, s[0:3], 0 offset:160
	buffer_load_dword v21, off, s[0:3], 0 offset:152
	buffer_load_dword v33, off, s[0:3], 0 offset:128
	buffer_load_dword v34, off, s[0:3], 0 offset:132
	buffer_load_dword v26, off, s[0:3], 0 offset:172
	buffer_load_dword v28, off, s[0:3], 0 offset:148
	buffer_load_dword v27, off, s[0:3], 0 offset:144
	buffer_load_dword v30, off, s[0:3], 0 offset:188
	buffer_load_dword v35, off, s[0:3], 0 offset:200
	buffer_load_dword v23, off, s[0:3], 0 offset:192
	buffer_load_dword v29, off, s[0:3], 0 offset:184
	buffer_load_dword v20, off, s[0:3], 0 offset:164
	buffer_load_dword v36, off, s[0:3], 0 offset:204
	buffer_load_dword v38, off, s[0:3], 0 offset:180
	buffer_load_dword v37, off, s[0:3], 0 offset:176
	buffer_load_dword v40, off, s[0:3], 0 offset:220
	buffer_load_dword v43, off, s[0:3], 0 offset:232
	buffer_load_dword v31, off, s[0:3], 0 offset:224
	buffer_load_dword v39, off, s[0:3], 0 offset:216
	buffer_load_dword v24, off, s[0:3], 0 offset:196
	buffer_load_dword v44, off, s[0:3], 0 offset:236
	buffer_load_dword v46, off, s[0:3], 0 offset:212
	buffer_load_dword v45, off, s[0:3], 0 offset:208
	buffer_load_dword v48, off, s[0:3], 0 offset:252
	buffer_load_dword v51, off, s[0:3], 0 offset:264
	buffer_load_dword v41, off, s[0:3], 0 offset:256
	buffer_load_dword v47, off, s[0:3], 0 offset:248
	buffer_load_dword v32, off, s[0:3], 0 offset:228
	buffer_load_dword v52, off, s[0:3], 0 offset:268
	buffer_load_dword v54, off, s[0:3], 0 offset:244
	buffer_load_dword v53, off, s[0:3], 0 offset:240
	buffer_load_dword v56, off, s[0:3], 0 offset:284
	buffer_load_dword v85, off, s[0:3], 0 offset:296
	buffer_load_dword v49, off, s[0:3], 0 offset:288
	buffer_load_dword v55, off, s[0:3], 0 offset:280
	buffer_load_dword v42, off, s[0:3], 0 offset:260
	buffer_load_dword v86, off, s[0:3], 0 offset:300
	buffer_load_dword v88, off, s[0:3], 0 offset:276
	buffer_load_dword v87, off, s[0:3], 0 offset:272
	buffer_load_dword v90, off, s[0:3], 0 offset:316
	buffer_load_dword v91, off, s[0:3], 0 offset:328
	buffer_load_dword v83, off, s[0:3], 0 offset:320
	buffer_load_dword v89, off, s[0:3], 0 offset:312
	buffer_load_dword v50, off, s[0:3], 0 offset:292
	ds_read_b128 v[5:8], v96 offset:960
	s_clause 0x2
	buffer_load_dword v92, off, s[0:3], 0 offset:332
	buffer_load_dword v94, off, s[0:3], 0 offset:308
	;; [unrolled: 1-line block ×3, first 2 shown]
	ds_read_b128 v[1:4], v96 offset:976
	s_clause 0x4
	buffer_load_dword v104, off, s[0:3], 0 offset:348
	buffer_load_dword v105, off, s[0:3], 0 offset:360
	;; [unrolled: 1-line block ×5, first 2 shown]
	ds_read_b128 v[97:100], v96 offset:992
	s_mov_b32 s4, exec_lo
	s_waitcnt vmcnt(62) lgkmcnt(2)
	v_mul_f64 v[101:102], v[7:8], v[17:18]
	v_mul_f64 v[17:18], v[5:6], v[17:18]
	s_waitcnt vmcnt(60) lgkmcnt(1)
	v_mul_f64 v[108:109], v[3:4], v[13:14]
	v_mul_f64 v[13:14], v[1:2], v[13:14]
	;; [unrolled: 3-line block ×3, first 2 shown]
	v_fma_f64 v[101:102], v[5:6], v[15:16], -v[101:102]
	v_fma_f64 v[15:16], v[7:8], v[15:16], v[17:18]
	s_clause 0x2
	buffer_load_dword v106, off, s[0:3], 0 offset:364
	buffer_load_dword v18, off, s[0:3], 0 offset:340
	;; [unrolled: 1-line block ×3, first 2 shown]
	s_waitcnt vmcnt(57)
	v_fma_f64 v[112:113], v[1:2], v[9:10], -v[108:109]
	ds_read_b128 v[5:8], v96 offset:1008
	v_fma_f64 v[9:10], v[3:4], v[9:10], v[13:14]
	s_waitcnt vmcnt(51)
	v_fma_f64 v[97:98], v[97:98], v[33:34], -v[11:12]
	v_fma_f64 v[33:34], v[99:100], v[33:34], v[110:111]
	v_add_f64 v[101:102], v[101:102], 0
	v_add_f64 v[13:14], v[15:16], 0
	s_clause 0x4
	buffer_load_dword v16, off, s[0:3], 0 offset:380
	buffer_load_dword v109, off, s[0:3], 0 offset:392
	;; [unrolled: 1-line block ×5, first 2 shown]
	s_waitcnt lgkmcnt(0)
	v_mul_f64 v[115:116], v[5:6], v[21:22]
	v_mul_f64 v[21:22], v[7:8], v[21:22]
	ds_read_b128 v[1:4], v96 offset:1024
	s_clause 0x2
	buffer_load_dword v110, off, s[0:3], 0 offset:396
	buffer_load_dword v100, off, s[0:3], 0 offset:372
	;; [unrolled: 1-line block ×3, first 2 shown]
	v_add_f64 v[101:102], v[101:102], v[112:113]
	v_add_f64 v[13:14], v[13:14], v[9:10]
	ds_read_b128 v[9:12], v96 offset:1040
	s_waitcnt vmcnt(58) lgkmcnt(1)
	v_mul_f64 v[111:112], v[1:2], v[25:26]
	v_mul_f64 v[25:26], v[3:4], v[25:26]
	s_waitcnt vmcnt(56)
	v_fma_f64 v[21:22], v[5:6], v[27:28], -v[21:22]
	v_fma_f64 v[27:28], v[7:8], v[27:28], v[115:116]
	s_waitcnt vmcnt(52) lgkmcnt(0)
	v_mul_f64 v[117:118], v[9:10], v[29:30]
	v_add_f64 v[97:98], v[101:102], v[97:98]
	v_add_f64 v[13:14], v[13:14], v[33:34]
	s_clause 0x4
	buffer_load_dword v34, off, s[0:3], 0 offset:412
	buffer_load_dword v101, off, s[0:3], 0 offset:424
	;; [unrolled: 1-line block ×5, first 2 shown]
	v_mul_f64 v[29:30], v[11:12], v[29:30]
	s_waitcnt vmcnt(56)
	v_fma_f64 v[25:26], v[1:2], v[19:20], -v[25:26]
	ds_read_b128 v[5:8], v96 offset:1056
	v_fma_f64 v[19:20], v[3:4], v[19:20], v[111:112]
	v_add_f64 v[21:22], v[97:98], v[21:22]
	v_add_f64 v[13:14], v[13:14], v[27:28]
	s_clause 0x2
	buffer_load_dword v102, off, s[0:3], 0 offset:428
	buffer_load_dword v28, off, s[0:3], 0 offset:404
	;; [unrolled: 1-line block ×3, first 2 shown]
	s_waitcnt vmcnt(58) lgkmcnt(0)
	v_mul_f64 v[97:98], v[5:6], v[35:36]
	v_mul_f64 v[35:36], v[7:8], v[35:36]
	s_waitcnt vmcnt(56)
	v_fma_f64 v[29:30], v[9:10], v[37:38], -v[29:30]
	ds_read_b128 v[1:4], v96 offset:1072
	v_add_f64 v[21:22], v[21:22], v[25:26]
	v_fma_f64 v[25:26], v[11:12], v[37:38], v[117:118]
	v_add_f64 v[13:14], v[13:14], v[19:20]
	s_clause 0x4
	buffer_load_dword v20, off, s[0:3], 0 offset:444
	buffer_load_dword v37, off, s[0:3], 0 offset:456
	;; [unrolled: 1-line block ×5, first 2 shown]
	s_waitcnt vmcnt(57) lgkmcnt(0)
	v_mul_f64 v[112:113], v[1:2], v[39:40]
	v_mul_f64 v[39:40], v[3:4], v[39:40]
	s_waitcnt vmcnt(56)
	v_fma_f64 v[35:36], v[5:6], v[23:24], -v[35:36]
	ds_read_b128 v[9:12], v96 offset:1088
	v_fma_f64 v[23:24], v[7:8], v[23:24], v[97:98]
	v_add_f64 v[21:22], v[21:22], v[29:30]
	v_add_f64 v[13:14], v[13:14], v[25:26]
	s_clause 0x2
	buffer_load_dword v38, off, s[0:3], 0 offset:460
	buffer_load_dword v26, off, s[0:3], 0 offset:436
	;; [unrolled: 1-line block ×3, first 2 shown]
	ds_read_b128 v[5:8], v96 offset:1104
	s_waitcnt vmcnt(58) lgkmcnt(1)
	v_mul_f64 v[29:30], v[9:10], v[43:44]
	v_mul_f64 v[43:44], v[11:12], v[43:44]
	s_waitcnt vmcnt(56)
	v_fma_f64 v[39:40], v[1:2], v[45:46], -v[39:40]
	v_add_f64 v[21:22], v[21:22], v[35:36]
	v_fma_f64 v[35:36], v[3:4], v[45:46], v[112:113]
	v_add_f64 v[13:14], v[13:14], v[23:24]
	s_clause 0x4
	buffer_load_dword v24, off, s[0:3], 0 offset:476
	buffer_load_dword v45, off, s[0:3], 0 offset:488
	;; [unrolled: 1-line block ×5, first 2 shown]
	s_waitcnt vmcnt(57) lgkmcnt(0)
	v_mul_f64 v[118:119], v[5:6], v[47:48]
	v_mul_f64 v[47:48], v[7:8], v[47:48]
	s_waitcnt vmcnt(56)
	v_fma_f64 v[43:44], v[9:10], v[31:32], -v[43:44]
	ds_read_b128 v[1:4], v96 offset:1120
	v_fma_f64 v[29:30], v[11:12], v[31:32], v[29:30]
	s_clause 0x2
	buffer_load_dword v46, off, s[0:3], 0 offset:492
	buffer_load_dword v32, off, s[0:3], 0 offset:468
	;; [unrolled: 1-line block ×3, first 2 shown]
	ds_read_b128 v[9:12], v96 offset:1136
	v_add_f64 v[21:22], v[21:22], v[39:40]
	v_add_f64 v[13:14], v[13:14], v[35:36]
	s_waitcnt vmcnt(58) lgkmcnt(1)
	v_mul_f64 v[39:40], v[3:4], v[51:52]
	s_waitcnt vmcnt(56)
	v_fma_f64 v[47:48], v[5:6], v[53:54], -v[47:48]
	v_mul_f64 v[35:36], v[1:2], v[51:52]
	v_add_f64 v[21:22], v[21:22], v[43:44]
	v_fma_f64 v[43:44], v[7:8], v[53:54], v[118:119]
	v_add_f64 v[13:14], v[13:14], v[29:30]
	s_clause 0x4
	buffer_load_dword v30, off, s[0:3], 0 offset:508
	buffer_load_dword v51, off, s[0:3], 0 offset:520
	;; [unrolled: 1-line block ×5, first 2 shown]
	s_waitcnt vmcnt(57) lgkmcnt(0)
	v_mul_f64 v[118:119], v[9:10], v[55:56]
	v_mul_f64 v[54:55], v[11:12], v[55:56]
	s_waitcnt vmcnt(56)
	v_fma_f64 v[39:40], v[1:2], v[41:42], -v[39:40]
	ds_read_b128 v[5:8], v96 offset:1152
	v_fma_f64 v[35:36], v[3:4], v[41:42], v[35:36]
	s_clause 0x2
	buffer_load_dword v52, off, s[0:3], 0 offset:524
	buffer_load_dword v42, off, s[0:3], 0 offset:500
	;; [unrolled: 1-line block ×3, first 2 shown]
	ds_read_b128 v[1:4], v96 offset:1168
	v_add_f64 v[21:22], v[21:22], v[47:48]
	v_add_f64 v[13:14], v[13:14], v[43:44]
	s_waitcnt vmcnt(58) lgkmcnt(1)
	v_mul_f64 v[47:48], v[7:8], v[85:86]
	s_waitcnt vmcnt(56)
	v_fma_f64 v[55:56], v[9:10], v[87:88], -v[54:55]
	v_mul_f64 v[43:44], v[5:6], v[85:86]
	v_add_f64 v[21:22], v[21:22], v[39:40]
	v_fma_f64 v[39:40], v[11:12], v[87:88], v[118:119]
	v_add_f64 v[13:14], v[13:14], v[35:36]
	s_clause 0x4
	buffer_load_dword v36, off, s[0:3], 0 offset:540
	buffer_load_dword v85, off, s[0:3], 0 offset:552
	;; [unrolled: 1-line block ×5, first 2 shown]
	s_waitcnt vmcnt(57) lgkmcnt(0)
	v_mul_f64 v[118:119], v[1:2], v[89:90]
	v_mul_f64 v[88:89], v[3:4], v[89:90]
	s_waitcnt vmcnt(56)
	v_fma_f64 v[47:48], v[5:6], v[49:50], -v[47:48]
	ds_read_b128 v[9:12], v96 offset:1184
	v_fma_f64 v[43:44], v[7:8], v[49:50], v[43:44]
	v_add_f64 v[21:22], v[21:22], v[55:56]
	v_add_f64 v[13:14], v[13:14], v[39:40]
	s_clause 0x2
	buffer_load_dword v86, off, s[0:3], 0 offset:556
	buffer_load_dword v40, off, s[0:3], 0 offset:532
	;; [unrolled: 1-line block ×3, first 2 shown]
	ds_read_b128 v[5:8], v96 offset:1200
	s_waitcnt vmcnt(58) lgkmcnt(1)
	v_mul_f64 v[55:56], v[11:12], v[91:92]
	s_waitcnt vmcnt(56)
	v_fma_f64 v[89:90], v[1:2], v[93:94], -v[88:89]
	v_mul_f64 v[49:50], v[9:10], v[91:92]
	v_add_f64 v[21:22], v[21:22], v[47:48]
	v_fma_f64 v[47:48], v[3:4], v[93:94], v[118:119]
	v_add_f64 v[13:14], v[13:14], v[43:44]
	s_clause 0x4
	buffer_load_dword v44, off, s[0:3], 0 offset:572
	buffer_load_dword v91, off, s[0:3], 0 offset:584
	;; [unrolled: 1-line block ×5, first 2 shown]
	s_waitcnt vmcnt(57) lgkmcnt(0)
	v_mul_f64 v[118:119], v[5:6], v[103:104]
	v_mul_f64 v[103:104], v[7:8], v[103:104]
	s_waitcnt vmcnt(56)
	v_fma_f64 v[55:56], v[9:10], v[83:84], -v[55:56]
	ds_read_b128 v[1:4], v96 offset:1216
	v_fma_f64 v[49:50], v[11:12], v[83:84], v[49:50]
	v_add_f64 v[21:22], v[21:22], v[89:90]
	v_add_f64 v[13:14], v[13:14], v[47:48]
	s_clause 0x2
	buffer_load_dword v92, off, s[0:3], 0 offset:588
	buffer_load_dword v48, off, s[0:3], 0 offset:564
	;; [unrolled: 1-line block ×3, first 2 shown]
	ds_read_b128 v[9:12], v96 offset:1232
	s_waitcnt vmcnt(58) lgkmcnt(1)
	v_mul_f64 v[89:90], v[3:4], v[105:106]
	v_mul_f64 v[83:84], v[1:2], v[105:106]
	s_waitcnt vmcnt(56)
	v_fma_f64 v[103:104], v[5:6], v[17:18], -v[103:104]
	v_fma_f64 v[17:18], v[7:8], v[17:18], v[118:119]
	v_add_f64 v[21:22], v[21:22], v[55:56]
	v_add_f64 v[13:14], v[13:14], v[49:50]
	s_clause 0x4
	buffer_load_dword v50, off, s[0:3], 0 offset:604
	buffer_load_dword v55, off, s[0:3], 0 offset:616
	;; [unrolled: 1-line block ×5, first 2 shown]
	ds_read_b128 v[5:8], v96 offset:1248
	s_waitcnt vmcnt(57) lgkmcnt(1)
	v_mul_f64 v[118:119], v[9:10], v[15:16]
	v_mul_f64 v[15:16], v[11:12], v[15:16]
	s_waitcnt vmcnt(56)
	v_fma_f64 v[89:90], v[1:2], v[107:108], -v[89:90]
	v_fma_f64 v[83:84], v[3:4], v[107:108], v[83:84]
	v_add_f64 v[21:22], v[21:22], v[103:104]
	v_add_f64 v[13:14], v[13:14], v[17:18]
	s_clause 0x2
	buffer_load_dword v56, off, s[0:3], 0 offset:620
	buffer_load_dword v18, off, s[0:3], 0 offset:596
	;; [unrolled: 1-line block ×3, first 2 shown]
	s_waitcnt vmcnt(58) lgkmcnt(0)
	v_mul_f64 v[107:108], v[7:8], v[109:110]
	ds_read_b128 v[1:4], v96 offset:1264
	v_mul_f64 v[103:104], v[5:6], v[109:110]
	s_waitcnt vmcnt(56)
	v_fma_f64 v[15:16], v[9:10], v[99:100], -v[15:16]
	v_add_f64 v[21:22], v[21:22], v[89:90]
	v_fma_f64 v[89:90], v[11:12], v[99:100], v[118:119]
	v_add_f64 v[13:14], v[13:14], v[83:84]
	s_clause 0x4
	buffer_load_dword v84, off, s[0:3], 0 offset:636
	buffer_load_dword v99, off, s[0:3], 0 offset:648
	;; [unrolled: 1-line block ×5, first 2 shown]
	ds_read_b128 v[9:12], v96 offset:1280
	s_waitcnt vmcnt(57) lgkmcnt(1)
	v_mul_f64 v[118:119], v[1:2], v[33:34]
	v_mul_f64 v[33:34], v[3:4], v[33:34]
	s_waitcnt vmcnt(56)
	v_fma_f64 v[107:108], v[5:6], v[114:115], -v[107:108]
	v_add_f64 v[15:16], v[21:22], v[15:16]
	v_fma_f64 v[21:22], v[7:8], v[114:115], v[103:104]
	v_add_f64 v[13:14], v[13:14], v[89:90]
	s_clause 0x2
	buffer_load_dword v100, off, s[0:3], 0 offset:652
	buffer_load_dword v90, off, s[0:3], 0 offset:628
	;; [unrolled: 1-line block ×3, first 2 shown]
	ds_read_b128 v[5:8], v96 offset:1296
	s_waitcnt vmcnt(58) lgkmcnt(1)
	v_mul_f64 v[103:104], v[9:10], v[101:102]
	v_mul_f64 v[101:102], v[11:12], v[101:102]
	s_waitcnt vmcnt(56)
	v_fma_f64 v[33:34], v[1:2], v[27:28], -v[33:34]
	v_fma_f64 v[27:28], v[3:4], v[27:28], v[118:119]
	v_add_f64 v[15:16], v[15:16], v[107:108]
	v_add_f64 v[13:14], v[13:14], v[21:22]
	s_clause 0x4
	buffer_load_dword v22, off, s[0:3], 0 offset:668
	buffer_load_dword v107, off, s[0:3], 0 offset:680
	;; [unrolled: 1-line block ×5, first 2 shown]
	ds_read_b128 v[1:4], v96 offset:1312
	s_waitcnt vmcnt(57) lgkmcnt(1)
	v_mul_f64 v[114:115], v[5:6], v[19:20]
	v_mul_f64 v[19:20], v[7:8], v[19:20]
	s_waitcnt vmcnt(56)
	v_fma_f64 v[101:102], v[9:10], v[116:117], -v[101:102]
	v_add_f64 v[15:16], v[15:16], v[33:34]
	v_fma_f64 v[33:34], v[11:12], v[116:117], v[103:104]
	v_add_f64 v[13:14], v[13:14], v[27:28]
	s_clause 0x2
	buffer_load_dword v108, off, s[0:3], 0 offset:684
	buffer_load_dword v28, off, s[0:3], 0 offset:660
	;; [unrolled: 1-line block ×3, first 2 shown]
	ds_read_b128 v[9:12], v96 offset:1328
	s_waitcnt vmcnt(58) lgkmcnt(1)
	v_mul_f64 v[103:104], v[1:2], v[37:38]
	v_mul_f64 v[37:38], v[3:4], v[37:38]
	s_waitcnt vmcnt(56)
	v_fma_f64 v[19:20], v[5:6], v[25:26], -v[19:20]
	v_fma_f64 v[25:26], v[7:8], v[25:26], v[114:115]
	v_add_f64 v[15:16], v[15:16], v[101:102]
	v_add_f64 v[13:14], v[13:14], v[33:34]
	s_clause 0x4
	buffer_load_dword v34, off, s[0:3], 0 offset:700
	buffer_load_dword v101, off, s[0:3], 0 offset:712
	;; [unrolled: 1-line block ×5, first 2 shown]
	ds_read_b128 v[5:8], v96 offset:1344
	s_waitcnt vmcnt(57) lgkmcnt(1)
	v_mul_f64 v[116:117], v[9:10], v[23:24]
	v_mul_f64 v[23:24], v[11:12], v[23:24]
	s_waitcnt vmcnt(56)
	v_fma_f64 v[37:38], v[1:2], v[111:112], -v[37:38]
	v_add_f64 v[15:16], v[15:16], v[19:20]
	v_fma_f64 v[19:20], v[3:4], v[111:112], v[103:104]
	v_add_f64 v[13:14], v[13:14], v[25:26]
	s_clause 0x2
	buffer_load_dword v102, off, s[0:3], 0 offset:716
	buffer_load_dword v26, off, s[0:3], 0 offset:692
	;; [unrolled: 1-line block ×3, first 2 shown]
	s_waitcnt vmcnt(58) lgkmcnt(0)
	v_mul_f64 v[103:104], v[5:6], v[45:46]
	v_mul_f64 v[45:46], v[7:8], v[45:46]
	ds_read_b128 v[1:4], v96 offset:1360
	s_waitcnt vmcnt(56)
	v_fma_f64 v[23:24], v[9:10], v[31:32], -v[23:24]
	v_fma_f64 v[31:32], v[11:12], v[31:32], v[116:117]
	v_add_f64 v[15:16], v[15:16], v[37:38]
	v_add_f64 v[13:14], v[13:14], v[19:20]
	s_clause 0x4
	buffer_load_dword v20, off, s[0:3], 0 offset:732
	buffer_load_dword v37, off, s[0:3], 0 offset:744
	;; [unrolled: 1-line block ×5, first 2 shown]
	ds_read_b128 v[9:12], v96 offset:1376
	s_waitcnt vmcnt(57) lgkmcnt(1)
	v_mul_f64 v[117:118], v[1:2], v[29:30]
	v_mul_f64 v[29:30], v[3:4], v[29:30]
	s_waitcnt vmcnt(56)
	v_fma_f64 v[45:46], v[5:6], v[97:98], -v[45:46]
	v_add_f64 v[15:16], v[15:16], v[23:24]
	v_fma_f64 v[23:24], v[7:8], v[97:98], v[103:104]
	v_add_f64 v[13:14], v[13:14], v[31:32]
	s_clause 0x2
	buffer_load_dword v38, off, s[0:3], 0 offset:748
	buffer_load_dword v32, off, s[0:3], 0 offset:724
	;; [unrolled: 1-line block ×3, first 2 shown]
	s_waitcnt vmcnt(58) lgkmcnt(0)
	v_mul_f64 v[97:98], v[9:10], v[51:52]
	v_mul_f64 v[51:52], v[11:12], v[51:52]
	ds_read_b128 v[5:8], v96 offset:1392
	s_waitcnt vmcnt(56)
	v_fma_f64 v[29:30], v[1:2], v[41:42], -v[29:30]
	v_fma_f64 v[41:42], v[3:4], v[41:42], v[117:118]
	v_add_f64 v[15:16], v[15:16], v[45:46]
	v_add_f64 v[13:14], v[13:14], v[23:24]
	s_clause 0x4
	buffer_load_dword v24, off, s[0:3], 0 offset:764
	buffer_load_dword v45, off, s[0:3], 0 offset:776
	buffer_load_dword v103, off, s[0:3], 0 offset:768
	buffer_load_dword v23, off, s[0:3], 0 offset:760
	buffer_load_dword v112, off, s[0:3], 0 offset:740
	ds_read_b128 v[1:4], v96 offset:1408
	s_waitcnt vmcnt(57) lgkmcnt(1)
	v_mul_f64 v[117:118], v[5:6], v[35:36]
	v_mul_f64 v[35:36], v[7:8], v[35:36]
	s_waitcnt vmcnt(56)
	v_fma_f64 v[51:52], v[9:10], v[53:54], -v[51:52]
	v_add_f64 v[15:16], v[15:16], v[29:30]
	v_fma_f64 v[29:30], v[11:12], v[53:54], v[97:98]
	v_add_f64 v[13:14], v[13:14], v[41:42]
	s_clause 0x2
	buffer_load_dword v46, off, s[0:3], 0 offset:780
	buffer_load_dword v42, off, s[0:3], 0 offset:756
	buffer_load_dword v41, off, s[0:3], 0 offset:752
	ds_read_b128 v[9:12], v96 offset:1424
	s_waitcnt vmcnt(58) lgkmcnt(1)
	v_mul_f64 v[53:54], v[1:2], v[85:86]
	v_mul_f64 v[85:86], v[3:4], v[85:86]
	s_waitcnt vmcnt(56)
	v_fma_f64 v[35:36], v[5:6], v[39:40], -v[35:36]
	v_fma_f64 v[39:40], v[7:8], v[39:40], v[117:118]
	v_add_f64 v[15:16], v[15:16], v[51:52]
	v_add_f64 v[13:14], v[13:14], v[29:30]
	s_clause 0x4
	buffer_load_dword v30, off, s[0:3], 0 offset:796
	buffer_load_dword v51, off, s[0:3], 0 offset:808
	buffer_load_dword v97, off, s[0:3], 0 offset:800
	buffer_load_dword v29, off, s[0:3], 0 offset:792
	buffer_load_dword v104, off, s[0:3], 0 offset:772
	ds_read_b128 v[5:8], v96 offset:1440
	s_waitcnt vmcnt(57) lgkmcnt(1)
	v_mul_f64 v[117:118], v[9:10], v[43:44]
	v_mul_f64 v[43:44], v[11:12], v[43:44]
	s_waitcnt vmcnt(56)
	v_fma_f64 v[85:86], v[1:2], v[87:88], -v[85:86]
	v_add_f64 v[15:16], v[15:16], v[35:36]
	v_fma_f64 v[35:36], v[3:4], v[87:88], v[53:54]
	v_add_f64 v[13:14], v[13:14], v[39:40]
	s_clause 0x2
	buffer_load_dword v52, off, s[0:3], 0 offset:812
	buffer_load_dword v40, off, s[0:3], 0 offset:788
	buffer_load_dword v39, off, s[0:3], 0 offset:784
	ds_read_b128 v[1:4], v96 offset:1456
	s_waitcnt vmcnt(58) lgkmcnt(1)
	v_mul_f64 v[87:88], v[7:8], v[91:92]
	v_mul_f64 v[53:54], v[5:6], v[91:92]
	;; [unrolled: 28-line block ×4, first 2 shown]
	s_waitcnt vmcnt(56)
	v_fma_f64 v[83:84], v[5:6], v[89:90], -v[83:84]
	v_add_f64 v[15:16], v[15:16], v[55:56]
	v_fma_f64 v[55:56], v[7:8], v[89:90], v[117:118]
	v_add_f64 v[13:14], v[13:14], v[49:50]
	s_clause 0x2
	buffer_load_dword v50, off, s[0:3], 0 offset:892
	buffer_load_dword v49, off, s[0:3], 0 offset:888
	;; [unrolled: 1-line block ×3, first 2 shown]
	ds_read_b128 v[5:8], v96 offset:1536
	s_waitcnt vmcnt(55) lgkmcnt(1)
	v_mul_f64 v[89:90], v[9:10], v[21:22]
	v_mul_f64 v[21:22], v[11:12], v[21:22]
	s_waitcnt vmcnt(54)
	v_fma_f64 v[99:100], v[1:2], v[109:110], -v[99:100]
	v_fma_f64 v[53:54], v[3:4], v[109:110], v[53:54]
	v_add_f64 v[15:16], v[15:16], v[83:84]
	v_add_f64 v[13:14], v[13:14], v[55:56]
	s_clause 0x1
	buffer_load_dword v56, off, s[0:3], 0 offset:884
	buffer_load_dword v55, off, s[0:3], 0 offset:880
	ds_read_b128 v[1:4], v96 offset:1552
	s_waitcnt vmcnt(55) lgkmcnt(1)
	v_mul_f64 v[105:106], v[7:8], v[107:108]
	v_mul_f64 v[83:84], v[5:6], v[107:108]
	s_waitcnt vmcnt(53)
	v_fma_f64 v[21:22], v[9:10], v[27:28], -v[21:22]
	v_fma_f64 v[27:28], v[11:12], v[27:28], v[89:90]
	ds_read_b128 v[9:12], v96 offset:1568
	v_add_f64 v[15:16], v[15:16], v[99:100]
	v_add_f64 v[13:14], v[13:14], v[53:54]
	s_waitcnt vmcnt(49) lgkmcnt(1)
	v_mul_f64 v[53:54], v[1:2], v[33:34]
	v_mul_f64 v[33:34], v[3:4], v[33:34]
	s_waitcnt vmcnt(48)
	v_fma_f64 v[89:90], v[5:6], v[113:114], -v[105:106]
	v_add_f64 v[15:16], v[15:16], v[21:22]
	v_fma_f64 v[21:22], v[7:8], v[113:114], v[83:84]
	v_add_f64 v[13:14], v[13:14], v[27:28]
	s_clause 0x3
	buffer_load_dword v27, off, s[0:3], 0 offset:80
	buffer_load_dword v28, off, s[0:3], 0 offset:84
	;; [unrolled: 1-line block ×4, first 2 shown]
	ds_read_b128 v[5:8], v96 offset:1584
	s_waitcnt vmcnt(51) lgkmcnt(1)
	v_mul_f64 v[99:100], v[9:10], v[101:102]
	v_mul_f64 v[101:102], v[11:12], v[101:102]
	s_waitcnt vmcnt(49)
	v_fma_f64 v[33:34], v[1:2], v[25:26], -v[33:34]
	v_fma_f64 v[25:26], v[3:4], v[25:26], v[53:54]
	ds_read_b128 v[1:4], v96 offset:1600
	v_add_f64 v[15:16], v[15:16], v[89:90]
	v_add_f64 v[13:14], v[13:14], v[21:22]
	s_waitcnt vmcnt(45) lgkmcnt(1)
	v_mul_f64 v[21:22], v[5:6], v[19:20]
	v_mul_f64 v[19:20], v[7:8], v[19:20]
	s_waitcnt vmcnt(44)
	v_fma_f64 v[53:54], v[9:10], v[115:116], -v[101:102]
	v_add_f64 v[15:16], v[15:16], v[33:34]
	v_fma_f64 v[33:34], v[11:12], v[115:116], v[99:100]
	v_add_f64 v[13:14], v[13:14], v[25:26]
	ds_read_b128 v[9:12], v96 offset:1616
	s_waitcnt vmcnt(43) lgkmcnt(1)
	v_mul_f64 v[25:26], v[1:2], v[37:38]
	v_mul_f64 v[37:38], v[3:4], v[37:38]
	s_waitcnt vmcnt(41)
	v_fma_f64 v[19:20], v[5:6], v[31:32], -v[19:20]
	v_fma_f64 v[21:22], v[7:8], v[31:32], v[21:22]
	ds_read_b128 v[5:8], v96 offset:1632
	v_add_f64 v[15:16], v[15:16], v[53:54]
	v_add_f64 v[13:14], v[13:14], v[33:34]
	s_waitcnt vmcnt(37) lgkmcnt(1)
	v_mul_f64 v[31:32], v[9:10], v[23:24]
	v_mul_f64 v[23:24], v[11:12], v[23:24]
	s_waitcnt vmcnt(36)
	v_fma_f64 v[33:34], v[1:2], v[111:112], -v[37:38]
	v_add_f64 v[15:16], v[15:16], v[19:20]
	v_fma_f64 v[19:20], v[3:4], v[111:112], v[25:26]
	v_add_f64 v[13:14], v[13:14], v[21:22]
	ds_read_b128 v[1:4], v96 offset:1648
	s_waitcnt vmcnt(35) lgkmcnt(1)
	v_mul_f64 v[25:26], v[7:8], v[45:46]
	v_mul_f64 v[21:22], v[5:6], v[45:46]
	s_waitcnt vmcnt(33)
	v_fma_f64 v[23:24], v[9:10], v[41:42], -v[23:24]
	v_fma_f64 v[31:32], v[11:12], v[41:42], v[31:32]
	ds_read_b128 v[9:12], v96 offset:1664
	v_add_f64 v[15:16], v[15:16], v[33:34]
	v_add_f64 v[13:14], v[13:14], v[19:20]
	s_waitcnt vmcnt(29) lgkmcnt(1)
	v_mul_f64 v[19:20], v[1:2], v[29:30]
	v_mul_f64 v[29:30], v[3:4], v[29:30]
	s_waitcnt vmcnt(28)
	v_fma_f64 v[25:26], v[5:6], v[103:104], -v[25:26]
	v_fma_f64 v[21:22], v[7:8], v[103:104], v[21:22]
	ds_read_b128 v[5:8], v96 offset:1680
	v_add_f64 v[15:16], v[15:16], v[23:24]
	v_add_f64 v[13:14], v[13:14], v[31:32]
	s_waitcnt vmcnt(27) lgkmcnt(1)
	v_mul_f64 v[31:32], v[11:12], v[51:52]
	v_mul_f64 v[23:24], v[9:10], v[51:52]
	s_waitcnt vmcnt(25)
	v_fma_f64 v[29:30], v[1:2], v[39:40], -v[29:30]
	v_fma_f64 v[19:20], v[3:4], v[39:40], v[19:20]
	ds_read_b128 v[1:4], v96 offset:1696
	v_add_f64 v[15:16], v[15:16], v[25:26]
	v_add_f64 v[13:14], v[13:14], v[21:22]
	s_waitcnt vmcnt(21) lgkmcnt(1)
	v_mul_f64 v[25:26], v[7:8], v[35:36]
	s_waitcnt vmcnt(20)
	v_fma_f64 v[31:32], v[9:10], v[97:98], -v[31:32]
	v_mul_f64 v[21:22], v[5:6], v[35:36]
	v_fma_f64 v[23:24], v[11:12], v[97:98], v[23:24]
	ds_read_b128 v[9:12], v96 offset:1712
	v_add_f64 v[15:16], v[15:16], v[29:30]
	v_add_f64 v[13:14], v[13:14], v[19:20]
	s_waitcnt vmcnt(19) lgkmcnt(1)
	v_mul_f64 v[29:30], v[3:4], v[85:86]
	v_mul_f64 v[19:20], v[1:2], v[85:86]
	s_waitcnt vmcnt(17)
	v_fma_f64 v[25:26], v[5:6], v[47:48], -v[25:26]
	v_fma_f64 v[21:22], v[7:8], v[47:48], v[21:22]
	ds_read_b128 v[5:8], v96 offset:1728
	v_add_f64 v[15:16], v[15:16], v[31:32]
	v_add_f64 v[13:14], v[13:14], v[23:24]
	s_waitcnt vmcnt(13) lgkmcnt(1)
	v_mul_f64 v[31:32], v[11:12], v[43:44]
	s_waitcnt vmcnt(12)
	v_fma_f64 v[29:30], v[1:2], v[91:92], -v[29:30]
	v_mul_f64 v[23:24], v[9:10], v[43:44]
	v_fma_f64 v[19:20], v[3:4], v[91:92], v[19:20]
	ds_read_b128 v[1:4], v96 offset:1744
	v_add_f64 v[15:16], v[15:16], v[25:26]
	v_add_f64 v[13:14], v[13:14], v[21:22]
	s_waitcnt vmcnt(11) lgkmcnt(1)
	v_mul_f64 v[25:26], v[7:8], v[87:88]
	v_mul_f64 v[21:22], v[5:6], v[87:88]
	s_waitcnt vmcnt(9)
	v_fma_f64 v[9:10], v[9:10], v[17:18], -v[31:32]
	v_fma_f64 v[11:12], v[11:12], v[17:18], v[23:24]
	v_add_f64 v[15:16], v[15:16], v[29:30]
	v_add_f64 v[13:14], v[13:14], v[19:20]
	s_waitcnt vmcnt(7) lgkmcnt(0)
	v_mul_f64 v[19:20], v[3:4], v[49:50]
	s_waitcnt vmcnt(6)
	v_fma_f64 v[5:6], v[5:6], v[93:94], -v[25:26]
	v_mul_f64 v[17:18], v[1:2], v[49:50]
	v_fma_f64 v[7:8], v[7:8], v[93:94], v[21:22]
	v_add_f64 v[9:10], v[15:16], v[9:10]
	v_add_f64 v[11:12], v[13:14], v[11:12]
	s_waitcnt vmcnt(4)
	v_fma_f64 v[1:2], v[1:2], v[55:56], -v[19:20]
	v_fma_f64 v[3:4], v[3:4], v[55:56], v[17:18]
	v_add_f64 v[5:6], v[9:10], v[5:6]
	v_add_f64 v[7:8], v[11:12], v[7:8]
	;; [unrolled: 1-line block ×4, first 2 shown]
	s_waitcnt vmcnt(2)
	v_add_f64 v[1:2], v[27:28], -v[1:2]
	s_waitcnt vmcnt(0)
	v_add_f64 v[3:4], v[83:84], -v[3:4]
	buffer_store_dword v2, off, s[0:3], 0 offset:84
	buffer_store_dword v1, off, s[0:3], 0 offset:80
	;; [unrolled: 1-line block ×4, first 2 shown]
	v_cmpx_lt_u32_e32 3, v0
	s_cbranch_execz .LBB54_337
; %bb.336:
	v_mov_b32_e32 v4, s64
	v_mov_b32_e32 v5, 0
	s_clause 0x3
	buffer_load_dword v1, v4, s[0:3], 0 offen
	buffer_load_dword v2, v4, s[0:3], 0 offen offset:4
	buffer_load_dword v3, v4, s[0:3], 0 offen offset:8
	;; [unrolled: 1-line block ×3, first 2 shown]
	buffer_store_dword v5, off, s[0:3], 0 offset:64
	buffer_store_dword v5, off, s[0:3], 0 offset:68
	;; [unrolled: 1-line block ×4, first 2 shown]
	s_waitcnt vmcnt(0)
	ds_write_b128 v95, v[1:4]
.LBB54_337:
	s_or_b32 exec_lo, exec_lo, s4
	s_waitcnt lgkmcnt(0)
	s_waitcnt_vscnt null, 0x0
	s_barrier
	buffer_gl0_inv
	s_clause 0x37
	buffer_load_dword v17, off, s[0:3], 0 offset:88
	buffer_load_dword v18, off, s[0:3], 0 offset:92
	;; [unrolled: 1-line block ×56, first 2 shown]
	v_mov_b32_e32 v96, 0
	s_mov_b32 s4, exec_lo
	ds_read_b128 v[5:8], v96 offset:944
	s_clause 0x2
	buffer_load_dword v92, off, s[0:3], 0 offset:316
	buffer_load_dword v94, off, s[0:3], 0 offset:292
	buffer_load_dword v93, off, s[0:3], 0 offset:288
	ds_read_b128 v[1:4], v96 offset:960
	s_clause 0x4
	buffer_load_dword v104, off, s[0:3], 0 offset:332
	buffer_load_dword v105, off, s[0:3], 0 offset:344
	;; [unrolled: 1-line block ×5, first 2 shown]
	ds_read_b128 v[97:100], v96 offset:976
	s_waitcnt vmcnt(62) lgkmcnt(2)
	v_mul_f64 v[101:102], v[7:8], v[17:18]
	v_mul_f64 v[17:18], v[5:6], v[17:18]
	s_waitcnt vmcnt(60) lgkmcnt(1)
	v_mul_f64 v[108:109], v[3:4], v[13:14]
	v_mul_f64 v[13:14], v[1:2], v[13:14]
	;; [unrolled: 3-line block ×3, first 2 shown]
	v_fma_f64 v[101:102], v[5:6], v[15:16], -v[101:102]
	v_fma_f64 v[15:16], v[7:8], v[15:16], v[17:18]
	s_clause 0x2
	buffer_load_dword v106, off, s[0:3], 0 offset:348
	buffer_load_dword v18, off, s[0:3], 0 offset:324
	;; [unrolled: 1-line block ×3, first 2 shown]
	s_waitcnt vmcnt(57)
	v_fma_f64 v[112:113], v[1:2], v[9:10], -v[108:109]
	ds_read_b128 v[5:8], v96 offset:992
	v_fma_f64 v[9:10], v[3:4], v[9:10], v[13:14]
	s_waitcnt vmcnt(51)
	v_fma_f64 v[97:98], v[97:98], v[33:34], -v[11:12]
	v_fma_f64 v[33:34], v[99:100], v[33:34], v[110:111]
	v_add_f64 v[101:102], v[101:102], 0
	v_add_f64 v[13:14], v[15:16], 0
	s_clause 0x4
	buffer_load_dword v16, off, s[0:3], 0 offset:364
	buffer_load_dword v109, off, s[0:3], 0 offset:376
	;; [unrolled: 1-line block ×5, first 2 shown]
	s_waitcnt lgkmcnt(0)
	v_mul_f64 v[115:116], v[5:6], v[21:22]
	v_mul_f64 v[21:22], v[7:8], v[21:22]
	ds_read_b128 v[1:4], v96 offset:1008
	s_clause 0x2
	buffer_load_dword v110, off, s[0:3], 0 offset:380
	buffer_load_dword v100, off, s[0:3], 0 offset:356
	;; [unrolled: 1-line block ×3, first 2 shown]
	v_add_f64 v[101:102], v[101:102], v[112:113]
	v_add_f64 v[13:14], v[13:14], v[9:10]
	ds_read_b128 v[9:12], v96 offset:1024
	s_waitcnt vmcnt(58) lgkmcnt(1)
	v_mul_f64 v[111:112], v[1:2], v[25:26]
	v_mul_f64 v[25:26], v[3:4], v[25:26]
	s_waitcnt vmcnt(56)
	v_fma_f64 v[21:22], v[5:6], v[27:28], -v[21:22]
	v_fma_f64 v[27:28], v[7:8], v[27:28], v[115:116]
	s_waitcnt vmcnt(52) lgkmcnt(0)
	v_mul_f64 v[117:118], v[9:10], v[29:30]
	v_add_f64 v[97:98], v[101:102], v[97:98]
	v_add_f64 v[13:14], v[13:14], v[33:34]
	s_clause 0x4
	buffer_load_dword v34, off, s[0:3], 0 offset:396
	buffer_load_dword v101, off, s[0:3], 0 offset:408
	;; [unrolled: 1-line block ×5, first 2 shown]
	v_mul_f64 v[29:30], v[11:12], v[29:30]
	s_waitcnt vmcnt(56)
	v_fma_f64 v[25:26], v[1:2], v[19:20], -v[25:26]
	ds_read_b128 v[5:8], v96 offset:1040
	v_fma_f64 v[19:20], v[3:4], v[19:20], v[111:112]
	v_add_f64 v[21:22], v[97:98], v[21:22]
	v_add_f64 v[13:14], v[13:14], v[27:28]
	s_clause 0x2
	buffer_load_dword v102, off, s[0:3], 0 offset:412
	buffer_load_dword v28, off, s[0:3], 0 offset:388
	;; [unrolled: 1-line block ×3, first 2 shown]
	s_waitcnt vmcnt(58) lgkmcnt(0)
	v_mul_f64 v[97:98], v[5:6], v[35:36]
	v_mul_f64 v[35:36], v[7:8], v[35:36]
	s_waitcnt vmcnt(56)
	v_fma_f64 v[29:30], v[9:10], v[37:38], -v[29:30]
	ds_read_b128 v[1:4], v96 offset:1056
	v_add_f64 v[21:22], v[21:22], v[25:26]
	v_fma_f64 v[25:26], v[11:12], v[37:38], v[117:118]
	v_add_f64 v[13:14], v[13:14], v[19:20]
	s_clause 0x4
	buffer_load_dword v20, off, s[0:3], 0 offset:428
	buffer_load_dword v37, off, s[0:3], 0 offset:440
	;; [unrolled: 1-line block ×5, first 2 shown]
	s_waitcnt vmcnt(57) lgkmcnt(0)
	v_mul_f64 v[112:113], v[1:2], v[39:40]
	v_mul_f64 v[39:40], v[3:4], v[39:40]
	s_waitcnt vmcnt(56)
	v_fma_f64 v[35:36], v[5:6], v[23:24], -v[35:36]
	ds_read_b128 v[9:12], v96 offset:1072
	v_fma_f64 v[23:24], v[7:8], v[23:24], v[97:98]
	v_add_f64 v[21:22], v[21:22], v[29:30]
	v_add_f64 v[13:14], v[13:14], v[25:26]
	s_clause 0x2
	buffer_load_dword v38, off, s[0:3], 0 offset:444
	buffer_load_dword v26, off, s[0:3], 0 offset:420
	;; [unrolled: 1-line block ×3, first 2 shown]
	ds_read_b128 v[5:8], v96 offset:1088
	s_waitcnt vmcnt(58) lgkmcnt(1)
	v_mul_f64 v[29:30], v[9:10], v[43:44]
	v_mul_f64 v[43:44], v[11:12], v[43:44]
	s_waitcnt vmcnt(56)
	v_fma_f64 v[39:40], v[1:2], v[45:46], -v[39:40]
	v_add_f64 v[21:22], v[21:22], v[35:36]
	v_fma_f64 v[35:36], v[3:4], v[45:46], v[112:113]
	v_add_f64 v[13:14], v[13:14], v[23:24]
	s_clause 0x4
	buffer_load_dword v24, off, s[0:3], 0 offset:460
	buffer_load_dword v45, off, s[0:3], 0 offset:472
	;; [unrolled: 1-line block ×5, first 2 shown]
	s_waitcnt vmcnt(57) lgkmcnt(0)
	v_mul_f64 v[118:119], v[5:6], v[47:48]
	v_mul_f64 v[47:48], v[7:8], v[47:48]
	s_waitcnt vmcnt(56)
	v_fma_f64 v[43:44], v[9:10], v[31:32], -v[43:44]
	ds_read_b128 v[1:4], v96 offset:1104
	v_fma_f64 v[29:30], v[11:12], v[31:32], v[29:30]
	s_clause 0x2
	buffer_load_dword v46, off, s[0:3], 0 offset:476
	buffer_load_dword v32, off, s[0:3], 0 offset:452
	;; [unrolled: 1-line block ×3, first 2 shown]
	ds_read_b128 v[9:12], v96 offset:1120
	v_add_f64 v[21:22], v[21:22], v[39:40]
	v_add_f64 v[13:14], v[13:14], v[35:36]
	s_waitcnt vmcnt(58) lgkmcnt(1)
	v_mul_f64 v[39:40], v[3:4], v[51:52]
	s_waitcnt vmcnt(56)
	v_fma_f64 v[47:48], v[5:6], v[53:54], -v[47:48]
	v_mul_f64 v[35:36], v[1:2], v[51:52]
	v_add_f64 v[21:22], v[21:22], v[43:44]
	v_fma_f64 v[43:44], v[7:8], v[53:54], v[118:119]
	v_add_f64 v[13:14], v[13:14], v[29:30]
	s_clause 0x4
	buffer_load_dword v30, off, s[0:3], 0 offset:492
	buffer_load_dword v51, off, s[0:3], 0 offset:504
	;; [unrolled: 1-line block ×5, first 2 shown]
	s_waitcnt vmcnt(57) lgkmcnt(0)
	v_mul_f64 v[118:119], v[9:10], v[55:56]
	v_mul_f64 v[54:55], v[11:12], v[55:56]
	s_waitcnt vmcnt(56)
	v_fma_f64 v[39:40], v[1:2], v[41:42], -v[39:40]
	ds_read_b128 v[5:8], v96 offset:1136
	v_fma_f64 v[35:36], v[3:4], v[41:42], v[35:36]
	s_clause 0x2
	buffer_load_dword v52, off, s[0:3], 0 offset:508
	buffer_load_dword v42, off, s[0:3], 0 offset:484
	;; [unrolled: 1-line block ×3, first 2 shown]
	ds_read_b128 v[1:4], v96 offset:1152
	v_add_f64 v[21:22], v[21:22], v[47:48]
	v_add_f64 v[13:14], v[13:14], v[43:44]
	s_waitcnt vmcnt(58) lgkmcnt(1)
	v_mul_f64 v[47:48], v[7:8], v[85:86]
	s_waitcnt vmcnt(56)
	v_fma_f64 v[55:56], v[9:10], v[87:88], -v[54:55]
	v_mul_f64 v[43:44], v[5:6], v[85:86]
	v_add_f64 v[21:22], v[21:22], v[39:40]
	v_fma_f64 v[39:40], v[11:12], v[87:88], v[118:119]
	v_add_f64 v[13:14], v[13:14], v[35:36]
	s_clause 0x4
	buffer_load_dword v36, off, s[0:3], 0 offset:524
	buffer_load_dword v85, off, s[0:3], 0 offset:536
	;; [unrolled: 1-line block ×5, first 2 shown]
	s_waitcnt vmcnt(57) lgkmcnt(0)
	v_mul_f64 v[118:119], v[1:2], v[89:90]
	v_mul_f64 v[88:89], v[3:4], v[89:90]
	s_waitcnt vmcnt(56)
	v_fma_f64 v[47:48], v[5:6], v[49:50], -v[47:48]
	ds_read_b128 v[9:12], v96 offset:1168
	v_fma_f64 v[43:44], v[7:8], v[49:50], v[43:44]
	v_add_f64 v[21:22], v[21:22], v[55:56]
	v_add_f64 v[13:14], v[13:14], v[39:40]
	s_clause 0x2
	buffer_load_dword v86, off, s[0:3], 0 offset:540
	buffer_load_dword v40, off, s[0:3], 0 offset:516
	;; [unrolled: 1-line block ×3, first 2 shown]
	ds_read_b128 v[5:8], v96 offset:1184
	s_waitcnt vmcnt(58) lgkmcnt(1)
	v_mul_f64 v[55:56], v[11:12], v[91:92]
	s_waitcnt vmcnt(56)
	v_fma_f64 v[89:90], v[1:2], v[93:94], -v[88:89]
	v_mul_f64 v[49:50], v[9:10], v[91:92]
	v_add_f64 v[21:22], v[21:22], v[47:48]
	v_fma_f64 v[47:48], v[3:4], v[93:94], v[118:119]
	v_add_f64 v[13:14], v[13:14], v[43:44]
	s_clause 0x4
	buffer_load_dword v44, off, s[0:3], 0 offset:556
	buffer_load_dword v91, off, s[0:3], 0 offset:568
	;; [unrolled: 1-line block ×5, first 2 shown]
	s_waitcnt vmcnt(57) lgkmcnt(0)
	v_mul_f64 v[118:119], v[5:6], v[103:104]
	v_mul_f64 v[103:104], v[7:8], v[103:104]
	s_waitcnt vmcnt(56)
	v_fma_f64 v[55:56], v[9:10], v[83:84], -v[55:56]
	ds_read_b128 v[1:4], v96 offset:1200
	v_fma_f64 v[49:50], v[11:12], v[83:84], v[49:50]
	v_add_f64 v[21:22], v[21:22], v[89:90]
	v_add_f64 v[13:14], v[13:14], v[47:48]
	s_clause 0x2
	buffer_load_dword v92, off, s[0:3], 0 offset:572
	buffer_load_dword v48, off, s[0:3], 0 offset:548
	;; [unrolled: 1-line block ×3, first 2 shown]
	ds_read_b128 v[9:12], v96 offset:1216
	s_waitcnt vmcnt(58) lgkmcnt(1)
	v_mul_f64 v[89:90], v[3:4], v[105:106]
	v_mul_f64 v[83:84], v[1:2], v[105:106]
	s_waitcnt vmcnt(56)
	v_fma_f64 v[103:104], v[5:6], v[17:18], -v[103:104]
	v_fma_f64 v[17:18], v[7:8], v[17:18], v[118:119]
	v_add_f64 v[21:22], v[21:22], v[55:56]
	v_add_f64 v[13:14], v[13:14], v[49:50]
	s_clause 0x4
	buffer_load_dword v50, off, s[0:3], 0 offset:588
	buffer_load_dword v55, off, s[0:3], 0 offset:600
	buffer_load_dword v105, off, s[0:3], 0 offset:592
	buffer_load_dword v49, off, s[0:3], 0 offset:584
	buffer_load_dword v94, off, s[0:3], 0 offset:564
	ds_read_b128 v[5:8], v96 offset:1232
	s_waitcnt vmcnt(57) lgkmcnt(1)
	v_mul_f64 v[118:119], v[9:10], v[15:16]
	v_mul_f64 v[15:16], v[11:12], v[15:16]
	s_waitcnt vmcnt(56)
	v_fma_f64 v[89:90], v[1:2], v[107:108], -v[89:90]
	v_fma_f64 v[83:84], v[3:4], v[107:108], v[83:84]
	v_add_f64 v[21:22], v[21:22], v[103:104]
	v_add_f64 v[13:14], v[13:14], v[17:18]
	s_clause 0x2
	buffer_load_dword v56, off, s[0:3], 0 offset:604
	buffer_load_dword v18, off, s[0:3], 0 offset:580
	;; [unrolled: 1-line block ×3, first 2 shown]
	s_waitcnt vmcnt(58) lgkmcnt(0)
	v_mul_f64 v[107:108], v[7:8], v[109:110]
	ds_read_b128 v[1:4], v96 offset:1248
	v_mul_f64 v[103:104], v[5:6], v[109:110]
	s_waitcnt vmcnt(56)
	v_fma_f64 v[15:16], v[9:10], v[99:100], -v[15:16]
	v_add_f64 v[21:22], v[21:22], v[89:90]
	v_fma_f64 v[89:90], v[11:12], v[99:100], v[118:119]
	v_add_f64 v[13:14], v[13:14], v[83:84]
	s_clause 0x4
	buffer_load_dword v84, off, s[0:3], 0 offset:620
	buffer_load_dword v99, off, s[0:3], 0 offset:632
	;; [unrolled: 1-line block ×5, first 2 shown]
	ds_read_b128 v[9:12], v96 offset:1264
	s_waitcnt vmcnt(57) lgkmcnt(1)
	v_mul_f64 v[118:119], v[1:2], v[33:34]
	v_mul_f64 v[33:34], v[3:4], v[33:34]
	s_waitcnt vmcnt(56)
	v_fma_f64 v[107:108], v[5:6], v[114:115], -v[107:108]
	v_add_f64 v[15:16], v[21:22], v[15:16]
	v_fma_f64 v[21:22], v[7:8], v[114:115], v[103:104]
	v_add_f64 v[13:14], v[13:14], v[89:90]
	s_clause 0x2
	buffer_load_dword v100, off, s[0:3], 0 offset:636
	buffer_load_dword v90, off, s[0:3], 0 offset:612
	;; [unrolled: 1-line block ×3, first 2 shown]
	ds_read_b128 v[5:8], v96 offset:1280
	s_waitcnt vmcnt(58) lgkmcnt(1)
	v_mul_f64 v[103:104], v[9:10], v[101:102]
	v_mul_f64 v[101:102], v[11:12], v[101:102]
	s_waitcnt vmcnt(56)
	v_fma_f64 v[33:34], v[1:2], v[27:28], -v[33:34]
	v_fma_f64 v[27:28], v[3:4], v[27:28], v[118:119]
	v_add_f64 v[15:16], v[15:16], v[107:108]
	v_add_f64 v[13:14], v[13:14], v[21:22]
	s_clause 0x4
	buffer_load_dword v22, off, s[0:3], 0 offset:652
	buffer_load_dword v107, off, s[0:3], 0 offset:664
	;; [unrolled: 1-line block ×5, first 2 shown]
	ds_read_b128 v[1:4], v96 offset:1296
	s_waitcnt vmcnt(57) lgkmcnt(1)
	v_mul_f64 v[114:115], v[5:6], v[19:20]
	v_mul_f64 v[19:20], v[7:8], v[19:20]
	s_waitcnt vmcnt(56)
	v_fma_f64 v[101:102], v[9:10], v[116:117], -v[101:102]
	v_add_f64 v[15:16], v[15:16], v[33:34]
	v_fma_f64 v[33:34], v[11:12], v[116:117], v[103:104]
	v_add_f64 v[13:14], v[13:14], v[27:28]
	s_clause 0x2
	buffer_load_dword v108, off, s[0:3], 0 offset:668
	buffer_load_dword v28, off, s[0:3], 0 offset:644
	;; [unrolled: 1-line block ×3, first 2 shown]
	ds_read_b128 v[9:12], v96 offset:1312
	s_waitcnt vmcnt(58) lgkmcnt(1)
	v_mul_f64 v[103:104], v[1:2], v[37:38]
	v_mul_f64 v[37:38], v[3:4], v[37:38]
	s_waitcnt vmcnt(56)
	v_fma_f64 v[19:20], v[5:6], v[25:26], -v[19:20]
	v_fma_f64 v[25:26], v[7:8], v[25:26], v[114:115]
	v_add_f64 v[15:16], v[15:16], v[101:102]
	v_add_f64 v[13:14], v[13:14], v[33:34]
	s_clause 0x4
	buffer_load_dword v34, off, s[0:3], 0 offset:684
	buffer_load_dword v101, off, s[0:3], 0 offset:696
	;; [unrolled: 1-line block ×5, first 2 shown]
	ds_read_b128 v[5:8], v96 offset:1328
	s_waitcnt vmcnt(57) lgkmcnt(1)
	v_mul_f64 v[116:117], v[9:10], v[23:24]
	v_mul_f64 v[23:24], v[11:12], v[23:24]
	s_waitcnt vmcnt(56)
	v_fma_f64 v[37:38], v[1:2], v[111:112], -v[37:38]
	v_add_f64 v[15:16], v[15:16], v[19:20]
	v_fma_f64 v[19:20], v[3:4], v[111:112], v[103:104]
	v_add_f64 v[13:14], v[13:14], v[25:26]
	s_clause 0x2
	buffer_load_dword v102, off, s[0:3], 0 offset:700
	buffer_load_dword v26, off, s[0:3], 0 offset:676
	;; [unrolled: 1-line block ×3, first 2 shown]
	s_waitcnt vmcnt(58) lgkmcnt(0)
	v_mul_f64 v[103:104], v[5:6], v[45:46]
	v_mul_f64 v[45:46], v[7:8], v[45:46]
	ds_read_b128 v[1:4], v96 offset:1344
	s_waitcnt vmcnt(56)
	v_fma_f64 v[23:24], v[9:10], v[31:32], -v[23:24]
	v_fma_f64 v[31:32], v[11:12], v[31:32], v[116:117]
	v_add_f64 v[15:16], v[15:16], v[37:38]
	v_add_f64 v[13:14], v[13:14], v[19:20]
	s_clause 0x4
	buffer_load_dword v20, off, s[0:3], 0 offset:716
	buffer_load_dword v37, off, s[0:3], 0 offset:728
	;; [unrolled: 1-line block ×5, first 2 shown]
	ds_read_b128 v[9:12], v96 offset:1360
	s_waitcnt vmcnt(57) lgkmcnt(1)
	v_mul_f64 v[117:118], v[1:2], v[29:30]
	v_mul_f64 v[29:30], v[3:4], v[29:30]
	s_waitcnt vmcnt(56)
	v_fma_f64 v[45:46], v[5:6], v[97:98], -v[45:46]
	v_add_f64 v[15:16], v[15:16], v[23:24]
	v_fma_f64 v[23:24], v[7:8], v[97:98], v[103:104]
	v_add_f64 v[13:14], v[13:14], v[31:32]
	s_clause 0x2
	buffer_load_dword v38, off, s[0:3], 0 offset:732
	buffer_load_dword v32, off, s[0:3], 0 offset:708
	;; [unrolled: 1-line block ×3, first 2 shown]
	s_waitcnt vmcnt(58) lgkmcnt(0)
	v_mul_f64 v[97:98], v[9:10], v[51:52]
	v_mul_f64 v[51:52], v[11:12], v[51:52]
	ds_read_b128 v[5:8], v96 offset:1376
	s_waitcnt vmcnt(56)
	v_fma_f64 v[29:30], v[1:2], v[41:42], -v[29:30]
	v_fma_f64 v[41:42], v[3:4], v[41:42], v[117:118]
	v_add_f64 v[15:16], v[15:16], v[45:46]
	v_add_f64 v[13:14], v[13:14], v[23:24]
	s_clause 0x4
	buffer_load_dword v24, off, s[0:3], 0 offset:748
	buffer_load_dword v45, off, s[0:3], 0 offset:760
	buffer_load_dword v103, off, s[0:3], 0 offset:752
	buffer_load_dword v23, off, s[0:3], 0 offset:744
	buffer_load_dword v112, off, s[0:3], 0 offset:724
	ds_read_b128 v[1:4], v96 offset:1392
	s_waitcnt vmcnt(57) lgkmcnt(1)
	v_mul_f64 v[117:118], v[5:6], v[35:36]
	v_mul_f64 v[35:36], v[7:8], v[35:36]
	s_waitcnt vmcnt(56)
	v_fma_f64 v[51:52], v[9:10], v[53:54], -v[51:52]
	v_add_f64 v[15:16], v[15:16], v[29:30]
	v_fma_f64 v[29:30], v[11:12], v[53:54], v[97:98]
	v_add_f64 v[13:14], v[13:14], v[41:42]
	s_clause 0x2
	buffer_load_dword v46, off, s[0:3], 0 offset:764
	buffer_load_dword v42, off, s[0:3], 0 offset:740
	buffer_load_dword v41, off, s[0:3], 0 offset:736
	ds_read_b128 v[9:12], v96 offset:1408
	s_waitcnt vmcnt(58) lgkmcnt(1)
	v_mul_f64 v[53:54], v[1:2], v[85:86]
	v_mul_f64 v[85:86], v[3:4], v[85:86]
	s_waitcnt vmcnt(56)
	v_fma_f64 v[35:36], v[5:6], v[39:40], -v[35:36]
	v_fma_f64 v[39:40], v[7:8], v[39:40], v[117:118]
	v_add_f64 v[15:16], v[15:16], v[51:52]
	v_add_f64 v[13:14], v[13:14], v[29:30]
	s_clause 0x4
	buffer_load_dword v30, off, s[0:3], 0 offset:780
	buffer_load_dword v51, off, s[0:3], 0 offset:792
	buffer_load_dword v97, off, s[0:3], 0 offset:784
	buffer_load_dword v29, off, s[0:3], 0 offset:776
	buffer_load_dword v104, off, s[0:3], 0 offset:756
	ds_read_b128 v[5:8], v96 offset:1424
	s_waitcnt vmcnt(57) lgkmcnt(1)
	v_mul_f64 v[117:118], v[9:10], v[43:44]
	v_mul_f64 v[43:44], v[11:12], v[43:44]
	s_waitcnt vmcnt(56)
	v_fma_f64 v[85:86], v[1:2], v[87:88], -v[85:86]
	v_add_f64 v[15:16], v[15:16], v[35:36]
	v_fma_f64 v[35:36], v[3:4], v[87:88], v[53:54]
	v_add_f64 v[13:14], v[13:14], v[39:40]
	s_clause 0x2
	buffer_load_dword v52, off, s[0:3], 0 offset:796
	buffer_load_dword v40, off, s[0:3], 0 offset:772
	buffer_load_dword v39, off, s[0:3], 0 offset:768
	ds_read_b128 v[1:4], v96 offset:1440
	s_waitcnt vmcnt(58) lgkmcnt(1)
	v_mul_f64 v[87:88], v[7:8], v[91:92]
	v_mul_f64 v[53:54], v[5:6], v[91:92]
	;; [unrolled: 28-line block ×4, first 2 shown]
	s_waitcnt vmcnt(56)
	v_fma_f64 v[83:84], v[5:6], v[89:90], -v[83:84]
	v_add_f64 v[15:16], v[15:16], v[55:56]
	v_fma_f64 v[55:56], v[7:8], v[89:90], v[117:118]
	v_add_f64 v[13:14], v[13:14], v[49:50]
	s_clause 0x4
	buffer_load_dword v50, off, s[0:3], 0 offset:876
	buffer_load_dword v89, off, s[0:3], 0 offset:888
	;; [unrolled: 1-line block ×5, first 2 shown]
	ds_read_b128 v[5:8], v96 offset:1520
	s_waitcnt vmcnt(57) lgkmcnt(1)
	v_mul_f64 v[117:118], v[9:10], v[21:22]
	v_mul_f64 v[21:22], v[11:12], v[21:22]
	s_waitcnt vmcnt(56)
	v_fma_f64 v[99:100], v[1:2], v[109:110], -v[99:100]
	v_fma_f64 v[53:54], v[3:4], v[109:110], v[53:54]
	v_add_f64 v[15:16], v[15:16], v[83:84]
	v_add_f64 v[13:14], v[13:14], v[55:56]
	s_clause 0x2
	buffer_load_dword v90, off, s[0:3], 0 offset:892
	buffer_load_dword v56, off, s[0:3], 0 offset:868
	;; [unrolled: 1-line block ×3, first 2 shown]
	ds_read_b128 v[1:4], v96 offset:1536
	buffer_load_dword v106, off, s[0:3], 0 offset:884
	s_waitcnt vmcnt(59) lgkmcnt(1)
	v_mul_f64 v[83:84], v[5:6], v[107:108]
	v_mul_f64 v[107:108], v[7:8], v[107:108]
	s_waitcnt vmcnt(57)
	v_fma_f64 v[21:22], v[9:10], v[27:28], -v[21:22]
	v_fma_f64 v[27:28], v[11:12], v[27:28], v[117:118]
	ds_read_b128 v[9:12], v96 offset:1552
	v_add_f64 v[15:16], v[15:16], v[99:100]
	v_add_f64 v[13:14], v[13:14], v[53:54]
	s_waitcnt vmcnt(53) lgkmcnt(1)
	v_mul_f64 v[53:54], v[1:2], v[33:34]
	v_mul_f64 v[33:34], v[3:4], v[33:34]
	s_waitcnt vmcnt(52)
	v_fma_f64 v[99:100], v[5:6], v[113:114], -v[107:108]
	v_add_f64 v[15:16], v[15:16], v[21:22]
	v_fma_f64 v[21:22], v[7:8], v[113:114], v[83:84]
	v_add_f64 v[13:14], v[13:14], v[27:28]
	ds_read_b128 v[5:8], v96 offset:1568
	s_waitcnt vmcnt(51) lgkmcnt(1)
	v_mul_f64 v[83:84], v[11:12], v[101:102]
	v_mul_f64 v[27:28], v[9:10], v[101:102]
	s_waitcnt vmcnt(49)
	v_fma_f64 v[33:34], v[1:2], v[25:26], -v[33:34]
	v_fma_f64 v[25:26], v[3:4], v[25:26], v[53:54]
	v_add_f64 v[15:16], v[15:16], v[99:100]
	v_add_f64 v[13:14], v[13:14], v[21:22]
	s_clause 0x3
	buffer_load_dword v21, off, s[0:3], 0 offset:64
	buffer_load_dword v22, off, s[0:3], 0 offset:68
	;; [unrolled: 1-line block ×4, first 2 shown]
	ds_read_b128 v[1:4], v96 offset:1584
	s_waitcnt vmcnt(49) lgkmcnt(1)
	v_mul_f64 v[99:100], v[5:6], v[19:20]
	v_mul_f64 v[19:20], v[7:8], v[19:20]
	s_waitcnt vmcnt(48)
	v_fma_f64 v[83:84], v[9:10], v[115:116], -v[83:84]
	v_fma_f64 v[27:28], v[11:12], v[115:116], v[27:28]
	ds_read_b128 v[9:12], v96 offset:1600
	v_add_f64 v[15:16], v[15:16], v[33:34]
	v_add_f64 v[13:14], v[13:14], v[25:26]
	s_waitcnt vmcnt(47) lgkmcnt(1)
	v_mul_f64 v[33:34], v[3:4], v[37:38]
	v_mul_f64 v[25:26], v[1:2], v[37:38]
	s_waitcnt vmcnt(45)
	v_fma_f64 v[19:20], v[5:6], v[31:32], -v[19:20]
	v_fma_f64 v[31:32], v[7:8], v[31:32], v[99:100]
	ds_read_b128 v[5:8], v96 offset:1616
	v_add_f64 v[15:16], v[15:16], v[83:84]
	v_add_f64 v[13:14], v[13:14], v[27:28]
	s_waitcnt vmcnt(41) lgkmcnt(1)
	v_mul_f64 v[27:28], v[9:10], v[23:24]
	v_mul_f64 v[23:24], v[11:12], v[23:24]
	s_waitcnt vmcnt(40)
	v_fma_f64 v[33:34], v[1:2], v[111:112], -v[33:34]
	v_add_f64 v[15:16], v[15:16], v[19:20]
	v_fma_f64 v[19:20], v[3:4], v[111:112], v[25:26]
	v_add_f64 v[13:14], v[13:14], v[31:32]
	ds_read_b128 v[1:4], v96 offset:1632
	s_waitcnt vmcnt(39) lgkmcnt(1)
	v_mul_f64 v[31:32], v[7:8], v[45:46]
	v_mul_f64 v[25:26], v[5:6], v[45:46]
	s_waitcnt vmcnt(37)
	v_fma_f64 v[23:24], v[9:10], v[41:42], -v[23:24]
	v_fma_f64 v[27:28], v[11:12], v[41:42], v[27:28]
	ds_read_b128 v[9:12], v96 offset:1648
	v_add_f64 v[15:16], v[15:16], v[33:34]
	v_add_f64 v[13:14], v[13:14], v[19:20]
	s_waitcnt vmcnt(33) lgkmcnt(1)
	v_mul_f64 v[19:20], v[1:2], v[29:30]
	v_mul_f64 v[29:30], v[3:4], v[29:30]
	s_waitcnt vmcnt(32)
	v_fma_f64 v[31:32], v[5:6], v[103:104], -v[31:32]
	v_add_f64 v[15:16], v[15:16], v[23:24]
	v_fma_f64 v[23:24], v[7:8], v[103:104], v[25:26]
	v_add_f64 v[13:14], v[13:14], v[27:28]
	ds_read_b128 v[5:8], v96 offset:1664
	s_waitcnt vmcnt(31) lgkmcnt(1)
	v_mul_f64 v[27:28], v[11:12], v[51:52]
	v_mul_f64 v[25:26], v[9:10], v[51:52]
	s_waitcnt vmcnt(29)
	v_fma_f64 v[29:30], v[1:2], v[39:40], -v[29:30]
	v_fma_f64 v[19:20], v[3:4], v[39:40], v[19:20]
	ds_read_b128 v[1:4], v96 offset:1680
	v_add_f64 v[15:16], v[15:16], v[31:32]
	v_add_f64 v[13:14], v[13:14], v[23:24]
	s_waitcnt vmcnt(25) lgkmcnt(1)
	v_mul_f64 v[31:32], v[7:8], v[35:36]
	s_waitcnt vmcnt(24)
	v_fma_f64 v[27:28], v[9:10], v[97:98], -v[27:28]
	v_mul_f64 v[23:24], v[5:6], v[35:36]
	v_fma_f64 v[25:26], v[11:12], v[97:98], v[25:26]
	ds_read_b128 v[9:12], v96 offset:1696
	v_add_f64 v[15:16], v[15:16], v[29:30]
	v_add_f64 v[13:14], v[13:14], v[19:20]
	s_waitcnt vmcnt(23) lgkmcnt(1)
	v_mul_f64 v[29:30], v[3:4], v[85:86]
	v_mul_f64 v[19:20], v[1:2], v[85:86]
	s_waitcnt vmcnt(21)
	v_fma_f64 v[31:32], v[5:6], v[47:48], -v[31:32]
	v_fma_f64 v[23:24], v[7:8], v[47:48], v[23:24]
	ds_read_b128 v[5:8], v96 offset:1712
	v_add_f64 v[15:16], v[15:16], v[27:28]
	v_add_f64 v[13:14], v[13:14], v[25:26]
	s_waitcnt vmcnt(17) lgkmcnt(1)
	v_mul_f64 v[27:28], v[11:12], v[43:44]
	s_waitcnt vmcnt(16)
	v_fma_f64 v[29:30], v[1:2], v[91:92], -v[29:30]
	v_mul_f64 v[25:26], v[9:10], v[43:44]
	v_fma_f64 v[19:20], v[3:4], v[91:92], v[19:20]
	ds_read_b128 v[1:4], v96 offset:1728
	v_add_f64 v[15:16], v[15:16], v[31:32]
	v_add_f64 v[13:14], v[13:14], v[23:24]
	s_waitcnt vmcnt(15) lgkmcnt(1)
	v_mul_f64 v[31:32], v[7:8], v[87:88]
	v_mul_f64 v[23:24], v[5:6], v[87:88]
	s_waitcnt vmcnt(13)
	v_fma_f64 v[27:28], v[9:10], v[17:18], -v[27:28]
	v_fma_f64 v[17:18], v[11:12], v[17:18], v[25:26]
	ds_read_b128 v[9:12], v96 offset:1744
	v_add_f64 v[15:16], v[15:16], v[29:30]
	v_add_f64 v[13:14], v[13:14], v[19:20]
	s_waitcnt vmcnt(9) lgkmcnt(1)
	v_mul_f64 v[25:26], v[3:4], v[49:50]
	s_waitcnt vmcnt(8)
	v_fma_f64 v[5:6], v[5:6], v[93:94], -v[31:32]
	v_mul_f64 v[19:20], v[1:2], v[49:50]
	v_fma_f64 v[7:8], v[7:8], v[93:94], v[23:24]
	v_add_f64 v[15:16], v[15:16], v[27:28]
	v_add_f64 v[13:14], v[13:14], v[17:18]
	s_waitcnt vmcnt(7) lgkmcnt(0)
	v_mul_f64 v[23:24], v[11:12], v[89:90]
	v_mul_f64 v[17:18], v[9:10], v[89:90]
	s_waitcnt vmcnt(5)
	v_fma_f64 v[1:2], v[1:2], v[55:56], -v[25:26]
	v_fma_f64 v[3:4], v[3:4], v[55:56], v[19:20]
	v_add_f64 v[5:6], v[15:16], v[5:6]
	v_add_f64 v[7:8], v[13:14], v[7:8]
	s_waitcnt vmcnt(4)
	v_fma_f64 v[9:10], v[9:10], v[105:106], -v[23:24]
	v_add_f64 v[1:2], v[5:6], v[1:2]
	v_fma_f64 v[5:6], v[11:12], v[105:106], v[17:18]
	v_add_f64 v[3:4], v[7:8], v[3:4]
	v_add_f64 v[1:2], v[1:2], v[9:10]
	;; [unrolled: 1-line block ×3, first 2 shown]
	s_waitcnt vmcnt(2)
	v_add_f64 v[1:2], v[21:22], -v[1:2]
	s_waitcnt vmcnt(0)
	v_add_f64 v[3:4], v[53:54], -v[3:4]
	buffer_store_dword v2, off, s[0:3], 0 offset:68
	buffer_store_dword v1, off, s[0:3], 0 offset:64
	;; [unrolled: 1-line block ×4, first 2 shown]
	v_cmpx_lt_u32_e32 2, v0
	s_cbranch_execz .LBB54_339
; %bb.338:
	v_mov_b32_e32 v4, s65
	s_clause 0x3
	buffer_load_dword v1, v4, s[0:3], 0 offen
	buffer_load_dword v2, v4, s[0:3], 0 offen offset:4
	buffer_load_dword v3, v4, s[0:3], 0 offen offset:8
	;; [unrolled: 1-line block ×3, first 2 shown]
	buffer_store_dword v96, off, s[0:3], 0 offset:48
	buffer_store_dword v96, off, s[0:3], 0 offset:52
	;; [unrolled: 1-line block ×4, first 2 shown]
	s_waitcnt vmcnt(0)
	ds_write_b128 v95, v[1:4]
.LBB54_339:
	s_or_b32 exec_lo, exec_lo, s4
	s_waitcnt lgkmcnt(0)
	s_waitcnt_vscnt null, 0x0
	s_barrier
	buffer_gl0_inv
	s_clause 0x37
	buffer_load_dword v17, off, s[0:3], 0 offset:72
	buffer_load_dword v18, off, s[0:3], 0 offset:76
	;; [unrolled: 1-line block ×56, first 2 shown]
	ds_read_b128 v[5:8], v96 offset:928
	s_clause 0x2
	buffer_load_dword v92, off, s[0:3], 0 offset:300
	buffer_load_dword v94, off, s[0:3], 0 offset:276
	;; [unrolled: 1-line block ×3, first 2 shown]
	ds_read_b128 v[1:4], v96 offset:944
	s_clause 0x4
	buffer_load_dword v104, off, s[0:3], 0 offset:316
	buffer_load_dword v105, off, s[0:3], 0 offset:328
	;; [unrolled: 1-line block ×5, first 2 shown]
	ds_read_b128 v[97:100], v96 offset:960
	s_mov_b32 s4, exec_lo
	s_waitcnt vmcnt(62) lgkmcnt(2)
	v_mul_f64 v[101:102], v[7:8], v[17:18]
	v_mul_f64 v[17:18], v[5:6], v[17:18]
	s_waitcnt vmcnt(60) lgkmcnt(1)
	v_mul_f64 v[108:109], v[3:4], v[13:14]
	v_mul_f64 v[13:14], v[1:2], v[13:14]
	;; [unrolled: 3-line block ×3, first 2 shown]
	v_fma_f64 v[101:102], v[5:6], v[15:16], -v[101:102]
	v_fma_f64 v[15:16], v[7:8], v[15:16], v[17:18]
	s_clause 0x2
	buffer_load_dword v106, off, s[0:3], 0 offset:332
	buffer_load_dword v18, off, s[0:3], 0 offset:308
	;; [unrolled: 1-line block ×3, first 2 shown]
	s_waitcnt vmcnt(57)
	v_fma_f64 v[112:113], v[1:2], v[9:10], -v[108:109]
	ds_read_b128 v[5:8], v96 offset:976
	v_fma_f64 v[9:10], v[3:4], v[9:10], v[13:14]
	s_waitcnt vmcnt(51)
	v_fma_f64 v[97:98], v[97:98], v[33:34], -v[11:12]
	v_fma_f64 v[33:34], v[99:100], v[33:34], v[110:111]
	v_add_f64 v[101:102], v[101:102], 0
	v_add_f64 v[13:14], v[15:16], 0
	s_clause 0x4
	buffer_load_dword v16, off, s[0:3], 0 offset:348
	buffer_load_dword v109, off, s[0:3], 0 offset:360
	;; [unrolled: 1-line block ×5, first 2 shown]
	s_waitcnt lgkmcnt(0)
	v_mul_f64 v[115:116], v[5:6], v[21:22]
	v_mul_f64 v[21:22], v[7:8], v[21:22]
	ds_read_b128 v[1:4], v96 offset:992
	s_clause 0x2
	buffer_load_dword v110, off, s[0:3], 0 offset:364
	buffer_load_dword v100, off, s[0:3], 0 offset:340
	;; [unrolled: 1-line block ×3, first 2 shown]
	v_add_f64 v[101:102], v[101:102], v[112:113]
	v_add_f64 v[13:14], v[13:14], v[9:10]
	ds_read_b128 v[9:12], v96 offset:1008
	s_waitcnt vmcnt(58) lgkmcnt(1)
	v_mul_f64 v[111:112], v[1:2], v[25:26]
	v_mul_f64 v[25:26], v[3:4], v[25:26]
	s_waitcnt vmcnt(56)
	v_fma_f64 v[21:22], v[5:6], v[27:28], -v[21:22]
	v_fma_f64 v[27:28], v[7:8], v[27:28], v[115:116]
	s_waitcnt vmcnt(52) lgkmcnt(0)
	v_mul_f64 v[117:118], v[9:10], v[29:30]
	v_add_f64 v[97:98], v[101:102], v[97:98]
	v_add_f64 v[13:14], v[13:14], v[33:34]
	s_clause 0x4
	buffer_load_dword v34, off, s[0:3], 0 offset:380
	buffer_load_dword v101, off, s[0:3], 0 offset:392
	;; [unrolled: 1-line block ×5, first 2 shown]
	v_mul_f64 v[29:30], v[11:12], v[29:30]
	s_waitcnt vmcnt(56)
	v_fma_f64 v[25:26], v[1:2], v[19:20], -v[25:26]
	ds_read_b128 v[5:8], v96 offset:1024
	v_fma_f64 v[19:20], v[3:4], v[19:20], v[111:112]
	v_add_f64 v[21:22], v[97:98], v[21:22]
	v_add_f64 v[13:14], v[13:14], v[27:28]
	s_clause 0x2
	buffer_load_dword v102, off, s[0:3], 0 offset:396
	buffer_load_dword v28, off, s[0:3], 0 offset:372
	;; [unrolled: 1-line block ×3, first 2 shown]
	s_waitcnt vmcnt(58) lgkmcnt(0)
	v_mul_f64 v[97:98], v[5:6], v[35:36]
	v_mul_f64 v[35:36], v[7:8], v[35:36]
	s_waitcnt vmcnt(56)
	v_fma_f64 v[29:30], v[9:10], v[37:38], -v[29:30]
	ds_read_b128 v[1:4], v96 offset:1040
	v_add_f64 v[21:22], v[21:22], v[25:26]
	v_fma_f64 v[25:26], v[11:12], v[37:38], v[117:118]
	v_add_f64 v[13:14], v[13:14], v[19:20]
	s_clause 0x4
	buffer_load_dword v20, off, s[0:3], 0 offset:412
	buffer_load_dword v37, off, s[0:3], 0 offset:424
	;; [unrolled: 1-line block ×5, first 2 shown]
	s_waitcnt vmcnt(57) lgkmcnt(0)
	v_mul_f64 v[112:113], v[1:2], v[39:40]
	v_mul_f64 v[39:40], v[3:4], v[39:40]
	s_waitcnt vmcnt(56)
	v_fma_f64 v[35:36], v[5:6], v[23:24], -v[35:36]
	ds_read_b128 v[9:12], v96 offset:1056
	v_fma_f64 v[23:24], v[7:8], v[23:24], v[97:98]
	v_add_f64 v[21:22], v[21:22], v[29:30]
	v_add_f64 v[13:14], v[13:14], v[25:26]
	s_clause 0x2
	buffer_load_dword v38, off, s[0:3], 0 offset:428
	buffer_load_dword v26, off, s[0:3], 0 offset:404
	;; [unrolled: 1-line block ×3, first 2 shown]
	ds_read_b128 v[5:8], v96 offset:1072
	s_waitcnt vmcnt(58) lgkmcnt(1)
	v_mul_f64 v[29:30], v[9:10], v[43:44]
	v_mul_f64 v[43:44], v[11:12], v[43:44]
	s_waitcnt vmcnt(56)
	v_fma_f64 v[39:40], v[1:2], v[45:46], -v[39:40]
	v_add_f64 v[21:22], v[21:22], v[35:36]
	v_fma_f64 v[35:36], v[3:4], v[45:46], v[112:113]
	v_add_f64 v[13:14], v[13:14], v[23:24]
	s_clause 0x4
	buffer_load_dword v24, off, s[0:3], 0 offset:444
	buffer_load_dword v45, off, s[0:3], 0 offset:456
	;; [unrolled: 1-line block ×5, first 2 shown]
	s_waitcnt vmcnt(57) lgkmcnt(0)
	v_mul_f64 v[118:119], v[5:6], v[47:48]
	v_mul_f64 v[47:48], v[7:8], v[47:48]
	s_waitcnt vmcnt(56)
	v_fma_f64 v[43:44], v[9:10], v[31:32], -v[43:44]
	ds_read_b128 v[1:4], v96 offset:1088
	v_fma_f64 v[29:30], v[11:12], v[31:32], v[29:30]
	s_clause 0x2
	buffer_load_dword v46, off, s[0:3], 0 offset:460
	buffer_load_dword v32, off, s[0:3], 0 offset:436
	;; [unrolled: 1-line block ×3, first 2 shown]
	ds_read_b128 v[9:12], v96 offset:1104
	v_add_f64 v[21:22], v[21:22], v[39:40]
	v_add_f64 v[13:14], v[13:14], v[35:36]
	s_waitcnt vmcnt(58) lgkmcnt(1)
	v_mul_f64 v[39:40], v[3:4], v[51:52]
	s_waitcnt vmcnt(56)
	v_fma_f64 v[47:48], v[5:6], v[53:54], -v[47:48]
	v_mul_f64 v[35:36], v[1:2], v[51:52]
	v_add_f64 v[21:22], v[21:22], v[43:44]
	v_fma_f64 v[43:44], v[7:8], v[53:54], v[118:119]
	v_add_f64 v[13:14], v[13:14], v[29:30]
	s_clause 0x4
	buffer_load_dword v30, off, s[0:3], 0 offset:476
	buffer_load_dword v51, off, s[0:3], 0 offset:488
	;; [unrolled: 1-line block ×5, first 2 shown]
	s_waitcnt vmcnt(57) lgkmcnt(0)
	v_mul_f64 v[118:119], v[9:10], v[55:56]
	v_mul_f64 v[54:55], v[11:12], v[55:56]
	s_waitcnt vmcnt(56)
	v_fma_f64 v[39:40], v[1:2], v[41:42], -v[39:40]
	ds_read_b128 v[5:8], v96 offset:1120
	v_fma_f64 v[35:36], v[3:4], v[41:42], v[35:36]
	s_clause 0x2
	buffer_load_dword v52, off, s[0:3], 0 offset:492
	buffer_load_dword v42, off, s[0:3], 0 offset:468
	;; [unrolled: 1-line block ×3, first 2 shown]
	ds_read_b128 v[1:4], v96 offset:1136
	v_add_f64 v[21:22], v[21:22], v[47:48]
	v_add_f64 v[13:14], v[13:14], v[43:44]
	s_waitcnt vmcnt(58) lgkmcnt(1)
	v_mul_f64 v[47:48], v[7:8], v[85:86]
	s_waitcnt vmcnt(56)
	v_fma_f64 v[55:56], v[9:10], v[87:88], -v[54:55]
	v_mul_f64 v[43:44], v[5:6], v[85:86]
	v_add_f64 v[21:22], v[21:22], v[39:40]
	v_fma_f64 v[39:40], v[11:12], v[87:88], v[118:119]
	v_add_f64 v[13:14], v[13:14], v[35:36]
	s_clause 0x4
	buffer_load_dword v36, off, s[0:3], 0 offset:508
	buffer_load_dword v85, off, s[0:3], 0 offset:520
	;; [unrolled: 1-line block ×5, first 2 shown]
	s_waitcnt vmcnt(57) lgkmcnt(0)
	v_mul_f64 v[118:119], v[1:2], v[89:90]
	v_mul_f64 v[88:89], v[3:4], v[89:90]
	s_waitcnt vmcnt(56)
	v_fma_f64 v[47:48], v[5:6], v[49:50], -v[47:48]
	ds_read_b128 v[9:12], v96 offset:1152
	v_fma_f64 v[43:44], v[7:8], v[49:50], v[43:44]
	v_add_f64 v[21:22], v[21:22], v[55:56]
	v_add_f64 v[13:14], v[13:14], v[39:40]
	s_clause 0x2
	buffer_load_dword v86, off, s[0:3], 0 offset:524
	buffer_load_dword v40, off, s[0:3], 0 offset:500
	;; [unrolled: 1-line block ×3, first 2 shown]
	ds_read_b128 v[5:8], v96 offset:1168
	s_waitcnt vmcnt(58) lgkmcnt(1)
	v_mul_f64 v[55:56], v[11:12], v[91:92]
	s_waitcnt vmcnt(56)
	v_fma_f64 v[89:90], v[1:2], v[93:94], -v[88:89]
	v_mul_f64 v[49:50], v[9:10], v[91:92]
	v_add_f64 v[21:22], v[21:22], v[47:48]
	v_fma_f64 v[47:48], v[3:4], v[93:94], v[118:119]
	v_add_f64 v[13:14], v[13:14], v[43:44]
	s_clause 0x4
	buffer_load_dword v44, off, s[0:3], 0 offset:540
	buffer_load_dword v91, off, s[0:3], 0 offset:552
	buffer_load_dword v93, off, s[0:3], 0 offset:544
	buffer_load_dword v43, off, s[0:3], 0 offset:536
	buffer_load_dword v88, off, s[0:3], 0 offset:516
	s_waitcnt vmcnt(57) lgkmcnt(0)
	v_mul_f64 v[118:119], v[5:6], v[103:104]
	v_mul_f64 v[103:104], v[7:8], v[103:104]
	s_waitcnt vmcnt(56)
	v_fma_f64 v[55:56], v[9:10], v[83:84], -v[55:56]
	ds_read_b128 v[1:4], v96 offset:1184
	v_fma_f64 v[49:50], v[11:12], v[83:84], v[49:50]
	v_add_f64 v[21:22], v[21:22], v[89:90]
	v_add_f64 v[13:14], v[13:14], v[47:48]
	s_clause 0x2
	buffer_load_dword v92, off, s[0:3], 0 offset:556
	buffer_load_dword v48, off, s[0:3], 0 offset:532
	;; [unrolled: 1-line block ×3, first 2 shown]
	ds_read_b128 v[9:12], v96 offset:1200
	s_waitcnt vmcnt(58) lgkmcnt(1)
	v_mul_f64 v[89:90], v[3:4], v[105:106]
	v_mul_f64 v[83:84], v[1:2], v[105:106]
	s_waitcnt vmcnt(56)
	v_fma_f64 v[103:104], v[5:6], v[17:18], -v[103:104]
	v_fma_f64 v[17:18], v[7:8], v[17:18], v[118:119]
	v_add_f64 v[21:22], v[21:22], v[55:56]
	v_add_f64 v[13:14], v[13:14], v[49:50]
	s_clause 0x4
	buffer_load_dword v50, off, s[0:3], 0 offset:572
	buffer_load_dword v55, off, s[0:3], 0 offset:584
	;; [unrolled: 1-line block ×5, first 2 shown]
	ds_read_b128 v[5:8], v96 offset:1216
	s_waitcnt vmcnt(57) lgkmcnt(1)
	v_mul_f64 v[118:119], v[9:10], v[15:16]
	v_mul_f64 v[15:16], v[11:12], v[15:16]
	s_waitcnt vmcnt(56)
	v_fma_f64 v[89:90], v[1:2], v[107:108], -v[89:90]
	v_fma_f64 v[83:84], v[3:4], v[107:108], v[83:84]
	v_add_f64 v[21:22], v[21:22], v[103:104]
	v_add_f64 v[13:14], v[13:14], v[17:18]
	s_clause 0x2
	buffer_load_dword v56, off, s[0:3], 0 offset:588
	buffer_load_dword v18, off, s[0:3], 0 offset:564
	buffer_load_dword v17, off, s[0:3], 0 offset:560
	s_waitcnt vmcnt(58) lgkmcnt(0)
	v_mul_f64 v[107:108], v[7:8], v[109:110]
	ds_read_b128 v[1:4], v96 offset:1232
	v_mul_f64 v[103:104], v[5:6], v[109:110]
	s_waitcnt vmcnt(56)
	v_fma_f64 v[15:16], v[9:10], v[99:100], -v[15:16]
	v_add_f64 v[21:22], v[21:22], v[89:90]
	v_fma_f64 v[89:90], v[11:12], v[99:100], v[118:119]
	v_add_f64 v[13:14], v[13:14], v[83:84]
	s_clause 0x4
	buffer_load_dword v84, off, s[0:3], 0 offset:604
	buffer_load_dword v99, off, s[0:3], 0 offset:616
	;; [unrolled: 1-line block ×5, first 2 shown]
	ds_read_b128 v[9:12], v96 offset:1248
	s_waitcnt vmcnt(57) lgkmcnt(1)
	v_mul_f64 v[118:119], v[1:2], v[33:34]
	v_mul_f64 v[33:34], v[3:4], v[33:34]
	s_waitcnt vmcnt(56)
	v_fma_f64 v[107:108], v[5:6], v[114:115], -v[107:108]
	v_add_f64 v[15:16], v[21:22], v[15:16]
	v_fma_f64 v[21:22], v[7:8], v[114:115], v[103:104]
	v_add_f64 v[13:14], v[13:14], v[89:90]
	s_clause 0x2
	buffer_load_dword v100, off, s[0:3], 0 offset:620
	buffer_load_dword v90, off, s[0:3], 0 offset:596
	;; [unrolled: 1-line block ×3, first 2 shown]
	ds_read_b128 v[5:8], v96 offset:1264
	s_waitcnt vmcnt(58) lgkmcnt(1)
	v_mul_f64 v[103:104], v[9:10], v[101:102]
	v_mul_f64 v[101:102], v[11:12], v[101:102]
	s_waitcnt vmcnt(56)
	v_fma_f64 v[33:34], v[1:2], v[27:28], -v[33:34]
	v_fma_f64 v[27:28], v[3:4], v[27:28], v[118:119]
	v_add_f64 v[15:16], v[15:16], v[107:108]
	v_add_f64 v[13:14], v[13:14], v[21:22]
	s_clause 0x4
	buffer_load_dword v22, off, s[0:3], 0 offset:636
	buffer_load_dword v107, off, s[0:3], 0 offset:648
	;; [unrolled: 1-line block ×5, first 2 shown]
	ds_read_b128 v[1:4], v96 offset:1280
	s_waitcnt vmcnt(57) lgkmcnt(1)
	v_mul_f64 v[114:115], v[5:6], v[19:20]
	v_mul_f64 v[19:20], v[7:8], v[19:20]
	s_waitcnt vmcnt(56)
	v_fma_f64 v[101:102], v[9:10], v[116:117], -v[101:102]
	v_add_f64 v[15:16], v[15:16], v[33:34]
	v_fma_f64 v[33:34], v[11:12], v[116:117], v[103:104]
	v_add_f64 v[13:14], v[13:14], v[27:28]
	s_clause 0x2
	buffer_load_dword v108, off, s[0:3], 0 offset:652
	buffer_load_dword v28, off, s[0:3], 0 offset:628
	;; [unrolled: 1-line block ×3, first 2 shown]
	ds_read_b128 v[9:12], v96 offset:1296
	s_waitcnt vmcnt(58) lgkmcnt(1)
	v_mul_f64 v[103:104], v[1:2], v[37:38]
	v_mul_f64 v[37:38], v[3:4], v[37:38]
	s_waitcnt vmcnt(56)
	v_fma_f64 v[19:20], v[5:6], v[25:26], -v[19:20]
	v_fma_f64 v[25:26], v[7:8], v[25:26], v[114:115]
	v_add_f64 v[15:16], v[15:16], v[101:102]
	v_add_f64 v[13:14], v[13:14], v[33:34]
	s_clause 0x4
	buffer_load_dword v34, off, s[0:3], 0 offset:668
	buffer_load_dword v101, off, s[0:3], 0 offset:680
	;; [unrolled: 1-line block ×5, first 2 shown]
	ds_read_b128 v[5:8], v96 offset:1312
	s_waitcnt vmcnt(57) lgkmcnt(1)
	v_mul_f64 v[116:117], v[9:10], v[23:24]
	v_mul_f64 v[23:24], v[11:12], v[23:24]
	s_waitcnt vmcnt(56)
	v_fma_f64 v[37:38], v[1:2], v[111:112], -v[37:38]
	v_add_f64 v[15:16], v[15:16], v[19:20]
	v_fma_f64 v[19:20], v[3:4], v[111:112], v[103:104]
	v_add_f64 v[13:14], v[13:14], v[25:26]
	s_clause 0x2
	buffer_load_dword v102, off, s[0:3], 0 offset:684
	buffer_load_dword v26, off, s[0:3], 0 offset:660
	;; [unrolled: 1-line block ×3, first 2 shown]
	s_waitcnt vmcnt(58) lgkmcnt(0)
	v_mul_f64 v[103:104], v[5:6], v[45:46]
	v_mul_f64 v[45:46], v[7:8], v[45:46]
	ds_read_b128 v[1:4], v96 offset:1328
	s_waitcnt vmcnt(56)
	v_fma_f64 v[23:24], v[9:10], v[31:32], -v[23:24]
	v_fma_f64 v[31:32], v[11:12], v[31:32], v[116:117]
	v_add_f64 v[15:16], v[15:16], v[37:38]
	v_add_f64 v[13:14], v[13:14], v[19:20]
	s_clause 0x4
	buffer_load_dword v20, off, s[0:3], 0 offset:700
	buffer_load_dword v37, off, s[0:3], 0 offset:712
	;; [unrolled: 1-line block ×5, first 2 shown]
	ds_read_b128 v[9:12], v96 offset:1344
	s_waitcnt vmcnt(57) lgkmcnt(1)
	v_mul_f64 v[117:118], v[1:2], v[29:30]
	v_mul_f64 v[29:30], v[3:4], v[29:30]
	s_waitcnt vmcnt(56)
	v_fma_f64 v[45:46], v[5:6], v[97:98], -v[45:46]
	v_add_f64 v[15:16], v[15:16], v[23:24]
	v_fma_f64 v[23:24], v[7:8], v[97:98], v[103:104]
	v_add_f64 v[13:14], v[13:14], v[31:32]
	s_clause 0x2
	buffer_load_dword v38, off, s[0:3], 0 offset:716
	buffer_load_dword v32, off, s[0:3], 0 offset:692
	;; [unrolled: 1-line block ×3, first 2 shown]
	s_waitcnt vmcnt(58) lgkmcnt(0)
	v_mul_f64 v[97:98], v[9:10], v[51:52]
	v_mul_f64 v[51:52], v[11:12], v[51:52]
	ds_read_b128 v[5:8], v96 offset:1360
	s_waitcnt vmcnt(56)
	v_fma_f64 v[29:30], v[1:2], v[41:42], -v[29:30]
	v_fma_f64 v[41:42], v[3:4], v[41:42], v[117:118]
	v_add_f64 v[15:16], v[15:16], v[45:46]
	v_add_f64 v[13:14], v[13:14], v[23:24]
	s_clause 0x4
	buffer_load_dword v24, off, s[0:3], 0 offset:732
	buffer_load_dword v45, off, s[0:3], 0 offset:744
	buffer_load_dword v103, off, s[0:3], 0 offset:736
	buffer_load_dword v23, off, s[0:3], 0 offset:728
	buffer_load_dword v112, off, s[0:3], 0 offset:708
	ds_read_b128 v[1:4], v96 offset:1376
	s_waitcnt vmcnt(57) lgkmcnt(1)
	v_mul_f64 v[117:118], v[5:6], v[35:36]
	v_mul_f64 v[35:36], v[7:8], v[35:36]
	s_waitcnt vmcnt(56)
	v_fma_f64 v[51:52], v[9:10], v[53:54], -v[51:52]
	v_add_f64 v[15:16], v[15:16], v[29:30]
	v_fma_f64 v[29:30], v[11:12], v[53:54], v[97:98]
	v_add_f64 v[13:14], v[13:14], v[41:42]
	s_clause 0x2
	buffer_load_dword v46, off, s[0:3], 0 offset:748
	buffer_load_dword v42, off, s[0:3], 0 offset:724
	buffer_load_dword v41, off, s[0:3], 0 offset:720
	ds_read_b128 v[9:12], v96 offset:1392
	s_waitcnt vmcnt(58) lgkmcnt(1)
	v_mul_f64 v[53:54], v[1:2], v[85:86]
	v_mul_f64 v[85:86], v[3:4], v[85:86]
	s_waitcnt vmcnt(56)
	v_fma_f64 v[35:36], v[5:6], v[39:40], -v[35:36]
	v_fma_f64 v[39:40], v[7:8], v[39:40], v[117:118]
	v_add_f64 v[15:16], v[15:16], v[51:52]
	v_add_f64 v[13:14], v[13:14], v[29:30]
	s_clause 0x4
	buffer_load_dword v30, off, s[0:3], 0 offset:764
	buffer_load_dword v51, off, s[0:3], 0 offset:776
	buffer_load_dword v97, off, s[0:3], 0 offset:768
	buffer_load_dword v29, off, s[0:3], 0 offset:760
	buffer_load_dword v104, off, s[0:3], 0 offset:740
	ds_read_b128 v[5:8], v96 offset:1408
	s_waitcnt vmcnt(57) lgkmcnt(1)
	v_mul_f64 v[117:118], v[9:10], v[43:44]
	v_mul_f64 v[43:44], v[11:12], v[43:44]
	s_waitcnt vmcnt(56)
	v_fma_f64 v[85:86], v[1:2], v[87:88], -v[85:86]
	v_add_f64 v[15:16], v[15:16], v[35:36]
	v_fma_f64 v[35:36], v[3:4], v[87:88], v[53:54]
	v_add_f64 v[13:14], v[13:14], v[39:40]
	s_clause 0x2
	buffer_load_dword v52, off, s[0:3], 0 offset:780
	buffer_load_dword v40, off, s[0:3], 0 offset:756
	buffer_load_dword v39, off, s[0:3], 0 offset:752
	ds_read_b128 v[1:4], v96 offset:1424
	s_waitcnt vmcnt(58) lgkmcnt(1)
	v_mul_f64 v[87:88], v[7:8], v[91:92]
	v_mul_f64 v[53:54], v[5:6], v[91:92]
	s_waitcnt vmcnt(56)
	v_fma_f64 v[43:44], v[9:10], v[47:48], -v[43:44]
	v_fma_f64 v[47:48], v[11:12], v[47:48], v[117:118]
	v_add_f64 v[15:16], v[15:16], v[85:86]
	v_add_f64 v[13:14], v[13:14], v[35:36]
	s_clause 0x4
	buffer_load_dword v36, off, s[0:3], 0 offset:796
	buffer_load_dword v85, off, s[0:3], 0 offset:808
	buffer_load_dword v91, off, s[0:3], 0 offset:800
	buffer_load_dword v35, off, s[0:3], 0 offset:792
	buffer_load_dword v98, off, s[0:3], 0 offset:772
	ds_read_b128 v[9:12], v96 offset:1440
	s_waitcnt vmcnt(57) lgkmcnt(1)
	v_mul_f64 v[117:118], v[1:2], v[49:50]
	v_mul_f64 v[49:50], v[3:4], v[49:50]
	s_waitcnt vmcnt(56)
	v_fma_f64 v[87:88], v[5:6], v[93:94], -v[87:88]
	v_add_f64 v[15:16], v[15:16], v[43:44]
	v_fma_f64 v[43:44], v[7:8], v[93:94], v[53:54]
	v_add_f64 v[13:14], v[13:14], v[47:48]
	s_clause 0x2
	buffer_load_dword v86, off, s[0:3], 0 offset:812
	buffer_load_dword v48, off, s[0:3], 0 offset:788
	buffer_load_dword v47, off, s[0:3], 0 offset:784
	ds_read_b128 v[5:8], v96 offset:1456
	s_waitcnt vmcnt(58) lgkmcnt(1)
	v_mul_f64 v[53:54], v[9:10], v[55:56]
	v_mul_f64 v[55:56], v[11:12], v[55:56]
	s_waitcnt vmcnt(56)
	v_fma_f64 v[49:50], v[1:2], v[17:18], -v[49:50]
	v_fma_f64 v[17:18], v[3:4], v[17:18], v[117:118]
	v_add_f64 v[15:16], v[15:16], v[87:88]
	v_add_f64 v[13:14], v[13:14], v[43:44]
	s_clause 0x4
	buffer_load_dword v44, off, s[0:3], 0 offset:828
	buffer_load_dword v87, off, s[0:3], 0 offset:840
	buffer_load_dword v93, off, s[0:3], 0 offset:832
	buffer_load_dword v43, off, s[0:3], 0 offset:824
	buffer_load_dword v92, off, s[0:3], 0 offset:804
	ds_read_b128 v[1:4], v96 offset:1472
	s_waitcnt vmcnt(57) lgkmcnt(1)
	v_mul_f64 v[117:118], v[5:6], v[83:84]
	v_mul_f64 v[83:84], v[7:8], v[83:84]
	s_waitcnt vmcnt(56)
	v_fma_f64 v[55:56], v[9:10], v[105:106], -v[55:56]
	v_add_f64 v[15:16], v[15:16], v[49:50]
	v_fma_f64 v[49:50], v[11:12], v[105:106], v[53:54]
	v_add_f64 v[13:14], v[13:14], v[17:18]
	s_clause 0x2
	buffer_load_dword v88, off, s[0:3], 0 offset:844
	buffer_load_dword v18, off, s[0:3], 0 offset:820
	buffer_load_dword v17, off, s[0:3], 0 offset:816
	ds_read_b128 v[9:12], v96 offset:1488
	s_waitcnt vmcnt(58) lgkmcnt(1)
	v_mul_f64 v[53:54], v[1:2], v[99:100]
	v_mul_f64 v[99:100], v[3:4], v[99:100]
	s_waitcnt vmcnt(56)
	v_fma_f64 v[83:84], v[5:6], v[89:90], -v[83:84]
	v_add_f64 v[15:16], v[15:16], v[55:56]
	v_fma_f64 v[55:56], v[7:8], v[89:90], v[117:118]
	v_add_f64 v[13:14], v[13:14], v[49:50]
	s_clause 0x4
	buffer_load_dword v50, off, s[0:3], 0 offset:860
	buffer_load_dword v89, off, s[0:3], 0 offset:872
	;; [unrolled: 1-line block ×5, first 2 shown]
	ds_read_b128 v[5:8], v96 offset:1504
	s_waitcnt vmcnt(57) lgkmcnt(1)
	v_mul_f64 v[117:118], v[9:10], v[21:22]
	v_mul_f64 v[21:22], v[11:12], v[21:22]
	s_waitcnt vmcnt(56)
	v_fma_f64 v[99:100], v[1:2], v[109:110], -v[99:100]
	v_fma_f64 v[53:54], v[3:4], v[109:110], v[53:54]
	v_add_f64 v[15:16], v[15:16], v[83:84]
	v_add_f64 v[13:14], v[13:14], v[55:56]
	s_clause 0x2
	buffer_load_dword v90, off, s[0:3], 0 offset:876
	buffer_load_dword v56, off, s[0:3], 0 offset:852
	;; [unrolled: 1-line block ×3, first 2 shown]
	ds_read_b128 v[1:4], v96 offset:1520
	s_waitcnt vmcnt(58) lgkmcnt(1)
	v_mul_f64 v[83:84], v[5:6], v[107:108]
	v_mul_f64 v[107:108], v[7:8], v[107:108]
	s_waitcnt vmcnt(56)
	v_fma_f64 v[21:22], v[9:10], v[27:28], -v[21:22]
	v_fma_f64 v[27:28], v[11:12], v[27:28], v[117:118]
	v_add_f64 v[15:16], v[15:16], v[99:100]
	v_add_f64 v[13:14], v[13:14], v[53:54]
	s_clause 0x2
	buffer_load_dword v54, off, s[0:3], 0 offset:892
	buffer_load_dword v53, off, s[0:3], 0 offset:888
	;; [unrolled: 1-line block ×3, first 2 shown]
	ds_read_b128 v[9:12], v96 offset:1536
	s_waitcnt vmcnt(55) lgkmcnt(1)
	v_mul_f64 v[99:100], v[1:2], v[33:34]
	v_mul_f64 v[33:34], v[3:4], v[33:34]
	s_waitcnt vmcnt(54)
	v_fma_f64 v[107:108], v[5:6], v[113:114], -v[107:108]
	v_add_f64 v[15:16], v[15:16], v[21:22]
	v_fma_f64 v[21:22], v[7:8], v[113:114], v[83:84]
	v_add_f64 v[13:14], v[13:14], v[27:28]
	s_clause 0x1
	buffer_load_dword v28, off, s[0:3], 0 offset:884
	buffer_load_dword v27, off, s[0:3], 0 offset:880
	ds_read_b128 v[5:8], v96 offset:1552
	s_waitcnt vmcnt(55) lgkmcnt(1)
	v_mul_f64 v[83:84], v[9:10], v[101:102]
	v_mul_f64 v[101:102], v[11:12], v[101:102]
	s_waitcnt vmcnt(53)
	v_fma_f64 v[33:34], v[1:2], v[25:26], -v[33:34]
	v_fma_f64 v[25:26], v[3:4], v[25:26], v[99:100]
	ds_read_b128 v[1:4], v96 offset:1568
	v_add_f64 v[15:16], v[15:16], v[107:108]
	v_add_f64 v[13:14], v[13:14], v[21:22]
	s_waitcnt vmcnt(49) lgkmcnt(1)
	v_mul_f64 v[21:22], v[5:6], v[19:20]
	v_mul_f64 v[19:20], v[7:8], v[19:20]
	s_waitcnt vmcnt(48)
	v_fma_f64 v[99:100], v[9:10], v[115:116], -v[101:102]
	v_add_f64 v[15:16], v[15:16], v[33:34]
	v_fma_f64 v[33:34], v[11:12], v[115:116], v[83:84]
	v_add_f64 v[13:14], v[13:14], v[25:26]
	s_clause 0x3
	buffer_load_dword v25, off, s[0:3], 0 offset:48
	buffer_load_dword v26, off, s[0:3], 0 offset:52
	;; [unrolled: 1-line block ×4, first 2 shown]
	ds_read_b128 v[9:12], v96 offset:1584
	s_waitcnt vmcnt(51) lgkmcnt(1)
	v_mul_f64 v[101:102], v[1:2], v[37:38]
	v_mul_f64 v[37:38], v[3:4], v[37:38]
	s_waitcnt vmcnt(49)
	v_fma_f64 v[19:20], v[5:6], v[31:32], -v[19:20]
	v_fma_f64 v[21:22], v[7:8], v[31:32], v[21:22]
	ds_read_b128 v[5:8], v96 offset:1600
	v_add_f64 v[15:16], v[15:16], v[99:100]
	v_add_f64 v[13:14], v[13:14], v[33:34]
	s_waitcnt vmcnt(45) lgkmcnt(1)
	v_mul_f64 v[31:32], v[9:10], v[23:24]
	v_mul_f64 v[23:24], v[11:12], v[23:24]
	s_waitcnt vmcnt(44)
	v_fma_f64 v[33:34], v[1:2], v[111:112], -v[37:38]
	v_add_f64 v[15:16], v[15:16], v[19:20]
	v_fma_f64 v[19:20], v[3:4], v[111:112], v[101:102]
	v_add_f64 v[13:14], v[13:14], v[21:22]
	ds_read_b128 v[1:4], v96 offset:1616
	s_waitcnt vmcnt(43) lgkmcnt(1)
	v_mul_f64 v[37:38], v[7:8], v[45:46]
	v_mul_f64 v[21:22], v[5:6], v[45:46]
	s_waitcnt vmcnt(41)
	v_fma_f64 v[23:24], v[9:10], v[41:42], -v[23:24]
	v_fma_f64 v[31:32], v[11:12], v[41:42], v[31:32]
	ds_read_b128 v[9:12], v96 offset:1632
	v_add_f64 v[15:16], v[15:16], v[33:34]
	v_add_f64 v[13:14], v[13:14], v[19:20]
	s_waitcnt vmcnt(37) lgkmcnt(1)
	v_mul_f64 v[19:20], v[1:2], v[29:30]
	v_mul_f64 v[29:30], v[3:4], v[29:30]
	s_waitcnt vmcnt(36)
	v_fma_f64 v[33:34], v[5:6], v[103:104], -v[37:38]
	v_fma_f64 v[21:22], v[7:8], v[103:104], v[21:22]
	ds_read_b128 v[5:8], v96 offset:1648
	v_add_f64 v[15:16], v[15:16], v[23:24]
	v_add_f64 v[13:14], v[13:14], v[31:32]
	;; [unrolled: 9-line block ×3, first 2 shown]
	s_waitcnt vmcnt(29) lgkmcnt(1)
	v_mul_f64 v[33:34], v[7:8], v[35:36]
	s_waitcnt vmcnt(28)
	v_fma_f64 v[31:32], v[9:10], v[97:98], -v[31:32]
	v_mul_f64 v[21:22], v[5:6], v[35:36]
	v_fma_f64 v[23:24], v[11:12], v[97:98], v[23:24]
	ds_read_b128 v[9:12], v96 offset:1680
	v_add_f64 v[15:16], v[15:16], v[29:30]
	v_add_f64 v[13:14], v[13:14], v[19:20]
	s_waitcnt vmcnt(27) lgkmcnt(1)
	v_mul_f64 v[29:30], v[3:4], v[85:86]
	v_mul_f64 v[19:20], v[1:2], v[85:86]
	s_waitcnt vmcnt(25)
	v_fma_f64 v[33:34], v[5:6], v[47:48], -v[33:34]
	v_fma_f64 v[21:22], v[7:8], v[47:48], v[21:22]
	ds_read_b128 v[5:8], v96 offset:1696
	v_add_f64 v[15:16], v[15:16], v[31:32]
	v_add_f64 v[13:14], v[13:14], v[23:24]
	s_waitcnt vmcnt(21) lgkmcnt(1)
	v_mul_f64 v[31:32], v[11:12], v[43:44]
	s_waitcnt vmcnt(20)
	v_fma_f64 v[29:30], v[1:2], v[91:92], -v[29:30]
	v_mul_f64 v[23:24], v[9:10], v[43:44]
	v_fma_f64 v[19:20], v[3:4], v[91:92], v[19:20]
	ds_read_b128 v[1:4], v96 offset:1712
	v_add_f64 v[15:16], v[15:16], v[33:34]
	v_add_f64 v[13:14], v[13:14], v[21:22]
	s_waitcnt vmcnt(19) lgkmcnt(1)
	v_mul_f64 v[33:34], v[7:8], v[87:88]
	v_mul_f64 v[21:22], v[5:6], v[87:88]
	s_waitcnt vmcnt(17)
	v_fma_f64 v[31:32], v[9:10], v[17:18], -v[31:32]
	v_fma_f64 v[17:18], v[11:12], v[17:18], v[23:24]
	ds_read_b128 v[9:12], v96 offset:1728
	v_add_f64 v[15:16], v[15:16], v[29:30]
	v_add_f64 v[13:14], v[13:14], v[19:20]
	s_waitcnt vmcnt(13) lgkmcnt(1)
	v_mul_f64 v[23:24], v[3:4], v[49:50]
	s_waitcnt vmcnt(12)
	v_fma_f64 v[29:30], v[5:6], v[93:94], -v[33:34]
	v_mul_f64 v[19:20], v[1:2], v[49:50]
	v_fma_f64 v[21:22], v[7:8], v[93:94], v[21:22]
	ds_read_b128 v[5:8], v96 offset:1744
	v_add_f64 v[15:16], v[15:16], v[31:32]
	v_add_f64 v[13:14], v[13:14], v[17:18]
	s_waitcnt vmcnt(11) lgkmcnt(1)
	v_mul_f64 v[31:32], v[11:12], v[89:90]
	v_mul_f64 v[17:18], v[9:10], v[89:90]
	s_waitcnt vmcnt(9)
	v_fma_f64 v[1:2], v[1:2], v[55:56], -v[23:24]
	v_fma_f64 v[3:4], v[3:4], v[55:56], v[19:20]
	v_add_f64 v[15:16], v[15:16], v[29:30]
	v_add_f64 v[13:14], v[13:14], v[21:22]
	s_waitcnt vmcnt(7) lgkmcnt(0)
	v_mul_f64 v[21:22], v[7:8], v[53:54]
	s_waitcnt vmcnt(6)
	v_fma_f64 v[9:10], v[9:10], v[105:106], -v[31:32]
	v_mul_f64 v[19:20], v[5:6], v[53:54]
	v_fma_f64 v[11:12], v[11:12], v[105:106], v[17:18]
	v_add_f64 v[1:2], v[15:16], v[1:2]
	v_add_f64 v[3:4], v[13:14], v[3:4]
	s_waitcnt vmcnt(4)
	v_fma_f64 v[5:6], v[5:6], v[27:28], -v[21:22]
	v_fma_f64 v[7:8], v[7:8], v[27:28], v[19:20]
	v_add_f64 v[1:2], v[1:2], v[9:10]
	v_add_f64 v[3:4], v[3:4], v[11:12]
	;; [unrolled: 1-line block ×4, first 2 shown]
	s_waitcnt vmcnt(2)
	v_add_f64 v[1:2], v[25:26], -v[1:2]
	s_waitcnt vmcnt(0)
	v_add_f64 v[3:4], v[83:84], -v[3:4]
	buffer_store_dword v2, off, s[0:3], 0 offset:52
	buffer_store_dword v1, off, s[0:3], 0 offset:48
	;; [unrolled: 1-line block ×4, first 2 shown]
	v_cmpx_lt_u32_e32 1, v0
	s_cbranch_execz .LBB54_341
; %bb.340:
	v_mov_b32_e32 v4, s66
	v_mov_b32_e32 v5, 0
	s_clause 0x3
	buffer_load_dword v1, v4, s[0:3], 0 offen
	buffer_load_dword v2, v4, s[0:3], 0 offen offset:4
	buffer_load_dword v3, v4, s[0:3], 0 offen offset:8
	;; [unrolled: 1-line block ×3, first 2 shown]
	buffer_store_dword v5, off, s[0:3], 0 offset:32
	buffer_store_dword v5, off, s[0:3], 0 offset:36
	;; [unrolled: 1-line block ×4, first 2 shown]
	s_waitcnt vmcnt(0)
	ds_write_b128 v95, v[1:4]
.LBB54_341:
	s_or_b32 exec_lo, exec_lo, s4
	s_waitcnt lgkmcnt(0)
	s_waitcnt_vscnt null, 0x0
	s_barrier
	buffer_gl0_inv
	s_clause 0x37
	buffer_load_dword v17, off, s[0:3], 0 offset:56
	buffer_load_dword v18, off, s[0:3], 0 offset:60
	;; [unrolled: 1-line block ×56, first 2 shown]
	v_mov_b32_e32 v96, 0
	s_mov_b32 s4, exec_lo
	ds_read_b128 v[5:8], v96 offset:912
	s_clause 0x2
	buffer_load_dword v92, off, s[0:3], 0 offset:284
	buffer_load_dword v94, off, s[0:3], 0 offset:260
	;; [unrolled: 1-line block ×3, first 2 shown]
	ds_read_b128 v[1:4], v96 offset:928
	s_clause 0x4
	buffer_load_dword v104, off, s[0:3], 0 offset:300
	buffer_load_dword v105, off, s[0:3], 0 offset:312
	;; [unrolled: 1-line block ×5, first 2 shown]
	ds_read_b128 v[97:100], v96 offset:944
	s_waitcnt vmcnt(62) lgkmcnt(2)
	v_mul_f64 v[101:102], v[7:8], v[17:18]
	v_mul_f64 v[17:18], v[5:6], v[17:18]
	s_waitcnt vmcnt(60) lgkmcnt(1)
	v_mul_f64 v[108:109], v[3:4], v[13:14]
	v_mul_f64 v[13:14], v[1:2], v[13:14]
	;; [unrolled: 3-line block ×3, first 2 shown]
	v_fma_f64 v[101:102], v[5:6], v[15:16], -v[101:102]
	v_fma_f64 v[15:16], v[7:8], v[15:16], v[17:18]
	s_clause 0x2
	buffer_load_dword v106, off, s[0:3], 0 offset:316
	buffer_load_dword v18, off, s[0:3], 0 offset:292
	;; [unrolled: 1-line block ×3, first 2 shown]
	s_waitcnt vmcnt(57)
	v_fma_f64 v[112:113], v[1:2], v[9:10], -v[108:109]
	ds_read_b128 v[5:8], v96 offset:960
	v_fma_f64 v[9:10], v[3:4], v[9:10], v[13:14]
	s_waitcnt vmcnt(51)
	v_fma_f64 v[97:98], v[97:98], v[33:34], -v[11:12]
	v_fma_f64 v[33:34], v[99:100], v[33:34], v[110:111]
	v_add_f64 v[101:102], v[101:102], 0
	v_add_f64 v[13:14], v[15:16], 0
	s_clause 0x4
	buffer_load_dword v16, off, s[0:3], 0 offset:332
	buffer_load_dword v109, off, s[0:3], 0 offset:344
	;; [unrolled: 1-line block ×5, first 2 shown]
	s_waitcnt lgkmcnt(0)
	v_mul_f64 v[115:116], v[5:6], v[21:22]
	v_mul_f64 v[21:22], v[7:8], v[21:22]
	ds_read_b128 v[1:4], v96 offset:976
	s_clause 0x2
	buffer_load_dword v110, off, s[0:3], 0 offset:348
	buffer_load_dword v100, off, s[0:3], 0 offset:324
	;; [unrolled: 1-line block ×3, first 2 shown]
	v_add_f64 v[101:102], v[101:102], v[112:113]
	v_add_f64 v[13:14], v[13:14], v[9:10]
	ds_read_b128 v[9:12], v96 offset:992
	s_waitcnt vmcnt(58) lgkmcnt(1)
	v_mul_f64 v[111:112], v[1:2], v[25:26]
	v_mul_f64 v[25:26], v[3:4], v[25:26]
	s_waitcnt vmcnt(56)
	v_fma_f64 v[21:22], v[5:6], v[27:28], -v[21:22]
	v_fma_f64 v[27:28], v[7:8], v[27:28], v[115:116]
	s_waitcnt vmcnt(52) lgkmcnt(0)
	v_mul_f64 v[117:118], v[9:10], v[29:30]
	v_add_f64 v[97:98], v[101:102], v[97:98]
	v_add_f64 v[13:14], v[13:14], v[33:34]
	s_clause 0x4
	buffer_load_dword v34, off, s[0:3], 0 offset:364
	buffer_load_dword v101, off, s[0:3], 0 offset:376
	;; [unrolled: 1-line block ×5, first 2 shown]
	v_mul_f64 v[29:30], v[11:12], v[29:30]
	s_waitcnt vmcnt(56)
	v_fma_f64 v[25:26], v[1:2], v[19:20], -v[25:26]
	ds_read_b128 v[5:8], v96 offset:1008
	v_fma_f64 v[19:20], v[3:4], v[19:20], v[111:112]
	v_add_f64 v[21:22], v[97:98], v[21:22]
	v_add_f64 v[13:14], v[13:14], v[27:28]
	s_clause 0x2
	buffer_load_dword v102, off, s[0:3], 0 offset:380
	buffer_load_dword v28, off, s[0:3], 0 offset:356
	;; [unrolled: 1-line block ×3, first 2 shown]
	s_waitcnt vmcnt(58) lgkmcnt(0)
	v_mul_f64 v[97:98], v[5:6], v[35:36]
	v_mul_f64 v[35:36], v[7:8], v[35:36]
	s_waitcnt vmcnt(56)
	v_fma_f64 v[29:30], v[9:10], v[37:38], -v[29:30]
	ds_read_b128 v[1:4], v96 offset:1024
	v_add_f64 v[21:22], v[21:22], v[25:26]
	v_fma_f64 v[25:26], v[11:12], v[37:38], v[117:118]
	v_add_f64 v[13:14], v[13:14], v[19:20]
	s_clause 0x4
	buffer_load_dword v20, off, s[0:3], 0 offset:396
	buffer_load_dword v37, off, s[0:3], 0 offset:408
	;; [unrolled: 1-line block ×5, first 2 shown]
	s_waitcnt vmcnt(57) lgkmcnt(0)
	v_mul_f64 v[112:113], v[1:2], v[39:40]
	v_mul_f64 v[39:40], v[3:4], v[39:40]
	s_waitcnt vmcnt(56)
	v_fma_f64 v[35:36], v[5:6], v[23:24], -v[35:36]
	ds_read_b128 v[9:12], v96 offset:1040
	v_fma_f64 v[23:24], v[7:8], v[23:24], v[97:98]
	v_add_f64 v[21:22], v[21:22], v[29:30]
	v_add_f64 v[13:14], v[13:14], v[25:26]
	s_clause 0x2
	buffer_load_dword v38, off, s[0:3], 0 offset:412
	buffer_load_dword v26, off, s[0:3], 0 offset:388
	;; [unrolled: 1-line block ×3, first 2 shown]
	ds_read_b128 v[5:8], v96 offset:1056
	s_waitcnt vmcnt(58) lgkmcnt(1)
	v_mul_f64 v[29:30], v[9:10], v[43:44]
	v_mul_f64 v[43:44], v[11:12], v[43:44]
	s_waitcnt vmcnt(56)
	v_fma_f64 v[39:40], v[1:2], v[45:46], -v[39:40]
	v_add_f64 v[21:22], v[21:22], v[35:36]
	v_fma_f64 v[35:36], v[3:4], v[45:46], v[112:113]
	v_add_f64 v[13:14], v[13:14], v[23:24]
	s_clause 0x4
	buffer_load_dword v24, off, s[0:3], 0 offset:428
	buffer_load_dword v45, off, s[0:3], 0 offset:440
	;; [unrolled: 1-line block ×5, first 2 shown]
	s_waitcnt vmcnt(57) lgkmcnt(0)
	v_mul_f64 v[118:119], v[5:6], v[47:48]
	v_mul_f64 v[47:48], v[7:8], v[47:48]
	s_waitcnt vmcnt(56)
	v_fma_f64 v[43:44], v[9:10], v[31:32], -v[43:44]
	ds_read_b128 v[1:4], v96 offset:1072
	v_fma_f64 v[29:30], v[11:12], v[31:32], v[29:30]
	s_clause 0x2
	buffer_load_dword v46, off, s[0:3], 0 offset:444
	buffer_load_dword v32, off, s[0:3], 0 offset:420
	buffer_load_dword v31, off, s[0:3], 0 offset:416
	ds_read_b128 v[9:12], v96 offset:1088
	v_add_f64 v[21:22], v[21:22], v[39:40]
	v_add_f64 v[13:14], v[13:14], v[35:36]
	s_waitcnt vmcnt(58) lgkmcnt(1)
	v_mul_f64 v[39:40], v[3:4], v[51:52]
	s_waitcnt vmcnt(56)
	v_fma_f64 v[47:48], v[5:6], v[53:54], -v[47:48]
	v_mul_f64 v[35:36], v[1:2], v[51:52]
	v_add_f64 v[21:22], v[21:22], v[43:44]
	v_fma_f64 v[43:44], v[7:8], v[53:54], v[118:119]
	v_add_f64 v[13:14], v[13:14], v[29:30]
	s_clause 0x4
	buffer_load_dword v30, off, s[0:3], 0 offset:460
	buffer_load_dword v51, off, s[0:3], 0 offset:472
	;; [unrolled: 1-line block ×5, first 2 shown]
	s_waitcnt vmcnt(57) lgkmcnt(0)
	v_mul_f64 v[118:119], v[9:10], v[55:56]
	v_mul_f64 v[54:55], v[11:12], v[55:56]
	s_waitcnt vmcnt(56)
	v_fma_f64 v[39:40], v[1:2], v[41:42], -v[39:40]
	ds_read_b128 v[5:8], v96 offset:1104
	v_fma_f64 v[35:36], v[3:4], v[41:42], v[35:36]
	s_clause 0x2
	buffer_load_dword v52, off, s[0:3], 0 offset:476
	buffer_load_dword v42, off, s[0:3], 0 offset:452
	;; [unrolled: 1-line block ×3, first 2 shown]
	ds_read_b128 v[1:4], v96 offset:1120
	v_add_f64 v[21:22], v[21:22], v[47:48]
	v_add_f64 v[13:14], v[13:14], v[43:44]
	s_waitcnt vmcnt(58) lgkmcnt(1)
	v_mul_f64 v[47:48], v[7:8], v[85:86]
	s_waitcnt vmcnt(56)
	v_fma_f64 v[55:56], v[9:10], v[87:88], -v[54:55]
	v_mul_f64 v[43:44], v[5:6], v[85:86]
	v_add_f64 v[21:22], v[21:22], v[39:40]
	v_fma_f64 v[39:40], v[11:12], v[87:88], v[118:119]
	v_add_f64 v[13:14], v[13:14], v[35:36]
	s_clause 0x4
	buffer_load_dword v36, off, s[0:3], 0 offset:492
	buffer_load_dword v85, off, s[0:3], 0 offset:504
	;; [unrolled: 1-line block ×5, first 2 shown]
	s_waitcnt vmcnt(57) lgkmcnt(0)
	v_mul_f64 v[118:119], v[1:2], v[89:90]
	v_mul_f64 v[88:89], v[3:4], v[89:90]
	s_waitcnt vmcnt(56)
	v_fma_f64 v[47:48], v[5:6], v[49:50], -v[47:48]
	ds_read_b128 v[9:12], v96 offset:1136
	v_fma_f64 v[43:44], v[7:8], v[49:50], v[43:44]
	v_add_f64 v[21:22], v[21:22], v[55:56]
	v_add_f64 v[13:14], v[13:14], v[39:40]
	s_clause 0x2
	buffer_load_dword v86, off, s[0:3], 0 offset:508
	buffer_load_dword v40, off, s[0:3], 0 offset:484
	;; [unrolled: 1-line block ×3, first 2 shown]
	ds_read_b128 v[5:8], v96 offset:1152
	s_waitcnt vmcnt(58) lgkmcnt(1)
	v_mul_f64 v[55:56], v[11:12], v[91:92]
	s_waitcnt vmcnt(56)
	v_fma_f64 v[89:90], v[1:2], v[93:94], -v[88:89]
	v_mul_f64 v[49:50], v[9:10], v[91:92]
	v_add_f64 v[21:22], v[21:22], v[47:48]
	v_fma_f64 v[47:48], v[3:4], v[93:94], v[118:119]
	v_add_f64 v[13:14], v[13:14], v[43:44]
	s_clause 0x4
	buffer_load_dword v44, off, s[0:3], 0 offset:524
	buffer_load_dword v91, off, s[0:3], 0 offset:536
	buffer_load_dword v93, off, s[0:3], 0 offset:528
	buffer_load_dword v43, off, s[0:3], 0 offset:520
	buffer_load_dword v88, off, s[0:3], 0 offset:500
	s_waitcnt vmcnt(57) lgkmcnt(0)
	v_mul_f64 v[118:119], v[5:6], v[103:104]
	v_mul_f64 v[103:104], v[7:8], v[103:104]
	s_waitcnt vmcnt(56)
	v_fma_f64 v[55:56], v[9:10], v[83:84], -v[55:56]
	ds_read_b128 v[1:4], v96 offset:1168
	v_fma_f64 v[49:50], v[11:12], v[83:84], v[49:50]
	v_add_f64 v[21:22], v[21:22], v[89:90]
	v_add_f64 v[13:14], v[13:14], v[47:48]
	s_clause 0x2
	buffer_load_dword v92, off, s[0:3], 0 offset:540
	buffer_load_dword v48, off, s[0:3], 0 offset:516
	;; [unrolled: 1-line block ×3, first 2 shown]
	ds_read_b128 v[9:12], v96 offset:1184
	s_waitcnt vmcnt(58) lgkmcnt(1)
	v_mul_f64 v[89:90], v[3:4], v[105:106]
	v_mul_f64 v[83:84], v[1:2], v[105:106]
	s_waitcnt vmcnt(56)
	v_fma_f64 v[103:104], v[5:6], v[17:18], -v[103:104]
	v_fma_f64 v[17:18], v[7:8], v[17:18], v[118:119]
	v_add_f64 v[21:22], v[21:22], v[55:56]
	v_add_f64 v[13:14], v[13:14], v[49:50]
	s_clause 0x4
	buffer_load_dword v50, off, s[0:3], 0 offset:556
	buffer_load_dword v55, off, s[0:3], 0 offset:568
	;; [unrolled: 1-line block ×5, first 2 shown]
	ds_read_b128 v[5:8], v96 offset:1200
	s_waitcnt vmcnt(57) lgkmcnt(1)
	v_mul_f64 v[118:119], v[9:10], v[15:16]
	v_mul_f64 v[15:16], v[11:12], v[15:16]
	s_waitcnt vmcnt(56)
	v_fma_f64 v[89:90], v[1:2], v[107:108], -v[89:90]
	v_fma_f64 v[83:84], v[3:4], v[107:108], v[83:84]
	v_add_f64 v[21:22], v[21:22], v[103:104]
	v_add_f64 v[13:14], v[13:14], v[17:18]
	s_clause 0x2
	buffer_load_dword v56, off, s[0:3], 0 offset:572
	buffer_load_dword v18, off, s[0:3], 0 offset:548
	;; [unrolled: 1-line block ×3, first 2 shown]
	s_waitcnt vmcnt(58) lgkmcnt(0)
	v_mul_f64 v[107:108], v[7:8], v[109:110]
	ds_read_b128 v[1:4], v96 offset:1216
	v_mul_f64 v[103:104], v[5:6], v[109:110]
	s_waitcnt vmcnt(56)
	v_fma_f64 v[15:16], v[9:10], v[99:100], -v[15:16]
	v_add_f64 v[21:22], v[21:22], v[89:90]
	v_fma_f64 v[89:90], v[11:12], v[99:100], v[118:119]
	v_add_f64 v[13:14], v[13:14], v[83:84]
	s_clause 0x4
	buffer_load_dword v84, off, s[0:3], 0 offset:588
	buffer_load_dword v99, off, s[0:3], 0 offset:600
	;; [unrolled: 1-line block ×5, first 2 shown]
	ds_read_b128 v[9:12], v96 offset:1232
	s_waitcnt vmcnt(57) lgkmcnt(1)
	v_mul_f64 v[118:119], v[1:2], v[33:34]
	v_mul_f64 v[33:34], v[3:4], v[33:34]
	s_waitcnt vmcnt(56)
	v_fma_f64 v[107:108], v[5:6], v[114:115], -v[107:108]
	v_add_f64 v[15:16], v[21:22], v[15:16]
	v_fma_f64 v[21:22], v[7:8], v[114:115], v[103:104]
	v_add_f64 v[13:14], v[13:14], v[89:90]
	s_clause 0x2
	buffer_load_dword v100, off, s[0:3], 0 offset:604
	buffer_load_dword v90, off, s[0:3], 0 offset:580
	;; [unrolled: 1-line block ×3, first 2 shown]
	ds_read_b128 v[5:8], v96 offset:1248
	s_waitcnt vmcnt(58) lgkmcnt(1)
	v_mul_f64 v[103:104], v[9:10], v[101:102]
	v_mul_f64 v[101:102], v[11:12], v[101:102]
	s_waitcnt vmcnt(56)
	v_fma_f64 v[33:34], v[1:2], v[27:28], -v[33:34]
	v_fma_f64 v[27:28], v[3:4], v[27:28], v[118:119]
	v_add_f64 v[15:16], v[15:16], v[107:108]
	v_add_f64 v[13:14], v[13:14], v[21:22]
	s_clause 0x4
	buffer_load_dword v22, off, s[0:3], 0 offset:620
	buffer_load_dword v107, off, s[0:3], 0 offset:632
	;; [unrolled: 1-line block ×5, first 2 shown]
	ds_read_b128 v[1:4], v96 offset:1264
	s_waitcnt vmcnt(57) lgkmcnt(1)
	v_mul_f64 v[114:115], v[5:6], v[19:20]
	v_mul_f64 v[19:20], v[7:8], v[19:20]
	s_waitcnt vmcnt(56)
	v_fma_f64 v[101:102], v[9:10], v[116:117], -v[101:102]
	v_add_f64 v[15:16], v[15:16], v[33:34]
	v_fma_f64 v[33:34], v[11:12], v[116:117], v[103:104]
	v_add_f64 v[13:14], v[13:14], v[27:28]
	s_clause 0x2
	buffer_load_dword v108, off, s[0:3], 0 offset:636
	buffer_load_dword v28, off, s[0:3], 0 offset:612
	;; [unrolled: 1-line block ×3, first 2 shown]
	ds_read_b128 v[9:12], v96 offset:1280
	s_waitcnt vmcnt(58) lgkmcnt(1)
	v_mul_f64 v[103:104], v[1:2], v[37:38]
	v_mul_f64 v[37:38], v[3:4], v[37:38]
	s_waitcnt vmcnt(56)
	v_fma_f64 v[19:20], v[5:6], v[25:26], -v[19:20]
	v_fma_f64 v[25:26], v[7:8], v[25:26], v[114:115]
	v_add_f64 v[15:16], v[15:16], v[101:102]
	v_add_f64 v[13:14], v[13:14], v[33:34]
	s_clause 0x4
	buffer_load_dword v34, off, s[0:3], 0 offset:652
	buffer_load_dword v101, off, s[0:3], 0 offset:664
	;; [unrolled: 1-line block ×5, first 2 shown]
	ds_read_b128 v[5:8], v96 offset:1296
	s_waitcnt vmcnt(57) lgkmcnt(1)
	v_mul_f64 v[116:117], v[9:10], v[23:24]
	v_mul_f64 v[23:24], v[11:12], v[23:24]
	s_waitcnt vmcnt(56)
	v_fma_f64 v[37:38], v[1:2], v[111:112], -v[37:38]
	v_add_f64 v[15:16], v[15:16], v[19:20]
	v_fma_f64 v[19:20], v[3:4], v[111:112], v[103:104]
	v_add_f64 v[13:14], v[13:14], v[25:26]
	s_clause 0x2
	buffer_load_dword v102, off, s[0:3], 0 offset:668
	buffer_load_dword v26, off, s[0:3], 0 offset:644
	;; [unrolled: 1-line block ×3, first 2 shown]
	s_waitcnt vmcnt(58) lgkmcnt(0)
	v_mul_f64 v[103:104], v[5:6], v[45:46]
	v_mul_f64 v[45:46], v[7:8], v[45:46]
	ds_read_b128 v[1:4], v96 offset:1312
	s_waitcnt vmcnt(56)
	v_fma_f64 v[23:24], v[9:10], v[31:32], -v[23:24]
	v_fma_f64 v[31:32], v[11:12], v[31:32], v[116:117]
	v_add_f64 v[15:16], v[15:16], v[37:38]
	v_add_f64 v[13:14], v[13:14], v[19:20]
	s_clause 0x4
	buffer_load_dword v20, off, s[0:3], 0 offset:684
	buffer_load_dword v37, off, s[0:3], 0 offset:696
	;; [unrolled: 1-line block ×5, first 2 shown]
	ds_read_b128 v[9:12], v96 offset:1328
	s_waitcnt vmcnt(57) lgkmcnt(1)
	v_mul_f64 v[117:118], v[1:2], v[29:30]
	v_mul_f64 v[29:30], v[3:4], v[29:30]
	s_waitcnt vmcnt(56)
	v_fma_f64 v[45:46], v[5:6], v[97:98], -v[45:46]
	v_add_f64 v[15:16], v[15:16], v[23:24]
	v_fma_f64 v[23:24], v[7:8], v[97:98], v[103:104]
	v_add_f64 v[13:14], v[13:14], v[31:32]
	s_clause 0x2
	buffer_load_dword v38, off, s[0:3], 0 offset:700
	buffer_load_dword v32, off, s[0:3], 0 offset:676
	;; [unrolled: 1-line block ×3, first 2 shown]
	s_waitcnt vmcnt(58) lgkmcnt(0)
	v_mul_f64 v[97:98], v[9:10], v[51:52]
	v_mul_f64 v[51:52], v[11:12], v[51:52]
	ds_read_b128 v[5:8], v96 offset:1344
	s_waitcnt vmcnt(56)
	v_fma_f64 v[29:30], v[1:2], v[41:42], -v[29:30]
	v_fma_f64 v[41:42], v[3:4], v[41:42], v[117:118]
	v_add_f64 v[15:16], v[15:16], v[45:46]
	v_add_f64 v[13:14], v[13:14], v[23:24]
	s_clause 0x4
	buffer_load_dword v24, off, s[0:3], 0 offset:716
	buffer_load_dword v45, off, s[0:3], 0 offset:728
	buffer_load_dword v103, off, s[0:3], 0 offset:720
	buffer_load_dword v23, off, s[0:3], 0 offset:712
	buffer_load_dword v112, off, s[0:3], 0 offset:692
	ds_read_b128 v[1:4], v96 offset:1360
	s_waitcnt vmcnt(57) lgkmcnt(1)
	v_mul_f64 v[117:118], v[5:6], v[35:36]
	v_mul_f64 v[35:36], v[7:8], v[35:36]
	s_waitcnt vmcnt(56)
	v_fma_f64 v[51:52], v[9:10], v[53:54], -v[51:52]
	v_add_f64 v[15:16], v[15:16], v[29:30]
	v_fma_f64 v[29:30], v[11:12], v[53:54], v[97:98]
	v_add_f64 v[13:14], v[13:14], v[41:42]
	s_clause 0x2
	buffer_load_dword v46, off, s[0:3], 0 offset:732
	buffer_load_dword v42, off, s[0:3], 0 offset:708
	buffer_load_dword v41, off, s[0:3], 0 offset:704
	ds_read_b128 v[9:12], v96 offset:1376
	s_waitcnt vmcnt(58) lgkmcnt(1)
	v_mul_f64 v[53:54], v[1:2], v[85:86]
	v_mul_f64 v[85:86], v[3:4], v[85:86]
	s_waitcnt vmcnt(56)
	v_fma_f64 v[35:36], v[5:6], v[39:40], -v[35:36]
	v_fma_f64 v[39:40], v[7:8], v[39:40], v[117:118]
	v_add_f64 v[15:16], v[15:16], v[51:52]
	v_add_f64 v[13:14], v[13:14], v[29:30]
	s_clause 0x4
	buffer_load_dword v30, off, s[0:3], 0 offset:748
	buffer_load_dword v51, off, s[0:3], 0 offset:760
	buffer_load_dword v97, off, s[0:3], 0 offset:752
	buffer_load_dword v29, off, s[0:3], 0 offset:744
	buffer_load_dword v104, off, s[0:3], 0 offset:724
	ds_read_b128 v[5:8], v96 offset:1392
	s_waitcnt vmcnt(57) lgkmcnt(1)
	v_mul_f64 v[117:118], v[9:10], v[43:44]
	v_mul_f64 v[43:44], v[11:12], v[43:44]
	s_waitcnt vmcnt(56)
	v_fma_f64 v[85:86], v[1:2], v[87:88], -v[85:86]
	v_add_f64 v[15:16], v[15:16], v[35:36]
	v_fma_f64 v[35:36], v[3:4], v[87:88], v[53:54]
	v_add_f64 v[13:14], v[13:14], v[39:40]
	s_clause 0x2
	buffer_load_dword v52, off, s[0:3], 0 offset:764
	buffer_load_dword v40, off, s[0:3], 0 offset:740
	buffer_load_dword v39, off, s[0:3], 0 offset:736
	ds_read_b128 v[1:4], v96 offset:1408
	s_waitcnt vmcnt(58) lgkmcnt(1)
	v_mul_f64 v[87:88], v[7:8], v[91:92]
	v_mul_f64 v[53:54], v[5:6], v[91:92]
	;; [unrolled: 28-line block ×4, first 2 shown]
	s_waitcnt vmcnt(56)
	v_fma_f64 v[83:84], v[5:6], v[89:90], -v[83:84]
	v_add_f64 v[15:16], v[15:16], v[55:56]
	v_fma_f64 v[55:56], v[7:8], v[89:90], v[117:118]
	v_add_f64 v[13:14], v[13:14], v[49:50]
	s_clause 0x4
	buffer_load_dword v50, off, s[0:3], 0 offset:844
	buffer_load_dword v89, off, s[0:3], 0 offset:856
	;; [unrolled: 1-line block ×5, first 2 shown]
	ds_read_b128 v[5:8], v96 offset:1488
	s_waitcnt vmcnt(57) lgkmcnt(1)
	v_mul_f64 v[117:118], v[9:10], v[21:22]
	v_mul_f64 v[21:22], v[11:12], v[21:22]
	s_waitcnt vmcnt(56)
	v_fma_f64 v[99:100], v[1:2], v[109:110], -v[99:100]
	v_fma_f64 v[53:54], v[3:4], v[109:110], v[53:54]
	v_add_f64 v[15:16], v[15:16], v[83:84]
	v_add_f64 v[13:14], v[13:14], v[55:56]
	s_clause 0x2
	buffer_load_dword v90, off, s[0:3], 0 offset:860
	buffer_load_dword v56, off, s[0:3], 0 offset:836
	buffer_load_dword v55, off, s[0:3], 0 offset:832
	ds_read_b128 v[1:4], v96 offset:1504
	s_waitcnt vmcnt(58) lgkmcnt(1)
	v_mul_f64 v[83:84], v[5:6], v[107:108]
	v_mul_f64 v[107:108], v[7:8], v[107:108]
	s_waitcnt vmcnt(56)
	v_fma_f64 v[21:22], v[9:10], v[27:28], -v[21:22]
	v_fma_f64 v[27:28], v[11:12], v[27:28], v[117:118]
	v_add_f64 v[15:16], v[15:16], v[99:100]
	v_add_f64 v[13:14], v[13:14], v[53:54]
	s_clause 0x4
	buffer_load_dword v54, off, s[0:3], 0 offset:876
	buffer_load_dword v99, off, s[0:3], 0 offset:888
	;; [unrolled: 1-line block ×5, first 2 shown]
	ds_read_b128 v[9:12], v96 offset:1520
	s_waitcnt vmcnt(57) lgkmcnt(1)
	v_mul_f64 v[117:118], v[1:2], v[33:34]
	v_mul_f64 v[33:34], v[3:4], v[33:34]
	s_waitcnt vmcnt(56)
	v_fma_f64 v[107:108], v[5:6], v[113:114], -v[107:108]
	v_add_f64 v[15:16], v[15:16], v[21:22]
	v_fma_f64 v[21:22], v[7:8], v[113:114], v[83:84]
	v_add_f64 v[13:14], v[13:14], v[27:28]
	s_clause 0x2
	buffer_load_dword v100, off, s[0:3], 0 offset:892
	buffer_load_dword v28, off, s[0:3], 0 offset:868
	;; [unrolled: 1-line block ×3, first 2 shown]
	ds_read_b128 v[5:8], v96 offset:1536
	buffer_load_dword v110, off, s[0:3], 0 offset:884
	s_waitcnt vmcnt(59) lgkmcnt(1)
	v_mul_f64 v[83:84], v[9:10], v[101:102]
	v_mul_f64 v[101:102], v[11:12], v[101:102]
	s_waitcnt vmcnt(57)
	v_fma_f64 v[33:34], v[1:2], v[25:26], -v[33:34]
	v_fma_f64 v[25:26], v[3:4], v[25:26], v[117:118]
	ds_read_b128 v[1:4], v96 offset:1552
	v_add_f64 v[15:16], v[15:16], v[107:108]
	v_add_f64 v[13:14], v[13:14], v[21:22]
	s_waitcnt vmcnt(53) lgkmcnt(1)
	v_mul_f64 v[21:22], v[5:6], v[19:20]
	v_mul_f64 v[19:20], v[7:8], v[19:20]
	s_waitcnt vmcnt(52)
	v_fma_f64 v[101:102], v[9:10], v[115:116], -v[101:102]
	v_add_f64 v[15:16], v[15:16], v[33:34]
	v_fma_f64 v[33:34], v[11:12], v[115:116], v[83:84]
	v_add_f64 v[13:14], v[13:14], v[25:26]
	ds_read_b128 v[9:12], v96 offset:1568
	s_waitcnt vmcnt(51) lgkmcnt(1)
	v_mul_f64 v[25:26], v[1:2], v[37:38]
	v_mul_f64 v[37:38], v[3:4], v[37:38]
	s_waitcnt vmcnt(49)
	v_fma_f64 v[19:20], v[5:6], v[31:32], -v[19:20]
	v_fma_f64 v[21:22], v[7:8], v[31:32], v[21:22]
	v_add_f64 v[15:16], v[15:16], v[101:102]
	v_add_f64 v[13:14], v[13:14], v[33:34]
	s_clause 0x3
	buffer_load_dword v31, off, s[0:3], 0 offset:32
	buffer_load_dword v32, off, s[0:3], 0 offset:36
	;; [unrolled: 1-line block ×4, first 2 shown]
	ds_read_b128 v[5:8], v96 offset:1584
	s_waitcnt vmcnt(49) lgkmcnt(1)
	v_mul_f64 v[83:84], v[9:10], v[23:24]
	v_mul_f64 v[23:24], v[11:12], v[23:24]
	s_waitcnt vmcnt(48)
	v_fma_f64 v[37:38], v[1:2], v[111:112], -v[37:38]
	v_add_f64 v[15:16], v[15:16], v[19:20]
	v_fma_f64 v[19:20], v[3:4], v[111:112], v[25:26]
	v_add_f64 v[13:14], v[13:14], v[21:22]
	ds_read_b128 v[1:4], v96 offset:1600
	s_waitcnt vmcnt(47) lgkmcnt(1)
	v_mul_f64 v[25:26], v[7:8], v[45:46]
	v_mul_f64 v[21:22], v[5:6], v[45:46]
	s_waitcnt vmcnt(45)
	v_fma_f64 v[23:24], v[9:10], v[41:42], -v[23:24]
	v_add_f64 v[15:16], v[15:16], v[37:38]
	v_fma_f64 v[37:38], v[11:12], v[41:42], v[83:84]
	v_add_f64 v[13:14], v[13:14], v[19:20]
	ds_read_b128 v[9:12], v96 offset:1616
	s_waitcnt vmcnt(41) lgkmcnt(1)
	v_mul_f64 v[19:20], v[1:2], v[29:30]
	v_mul_f64 v[29:30], v[3:4], v[29:30]
	s_waitcnt vmcnt(40)
	v_fma_f64 v[25:26], v[5:6], v[103:104], -v[25:26]
	v_fma_f64 v[21:22], v[7:8], v[103:104], v[21:22]
	ds_read_b128 v[5:8], v96 offset:1632
	v_add_f64 v[15:16], v[15:16], v[23:24]
	v_add_f64 v[13:14], v[13:14], v[37:38]
	s_waitcnt vmcnt(39) lgkmcnt(1)
	v_mul_f64 v[37:38], v[11:12], v[51:52]
	v_mul_f64 v[23:24], v[9:10], v[51:52]
	s_waitcnt vmcnt(37)
	v_fma_f64 v[29:30], v[1:2], v[39:40], -v[29:30]
	v_fma_f64 v[19:20], v[3:4], v[39:40], v[19:20]
	ds_read_b128 v[1:4], v96 offset:1648
	v_add_f64 v[15:16], v[15:16], v[25:26]
	v_add_f64 v[13:14], v[13:14], v[21:22]
	;; [unrolled: 9-line block ×4, first 2 shown]
	s_waitcnt vmcnt(25) lgkmcnt(1)
	v_mul_f64 v[35:36], v[11:12], v[43:44]
	s_waitcnt vmcnt(24)
	v_fma_f64 v[29:30], v[1:2], v[91:92], -v[29:30]
	v_mul_f64 v[23:24], v[9:10], v[43:44]
	v_fma_f64 v[19:20], v[3:4], v[91:92], v[19:20]
	ds_read_b128 v[1:4], v96 offset:1696
	v_add_f64 v[15:16], v[15:16], v[25:26]
	v_add_f64 v[13:14], v[13:14], v[21:22]
	s_waitcnt vmcnt(23) lgkmcnt(1)
	v_mul_f64 v[25:26], v[7:8], v[87:88]
	v_mul_f64 v[21:22], v[5:6], v[87:88]
	s_waitcnt vmcnt(21)
	v_fma_f64 v[35:36], v[9:10], v[17:18], -v[35:36]
	v_fma_f64 v[17:18], v[11:12], v[17:18], v[23:24]
	ds_read_b128 v[9:12], v96 offset:1712
	v_add_f64 v[15:16], v[15:16], v[29:30]
	v_add_f64 v[13:14], v[13:14], v[19:20]
	s_waitcnt vmcnt(17) lgkmcnt(1)
	v_mul_f64 v[23:24], v[3:4], v[49:50]
	s_waitcnt vmcnt(16)
	v_fma_f64 v[25:26], v[5:6], v[93:94], -v[25:26]
	v_mul_f64 v[19:20], v[1:2], v[49:50]
	v_fma_f64 v[21:22], v[7:8], v[93:94], v[21:22]
	ds_read_b128 v[5:8], v96 offset:1728
	v_add_f64 v[15:16], v[15:16], v[35:36]
	v_add_f64 v[13:14], v[13:14], v[17:18]
	s_waitcnt vmcnt(15) lgkmcnt(1)
	v_mul_f64 v[29:30], v[11:12], v[89:90]
	v_mul_f64 v[17:18], v[9:10], v[89:90]
	s_waitcnt vmcnt(13)
	v_fma_f64 v[23:24], v[1:2], v[55:56], -v[23:24]
	v_fma_f64 v[19:20], v[3:4], v[55:56], v[19:20]
	ds_read_b128 v[1:4], v96 offset:1744
	v_add_f64 v[15:16], v[15:16], v[25:26]
	v_add_f64 v[13:14], v[13:14], v[21:22]
	s_waitcnt vmcnt(9) lgkmcnt(1)
	v_mul_f64 v[25:26], v[7:8], v[53:54]
	s_waitcnt vmcnt(8)
	v_fma_f64 v[9:10], v[9:10], v[105:106], -v[29:30]
	v_mul_f64 v[21:22], v[5:6], v[53:54]
	v_fma_f64 v[11:12], v[11:12], v[105:106], v[17:18]
	v_add_f64 v[15:16], v[15:16], v[23:24]
	v_add_f64 v[13:14], v[13:14], v[19:20]
	s_waitcnt vmcnt(7) lgkmcnt(0)
	v_mul_f64 v[19:20], v[3:4], v[99:100]
	v_mul_f64 v[17:18], v[1:2], v[99:100]
	s_waitcnt vmcnt(5)
	v_fma_f64 v[5:6], v[5:6], v[27:28], -v[25:26]
	v_fma_f64 v[7:8], v[7:8], v[27:28], v[21:22]
	v_add_f64 v[9:10], v[15:16], v[9:10]
	v_add_f64 v[11:12], v[13:14], v[11:12]
	s_waitcnt vmcnt(4)
	v_fma_f64 v[1:2], v[1:2], v[109:110], -v[19:20]
	v_fma_f64 v[3:4], v[3:4], v[109:110], v[17:18]
	v_add_f64 v[5:6], v[9:10], v[5:6]
	v_add_f64 v[7:8], v[11:12], v[7:8]
	;; [unrolled: 1-line block ×4, first 2 shown]
	s_waitcnt vmcnt(2)
	v_add_f64 v[1:2], v[31:32], -v[1:2]
	s_waitcnt vmcnt(0)
	v_add_f64 v[3:4], v[33:34], -v[3:4]
	buffer_store_dword v2, off, s[0:3], 0 offset:36
	buffer_store_dword v1, off, s[0:3], 0 offset:32
	;; [unrolled: 1-line block ×4, first 2 shown]
	v_cmpx_ne_u32_e32 0, v0
	s_cbranch_execz .LBB54_343
; %bb.342:
	s_clause 0x3
	buffer_load_dword v0, off, s[0:3], 0 offset:16
	buffer_load_dword v1, off, s[0:3], 0 offset:20
	;; [unrolled: 1-line block ×4, first 2 shown]
	buffer_store_dword v96, off, s[0:3], 0 offset:16
	buffer_store_dword v96, off, s[0:3], 0 offset:20
	;; [unrolled: 1-line block ×4, first 2 shown]
	s_waitcnt vmcnt(0)
	ds_write_b128 v95, v[0:3]
.LBB54_343:
	s_or_b32 exec_lo, exec_lo, s4
	s_waitcnt lgkmcnt(0)
	s_waitcnt_vscnt null, 0x0
	s_barrier
	buffer_gl0_inv
	s_clause 0x37
	buffer_load_dword v16, off, s[0:3], 0 offset:40
	buffer_load_dword v17, off, s[0:3], 0 offset:44
	buffer_load_dword v12, off, s[0:3], 0 offset:56
	buffer_load_dword v13, off, s[0:3], 0 offset:60
	buffer_load_dword v14, off, s[0:3], 0 offset:32
	buffer_load_dword v15, off, s[0:3], 0 offset:36
	buffer_load_dword v10, off, s[0:3], 0 offset:72
	buffer_load_dword v11, off, s[0:3], 0 offset:76
	buffer_load_dword v8, off, s[0:3], 0 offset:48
	buffer_load_dword v9, off, s[0:3], 0 offset:52
	buffer_load_dword v21, off, s[0:3], 0 offset:92
	buffer_load_dword v24, off, s[0:3], 0 offset:104
	buffer_load_dword v18, off, s[0:3], 0 offset:96
	buffer_load_dword v20, off, s[0:3], 0 offset:88
	buffer_load_dword v32, off, s[0:3], 0 offset:64
	buffer_load_dword v33, off, s[0:3], 0 offset:68
	buffer_load_dword v25, off, s[0:3], 0 offset:108
	buffer_load_dword v27, off, s[0:3], 0 offset:84
	buffer_load_dword v26, off, s[0:3], 0 offset:80
	buffer_load_dword v29, off, s[0:3], 0 offset:124
	buffer_load_dword v34, off, s[0:3], 0 offset:136
	buffer_load_dword v22, off, s[0:3], 0 offset:128
	buffer_load_dword v28, off, s[0:3], 0 offset:120
	buffer_load_dword v19, off, s[0:3], 0 offset:100
	buffer_load_dword v35, off, s[0:3], 0 offset:140
	buffer_load_dword v37, off, s[0:3], 0 offset:116
	buffer_load_dword v36, off, s[0:3], 0 offset:112
	buffer_load_dword v39, off, s[0:3], 0 offset:156
	buffer_load_dword v42, off, s[0:3], 0 offset:168
	buffer_load_dword v30, off, s[0:3], 0 offset:160
	buffer_load_dword v38, off, s[0:3], 0 offset:152
	buffer_load_dword v23, off, s[0:3], 0 offset:132
	buffer_load_dword v43, off, s[0:3], 0 offset:172
	buffer_load_dword v45, off, s[0:3], 0 offset:148
	buffer_load_dword v44, off, s[0:3], 0 offset:144
	buffer_load_dword v47, off, s[0:3], 0 offset:188
	buffer_load_dword v50, off, s[0:3], 0 offset:200
	buffer_load_dword v40, off, s[0:3], 0 offset:192
	buffer_load_dword v46, off, s[0:3], 0 offset:184
	buffer_load_dword v31, off, s[0:3], 0 offset:164
	buffer_load_dword v51, off, s[0:3], 0 offset:204
	buffer_load_dword v53, off, s[0:3], 0 offset:180
	buffer_load_dword v52, off, s[0:3], 0 offset:176
	buffer_load_dword v55, off, s[0:3], 0 offset:220
	buffer_load_dword v85, off, s[0:3], 0 offset:232
	buffer_load_dword v48, off, s[0:3], 0 offset:224
	buffer_load_dword v54, off, s[0:3], 0 offset:216
	buffer_load_dword v41, off, s[0:3], 0 offset:196
	buffer_load_dword v86, off, s[0:3], 0 offset:236
	buffer_load_dword v88, off, s[0:3], 0 offset:212
	buffer_load_dword v87, off, s[0:3], 0 offset:208
	buffer_load_dword v90, off, s[0:3], 0 offset:252
	buffer_load_dword v91, off, s[0:3], 0 offset:264
	buffer_load_dword v83, off, s[0:3], 0 offset:256
	buffer_load_dword v89, off, s[0:3], 0 offset:248
	buffer_load_dword v49, off, s[0:3], 0 offset:228
	ds_read_b128 v[4:7], v96 offset:896
	s_clause 0x2
	buffer_load_dword v92, off, s[0:3], 0 offset:268
	buffer_load_dword v94, off, s[0:3], 0 offset:244
	;; [unrolled: 1-line block ×3, first 2 shown]
	ds_read_b128 v[0:3], v96 offset:912
	s_clause 0x4
	buffer_load_dword v104, off, s[0:3], 0 offset:284
	buffer_load_dword v105, off, s[0:3], 0 offset:296
	;; [unrolled: 1-line block ×5, first 2 shown]
	ds_read_b128 v[97:100], v96 offset:928
	s_and_b32 vcc_lo, exec_lo, s67
	s_waitcnt vmcnt(62) lgkmcnt(2)
	v_mul_f64 v[101:102], v[6:7], v[16:17]
	v_mul_f64 v[16:17], v[4:5], v[16:17]
	s_waitcnt vmcnt(60) lgkmcnt(1)
	v_mul_f64 v[108:109], v[2:3], v[12:13]
	v_mul_f64 v[12:13], v[0:1], v[12:13]
	;; [unrolled: 3-line block ×3, first 2 shown]
	v_fma_f64 v[101:102], v[4:5], v[14:15], -v[101:102]
	v_fma_f64 v[14:15], v[6:7], v[14:15], v[16:17]
	s_clause 0x2
	buffer_load_dword v106, off, s[0:3], 0 offset:300
	buffer_load_dword v17, off, s[0:3], 0 offset:276
	;; [unrolled: 1-line block ×3, first 2 shown]
	s_waitcnt vmcnt(57)
	v_fma_f64 v[112:113], v[0:1], v[8:9], -v[108:109]
	ds_read_b128 v[4:7], v96 offset:944
	v_fma_f64 v[8:9], v[2:3], v[8:9], v[12:13]
	s_waitcnt vmcnt(51)
	v_fma_f64 v[97:98], v[97:98], v[32:33], -v[10:11]
	v_fma_f64 v[32:33], v[99:100], v[32:33], v[110:111]
	v_add_f64 v[101:102], v[101:102], 0
	v_add_f64 v[12:13], v[14:15], 0
	s_clause 0x4
	buffer_load_dword v15, off, s[0:3], 0 offset:316
	buffer_load_dword v109, off, s[0:3], 0 offset:328
	;; [unrolled: 1-line block ×5, first 2 shown]
	s_waitcnt lgkmcnt(0)
	v_mul_f64 v[115:116], v[4:5], v[20:21]
	v_mul_f64 v[20:21], v[6:7], v[20:21]
	ds_read_b128 v[0:3], v96 offset:960
	s_clause 0x2
	buffer_load_dword v110, off, s[0:3], 0 offset:332
	buffer_load_dword v100, off, s[0:3], 0 offset:308
	;; [unrolled: 1-line block ×3, first 2 shown]
	v_add_f64 v[101:102], v[101:102], v[112:113]
	v_add_f64 v[12:13], v[12:13], v[8:9]
	ds_read_b128 v[8:11], v96 offset:976
	s_waitcnt vmcnt(58) lgkmcnt(1)
	v_mul_f64 v[111:112], v[0:1], v[24:25]
	v_mul_f64 v[24:25], v[2:3], v[24:25]
	s_waitcnt vmcnt(56)
	v_fma_f64 v[20:21], v[4:5], v[26:27], -v[20:21]
	v_fma_f64 v[26:27], v[6:7], v[26:27], v[115:116]
	s_waitcnt vmcnt(52) lgkmcnt(0)
	v_mul_f64 v[117:118], v[8:9], v[28:29]
	v_add_f64 v[97:98], v[101:102], v[97:98]
	v_add_f64 v[12:13], v[12:13], v[32:33]
	s_clause 0x4
	buffer_load_dword v33, off, s[0:3], 0 offset:348
	buffer_load_dword v101, off, s[0:3], 0 offset:360
	;; [unrolled: 1-line block ×5, first 2 shown]
	v_mul_f64 v[28:29], v[10:11], v[28:29]
	s_waitcnt vmcnt(56)
	v_fma_f64 v[24:25], v[0:1], v[18:19], -v[24:25]
	ds_read_b128 v[4:7], v96 offset:992
	v_fma_f64 v[18:19], v[2:3], v[18:19], v[111:112]
	v_add_f64 v[20:21], v[97:98], v[20:21]
	v_add_f64 v[12:13], v[12:13], v[26:27]
	s_clause 0x2
	buffer_load_dword v102, off, s[0:3], 0 offset:364
	buffer_load_dword v27, off, s[0:3], 0 offset:340
	;; [unrolled: 1-line block ×3, first 2 shown]
	s_waitcnt vmcnt(58) lgkmcnt(0)
	v_mul_f64 v[97:98], v[4:5], v[34:35]
	v_mul_f64 v[34:35], v[6:7], v[34:35]
	s_waitcnt vmcnt(56)
	v_fma_f64 v[28:29], v[8:9], v[36:37], -v[28:29]
	ds_read_b128 v[0:3], v96 offset:1008
	v_add_f64 v[20:21], v[20:21], v[24:25]
	v_fma_f64 v[24:25], v[10:11], v[36:37], v[117:118]
	v_add_f64 v[12:13], v[12:13], v[18:19]
	s_clause 0x4
	buffer_load_dword v19, off, s[0:3], 0 offset:380
	buffer_load_dword v36, off, s[0:3], 0 offset:392
	;; [unrolled: 1-line block ×5, first 2 shown]
	s_waitcnt vmcnt(57) lgkmcnt(0)
	v_mul_f64 v[112:113], v[0:1], v[38:39]
	v_mul_f64 v[38:39], v[2:3], v[38:39]
	s_waitcnt vmcnt(56)
	v_fma_f64 v[34:35], v[4:5], v[22:23], -v[34:35]
	ds_read_b128 v[8:11], v96 offset:1024
	v_fma_f64 v[22:23], v[6:7], v[22:23], v[97:98]
	v_add_f64 v[20:21], v[20:21], v[28:29]
	v_add_f64 v[12:13], v[12:13], v[24:25]
	s_clause 0x2
	buffer_load_dword v37, off, s[0:3], 0 offset:396
	buffer_load_dword v25, off, s[0:3], 0 offset:372
	;; [unrolled: 1-line block ×3, first 2 shown]
	ds_read_b128 v[4:7], v96 offset:1040
	s_waitcnt vmcnt(58) lgkmcnt(1)
	v_mul_f64 v[28:29], v[8:9], v[42:43]
	v_mul_f64 v[42:43], v[10:11], v[42:43]
	s_waitcnt vmcnt(56)
	v_fma_f64 v[38:39], v[0:1], v[44:45], -v[38:39]
	v_add_f64 v[20:21], v[20:21], v[34:35]
	v_fma_f64 v[34:35], v[2:3], v[44:45], v[112:113]
	v_add_f64 v[12:13], v[12:13], v[22:23]
	s_clause 0x4
	buffer_load_dword v23, off, s[0:3], 0 offset:412
	buffer_load_dword v44, off, s[0:3], 0 offset:424
	;; [unrolled: 1-line block ×5, first 2 shown]
	s_waitcnt vmcnt(57) lgkmcnt(0)
	v_mul_f64 v[118:119], v[4:5], v[46:47]
	v_mul_f64 v[46:47], v[6:7], v[46:47]
	s_waitcnt vmcnt(56)
	v_fma_f64 v[42:43], v[8:9], v[30:31], -v[42:43]
	ds_read_b128 v[0:3], v96 offset:1056
	v_fma_f64 v[28:29], v[10:11], v[30:31], v[28:29]
	s_clause 0x2
	buffer_load_dword v45, off, s[0:3], 0 offset:428
	buffer_load_dword v31, off, s[0:3], 0 offset:404
	;; [unrolled: 1-line block ×3, first 2 shown]
	ds_read_b128 v[8:11], v96 offset:1072
	v_add_f64 v[20:21], v[20:21], v[38:39]
	v_add_f64 v[12:13], v[12:13], v[34:35]
	s_waitcnt vmcnt(58) lgkmcnt(1)
	v_mul_f64 v[38:39], v[2:3], v[50:51]
	s_waitcnt vmcnt(56)
	v_fma_f64 v[46:47], v[4:5], v[52:53], -v[46:47]
	v_mul_f64 v[34:35], v[0:1], v[50:51]
	v_add_f64 v[20:21], v[20:21], v[42:43]
	v_fma_f64 v[42:43], v[6:7], v[52:53], v[118:119]
	v_add_f64 v[12:13], v[12:13], v[28:29]
	s_clause 0x4
	buffer_load_dword v29, off, s[0:3], 0 offset:444
	buffer_load_dword v50, off, s[0:3], 0 offset:456
	;; [unrolled: 1-line block ×5, first 2 shown]
	s_waitcnt vmcnt(57) lgkmcnt(0)
	v_mul_f64 v[118:119], v[8:9], v[54:55]
	v_mul_f64 v[53:54], v[10:11], v[54:55]
	s_waitcnt vmcnt(56)
	v_fma_f64 v[38:39], v[0:1], v[40:41], -v[38:39]
	ds_read_b128 v[4:7], v96 offset:1088
	v_fma_f64 v[34:35], v[2:3], v[40:41], v[34:35]
	s_clause 0x2
	buffer_load_dword v51, off, s[0:3], 0 offset:460
	buffer_load_dword v41, off, s[0:3], 0 offset:436
	;; [unrolled: 1-line block ×3, first 2 shown]
	ds_read_b128 v[0:3], v96 offset:1104
	v_add_f64 v[20:21], v[20:21], v[46:47]
	v_add_f64 v[12:13], v[12:13], v[42:43]
	s_waitcnt vmcnt(58) lgkmcnt(1)
	v_mul_f64 v[46:47], v[6:7], v[85:86]
	s_waitcnt vmcnt(56)
	v_fma_f64 v[54:55], v[8:9], v[87:88], -v[53:54]
	v_mul_f64 v[42:43], v[4:5], v[85:86]
	v_add_f64 v[20:21], v[20:21], v[38:39]
	v_fma_f64 v[38:39], v[10:11], v[87:88], v[118:119]
	v_add_f64 v[12:13], v[12:13], v[34:35]
	s_clause 0x4
	buffer_load_dword v35, off, s[0:3], 0 offset:476
	buffer_load_dword v85, off, s[0:3], 0 offset:488
	;; [unrolled: 1-line block ×5, first 2 shown]
	s_waitcnt vmcnt(57) lgkmcnt(0)
	v_mul_f64 v[118:119], v[0:1], v[89:90]
	v_mul_f64 v[88:89], v[2:3], v[89:90]
	s_waitcnt vmcnt(56)
	v_fma_f64 v[46:47], v[4:5], v[48:49], -v[46:47]
	ds_read_b128 v[8:11], v96 offset:1120
	v_fma_f64 v[42:43], v[6:7], v[48:49], v[42:43]
	v_add_f64 v[20:21], v[20:21], v[54:55]
	v_add_f64 v[12:13], v[12:13], v[38:39]
	s_clause 0x2
	buffer_load_dword v86, off, s[0:3], 0 offset:492
	buffer_load_dword v39, off, s[0:3], 0 offset:468
	;; [unrolled: 1-line block ×3, first 2 shown]
	ds_read_b128 v[4:7], v96 offset:1136
	s_waitcnt vmcnt(58) lgkmcnt(1)
	v_mul_f64 v[54:55], v[10:11], v[91:92]
	s_waitcnt vmcnt(56)
	v_fma_f64 v[89:90], v[0:1], v[93:94], -v[88:89]
	v_mul_f64 v[48:49], v[8:9], v[91:92]
	v_add_f64 v[20:21], v[20:21], v[46:47]
	v_fma_f64 v[46:47], v[2:3], v[93:94], v[118:119]
	v_add_f64 v[12:13], v[12:13], v[42:43]
	s_clause 0x4
	buffer_load_dword v43, off, s[0:3], 0 offset:508
	buffer_load_dword v91, off, s[0:3], 0 offset:520
	;; [unrolled: 1-line block ×5, first 2 shown]
	s_waitcnt vmcnt(57) lgkmcnt(0)
	v_mul_f64 v[94:95], v[4:5], v[103:104]
	v_mul_f64 v[103:104], v[6:7], v[103:104]
	s_waitcnt vmcnt(56)
	v_fma_f64 v[54:55], v[8:9], v[83:84], -v[54:55]
	ds_read_b128 v[0:3], v96 offset:1152
	v_fma_f64 v[48:49], v[10:11], v[83:84], v[48:49]
	v_add_f64 v[20:21], v[20:21], v[89:90]
	v_add_f64 v[12:13], v[12:13], v[46:47]
	s_clause 0x2
	buffer_load_dword v92, off, s[0:3], 0 offset:524
	buffer_load_dword v47, off, s[0:3], 0 offset:500
	;; [unrolled: 1-line block ×3, first 2 shown]
	ds_read_b128 v[8:11], v96 offset:1168
	s_waitcnt vmcnt(58) lgkmcnt(1)
	v_mul_f64 v[89:90], v[2:3], v[105:106]
	v_mul_f64 v[83:84], v[0:1], v[105:106]
	s_waitcnt vmcnt(56)
	v_fma_f64 v[103:104], v[4:5], v[16:17], -v[103:104]
	v_fma_f64 v[16:17], v[6:7], v[16:17], v[94:95]
	v_add_f64 v[20:21], v[20:21], v[54:55]
	v_add_f64 v[12:13], v[12:13], v[48:49]
	s_clause 0x4
	buffer_load_dword v49, off, s[0:3], 0 offset:540
	buffer_load_dword v54, off, s[0:3], 0 offset:552
	buffer_load_dword v105, off, s[0:3], 0 offset:544
	buffer_load_dword v48, off, s[0:3], 0 offset:536
	buffer_load_dword v94, off, s[0:3], 0 offset:516
	ds_read_b128 v[4:7], v96 offset:1184
	s_waitcnt vmcnt(57) lgkmcnt(1)
	v_mul_f64 v[118:119], v[8:9], v[14:15]
	v_mul_f64 v[14:15], v[10:11], v[14:15]
	s_waitcnt vmcnt(56)
	v_fma_f64 v[89:90], v[0:1], v[107:108], -v[89:90]
	v_fma_f64 v[83:84], v[2:3], v[107:108], v[83:84]
	v_add_f64 v[20:21], v[20:21], v[103:104]
	v_add_f64 v[12:13], v[12:13], v[16:17]
	s_clause 0x2
	buffer_load_dword v55, off, s[0:3], 0 offset:556
	buffer_load_dword v17, off, s[0:3], 0 offset:532
	;; [unrolled: 1-line block ×3, first 2 shown]
	s_waitcnt vmcnt(58) lgkmcnt(0)
	v_mul_f64 v[107:108], v[6:7], v[109:110]
	ds_read_b128 v[0:3], v96 offset:1200
	v_mul_f64 v[103:104], v[4:5], v[109:110]
	s_waitcnt vmcnt(56)
	v_fma_f64 v[14:15], v[8:9], v[99:100], -v[14:15]
	v_add_f64 v[20:21], v[20:21], v[89:90]
	v_fma_f64 v[89:90], v[10:11], v[99:100], v[118:119]
	v_add_f64 v[12:13], v[12:13], v[83:84]
	s_clause 0x4
	buffer_load_dword v84, off, s[0:3], 0 offset:572
	buffer_load_dword v99, off, s[0:3], 0 offset:584
	;; [unrolled: 1-line block ×5, first 2 shown]
	ds_read_b128 v[8:11], v96 offset:1216
	s_waitcnt vmcnt(57) lgkmcnt(1)
	v_mul_f64 v[118:119], v[0:1], v[32:33]
	v_mul_f64 v[32:33], v[2:3], v[32:33]
	s_waitcnt vmcnt(56)
	v_fma_f64 v[107:108], v[4:5], v[114:115], -v[107:108]
	v_add_f64 v[14:15], v[20:21], v[14:15]
	v_fma_f64 v[20:21], v[6:7], v[114:115], v[103:104]
	v_add_f64 v[12:13], v[12:13], v[89:90]
	s_clause 0x2
	buffer_load_dword v100, off, s[0:3], 0 offset:588
	buffer_load_dword v90, off, s[0:3], 0 offset:564
	;; [unrolled: 1-line block ×3, first 2 shown]
	ds_read_b128 v[4:7], v96 offset:1232
	s_waitcnt vmcnt(58) lgkmcnt(1)
	v_mul_f64 v[103:104], v[8:9], v[101:102]
	v_mul_f64 v[101:102], v[10:11], v[101:102]
	s_waitcnt vmcnt(56)
	v_fma_f64 v[32:33], v[0:1], v[26:27], -v[32:33]
	v_fma_f64 v[26:27], v[2:3], v[26:27], v[118:119]
	v_add_f64 v[14:15], v[14:15], v[107:108]
	v_add_f64 v[12:13], v[12:13], v[20:21]
	s_clause 0x4
	buffer_load_dword v21, off, s[0:3], 0 offset:604
	buffer_load_dword v107, off, s[0:3], 0 offset:616
	;; [unrolled: 1-line block ×5, first 2 shown]
	ds_read_b128 v[0:3], v96 offset:1248
	s_waitcnt vmcnt(57) lgkmcnt(1)
	v_mul_f64 v[114:115], v[4:5], v[18:19]
	v_mul_f64 v[18:19], v[6:7], v[18:19]
	s_waitcnt vmcnt(56)
	v_fma_f64 v[101:102], v[8:9], v[116:117], -v[101:102]
	v_add_f64 v[14:15], v[14:15], v[32:33]
	v_fma_f64 v[32:33], v[10:11], v[116:117], v[103:104]
	v_add_f64 v[12:13], v[12:13], v[26:27]
	s_clause 0x2
	buffer_load_dword v108, off, s[0:3], 0 offset:620
	buffer_load_dword v27, off, s[0:3], 0 offset:596
	;; [unrolled: 1-line block ×3, first 2 shown]
	ds_read_b128 v[8:11], v96 offset:1264
	s_waitcnt vmcnt(58) lgkmcnt(1)
	v_mul_f64 v[103:104], v[0:1], v[36:37]
	v_mul_f64 v[36:37], v[2:3], v[36:37]
	s_waitcnt vmcnt(56)
	v_fma_f64 v[18:19], v[4:5], v[24:25], -v[18:19]
	v_fma_f64 v[24:25], v[6:7], v[24:25], v[114:115]
	v_add_f64 v[14:15], v[14:15], v[101:102]
	v_add_f64 v[12:13], v[12:13], v[32:33]
	s_clause 0x4
	buffer_load_dword v33, off, s[0:3], 0 offset:636
	buffer_load_dword v101, off, s[0:3], 0 offset:648
	;; [unrolled: 1-line block ×5, first 2 shown]
	ds_read_b128 v[4:7], v96 offset:1280
	s_waitcnt vmcnt(57) lgkmcnt(1)
	v_mul_f64 v[116:117], v[8:9], v[22:23]
	v_mul_f64 v[22:23], v[10:11], v[22:23]
	s_waitcnt vmcnt(56)
	v_fma_f64 v[36:37], v[0:1], v[111:112], -v[36:37]
	v_add_f64 v[14:15], v[14:15], v[18:19]
	v_fma_f64 v[18:19], v[2:3], v[111:112], v[103:104]
	v_add_f64 v[12:13], v[12:13], v[24:25]
	s_clause 0x2
	buffer_load_dword v102, off, s[0:3], 0 offset:652
	buffer_load_dword v25, off, s[0:3], 0 offset:628
	;; [unrolled: 1-line block ×3, first 2 shown]
	s_waitcnt vmcnt(58) lgkmcnt(0)
	v_mul_f64 v[103:104], v[4:5], v[44:45]
	v_mul_f64 v[44:45], v[6:7], v[44:45]
	ds_read_b128 v[0:3], v96 offset:1296
	s_waitcnt vmcnt(56)
	v_fma_f64 v[22:23], v[8:9], v[30:31], -v[22:23]
	v_fma_f64 v[30:31], v[10:11], v[30:31], v[116:117]
	v_add_f64 v[14:15], v[14:15], v[36:37]
	v_add_f64 v[12:13], v[12:13], v[18:19]
	s_clause 0x4
	buffer_load_dword v19, off, s[0:3], 0 offset:668
	buffer_load_dword v36, off, s[0:3], 0 offset:680
	;; [unrolled: 1-line block ×5, first 2 shown]
	ds_read_b128 v[8:11], v96 offset:1312
	s_waitcnt vmcnt(57) lgkmcnt(1)
	v_mul_f64 v[117:118], v[0:1], v[28:29]
	v_mul_f64 v[28:29], v[2:3], v[28:29]
	s_waitcnt vmcnt(56)
	v_fma_f64 v[44:45], v[4:5], v[97:98], -v[44:45]
	v_add_f64 v[14:15], v[14:15], v[22:23]
	v_fma_f64 v[22:23], v[6:7], v[97:98], v[103:104]
	v_add_f64 v[12:13], v[12:13], v[30:31]
	s_clause 0x2
	buffer_load_dword v37, off, s[0:3], 0 offset:684
	buffer_load_dword v31, off, s[0:3], 0 offset:660
	;; [unrolled: 1-line block ×3, first 2 shown]
	s_waitcnt vmcnt(58) lgkmcnt(0)
	v_mul_f64 v[97:98], v[8:9], v[50:51]
	v_mul_f64 v[50:51], v[10:11], v[50:51]
	ds_read_b128 v[4:7], v96 offset:1328
	s_waitcnt vmcnt(56)
	v_fma_f64 v[28:29], v[0:1], v[40:41], -v[28:29]
	v_fma_f64 v[40:41], v[2:3], v[40:41], v[117:118]
	v_add_f64 v[14:15], v[14:15], v[44:45]
	v_add_f64 v[12:13], v[12:13], v[22:23]
	s_clause 0x4
	buffer_load_dword v23, off, s[0:3], 0 offset:700
	buffer_load_dword v44, off, s[0:3], 0 offset:712
	buffer_load_dword v103, off, s[0:3], 0 offset:704
	buffer_load_dword v22, off, s[0:3], 0 offset:696
	buffer_load_dword v112, off, s[0:3], 0 offset:676
	ds_read_b128 v[0:3], v96 offset:1344
	s_waitcnt vmcnt(57) lgkmcnt(1)
	v_mul_f64 v[117:118], v[4:5], v[34:35]
	v_mul_f64 v[34:35], v[6:7], v[34:35]
	s_waitcnt vmcnt(56)
	v_fma_f64 v[50:51], v[8:9], v[52:53], -v[50:51]
	v_add_f64 v[14:15], v[14:15], v[28:29]
	v_fma_f64 v[28:29], v[10:11], v[52:53], v[97:98]
	v_add_f64 v[12:13], v[12:13], v[40:41]
	s_clause 0x2
	buffer_load_dword v45, off, s[0:3], 0 offset:716
	buffer_load_dword v41, off, s[0:3], 0 offset:692
	buffer_load_dword v40, off, s[0:3], 0 offset:688
	ds_read_b128 v[8:11], v96 offset:1360
	s_waitcnt vmcnt(58) lgkmcnt(1)
	v_mul_f64 v[52:53], v[0:1], v[85:86]
	v_mul_f64 v[85:86], v[2:3], v[85:86]
	s_waitcnt vmcnt(56)
	v_fma_f64 v[34:35], v[4:5], v[38:39], -v[34:35]
	v_fma_f64 v[38:39], v[6:7], v[38:39], v[117:118]
	v_add_f64 v[14:15], v[14:15], v[50:51]
	v_add_f64 v[12:13], v[12:13], v[28:29]
	s_clause 0x4
	buffer_load_dword v29, off, s[0:3], 0 offset:732
	buffer_load_dword v50, off, s[0:3], 0 offset:744
	buffer_load_dword v97, off, s[0:3], 0 offset:736
	buffer_load_dword v28, off, s[0:3], 0 offset:728
	buffer_load_dword v104, off, s[0:3], 0 offset:708
	ds_read_b128 v[4:7], v96 offset:1376
	s_waitcnt vmcnt(57) lgkmcnt(1)
	v_mul_f64 v[117:118], v[8:9], v[42:43]
	v_mul_f64 v[42:43], v[10:11], v[42:43]
	s_waitcnt vmcnt(56)
	v_fma_f64 v[85:86], v[0:1], v[87:88], -v[85:86]
	v_add_f64 v[14:15], v[14:15], v[34:35]
	v_fma_f64 v[34:35], v[2:3], v[87:88], v[52:53]
	v_add_f64 v[12:13], v[12:13], v[38:39]
	s_clause 0x2
	buffer_load_dword v51, off, s[0:3], 0 offset:748
	buffer_load_dword v39, off, s[0:3], 0 offset:724
	buffer_load_dword v38, off, s[0:3], 0 offset:720
	ds_read_b128 v[0:3], v96 offset:1392
	s_waitcnt vmcnt(58) lgkmcnt(1)
	v_mul_f64 v[87:88], v[6:7], v[91:92]
	v_mul_f64 v[52:53], v[4:5], v[91:92]
	;; [unrolled: 28-line block ×4, first 2 shown]
	s_waitcnt vmcnt(56)
	v_fma_f64 v[83:84], v[4:5], v[89:90], -v[83:84]
	v_add_f64 v[14:15], v[14:15], v[54:55]
	v_fma_f64 v[54:55], v[6:7], v[89:90], v[94:95]
	v_add_f64 v[12:13], v[12:13], v[48:49]
	s_clause 0x4
	buffer_load_dword v49, off, s[0:3], 0 offset:828
	buffer_load_dword v89, off, s[0:3], 0 offset:840
	;; [unrolled: 1-line block ×5, first 2 shown]
	ds_read_b128 v[4:7], v96 offset:1472
	s_waitcnt vmcnt(57) lgkmcnt(1)
	v_mul_f64 v[117:118], v[8:9], v[20:21]
	v_mul_f64 v[20:21], v[10:11], v[20:21]
	s_waitcnt vmcnt(56)
	v_fma_f64 v[99:100], v[0:1], v[109:110], -v[99:100]
	v_fma_f64 v[52:53], v[2:3], v[109:110], v[52:53]
	v_add_f64 v[14:15], v[14:15], v[83:84]
	v_add_f64 v[12:13], v[12:13], v[54:55]
	s_clause 0x2
	buffer_load_dword v90, off, s[0:3], 0 offset:844
	buffer_load_dword v55, off, s[0:3], 0 offset:820
	;; [unrolled: 1-line block ×3, first 2 shown]
	ds_read_b128 v[0:3], v96 offset:1488
	s_waitcnt vmcnt(58) lgkmcnt(1)
	v_mul_f64 v[83:84], v[4:5], v[107:108]
	v_mul_f64 v[107:108], v[6:7], v[107:108]
	s_waitcnt vmcnt(56)
	v_fma_f64 v[20:21], v[8:9], v[26:27], -v[20:21]
	v_fma_f64 v[26:27], v[10:11], v[26:27], v[117:118]
	v_add_f64 v[14:15], v[14:15], v[99:100]
	v_add_f64 v[12:13], v[12:13], v[52:53]
	s_clause 0x4
	buffer_load_dword v53, off, s[0:3], 0 offset:860
	buffer_load_dword v99, off, s[0:3], 0 offset:872
	;; [unrolled: 1-line block ×5, first 2 shown]
	ds_read_b128 v[8:11], v96 offset:1504
	s_waitcnt vmcnt(57) lgkmcnt(1)
	v_mul_f64 v[117:118], v[0:1], v[32:33]
	v_mul_f64 v[32:33], v[2:3], v[32:33]
	s_waitcnt vmcnt(56)
	v_fma_f64 v[107:108], v[4:5], v[113:114], -v[107:108]
	v_add_f64 v[14:15], v[14:15], v[20:21]
	v_fma_f64 v[20:21], v[6:7], v[113:114], v[83:84]
	v_add_f64 v[12:13], v[12:13], v[26:27]
	s_clause 0x2
	buffer_load_dword v100, off, s[0:3], 0 offset:876
	buffer_load_dword v27, off, s[0:3], 0 offset:852
	;; [unrolled: 1-line block ×3, first 2 shown]
	ds_read_b128 v[4:7], v96 offset:1520
	s_waitcnt vmcnt(58) lgkmcnt(1)
	v_mul_f64 v[83:84], v[8:9], v[101:102]
	v_mul_f64 v[101:102], v[10:11], v[101:102]
	s_waitcnt vmcnt(56)
	v_fma_f64 v[32:33], v[0:1], v[24:25], -v[32:33]
	v_fma_f64 v[24:25], v[2:3], v[24:25], v[117:118]
	v_add_f64 v[14:15], v[14:15], v[107:108]
	v_add_f64 v[12:13], v[12:13], v[20:21]
	s_clause 0x2
	buffer_load_dword v21, off, s[0:3], 0 offset:892
	buffer_load_dword v20, off, s[0:3], 0 offset:888
	buffer_load_dword v110, off, s[0:3], 0 offset:868
	ds_read_b128 v[0:3], v96 offset:1536
	s_waitcnt vmcnt(55) lgkmcnt(1)
	v_mul_f64 v[107:108], v[4:5], v[18:19]
	v_mul_f64 v[18:19], v[6:7], v[18:19]
	s_waitcnt vmcnt(54)
	v_fma_f64 v[101:102], v[8:9], v[115:116], -v[101:102]
	v_add_f64 v[14:15], v[14:15], v[32:33]
	v_fma_f64 v[32:33], v[10:11], v[115:116], v[83:84]
	v_add_f64 v[12:13], v[12:13], v[24:25]
	s_clause 0x1
	buffer_load_dword v25, off, s[0:3], 0 offset:884
	buffer_load_dword v24, off, s[0:3], 0 offset:880
	ds_read_b128 v[8:11], v96 offset:1552
	s_waitcnt vmcnt(55) lgkmcnt(1)
	v_mul_f64 v[83:84], v[0:1], v[36:37]
	v_mul_f64 v[36:37], v[2:3], v[36:37]
	s_waitcnt vmcnt(53)
	v_fma_f64 v[18:19], v[4:5], v[30:31], -v[18:19]
	v_fma_f64 v[30:31], v[6:7], v[30:31], v[107:108]
	ds_read_b128 v[4:7], v96 offset:1568
	v_add_f64 v[14:15], v[14:15], v[101:102]
	v_add_f64 v[12:13], v[12:13], v[32:33]
	s_waitcnt vmcnt(49) lgkmcnt(1)
	v_mul_f64 v[32:33], v[8:9], v[22:23]
	v_mul_f64 v[22:23], v[10:11], v[22:23]
	s_waitcnt vmcnt(48)
	v_fma_f64 v[36:37], v[0:1], v[111:112], -v[36:37]
	v_add_f64 v[14:15], v[14:15], v[18:19]
	v_fma_f64 v[18:19], v[2:3], v[111:112], v[83:84]
	v_add_f64 v[12:13], v[12:13], v[30:31]
	s_clause 0x3
	buffer_load_dword v30, off, s[0:3], 0 offset:16
	buffer_load_dword v31, off, s[0:3], 0 offset:20
	;; [unrolled: 1-line block ×4, first 2 shown]
	ds_read_b128 v[0:3], v96 offset:1584
	s_waitcnt vmcnt(51) lgkmcnt(1)
	v_mul_f64 v[101:102], v[4:5], v[44:45]
	v_mul_f64 v[44:45], v[6:7], v[44:45]
	s_waitcnt vmcnt(49)
	v_fma_f64 v[22:23], v[8:9], v[40:41], -v[22:23]
	v_fma_f64 v[32:33], v[10:11], v[40:41], v[32:33]
	ds_read_b128 v[8:11], v96 offset:1600
	v_add_f64 v[14:15], v[14:15], v[36:37]
	v_add_f64 v[12:13], v[12:13], v[18:19]
	s_waitcnt vmcnt(45) lgkmcnt(1)
	v_mul_f64 v[18:19], v[0:1], v[28:29]
	v_mul_f64 v[28:29], v[2:3], v[28:29]
	s_waitcnt vmcnt(44)
	v_fma_f64 v[36:37], v[4:5], v[103:104], -v[44:45]
	v_add_f64 v[14:15], v[14:15], v[22:23]
	v_fma_f64 v[22:23], v[6:7], v[103:104], v[101:102]
	v_add_f64 v[12:13], v[12:13], v[32:33]
	ds_read_b128 v[4:7], v96 offset:1616
	s_waitcnt vmcnt(43) lgkmcnt(1)
	v_mul_f64 v[40:41], v[10:11], v[50:51]
	v_mul_f64 v[32:33], v[8:9], v[50:51]
	s_waitcnt vmcnt(41)
	v_fma_f64 v[28:29], v[0:1], v[38:39], -v[28:29]
	v_fma_f64 v[18:19], v[2:3], v[38:39], v[18:19]
	ds_read_b128 v[0:3], v96 offset:1632
	v_add_f64 v[14:15], v[14:15], v[36:37]
	v_add_f64 v[12:13], v[12:13], v[22:23]
	s_waitcnt vmcnt(37) lgkmcnt(1)
	v_mul_f64 v[22:23], v[4:5], v[34:35]
	v_mul_f64 v[34:35], v[6:7], v[34:35]
	s_waitcnt vmcnt(36)
	v_fma_f64 v[36:37], v[8:9], v[97:98], -v[40:41]
	v_add_f64 v[14:15], v[14:15], v[28:29]
	v_fma_f64 v[28:29], v[10:11], v[97:98], v[32:33]
	v_add_f64 v[12:13], v[12:13], v[18:19]
	ds_read_b128 v[8:11], v96 offset:1648
	s_waitcnt vmcnt(35) lgkmcnt(1)
	v_mul_f64 v[32:33], v[2:3], v[85:86]
	v_mul_f64 v[18:19], v[0:1], v[85:86]
	s_waitcnt vmcnt(33)
	v_fma_f64 v[34:35], v[4:5], v[46:47], -v[34:35]
	v_fma_f64 v[22:23], v[6:7], v[46:47], v[22:23]
	ds_read_b128 v[4:7], v96 offset:1664
	v_add_f64 v[14:15], v[14:15], v[36:37]
	v_add_f64 v[12:13], v[12:13], v[28:29]
	s_waitcnt vmcnt(29) lgkmcnt(1)
	v_mul_f64 v[36:37], v[10:11], v[42:43]
	s_waitcnt vmcnt(28)
	v_fma_f64 v[32:33], v[0:1], v[91:92], -v[32:33]
	v_mul_f64 v[28:29], v[8:9], v[42:43]
	v_fma_f64 v[18:19], v[2:3], v[91:92], v[18:19]
	ds_read_b128 v[0:3], v96 offset:1680
	v_add_f64 v[14:15], v[14:15], v[34:35]
	v_add_f64 v[12:13], v[12:13], v[22:23]
	s_waitcnt vmcnt(27) lgkmcnt(1)
	v_mul_f64 v[34:35], v[6:7], v[87:88]
	v_mul_f64 v[22:23], v[4:5], v[87:88]
	s_waitcnt vmcnt(25)
	v_fma_f64 v[36:37], v[8:9], v[16:17], -v[36:37]
	v_fma_f64 v[16:17], v[10:11], v[16:17], v[28:29]
	ds_read_b128 v[8:11], v96 offset:1696
	v_add_f64 v[14:15], v[14:15], v[32:33]
	v_add_f64 v[12:13], v[12:13], v[18:19]
	s_waitcnt vmcnt(21) lgkmcnt(1)
	v_mul_f64 v[28:29], v[2:3], v[48:49]
	s_waitcnt vmcnt(20)
	v_fma_f64 v[32:33], v[4:5], v[93:94], -v[34:35]
	v_mul_f64 v[18:19], v[0:1], v[48:49]
	v_fma_f64 v[22:23], v[6:7], v[93:94], v[22:23]
	ds_read_b128 v[4:7], v96 offset:1712
	v_add_f64 v[14:15], v[14:15], v[36:37]
	v_add_f64 v[12:13], v[12:13], v[16:17]
	;; [unrolled: 18-line block ×3, first 2 shown]
	s_waitcnt vmcnt(11) lgkmcnt(1)
	v_mul_f64 v[28:29], v[2:3], v[99:100]
	v_mul_f64 v[18:19], v[0:1], v[99:100]
	s_waitcnt vmcnt(9)
	v_fma_f64 v[4:5], v[4:5], v[26:27], -v[32:33]
	v_fma_f64 v[6:7], v[6:7], v[26:27], v[22:23]
	v_add_f64 v[14:15], v[14:15], v[34:35]
	v_add_f64 v[12:13], v[12:13], v[16:17]
	s_waitcnt vmcnt(7) lgkmcnt(0)
	v_mul_f64 v[16:17], v[8:9], v[20:21]
	v_mul_f64 v[20:21], v[10:11], v[20:21]
	s_waitcnt vmcnt(6)
	v_fma_f64 v[0:1], v[0:1], v[109:110], -v[28:29]
	v_fma_f64 v[2:3], v[2:3], v[109:110], v[18:19]
	v_add_f64 v[4:5], v[14:15], v[4:5]
	v_add_f64 v[6:7], v[12:13], v[6:7]
	s_waitcnt vmcnt(4)
	v_fma_f64 v[8:9], v[8:9], v[24:25], -v[20:21]
	v_add_f64 v[0:1], v[4:5], v[0:1]
	v_fma_f64 v[4:5], v[10:11], v[24:25], v[16:17]
	v_add_f64 v[2:3], v[6:7], v[2:3]
	v_add_f64 v[0:1], v[0:1], v[8:9]
	;; [unrolled: 1-line block ×3, first 2 shown]
	s_waitcnt vmcnt(2)
	v_add_f64 v[0:1], v[30:31], -v[0:1]
	s_waitcnt vmcnt(0)
	v_add_f64 v[2:3], v[83:84], -v[2:3]
	buffer_store_dword v1, off, s[0:3], 0 offset:20
	buffer_store_dword v0, off, s[0:3], 0 offset:16
	;; [unrolled: 1-line block ×4, first 2 shown]
	s_cbranch_vccz .LBB54_452
; %bb.344:
	v_mov_b32_e32 v0, 0
	global_load_dword v1, v0, s[20:21] offset:212
	s_waitcnt vmcnt(0)
	v_add_nc_u32_e32 v1, -1, v1
	v_cmp_ne_u32_e32 vcc_lo, 53, v1
	s_cbranch_vccz .LBB54_346
; %bb.345:
	v_lshlrev_b32_e32 v1, 4, v1
	v_mov_b32_e32 v2, s9
	v_add_nc_u32_e32 v1, 16, v1
	s_clause 0x7
	buffer_load_dword v3, v1, s[0:3], 0 offen
	buffer_load_dword v4, v1, s[0:3], 0 offen offset:4
	buffer_load_dword v5, v1, s[0:3], 0 offen offset:8
	;; [unrolled: 1-line block ×6, first 2 shown]
	buffer_load_dword v10, v2, s[0:3], 0 offen
	s_waitcnt vmcnt(7)
	buffer_store_dword v3, v2, s[0:3], 0 offen
	s_waitcnt vmcnt(6)
	buffer_store_dword v4, v2, s[0:3], 0 offen offset:4
	s_waitcnt vmcnt(5)
	buffer_store_dword v5, v2, s[0:3], 0 offen offset:8
	;; [unrolled: 2-line block ×6, first 2 shown]
	s_waitcnt vmcnt(0)
	buffer_store_dword v10, v1, s[0:3], 0 offen
.LBB54_346:
	global_load_dword v0, v0, s[20:21] offset:208
	s_waitcnt vmcnt(0)
	v_add_nc_u32_e32 v0, -1, v0
	v_cmp_eq_u32_e32 vcc_lo, 52, v0
	s_cbranch_vccnz .LBB54_348
; %bb.347:
	v_lshlrev_b32_e32 v0, 4, v0
	v_mov_b32_e32 v1, s12
	v_add_nc_u32_e32 v0, 16, v0
	s_clause 0x7
	buffer_load_dword v2, v0, s[0:3], 0 offen
	buffer_load_dword v3, v0, s[0:3], 0 offen offset:4
	buffer_load_dword v4, v0, s[0:3], 0 offen offset:8
	;; [unrolled: 1-line block ×6, first 2 shown]
	buffer_load_dword v9, v1, s[0:3], 0 offen
	s_waitcnt vmcnt(7)
	buffer_store_dword v2, v1, s[0:3], 0 offen
	s_waitcnt vmcnt(6)
	buffer_store_dword v3, v1, s[0:3], 0 offen offset:4
	s_waitcnt vmcnt(5)
	buffer_store_dword v4, v1, s[0:3], 0 offen offset:8
	;; [unrolled: 2-line block ×6, first 2 shown]
	s_waitcnt vmcnt(0)
	buffer_store_dword v9, v0, s[0:3], 0 offen
.LBB54_348:
	v_mov_b32_e32 v0, 0
	global_load_dword v1, v0, s[20:21] offset:204
	s_waitcnt vmcnt(0)
	v_add_nc_u32_e32 v1, -1, v1
	v_cmp_eq_u32_e32 vcc_lo, 51, v1
	s_cbranch_vccnz .LBB54_350
; %bb.349:
	v_lshlrev_b32_e32 v1, 4, v1
	v_mov_b32_e32 v2, s13
	v_add_nc_u32_e32 v1, 16, v1
	s_clause 0x7
	buffer_load_dword v3, v1, s[0:3], 0 offen
	buffer_load_dword v4, v1, s[0:3], 0 offen offset:4
	buffer_load_dword v5, v1, s[0:3], 0 offen offset:8
	;; [unrolled: 1-line block ×6, first 2 shown]
	buffer_load_dword v10, v2, s[0:3], 0 offen
	s_waitcnt vmcnt(7)
	buffer_store_dword v3, v2, s[0:3], 0 offen
	s_waitcnt vmcnt(6)
	buffer_store_dword v4, v2, s[0:3], 0 offen offset:4
	s_waitcnt vmcnt(5)
	buffer_store_dword v5, v2, s[0:3], 0 offen offset:8
	;; [unrolled: 2-line block ×6, first 2 shown]
	s_waitcnt vmcnt(0)
	buffer_store_dword v10, v1, s[0:3], 0 offen
.LBB54_350:
	global_load_dword v0, v0, s[20:21] offset:200
	s_waitcnt vmcnt(0)
	v_add_nc_u32_e32 v0, -1, v0
	v_cmp_eq_u32_e32 vcc_lo, 50, v0
	s_cbranch_vccnz .LBB54_352
; %bb.351:
	v_lshlrev_b32_e32 v0, 4, v0
	v_mov_b32_e32 v1, s14
	v_add_nc_u32_e32 v0, 16, v0
	s_clause 0x7
	buffer_load_dword v2, v0, s[0:3], 0 offen
	buffer_load_dword v3, v0, s[0:3], 0 offen offset:4
	buffer_load_dword v4, v0, s[0:3], 0 offen offset:8
	;; [unrolled: 1-line block ×6, first 2 shown]
	buffer_load_dword v9, v1, s[0:3], 0 offen
	s_waitcnt vmcnt(7)
	buffer_store_dword v2, v1, s[0:3], 0 offen
	s_waitcnt vmcnt(6)
	buffer_store_dword v3, v1, s[0:3], 0 offen offset:4
	s_waitcnt vmcnt(5)
	buffer_store_dword v4, v1, s[0:3], 0 offen offset:8
	;; [unrolled: 2-line block ×6, first 2 shown]
	s_waitcnt vmcnt(0)
	buffer_store_dword v9, v0, s[0:3], 0 offen
.LBB54_352:
	v_mov_b32_e32 v0, 0
	global_load_dword v1, v0, s[20:21] offset:196
	s_waitcnt vmcnt(0)
	v_add_nc_u32_e32 v1, -1, v1
	v_cmp_eq_u32_e32 vcc_lo, 49, v1
	s_cbranch_vccnz .LBB54_354
; %bb.353:
	v_lshlrev_b32_e32 v1, 4, v1
	v_mov_b32_e32 v2, s15
	v_add_nc_u32_e32 v1, 16, v1
	s_clause 0x7
	buffer_load_dword v3, v1, s[0:3], 0 offen
	buffer_load_dword v4, v1, s[0:3], 0 offen offset:4
	buffer_load_dword v5, v1, s[0:3], 0 offen offset:8
	;; [unrolled: 1-line block ×6, first 2 shown]
	buffer_load_dword v10, v2, s[0:3], 0 offen
	s_waitcnt vmcnt(7)
	buffer_store_dword v3, v2, s[0:3], 0 offen
	s_waitcnt vmcnt(6)
	buffer_store_dword v4, v2, s[0:3], 0 offen offset:4
	s_waitcnt vmcnt(5)
	buffer_store_dword v5, v2, s[0:3], 0 offen offset:8
	;; [unrolled: 2-line block ×6, first 2 shown]
	s_waitcnt vmcnt(0)
	buffer_store_dword v10, v1, s[0:3], 0 offen
.LBB54_354:
	global_load_dword v0, v0, s[20:21] offset:192
	s_waitcnt vmcnt(0)
	v_add_nc_u32_e32 v0, -1, v0
	v_cmp_eq_u32_e32 vcc_lo, 48, v0
	s_cbranch_vccnz .LBB54_356
; %bb.355:
	v_lshlrev_b32_e32 v0, 4, v0
	v_mov_b32_e32 v1, s16
	v_add_nc_u32_e32 v0, 16, v0
	s_clause 0x7
	buffer_load_dword v2, v0, s[0:3], 0 offen
	buffer_load_dword v3, v0, s[0:3], 0 offen offset:4
	buffer_load_dword v4, v0, s[0:3], 0 offen offset:8
	;; [unrolled: 1-line block ×6, first 2 shown]
	buffer_load_dword v9, v1, s[0:3], 0 offen
	s_waitcnt vmcnt(7)
	buffer_store_dword v2, v1, s[0:3], 0 offen
	s_waitcnt vmcnt(6)
	buffer_store_dword v3, v1, s[0:3], 0 offen offset:4
	s_waitcnt vmcnt(5)
	buffer_store_dword v4, v1, s[0:3], 0 offen offset:8
	;; [unrolled: 2-line block ×6, first 2 shown]
	s_waitcnt vmcnt(0)
	buffer_store_dword v9, v0, s[0:3], 0 offen
.LBB54_356:
	v_mov_b32_e32 v0, 0
	global_load_dword v1, v0, s[20:21] offset:188
	s_waitcnt vmcnt(0)
	v_add_nc_u32_e32 v1, -1, v1
	v_cmp_eq_u32_e32 vcc_lo, 47, v1
	s_cbranch_vccnz .LBB54_358
; %bb.357:
	v_lshlrev_b32_e32 v1, 4, v1
	v_mov_b32_e32 v2, s17
	v_add_nc_u32_e32 v1, 16, v1
	s_clause 0x7
	buffer_load_dword v3, v1, s[0:3], 0 offen
	buffer_load_dword v4, v1, s[0:3], 0 offen offset:4
	buffer_load_dword v5, v1, s[0:3], 0 offen offset:8
	;; [unrolled: 1-line block ×6, first 2 shown]
	buffer_load_dword v10, v2, s[0:3], 0 offen
	s_waitcnt vmcnt(7)
	buffer_store_dword v3, v2, s[0:3], 0 offen
	s_waitcnt vmcnt(6)
	buffer_store_dword v4, v2, s[0:3], 0 offen offset:4
	s_waitcnt vmcnt(5)
	buffer_store_dword v5, v2, s[0:3], 0 offen offset:8
	;; [unrolled: 2-line block ×6, first 2 shown]
	s_waitcnt vmcnt(0)
	buffer_store_dword v10, v1, s[0:3], 0 offen
.LBB54_358:
	global_load_dword v0, v0, s[20:21] offset:184
	s_waitcnt vmcnt(0)
	v_add_nc_u32_e32 v0, -1, v0
	v_cmp_eq_u32_e32 vcc_lo, 46, v0
	s_cbranch_vccnz .LBB54_360
; %bb.359:
	v_lshlrev_b32_e32 v0, 4, v0
	v_mov_b32_e32 v1, s18
	v_add_nc_u32_e32 v0, 16, v0
	s_clause 0x7
	buffer_load_dword v2, v0, s[0:3], 0 offen
	buffer_load_dword v3, v0, s[0:3], 0 offen offset:4
	buffer_load_dword v4, v0, s[0:3], 0 offen offset:8
	;; [unrolled: 1-line block ×6, first 2 shown]
	buffer_load_dword v9, v1, s[0:3], 0 offen
	s_waitcnt vmcnt(7)
	buffer_store_dword v2, v1, s[0:3], 0 offen
	s_waitcnt vmcnt(6)
	buffer_store_dword v3, v1, s[0:3], 0 offen offset:4
	s_waitcnt vmcnt(5)
	buffer_store_dword v4, v1, s[0:3], 0 offen offset:8
	;; [unrolled: 2-line block ×6, first 2 shown]
	s_waitcnt vmcnt(0)
	buffer_store_dword v9, v0, s[0:3], 0 offen
.LBB54_360:
	v_mov_b32_e32 v0, 0
	global_load_dword v1, v0, s[20:21] offset:180
	s_waitcnt vmcnt(0)
	v_add_nc_u32_e32 v1, -1, v1
	v_cmp_eq_u32_e32 vcc_lo, 45, v1
	s_cbranch_vccnz .LBB54_362
; %bb.361:
	v_lshlrev_b32_e32 v1, 4, v1
	v_mov_b32_e32 v2, s19
	v_add_nc_u32_e32 v1, 16, v1
	s_clause 0x7
	buffer_load_dword v3, v1, s[0:3], 0 offen
	buffer_load_dword v4, v1, s[0:3], 0 offen offset:4
	buffer_load_dword v5, v1, s[0:3], 0 offen offset:8
	;; [unrolled: 1-line block ×6, first 2 shown]
	buffer_load_dword v10, v2, s[0:3], 0 offen
	s_waitcnt vmcnt(7)
	buffer_store_dword v3, v2, s[0:3], 0 offen
	s_waitcnt vmcnt(6)
	buffer_store_dword v4, v2, s[0:3], 0 offen offset:4
	s_waitcnt vmcnt(5)
	buffer_store_dword v5, v2, s[0:3], 0 offen offset:8
	;; [unrolled: 2-line block ×6, first 2 shown]
	s_waitcnt vmcnt(0)
	buffer_store_dword v10, v1, s[0:3], 0 offen
.LBB54_362:
	global_load_dword v0, v0, s[20:21] offset:176
	s_waitcnt vmcnt(0)
	v_add_nc_u32_e32 v0, -1, v0
	v_cmp_eq_u32_e32 vcc_lo, 44, v0
	s_cbranch_vccnz .LBB54_364
; %bb.363:
	v_lshlrev_b32_e32 v0, 4, v0
	v_mov_b32_e32 v1, s22
	v_add_nc_u32_e32 v0, 16, v0
	s_clause 0x7
	buffer_load_dword v2, v0, s[0:3], 0 offen
	buffer_load_dword v3, v0, s[0:3], 0 offen offset:4
	buffer_load_dword v4, v0, s[0:3], 0 offen offset:8
	;; [unrolled: 1-line block ×6, first 2 shown]
	buffer_load_dword v9, v1, s[0:3], 0 offen
	s_waitcnt vmcnt(7)
	buffer_store_dword v2, v1, s[0:3], 0 offen
	s_waitcnt vmcnt(6)
	buffer_store_dword v3, v1, s[0:3], 0 offen offset:4
	s_waitcnt vmcnt(5)
	buffer_store_dword v4, v1, s[0:3], 0 offen offset:8
	;; [unrolled: 2-line block ×6, first 2 shown]
	s_waitcnt vmcnt(0)
	buffer_store_dword v9, v0, s[0:3], 0 offen
.LBB54_364:
	v_mov_b32_e32 v0, 0
	global_load_dword v1, v0, s[20:21] offset:172
	s_waitcnt vmcnt(0)
	v_add_nc_u32_e32 v1, -1, v1
	v_cmp_eq_u32_e32 vcc_lo, 43, v1
	s_cbranch_vccnz .LBB54_366
; %bb.365:
	v_lshlrev_b32_e32 v1, 4, v1
	v_mov_b32_e32 v2, s23
	v_add_nc_u32_e32 v1, 16, v1
	s_clause 0x7
	buffer_load_dword v3, v1, s[0:3], 0 offen
	buffer_load_dword v4, v1, s[0:3], 0 offen offset:4
	buffer_load_dword v5, v1, s[0:3], 0 offen offset:8
	buffer_load_dword v6, v1, s[0:3], 0 offen offset:12
	buffer_load_dword v7, v2, s[0:3], 0 offen offset:12
	buffer_load_dword v8, v2, s[0:3], 0 offen offset:8
	buffer_load_dword v9, v2, s[0:3], 0 offen offset:4
	buffer_load_dword v10, v2, s[0:3], 0 offen
	s_waitcnt vmcnt(7)
	buffer_store_dword v3, v2, s[0:3], 0 offen
	s_waitcnt vmcnt(6)
	buffer_store_dword v4, v2, s[0:3], 0 offen offset:4
	s_waitcnt vmcnt(5)
	buffer_store_dword v5, v2, s[0:3], 0 offen offset:8
	;; [unrolled: 2-line block ×6, first 2 shown]
	s_waitcnt vmcnt(0)
	buffer_store_dword v10, v1, s[0:3], 0 offen
.LBB54_366:
	global_load_dword v0, v0, s[20:21] offset:168
	s_waitcnt vmcnt(0)
	v_add_nc_u32_e32 v0, -1, v0
	v_cmp_eq_u32_e32 vcc_lo, 42, v0
	s_cbranch_vccnz .LBB54_368
; %bb.367:
	v_lshlrev_b32_e32 v0, 4, v0
	v_mov_b32_e32 v1, s24
	v_add_nc_u32_e32 v0, 16, v0
	s_clause 0x7
	buffer_load_dword v2, v0, s[0:3], 0 offen
	buffer_load_dword v3, v0, s[0:3], 0 offen offset:4
	buffer_load_dword v4, v0, s[0:3], 0 offen offset:8
	;; [unrolled: 1-line block ×6, first 2 shown]
	buffer_load_dword v9, v1, s[0:3], 0 offen
	s_waitcnt vmcnt(7)
	buffer_store_dword v2, v1, s[0:3], 0 offen
	s_waitcnt vmcnt(6)
	buffer_store_dword v3, v1, s[0:3], 0 offen offset:4
	s_waitcnt vmcnt(5)
	buffer_store_dword v4, v1, s[0:3], 0 offen offset:8
	s_waitcnt vmcnt(4)
	buffer_store_dword v5, v1, s[0:3], 0 offen offset:12
	s_waitcnt vmcnt(3)
	buffer_store_dword v6, v0, s[0:3], 0 offen offset:12
	s_waitcnt vmcnt(2)
	buffer_store_dword v7, v0, s[0:3], 0 offen offset:8
	s_waitcnt vmcnt(1)
	buffer_store_dword v8, v0, s[0:3], 0 offen offset:4
	s_waitcnt vmcnt(0)
	buffer_store_dword v9, v0, s[0:3], 0 offen
.LBB54_368:
	v_mov_b32_e32 v0, 0
	global_load_dword v1, v0, s[20:21] offset:164
	s_waitcnt vmcnt(0)
	v_add_nc_u32_e32 v1, -1, v1
	v_cmp_eq_u32_e32 vcc_lo, 41, v1
	s_cbranch_vccnz .LBB54_370
; %bb.369:
	v_lshlrev_b32_e32 v1, 4, v1
	v_mov_b32_e32 v2, s25
	v_add_nc_u32_e32 v1, 16, v1
	s_clause 0x7
	buffer_load_dword v3, v1, s[0:3], 0 offen
	buffer_load_dword v4, v1, s[0:3], 0 offen offset:4
	buffer_load_dword v5, v1, s[0:3], 0 offen offset:8
	;; [unrolled: 1-line block ×6, first 2 shown]
	buffer_load_dword v10, v2, s[0:3], 0 offen
	s_waitcnt vmcnt(7)
	buffer_store_dword v3, v2, s[0:3], 0 offen
	s_waitcnt vmcnt(6)
	buffer_store_dword v4, v2, s[0:3], 0 offen offset:4
	s_waitcnt vmcnt(5)
	buffer_store_dword v5, v2, s[0:3], 0 offen offset:8
	;; [unrolled: 2-line block ×6, first 2 shown]
	s_waitcnt vmcnt(0)
	buffer_store_dword v10, v1, s[0:3], 0 offen
.LBB54_370:
	global_load_dword v0, v0, s[20:21] offset:160
	s_waitcnt vmcnt(0)
	v_add_nc_u32_e32 v0, -1, v0
	v_cmp_eq_u32_e32 vcc_lo, 40, v0
	s_cbranch_vccnz .LBB54_372
; %bb.371:
	v_lshlrev_b32_e32 v0, 4, v0
	v_mov_b32_e32 v1, s26
	v_add_nc_u32_e32 v0, 16, v0
	s_clause 0x7
	buffer_load_dword v2, v0, s[0:3], 0 offen
	buffer_load_dword v3, v0, s[0:3], 0 offen offset:4
	buffer_load_dword v4, v0, s[0:3], 0 offen offset:8
	;; [unrolled: 1-line block ×6, first 2 shown]
	buffer_load_dword v9, v1, s[0:3], 0 offen
	s_waitcnt vmcnt(7)
	buffer_store_dword v2, v1, s[0:3], 0 offen
	s_waitcnt vmcnt(6)
	buffer_store_dword v3, v1, s[0:3], 0 offen offset:4
	s_waitcnt vmcnt(5)
	buffer_store_dword v4, v1, s[0:3], 0 offen offset:8
	;; [unrolled: 2-line block ×6, first 2 shown]
	s_waitcnt vmcnt(0)
	buffer_store_dword v9, v0, s[0:3], 0 offen
.LBB54_372:
	v_mov_b32_e32 v0, 0
	global_load_dword v1, v0, s[20:21] offset:156
	s_waitcnt vmcnt(0)
	v_add_nc_u32_e32 v1, -1, v1
	v_cmp_eq_u32_e32 vcc_lo, 39, v1
	s_cbranch_vccnz .LBB54_374
; %bb.373:
	v_lshlrev_b32_e32 v1, 4, v1
	v_mov_b32_e32 v2, s27
	v_add_nc_u32_e32 v1, 16, v1
	s_clause 0x7
	buffer_load_dword v3, v1, s[0:3], 0 offen
	buffer_load_dword v4, v1, s[0:3], 0 offen offset:4
	buffer_load_dword v5, v1, s[0:3], 0 offen offset:8
	;; [unrolled: 1-line block ×6, first 2 shown]
	buffer_load_dword v10, v2, s[0:3], 0 offen
	s_waitcnt vmcnt(7)
	buffer_store_dword v3, v2, s[0:3], 0 offen
	s_waitcnt vmcnt(6)
	buffer_store_dword v4, v2, s[0:3], 0 offen offset:4
	s_waitcnt vmcnt(5)
	buffer_store_dword v5, v2, s[0:3], 0 offen offset:8
	s_waitcnt vmcnt(4)
	buffer_store_dword v6, v2, s[0:3], 0 offen offset:12
	s_waitcnt vmcnt(3)
	buffer_store_dword v7, v1, s[0:3], 0 offen offset:12
	s_waitcnt vmcnt(2)
	buffer_store_dword v8, v1, s[0:3], 0 offen offset:8
	s_waitcnt vmcnt(1)
	buffer_store_dword v9, v1, s[0:3], 0 offen offset:4
	s_waitcnt vmcnt(0)
	buffer_store_dword v10, v1, s[0:3], 0 offen
.LBB54_374:
	global_load_dword v0, v0, s[20:21] offset:152
	s_waitcnt vmcnt(0)
	v_add_nc_u32_e32 v0, -1, v0
	v_cmp_eq_u32_e32 vcc_lo, 38, v0
	s_cbranch_vccnz .LBB54_376
; %bb.375:
	v_lshlrev_b32_e32 v0, 4, v0
	v_mov_b32_e32 v1, s28
	v_add_nc_u32_e32 v0, 16, v0
	s_clause 0x7
	buffer_load_dword v2, v0, s[0:3], 0 offen
	buffer_load_dword v3, v0, s[0:3], 0 offen offset:4
	buffer_load_dword v4, v0, s[0:3], 0 offen offset:8
	;; [unrolled: 1-line block ×6, first 2 shown]
	buffer_load_dword v9, v1, s[0:3], 0 offen
	s_waitcnt vmcnt(7)
	buffer_store_dword v2, v1, s[0:3], 0 offen
	s_waitcnt vmcnt(6)
	buffer_store_dword v3, v1, s[0:3], 0 offen offset:4
	s_waitcnt vmcnt(5)
	buffer_store_dword v4, v1, s[0:3], 0 offen offset:8
	s_waitcnt vmcnt(4)
	buffer_store_dword v5, v1, s[0:3], 0 offen offset:12
	s_waitcnt vmcnt(3)
	buffer_store_dword v6, v0, s[0:3], 0 offen offset:12
	s_waitcnt vmcnt(2)
	buffer_store_dword v7, v0, s[0:3], 0 offen offset:8
	s_waitcnt vmcnt(1)
	buffer_store_dword v8, v0, s[0:3], 0 offen offset:4
	s_waitcnt vmcnt(0)
	buffer_store_dword v9, v0, s[0:3], 0 offen
.LBB54_376:
	v_mov_b32_e32 v0, 0
	global_load_dword v1, v0, s[20:21] offset:148
	s_waitcnt vmcnt(0)
	v_add_nc_u32_e32 v1, -1, v1
	v_cmp_eq_u32_e32 vcc_lo, 37, v1
	s_cbranch_vccnz .LBB54_378
; %bb.377:
	v_lshlrev_b32_e32 v1, 4, v1
	v_mov_b32_e32 v2, s29
	v_add_nc_u32_e32 v1, 16, v1
	s_clause 0x7
	buffer_load_dword v3, v1, s[0:3], 0 offen
	buffer_load_dword v4, v1, s[0:3], 0 offen offset:4
	buffer_load_dword v5, v1, s[0:3], 0 offen offset:8
	;; [unrolled: 1-line block ×6, first 2 shown]
	buffer_load_dword v10, v2, s[0:3], 0 offen
	s_waitcnt vmcnt(7)
	buffer_store_dword v3, v2, s[0:3], 0 offen
	s_waitcnt vmcnt(6)
	buffer_store_dword v4, v2, s[0:3], 0 offen offset:4
	s_waitcnt vmcnt(5)
	buffer_store_dword v5, v2, s[0:3], 0 offen offset:8
	;; [unrolled: 2-line block ×6, first 2 shown]
	s_waitcnt vmcnt(0)
	buffer_store_dword v10, v1, s[0:3], 0 offen
.LBB54_378:
	global_load_dword v0, v0, s[20:21] offset:144
	s_waitcnt vmcnt(0)
	v_add_nc_u32_e32 v0, -1, v0
	v_cmp_eq_u32_e32 vcc_lo, 36, v0
	s_cbranch_vccnz .LBB54_380
; %bb.379:
	v_lshlrev_b32_e32 v0, 4, v0
	v_mov_b32_e32 v1, s30
	v_add_nc_u32_e32 v0, 16, v0
	s_clause 0x7
	buffer_load_dword v2, v0, s[0:3], 0 offen
	buffer_load_dword v3, v0, s[0:3], 0 offen offset:4
	buffer_load_dword v4, v0, s[0:3], 0 offen offset:8
	;; [unrolled: 1-line block ×6, first 2 shown]
	buffer_load_dword v9, v1, s[0:3], 0 offen
	s_waitcnt vmcnt(7)
	buffer_store_dword v2, v1, s[0:3], 0 offen
	s_waitcnt vmcnt(6)
	buffer_store_dword v3, v1, s[0:3], 0 offen offset:4
	s_waitcnt vmcnt(5)
	buffer_store_dword v4, v1, s[0:3], 0 offen offset:8
	;; [unrolled: 2-line block ×6, first 2 shown]
	s_waitcnt vmcnt(0)
	buffer_store_dword v9, v0, s[0:3], 0 offen
.LBB54_380:
	v_mov_b32_e32 v0, 0
	global_load_dword v1, v0, s[20:21] offset:140
	s_waitcnt vmcnt(0)
	v_add_nc_u32_e32 v1, -1, v1
	v_cmp_eq_u32_e32 vcc_lo, 35, v1
	s_cbranch_vccnz .LBB54_382
; %bb.381:
	v_lshlrev_b32_e32 v1, 4, v1
	v_mov_b32_e32 v2, s31
	v_add_nc_u32_e32 v1, 16, v1
	s_clause 0x7
	buffer_load_dword v3, v1, s[0:3], 0 offen
	buffer_load_dword v4, v1, s[0:3], 0 offen offset:4
	buffer_load_dword v5, v1, s[0:3], 0 offen offset:8
	;; [unrolled: 1-line block ×6, first 2 shown]
	buffer_load_dword v10, v2, s[0:3], 0 offen
	s_waitcnt vmcnt(7)
	buffer_store_dword v3, v2, s[0:3], 0 offen
	s_waitcnt vmcnt(6)
	buffer_store_dword v4, v2, s[0:3], 0 offen offset:4
	s_waitcnt vmcnt(5)
	buffer_store_dword v5, v2, s[0:3], 0 offen offset:8
	;; [unrolled: 2-line block ×6, first 2 shown]
	s_waitcnt vmcnt(0)
	buffer_store_dword v10, v1, s[0:3], 0 offen
.LBB54_382:
	global_load_dword v0, v0, s[20:21] offset:136
	s_waitcnt vmcnt(0)
	v_add_nc_u32_e32 v0, -1, v0
	v_cmp_eq_u32_e32 vcc_lo, 34, v0
	s_cbranch_vccnz .LBB54_384
; %bb.383:
	v_lshlrev_b32_e32 v0, 4, v0
	v_mov_b32_e32 v1, s33
	v_add_nc_u32_e32 v0, 16, v0
	s_clause 0x7
	buffer_load_dword v2, v0, s[0:3], 0 offen
	buffer_load_dword v3, v0, s[0:3], 0 offen offset:4
	buffer_load_dword v4, v0, s[0:3], 0 offen offset:8
	;; [unrolled: 1-line block ×6, first 2 shown]
	buffer_load_dword v9, v1, s[0:3], 0 offen
	s_waitcnt vmcnt(7)
	buffer_store_dword v2, v1, s[0:3], 0 offen
	s_waitcnt vmcnt(6)
	buffer_store_dword v3, v1, s[0:3], 0 offen offset:4
	s_waitcnt vmcnt(5)
	buffer_store_dword v4, v1, s[0:3], 0 offen offset:8
	;; [unrolled: 2-line block ×6, first 2 shown]
	s_waitcnt vmcnt(0)
	buffer_store_dword v9, v0, s[0:3], 0 offen
.LBB54_384:
	v_mov_b32_e32 v0, 0
	global_load_dword v1, v0, s[20:21] offset:132
	s_waitcnt vmcnt(0)
	v_add_nc_u32_e32 v1, -1, v1
	v_cmp_eq_u32_e32 vcc_lo, 33, v1
	s_cbranch_vccnz .LBB54_386
; %bb.385:
	v_lshlrev_b32_e32 v1, 4, v1
	v_mov_b32_e32 v2, s34
	v_add_nc_u32_e32 v1, 16, v1
	s_clause 0x7
	buffer_load_dword v3, v1, s[0:3], 0 offen
	buffer_load_dword v4, v1, s[0:3], 0 offen offset:4
	buffer_load_dword v5, v1, s[0:3], 0 offen offset:8
	buffer_load_dword v6, v1, s[0:3], 0 offen offset:12
	buffer_load_dword v7, v2, s[0:3], 0 offen offset:12
	buffer_load_dword v8, v2, s[0:3], 0 offen offset:8
	buffer_load_dword v9, v2, s[0:3], 0 offen offset:4
	buffer_load_dword v10, v2, s[0:3], 0 offen
	s_waitcnt vmcnt(7)
	buffer_store_dword v3, v2, s[0:3], 0 offen
	s_waitcnt vmcnt(6)
	buffer_store_dword v4, v2, s[0:3], 0 offen offset:4
	s_waitcnt vmcnt(5)
	buffer_store_dword v5, v2, s[0:3], 0 offen offset:8
	;; [unrolled: 2-line block ×6, first 2 shown]
	s_waitcnt vmcnt(0)
	buffer_store_dword v10, v1, s[0:3], 0 offen
.LBB54_386:
	global_load_dword v0, v0, s[20:21] offset:128
	s_waitcnt vmcnt(0)
	v_add_nc_u32_e32 v0, -1, v0
	v_cmp_eq_u32_e32 vcc_lo, 32, v0
	s_cbranch_vccnz .LBB54_388
; %bb.387:
	v_lshlrev_b32_e32 v0, 4, v0
	v_mov_b32_e32 v1, s35
	v_add_nc_u32_e32 v0, 16, v0
	s_clause 0x7
	buffer_load_dword v2, v0, s[0:3], 0 offen
	buffer_load_dword v3, v0, s[0:3], 0 offen offset:4
	buffer_load_dword v4, v0, s[0:3], 0 offen offset:8
	;; [unrolled: 1-line block ×6, first 2 shown]
	buffer_load_dword v9, v1, s[0:3], 0 offen
	s_waitcnt vmcnt(7)
	buffer_store_dword v2, v1, s[0:3], 0 offen
	s_waitcnt vmcnt(6)
	buffer_store_dword v3, v1, s[0:3], 0 offen offset:4
	s_waitcnt vmcnt(5)
	buffer_store_dword v4, v1, s[0:3], 0 offen offset:8
	;; [unrolled: 2-line block ×6, first 2 shown]
	s_waitcnt vmcnt(0)
	buffer_store_dword v9, v0, s[0:3], 0 offen
.LBB54_388:
	v_mov_b32_e32 v0, 0
	global_load_dword v1, v0, s[20:21] offset:124
	s_waitcnt vmcnt(0)
	v_add_nc_u32_e32 v1, -1, v1
	v_cmp_eq_u32_e32 vcc_lo, 31, v1
	s_cbranch_vccnz .LBB54_390
; %bb.389:
	v_lshlrev_b32_e32 v1, 4, v1
	v_mov_b32_e32 v2, s36
	v_add_nc_u32_e32 v1, 16, v1
	s_clause 0x7
	buffer_load_dword v3, v1, s[0:3], 0 offen
	buffer_load_dword v4, v1, s[0:3], 0 offen offset:4
	buffer_load_dword v5, v1, s[0:3], 0 offen offset:8
	;; [unrolled: 1-line block ×6, first 2 shown]
	buffer_load_dword v10, v2, s[0:3], 0 offen
	s_waitcnt vmcnt(7)
	buffer_store_dword v3, v2, s[0:3], 0 offen
	s_waitcnt vmcnt(6)
	buffer_store_dword v4, v2, s[0:3], 0 offen offset:4
	s_waitcnt vmcnt(5)
	buffer_store_dword v5, v2, s[0:3], 0 offen offset:8
	s_waitcnt vmcnt(4)
	buffer_store_dword v6, v2, s[0:3], 0 offen offset:12
	s_waitcnt vmcnt(3)
	buffer_store_dword v7, v1, s[0:3], 0 offen offset:12
	s_waitcnt vmcnt(2)
	buffer_store_dword v8, v1, s[0:3], 0 offen offset:8
	s_waitcnt vmcnt(1)
	buffer_store_dword v9, v1, s[0:3], 0 offen offset:4
	s_waitcnt vmcnt(0)
	buffer_store_dword v10, v1, s[0:3], 0 offen
.LBB54_390:
	global_load_dword v0, v0, s[20:21] offset:120
	s_waitcnt vmcnt(0)
	v_add_nc_u32_e32 v0, -1, v0
	v_cmp_eq_u32_e32 vcc_lo, 30, v0
	s_cbranch_vccnz .LBB54_392
; %bb.391:
	v_lshlrev_b32_e32 v0, 4, v0
	v_mov_b32_e32 v1, s37
	v_add_nc_u32_e32 v0, 16, v0
	s_clause 0x7
	buffer_load_dword v2, v0, s[0:3], 0 offen
	buffer_load_dword v3, v0, s[0:3], 0 offen offset:4
	buffer_load_dword v4, v0, s[0:3], 0 offen offset:8
	;; [unrolled: 1-line block ×6, first 2 shown]
	buffer_load_dword v9, v1, s[0:3], 0 offen
	s_waitcnt vmcnt(7)
	buffer_store_dword v2, v1, s[0:3], 0 offen
	s_waitcnt vmcnt(6)
	buffer_store_dword v3, v1, s[0:3], 0 offen offset:4
	s_waitcnt vmcnt(5)
	buffer_store_dword v4, v1, s[0:3], 0 offen offset:8
	;; [unrolled: 2-line block ×6, first 2 shown]
	s_waitcnt vmcnt(0)
	buffer_store_dword v9, v0, s[0:3], 0 offen
.LBB54_392:
	v_mov_b32_e32 v0, 0
	global_load_dword v1, v0, s[20:21] offset:116
	s_waitcnt vmcnt(0)
	v_add_nc_u32_e32 v1, -1, v1
	v_cmp_eq_u32_e32 vcc_lo, 29, v1
	s_cbranch_vccnz .LBB54_394
; %bb.393:
	v_lshlrev_b32_e32 v1, 4, v1
	v_mov_b32_e32 v2, s38
	v_add_nc_u32_e32 v1, 16, v1
	s_clause 0x7
	buffer_load_dword v3, v1, s[0:3], 0 offen
	buffer_load_dword v4, v1, s[0:3], 0 offen offset:4
	buffer_load_dword v5, v1, s[0:3], 0 offen offset:8
	;; [unrolled: 1-line block ×6, first 2 shown]
	buffer_load_dword v10, v2, s[0:3], 0 offen
	s_waitcnt vmcnt(7)
	buffer_store_dword v3, v2, s[0:3], 0 offen
	s_waitcnt vmcnt(6)
	buffer_store_dword v4, v2, s[0:3], 0 offen offset:4
	s_waitcnt vmcnt(5)
	buffer_store_dword v5, v2, s[0:3], 0 offen offset:8
	;; [unrolled: 2-line block ×6, first 2 shown]
	s_waitcnt vmcnt(0)
	buffer_store_dword v10, v1, s[0:3], 0 offen
.LBB54_394:
	global_load_dword v0, v0, s[20:21] offset:112
	s_waitcnt vmcnt(0)
	v_add_nc_u32_e32 v0, -1, v0
	v_cmp_eq_u32_e32 vcc_lo, 28, v0
	s_cbranch_vccnz .LBB54_396
; %bb.395:
	v_lshlrev_b32_e32 v0, 4, v0
	v_mov_b32_e32 v1, s39
	v_add_nc_u32_e32 v0, 16, v0
	s_clause 0x7
	buffer_load_dword v2, v0, s[0:3], 0 offen
	buffer_load_dword v3, v0, s[0:3], 0 offen offset:4
	buffer_load_dword v4, v0, s[0:3], 0 offen offset:8
	;; [unrolled: 1-line block ×6, first 2 shown]
	buffer_load_dword v9, v1, s[0:3], 0 offen
	s_waitcnt vmcnt(7)
	buffer_store_dword v2, v1, s[0:3], 0 offen
	s_waitcnt vmcnt(6)
	buffer_store_dword v3, v1, s[0:3], 0 offen offset:4
	s_waitcnt vmcnt(5)
	buffer_store_dword v4, v1, s[0:3], 0 offen offset:8
	;; [unrolled: 2-line block ×6, first 2 shown]
	s_waitcnt vmcnt(0)
	buffer_store_dword v9, v0, s[0:3], 0 offen
.LBB54_396:
	v_mov_b32_e32 v0, 0
	global_load_dword v1, v0, s[20:21] offset:108
	s_waitcnt vmcnt(0)
	v_add_nc_u32_e32 v1, -1, v1
	v_cmp_eq_u32_e32 vcc_lo, 27, v1
	s_cbranch_vccnz .LBB54_398
; %bb.397:
	v_lshlrev_b32_e32 v1, 4, v1
	v_mov_b32_e32 v2, s40
	v_add_nc_u32_e32 v1, 16, v1
	s_clause 0x7
	buffer_load_dword v3, v1, s[0:3], 0 offen
	buffer_load_dword v4, v1, s[0:3], 0 offen offset:4
	buffer_load_dword v5, v1, s[0:3], 0 offen offset:8
	;; [unrolled: 1-line block ×6, first 2 shown]
	buffer_load_dword v10, v2, s[0:3], 0 offen
	s_waitcnt vmcnt(7)
	buffer_store_dword v3, v2, s[0:3], 0 offen
	s_waitcnt vmcnt(6)
	buffer_store_dword v4, v2, s[0:3], 0 offen offset:4
	s_waitcnt vmcnt(5)
	buffer_store_dword v5, v2, s[0:3], 0 offen offset:8
	;; [unrolled: 2-line block ×6, first 2 shown]
	s_waitcnt vmcnt(0)
	buffer_store_dword v10, v1, s[0:3], 0 offen
.LBB54_398:
	global_load_dword v0, v0, s[20:21] offset:104
	s_waitcnt vmcnt(0)
	v_add_nc_u32_e32 v0, -1, v0
	v_cmp_eq_u32_e32 vcc_lo, 26, v0
	s_cbranch_vccnz .LBB54_400
; %bb.399:
	v_lshlrev_b32_e32 v0, 4, v0
	v_mov_b32_e32 v1, s41
	v_add_nc_u32_e32 v0, 16, v0
	s_clause 0x7
	buffer_load_dword v2, v0, s[0:3], 0 offen
	buffer_load_dword v3, v0, s[0:3], 0 offen offset:4
	buffer_load_dword v4, v0, s[0:3], 0 offen offset:8
	;; [unrolled: 1-line block ×6, first 2 shown]
	buffer_load_dword v9, v1, s[0:3], 0 offen
	s_waitcnt vmcnt(7)
	buffer_store_dword v2, v1, s[0:3], 0 offen
	s_waitcnt vmcnt(6)
	buffer_store_dword v3, v1, s[0:3], 0 offen offset:4
	s_waitcnt vmcnt(5)
	buffer_store_dword v4, v1, s[0:3], 0 offen offset:8
	;; [unrolled: 2-line block ×6, first 2 shown]
	s_waitcnt vmcnt(0)
	buffer_store_dword v9, v0, s[0:3], 0 offen
.LBB54_400:
	v_mov_b32_e32 v0, 0
	global_load_dword v1, v0, s[20:21] offset:100
	s_waitcnt vmcnt(0)
	v_add_nc_u32_e32 v1, -1, v1
	v_cmp_eq_u32_e32 vcc_lo, 25, v1
	s_cbranch_vccnz .LBB54_402
; %bb.401:
	v_lshlrev_b32_e32 v1, 4, v1
	v_mov_b32_e32 v2, s42
	v_add_nc_u32_e32 v1, 16, v1
	s_clause 0x7
	buffer_load_dword v3, v1, s[0:3], 0 offen
	buffer_load_dword v4, v1, s[0:3], 0 offen offset:4
	buffer_load_dword v5, v1, s[0:3], 0 offen offset:8
	;; [unrolled: 1-line block ×6, first 2 shown]
	buffer_load_dword v10, v2, s[0:3], 0 offen
	s_waitcnt vmcnt(7)
	buffer_store_dword v3, v2, s[0:3], 0 offen
	s_waitcnt vmcnt(6)
	buffer_store_dword v4, v2, s[0:3], 0 offen offset:4
	s_waitcnt vmcnt(5)
	buffer_store_dword v5, v2, s[0:3], 0 offen offset:8
	;; [unrolled: 2-line block ×6, first 2 shown]
	s_waitcnt vmcnt(0)
	buffer_store_dword v10, v1, s[0:3], 0 offen
.LBB54_402:
	global_load_dword v0, v0, s[20:21] offset:96
	s_waitcnt vmcnt(0)
	v_add_nc_u32_e32 v0, -1, v0
	v_cmp_eq_u32_e32 vcc_lo, 24, v0
	s_cbranch_vccnz .LBB54_404
; %bb.403:
	v_lshlrev_b32_e32 v0, 4, v0
	v_mov_b32_e32 v1, s43
	v_add_nc_u32_e32 v0, 16, v0
	s_clause 0x7
	buffer_load_dword v2, v0, s[0:3], 0 offen
	buffer_load_dword v3, v0, s[0:3], 0 offen offset:4
	buffer_load_dword v4, v0, s[0:3], 0 offen offset:8
	;; [unrolled: 1-line block ×6, first 2 shown]
	buffer_load_dword v9, v1, s[0:3], 0 offen
	s_waitcnt vmcnt(7)
	buffer_store_dword v2, v1, s[0:3], 0 offen
	s_waitcnt vmcnt(6)
	buffer_store_dword v3, v1, s[0:3], 0 offen offset:4
	s_waitcnt vmcnt(5)
	buffer_store_dword v4, v1, s[0:3], 0 offen offset:8
	;; [unrolled: 2-line block ×6, first 2 shown]
	s_waitcnt vmcnt(0)
	buffer_store_dword v9, v0, s[0:3], 0 offen
.LBB54_404:
	v_mov_b32_e32 v0, 0
	global_load_dword v1, v0, s[20:21] offset:92
	s_waitcnt vmcnt(0)
	v_add_nc_u32_e32 v1, -1, v1
	v_cmp_eq_u32_e32 vcc_lo, 23, v1
	s_cbranch_vccnz .LBB54_406
; %bb.405:
	v_lshlrev_b32_e32 v1, 4, v1
	v_mov_b32_e32 v2, s44
	v_add_nc_u32_e32 v1, 16, v1
	s_clause 0x7
	buffer_load_dword v3, v1, s[0:3], 0 offen
	buffer_load_dword v4, v1, s[0:3], 0 offen offset:4
	buffer_load_dword v5, v1, s[0:3], 0 offen offset:8
	;; [unrolled: 1-line block ×6, first 2 shown]
	buffer_load_dword v10, v2, s[0:3], 0 offen
	s_waitcnt vmcnt(7)
	buffer_store_dword v3, v2, s[0:3], 0 offen
	s_waitcnt vmcnt(6)
	buffer_store_dword v4, v2, s[0:3], 0 offen offset:4
	s_waitcnt vmcnt(5)
	buffer_store_dword v5, v2, s[0:3], 0 offen offset:8
	;; [unrolled: 2-line block ×6, first 2 shown]
	s_waitcnt vmcnt(0)
	buffer_store_dword v10, v1, s[0:3], 0 offen
.LBB54_406:
	global_load_dword v0, v0, s[20:21] offset:88
	s_waitcnt vmcnt(0)
	v_add_nc_u32_e32 v0, -1, v0
	v_cmp_eq_u32_e32 vcc_lo, 22, v0
	s_cbranch_vccnz .LBB54_408
; %bb.407:
	v_lshlrev_b32_e32 v0, 4, v0
	v_mov_b32_e32 v1, s45
	v_add_nc_u32_e32 v0, 16, v0
	s_clause 0x7
	buffer_load_dword v2, v0, s[0:3], 0 offen
	buffer_load_dword v3, v0, s[0:3], 0 offen offset:4
	buffer_load_dword v4, v0, s[0:3], 0 offen offset:8
	;; [unrolled: 1-line block ×6, first 2 shown]
	buffer_load_dword v9, v1, s[0:3], 0 offen
	s_waitcnt vmcnt(7)
	buffer_store_dword v2, v1, s[0:3], 0 offen
	s_waitcnt vmcnt(6)
	buffer_store_dword v3, v1, s[0:3], 0 offen offset:4
	s_waitcnt vmcnt(5)
	buffer_store_dword v4, v1, s[0:3], 0 offen offset:8
	;; [unrolled: 2-line block ×6, first 2 shown]
	s_waitcnt vmcnt(0)
	buffer_store_dword v9, v0, s[0:3], 0 offen
.LBB54_408:
	v_mov_b32_e32 v0, 0
	global_load_dword v1, v0, s[20:21] offset:84
	s_waitcnt vmcnt(0)
	v_add_nc_u32_e32 v1, -1, v1
	v_cmp_eq_u32_e32 vcc_lo, 21, v1
	s_cbranch_vccnz .LBB54_410
; %bb.409:
	v_lshlrev_b32_e32 v1, 4, v1
	v_mov_b32_e32 v2, s46
	v_add_nc_u32_e32 v1, 16, v1
	s_clause 0x7
	buffer_load_dword v3, v1, s[0:3], 0 offen
	buffer_load_dword v4, v1, s[0:3], 0 offen offset:4
	buffer_load_dword v5, v1, s[0:3], 0 offen offset:8
	buffer_load_dword v6, v1, s[0:3], 0 offen offset:12
	buffer_load_dword v7, v2, s[0:3], 0 offen offset:12
	buffer_load_dword v8, v2, s[0:3], 0 offen offset:8
	buffer_load_dword v9, v2, s[0:3], 0 offen offset:4
	buffer_load_dword v10, v2, s[0:3], 0 offen
	s_waitcnt vmcnt(7)
	buffer_store_dword v3, v2, s[0:3], 0 offen
	s_waitcnt vmcnt(6)
	buffer_store_dword v4, v2, s[0:3], 0 offen offset:4
	s_waitcnt vmcnt(5)
	buffer_store_dword v5, v2, s[0:3], 0 offen offset:8
	;; [unrolled: 2-line block ×6, first 2 shown]
	s_waitcnt vmcnt(0)
	buffer_store_dword v10, v1, s[0:3], 0 offen
.LBB54_410:
	global_load_dword v0, v0, s[20:21] offset:80
	s_waitcnt vmcnt(0)
	v_add_nc_u32_e32 v0, -1, v0
	v_cmp_eq_u32_e32 vcc_lo, 20, v0
	s_cbranch_vccnz .LBB54_412
; %bb.411:
	v_lshlrev_b32_e32 v0, 4, v0
	v_mov_b32_e32 v1, s47
	v_add_nc_u32_e32 v0, 16, v0
	s_clause 0x7
	buffer_load_dword v2, v0, s[0:3], 0 offen
	buffer_load_dword v3, v0, s[0:3], 0 offen offset:4
	buffer_load_dword v4, v0, s[0:3], 0 offen offset:8
	;; [unrolled: 1-line block ×6, first 2 shown]
	buffer_load_dword v9, v1, s[0:3], 0 offen
	s_waitcnt vmcnt(7)
	buffer_store_dword v2, v1, s[0:3], 0 offen
	s_waitcnt vmcnt(6)
	buffer_store_dword v3, v1, s[0:3], 0 offen offset:4
	s_waitcnt vmcnt(5)
	buffer_store_dword v4, v1, s[0:3], 0 offen offset:8
	;; [unrolled: 2-line block ×6, first 2 shown]
	s_waitcnt vmcnt(0)
	buffer_store_dword v9, v0, s[0:3], 0 offen
.LBB54_412:
	v_mov_b32_e32 v0, 0
	global_load_dword v1, v0, s[20:21] offset:76
	s_waitcnt vmcnt(0)
	v_add_nc_u32_e32 v1, -1, v1
	v_cmp_eq_u32_e32 vcc_lo, 19, v1
	s_cbranch_vccnz .LBB54_414
; %bb.413:
	v_lshlrev_b32_e32 v1, 4, v1
	v_mov_b32_e32 v2, s48
	v_add_nc_u32_e32 v1, 16, v1
	s_clause 0x7
	buffer_load_dword v3, v1, s[0:3], 0 offen
	buffer_load_dword v4, v1, s[0:3], 0 offen offset:4
	buffer_load_dword v5, v1, s[0:3], 0 offen offset:8
	;; [unrolled: 1-line block ×6, first 2 shown]
	buffer_load_dword v10, v2, s[0:3], 0 offen
	s_waitcnt vmcnt(7)
	buffer_store_dword v3, v2, s[0:3], 0 offen
	s_waitcnt vmcnt(6)
	buffer_store_dword v4, v2, s[0:3], 0 offen offset:4
	s_waitcnt vmcnt(5)
	buffer_store_dword v5, v2, s[0:3], 0 offen offset:8
	;; [unrolled: 2-line block ×6, first 2 shown]
	s_waitcnt vmcnt(0)
	buffer_store_dword v10, v1, s[0:3], 0 offen
.LBB54_414:
	global_load_dword v0, v0, s[20:21] offset:72
	s_waitcnt vmcnt(0)
	v_add_nc_u32_e32 v0, -1, v0
	v_cmp_eq_u32_e32 vcc_lo, 18, v0
	s_cbranch_vccnz .LBB54_416
; %bb.415:
	v_lshlrev_b32_e32 v0, 4, v0
	v_mov_b32_e32 v1, s49
	v_add_nc_u32_e32 v0, 16, v0
	s_clause 0x7
	buffer_load_dword v2, v0, s[0:3], 0 offen
	buffer_load_dword v3, v0, s[0:3], 0 offen offset:4
	buffer_load_dword v4, v0, s[0:3], 0 offen offset:8
	;; [unrolled: 1-line block ×6, first 2 shown]
	buffer_load_dword v9, v1, s[0:3], 0 offen
	s_waitcnt vmcnt(7)
	buffer_store_dword v2, v1, s[0:3], 0 offen
	s_waitcnt vmcnt(6)
	buffer_store_dword v3, v1, s[0:3], 0 offen offset:4
	s_waitcnt vmcnt(5)
	buffer_store_dword v4, v1, s[0:3], 0 offen offset:8
	;; [unrolled: 2-line block ×6, first 2 shown]
	s_waitcnt vmcnt(0)
	buffer_store_dword v9, v0, s[0:3], 0 offen
.LBB54_416:
	v_mov_b32_e32 v0, 0
	global_load_dword v1, v0, s[20:21] offset:68
	s_waitcnt vmcnt(0)
	v_add_nc_u32_e32 v1, -1, v1
	v_cmp_eq_u32_e32 vcc_lo, 17, v1
	s_cbranch_vccnz .LBB54_418
; %bb.417:
	v_lshlrev_b32_e32 v1, 4, v1
	v_mov_b32_e32 v2, s50
	v_add_nc_u32_e32 v1, 16, v1
	s_clause 0x7
	buffer_load_dword v3, v1, s[0:3], 0 offen
	buffer_load_dword v4, v1, s[0:3], 0 offen offset:4
	buffer_load_dword v5, v1, s[0:3], 0 offen offset:8
	;; [unrolled: 1-line block ×6, first 2 shown]
	buffer_load_dword v10, v2, s[0:3], 0 offen
	s_waitcnt vmcnt(7)
	buffer_store_dword v3, v2, s[0:3], 0 offen
	s_waitcnt vmcnt(6)
	buffer_store_dword v4, v2, s[0:3], 0 offen offset:4
	s_waitcnt vmcnt(5)
	buffer_store_dword v5, v2, s[0:3], 0 offen offset:8
	s_waitcnt vmcnt(4)
	buffer_store_dword v6, v2, s[0:3], 0 offen offset:12
	s_waitcnt vmcnt(3)
	buffer_store_dword v7, v1, s[0:3], 0 offen offset:12
	s_waitcnt vmcnt(2)
	buffer_store_dword v8, v1, s[0:3], 0 offen offset:8
	s_waitcnt vmcnt(1)
	buffer_store_dword v9, v1, s[0:3], 0 offen offset:4
	s_waitcnt vmcnt(0)
	buffer_store_dword v10, v1, s[0:3], 0 offen
.LBB54_418:
	global_load_dword v0, v0, s[20:21] offset:64
	s_waitcnt vmcnt(0)
	v_add_nc_u32_e32 v0, -1, v0
	v_cmp_eq_u32_e32 vcc_lo, 16, v0
	s_cbranch_vccnz .LBB54_420
; %bb.419:
	v_lshlrev_b32_e32 v0, 4, v0
	v_mov_b32_e32 v1, s51
	v_add_nc_u32_e32 v0, 16, v0
	s_clause 0x7
	buffer_load_dword v2, v0, s[0:3], 0 offen
	buffer_load_dword v3, v0, s[0:3], 0 offen offset:4
	buffer_load_dword v4, v0, s[0:3], 0 offen offset:8
	;; [unrolled: 1-line block ×6, first 2 shown]
	buffer_load_dword v9, v1, s[0:3], 0 offen
	s_waitcnt vmcnt(7)
	buffer_store_dword v2, v1, s[0:3], 0 offen
	s_waitcnt vmcnt(6)
	buffer_store_dword v3, v1, s[0:3], 0 offen offset:4
	s_waitcnt vmcnt(5)
	buffer_store_dword v4, v1, s[0:3], 0 offen offset:8
	;; [unrolled: 2-line block ×6, first 2 shown]
	s_waitcnt vmcnt(0)
	buffer_store_dword v9, v0, s[0:3], 0 offen
.LBB54_420:
	v_mov_b32_e32 v0, 0
	global_load_dword v1, v0, s[20:21] offset:60
	s_waitcnt vmcnt(0)
	v_add_nc_u32_e32 v1, -1, v1
	v_cmp_eq_u32_e32 vcc_lo, 15, v1
	s_cbranch_vccnz .LBB54_422
; %bb.421:
	v_lshlrev_b32_e32 v1, 4, v1
	v_mov_b32_e32 v2, s52
	v_add_nc_u32_e32 v1, 16, v1
	s_clause 0x7
	buffer_load_dword v3, v1, s[0:3], 0 offen
	buffer_load_dword v4, v1, s[0:3], 0 offen offset:4
	buffer_load_dword v5, v1, s[0:3], 0 offen offset:8
	;; [unrolled: 1-line block ×6, first 2 shown]
	buffer_load_dword v10, v2, s[0:3], 0 offen
	s_waitcnt vmcnt(7)
	buffer_store_dword v3, v2, s[0:3], 0 offen
	s_waitcnt vmcnt(6)
	buffer_store_dword v4, v2, s[0:3], 0 offen offset:4
	s_waitcnt vmcnt(5)
	buffer_store_dword v5, v2, s[0:3], 0 offen offset:8
	;; [unrolled: 2-line block ×6, first 2 shown]
	s_waitcnt vmcnt(0)
	buffer_store_dword v10, v1, s[0:3], 0 offen
.LBB54_422:
	global_load_dword v0, v0, s[20:21] offset:56
	s_waitcnt vmcnt(0)
	v_add_nc_u32_e32 v0, -1, v0
	v_cmp_eq_u32_e32 vcc_lo, 14, v0
	s_cbranch_vccnz .LBB54_424
; %bb.423:
	v_lshlrev_b32_e32 v0, 4, v0
	v_mov_b32_e32 v1, s53
	v_add_nc_u32_e32 v0, 16, v0
	s_clause 0x7
	buffer_load_dword v2, v0, s[0:3], 0 offen
	buffer_load_dword v3, v0, s[0:3], 0 offen offset:4
	buffer_load_dword v4, v0, s[0:3], 0 offen offset:8
	;; [unrolled: 1-line block ×6, first 2 shown]
	buffer_load_dword v9, v1, s[0:3], 0 offen
	s_waitcnt vmcnt(7)
	buffer_store_dword v2, v1, s[0:3], 0 offen
	s_waitcnt vmcnt(6)
	buffer_store_dword v3, v1, s[0:3], 0 offen offset:4
	s_waitcnt vmcnt(5)
	buffer_store_dword v4, v1, s[0:3], 0 offen offset:8
	;; [unrolled: 2-line block ×6, first 2 shown]
	s_waitcnt vmcnt(0)
	buffer_store_dword v9, v0, s[0:3], 0 offen
.LBB54_424:
	v_mov_b32_e32 v0, 0
	global_load_dword v1, v0, s[20:21] offset:52
	s_waitcnt vmcnt(0)
	v_add_nc_u32_e32 v1, -1, v1
	v_cmp_eq_u32_e32 vcc_lo, 13, v1
	s_cbranch_vccnz .LBB54_426
; %bb.425:
	v_lshlrev_b32_e32 v1, 4, v1
	v_mov_b32_e32 v2, s54
	v_add_nc_u32_e32 v1, 16, v1
	s_clause 0x7
	buffer_load_dword v3, v1, s[0:3], 0 offen
	buffer_load_dword v4, v1, s[0:3], 0 offen offset:4
	buffer_load_dword v5, v1, s[0:3], 0 offen offset:8
	;; [unrolled: 1-line block ×6, first 2 shown]
	buffer_load_dword v10, v2, s[0:3], 0 offen
	s_waitcnt vmcnt(7)
	buffer_store_dword v3, v2, s[0:3], 0 offen
	s_waitcnt vmcnt(6)
	buffer_store_dword v4, v2, s[0:3], 0 offen offset:4
	s_waitcnt vmcnt(5)
	buffer_store_dword v5, v2, s[0:3], 0 offen offset:8
	;; [unrolled: 2-line block ×6, first 2 shown]
	s_waitcnt vmcnt(0)
	buffer_store_dword v10, v1, s[0:3], 0 offen
.LBB54_426:
	global_load_dword v0, v0, s[20:21] offset:48
	s_waitcnt vmcnt(0)
	v_add_nc_u32_e32 v0, -1, v0
	v_cmp_eq_u32_e32 vcc_lo, 12, v0
	s_cbranch_vccnz .LBB54_428
; %bb.427:
	v_lshlrev_b32_e32 v0, 4, v0
	v_mov_b32_e32 v1, s55
	v_add_nc_u32_e32 v0, 16, v0
	s_clause 0x7
	buffer_load_dword v2, v0, s[0:3], 0 offen
	buffer_load_dword v3, v0, s[0:3], 0 offen offset:4
	buffer_load_dword v4, v0, s[0:3], 0 offen offset:8
	;; [unrolled: 1-line block ×6, first 2 shown]
	buffer_load_dword v9, v1, s[0:3], 0 offen
	s_waitcnt vmcnt(7)
	buffer_store_dword v2, v1, s[0:3], 0 offen
	s_waitcnt vmcnt(6)
	buffer_store_dword v3, v1, s[0:3], 0 offen offset:4
	s_waitcnt vmcnt(5)
	buffer_store_dword v4, v1, s[0:3], 0 offen offset:8
	;; [unrolled: 2-line block ×6, first 2 shown]
	s_waitcnt vmcnt(0)
	buffer_store_dword v9, v0, s[0:3], 0 offen
.LBB54_428:
	v_mov_b32_e32 v0, 0
	global_load_dword v1, v0, s[20:21] offset:44
	s_waitcnt vmcnt(0)
	v_add_nc_u32_e32 v1, -1, v1
	v_cmp_eq_u32_e32 vcc_lo, 11, v1
	s_cbranch_vccnz .LBB54_430
; %bb.429:
	v_lshlrev_b32_e32 v1, 4, v1
	v_mov_b32_e32 v2, s56
	v_add_nc_u32_e32 v1, 16, v1
	s_clause 0x7
	buffer_load_dword v3, v1, s[0:3], 0 offen
	buffer_load_dword v4, v1, s[0:3], 0 offen offset:4
	buffer_load_dword v5, v1, s[0:3], 0 offen offset:8
	;; [unrolled: 1-line block ×6, first 2 shown]
	buffer_load_dword v10, v2, s[0:3], 0 offen
	s_waitcnt vmcnt(7)
	buffer_store_dword v3, v2, s[0:3], 0 offen
	s_waitcnt vmcnt(6)
	buffer_store_dword v4, v2, s[0:3], 0 offen offset:4
	s_waitcnt vmcnt(5)
	buffer_store_dword v5, v2, s[0:3], 0 offen offset:8
	;; [unrolled: 2-line block ×6, first 2 shown]
	s_waitcnt vmcnt(0)
	buffer_store_dword v10, v1, s[0:3], 0 offen
.LBB54_430:
	global_load_dword v0, v0, s[20:21] offset:40
	s_waitcnt vmcnt(0)
	v_add_nc_u32_e32 v0, -1, v0
	v_cmp_eq_u32_e32 vcc_lo, 10, v0
	s_cbranch_vccnz .LBB54_432
; %bb.431:
	v_lshlrev_b32_e32 v0, 4, v0
	v_mov_b32_e32 v1, s57
	v_add_nc_u32_e32 v0, 16, v0
	s_clause 0x7
	buffer_load_dword v2, v0, s[0:3], 0 offen
	buffer_load_dword v3, v0, s[0:3], 0 offen offset:4
	buffer_load_dword v4, v0, s[0:3], 0 offen offset:8
	buffer_load_dword v5, v0, s[0:3], 0 offen offset:12
	buffer_load_dword v6, v1, s[0:3], 0 offen offset:12
	buffer_load_dword v7, v1, s[0:3], 0 offen offset:8
	buffer_load_dword v8, v1, s[0:3], 0 offen offset:4
	buffer_load_dword v9, v1, s[0:3], 0 offen
	s_waitcnt vmcnt(7)
	buffer_store_dword v2, v1, s[0:3], 0 offen
	s_waitcnt vmcnt(6)
	buffer_store_dword v3, v1, s[0:3], 0 offen offset:4
	s_waitcnt vmcnt(5)
	buffer_store_dword v4, v1, s[0:3], 0 offen offset:8
	;; [unrolled: 2-line block ×6, first 2 shown]
	s_waitcnt vmcnt(0)
	buffer_store_dword v9, v0, s[0:3], 0 offen
.LBB54_432:
	v_mov_b32_e32 v0, 0
	global_load_dword v1, v0, s[20:21] offset:36
	s_waitcnt vmcnt(0)
	v_add_nc_u32_e32 v1, -1, v1
	v_cmp_eq_u32_e32 vcc_lo, 9, v1
	s_cbranch_vccnz .LBB54_434
; %bb.433:
	v_lshlrev_b32_e32 v1, 4, v1
	v_mov_b32_e32 v2, s58
	v_add_nc_u32_e32 v1, 16, v1
	s_clause 0x7
	buffer_load_dword v3, v1, s[0:3], 0 offen
	buffer_load_dword v4, v1, s[0:3], 0 offen offset:4
	buffer_load_dword v5, v1, s[0:3], 0 offen offset:8
	buffer_load_dword v6, v1, s[0:3], 0 offen offset:12
	buffer_load_dword v7, v2, s[0:3], 0 offen offset:12
	buffer_load_dword v8, v2, s[0:3], 0 offen offset:8
	buffer_load_dword v9, v2, s[0:3], 0 offen offset:4
	buffer_load_dword v10, v2, s[0:3], 0 offen
	s_waitcnt vmcnt(7)
	buffer_store_dword v3, v2, s[0:3], 0 offen
	s_waitcnt vmcnt(6)
	buffer_store_dword v4, v2, s[0:3], 0 offen offset:4
	s_waitcnt vmcnt(5)
	buffer_store_dword v5, v2, s[0:3], 0 offen offset:8
	;; [unrolled: 2-line block ×6, first 2 shown]
	s_waitcnt vmcnt(0)
	buffer_store_dword v10, v1, s[0:3], 0 offen
.LBB54_434:
	global_load_dword v0, v0, s[20:21] offset:32
	s_waitcnt vmcnt(0)
	v_add_nc_u32_e32 v0, -1, v0
	v_cmp_eq_u32_e32 vcc_lo, 8, v0
	s_cbranch_vccnz .LBB54_436
; %bb.435:
	v_lshlrev_b32_e32 v0, 4, v0
	v_mov_b32_e32 v1, s59
	v_add_nc_u32_e32 v0, 16, v0
	s_clause 0x7
	buffer_load_dword v2, v0, s[0:3], 0 offen
	buffer_load_dword v3, v0, s[0:3], 0 offen offset:4
	buffer_load_dword v4, v0, s[0:3], 0 offen offset:8
	;; [unrolled: 1-line block ×6, first 2 shown]
	buffer_load_dword v9, v1, s[0:3], 0 offen
	s_waitcnt vmcnt(7)
	buffer_store_dword v2, v1, s[0:3], 0 offen
	s_waitcnt vmcnt(6)
	buffer_store_dword v3, v1, s[0:3], 0 offen offset:4
	s_waitcnt vmcnt(5)
	buffer_store_dword v4, v1, s[0:3], 0 offen offset:8
	;; [unrolled: 2-line block ×6, first 2 shown]
	s_waitcnt vmcnt(0)
	buffer_store_dword v9, v0, s[0:3], 0 offen
.LBB54_436:
	v_mov_b32_e32 v0, 0
	global_load_dword v1, v0, s[20:21] offset:28
	s_waitcnt vmcnt(0)
	v_add_nc_u32_e32 v1, -1, v1
	v_cmp_eq_u32_e32 vcc_lo, 7, v1
	s_cbranch_vccnz .LBB54_438
; %bb.437:
	v_lshlrev_b32_e32 v1, 4, v1
	v_mov_b32_e32 v2, s60
	v_add_nc_u32_e32 v1, 16, v1
	s_clause 0x7
	buffer_load_dword v3, v1, s[0:3], 0 offen
	buffer_load_dword v4, v1, s[0:3], 0 offen offset:4
	buffer_load_dword v5, v1, s[0:3], 0 offen offset:8
	;; [unrolled: 1-line block ×6, first 2 shown]
	buffer_load_dword v10, v2, s[0:3], 0 offen
	s_waitcnt vmcnt(7)
	buffer_store_dword v3, v2, s[0:3], 0 offen
	s_waitcnt vmcnt(6)
	buffer_store_dword v4, v2, s[0:3], 0 offen offset:4
	s_waitcnt vmcnt(5)
	buffer_store_dword v5, v2, s[0:3], 0 offen offset:8
	;; [unrolled: 2-line block ×6, first 2 shown]
	s_waitcnt vmcnt(0)
	buffer_store_dword v10, v1, s[0:3], 0 offen
.LBB54_438:
	global_load_dword v0, v0, s[20:21] offset:24
	s_waitcnt vmcnt(0)
	v_add_nc_u32_e32 v0, -1, v0
	v_cmp_eq_u32_e32 vcc_lo, 6, v0
	s_cbranch_vccnz .LBB54_440
; %bb.439:
	v_lshlrev_b32_e32 v0, 4, v0
	v_mov_b32_e32 v1, s61
	v_add_nc_u32_e32 v0, 16, v0
	s_clause 0x7
	buffer_load_dword v2, v0, s[0:3], 0 offen
	buffer_load_dword v3, v0, s[0:3], 0 offen offset:4
	buffer_load_dword v4, v0, s[0:3], 0 offen offset:8
	;; [unrolled: 1-line block ×6, first 2 shown]
	buffer_load_dword v9, v1, s[0:3], 0 offen
	s_waitcnt vmcnt(7)
	buffer_store_dword v2, v1, s[0:3], 0 offen
	s_waitcnt vmcnt(6)
	buffer_store_dword v3, v1, s[0:3], 0 offen offset:4
	s_waitcnt vmcnt(5)
	buffer_store_dword v4, v1, s[0:3], 0 offen offset:8
	;; [unrolled: 2-line block ×6, first 2 shown]
	s_waitcnt vmcnt(0)
	buffer_store_dword v9, v0, s[0:3], 0 offen
.LBB54_440:
	v_mov_b32_e32 v0, 0
	global_load_dword v1, v0, s[20:21] offset:20
	s_waitcnt vmcnt(0)
	v_add_nc_u32_e32 v1, -1, v1
	v_cmp_eq_u32_e32 vcc_lo, 5, v1
	s_cbranch_vccnz .LBB54_442
; %bb.441:
	v_lshlrev_b32_e32 v1, 4, v1
	v_mov_b32_e32 v2, s62
	v_add_nc_u32_e32 v1, 16, v1
	s_clause 0x7
	buffer_load_dword v3, v1, s[0:3], 0 offen
	buffer_load_dword v4, v1, s[0:3], 0 offen offset:4
	buffer_load_dword v5, v1, s[0:3], 0 offen offset:8
	;; [unrolled: 1-line block ×6, first 2 shown]
	buffer_load_dword v10, v2, s[0:3], 0 offen
	s_waitcnt vmcnt(7)
	buffer_store_dword v3, v2, s[0:3], 0 offen
	s_waitcnt vmcnt(6)
	buffer_store_dword v4, v2, s[0:3], 0 offen offset:4
	s_waitcnt vmcnt(5)
	buffer_store_dword v5, v2, s[0:3], 0 offen offset:8
	;; [unrolled: 2-line block ×6, first 2 shown]
	s_waitcnt vmcnt(0)
	buffer_store_dword v10, v1, s[0:3], 0 offen
.LBB54_442:
	global_load_dword v0, v0, s[20:21] offset:16
	s_waitcnt vmcnt(0)
	v_add_nc_u32_e32 v0, -1, v0
	v_cmp_eq_u32_e32 vcc_lo, 4, v0
	s_cbranch_vccnz .LBB54_444
; %bb.443:
	v_lshlrev_b32_e32 v0, 4, v0
	v_mov_b32_e32 v1, s63
	v_add_nc_u32_e32 v0, 16, v0
	s_clause 0x7
	buffer_load_dword v2, v0, s[0:3], 0 offen
	buffer_load_dword v3, v0, s[0:3], 0 offen offset:4
	buffer_load_dword v4, v0, s[0:3], 0 offen offset:8
	;; [unrolled: 1-line block ×6, first 2 shown]
	buffer_load_dword v9, v1, s[0:3], 0 offen
	s_waitcnt vmcnt(7)
	buffer_store_dword v2, v1, s[0:3], 0 offen
	s_waitcnt vmcnt(6)
	buffer_store_dword v3, v1, s[0:3], 0 offen offset:4
	s_waitcnt vmcnt(5)
	buffer_store_dword v4, v1, s[0:3], 0 offen offset:8
	;; [unrolled: 2-line block ×6, first 2 shown]
	s_waitcnt vmcnt(0)
	buffer_store_dword v9, v0, s[0:3], 0 offen
.LBB54_444:
	v_mov_b32_e32 v0, 0
	global_load_dword v1, v0, s[20:21] offset:12
	s_waitcnt vmcnt(0)
	v_add_nc_u32_e32 v1, -1, v1
	v_cmp_eq_u32_e32 vcc_lo, 3, v1
	s_cbranch_vccnz .LBB54_446
; %bb.445:
	v_lshlrev_b32_e32 v1, 4, v1
	v_mov_b32_e32 v2, s64
	v_add_nc_u32_e32 v1, 16, v1
	s_clause 0x7
	buffer_load_dword v3, v1, s[0:3], 0 offen
	buffer_load_dword v4, v1, s[0:3], 0 offen offset:4
	buffer_load_dword v5, v1, s[0:3], 0 offen offset:8
	;; [unrolled: 1-line block ×6, first 2 shown]
	buffer_load_dword v10, v2, s[0:3], 0 offen
	s_waitcnt vmcnt(7)
	buffer_store_dword v3, v2, s[0:3], 0 offen
	s_waitcnt vmcnt(6)
	buffer_store_dword v4, v2, s[0:3], 0 offen offset:4
	s_waitcnt vmcnt(5)
	buffer_store_dword v5, v2, s[0:3], 0 offen offset:8
	;; [unrolled: 2-line block ×6, first 2 shown]
	s_waitcnt vmcnt(0)
	buffer_store_dword v10, v1, s[0:3], 0 offen
.LBB54_446:
	global_load_dword v0, v0, s[20:21] offset:8
	s_waitcnt vmcnt(0)
	v_add_nc_u32_e32 v0, -1, v0
	v_cmp_eq_u32_e32 vcc_lo, 2, v0
	s_cbranch_vccnz .LBB54_448
; %bb.447:
	v_lshlrev_b32_e32 v0, 4, v0
	v_mov_b32_e32 v1, s65
	v_add_nc_u32_e32 v0, 16, v0
	s_clause 0x7
	buffer_load_dword v2, v0, s[0:3], 0 offen
	buffer_load_dword v3, v0, s[0:3], 0 offen offset:4
	buffer_load_dword v4, v0, s[0:3], 0 offen offset:8
	buffer_load_dword v5, v0, s[0:3], 0 offen offset:12
	buffer_load_dword v6, v1, s[0:3], 0 offen offset:12
	buffer_load_dword v7, v1, s[0:3], 0 offen offset:8
	buffer_load_dword v8, v1, s[0:3], 0 offen offset:4
	buffer_load_dword v9, v1, s[0:3], 0 offen
	s_waitcnt vmcnt(7)
	buffer_store_dword v2, v1, s[0:3], 0 offen
	s_waitcnt vmcnt(6)
	buffer_store_dword v3, v1, s[0:3], 0 offen offset:4
	s_waitcnt vmcnt(5)
	buffer_store_dword v4, v1, s[0:3], 0 offen offset:8
	;; [unrolled: 2-line block ×6, first 2 shown]
	s_waitcnt vmcnt(0)
	buffer_store_dword v9, v0, s[0:3], 0 offen
.LBB54_448:
	v_mov_b32_e32 v0, 0
	global_load_dword v1, v0, s[20:21] offset:4
	s_waitcnt vmcnt(0)
	v_add_nc_u32_e32 v1, -1, v1
	v_cmp_eq_u32_e32 vcc_lo, 1, v1
	s_cbranch_vccnz .LBB54_450
; %bb.449:
	v_lshlrev_b32_e32 v1, 4, v1
	v_mov_b32_e32 v2, s66
	v_add_nc_u32_e32 v1, 16, v1
	s_clause 0x7
	buffer_load_dword v3, v1, s[0:3], 0 offen
	buffer_load_dword v4, v1, s[0:3], 0 offen offset:4
	buffer_load_dword v5, v1, s[0:3], 0 offen offset:8
	;; [unrolled: 1-line block ×6, first 2 shown]
	buffer_load_dword v10, v2, s[0:3], 0 offen
	s_waitcnt vmcnt(7)
	buffer_store_dword v3, v2, s[0:3], 0 offen
	s_waitcnt vmcnt(6)
	buffer_store_dword v4, v2, s[0:3], 0 offen offset:4
	s_waitcnt vmcnt(5)
	buffer_store_dword v5, v2, s[0:3], 0 offen offset:8
	s_waitcnt vmcnt(4)
	buffer_store_dword v6, v2, s[0:3], 0 offen offset:12
	s_waitcnt vmcnt(3)
	buffer_store_dword v7, v1, s[0:3], 0 offen offset:12
	s_waitcnt vmcnt(2)
	buffer_store_dword v8, v1, s[0:3], 0 offen offset:8
	s_waitcnt vmcnt(1)
	buffer_store_dword v9, v1, s[0:3], 0 offen offset:4
	s_waitcnt vmcnt(0)
	buffer_store_dword v10, v1, s[0:3], 0 offen
.LBB54_450:
	global_load_dword v0, v0, s[20:21]
	s_waitcnt vmcnt(0)
	v_add_nc_u32_e32 v0, -1, v0
	v_cmp_eq_u32_e32 vcc_lo, 0, v0
	s_cbranch_vccnz .LBB54_452
; %bb.451:
	v_lshlrev_b32_e32 v0, 4, v0
	v_add_nc_u32_e32 v0, 16, v0
	s_clause 0x7
	buffer_load_dword v1, v0, s[0:3], 0 offen
	buffer_load_dword v2, v0, s[0:3], 0 offen offset:4
	buffer_load_dword v3, v0, s[0:3], 0 offen offset:8
	;; [unrolled: 1-line block ×3, first 2 shown]
	buffer_load_dword v5, off, s[0:3], 0 offset:28
	buffer_load_dword v6, off, s[0:3], 0 offset:24
	;; [unrolled: 1-line block ×4, first 2 shown]
	s_waitcnt vmcnt(7)
	buffer_store_dword v1, off, s[0:3], 0 offset:16
	s_waitcnt vmcnt(6)
	buffer_store_dword v2, off, s[0:3], 0 offset:20
	;; [unrolled: 2-line block ×4, first 2 shown]
	s_waitcnt vmcnt(3)
	buffer_store_dword v5, v0, s[0:3], 0 offen offset:12
	s_waitcnt vmcnt(2)
	buffer_store_dword v6, v0, s[0:3], 0 offen offset:8
	;; [unrolled: 2-line block ×3, first 2 shown]
	s_waitcnt vmcnt(0)
	buffer_store_dword v8, v0, s[0:3], 0 offen
.LBB54_452:
	v_mov_b32_e32 v7, s66
	v_mov_b32_e32 v11, s65
	;; [unrolled: 1-line block ×4, first 2 shown]
	s_clause 0x3
	buffer_load_dword v0, off, s[0:3], 0 offset:16
	buffer_load_dword v1, off, s[0:3], 0 offset:20
	;; [unrolled: 1-line block ×4, first 2 shown]
	v_mov_b32_e32 v23, s62
	s_clause 0x3
	buffer_load_dword v4, v7, s[0:3], 0 offen
	buffer_load_dword v5, v7, s[0:3], 0 offen offset:4
	buffer_load_dword v6, v7, s[0:3], 0 offen offset:8
	buffer_load_dword v7, v7, s[0:3], 0 offen offset:12
	v_mov_b32_e32 v27, s61
	s_clause 0x3
	buffer_load_dword v8, v11, s[0:3], 0 offen
	buffer_load_dword v9, v11, s[0:3], 0 offen offset:4
	buffer_load_dword v10, v11, s[0:3], 0 offen offset:8
	buffer_load_dword v11, v11, s[0:3], 0 offen offset:12
	v_mov_b32_e32 v31, s60
	s_clause 0x3
	buffer_load_dword v12, v15, s[0:3], 0 offen
	buffer_load_dword v13, v15, s[0:3], 0 offen offset:4
	buffer_load_dword v14, v15, s[0:3], 0 offen offset:8
	buffer_load_dword v15, v15, s[0:3], 0 offen offset:12
	v_mov_b32_e32 v35, s59
	s_clause 0x3
	buffer_load_dword v16, v19, s[0:3], 0 offen
	buffer_load_dword v17, v19, s[0:3], 0 offen offset:4
	buffer_load_dword v18, v19, s[0:3], 0 offen offset:8
	buffer_load_dword v19, v19, s[0:3], 0 offen offset:12
	v_mov_b32_e32 v39, s58
	s_clause 0x3
	buffer_load_dword v20, v23, s[0:3], 0 offen
	buffer_load_dword v21, v23, s[0:3], 0 offen offset:4
	buffer_load_dword v22, v23, s[0:3], 0 offen offset:8
	buffer_load_dword v23, v23, s[0:3], 0 offen offset:12
	v_mov_b32_e32 v43, s57
	s_clause 0x3
	buffer_load_dword v24, v27, s[0:3], 0 offen
	buffer_load_dword v25, v27, s[0:3], 0 offen offset:4
	buffer_load_dword v26, v27, s[0:3], 0 offen offset:8
	buffer_load_dword v27, v27, s[0:3], 0 offen offset:12
	v_mov_b32_e32 v47, s56
	s_clause 0x3
	buffer_load_dword v28, v31, s[0:3], 0 offen
	buffer_load_dword v29, v31, s[0:3], 0 offen offset:4
	buffer_load_dword v30, v31, s[0:3], 0 offen offset:8
	buffer_load_dword v31, v31, s[0:3], 0 offen offset:12
	v_mov_b32_e32 v51, s55
	s_clause 0x13
	buffer_load_dword v32, v35, s[0:3], 0 offen
	buffer_load_dword v33, v35, s[0:3], 0 offen offset:4
	buffer_load_dword v34, v35, s[0:3], 0 offen offset:8
	buffer_load_dword v35, v35, s[0:3], 0 offen offset:12
	buffer_load_dword v36, v39, s[0:3], 0 offen
	buffer_load_dword v37, v39, s[0:3], 0 offen offset:4
	buffer_load_dword v38, v39, s[0:3], 0 offen offset:8
	buffer_load_dword v39, v39, s[0:3], 0 offen offset:12
	buffer_load_dword v40, v43, s[0:3], 0 offen
	buffer_load_dword v41, v43, s[0:3], 0 offen offset:4
	buffer_load_dword v42, v43, s[0:3], 0 offen offset:8
	buffer_load_dword v43, v43, s[0:3], 0 offen offset:12
	;; [unrolled: 4-line block ×4, first 2 shown]
	v_mov_b32_e32 v55, s54
	v_mov_b32_e32 v139, s39
	;; [unrolled: 1-line block ×21, first 2 shown]
	s_clause 0x3b
	buffer_load_dword v52, v55, s[0:3], 0 offen
	buffer_load_dword v53, v55, s[0:3], 0 offen offset:4
	buffer_load_dword v54, v55, s[0:3], 0 offen offset:8
	buffer_load_dword v55, v55, s[0:3], 0 offen offset:12
	buffer_load_dword v83, v56, s[0:3], 0 offen
	buffer_load_dword v84, v56, s[0:3], 0 offen offset:4
	buffer_load_dword v85, v56, s[0:3], 0 offen offset:8
	buffer_load_dword v86, v56, s[0:3], 0 offen offset:12
	;; [unrolled: 4-line block ×15, first 2 shown]
	v_mov_b32_e32 v228, s36
	v_mov_b32_e32 v235, s28
	v_mov_b32_e32 v230, s34
	v_mov_b32_e32 v237, s26
	v_mov_b32_e32 v232, s31
	v_mov_b32_e32 v239, s24
	v_mov_b32_e32 v234, s29
	v_mov_b32_e32 v241, s22
	v_mov_b32_e32 v236, s27
	v_mov_b32_e32 v243, s18
	v_mov_b32_e32 v238, s25
	v_mov_b32_e32 v245, s16
	v_mov_b32_e32 v240, s23
	v_mov_b32_e32 v249, s14
	v_mov_b32_e32 v242, s19
	v_mov_b32_e32 v251, s12
	v_mov_b32_e32 v244, s17
	v_mov_b32_e32 v248, s15
	v_mov_b32_e32 v250, s13
	v_mov_b32_e32 v252, s9
	v_mov_b32_e32 v253, s8
	s_waitcnt vmcnt(62)
	global_store_dwordx4 v[141:142], v[0:3], off
	s_clause 0x7
	buffer_load_dword v0, v139, s[0:3], 0 offen
	buffer_load_dword v1, v139, s[0:3], 0 offen offset:4
	buffer_load_dword v2, v139, s[0:3], 0 offen offset:8
	buffer_load_dword v3, v139, s[0:3], 0 offen offset:12
	buffer_load_dword v139, v225, s[0:3], 0 offen
	buffer_load_dword v140, v225, s[0:3], 0 offen offset:4
	buffer_load_dword v141, v225, s[0:3], 0 offen offset:8
	buffer_load_dword v142, v225, s[0:3], 0 offen offset:12
	global_store_dwordx4 v[143:144], v[4:7], off
	s_clause 0x7
	buffer_load_dword v4, v226, s[0:3], 0 offen
	buffer_load_dword v5, v226, s[0:3], 0 offen offset:4
	buffer_load_dword v6, v226, s[0:3], 0 offen offset:8
	buffer_load_dword v7, v226, s[0:3], 0 offen offset:12
	buffer_load_dword v225, v228, s[0:3], 0 offen
	buffer_load_dword v226, v228, s[0:3], 0 offen offset:4
	buffer_load_dword v227, v228, s[0:3], 0 offen offset:8
	buffer_load_dword v228, v228, s[0:3], 0 offen offset:12
	;; [unrolled: 10-line block ×12, first 2 shown]
	s_waitcnt vmcnt(62)
	global_store_dwordx4 v[165:166], v[48:51], off
	s_clause 0xb
	buffer_load_dword v48, v251, s[0:3], 0 offen
	buffer_load_dword v49, v251, s[0:3], 0 offen offset:4
	buffer_load_dword v50, v251, s[0:3], 0 offen offset:8
	buffer_load_dword v51, v251, s[0:3], 0 offen offset:12
	buffer_load_dword v163, v252, s[0:3], 0 offen
	buffer_load_dword v164, v252, s[0:3], 0 offen offset:4
	buffer_load_dword v165, v252, s[0:3], 0 offen offset:8
	buffer_load_dword v166, v252, s[0:3], 0 offen offset:12
	;; [unrolled: 4-line block ×3, first 2 shown]
	global_store_dwordx4 v[167:168], v[52:55], off
	global_store_dwordx4 v[169:170], v[83:86], off
	;; [unrolled: 1-line block ×23, first 2 shown]
	s_waitcnt vmcnt(62)
	global_store_dwordx4 v[213:214], v[16:19], off
	global_store_dwordx4 v[215:216], v[147:150], off
	;; [unrolled: 1-line block ×3, first 2 shown]
	s_waitcnt vmcnt(60)
	global_store_dwordx4 v[219:220], v[233:236], off
	s_waitcnt vmcnt(56)
	global_store_dwordx4 v[221:222], v[24:27], off
	;; [unrolled: 2-line block ×16, first 2 shown]
	s_endpgm
	.section	.rodata,"a",@progbits
	.p2align	6, 0x0
	.amdhsa_kernel _ZN9rocsolver6v33100L18getri_kernel_smallILi55E19rocblas_complex_numIdEPS3_EEvT1_iilPiilS6_bb
		.amdhsa_group_segment_fixed_size 1768
		.amdhsa_private_segment_fixed_size 912
		.amdhsa_kernarg_size 60
		.amdhsa_user_sgpr_count 6
		.amdhsa_user_sgpr_private_segment_buffer 1
		.amdhsa_user_sgpr_dispatch_ptr 0
		.amdhsa_user_sgpr_queue_ptr 0
		.amdhsa_user_sgpr_kernarg_segment_ptr 1
		.amdhsa_user_sgpr_dispatch_id 0
		.amdhsa_user_sgpr_flat_scratch_init 0
		.amdhsa_user_sgpr_private_segment_size 0
		.amdhsa_wavefront_size32 1
		.amdhsa_uses_dynamic_stack 0
		.amdhsa_system_sgpr_private_segment_wavefront_offset 1
		.amdhsa_system_sgpr_workgroup_id_x 1
		.amdhsa_system_sgpr_workgroup_id_y 0
		.amdhsa_system_sgpr_workgroup_id_z 0
		.amdhsa_system_sgpr_workgroup_info 0
		.amdhsa_system_vgpr_workitem_id 0
		.amdhsa_next_free_vgpr 254
		.amdhsa_next_free_sgpr 71
		.amdhsa_reserve_vcc 1
		.amdhsa_reserve_flat_scratch 0
		.amdhsa_float_round_mode_32 0
		.amdhsa_float_round_mode_16_64 0
		.amdhsa_float_denorm_mode_32 3
		.amdhsa_float_denorm_mode_16_64 3
		.amdhsa_dx10_clamp 1
		.amdhsa_ieee_mode 1
		.amdhsa_fp16_overflow 0
		.amdhsa_workgroup_processor_mode 1
		.amdhsa_memory_ordered 1
		.amdhsa_forward_progress 1
		.amdhsa_shared_vgpr_count 0
		.amdhsa_exception_fp_ieee_invalid_op 0
		.amdhsa_exception_fp_denorm_src 0
		.amdhsa_exception_fp_ieee_div_zero 0
		.amdhsa_exception_fp_ieee_overflow 0
		.amdhsa_exception_fp_ieee_underflow 0
		.amdhsa_exception_fp_ieee_inexact 0
		.amdhsa_exception_int_div_zero 0
	.end_amdhsa_kernel
	.section	.text._ZN9rocsolver6v33100L18getri_kernel_smallILi55E19rocblas_complex_numIdEPS3_EEvT1_iilPiilS6_bb,"axG",@progbits,_ZN9rocsolver6v33100L18getri_kernel_smallILi55E19rocblas_complex_numIdEPS3_EEvT1_iilPiilS6_bb,comdat
.Lfunc_end54:
	.size	_ZN9rocsolver6v33100L18getri_kernel_smallILi55E19rocblas_complex_numIdEPS3_EEvT1_iilPiilS6_bb, .Lfunc_end54-_ZN9rocsolver6v33100L18getri_kernel_smallILi55E19rocblas_complex_numIdEPS3_EEvT1_iilPiilS6_bb
                                        ; -- End function
	.set _ZN9rocsolver6v33100L18getri_kernel_smallILi55E19rocblas_complex_numIdEPS3_EEvT1_iilPiilS6_bb.num_vgpr, 254
	.set _ZN9rocsolver6v33100L18getri_kernel_smallILi55E19rocblas_complex_numIdEPS3_EEvT1_iilPiilS6_bb.num_agpr, 0
	.set _ZN9rocsolver6v33100L18getri_kernel_smallILi55E19rocblas_complex_numIdEPS3_EEvT1_iilPiilS6_bb.numbered_sgpr, 71
	.set _ZN9rocsolver6v33100L18getri_kernel_smallILi55E19rocblas_complex_numIdEPS3_EEvT1_iilPiilS6_bb.num_named_barrier, 0
	.set _ZN9rocsolver6v33100L18getri_kernel_smallILi55E19rocblas_complex_numIdEPS3_EEvT1_iilPiilS6_bb.private_seg_size, 912
	.set _ZN9rocsolver6v33100L18getri_kernel_smallILi55E19rocblas_complex_numIdEPS3_EEvT1_iilPiilS6_bb.uses_vcc, 1
	.set _ZN9rocsolver6v33100L18getri_kernel_smallILi55E19rocblas_complex_numIdEPS3_EEvT1_iilPiilS6_bb.uses_flat_scratch, 0
	.set _ZN9rocsolver6v33100L18getri_kernel_smallILi55E19rocblas_complex_numIdEPS3_EEvT1_iilPiilS6_bb.has_dyn_sized_stack, 0
	.set _ZN9rocsolver6v33100L18getri_kernel_smallILi55E19rocblas_complex_numIdEPS3_EEvT1_iilPiilS6_bb.has_recursion, 0
	.set _ZN9rocsolver6v33100L18getri_kernel_smallILi55E19rocblas_complex_numIdEPS3_EEvT1_iilPiilS6_bb.has_indirect_call, 0
	.section	.AMDGPU.csdata,"",@progbits
; Kernel info:
; codeLenInByte = 197560
; TotalNumSgprs: 73
; NumVgprs: 254
; ScratchSize: 912
; MemoryBound: 0
; FloatMode: 240
; IeeeMode: 1
; LDSByteSize: 1768 bytes/workgroup (compile time only)
; SGPRBlocks: 0
; VGPRBlocks: 31
; NumSGPRsForWavesPerEU: 73
; NumVGPRsForWavesPerEU: 254
; Occupancy: 4
; WaveLimiterHint : 1
; COMPUTE_PGM_RSRC2:SCRATCH_EN: 1
; COMPUTE_PGM_RSRC2:USER_SGPR: 6
; COMPUTE_PGM_RSRC2:TRAP_HANDLER: 0
; COMPUTE_PGM_RSRC2:TGID_X_EN: 1
; COMPUTE_PGM_RSRC2:TGID_Y_EN: 0
; COMPUTE_PGM_RSRC2:TGID_Z_EN: 0
; COMPUTE_PGM_RSRC2:TIDIG_COMP_CNT: 0
	.section	.text._ZN9rocsolver6v33100L18getri_kernel_smallILi56E19rocblas_complex_numIdEPS3_EEvT1_iilPiilS6_bb,"axG",@progbits,_ZN9rocsolver6v33100L18getri_kernel_smallILi56E19rocblas_complex_numIdEPS3_EEvT1_iilPiilS6_bb,comdat
	.globl	_ZN9rocsolver6v33100L18getri_kernel_smallILi56E19rocblas_complex_numIdEPS3_EEvT1_iilPiilS6_bb ; -- Begin function _ZN9rocsolver6v33100L18getri_kernel_smallILi56E19rocblas_complex_numIdEPS3_EEvT1_iilPiilS6_bb
	.p2align	8
	.type	_ZN9rocsolver6v33100L18getri_kernel_smallILi56E19rocblas_complex_numIdEPS3_EEvT1_iilPiilS6_bb,@function
_ZN9rocsolver6v33100L18getri_kernel_smallILi56E19rocblas_complex_numIdEPS3_EEvT1_iilPiilS6_bb: ; @_ZN9rocsolver6v33100L18getri_kernel_smallILi56E19rocblas_complex_numIdEPS3_EEvT1_iilPiilS6_bb
; %bb.0:
	s_add_u32 s0, s0, s7
	s_addc_u32 s1, s1, 0
	s_mov_b32 s7, exec_lo
	v_cmpx_gt_u32_e32 56, v0
	s_cbranch_execz .LBB55_238
; %bb.1:
	s_clause 0x2
	s_load_dword s7, s[4:5], 0x38
	s_load_dwordx4 s[16:19], s[4:5], 0x10
	s_load_dwordx4 s[8:11], s[4:5], 0x28
                                        ; implicit-def: $sgpr20_sgpr21
	s_waitcnt lgkmcnt(0)
	s_bitcmp1_b32 s7, 8
	s_cselect_b32 s68, -1, 0
	s_bfe_u32 s12, s7, 0x10008
	s_ashr_i32 s7, s6, 31
	s_cmp_eq_u32 s12, 0
	s_cbranch_scc1 .LBB55_3
; %bb.2:
	s_load_dword s12, s[4:5], 0x20
	s_mul_i32 s13, s8, s7
	s_mul_hi_u32 s14, s8, s6
	s_mul_i32 s9, s9, s6
	s_add_i32 s13, s14, s13
	s_mul_i32 s8, s8, s6
	s_add_i32 s9, s13, s9
	s_lshl_b64 s[8:9], s[8:9], 2
	s_waitcnt lgkmcnt(0)
	s_ashr_i32 s13, s12, 31
	s_add_u32 s14, s18, s8
	s_addc_u32 s15, s19, s9
	s_lshl_b64 s[8:9], s[12:13], 2
	s_add_u32 s20, s14, s8
	s_addc_u32 s21, s15, s9
.LBB55_3:
	s_clause 0x1
	s_load_dwordx4 s[12:15], s[4:5], 0x0
	s_load_dword s69, s[4:5], 0x38
	s_mul_i32 s4, s16, s7
	s_mul_hi_u32 s5, s16, s6
	s_mul_i32 s8, s17, s6
	s_add_i32 s5, s5, s4
	s_mul_i32 s4, s16, s6
	s_add_i32 s5, s5, s8
	v_lshlrev_b32_e32 v225, 4, v0
	s_lshl_b64 s[4:5], s[4:5], 4
	s_mov_b32 s67, 32
	s_mov_b32 s66, 48
	;; [unrolled: 1-line block ×3, first 2 shown]
	s_movk_i32 s64, 0x50
	s_waitcnt lgkmcnt(0)
	v_add3_u32 v5, s15, s15, v0
	s_ashr_i32 s9, s14, 31
	s_mov_b32 s8, s14
	s_add_u32 s12, s12, s4
	s_addc_u32 s13, s13, s5
	v_add_nc_u32_e32 v7, s15, v5
	s_lshl_b64 s[4:5], s[8:9], 4
	v_ashrrev_i32_e32 v6, 31, v5
	s_add_u32 s4, s12, s4
	s_addc_u32 s5, s13, s5
	v_add_nc_u32_e32 v9, s15, v7
	v_add_co_u32 v141, s12, s4, v225
	s_mov_b32 s8, s15
	s_ashr_i32 s9, s15, 31
	v_lshlrev_b64 v[5:6], 4, v[5:6]
	v_ashrrev_i32_e32 v8, 31, v7
	v_add_co_ci_u32_e64 v142, null, s5, 0, s12
	s_lshl_b64 s[8:9], s[8:9], 4
	v_ashrrev_i32_e32 v10, 31, v9
	v_add_nc_u32_e32 v11, s15, v9
	v_add_co_u32 v143, vcc_lo, v141, s8
	v_lshlrev_b64 v[7:8], 4, v[7:8]
	v_add_co_ci_u32_e64 v144, null, s9, v142, vcc_lo
	v_add_co_u32 v145, vcc_lo, s4, v5
	v_add_co_ci_u32_e64 v146, null, s5, v6, vcc_lo
	v_lshlrev_b64 v[5:6], 4, v[9:10]
	v_ashrrev_i32_e32 v12, 31, v11
	v_add_nc_u32_e32 v9, s15, v11
	v_add_co_u32 v147, vcc_lo, s4, v7
	v_add_co_ci_u32_e64 v148, null, s5, v8, vcc_lo
	v_lshlrev_b64 v[7:8], 4, v[11:12]
	v_ashrrev_i32_e32 v10, 31, v9
	v_add_nc_u32_e32 v11, s15, v9
	;; [unrolled: 5-line block ×4, first 2 shown]
	v_add_co_u32 v153, vcc_lo, s4, v5
	v_add_co_ci_u32_e64 v154, null, s5, v6, vcc_lo
	v_lshlrev_b64 v[5:6], 4, v[9:10]
	v_add_nc_u32_e32 v9, s15, v11
	v_ashrrev_i32_e32 v12, 31, v11
	v_add_co_u32 v155, vcc_lo, s4, v7
	v_add_co_ci_u32_e64 v156, null, s5, v8, vcc_lo
	v_ashrrev_i32_e32 v10, 31, v9
	v_lshlrev_b64 v[7:8], 4, v[11:12]
	v_add_co_u32 v157, vcc_lo, s4, v5
	v_add_co_ci_u32_e64 v158, null, s5, v6, vcc_lo
	v_lshlrev_b64 v[5:6], 4, v[9:10]
	v_add_co_u32 v159, vcc_lo, s4, v7
	v_add_co_ci_u32_e64 v160, null, s5, v8, vcc_lo
	s_clause 0x1
	global_load_dwordx4 v[1:4], v225, s[4:5]
	global_load_dwordx4 v[77:80], v[143:144], off
	v_add_co_u32 v13, vcc_lo, s4, v5
	v_add_co_ci_u32_e64 v14, null, s5, v6, vcc_lo
	s_clause 0x7
	global_load_dwordx4 v[29:32], v[145:146], off
	global_load_dwordx4 v[33:36], v[147:148], off
	global_load_dwordx4 v[37:40], v[149:150], off
	global_load_dwordx4 v[41:44], v[151:152], off
	global_load_dwordx4 v[45:48], v[153:154], off
	global_load_dwordx4 v[49:52], v[155:156], off
	global_load_dwordx4 v[57:60], v[157:158], off
	global_load_dwordx4 v[65:68], v[159:160], off
	buffer_store_dword v13, off, s[0:3], 0 offset:912 ; 4-byte Folded Spill
	buffer_store_dword v14, off, s[0:3], 0 offset:916 ; 4-byte Folded Spill
	v_add_nc_u32_e32 v11, s15, v9
	v_ashrrev_i32_e32 v12, 31, v11
	v_add_nc_u32_e32 v9, s15, v11
	v_lshlrev_b64 v[7:8], 4, v[11:12]
	v_ashrrev_i32_e32 v10, 31, v9
	v_add_nc_u32_e32 v11, s15, v9
	v_lshlrev_b64 v[5:6], 4, v[9:10]
	v_ashrrev_i32_e32 v12, 31, v11
	v_add_nc_u32_e32 v9, s15, v11
	v_add_co_u32 v169, vcc_lo, s4, v7
	v_add_co_ci_u32_e64 v170, null, s5, v8, vcc_lo
	v_lshlrev_b64 v[7:8], 4, v[11:12]
	v_ashrrev_i32_e32 v10, 31, v9
	v_add_nc_u32_e32 v11, s15, v9
	v_add_co_u32 v161, vcc_lo, s4, v5
	v_add_co_ci_u32_e64 v162, null, s5, v6, vcc_lo
	;; [unrolled: 5-line block ×7, first 2 shown]
	v_lshlrev_b64 v[7:8], 4, v[11:12]
	v_add_nc_u32_e32 v11, s15, v9
	v_ashrrev_i32_e32 v10, 31, v9
	v_add_co_u32 v177, vcc_lo, s4, v5
	v_add_co_ci_u32_e64 v178, null, s5, v6, vcc_lo
	v_ashrrev_i32_e32 v12, 31, v11
	v_lshlrev_b64 v[5:6], 4, v[9:10]
	v_add_co_u32 v179, vcc_lo, s4, v7
	v_add_co_ci_u32_e64 v180, null, s5, v8, vcc_lo
	v_lshlrev_b64 v[7:8], 4, v[11:12]
	v_add_co_u32 v181, vcc_lo, s4, v5
	v_add_co_ci_u32_e64 v182, null, s5, v6, vcc_lo
	s_clause 0x1
	global_load_dwordx4 v[73:76], v[169:170], off
	global_load_dwordx4 v[85:88], v[165:166], off
	v_add_co_u32 v183, vcc_lo, s4, v7
	v_add_co_ci_u32_e64 v184, null, s5, v8, vcc_lo
	s_clause 0x5
	global_load_dwordx4 v[89:92], v[253:254], off
	global_load_dwordx4 v[109:112], v[179:180], off
	;; [unrolled: 1-line block ×6, first 2 shown]
	v_add_nc_u32_e32 v9, s15, v11
	global_load_dwordx4 v[81:84], v[161:162], off
	v_add_nc_u32_e32 v11, s15, v9
	v_ashrrev_i32_e32 v10, 31, v9
	v_ashrrev_i32_e32 v12, 31, v11
	v_lshlrev_b64 v[9:10], 4, v[9:10]
	v_add_co_u32 v185, vcc_lo, s4, v9
	v_add_co_ci_u32_e64 v186, null, s5, v10, vcc_lo
	s_clause 0x2
	global_load_dwordx4 v[69:72], v[13:14], off
	global_load_dwordx4 v[117:120], v[181:182], off
	;; [unrolled: 1-line block ×3, first 2 shown]
	v_add_nc_u32_e32 v13, s15, v11
	v_lshlrev_b64 v[11:12], 4, v[11:12]
	v_add_nc_u32_e32 v15, s15, v13
	v_ashrrev_i32_e32 v14, 31, v13
	v_add_co_u32 v187, vcc_lo, s4, v11
	v_add_co_ci_u32_e64 v188, null, s5, v12, vcc_lo
	v_add_nc_u32_e32 v17, s15, v15
	v_ashrrev_i32_e32 v16, 31, v15
	v_lshlrev_b64 v[13:14], 4, v[13:14]
	global_load_dwordx4 v[9:12], v[185:186], off
	v_add_nc_u32_e32 v23, s15, v17
	v_ashrrev_i32_e32 v18, 31, v17
	v_lshlrev_b64 v[21:22], 4, v[15:16]
	v_add_co_u32 v189, vcc_lo, s4, v13
	v_add_nc_u32_e32 v27, s15, v23
	v_ashrrev_i32_e32 v24, 31, v23
	v_lshlrev_b64 v[25:26], 4, v[17:18]
	v_add_co_ci_u32_e64 v190, null, s5, v14, vcc_lo
	v_add_nc_u32_e32 v55, s15, v27
	v_ashrrev_i32_e32 v28, 31, v27
	v_lshlrev_b64 v[53:54], 4, v[23:24]
	v_add_co_u32 v191, vcc_lo, s4, v21
	v_add_nc_u32_e32 v63, s15, v55
	v_ashrrev_i32_e32 v56, 31, v55
	v_lshlrev_b64 v[61:62], 4, v[27:28]
	v_add_co_ci_u32_e64 v192, null, s5, v22, vcc_lo
	v_add_nc_u32_e32 v115, s15, v63
	v_ashrrev_i32_e32 v64, 31, v63
	v_add_co_u32 v193, vcc_lo, s4, v25
	v_lshlrev_b64 v[113:114], 4, v[55:56]
	v_add_nc_u32_e32 v123, s15, v115
	v_ashrrev_i32_e32 v116, 31, v115
	v_add_co_ci_u32_e64 v194, null, s5, v26, vcc_lo
	v_add_co_u32 v195, vcc_lo, s4, v53
	v_add_nc_u32_e32 v127, s15, v123
	v_ashrrev_i32_e32 v124, 31, v123
	v_lshlrev_b64 v[121:122], 4, v[63:64]
	v_add_co_ci_u32_e64 v196, null, s5, v54, vcc_lo
	v_add_nc_u32_e32 v131, s15, v127
	v_ashrrev_i32_e32 v128, 31, v127
	v_add_co_u32 v197, vcc_lo, s4, v61
	v_lshlrev_b64 v[125:126], 4, v[115:116]
	v_add_nc_u32_e32 v135, s15, v131
	v_ashrrev_i32_e32 v132, 31, v131
	v_add_co_ci_u32_e64 v198, null, s5, v62, vcc_lo
	v_add_co_u32 v199, vcc_lo, s4, v113
	v_add_nc_u32_e32 v139, s15, v135
	v_lshlrev_b64 v[129:130], 4, v[123:124]
	v_ashrrev_i32_e32 v136, 31, v135
	v_add_co_ci_u32_e64 v200, null, s5, v114, vcc_lo
	v_add_nc_u32_e32 v213, s15, v139
	v_add_co_u32 v201, vcc_lo, s4, v121
	v_lshlrev_b64 v[133:134], 4, v[127:128]
	v_add_co_ci_u32_e64 v202, null, s5, v122, vcc_lo
	v_add_nc_u32_e32 v217, s15, v213
	v_add_co_u32 v203, vcc_lo, s4, v125
	v_lshlrev_b64 v[137:138], 4, v[131:132]
	v_add_co_ci_u32_e64 v204, null, s5, v126, vcc_lo
	v_add_co_u32 v205, vcc_lo, s4, v129
	v_lshlrev_b64 v[163:164], 4, v[135:136]
	v_ashrrev_i32_e32 v140, 31, v139
	v_add_co_ci_u32_e64 v206, null, s5, v130, vcc_lo
	v_add_co_u32 v207, vcc_lo, s4, v133
	v_add_nc_u32_e32 v219, s15, v217
	v_ashrrev_i32_e32 v214, 31, v213
	v_add_co_ci_u32_e64 v208, null, s5, v134, vcc_lo
	v_add_co_u32 v209, vcc_lo, s4, v137
	v_add_co_ci_u32_e64 v210, null, s5, v138, vcc_lo
	v_lshlrev_b64 v[215:216], 4, v[139:140]
	v_add_co_u32 v211, vcc_lo, s4, v163
	v_add_nc_u32_e32 v221, s15, v219
	v_add_co_ci_u32_e64 v212, null, s5, v164, vcc_lo
	v_lshlrev_b64 v[163:164], 4, v[213:214]
	v_ashrrev_i32_e32 v218, 31, v217
	v_ashrrev_i32_e32 v220, 31, v219
	v_add_co_u32 v213, vcc_lo, s4, v215
	v_add_nc_u32_e32 v223, s15, v221
	v_add_co_ci_u32_e64 v214, null, s5, v216, vcc_lo
	v_lshlrev_b64 v[217:218], 4, v[217:218]
	v_add_co_u32 v215, vcc_lo, s4, v163
	v_add_co_ci_u32_e64 v216, null, s5, v164, vcc_lo
	v_lshlrev_b64 v[163:164], 4, v[219:220]
	v_ashrrev_i32_e32 v222, 31, v221
	v_add_nc_u32_e32 v242, s15, v223
	v_ashrrev_i32_e32 v224, 31, v223
	v_add_co_u32 v217, vcc_lo, s4, v217
	v_add_co_ci_u32_e64 v218, null, s5, v218, vcc_lo
	v_lshlrev_b64 v[221:222], 4, v[221:222]
	v_add_co_u32 v219, vcc_lo, s4, v163
	v_add_nc_u32_e32 v246, s15, v242
	v_add_co_ci_u32_e64 v220, null, s5, v164, vcc_lo
	v_lshlrev_b64 v[163:164], 4, v[223:224]
	v_ashrrev_i32_e32 v243, 31, v242
	v_ashrrev_i32_e32 v247, 31, v246
	v_add_co_u32 v221, vcc_lo, s4, v221
	v_add_nc_u32_e32 v250, s15, v246
	v_add_co_ci_u32_e64 v222, null, s5, v222, vcc_lo
	v_lshlrev_b64 v[248:249], 4, v[242:243]
	v_add_co_u32 v223, vcc_lo, s4, v163
	v_add_co_ci_u32_e64 v224, null, s5, v164, vcc_lo
	v_lshlrev_b64 v[163:164], 4, v[246:247]
	v_add_nc_u32_e32 v246, s15, v250
	s_clause 0xf
	global_load_dwordx4 v[17:20], v[187:188], off
	global_load_dwordx4 v[13:16], v[189:190], off
	;; [unrolled: 1-line block ×16, first 2 shown]
	s_waitcnt vmcnt(38)
	buffer_store_dword v4, off, s[0:3], 0 offset:28
	buffer_store_dword v3, off, s[0:3], 0 offset:24
	;; [unrolled: 1-line block ×4, first 2 shown]
	s_clause 0x1
	global_load_dwordx4 v[1:4], v[219:220], off
	global_load_dwordx4 v[242:245], v[221:222], off
	s_waitcnt vmcnt(39)
	buffer_store_dword v80, off, s[0:3], 0 offset:44
	buffer_store_dword v79, off, s[0:3], 0 offset:40
	;; [unrolled: 1-line block ×4, first 2 shown]
	v_add_co_u32 v77, vcc_lo, s4, v248
	v_add_co_ci_u32_e64 v78, null, s5, v249, vcc_lo
	v_add_co_u32 v79, vcc_lo, s4, v163
	v_add_nc_u32_e32 v163, s15, v246
	v_ashrrev_i32_e32 v251, 31, v250
	v_ashrrev_i32_e32 v247, 31, v246
	v_add_co_ci_u32_e64 v80, null, s5, v164, vcc_lo
	v_ashrrev_i32_e32 v164, 31, v163
	v_lshlrev_b64 v[248:249], 4, v[250:251]
	s_waitcnt vmcnt(38)
	buffer_store_dword v32, off, s[0:3], 0 offset:60
	buffer_store_dword v31, off, s[0:3], 0 offset:56
	buffer_store_dword v30, off, s[0:3], 0 offset:52
	buffer_store_dword v29, off, s[0:3], 0 offset:48
	s_waitcnt vmcnt(37)
	buffer_store_dword v36, off, s[0:3], 0 offset:76
	buffer_store_dword v35, off, s[0:3], 0 offset:72
	buffer_store_dword v34, off, s[0:3], 0 offset:68
	buffer_store_dword v33, off, s[0:3], 0 offset:64
	;; [unrolled: 5-line block ×9, first 2 shown]
	buffer_store_dword v73, off, s[0:3], 0 offset:192
	buffer_store_dword v74, off, s[0:3], 0 offset:196
	;; [unrolled: 1-line block ×36, first 2 shown]
	s_waitcnt vmcnt(20)
	buffer_store_dword v120, off, s[0:3], 0 offset:348
	buffer_store_dword v119, off, s[0:3], 0 offset:344
	;; [unrolled: 1-line block ×4, first 2 shown]
	s_waitcnt vmcnt(19)
	buffer_store_dword v8, off, s[0:3], 0 offset:364
	v_add_nc_u32_e32 v49, s15, v163
	v_lshlrev_b64 v[45:46], 4, v[246:247]
	v_lshlrev_b64 v[47:48], 4, v[163:164]
	v_add_co_u32 v57, vcc_lo, s4, v248
	v_add_nc_u32_e32 v67, s15, v49
	v_ashrrev_i32_e32 v50, 31, v49
	v_add_co_ci_u32_e64 v58, null, s5, v249, vcc_lo
	v_add_co_u32 v59, vcc_lo, s4, v45
	v_add_nc_u32_e32 v69, s15, v67
	v_ashrrev_i32_e32 v68, 31, v67
	v_lshlrev_b64 v[71:72], 4, v[49:50]
	v_add_co_ci_u32_e64 v60, null, s5, v46, vcc_lo
	v_add_nc_u32_e32 v75, s15, v69
	v_lshlrev_b64 v[73:74], 4, v[67:68]
	v_ashrrev_i32_e32 v70, 31, v69
	v_add_co_u32 v65, vcc_lo, s4, v47
	v_ashrrev_i32_e32 v76, 31, v75
	v_add_co_ci_u32_e64 v66, null, s5, v48, vcc_lo
	v_add_co_u32 v67, vcc_lo, s4, v71
	v_add_co_ci_u32_e64 v68, null, s5, v72, vcc_lo
	v_lshlrev_b64 v[71:72], 4, v[69:70]
	v_add_co_u32 v69, vcc_lo, s4, v73
	v_add_co_ci_u32_e64 v70, null, s5, v74, vcc_lo
	v_lshlrev_b64 v[73:74], 4, v[75:76]
	v_add_nc_u32_e32 v75, s15, v75
	v_add_co_u32 v71, vcc_lo, s4, v71
	v_add_co_ci_u32_e64 v72, null, s5, v72, vcc_lo
	v_add_nc_u32_e32 v81, s15, v75
	v_ashrrev_i32_e32 v76, 31, v75
	v_add_co_u32 v73, vcc_lo, s4, v73
	v_add_co_ci_u32_e64 v74, null, s5, v74, vcc_lo
	v_add_nc_u32_e32 v84, s15, v81
	v_ashrrev_i32_e32 v82, 31, v81
	v_lshlrev_b64 v[75:76], 4, v[75:76]
	s_clause 0x3
	global_load_dwordx4 v[29:32], v[223:224], off
	global_load_dwordx4 v[33:36], v[77:78], off
	;; [unrolled: 1-line block ×4, first 2 shown]
	v_add_nc_u32_e32 v86, s15, v84
	v_lshlrev_b64 v[82:83], 4, v[81:82]
	v_ashrrev_i32_e32 v85, 31, v84
	v_add_co_u32 v75, vcc_lo, s4, v75
	v_add_nc_u32_e32 v117, s15, v86
	v_ashrrev_i32_e32 v87, 31, v86
	v_add_co_ci_u32_e64 v76, null, s5, v76, vcc_lo
	v_add_co_u32 v81, vcc_lo, s4, v82
	v_ashrrev_i32_e32 v118, 31, v117
	v_add_co_ci_u32_e64 v82, null, s5, v83, vcc_lo
	v_lshlrev_b64 v[83:84], 4, v[84:85]
	v_lshlrev_b64 v[85:86], 4, v[86:87]
	;; [unrolled: 1-line block ×3, first 2 shown]
	s_clause 0x5
	global_load_dwordx4 v[45:48], v[59:60], off
	global_load_dwordx4 v[49:52], v[65:66], off
	;; [unrolled: 1-line block ×6, first 2 shown]
	v_add_co_u32 v83, vcc_lo, s4, v83
	v_add_co_ci_u32_e64 v84, null, s5, v84, vcc_lo
	v_add_co_u32 v87, vcc_lo, s4, v85
	v_add_co_ci_u32_e64 v88, null, s5, v86, vcc_lo
	;; [unrolled: 2-line block ×3, first 2 shown]
	s_clause 0x3
	global_load_dwordx4 v[105:108], v[75:76], off
	global_load_dwordx4 v[109:112], v[81:82], off
	;; [unrolled: 1-line block ×4, first 2 shown]
	buffer_store_dword v7, off, s[0:3], 0 offset:360
	buffer_store_dword v6, off, s[0:3], 0 offset:356
	;; [unrolled: 1-line block ×3, first 2 shown]
	global_load_dwordx4 v[5:8], v[85:86], off
	s_movk_i32 s4, 0x50
	s_movk_i32 s5, 0x70
	s_add_i32 s63, s4, 16
	s_movk_i32 s4, 0x60
	s_add_i32 s61, s5, 16
	s_add_i32 s62, s4, 16
	s_movk_i32 s4, 0x80
	s_movk_i32 s5, 0x90
	s_add_i32 s60, s4, 16
	s_add_i32 s59, s5, 16
	s_movk_i32 s4, 0xa0
	;; [unrolled: 4-line block ×24, first 2 shown]
	s_movk_i32 s5, 0x370
	s_add_i32 s9, s4, 16
	s_add_i32 s8, s5, 16
	s_bitcmp0_b32 s69, 0
	s_mov_b32 s5, -1
	s_waitcnt vmcnt(33)
	buffer_store_dword v12, off, s[0:3], 0 offset:380
	buffer_store_dword v11, off, s[0:3], 0 offset:376
	buffer_store_dword v10, off, s[0:3], 0 offset:372
	buffer_store_dword v9, off, s[0:3], 0 offset:368
	s_waitcnt vmcnt(32)
	buffer_store_dword v20, off, s[0:3], 0 offset:396
	buffer_store_dword v19, off, s[0:3], 0 offset:392
	buffer_store_dword v18, off, s[0:3], 0 offset:388
	buffer_store_dword v17, off, s[0:3], 0 offset:384
	;; [unrolled: 5-line block ×34, first 2 shown]
	s_cbranch_scc1 .LBB55_236
; %bb.4:
	v_cmp_eq_u32_e64 s4, 0, v0
	s_and_saveexec_b32 s5, s4
; %bb.5:
	v_mov_b32_e32 v1, 0
	ds_write_b32 v1, v1 offset:1792
; %bb.6:
	s_or_b32 exec_lo, exec_lo, s5
	v_lshl_add_u32 v11, v0, 4, 16
	s_waitcnt lgkmcnt(0)
	s_waitcnt_vscnt null, 0x0
	s_barrier
	buffer_gl0_inv
	s_clause 0x3
	buffer_load_dword v1, v11, s[0:3], 0 offen
	buffer_load_dword v2, v11, s[0:3], 0 offen offset:4
	buffer_load_dword v3, v11, s[0:3], 0 offen offset:8
	;; [unrolled: 1-line block ×3, first 2 shown]
	s_waitcnt vmcnt(2)
	v_cmp_eq_f64_e32 vcc_lo, 0, v[1:2]
	s_waitcnt vmcnt(0)
	v_cmp_eq_f64_e64 s5, 0, v[3:4]
	s_and_b32 s5, vcc_lo, s5
	s_and_saveexec_b32 s69, s5
	s_cbranch_execz .LBB55_10
; %bb.7:
	v_mov_b32_e32 v1, 0
	s_mov_b32 s70, 0
	ds_read_b32 v2, v1 offset:1792
	s_waitcnt lgkmcnt(0)
	v_readfirstlane_b32 s5, v2
	v_add_nc_u32_e32 v2, 1, v0
	s_cmp_eq_u32 s5, 0
	v_cmp_gt_i32_e32 vcc_lo, s5, v2
	s_cselect_b32 s71, -1, 0
	s_or_b32 s71, s71, vcc_lo
	s_and_b32 exec_lo, exec_lo, s71
	s_cbranch_execz .LBB55_10
; %bb.8:
	v_mov_b32_e32 v3, s5
.LBB55_9:                               ; =>This Inner Loop Header: Depth=1
	ds_cmpst_rtn_b32 v3, v1, v3, v2 offset:1792
	s_waitcnt lgkmcnt(0)
	v_cmp_ne_u32_e32 vcc_lo, 0, v3
	v_cmp_le_i32_e64 s5, v3, v2
	s_and_b32 s5, vcc_lo, s5
	s_and_b32 s5, exec_lo, s5
	s_or_b32 s70, s5, s70
	s_andn2_b32 exec_lo, exec_lo, s70
	s_cbranch_execnz .LBB55_9
.LBB55_10:
	s_or_b32 exec_lo, exec_lo, s69
	v_mov_b32_e32 v1, 0
	s_barrier
	buffer_gl0_inv
	ds_read_b32 v2, v1 offset:1792
	s_and_saveexec_b32 s5, s4
	s_cbranch_execz .LBB55_12
; %bb.11:
	s_lshl_b64 s[70:71], s[6:7], 2
	s_add_u32 s70, s10, s70
	s_addc_u32 s71, s11, s71
	s_waitcnt lgkmcnt(0)
	global_store_dword v1, v2, s[70:71]
.LBB55_12:
	s_or_b32 exec_lo, exec_lo, s5
	s_waitcnt lgkmcnt(0)
	v_cmp_ne_u32_e32 vcc_lo, 0, v2
	s_mov_b32 s5, 0
	s_cbranch_vccnz .LBB55_236
; %bb.13:
	s_clause 0x3
	buffer_load_dword v7, v11, s[0:3], 0 offen
	buffer_load_dword v8, v11, s[0:3], 0 offen offset:4
	buffer_load_dword v9, v11, s[0:3], 0 offen offset:8
	;; [unrolled: 1-line block ×3, first 2 shown]
                                        ; implicit-def: $vgpr5_vgpr6
                                        ; implicit-def: $vgpr3_vgpr4
	s_waitcnt vmcnt(0)
	v_cmp_ngt_f64_e64 s5, |v[7:8]|, |v[9:10]|
	s_and_saveexec_b32 s69, s5
	s_xor_b32 s5, exec_lo, s69
	s_cbranch_execz .LBB55_15
; %bb.14:
	v_div_scale_f64 v[1:2], null, v[9:10], v[9:10], v[7:8]
	v_div_scale_f64 v[12:13], vcc_lo, v[7:8], v[9:10], v[7:8]
	v_rcp_f64_e32 v[3:4], v[1:2]
	v_fma_f64 v[5:6], -v[1:2], v[3:4], 1.0
	v_fma_f64 v[3:4], v[3:4], v[5:6], v[3:4]
	v_fma_f64 v[5:6], -v[1:2], v[3:4], 1.0
	v_fma_f64 v[3:4], v[3:4], v[5:6], v[3:4]
	v_mul_f64 v[5:6], v[12:13], v[3:4]
	v_fma_f64 v[1:2], -v[1:2], v[5:6], v[12:13]
	v_div_fmas_f64 v[1:2], v[1:2], v[3:4], v[5:6]
	v_div_fixup_f64 v[1:2], v[1:2], v[9:10], v[7:8]
	v_fma_f64 v[3:4], v[7:8], v[1:2], v[9:10]
	v_div_scale_f64 v[5:6], null, v[3:4], v[3:4], 1.0
	v_div_scale_f64 v[12:13], vcc_lo, 1.0, v[3:4], 1.0
	v_rcp_f64_e32 v[7:8], v[5:6]
	v_fma_f64 v[9:10], -v[5:6], v[7:8], 1.0
	v_fma_f64 v[7:8], v[7:8], v[9:10], v[7:8]
	v_fma_f64 v[9:10], -v[5:6], v[7:8], 1.0
	v_fma_f64 v[7:8], v[7:8], v[9:10], v[7:8]
	v_mul_f64 v[9:10], v[12:13], v[7:8]
	v_fma_f64 v[5:6], -v[5:6], v[9:10], v[12:13]
	v_div_fmas_f64 v[5:6], v[5:6], v[7:8], v[9:10]
                                        ; implicit-def: $vgpr7_vgpr8
                                        ; implicit-def: $vgpr9_vgpr10
	v_div_fixup_f64 v[3:4], v[5:6], v[3:4], 1.0
	v_mul_f64 v[5:6], v[1:2], v[3:4]
	v_xor_b32_e32 v4, 0x80000000, v4
	v_xor_b32_e32 v2, 0x80000000, v6
	v_mov_b32_e32 v1, v5
.LBB55_15:
	s_andn2_saveexec_b32 s5, s5
	s_cbranch_execz .LBB55_17
; %bb.16:
	v_div_scale_f64 v[1:2], null, v[7:8], v[7:8], v[9:10]
	v_div_scale_f64 v[12:13], vcc_lo, v[9:10], v[7:8], v[9:10]
	v_rcp_f64_e32 v[3:4], v[1:2]
	v_fma_f64 v[5:6], -v[1:2], v[3:4], 1.0
	v_fma_f64 v[3:4], v[3:4], v[5:6], v[3:4]
	v_fma_f64 v[5:6], -v[1:2], v[3:4], 1.0
	v_fma_f64 v[3:4], v[3:4], v[5:6], v[3:4]
	v_mul_f64 v[5:6], v[12:13], v[3:4]
	v_fma_f64 v[1:2], -v[1:2], v[5:6], v[12:13]
	v_div_fmas_f64 v[1:2], v[1:2], v[3:4], v[5:6]
	v_div_fixup_f64 v[1:2], v[1:2], v[7:8], v[9:10]
	v_fma_f64 v[3:4], v[9:10], v[1:2], v[7:8]
	v_div_scale_f64 v[5:6], null, v[3:4], v[3:4], 1.0
	v_rcp_f64_e32 v[7:8], v[5:6]
	v_fma_f64 v[9:10], -v[5:6], v[7:8], 1.0
	v_fma_f64 v[7:8], v[7:8], v[9:10], v[7:8]
	v_fma_f64 v[9:10], -v[5:6], v[7:8], 1.0
	v_fma_f64 v[7:8], v[7:8], v[9:10], v[7:8]
	v_div_scale_f64 v[9:10], vcc_lo, 1.0, v[3:4], 1.0
	v_mul_f64 v[12:13], v[9:10], v[7:8]
	v_fma_f64 v[5:6], -v[5:6], v[12:13], v[9:10]
	v_div_fmas_f64 v[5:6], v[5:6], v[7:8], v[12:13]
	v_div_fixup_f64 v[5:6], v[5:6], v[3:4], 1.0
	v_mul_f64 v[3:4], v[1:2], -v[5:6]
	v_xor_b32_e32 v2, 0x80000000, v6
	v_mov_b32_e32 v1, v5
.LBB55_17:
	s_or_b32 exec_lo, exec_lo, s5
	v_mov_b32_e32 v10, s67
	buffer_store_dword v6, v11, s[0:3], 0 offen offset:4
	buffer_store_dword v5, v11, s[0:3], 0 offen
	buffer_store_dword v4, v11, s[0:3], 0 offen offset:12
	buffer_store_dword v3, v11, s[0:3], 0 offen offset:8
	v_xor_b32_e32 v4, 0x80000000, v4
	v_add_nc_u32_e32 v5, 0x380, v225
	s_clause 0x3
	buffer_load_dword v9, v10, s[0:3], 0 offen offset:12
	buffer_load_dword v8, v10, s[0:3], 0 offen offset:8
	;; [unrolled: 1-line block ×3, first 2 shown]
	buffer_load_dword v6, v10, s[0:3], 0 offen
	ds_write_b128 v225, v[1:4]
	s_waitcnt vmcnt(0)
	ds_write_b128 v225, v[6:9] offset:896
	s_waitcnt lgkmcnt(0)
	s_waitcnt_vscnt null, 0x0
	s_barrier
	buffer_gl0_inv
	s_and_saveexec_b32 s5, s4
	s_cbranch_execz .LBB55_19
; %bb.18:
	s_clause 0x3
	buffer_load_dword v12, v11, s[0:3], 0 offen offset:8
	buffer_load_dword v13, v11, s[0:3], 0 offen offset:12
	buffer_load_dword v14, v11, s[0:3], 0 offen
	buffer_load_dword v15, v11, s[0:3], 0 offen offset:4
	ds_read_b128 v[1:4], v5
	v_mov_b32_e32 v6, 0
	ds_read_b128 v[6:9], v6 offset:16
	s_waitcnt vmcnt(2) lgkmcnt(1)
	v_mul_f64 v[16:17], v[1:2], v[12:13]
	v_mul_f64 v[12:13], v[3:4], v[12:13]
	s_waitcnt vmcnt(0)
	v_fma_f64 v[3:4], v[3:4], v[14:15], v[16:17]
	v_fma_f64 v[1:2], v[1:2], v[14:15], -v[12:13]
	v_add_f64 v[3:4], v[3:4], 0
	v_add_f64 v[1:2], v[1:2], 0
	s_waitcnt lgkmcnt(0)
	v_mul_f64 v[12:13], v[3:4], v[8:9]
	v_mul_f64 v[8:9], v[1:2], v[8:9]
	v_fma_f64 v[1:2], v[1:2], v[6:7], -v[12:13]
	v_fma_f64 v[3:4], v[3:4], v[6:7], v[8:9]
	buffer_store_dword v1, off, s[0:3], 0 offset:32
	buffer_store_dword v2, off, s[0:3], 0 offset:36
	;; [unrolled: 1-line block ×4, first 2 shown]
.LBB55_19:
	s_or_b32 exec_lo, exec_lo, s5
	v_mov_b32_e32 v4, s66
	s_waitcnt_vscnt null, 0x0
	s_barrier
	buffer_gl0_inv
	s_mov_b32 s5, exec_lo
	s_clause 0x3
	buffer_load_dword v1, v4, s[0:3], 0 offen
	buffer_load_dword v2, v4, s[0:3], 0 offen offset:4
	buffer_load_dword v3, v4, s[0:3], 0 offen offset:8
	;; [unrolled: 1-line block ×3, first 2 shown]
	s_waitcnt vmcnt(0)
	ds_write_b128 v5, v[1:4]
	s_waitcnt lgkmcnt(0)
	s_barrier
	buffer_gl0_inv
	v_cmpx_gt_u32_e32 2, v0
	s_cbranch_execz .LBB55_23
; %bb.20:
	s_clause 0x3
	buffer_load_dword v6, v11, s[0:3], 0 offen offset:8
	buffer_load_dword v7, v11, s[0:3], 0 offen offset:12
	buffer_load_dword v8, v11, s[0:3], 0 offen
	buffer_load_dword v9, v11, s[0:3], 0 offen offset:4
	ds_read_b128 v[1:4], v5
	s_waitcnt vmcnt(2) lgkmcnt(0)
	v_mul_f64 v[10:11], v[3:4], v[6:7]
	v_mul_f64 v[6:7], v[1:2], v[6:7]
	s_waitcnt vmcnt(0)
	v_fma_f64 v[1:2], v[1:2], v[8:9], -v[10:11]
	v_fma_f64 v[3:4], v[3:4], v[8:9], v[6:7]
	v_add_f64 v[1:2], v[1:2], 0
	v_add_f64 v[3:4], v[3:4], 0
	s_and_saveexec_b32 s69, s4
	s_cbranch_execz .LBB55_22
; %bb.21:
	s_clause 0x3
	buffer_load_dword v10, off, s[0:3], 0 offset:40
	buffer_load_dword v11, off, s[0:3], 0 offset:44
	buffer_load_dword v12, off, s[0:3], 0 offset:32
	buffer_load_dword v13, off, s[0:3], 0 offset:36
	v_mov_b32_e32 v6, 0
	ds_read_b128 v[6:9], v6 offset:912
	s_waitcnt vmcnt(2) lgkmcnt(0)
	v_mul_f64 v[14:15], v[6:7], v[10:11]
	v_mul_f64 v[10:11], v[8:9], v[10:11]
	s_waitcnt vmcnt(0)
	v_fma_f64 v[8:9], v[8:9], v[12:13], v[14:15]
	v_fma_f64 v[6:7], v[6:7], v[12:13], -v[10:11]
	v_add_f64 v[3:4], v[3:4], v[8:9]
	v_add_f64 v[1:2], v[1:2], v[6:7]
.LBB55_22:
	s_or_b32 exec_lo, exec_lo, s69
	v_mov_b32_e32 v6, 0
	ds_read_b128 v[6:9], v6 offset:32
	s_waitcnt lgkmcnt(0)
	v_mul_f64 v[10:11], v[3:4], v[8:9]
	v_mul_f64 v[8:9], v[1:2], v[8:9]
	v_fma_f64 v[1:2], v[1:2], v[6:7], -v[10:11]
	v_fma_f64 v[3:4], v[3:4], v[6:7], v[8:9]
	buffer_store_dword v2, off, s[0:3], 0 offset:52
	buffer_store_dword v1, off, s[0:3], 0 offset:48
	;; [unrolled: 1-line block ×4, first 2 shown]
.LBB55_23:
	s_or_b32 exec_lo, exec_lo, s5
	v_mov_b32_e32 v4, s65
	s_waitcnt_vscnt null, 0x0
	s_barrier
	buffer_gl0_inv
	v_add_nc_u32_e32 v6, -1, v0
	s_clause 0x3
	buffer_load_dword v1, v4, s[0:3], 0 offen
	buffer_load_dword v2, v4, s[0:3], 0 offen offset:4
	buffer_load_dword v3, v4, s[0:3], 0 offen offset:8
	;; [unrolled: 1-line block ×3, first 2 shown]
	s_mov_b32 s4, exec_lo
	s_waitcnt vmcnt(0)
	ds_write_b128 v5, v[1:4]
	s_waitcnt lgkmcnt(0)
	s_barrier
	buffer_gl0_inv
	v_cmpx_gt_u32_e32 3, v0
	s_cbranch_execz .LBB55_27
; %bb.24:
	v_mov_b32_e32 v1, 0
	v_mov_b32_e32 v3, 0
	v_add_nc_u32_e32 v7, -1, v0
	v_add_nc_u32_e32 v8, 0x380, v225
	v_mov_b32_e32 v2, 0
	v_mov_b32_e32 v4, 0
	v_add_nc_u32_e32 v9, 16, v225
	s_mov_b32 s5, 0
	.p2align	6
.LBB55_25:                              ; =>This Inner Loop Header: Depth=1
	s_clause 0x3
	buffer_load_dword v14, v9, s[0:3], 0 offen offset:8
	buffer_load_dword v15, v9, s[0:3], 0 offen offset:12
	buffer_load_dword v16, v9, s[0:3], 0 offen
	buffer_load_dword v17, v9, s[0:3], 0 offen offset:4
	ds_read_b128 v[10:13], v8
	v_add_nc_u32_e32 v7, 1, v7
	v_add_nc_u32_e32 v8, 16, v8
	;; [unrolled: 1-line block ×3, first 2 shown]
	v_cmp_lt_u32_e32 vcc_lo, 1, v7
	s_or_b32 s5, vcc_lo, s5
	s_waitcnt vmcnt(2) lgkmcnt(0)
	v_mul_f64 v[18:19], v[12:13], v[14:15]
	v_mul_f64 v[14:15], v[10:11], v[14:15]
	s_waitcnt vmcnt(0)
	v_fma_f64 v[10:11], v[10:11], v[16:17], -v[18:19]
	v_fma_f64 v[12:13], v[12:13], v[16:17], v[14:15]
	v_add_f64 v[3:4], v[3:4], v[10:11]
	v_add_f64 v[1:2], v[1:2], v[12:13]
	s_andn2_b32 exec_lo, exec_lo, s5
	s_cbranch_execnz .LBB55_25
; %bb.26:
	s_or_b32 exec_lo, exec_lo, s5
	v_mov_b32_e32 v7, 0
	ds_read_b128 v[7:10], v7 offset:48
	s_waitcnt lgkmcnt(0)
	v_mul_f64 v[11:12], v[1:2], v[9:10]
	v_mul_f64 v[9:10], v[3:4], v[9:10]
	v_fma_f64 v[3:4], v[3:4], v[7:8], -v[11:12]
	v_fma_f64 v[1:2], v[1:2], v[7:8], v[9:10]
	buffer_store_dword v4, off, s[0:3], 0 offset:68
	buffer_store_dword v3, off, s[0:3], 0 offset:64
	;; [unrolled: 1-line block ×4, first 2 shown]
.LBB55_27:
	s_or_b32 exec_lo, exec_lo, s4
	v_mov_b32_e32 v4, s64
	s_waitcnt_vscnt null, 0x0
	s_barrier
	buffer_gl0_inv
	s_mov_b32 s4, exec_lo
	s_clause 0x3
	buffer_load_dword v1, v4, s[0:3], 0 offen
	buffer_load_dword v2, v4, s[0:3], 0 offen offset:4
	buffer_load_dword v3, v4, s[0:3], 0 offen offset:8
	;; [unrolled: 1-line block ×3, first 2 shown]
	s_waitcnt vmcnt(0)
	ds_write_b128 v5, v[1:4]
	s_waitcnt lgkmcnt(0)
	s_barrier
	buffer_gl0_inv
	v_cmpx_gt_u32_e32 4, v0
	s_cbranch_execz .LBB55_31
; %bb.28:
	v_mov_b32_e32 v1, 0
	v_mov_b32_e32 v3, 0
	v_add_nc_u32_e32 v7, -1, v0
	v_add_nc_u32_e32 v8, 0x380, v225
	v_mov_b32_e32 v2, 0
	v_mov_b32_e32 v4, 0
	v_add_nc_u32_e32 v9, 16, v225
	s_mov_b32 s5, 0
	.p2align	6
.LBB55_29:                              ; =>This Inner Loop Header: Depth=1
	s_clause 0x3
	buffer_load_dword v14, v9, s[0:3], 0 offen offset:8
	buffer_load_dword v15, v9, s[0:3], 0 offen offset:12
	buffer_load_dword v16, v9, s[0:3], 0 offen
	buffer_load_dword v17, v9, s[0:3], 0 offen offset:4
	ds_read_b128 v[10:13], v8
	v_add_nc_u32_e32 v7, 1, v7
	v_add_nc_u32_e32 v8, 16, v8
	;; [unrolled: 1-line block ×3, first 2 shown]
	v_cmp_lt_u32_e32 vcc_lo, 2, v7
	s_or_b32 s5, vcc_lo, s5
	s_waitcnt vmcnt(2) lgkmcnt(0)
	v_mul_f64 v[18:19], v[12:13], v[14:15]
	v_mul_f64 v[14:15], v[10:11], v[14:15]
	s_waitcnt vmcnt(0)
	v_fma_f64 v[10:11], v[10:11], v[16:17], -v[18:19]
	v_fma_f64 v[12:13], v[12:13], v[16:17], v[14:15]
	v_add_f64 v[3:4], v[3:4], v[10:11]
	v_add_f64 v[1:2], v[1:2], v[12:13]
	s_andn2_b32 exec_lo, exec_lo, s5
	s_cbranch_execnz .LBB55_29
; %bb.30:
	s_or_b32 exec_lo, exec_lo, s5
	v_mov_b32_e32 v7, 0
	ds_read_b128 v[7:10], v7 offset:64
	s_waitcnt lgkmcnt(0)
	v_mul_f64 v[11:12], v[1:2], v[9:10]
	v_mul_f64 v[9:10], v[3:4], v[9:10]
	v_fma_f64 v[3:4], v[3:4], v[7:8], -v[11:12]
	v_fma_f64 v[1:2], v[1:2], v[7:8], v[9:10]
	buffer_store_dword v4, off, s[0:3], 0 offset:84
	buffer_store_dword v3, off, s[0:3], 0 offset:80
	;; [unrolled: 1-line block ×4, first 2 shown]
.LBB55_31:
	s_or_b32 exec_lo, exec_lo, s4
	v_mov_b32_e32 v4, s63
	s_waitcnt_vscnt null, 0x0
	s_barrier
	buffer_gl0_inv
	s_mov_b32 s4, exec_lo
	s_clause 0x3
	buffer_load_dword v1, v4, s[0:3], 0 offen
	buffer_load_dword v2, v4, s[0:3], 0 offen offset:4
	buffer_load_dword v3, v4, s[0:3], 0 offen offset:8
	;; [unrolled: 1-line block ×3, first 2 shown]
	s_waitcnt vmcnt(0)
	ds_write_b128 v5, v[1:4]
	s_waitcnt lgkmcnt(0)
	s_barrier
	buffer_gl0_inv
	v_cmpx_gt_u32_e32 5, v0
	s_cbranch_execz .LBB55_35
; %bb.32:
	v_mov_b32_e32 v1, 0
	v_mov_b32_e32 v3, 0
	v_add_nc_u32_e32 v7, -1, v0
	v_add_nc_u32_e32 v8, 0x380, v225
	v_mov_b32_e32 v2, 0
	v_mov_b32_e32 v4, 0
	v_add_nc_u32_e32 v9, 16, v225
	s_mov_b32 s5, 0
	.p2align	6
.LBB55_33:                              ; =>This Inner Loop Header: Depth=1
	s_clause 0x3
	buffer_load_dword v14, v9, s[0:3], 0 offen offset:8
	buffer_load_dword v15, v9, s[0:3], 0 offen offset:12
	buffer_load_dword v16, v9, s[0:3], 0 offen
	buffer_load_dword v17, v9, s[0:3], 0 offen offset:4
	ds_read_b128 v[10:13], v8
	v_add_nc_u32_e32 v7, 1, v7
	v_add_nc_u32_e32 v8, 16, v8
	;; [unrolled: 1-line block ×3, first 2 shown]
	v_cmp_lt_u32_e32 vcc_lo, 3, v7
	s_or_b32 s5, vcc_lo, s5
	s_waitcnt vmcnt(2) lgkmcnt(0)
	v_mul_f64 v[18:19], v[12:13], v[14:15]
	v_mul_f64 v[14:15], v[10:11], v[14:15]
	s_waitcnt vmcnt(0)
	v_fma_f64 v[10:11], v[10:11], v[16:17], -v[18:19]
	v_fma_f64 v[12:13], v[12:13], v[16:17], v[14:15]
	v_add_f64 v[3:4], v[3:4], v[10:11]
	v_add_f64 v[1:2], v[1:2], v[12:13]
	s_andn2_b32 exec_lo, exec_lo, s5
	s_cbranch_execnz .LBB55_33
; %bb.34:
	s_or_b32 exec_lo, exec_lo, s5
	v_mov_b32_e32 v7, 0
	ds_read_b128 v[7:10], v7 offset:80
	s_waitcnt lgkmcnt(0)
	v_mul_f64 v[11:12], v[1:2], v[9:10]
	v_mul_f64 v[9:10], v[3:4], v[9:10]
	v_fma_f64 v[3:4], v[3:4], v[7:8], -v[11:12]
	v_fma_f64 v[1:2], v[1:2], v[7:8], v[9:10]
	buffer_store_dword v4, off, s[0:3], 0 offset:100
	buffer_store_dword v3, off, s[0:3], 0 offset:96
	;; [unrolled: 1-line block ×4, first 2 shown]
.LBB55_35:
	s_or_b32 exec_lo, exec_lo, s4
	v_mov_b32_e32 v4, s62
	s_waitcnt_vscnt null, 0x0
	s_barrier
	buffer_gl0_inv
	s_mov_b32 s4, exec_lo
	s_clause 0x3
	buffer_load_dword v1, v4, s[0:3], 0 offen
	buffer_load_dword v2, v4, s[0:3], 0 offen offset:4
	buffer_load_dword v3, v4, s[0:3], 0 offen offset:8
	;; [unrolled: 1-line block ×3, first 2 shown]
	s_waitcnt vmcnt(0)
	ds_write_b128 v5, v[1:4]
	s_waitcnt lgkmcnt(0)
	s_barrier
	buffer_gl0_inv
	v_cmpx_gt_u32_e32 6, v0
	s_cbranch_execz .LBB55_39
; %bb.36:
	v_mov_b32_e32 v1, 0
	v_mov_b32_e32 v3, 0
	v_add_nc_u32_e32 v7, -1, v0
	v_add_nc_u32_e32 v8, 0x380, v225
	v_mov_b32_e32 v2, 0
	v_mov_b32_e32 v4, 0
	v_add_nc_u32_e32 v9, 16, v225
	s_mov_b32 s5, 0
	.p2align	6
.LBB55_37:                              ; =>This Inner Loop Header: Depth=1
	s_clause 0x3
	buffer_load_dword v14, v9, s[0:3], 0 offen offset:8
	buffer_load_dword v15, v9, s[0:3], 0 offen offset:12
	buffer_load_dword v16, v9, s[0:3], 0 offen
	buffer_load_dword v17, v9, s[0:3], 0 offen offset:4
	ds_read_b128 v[10:13], v8
	v_add_nc_u32_e32 v7, 1, v7
	v_add_nc_u32_e32 v8, 16, v8
	;; [unrolled: 1-line block ×3, first 2 shown]
	v_cmp_lt_u32_e32 vcc_lo, 4, v7
	s_or_b32 s5, vcc_lo, s5
	s_waitcnt vmcnt(2) lgkmcnt(0)
	v_mul_f64 v[18:19], v[12:13], v[14:15]
	v_mul_f64 v[14:15], v[10:11], v[14:15]
	s_waitcnt vmcnt(0)
	v_fma_f64 v[10:11], v[10:11], v[16:17], -v[18:19]
	v_fma_f64 v[12:13], v[12:13], v[16:17], v[14:15]
	v_add_f64 v[3:4], v[3:4], v[10:11]
	v_add_f64 v[1:2], v[1:2], v[12:13]
	s_andn2_b32 exec_lo, exec_lo, s5
	s_cbranch_execnz .LBB55_37
; %bb.38:
	s_or_b32 exec_lo, exec_lo, s5
	v_mov_b32_e32 v7, 0
	ds_read_b128 v[7:10], v7 offset:96
	s_waitcnt lgkmcnt(0)
	v_mul_f64 v[11:12], v[1:2], v[9:10]
	v_mul_f64 v[9:10], v[3:4], v[9:10]
	v_fma_f64 v[3:4], v[3:4], v[7:8], -v[11:12]
	v_fma_f64 v[1:2], v[1:2], v[7:8], v[9:10]
	buffer_store_dword v4, off, s[0:3], 0 offset:116
	buffer_store_dword v3, off, s[0:3], 0 offset:112
	;; [unrolled: 1-line block ×4, first 2 shown]
.LBB55_39:
	s_or_b32 exec_lo, exec_lo, s4
	v_mov_b32_e32 v4, s61
	s_waitcnt_vscnt null, 0x0
	s_barrier
	buffer_gl0_inv
	s_mov_b32 s4, exec_lo
	s_clause 0x3
	buffer_load_dword v1, v4, s[0:3], 0 offen
	buffer_load_dword v2, v4, s[0:3], 0 offen offset:4
	buffer_load_dword v3, v4, s[0:3], 0 offen offset:8
	;; [unrolled: 1-line block ×3, first 2 shown]
	s_waitcnt vmcnt(0)
	ds_write_b128 v5, v[1:4]
	s_waitcnt lgkmcnt(0)
	s_barrier
	buffer_gl0_inv
	v_cmpx_gt_u32_e32 7, v0
	s_cbranch_execz .LBB55_43
; %bb.40:
	v_mov_b32_e32 v1, 0
	v_mov_b32_e32 v3, 0
	v_add_nc_u32_e32 v7, -1, v0
	v_add_nc_u32_e32 v8, 0x380, v225
	v_mov_b32_e32 v2, 0
	v_mov_b32_e32 v4, 0
	v_add_nc_u32_e32 v9, 16, v225
	s_mov_b32 s5, 0
	.p2align	6
.LBB55_41:                              ; =>This Inner Loop Header: Depth=1
	s_clause 0x3
	buffer_load_dword v14, v9, s[0:3], 0 offen offset:8
	buffer_load_dword v15, v9, s[0:3], 0 offen offset:12
	buffer_load_dword v16, v9, s[0:3], 0 offen
	buffer_load_dword v17, v9, s[0:3], 0 offen offset:4
	ds_read_b128 v[10:13], v8
	v_add_nc_u32_e32 v7, 1, v7
	v_add_nc_u32_e32 v8, 16, v8
	;; [unrolled: 1-line block ×3, first 2 shown]
	v_cmp_lt_u32_e32 vcc_lo, 5, v7
	s_or_b32 s5, vcc_lo, s5
	s_waitcnt vmcnt(2) lgkmcnt(0)
	v_mul_f64 v[18:19], v[12:13], v[14:15]
	v_mul_f64 v[14:15], v[10:11], v[14:15]
	s_waitcnt vmcnt(0)
	v_fma_f64 v[10:11], v[10:11], v[16:17], -v[18:19]
	v_fma_f64 v[12:13], v[12:13], v[16:17], v[14:15]
	v_add_f64 v[3:4], v[3:4], v[10:11]
	v_add_f64 v[1:2], v[1:2], v[12:13]
	s_andn2_b32 exec_lo, exec_lo, s5
	s_cbranch_execnz .LBB55_41
; %bb.42:
	s_or_b32 exec_lo, exec_lo, s5
	v_mov_b32_e32 v7, 0
	ds_read_b128 v[7:10], v7 offset:112
	s_waitcnt lgkmcnt(0)
	v_mul_f64 v[11:12], v[1:2], v[9:10]
	v_mul_f64 v[9:10], v[3:4], v[9:10]
	v_fma_f64 v[3:4], v[3:4], v[7:8], -v[11:12]
	v_fma_f64 v[1:2], v[1:2], v[7:8], v[9:10]
	buffer_store_dword v4, off, s[0:3], 0 offset:132
	buffer_store_dword v3, off, s[0:3], 0 offset:128
	;; [unrolled: 1-line block ×4, first 2 shown]
.LBB55_43:
	s_or_b32 exec_lo, exec_lo, s4
	v_mov_b32_e32 v4, s60
	s_waitcnt_vscnt null, 0x0
	s_barrier
	buffer_gl0_inv
	s_mov_b32 s4, exec_lo
	s_clause 0x3
	buffer_load_dword v1, v4, s[0:3], 0 offen
	buffer_load_dword v2, v4, s[0:3], 0 offen offset:4
	buffer_load_dword v3, v4, s[0:3], 0 offen offset:8
	;; [unrolled: 1-line block ×3, first 2 shown]
	s_waitcnt vmcnt(0)
	ds_write_b128 v5, v[1:4]
	s_waitcnt lgkmcnt(0)
	s_barrier
	buffer_gl0_inv
	v_cmpx_gt_u32_e32 8, v0
	s_cbranch_execz .LBB55_47
; %bb.44:
	v_mov_b32_e32 v1, 0
	v_mov_b32_e32 v3, 0
	v_add_nc_u32_e32 v7, -1, v0
	v_add_nc_u32_e32 v8, 0x380, v225
	v_mov_b32_e32 v2, 0
	v_mov_b32_e32 v4, 0
	v_add_nc_u32_e32 v9, 16, v225
	s_mov_b32 s5, 0
	.p2align	6
.LBB55_45:                              ; =>This Inner Loop Header: Depth=1
	s_clause 0x3
	buffer_load_dword v14, v9, s[0:3], 0 offen offset:8
	buffer_load_dword v15, v9, s[0:3], 0 offen offset:12
	buffer_load_dword v16, v9, s[0:3], 0 offen
	buffer_load_dword v17, v9, s[0:3], 0 offen offset:4
	ds_read_b128 v[10:13], v8
	v_add_nc_u32_e32 v7, 1, v7
	v_add_nc_u32_e32 v8, 16, v8
	;; [unrolled: 1-line block ×3, first 2 shown]
	v_cmp_lt_u32_e32 vcc_lo, 6, v7
	s_or_b32 s5, vcc_lo, s5
	s_waitcnt vmcnt(2) lgkmcnt(0)
	v_mul_f64 v[18:19], v[12:13], v[14:15]
	v_mul_f64 v[14:15], v[10:11], v[14:15]
	s_waitcnt vmcnt(0)
	v_fma_f64 v[10:11], v[10:11], v[16:17], -v[18:19]
	v_fma_f64 v[12:13], v[12:13], v[16:17], v[14:15]
	v_add_f64 v[3:4], v[3:4], v[10:11]
	v_add_f64 v[1:2], v[1:2], v[12:13]
	s_andn2_b32 exec_lo, exec_lo, s5
	s_cbranch_execnz .LBB55_45
; %bb.46:
	s_or_b32 exec_lo, exec_lo, s5
	v_mov_b32_e32 v7, 0
	ds_read_b128 v[7:10], v7 offset:128
	s_waitcnt lgkmcnt(0)
	v_mul_f64 v[11:12], v[1:2], v[9:10]
	v_mul_f64 v[9:10], v[3:4], v[9:10]
	v_fma_f64 v[3:4], v[3:4], v[7:8], -v[11:12]
	v_fma_f64 v[1:2], v[1:2], v[7:8], v[9:10]
	buffer_store_dword v4, off, s[0:3], 0 offset:148
	buffer_store_dword v3, off, s[0:3], 0 offset:144
	;; [unrolled: 1-line block ×4, first 2 shown]
.LBB55_47:
	s_or_b32 exec_lo, exec_lo, s4
	v_mov_b32_e32 v4, s59
	s_waitcnt_vscnt null, 0x0
	s_barrier
	buffer_gl0_inv
	s_mov_b32 s4, exec_lo
	s_clause 0x3
	buffer_load_dword v1, v4, s[0:3], 0 offen
	buffer_load_dword v2, v4, s[0:3], 0 offen offset:4
	buffer_load_dword v3, v4, s[0:3], 0 offen offset:8
	buffer_load_dword v4, v4, s[0:3], 0 offen offset:12
	s_waitcnt vmcnt(0)
	ds_write_b128 v5, v[1:4]
	s_waitcnt lgkmcnt(0)
	s_barrier
	buffer_gl0_inv
	v_cmpx_gt_u32_e32 9, v0
	s_cbranch_execz .LBB55_51
; %bb.48:
	v_mov_b32_e32 v1, 0
	v_mov_b32_e32 v3, 0
	v_add_nc_u32_e32 v7, -1, v0
	v_add_nc_u32_e32 v8, 0x380, v225
	v_mov_b32_e32 v2, 0
	v_mov_b32_e32 v4, 0
	v_add_nc_u32_e32 v9, 16, v225
	s_mov_b32 s5, 0
	.p2align	6
.LBB55_49:                              ; =>This Inner Loop Header: Depth=1
	s_clause 0x3
	buffer_load_dword v14, v9, s[0:3], 0 offen offset:8
	buffer_load_dword v15, v9, s[0:3], 0 offen offset:12
	buffer_load_dword v16, v9, s[0:3], 0 offen
	buffer_load_dword v17, v9, s[0:3], 0 offen offset:4
	ds_read_b128 v[10:13], v8
	v_add_nc_u32_e32 v7, 1, v7
	v_add_nc_u32_e32 v8, 16, v8
	;; [unrolled: 1-line block ×3, first 2 shown]
	v_cmp_lt_u32_e32 vcc_lo, 7, v7
	s_or_b32 s5, vcc_lo, s5
	s_waitcnt vmcnt(2) lgkmcnt(0)
	v_mul_f64 v[18:19], v[12:13], v[14:15]
	v_mul_f64 v[14:15], v[10:11], v[14:15]
	s_waitcnt vmcnt(0)
	v_fma_f64 v[10:11], v[10:11], v[16:17], -v[18:19]
	v_fma_f64 v[12:13], v[12:13], v[16:17], v[14:15]
	v_add_f64 v[3:4], v[3:4], v[10:11]
	v_add_f64 v[1:2], v[1:2], v[12:13]
	s_andn2_b32 exec_lo, exec_lo, s5
	s_cbranch_execnz .LBB55_49
; %bb.50:
	s_or_b32 exec_lo, exec_lo, s5
	v_mov_b32_e32 v7, 0
	ds_read_b128 v[7:10], v7 offset:144
	s_waitcnt lgkmcnt(0)
	v_mul_f64 v[11:12], v[1:2], v[9:10]
	v_mul_f64 v[9:10], v[3:4], v[9:10]
	v_fma_f64 v[3:4], v[3:4], v[7:8], -v[11:12]
	v_fma_f64 v[1:2], v[1:2], v[7:8], v[9:10]
	buffer_store_dword v4, off, s[0:3], 0 offset:164
	buffer_store_dword v3, off, s[0:3], 0 offset:160
	;; [unrolled: 1-line block ×4, first 2 shown]
.LBB55_51:
	s_or_b32 exec_lo, exec_lo, s4
	v_mov_b32_e32 v4, s58
	s_waitcnt_vscnt null, 0x0
	s_barrier
	buffer_gl0_inv
	s_mov_b32 s4, exec_lo
	s_clause 0x3
	buffer_load_dword v1, v4, s[0:3], 0 offen
	buffer_load_dword v2, v4, s[0:3], 0 offen offset:4
	buffer_load_dword v3, v4, s[0:3], 0 offen offset:8
	;; [unrolled: 1-line block ×3, first 2 shown]
	s_waitcnt vmcnt(0)
	ds_write_b128 v5, v[1:4]
	s_waitcnt lgkmcnt(0)
	s_barrier
	buffer_gl0_inv
	v_cmpx_gt_u32_e32 10, v0
	s_cbranch_execz .LBB55_55
; %bb.52:
	v_mov_b32_e32 v1, 0
	v_mov_b32_e32 v3, 0
	v_add_nc_u32_e32 v7, -1, v0
	v_add_nc_u32_e32 v8, 0x380, v225
	v_mov_b32_e32 v2, 0
	v_mov_b32_e32 v4, 0
	v_add_nc_u32_e32 v9, 16, v225
	s_mov_b32 s5, 0
	.p2align	6
.LBB55_53:                              ; =>This Inner Loop Header: Depth=1
	s_clause 0x3
	buffer_load_dword v14, v9, s[0:3], 0 offen offset:8
	buffer_load_dword v15, v9, s[0:3], 0 offen offset:12
	buffer_load_dword v16, v9, s[0:3], 0 offen
	buffer_load_dword v17, v9, s[0:3], 0 offen offset:4
	ds_read_b128 v[10:13], v8
	v_add_nc_u32_e32 v7, 1, v7
	v_add_nc_u32_e32 v8, 16, v8
	v_add_nc_u32_e32 v9, 16, v9
	v_cmp_lt_u32_e32 vcc_lo, 8, v7
	s_or_b32 s5, vcc_lo, s5
	s_waitcnt vmcnt(2) lgkmcnt(0)
	v_mul_f64 v[18:19], v[12:13], v[14:15]
	v_mul_f64 v[14:15], v[10:11], v[14:15]
	s_waitcnt vmcnt(0)
	v_fma_f64 v[10:11], v[10:11], v[16:17], -v[18:19]
	v_fma_f64 v[12:13], v[12:13], v[16:17], v[14:15]
	v_add_f64 v[3:4], v[3:4], v[10:11]
	v_add_f64 v[1:2], v[1:2], v[12:13]
	s_andn2_b32 exec_lo, exec_lo, s5
	s_cbranch_execnz .LBB55_53
; %bb.54:
	s_or_b32 exec_lo, exec_lo, s5
	v_mov_b32_e32 v7, 0
	ds_read_b128 v[7:10], v7 offset:160
	s_waitcnt lgkmcnt(0)
	v_mul_f64 v[11:12], v[1:2], v[9:10]
	v_mul_f64 v[9:10], v[3:4], v[9:10]
	v_fma_f64 v[3:4], v[3:4], v[7:8], -v[11:12]
	v_fma_f64 v[1:2], v[1:2], v[7:8], v[9:10]
	buffer_store_dword v4, off, s[0:3], 0 offset:180
	buffer_store_dword v3, off, s[0:3], 0 offset:176
	;; [unrolled: 1-line block ×4, first 2 shown]
.LBB55_55:
	s_or_b32 exec_lo, exec_lo, s4
	v_mov_b32_e32 v4, s57
	s_waitcnt_vscnt null, 0x0
	s_barrier
	buffer_gl0_inv
	s_mov_b32 s4, exec_lo
	s_clause 0x3
	buffer_load_dword v1, v4, s[0:3], 0 offen
	buffer_load_dword v2, v4, s[0:3], 0 offen offset:4
	buffer_load_dword v3, v4, s[0:3], 0 offen offset:8
	;; [unrolled: 1-line block ×3, first 2 shown]
	s_waitcnt vmcnt(0)
	ds_write_b128 v5, v[1:4]
	s_waitcnt lgkmcnt(0)
	s_barrier
	buffer_gl0_inv
	v_cmpx_gt_u32_e32 11, v0
	s_cbranch_execz .LBB55_59
; %bb.56:
	v_mov_b32_e32 v1, 0
	v_mov_b32_e32 v3, 0
	v_add_nc_u32_e32 v7, -1, v0
	v_add_nc_u32_e32 v8, 0x380, v225
	v_mov_b32_e32 v2, 0
	v_mov_b32_e32 v4, 0
	v_add_nc_u32_e32 v9, 16, v225
	s_mov_b32 s5, 0
	.p2align	6
.LBB55_57:                              ; =>This Inner Loop Header: Depth=1
	s_clause 0x3
	buffer_load_dword v14, v9, s[0:3], 0 offen offset:8
	buffer_load_dword v15, v9, s[0:3], 0 offen offset:12
	buffer_load_dword v16, v9, s[0:3], 0 offen
	buffer_load_dword v17, v9, s[0:3], 0 offen offset:4
	ds_read_b128 v[10:13], v8
	v_add_nc_u32_e32 v7, 1, v7
	v_add_nc_u32_e32 v8, 16, v8
	;; [unrolled: 1-line block ×3, first 2 shown]
	v_cmp_lt_u32_e32 vcc_lo, 9, v7
	s_or_b32 s5, vcc_lo, s5
	s_waitcnt vmcnt(2) lgkmcnt(0)
	v_mul_f64 v[18:19], v[12:13], v[14:15]
	v_mul_f64 v[14:15], v[10:11], v[14:15]
	s_waitcnt vmcnt(0)
	v_fma_f64 v[10:11], v[10:11], v[16:17], -v[18:19]
	v_fma_f64 v[12:13], v[12:13], v[16:17], v[14:15]
	v_add_f64 v[3:4], v[3:4], v[10:11]
	v_add_f64 v[1:2], v[1:2], v[12:13]
	s_andn2_b32 exec_lo, exec_lo, s5
	s_cbranch_execnz .LBB55_57
; %bb.58:
	s_or_b32 exec_lo, exec_lo, s5
	v_mov_b32_e32 v7, 0
	ds_read_b128 v[7:10], v7 offset:176
	s_waitcnt lgkmcnt(0)
	v_mul_f64 v[11:12], v[1:2], v[9:10]
	v_mul_f64 v[9:10], v[3:4], v[9:10]
	v_fma_f64 v[3:4], v[3:4], v[7:8], -v[11:12]
	v_fma_f64 v[1:2], v[1:2], v[7:8], v[9:10]
	buffer_store_dword v4, off, s[0:3], 0 offset:196
	buffer_store_dword v3, off, s[0:3], 0 offset:192
	;; [unrolled: 1-line block ×4, first 2 shown]
.LBB55_59:
	s_or_b32 exec_lo, exec_lo, s4
	v_mov_b32_e32 v4, s56
	s_waitcnt_vscnt null, 0x0
	s_barrier
	buffer_gl0_inv
	s_mov_b32 s4, exec_lo
	s_clause 0x3
	buffer_load_dword v1, v4, s[0:3], 0 offen
	buffer_load_dword v2, v4, s[0:3], 0 offen offset:4
	buffer_load_dword v3, v4, s[0:3], 0 offen offset:8
	;; [unrolled: 1-line block ×3, first 2 shown]
	s_waitcnt vmcnt(0)
	ds_write_b128 v5, v[1:4]
	s_waitcnt lgkmcnt(0)
	s_barrier
	buffer_gl0_inv
	v_cmpx_gt_u32_e32 12, v0
	s_cbranch_execz .LBB55_63
; %bb.60:
	v_mov_b32_e32 v1, 0
	v_mov_b32_e32 v3, 0
	v_add_nc_u32_e32 v7, -1, v0
	v_add_nc_u32_e32 v8, 0x380, v225
	v_mov_b32_e32 v2, 0
	v_mov_b32_e32 v4, 0
	v_add_nc_u32_e32 v9, 16, v225
	s_mov_b32 s5, 0
	.p2align	6
.LBB55_61:                              ; =>This Inner Loop Header: Depth=1
	s_clause 0x3
	buffer_load_dword v14, v9, s[0:3], 0 offen offset:8
	buffer_load_dword v15, v9, s[0:3], 0 offen offset:12
	buffer_load_dword v16, v9, s[0:3], 0 offen
	buffer_load_dword v17, v9, s[0:3], 0 offen offset:4
	ds_read_b128 v[10:13], v8
	v_add_nc_u32_e32 v7, 1, v7
	v_add_nc_u32_e32 v8, 16, v8
	;; [unrolled: 1-line block ×3, first 2 shown]
	v_cmp_lt_u32_e32 vcc_lo, 10, v7
	s_or_b32 s5, vcc_lo, s5
	s_waitcnt vmcnt(2) lgkmcnt(0)
	v_mul_f64 v[18:19], v[12:13], v[14:15]
	v_mul_f64 v[14:15], v[10:11], v[14:15]
	s_waitcnt vmcnt(0)
	v_fma_f64 v[10:11], v[10:11], v[16:17], -v[18:19]
	v_fma_f64 v[12:13], v[12:13], v[16:17], v[14:15]
	v_add_f64 v[3:4], v[3:4], v[10:11]
	v_add_f64 v[1:2], v[1:2], v[12:13]
	s_andn2_b32 exec_lo, exec_lo, s5
	s_cbranch_execnz .LBB55_61
; %bb.62:
	s_or_b32 exec_lo, exec_lo, s5
	v_mov_b32_e32 v7, 0
	ds_read_b128 v[7:10], v7 offset:192
	s_waitcnt lgkmcnt(0)
	v_mul_f64 v[11:12], v[1:2], v[9:10]
	v_mul_f64 v[9:10], v[3:4], v[9:10]
	v_fma_f64 v[3:4], v[3:4], v[7:8], -v[11:12]
	v_fma_f64 v[1:2], v[1:2], v[7:8], v[9:10]
	buffer_store_dword v4, off, s[0:3], 0 offset:212
	buffer_store_dword v3, off, s[0:3], 0 offset:208
	;; [unrolled: 1-line block ×4, first 2 shown]
.LBB55_63:
	s_or_b32 exec_lo, exec_lo, s4
	v_mov_b32_e32 v4, s55
	s_waitcnt_vscnt null, 0x0
	s_barrier
	buffer_gl0_inv
	s_mov_b32 s4, exec_lo
	s_clause 0x3
	buffer_load_dword v1, v4, s[0:3], 0 offen
	buffer_load_dword v2, v4, s[0:3], 0 offen offset:4
	buffer_load_dword v3, v4, s[0:3], 0 offen offset:8
	;; [unrolled: 1-line block ×3, first 2 shown]
	s_waitcnt vmcnt(0)
	ds_write_b128 v5, v[1:4]
	s_waitcnt lgkmcnt(0)
	s_barrier
	buffer_gl0_inv
	v_cmpx_gt_u32_e32 13, v0
	s_cbranch_execz .LBB55_67
; %bb.64:
	v_mov_b32_e32 v1, 0
	v_mov_b32_e32 v3, 0
	v_add_nc_u32_e32 v7, -1, v0
	v_add_nc_u32_e32 v8, 0x380, v225
	v_mov_b32_e32 v2, 0
	v_mov_b32_e32 v4, 0
	v_add_nc_u32_e32 v9, 16, v225
	s_mov_b32 s5, 0
	.p2align	6
.LBB55_65:                              ; =>This Inner Loop Header: Depth=1
	s_clause 0x3
	buffer_load_dword v14, v9, s[0:3], 0 offen offset:8
	buffer_load_dword v15, v9, s[0:3], 0 offen offset:12
	buffer_load_dword v16, v9, s[0:3], 0 offen
	buffer_load_dword v17, v9, s[0:3], 0 offen offset:4
	ds_read_b128 v[10:13], v8
	v_add_nc_u32_e32 v7, 1, v7
	v_add_nc_u32_e32 v8, 16, v8
	;; [unrolled: 1-line block ×3, first 2 shown]
	v_cmp_lt_u32_e32 vcc_lo, 11, v7
	s_or_b32 s5, vcc_lo, s5
	s_waitcnt vmcnt(2) lgkmcnt(0)
	v_mul_f64 v[18:19], v[12:13], v[14:15]
	v_mul_f64 v[14:15], v[10:11], v[14:15]
	s_waitcnt vmcnt(0)
	v_fma_f64 v[10:11], v[10:11], v[16:17], -v[18:19]
	v_fma_f64 v[12:13], v[12:13], v[16:17], v[14:15]
	v_add_f64 v[3:4], v[3:4], v[10:11]
	v_add_f64 v[1:2], v[1:2], v[12:13]
	s_andn2_b32 exec_lo, exec_lo, s5
	s_cbranch_execnz .LBB55_65
; %bb.66:
	s_or_b32 exec_lo, exec_lo, s5
	v_mov_b32_e32 v7, 0
	ds_read_b128 v[7:10], v7 offset:208
	s_waitcnt lgkmcnt(0)
	v_mul_f64 v[11:12], v[1:2], v[9:10]
	v_mul_f64 v[9:10], v[3:4], v[9:10]
	v_fma_f64 v[3:4], v[3:4], v[7:8], -v[11:12]
	v_fma_f64 v[1:2], v[1:2], v[7:8], v[9:10]
	buffer_store_dword v4, off, s[0:3], 0 offset:228
	buffer_store_dword v3, off, s[0:3], 0 offset:224
	;; [unrolled: 1-line block ×4, first 2 shown]
.LBB55_67:
	s_or_b32 exec_lo, exec_lo, s4
	v_mov_b32_e32 v4, s54
	s_waitcnt_vscnt null, 0x0
	s_barrier
	buffer_gl0_inv
	s_mov_b32 s4, exec_lo
	s_clause 0x3
	buffer_load_dword v1, v4, s[0:3], 0 offen
	buffer_load_dword v2, v4, s[0:3], 0 offen offset:4
	buffer_load_dword v3, v4, s[0:3], 0 offen offset:8
	;; [unrolled: 1-line block ×3, first 2 shown]
	s_waitcnt vmcnt(0)
	ds_write_b128 v5, v[1:4]
	s_waitcnt lgkmcnt(0)
	s_barrier
	buffer_gl0_inv
	v_cmpx_gt_u32_e32 14, v0
	s_cbranch_execz .LBB55_71
; %bb.68:
	v_mov_b32_e32 v1, 0
	v_mov_b32_e32 v3, 0
	v_add_nc_u32_e32 v7, -1, v0
	v_add_nc_u32_e32 v8, 0x380, v225
	v_mov_b32_e32 v2, 0
	v_mov_b32_e32 v4, 0
	v_add_nc_u32_e32 v9, 16, v225
	s_mov_b32 s5, 0
	.p2align	6
.LBB55_69:                              ; =>This Inner Loop Header: Depth=1
	s_clause 0x3
	buffer_load_dword v14, v9, s[0:3], 0 offen offset:8
	buffer_load_dword v15, v9, s[0:3], 0 offen offset:12
	buffer_load_dword v16, v9, s[0:3], 0 offen
	buffer_load_dword v17, v9, s[0:3], 0 offen offset:4
	ds_read_b128 v[10:13], v8
	v_add_nc_u32_e32 v7, 1, v7
	v_add_nc_u32_e32 v8, 16, v8
	;; [unrolled: 1-line block ×3, first 2 shown]
	v_cmp_lt_u32_e32 vcc_lo, 12, v7
	s_or_b32 s5, vcc_lo, s5
	s_waitcnt vmcnt(2) lgkmcnt(0)
	v_mul_f64 v[18:19], v[12:13], v[14:15]
	v_mul_f64 v[14:15], v[10:11], v[14:15]
	s_waitcnt vmcnt(0)
	v_fma_f64 v[10:11], v[10:11], v[16:17], -v[18:19]
	v_fma_f64 v[12:13], v[12:13], v[16:17], v[14:15]
	v_add_f64 v[3:4], v[3:4], v[10:11]
	v_add_f64 v[1:2], v[1:2], v[12:13]
	s_andn2_b32 exec_lo, exec_lo, s5
	s_cbranch_execnz .LBB55_69
; %bb.70:
	s_or_b32 exec_lo, exec_lo, s5
	v_mov_b32_e32 v7, 0
	ds_read_b128 v[7:10], v7 offset:224
	s_waitcnt lgkmcnt(0)
	v_mul_f64 v[11:12], v[1:2], v[9:10]
	v_mul_f64 v[9:10], v[3:4], v[9:10]
	v_fma_f64 v[3:4], v[3:4], v[7:8], -v[11:12]
	v_fma_f64 v[1:2], v[1:2], v[7:8], v[9:10]
	buffer_store_dword v4, off, s[0:3], 0 offset:244
	buffer_store_dword v3, off, s[0:3], 0 offset:240
	;; [unrolled: 1-line block ×4, first 2 shown]
.LBB55_71:
	s_or_b32 exec_lo, exec_lo, s4
	v_mov_b32_e32 v4, s53
	s_waitcnt_vscnt null, 0x0
	s_barrier
	buffer_gl0_inv
	s_mov_b32 s4, exec_lo
	s_clause 0x3
	buffer_load_dword v1, v4, s[0:3], 0 offen
	buffer_load_dword v2, v4, s[0:3], 0 offen offset:4
	buffer_load_dword v3, v4, s[0:3], 0 offen offset:8
	;; [unrolled: 1-line block ×3, first 2 shown]
	s_waitcnt vmcnt(0)
	ds_write_b128 v5, v[1:4]
	s_waitcnt lgkmcnt(0)
	s_barrier
	buffer_gl0_inv
	v_cmpx_gt_u32_e32 15, v0
	s_cbranch_execz .LBB55_75
; %bb.72:
	v_mov_b32_e32 v1, 0
	v_mov_b32_e32 v3, 0
	v_add_nc_u32_e32 v7, -1, v0
	v_add_nc_u32_e32 v8, 0x380, v225
	v_mov_b32_e32 v2, 0
	v_mov_b32_e32 v4, 0
	v_add_nc_u32_e32 v9, 16, v225
	s_mov_b32 s5, 0
	.p2align	6
.LBB55_73:                              ; =>This Inner Loop Header: Depth=1
	s_clause 0x3
	buffer_load_dword v14, v9, s[0:3], 0 offen offset:8
	buffer_load_dword v15, v9, s[0:3], 0 offen offset:12
	buffer_load_dword v16, v9, s[0:3], 0 offen
	buffer_load_dword v17, v9, s[0:3], 0 offen offset:4
	ds_read_b128 v[10:13], v8
	v_add_nc_u32_e32 v7, 1, v7
	v_add_nc_u32_e32 v8, 16, v8
	;; [unrolled: 1-line block ×3, first 2 shown]
	v_cmp_lt_u32_e32 vcc_lo, 13, v7
	s_or_b32 s5, vcc_lo, s5
	s_waitcnt vmcnt(2) lgkmcnt(0)
	v_mul_f64 v[18:19], v[12:13], v[14:15]
	v_mul_f64 v[14:15], v[10:11], v[14:15]
	s_waitcnt vmcnt(0)
	v_fma_f64 v[10:11], v[10:11], v[16:17], -v[18:19]
	v_fma_f64 v[12:13], v[12:13], v[16:17], v[14:15]
	v_add_f64 v[3:4], v[3:4], v[10:11]
	v_add_f64 v[1:2], v[1:2], v[12:13]
	s_andn2_b32 exec_lo, exec_lo, s5
	s_cbranch_execnz .LBB55_73
; %bb.74:
	s_or_b32 exec_lo, exec_lo, s5
	v_mov_b32_e32 v7, 0
	ds_read_b128 v[7:10], v7 offset:240
	s_waitcnt lgkmcnt(0)
	v_mul_f64 v[11:12], v[1:2], v[9:10]
	v_mul_f64 v[9:10], v[3:4], v[9:10]
	v_fma_f64 v[3:4], v[3:4], v[7:8], -v[11:12]
	v_fma_f64 v[1:2], v[1:2], v[7:8], v[9:10]
	buffer_store_dword v4, off, s[0:3], 0 offset:260
	buffer_store_dword v3, off, s[0:3], 0 offset:256
	;; [unrolled: 1-line block ×4, first 2 shown]
.LBB55_75:
	s_or_b32 exec_lo, exec_lo, s4
	v_mov_b32_e32 v4, s52
	s_waitcnt_vscnt null, 0x0
	s_barrier
	buffer_gl0_inv
	s_mov_b32 s4, exec_lo
	s_clause 0x3
	buffer_load_dword v1, v4, s[0:3], 0 offen
	buffer_load_dword v2, v4, s[0:3], 0 offen offset:4
	buffer_load_dword v3, v4, s[0:3], 0 offen offset:8
	;; [unrolled: 1-line block ×3, first 2 shown]
	s_waitcnt vmcnt(0)
	ds_write_b128 v5, v[1:4]
	s_waitcnt lgkmcnt(0)
	s_barrier
	buffer_gl0_inv
	v_cmpx_gt_u32_e32 16, v0
	s_cbranch_execz .LBB55_79
; %bb.76:
	v_mov_b32_e32 v1, 0
	v_mov_b32_e32 v3, 0
	v_add_nc_u32_e32 v7, -1, v0
	v_add_nc_u32_e32 v8, 0x380, v225
	v_mov_b32_e32 v2, 0
	v_mov_b32_e32 v4, 0
	v_add_nc_u32_e32 v9, 16, v225
	s_mov_b32 s5, 0
	.p2align	6
.LBB55_77:                              ; =>This Inner Loop Header: Depth=1
	s_clause 0x3
	buffer_load_dword v14, v9, s[0:3], 0 offen offset:8
	buffer_load_dword v15, v9, s[0:3], 0 offen offset:12
	buffer_load_dword v16, v9, s[0:3], 0 offen
	buffer_load_dword v17, v9, s[0:3], 0 offen offset:4
	ds_read_b128 v[10:13], v8
	v_add_nc_u32_e32 v7, 1, v7
	v_add_nc_u32_e32 v8, 16, v8
	;; [unrolled: 1-line block ×3, first 2 shown]
	v_cmp_lt_u32_e32 vcc_lo, 14, v7
	s_or_b32 s5, vcc_lo, s5
	s_waitcnt vmcnt(2) lgkmcnt(0)
	v_mul_f64 v[18:19], v[12:13], v[14:15]
	v_mul_f64 v[14:15], v[10:11], v[14:15]
	s_waitcnt vmcnt(0)
	v_fma_f64 v[10:11], v[10:11], v[16:17], -v[18:19]
	v_fma_f64 v[12:13], v[12:13], v[16:17], v[14:15]
	v_add_f64 v[3:4], v[3:4], v[10:11]
	v_add_f64 v[1:2], v[1:2], v[12:13]
	s_andn2_b32 exec_lo, exec_lo, s5
	s_cbranch_execnz .LBB55_77
; %bb.78:
	s_or_b32 exec_lo, exec_lo, s5
	v_mov_b32_e32 v7, 0
	ds_read_b128 v[7:10], v7 offset:256
	s_waitcnt lgkmcnt(0)
	v_mul_f64 v[11:12], v[1:2], v[9:10]
	v_mul_f64 v[9:10], v[3:4], v[9:10]
	v_fma_f64 v[3:4], v[3:4], v[7:8], -v[11:12]
	v_fma_f64 v[1:2], v[1:2], v[7:8], v[9:10]
	buffer_store_dword v4, off, s[0:3], 0 offset:276
	buffer_store_dword v3, off, s[0:3], 0 offset:272
	;; [unrolled: 1-line block ×4, first 2 shown]
.LBB55_79:
	s_or_b32 exec_lo, exec_lo, s4
	v_mov_b32_e32 v4, s51
	s_waitcnt_vscnt null, 0x0
	s_barrier
	buffer_gl0_inv
	s_mov_b32 s4, exec_lo
	s_clause 0x3
	buffer_load_dword v1, v4, s[0:3], 0 offen
	buffer_load_dword v2, v4, s[0:3], 0 offen offset:4
	buffer_load_dword v3, v4, s[0:3], 0 offen offset:8
	;; [unrolled: 1-line block ×3, first 2 shown]
	s_waitcnt vmcnt(0)
	ds_write_b128 v5, v[1:4]
	s_waitcnt lgkmcnt(0)
	s_barrier
	buffer_gl0_inv
	v_cmpx_gt_u32_e32 17, v0
	s_cbranch_execz .LBB55_83
; %bb.80:
	v_mov_b32_e32 v1, 0
	v_mov_b32_e32 v3, 0
	v_add_nc_u32_e32 v7, -1, v0
	v_add_nc_u32_e32 v8, 0x380, v225
	v_mov_b32_e32 v2, 0
	v_mov_b32_e32 v4, 0
	v_add_nc_u32_e32 v9, 16, v225
	s_mov_b32 s5, 0
	.p2align	6
.LBB55_81:                              ; =>This Inner Loop Header: Depth=1
	s_clause 0x3
	buffer_load_dword v14, v9, s[0:3], 0 offen offset:8
	buffer_load_dword v15, v9, s[0:3], 0 offen offset:12
	buffer_load_dword v16, v9, s[0:3], 0 offen
	buffer_load_dword v17, v9, s[0:3], 0 offen offset:4
	ds_read_b128 v[10:13], v8
	v_add_nc_u32_e32 v7, 1, v7
	v_add_nc_u32_e32 v8, 16, v8
	;; [unrolled: 1-line block ×3, first 2 shown]
	v_cmp_lt_u32_e32 vcc_lo, 15, v7
	s_or_b32 s5, vcc_lo, s5
	s_waitcnt vmcnt(2) lgkmcnt(0)
	v_mul_f64 v[18:19], v[12:13], v[14:15]
	v_mul_f64 v[14:15], v[10:11], v[14:15]
	s_waitcnt vmcnt(0)
	v_fma_f64 v[10:11], v[10:11], v[16:17], -v[18:19]
	v_fma_f64 v[12:13], v[12:13], v[16:17], v[14:15]
	v_add_f64 v[3:4], v[3:4], v[10:11]
	v_add_f64 v[1:2], v[1:2], v[12:13]
	s_andn2_b32 exec_lo, exec_lo, s5
	s_cbranch_execnz .LBB55_81
; %bb.82:
	s_or_b32 exec_lo, exec_lo, s5
	v_mov_b32_e32 v7, 0
	ds_read_b128 v[7:10], v7 offset:272
	s_waitcnt lgkmcnt(0)
	v_mul_f64 v[11:12], v[1:2], v[9:10]
	v_mul_f64 v[9:10], v[3:4], v[9:10]
	v_fma_f64 v[3:4], v[3:4], v[7:8], -v[11:12]
	v_fma_f64 v[1:2], v[1:2], v[7:8], v[9:10]
	buffer_store_dword v4, off, s[0:3], 0 offset:292
	buffer_store_dword v3, off, s[0:3], 0 offset:288
	;; [unrolled: 1-line block ×4, first 2 shown]
.LBB55_83:
	s_or_b32 exec_lo, exec_lo, s4
	v_mov_b32_e32 v4, s50
	s_waitcnt_vscnt null, 0x0
	s_barrier
	buffer_gl0_inv
	s_mov_b32 s4, exec_lo
	s_clause 0x3
	buffer_load_dword v1, v4, s[0:3], 0 offen
	buffer_load_dword v2, v4, s[0:3], 0 offen offset:4
	buffer_load_dword v3, v4, s[0:3], 0 offen offset:8
	;; [unrolled: 1-line block ×3, first 2 shown]
	s_waitcnt vmcnt(0)
	ds_write_b128 v5, v[1:4]
	s_waitcnt lgkmcnt(0)
	s_barrier
	buffer_gl0_inv
	v_cmpx_gt_u32_e32 18, v0
	s_cbranch_execz .LBB55_87
; %bb.84:
	v_mov_b32_e32 v1, 0
	v_mov_b32_e32 v3, 0
	v_add_nc_u32_e32 v7, -1, v0
	v_add_nc_u32_e32 v8, 0x380, v225
	v_mov_b32_e32 v2, 0
	v_mov_b32_e32 v4, 0
	v_add_nc_u32_e32 v9, 16, v225
	s_mov_b32 s5, 0
	.p2align	6
.LBB55_85:                              ; =>This Inner Loop Header: Depth=1
	s_clause 0x3
	buffer_load_dword v14, v9, s[0:3], 0 offen offset:8
	buffer_load_dword v15, v9, s[0:3], 0 offen offset:12
	buffer_load_dword v16, v9, s[0:3], 0 offen
	buffer_load_dword v17, v9, s[0:3], 0 offen offset:4
	ds_read_b128 v[10:13], v8
	v_add_nc_u32_e32 v7, 1, v7
	v_add_nc_u32_e32 v8, 16, v8
	;; [unrolled: 1-line block ×3, first 2 shown]
	v_cmp_lt_u32_e32 vcc_lo, 16, v7
	s_or_b32 s5, vcc_lo, s5
	s_waitcnt vmcnt(2) lgkmcnt(0)
	v_mul_f64 v[18:19], v[12:13], v[14:15]
	v_mul_f64 v[14:15], v[10:11], v[14:15]
	s_waitcnt vmcnt(0)
	v_fma_f64 v[10:11], v[10:11], v[16:17], -v[18:19]
	v_fma_f64 v[12:13], v[12:13], v[16:17], v[14:15]
	v_add_f64 v[3:4], v[3:4], v[10:11]
	v_add_f64 v[1:2], v[1:2], v[12:13]
	s_andn2_b32 exec_lo, exec_lo, s5
	s_cbranch_execnz .LBB55_85
; %bb.86:
	s_or_b32 exec_lo, exec_lo, s5
	v_mov_b32_e32 v7, 0
	ds_read_b128 v[7:10], v7 offset:288
	s_waitcnt lgkmcnt(0)
	v_mul_f64 v[11:12], v[1:2], v[9:10]
	v_mul_f64 v[9:10], v[3:4], v[9:10]
	v_fma_f64 v[3:4], v[3:4], v[7:8], -v[11:12]
	v_fma_f64 v[1:2], v[1:2], v[7:8], v[9:10]
	buffer_store_dword v4, off, s[0:3], 0 offset:308
	buffer_store_dword v3, off, s[0:3], 0 offset:304
	;; [unrolled: 1-line block ×4, first 2 shown]
.LBB55_87:
	s_or_b32 exec_lo, exec_lo, s4
	v_mov_b32_e32 v4, s49
	s_waitcnt_vscnt null, 0x0
	s_barrier
	buffer_gl0_inv
	s_mov_b32 s4, exec_lo
	s_clause 0x3
	buffer_load_dword v1, v4, s[0:3], 0 offen
	buffer_load_dword v2, v4, s[0:3], 0 offen offset:4
	buffer_load_dword v3, v4, s[0:3], 0 offen offset:8
	;; [unrolled: 1-line block ×3, first 2 shown]
	s_waitcnt vmcnt(0)
	ds_write_b128 v5, v[1:4]
	s_waitcnt lgkmcnt(0)
	s_barrier
	buffer_gl0_inv
	v_cmpx_gt_u32_e32 19, v0
	s_cbranch_execz .LBB55_91
; %bb.88:
	v_mov_b32_e32 v1, 0
	v_mov_b32_e32 v3, 0
	v_add_nc_u32_e32 v7, -1, v0
	v_add_nc_u32_e32 v8, 0x380, v225
	v_mov_b32_e32 v2, 0
	v_mov_b32_e32 v4, 0
	v_add_nc_u32_e32 v9, 16, v225
	s_mov_b32 s5, 0
	.p2align	6
.LBB55_89:                              ; =>This Inner Loop Header: Depth=1
	s_clause 0x3
	buffer_load_dword v14, v9, s[0:3], 0 offen offset:8
	buffer_load_dword v15, v9, s[0:3], 0 offen offset:12
	buffer_load_dword v16, v9, s[0:3], 0 offen
	buffer_load_dword v17, v9, s[0:3], 0 offen offset:4
	ds_read_b128 v[10:13], v8
	v_add_nc_u32_e32 v7, 1, v7
	v_add_nc_u32_e32 v8, 16, v8
	;; [unrolled: 1-line block ×3, first 2 shown]
	v_cmp_lt_u32_e32 vcc_lo, 17, v7
	s_or_b32 s5, vcc_lo, s5
	s_waitcnt vmcnt(2) lgkmcnt(0)
	v_mul_f64 v[18:19], v[12:13], v[14:15]
	v_mul_f64 v[14:15], v[10:11], v[14:15]
	s_waitcnt vmcnt(0)
	v_fma_f64 v[10:11], v[10:11], v[16:17], -v[18:19]
	v_fma_f64 v[12:13], v[12:13], v[16:17], v[14:15]
	v_add_f64 v[3:4], v[3:4], v[10:11]
	v_add_f64 v[1:2], v[1:2], v[12:13]
	s_andn2_b32 exec_lo, exec_lo, s5
	s_cbranch_execnz .LBB55_89
; %bb.90:
	s_or_b32 exec_lo, exec_lo, s5
	v_mov_b32_e32 v7, 0
	ds_read_b128 v[7:10], v7 offset:304
	s_waitcnt lgkmcnt(0)
	v_mul_f64 v[11:12], v[1:2], v[9:10]
	v_mul_f64 v[9:10], v[3:4], v[9:10]
	v_fma_f64 v[3:4], v[3:4], v[7:8], -v[11:12]
	v_fma_f64 v[1:2], v[1:2], v[7:8], v[9:10]
	buffer_store_dword v4, off, s[0:3], 0 offset:324
	buffer_store_dword v3, off, s[0:3], 0 offset:320
	;; [unrolled: 1-line block ×4, first 2 shown]
.LBB55_91:
	s_or_b32 exec_lo, exec_lo, s4
	v_mov_b32_e32 v4, s48
	s_waitcnt_vscnt null, 0x0
	s_barrier
	buffer_gl0_inv
	s_mov_b32 s4, exec_lo
	s_clause 0x3
	buffer_load_dword v1, v4, s[0:3], 0 offen
	buffer_load_dword v2, v4, s[0:3], 0 offen offset:4
	buffer_load_dword v3, v4, s[0:3], 0 offen offset:8
	;; [unrolled: 1-line block ×3, first 2 shown]
	s_waitcnt vmcnt(0)
	ds_write_b128 v5, v[1:4]
	s_waitcnt lgkmcnt(0)
	s_barrier
	buffer_gl0_inv
	v_cmpx_gt_u32_e32 20, v0
	s_cbranch_execz .LBB55_95
; %bb.92:
	v_mov_b32_e32 v1, 0
	v_mov_b32_e32 v3, 0
	v_add_nc_u32_e32 v7, -1, v0
	v_add_nc_u32_e32 v8, 0x380, v225
	v_mov_b32_e32 v2, 0
	v_mov_b32_e32 v4, 0
	v_add_nc_u32_e32 v9, 16, v225
	s_mov_b32 s5, 0
	.p2align	6
.LBB55_93:                              ; =>This Inner Loop Header: Depth=1
	s_clause 0x3
	buffer_load_dword v14, v9, s[0:3], 0 offen offset:8
	buffer_load_dword v15, v9, s[0:3], 0 offen offset:12
	buffer_load_dword v16, v9, s[0:3], 0 offen
	buffer_load_dword v17, v9, s[0:3], 0 offen offset:4
	ds_read_b128 v[10:13], v8
	v_add_nc_u32_e32 v7, 1, v7
	v_add_nc_u32_e32 v8, 16, v8
	;; [unrolled: 1-line block ×3, first 2 shown]
	v_cmp_lt_u32_e32 vcc_lo, 18, v7
	s_or_b32 s5, vcc_lo, s5
	s_waitcnt vmcnt(2) lgkmcnt(0)
	v_mul_f64 v[18:19], v[12:13], v[14:15]
	v_mul_f64 v[14:15], v[10:11], v[14:15]
	s_waitcnt vmcnt(0)
	v_fma_f64 v[10:11], v[10:11], v[16:17], -v[18:19]
	v_fma_f64 v[12:13], v[12:13], v[16:17], v[14:15]
	v_add_f64 v[3:4], v[3:4], v[10:11]
	v_add_f64 v[1:2], v[1:2], v[12:13]
	s_andn2_b32 exec_lo, exec_lo, s5
	s_cbranch_execnz .LBB55_93
; %bb.94:
	s_or_b32 exec_lo, exec_lo, s5
	v_mov_b32_e32 v7, 0
	ds_read_b128 v[7:10], v7 offset:320
	s_waitcnt lgkmcnt(0)
	v_mul_f64 v[11:12], v[1:2], v[9:10]
	v_mul_f64 v[9:10], v[3:4], v[9:10]
	v_fma_f64 v[3:4], v[3:4], v[7:8], -v[11:12]
	v_fma_f64 v[1:2], v[1:2], v[7:8], v[9:10]
	buffer_store_dword v4, off, s[0:3], 0 offset:340
	buffer_store_dword v3, off, s[0:3], 0 offset:336
	buffer_store_dword v2, off, s[0:3], 0 offset:348
	buffer_store_dword v1, off, s[0:3], 0 offset:344
.LBB55_95:
	s_or_b32 exec_lo, exec_lo, s4
	v_mov_b32_e32 v4, s47
	s_waitcnt_vscnt null, 0x0
	s_barrier
	buffer_gl0_inv
	s_mov_b32 s4, exec_lo
	s_clause 0x3
	buffer_load_dword v1, v4, s[0:3], 0 offen
	buffer_load_dword v2, v4, s[0:3], 0 offen offset:4
	buffer_load_dword v3, v4, s[0:3], 0 offen offset:8
	;; [unrolled: 1-line block ×3, first 2 shown]
	s_waitcnt vmcnt(0)
	ds_write_b128 v5, v[1:4]
	s_waitcnt lgkmcnt(0)
	s_barrier
	buffer_gl0_inv
	v_cmpx_gt_u32_e32 21, v0
	s_cbranch_execz .LBB55_99
; %bb.96:
	v_mov_b32_e32 v1, 0
	v_mov_b32_e32 v3, 0
	v_add_nc_u32_e32 v7, -1, v0
	v_add_nc_u32_e32 v8, 0x380, v225
	v_mov_b32_e32 v2, 0
	v_mov_b32_e32 v4, 0
	v_add_nc_u32_e32 v9, 16, v225
	s_mov_b32 s5, 0
	.p2align	6
.LBB55_97:                              ; =>This Inner Loop Header: Depth=1
	s_clause 0x3
	buffer_load_dword v14, v9, s[0:3], 0 offen offset:8
	buffer_load_dword v15, v9, s[0:3], 0 offen offset:12
	buffer_load_dword v16, v9, s[0:3], 0 offen
	buffer_load_dword v17, v9, s[0:3], 0 offen offset:4
	ds_read_b128 v[10:13], v8
	v_add_nc_u32_e32 v7, 1, v7
	v_add_nc_u32_e32 v8, 16, v8
	;; [unrolled: 1-line block ×3, first 2 shown]
	v_cmp_lt_u32_e32 vcc_lo, 19, v7
	s_or_b32 s5, vcc_lo, s5
	s_waitcnt vmcnt(2) lgkmcnt(0)
	v_mul_f64 v[18:19], v[12:13], v[14:15]
	v_mul_f64 v[14:15], v[10:11], v[14:15]
	s_waitcnt vmcnt(0)
	v_fma_f64 v[10:11], v[10:11], v[16:17], -v[18:19]
	v_fma_f64 v[12:13], v[12:13], v[16:17], v[14:15]
	v_add_f64 v[3:4], v[3:4], v[10:11]
	v_add_f64 v[1:2], v[1:2], v[12:13]
	s_andn2_b32 exec_lo, exec_lo, s5
	s_cbranch_execnz .LBB55_97
; %bb.98:
	s_or_b32 exec_lo, exec_lo, s5
	v_mov_b32_e32 v7, 0
	ds_read_b128 v[7:10], v7 offset:336
	s_waitcnt lgkmcnt(0)
	v_mul_f64 v[11:12], v[1:2], v[9:10]
	v_mul_f64 v[9:10], v[3:4], v[9:10]
	v_fma_f64 v[3:4], v[3:4], v[7:8], -v[11:12]
	v_fma_f64 v[1:2], v[1:2], v[7:8], v[9:10]
	buffer_store_dword v4, off, s[0:3], 0 offset:356
	buffer_store_dword v3, off, s[0:3], 0 offset:352
	;; [unrolled: 1-line block ×4, first 2 shown]
.LBB55_99:
	s_or_b32 exec_lo, exec_lo, s4
	v_mov_b32_e32 v4, s46
	s_waitcnt_vscnt null, 0x0
	s_barrier
	buffer_gl0_inv
	s_mov_b32 s4, exec_lo
	s_clause 0x3
	buffer_load_dword v1, v4, s[0:3], 0 offen
	buffer_load_dword v2, v4, s[0:3], 0 offen offset:4
	buffer_load_dword v3, v4, s[0:3], 0 offen offset:8
	;; [unrolled: 1-line block ×3, first 2 shown]
	s_waitcnt vmcnt(0)
	ds_write_b128 v5, v[1:4]
	s_waitcnt lgkmcnt(0)
	s_barrier
	buffer_gl0_inv
	v_cmpx_gt_u32_e32 22, v0
	s_cbranch_execz .LBB55_103
; %bb.100:
	v_mov_b32_e32 v1, 0
	v_mov_b32_e32 v3, 0
	v_add_nc_u32_e32 v7, -1, v0
	v_add_nc_u32_e32 v8, 0x380, v225
	v_mov_b32_e32 v2, 0
	v_mov_b32_e32 v4, 0
	v_add_nc_u32_e32 v9, 16, v225
	s_mov_b32 s5, 0
	.p2align	6
.LBB55_101:                             ; =>This Inner Loop Header: Depth=1
	s_clause 0x3
	buffer_load_dword v14, v9, s[0:3], 0 offen offset:8
	buffer_load_dword v15, v9, s[0:3], 0 offen offset:12
	buffer_load_dword v16, v9, s[0:3], 0 offen
	buffer_load_dword v17, v9, s[0:3], 0 offen offset:4
	ds_read_b128 v[10:13], v8
	v_add_nc_u32_e32 v7, 1, v7
	v_add_nc_u32_e32 v8, 16, v8
	v_add_nc_u32_e32 v9, 16, v9
	v_cmp_lt_u32_e32 vcc_lo, 20, v7
	s_or_b32 s5, vcc_lo, s5
	s_waitcnt vmcnt(2) lgkmcnt(0)
	v_mul_f64 v[18:19], v[12:13], v[14:15]
	v_mul_f64 v[14:15], v[10:11], v[14:15]
	s_waitcnt vmcnt(0)
	v_fma_f64 v[10:11], v[10:11], v[16:17], -v[18:19]
	v_fma_f64 v[12:13], v[12:13], v[16:17], v[14:15]
	v_add_f64 v[3:4], v[3:4], v[10:11]
	v_add_f64 v[1:2], v[1:2], v[12:13]
	s_andn2_b32 exec_lo, exec_lo, s5
	s_cbranch_execnz .LBB55_101
; %bb.102:
	s_or_b32 exec_lo, exec_lo, s5
	v_mov_b32_e32 v7, 0
	ds_read_b128 v[7:10], v7 offset:352
	s_waitcnt lgkmcnt(0)
	v_mul_f64 v[11:12], v[1:2], v[9:10]
	v_mul_f64 v[9:10], v[3:4], v[9:10]
	v_fma_f64 v[3:4], v[3:4], v[7:8], -v[11:12]
	v_fma_f64 v[1:2], v[1:2], v[7:8], v[9:10]
	buffer_store_dword v4, off, s[0:3], 0 offset:372
	buffer_store_dword v3, off, s[0:3], 0 offset:368
	;; [unrolled: 1-line block ×4, first 2 shown]
.LBB55_103:
	s_or_b32 exec_lo, exec_lo, s4
	v_mov_b32_e32 v4, s45
	s_waitcnt_vscnt null, 0x0
	s_barrier
	buffer_gl0_inv
	s_mov_b32 s4, exec_lo
	s_clause 0x3
	buffer_load_dword v1, v4, s[0:3], 0 offen
	buffer_load_dword v2, v4, s[0:3], 0 offen offset:4
	buffer_load_dword v3, v4, s[0:3], 0 offen offset:8
	;; [unrolled: 1-line block ×3, first 2 shown]
	s_waitcnt vmcnt(0)
	ds_write_b128 v5, v[1:4]
	s_waitcnt lgkmcnt(0)
	s_barrier
	buffer_gl0_inv
	v_cmpx_gt_u32_e32 23, v0
	s_cbranch_execz .LBB55_107
; %bb.104:
	v_mov_b32_e32 v1, 0
	v_mov_b32_e32 v3, 0
	v_add_nc_u32_e32 v7, -1, v0
	v_add_nc_u32_e32 v8, 0x380, v225
	v_mov_b32_e32 v2, 0
	v_mov_b32_e32 v4, 0
	v_add_nc_u32_e32 v9, 16, v225
	s_mov_b32 s5, 0
	.p2align	6
.LBB55_105:                             ; =>This Inner Loop Header: Depth=1
	s_clause 0x3
	buffer_load_dword v14, v9, s[0:3], 0 offen offset:8
	buffer_load_dword v15, v9, s[0:3], 0 offen offset:12
	buffer_load_dword v16, v9, s[0:3], 0 offen
	buffer_load_dword v17, v9, s[0:3], 0 offen offset:4
	ds_read_b128 v[10:13], v8
	v_add_nc_u32_e32 v7, 1, v7
	v_add_nc_u32_e32 v8, 16, v8
	;; [unrolled: 1-line block ×3, first 2 shown]
	v_cmp_lt_u32_e32 vcc_lo, 21, v7
	s_or_b32 s5, vcc_lo, s5
	s_waitcnt vmcnt(2) lgkmcnt(0)
	v_mul_f64 v[18:19], v[12:13], v[14:15]
	v_mul_f64 v[14:15], v[10:11], v[14:15]
	s_waitcnt vmcnt(0)
	v_fma_f64 v[10:11], v[10:11], v[16:17], -v[18:19]
	v_fma_f64 v[12:13], v[12:13], v[16:17], v[14:15]
	v_add_f64 v[3:4], v[3:4], v[10:11]
	v_add_f64 v[1:2], v[1:2], v[12:13]
	s_andn2_b32 exec_lo, exec_lo, s5
	s_cbranch_execnz .LBB55_105
; %bb.106:
	s_or_b32 exec_lo, exec_lo, s5
	v_mov_b32_e32 v7, 0
	ds_read_b128 v[7:10], v7 offset:368
	s_waitcnt lgkmcnt(0)
	v_mul_f64 v[11:12], v[1:2], v[9:10]
	v_mul_f64 v[9:10], v[3:4], v[9:10]
	v_fma_f64 v[3:4], v[3:4], v[7:8], -v[11:12]
	v_fma_f64 v[1:2], v[1:2], v[7:8], v[9:10]
	buffer_store_dword v4, off, s[0:3], 0 offset:388
	buffer_store_dword v3, off, s[0:3], 0 offset:384
	;; [unrolled: 1-line block ×4, first 2 shown]
.LBB55_107:
	s_or_b32 exec_lo, exec_lo, s4
	v_mov_b32_e32 v4, s44
	s_waitcnt_vscnt null, 0x0
	s_barrier
	buffer_gl0_inv
	s_mov_b32 s4, exec_lo
	s_clause 0x3
	buffer_load_dword v1, v4, s[0:3], 0 offen
	buffer_load_dword v2, v4, s[0:3], 0 offen offset:4
	buffer_load_dword v3, v4, s[0:3], 0 offen offset:8
	;; [unrolled: 1-line block ×3, first 2 shown]
	s_waitcnt vmcnt(0)
	ds_write_b128 v5, v[1:4]
	s_waitcnt lgkmcnt(0)
	s_barrier
	buffer_gl0_inv
	v_cmpx_gt_u32_e32 24, v0
	s_cbranch_execz .LBB55_111
; %bb.108:
	v_mov_b32_e32 v1, 0
	v_mov_b32_e32 v3, 0
	v_add_nc_u32_e32 v7, -1, v0
	v_add_nc_u32_e32 v8, 0x380, v225
	v_mov_b32_e32 v2, 0
	v_mov_b32_e32 v4, 0
	v_add_nc_u32_e32 v9, 16, v225
	s_mov_b32 s5, 0
	.p2align	6
.LBB55_109:                             ; =>This Inner Loop Header: Depth=1
	s_clause 0x3
	buffer_load_dword v14, v9, s[0:3], 0 offen offset:8
	buffer_load_dword v15, v9, s[0:3], 0 offen offset:12
	buffer_load_dword v16, v9, s[0:3], 0 offen
	buffer_load_dword v17, v9, s[0:3], 0 offen offset:4
	ds_read_b128 v[10:13], v8
	v_add_nc_u32_e32 v7, 1, v7
	v_add_nc_u32_e32 v8, 16, v8
	;; [unrolled: 1-line block ×3, first 2 shown]
	v_cmp_lt_u32_e32 vcc_lo, 22, v7
	s_or_b32 s5, vcc_lo, s5
	s_waitcnt vmcnt(2) lgkmcnt(0)
	v_mul_f64 v[18:19], v[12:13], v[14:15]
	v_mul_f64 v[14:15], v[10:11], v[14:15]
	s_waitcnt vmcnt(0)
	v_fma_f64 v[10:11], v[10:11], v[16:17], -v[18:19]
	v_fma_f64 v[12:13], v[12:13], v[16:17], v[14:15]
	v_add_f64 v[3:4], v[3:4], v[10:11]
	v_add_f64 v[1:2], v[1:2], v[12:13]
	s_andn2_b32 exec_lo, exec_lo, s5
	s_cbranch_execnz .LBB55_109
; %bb.110:
	s_or_b32 exec_lo, exec_lo, s5
	v_mov_b32_e32 v7, 0
	ds_read_b128 v[7:10], v7 offset:384
	s_waitcnt lgkmcnt(0)
	v_mul_f64 v[11:12], v[1:2], v[9:10]
	v_mul_f64 v[9:10], v[3:4], v[9:10]
	v_fma_f64 v[3:4], v[3:4], v[7:8], -v[11:12]
	v_fma_f64 v[1:2], v[1:2], v[7:8], v[9:10]
	buffer_store_dword v4, off, s[0:3], 0 offset:404
	buffer_store_dword v3, off, s[0:3], 0 offset:400
	;; [unrolled: 1-line block ×4, first 2 shown]
.LBB55_111:
	s_or_b32 exec_lo, exec_lo, s4
	v_mov_b32_e32 v4, s43
	s_waitcnt_vscnt null, 0x0
	s_barrier
	buffer_gl0_inv
	s_mov_b32 s4, exec_lo
	s_clause 0x3
	buffer_load_dword v1, v4, s[0:3], 0 offen
	buffer_load_dword v2, v4, s[0:3], 0 offen offset:4
	buffer_load_dword v3, v4, s[0:3], 0 offen offset:8
	;; [unrolled: 1-line block ×3, first 2 shown]
	s_waitcnt vmcnt(0)
	ds_write_b128 v5, v[1:4]
	s_waitcnt lgkmcnt(0)
	s_barrier
	buffer_gl0_inv
	v_cmpx_gt_u32_e32 25, v0
	s_cbranch_execz .LBB55_115
; %bb.112:
	v_mov_b32_e32 v1, 0
	v_mov_b32_e32 v3, 0
	v_add_nc_u32_e32 v7, -1, v0
	v_add_nc_u32_e32 v8, 0x380, v225
	v_mov_b32_e32 v2, 0
	v_mov_b32_e32 v4, 0
	v_add_nc_u32_e32 v9, 16, v225
	s_mov_b32 s5, 0
	.p2align	6
.LBB55_113:                             ; =>This Inner Loop Header: Depth=1
	s_clause 0x3
	buffer_load_dword v14, v9, s[0:3], 0 offen offset:8
	buffer_load_dword v15, v9, s[0:3], 0 offen offset:12
	buffer_load_dword v16, v9, s[0:3], 0 offen
	buffer_load_dword v17, v9, s[0:3], 0 offen offset:4
	ds_read_b128 v[10:13], v8
	v_add_nc_u32_e32 v7, 1, v7
	v_add_nc_u32_e32 v8, 16, v8
	;; [unrolled: 1-line block ×3, first 2 shown]
	v_cmp_lt_u32_e32 vcc_lo, 23, v7
	s_or_b32 s5, vcc_lo, s5
	s_waitcnt vmcnt(2) lgkmcnt(0)
	v_mul_f64 v[18:19], v[12:13], v[14:15]
	v_mul_f64 v[14:15], v[10:11], v[14:15]
	s_waitcnt vmcnt(0)
	v_fma_f64 v[10:11], v[10:11], v[16:17], -v[18:19]
	v_fma_f64 v[12:13], v[12:13], v[16:17], v[14:15]
	v_add_f64 v[3:4], v[3:4], v[10:11]
	v_add_f64 v[1:2], v[1:2], v[12:13]
	s_andn2_b32 exec_lo, exec_lo, s5
	s_cbranch_execnz .LBB55_113
; %bb.114:
	s_or_b32 exec_lo, exec_lo, s5
	v_mov_b32_e32 v7, 0
	ds_read_b128 v[7:10], v7 offset:400
	s_waitcnt lgkmcnt(0)
	v_mul_f64 v[11:12], v[1:2], v[9:10]
	v_mul_f64 v[9:10], v[3:4], v[9:10]
	v_fma_f64 v[3:4], v[3:4], v[7:8], -v[11:12]
	v_fma_f64 v[1:2], v[1:2], v[7:8], v[9:10]
	buffer_store_dword v4, off, s[0:3], 0 offset:420
	buffer_store_dword v3, off, s[0:3], 0 offset:416
	;; [unrolled: 1-line block ×4, first 2 shown]
.LBB55_115:
	s_or_b32 exec_lo, exec_lo, s4
	v_mov_b32_e32 v4, s42
	s_waitcnt_vscnt null, 0x0
	s_barrier
	buffer_gl0_inv
	s_mov_b32 s4, exec_lo
	s_clause 0x3
	buffer_load_dword v1, v4, s[0:3], 0 offen
	buffer_load_dword v2, v4, s[0:3], 0 offen offset:4
	buffer_load_dword v3, v4, s[0:3], 0 offen offset:8
	;; [unrolled: 1-line block ×3, first 2 shown]
	s_waitcnt vmcnt(0)
	ds_write_b128 v5, v[1:4]
	s_waitcnt lgkmcnt(0)
	s_barrier
	buffer_gl0_inv
	v_cmpx_gt_u32_e32 26, v0
	s_cbranch_execz .LBB55_119
; %bb.116:
	v_mov_b32_e32 v1, 0
	v_mov_b32_e32 v3, 0
	v_add_nc_u32_e32 v7, -1, v0
	v_add_nc_u32_e32 v8, 0x380, v225
	v_mov_b32_e32 v2, 0
	v_mov_b32_e32 v4, 0
	v_add_nc_u32_e32 v9, 16, v225
	s_mov_b32 s5, 0
	.p2align	6
.LBB55_117:                             ; =>This Inner Loop Header: Depth=1
	s_clause 0x3
	buffer_load_dword v14, v9, s[0:3], 0 offen offset:8
	buffer_load_dword v15, v9, s[0:3], 0 offen offset:12
	buffer_load_dword v16, v9, s[0:3], 0 offen
	buffer_load_dword v17, v9, s[0:3], 0 offen offset:4
	ds_read_b128 v[10:13], v8
	v_add_nc_u32_e32 v7, 1, v7
	v_add_nc_u32_e32 v8, 16, v8
	;; [unrolled: 1-line block ×3, first 2 shown]
	v_cmp_lt_u32_e32 vcc_lo, 24, v7
	s_or_b32 s5, vcc_lo, s5
	s_waitcnt vmcnt(2) lgkmcnt(0)
	v_mul_f64 v[18:19], v[12:13], v[14:15]
	v_mul_f64 v[14:15], v[10:11], v[14:15]
	s_waitcnt vmcnt(0)
	v_fma_f64 v[10:11], v[10:11], v[16:17], -v[18:19]
	v_fma_f64 v[12:13], v[12:13], v[16:17], v[14:15]
	v_add_f64 v[3:4], v[3:4], v[10:11]
	v_add_f64 v[1:2], v[1:2], v[12:13]
	s_andn2_b32 exec_lo, exec_lo, s5
	s_cbranch_execnz .LBB55_117
; %bb.118:
	s_or_b32 exec_lo, exec_lo, s5
	v_mov_b32_e32 v7, 0
	ds_read_b128 v[7:10], v7 offset:416
	s_waitcnt lgkmcnt(0)
	v_mul_f64 v[11:12], v[1:2], v[9:10]
	v_mul_f64 v[9:10], v[3:4], v[9:10]
	v_fma_f64 v[3:4], v[3:4], v[7:8], -v[11:12]
	v_fma_f64 v[1:2], v[1:2], v[7:8], v[9:10]
	buffer_store_dword v4, off, s[0:3], 0 offset:436
	buffer_store_dword v3, off, s[0:3], 0 offset:432
	;; [unrolled: 1-line block ×4, first 2 shown]
.LBB55_119:
	s_or_b32 exec_lo, exec_lo, s4
	v_mov_b32_e32 v4, s41
	s_waitcnt_vscnt null, 0x0
	s_barrier
	buffer_gl0_inv
	s_mov_b32 s4, exec_lo
	s_clause 0x3
	buffer_load_dword v1, v4, s[0:3], 0 offen
	buffer_load_dword v2, v4, s[0:3], 0 offen offset:4
	buffer_load_dword v3, v4, s[0:3], 0 offen offset:8
	;; [unrolled: 1-line block ×3, first 2 shown]
	s_waitcnt vmcnt(0)
	ds_write_b128 v5, v[1:4]
	s_waitcnt lgkmcnt(0)
	s_barrier
	buffer_gl0_inv
	v_cmpx_gt_u32_e32 27, v0
	s_cbranch_execz .LBB55_123
; %bb.120:
	v_mov_b32_e32 v1, 0
	v_mov_b32_e32 v3, 0
	v_add_nc_u32_e32 v7, -1, v0
	v_add_nc_u32_e32 v8, 0x380, v225
	v_mov_b32_e32 v2, 0
	v_mov_b32_e32 v4, 0
	v_add_nc_u32_e32 v9, 16, v225
	s_mov_b32 s5, 0
	.p2align	6
.LBB55_121:                             ; =>This Inner Loop Header: Depth=1
	s_clause 0x3
	buffer_load_dword v14, v9, s[0:3], 0 offen offset:8
	buffer_load_dword v15, v9, s[0:3], 0 offen offset:12
	buffer_load_dword v16, v9, s[0:3], 0 offen
	buffer_load_dword v17, v9, s[0:3], 0 offen offset:4
	ds_read_b128 v[10:13], v8
	v_add_nc_u32_e32 v7, 1, v7
	v_add_nc_u32_e32 v8, 16, v8
	v_add_nc_u32_e32 v9, 16, v9
	v_cmp_lt_u32_e32 vcc_lo, 25, v7
	s_or_b32 s5, vcc_lo, s5
	s_waitcnt vmcnt(2) lgkmcnt(0)
	v_mul_f64 v[18:19], v[12:13], v[14:15]
	v_mul_f64 v[14:15], v[10:11], v[14:15]
	s_waitcnt vmcnt(0)
	v_fma_f64 v[10:11], v[10:11], v[16:17], -v[18:19]
	v_fma_f64 v[12:13], v[12:13], v[16:17], v[14:15]
	v_add_f64 v[3:4], v[3:4], v[10:11]
	v_add_f64 v[1:2], v[1:2], v[12:13]
	s_andn2_b32 exec_lo, exec_lo, s5
	s_cbranch_execnz .LBB55_121
; %bb.122:
	s_or_b32 exec_lo, exec_lo, s5
	v_mov_b32_e32 v7, 0
	ds_read_b128 v[7:10], v7 offset:432
	s_waitcnt lgkmcnt(0)
	v_mul_f64 v[11:12], v[1:2], v[9:10]
	v_mul_f64 v[9:10], v[3:4], v[9:10]
	v_fma_f64 v[3:4], v[3:4], v[7:8], -v[11:12]
	v_fma_f64 v[1:2], v[1:2], v[7:8], v[9:10]
	buffer_store_dword v4, off, s[0:3], 0 offset:452
	buffer_store_dword v3, off, s[0:3], 0 offset:448
	;; [unrolled: 1-line block ×4, first 2 shown]
.LBB55_123:
	s_or_b32 exec_lo, exec_lo, s4
	v_mov_b32_e32 v4, s40
	s_waitcnt_vscnt null, 0x0
	s_barrier
	buffer_gl0_inv
	s_mov_b32 s4, exec_lo
	s_clause 0x3
	buffer_load_dword v1, v4, s[0:3], 0 offen
	buffer_load_dword v2, v4, s[0:3], 0 offen offset:4
	buffer_load_dword v3, v4, s[0:3], 0 offen offset:8
	;; [unrolled: 1-line block ×3, first 2 shown]
	s_waitcnt vmcnt(0)
	ds_write_b128 v5, v[1:4]
	s_waitcnt lgkmcnt(0)
	s_barrier
	buffer_gl0_inv
	v_cmpx_gt_u32_e32 28, v0
	s_cbranch_execz .LBB55_127
; %bb.124:
	v_mov_b32_e32 v1, 0
	v_mov_b32_e32 v3, 0
	v_add_nc_u32_e32 v7, -1, v0
	v_add_nc_u32_e32 v8, 0x380, v225
	v_mov_b32_e32 v2, 0
	v_mov_b32_e32 v4, 0
	v_add_nc_u32_e32 v9, 16, v225
	s_mov_b32 s5, 0
	.p2align	6
.LBB55_125:                             ; =>This Inner Loop Header: Depth=1
	s_clause 0x3
	buffer_load_dword v14, v9, s[0:3], 0 offen offset:8
	buffer_load_dword v15, v9, s[0:3], 0 offen offset:12
	buffer_load_dword v16, v9, s[0:3], 0 offen
	buffer_load_dword v17, v9, s[0:3], 0 offen offset:4
	ds_read_b128 v[10:13], v8
	v_add_nc_u32_e32 v7, 1, v7
	v_add_nc_u32_e32 v8, 16, v8
	;; [unrolled: 1-line block ×3, first 2 shown]
	v_cmp_lt_u32_e32 vcc_lo, 26, v7
	s_or_b32 s5, vcc_lo, s5
	s_waitcnt vmcnt(2) lgkmcnt(0)
	v_mul_f64 v[18:19], v[12:13], v[14:15]
	v_mul_f64 v[14:15], v[10:11], v[14:15]
	s_waitcnt vmcnt(0)
	v_fma_f64 v[10:11], v[10:11], v[16:17], -v[18:19]
	v_fma_f64 v[12:13], v[12:13], v[16:17], v[14:15]
	v_add_f64 v[3:4], v[3:4], v[10:11]
	v_add_f64 v[1:2], v[1:2], v[12:13]
	s_andn2_b32 exec_lo, exec_lo, s5
	s_cbranch_execnz .LBB55_125
; %bb.126:
	s_or_b32 exec_lo, exec_lo, s5
	v_mov_b32_e32 v7, 0
	ds_read_b128 v[7:10], v7 offset:448
	s_waitcnt lgkmcnt(0)
	v_mul_f64 v[11:12], v[1:2], v[9:10]
	v_mul_f64 v[9:10], v[3:4], v[9:10]
	v_fma_f64 v[3:4], v[3:4], v[7:8], -v[11:12]
	v_fma_f64 v[1:2], v[1:2], v[7:8], v[9:10]
	buffer_store_dword v4, off, s[0:3], 0 offset:468
	buffer_store_dword v3, off, s[0:3], 0 offset:464
	;; [unrolled: 1-line block ×4, first 2 shown]
.LBB55_127:
	s_or_b32 exec_lo, exec_lo, s4
	v_mov_b32_e32 v4, s39
	s_waitcnt_vscnt null, 0x0
	s_barrier
	buffer_gl0_inv
	s_mov_b32 s4, exec_lo
	s_clause 0x3
	buffer_load_dword v1, v4, s[0:3], 0 offen
	buffer_load_dword v2, v4, s[0:3], 0 offen offset:4
	buffer_load_dword v3, v4, s[0:3], 0 offen offset:8
	;; [unrolled: 1-line block ×3, first 2 shown]
	s_waitcnt vmcnt(0)
	ds_write_b128 v5, v[1:4]
	s_waitcnt lgkmcnt(0)
	s_barrier
	buffer_gl0_inv
	v_cmpx_gt_u32_e32 29, v0
	s_cbranch_execz .LBB55_131
; %bb.128:
	v_mov_b32_e32 v1, 0
	v_mov_b32_e32 v3, 0
	v_add_nc_u32_e32 v7, -1, v0
	v_add_nc_u32_e32 v8, 0x380, v225
	v_mov_b32_e32 v2, 0
	v_mov_b32_e32 v4, 0
	v_add_nc_u32_e32 v9, 16, v225
	s_mov_b32 s5, 0
	.p2align	6
.LBB55_129:                             ; =>This Inner Loop Header: Depth=1
	s_clause 0x3
	buffer_load_dword v14, v9, s[0:3], 0 offen offset:8
	buffer_load_dword v15, v9, s[0:3], 0 offen offset:12
	buffer_load_dword v16, v9, s[0:3], 0 offen
	buffer_load_dword v17, v9, s[0:3], 0 offen offset:4
	ds_read_b128 v[10:13], v8
	v_add_nc_u32_e32 v7, 1, v7
	v_add_nc_u32_e32 v8, 16, v8
	;; [unrolled: 1-line block ×3, first 2 shown]
	v_cmp_lt_u32_e32 vcc_lo, 27, v7
	s_or_b32 s5, vcc_lo, s5
	s_waitcnt vmcnt(2) lgkmcnt(0)
	v_mul_f64 v[18:19], v[12:13], v[14:15]
	v_mul_f64 v[14:15], v[10:11], v[14:15]
	s_waitcnt vmcnt(0)
	v_fma_f64 v[10:11], v[10:11], v[16:17], -v[18:19]
	v_fma_f64 v[12:13], v[12:13], v[16:17], v[14:15]
	v_add_f64 v[3:4], v[3:4], v[10:11]
	v_add_f64 v[1:2], v[1:2], v[12:13]
	s_andn2_b32 exec_lo, exec_lo, s5
	s_cbranch_execnz .LBB55_129
; %bb.130:
	s_or_b32 exec_lo, exec_lo, s5
	v_mov_b32_e32 v7, 0
	ds_read_b128 v[7:10], v7 offset:464
	s_waitcnt lgkmcnt(0)
	v_mul_f64 v[11:12], v[1:2], v[9:10]
	v_mul_f64 v[9:10], v[3:4], v[9:10]
	v_fma_f64 v[3:4], v[3:4], v[7:8], -v[11:12]
	v_fma_f64 v[1:2], v[1:2], v[7:8], v[9:10]
	buffer_store_dword v4, off, s[0:3], 0 offset:484
	buffer_store_dword v3, off, s[0:3], 0 offset:480
	;; [unrolled: 1-line block ×4, first 2 shown]
.LBB55_131:
	s_or_b32 exec_lo, exec_lo, s4
	v_mov_b32_e32 v4, s38
	s_waitcnt_vscnt null, 0x0
	s_barrier
	buffer_gl0_inv
	s_mov_b32 s4, exec_lo
	s_clause 0x3
	buffer_load_dword v1, v4, s[0:3], 0 offen
	buffer_load_dword v2, v4, s[0:3], 0 offen offset:4
	buffer_load_dword v3, v4, s[0:3], 0 offen offset:8
	;; [unrolled: 1-line block ×3, first 2 shown]
	s_waitcnt vmcnt(0)
	ds_write_b128 v5, v[1:4]
	s_waitcnt lgkmcnt(0)
	s_barrier
	buffer_gl0_inv
	v_cmpx_gt_u32_e32 30, v0
	s_cbranch_execz .LBB55_135
; %bb.132:
	v_mov_b32_e32 v1, 0
	v_mov_b32_e32 v3, 0
	v_add_nc_u32_e32 v7, -1, v0
	v_add_nc_u32_e32 v8, 0x380, v225
	v_mov_b32_e32 v2, 0
	v_mov_b32_e32 v4, 0
	v_add_nc_u32_e32 v9, 16, v225
	s_mov_b32 s5, 0
	.p2align	6
.LBB55_133:                             ; =>This Inner Loop Header: Depth=1
	s_clause 0x3
	buffer_load_dword v14, v9, s[0:3], 0 offen offset:8
	buffer_load_dword v15, v9, s[0:3], 0 offen offset:12
	buffer_load_dword v16, v9, s[0:3], 0 offen
	buffer_load_dword v17, v9, s[0:3], 0 offen offset:4
	ds_read_b128 v[10:13], v8
	v_add_nc_u32_e32 v7, 1, v7
	v_add_nc_u32_e32 v8, 16, v8
	;; [unrolled: 1-line block ×3, first 2 shown]
	v_cmp_lt_u32_e32 vcc_lo, 28, v7
	s_or_b32 s5, vcc_lo, s5
	s_waitcnt vmcnt(2) lgkmcnt(0)
	v_mul_f64 v[18:19], v[12:13], v[14:15]
	v_mul_f64 v[14:15], v[10:11], v[14:15]
	s_waitcnt vmcnt(0)
	v_fma_f64 v[10:11], v[10:11], v[16:17], -v[18:19]
	v_fma_f64 v[12:13], v[12:13], v[16:17], v[14:15]
	v_add_f64 v[3:4], v[3:4], v[10:11]
	v_add_f64 v[1:2], v[1:2], v[12:13]
	s_andn2_b32 exec_lo, exec_lo, s5
	s_cbranch_execnz .LBB55_133
; %bb.134:
	s_or_b32 exec_lo, exec_lo, s5
	v_mov_b32_e32 v7, 0
	ds_read_b128 v[7:10], v7 offset:480
	s_waitcnt lgkmcnt(0)
	v_mul_f64 v[11:12], v[1:2], v[9:10]
	v_mul_f64 v[9:10], v[3:4], v[9:10]
	v_fma_f64 v[3:4], v[3:4], v[7:8], -v[11:12]
	v_fma_f64 v[1:2], v[1:2], v[7:8], v[9:10]
	buffer_store_dword v4, off, s[0:3], 0 offset:500
	buffer_store_dword v3, off, s[0:3], 0 offset:496
	;; [unrolled: 1-line block ×4, first 2 shown]
.LBB55_135:
	s_or_b32 exec_lo, exec_lo, s4
	v_mov_b32_e32 v4, s37
	s_waitcnt_vscnt null, 0x0
	s_barrier
	buffer_gl0_inv
	s_mov_b32 s4, exec_lo
	s_clause 0x3
	buffer_load_dword v1, v4, s[0:3], 0 offen
	buffer_load_dword v2, v4, s[0:3], 0 offen offset:4
	buffer_load_dword v3, v4, s[0:3], 0 offen offset:8
	;; [unrolled: 1-line block ×3, first 2 shown]
	s_waitcnt vmcnt(0)
	ds_write_b128 v5, v[1:4]
	s_waitcnt lgkmcnt(0)
	s_barrier
	buffer_gl0_inv
	v_cmpx_gt_u32_e32 31, v0
	s_cbranch_execz .LBB55_139
; %bb.136:
	v_mov_b32_e32 v1, 0
	v_mov_b32_e32 v3, 0
	v_add_nc_u32_e32 v7, -1, v0
	v_add_nc_u32_e32 v8, 0x380, v225
	v_mov_b32_e32 v2, 0
	v_mov_b32_e32 v4, 0
	v_add_nc_u32_e32 v9, 16, v225
	s_mov_b32 s5, 0
	.p2align	6
.LBB55_137:                             ; =>This Inner Loop Header: Depth=1
	s_clause 0x3
	buffer_load_dword v14, v9, s[0:3], 0 offen offset:8
	buffer_load_dword v15, v9, s[0:3], 0 offen offset:12
	buffer_load_dword v16, v9, s[0:3], 0 offen
	buffer_load_dword v17, v9, s[0:3], 0 offen offset:4
	ds_read_b128 v[10:13], v8
	v_add_nc_u32_e32 v7, 1, v7
	v_add_nc_u32_e32 v8, 16, v8
	;; [unrolled: 1-line block ×3, first 2 shown]
	v_cmp_lt_u32_e32 vcc_lo, 29, v7
	s_or_b32 s5, vcc_lo, s5
	s_waitcnt vmcnt(2) lgkmcnt(0)
	v_mul_f64 v[18:19], v[12:13], v[14:15]
	v_mul_f64 v[14:15], v[10:11], v[14:15]
	s_waitcnt vmcnt(0)
	v_fma_f64 v[10:11], v[10:11], v[16:17], -v[18:19]
	v_fma_f64 v[12:13], v[12:13], v[16:17], v[14:15]
	v_add_f64 v[3:4], v[3:4], v[10:11]
	v_add_f64 v[1:2], v[1:2], v[12:13]
	s_andn2_b32 exec_lo, exec_lo, s5
	s_cbranch_execnz .LBB55_137
; %bb.138:
	s_or_b32 exec_lo, exec_lo, s5
	v_mov_b32_e32 v7, 0
	ds_read_b128 v[7:10], v7 offset:496
	s_waitcnt lgkmcnt(0)
	v_mul_f64 v[11:12], v[1:2], v[9:10]
	v_mul_f64 v[9:10], v[3:4], v[9:10]
	v_fma_f64 v[3:4], v[3:4], v[7:8], -v[11:12]
	v_fma_f64 v[1:2], v[1:2], v[7:8], v[9:10]
	buffer_store_dword v4, off, s[0:3], 0 offset:516
	buffer_store_dword v3, off, s[0:3], 0 offset:512
	;; [unrolled: 1-line block ×4, first 2 shown]
.LBB55_139:
	s_or_b32 exec_lo, exec_lo, s4
	v_mov_b32_e32 v4, s36
	s_waitcnt_vscnt null, 0x0
	s_barrier
	buffer_gl0_inv
	s_mov_b32 s4, exec_lo
	s_clause 0x3
	buffer_load_dword v1, v4, s[0:3], 0 offen
	buffer_load_dword v2, v4, s[0:3], 0 offen offset:4
	buffer_load_dword v3, v4, s[0:3], 0 offen offset:8
	;; [unrolled: 1-line block ×3, first 2 shown]
	s_waitcnt vmcnt(0)
	ds_write_b128 v5, v[1:4]
	s_waitcnt lgkmcnt(0)
	s_barrier
	buffer_gl0_inv
	v_cmpx_gt_u32_e32 32, v0
	s_cbranch_execz .LBB55_143
; %bb.140:
	v_mov_b32_e32 v1, 0
	v_mov_b32_e32 v3, 0
	v_add_nc_u32_e32 v7, -1, v0
	v_add_nc_u32_e32 v8, 0x380, v225
	v_mov_b32_e32 v2, 0
	v_mov_b32_e32 v4, 0
	v_add_nc_u32_e32 v9, 16, v225
	s_mov_b32 s5, 0
	.p2align	6
.LBB55_141:                             ; =>This Inner Loop Header: Depth=1
	s_clause 0x3
	buffer_load_dword v14, v9, s[0:3], 0 offen offset:8
	buffer_load_dword v15, v9, s[0:3], 0 offen offset:12
	buffer_load_dword v16, v9, s[0:3], 0 offen
	buffer_load_dword v17, v9, s[0:3], 0 offen offset:4
	ds_read_b128 v[10:13], v8
	v_add_nc_u32_e32 v7, 1, v7
	v_add_nc_u32_e32 v8, 16, v8
	;; [unrolled: 1-line block ×3, first 2 shown]
	v_cmp_lt_u32_e32 vcc_lo, 30, v7
	s_or_b32 s5, vcc_lo, s5
	s_waitcnt vmcnt(2) lgkmcnt(0)
	v_mul_f64 v[18:19], v[12:13], v[14:15]
	v_mul_f64 v[14:15], v[10:11], v[14:15]
	s_waitcnt vmcnt(0)
	v_fma_f64 v[10:11], v[10:11], v[16:17], -v[18:19]
	v_fma_f64 v[12:13], v[12:13], v[16:17], v[14:15]
	v_add_f64 v[3:4], v[3:4], v[10:11]
	v_add_f64 v[1:2], v[1:2], v[12:13]
	s_andn2_b32 exec_lo, exec_lo, s5
	s_cbranch_execnz .LBB55_141
; %bb.142:
	s_or_b32 exec_lo, exec_lo, s5
	v_mov_b32_e32 v7, 0
	ds_read_b128 v[7:10], v7 offset:512
	s_waitcnt lgkmcnt(0)
	v_mul_f64 v[11:12], v[1:2], v[9:10]
	v_mul_f64 v[9:10], v[3:4], v[9:10]
	v_fma_f64 v[3:4], v[3:4], v[7:8], -v[11:12]
	v_fma_f64 v[1:2], v[1:2], v[7:8], v[9:10]
	buffer_store_dword v4, off, s[0:3], 0 offset:532
	buffer_store_dword v3, off, s[0:3], 0 offset:528
	;; [unrolled: 1-line block ×4, first 2 shown]
.LBB55_143:
	s_or_b32 exec_lo, exec_lo, s4
	v_mov_b32_e32 v4, s35
	s_waitcnt_vscnt null, 0x0
	s_barrier
	buffer_gl0_inv
	s_mov_b32 s4, exec_lo
	s_clause 0x3
	buffer_load_dword v1, v4, s[0:3], 0 offen
	buffer_load_dword v2, v4, s[0:3], 0 offen offset:4
	buffer_load_dword v3, v4, s[0:3], 0 offen offset:8
	;; [unrolled: 1-line block ×3, first 2 shown]
	s_waitcnt vmcnt(0)
	ds_write_b128 v5, v[1:4]
	s_waitcnt lgkmcnt(0)
	s_barrier
	buffer_gl0_inv
	v_cmpx_gt_u32_e32 33, v0
	s_cbranch_execz .LBB55_147
; %bb.144:
	v_mov_b32_e32 v1, 0
	v_mov_b32_e32 v3, 0
	v_add_nc_u32_e32 v7, -1, v0
	v_add_nc_u32_e32 v8, 0x380, v225
	v_mov_b32_e32 v2, 0
	v_mov_b32_e32 v4, 0
	v_add_nc_u32_e32 v9, 16, v225
	s_mov_b32 s5, 0
	.p2align	6
.LBB55_145:                             ; =>This Inner Loop Header: Depth=1
	s_clause 0x3
	buffer_load_dword v14, v9, s[0:3], 0 offen offset:8
	buffer_load_dword v15, v9, s[0:3], 0 offen offset:12
	buffer_load_dword v16, v9, s[0:3], 0 offen
	buffer_load_dword v17, v9, s[0:3], 0 offen offset:4
	ds_read_b128 v[10:13], v8
	v_add_nc_u32_e32 v7, 1, v7
	v_add_nc_u32_e32 v8, 16, v8
	;; [unrolled: 1-line block ×3, first 2 shown]
	v_cmp_lt_u32_e32 vcc_lo, 31, v7
	s_or_b32 s5, vcc_lo, s5
	s_waitcnt vmcnt(2) lgkmcnt(0)
	v_mul_f64 v[18:19], v[12:13], v[14:15]
	v_mul_f64 v[14:15], v[10:11], v[14:15]
	s_waitcnt vmcnt(0)
	v_fma_f64 v[10:11], v[10:11], v[16:17], -v[18:19]
	v_fma_f64 v[12:13], v[12:13], v[16:17], v[14:15]
	v_add_f64 v[3:4], v[3:4], v[10:11]
	v_add_f64 v[1:2], v[1:2], v[12:13]
	s_andn2_b32 exec_lo, exec_lo, s5
	s_cbranch_execnz .LBB55_145
; %bb.146:
	s_or_b32 exec_lo, exec_lo, s5
	v_mov_b32_e32 v7, 0
	ds_read_b128 v[7:10], v7 offset:528
	s_waitcnt lgkmcnt(0)
	v_mul_f64 v[11:12], v[1:2], v[9:10]
	v_mul_f64 v[9:10], v[3:4], v[9:10]
	v_fma_f64 v[3:4], v[3:4], v[7:8], -v[11:12]
	v_fma_f64 v[1:2], v[1:2], v[7:8], v[9:10]
	buffer_store_dword v4, off, s[0:3], 0 offset:548
	buffer_store_dword v3, off, s[0:3], 0 offset:544
	;; [unrolled: 1-line block ×4, first 2 shown]
.LBB55_147:
	s_or_b32 exec_lo, exec_lo, s4
	v_mov_b32_e32 v4, s34
	s_waitcnt_vscnt null, 0x0
	s_barrier
	buffer_gl0_inv
	s_mov_b32 s4, exec_lo
	s_clause 0x3
	buffer_load_dword v1, v4, s[0:3], 0 offen
	buffer_load_dword v2, v4, s[0:3], 0 offen offset:4
	buffer_load_dword v3, v4, s[0:3], 0 offen offset:8
	;; [unrolled: 1-line block ×3, first 2 shown]
	s_waitcnt vmcnt(0)
	ds_write_b128 v5, v[1:4]
	s_waitcnt lgkmcnt(0)
	s_barrier
	buffer_gl0_inv
	v_cmpx_gt_u32_e32 34, v0
	s_cbranch_execz .LBB55_151
; %bb.148:
	v_mov_b32_e32 v1, 0
	v_mov_b32_e32 v3, 0
	v_add_nc_u32_e32 v7, -1, v0
	v_add_nc_u32_e32 v8, 0x380, v225
	v_mov_b32_e32 v2, 0
	v_mov_b32_e32 v4, 0
	v_add_nc_u32_e32 v9, 16, v225
	s_mov_b32 s5, 0
	.p2align	6
.LBB55_149:                             ; =>This Inner Loop Header: Depth=1
	s_clause 0x3
	buffer_load_dword v14, v9, s[0:3], 0 offen offset:8
	buffer_load_dword v15, v9, s[0:3], 0 offen offset:12
	buffer_load_dword v16, v9, s[0:3], 0 offen
	buffer_load_dword v17, v9, s[0:3], 0 offen offset:4
	ds_read_b128 v[10:13], v8
	v_add_nc_u32_e32 v7, 1, v7
	v_add_nc_u32_e32 v8, 16, v8
	;; [unrolled: 1-line block ×3, first 2 shown]
	v_cmp_lt_u32_e32 vcc_lo, 32, v7
	s_or_b32 s5, vcc_lo, s5
	s_waitcnt vmcnt(2) lgkmcnt(0)
	v_mul_f64 v[18:19], v[12:13], v[14:15]
	v_mul_f64 v[14:15], v[10:11], v[14:15]
	s_waitcnt vmcnt(0)
	v_fma_f64 v[10:11], v[10:11], v[16:17], -v[18:19]
	v_fma_f64 v[12:13], v[12:13], v[16:17], v[14:15]
	v_add_f64 v[3:4], v[3:4], v[10:11]
	v_add_f64 v[1:2], v[1:2], v[12:13]
	s_andn2_b32 exec_lo, exec_lo, s5
	s_cbranch_execnz .LBB55_149
; %bb.150:
	s_or_b32 exec_lo, exec_lo, s5
	v_mov_b32_e32 v7, 0
	ds_read_b128 v[7:10], v7 offset:544
	s_waitcnt lgkmcnt(0)
	v_mul_f64 v[11:12], v[1:2], v[9:10]
	v_mul_f64 v[9:10], v[3:4], v[9:10]
	v_fma_f64 v[3:4], v[3:4], v[7:8], -v[11:12]
	v_fma_f64 v[1:2], v[1:2], v[7:8], v[9:10]
	buffer_store_dword v4, off, s[0:3], 0 offset:564
	buffer_store_dword v3, off, s[0:3], 0 offset:560
	;; [unrolled: 1-line block ×4, first 2 shown]
.LBB55_151:
	s_or_b32 exec_lo, exec_lo, s4
	v_mov_b32_e32 v4, s33
	s_waitcnt_vscnt null, 0x0
	s_barrier
	buffer_gl0_inv
	s_mov_b32 s4, exec_lo
	s_clause 0x3
	buffer_load_dword v1, v4, s[0:3], 0 offen
	buffer_load_dword v2, v4, s[0:3], 0 offen offset:4
	buffer_load_dword v3, v4, s[0:3], 0 offen offset:8
	buffer_load_dword v4, v4, s[0:3], 0 offen offset:12
	s_waitcnt vmcnt(0)
	ds_write_b128 v5, v[1:4]
	s_waitcnt lgkmcnt(0)
	s_barrier
	buffer_gl0_inv
	v_cmpx_gt_u32_e32 35, v0
	s_cbranch_execz .LBB55_155
; %bb.152:
	v_mov_b32_e32 v1, 0
	v_mov_b32_e32 v3, 0
	v_add_nc_u32_e32 v7, -1, v0
	v_add_nc_u32_e32 v8, 0x380, v225
	v_mov_b32_e32 v2, 0
	v_mov_b32_e32 v4, 0
	v_add_nc_u32_e32 v9, 16, v225
	s_mov_b32 s5, 0
	.p2align	6
.LBB55_153:                             ; =>This Inner Loop Header: Depth=1
	s_clause 0x3
	buffer_load_dword v14, v9, s[0:3], 0 offen offset:8
	buffer_load_dword v15, v9, s[0:3], 0 offen offset:12
	buffer_load_dword v16, v9, s[0:3], 0 offen
	buffer_load_dword v17, v9, s[0:3], 0 offen offset:4
	ds_read_b128 v[10:13], v8
	v_add_nc_u32_e32 v7, 1, v7
	v_add_nc_u32_e32 v8, 16, v8
	;; [unrolled: 1-line block ×3, first 2 shown]
	v_cmp_lt_u32_e32 vcc_lo, 33, v7
	s_or_b32 s5, vcc_lo, s5
	s_waitcnt vmcnt(2) lgkmcnt(0)
	v_mul_f64 v[18:19], v[12:13], v[14:15]
	v_mul_f64 v[14:15], v[10:11], v[14:15]
	s_waitcnt vmcnt(0)
	v_fma_f64 v[10:11], v[10:11], v[16:17], -v[18:19]
	v_fma_f64 v[12:13], v[12:13], v[16:17], v[14:15]
	v_add_f64 v[3:4], v[3:4], v[10:11]
	v_add_f64 v[1:2], v[1:2], v[12:13]
	s_andn2_b32 exec_lo, exec_lo, s5
	s_cbranch_execnz .LBB55_153
; %bb.154:
	s_or_b32 exec_lo, exec_lo, s5
	v_mov_b32_e32 v7, 0
	ds_read_b128 v[7:10], v7 offset:560
	s_waitcnt lgkmcnt(0)
	v_mul_f64 v[11:12], v[1:2], v[9:10]
	v_mul_f64 v[9:10], v[3:4], v[9:10]
	v_fma_f64 v[3:4], v[3:4], v[7:8], -v[11:12]
	v_fma_f64 v[1:2], v[1:2], v[7:8], v[9:10]
	buffer_store_dword v4, off, s[0:3], 0 offset:580
	buffer_store_dword v3, off, s[0:3], 0 offset:576
	;; [unrolled: 1-line block ×4, first 2 shown]
.LBB55_155:
	s_or_b32 exec_lo, exec_lo, s4
	v_mov_b32_e32 v4, s31
	s_waitcnt_vscnt null, 0x0
	s_barrier
	buffer_gl0_inv
	s_mov_b32 s4, exec_lo
	s_clause 0x3
	buffer_load_dword v1, v4, s[0:3], 0 offen
	buffer_load_dword v2, v4, s[0:3], 0 offen offset:4
	buffer_load_dword v3, v4, s[0:3], 0 offen offset:8
	;; [unrolled: 1-line block ×3, first 2 shown]
	s_waitcnt vmcnt(0)
	ds_write_b128 v5, v[1:4]
	s_waitcnt lgkmcnt(0)
	s_barrier
	buffer_gl0_inv
	v_cmpx_gt_u32_e32 36, v0
	s_cbranch_execz .LBB55_159
; %bb.156:
	v_mov_b32_e32 v1, 0
	v_mov_b32_e32 v3, 0
	v_add_nc_u32_e32 v7, -1, v0
	v_add_nc_u32_e32 v8, 0x380, v225
	v_mov_b32_e32 v2, 0
	v_mov_b32_e32 v4, 0
	v_add_nc_u32_e32 v9, 16, v225
	s_mov_b32 s5, 0
	.p2align	6
.LBB55_157:                             ; =>This Inner Loop Header: Depth=1
	s_clause 0x3
	buffer_load_dword v14, v9, s[0:3], 0 offen offset:8
	buffer_load_dword v15, v9, s[0:3], 0 offen offset:12
	buffer_load_dword v16, v9, s[0:3], 0 offen
	buffer_load_dword v17, v9, s[0:3], 0 offen offset:4
	ds_read_b128 v[10:13], v8
	v_add_nc_u32_e32 v7, 1, v7
	v_add_nc_u32_e32 v8, 16, v8
	;; [unrolled: 1-line block ×3, first 2 shown]
	v_cmp_lt_u32_e32 vcc_lo, 34, v7
	s_or_b32 s5, vcc_lo, s5
	s_waitcnt vmcnt(2) lgkmcnt(0)
	v_mul_f64 v[18:19], v[12:13], v[14:15]
	v_mul_f64 v[14:15], v[10:11], v[14:15]
	s_waitcnt vmcnt(0)
	v_fma_f64 v[10:11], v[10:11], v[16:17], -v[18:19]
	v_fma_f64 v[12:13], v[12:13], v[16:17], v[14:15]
	v_add_f64 v[3:4], v[3:4], v[10:11]
	v_add_f64 v[1:2], v[1:2], v[12:13]
	s_andn2_b32 exec_lo, exec_lo, s5
	s_cbranch_execnz .LBB55_157
; %bb.158:
	s_or_b32 exec_lo, exec_lo, s5
	v_mov_b32_e32 v7, 0
	ds_read_b128 v[7:10], v7 offset:576
	s_waitcnt lgkmcnt(0)
	v_mul_f64 v[11:12], v[1:2], v[9:10]
	v_mul_f64 v[9:10], v[3:4], v[9:10]
	v_fma_f64 v[3:4], v[3:4], v[7:8], -v[11:12]
	v_fma_f64 v[1:2], v[1:2], v[7:8], v[9:10]
	buffer_store_dword v4, off, s[0:3], 0 offset:596
	buffer_store_dword v3, off, s[0:3], 0 offset:592
	;; [unrolled: 1-line block ×4, first 2 shown]
.LBB55_159:
	s_or_b32 exec_lo, exec_lo, s4
	v_mov_b32_e32 v4, s30
	s_waitcnt_vscnt null, 0x0
	s_barrier
	buffer_gl0_inv
	s_mov_b32 s4, exec_lo
	s_clause 0x3
	buffer_load_dword v1, v4, s[0:3], 0 offen
	buffer_load_dword v2, v4, s[0:3], 0 offen offset:4
	buffer_load_dword v3, v4, s[0:3], 0 offen offset:8
	;; [unrolled: 1-line block ×3, first 2 shown]
	s_waitcnt vmcnt(0)
	ds_write_b128 v5, v[1:4]
	s_waitcnt lgkmcnt(0)
	s_barrier
	buffer_gl0_inv
	v_cmpx_gt_u32_e32 37, v0
	s_cbranch_execz .LBB55_163
; %bb.160:
	v_mov_b32_e32 v1, 0
	v_mov_b32_e32 v3, 0
	v_add_nc_u32_e32 v7, -1, v0
	v_add_nc_u32_e32 v8, 0x380, v225
	v_mov_b32_e32 v2, 0
	v_mov_b32_e32 v4, 0
	v_add_nc_u32_e32 v9, 16, v225
	s_mov_b32 s5, 0
	.p2align	6
.LBB55_161:                             ; =>This Inner Loop Header: Depth=1
	s_clause 0x3
	buffer_load_dword v14, v9, s[0:3], 0 offen offset:8
	buffer_load_dword v15, v9, s[0:3], 0 offen offset:12
	buffer_load_dword v16, v9, s[0:3], 0 offen
	buffer_load_dword v17, v9, s[0:3], 0 offen offset:4
	ds_read_b128 v[10:13], v8
	v_add_nc_u32_e32 v7, 1, v7
	v_add_nc_u32_e32 v8, 16, v8
	;; [unrolled: 1-line block ×3, first 2 shown]
	v_cmp_lt_u32_e32 vcc_lo, 35, v7
	s_or_b32 s5, vcc_lo, s5
	s_waitcnt vmcnt(2) lgkmcnt(0)
	v_mul_f64 v[18:19], v[12:13], v[14:15]
	v_mul_f64 v[14:15], v[10:11], v[14:15]
	s_waitcnt vmcnt(0)
	v_fma_f64 v[10:11], v[10:11], v[16:17], -v[18:19]
	v_fma_f64 v[12:13], v[12:13], v[16:17], v[14:15]
	v_add_f64 v[3:4], v[3:4], v[10:11]
	v_add_f64 v[1:2], v[1:2], v[12:13]
	s_andn2_b32 exec_lo, exec_lo, s5
	s_cbranch_execnz .LBB55_161
; %bb.162:
	s_or_b32 exec_lo, exec_lo, s5
	v_mov_b32_e32 v7, 0
	ds_read_b128 v[7:10], v7 offset:592
	s_waitcnt lgkmcnt(0)
	v_mul_f64 v[11:12], v[1:2], v[9:10]
	v_mul_f64 v[9:10], v[3:4], v[9:10]
	v_fma_f64 v[3:4], v[3:4], v[7:8], -v[11:12]
	v_fma_f64 v[1:2], v[1:2], v[7:8], v[9:10]
	buffer_store_dword v4, off, s[0:3], 0 offset:612
	buffer_store_dword v3, off, s[0:3], 0 offset:608
	;; [unrolled: 1-line block ×4, first 2 shown]
.LBB55_163:
	s_or_b32 exec_lo, exec_lo, s4
	v_mov_b32_e32 v4, s29
	s_waitcnt_vscnt null, 0x0
	s_barrier
	buffer_gl0_inv
	s_mov_b32 s4, exec_lo
	s_clause 0x3
	buffer_load_dword v1, v4, s[0:3], 0 offen
	buffer_load_dword v2, v4, s[0:3], 0 offen offset:4
	buffer_load_dword v3, v4, s[0:3], 0 offen offset:8
	;; [unrolled: 1-line block ×3, first 2 shown]
	s_waitcnt vmcnt(0)
	ds_write_b128 v5, v[1:4]
	s_waitcnt lgkmcnt(0)
	s_barrier
	buffer_gl0_inv
	v_cmpx_gt_u32_e32 38, v0
	s_cbranch_execz .LBB55_167
; %bb.164:
	v_mov_b32_e32 v1, 0
	v_mov_b32_e32 v3, 0
	v_add_nc_u32_e32 v7, -1, v0
	v_add_nc_u32_e32 v8, 0x380, v225
	v_mov_b32_e32 v2, 0
	v_mov_b32_e32 v4, 0
	v_add_nc_u32_e32 v9, 16, v225
	s_mov_b32 s5, 0
	.p2align	6
.LBB55_165:                             ; =>This Inner Loop Header: Depth=1
	s_clause 0x3
	buffer_load_dword v14, v9, s[0:3], 0 offen offset:8
	buffer_load_dword v15, v9, s[0:3], 0 offen offset:12
	buffer_load_dword v16, v9, s[0:3], 0 offen
	buffer_load_dword v17, v9, s[0:3], 0 offen offset:4
	ds_read_b128 v[10:13], v8
	v_add_nc_u32_e32 v7, 1, v7
	v_add_nc_u32_e32 v8, 16, v8
	;; [unrolled: 1-line block ×3, first 2 shown]
	v_cmp_lt_u32_e32 vcc_lo, 36, v7
	s_or_b32 s5, vcc_lo, s5
	s_waitcnt vmcnt(2) lgkmcnt(0)
	v_mul_f64 v[18:19], v[12:13], v[14:15]
	v_mul_f64 v[14:15], v[10:11], v[14:15]
	s_waitcnt vmcnt(0)
	v_fma_f64 v[10:11], v[10:11], v[16:17], -v[18:19]
	v_fma_f64 v[12:13], v[12:13], v[16:17], v[14:15]
	v_add_f64 v[3:4], v[3:4], v[10:11]
	v_add_f64 v[1:2], v[1:2], v[12:13]
	s_andn2_b32 exec_lo, exec_lo, s5
	s_cbranch_execnz .LBB55_165
; %bb.166:
	s_or_b32 exec_lo, exec_lo, s5
	v_mov_b32_e32 v7, 0
	ds_read_b128 v[7:10], v7 offset:608
	s_waitcnt lgkmcnt(0)
	v_mul_f64 v[11:12], v[1:2], v[9:10]
	v_mul_f64 v[9:10], v[3:4], v[9:10]
	v_fma_f64 v[3:4], v[3:4], v[7:8], -v[11:12]
	v_fma_f64 v[1:2], v[1:2], v[7:8], v[9:10]
	buffer_store_dword v4, off, s[0:3], 0 offset:628
	buffer_store_dword v3, off, s[0:3], 0 offset:624
	;; [unrolled: 1-line block ×4, first 2 shown]
.LBB55_167:
	s_or_b32 exec_lo, exec_lo, s4
	v_mov_b32_e32 v4, s28
	s_waitcnt_vscnt null, 0x0
	s_barrier
	buffer_gl0_inv
	s_mov_b32 s4, exec_lo
	s_clause 0x3
	buffer_load_dword v1, v4, s[0:3], 0 offen
	buffer_load_dword v2, v4, s[0:3], 0 offen offset:4
	buffer_load_dword v3, v4, s[0:3], 0 offen offset:8
	;; [unrolled: 1-line block ×3, first 2 shown]
	s_waitcnt vmcnt(0)
	ds_write_b128 v5, v[1:4]
	s_waitcnt lgkmcnt(0)
	s_barrier
	buffer_gl0_inv
	v_cmpx_gt_u32_e32 39, v0
	s_cbranch_execz .LBB55_171
; %bb.168:
	v_mov_b32_e32 v1, 0
	v_mov_b32_e32 v3, 0
	v_add_nc_u32_e32 v7, -1, v0
	v_add_nc_u32_e32 v8, 0x380, v225
	v_mov_b32_e32 v2, 0
	v_mov_b32_e32 v4, 0
	v_add_nc_u32_e32 v9, 16, v225
	s_mov_b32 s5, 0
	.p2align	6
.LBB55_169:                             ; =>This Inner Loop Header: Depth=1
	s_clause 0x3
	buffer_load_dword v14, v9, s[0:3], 0 offen offset:8
	buffer_load_dword v15, v9, s[0:3], 0 offen offset:12
	buffer_load_dword v16, v9, s[0:3], 0 offen
	buffer_load_dword v17, v9, s[0:3], 0 offen offset:4
	ds_read_b128 v[10:13], v8
	v_add_nc_u32_e32 v7, 1, v7
	v_add_nc_u32_e32 v8, 16, v8
	;; [unrolled: 1-line block ×3, first 2 shown]
	v_cmp_lt_u32_e32 vcc_lo, 37, v7
	s_or_b32 s5, vcc_lo, s5
	s_waitcnt vmcnt(2) lgkmcnt(0)
	v_mul_f64 v[18:19], v[12:13], v[14:15]
	v_mul_f64 v[14:15], v[10:11], v[14:15]
	s_waitcnt vmcnt(0)
	v_fma_f64 v[10:11], v[10:11], v[16:17], -v[18:19]
	v_fma_f64 v[12:13], v[12:13], v[16:17], v[14:15]
	v_add_f64 v[3:4], v[3:4], v[10:11]
	v_add_f64 v[1:2], v[1:2], v[12:13]
	s_andn2_b32 exec_lo, exec_lo, s5
	s_cbranch_execnz .LBB55_169
; %bb.170:
	s_or_b32 exec_lo, exec_lo, s5
	v_mov_b32_e32 v7, 0
	ds_read_b128 v[7:10], v7 offset:624
	s_waitcnt lgkmcnt(0)
	v_mul_f64 v[11:12], v[1:2], v[9:10]
	v_mul_f64 v[9:10], v[3:4], v[9:10]
	v_fma_f64 v[3:4], v[3:4], v[7:8], -v[11:12]
	v_fma_f64 v[1:2], v[1:2], v[7:8], v[9:10]
	buffer_store_dword v4, off, s[0:3], 0 offset:644
	buffer_store_dword v3, off, s[0:3], 0 offset:640
	;; [unrolled: 1-line block ×4, first 2 shown]
.LBB55_171:
	s_or_b32 exec_lo, exec_lo, s4
	v_mov_b32_e32 v4, s27
	s_waitcnt_vscnt null, 0x0
	s_barrier
	buffer_gl0_inv
	s_mov_b32 s4, exec_lo
	s_clause 0x3
	buffer_load_dword v1, v4, s[0:3], 0 offen
	buffer_load_dword v2, v4, s[0:3], 0 offen offset:4
	buffer_load_dword v3, v4, s[0:3], 0 offen offset:8
	;; [unrolled: 1-line block ×3, first 2 shown]
	s_waitcnt vmcnt(0)
	ds_write_b128 v5, v[1:4]
	s_waitcnt lgkmcnt(0)
	s_barrier
	buffer_gl0_inv
	v_cmpx_gt_u32_e32 40, v0
	s_cbranch_execz .LBB55_175
; %bb.172:
	v_mov_b32_e32 v1, 0
	v_mov_b32_e32 v3, 0
	v_add_nc_u32_e32 v7, -1, v0
	v_add_nc_u32_e32 v8, 0x380, v225
	v_mov_b32_e32 v2, 0
	v_mov_b32_e32 v4, 0
	v_add_nc_u32_e32 v9, 16, v225
	s_mov_b32 s5, 0
	.p2align	6
.LBB55_173:                             ; =>This Inner Loop Header: Depth=1
	s_clause 0x3
	buffer_load_dword v14, v9, s[0:3], 0 offen offset:8
	buffer_load_dword v15, v9, s[0:3], 0 offen offset:12
	buffer_load_dword v16, v9, s[0:3], 0 offen
	buffer_load_dword v17, v9, s[0:3], 0 offen offset:4
	ds_read_b128 v[10:13], v8
	v_add_nc_u32_e32 v7, 1, v7
	v_add_nc_u32_e32 v8, 16, v8
	;; [unrolled: 1-line block ×3, first 2 shown]
	v_cmp_lt_u32_e32 vcc_lo, 38, v7
	s_or_b32 s5, vcc_lo, s5
	s_waitcnt vmcnt(2) lgkmcnt(0)
	v_mul_f64 v[18:19], v[12:13], v[14:15]
	v_mul_f64 v[14:15], v[10:11], v[14:15]
	s_waitcnt vmcnt(0)
	v_fma_f64 v[10:11], v[10:11], v[16:17], -v[18:19]
	v_fma_f64 v[12:13], v[12:13], v[16:17], v[14:15]
	v_add_f64 v[3:4], v[3:4], v[10:11]
	v_add_f64 v[1:2], v[1:2], v[12:13]
	s_andn2_b32 exec_lo, exec_lo, s5
	s_cbranch_execnz .LBB55_173
; %bb.174:
	s_or_b32 exec_lo, exec_lo, s5
	v_mov_b32_e32 v7, 0
	ds_read_b128 v[7:10], v7 offset:640
	s_waitcnt lgkmcnt(0)
	v_mul_f64 v[11:12], v[1:2], v[9:10]
	v_mul_f64 v[9:10], v[3:4], v[9:10]
	v_fma_f64 v[3:4], v[3:4], v[7:8], -v[11:12]
	v_fma_f64 v[1:2], v[1:2], v[7:8], v[9:10]
	buffer_store_dword v4, off, s[0:3], 0 offset:660
	buffer_store_dword v3, off, s[0:3], 0 offset:656
	;; [unrolled: 1-line block ×4, first 2 shown]
.LBB55_175:
	s_or_b32 exec_lo, exec_lo, s4
	v_mov_b32_e32 v4, s26
	s_waitcnt_vscnt null, 0x0
	s_barrier
	buffer_gl0_inv
	s_mov_b32 s4, exec_lo
	s_clause 0x3
	buffer_load_dword v1, v4, s[0:3], 0 offen
	buffer_load_dword v2, v4, s[0:3], 0 offen offset:4
	buffer_load_dword v3, v4, s[0:3], 0 offen offset:8
	;; [unrolled: 1-line block ×3, first 2 shown]
	s_waitcnt vmcnt(0)
	ds_write_b128 v5, v[1:4]
	s_waitcnt lgkmcnt(0)
	s_barrier
	buffer_gl0_inv
	v_cmpx_gt_u32_e32 41, v0
	s_cbranch_execz .LBB55_179
; %bb.176:
	v_mov_b32_e32 v1, 0
	v_mov_b32_e32 v3, 0
	v_add_nc_u32_e32 v7, -1, v0
	v_add_nc_u32_e32 v8, 0x380, v225
	v_mov_b32_e32 v2, 0
	v_mov_b32_e32 v4, 0
	v_add_nc_u32_e32 v9, 16, v225
	s_mov_b32 s5, 0
	.p2align	6
.LBB55_177:                             ; =>This Inner Loop Header: Depth=1
	s_clause 0x3
	buffer_load_dword v14, v9, s[0:3], 0 offen offset:8
	buffer_load_dword v15, v9, s[0:3], 0 offen offset:12
	buffer_load_dword v16, v9, s[0:3], 0 offen
	buffer_load_dword v17, v9, s[0:3], 0 offen offset:4
	ds_read_b128 v[10:13], v8
	v_add_nc_u32_e32 v7, 1, v7
	v_add_nc_u32_e32 v8, 16, v8
	;; [unrolled: 1-line block ×3, first 2 shown]
	v_cmp_lt_u32_e32 vcc_lo, 39, v7
	s_or_b32 s5, vcc_lo, s5
	s_waitcnt vmcnt(2) lgkmcnt(0)
	v_mul_f64 v[18:19], v[12:13], v[14:15]
	v_mul_f64 v[14:15], v[10:11], v[14:15]
	s_waitcnt vmcnt(0)
	v_fma_f64 v[10:11], v[10:11], v[16:17], -v[18:19]
	v_fma_f64 v[12:13], v[12:13], v[16:17], v[14:15]
	v_add_f64 v[3:4], v[3:4], v[10:11]
	v_add_f64 v[1:2], v[1:2], v[12:13]
	s_andn2_b32 exec_lo, exec_lo, s5
	s_cbranch_execnz .LBB55_177
; %bb.178:
	s_or_b32 exec_lo, exec_lo, s5
	v_mov_b32_e32 v7, 0
	ds_read_b128 v[7:10], v7 offset:656
	s_waitcnt lgkmcnt(0)
	v_mul_f64 v[11:12], v[1:2], v[9:10]
	v_mul_f64 v[9:10], v[3:4], v[9:10]
	v_fma_f64 v[3:4], v[3:4], v[7:8], -v[11:12]
	v_fma_f64 v[1:2], v[1:2], v[7:8], v[9:10]
	buffer_store_dword v4, off, s[0:3], 0 offset:676
	buffer_store_dword v3, off, s[0:3], 0 offset:672
	;; [unrolled: 1-line block ×4, first 2 shown]
.LBB55_179:
	s_or_b32 exec_lo, exec_lo, s4
	v_mov_b32_e32 v4, s25
	s_waitcnt_vscnt null, 0x0
	s_barrier
	buffer_gl0_inv
	s_mov_b32 s4, exec_lo
	s_clause 0x3
	buffer_load_dword v1, v4, s[0:3], 0 offen
	buffer_load_dword v2, v4, s[0:3], 0 offen offset:4
	buffer_load_dword v3, v4, s[0:3], 0 offen offset:8
	;; [unrolled: 1-line block ×3, first 2 shown]
	s_waitcnt vmcnt(0)
	ds_write_b128 v5, v[1:4]
	s_waitcnt lgkmcnt(0)
	s_barrier
	buffer_gl0_inv
	v_cmpx_gt_u32_e32 42, v0
	s_cbranch_execz .LBB55_183
; %bb.180:
	v_mov_b32_e32 v1, 0
	v_mov_b32_e32 v3, 0
	v_add_nc_u32_e32 v7, -1, v0
	v_add_nc_u32_e32 v8, 0x380, v225
	v_mov_b32_e32 v2, 0
	v_mov_b32_e32 v4, 0
	v_add_nc_u32_e32 v9, 16, v225
	s_mov_b32 s5, 0
	.p2align	6
.LBB55_181:                             ; =>This Inner Loop Header: Depth=1
	s_clause 0x3
	buffer_load_dword v14, v9, s[0:3], 0 offen offset:8
	buffer_load_dword v15, v9, s[0:3], 0 offen offset:12
	buffer_load_dword v16, v9, s[0:3], 0 offen
	buffer_load_dword v17, v9, s[0:3], 0 offen offset:4
	ds_read_b128 v[10:13], v8
	v_add_nc_u32_e32 v7, 1, v7
	v_add_nc_u32_e32 v8, 16, v8
	;; [unrolled: 1-line block ×3, first 2 shown]
	v_cmp_lt_u32_e32 vcc_lo, 40, v7
	s_or_b32 s5, vcc_lo, s5
	s_waitcnt vmcnt(2) lgkmcnt(0)
	v_mul_f64 v[18:19], v[12:13], v[14:15]
	v_mul_f64 v[14:15], v[10:11], v[14:15]
	s_waitcnt vmcnt(0)
	v_fma_f64 v[10:11], v[10:11], v[16:17], -v[18:19]
	v_fma_f64 v[12:13], v[12:13], v[16:17], v[14:15]
	v_add_f64 v[3:4], v[3:4], v[10:11]
	v_add_f64 v[1:2], v[1:2], v[12:13]
	s_andn2_b32 exec_lo, exec_lo, s5
	s_cbranch_execnz .LBB55_181
; %bb.182:
	s_or_b32 exec_lo, exec_lo, s5
	v_mov_b32_e32 v7, 0
	ds_read_b128 v[7:10], v7 offset:672
	s_waitcnt lgkmcnt(0)
	v_mul_f64 v[11:12], v[1:2], v[9:10]
	v_mul_f64 v[9:10], v[3:4], v[9:10]
	v_fma_f64 v[3:4], v[3:4], v[7:8], -v[11:12]
	v_fma_f64 v[1:2], v[1:2], v[7:8], v[9:10]
	buffer_store_dword v4, off, s[0:3], 0 offset:692
	buffer_store_dword v3, off, s[0:3], 0 offset:688
	;; [unrolled: 1-line block ×4, first 2 shown]
.LBB55_183:
	s_or_b32 exec_lo, exec_lo, s4
	v_mov_b32_e32 v4, s24
	s_waitcnt_vscnt null, 0x0
	s_barrier
	buffer_gl0_inv
	s_mov_b32 s4, exec_lo
	s_clause 0x3
	buffer_load_dword v1, v4, s[0:3], 0 offen
	buffer_load_dword v2, v4, s[0:3], 0 offen offset:4
	buffer_load_dword v3, v4, s[0:3], 0 offen offset:8
	;; [unrolled: 1-line block ×3, first 2 shown]
	s_waitcnt vmcnt(0)
	ds_write_b128 v5, v[1:4]
	s_waitcnt lgkmcnt(0)
	s_barrier
	buffer_gl0_inv
	v_cmpx_gt_u32_e32 43, v0
	s_cbranch_execz .LBB55_187
; %bb.184:
	v_mov_b32_e32 v1, 0
	v_mov_b32_e32 v3, 0
	v_add_nc_u32_e32 v7, -1, v0
	v_add_nc_u32_e32 v8, 0x380, v225
	v_mov_b32_e32 v2, 0
	v_mov_b32_e32 v4, 0
	v_add_nc_u32_e32 v9, 16, v225
	s_mov_b32 s5, 0
	.p2align	6
.LBB55_185:                             ; =>This Inner Loop Header: Depth=1
	s_clause 0x3
	buffer_load_dword v14, v9, s[0:3], 0 offen offset:8
	buffer_load_dword v15, v9, s[0:3], 0 offen offset:12
	buffer_load_dword v16, v9, s[0:3], 0 offen
	buffer_load_dword v17, v9, s[0:3], 0 offen offset:4
	ds_read_b128 v[10:13], v8
	v_add_nc_u32_e32 v7, 1, v7
	v_add_nc_u32_e32 v8, 16, v8
	;; [unrolled: 1-line block ×3, first 2 shown]
	v_cmp_lt_u32_e32 vcc_lo, 41, v7
	s_or_b32 s5, vcc_lo, s5
	s_waitcnt vmcnt(2) lgkmcnt(0)
	v_mul_f64 v[18:19], v[12:13], v[14:15]
	v_mul_f64 v[14:15], v[10:11], v[14:15]
	s_waitcnt vmcnt(0)
	v_fma_f64 v[10:11], v[10:11], v[16:17], -v[18:19]
	v_fma_f64 v[12:13], v[12:13], v[16:17], v[14:15]
	v_add_f64 v[3:4], v[3:4], v[10:11]
	v_add_f64 v[1:2], v[1:2], v[12:13]
	s_andn2_b32 exec_lo, exec_lo, s5
	s_cbranch_execnz .LBB55_185
; %bb.186:
	s_or_b32 exec_lo, exec_lo, s5
	v_mov_b32_e32 v7, 0
	ds_read_b128 v[7:10], v7 offset:688
	s_waitcnt lgkmcnt(0)
	v_mul_f64 v[11:12], v[1:2], v[9:10]
	v_mul_f64 v[9:10], v[3:4], v[9:10]
	v_fma_f64 v[3:4], v[3:4], v[7:8], -v[11:12]
	v_fma_f64 v[1:2], v[1:2], v[7:8], v[9:10]
	buffer_store_dword v4, off, s[0:3], 0 offset:708
	buffer_store_dword v3, off, s[0:3], 0 offset:704
	;; [unrolled: 1-line block ×4, first 2 shown]
.LBB55_187:
	s_or_b32 exec_lo, exec_lo, s4
	v_mov_b32_e32 v4, s23
	s_waitcnt_vscnt null, 0x0
	s_barrier
	buffer_gl0_inv
	s_mov_b32 s4, exec_lo
	s_clause 0x3
	buffer_load_dword v1, v4, s[0:3], 0 offen
	buffer_load_dword v2, v4, s[0:3], 0 offen offset:4
	buffer_load_dword v3, v4, s[0:3], 0 offen offset:8
	;; [unrolled: 1-line block ×3, first 2 shown]
	s_waitcnt vmcnt(0)
	ds_write_b128 v5, v[1:4]
	s_waitcnt lgkmcnt(0)
	s_barrier
	buffer_gl0_inv
	v_cmpx_gt_u32_e32 44, v0
	s_cbranch_execz .LBB55_191
; %bb.188:
	v_mov_b32_e32 v1, 0
	v_mov_b32_e32 v3, 0
	v_add_nc_u32_e32 v7, -1, v0
	v_add_nc_u32_e32 v8, 0x380, v225
	v_mov_b32_e32 v2, 0
	v_mov_b32_e32 v4, 0
	v_add_nc_u32_e32 v9, 16, v225
	s_mov_b32 s5, 0
	.p2align	6
.LBB55_189:                             ; =>This Inner Loop Header: Depth=1
	s_clause 0x3
	buffer_load_dword v14, v9, s[0:3], 0 offen offset:8
	buffer_load_dword v15, v9, s[0:3], 0 offen offset:12
	buffer_load_dword v16, v9, s[0:3], 0 offen
	buffer_load_dword v17, v9, s[0:3], 0 offen offset:4
	ds_read_b128 v[10:13], v8
	v_add_nc_u32_e32 v7, 1, v7
	v_add_nc_u32_e32 v8, 16, v8
	;; [unrolled: 1-line block ×3, first 2 shown]
	v_cmp_lt_u32_e32 vcc_lo, 42, v7
	s_or_b32 s5, vcc_lo, s5
	s_waitcnt vmcnt(2) lgkmcnt(0)
	v_mul_f64 v[18:19], v[12:13], v[14:15]
	v_mul_f64 v[14:15], v[10:11], v[14:15]
	s_waitcnt vmcnt(0)
	v_fma_f64 v[10:11], v[10:11], v[16:17], -v[18:19]
	v_fma_f64 v[12:13], v[12:13], v[16:17], v[14:15]
	v_add_f64 v[3:4], v[3:4], v[10:11]
	v_add_f64 v[1:2], v[1:2], v[12:13]
	s_andn2_b32 exec_lo, exec_lo, s5
	s_cbranch_execnz .LBB55_189
; %bb.190:
	s_or_b32 exec_lo, exec_lo, s5
	v_mov_b32_e32 v7, 0
	ds_read_b128 v[7:10], v7 offset:704
	s_waitcnt lgkmcnt(0)
	v_mul_f64 v[11:12], v[1:2], v[9:10]
	v_mul_f64 v[9:10], v[3:4], v[9:10]
	v_fma_f64 v[3:4], v[3:4], v[7:8], -v[11:12]
	v_fma_f64 v[1:2], v[1:2], v[7:8], v[9:10]
	buffer_store_dword v4, off, s[0:3], 0 offset:724
	buffer_store_dword v3, off, s[0:3], 0 offset:720
	;; [unrolled: 1-line block ×4, first 2 shown]
.LBB55_191:
	s_or_b32 exec_lo, exec_lo, s4
	v_mov_b32_e32 v4, s22
	s_waitcnt_vscnt null, 0x0
	s_barrier
	buffer_gl0_inv
	s_mov_b32 s4, exec_lo
	s_clause 0x3
	buffer_load_dword v1, v4, s[0:3], 0 offen
	buffer_load_dword v2, v4, s[0:3], 0 offen offset:4
	buffer_load_dword v3, v4, s[0:3], 0 offen offset:8
	;; [unrolled: 1-line block ×3, first 2 shown]
	s_waitcnt vmcnt(0)
	ds_write_b128 v5, v[1:4]
	s_waitcnt lgkmcnt(0)
	s_barrier
	buffer_gl0_inv
	v_cmpx_gt_u32_e32 45, v0
	s_cbranch_execz .LBB55_195
; %bb.192:
	v_mov_b32_e32 v1, 0
	v_mov_b32_e32 v3, 0
	v_add_nc_u32_e32 v7, -1, v0
	v_add_nc_u32_e32 v8, 0x380, v225
	v_mov_b32_e32 v2, 0
	v_mov_b32_e32 v4, 0
	v_add_nc_u32_e32 v9, 16, v225
	s_mov_b32 s5, 0
	.p2align	6
.LBB55_193:                             ; =>This Inner Loop Header: Depth=1
	s_clause 0x3
	buffer_load_dword v14, v9, s[0:3], 0 offen offset:8
	buffer_load_dword v15, v9, s[0:3], 0 offen offset:12
	buffer_load_dword v16, v9, s[0:3], 0 offen
	buffer_load_dword v17, v9, s[0:3], 0 offen offset:4
	ds_read_b128 v[10:13], v8
	v_add_nc_u32_e32 v7, 1, v7
	v_add_nc_u32_e32 v8, 16, v8
	;; [unrolled: 1-line block ×3, first 2 shown]
	v_cmp_lt_u32_e32 vcc_lo, 43, v7
	s_or_b32 s5, vcc_lo, s5
	s_waitcnt vmcnt(2) lgkmcnt(0)
	v_mul_f64 v[18:19], v[12:13], v[14:15]
	v_mul_f64 v[14:15], v[10:11], v[14:15]
	s_waitcnt vmcnt(0)
	v_fma_f64 v[10:11], v[10:11], v[16:17], -v[18:19]
	v_fma_f64 v[12:13], v[12:13], v[16:17], v[14:15]
	v_add_f64 v[3:4], v[3:4], v[10:11]
	v_add_f64 v[1:2], v[1:2], v[12:13]
	s_andn2_b32 exec_lo, exec_lo, s5
	s_cbranch_execnz .LBB55_193
; %bb.194:
	s_or_b32 exec_lo, exec_lo, s5
	v_mov_b32_e32 v7, 0
	ds_read_b128 v[7:10], v7 offset:720
	s_waitcnt lgkmcnt(0)
	v_mul_f64 v[11:12], v[1:2], v[9:10]
	v_mul_f64 v[9:10], v[3:4], v[9:10]
	v_fma_f64 v[3:4], v[3:4], v[7:8], -v[11:12]
	v_fma_f64 v[1:2], v[1:2], v[7:8], v[9:10]
	buffer_store_dword v4, off, s[0:3], 0 offset:740
	buffer_store_dword v3, off, s[0:3], 0 offset:736
	;; [unrolled: 1-line block ×4, first 2 shown]
.LBB55_195:
	s_or_b32 exec_lo, exec_lo, s4
	v_mov_b32_e32 v4, s19
	s_waitcnt_vscnt null, 0x0
	s_barrier
	buffer_gl0_inv
	s_mov_b32 s4, exec_lo
	s_clause 0x3
	buffer_load_dword v1, v4, s[0:3], 0 offen
	buffer_load_dword v2, v4, s[0:3], 0 offen offset:4
	buffer_load_dword v3, v4, s[0:3], 0 offen offset:8
	;; [unrolled: 1-line block ×3, first 2 shown]
	s_waitcnt vmcnt(0)
	ds_write_b128 v5, v[1:4]
	s_waitcnt lgkmcnt(0)
	s_barrier
	buffer_gl0_inv
	v_cmpx_gt_u32_e32 46, v0
	s_cbranch_execz .LBB55_199
; %bb.196:
	v_mov_b32_e32 v1, 0
	v_mov_b32_e32 v3, 0
	v_add_nc_u32_e32 v7, -1, v0
	v_add_nc_u32_e32 v8, 0x380, v225
	v_mov_b32_e32 v2, 0
	v_mov_b32_e32 v4, 0
	v_add_nc_u32_e32 v9, 16, v225
	s_mov_b32 s5, 0
	.p2align	6
.LBB55_197:                             ; =>This Inner Loop Header: Depth=1
	s_clause 0x3
	buffer_load_dword v14, v9, s[0:3], 0 offen offset:8
	buffer_load_dword v15, v9, s[0:3], 0 offen offset:12
	buffer_load_dword v16, v9, s[0:3], 0 offen
	buffer_load_dword v17, v9, s[0:3], 0 offen offset:4
	ds_read_b128 v[10:13], v8
	v_add_nc_u32_e32 v7, 1, v7
	v_add_nc_u32_e32 v8, 16, v8
	;; [unrolled: 1-line block ×3, first 2 shown]
	v_cmp_lt_u32_e32 vcc_lo, 44, v7
	s_or_b32 s5, vcc_lo, s5
	s_waitcnt vmcnt(2) lgkmcnt(0)
	v_mul_f64 v[18:19], v[12:13], v[14:15]
	v_mul_f64 v[14:15], v[10:11], v[14:15]
	s_waitcnt vmcnt(0)
	v_fma_f64 v[10:11], v[10:11], v[16:17], -v[18:19]
	v_fma_f64 v[12:13], v[12:13], v[16:17], v[14:15]
	v_add_f64 v[3:4], v[3:4], v[10:11]
	v_add_f64 v[1:2], v[1:2], v[12:13]
	s_andn2_b32 exec_lo, exec_lo, s5
	s_cbranch_execnz .LBB55_197
; %bb.198:
	s_or_b32 exec_lo, exec_lo, s5
	v_mov_b32_e32 v7, 0
	ds_read_b128 v[7:10], v7 offset:736
	s_waitcnt lgkmcnt(0)
	v_mul_f64 v[11:12], v[1:2], v[9:10]
	v_mul_f64 v[9:10], v[3:4], v[9:10]
	v_fma_f64 v[3:4], v[3:4], v[7:8], -v[11:12]
	v_fma_f64 v[1:2], v[1:2], v[7:8], v[9:10]
	buffer_store_dword v4, off, s[0:3], 0 offset:756
	buffer_store_dword v3, off, s[0:3], 0 offset:752
	;; [unrolled: 1-line block ×4, first 2 shown]
.LBB55_199:
	s_or_b32 exec_lo, exec_lo, s4
	v_mov_b32_e32 v4, s18
	s_waitcnt_vscnt null, 0x0
	s_barrier
	buffer_gl0_inv
	s_mov_b32 s4, exec_lo
	s_clause 0x3
	buffer_load_dword v1, v4, s[0:3], 0 offen
	buffer_load_dword v2, v4, s[0:3], 0 offen offset:4
	buffer_load_dword v3, v4, s[0:3], 0 offen offset:8
	buffer_load_dword v4, v4, s[0:3], 0 offen offset:12
	s_waitcnt vmcnt(0)
	ds_write_b128 v5, v[1:4]
	s_waitcnt lgkmcnt(0)
	s_barrier
	buffer_gl0_inv
	v_cmpx_gt_u32_e32 47, v0
	s_cbranch_execz .LBB55_203
; %bb.200:
	v_mov_b32_e32 v1, 0
	v_mov_b32_e32 v3, 0
	v_add_nc_u32_e32 v7, -1, v0
	v_add_nc_u32_e32 v8, 0x380, v225
	v_mov_b32_e32 v2, 0
	v_mov_b32_e32 v4, 0
	v_add_nc_u32_e32 v9, 16, v225
	s_mov_b32 s5, 0
	.p2align	6
.LBB55_201:                             ; =>This Inner Loop Header: Depth=1
	s_clause 0x3
	buffer_load_dword v14, v9, s[0:3], 0 offen offset:8
	buffer_load_dword v15, v9, s[0:3], 0 offen offset:12
	buffer_load_dword v16, v9, s[0:3], 0 offen
	buffer_load_dword v17, v9, s[0:3], 0 offen offset:4
	ds_read_b128 v[10:13], v8
	v_add_nc_u32_e32 v7, 1, v7
	v_add_nc_u32_e32 v8, 16, v8
	;; [unrolled: 1-line block ×3, first 2 shown]
	v_cmp_lt_u32_e32 vcc_lo, 45, v7
	s_or_b32 s5, vcc_lo, s5
	s_waitcnt vmcnt(2) lgkmcnt(0)
	v_mul_f64 v[18:19], v[12:13], v[14:15]
	v_mul_f64 v[14:15], v[10:11], v[14:15]
	s_waitcnt vmcnt(0)
	v_fma_f64 v[10:11], v[10:11], v[16:17], -v[18:19]
	v_fma_f64 v[12:13], v[12:13], v[16:17], v[14:15]
	v_add_f64 v[3:4], v[3:4], v[10:11]
	v_add_f64 v[1:2], v[1:2], v[12:13]
	s_andn2_b32 exec_lo, exec_lo, s5
	s_cbranch_execnz .LBB55_201
; %bb.202:
	s_or_b32 exec_lo, exec_lo, s5
	v_mov_b32_e32 v7, 0
	ds_read_b128 v[7:10], v7 offset:752
	s_waitcnt lgkmcnt(0)
	v_mul_f64 v[11:12], v[1:2], v[9:10]
	v_mul_f64 v[9:10], v[3:4], v[9:10]
	v_fma_f64 v[3:4], v[3:4], v[7:8], -v[11:12]
	v_fma_f64 v[1:2], v[1:2], v[7:8], v[9:10]
	buffer_store_dword v4, off, s[0:3], 0 offset:772
	buffer_store_dword v3, off, s[0:3], 0 offset:768
	buffer_store_dword v2, off, s[0:3], 0 offset:780
	buffer_store_dword v1, off, s[0:3], 0 offset:776
.LBB55_203:
	s_or_b32 exec_lo, exec_lo, s4
	v_mov_b32_e32 v4, s17
	s_waitcnt_vscnt null, 0x0
	s_barrier
	buffer_gl0_inv
	s_mov_b32 s4, exec_lo
	s_clause 0x3
	buffer_load_dword v1, v4, s[0:3], 0 offen
	buffer_load_dword v2, v4, s[0:3], 0 offen offset:4
	buffer_load_dword v3, v4, s[0:3], 0 offen offset:8
	;; [unrolled: 1-line block ×3, first 2 shown]
	s_waitcnt vmcnt(0)
	ds_write_b128 v5, v[1:4]
	s_waitcnt lgkmcnt(0)
	s_barrier
	buffer_gl0_inv
	v_cmpx_gt_u32_e32 48, v0
	s_cbranch_execz .LBB55_207
; %bb.204:
	v_mov_b32_e32 v1, 0
	v_mov_b32_e32 v3, 0
	v_add_nc_u32_e32 v7, -1, v0
	v_add_nc_u32_e32 v8, 0x380, v225
	v_mov_b32_e32 v2, 0
	v_mov_b32_e32 v4, 0
	v_add_nc_u32_e32 v9, 16, v225
	s_mov_b32 s5, 0
	.p2align	6
.LBB55_205:                             ; =>This Inner Loop Header: Depth=1
	s_clause 0x3
	buffer_load_dword v14, v9, s[0:3], 0 offen offset:8
	buffer_load_dword v15, v9, s[0:3], 0 offen offset:12
	buffer_load_dword v16, v9, s[0:3], 0 offen
	buffer_load_dword v17, v9, s[0:3], 0 offen offset:4
	ds_read_b128 v[10:13], v8
	v_add_nc_u32_e32 v7, 1, v7
	v_add_nc_u32_e32 v8, 16, v8
	v_add_nc_u32_e32 v9, 16, v9
	v_cmp_lt_u32_e32 vcc_lo, 46, v7
	s_or_b32 s5, vcc_lo, s5
	s_waitcnt vmcnt(2) lgkmcnt(0)
	v_mul_f64 v[18:19], v[12:13], v[14:15]
	v_mul_f64 v[14:15], v[10:11], v[14:15]
	s_waitcnt vmcnt(0)
	v_fma_f64 v[10:11], v[10:11], v[16:17], -v[18:19]
	v_fma_f64 v[12:13], v[12:13], v[16:17], v[14:15]
	v_add_f64 v[3:4], v[3:4], v[10:11]
	v_add_f64 v[1:2], v[1:2], v[12:13]
	s_andn2_b32 exec_lo, exec_lo, s5
	s_cbranch_execnz .LBB55_205
; %bb.206:
	s_or_b32 exec_lo, exec_lo, s5
	v_mov_b32_e32 v7, 0
	ds_read_b128 v[7:10], v7 offset:768
	s_waitcnt lgkmcnt(0)
	v_mul_f64 v[11:12], v[1:2], v[9:10]
	v_mul_f64 v[9:10], v[3:4], v[9:10]
	v_fma_f64 v[3:4], v[3:4], v[7:8], -v[11:12]
	v_fma_f64 v[1:2], v[1:2], v[7:8], v[9:10]
	buffer_store_dword v4, off, s[0:3], 0 offset:788
	buffer_store_dword v3, off, s[0:3], 0 offset:784
	;; [unrolled: 1-line block ×4, first 2 shown]
.LBB55_207:
	s_or_b32 exec_lo, exec_lo, s4
	v_mov_b32_e32 v4, s16
	s_waitcnt_vscnt null, 0x0
	s_barrier
	buffer_gl0_inv
	s_mov_b32 s4, exec_lo
	s_clause 0x3
	buffer_load_dword v1, v4, s[0:3], 0 offen
	buffer_load_dword v2, v4, s[0:3], 0 offen offset:4
	buffer_load_dword v3, v4, s[0:3], 0 offen offset:8
	;; [unrolled: 1-line block ×3, first 2 shown]
	s_waitcnt vmcnt(0)
	ds_write_b128 v5, v[1:4]
	s_waitcnt lgkmcnt(0)
	s_barrier
	buffer_gl0_inv
	v_cmpx_gt_u32_e32 49, v0
	s_cbranch_execz .LBB55_211
; %bb.208:
	v_mov_b32_e32 v1, 0
	v_mov_b32_e32 v3, 0
	v_add_nc_u32_e32 v7, -1, v0
	v_add_nc_u32_e32 v8, 0x380, v225
	v_mov_b32_e32 v2, 0
	v_mov_b32_e32 v4, 0
	v_add_nc_u32_e32 v9, 16, v225
	s_mov_b32 s5, 0
	.p2align	6
.LBB55_209:                             ; =>This Inner Loop Header: Depth=1
	s_clause 0x3
	buffer_load_dword v14, v9, s[0:3], 0 offen offset:8
	buffer_load_dword v15, v9, s[0:3], 0 offen offset:12
	buffer_load_dword v16, v9, s[0:3], 0 offen
	buffer_load_dword v17, v9, s[0:3], 0 offen offset:4
	ds_read_b128 v[10:13], v8
	v_add_nc_u32_e32 v7, 1, v7
	v_add_nc_u32_e32 v8, 16, v8
	v_add_nc_u32_e32 v9, 16, v9
	v_cmp_lt_u32_e32 vcc_lo, 47, v7
	s_or_b32 s5, vcc_lo, s5
	s_waitcnt vmcnt(2) lgkmcnt(0)
	v_mul_f64 v[18:19], v[12:13], v[14:15]
	v_mul_f64 v[14:15], v[10:11], v[14:15]
	s_waitcnt vmcnt(0)
	v_fma_f64 v[10:11], v[10:11], v[16:17], -v[18:19]
	v_fma_f64 v[12:13], v[12:13], v[16:17], v[14:15]
	v_add_f64 v[3:4], v[3:4], v[10:11]
	v_add_f64 v[1:2], v[1:2], v[12:13]
	s_andn2_b32 exec_lo, exec_lo, s5
	s_cbranch_execnz .LBB55_209
; %bb.210:
	s_or_b32 exec_lo, exec_lo, s5
	v_mov_b32_e32 v7, 0
	ds_read_b128 v[7:10], v7 offset:784
	s_waitcnt lgkmcnt(0)
	v_mul_f64 v[11:12], v[1:2], v[9:10]
	v_mul_f64 v[9:10], v[3:4], v[9:10]
	v_fma_f64 v[3:4], v[3:4], v[7:8], -v[11:12]
	v_fma_f64 v[1:2], v[1:2], v[7:8], v[9:10]
	buffer_store_dword v4, off, s[0:3], 0 offset:804
	buffer_store_dword v3, off, s[0:3], 0 offset:800
	;; [unrolled: 1-line block ×4, first 2 shown]
.LBB55_211:
	s_or_b32 exec_lo, exec_lo, s4
	v_mov_b32_e32 v4, s15
	s_waitcnt_vscnt null, 0x0
	s_barrier
	buffer_gl0_inv
	s_mov_b32 s4, exec_lo
	s_clause 0x3
	buffer_load_dword v1, v4, s[0:3], 0 offen
	buffer_load_dword v2, v4, s[0:3], 0 offen offset:4
	buffer_load_dword v3, v4, s[0:3], 0 offen offset:8
	;; [unrolled: 1-line block ×3, first 2 shown]
	s_waitcnt vmcnt(0)
	ds_write_b128 v5, v[1:4]
	s_waitcnt lgkmcnt(0)
	s_barrier
	buffer_gl0_inv
	v_cmpx_gt_u32_e32 50, v0
	s_cbranch_execz .LBB55_215
; %bb.212:
	v_mov_b32_e32 v1, 0
	v_mov_b32_e32 v3, 0
	v_add_nc_u32_e32 v7, -1, v0
	v_add_nc_u32_e32 v8, 0x380, v225
	v_mov_b32_e32 v2, 0
	v_mov_b32_e32 v4, 0
	v_add_nc_u32_e32 v9, 16, v225
	s_mov_b32 s5, 0
	.p2align	6
.LBB55_213:                             ; =>This Inner Loop Header: Depth=1
	s_clause 0x3
	buffer_load_dword v14, v9, s[0:3], 0 offen offset:8
	buffer_load_dword v15, v9, s[0:3], 0 offen offset:12
	buffer_load_dword v16, v9, s[0:3], 0 offen
	buffer_load_dword v17, v9, s[0:3], 0 offen offset:4
	ds_read_b128 v[10:13], v8
	v_add_nc_u32_e32 v7, 1, v7
	v_add_nc_u32_e32 v8, 16, v8
	;; [unrolled: 1-line block ×3, first 2 shown]
	v_cmp_lt_u32_e32 vcc_lo, 48, v7
	s_or_b32 s5, vcc_lo, s5
	s_waitcnt vmcnt(2) lgkmcnt(0)
	v_mul_f64 v[18:19], v[12:13], v[14:15]
	v_mul_f64 v[14:15], v[10:11], v[14:15]
	s_waitcnt vmcnt(0)
	v_fma_f64 v[10:11], v[10:11], v[16:17], -v[18:19]
	v_fma_f64 v[12:13], v[12:13], v[16:17], v[14:15]
	v_add_f64 v[3:4], v[3:4], v[10:11]
	v_add_f64 v[1:2], v[1:2], v[12:13]
	s_andn2_b32 exec_lo, exec_lo, s5
	s_cbranch_execnz .LBB55_213
; %bb.214:
	s_or_b32 exec_lo, exec_lo, s5
	v_mov_b32_e32 v7, 0
	ds_read_b128 v[7:10], v7 offset:800
	s_waitcnt lgkmcnt(0)
	v_mul_f64 v[11:12], v[1:2], v[9:10]
	v_mul_f64 v[9:10], v[3:4], v[9:10]
	v_fma_f64 v[3:4], v[3:4], v[7:8], -v[11:12]
	v_fma_f64 v[1:2], v[1:2], v[7:8], v[9:10]
	buffer_store_dword v4, off, s[0:3], 0 offset:820
	buffer_store_dword v3, off, s[0:3], 0 offset:816
	;; [unrolled: 1-line block ×4, first 2 shown]
.LBB55_215:
	s_or_b32 exec_lo, exec_lo, s4
	v_mov_b32_e32 v4, s14
	s_waitcnt_vscnt null, 0x0
	s_barrier
	buffer_gl0_inv
	s_mov_b32 s4, exec_lo
	s_clause 0x3
	buffer_load_dword v1, v4, s[0:3], 0 offen
	buffer_load_dword v2, v4, s[0:3], 0 offen offset:4
	buffer_load_dword v3, v4, s[0:3], 0 offen offset:8
	;; [unrolled: 1-line block ×3, first 2 shown]
	s_waitcnt vmcnt(0)
	ds_write_b128 v5, v[1:4]
	s_waitcnt lgkmcnt(0)
	s_barrier
	buffer_gl0_inv
	v_cmpx_gt_u32_e32 51, v0
	s_cbranch_execz .LBB55_219
; %bb.216:
	v_mov_b32_e32 v1, 0
	v_mov_b32_e32 v3, 0
	v_add_nc_u32_e32 v7, -1, v0
	v_add_nc_u32_e32 v8, 0x380, v225
	v_mov_b32_e32 v2, 0
	v_mov_b32_e32 v4, 0
	v_add_nc_u32_e32 v9, 16, v225
	s_mov_b32 s5, 0
	.p2align	6
.LBB55_217:                             ; =>This Inner Loop Header: Depth=1
	s_clause 0x3
	buffer_load_dword v14, v9, s[0:3], 0 offen offset:8
	buffer_load_dword v15, v9, s[0:3], 0 offen offset:12
	buffer_load_dword v16, v9, s[0:3], 0 offen
	buffer_load_dword v17, v9, s[0:3], 0 offen offset:4
	ds_read_b128 v[10:13], v8
	v_add_nc_u32_e32 v7, 1, v7
	v_add_nc_u32_e32 v8, 16, v8
	;; [unrolled: 1-line block ×3, first 2 shown]
	v_cmp_lt_u32_e32 vcc_lo, 49, v7
	s_or_b32 s5, vcc_lo, s5
	s_waitcnt vmcnt(2) lgkmcnt(0)
	v_mul_f64 v[18:19], v[12:13], v[14:15]
	v_mul_f64 v[14:15], v[10:11], v[14:15]
	s_waitcnt vmcnt(0)
	v_fma_f64 v[10:11], v[10:11], v[16:17], -v[18:19]
	v_fma_f64 v[12:13], v[12:13], v[16:17], v[14:15]
	v_add_f64 v[3:4], v[3:4], v[10:11]
	v_add_f64 v[1:2], v[1:2], v[12:13]
	s_andn2_b32 exec_lo, exec_lo, s5
	s_cbranch_execnz .LBB55_217
; %bb.218:
	s_or_b32 exec_lo, exec_lo, s5
	v_mov_b32_e32 v7, 0
	ds_read_b128 v[7:10], v7 offset:816
	s_waitcnt lgkmcnt(0)
	v_mul_f64 v[11:12], v[1:2], v[9:10]
	v_mul_f64 v[9:10], v[3:4], v[9:10]
	v_fma_f64 v[3:4], v[3:4], v[7:8], -v[11:12]
	v_fma_f64 v[1:2], v[1:2], v[7:8], v[9:10]
	buffer_store_dword v4, off, s[0:3], 0 offset:836
	buffer_store_dword v3, off, s[0:3], 0 offset:832
	buffer_store_dword v2, off, s[0:3], 0 offset:844
	buffer_store_dword v1, off, s[0:3], 0 offset:840
.LBB55_219:
	s_or_b32 exec_lo, exec_lo, s4
	v_mov_b32_e32 v4, s13
	s_waitcnt_vscnt null, 0x0
	s_barrier
	buffer_gl0_inv
	s_mov_b32 s4, exec_lo
	s_clause 0x3
	buffer_load_dword v1, v4, s[0:3], 0 offen
	buffer_load_dword v2, v4, s[0:3], 0 offen offset:4
	buffer_load_dword v3, v4, s[0:3], 0 offen offset:8
	;; [unrolled: 1-line block ×3, first 2 shown]
	s_waitcnt vmcnt(0)
	ds_write_b128 v5, v[1:4]
	s_waitcnt lgkmcnt(0)
	s_barrier
	buffer_gl0_inv
	v_cmpx_gt_u32_e32 52, v0
	s_cbranch_execz .LBB55_223
; %bb.220:
	v_mov_b32_e32 v1, 0
	v_mov_b32_e32 v3, 0
	v_add_nc_u32_e32 v7, -1, v0
	v_add_nc_u32_e32 v8, 0x380, v225
	v_mov_b32_e32 v2, 0
	v_mov_b32_e32 v4, 0
	v_add_nc_u32_e32 v9, 16, v225
	s_mov_b32 s5, 0
	.p2align	6
.LBB55_221:                             ; =>This Inner Loop Header: Depth=1
	s_clause 0x3
	buffer_load_dword v14, v9, s[0:3], 0 offen offset:8
	buffer_load_dword v15, v9, s[0:3], 0 offen offset:12
	buffer_load_dword v16, v9, s[0:3], 0 offen
	buffer_load_dword v17, v9, s[0:3], 0 offen offset:4
	ds_read_b128 v[10:13], v8
	v_add_nc_u32_e32 v7, 1, v7
	v_add_nc_u32_e32 v8, 16, v8
	;; [unrolled: 1-line block ×3, first 2 shown]
	v_cmp_lt_u32_e32 vcc_lo, 50, v7
	s_or_b32 s5, vcc_lo, s5
	s_waitcnt vmcnt(2) lgkmcnt(0)
	v_mul_f64 v[18:19], v[12:13], v[14:15]
	v_mul_f64 v[14:15], v[10:11], v[14:15]
	s_waitcnt vmcnt(0)
	v_fma_f64 v[10:11], v[10:11], v[16:17], -v[18:19]
	v_fma_f64 v[12:13], v[12:13], v[16:17], v[14:15]
	v_add_f64 v[3:4], v[3:4], v[10:11]
	v_add_f64 v[1:2], v[1:2], v[12:13]
	s_andn2_b32 exec_lo, exec_lo, s5
	s_cbranch_execnz .LBB55_221
; %bb.222:
	s_or_b32 exec_lo, exec_lo, s5
	v_mov_b32_e32 v7, 0
	ds_read_b128 v[7:10], v7 offset:832
	s_waitcnt lgkmcnt(0)
	v_mul_f64 v[11:12], v[1:2], v[9:10]
	v_mul_f64 v[9:10], v[3:4], v[9:10]
	v_fma_f64 v[3:4], v[3:4], v[7:8], -v[11:12]
	v_fma_f64 v[1:2], v[1:2], v[7:8], v[9:10]
	buffer_store_dword v4, off, s[0:3], 0 offset:852
	buffer_store_dword v3, off, s[0:3], 0 offset:848
	buffer_store_dword v2, off, s[0:3], 0 offset:860
	buffer_store_dword v1, off, s[0:3], 0 offset:856
.LBB55_223:
	s_or_b32 exec_lo, exec_lo, s4
	v_mov_b32_e32 v4, s12
	s_waitcnt_vscnt null, 0x0
	s_barrier
	buffer_gl0_inv
	s_mov_b32 s4, exec_lo
	s_clause 0x3
	buffer_load_dword v1, v4, s[0:3], 0 offen
	buffer_load_dword v2, v4, s[0:3], 0 offen offset:4
	buffer_load_dword v3, v4, s[0:3], 0 offen offset:8
	;; [unrolled: 1-line block ×3, first 2 shown]
	s_waitcnt vmcnt(0)
	ds_write_b128 v5, v[1:4]
	s_waitcnt lgkmcnt(0)
	s_barrier
	buffer_gl0_inv
	v_cmpx_gt_u32_e32 53, v0
	s_cbranch_execz .LBB55_227
; %bb.224:
	v_mov_b32_e32 v1, 0
	v_mov_b32_e32 v3, 0
	v_add_nc_u32_e32 v7, -1, v0
	v_add_nc_u32_e32 v8, 0x380, v225
	v_mov_b32_e32 v2, 0
	v_mov_b32_e32 v4, 0
	v_add_nc_u32_e32 v9, 16, v225
	s_mov_b32 s5, 0
	.p2align	6
.LBB55_225:                             ; =>This Inner Loop Header: Depth=1
	s_clause 0x3
	buffer_load_dword v14, v9, s[0:3], 0 offen offset:8
	buffer_load_dword v15, v9, s[0:3], 0 offen offset:12
	buffer_load_dword v16, v9, s[0:3], 0 offen
	buffer_load_dword v17, v9, s[0:3], 0 offen offset:4
	ds_read_b128 v[10:13], v8
	v_add_nc_u32_e32 v7, 1, v7
	v_add_nc_u32_e32 v8, 16, v8
	;; [unrolled: 1-line block ×3, first 2 shown]
	v_cmp_lt_u32_e32 vcc_lo, 51, v7
	s_or_b32 s5, vcc_lo, s5
	s_waitcnt vmcnt(2) lgkmcnt(0)
	v_mul_f64 v[18:19], v[12:13], v[14:15]
	v_mul_f64 v[14:15], v[10:11], v[14:15]
	s_waitcnt vmcnt(0)
	v_fma_f64 v[10:11], v[10:11], v[16:17], -v[18:19]
	v_fma_f64 v[12:13], v[12:13], v[16:17], v[14:15]
	v_add_f64 v[3:4], v[3:4], v[10:11]
	v_add_f64 v[1:2], v[1:2], v[12:13]
	s_andn2_b32 exec_lo, exec_lo, s5
	s_cbranch_execnz .LBB55_225
; %bb.226:
	s_or_b32 exec_lo, exec_lo, s5
	v_mov_b32_e32 v7, 0
	ds_read_b128 v[7:10], v7 offset:848
	s_waitcnt lgkmcnt(0)
	v_mul_f64 v[11:12], v[1:2], v[9:10]
	v_mul_f64 v[9:10], v[3:4], v[9:10]
	v_fma_f64 v[3:4], v[3:4], v[7:8], -v[11:12]
	v_fma_f64 v[1:2], v[1:2], v[7:8], v[9:10]
	buffer_store_dword v4, off, s[0:3], 0 offset:868
	buffer_store_dword v3, off, s[0:3], 0 offset:864
	;; [unrolled: 1-line block ×4, first 2 shown]
.LBB55_227:
	s_or_b32 exec_lo, exec_lo, s4
	v_mov_b32_e32 v4, s9
	s_waitcnt_vscnt null, 0x0
	s_barrier
	buffer_gl0_inv
	s_mov_b32 s4, exec_lo
	s_clause 0x3
	buffer_load_dword v1, v4, s[0:3], 0 offen
	buffer_load_dword v2, v4, s[0:3], 0 offen offset:4
	buffer_load_dword v3, v4, s[0:3], 0 offen offset:8
	buffer_load_dword v4, v4, s[0:3], 0 offen offset:12
	s_waitcnt vmcnt(0)
	ds_write_b128 v5, v[1:4]
	s_waitcnt lgkmcnt(0)
	s_barrier
	buffer_gl0_inv
	v_cmpx_gt_u32_e32 54, v0
	s_cbranch_execz .LBB55_231
; %bb.228:
	v_mov_b32_e32 v1, 0
	v_mov_b32_e32 v3, 0
	v_add_nc_u32_e32 v7, -1, v0
	v_add_nc_u32_e32 v8, 0x380, v225
	v_mov_b32_e32 v2, 0
	v_mov_b32_e32 v4, 0
	v_add_nc_u32_e32 v9, 16, v225
	s_mov_b32 s5, 0
	.p2align	6
.LBB55_229:                             ; =>This Inner Loop Header: Depth=1
	s_clause 0x3
	buffer_load_dword v14, v9, s[0:3], 0 offen offset:8
	buffer_load_dword v15, v9, s[0:3], 0 offen offset:12
	buffer_load_dword v16, v9, s[0:3], 0 offen
	buffer_load_dword v17, v9, s[0:3], 0 offen offset:4
	ds_read_b128 v[10:13], v8
	v_add_nc_u32_e32 v7, 1, v7
	v_add_nc_u32_e32 v8, 16, v8
	v_add_nc_u32_e32 v9, 16, v9
	v_cmp_lt_u32_e32 vcc_lo, 52, v7
	s_or_b32 s5, vcc_lo, s5
	s_waitcnt vmcnt(2) lgkmcnt(0)
	v_mul_f64 v[18:19], v[12:13], v[14:15]
	v_mul_f64 v[14:15], v[10:11], v[14:15]
	s_waitcnt vmcnt(0)
	v_fma_f64 v[10:11], v[10:11], v[16:17], -v[18:19]
	v_fma_f64 v[12:13], v[12:13], v[16:17], v[14:15]
	v_add_f64 v[3:4], v[3:4], v[10:11]
	v_add_f64 v[1:2], v[1:2], v[12:13]
	s_andn2_b32 exec_lo, exec_lo, s5
	s_cbranch_execnz .LBB55_229
; %bb.230:
	s_or_b32 exec_lo, exec_lo, s5
	v_mov_b32_e32 v7, 0
	ds_read_b128 v[7:10], v7 offset:864
	s_waitcnt lgkmcnt(0)
	v_mul_f64 v[11:12], v[1:2], v[9:10]
	v_mul_f64 v[9:10], v[3:4], v[9:10]
	v_fma_f64 v[3:4], v[3:4], v[7:8], -v[11:12]
	v_fma_f64 v[1:2], v[1:2], v[7:8], v[9:10]
	buffer_store_dword v4, off, s[0:3], 0 offset:884
	buffer_store_dword v3, off, s[0:3], 0 offset:880
	;; [unrolled: 1-line block ×4, first 2 shown]
.LBB55_231:
	s_or_b32 exec_lo, exec_lo, s4
	v_mov_b32_e32 v4, s8
	s_waitcnt_vscnt null, 0x0
	s_barrier
	buffer_gl0_inv
	s_mov_b32 s4, exec_lo
	s_clause 0x3
	buffer_load_dword v1, v4, s[0:3], 0 offen
	buffer_load_dword v2, v4, s[0:3], 0 offen offset:4
	buffer_load_dword v3, v4, s[0:3], 0 offen offset:8
	;; [unrolled: 1-line block ×3, first 2 shown]
	s_waitcnt vmcnt(0)
	ds_write_b128 v5, v[1:4]
	s_waitcnt lgkmcnt(0)
	s_barrier
	buffer_gl0_inv
	v_cmpx_ne_u32_e32 55, v0
	s_cbranch_execz .LBB55_235
; %bb.232:
	v_mov_b32_e32 v1, 0
	v_mov_b32_e32 v3, 0
	;; [unrolled: 1-line block ×4, first 2 shown]
	v_add_nc_u32_e32 v7, 16, v225
	s_mov_b32 s5, 0
	.p2align	6
.LBB55_233:                             ; =>This Inner Loop Header: Depth=1
	s_clause 0x3
	buffer_load_dword v12, v7, s[0:3], 0 offen offset:8
	buffer_load_dword v13, v7, s[0:3], 0 offen offset:12
	buffer_load_dword v14, v7, s[0:3], 0 offen
	buffer_load_dword v15, v7, s[0:3], 0 offen offset:4
	ds_read_b128 v[8:11], v5
	v_add_nc_u32_e32 v6, 1, v6
	v_add_nc_u32_e32 v5, 16, v5
	;; [unrolled: 1-line block ×3, first 2 shown]
	v_cmp_lt_u32_e32 vcc_lo, 53, v6
	s_or_b32 s5, vcc_lo, s5
	s_waitcnt vmcnt(2) lgkmcnt(0)
	v_mul_f64 v[16:17], v[10:11], v[12:13]
	v_mul_f64 v[12:13], v[8:9], v[12:13]
	s_waitcnt vmcnt(0)
	v_fma_f64 v[8:9], v[8:9], v[14:15], -v[16:17]
	v_fma_f64 v[10:11], v[10:11], v[14:15], v[12:13]
	v_add_f64 v[3:4], v[3:4], v[8:9]
	v_add_f64 v[1:2], v[1:2], v[10:11]
	s_andn2_b32 exec_lo, exec_lo, s5
	s_cbranch_execnz .LBB55_233
; %bb.234:
	s_or_b32 exec_lo, exec_lo, s5
	v_mov_b32_e32 v5, 0
	ds_read_b128 v[5:8], v5 offset:880
	s_waitcnt lgkmcnt(0)
	v_mul_f64 v[9:10], v[1:2], v[7:8]
	v_mul_f64 v[7:8], v[3:4], v[7:8]
	v_fma_f64 v[3:4], v[3:4], v[5:6], -v[9:10]
	v_fma_f64 v[1:2], v[1:2], v[5:6], v[7:8]
	buffer_store_dword v4, off, s[0:3], 0 offset:900
	buffer_store_dword v3, off, s[0:3], 0 offset:896
	;; [unrolled: 1-line block ×4, first 2 shown]
.LBB55_235:
	s_or_b32 exec_lo, exec_lo, s4
	s_mov_b32 s5, -1
	s_waitcnt_vscnt null, 0x0
	s_barrier
	buffer_gl0_inv
.LBB55_236:
	s_and_b32 vcc_lo, exec_lo, s5
	s_cbranch_vccz .LBB55_238
; %bb.237:
	s_lshl_b64 s[4:5], s[6:7], 2
	v_mov_b32_e32 v1, 0
	s_add_u32 s4, s10, s4
	s_addc_u32 s5, s11, s5
	global_load_dword v1, v1, s[4:5]
	s_waitcnt vmcnt(0)
	v_cmp_ne_u32_e32 vcc_lo, 0, v1
	s_cbranch_vccz .LBB55_239
.LBB55_238:
	s_endpgm
.LBB55_239:
	v_lshl_add_u32 v97, v0, 4, 0x380
	s_mov_b32 s4, exec_lo
	v_cmpx_eq_u32_e32 55, v0
	s_cbranch_execz .LBB55_241
; %bb.240:
	v_mov_b32_e32 v4, s9
	v_mov_b32_e32 v5, 0
	s_clause 0x3
	buffer_load_dword v1, v4, s[0:3], 0 offen
	buffer_load_dword v2, v4, s[0:3], 0 offen offset:4
	buffer_load_dword v3, v4, s[0:3], 0 offen offset:8
	;; [unrolled: 1-line block ×3, first 2 shown]
	buffer_store_dword v5, off, s[0:3], 0 offset:880
	buffer_store_dword v5, off, s[0:3], 0 offset:884
	;; [unrolled: 1-line block ×4, first 2 shown]
	s_waitcnt vmcnt(0)
	ds_write_b128 v97, v[1:4]
.LBB55_241:
	s_or_b32 exec_lo, exec_lo, s4
	s_waitcnt lgkmcnt(0)
	s_waitcnt_vscnt null, 0x0
	s_barrier
	buffer_gl0_inv
	s_clause 0x7
	buffer_load_dword v6, off, s[0:3], 0 offset:904
	buffer_load_dword v7, off, s[0:3], 0 offset:908
	;; [unrolled: 1-line block ×8, first 2 shown]
	v_mov_b32_e32 v1, 0
	s_mov_b32 s4, exec_lo
	ds_read_b128 v[2:5], v1 offset:1776
	s_waitcnt vmcnt(6) lgkmcnt(0)
	v_mul_f64 v[14:15], v[4:5], v[6:7]
	v_mul_f64 v[6:7], v[2:3], v[6:7]
	s_waitcnt vmcnt(4)
	v_fma_f64 v[2:3], v[2:3], v[8:9], -v[14:15]
	v_fma_f64 v[4:5], v[4:5], v[8:9], v[6:7]
	v_add_f64 v[2:3], v[2:3], 0
	v_add_f64 v[4:5], v[4:5], 0
	s_waitcnt vmcnt(2)
	v_add_f64 v[2:3], v[10:11], -v[2:3]
	s_waitcnt vmcnt(0)
	v_add_f64 v[4:5], v[12:13], -v[4:5]
	buffer_store_dword v2, off, s[0:3], 0 offset:880
	buffer_store_dword v3, off, s[0:3], 0 offset:884
	;; [unrolled: 1-line block ×4, first 2 shown]
	v_cmpx_lt_u32_e32 53, v0
	s_cbranch_execz .LBB55_243
; %bb.242:
	v_mov_b32_e32 v5, s12
	s_clause 0x3
	buffer_load_dword v2, v5, s[0:3], 0 offen
	buffer_load_dword v3, v5, s[0:3], 0 offen offset:4
	buffer_load_dword v4, v5, s[0:3], 0 offen offset:8
	;; [unrolled: 1-line block ×3, first 2 shown]
	buffer_store_dword v1, off, s[0:3], 0 offset:864
	buffer_store_dword v1, off, s[0:3], 0 offset:868
	;; [unrolled: 1-line block ×4, first 2 shown]
	s_waitcnt vmcnt(0)
	ds_write_b128 v97, v[2:5]
.LBB55_243:
	s_or_b32 exec_lo, exec_lo, s4
	s_waitcnt lgkmcnt(0)
	s_waitcnt_vscnt null, 0x0
	s_barrier
	buffer_gl0_inv
	s_clause 0xb
	buffer_load_dword v10, off, s[0:3], 0 offset:888
	buffer_load_dword v11, off, s[0:3], 0 offset:892
	;; [unrolled: 1-line block ×12, first 2 shown]
	ds_read_b128 v[2:5], v1 offset:1760
	ds_read_b128 v[6:9], v1 offset:1776
	s_mov_b32 s4, exec_lo
	s_waitcnt vmcnt(10) lgkmcnt(1)
	v_mul_f64 v[22:23], v[4:5], v[10:11]
	v_mul_f64 v[10:11], v[2:3], v[10:11]
	s_waitcnt vmcnt(8) lgkmcnt(0)
	v_mul_f64 v[24:25], v[8:9], v[12:13]
	v_mul_f64 v[12:13], v[6:7], v[12:13]
	s_waitcnt vmcnt(6)
	v_fma_f64 v[1:2], v[2:3], v[14:15], -v[22:23]
	v_fma_f64 v[3:4], v[4:5], v[14:15], v[10:11]
	s_waitcnt vmcnt(4)
	v_fma_f64 v[5:6], v[6:7], v[16:17], -v[24:25]
	v_fma_f64 v[7:8], v[8:9], v[16:17], v[12:13]
	v_add_f64 v[1:2], v[1:2], 0
	v_add_f64 v[3:4], v[3:4], 0
	;; [unrolled: 1-line block ×4, first 2 shown]
	s_waitcnt vmcnt(2)
	v_add_f64 v[1:2], v[18:19], -v[1:2]
	s_waitcnt vmcnt(0)
	v_add_f64 v[3:4], v[20:21], -v[3:4]
	buffer_store_dword v1, off, s[0:3], 0 offset:864
	buffer_store_dword v2, off, s[0:3], 0 offset:868
	;; [unrolled: 1-line block ×4, first 2 shown]
	v_cmpx_lt_u32_e32 52, v0
	s_cbranch_execz .LBB55_245
; %bb.244:
	v_mov_b32_e32 v4, s13
	v_mov_b32_e32 v5, 0
	s_clause 0x3
	buffer_load_dword v1, v4, s[0:3], 0 offen
	buffer_load_dword v2, v4, s[0:3], 0 offen offset:4
	buffer_load_dword v3, v4, s[0:3], 0 offen offset:8
	;; [unrolled: 1-line block ×3, first 2 shown]
	buffer_store_dword v5, off, s[0:3], 0 offset:848
	buffer_store_dword v5, off, s[0:3], 0 offset:852
	;; [unrolled: 1-line block ×4, first 2 shown]
	s_waitcnt vmcnt(0)
	ds_write_b128 v97, v[1:4]
.LBB55_245:
	s_or_b32 exec_lo, exec_lo, s4
	s_waitcnt lgkmcnt(0)
	s_waitcnt_vscnt null, 0x0
	s_barrier
	buffer_gl0_inv
	s_clause 0xf
	buffer_load_dword v10, off, s[0:3], 0 offset:872
	buffer_load_dword v11, off, s[0:3], 0 offset:876
	;; [unrolled: 1-line block ×16, first 2 shown]
	v_mov_b32_e32 v1, 0
	ds_read_b128 v[2:5], v1 offset:1744
	ds_read_b128 v[6:9], v1 offset:1760
	s_mov_b32 s4, exec_lo
	s_waitcnt vmcnt(14) lgkmcnt(1)
	v_mul_f64 v[28:29], v[4:5], v[10:11]
	v_mul_f64 v[30:31], v[2:3], v[10:11]
	s_waitcnt vmcnt(12) lgkmcnt(0)
	v_mul_f64 v[32:33], v[8:9], v[14:15]
	ds_read_b128 v[10:13], v1 offset:1776
	v_mul_f64 v[14:15], v[6:7], v[14:15]
	s_waitcnt vmcnt(10)
	v_fma_f64 v[2:3], v[2:3], v[16:17], -v[28:29]
	v_fma_f64 v[4:5], v[4:5], v[16:17], v[30:31]
	s_waitcnt vmcnt(8) lgkmcnt(0)
	v_mul_f64 v[16:17], v[10:11], v[18:19]
	v_mul_f64 v[18:19], v[12:13], v[18:19]
	s_waitcnt vmcnt(6)
	v_fma_f64 v[6:7], v[6:7], v[20:21], -v[32:33]
	v_fma_f64 v[8:9], v[8:9], v[20:21], v[14:15]
	v_add_f64 v[2:3], v[2:3], 0
	v_add_f64 v[4:5], v[4:5], 0
	s_waitcnt vmcnt(4)
	v_fma_f64 v[10:11], v[10:11], v[22:23], -v[18:19]
	v_add_f64 v[2:3], v[2:3], v[6:7]
	v_fma_f64 v[6:7], v[12:13], v[22:23], v[16:17]
	v_add_f64 v[4:5], v[4:5], v[8:9]
	v_add_f64 v[2:3], v[2:3], v[10:11]
	v_add_f64 v[4:5], v[4:5], v[6:7]
	s_waitcnt vmcnt(2)
	v_add_f64 v[2:3], v[24:25], -v[2:3]
	s_waitcnt vmcnt(0)
	v_add_f64 v[4:5], v[26:27], -v[4:5]
	buffer_store_dword v2, off, s[0:3], 0 offset:848
	buffer_store_dword v3, off, s[0:3], 0 offset:852
	;; [unrolled: 1-line block ×4, first 2 shown]
	v_cmpx_lt_u32_e32 51, v0
	s_cbranch_execz .LBB55_247
; %bb.246:
	v_mov_b32_e32 v5, s14
	s_clause 0x3
	buffer_load_dword v2, v5, s[0:3], 0 offen
	buffer_load_dword v3, v5, s[0:3], 0 offen offset:4
	buffer_load_dword v4, v5, s[0:3], 0 offen offset:8
	;; [unrolled: 1-line block ×3, first 2 shown]
	buffer_store_dword v1, off, s[0:3], 0 offset:832
	buffer_store_dword v1, off, s[0:3], 0 offset:836
	;; [unrolled: 1-line block ×4, first 2 shown]
	s_waitcnt vmcnt(0)
	ds_write_b128 v97, v[2:5]
.LBB55_247:
	s_or_b32 exec_lo, exec_lo, s4
	s_waitcnt lgkmcnt(0)
	s_waitcnt_vscnt null, 0x0
	s_barrier
	buffer_gl0_inv
	s_clause 0x13
	buffer_load_dword v10, off, s[0:3], 0 offset:856
	buffer_load_dword v11, off, s[0:3], 0 offset:860
	;; [unrolled: 1-line block ×20, first 2 shown]
	ds_read_b128 v[2:5], v1 offset:1728
	ds_read_b128 v[6:9], v1 offset:1744
	s_mov_b32 s4, exec_lo
	s_waitcnt vmcnt(18) lgkmcnt(1)
	v_mul_f64 v[32:33], v[4:5], v[10:11]
	v_mul_f64 v[34:35], v[2:3], v[10:11]
	s_waitcnt vmcnt(16) lgkmcnt(0)
	v_mul_f64 v[36:37], v[8:9], v[14:15]
	ds_read_b128 v[10:13], v1 offset:1760
	v_mul_f64 v[14:15], v[6:7], v[14:15]
	s_waitcnt vmcnt(14)
	v_fma_f64 v[32:33], v[2:3], v[16:17], -v[32:33]
	v_fma_f64 v[16:17], v[4:5], v[16:17], v[34:35]
	s_waitcnt vmcnt(12) lgkmcnt(0)
	v_mul_f64 v[34:35], v[10:11], v[18:19]
	v_mul_f64 v[18:19], v[12:13], v[18:19]
	s_waitcnt vmcnt(10)
	v_fma_f64 v[5:6], v[6:7], v[20:21], -v[36:37]
	ds_read_b128 v[1:4], v1 offset:1776
	v_fma_f64 v[7:8], v[8:9], v[20:21], v[14:15]
	v_add_f64 v[32:33], v[32:33], 0
	v_add_f64 v[14:15], v[16:17], 0
	s_waitcnt vmcnt(8) lgkmcnt(0)
	v_mul_f64 v[20:21], v[3:4], v[22:23]
	s_waitcnt vmcnt(6)
	v_fma_f64 v[9:10], v[10:11], v[24:25], -v[18:19]
	v_mul_f64 v[16:17], v[1:2], v[22:23]
	v_fma_f64 v[11:12], v[12:13], v[24:25], v[34:35]
	v_add_f64 v[5:6], v[32:33], v[5:6]
	v_add_f64 v[7:8], v[14:15], v[7:8]
	s_waitcnt vmcnt(4)
	v_fma_f64 v[1:2], v[1:2], v[26:27], -v[20:21]
	v_fma_f64 v[3:4], v[3:4], v[26:27], v[16:17]
	v_add_f64 v[5:6], v[5:6], v[9:10]
	v_add_f64 v[7:8], v[7:8], v[11:12]
	;; [unrolled: 1-line block ×4, first 2 shown]
	s_waitcnt vmcnt(2)
	v_add_f64 v[1:2], v[28:29], -v[1:2]
	s_waitcnt vmcnt(0)
	v_add_f64 v[3:4], v[30:31], -v[3:4]
	buffer_store_dword v1, off, s[0:3], 0 offset:832
	buffer_store_dword v2, off, s[0:3], 0 offset:836
	;; [unrolled: 1-line block ×4, first 2 shown]
	v_cmpx_lt_u32_e32 50, v0
	s_cbranch_execz .LBB55_249
; %bb.248:
	v_mov_b32_e32 v4, s15
	v_mov_b32_e32 v5, 0
	s_clause 0x3
	buffer_load_dword v1, v4, s[0:3], 0 offen
	buffer_load_dword v2, v4, s[0:3], 0 offen offset:4
	buffer_load_dword v3, v4, s[0:3], 0 offen offset:8
	buffer_load_dword v4, v4, s[0:3], 0 offen offset:12
	buffer_store_dword v5, off, s[0:3], 0 offset:816
	buffer_store_dword v5, off, s[0:3], 0 offset:820
	;; [unrolled: 1-line block ×4, first 2 shown]
	s_waitcnt vmcnt(0)
	ds_write_b128 v97, v[1:4]
.LBB55_249:
	s_or_b32 exec_lo, exec_lo, s4
	s_waitcnt lgkmcnt(0)
	s_waitcnt_vscnt null, 0x0
	s_barrier
	buffer_gl0_inv
	s_clause 0x17
	buffer_load_dword v10, off, s[0:3], 0 offset:840
	buffer_load_dword v11, off, s[0:3], 0 offset:844
	;; [unrolled: 1-line block ×24, first 2 shown]
	v_mov_b32_e32 v1, 0
	ds_read_b128 v[2:5], v1 offset:1712
	ds_read_b128 v[6:9], v1 offset:1728
	s_mov_b32 s4, exec_lo
	s_waitcnt vmcnt(22) lgkmcnt(1)
	v_mul_f64 v[36:37], v[4:5], v[10:11]
	v_mul_f64 v[38:39], v[2:3], v[10:11]
	s_waitcnt vmcnt(20) lgkmcnt(0)
	v_mul_f64 v[40:41], v[8:9], v[14:15]
	ds_read_b128 v[10:13], v1 offset:1744
	v_mul_f64 v[14:15], v[6:7], v[14:15]
	s_waitcnt vmcnt(18)
	v_fma_f64 v[36:37], v[2:3], v[16:17], -v[36:37]
	v_fma_f64 v[16:17], v[4:5], v[16:17], v[38:39]
	ds_read_b128 v[2:5], v1 offset:1760
	s_waitcnt vmcnt(16) lgkmcnt(1)
	v_mul_f64 v[38:39], v[10:11], v[18:19]
	v_mul_f64 v[18:19], v[12:13], v[18:19]
	s_waitcnt vmcnt(14)
	v_fma_f64 v[40:41], v[6:7], v[20:21], -v[40:41]
	v_fma_f64 v[14:15], v[8:9], v[20:21], v[14:15]
	ds_read_b128 v[6:9], v1 offset:1776
	s_waitcnt vmcnt(10) lgkmcnt(1)
	v_mul_f64 v[20:21], v[2:3], v[22:23]
	v_add_f64 v[36:37], v[36:37], 0
	v_add_f64 v[16:17], v[16:17], 0
	v_mul_f64 v[22:23], v[4:5], v[22:23]
	s_waitcnt vmcnt(8)
	v_fma_f64 v[10:11], v[10:11], v[28:29], -v[18:19]
	v_fma_f64 v[12:13], v[12:13], v[28:29], v[38:39]
	s_waitcnt vmcnt(5)
	v_fma_f64 v[4:5], v[4:5], v[30:31], v[20:21]
	v_add_f64 v[18:19], v[36:37], v[40:41]
	v_add_f64 v[14:15], v[16:17], v[14:15]
	s_waitcnt lgkmcnt(0)
	v_mul_f64 v[16:17], v[6:7], v[24:25]
	v_mul_f64 v[24:25], v[8:9], v[24:25]
	v_fma_f64 v[2:3], v[2:3], v[30:31], -v[22:23]
	v_add_f64 v[10:11], v[18:19], v[10:11]
	v_add_f64 v[12:13], v[14:15], v[12:13]
	s_waitcnt vmcnt(4)
	v_fma_f64 v[8:9], v[8:9], v[26:27], v[16:17]
	v_fma_f64 v[6:7], v[6:7], v[26:27], -v[24:25]
	v_add_f64 v[2:3], v[10:11], v[2:3]
	v_add_f64 v[4:5], v[12:13], v[4:5]
	;; [unrolled: 1-line block ×4, first 2 shown]
	s_waitcnt vmcnt(2)
	v_add_f64 v[2:3], v[32:33], -v[2:3]
	s_waitcnt vmcnt(0)
	v_add_f64 v[4:5], v[34:35], -v[4:5]
	buffer_store_dword v3, off, s[0:3], 0 offset:820
	buffer_store_dword v2, off, s[0:3], 0 offset:816
	;; [unrolled: 1-line block ×4, first 2 shown]
	v_cmpx_lt_u32_e32 49, v0
	s_cbranch_execz .LBB55_251
; %bb.250:
	v_mov_b32_e32 v5, s16
	s_clause 0x3
	buffer_load_dword v2, v5, s[0:3], 0 offen
	buffer_load_dword v3, v5, s[0:3], 0 offen offset:4
	buffer_load_dword v4, v5, s[0:3], 0 offen offset:8
	;; [unrolled: 1-line block ×3, first 2 shown]
	buffer_store_dword v1, off, s[0:3], 0 offset:800
	buffer_store_dword v1, off, s[0:3], 0 offset:804
	;; [unrolled: 1-line block ×4, first 2 shown]
	s_waitcnt vmcnt(0)
	ds_write_b128 v97, v[2:5]
.LBB55_251:
	s_or_b32 exec_lo, exec_lo, s4
	s_waitcnt lgkmcnt(0)
	s_waitcnt_vscnt null, 0x0
	s_barrier
	buffer_gl0_inv
	s_clause 0x1b
	buffer_load_dword v10, off, s[0:3], 0 offset:824
	buffer_load_dword v11, off, s[0:3], 0 offset:828
	;; [unrolled: 1-line block ×28, first 2 shown]
	ds_read_b128 v[2:5], v1 offset:1696
	ds_read_b128 v[6:9], v1 offset:1712
	s_mov_b32 s4, exec_lo
	s_waitcnt vmcnt(26) lgkmcnt(1)
	v_mul_f64 v[40:41], v[4:5], v[10:11]
	v_mul_f64 v[42:43], v[2:3], v[10:11]
	s_waitcnt vmcnt(24) lgkmcnt(0)
	v_mul_f64 v[44:45], v[8:9], v[14:15]
	ds_read_b128 v[10:13], v1 offset:1728
	v_mul_f64 v[14:15], v[6:7], v[14:15]
	s_waitcnt vmcnt(22)
	v_fma_f64 v[40:41], v[2:3], v[16:17], -v[40:41]
	v_fma_f64 v[16:17], v[4:5], v[16:17], v[42:43]
	ds_read_b128 v[2:5], v1 offset:1744
	s_waitcnt vmcnt(20) lgkmcnt(1)
	v_mul_f64 v[42:43], v[10:11], v[18:19]
	v_mul_f64 v[18:19], v[12:13], v[18:19]
	s_waitcnt vmcnt(18)
	v_fma_f64 v[44:45], v[6:7], v[20:21], -v[44:45]
	v_fma_f64 v[14:15], v[8:9], v[20:21], v[14:15]
	ds_read_b128 v[6:9], v1 offset:1760
	s_waitcnt vmcnt(14) lgkmcnt(1)
	v_mul_f64 v[20:21], v[2:3], v[22:23]
	v_add_f64 v[40:41], v[40:41], 0
	v_add_f64 v[16:17], v[16:17], 0
	v_mul_f64 v[22:23], v[4:5], v[22:23]
	s_waitcnt vmcnt(12)
	v_fma_f64 v[18:19], v[10:11], v[28:29], -v[18:19]
	v_fma_f64 v[28:29], v[12:13], v[28:29], v[42:43]
	ds_read_b128 v[10:13], v1 offset:1776
	v_add_f64 v[40:41], v[40:41], v[44:45]
	v_add_f64 v[14:15], v[16:17], v[14:15]
	s_waitcnt vmcnt(11) lgkmcnt(1)
	v_mul_f64 v[16:17], v[6:7], v[24:25]
	v_mul_f64 v[24:25], v[8:9], v[24:25]
	s_waitcnt vmcnt(9)
	v_fma_f64 v[1:2], v[2:3], v[30:31], -v[22:23]
	v_fma_f64 v[3:4], v[4:5], v[30:31], v[20:21]
	s_waitcnt vmcnt(7) lgkmcnt(0)
	v_mul_f64 v[22:23], v[12:13], v[32:33]
	v_mul_f64 v[20:21], v[10:11], v[32:33]
	v_add_f64 v[18:19], v[40:41], v[18:19]
	v_add_f64 v[14:15], v[14:15], v[28:29]
	s_waitcnt vmcnt(6)
	v_fma_f64 v[5:6], v[6:7], v[26:27], -v[24:25]
	v_fma_f64 v[7:8], v[8:9], v[26:27], v[16:17]
	s_waitcnt vmcnt(4)
	v_fma_f64 v[9:10], v[10:11], v[34:35], -v[22:23]
	v_add_f64 v[1:2], v[18:19], v[1:2]
	v_add_f64 v[3:4], v[14:15], v[3:4]
	;; [unrolled: 1-line block ×3, first 2 shown]
	v_fma_f64 v[5:6], v[12:13], v[34:35], v[20:21]
	v_add_f64 v[3:4], v[3:4], v[7:8]
	v_add_f64 v[1:2], v[1:2], v[9:10]
	;; [unrolled: 1-line block ×3, first 2 shown]
	s_waitcnt vmcnt(2)
	v_add_f64 v[1:2], v[36:37], -v[1:2]
	s_waitcnt vmcnt(0)
	v_add_f64 v[3:4], v[38:39], -v[3:4]
	buffer_store_dword v2, off, s[0:3], 0 offset:804
	buffer_store_dword v1, off, s[0:3], 0 offset:800
	;; [unrolled: 1-line block ×4, first 2 shown]
	v_cmpx_lt_u32_e32 48, v0
	s_cbranch_execz .LBB55_253
; %bb.252:
	v_mov_b32_e32 v4, s17
	v_mov_b32_e32 v5, 0
	s_clause 0x3
	buffer_load_dword v1, v4, s[0:3], 0 offen
	buffer_load_dword v2, v4, s[0:3], 0 offen offset:4
	buffer_load_dword v3, v4, s[0:3], 0 offen offset:8
	;; [unrolled: 1-line block ×3, first 2 shown]
	buffer_store_dword v5, off, s[0:3], 0 offset:784
	buffer_store_dword v5, off, s[0:3], 0 offset:788
	;; [unrolled: 1-line block ×4, first 2 shown]
	s_waitcnt vmcnt(0)
	ds_write_b128 v97, v[1:4]
.LBB55_253:
	s_or_b32 exec_lo, exec_lo, s4
	s_waitcnt lgkmcnt(0)
	s_waitcnt_vscnt null, 0x0
	s_barrier
	buffer_gl0_inv
	s_clause 0x1f
	buffer_load_dword v10, off, s[0:3], 0 offset:808
	buffer_load_dword v11, off, s[0:3], 0 offset:812
	;; [unrolled: 1-line block ×32, first 2 shown]
	v_mov_b32_e32 v1, 0
	ds_read_b128 v[2:5], v1 offset:1680
	ds_read_b128 v[6:9], v1 offset:1696
	s_mov_b32 s4, exec_lo
	s_waitcnt vmcnt(30) lgkmcnt(1)
	v_mul_f64 v[44:45], v[4:5], v[10:11]
	v_mul_f64 v[46:47], v[2:3], v[10:11]
	s_waitcnt vmcnt(28) lgkmcnt(0)
	v_mul_f64 v[48:49], v[8:9], v[14:15]
	ds_read_b128 v[10:13], v1 offset:1712
	v_mul_f64 v[14:15], v[6:7], v[14:15]
	s_waitcnt vmcnt(26)
	v_fma_f64 v[44:45], v[2:3], v[16:17], -v[44:45]
	v_fma_f64 v[16:17], v[4:5], v[16:17], v[46:47]
	ds_read_b128 v[2:5], v1 offset:1728
	s_waitcnt vmcnt(24) lgkmcnt(1)
	v_mul_f64 v[46:47], v[10:11], v[18:19]
	v_mul_f64 v[18:19], v[12:13], v[18:19]
	s_waitcnt vmcnt(22)
	v_fma_f64 v[48:49], v[6:7], v[20:21], -v[48:49]
	v_fma_f64 v[14:15], v[8:9], v[20:21], v[14:15]
	ds_read_b128 v[6:9], v1 offset:1744
	s_waitcnt vmcnt(18) lgkmcnt(1)
	v_mul_f64 v[20:21], v[2:3], v[22:23]
	v_add_f64 v[44:45], v[44:45], 0
	v_add_f64 v[16:17], v[16:17], 0
	v_mul_f64 v[22:23], v[4:5], v[22:23]
	s_waitcnt vmcnt(16)
	v_fma_f64 v[18:19], v[10:11], v[28:29], -v[18:19]
	v_fma_f64 v[28:29], v[12:13], v[28:29], v[46:47]
	ds_read_b128 v[10:13], v1 offset:1760
	s_waitcnt vmcnt(13)
	v_fma_f64 v[20:21], v[4:5], v[30:31], v[20:21]
	v_add_f64 v[44:45], v[44:45], v[48:49]
	v_add_f64 v[14:15], v[16:17], v[14:15]
	s_waitcnt lgkmcnt(1)
	v_mul_f64 v[16:17], v[6:7], v[24:25]
	v_mul_f64 v[24:25], v[8:9], v[24:25]
	v_fma_f64 v[22:23], v[2:3], v[30:31], -v[22:23]
	s_waitcnt vmcnt(9) lgkmcnt(0)
	v_mul_f64 v[30:31], v[12:13], v[32:33]
	ds_read_b128 v[2:5], v1 offset:1776
	v_add_f64 v[18:19], v[44:45], v[18:19]
	v_add_f64 v[14:15], v[14:15], v[28:29]
	v_mul_f64 v[28:29], v[10:11], v[32:33]
	s_waitcnt vmcnt(8)
	v_fma_f64 v[6:7], v[6:7], v[26:27], -v[24:25]
	v_fma_f64 v[8:9], v[8:9], v[26:27], v[16:17]
	s_waitcnt vmcnt(5)
	v_fma_f64 v[10:11], v[10:11], v[38:39], -v[30:31]
	s_waitcnt lgkmcnt(0)
	v_mul_f64 v[16:17], v[2:3], v[34:35]
	v_add_f64 v[18:19], v[18:19], v[22:23]
	v_add_f64 v[14:15], v[14:15], v[20:21]
	v_mul_f64 v[20:21], v[4:5], v[34:35]
	v_fma_f64 v[12:13], v[12:13], v[38:39], v[28:29]
	s_waitcnt vmcnt(4)
	v_fma_f64 v[4:5], v[4:5], v[36:37], v[16:17]
	v_add_f64 v[6:7], v[18:19], v[6:7]
	v_add_f64 v[8:9], v[14:15], v[8:9]
	v_fma_f64 v[2:3], v[2:3], v[36:37], -v[20:21]
	v_add_f64 v[6:7], v[6:7], v[10:11]
	v_add_f64 v[8:9], v[8:9], v[12:13]
	;; [unrolled: 1-line block ×4, first 2 shown]
	s_waitcnt vmcnt(2)
	v_add_f64 v[2:3], v[40:41], -v[2:3]
	s_waitcnt vmcnt(0)
	v_add_f64 v[4:5], v[42:43], -v[4:5]
	buffer_store_dword v3, off, s[0:3], 0 offset:788
	buffer_store_dword v2, off, s[0:3], 0 offset:784
	;; [unrolled: 1-line block ×4, first 2 shown]
	v_cmpx_lt_u32_e32 47, v0
	s_cbranch_execz .LBB55_255
; %bb.254:
	v_mov_b32_e32 v5, s18
	s_clause 0x3
	buffer_load_dword v2, v5, s[0:3], 0 offen
	buffer_load_dword v3, v5, s[0:3], 0 offen offset:4
	buffer_load_dword v4, v5, s[0:3], 0 offen offset:8
	;; [unrolled: 1-line block ×3, first 2 shown]
	buffer_store_dword v1, off, s[0:3], 0 offset:768
	buffer_store_dword v1, off, s[0:3], 0 offset:772
	;; [unrolled: 1-line block ×4, first 2 shown]
	s_waitcnt vmcnt(0)
	ds_write_b128 v97, v[2:5]
.LBB55_255:
	s_or_b32 exec_lo, exec_lo, s4
	s_waitcnt lgkmcnt(0)
	s_waitcnt_vscnt null, 0x0
	s_barrier
	buffer_gl0_inv
	s_clause 0x23
	buffer_load_dword v10, off, s[0:3], 0 offset:792
	buffer_load_dword v11, off, s[0:3], 0 offset:796
	;; [unrolled: 1-line block ×36, first 2 shown]
	ds_read_b128 v[2:5], v1 offset:1664
	ds_read_b128 v[6:9], v1 offset:1680
	s_mov_b32 s4, exec_lo
	s_waitcnt vmcnt(34) lgkmcnt(1)
	v_mul_f64 v[48:49], v[4:5], v[10:11]
	v_mul_f64 v[50:51], v[2:3], v[10:11]
	s_waitcnt vmcnt(32) lgkmcnt(0)
	v_mul_f64 v[52:53], v[8:9], v[14:15]
	ds_read_b128 v[10:13], v1 offset:1696
	v_mul_f64 v[14:15], v[6:7], v[14:15]
	s_waitcnt vmcnt(30)
	v_fma_f64 v[48:49], v[2:3], v[16:17], -v[48:49]
	v_fma_f64 v[16:17], v[4:5], v[16:17], v[50:51]
	ds_read_b128 v[2:5], v1 offset:1712
	s_waitcnt vmcnt(28) lgkmcnt(1)
	v_mul_f64 v[50:51], v[10:11], v[18:19]
	v_mul_f64 v[18:19], v[12:13], v[18:19]
	s_waitcnt vmcnt(26)
	v_fma_f64 v[52:53], v[6:7], v[20:21], -v[52:53]
	v_fma_f64 v[14:15], v[8:9], v[20:21], v[14:15]
	ds_read_b128 v[6:9], v1 offset:1728
	s_waitcnt vmcnt(22) lgkmcnt(1)
	v_mul_f64 v[20:21], v[2:3], v[22:23]
	v_add_f64 v[48:49], v[48:49], 0
	v_add_f64 v[16:17], v[16:17], 0
	v_mul_f64 v[22:23], v[4:5], v[22:23]
	s_waitcnt vmcnt(20)
	v_fma_f64 v[18:19], v[10:11], v[28:29], -v[18:19]
	v_fma_f64 v[28:29], v[12:13], v[28:29], v[50:51]
	ds_read_b128 v[10:13], v1 offset:1744
	s_waitcnt vmcnt(17)
	v_fma_f64 v[20:21], v[4:5], v[30:31], v[20:21]
	v_add_f64 v[48:49], v[48:49], v[52:53]
	v_add_f64 v[14:15], v[16:17], v[14:15]
	s_waitcnt lgkmcnt(1)
	v_mul_f64 v[16:17], v[6:7], v[24:25]
	v_mul_f64 v[24:25], v[8:9], v[24:25]
	v_fma_f64 v[22:23], v[2:3], v[30:31], -v[22:23]
	s_waitcnt vmcnt(13) lgkmcnt(0)
	v_mul_f64 v[30:31], v[12:13], v[32:33]
	ds_read_b128 v[2:5], v1 offset:1760
	v_add_f64 v[18:19], v[48:49], v[18:19]
	v_add_f64 v[14:15], v[14:15], v[28:29]
	v_mul_f64 v[28:29], v[10:11], v[32:33]
	s_waitcnt vmcnt(12)
	v_fma_f64 v[24:25], v[6:7], v[26:27], -v[24:25]
	v_fma_f64 v[16:17], v[8:9], v[26:27], v[16:17]
	ds_read_b128 v[6:9], v1 offset:1776
	s_waitcnt vmcnt(9)
	v_fma_f64 v[10:11], v[10:11], v[38:39], -v[30:31]
	v_add_f64 v[18:19], v[18:19], v[22:23]
	v_add_f64 v[14:15], v[14:15], v[20:21]
	s_waitcnt lgkmcnt(1)
	v_mul_f64 v[22:23], v[4:5], v[34:35]
	v_mul_f64 v[20:21], v[2:3], v[34:35]
	v_fma_f64 v[12:13], v[12:13], v[38:39], v[28:29]
	v_add_f64 v[18:19], v[18:19], v[24:25]
	v_add_f64 v[14:15], v[14:15], v[16:17]
	s_waitcnt vmcnt(7) lgkmcnt(0)
	v_mul_f64 v[24:25], v[8:9], v[40:41]
	s_waitcnt vmcnt(6)
	v_fma_f64 v[1:2], v[2:3], v[36:37], -v[22:23]
	v_mul_f64 v[16:17], v[6:7], v[40:41]
	v_fma_f64 v[3:4], v[4:5], v[36:37], v[20:21]
	v_add_f64 v[10:11], v[18:19], v[10:11]
	v_add_f64 v[12:13], v[14:15], v[12:13]
	s_waitcnt vmcnt(4)
	v_fma_f64 v[5:6], v[6:7], v[42:43], -v[24:25]
	v_fma_f64 v[7:8], v[8:9], v[42:43], v[16:17]
	v_add_f64 v[1:2], v[10:11], v[1:2]
	v_add_f64 v[3:4], v[12:13], v[3:4]
	;; [unrolled: 1-line block ×4, first 2 shown]
	s_waitcnt vmcnt(2)
	v_add_f64 v[1:2], v[44:45], -v[1:2]
	s_waitcnt vmcnt(0)
	v_add_f64 v[3:4], v[46:47], -v[3:4]
	buffer_store_dword v2, off, s[0:3], 0 offset:772
	buffer_store_dword v1, off, s[0:3], 0 offset:768
	;; [unrolled: 1-line block ×4, first 2 shown]
	v_cmpx_lt_u32_e32 46, v0
	s_cbranch_execz .LBB55_257
; %bb.256:
	v_mov_b32_e32 v4, s19
	v_mov_b32_e32 v5, 0
	s_clause 0x3
	buffer_load_dword v1, v4, s[0:3], 0 offen
	buffer_load_dword v2, v4, s[0:3], 0 offen offset:4
	buffer_load_dword v3, v4, s[0:3], 0 offen offset:8
	;; [unrolled: 1-line block ×3, first 2 shown]
	buffer_store_dword v5, off, s[0:3], 0 offset:752
	buffer_store_dword v5, off, s[0:3], 0 offset:756
	buffer_store_dword v5, off, s[0:3], 0 offset:760
	buffer_store_dword v5, off, s[0:3], 0 offset:764
	s_waitcnt vmcnt(0)
	ds_write_b128 v97, v[1:4]
.LBB55_257:
	s_or_b32 exec_lo, exec_lo, s4
	s_waitcnt lgkmcnt(0)
	s_waitcnt_vscnt null, 0x0
	s_barrier
	buffer_gl0_inv
	s_clause 0x27
	buffer_load_dword v10, off, s[0:3], 0 offset:776
	buffer_load_dword v11, off, s[0:3], 0 offset:780
	;; [unrolled: 1-line block ×40, first 2 shown]
	v_mov_b32_e32 v1, 0
	ds_read_b128 v[2:5], v1 offset:1648
	ds_read_b128 v[6:9], v1 offset:1664
	s_mov_b32 s4, exec_lo
	s_waitcnt vmcnt(38) lgkmcnt(1)
	v_mul_f64 v[52:53], v[4:5], v[10:11]
	v_mul_f64 v[54:55], v[2:3], v[10:11]
	s_waitcnt vmcnt(36) lgkmcnt(0)
	v_mul_f64 v[61:62], v[8:9], v[14:15]
	ds_read_b128 v[10:13], v1 offset:1680
	v_mul_f64 v[14:15], v[6:7], v[14:15]
	s_waitcnt vmcnt(34)
	v_fma_f64 v[52:53], v[2:3], v[16:17], -v[52:53]
	v_fma_f64 v[16:17], v[4:5], v[16:17], v[54:55]
	ds_read_b128 v[2:5], v1 offset:1696
	s_waitcnt vmcnt(32) lgkmcnt(1)
	v_mul_f64 v[54:55], v[10:11], v[18:19]
	v_mul_f64 v[18:19], v[12:13], v[18:19]
	s_waitcnt vmcnt(30)
	v_fma_f64 v[61:62], v[6:7], v[20:21], -v[61:62]
	v_fma_f64 v[14:15], v[8:9], v[20:21], v[14:15]
	ds_read_b128 v[6:9], v1 offset:1712
	s_waitcnt vmcnt(26) lgkmcnt(1)
	v_mul_f64 v[20:21], v[2:3], v[22:23]
	v_add_f64 v[52:53], v[52:53], 0
	v_add_f64 v[16:17], v[16:17], 0
	v_mul_f64 v[22:23], v[4:5], v[22:23]
	s_waitcnt vmcnt(24)
	v_fma_f64 v[18:19], v[10:11], v[28:29], -v[18:19]
	v_fma_f64 v[28:29], v[12:13], v[28:29], v[54:55]
	ds_read_b128 v[10:13], v1 offset:1728
	s_waitcnt vmcnt(21)
	v_fma_f64 v[20:21], v[4:5], v[30:31], v[20:21]
	v_add_f64 v[52:53], v[52:53], v[61:62]
	v_add_f64 v[14:15], v[16:17], v[14:15]
	s_waitcnt lgkmcnt(1)
	v_mul_f64 v[16:17], v[6:7], v[24:25]
	v_mul_f64 v[24:25], v[8:9], v[24:25]
	v_fma_f64 v[22:23], v[2:3], v[30:31], -v[22:23]
	s_waitcnt vmcnt(17) lgkmcnt(0)
	v_mul_f64 v[30:31], v[12:13], v[32:33]
	ds_read_b128 v[2:5], v1 offset:1744
	v_add_f64 v[18:19], v[52:53], v[18:19]
	v_add_f64 v[14:15], v[14:15], v[28:29]
	v_mul_f64 v[28:29], v[10:11], v[32:33]
	s_waitcnt vmcnt(16)
	v_fma_f64 v[24:25], v[6:7], v[26:27], -v[24:25]
	v_fma_f64 v[16:17], v[8:9], v[26:27], v[16:17]
	ds_read_b128 v[6:9], v1 offset:1760
	s_waitcnt vmcnt(13)
	v_fma_f64 v[26:27], v[10:11], v[38:39], -v[30:31]
	v_add_f64 v[18:19], v[18:19], v[22:23]
	v_add_f64 v[14:15], v[14:15], v[20:21]
	s_waitcnt lgkmcnt(1)
	v_mul_f64 v[22:23], v[4:5], v[34:35]
	v_mul_f64 v[20:21], v[2:3], v[34:35]
	v_add_f64 v[18:19], v[18:19], v[24:25]
	v_fma_f64 v[24:25], v[12:13], v[38:39], v[28:29]
	v_add_f64 v[14:15], v[14:15], v[16:17]
	s_waitcnt vmcnt(9) lgkmcnt(0)
	v_mul_f64 v[28:29], v[8:9], v[40:41]
	s_waitcnt vmcnt(8)
	v_fma_f64 v[2:3], v[2:3], v[36:37], -v[22:23]
	ds_read_b128 v[10:13], v1 offset:1776
	v_mul_f64 v[16:17], v[6:7], v[40:41]
	v_fma_f64 v[4:5], v[4:5], v[36:37], v[20:21]
	v_add_f64 v[18:19], v[18:19], v[26:27]
	v_add_f64 v[14:15], v[14:15], v[24:25]
	s_waitcnt vmcnt(7) lgkmcnt(0)
	v_mul_f64 v[22:23], v[12:13], v[42:43]
	s_waitcnt vmcnt(5)
	v_fma_f64 v[6:7], v[6:7], v[46:47], -v[28:29]
	v_mul_f64 v[20:21], v[10:11], v[42:43]
	v_fma_f64 v[8:9], v[8:9], v[46:47], v[16:17]
	v_add_f64 v[2:3], v[18:19], v[2:3]
	v_add_f64 v[4:5], v[14:15], v[4:5]
	s_waitcnt vmcnt(4)
	v_fma_f64 v[10:11], v[10:11], v[44:45], -v[22:23]
	v_add_f64 v[2:3], v[2:3], v[6:7]
	v_fma_f64 v[6:7], v[12:13], v[44:45], v[20:21]
	v_add_f64 v[4:5], v[4:5], v[8:9]
	v_add_f64 v[2:3], v[2:3], v[10:11]
	;; [unrolled: 1-line block ×3, first 2 shown]
	s_waitcnt vmcnt(2)
	v_add_f64 v[2:3], v[48:49], -v[2:3]
	s_waitcnt vmcnt(0)
	v_add_f64 v[4:5], v[50:51], -v[4:5]
	buffer_store_dword v3, off, s[0:3], 0 offset:756
	buffer_store_dword v2, off, s[0:3], 0 offset:752
	;; [unrolled: 1-line block ×4, first 2 shown]
	v_cmpx_lt_u32_e32 45, v0
	s_cbranch_execz .LBB55_259
; %bb.258:
	v_mov_b32_e32 v5, s22
	s_clause 0x3
	buffer_load_dword v2, v5, s[0:3], 0 offen
	buffer_load_dword v3, v5, s[0:3], 0 offen offset:4
	buffer_load_dword v4, v5, s[0:3], 0 offen offset:8
	;; [unrolled: 1-line block ×3, first 2 shown]
	buffer_store_dword v1, off, s[0:3], 0 offset:736
	buffer_store_dword v1, off, s[0:3], 0 offset:740
	;; [unrolled: 1-line block ×4, first 2 shown]
	s_waitcnt vmcnt(0)
	ds_write_b128 v97, v[2:5]
.LBB55_259:
	s_or_b32 exec_lo, exec_lo, s4
	s_waitcnt lgkmcnt(0)
	s_waitcnt_vscnt null, 0x0
	s_barrier
	buffer_gl0_inv
	s_clause 0x2b
	buffer_load_dword v10, off, s[0:3], 0 offset:760
	buffer_load_dword v11, off, s[0:3], 0 offset:764
	;; [unrolled: 1-line block ×44, first 2 shown]
	ds_read_b128 v[2:5], v1 offset:1632
	ds_read_b128 v[6:9], v1 offset:1648
	s_mov_b32 s4, exec_lo
	s_waitcnt vmcnt(42) lgkmcnt(1)
	v_mul_f64 v[61:62], v[4:5], v[10:11]
	v_mul_f64 v[63:64], v[2:3], v[10:11]
	s_waitcnt vmcnt(40) lgkmcnt(0)
	v_mul_f64 v[89:90], v[8:9], v[14:15]
	ds_read_b128 v[10:13], v1 offset:1664
	v_mul_f64 v[14:15], v[6:7], v[14:15]
	s_waitcnt vmcnt(38)
	v_fma_f64 v[61:62], v[2:3], v[16:17], -v[61:62]
	v_fma_f64 v[16:17], v[4:5], v[16:17], v[63:64]
	ds_read_b128 v[2:5], v1 offset:1680
	s_waitcnt vmcnt(36) lgkmcnt(1)
	v_mul_f64 v[63:64], v[10:11], v[18:19]
	v_mul_f64 v[18:19], v[12:13], v[18:19]
	s_waitcnt vmcnt(34)
	v_fma_f64 v[89:90], v[6:7], v[20:21], -v[89:90]
	v_fma_f64 v[14:15], v[8:9], v[20:21], v[14:15]
	ds_read_b128 v[6:9], v1 offset:1696
	s_waitcnt vmcnt(30) lgkmcnt(1)
	v_mul_f64 v[20:21], v[2:3], v[22:23]
	v_add_f64 v[61:62], v[61:62], 0
	v_add_f64 v[16:17], v[16:17], 0
	v_mul_f64 v[22:23], v[4:5], v[22:23]
	s_waitcnt vmcnt(28)
	v_fma_f64 v[18:19], v[10:11], v[28:29], -v[18:19]
	v_fma_f64 v[28:29], v[12:13], v[28:29], v[63:64]
	ds_read_b128 v[10:13], v1 offset:1712
	s_waitcnt vmcnt(25)
	v_fma_f64 v[20:21], v[4:5], v[30:31], v[20:21]
	v_add_f64 v[61:62], v[61:62], v[89:90]
	v_add_f64 v[14:15], v[16:17], v[14:15]
	s_waitcnt lgkmcnt(1)
	v_mul_f64 v[16:17], v[6:7], v[24:25]
	v_mul_f64 v[24:25], v[8:9], v[24:25]
	v_fma_f64 v[22:23], v[2:3], v[30:31], -v[22:23]
	s_waitcnt vmcnt(21) lgkmcnt(0)
	v_mul_f64 v[30:31], v[12:13], v[32:33]
	ds_read_b128 v[2:5], v1 offset:1728
	v_add_f64 v[18:19], v[61:62], v[18:19]
	v_add_f64 v[14:15], v[14:15], v[28:29]
	v_mul_f64 v[28:29], v[10:11], v[32:33]
	s_waitcnt vmcnt(20)
	v_fma_f64 v[24:25], v[6:7], v[26:27], -v[24:25]
	v_fma_f64 v[16:17], v[8:9], v[26:27], v[16:17]
	ds_read_b128 v[6:9], v1 offset:1744
	s_waitcnt vmcnt(17)
	v_fma_f64 v[26:27], v[10:11], v[38:39], -v[30:31]
	v_add_f64 v[18:19], v[18:19], v[22:23]
	v_add_f64 v[14:15], v[14:15], v[20:21]
	s_waitcnt lgkmcnt(1)
	v_mul_f64 v[22:23], v[4:5], v[34:35]
	v_mul_f64 v[20:21], v[2:3], v[34:35]
	v_add_f64 v[18:19], v[18:19], v[24:25]
	v_fma_f64 v[24:25], v[12:13], v[38:39], v[28:29]
	v_add_f64 v[14:15], v[14:15], v[16:17]
	s_waitcnt vmcnt(13) lgkmcnt(0)
	v_mul_f64 v[28:29], v[8:9], v[40:41]
	s_waitcnt vmcnt(12)
	v_fma_f64 v[22:23], v[2:3], v[36:37], -v[22:23]
	ds_read_b128 v[10:13], v1 offset:1760
	v_mul_f64 v[16:17], v[6:7], v[40:41]
	v_fma_f64 v[20:21], v[4:5], v[36:37], v[20:21]
	ds_read_b128 v[1:4], v1 offset:1776
	v_add_f64 v[18:19], v[18:19], v[26:27]
	v_add_f64 v[14:15], v[14:15], v[24:25]
	s_waitcnt vmcnt(11) lgkmcnt(1)
	v_mul_f64 v[26:27], v[12:13], v[42:43]
	s_waitcnt vmcnt(9)
	v_fma_f64 v[5:6], v[6:7], v[46:47], -v[28:29]
	v_mul_f64 v[24:25], v[10:11], v[42:43]
	v_fma_f64 v[7:8], v[8:9], v[46:47], v[16:17]
	s_waitcnt vmcnt(7) lgkmcnt(0)
	v_mul_f64 v[16:17], v[1:2], v[48:49]
	v_add_f64 v[18:19], v[18:19], v[22:23]
	v_add_f64 v[14:15], v[14:15], v[20:21]
	v_mul_f64 v[20:21], v[3:4], v[48:49]
	s_waitcnt vmcnt(6)
	v_fma_f64 v[9:10], v[10:11], v[44:45], -v[26:27]
	v_fma_f64 v[11:12], v[12:13], v[44:45], v[24:25]
	s_waitcnt vmcnt(4)
	v_fma_f64 v[3:4], v[3:4], v[50:51], v[16:17]
	v_add_f64 v[5:6], v[18:19], v[5:6]
	v_add_f64 v[7:8], v[14:15], v[7:8]
	v_fma_f64 v[1:2], v[1:2], v[50:51], -v[20:21]
	v_add_f64 v[5:6], v[5:6], v[9:10]
	v_add_f64 v[7:8], v[7:8], v[11:12]
	;; [unrolled: 1-line block ×4, first 2 shown]
	s_waitcnt vmcnt(2)
	v_add_f64 v[1:2], v[52:53], -v[1:2]
	s_waitcnt vmcnt(0)
	v_add_f64 v[3:4], v[54:55], -v[3:4]
	buffer_store_dword v2, off, s[0:3], 0 offset:740
	buffer_store_dword v1, off, s[0:3], 0 offset:736
	;; [unrolled: 1-line block ×4, first 2 shown]
	v_cmpx_lt_u32_e32 44, v0
	s_cbranch_execz .LBB55_261
; %bb.260:
	v_mov_b32_e32 v4, s23
	v_mov_b32_e32 v5, 0
	s_clause 0x3
	buffer_load_dword v1, v4, s[0:3], 0 offen
	buffer_load_dword v2, v4, s[0:3], 0 offen offset:4
	buffer_load_dword v3, v4, s[0:3], 0 offen offset:8
	;; [unrolled: 1-line block ×3, first 2 shown]
	buffer_store_dword v5, off, s[0:3], 0 offset:720
	buffer_store_dword v5, off, s[0:3], 0 offset:724
	;; [unrolled: 1-line block ×4, first 2 shown]
	s_waitcnt vmcnt(0)
	ds_write_b128 v97, v[1:4]
.LBB55_261:
	s_or_b32 exec_lo, exec_lo, s4
	s_waitcnt lgkmcnt(0)
	s_waitcnt_vscnt null, 0x0
	s_barrier
	buffer_gl0_inv
	s_clause 0x2f
	buffer_load_dword v10, off, s[0:3], 0 offset:744
	buffer_load_dword v11, off, s[0:3], 0 offset:748
	;; [unrolled: 1-line block ×48, first 2 shown]
	v_mov_b32_e32 v1, 0
	ds_read_b128 v[2:5], v1 offset:1616
	ds_read_b128 v[6:9], v1 offset:1632
	s_mov_b32 s4, exec_lo
	s_waitcnt vmcnt(46) lgkmcnt(1)
	v_mul_f64 v[89:90], v[4:5], v[10:11]
	v_mul_f64 v[91:92], v[2:3], v[10:11]
	s_waitcnt vmcnt(44) lgkmcnt(0)
	v_mul_f64 v[93:94], v[8:9], v[14:15]
	ds_read_b128 v[10:13], v1 offset:1648
	v_mul_f64 v[14:15], v[6:7], v[14:15]
	s_waitcnt vmcnt(42)
	v_fma_f64 v[89:90], v[2:3], v[16:17], -v[89:90]
	v_fma_f64 v[16:17], v[4:5], v[16:17], v[91:92]
	ds_read_b128 v[2:5], v1 offset:1664
	s_waitcnt vmcnt(40) lgkmcnt(1)
	v_mul_f64 v[91:92], v[10:11], v[18:19]
	v_mul_f64 v[18:19], v[12:13], v[18:19]
	s_waitcnt vmcnt(38)
	v_fma_f64 v[93:94], v[6:7], v[20:21], -v[93:94]
	v_fma_f64 v[14:15], v[8:9], v[20:21], v[14:15]
	ds_read_b128 v[6:9], v1 offset:1680
	s_waitcnt vmcnt(34) lgkmcnt(1)
	v_mul_f64 v[20:21], v[2:3], v[22:23]
	v_add_f64 v[89:90], v[89:90], 0
	v_add_f64 v[16:17], v[16:17], 0
	v_mul_f64 v[22:23], v[4:5], v[22:23]
	s_waitcnt vmcnt(32)
	v_fma_f64 v[18:19], v[10:11], v[28:29], -v[18:19]
	v_fma_f64 v[28:29], v[12:13], v[28:29], v[91:92]
	ds_read_b128 v[10:13], v1 offset:1696
	s_waitcnt vmcnt(29)
	v_fma_f64 v[20:21], v[4:5], v[30:31], v[20:21]
	v_add_f64 v[89:90], v[89:90], v[93:94]
	v_add_f64 v[14:15], v[16:17], v[14:15]
	s_waitcnt lgkmcnt(1)
	v_mul_f64 v[16:17], v[6:7], v[24:25]
	v_mul_f64 v[24:25], v[8:9], v[24:25]
	v_fma_f64 v[22:23], v[2:3], v[30:31], -v[22:23]
	s_waitcnt vmcnt(25) lgkmcnt(0)
	v_mul_f64 v[30:31], v[12:13], v[32:33]
	ds_read_b128 v[2:5], v1 offset:1712
	v_add_f64 v[18:19], v[89:90], v[18:19]
	v_add_f64 v[14:15], v[14:15], v[28:29]
	v_mul_f64 v[28:29], v[10:11], v[32:33]
	s_waitcnt vmcnt(24)
	v_fma_f64 v[24:25], v[6:7], v[26:27], -v[24:25]
	v_fma_f64 v[16:17], v[8:9], v[26:27], v[16:17]
	ds_read_b128 v[6:9], v1 offset:1728
	s_waitcnt vmcnt(21)
	v_fma_f64 v[26:27], v[10:11], v[38:39], -v[30:31]
	v_add_f64 v[18:19], v[18:19], v[22:23]
	v_add_f64 v[14:15], v[14:15], v[20:21]
	s_waitcnt lgkmcnt(1)
	v_mul_f64 v[22:23], v[4:5], v[34:35]
	v_mul_f64 v[20:21], v[2:3], v[34:35]
	v_add_f64 v[18:19], v[18:19], v[24:25]
	v_fma_f64 v[24:25], v[12:13], v[38:39], v[28:29]
	v_add_f64 v[14:15], v[14:15], v[16:17]
	s_waitcnt vmcnt(17) lgkmcnt(0)
	v_mul_f64 v[28:29], v[8:9], v[40:41]
	s_waitcnt vmcnt(16)
	v_fma_f64 v[22:23], v[2:3], v[36:37], -v[22:23]
	ds_read_b128 v[10:13], v1 offset:1744
	v_mul_f64 v[16:17], v[6:7], v[40:41]
	v_fma_f64 v[20:21], v[4:5], v[36:37], v[20:21]
	ds_read_b128 v[2:5], v1 offset:1760
	v_add_f64 v[18:19], v[18:19], v[26:27]
	v_add_f64 v[14:15], v[14:15], v[24:25]
	s_waitcnt vmcnt(15) lgkmcnt(1)
	v_mul_f64 v[26:27], v[12:13], v[42:43]
	s_waitcnt vmcnt(13)
	v_fma_f64 v[28:29], v[6:7], v[46:47], -v[28:29]
	v_mul_f64 v[24:25], v[10:11], v[42:43]
	v_fma_f64 v[16:17], v[8:9], v[46:47], v[16:17]
	ds_read_b128 v[6:9], v1 offset:1776
	v_add_f64 v[18:19], v[18:19], v[22:23]
	s_waitcnt vmcnt(9) lgkmcnt(1)
	v_mul_f64 v[22:23], v[4:5], v[48:49]
	v_add_f64 v[14:15], v[14:15], v[20:21]
	s_waitcnt vmcnt(8)
	v_fma_f64 v[10:11], v[10:11], v[44:45], -v[26:27]
	v_mul_f64 v[20:21], v[2:3], v[48:49]
	v_fma_f64 v[12:13], v[12:13], v[44:45], v[24:25]
	s_waitcnt vmcnt(7) lgkmcnt(0)
	v_mul_f64 v[24:25], v[8:9], v[50:51]
	v_add_f64 v[18:19], v[18:19], v[28:29]
	s_waitcnt vmcnt(5)
	v_fma_f64 v[2:3], v[2:3], v[54:55], -v[22:23]
	v_add_f64 v[14:15], v[14:15], v[16:17]
	v_mul_f64 v[16:17], v[6:7], v[50:51]
	v_fma_f64 v[4:5], v[4:5], v[54:55], v[20:21]
	s_waitcnt vmcnt(4)
	v_fma_f64 v[6:7], v[6:7], v[52:53], -v[24:25]
	v_add_f64 v[10:11], v[18:19], v[10:11]
	v_add_f64 v[12:13], v[14:15], v[12:13]
	v_fma_f64 v[8:9], v[8:9], v[52:53], v[16:17]
	v_add_f64 v[2:3], v[10:11], v[2:3]
	v_add_f64 v[4:5], v[12:13], v[4:5]
	v_add_f64 v[2:3], v[2:3], v[6:7]
	v_add_f64 v[4:5], v[4:5], v[8:9]
	s_waitcnt vmcnt(2)
	v_add_f64 v[2:3], v[61:62], -v[2:3]
	s_waitcnt vmcnt(0)
	v_add_f64 v[4:5], v[63:64], -v[4:5]
	buffer_store_dword v3, off, s[0:3], 0 offset:724
	buffer_store_dword v2, off, s[0:3], 0 offset:720
	buffer_store_dword v5, off, s[0:3], 0 offset:732
	buffer_store_dword v4, off, s[0:3], 0 offset:728
	v_cmpx_lt_u32_e32 43, v0
	s_cbranch_execz .LBB55_263
; %bb.262:
	v_mov_b32_e32 v5, s24
	s_clause 0x3
	buffer_load_dword v2, v5, s[0:3], 0 offen
	buffer_load_dword v3, v5, s[0:3], 0 offen offset:4
	buffer_load_dword v4, v5, s[0:3], 0 offen offset:8
	;; [unrolled: 1-line block ×3, first 2 shown]
	buffer_store_dword v1, off, s[0:3], 0 offset:704
	buffer_store_dword v1, off, s[0:3], 0 offset:708
	;; [unrolled: 1-line block ×4, first 2 shown]
	s_waitcnt vmcnt(0)
	ds_write_b128 v97, v[2:5]
.LBB55_263:
	s_or_b32 exec_lo, exec_lo, s4
	s_waitcnt lgkmcnt(0)
	s_waitcnt_vscnt null, 0x0
	s_barrier
	buffer_gl0_inv
	s_clause 0x2f
	buffer_load_dword v10, off, s[0:3], 0 offset:728
	buffer_load_dword v11, off, s[0:3], 0 offset:732
	;; [unrolled: 1-line block ×48, first 2 shown]
	ds_read_b128 v[2:5], v1 offset:1600
	s_clause 0x3
	buffer_load_dword v89, off, s[0:3], 0 offset:704
	buffer_load_dword v90, off, s[0:3], 0 offset:708
	;; [unrolled: 1-line block ×4, first 2 shown]
	ds_read_b128 v[6:9], v1 offset:1616
	s_mov_b32 s4, exec_lo
	s_waitcnt vmcnt(50) lgkmcnt(1)
	v_mul_f64 v[93:94], v[4:5], v[10:11]
	v_mul_f64 v[95:96], v[2:3], v[10:11]
	ds_read_b128 v[10:13], v1 offset:1632
	s_waitcnt vmcnt(48) lgkmcnt(1)
	v_mul_f64 v[98:99], v[8:9], v[14:15]
	v_mul_f64 v[14:15], v[6:7], v[14:15]
	s_waitcnt vmcnt(46)
	v_fma_f64 v[93:94], v[2:3], v[16:17], -v[93:94]
	v_fma_f64 v[16:17], v[4:5], v[16:17], v[95:96]
	s_waitcnt vmcnt(44) lgkmcnt(0)
	v_mul_f64 v[95:96], v[10:11], v[18:19]
	v_mul_f64 v[18:19], v[12:13], v[18:19]
	s_waitcnt vmcnt(42)
	v_fma_f64 v[98:99], v[6:7], v[20:21], -v[98:99]
	ds_read_b128 v[2:5], v1 offset:1648
	v_fma_f64 v[14:15], v[8:9], v[20:21], v[14:15]
	ds_read_b128 v[6:9], v1 offset:1664
	v_add_f64 v[93:94], v[93:94], 0
	v_add_f64 v[16:17], v[16:17], 0
	s_waitcnt vmcnt(38) lgkmcnt(1)
	v_mul_f64 v[20:21], v[2:3], v[22:23]
	v_mul_f64 v[22:23], v[4:5], v[22:23]
	s_waitcnt vmcnt(36)
	v_fma_f64 v[18:19], v[10:11], v[28:29], -v[18:19]
	v_fma_f64 v[28:29], v[12:13], v[28:29], v[95:96]
	ds_read_b128 v[10:13], v1 offset:1680
	v_add_f64 v[93:94], v[93:94], v[98:99]
	v_add_f64 v[14:15], v[16:17], v[14:15]
	s_waitcnt vmcnt(35) lgkmcnt(1)
	v_mul_f64 v[16:17], v[6:7], v[24:25]
	v_mul_f64 v[24:25], v[8:9], v[24:25]
	s_waitcnt vmcnt(33)
	v_fma_f64 v[22:23], v[2:3], v[30:31], -v[22:23]
	v_fma_f64 v[20:21], v[4:5], v[30:31], v[20:21]
	ds_read_b128 v[2:5], v1 offset:1696
	s_waitcnt vmcnt(29) lgkmcnt(1)
	v_mul_f64 v[30:31], v[12:13], v[32:33]
	v_add_f64 v[18:19], v[93:94], v[18:19]
	v_add_f64 v[14:15], v[14:15], v[28:29]
	v_mul_f64 v[28:29], v[10:11], v[32:33]
	s_waitcnt vmcnt(28)
	v_fma_f64 v[24:25], v[6:7], v[26:27], -v[24:25]
	v_fma_f64 v[16:17], v[8:9], v[26:27], v[16:17]
	ds_read_b128 v[6:9], v1 offset:1712
	s_waitcnt vmcnt(25)
	v_fma_f64 v[26:27], v[10:11], v[38:39], -v[30:31]
	v_add_f64 v[18:19], v[18:19], v[22:23]
	v_add_f64 v[14:15], v[14:15], v[20:21]
	s_waitcnt lgkmcnt(1)
	v_mul_f64 v[22:23], v[4:5], v[34:35]
	v_mul_f64 v[20:21], v[2:3], v[34:35]
	v_add_f64 v[18:19], v[18:19], v[24:25]
	v_fma_f64 v[24:25], v[12:13], v[38:39], v[28:29]
	v_add_f64 v[14:15], v[14:15], v[16:17]
	ds_read_b128 v[10:13], v1 offset:1728
	s_waitcnt vmcnt(21) lgkmcnt(1)
	v_mul_f64 v[28:29], v[8:9], v[40:41]
	s_waitcnt vmcnt(20)
	v_fma_f64 v[22:23], v[2:3], v[36:37], -v[22:23]
	v_mul_f64 v[16:17], v[6:7], v[40:41]
	v_fma_f64 v[20:21], v[4:5], v[36:37], v[20:21]
	ds_read_b128 v[2:5], v1 offset:1744
	v_add_f64 v[18:19], v[18:19], v[26:27]
	s_waitcnt vmcnt(19) lgkmcnt(1)
	v_mul_f64 v[26:27], v[12:13], v[42:43]
	v_add_f64 v[14:15], v[14:15], v[24:25]
	v_mul_f64 v[24:25], v[10:11], v[42:43]
	s_waitcnt vmcnt(17)
	v_fma_f64 v[28:29], v[6:7], v[46:47], -v[28:29]
	v_fma_f64 v[16:17], v[8:9], v[46:47], v[16:17]
	ds_read_b128 v[6:9], v1 offset:1760
	v_add_f64 v[18:19], v[18:19], v[22:23]
	s_waitcnt vmcnt(13) lgkmcnt(1)
	v_mul_f64 v[22:23], v[4:5], v[48:49]
	v_add_f64 v[14:15], v[14:15], v[20:21]
	s_waitcnt vmcnt(12)
	v_fma_f64 v[26:27], v[10:11], v[44:45], -v[26:27]
	v_mul_f64 v[20:21], v[2:3], v[48:49]
	v_fma_f64 v[24:25], v[12:13], v[44:45], v[24:25]
	ds_read_b128 v[10:13], v1 offset:1776
	v_add_f64 v[18:19], v[18:19], v[28:29]
	s_waitcnt vmcnt(11) lgkmcnt(1)
	v_mul_f64 v[28:29], v[8:9], v[50:51]
	v_add_f64 v[14:15], v[14:15], v[16:17]
	s_waitcnt vmcnt(9)
	v_fma_f64 v[1:2], v[2:3], v[54:55], -v[22:23]
	v_mul_f64 v[16:17], v[6:7], v[50:51]
	v_fma_f64 v[3:4], v[4:5], v[54:55], v[20:21]
	s_waitcnt vmcnt(7) lgkmcnt(0)
	v_mul_f64 v[22:23], v[12:13], v[61:62]
	v_mul_f64 v[20:21], v[10:11], v[61:62]
	v_add_f64 v[18:19], v[18:19], v[26:27]
	s_waitcnt vmcnt(6)
	v_fma_f64 v[5:6], v[6:7], v[52:53], -v[28:29]
	v_add_f64 v[14:15], v[14:15], v[24:25]
	v_fma_f64 v[7:8], v[8:9], v[52:53], v[16:17]
	s_waitcnt vmcnt(4)
	v_fma_f64 v[9:10], v[10:11], v[63:64], -v[22:23]
	v_add_f64 v[1:2], v[18:19], v[1:2]
	v_add_f64 v[3:4], v[14:15], v[3:4]
	;; [unrolled: 1-line block ×3, first 2 shown]
	v_fma_f64 v[5:6], v[12:13], v[63:64], v[20:21]
	v_add_f64 v[3:4], v[3:4], v[7:8]
	v_add_f64 v[1:2], v[1:2], v[9:10]
	;; [unrolled: 1-line block ×3, first 2 shown]
	s_waitcnt vmcnt(2)
	v_add_f64 v[1:2], v[89:90], -v[1:2]
	s_waitcnt vmcnt(0)
	v_add_f64 v[3:4], v[91:92], -v[3:4]
	buffer_store_dword v2, off, s[0:3], 0 offset:708
	buffer_store_dword v1, off, s[0:3], 0 offset:704
	buffer_store_dword v4, off, s[0:3], 0 offset:716
	buffer_store_dword v3, off, s[0:3], 0 offset:712
	v_cmpx_lt_u32_e32 42, v0
	s_cbranch_execz .LBB55_265
; %bb.264:
	v_mov_b32_e32 v4, s25
	v_mov_b32_e32 v5, 0
	s_clause 0x3
	buffer_load_dword v1, v4, s[0:3], 0 offen
	buffer_load_dword v2, v4, s[0:3], 0 offen offset:4
	buffer_load_dword v3, v4, s[0:3], 0 offen offset:8
	;; [unrolled: 1-line block ×3, first 2 shown]
	buffer_store_dword v5, off, s[0:3], 0 offset:688
	buffer_store_dword v5, off, s[0:3], 0 offset:692
	;; [unrolled: 1-line block ×4, first 2 shown]
	s_waitcnt vmcnt(0)
	ds_write_b128 v97, v[1:4]
.LBB55_265:
	s_or_b32 exec_lo, exec_lo, s4
	s_waitcnt lgkmcnt(0)
	s_waitcnt_vscnt null, 0x0
	s_barrier
	buffer_gl0_inv
	s_clause 0x33
	buffer_load_dword v10, off, s[0:3], 0 offset:712
	buffer_load_dword v11, off, s[0:3], 0 offset:716
	;; [unrolled: 1-line block ×52, first 2 shown]
	v_mov_b32_e32 v1, 0
	ds_read_b128 v[2:5], v1 offset:1584
	ds_read_b128 v[6:9], v1 offset:1600
	s_clause 0x3
	buffer_load_dword v98, off, s[0:3], 0 offset:688
	buffer_load_dword v99, off, s[0:3], 0 offset:692
	;; [unrolled: 1-line block ×4, first 2 shown]
	s_mov_b32 s4, exec_lo
	s_waitcnt vmcnt(54) lgkmcnt(1)
	v_mul_f64 v[93:94], v[4:5], v[10:11]
	v_mul_f64 v[95:96], v[2:3], v[10:11]
	s_waitcnt vmcnt(52) lgkmcnt(0)
	v_mul_f64 v[102:103], v[8:9], v[14:15]
	ds_read_b128 v[10:13], v1 offset:1616
	v_mul_f64 v[14:15], v[6:7], v[14:15]
	s_waitcnt vmcnt(50)
	v_fma_f64 v[93:94], v[2:3], v[16:17], -v[93:94]
	v_fma_f64 v[16:17], v[4:5], v[16:17], v[95:96]
	ds_read_b128 v[2:5], v1 offset:1632
	s_waitcnt vmcnt(48) lgkmcnt(1)
	v_mul_f64 v[95:96], v[10:11], v[18:19]
	v_mul_f64 v[18:19], v[12:13], v[18:19]
	s_waitcnt vmcnt(46)
	v_fma_f64 v[102:103], v[6:7], v[20:21], -v[102:103]
	v_fma_f64 v[14:15], v[8:9], v[20:21], v[14:15]
	ds_read_b128 v[6:9], v1 offset:1648
	s_waitcnt vmcnt(42) lgkmcnt(1)
	v_mul_f64 v[20:21], v[2:3], v[22:23]
	v_add_f64 v[93:94], v[93:94], 0
	v_add_f64 v[16:17], v[16:17], 0
	v_mul_f64 v[22:23], v[4:5], v[22:23]
	s_waitcnt vmcnt(40)
	v_fma_f64 v[18:19], v[10:11], v[28:29], -v[18:19]
	v_fma_f64 v[28:29], v[12:13], v[28:29], v[95:96]
	ds_read_b128 v[10:13], v1 offset:1664
	s_waitcnt vmcnt(37)
	v_fma_f64 v[20:21], v[4:5], v[30:31], v[20:21]
	v_add_f64 v[93:94], v[93:94], v[102:103]
	v_add_f64 v[14:15], v[16:17], v[14:15]
	s_waitcnt lgkmcnt(1)
	v_mul_f64 v[16:17], v[6:7], v[24:25]
	v_mul_f64 v[24:25], v[8:9], v[24:25]
	v_fma_f64 v[22:23], v[2:3], v[30:31], -v[22:23]
	s_waitcnt vmcnt(33) lgkmcnt(0)
	v_mul_f64 v[30:31], v[12:13], v[32:33]
	ds_read_b128 v[2:5], v1 offset:1680
	v_add_f64 v[18:19], v[93:94], v[18:19]
	v_add_f64 v[14:15], v[14:15], v[28:29]
	v_mul_f64 v[28:29], v[10:11], v[32:33]
	s_waitcnt vmcnt(32)
	v_fma_f64 v[24:25], v[6:7], v[26:27], -v[24:25]
	v_fma_f64 v[16:17], v[8:9], v[26:27], v[16:17]
	ds_read_b128 v[6:9], v1 offset:1696
	s_waitcnt vmcnt(29)
	v_fma_f64 v[26:27], v[10:11], v[38:39], -v[30:31]
	v_add_f64 v[18:19], v[18:19], v[22:23]
	v_add_f64 v[14:15], v[14:15], v[20:21]
	s_waitcnt lgkmcnt(1)
	v_mul_f64 v[22:23], v[4:5], v[34:35]
	v_mul_f64 v[20:21], v[2:3], v[34:35]
	v_add_f64 v[18:19], v[18:19], v[24:25]
	v_fma_f64 v[24:25], v[12:13], v[38:39], v[28:29]
	v_add_f64 v[14:15], v[14:15], v[16:17]
	s_waitcnt vmcnt(25) lgkmcnt(0)
	v_mul_f64 v[28:29], v[8:9], v[40:41]
	s_waitcnt vmcnt(24)
	v_fma_f64 v[22:23], v[2:3], v[36:37], -v[22:23]
	ds_read_b128 v[10:13], v1 offset:1712
	v_mul_f64 v[16:17], v[6:7], v[40:41]
	v_fma_f64 v[20:21], v[4:5], v[36:37], v[20:21]
	ds_read_b128 v[2:5], v1 offset:1728
	v_add_f64 v[18:19], v[18:19], v[26:27]
	v_add_f64 v[14:15], v[14:15], v[24:25]
	s_waitcnt vmcnt(23) lgkmcnt(1)
	v_mul_f64 v[26:27], v[12:13], v[42:43]
	s_waitcnt vmcnt(21)
	v_fma_f64 v[28:29], v[6:7], v[46:47], -v[28:29]
	v_mul_f64 v[24:25], v[10:11], v[42:43]
	v_fma_f64 v[16:17], v[8:9], v[46:47], v[16:17]
	ds_read_b128 v[6:9], v1 offset:1744
	v_add_f64 v[18:19], v[18:19], v[22:23]
	s_waitcnt vmcnt(17) lgkmcnt(1)
	v_mul_f64 v[22:23], v[4:5], v[48:49]
	v_add_f64 v[14:15], v[14:15], v[20:21]
	s_waitcnt vmcnt(16)
	v_fma_f64 v[26:27], v[10:11], v[44:45], -v[26:27]
	v_mul_f64 v[20:21], v[2:3], v[48:49]
	v_fma_f64 v[24:25], v[12:13], v[44:45], v[24:25]
	ds_read_b128 v[10:13], v1 offset:1760
	v_add_f64 v[18:19], v[18:19], v[28:29]
	s_waitcnt vmcnt(15) lgkmcnt(1)
	v_mul_f64 v[28:29], v[8:9], v[50:51]
	v_add_f64 v[14:15], v[14:15], v[16:17]
	;; [unrolled: 9-line block ×3, first 2 shown]
	s_waitcnt vmcnt(8)
	v_fma_f64 v[6:7], v[6:7], v[52:53], -v[28:29]
	v_mul_f64 v[24:25], v[10:11], v[61:62]
	v_fma_f64 v[8:9], v[8:9], v[52:53], v[16:17]
	s_waitcnt vmcnt(7) lgkmcnt(0)
	v_mul_f64 v[16:17], v[2:3], v[63:64]
	v_add_f64 v[18:19], v[18:19], v[22:23]
	s_waitcnt vmcnt(5)
	v_fma_f64 v[10:11], v[10:11], v[91:92], -v[26:27]
	v_add_f64 v[14:15], v[14:15], v[20:21]
	v_mul_f64 v[20:21], v[4:5], v[63:64]
	v_fma_f64 v[12:13], v[12:13], v[91:92], v[24:25]
	s_waitcnt vmcnt(4)
	v_fma_f64 v[4:5], v[4:5], v[89:90], v[16:17]
	v_add_f64 v[6:7], v[18:19], v[6:7]
	v_add_f64 v[8:9], v[14:15], v[8:9]
	v_fma_f64 v[2:3], v[2:3], v[89:90], -v[20:21]
	v_add_f64 v[6:7], v[6:7], v[10:11]
	v_add_f64 v[8:9], v[8:9], v[12:13]
	;; [unrolled: 1-line block ×4, first 2 shown]
	s_waitcnt vmcnt(2)
	v_add_f64 v[2:3], v[98:99], -v[2:3]
	s_waitcnt vmcnt(0)
	v_add_f64 v[4:5], v[100:101], -v[4:5]
	buffer_store_dword v3, off, s[0:3], 0 offset:692
	buffer_store_dword v2, off, s[0:3], 0 offset:688
	;; [unrolled: 1-line block ×4, first 2 shown]
	v_cmpx_lt_u32_e32 41, v0
	s_cbranch_execz .LBB55_267
; %bb.266:
	v_mov_b32_e32 v5, s26
	s_clause 0x3
	buffer_load_dword v2, v5, s[0:3], 0 offen
	buffer_load_dword v3, v5, s[0:3], 0 offen offset:4
	buffer_load_dword v4, v5, s[0:3], 0 offen offset:8
	;; [unrolled: 1-line block ×3, first 2 shown]
	buffer_store_dword v1, off, s[0:3], 0 offset:672
	buffer_store_dword v1, off, s[0:3], 0 offset:676
	;; [unrolled: 1-line block ×4, first 2 shown]
	s_waitcnt vmcnt(0)
	ds_write_b128 v97, v[2:5]
.LBB55_267:
	s_or_b32 exec_lo, exec_lo, s4
	s_waitcnt lgkmcnt(0)
	s_waitcnt_vscnt null, 0x0
	s_barrier
	buffer_gl0_inv
	s_clause 0x35
	buffer_load_dword v10, off, s[0:3], 0 offset:696
	buffer_load_dword v11, off, s[0:3], 0 offset:700
	;; [unrolled: 1-line block ×54, first 2 shown]
	ds_read_b128 v[2:5], v1 offset:1568
	s_clause 0x1
	buffer_load_dword v96, off, s[0:3], 0 offset:900
	buffer_load_dword v95, off, s[0:3], 0 offset:896
	ds_read_b128 v[6:9], v1 offset:1584
	s_mov_b32 s4, exec_lo
	s_waitcnt vmcnt(54) lgkmcnt(1)
	v_mul_f64 v[98:99], v[4:5], v[10:11]
	v_mul_f64 v[100:101], v[2:3], v[10:11]
	ds_read_b128 v[10:13], v1 offset:1600
	s_waitcnt vmcnt(52) lgkmcnt(1)
	v_mul_f64 v[102:103], v[8:9], v[14:15]
	v_mul_f64 v[14:15], v[6:7], v[14:15]
	s_waitcnt vmcnt(48) lgkmcnt(0)
	v_mul_f64 v[106:107], v[10:11], v[18:19]
	v_fma_f64 v[98:99], v[2:3], v[16:17], -v[98:99]
	v_fma_f64 v[16:17], v[4:5], v[16:17], v[100:101]
	s_clause 0x3
	buffer_load_dword v100, off, s[0:3], 0 offset:672
	buffer_load_dword v101, off, s[0:3], 0 offset:676
	;; [unrolled: 1-line block ×4, first 2 shown]
	v_mul_f64 v[18:19], v[12:13], v[18:19]
	s_waitcnt vmcnt(50)
	v_fma_f64 v[102:103], v[6:7], v[20:21], -v[102:103]
	ds_read_b128 v[2:5], v1 offset:1616
	v_fma_f64 v[14:15], v[8:9], v[20:21], v[14:15]
	ds_read_b128 v[6:9], v1 offset:1632
	v_add_f64 v[98:99], v[98:99], 0
	v_add_f64 v[16:17], v[16:17], 0
	s_waitcnt vmcnt(48) lgkmcnt(1)
	v_mul_f64 v[20:21], v[2:3], v[22:23]
	v_mul_f64 v[22:23], v[4:5], v[22:23]
	s_waitcnt vmcnt(46)
	v_fma_f64 v[18:19], v[10:11], v[24:25], -v[18:19]
	v_fma_f64 v[24:25], v[12:13], v[24:25], v[106:107]
	ds_read_b128 v[10:13], v1 offset:1648
	v_add_f64 v[98:99], v[98:99], v[102:103]
	v_add_f64 v[14:15], v[16:17], v[14:15]
	s_waitcnt vmcnt(44) lgkmcnt(1)
	v_mul_f64 v[16:17], v[6:7], v[26:27]
	v_mul_f64 v[26:27], v[8:9], v[26:27]
	s_waitcnt vmcnt(42)
	v_fma_f64 v[22:23], v[2:3], v[28:29], -v[22:23]
	v_fma_f64 v[20:21], v[4:5], v[28:29], v[20:21]
	ds_read_b128 v[2:5], v1 offset:1664
	s_waitcnt vmcnt(40) lgkmcnt(1)
	v_mul_f64 v[28:29], v[12:13], v[30:31]
	v_add_f64 v[18:19], v[98:99], v[18:19]
	v_add_f64 v[14:15], v[14:15], v[24:25]
	v_mul_f64 v[24:25], v[10:11], v[30:31]
	s_waitcnt vmcnt(38)
	v_fma_f64 v[26:27], v[6:7], v[32:33], -v[26:27]
	v_fma_f64 v[16:17], v[8:9], v[32:33], v[16:17]
	ds_read_b128 v[6:9], v1 offset:1680
	s_waitcnt vmcnt(34)
	v_fma_f64 v[28:29], v[10:11], v[36:37], -v[28:29]
	v_add_f64 v[18:19], v[18:19], v[22:23]
	v_add_f64 v[14:15], v[14:15], v[20:21]
	s_waitcnt lgkmcnt(1)
	v_mul_f64 v[22:23], v[4:5], v[34:35]
	v_mul_f64 v[20:21], v[2:3], v[34:35]
	v_fma_f64 v[24:25], v[12:13], v[36:37], v[24:25]
	ds_read_b128 v[10:13], v1 offset:1696
	v_add_f64 v[18:19], v[18:19], v[26:27]
	v_add_f64 v[14:15], v[14:15], v[16:17]
	s_waitcnt vmcnt(32) lgkmcnt(1)
	v_mul_f64 v[26:27], v[8:9], v[38:39]
	s_waitcnt vmcnt(30)
	v_fma_f64 v[22:23], v[2:3], v[40:41], -v[22:23]
	v_mul_f64 v[16:17], v[6:7], v[38:39]
	v_fma_f64 v[20:21], v[4:5], v[40:41], v[20:21]
	ds_read_b128 v[2:5], v1 offset:1712
	v_add_f64 v[18:19], v[18:19], v[28:29]
	v_add_f64 v[14:15], v[14:15], v[24:25]
	s_waitcnt vmcnt(28) lgkmcnt(1)
	v_mul_f64 v[28:29], v[12:13], v[42:43]
	s_waitcnt vmcnt(26)
	v_fma_f64 v[26:27], v[6:7], v[44:45], -v[26:27]
	;; [unrolled: 9-line block ×6, first 2 shown]
	v_mul_f64 v[20:21], v[2:3], v[63:64]
	v_fma_f64 v[12:13], v[12:13], v[89:90], v[24:25]
	s_waitcnt vmcnt(8) lgkmcnt(0)
	v_mul_f64 v[24:25], v[8:9], v[91:92]
	v_add_f64 v[18:19], v[18:19], v[26:27]
	v_add_f64 v[14:15], v[14:15], v[16:17]
	s_waitcnt vmcnt(6)
	v_fma_f64 v[1:2], v[2:3], v[93:94], -v[22:23]
	v_mul_f64 v[16:17], v[6:7], v[91:92]
	v_fma_f64 v[3:4], v[4:5], v[93:94], v[20:21]
	s_waitcnt vmcnt(4)
	v_fma_f64 v[5:6], v[6:7], v[95:96], -v[24:25]
	v_add_f64 v[10:11], v[18:19], v[10:11]
	v_add_f64 v[12:13], v[14:15], v[12:13]
	v_fma_f64 v[7:8], v[8:9], v[95:96], v[16:17]
	v_add_f64 v[1:2], v[10:11], v[1:2]
	v_add_f64 v[3:4], v[12:13], v[3:4]
	;; [unrolled: 1-line block ×4, first 2 shown]
	s_waitcnt vmcnt(2)
	v_add_f64 v[1:2], v[100:101], -v[1:2]
	s_waitcnt vmcnt(0)
	v_add_f64 v[3:4], v[104:105], -v[3:4]
	buffer_store_dword v2, off, s[0:3], 0 offset:676
	buffer_store_dword v1, off, s[0:3], 0 offset:672
	;; [unrolled: 1-line block ×4, first 2 shown]
	v_cmpx_lt_u32_e32 40, v0
	s_cbranch_execz .LBB55_269
; %bb.268:
	v_mov_b32_e32 v4, s27
	v_mov_b32_e32 v5, 0
	s_clause 0x3
	buffer_load_dword v1, v4, s[0:3], 0 offen
	buffer_load_dword v2, v4, s[0:3], 0 offen offset:4
	buffer_load_dword v3, v4, s[0:3], 0 offen offset:8
	;; [unrolled: 1-line block ×3, first 2 shown]
	buffer_store_dword v5, off, s[0:3], 0 offset:656
	buffer_store_dword v5, off, s[0:3], 0 offset:660
	buffer_store_dword v5, off, s[0:3], 0 offset:664
	buffer_store_dword v5, off, s[0:3], 0 offset:668
	s_waitcnt vmcnt(0)
	ds_write_b128 v97, v[1:4]
.LBB55_269:
	s_or_b32 exec_lo, exec_lo, s4
	s_waitcnt lgkmcnt(0)
	s_waitcnt_vscnt null, 0x0
	s_barrier
	buffer_gl0_inv
	s_clause 0x37
	buffer_load_dword v10, off, s[0:3], 0 offset:680
	buffer_load_dword v11, off, s[0:3], 0 offset:684
	;; [unrolled: 1-line block ×56, first 2 shown]
	v_mov_b32_e32 v1, 0
	s_mov_b32 s4, exec_lo
	ds_read_b128 v[2:5], v1 offset:1552
	s_clause 0x2
	buffer_load_dword v96, off, s[0:3], 0 offset:908
	buffer_load_dword v101, off, s[0:3], 0 offset:884
	;; [unrolled: 1-line block ×3, first 2 shown]
	ds_read_b128 v[6:9], v1 offset:1568
	buffer_load_dword v99, off, s[0:3], 0 offset:900
	s_waitcnt vmcnt(58) lgkmcnt(1)
	v_mul_f64 v[102:103], v[4:5], v[10:11]
	v_mul_f64 v[104:105], v[2:3], v[10:11]
	ds_read_b128 v[10:13], v1 offset:1584
	s_waitcnt vmcnt(56) lgkmcnt(1)
	v_mul_f64 v[106:107], v[8:9], v[14:15]
	v_mul_f64 v[14:15], v[6:7], v[14:15]
	s_waitcnt vmcnt(54)
	v_fma_f64 v[102:103], v[2:3], v[16:17], -v[102:103]
	v_fma_f64 v[16:17], v[4:5], v[16:17], v[104:105]
	s_waitcnt vmcnt(52) lgkmcnt(0)
	v_mul_f64 v[104:105], v[10:11], v[18:19]
	v_mul_f64 v[18:19], v[12:13], v[18:19]
	s_waitcnt vmcnt(50)
	v_fma_f64 v[106:107], v[6:7], v[20:21], -v[106:107]
	ds_read_b128 v[2:5], v1 offset:1600
	v_fma_f64 v[14:15], v[8:9], v[20:21], v[14:15]
	s_clause 0x3
	buffer_load_dword v20, off, s[0:3], 0 offset:656
	buffer_load_dword v21, off, s[0:3], 0 offset:660
	;; [unrolled: 1-line block ×4, first 2 shown]
	ds_read_b128 v[6:9], v1 offset:1616
	v_add_f64 v[102:103], v[102:103], 0
	v_add_f64 v[16:17], v[16:17], 0
	s_waitcnt vmcnt(50) lgkmcnt(1)
	v_mul_f64 v[110:111], v[2:3], v[22:23]
	v_mul_f64 v[22:23], v[4:5], v[22:23]
	s_waitcnt vmcnt(48)
	v_fma_f64 v[18:19], v[10:11], v[28:29], -v[18:19]
	v_fma_f64 v[28:29], v[12:13], v[28:29], v[104:105]
	ds_read_b128 v[10:13], v1 offset:1632
	v_add_f64 v[102:103], v[102:103], v[106:107]
	v_add_f64 v[14:15], v[16:17], v[14:15]
	s_waitcnt vmcnt(47) lgkmcnt(1)
	v_mul_f64 v[16:17], v[6:7], v[24:25]
	v_mul_f64 v[24:25], v[8:9], v[24:25]
	s_waitcnt vmcnt(45)
	v_fma_f64 v[22:23], v[2:3], v[30:31], -v[22:23]
	v_fma_f64 v[30:31], v[4:5], v[30:31], v[110:111]
	;; [unrolled: 9-line block ×3, first 2 shown]
	ds_read_b128 v[6:9], v1 offset:1664
	s_waitcnt vmcnt(39) lgkmcnt(1)
	v_mul_f64 v[26:27], v[4:5], v[34:35]
	v_add_f64 v[18:19], v[18:19], v[22:23]
	v_add_f64 v[14:15], v[14:15], v[30:31]
	v_mul_f64 v[22:23], v[2:3], v[34:35]
	s_waitcnt vmcnt(37)
	v_fma_f64 v[30:31], v[10:11], v[38:39], -v[32:33]
	s_waitcnt vmcnt(32)
	v_fma_f64 v[26:27], v[2:3], v[36:37], -v[26:27]
	v_add_f64 v[18:19], v[18:19], v[24:25]
	v_fma_f64 v[24:25], v[12:13], v[38:39], v[28:29]
	v_add_f64 v[14:15], v[14:15], v[16:17]
	s_waitcnt lgkmcnt(0)
	v_mul_f64 v[28:29], v[8:9], v[40:41]
	ds_read_b128 v[10:13], v1 offset:1680
	v_mul_f64 v[16:17], v[6:7], v[40:41]
	v_fma_f64 v[22:23], v[4:5], v[36:37], v[22:23]
	ds_read_b128 v[2:5], v1 offset:1696
	v_add_f64 v[18:19], v[18:19], v[30:31]
	v_add_f64 v[14:15], v[14:15], v[24:25]
	s_waitcnt vmcnt(31) lgkmcnt(1)
	v_mul_f64 v[30:31], v[12:13], v[42:43]
	s_waitcnt vmcnt(29)
	v_fma_f64 v[28:29], v[6:7], v[46:47], -v[28:29]
	v_mul_f64 v[24:25], v[10:11], v[42:43]
	v_fma_f64 v[16:17], v[8:9], v[46:47], v[16:17]
	ds_read_b128 v[6:9], v1 offset:1712
	v_add_f64 v[18:19], v[18:19], v[26:27]
	s_waitcnt vmcnt(25) lgkmcnt(1)
	v_mul_f64 v[26:27], v[4:5], v[48:49]
	v_add_f64 v[14:15], v[14:15], v[22:23]
	s_waitcnt vmcnt(24)
	v_fma_f64 v[30:31], v[10:11], v[44:45], -v[30:31]
	v_mul_f64 v[22:23], v[2:3], v[48:49]
	v_fma_f64 v[24:25], v[12:13], v[44:45], v[24:25]
	ds_read_b128 v[10:13], v1 offset:1728
	v_add_f64 v[18:19], v[18:19], v[28:29]
	s_waitcnt vmcnt(23) lgkmcnt(1)
	v_mul_f64 v[28:29], v[8:9], v[50:51]
	v_add_f64 v[14:15], v[14:15], v[16:17]
	;; [unrolled: 9-line block ×5, first 2 shown]
	s_waitcnt vmcnt(8)
	v_fma_f64 v[2:3], v[2:3], v[89:90], -v[26:27]
	v_mul_f64 v[16:17], v[6:7], v[93:94]
	v_fma_f64 v[4:5], v[4:5], v[89:90], v[22:23]
	s_waitcnt vmcnt(7) lgkmcnt(0)
	v_mul_f64 v[22:23], v[10:11], v[95:96]
	v_add_f64 v[18:19], v[18:19], v[30:31]
	s_waitcnt vmcnt(5)
	v_fma_f64 v[6:7], v[6:7], v[100:101], -v[28:29]
	v_add_f64 v[14:15], v[14:15], v[24:25]
	v_mul_f64 v[24:25], v[12:13], v[95:96]
	v_fma_f64 v[8:9], v[8:9], v[100:101], v[16:17]
	v_add_f64 v[2:3], v[18:19], v[2:3]
	v_add_f64 v[4:5], v[14:15], v[4:5]
	s_waitcnt vmcnt(4)
	v_fma_f64 v[10:11], v[10:11], v[98:99], -v[24:25]
	v_add_f64 v[2:3], v[2:3], v[6:7]
	v_fma_f64 v[6:7], v[12:13], v[98:99], v[22:23]
	v_add_f64 v[4:5], v[4:5], v[8:9]
	v_add_f64 v[2:3], v[2:3], v[10:11]
	;; [unrolled: 1-line block ×3, first 2 shown]
	s_waitcnt vmcnt(2)
	v_add_f64 v[2:3], v[20:21], -v[2:3]
	s_waitcnt vmcnt(0)
	v_add_f64 v[4:5], v[108:109], -v[4:5]
	buffer_store_dword v3, off, s[0:3], 0 offset:660
	buffer_store_dword v2, off, s[0:3], 0 offset:656
	;; [unrolled: 1-line block ×4, first 2 shown]
	v_cmpx_lt_u32_e32 39, v0
	s_cbranch_execz .LBB55_271
; %bb.270:
	v_mov_b32_e32 v5, s28
	s_clause 0x3
	buffer_load_dword v2, v5, s[0:3], 0 offen
	buffer_load_dword v3, v5, s[0:3], 0 offen offset:4
	buffer_load_dword v4, v5, s[0:3], 0 offen offset:8
	;; [unrolled: 1-line block ×3, first 2 shown]
	buffer_store_dword v1, off, s[0:3], 0 offset:640
	buffer_store_dword v1, off, s[0:3], 0 offset:644
	;; [unrolled: 1-line block ×4, first 2 shown]
	s_waitcnt vmcnt(0)
	ds_write_b128 v97, v[2:5]
.LBB55_271:
	s_or_b32 exec_lo, exec_lo, s4
	s_waitcnt lgkmcnt(0)
	s_waitcnt_vscnt null, 0x0
	s_barrier
	buffer_gl0_inv
	s_clause 0x37
	buffer_load_dword v10, off, s[0:3], 0 offset:664
	buffer_load_dword v11, off, s[0:3], 0 offset:668
	;; [unrolled: 1-line block ×56, first 2 shown]
	ds_read_b128 v[2:5], v1 offset:1536
	s_clause 0x2
	buffer_load_dword v96, off, s[0:3], 0 offset:892
	buffer_load_dword v101, off, s[0:3], 0 offset:868
	;; [unrolled: 1-line block ×3, first 2 shown]
	ds_read_b128 v[6:9], v1 offset:1552
	s_clause 0x2
	buffer_load_dword v107, off, s[0:3], 0 offset:908
	buffer_load_dword v106, off, s[0:3], 0 offset:904
	;; [unrolled: 1-line block ×3, first 2 shown]
	s_mov_b32 s4, exec_lo
	s_waitcnt vmcnt(60) lgkmcnt(1)
	v_mul_f64 v[102:103], v[4:5], v[10:11]
	v_mul_f64 v[104:105], v[2:3], v[10:11]
	s_waitcnt vmcnt(58) lgkmcnt(0)
	v_mul_f64 v[108:109], v[8:9], v[14:15]
	ds_read_b128 v[10:13], v1 offset:1568
	v_mul_f64 v[14:15], v[6:7], v[14:15]
	s_waitcnt vmcnt(56)
	v_fma_f64 v[102:103], v[2:3], v[16:17], -v[102:103]
	v_fma_f64 v[16:17], v[4:5], v[16:17], v[104:105]
	s_clause 0x1
	buffer_load_dword v105, off, s[0:3], 0 offset:900
	buffer_load_dword v104, off, s[0:3], 0 offset:896
	s_waitcnt vmcnt(56) lgkmcnt(0)
	v_mul_f64 v[110:111], v[10:11], v[18:19]
	v_mul_f64 v[18:19], v[12:13], v[18:19]
	s_waitcnt vmcnt(54)
	v_fma_f64 v[108:109], v[6:7], v[20:21], -v[108:109]
	ds_read_b128 v[2:5], v1 offset:1584
	v_fma_f64 v[14:15], v[8:9], v[20:21], v[14:15]
	ds_read_b128 v[6:9], v1 offset:1600
	v_add_f64 v[102:103], v[102:103], 0
	v_add_f64 v[16:17], v[16:17], 0
	s_waitcnt vmcnt(50) lgkmcnt(1)
	v_mul_f64 v[20:21], v[2:3], v[22:23]
	v_mul_f64 v[22:23], v[4:5], v[22:23]
	s_waitcnt vmcnt(48)
	v_fma_f64 v[18:19], v[10:11], v[28:29], -v[18:19]
	v_fma_f64 v[28:29], v[12:13], v[28:29], v[110:111]
	s_waitcnt vmcnt(47) lgkmcnt(0)
	v_mul_f64 v[110:111], v[6:7], v[24:25]
	v_mul_f64 v[24:25], v[8:9], v[24:25]
	v_add_f64 v[102:103], v[102:103], v[108:109]
	v_add_f64 v[14:15], v[16:17], v[14:15]
	s_clause 0x3
	buffer_load_dword v16, off, s[0:3], 0 offset:640
	buffer_load_dword v17, off, s[0:3], 0 offset:644
	;; [unrolled: 1-line block ×4, first 2 shown]
	ds_read_b128 v[10:13], v1 offset:1616
	s_waitcnt vmcnt(49)
	v_fma_f64 v[20:21], v[4:5], v[30:31], v[20:21]
	v_fma_f64 v[22:23], v[2:3], v[30:31], -v[22:23]
	ds_read_b128 v[2:5], v1 offset:1632
	s_waitcnt vmcnt(44)
	v_fma_f64 v[24:25], v[6:7], v[26:27], -v[24:25]
	v_add_f64 v[18:19], v[102:103], v[18:19]
	v_add_f64 v[14:15], v[14:15], v[28:29]
	s_waitcnt lgkmcnt(1)
	v_mul_f64 v[30:31], v[12:13], v[32:33]
	v_mul_f64 v[28:29], v[10:11], v[32:33]
	v_add_f64 v[18:19], v[18:19], v[22:23]
	v_fma_f64 v[22:23], v[8:9], v[26:27], v[110:111]
	v_add_f64 v[14:15], v[14:15], v[20:21]
	s_waitcnt vmcnt(43) lgkmcnt(0)
	v_mul_f64 v[26:27], v[4:5], v[34:35]
	s_waitcnt vmcnt(41)
	v_fma_f64 v[30:31], v[10:11], v[38:39], -v[30:31]
	ds_read_b128 v[6:9], v1 offset:1648
	v_mul_f64 v[20:21], v[2:3], v[34:35]
	v_add_f64 v[18:19], v[18:19], v[24:25]
	v_fma_f64 v[24:25], v[12:13], v[38:39], v[28:29]
	v_add_f64 v[14:15], v[14:15], v[22:23]
	ds_read_b128 v[10:13], v1 offset:1664
	s_waitcnt vmcnt(37) lgkmcnt(1)
	v_mul_f64 v[28:29], v[8:9], v[40:41]
	s_waitcnt vmcnt(36)
	v_fma_f64 v[26:27], v[2:3], v[36:37], -v[26:27]
	v_mul_f64 v[22:23], v[6:7], v[40:41]
	v_fma_f64 v[20:21], v[4:5], v[36:37], v[20:21]
	ds_read_b128 v[2:5], v1 offset:1680
	v_add_f64 v[18:19], v[18:19], v[30:31]
	s_waitcnt vmcnt(35) lgkmcnt(1)
	v_mul_f64 v[30:31], v[12:13], v[42:43]
	v_add_f64 v[14:15], v[14:15], v[24:25]
	v_mul_f64 v[24:25], v[10:11], v[42:43]
	s_waitcnt vmcnt(33)
	v_fma_f64 v[28:29], v[6:7], v[46:47], -v[28:29]
	v_fma_f64 v[22:23], v[8:9], v[46:47], v[22:23]
	ds_read_b128 v[6:9], v1 offset:1696
	v_add_f64 v[18:19], v[18:19], v[26:27]
	s_waitcnt vmcnt(29) lgkmcnt(1)
	v_mul_f64 v[26:27], v[4:5], v[48:49]
	v_add_f64 v[14:15], v[14:15], v[20:21]
	s_waitcnt vmcnt(28)
	v_fma_f64 v[30:31], v[10:11], v[44:45], -v[30:31]
	v_mul_f64 v[20:21], v[2:3], v[48:49]
	v_fma_f64 v[24:25], v[12:13], v[44:45], v[24:25]
	ds_read_b128 v[10:13], v1 offset:1712
	v_add_f64 v[18:19], v[18:19], v[28:29]
	s_waitcnt vmcnt(27) lgkmcnt(1)
	v_mul_f64 v[28:29], v[8:9], v[50:51]
	v_add_f64 v[14:15], v[14:15], v[22:23]
	s_waitcnt vmcnt(25)
	v_fma_f64 v[26:27], v[2:3], v[54:55], -v[26:27]
	v_mul_f64 v[22:23], v[6:7], v[50:51]
	;; [unrolled: 9-line block ×6, first 2 shown]
	v_fma_f64 v[7:8], v[8:9], v[100:101], v[22:23]
	s_waitcnt vmcnt(7) lgkmcnt(0)
	v_mul_f64 v[22:23], v[3:4], v[106:107]
	v_add_f64 v[18:19], v[18:19], v[26:27]
	s_waitcnt vmcnt(6)
	v_fma_f64 v[9:10], v[10:11], v[98:99], -v[30:31]
	v_add_f64 v[14:15], v[14:15], v[20:21]
	v_mul_f64 v[20:21], v[1:2], v[106:107]
	v_fma_f64 v[11:12], v[12:13], v[98:99], v[24:25]
	v_add_f64 v[5:6], v[18:19], v[5:6]
	v_add_f64 v[7:8], v[14:15], v[7:8]
	s_waitcnt vmcnt(4)
	v_fma_f64 v[1:2], v[1:2], v[104:105], -v[22:23]
	v_fma_f64 v[3:4], v[3:4], v[104:105], v[20:21]
	v_add_f64 v[5:6], v[5:6], v[9:10]
	v_add_f64 v[7:8], v[7:8], v[11:12]
	;; [unrolled: 1-line block ×4, first 2 shown]
	s_waitcnt vmcnt(2)
	v_add_f64 v[1:2], v[16:17], -v[1:2]
	s_waitcnt vmcnt(0)
	v_add_f64 v[3:4], v[108:109], -v[3:4]
	buffer_store_dword v2, off, s[0:3], 0 offset:644
	buffer_store_dword v1, off, s[0:3], 0 offset:640
	buffer_store_dword v4, off, s[0:3], 0 offset:652
	buffer_store_dword v3, off, s[0:3], 0 offset:648
	v_cmpx_lt_u32_e32 38, v0
	s_cbranch_execz .LBB55_273
; %bb.272:
	v_mov_b32_e32 v4, s29
	v_mov_b32_e32 v5, 0
	s_clause 0x3
	buffer_load_dword v1, v4, s[0:3], 0 offen
	buffer_load_dword v2, v4, s[0:3], 0 offen offset:4
	buffer_load_dword v3, v4, s[0:3], 0 offen offset:8
	;; [unrolled: 1-line block ×3, first 2 shown]
	buffer_store_dword v5, off, s[0:3], 0 offset:624
	buffer_store_dword v5, off, s[0:3], 0 offset:628
	;; [unrolled: 1-line block ×4, first 2 shown]
	s_waitcnt vmcnt(0)
	ds_write_b128 v97, v[1:4]
.LBB55_273:
	s_or_b32 exec_lo, exec_lo, s4
	s_waitcnt lgkmcnt(0)
	s_waitcnt_vscnt null, 0x0
	s_barrier
	buffer_gl0_inv
	s_clause 0x37
	buffer_load_dword v10, off, s[0:3], 0 offset:648
	buffer_load_dword v11, off, s[0:3], 0 offset:652
	;; [unrolled: 1-line block ×56, first 2 shown]
	v_mov_b32_e32 v1, 0
	s_mov_b32 s4, exec_lo
	ds_read_b128 v[2:5], v1 offset:1520
	s_clause 0x2
	buffer_load_dword v96, off, s[0:3], 0 offset:876
	buffer_load_dword v101, off, s[0:3], 0 offset:852
	;; [unrolled: 1-line block ×3, first 2 shown]
	ds_read_b128 v[6:9], v1 offset:1536
	s_clause 0x4
	buffer_load_dword v107, off, s[0:3], 0 offset:892
	buffer_load_dword v108, off, s[0:3], 0 offset:904
	;; [unrolled: 1-line block ×5, first 2 shown]
	s_waitcnt vmcnt(62) lgkmcnt(1)
	v_mul_f64 v[102:103], v[4:5], v[10:11]
	v_mul_f64 v[104:105], v[2:3], v[10:11]
	s_waitcnt vmcnt(60) lgkmcnt(0)
	v_mul_f64 v[111:112], v[8:9], v[14:15]
	ds_read_b128 v[10:13], v1 offset:1552
	v_mul_f64 v[14:15], v[6:7], v[14:15]
	s_waitcnt vmcnt(58)
	v_fma_f64 v[102:103], v[2:3], v[16:17], -v[102:103]
	v_fma_f64 v[16:17], v[4:5], v[16:17], v[104:105]
	s_clause 0x2
	buffer_load_dword v109, off, s[0:3], 0 offset:908
	buffer_load_dword v105, off, s[0:3], 0 offset:884
	;; [unrolled: 1-line block ×3, first 2 shown]
	s_waitcnt vmcnt(59) lgkmcnt(0)
	v_mul_f64 v[113:114], v[10:11], v[18:19]
	v_mul_f64 v[18:19], v[12:13], v[18:19]
	s_waitcnt vmcnt(57)
	v_fma_f64 v[115:116], v[6:7], v[20:21], -v[111:112]
	ds_read_b128 v[2:5], v1 offset:1568
	v_fma_f64 v[14:15], v[8:9], v[20:21], v[14:15]
	buffer_load_dword v111, off, s[0:3], 0 offset:900
	ds_read_b128 v[6:9], v1 offset:1584
	v_add_f64 v[102:103], v[102:103], 0
	v_add_f64 v[16:17], v[16:17], 0
	s_waitcnt vmcnt(54) lgkmcnt(1)
	v_mul_f64 v[20:21], v[2:3], v[22:23]
	v_mul_f64 v[22:23], v[4:5], v[22:23]
	s_waitcnt vmcnt(52)
	v_fma_f64 v[18:19], v[10:11], v[28:29], -v[18:19]
	v_fma_f64 v[28:29], v[12:13], v[28:29], v[113:114]
	ds_read_b128 v[10:13], v1 offset:1600
	v_add_f64 v[102:103], v[102:103], v[115:116]
	v_add_f64 v[14:15], v[16:17], v[14:15]
	s_waitcnt vmcnt(51) lgkmcnt(1)
	v_mul_f64 v[16:17], v[6:7], v[24:25]
	v_mul_f64 v[24:25], v[8:9], v[24:25]
	s_waitcnt vmcnt(49)
	v_fma_f64 v[20:21], v[4:5], v[30:31], v[20:21]
	v_fma_f64 v[22:23], v[2:3], v[30:31], -v[22:23]
	v_add_f64 v[18:19], v[102:103], v[18:19]
	v_add_f64 v[14:15], v[14:15], v[28:29]
	s_clause 0x3
	buffer_load_dword v28, off, s[0:3], 0 offset:624
	buffer_load_dword v29, off, s[0:3], 0 offset:628
	;; [unrolled: 1-line block ×4, first 2 shown]
	s_waitcnt vmcnt(49) lgkmcnt(0)
	v_mul_f64 v[102:103], v[10:11], v[32:33]
	v_mul_f64 v[32:33], v[12:13], v[32:33]
	s_waitcnt vmcnt(48)
	v_fma_f64 v[24:25], v[6:7], v[26:27], -v[24:25]
	ds_read_b128 v[2:5], v1 offset:1616
	v_fma_f64 v[16:17], v[8:9], v[26:27], v[16:17]
	ds_read_b128 v[6:9], v1 offset:1632
	v_add_f64 v[18:19], v[18:19], v[22:23]
	v_add_f64 v[14:15], v[14:15], v[20:21]
	s_waitcnt vmcnt(47) lgkmcnt(1)
	v_mul_f64 v[22:23], v[4:5], v[34:35]
	s_waitcnt vmcnt(45)
	v_fma_f64 v[26:27], v[10:11], v[38:39], -v[32:33]
	v_mul_f64 v[20:21], v[2:3], v[34:35]
	s_waitcnt vmcnt(41) lgkmcnt(0)
	v_mul_f64 v[32:33], v[8:9], v[40:41]
	v_add_f64 v[18:19], v[18:19], v[24:25]
	v_fma_f64 v[24:25], v[12:13], v[38:39], v[102:103]
	v_add_f64 v[14:15], v[14:15], v[16:17]
	ds_read_b128 v[10:13], v1 offset:1648
	s_waitcnt vmcnt(40)
	v_fma_f64 v[22:23], v[2:3], v[36:37], -v[22:23]
	v_mul_f64 v[16:17], v[6:7], v[40:41]
	v_fma_f64 v[20:21], v[4:5], v[36:37], v[20:21]
	ds_read_b128 v[2:5], v1 offset:1664
	s_waitcnt vmcnt(37)
	v_fma_f64 v[32:33], v[6:7], v[46:47], -v[32:33]
	v_add_f64 v[18:19], v[18:19], v[26:27]
	s_waitcnt lgkmcnt(1)
	v_mul_f64 v[26:27], v[12:13], v[42:43]
	v_add_f64 v[14:15], v[14:15], v[24:25]
	v_mul_f64 v[24:25], v[10:11], v[42:43]
	v_fma_f64 v[16:17], v[8:9], v[46:47], v[16:17]
	ds_read_b128 v[6:9], v1 offset:1680
	v_add_f64 v[18:19], v[18:19], v[22:23]
	s_waitcnt vmcnt(33) lgkmcnt(1)
	v_mul_f64 v[22:23], v[4:5], v[48:49]
	v_add_f64 v[14:15], v[14:15], v[20:21]
	s_waitcnt vmcnt(32)
	v_fma_f64 v[26:27], v[10:11], v[44:45], -v[26:27]
	v_mul_f64 v[20:21], v[2:3], v[48:49]
	v_fma_f64 v[24:25], v[12:13], v[44:45], v[24:25]
	ds_read_b128 v[10:13], v1 offset:1696
	v_add_f64 v[18:19], v[18:19], v[32:33]
	s_waitcnt vmcnt(31) lgkmcnt(1)
	v_mul_f64 v[32:33], v[8:9], v[50:51]
	v_add_f64 v[14:15], v[14:15], v[16:17]
	s_waitcnt vmcnt(29)
	v_fma_f64 v[22:23], v[2:3], v[54:55], -v[22:23]
	;; [unrolled: 9-line block ×7, first 2 shown]
	v_mul_f64 v[20:21], v[2:3], v[106:107]
	v_fma_f64 v[12:13], v[12:13], v[98:99], v[24:25]
	v_add_f64 v[18:19], v[18:19], v[32:33]
	v_add_f64 v[14:15], v[14:15], v[16:17]
	s_waitcnt vmcnt(7) lgkmcnt(0)
	v_mul_f64 v[24:25], v[8:9], v[108:109]
	v_mul_f64 v[16:17], v[6:7], v[108:109]
	s_waitcnt vmcnt(5)
	v_fma_f64 v[2:3], v[2:3], v[104:105], -v[22:23]
	v_fma_f64 v[4:5], v[4:5], v[104:105], v[20:21]
	v_add_f64 v[10:11], v[18:19], v[10:11]
	v_add_f64 v[12:13], v[14:15], v[12:13]
	s_waitcnt vmcnt(4)
	v_fma_f64 v[6:7], v[6:7], v[110:111], -v[24:25]
	v_fma_f64 v[8:9], v[8:9], v[110:111], v[16:17]
	v_add_f64 v[2:3], v[10:11], v[2:3]
	v_add_f64 v[4:5], v[12:13], v[4:5]
	v_add_f64 v[2:3], v[2:3], v[6:7]
	v_add_f64 v[4:5], v[4:5], v[8:9]
	s_waitcnt vmcnt(2)
	v_add_f64 v[2:3], v[28:29], -v[2:3]
	s_waitcnt vmcnt(0)
	v_add_f64 v[4:5], v[30:31], -v[4:5]
	buffer_store_dword v3, off, s[0:3], 0 offset:628
	buffer_store_dword v2, off, s[0:3], 0 offset:624
	;; [unrolled: 1-line block ×4, first 2 shown]
	v_cmpx_lt_u32_e32 37, v0
	s_cbranch_execz .LBB55_275
; %bb.274:
	v_mov_b32_e32 v5, s30
	s_clause 0x3
	buffer_load_dword v2, v5, s[0:3], 0 offen
	buffer_load_dword v3, v5, s[0:3], 0 offen offset:4
	buffer_load_dword v4, v5, s[0:3], 0 offen offset:8
	;; [unrolled: 1-line block ×3, first 2 shown]
	buffer_store_dword v1, off, s[0:3], 0 offset:608
	buffer_store_dword v1, off, s[0:3], 0 offset:612
	;; [unrolled: 1-line block ×4, first 2 shown]
	s_waitcnt vmcnt(0)
	ds_write_b128 v97, v[2:5]
.LBB55_275:
	s_or_b32 exec_lo, exec_lo, s4
	s_waitcnt lgkmcnt(0)
	s_waitcnt_vscnt null, 0x0
	s_barrier
	buffer_gl0_inv
	s_clause 0x37
	buffer_load_dword v10, off, s[0:3], 0 offset:632
	buffer_load_dword v11, off, s[0:3], 0 offset:636
	;; [unrolled: 1-line block ×56, first 2 shown]
	ds_read_b128 v[2:5], v1 offset:1504
	s_clause 0x2
	buffer_load_dword v96, off, s[0:3], 0 offset:860
	buffer_load_dword v101, off, s[0:3], 0 offset:836
	;; [unrolled: 1-line block ×3, first 2 shown]
	ds_read_b128 v[6:9], v1 offset:1520
	s_clause 0x4
	buffer_load_dword v107, off, s[0:3], 0 offset:876
	buffer_load_dword v108, off, s[0:3], 0 offset:888
	;; [unrolled: 1-line block ×5, first 2 shown]
	s_mov_b32 s4, exec_lo
	s_waitcnt vmcnt(62) lgkmcnt(1)
	v_mul_f64 v[102:103], v[4:5], v[10:11]
	v_mul_f64 v[104:105], v[2:3], v[10:11]
	s_waitcnt vmcnt(60) lgkmcnt(0)
	v_mul_f64 v[111:112], v[8:9], v[14:15]
	ds_read_b128 v[10:13], v1 offset:1536
	v_mul_f64 v[14:15], v[6:7], v[14:15]
	s_waitcnt vmcnt(58)
	v_fma_f64 v[102:103], v[2:3], v[16:17], -v[102:103]
	v_fma_f64 v[16:17], v[4:5], v[16:17], v[104:105]
	s_clause 0x2
	buffer_load_dword v109, off, s[0:3], 0 offset:892
	buffer_load_dword v105, off, s[0:3], 0 offset:868
	;; [unrolled: 1-line block ×3, first 2 shown]
	s_waitcnt vmcnt(59) lgkmcnt(0)
	v_mul_f64 v[113:114], v[10:11], v[18:19]
	v_mul_f64 v[18:19], v[12:13], v[18:19]
	s_waitcnt vmcnt(57)
	v_fma_f64 v[115:116], v[6:7], v[20:21], -v[111:112]
	ds_read_b128 v[2:5], v1 offset:1552
	v_fma_f64 v[14:15], v[8:9], v[20:21], v[14:15]
	s_clause 0x2
	buffer_load_dword v21, off, s[0:3], 0 offset:908
	buffer_load_dword v20, off, s[0:3], 0 offset:904
	buffer_load_dword v111, off, s[0:3], 0 offset:884
	ds_read_b128 v[6:9], v1 offset:1568
	v_add_f64 v[102:103], v[102:103], 0
	v_add_f64 v[16:17], v[16:17], 0
	s_waitcnt vmcnt(56) lgkmcnt(1)
	v_mul_f64 v[117:118], v[2:3], v[22:23]
	v_mul_f64 v[22:23], v[4:5], v[22:23]
	s_waitcnt vmcnt(54)
	v_fma_f64 v[18:19], v[10:11], v[28:29], -v[18:19]
	v_fma_f64 v[28:29], v[12:13], v[28:29], v[113:114]
	s_waitcnt vmcnt(53) lgkmcnt(0)
	v_mul_f64 v[112:113], v[6:7], v[24:25]
	v_mul_f64 v[24:25], v[8:9], v[24:25]
	v_add_f64 v[102:103], v[102:103], v[115:116]
	v_add_f64 v[14:15], v[16:17], v[14:15]
	s_clause 0x1
	buffer_load_dword v17, off, s[0:3], 0 offset:900
	buffer_load_dword v16, off, s[0:3], 0 offset:896
	ds_read_b128 v[10:13], v1 offset:1584
	s_waitcnt vmcnt(53)
	v_fma_f64 v[22:23], v[2:3], v[30:31], -v[22:23]
	v_fma_f64 v[30:31], v[4:5], v[30:31], v[117:118]
	ds_read_b128 v[2:5], v1 offset:1600
	s_waitcnt vmcnt(48)
	v_fma_f64 v[24:25], v[6:7], v[26:27], -v[24:25]
	v_add_f64 v[18:19], v[102:103], v[18:19]
	v_add_f64 v[14:15], v[14:15], v[28:29]
	s_waitcnt lgkmcnt(1)
	v_mul_f64 v[28:29], v[10:11], v[32:33]
	v_mul_f64 v[32:33], v[12:13], v[32:33]
	s_waitcnt vmcnt(47) lgkmcnt(0)
	v_mul_f64 v[102:103], v[2:3], v[34:35]
	v_mul_f64 v[34:35], v[4:5], v[34:35]
	v_add_f64 v[18:19], v[18:19], v[22:23]
	v_fma_f64 v[22:23], v[8:9], v[26:27], v[112:113]
	v_add_f64 v[14:15], v[14:15], v[30:31]
	s_clause 0x3
	buffer_load_dword v26, off, s[0:3], 0 offset:608
	buffer_load_dword v27, off, s[0:3], 0 offset:612
	;; [unrolled: 1-line block ×4, first 2 shown]
	s_waitcnt vmcnt(49)
	v_fma_f64 v[32:33], v[10:11], v[38:39], -v[32:33]
	ds_read_b128 v[6:9], v1 offset:1616
	s_waitcnt vmcnt(44)
	v_fma_f64 v[34:35], v[2:3], v[36:37], -v[34:35]
	v_add_f64 v[18:19], v[18:19], v[24:25]
	v_fma_f64 v[24:25], v[12:13], v[38:39], v[28:29]
	v_add_f64 v[14:15], v[14:15], v[22:23]
	ds_read_b128 v[10:13], v1 offset:1632
	s_waitcnt lgkmcnt(1)
	v_mul_f64 v[28:29], v[8:9], v[40:41]
	v_mul_f64 v[22:23], v[6:7], v[40:41]
	v_add_f64 v[18:19], v[18:19], v[32:33]
	v_fma_f64 v[32:33], v[4:5], v[36:37], v[102:103]
	v_add_f64 v[14:15], v[14:15], v[24:25]
	s_waitcnt vmcnt(43) lgkmcnt(0)
	v_mul_f64 v[36:37], v[12:13], v[42:43]
	s_waitcnt vmcnt(41)
	v_fma_f64 v[28:29], v[6:7], v[46:47], -v[28:29]
	ds_read_b128 v[2:5], v1 offset:1648
	v_mul_f64 v[24:25], v[10:11], v[42:43]
	v_fma_f64 v[22:23], v[8:9], v[46:47], v[22:23]
	ds_read_b128 v[6:9], v1 offset:1664
	v_add_f64 v[18:19], v[18:19], v[34:35]
	v_add_f64 v[14:15], v[14:15], v[32:33]
	s_waitcnt vmcnt(37) lgkmcnt(1)
	v_mul_f64 v[34:35], v[4:5], v[48:49]
	s_waitcnt vmcnt(36)
	v_fma_f64 v[36:37], v[10:11], v[44:45], -v[36:37]
	v_mul_f64 v[32:33], v[2:3], v[48:49]
	v_fma_f64 v[24:25], v[12:13], v[44:45], v[24:25]
	ds_read_b128 v[10:13], v1 offset:1680
	v_add_f64 v[18:19], v[18:19], v[28:29]
	s_waitcnt vmcnt(35) lgkmcnt(1)
	v_mul_f64 v[28:29], v[8:9], v[50:51]
	v_add_f64 v[14:15], v[14:15], v[22:23]
	s_waitcnt vmcnt(33)
	v_fma_f64 v[34:35], v[2:3], v[54:55], -v[34:35]
	v_mul_f64 v[22:23], v[6:7], v[50:51]
	v_fma_f64 v[32:33], v[4:5], v[54:55], v[32:33]
	ds_read_b128 v[2:5], v1 offset:1696
	v_add_f64 v[18:19], v[18:19], v[36:37]
	s_waitcnt vmcnt(29) lgkmcnt(1)
	v_mul_f64 v[36:37], v[12:13], v[61:62]
	v_add_f64 v[14:15], v[14:15], v[24:25]
	;; [unrolled: 9-line block ×6, first 2 shown]
	s_waitcnt vmcnt(12)
	v_fma_f64 v[36:37], v[10:11], v[98:99], -v[36:37]
	v_mul_f64 v[32:33], v[2:3], v[106:107]
	v_fma_f64 v[24:25], v[12:13], v[98:99], v[24:25]
	ds_read_b128 v[10:13], v1 offset:1776
	v_add_f64 v[18:19], v[18:19], v[28:29]
	v_add_f64 v[14:15], v[14:15], v[22:23]
	s_waitcnt vmcnt(11) lgkmcnt(1)
	v_mul_f64 v[28:29], v[8:9], v[108:109]
	v_mul_f64 v[22:23], v[6:7], v[108:109]
	s_waitcnt vmcnt(9)
	v_fma_f64 v[1:2], v[2:3], v[104:105], -v[34:35]
	v_fma_f64 v[3:4], v[4:5], v[104:105], v[32:33]
	v_add_f64 v[18:19], v[18:19], v[36:37]
	v_add_f64 v[14:15], v[14:15], v[24:25]
	s_waitcnt vmcnt(7) lgkmcnt(0)
	v_mul_f64 v[24:25], v[10:11], v[20:21]
	v_mul_f64 v[20:21], v[12:13], v[20:21]
	s_waitcnt vmcnt(6)
	v_fma_f64 v[5:6], v[6:7], v[110:111], -v[28:29]
	v_fma_f64 v[7:8], v[8:9], v[110:111], v[22:23]
	v_add_f64 v[1:2], v[18:19], v[1:2]
	v_add_f64 v[3:4], v[14:15], v[3:4]
	s_waitcnt vmcnt(4)
	v_fma_f64 v[9:10], v[10:11], v[16:17], -v[20:21]
	v_add_f64 v[1:2], v[1:2], v[5:6]
	v_fma_f64 v[5:6], v[12:13], v[16:17], v[24:25]
	v_add_f64 v[3:4], v[3:4], v[7:8]
	v_add_f64 v[1:2], v[1:2], v[9:10]
	v_add_f64 v[3:4], v[3:4], v[5:6]
	s_waitcnt vmcnt(2)
	v_add_f64 v[1:2], v[26:27], -v[1:2]
	s_waitcnt vmcnt(0)
	v_add_f64 v[3:4], v[30:31], -v[3:4]
	buffer_store_dword v2, off, s[0:3], 0 offset:612
	buffer_store_dword v1, off, s[0:3], 0 offset:608
	;; [unrolled: 1-line block ×4, first 2 shown]
	v_cmpx_lt_u32_e32 36, v0
	s_cbranch_execz .LBB55_277
; %bb.276:
	v_mov_b32_e32 v4, s31
	v_mov_b32_e32 v5, 0
	s_clause 0x3
	buffer_load_dword v1, v4, s[0:3], 0 offen
	buffer_load_dword v2, v4, s[0:3], 0 offen offset:4
	buffer_load_dword v3, v4, s[0:3], 0 offen offset:8
	;; [unrolled: 1-line block ×3, first 2 shown]
	buffer_store_dword v5, off, s[0:3], 0 offset:592
	buffer_store_dword v5, off, s[0:3], 0 offset:596
	;; [unrolled: 1-line block ×4, first 2 shown]
	s_waitcnt vmcnt(0)
	ds_write_b128 v97, v[1:4]
.LBB55_277:
	s_or_b32 exec_lo, exec_lo, s4
	s_waitcnt lgkmcnt(0)
	s_waitcnt_vscnt null, 0x0
	s_barrier
	buffer_gl0_inv
	s_clause 0x37
	buffer_load_dword v10, off, s[0:3], 0 offset:616
	buffer_load_dword v11, off, s[0:3], 0 offset:620
	;; [unrolled: 1-line block ×56, first 2 shown]
	v_mov_b32_e32 v1, 0
	s_mov_b32 s4, exec_lo
	ds_read_b128 v[2:5], v1 offset:1488
	s_clause 0x2
	buffer_load_dword v96, off, s[0:3], 0 offset:844
	buffer_load_dword v101, off, s[0:3], 0 offset:820
	;; [unrolled: 1-line block ×3, first 2 shown]
	ds_read_b128 v[6:9], v1 offset:1504
	s_clause 0x4
	buffer_load_dword v107, off, s[0:3], 0 offset:860
	buffer_load_dword v108, off, s[0:3], 0 offset:872
	;; [unrolled: 1-line block ×5, first 2 shown]
	s_waitcnt vmcnt(62) lgkmcnt(1)
	v_mul_f64 v[102:103], v[4:5], v[10:11]
	v_mul_f64 v[104:105], v[2:3], v[10:11]
	s_waitcnt vmcnt(60) lgkmcnt(0)
	v_mul_f64 v[111:112], v[8:9], v[14:15]
	ds_read_b128 v[10:13], v1 offset:1520
	v_mul_f64 v[14:15], v[6:7], v[14:15]
	s_waitcnt vmcnt(58)
	v_fma_f64 v[102:103], v[2:3], v[16:17], -v[102:103]
	v_fma_f64 v[16:17], v[4:5], v[16:17], v[104:105]
	s_clause 0x2
	buffer_load_dword v109, off, s[0:3], 0 offset:876
	buffer_load_dword v105, off, s[0:3], 0 offset:852
	;; [unrolled: 1-line block ×3, first 2 shown]
	s_waitcnt vmcnt(59) lgkmcnt(0)
	v_mul_f64 v[113:114], v[10:11], v[18:19]
	v_mul_f64 v[18:19], v[12:13], v[18:19]
	s_waitcnt vmcnt(57)
	v_fma_f64 v[115:116], v[6:7], v[20:21], -v[111:112]
	ds_read_b128 v[2:5], v1 offset:1536
	v_fma_f64 v[14:15], v[8:9], v[20:21], v[14:15]
	s_clause 0x4
	buffer_load_dword v21, off, s[0:3], 0 offset:892
	buffer_load_dword v112, off, s[0:3], 0 offset:904
	;; [unrolled: 1-line block ×5, first 2 shown]
	ds_read_b128 v[6:9], v1 offset:1552
	v_add_f64 v[102:103], v[102:103], 0
	v_add_f64 v[16:17], v[16:17], 0
	s_waitcnt vmcnt(58) lgkmcnt(1)
	v_mul_f64 v[118:119], v[2:3], v[22:23]
	v_mul_f64 v[22:23], v[4:5], v[22:23]
	s_waitcnt vmcnt(56)
	v_fma_f64 v[18:19], v[10:11], v[28:29], -v[18:19]
	v_fma_f64 v[28:29], v[12:13], v[28:29], v[113:114]
	v_add_f64 v[102:103], v[102:103], v[115:116]
	v_add_f64 v[14:15], v[16:17], v[14:15]
	s_clause 0x2
	buffer_load_dword v113, off, s[0:3], 0 offset:908
	buffer_load_dword v17, off, s[0:3], 0 offset:884
	;; [unrolled: 1-line block ×3, first 2 shown]
	s_waitcnt vmcnt(58) lgkmcnt(0)
	v_mul_f64 v[114:115], v[6:7], v[24:25]
	v_mul_f64 v[24:25], v[8:9], v[24:25]
	s_waitcnt vmcnt(56)
	v_fma_f64 v[22:23], v[2:3], v[30:31], -v[22:23]
	ds_read_b128 v[10:13], v1 offset:1568
	v_fma_f64 v[30:31], v[4:5], v[30:31], v[118:119]
	buffer_load_dword v118, off, s[0:3], 0 offset:900
	ds_read_b128 v[2:5], v1 offset:1584
	v_add_f64 v[18:19], v[102:103], v[18:19]
	v_add_f64 v[14:15], v[14:15], v[28:29]
	s_waitcnt vmcnt(53) lgkmcnt(1)
	v_mul_f64 v[28:29], v[10:11], v[32:33]
	v_mul_f64 v[32:33], v[12:13], v[32:33]
	s_waitcnt vmcnt(52)
	v_fma_f64 v[24:25], v[6:7], v[26:27], -v[24:25]
	v_add_f64 v[18:19], v[18:19], v[22:23]
	v_fma_f64 v[22:23], v[8:9], v[26:27], v[114:115]
	v_add_f64 v[14:15], v[14:15], v[30:31]
	s_waitcnt vmcnt(51) lgkmcnt(0)
	v_mul_f64 v[30:31], v[4:5], v[34:35]
	ds_read_b128 v[6:9], v1 offset:1600
	s_waitcnt vmcnt(49)
	v_fma_f64 v[32:33], v[10:11], v[38:39], -v[32:33]
	v_mul_f64 v[26:27], v[2:3], v[34:35]
	v_add_f64 v[18:19], v[18:19], v[24:25]
	v_fma_f64 v[24:25], v[12:13], v[38:39], v[28:29]
	v_add_f64 v[14:15], v[14:15], v[22:23]
	s_clause 0x3
	buffer_load_dword v22, off, s[0:3], 0 offset:592
	buffer_load_dword v23, off, s[0:3], 0 offset:596
	;; [unrolled: 1-line block ×4, first 2 shown]
	s_waitcnt vmcnt(49) lgkmcnt(0)
	v_mul_f64 v[38:39], v[8:9], v[40:41]
	s_waitcnt vmcnt(48)
	v_fma_f64 v[30:31], v[2:3], v[36:37], -v[30:31]
	ds_read_b128 v[10:13], v1 offset:1616
	v_mul_f64 v[34:35], v[6:7], v[40:41]
	v_fma_f64 v[26:27], v[4:5], v[36:37], v[26:27]
	ds_read_b128 v[2:5], v1 offset:1632
	v_add_f64 v[18:19], v[18:19], v[32:33]
	v_add_f64 v[14:15], v[14:15], v[24:25]
	s_waitcnt vmcnt(47) lgkmcnt(1)
	v_mul_f64 v[32:33], v[12:13], v[42:43]
	s_waitcnt vmcnt(45)
	v_fma_f64 v[36:37], v[6:7], v[46:47], -v[38:39]
	v_mul_f64 v[24:25], v[10:11], v[42:43]
	v_add_f64 v[18:19], v[18:19], v[30:31]
	v_fma_f64 v[30:31], v[8:9], v[46:47], v[34:35]
	v_add_f64 v[14:15], v[14:15], v[26:27]
	s_waitcnt vmcnt(41) lgkmcnt(0)
	v_mul_f64 v[34:35], v[4:5], v[48:49]
	s_waitcnt vmcnt(40)
	v_fma_f64 v[32:33], v[10:11], v[44:45], -v[32:33]
	ds_read_b128 v[6:9], v1 offset:1648
	v_mul_f64 v[26:27], v[2:3], v[48:49]
	v_fma_f64 v[24:25], v[12:13], v[44:45], v[24:25]
	ds_read_b128 v[10:13], v1 offset:1664
	v_add_f64 v[18:19], v[18:19], v[36:37]
	v_add_f64 v[14:15], v[14:15], v[30:31]
	s_waitcnt vmcnt(39) lgkmcnt(1)
	v_mul_f64 v[36:37], v[8:9], v[50:51]
	s_waitcnt vmcnt(37)
	v_fma_f64 v[34:35], v[2:3], v[54:55], -v[34:35]
	v_mul_f64 v[30:31], v[6:7], v[50:51]
	v_fma_f64 v[26:27], v[4:5], v[54:55], v[26:27]
	ds_read_b128 v[2:5], v1 offset:1680
	v_add_f64 v[18:19], v[18:19], v[32:33]
	s_waitcnt vmcnt(33) lgkmcnt(1)
	v_mul_f64 v[32:33], v[12:13], v[61:62]
	v_add_f64 v[14:15], v[14:15], v[24:25]
	s_waitcnt vmcnt(32)
	v_fma_f64 v[36:37], v[6:7], v[52:53], -v[36:37]
	v_mul_f64 v[24:25], v[10:11], v[61:62]
	v_fma_f64 v[30:31], v[8:9], v[52:53], v[30:31]
	ds_read_b128 v[6:9], v1 offset:1696
	v_add_f64 v[18:19], v[18:19], v[34:35]
	s_waitcnt vmcnt(31) lgkmcnt(1)
	v_mul_f64 v[34:35], v[4:5], v[63:64]
	v_add_f64 v[14:15], v[14:15], v[26:27]
	;; [unrolled: 9-line block ×5, first 2 shown]
	s_waitcnt vmcnt(16)
	v_fma_f64 v[32:33], v[10:11], v[98:99], -v[32:33]
	v_mul_f64 v[26:27], v[2:3], v[106:107]
	v_fma_f64 v[24:25], v[12:13], v[98:99], v[24:25]
	ds_read_b128 v[10:13], v1 offset:1760
	v_add_f64 v[18:19], v[18:19], v[36:37]
	v_add_f64 v[14:15], v[14:15], v[30:31]
	s_waitcnt vmcnt(15) lgkmcnt(1)
	v_mul_f64 v[36:37], v[8:9], v[108:109]
	v_mul_f64 v[30:31], v[6:7], v[108:109]
	s_waitcnt vmcnt(13)
	v_fma_f64 v[34:35], v[2:3], v[104:105], -v[34:35]
	v_fma_f64 v[26:27], v[4:5], v[104:105], v[26:27]
	ds_read_b128 v[2:5], v1 offset:1776
	v_add_f64 v[18:19], v[18:19], v[32:33]
	v_add_f64 v[14:15], v[14:15], v[24:25]
	s_waitcnt vmcnt(9) lgkmcnt(1)
	v_mul_f64 v[24:25], v[10:11], v[20:21]
	v_mul_f64 v[20:21], v[12:13], v[20:21]
	s_waitcnt vmcnt(8)
	v_fma_f64 v[6:7], v[6:7], v[110:111], -v[36:37]
	v_fma_f64 v[8:9], v[8:9], v[110:111], v[30:31]
	v_add_f64 v[18:19], v[18:19], v[34:35]
	v_add_f64 v[14:15], v[14:15], v[26:27]
	s_waitcnt vmcnt(7) lgkmcnt(0)
	v_mul_f64 v[30:31], v[4:5], v[112:113]
	v_mul_f64 v[26:27], v[2:3], v[112:113]
	s_waitcnt vmcnt(5)
	v_fma_f64 v[10:11], v[10:11], v[16:17], -v[20:21]
	v_fma_f64 v[12:13], v[12:13], v[16:17], v[24:25]
	v_add_f64 v[6:7], v[18:19], v[6:7]
	v_add_f64 v[8:9], v[14:15], v[8:9]
	s_waitcnt vmcnt(4)
	v_fma_f64 v[2:3], v[2:3], v[117:118], -v[30:31]
	v_fma_f64 v[4:5], v[4:5], v[117:118], v[26:27]
	v_add_f64 v[6:7], v[6:7], v[10:11]
	v_add_f64 v[8:9], v[8:9], v[12:13]
	;; [unrolled: 1-line block ×4, first 2 shown]
	s_waitcnt vmcnt(2)
	v_add_f64 v[2:3], v[22:23], -v[2:3]
	s_waitcnt vmcnt(0)
	v_add_f64 v[4:5], v[28:29], -v[4:5]
	buffer_store_dword v3, off, s[0:3], 0 offset:596
	buffer_store_dword v2, off, s[0:3], 0 offset:592
	;; [unrolled: 1-line block ×4, first 2 shown]
	v_cmpx_lt_u32_e32 35, v0
	s_cbranch_execz .LBB55_279
; %bb.278:
	v_mov_b32_e32 v5, s33
	s_clause 0x3
	buffer_load_dword v2, v5, s[0:3], 0 offen
	buffer_load_dword v3, v5, s[0:3], 0 offen offset:4
	buffer_load_dword v4, v5, s[0:3], 0 offen offset:8
	;; [unrolled: 1-line block ×3, first 2 shown]
	buffer_store_dword v1, off, s[0:3], 0 offset:576
	buffer_store_dword v1, off, s[0:3], 0 offset:580
	;; [unrolled: 1-line block ×4, first 2 shown]
	s_waitcnt vmcnt(0)
	ds_write_b128 v97, v[2:5]
.LBB55_279:
	s_or_b32 exec_lo, exec_lo, s4
	s_waitcnt lgkmcnt(0)
	s_waitcnt_vscnt null, 0x0
	s_barrier
	buffer_gl0_inv
	s_clause 0x37
	buffer_load_dword v10, off, s[0:3], 0 offset:600
	buffer_load_dword v11, off, s[0:3], 0 offset:604
	buffer_load_dword v14, off, s[0:3], 0 offset:616
	buffer_load_dword v15, off, s[0:3], 0 offset:620
	buffer_load_dword v16, off, s[0:3], 0 offset:592
	buffer_load_dword v17, off, s[0:3], 0 offset:596
	buffer_load_dword v18, off, s[0:3], 0 offset:632
	buffer_load_dword v19, off, s[0:3], 0 offset:636
	buffer_load_dword v20, off, s[0:3], 0 offset:608
	buffer_load_dword v21, off, s[0:3], 0 offset:612
	buffer_load_dword v23, off, s[0:3], 0 offset:652
	buffer_load_dword v24, off, s[0:3], 0 offset:664
	buffer_load_dword v26, off, s[0:3], 0 offset:656
	buffer_load_dword v22, off, s[0:3], 0 offset:648
	buffer_load_dword v28, off, s[0:3], 0 offset:624
	buffer_load_dword v29, off, s[0:3], 0 offset:628
	buffer_load_dword v25, off, s[0:3], 0 offset:668
	buffer_load_dword v31, off, s[0:3], 0 offset:644
	buffer_load_dword v30, off, s[0:3], 0 offset:640
	buffer_load_dword v33, off, s[0:3], 0 offset:684
	buffer_load_dword v34, off, s[0:3], 0 offset:696
	buffer_load_dword v36, off, s[0:3], 0 offset:688
	buffer_load_dword v32, off, s[0:3], 0 offset:680
	buffer_load_dword v27, off, s[0:3], 0 offset:660
	buffer_load_dword v35, off, s[0:3], 0 offset:700
	buffer_load_dword v39, off, s[0:3], 0 offset:676
	buffer_load_dword v38, off, s[0:3], 0 offset:672
	buffer_load_dword v41, off, s[0:3], 0 offset:716
	buffer_load_dword v42, off, s[0:3], 0 offset:728
	buffer_load_dword v44, off, s[0:3], 0 offset:720
	buffer_load_dword v40, off, s[0:3], 0 offset:712
	buffer_load_dword v37, off, s[0:3], 0 offset:692
	buffer_load_dword v43, off, s[0:3], 0 offset:732
	buffer_load_dword v47, off, s[0:3], 0 offset:708
	buffer_load_dword v46, off, s[0:3], 0 offset:704
	buffer_load_dword v49, off, s[0:3], 0 offset:748
	buffer_load_dword v50, off, s[0:3], 0 offset:760
	buffer_load_dword v52, off, s[0:3], 0 offset:752
	buffer_load_dword v48, off, s[0:3], 0 offset:744
	buffer_load_dword v45, off, s[0:3], 0 offset:724
	buffer_load_dword v51, off, s[0:3], 0 offset:764
	buffer_load_dword v55, off, s[0:3], 0 offset:740
	buffer_load_dword v54, off, s[0:3], 0 offset:736
	buffer_load_dword v62, off, s[0:3], 0 offset:780
	buffer_load_dword v63, off, s[0:3], 0 offset:792
	buffer_load_dword v89, off, s[0:3], 0 offset:784
	buffer_load_dword v61, off, s[0:3], 0 offset:776
	buffer_load_dword v53, off, s[0:3], 0 offset:756
	buffer_load_dword v64, off, s[0:3], 0 offset:796
	buffer_load_dword v92, off, s[0:3], 0 offset:772
	buffer_load_dword v91, off, s[0:3], 0 offset:768
	buffer_load_dword v94, off, s[0:3], 0 offset:812
	buffer_load_dword v95, off, s[0:3], 0 offset:824
	buffer_load_dword v98, off, s[0:3], 0 offset:816
	buffer_load_dword v93, off, s[0:3], 0 offset:808
	buffer_load_dword v90, off, s[0:3], 0 offset:788
	ds_read_b128 v[2:5], v1 offset:1472
	s_clause 0x2
	buffer_load_dword v96, off, s[0:3], 0 offset:828
	buffer_load_dword v101, off, s[0:3], 0 offset:804
	;; [unrolled: 1-line block ×3, first 2 shown]
	ds_read_b128 v[6:9], v1 offset:1488
	s_clause 0x4
	buffer_load_dword v107, off, s[0:3], 0 offset:844
	buffer_load_dword v108, off, s[0:3], 0 offset:856
	;; [unrolled: 1-line block ×5, first 2 shown]
	s_mov_b32 s4, exec_lo
	s_waitcnt vmcnt(62) lgkmcnt(1)
	v_mul_f64 v[102:103], v[4:5], v[10:11]
	v_mul_f64 v[104:105], v[2:3], v[10:11]
	s_waitcnt vmcnt(60) lgkmcnt(0)
	v_mul_f64 v[111:112], v[8:9], v[14:15]
	ds_read_b128 v[10:13], v1 offset:1504
	v_mul_f64 v[14:15], v[6:7], v[14:15]
	s_waitcnt vmcnt(58)
	v_fma_f64 v[102:103], v[2:3], v[16:17], -v[102:103]
	v_fma_f64 v[16:17], v[4:5], v[16:17], v[104:105]
	s_clause 0x2
	buffer_load_dword v109, off, s[0:3], 0 offset:860
	buffer_load_dword v105, off, s[0:3], 0 offset:836
	;; [unrolled: 1-line block ×3, first 2 shown]
	s_waitcnt vmcnt(59) lgkmcnt(0)
	v_mul_f64 v[113:114], v[10:11], v[18:19]
	v_mul_f64 v[18:19], v[12:13], v[18:19]
	s_waitcnt vmcnt(57)
	v_fma_f64 v[115:116], v[6:7], v[20:21], -v[111:112]
	ds_read_b128 v[2:5], v1 offset:1520
	v_fma_f64 v[14:15], v[8:9], v[20:21], v[14:15]
	s_clause 0x4
	buffer_load_dword v21, off, s[0:3], 0 offset:876
	buffer_load_dword v112, off, s[0:3], 0 offset:888
	;; [unrolled: 1-line block ×5, first 2 shown]
	ds_read_b128 v[6:9], v1 offset:1536
	v_add_f64 v[102:103], v[102:103], 0
	v_add_f64 v[16:17], v[16:17], 0
	s_waitcnt vmcnt(58) lgkmcnt(1)
	v_mul_f64 v[118:119], v[2:3], v[22:23]
	v_mul_f64 v[22:23], v[4:5], v[22:23]
	s_waitcnt vmcnt(56)
	v_fma_f64 v[18:19], v[10:11], v[28:29], -v[18:19]
	v_fma_f64 v[28:29], v[12:13], v[28:29], v[113:114]
	v_add_f64 v[102:103], v[102:103], v[115:116]
	v_add_f64 v[14:15], v[16:17], v[14:15]
	s_clause 0x2
	buffer_load_dword v113, off, s[0:3], 0 offset:892
	buffer_load_dword v17, off, s[0:3], 0 offset:868
	;; [unrolled: 1-line block ×3, first 2 shown]
	s_waitcnt vmcnt(58) lgkmcnt(0)
	v_mul_f64 v[114:115], v[6:7], v[24:25]
	v_mul_f64 v[24:25], v[8:9], v[24:25]
	s_waitcnt vmcnt(56)
	v_fma_f64 v[22:23], v[2:3], v[30:31], -v[22:23]
	ds_read_b128 v[10:13], v1 offset:1552
	v_fma_f64 v[30:31], v[4:5], v[30:31], v[118:119]
	v_add_f64 v[18:19], v[102:103], v[18:19]
	v_add_f64 v[14:15], v[14:15], v[28:29]
	s_clause 0x2
	buffer_load_dword v29, off, s[0:3], 0 offset:908
	buffer_load_dword v28, off, s[0:3], 0 offset:904
	;; [unrolled: 1-line block ×3, first 2 shown]
	ds_read_b128 v[2:5], v1 offset:1568
	s_waitcnt vmcnt(55) lgkmcnt(1)
	v_mul_f64 v[102:103], v[10:11], v[32:33]
	v_mul_f64 v[32:33], v[12:13], v[32:33]
	s_waitcnt vmcnt(54)
	v_fma_f64 v[24:25], v[6:7], v[26:27], -v[24:25]
	v_add_f64 v[18:19], v[18:19], v[22:23]
	v_fma_f64 v[22:23], v[8:9], v[26:27], v[114:115]
	v_add_f64 v[14:15], v[14:15], v[30:31]
	s_clause 0x1
	buffer_load_dword v27, off, s[0:3], 0 offset:900
	buffer_load_dword v26, off, s[0:3], 0 offset:896
	s_waitcnt vmcnt(55) lgkmcnt(0)
	v_mul_f64 v[30:31], v[2:3], v[34:35]
	v_mul_f64 v[34:35], v[4:5], v[34:35]
	s_waitcnt vmcnt(53)
	v_fma_f64 v[32:33], v[10:11], v[38:39], -v[32:33]
	ds_read_b128 v[6:9], v1 offset:1584
	v_add_f64 v[18:19], v[18:19], v[24:25]
	v_fma_f64 v[24:25], v[12:13], v[38:39], v[102:103]
	v_add_f64 v[14:15], v[14:15], v[22:23]
	ds_read_b128 v[10:13], v1 offset:1600
	s_waitcnt vmcnt(48)
	v_fma_f64 v[30:31], v[4:5], v[36:37], v[30:31]
	s_waitcnt lgkmcnt(1)
	v_mul_f64 v[38:39], v[8:9], v[40:41]
	v_fma_f64 v[34:35], v[2:3], v[36:37], -v[34:35]
	v_mul_f64 v[22:23], v[6:7], v[40:41]
	v_add_f64 v[18:19], v[18:19], v[32:33]
	s_waitcnt vmcnt(47) lgkmcnt(0)
	v_mul_f64 v[40:41], v[12:13], v[42:43]
	v_add_f64 v[14:15], v[14:15], v[24:25]
	s_clause 0x3
	buffer_load_dword v24, off, s[0:3], 0 offset:576
	buffer_load_dword v25, off, s[0:3], 0 offset:580
	;; [unrolled: 1-line block ×4, first 2 shown]
	ds_read_b128 v[2:5], v1 offset:1616
	s_waitcnt vmcnt(49)
	v_fma_f64 v[38:39], v[6:7], v[46:47], -v[38:39]
	v_mul_f64 v[36:37], v[10:11], v[42:43]
	v_fma_f64 v[22:23], v[8:9], v[46:47], v[22:23]
	ds_read_b128 v[6:9], v1 offset:1632
	v_add_f64 v[18:19], v[18:19], v[34:35]
	s_waitcnt vmcnt(44)
	v_fma_f64 v[40:41], v[10:11], v[44:45], -v[40:41]
	v_add_f64 v[14:15], v[14:15], v[30:31]
	s_waitcnt lgkmcnt(1)
	v_mul_f64 v[34:35], v[4:5], v[48:49]
	v_mul_f64 v[30:31], v[2:3], v[48:49]
	v_fma_f64 v[36:37], v[12:13], v[44:45], v[36:37]
	ds_read_b128 v[10:13], v1 offset:1648
	v_add_f64 v[18:19], v[18:19], v[38:39]
	s_waitcnt vmcnt(43) lgkmcnt(1)
	v_mul_f64 v[38:39], v[8:9], v[50:51]
	v_add_f64 v[14:15], v[14:15], v[22:23]
	s_waitcnt vmcnt(41)
	v_fma_f64 v[34:35], v[2:3], v[54:55], -v[34:35]
	v_mul_f64 v[22:23], v[6:7], v[50:51]
	v_fma_f64 v[30:31], v[4:5], v[54:55], v[30:31]
	ds_read_b128 v[2:5], v1 offset:1664
	v_add_f64 v[18:19], v[18:19], v[40:41]
	s_waitcnt vmcnt(37) lgkmcnt(1)
	v_mul_f64 v[40:41], v[12:13], v[61:62]
	v_add_f64 v[14:15], v[14:15], v[36:37]
	s_waitcnt vmcnt(36)
	v_fma_f64 v[38:39], v[6:7], v[52:53], -v[38:39]
	;; [unrolled: 9-line block ×6, first 2 shown]
	v_mul_f64 v[30:31], v[2:3], v[106:107]
	v_fma_f64 v[36:37], v[12:13], v[98:99], v[36:37]
	ds_read_b128 v[10:13], v1 offset:1744
	v_add_f64 v[18:19], v[18:19], v[38:39]
	v_add_f64 v[14:15], v[14:15], v[22:23]
	s_waitcnt vmcnt(19) lgkmcnt(1)
	v_mul_f64 v[38:39], v[8:9], v[108:109]
	v_mul_f64 v[22:23], v[6:7], v[108:109]
	s_waitcnt vmcnt(17)
	v_fma_f64 v[34:35], v[2:3], v[104:105], -v[34:35]
	v_fma_f64 v[30:31], v[4:5], v[104:105], v[30:31]
	ds_read_b128 v[2:5], v1 offset:1760
	v_add_f64 v[18:19], v[18:19], v[40:41]
	v_add_f64 v[14:15], v[14:15], v[36:37]
	s_waitcnt vmcnt(13) lgkmcnt(1)
	v_mul_f64 v[36:37], v[10:11], v[20:21]
	v_mul_f64 v[20:21], v[12:13], v[20:21]
	s_waitcnt vmcnt(12)
	v_fma_f64 v[38:39], v[6:7], v[110:111], -v[38:39]
	;; [unrolled: 9-line block ×3, first 2 shown]
	v_fma_f64 v[12:13], v[12:13], v[16:17], v[36:37]
	v_add_f64 v[18:19], v[18:19], v[38:39]
	v_add_f64 v[14:15], v[14:15], v[22:23]
	s_waitcnt vmcnt(7) lgkmcnt(0)
	v_mul_f64 v[20:21], v[8:9], v[28:29]
	s_waitcnt vmcnt(6)
	v_fma_f64 v[1:2], v[2:3], v[117:118], -v[34:35]
	v_mul_f64 v[16:17], v[6:7], v[28:29]
	v_fma_f64 v[3:4], v[4:5], v[117:118], v[30:31]
	v_add_f64 v[10:11], v[18:19], v[10:11]
	v_add_f64 v[12:13], v[14:15], v[12:13]
	s_waitcnt vmcnt(4)
	v_fma_f64 v[5:6], v[6:7], v[26:27], -v[20:21]
	v_fma_f64 v[7:8], v[8:9], v[26:27], v[16:17]
	v_add_f64 v[1:2], v[10:11], v[1:2]
	v_add_f64 v[3:4], v[12:13], v[3:4]
	;; [unrolled: 1-line block ×4, first 2 shown]
	s_waitcnt vmcnt(2)
	v_add_f64 v[1:2], v[24:25], -v[1:2]
	s_waitcnt vmcnt(0)
	v_add_f64 v[3:4], v[32:33], -v[3:4]
	buffer_store_dword v2, off, s[0:3], 0 offset:580
	buffer_store_dword v1, off, s[0:3], 0 offset:576
	;; [unrolled: 1-line block ×4, first 2 shown]
	v_cmpx_lt_u32_e32 34, v0
	s_cbranch_execz .LBB55_281
; %bb.280:
	v_mov_b32_e32 v4, s34
	v_mov_b32_e32 v5, 0
	s_clause 0x3
	buffer_load_dword v1, v4, s[0:3], 0 offen
	buffer_load_dword v2, v4, s[0:3], 0 offen offset:4
	buffer_load_dword v3, v4, s[0:3], 0 offen offset:8
	;; [unrolled: 1-line block ×3, first 2 shown]
	buffer_store_dword v5, off, s[0:3], 0 offset:560
	buffer_store_dword v5, off, s[0:3], 0 offset:564
	;; [unrolled: 1-line block ×4, first 2 shown]
	s_waitcnt vmcnt(0)
	ds_write_b128 v97, v[1:4]
.LBB55_281:
	s_or_b32 exec_lo, exec_lo, s4
	s_waitcnt lgkmcnt(0)
	s_waitcnt_vscnt null, 0x0
	s_barrier
	buffer_gl0_inv
	s_clause 0x37
	buffer_load_dword v10, off, s[0:3], 0 offset:584
	buffer_load_dword v11, off, s[0:3], 0 offset:588
	;; [unrolled: 1-line block ×56, first 2 shown]
	v_mov_b32_e32 v1, 0
	s_mov_b32 s4, exec_lo
	ds_read_b128 v[2:5], v1 offset:1456
	s_clause 0x2
	buffer_load_dword v96, off, s[0:3], 0 offset:812
	buffer_load_dword v101, off, s[0:3], 0 offset:788
	;; [unrolled: 1-line block ×3, first 2 shown]
	ds_read_b128 v[6:9], v1 offset:1472
	s_clause 0x4
	buffer_load_dword v107, off, s[0:3], 0 offset:828
	buffer_load_dword v108, off, s[0:3], 0 offset:840
	;; [unrolled: 1-line block ×5, first 2 shown]
	s_waitcnt vmcnt(62) lgkmcnt(1)
	v_mul_f64 v[102:103], v[4:5], v[10:11]
	v_mul_f64 v[104:105], v[2:3], v[10:11]
	s_waitcnt vmcnt(60) lgkmcnt(0)
	v_mul_f64 v[111:112], v[8:9], v[14:15]
	ds_read_b128 v[10:13], v1 offset:1488
	v_mul_f64 v[14:15], v[6:7], v[14:15]
	s_waitcnt vmcnt(58)
	v_fma_f64 v[102:103], v[2:3], v[16:17], -v[102:103]
	v_fma_f64 v[16:17], v[4:5], v[16:17], v[104:105]
	s_clause 0x2
	buffer_load_dword v109, off, s[0:3], 0 offset:844
	buffer_load_dword v105, off, s[0:3], 0 offset:820
	;; [unrolled: 1-line block ×3, first 2 shown]
	s_waitcnt vmcnt(59) lgkmcnt(0)
	v_mul_f64 v[113:114], v[10:11], v[18:19]
	v_mul_f64 v[18:19], v[12:13], v[18:19]
	s_waitcnt vmcnt(57)
	v_fma_f64 v[115:116], v[6:7], v[20:21], -v[111:112]
	ds_read_b128 v[2:5], v1 offset:1504
	v_fma_f64 v[14:15], v[8:9], v[20:21], v[14:15]
	s_clause 0x4
	buffer_load_dword v21, off, s[0:3], 0 offset:860
	buffer_load_dword v112, off, s[0:3], 0 offset:872
	;; [unrolled: 1-line block ×5, first 2 shown]
	ds_read_b128 v[6:9], v1 offset:1520
	v_add_f64 v[102:103], v[102:103], 0
	v_add_f64 v[16:17], v[16:17], 0
	s_waitcnt vmcnt(58) lgkmcnt(1)
	v_mul_f64 v[118:119], v[2:3], v[22:23]
	v_mul_f64 v[22:23], v[4:5], v[22:23]
	s_waitcnt vmcnt(56)
	v_fma_f64 v[18:19], v[10:11], v[28:29], -v[18:19]
	v_fma_f64 v[28:29], v[12:13], v[28:29], v[113:114]
	v_add_f64 v[102:103], v[102:103], v[115:116]
	v_add_f64 v[14:15], v[16:17], v[14:15]
	s_clause 0x2
	buffer_load_dword v113, off, s[0:3], 0 offset:876
	buffer_load_dword v17, off, s[0:3], 0 offset:852
	;; [unrolled: 1-line block ×3, first 2 shown]
	s_waitcnt vmcnt(58) lgkmcnt(0)
	v_mul_f64 v[114:115], v[6:7], v[24:25]
	v_mul_f64 v[24:25], v[8:9], v[24:25]
	s_waitcnt vmcnt(56)
	v_fma_f64 v[22:23], v[2:3], v[30:31], -v[22:23]
	ds_read_b128 v[10:13], v1 offset:1536
	v_fma_f64 v[30:31], v[4:5], v[30:31], v[118:119]
	v_add_f64 v[18:19], v[102:103], v[18:19]
	v_add_f64 v[14:15], v[14:15], v[28:29]
	s_clause 0x4
	buffer_load_dword v29, off, s[0:3], 0 offset:892
	buffer_load_dword v102, off, s[0:3], 0 offset:904
	;; [unrolled: 1-line block ×5, first 2 shown]
	ds_read_b128 v[2:5], v1 offset:1552
	s_waitcnt vmcnt(57) lgkmcnt(1)
	v_mul_f64 v[120:121], v[10:11], v[32:33]
	v_mul_f64 v[32:33], v[12:13], v[32:33]
	s_waitcnt vmcnt(56)
	v_fma_f64 v[24:25], v[6:7], v[26:27], -v[24:25]
	v_add_f64 v[18:19], v[18:19], v[22:23]
	v_fma_f64 v[22:23], v[8:9], v[26:27], v[114:115]
	v_add_f64 v[14:15], v[14:15], v[30:31]
	s_clause 0x2
	buffer_load_dword v103, off, s[0:3], 0 offset:908
	buffer_load_dword v27, off, s[0:3], 0 offset:884
	;; [unrolled: 1-line block ×3, first 2 shown]
	s_waitcnt vmcnt(58) lgkmcnt(0)
	v_mul_f64 v[30:31], v[2:3], v[34:35]
	v_mul_f64 v[34:35], v[4:5], v[34:35]
	s_waitcnt vmcnt(56)
	v_fma_f64 v[32:33], v[10:11], v[38:39], -v[32:33]
	ds_read_b128 v[6:9], v1 offset:1568
	v_add_f64 v[18:19], v[18:19], v[24:25]
	v_fma_f64 v[24:25], v[12:13], v[38:39], v[120:121]
	v_add_f64 v[14:15], v[14:15], v[22:23]
	buffer_load_dword v120, off, s[0:3], 0 offset:900
	ds_read_b128 v[10:13], v1 offset:1584
	s_waitcnt vmcnt(53) lgkmcnt(1)
	v_mul_f64 v[38:39], v[8:9], v[40:41]
	s_waitcnt vmcnt(52)
	v_fma_f64 v[34:35], v[2:3], v[36:37], -v[34:35]
	v_mul_f64 v[22:23], v[6:7], v[40:41]
	v_fma_f64 v[30:31], v[4:5], v[36:37], v[30:31]
	ds_read_b128 v[2:5], v1 offset:1600
	v_add_f64 v[18:19], v[18:19], v[32:33]
	v_add_f64 v[14:15], v[14:15], v[24:25]
	s_waitcnt vmcnt(51) lgkmcnt(1)
	v_mul_f64 v[32:33], v[12:13], v[42:43]
	v_mul_f64 v[24:25], v[10:11], v[42:43]
	s_waitcnt vmcnt(49)
	v_fma_f64 v[36:37], v[6:7], v[46:47], -v[38:39]
	v_fma_f64 v[22:23], v[8:9], v[46:47], v[22:23]
	s_waitcnt vmcnt(45) lgkmcnt(0)
	v_mul_f64 v[40:41], v[4:5], v[48:49]
	v_mul_f64 v[38:39], v[2:3], v[48:49]
	v_add_f64 v[18:19], v[18:19], v[34:35]
	v_add_f64 v[14:15], v[14:15], v[30:31]
	s_clause 0x3
	buffer_load_dword v30, off, s[0:3], 0 offset:560
	buffer_load_dword v31, off, s[0:3], 0 offset:564
	;; [unrolled: 1-line block ×4, first 2 shown]
	s_waitcnt vmcnt(48)
	v_fma_f64 v[32:33], v[10:11], v[44:45], -v[32:33]
	ds_read_b128 v[6:9], v1 offset:1616
	v_fma_f64 v[24:25], v[12:13], v[44:45], v[24:25]
	ds_read_b128 v[10:13], v1 offset:1632
	s_waitcnt vmcnt(45)
	v_fma_f64 v[40:41], v[2:3], v[54:55], -v[40:41]
	v_add_f64 v[18:19], v[18:19], v[36:37]
	v_add_f64 v[14:15], v[14:15], v[22:23]
	s_waitcnt lgkmcnt(1)
	v_mul_f64 v[36:37], v[8:9], v[50:51]
	v_mul_f64 v[22:23], v[6:7], v[50:51]
	v_add_f64 v[18:19], v[18:19], v[32:33]
	v_fma_f64 v[32:33], v[4:5], v[54:55], v[38:39]
	v_add_f64 v[14:15], v[14:15], v[24:25]
	s_waitcnt vmcnt(41) lgkmcnt(0)
	v_mul_f64 v[38:39], v[12:13], v[61:62]
	s_waitcnt vmcnt(40)
	v_fma_f64 v[36:37], v[6:7], v[52:53], -v[36:37]
	ds_read_b128 v[2:5], v1 offset:1648
	v_mul_f64 v[24:25], v[10:11], v[61:62]
	v_fma_f64 v[22:23], v[8:9], v[52:53], v[22:23]
	ds_read_b128 v[6:9], v1 offset:1664
	v_add_f64 v[18:19], v[18:19], v[40:41]
	v_add_f64 v[14:15], v[14:15], v[32:33]
	s_waitcnt vmcnt(39) lgkmcnt(1)
	v_mul_f64 v[40:41], v[4:5], v[63:64]
	s_waitcnt vmcnt(37)
	v_fma_f64 v[38:39], v[10:11], v[91:92], -v[38:39]
	v_mul_f64 v[32:33], v[2:3], v[63:64]
	v_fma_f64 v[24:25], v[12:13], v[91:92], v[24:25]
	ds_read_b128 v[10:13], v1 offset:1680
	v_add_f64 v[18:19], v[18:19], v[36:37]
	s_waitcnt vmcnt(33) lgkmcnt(1)
	v_mul_f64 v[36:37], v[8:9], v[93:94]
	v_add_f64 v[14:15], v[14:15], v[22:23]
	s_waitcnt vmcnt(32)
	v_fma_f64 v[40:41], v[2:3], v[89:90], -v[40:41]
	v_mul_f64 v[22:23], v[6:7], v[93:94]
	v_fma_f64 v[32:33], v[4:5], v[89:90], v[32:33]
	ds_read_b128 v[2:5], v1 offset:1696
	v_add_f64 v[18:19], v[18:19], v[38:39]
	s_waitcnt vmcnt(31) lgkmcnt(1)
	v_mul_f64 v[38:39], v[12:13], v[95:96]
	v_add_f64 v[14:15], v[14:15], v[24:25]
	;; [unrolled: 9-line block ×3, first 2 shown]
	s_waitcnt vmcnt(24)
	v_fma_f64 v[38:39], v[10:11], v[98:99], -v[38:39]
	v_mul_f64 v[32:33], v[2:3], v[106:107]
	v_fma_f64 v[24:25], v[12:13], v[98:99], v[24:25]
	ds_read_b128 v[10:13], v1 offset:1728
	v_add_f64 v[18:19], v[18:19], v[36:37]
	v_add_f64 v[14:15], v[14:15], v[22:23]
	s_waitcnt vmcnt(23) lgkmcnt(1)
	v_mul_f64 v[36:37], v[8:9], v[108:109]
	v_mul_f64 v[22:23], v[6:7], v[108:109]
	s_waitcnt vmcnt(21)
	v_fma_f64 v[40:41], v[2:3], v[104:105], -v[40:41]
	v_fma_f64 v[32:33], v[4:5], v[104:105], v[32:33]
	ds_read_b128 v[2:5], v1 offset:1744
	v_add_f64 v[18:19], v[18:19], v[38:39]
	v_add_f64 v[14:15], v[14:15], v[24:25]
	s_waitcnt vmcnt(17) lgkmcnt(1)
	v_mul_f64 v[24:25], v[10:11], v[20:21]
	v_mul_f64 v[20:21], v[12:13], v[20:21]
	s_waitcnt vmcnt(16)
	v_fma_f64 v[36:37], v[6:7], v[110:111], -v[36:37]
	;; [unrolled: 9-line block ×3, first 2 shown]
	v_fma_f64 v[16:17], v[12:13], v[16:17], v[24:25]
	ds_read_b128 v[10:13], v1 offset:1776
	v_add_f64 v[18:19], v[18:19], v[36:37]
	v_add_f64 v[14:15], v[14:15], v[22:23]
	s_waitcnt vmcnt(9) lgkmcnt(1)
	v_mul_f64 v[24:25], v[8:9], v[28:29]
	s_waitcnt vmcnt(8)
	v_fma_f64 v[2:3], v[2:3], v[117:118], -v[38:39]
	v_mul_f64 v[22:23], v[6:7], v[28:29]
	v_fma_f64 v[4:5], v[4:5], v[117:118], v[32:33]
	v_add_f64 v[18:19], v[18:19], v[20:21]
	v_add_f64 v[14:15], v[14:15], v[16:17]
	s_waitcnt vmcnt(7) lgkmcnt(0)
	v_mul_f64 v[20:21], v[12:13], v[102:103]
	v_mul_f64 v[16:17], v[10:11], v[102:103]
	s_waitcnt vmcnt(5)
	v_fma_f64 v[6:7], v[6:7], v[26:27], -v[24:25]
	v_fma_f64 v[8:9], v[8:9], v[26:27], v[22:23]
	v_add_f64 v[2:3], v[18:19], v[2:3]
	v_add_f64 v[4:5], v[14:15], v[4:5]
	s_waitcnt vmcnt(4)
	v_fma_f64 v[10:11], v[10:11], v[119:120], -v[20:21]
	v_add_f64 v[2:3], v[2:3], v[6:7]
	v_fma_f64 v[6:7], v[12:13], v[119:120], v[16:17]
	v_add_f64 v[4:5], v[4:5], v[8:9]
	v_add_f64 v[2:3], v[2:3], v[10:11]
	;; [unrolled: 1-line block ×3, first 2 shown]
	s_waitcnt vmcnt(2)
	v_add_f64 v[2:3], v[30:31], -v[2:3]
	s_waitcnt vmcnt(0)
	v_add_f64 v[4:5], v[34:35], -v[4:5]
	buffer_store_dword v3, off, s[0:3], 0 offset:564
	buffer_store_dword v2, off, s[0:3], 0 offset:560
	;; [unrolled: 1-line block ×4, first 2 shown]
	v_cmpx_lt_u32_e32 33, v0
	s_cbranch_execz .LBB55_283
; %bb.282:
	v_mov_b32_e32 v5, s35
	s_clause 0x3
	buffer_load_dword v2, v5, s[0:3], 0 offen
	buffer_load_dword v3, v5, s[0:3], 0 offen offset:4
	buffer_load_dword v4, v5, s[0:3], 0 offen offset:8
	;; [unrolled: 1-line block ×3, first 2 shown]
	buffer_store_dword v1, off, s[0:3], 0 offset:544
	buffer_store_dword v1, off, s[0:3], 0 offset:548
	;; [unrolled: 1-line block ×4, first 2 shown]
	s_waitcnt vmcnt(0)
	ds_write_b128 v97, v[2:5]
.LBB55_283:
	s_or_b32 exec_lo, exec_lo, s4
	s_waitcnt lgkmcnt(0)
	s_waitcnt_vscnt null, 0x0
	s_barrier
	buffer_gl0_inv
	s_clause 0x37
	buffer_load_dword v10, off, s[0:3], 0 offset:568
	buffer_load_dword v11, off, s[0:3], 0 offset:572
	;; [unrolled: 1-line block ×56, first 2 shown]
	ds_read_b128 v[2:5], v1 offset:1440
	s_clause 0x2
	buffer_load_dword v96, off, s[0:3], 0 offset:796
	buffer_load_dword v101, off, s[0:3], 0 offset:772
	;; [unrolled: 1-line block ×3, first 2 shown]
	ds_read_b128 v[6:9], v1 offset:1456
	s_clause 0x4
	buffer_load_dword v107, off, s[0:3], 0 offset:812
	buffer_load_dword v108, off, s[0:3], 0 offset:824
	;; [unrolled: 1-line block ×5, first 2 shown]
	s_mov_b32 s4, exec_lo
	s_waitcnt vmcnt(62) lgkmcnt(1)
	v_mul_f64 v[102:103], v[4:5], v[10:11]
	v_mul_f64 v[104:105], v[2:3], v[10:11]
	s_waitcnt vmcnt(60) lgkmcnt(0)
	v_mul_f64 v[111:112], v[8:9], v[14:15]
	ds_read_b128 v[10:13], v1 offset:1472
	v_mul_f64 v[14:15], v[6:7], v[14:15]
	s_waitcnt vmcnt(58)
	v_fma_f64 v[102:103], v[2:3], v[16:17], -v[102:103]
	v_fma_f64 v[16:17], v[4:5], v[16:17], v[104:105]
	s_clause 0x2
	buffer_load_dword v109, off, s[0:3], 0 offset:828
	buffer_load_dword v105, off, s[0:3], 0 offset:804
	;; [unrolled: 1-line block ×3, first 2 shown]
	s_waitcnt vmcnt(59) lgkmcnt(0)
	v_mul_f64 v[113:114], v[10:11], v[18:19]
	v_mul_f64 v[18:19], v[12:13], v[18:19]
	s_waitcnt vmcnt(57)
	v_fma_f64 v[115:116], v[6:7], v[20:21], -v[111:112]
	ds_read_b128 v[2:5], v1 offset:1488
	v_fma_f64 v[14:15], v[8:9], v[20:21], v[14:15]
	s_clause 0x4
	buffer_load_dword v21, off, s[0:3], 0 offset:844
	buffer_load_dword v112, off, s[0:3], 0 offset:856
	;; [unrolled: 1-line block ×5, first 2 shown]
	ds_read_b128 v[6:9], v1 offset:1504
	v_add_f64 v[102:103], v[102:103], 0
	v_add_f64 v[16:17], v[16:17], 0
	s_waitcnt vmcnt(58) lgkmcnt(1)
	v_mul_f64 v[118:119], v[2:3], v[22:23]
	v_mul_f64 v[22:23], v[4:5], v[22:23]
	s_waitcnt vmcnt(56)
	v_fma_f64 v[18:19], v[10:11], v[28:29], -v[18:19]
	v_fma_f64 v[28:29], v[12:13], v[28:29], v[113:114]
	v_add_f64 v[102:103], v[102:103], v[115:116]
	v_add_f64 v[14:15], v[16:17], v[14:15]
	s_clause 0x2
	buffer_load_dword v113, off, s[0:3], 0 offset:860
	buffer_load_dword v17, off, s[0:3], 0 offset:836
	;; [unrolled: 1-line block ×3, first 2 shown]
	s_waitcnt vmcnt(58) lgkmcnt(0)
	v_mul_f64 v[114:115], v[6:7], v[24:25]
	v_mul_f64 v[24:25], v[8:9], v[24:25]
	s_waitcnt vmcnt(56)
	v_fma_f64 v[22:23], v[2:3], v[30:31], -v[22:23]
	ds_read_b128 v[10:13], v1 offset:1520
	v_fma_f64 v[30:31], v[4:5], v[30:31], v[118:119]
	v_add_f64 v[18:19], v[102:103], v[18:19]
	v_add_f64 v[14:15], v[14:15], v[28:29]
	s_clause 0x4
	buffer_load_dword v29, off, s[0:3], 0 offset:876
	buffer_load_dword v102, off, s[0:3], 0 offset:888
	;; [unrolled: 1-line block ×5, first 2 shown]
	ds_read_b128 v[2:5], v1 offset:1536
	s_waitcnt vmcnt(57) lgkmcnt(1)
	v_mul_f64 v[120:121], v[10:11], v[32:33]
	v_mul_f64 v[32:33], v[12:13], v[32:33]
	s_waitcnt vmcnt(56)
	v_fma_f64 v[24:25], v[6:7], v[26:27], -v[24:25]
	v_add_f64 v[18:19], v[18:19], v[22:23]
	v_fma_f64 v[22:23], v[8:9], v[26:27], v[114:115]
	v_add_f64 v[14:15], v[14:15], v[30:31]
	s_clause 0x2
	buffer_load_dword v103, off, s[0:3], 0 offset:892
	buffer_load_dword v27, off, s[0:3], 0 offset:868
	;; [unrolled: 1-line block ×3, first 2 shown]
	s_waitcnt vmcnt(58) lgkmcnt(0)
	v_mul_f64 v[30:31], v[2:3], v[34:35]
	v_mul_f64 v[34:35], v[4:5], v[34:35]
	s_waitcnt vmcnt(56)
	v_fma_f64 v[32:33], v[10:11], v[38:39], -v[32:33]
	ds_read_b128 v[6:9], v1 offset:1552
	v_add_f64 v[18:19], v[18:19], v[24:25]
	v_fma_f64 v[24:25], v[12:13], v[38:39], v[120:121]
	v_add_f64 v[14:15], v[14:15], v[22:23]
	s_clause 0x2
	buffer_load_dword v23, off, s[0:3], 0 offset:908
	buffer_load_dword v22, off, s[0:3], 0 offset:904
	;; [unrolled: 1-line block ×3, first 2 shown]
	ds_read_b128 v[10:13], v1 offset:1568
	s_waitcnt vmcnt(55) lgkmcnt(1)
	v_mul_f64 v[38:39], v[6:7], v[40:41]
	v_mul_f64 v[40:41], v[8:9], v[40:41]
	s_waitcnt vmcnt(54)
	v_fma_f64 v[34:35], v[2:3], v[36:37], -v[34:35]
	v_fma_f64 v[30:31], v[4:5], v[36:37], v[30:31]
	v_add_f64 v[18:19], v[18:19], v[32:33]
	v_add_f64 v[14:15], v[14:15], v[24:25]
	s_clause 0x1
	buffer_load_dword v25, off, s[0:3], 0 offset:900
	buffer_load_dword v24, off, s[0:3], 0 offset:896
	s_waitcnt vmcnt(55) lgkmcnt(0)
	v_mul_f64 v[36:37], v[12:13], v[42:43]
	ds_read_b128 v[2:5], v1 offset:1584
	s_waitcnt vmcnt(53)
	v_fma_f64 v[40:41], v[6:7], v[46:47], -v[40:41]
	v_mul_f64 v[32:33], v[10:11], v[42:43]
	v_add_f64 v[18:19], v[18:19], v[34:35]
	v_fma_f64 v[34:35], v[8:9], v[46:47], v[38:39]
	v_add_f64 v[14:15], v[14:15], v[30:31]
	ds_read_b128 v[6:9], v1 offset:1600
	s_waitcnt vmcnt(49) lgkmcnt(1)
	v_mul_f64 v[38:39], v[4:5], v[48:49]
	s_waitcnt vmcnt(48)
	v_fma_f64 v[36:37], v[10:11], v[44:45], -v[36:37]
	v_mul_f64 v[30:31], v[2:3], v[48:49]
	v_fma_f64 v[32:33], v[12:13], v[44:45], v[32:33]
	v_add_f64 v[18:19], v[18:19], v[40:41]
	s_waitcnt vmcnt(47) lgkmcnt(0)
	v_mul_f64 v[44:45], v[8:9], v[50:51]
	v_add_f64 v[14:15], v[14:15], v[34:35]
	s_clause 0x3
	buffer_load_dword v34, off, s[0:3], 0 offset:544
	buffer_load_dword v35, off, s[0:3], 0 offset:548
	buffer_load_dword v40, off, s[0:3], 0 offset:552
	buffer_load_dword v41, off, s[0:3], 0 offset:556
	s_waitcnt vmcnt(49)
	v_fma_f64 v[38:39], v[2:3], v[54:55], -v[38:39]
	ds_read_b128 v[10:13], v1 offset:1616
	v_mul_f64 v[42:43], v[6:7], v[50:51]
	v_fma_f64 v[30:31], v[4:5], v[54:55], v[30:31]
	ds_read_b128 v[2:5], v1 offset:1632
	v_add_f64 v[18:19], v[18:19], v[36:37]
	s_waitcnt vmcnt(44)
	v_fma_f64 v[44:45], v[6:7], v[52:53], -v[44:45]
	v_add_f64 v[14:15], v[14:15], v[32:33]
	s_waitcnt lgkmcnt(1)
	v_mul_f64 v[36:37], v[12:13], v[61:62]
	v_mul_f64 v[32:33], v[10:11], v[61:62]
	v_add_f64 v[18:19], v[18:19], v[38:39]
	v_fma_f64 v[38:39], v[8:9], v[52:53], v[42:43]
	v_add_f64 v[14:15], v[14:15], v[30:31]
	s_waitcnt vmcnt(43) lgkmcnt(0)
	v_mul_f64 v[42:43], v[4:5], v[63:64]
	s_waitcnt vmcnt(41)
	v_fma_f64 v[36:37], v[10:11], v[91:92], -v[36:37]
	ds_read_b128 v[6:9], v1 offset:1648
	v_mul_f64 v[30:31], v[2:3], v[63:64]
	v_fma_f64 v[32:33], v[12:13], v[91:92], v[32:33]
	ds_read_b128 v[10:13], v1 offset:1664
	v_add_f64 v[18:19], v[18:19], v[44:45]
	v_add_f64 v[14:15], v[14:15], v[38:39]
	s_waitcnt vmcnt(37) lgkmcnt(1)
	v_mul_f64 v[44:45], v[8:9], v[93:94]
	s_waitcnt vmcnt(36)
	v_fma_f64 v[42:43], v[2:3], v[89:90], -v[42:43]
	v_mul_f64 v[38:39], v[6:7], v[93:94]
	v_fma_f64 v[30:31], v[4:5], v[89:90], v[30:31]
	ds_read_b128 v[2:5], v1 offset:1680
	v_add_f64 v[18:19], v[18:19], v[36:37]
	s_waitcnt vmcnt(35) lgkmcnt(1)
	v_mul_f64 v[36:37], v[12:13], v[95:96]
	v_add_f64 v[14:15], v[14:15], v[32:33]
	s_waitcnt vmcnt(33)
	v_fma_f64 v[44:45], v[6:7], v[100:101], -v[44:45]
	v_mul_f64 v[32:33], v[10:11], v[95:96]
	v_fma_f64 v[38:39], v[8:9], v[100:101], v[38:39]
	ds_read_b128 v[6:9], v1 offset:1696
	v_add_f64 v[18:19], v[18:19], v[42:43]
	s_waitcnt vmcnt(29) lgkmcnt(1)
	v_mul_f64 v[42:43], v[4:5], v[106:107]
	v_add_f64 v[14:15], v[14:15], v[30:31]
	s_waitcnt vmcnt(28)
	v_fma_f64 v[36:37], v[10:11], v[98:99], -v[36:37]
	v_mul_f64 v[30:31], v[2:3], v[106:107]
	v_fma_f64 v[32:33], v[12:13], v[98:99], v[32:33]
	ds_read_b128 v[10:13], v1 offset:1712
	v_add_f64 v[18:19], v[18:19], v[44:45]
	v_add_f64 v[14:15], v[14:15], v[38:39]
	s_waitcnt vmcnt(27) lgkmcnt(1)
	v_mul_f64 v[44:45], v[8:9], v[108:109]
	v_mul_f64 v[38:39], v[6:7], v[108:109]
	s_waitcnt vmcnt(25)
	v_fma_f64 v[42:43], v[2:3], v[104:105], -v[42:43]
	v_fma_f64 v[30:31], v[4:5], v[104:105], v[30:31]
	ds_read_b128 v[2:5], v1 offset:1728
	v_add_f64 v[18:19], v[18:19], v[36:37]
	v_add_f64 v[14:15], v[14:15], v[32:33]
	s_waitcnt vmcnt(21) lgkmcnt(1)
	v_mul_f64 v[32:33], v[10:11], v[20:21]
	v_mul_f64 v[20:21], v[12:13], v[20:21]
	s_waitcnt vmcnt(20)
	v_fma_f64 v[36:37], v[6:7], v[110:111], -v[44:45]
	;; [unrolled: 9-line block ×4, first 2 shown]
	v_add_f64 v[18:19], v[18:19], v[20:21]
	v_fma_f64 v[20:21], v[4:5], v[117:118], v[30:31]
	v_add_f64 v[14:15], v[14:15], v[16:17]
	ds_read_b128 v[1:4], v1 offset:1776
	s_waitcnt vmcnt(11) lgkmcnt(1)
	v_mul_f64 v[30:31], v[12:13], v[102:103]
	v_mul_f64 v[16:17], v[10:11], v[102:103]
	s_waitcnt vmcnt(9)
	v_fma_f64 v[5:6], v[6:7], v[26:27], -v[28:29]
	v_fma_f64 v[7:8], v[8:9], v[26:27], v[32:33]
	v_add_f64 v[18:19], v[18:19], v[36:37]
	v_add_f64 v[14:15], v[14:15], v[20:21]
	s_waitcnt vmcnt(7) lgkmcnt(0)
	v_mul_f64 v[20:21], v[1:2], v[22:23]
	v_mul_f64 v[22:23], v[3:4], v[22:23]
	s_waitcnt vmcnt(6)
	v_fma_f64 v[9:10], v[10:11], v[119:120], -v[30:31]
	v_fma_f64 v[11:12], v[12:13], v[119:120], v[16:17]
	v_add_f64 v[5:6], v[18:19], v[5:6]
	v_add_f64 v[7:8], v[14:15], v[7:8]
	s_waitcnt vmcnt(4)
	v_fma_f64 v[1:2], v[1:2], v[24:25], -v[22:23]
	v_fma_f64 v[3:4], v[3:4], v[24:25], v[20:21]
	v_add_f64 v[5:6], v[5:6], v[9:10]
	v_add_f64 v[7:8], v[7:8], v[11:12]
	;; [unrolled: 1-line block ×4, first 2 shown]
	s_waitcnt vmcnt(2)
	v_add_f64 v[1:2], v[34:35], -v[1:2]
	s_waitcnt vmcnt(0)
	v_add_f64 v[3:4], v[40:41], -v[3:4]
	buffer_store_dword v2, off, s[0:3], 0 offset:548
	buffer_store_dword v1, off, s[0:3], 0 offset:544
	;; [unrolled: 1-line block ×4, first 2 shown]
	v_cmpx_lt_u32_e32 32, v0
	s_cbranch_execz .LBB55_285
; %bb.284:
	v_mov_b32_e32 v4, s36
	v_mov_b32_e32 v5, 0
	s_clause 0x3
	buffer_load_dword v1, v4, s[0:3], 0 offen
	buffer_load_dword v2, v4, s[0:3], 0 offen offset:4
	buffer_load_dword v3, v4, s[0:3], 0 offen offset:8
	buffer_load_dword v4, v4, s[0:3], 0 offen offset:12
	buffer_store_dword v5, off, s[0:3], 0 offset:528
	buffer_store_dword v5, off, s[0:3], 0 offset:532
	buffer_store_dword v5, off, s[0:3], 0 offset:536
	buffer_store_dword v5, off, s[0:3], 0 offset:540
	s_waitcnt vmcnt(0)
	ds_write_b128 v97, v[1:4]
.LBB55_285:
	s_or_b32 exec_lo, exec_lo, s4
	s_waitcnt lgkmcnt(0)
	s_waitcnt_vscnt null, 0x0
	s_barrier
	buffer_gl0_inv
	s_clause 0x37
	buffer_load_dword v10, off, s[0:3], 0 offset:552
	buffer_load_dword v11, off, s[0:3], 0 offset:556
	;; [unrolled: 1-line block ×56, first 2 shown]
	v_mov_b32_e32 v1, 0
	s_mov_b32 s4, exec_lo
	ds_read_b128 v[2:5], v1 offset:1424
	s_clause 0x2
	buffer_load_dword v96, off, s[0:3], 0 offset:780
	buffer_load_dword v101, off, s[0:3], 0 offset:756
	;; [unrolled: 1-line block ×3, first 2 shown]
	ds_read_b128 v[6:9], v1 offset:1440
	s_clause 0x4
	buffer_load_dword v107, off, s[0:3], 0 offset:796
	buffer_load_dword v108, off, s[0:3], 0 offset:808
	;; [unrolled: 1-line block ×5, first 2 shown]
	s_waitcnt vmcnt(62) lgkmcnt(1)
	v_mul_f64 v[102:103], v[4:5], v[10:11]
	v_mul_f64 v[104:105], v[2:3], v[10:11]
	s_waitcnt vmcnt(60) lgkmcnt(0)
	v_mul_f64 v[111:112], v[8:9], v[14:15]
	ds_read_b128 v[10:13], v1 offset:1456
	v_mul_f64 v[14:15], v[6:7], v[14:15]
	s_waitcnt vmcnt(58)
	v_fma_f64 v[102:103], v[2:3], v[16:17], -v[102:103]
	v_fma_f64 v[16:17], v[4:5], v[16:17], v[104:105]
	s_clause 0x2
	buffer_load_dword v109, off, s[0:3], 0 offset:812
	buffer_load_dword v105, off, s[0:3], 0 offset:788
	;; [unrolled: 1-line block ×3, first 2 shown]
	s_waitcnt vmcnt(59) lgkmcnt(0)
	v_mul_f64 v[113:114], v[10:11], v[18:19]
	v_mul_f64 v[18:19], v[12:13], v[18:19]
	s_waitcnt vmcnt(57)
	v_fma_f64 v[115:116], v[6:7], v[20:21], -v[111:112]
	ds_read_b128 v[2:5], v1 offset:1472
	v_fma_f64 v[14:15], v[8:9], v[20:21], v[14:15]
	s_clause 0x4
	buffer_load_dword v21, off, s[0:3], 0 offset:828
	buffer_load_dword v112, off, s[0:3], 0 offset:840
	;; [unrolled: 1-line block ×5, first 2 shown]
	ds_read_b128 v[6:9], v1 offset:1488
	v_add_f64 v[102:103], v[102:103], 0
	v_add_f64 v[16:17], v[16:17], 0
	s_waitcnt vmcnt(58) lgkmcnt(1)
	v_mul_f64 v[118:119], v[2:3], v[22:23]
	v_mul_f64 v[22:23], v[4:5], v[22:23]
	s_waitcnt vmcnt(56)
	v_fma_f64 v[18:19], v[10:11], v[28:29], -v[18:19]
	v_fma_f64 v[28:29], v[12:13], v[28:29], v[113:114]
	v_add_f64 v[102:103], v[102:103], v[115:116]
	v_add_f64 v[14:15], v[16:17], v[14:15]
	s_clause 0x2
	buffer_load_dword v113, off, s[0:3], 0 offset:844
	buffer_load_dword v17, off, s[0:3], 0 offset:820
	;; [unrolled: 1-line block ×3, first 2 shown]
	s_waitcnt vmcnt(58) lgkmcnt(0)
	v_mul_f64 v[114:115], v[6:7], v[24:25]
	v_mul_f64 v[24:25], v[8:9], v[24:25]
	s_waitcnt vmcnt(56)
	v_fma_f64 v[22:23], v[2:3], v[30:31], -v[22:23]
	ds_read_b128 v[10:13], v1 offset:1504
	v_fma_f64 v[30:31], v[4:5], v[30:31], v[118:119]
	v_add_f64 v[18:19], v[102:103], v[18:19]
	v_add_f64 v[14:15], v[14:15], v[28:29]
	s_clause 0x4
	buffer_load_dword v29, off, s[0:3], 0 offset:860
	buffer_load_dword v102, off, s[0:3], 0 offset:872
	;; [unrolled: 1-line block ×5, first 2 shown]
	ds_read_b128 v[2:5], v1 offset:1520
	s_waitcnt vmcnt(57) lgkmcnt(1)
	v_mul_f64 v[120:121], v[10:11], v[32:33]
	v_mul_f64 v[32:33], v[12:13], v[32:33]
	s_waitcnt vmcnt(56)
	v_fma_f64 v[24:25], v[6:7], v[26:27], -v[24:25]
	v_add_f64 v[18:19], v[18:19], v[22:23]
	v_fma_f64 v[22:23], v[8:9], v[26:27], v[114:115]
	v_add_f64 v[14:15], v[14:15], v[30:31]
	s_clause 0x2
	buffer_load_dword v103, off, s[0:3], 0 offset:876
	buffer_load_dword v27, off, s[0:3], 0 offset:852
	;; [unrolled: 1-line block ×3, first 2 shown]
	s_waitcnt vmcnt(58) lgkmcnt(0)
	v_mul_f64 v[30:31], v[2:3], v[34:35]
	v_mul_f64 v[34:35], v[4:5], v[34:35]
	s_waitcnt vmcnt(56)
	v_fma_f64 v[32:33], v[10:11], v[38:39], -v[32:33]
	ds_read_b128 v[6:9], v1 offset:1536
	v_add_f64 v[18:19], v[18:19], v[24:25]
	v_fma_f64 v[24:25], v[12:13], v[38:39], v[120:121]
	v_add_f64 v[14:15], v[14:15], v[22:23]
	s_clause 0x4
	buffer_load_dword v23, off, s[0:3], 0 offset:892
	buffer_load_dword v38, off, s[0:3], 0 offset:904
	;; [unrolled: 1-line block ×5, first 2 shown]
	ds_read_b128 v[10:13], v1 offset:1552
	s_waitcnt vmcnt(57) lgkmcnt(1)
	v_mul_f64 v[115:116], v[6:7], v[40:41]
	v_mul_f64 v[40:41], v[8:9], v[40:41]
	s_waitcnt vmcnt(56)
	v_fma_f64 v[34:35], v[2:3], v[36:37], -v[34:35]
	v_fma_f64 v[30:31], v[4:5], v[36:37], v[30:31]
	v_add_f64 v[18:19], v[18:19], v[32:33]
	v_add_f64 v[14:15], v[14:15], v[24:25]
	s_clause 0x2
	buffer_load_dword v39, off, s[0:3], 0 offset:908
	buffer_load_dword v25, off, s[0:3], 0 offset:884
	;; [unrolled: 1-line block ×3, first 2 shown]
	s_waitcnt vmcnt(58) lgkmcnt(0)
	v_mul_f64 v[36:37], v[12:13], v[42:43]
	ds_read_b128 v[2:5], v1 offset:1568
	s_waitcnt vmcnt(56)
	v_fma_f64 v[40:41], v[6:7], v[46:47], -v[40:41]
	v_mul_f64 v[32:33], v[10:11], v[42:43]
	v_add_f64 v[18:19], v[18:19], v[34:35]
	v_fma_f64 v[34:35], v[8:9], v[46:47], v[115:116]
	v_add_f64 v[14:15], v[14:15], v[30:31]
	buffer_load_dword v115, off, s[0:3], 0 offset:900
	ds_read_b128 v[6:9], v1 offset:1584
	s_waitcnt vmcnt(53) lgkmcnt(1)
	v_mul_f64 v[42:43], v[4:5], v[48:49]
	s_waitcnt vmcnt(52)
	v_fma_f64 v[36:37], v[10:11], v[44:45], -v[36:37]
	v_mul_f64 v[30:31], v[2:3], v[48:49]
	v_fma_f64 v[32:33], v[12:13], v[44:45], v[32:33]
	ds_read_b128 v[10:13], v1 offset:1600
	v_add_f64 v[18:19], v[18:19], v[40:41]
	v_add_f64 v[14:15], v[14:15], v[34:35]
	s_waitcnt vmcnt(51) lgkmcnt(1)
	v_mul_f64 v[40:41], v[8:9], v[50:51]
	v_mul_f64 v[34:35], v[6:7], v[50:51]
	s_waitcnt vmcnt(49)
	v_fma_f64 v[42:43], v[2:3], v[54:55], -v[42:43]
	v_fma_f64 v[30:31], v[4:5], v[54:55], v[30:31]
	s_waitcnt vmcnt(45) lgkmcnt(0)
	v_mul_f64 v[46:47], v[12:13], v[61:62]
	v_mul_f64 v[44:45], v[10:11], v[61:62]
	v_add_f64 v[18:19], v[18:19], v[36:37]
	v_add_f64 v[14:15], v[14:15], v[32:33]
	s_clause 0x3
	buffer_load_dword v32, off, s[0:3], 0 offset:528
	buffer_load_dword v33, off, s[0:3], 0 offset:532
	;; [unrolled: 1-line block ×4, first 2 shown]
	s_waitcnt vmcnt(48)
	v_fma_f64 v[40:41], v[6:7], v[52:53], -v[40:41]
	ds_read_b128 v[2:5], v1 offset:1616
	v_fma_f64 v[34:35], v[8:9], v[52:53], v[34:35]
	ds_read_b128 v[6:9], v1 offset:1632
	s_waitcnt vmcnt(45)
	v_fma_f64 v[46:47], v[10:11], v[91:92], -v[46:47]
	v_add_f64 v[18:19], v[18:19], v[42:43]
	v_add_f64 v[14:15], v[14:15], v[30:31]
	s_waitcnt lgkmcnt(1)
	v_mul_f64 v[42:43], v[4:5], v[63:64]
	v_mul_f64 v[30:31], v[2:3], v[63:64]
	v_add_f64 v[18:19], v[18:19], v[40:41]
	v_fma_f64 v[40:41], v[12:13], v[91:92], v[44:45]
	v_add_f64 v[14:15], v[14:15], v[34:35]
	s_waitcnt vmcnt(41) lgkmcnt(0)
	v_mul_f64 v[44:45], v[8:9], v[93:94]
	s_waitcnt vmcnt(40)
	v_fma_f64 v[42:43], v[2:3], v[89:90], -v[42:43]
	ds_read_b128 v[10:13], v1 offset:1648
	v_mul_f64 v[34:35], v[6:7], v[93:94]
	v_fma_f64 v[30:31], v[4:5], v[89:90], v[30:31]
	ds_read_b128 v[2:5], v1 offset:1664
	v_add_f64 v[18:19], v[18:19], v[46:47]
	v_add_f64 v[14:15], v[14:15], v[40:41]
	s_waitcnt vmcnt(39) lgkmcnt(1)
	v_mul_f64 v[46:47], v[12:13], v[95:96]
	s_waitcnt vmcnt(37)
	v_fma_f64 v[44:45], v[6:7], v[100:101], -v[44:45]
	v_mul_f64 v[40:41], v[10:11], v[95:96]
	v_fma_f64 v[34:35], v[8:9], v[100:101], v[34:35]
	ds_read_b128 v[6:9], v1 offset:1680
	v_add_f64 v[18:19], v[18:19], v[42:43]
	s_waitcnt vmcnt(33) lgkmcnt(1)
	v_mul_f64 v[42:43], v[4:5], v[106:107]
	v_add_f64 v[14:15], v[14:15], v[30:31]
	s_waitcnt vmcnt(32)
	v_fma_f64 v[46:47], v[10:11], v[98:99], -v[46:47]
	v_mul_f64 v[30:31], v[2:3], v[106:107]
	v_fma_f64 v[40:41], v[12:13], v[98:99], v[40:41]
	ds_read_b128 v[10:13], v1 offset:1696
	v_add_f64 v[18:19], v[18:19], v[44:45]
	v_add_f64 v[14:15], v[14:15], v[34:35]
	s_waitcnt vmcnt(31) lgkmcnt(1)
	v_mul_f64 v[44:45], v[8:9], v[108:109]
	v_mul_f64 v[34:35], v[6:7], v[108:109]
	s_waitcnt vmcnt(29)
	v_fma_f64 v[42:43], v[2:3], v[104:105], -v[42:43]
	v_fma_f64 v[30:31], v[4:5], v[104:105], v[30:31]
	ds_read_b128 v[2:5], v1 offset:1712
	v_add_f64 v[18:19], v[18:19], v[46:47]
	v_add_f64 v[14:15], v[14:15], v[40:41]
	s_waitcnt vmcnt(25) lgkmcnt(1)
	v_mul_f64 v[40:41], v[10:11], v[20:21]
	v_mul_f64 v[20:21], v[12:13], v[20:21]
	s_waitcnt vmcnt(24)
	v_fma_f64 v[44:45], v[6:7], v[110:111], -v[44:45]
	;; [unrolled: 9-line block ×4, first 2 shown]
	v_add_f64 v[18:19], v[18:19], v[20:21]
	v_fma_f64 v[20:21], v[4:5], v[117:118], v[30:31]
	v_add_f64 v[14:15], v[14:15], v[16:17]
	ds_read_b128 v[2:5], v1 offset:1760
	s_waitcnt vmcnt(15) lgkmcnt(1)
	v_mul_f64 v[30:31], v[12:13], v[102:103]
	v_mul_f64 v[16:17], v[10:11], v[102:103]
	s_waitcnt vmcnt(13)
	v_fma_f64 v[28:29], v[6:7], v[26:27], -v[28:29]
	v_fma_f64 v[26:27], v[8:9], v[26:27], v[34:35]
	ds_read_b128 v[6:9], v1 offset:1776
	v_add_f64 v[18:19], v[18:19], v[40:41]
	v_add_f64 v[14:15], v[14:15], v[20:21]
	s_waitcnt vmcnt(9) lgkmcnt(1)
	v_mul_f64 v[20:21], v[2:3], v[22:23]
	v_mul_f64 v[22:23], v[4:5], v[22:23]
	s_waitcnt vmcnt(8)
	v_fma_f64 v[10:11], v[10:11], v[119:120], -v[30:31]
	v_fma_f64 v[12:13], v[12:13], v[119:120], v[16:17]
	v_add_f64 v[18:19], v[18:19], v[28:29]
	v_add_f64 v[14:15], v[14:15], v[26:27]
	s_waitcnt vmcnt(7) lgkmcnt(0)
	v_mul_f64 v[26:27], v[8:9], v[38:39]
	v_mul_f64 v[16:17], v[6:7], v[38:39]
	s_waitcnt vmcnt(5)
	v_fma_f64 v[2:3], v[2:3], v[24:25], -v[22:23]
	v_fma_f64 v[4:5], v[4:5], v[24:25], v[20:21]
	v_add_f64 v[10:11], v[18:19], v[10:11]
	v_add_f64 v[12:13], v[14:15], v[12:13]
	s_waitcnt vmcnt(4)
	v_fma_f64 v[6:7], v[6:7], v[114:115], -v[26:27]
	v_fma_f64 v[8:9], v[8:9], v[114:115], v[16:17]
	v_add_f64 v[2:3], v[10:11], v[2:3]
	v_add_f64 v[4:5], v[12:13], v[4:5]
	;; [unrolled: 1-line block ×4, first 2 shown]
	s_waitcnt vmcnt(2)
	v_add_f64 v[2:3], v[32:33], -v[2:3]
	s_waitcnt vmcnt(0)
	v_add_f64 v[4:5], v[36:37], -v[4:5]
	buffer_store_dword v3, off, s[0:3], 0 offset:532
	buffer_store_dword v2, off, s[0:3], 0 offset:528
	;; [unrolled: 1-line block ×4, first 2 shown]
	v_cmpx_lt_u32_e32 31, v0
	s_cbranch_execz .LBB55_287
; %bb.286:
	v_mov_b32_e32 v5, s37
	s_clause 0x3
	buffer_load_dword v2, v5, s[0:3], 0 offen
	buffer_load_dword v3, v5, s[0:3], 0 offen offset:4
	buffer_load_dword v4, v5, s[0:3], 0 offen offset:8
	;; [unrolled: 1-line block ×3, first 2 shown]
	buffer_store_dword v1, off, s[0:3], 0 offset:512
	buffer_store_dword v1, off, s[0:3], 0 offset:516
	;; [unrolled: 1-line block ×4, first 2 shown]
	s_waitcnt vmcnt(0)
	ds_write_b128 v97, v[2:5]
.LBB55_287:
	s_or_b32 exec_lo, exec_lo, s4
	s_waitcnt lgkmcnt(0)
	s_waitcnt_vscnt null, 0x0
	s_barrier
	buffer_gl0_inv
	s_clause 0x37
	buffer_load_dword v10, off, s[0:3], 0 offset:536
	buffer_load_dword v11, off, s[0:3], 0 offset:540
	;; [unrolled: 1-line block ×56, first 2 shown]
	ds_read_b128 v[2:5], v1 offset:1408
	s_clause 0x2
	buffer_load_dword v96, off, s[0:3], 0 offset:764
	buffer_load_dword v101, off, s[0:3], 0 offset:740
	;; [unrolled: 1-line block ×3, first 2 shown]
	ds_read_b128 v[6:9], v1 offset:1424
	s_clause 0x4
	buffer_load_dword v107, off, s[0:3], 0 offset:780
	buffer_load_dword v108, off, s[0:3], 0 offset:792
	;; [unrolled: 1-line block ×5, first 2 shown]
	s_mov_b32 s4, exec_lo
	s_waitcnt vmcnt(62) lgkmcnt(1)
	v_mul_f64 v[102:103], v[4:5], v[10:11]
	v_mul_f64 v[104:105], v[2:3], v[10:11]
	s_waitcnt vmcnt(60) lgkmcnt(0)
	v_mul_f64 v[111:112], v[8:9], v[14:15]
	ds_read_b128 v[10:13], v1 offset:1440
	v_mul_f64 v[14:15], v[6:7], v[14:15]
	s_waitcnt vmcnt(58)
	v_fma_f64 v[102:103], v[2:3], v[16:17], -v[102:103]
	v_fma_f64 v[16:17], v[4:5], v[16:17], v[104:105]
	s_clause 0x2
	buffer_load_dword v109, off, s[0:3], 0 offset:796
	buffer_load_dword v105, off, s[0:3], 0 offset:772
	;; [unrolled: 1-line block ×3, first 2 shown]
	s_waitcnt vmcnt(59) lgkmcnt(0)
	v_mul_f64 v[113:114], v[10:11], v[18:19]
	v_mul_f64 v[18:19], v[12:13], v[18:19]
	s_waitcnt vmcnt(57)
	v_fma_f64 v[115:116], v[6:7], v[20:21], -v[111:112]
	ds_read_b128 v[2:5], v1 offset:1456
	v_fma_f64 v[14:15], v[8:9], v[20:21], v[14:15]
	s_clause 0x4
	buffer_load_dword v21, off, s[0:3], 0 offset:812
	buffer_load_dword v112, off, s[0:3], 0 offset:824
	;; [unrolled: 1-line block ×5, first 2 shown]
	ds_read_b128 v[6:9], v1 offset:1472
	v_add_f64 v[102:103], v[102:103], 0
	v_add_f64 v[16:17], v[16:17], 0
	s_waitcnt vmcnt(58) lgkmcnt(1)
	v_mul_f64 v[118:119], v[2:3], v[22:23]
	v_mul_f64 v[22:23], v[4:5], v[22:23]
	s_waitcnt vmcnt(56)
	v_fma_f64 v[18:19], v[10:11], v[28:29], -v[18:19]
	v_fma_f64 v[28:29], v[12:13], v[28:29], v[113:114]
	v_add_f64 v[102:103], v[102:103], v[115:116]
	v_add_f64 v[14:15], v[16:17], v[14:15]
	s_clause 0x2
	buffer_load_dword v113, off, s[0:3], 0 offset:828
	buffer_load_dword v17, off, s[0:3], 0 offset:804
	;; [unrolled: 1-line block ×3, first 2 shown]
	s_waitcnt vmcnt(58) lgkmcnt(0)
	v_mul_f64 v[114:115], v[6:7], v[24:25]
	v_mul_f64 v[24:25], v[8:9], v[24:25]
	s_waitcnt vmcnt(56)
	v_fma_f64 v[22:23], v[2:3], v[30:31], -v[22:23]
	ds_read_b128 v[10:13], v1 offset:1488
	v_fma_f64 v[30:31], v[4:5], v[30:31], v[118:119]
	v_add_f64 v[18:19], v[102:103], v[18:19]
	v_add_f64 v[14:15], v[14:15], v[28:29]
	s_clause 0x4
	buffer_load_dword v29, off, s[0:3], 0 offset:844
	buffer_load_dword v102, off, s[0:3], 0 offset:856
	;; [unrolled: 1-line block ×5, first 2 shown]
	ds_read_b128 v[2:5], v1 offset:1504
	s_waitcnt vmcnt(57) lgkmcnt(1)
	v_mul_f64 v[120:121], v[10:11], v[32:33]
	v_mul_f64 v[32:33], v[12:13], v[32:33]
	s_waitcnt vmcnt(56)
	v_fma_f64 v[24:25], v[6:7], v[26:27], -v[24:25]
	v_add_f64 v[18:19], v[18:19], v[22:23]
	v_fma_f64 v[22:23], v[8:9], v[26:27], v[114:115]
	v_add_f64 v[14:15], v[14:15], v[30:31]
	s_clause 0x2
	buffer_load_dword v103, off, s[0:3], 0 offset:860
	buffer_load_dword v27, off, s[0:3], 0 offset:836
	;; [unrolled: 1-line block ×3, first 2 shown]
	s_waitcnt vmcnt(58) lgkmcnt(0)
	v_mul_f64 v[30:31], v[2:3], v[34:35]
	v_mul_f64 v[34:35], v[4:5], v[34:35]
	s_waitcnt vmcnt(56)
	v_fma_f64 v[32:33], v[10:11], v[38:39], -v[32:33]
	ds_read_b128 v[6:9], v1 offset:1520
	v_add_f64 v[18:19], v[18:19], v[24:25]
	v_fma_f64 v[24:25], v[12:13], v[38:39], v[120:121]
	v_add_f64 v[14:15], v[14:15], v[22:23]
	s_clause 0x4
	buffer_load_dword v23, off, s[0:3], 0 offset:876
	buffer_load_dword v38, off, s[0:3], 0 offset:888
	;; [unrolled: 1-line block ×5, first 2 shown]
	ds_read_b128 v[10:13], v1 offset:1536
	s_waitcnt vmcnt(57) lgkmcnt(1)
	v_mul_f64 v[115:116], v[6:7], v[40:41]
	v_mul_f64 v[40:41], v[8:9], v[40:41]
	s_waitcnt vmcnt(56)
	v_fma_f64 v[34:35], v[2:3], v[36:37], -v[34:35]
	v_fma_f64 v[30:31], v[4:5], v[36:37], v[30:31]
	v_add_f64 v[18:19], v[18:19], v[32:33]
	v_add_f64 v[14:15], v[14:15], v[24:25]
	s_clause 0x2
	buffer_load_dword v39, off, s[0:3], 0 offset:892
	buffer_load_dword v25, off, s[0:3], 0 offset:868
	;; [unrolled: 1-line block ×3, first 2 shown]
	s_waitcnt vmcnt(58) lgkmcnt(0)
	v_mul_f64 v[36:37], v[12:13], v[42:43]
	ds_read_b128 v[2:5], v1 offset:1552
	s_waitcnt vmcnt(56)
	v_fma_f64 v[40:41], v[6:7], v[46:47], -v[40:41]
	v_mul_f64 v[32:33], v[10:11], v[42:43]
	v_add_f64 v[18:19], v[18:19], v[34:35]
	v_fma_f64 v[34:35], v[8:9], v[46:47], v[115:116]
	v_add_f64 v[14:15], v[14:15], v[30:31]
	s_clause 0x2
	buffer_load_dword v31, off, s[0:3], 0 offset:908
	buffer_load_dword v30, off, s[0:3], 0 offset:904
	;; [unrolled: 1-line block ×3, first 2 shown]
	s_waitcnt vmcnt(55) lgkmcnt(0)
	v_mul_f64 v[46:47], v[4:5], v[48:49]
	s_waitcnt vmcnt(54)
	v_fma_f64 v[36:37], v[10:11], v[44:45], -v[36:37]
	ds_read_b128 v[6:9], v1 offset:1568
	v_mul_f64 v[42:43], v[2:3], v[48:49]
	v_fma_f64 v[32:33], v[12:13], v[44:45], v[32:33]
	v_add_f64 v[18:19], v[18:19], v[40:41]
	v_add_f64 v[14:15], v[14:15], v[34:35]
	s_clause 0x1
	buffer_load_dword v35, off, s[0:3], 0 offset:900
	buffer_load_dword v34, off, s[0:3], 0 offset:896
	s_waitcnt vmcnt(55) lgkmcnt(0)
	v_mul_f64 v[44:45], v[8:9], v[50:51]
	s_waitcnt vmcnt(53)
	v_fma_f64 v[46:47], v[2:3], v[54:55], -v[46:47]
	ds_read_b128 v[10:13], v1 offset:1584
	v_mul_f64 v[40:41], v[6:7], v[50:51]
	v_add_f64 v[18:19], v[18:19], v[36:37]
	v_fma_f64 v[36:37], v[4:5], v[54:55], v[42:43]
	v_add_f64 v[14:15], v[14:15], v[32:33]
	ds_read_b128 v[2:5], v1 offset:1600
	s_waitcnt vmcnt(49) lgkmcnt(1)
	v_mul_f64 v[42:43], v[12:13], v[61:62]
	s_waitcnt vmcnt(48)
	v_fma_f64 v[44:45], v[6:7], v[52:53], -v[44:45]
	v_mul_f64 v[32:33], v[10:11], v[61:62]
	v_fma_f64 v[40:41], v[8:9], v[52:53], v[40:41]
	v_add_f64 v[18:19], v[18:19], v[46:47]
	s_waitcnt vmcnt(47) lgkmcnt(0)
	v_mul_f64 v[50:51], v[4:5], v[63:64]
	v_add_f64 v[14:15], v[14:15], v[36:37]
	s_clause 0x3
	buffer_load_dword v36, off, s[0:3], 0 offset:512
	buffer_load_dword v37, off, s[0:3], 0 offset:516
	buffer_load_dword v46, off, s[0:3], 0 offset:520
	buffer_load_dword v47, off, s[0:3], 0 offset:524
	s_waitcnt vmcnt(49)
	v_fma_f64 v[42:43], v[10:11], v[91:92], -v[42:43]
	ds_read_b128 v[6:9], v1 offset:1616
	v_mul_f64 v[48:49], v[2:3], v[63:64]
	v_fma_f64 v[32:33], v[12:13], v[91:92], v[32:33]
	ds_read_b128 v[10:13], v1 offset:1632
	v_add_f64 v[18:19], v[18:19], v[44:45]
	s_waitcnt vmcnt(44)
	v_fma_f64 v[50:51], v[2:3], v[89:90], -v[50:51]
	v_add_f64 v[14:15], v[14:15], v[40:41]
	s_waitcnt lgkmcnt(1)
	v_mul_f64 v[44:45], v[8:9], v[93:94]
	v_mul_f64 v[40:41], v[6:7], v[93:94]
	v_add_f64 v[18:19], v[18:19], v[42:43]
	v_fma_f64 v[42:43], v[4:5], v[89:90], v[48:49]
	v_add_f64 v[14:15], v[14:15], v[32:33]
	s_waitcnt vmcnt(43) lgkmcnt(0)
	v_mul_f64 v[48:49], v[12:13], v[95:96]
	s_waitcnt vmcnt(41)
	v_fma_f64 v[44:45], v[6:7], v[100:101], -v[44:45]
	ds_read_b128 v[2:5], v1 offset:1648
	v_mul_f64 v[32:33], v[10:11], v[95:96]
	v_fma_f64 v[40:41], v[8:9], v[100:101], v[40:41]
	ds_read_b128 v[6:9], v1 offset:1664
	v_add_f64 v[18:19], v[18:19], v[50:51]
	v_add_f64 v[14:15], v[14:15], v[42:43]
	s_waitcnt vmcnt(37) lgkmcnt(1)
	v_mul_f64 v[50:51], v[4:5], v[106:107]
	s_waitcnt vmcnt(36)
	v_fma_f64 v[48:49], v[10:11], v[98:99], -v[48:49]
	v_mul_f64 v[42:43], v[2:3], v[106:107]
	v_fma_f64 v[32:33], v[12:13], v[98:99], v[32:33]
	ds_read_b128 v[10:13], v1 offset:1680
	v_add_f64 v[18:19], v[18:19], v[44:45]
	v_add_f64 v[14:15], v[14:15], v[40:41]
	s_waitcnt vmcnt(35) lgkmcnt(1)
	v_mul_f64 v[44:45], v[8:9], v[108:109]
	v_mul_f64 v[40:41], v[6:7], v[108:109]
	s_waitcnt vmcnt(33)
	v_fma_f64 v[50:51], v[2:3], v[104:105], -v[50:51]
	v_fma_f64 v[42:43], v[4:5], v[104:105], v[42:43]
	ds_read_b128 v[2:5], v1 offset:1696
	v_add_f64 v[18:19], v[18:19], v[48:49]
	v_add_f64 v[14:15], v[14:15], v[32:33]
	s_waitcnt vmcnt(29) lgkmcnt(1)
	v_mul_f64 v[32:33], v[10:11], v[20:21]
	v_mul_f64 v[20:21], v[12:13], v[20:21]
	s_waitcnt vmcnt(28)
	v_fma_f64 v[44:45], v[6:7], v[110:111], -v[44:45]
	;; [unrolled: 9-line block ×4, first 2 shown]
	v_add_f64 v[18:19], v[18:19], v[20:21]
	v_fma_f64 v[20:21], v[4:5], v[117:118], v[42:43]
	v_add_f64 v[14:15], v[14:15], v[16:17]
	ds_read_b128 v[2:5], v1 offset:1744
	s_waitcnt vmcnt(19) lgkmcnt(1)
	v_mul_f64 v[42:43], v[12:13], v[102:103]
	v_mul_f64 v[16:17], v[10:11], v[102:103]
	s_waitcnt vmcnt(17)
	v_fma_f64 v[28:29], v[6:7], v[26:27], -v[28:29]
	v_fma_f64 v[26:27], v[8:9], v[26:27], v[32:33]
	ds_read_b128 v[6:9], v1 offset:1760
	v_add_f64 v[18:19], v[18:19], v[40:41]
	v_add_f64 v[14:15], v[14:15], v[20:21]
	s_waitcnt vmcnt(13) lgkmcnt(1)
	v_mul_f64 v[20:21], v[2:3], v[22:23]
	v_mul_f64 v[22:23], v[4:5], v[22:23]
	s_waitcnt vmcnt(12)
	v_fma_f64 v[32:33], v[10:11], v[119:120], -v[42:43]
	v_fma_f64 v[16:17], v[12:13], v[119:120], v[16:17]
	ds_read_b128 v[10:13], v1 offset:1776
	v_add_f64 v[18:19], v[18:19], v[28:29]
	v_add_f64 v[14:15], v[14:15], v[26:27]
	s_waitcnt vmcnt(11) lgkmcnt(1)
	v_mul_f64 v[28:29], v[8:9], v[38:39]
	v_mul_f64 v[26:27], v[6:7], v[38:39]
	s_waitcnt vmcnt(9)
	v_fma_f64 v[1:2], v[2:3], v[24:25], -v[22:23]
	v_fma_f64 v[3:4], v[4:5], v[24:25], v[20:21]
	v_add_f64 v[18:19], v[18:19], v[32:33]
	v_add_f64 v[14:15], v[14:15], v[16:17]
	s_waitcnt vmcnt(7) lgkmcnt(0)
	v_mul_f64 v[20:21], v[12:13], v[30:31]
	s_waitcnt vmcnt(6)
	v_fma_f64 v[5:6], v[6:7], v[114:115], -v[28:29]
	v_mul_f64 v[16:17], v[10:11], v[30:31]
	v_fma_f64 v[7:8], v[8:9], v[114:115], v[26:27]
	v_add_f64 v[1:2], v[18:19], v[1:2]
	v_add_f64 v[3:4], v[14:15], v[3:4]
	s_waitcnt vmcnt(4)
	v_fma_f64 v[9:10], v[10:11], v[34:35], -v[20:21]
	v_add_f64 v[1:2], v[1:2], v[5:6]
	v_fma_f64 v[5:6], v[12:13], v[34:35], v[16:17]
	v_add_f64 v[3:4], v[3:4], v[7:8]
	v_add_f64 v[1:2], v[1:2], v[9:10]
	;; [unrolled: 1-line block ×3, first 2 shown]
	s_waitcnt vmcnt(2)
	v_add_f64 v[1:2], v[36:37], -v[1:2]
	s_waitcnt vmcnt(0)
	v_add_f64 v[3:4], v[46:47], -v[3:4]
	buffer_store_dword v2, off, s[0:3], 0 offset:516
	buffer_store_dword v1, off, s[0:3], 0 offset:512
	;; [unrolled: 1-line block ×4, first 2 shown]
	v_cmpx_lt_u32_e32 30, v0
	s_cbranch_execz .LBB55_289
; %bb.288:
	v_mov_b32_e32 v4, s38
	v_mov_b32_e32 v5, 0
	s_clause 0x3
	buffer_load_dword v1, v4, s[0:3], 0 offen
	buffer_load_dword v2, v4, s[0:3], 0 offen offset:4
	buffer_load_dword v3, v4, s[0:3], 0 offen offset:8
	;; [unrolled: 1-line block ×3, first 2 shown]
	buffer_store_dword v5, off, s[0:3], 0 offset:496
	buffer_store_dword v5, off, s[0:3], 0 offset:500
	;; [unrolled: 1-line block ×4, first 2 shown]
	s_waitcnt vmcnt(0)
	ds_write_b128 v97, v[1:4]
.LBB55_289:
	s_or_b32 exec_lo, exec_lo, s4
	s_waitcnt lgkmcnt(0)
	s_waitcnt_vscnt null, 0x0
	s_barrier
	buffer_gl0_inv
	s_clause 0x37
	buffer_load_dword v10, off, s[0:3], 0 offset:520
	buffer_load_dword v11, off, s[0:3], 0 offset:524
	;; [unrolled: 1-line block ×56, first 2 shown]
	v_mov_b32_e32 v1, 0
	s_mov_b32 s4, exec_lo
	ds_read_b128 v[2:5], v1 offset:1392
	s_clause 0x2
	buffer_load_dword v96, off, s[0:3], 0 offset:748
	buffer_load_dword v101, off, s[0:3], 0 offset:724
	;; [unrolled: 1-line block ×3, first 2 shown]
	ds_read_b128 v[6:9], v1 offset:1408
	s_clause 0x4
	buffer_load_dword v107, off, s[0:3], 0 offset:764
	buffer_load_dword v108, off, s[0:3], 0 offset:776
	;; [unrolled: 1-line block ×5, first 2 shown]
	s_waitcnt vmcnt(62) lgkmcnt(1)
	v_mul_f64 v[102:103], v[4:5], v[10:11]
	v_mul_f64 v[104:105], v[2:3], v[10:11]
	s_waitcnt vmcnt(60) lgkmcnt(0)
	v_mul_f64 v[111:112], v[8:9], v[14:15]
	ds_read_b128 v[10:13], v1 offset:1424
	v_mul_f64 v[14:15], v[6:7], v[14:15]
	s_waitcnt vmcnt(58)
	v_fma_f64 v[102:103], v[2:3], v[16:17], -v[102:103]
	v_fma_f64 v[16:17], v[4:5], v[16:17], v[104:105]
	s_clause 0x2
	buffer_load_dword v109, off, s[0:3], 0 offset:780
	buffer_load_dword v105, off, s[0:3], 0 offset:756
	;; [unrolled: 1-line block ×3, first 2 shown]
	s_waitcnt vmcnt(59) lgkmcnt(0)
	v_mul_f64 v[113:114], v[10:11], v[18:19]
	v_mul_f64 v[18:19], v[12:13], v[18:19]
	s_waitcnt vmcnt(57)
	v_fma_f64 v[115:116], v[6:7], v[20:21], -v[111:112]
	ds_read_b128 v[2:5], v1 offset:1440
	v_fma_f64 v[14:15], v[8:9], v[20:21], v[14:15]
	s_clause 0x4
	buffer_load_dword v21, off, s[0:3], 0 offset:796
	buffer_load_dword v112, off, s[0:3], 0 offset:808
	;; [unrolled: 1-line block ×5, first 2 shown]
	ds_read_b128 v[6:9], v1 offset:1456
	v_add_f64 v[102:103], v[102:103], 0
	v_add_f64 v[16:17], v[16:17], 0
	s_waitcnt vmcnt(58) lgkmcnt(1)
	v_mul_f64 v[118:119], v[2:3], v[22:23]
	v_mul_f64 v[22:23], v[4:5], v[22:23]
	s_waitcnt vmcnt(56)
	v_fma_f64 v[18:19], v[10:11], v[28:29], -v[18:19]
	v_fma_f64 v[28:29], v[12:13], v[28:29], v[113:114]
	v_add_f64 v[102:103], v[102:103], v[115:116]
	v_add_f64 v[14:15], v[16:17], v[14:15]
	s_clause 0x2
	buffer_load_dword v113, off, s[0:3], 0 offset:812
	buffer_load_dword v17, off, s[0:3], 0 offset:788
	;; [unrolled: 1-line block ×3, first 2 shown]
	s_waitcnt vmcnt(58) lgkmcnt(0)
	v_mul_f64 v[114:115], v[6:7], v[24:25]
	v_mul_f64 v[24:25], v[8:9], v[24:25]
	s_waitcnt vmcnt(56)
	v_fma_f64 v[22:23], v[2:3], v[30:31], -v[22:23]
	ds_read_b128 v[10:13], v1 offset:1472
	v_fma_f64 v[30:31], v[4:5], v[30:31], v[118:119]
	v_add_f64 v[18:19], v[102:103], v[18:19]
	v_add_f64 v[14:15], v[14:15], v[28:29]
	s_clause 0x4
	buffer_load_dword v29, off, s[0:3], 0 offset:828
	buffer_load_dword v102, off, s[0:3], 0 offset:840
	;; [unrolled: 1-line block ×5, first 2 shown]
	ds_read_b128 v[2:5], v1 offset:1488
	s_waitcnt vmcnt(57) lgkmcnt(1)
	v_mul_f64 v[120:121], v[10:11], v[32:33]
	v_mul_f64 v[32:33], v[12:13], v[32:33]
	s_waitcnt vmcnt(56)
	v_fma_f64 v[24:25], v[6:7], v[26:27], -v[24:25]
	v_add_f64 v[18:19], v[18:19], v[22:23]
	v_fma_f64 v[22:23], v[8:9], v[26:27], v[114:115]
	v_add_f64 v[14:15], v[14:15], v[30:31]
	s_clause 0x2
	buffer_load_dword v103, off, s[0:3], 0 offset:844
	buffer_load_dword v27, off, s[0:3], 0 offset:820
	;; [unrolled: 1-line block ×3, first 2 shown]
	s_waitcnt vmcnt(58) lgkmcnt(0)
	v_mul_f64 v[30:31], v[2:3], v[34:35]
	v_mul_f64 v[34:35], v[4:5], v[34:35]
	s_waitcnt vmcnt(56)
	v_fma_f64 v[32:33], v[10:11], v[38:39], -v[32:33]
	ds_read_b128 v[6:9], v1 offset:1504
	v_add_f64 v[18:19], v[18:19], v[24:25]
	v_fma_f64 v[24:25], v[12:13], v[38:39], v[120:121]
	v_add_f64 v[14:15], v[14:15], v[22:23]
	s_clause 0x4
	buffer_load_dword v23, off, s[0:3], 0 offset:860
	buffer_load_dword v38, off, s[0:3], 0 offset:872
	;; [unrolled: 1-line block ×5, first 2 shown]
	ds_read_b128 v[10:13], v1 offset:1520
	s_waitcnt vmcnt(57) lgkmcnt(1)
	v_mul_f64 v[115:116], v[6:7], v[40:41]
	v_mul_f64 v[40:41], v[8:9], v[40:41]
	s_waitcnt vmcnt(56)
	v_fma_f64 v[34:35], v[2:3], v[36:37], -v[34:35]
	v_fma_f64 v[30:31], v[4:5], v[36:37], v[30:31]
	v_add_f64 v[18:19], v[18:19], v[32:33]
	v_add_f64 v[14:15], v[14:15], v[24:25]
	s_clause 0x2
	buffer_load_dword v39, off, s[0:3], 0 offset:876
	buffer_load_dword v25, off, s[0:3], 0 offset:852
	;; [unrolled: 1-line block ×3, first 2 shown]
	s_waitcnt vmcnt(58) lgkmcnt(0)
	v_mul_f64 v[36:37], v[12:13], v[42:43]
	ds_read_b128 v[2:5], v1 offset:1536
	s_waitcnt vmcnt(56)
	v_fma_f64 v[40:41], v[6:7], v[46:47], -v[40:41]
	v_mul_f64 v[32:33], v[10:11], v[42:43]
	v_add_f64 v[18:19], v[18:19], v[34:35]
	v_fma_f64 v[34:35], v[8:9], v[46:47], v[115:116]
	v_add_f64 v[14:15], v[14:15], v[30:31]
	s_clause 0x4
	buffer_load_dword v31, off, s[0:3], 0 offset:892
	buffer_load_dword v42, off, s[0:3], 0 offset:904
	;; [unrolled: 1-line block ×5, first 2 shown]
	s_waitcnt vmcnt(57) lgkmcnt(0)
	v_mul_f64 v[121:122], v[2:3], v[48:49]
	v_mul_f64 v[47:48], v[4:5], v[48:49]
	s_waitcnt vmcnt(56)
	v_fma_f64 v[36:37], v[10:11], v[44:45], -v[36:37]
	ds_read_b128 v[6:9], v1 offset:1552
	v_fma_f64 v[32:33], v[12:13], v[44:45], v[32:33]
	v_add_f64 v[18:19], v[18:19], v[40:41]
	v_add_f64 v[14:15], v[14:15], v[34:35]
	s_clause 0x2
	buffer_load_dword v43, off, s[0:3], 0 offset:908
	buffer_load_dword v35, off, s[0:3], 0 offset:884
	;; [unrolled: 1-line block ×3, first 2 shown]
	ds_read_b128 v[10:13], v1 offset:1568
	s_waitcnt vmcnt(58) lgkmcnt(1)
	v_mul_f64 v[44:45], v[8:9], v[50:51]
	s_waitcnt vmcnt(56)
	v_fma_f64 v[48:49], v[2:3], v[54:55], -v[47:48]
	v_mul_f64 v[40:41], v[6:7], v[50:51]
	buffer_load_dword v47, off, s[0:3], 0 offset:900
	v_add_f64 v[18:19], v[18:19], v[36:37]
	v_fma_f64 v[36:37], v[4:5], v[54:55], v[121:122]
	v_add_f64 v[14:15], v[14:15], v[32:33]
	ds_read_b128 v[2:5], v1 offset:1584
	s_waitcnt vmcnt(53) lgkmcnt(1)
	v_mul_f64 v[50:51], v[12:13], v[61:62]
	s_waitcnt vmcnt(52)
	v_fma_f64 v[44:45], v[6:7], v[52:53], -v[44:45]
	v_mul_f64 v[32:33], v[10:11], v[61:62]
	v_fma_f64 v[40:41], v[8:9], v[52:53], v[40:41]
	ds_read_b128 v[6:9], v1 offset:1600
	v_add_f64 v[18:19], v[18:19], v[48:49]
	s_waitcnt vmcnt(51) lgkmcnt(1)
	v_mul_f64 v[48:49], v[4:5], v[63:64]
	v_add_f64 v[14:15], v[14:15], v[36:37]
	v_mul_f64 v[36:37], v[2:3], v[63:64]
	s_waitcnt vmcnt(49)
	v_fma_f64 v[50:51], v[10:11], v[91:92], -v[50:51]
	v_fma_f64 v[32:33], v[12:13], v[91:92], v[32:33]
	s_waitcnt vmcnt(45) lgkmcnt(0)
	v_mul_f64 v[54:55], v[8:9], v[93:94]
	v_mul_f64 v[52:53], v[6:7], v[93:94]
	v_add_f64 v[18:19], v[18:19], v[44:45]
	s_waitcnt vmcnt(44)
	v_fma_f64 v[48:49], v[2:3], v[89:90], -v[48:49]
	v_add_f64 v[14:15], v[14:15], v[40:41]
	s_clause 0x3
	buffer_load_dword v40, off, s[0:3], 0 offset:496
	buffer_load_dword v41, off, s[0:3], 0 offset:500
	;; [unrolled: 1-line block ×4, first 2 shown]
	ds_read_b128 v[10:13], v1 offset:1616
	v_fma_f64 v[36:37], v[4:5], v[89:90], v[36:37]
	ds_read_b128 v[2:5], v1 offset:1632
	s_waitcnt vmcnt(45)
	v_fma_f64 v[54:55], v[6:7], v[100:101], -v[54:55]
	v_add_f64 v[18:19], v[18:19], v[50:51]
	v_add_f64 v[14:15], v[14:15], v[32:33]
	s_waitcnt lgkmcnt(1)
	v_mul_f64 v[50:51], v[12:13], v[95:96]
	v_mul_f64 v[32:33], v[10:11], v[95:96]
	v_add_f64 v[18:19], v[18:19], v[48:49]
	v_fma_f64 v[48:49], v[8:9], v[100:101], v[52:53]
	v_add_f64 v[14:15], v[14:15], v[36:37]
	s_waitcnt vmcnt(41) lgkmcnt(0)
	v_mul_f64 v[52:53], v[4:5], v[106:107]
	s_waitcnt vmcnt(40)
	v_fma_f64 v[50:51], v[10:11], v[98:99], -v[50:51]
	ds_read_b128 v[6:9], v1 offset:1648
	v_mul_f64 v[36:37], v[2:3], v[106:107]
	v_fma_f64 v[32:33], v[12:13], v[98:99], v[32:33]
	ds_read_b128 v[10:13], v1 offset:1664
	v_add_f64 v[18:19], v[18:19], v[54:55]
	v_add_f64 v[14:15], v[14:15], v[48:49]
	s_waitcnt vmcnt(39) lgkmcnt(1)
	v_mul_f64 v[54:55], v[8:9], v[108:109]
	v_mul_f64 v[48:49], v[6:7], v[108:109]
	s_waitcnt vmcnt(37)
	v_fma_f64 v[52:53], v[2:3], v[104:105], -v[52:53]
	v_fma_f64 v[36:37], v[4:5], v[104:105], v[36:37]
	ds_read_b128 v[2:5], v1 offset:1680
	v_add_f64 v[18:19], v[18:19], v[50:51]
	v_add_f64 v[14:15], v[14:15], v[32:33]
	s_waitcnt vmcnt(33) lgkmcnt(1)
	v_mul_f64 v[32:33], v[10:11], v[20:21]
	v_mul_f64 v[20:21], v[12:13], v[20:21]
	s_waitcnt vmcnt(32)
	v_fma_f64 v[50:51], v[6:7], v[110:111], -v[54:55]
	;; [unrolled: 9-line block ×4, first 2 shown]
	v_add_f64 v[18:19], v[18:19], v[20:21]
	v_fma_f64 v[20:21], v[4:5], v[117:118], v[36:37]
	v_add_f64 v[14:15], v[14:15], v[16:17]
	ds_read_b128 v[2:5], v1 offset:1728
	s_waitcnt vmcnt(23) lgkmcnt(1)
	v_mul_f64 v[36:37], v[12:13], v[102:103]
	v_mul_f64 v[16:17], v[10:11], v[102:103]
	s_waitcnt vmcnt(21)
	v_fma_f64 v[28:29], v[6:7], v[26:27], -v[28:29]
	v_fma_f64 v[26:27], v[8:9], v[26:27], v[32:33]
	ds_read_b128 v[6:9], v1 offset:1744
	v_add_f64 v[18:19], v[18:19], v[48:49]
	v_add_f64 v[14:15], v[14:15], v[20:21]
	s_waitcnt vmcnt(17) lgkmcnt(1)
	v_mul_f64 v[20:21], v[2:3], v[22:23]
	v_mul_f64 v[22:23], v[4:5], v[22:23]
	s_waitcnt vmcnt(16)
	v_fma_f64 v[32:33], v[10:11], v[119:120], -v[36:37]
	v_fma_f64 v[16:17], v[12:13], v[119:120], v[16:17]
	ds_read_b128 v[10:13], v1 offset:1760
	v_add_f64 v[18:19], v[18:19], v[28:29]
	v_add_f64 v[14:15], v[14:15], v[26:27]
	;; [unrolled: 9-line block ×3, first 2 shown]
	s_waitcnt vmcnt(9) lgkmcnt(1)
	v_mul_f64 v[24:25], v[12:13], v[30:31]
	s_waitcnt vmcnt(8)
	v_fma_f64 v[6:7], v[6:7], v[114:115], -v[28:29]
	v_mul_f64 v[16:17], v[10:11], v[30:31]
	v_fma_f64 v[8:9], v[8:9], v[114:115], v[26:27]
	v_add_f64 v[18:19], v[18:19], v[22:23]
	v_add_f64 v[14:15], v[14:15], v[20:21]
	s_waitcnt vmcnt(7) lgkmcnt(0)
	v_mul_f64 v[22:23], v[4:5], v[42:43]
	v_mul_f64 v[20:21], v[2:3], v[42:43]
	s_waitcnt vmcnt(5)
	v_fma_f64 v[10:11], v[10:11], v[34:35], -v[24:25]
	v_fma_f64 v[12:13], v[12:13], v[34:35], v[16:17]
	v_add_f64 v[6:7], v[18:19], v[6:7]
	v_add_f64 v[8:9], v[14:15], v[8:9]
	s_waitcnt vmcnt(4)
	v_fma_f64 v[2:3], v[2:3], v[46:47], -v[22:23]
	v_fma_f64 v[4:5], v[4:5], v[46:47], v[20:21]
	v_add_f64 v[6:7], v[6:7], v[10:11]
	v_add_f64 v[8:9], v[8:9], v[12:13]
	;; [unrolled: 1-line block ×4, first 2 shown]
	s_waitcnt vmcnt(2)
	v_add_f64 v[2:3], v[40:41], -v[2:3]
	s_waitcnt vmcnt(0)
	v_add_f64 v[4:5], v[44:45], -v[4:5]
	buffer_store_dword v3, off, s[0:3], 0 offset:500
	buffer_store_dword v2, off, s[0:3], 0 offset:496
	buffer_store_dword v5, off, s[0:3], 0 offset:508
	buffer_store_dword v4, off, s[0:3], 0 offset:504
	v_cmpx_lt_u32_e32 29, v0
	s_cbranch_execz .LBB55_291
; %bb.290:
	v_mov_b32_e32 v5, s39
	s_clause 0x3
	buffer_load_dword v2, v5, s[0:3], 0 offen
	buffer_load_dword v3, v5, s[0:3], 0 offen offset:4
	buffer_load_dword v4, v5, s[0:3], 0 offen offset:8
	;; [unrolled: 1-line block ×3, first 2 shown]
	buffer_store_dword v1, off, s[0:3], 0 offset:480
	buffer_store_dword v1, off, s[0:3], 0 offset:484
	;; [unrolled: 1-line block ×4, first 2 shown]
	s_waitcnt vmcnt(0)
	ds_write_b128 v97, v[2:5]
.LBB55_291:
	s_or_b32 exec_lo, exec_lo, s4
	s_waitcnt lgkmcnt(0)
	s_waitcnt_vscnt null, 0x0
	s_barrier
	buffer_gl0_inv
	s_clause 0x37
	buffer_load_dword v10, off, s[0:3], 0 offset:504
	buffer_load_dword v11, off, s[0:3], 0 offset:508
	;; [unrolled: 1-line block ×56, first 2 shown]
	ds_read_b128 v[2:5], v1 offset:1376
	s_clause 0x2
	buffer_load_dword v96, off, s[0:3], 0 offset:732
	buffer_load_dword v101, off, s[0:3], 0 offset:708
	;; [unrolled: 1-line block ×3, first 2 shown]
	ds_read_b128 v[6:9], v1 offset:1392
	s_clause 0x4
	buffer_load_dword v107, off, s[0:3], 0 offset:748
	buffer_load_dword v108, off, s[0:3], 0 offset:760
	;; [unrolled: 1-line block ×5, first 2 shown]
	s_mov_b32 s4, exec_lo
	s_waitcnt vmcnt(62) lgkmcnt(1)
	v_mul_f64 v[102:103], v[4:5], v[10:11]
	v_mul_f64 v[104:105], v[2:3], v[10:11]
	s_waitcnt vmcnt(60) lgkmcnt(0)
	v_mul_f64 v[111:112], v[8:9], v[14:15]
	ds_read_b128 v[10:13], v1 offset:1408
	v_mul_f64 v[14:15], v[6:7], v[14:15]
	s_waitcnt vmcnt(58)
	v_fma_f64 v[102:103], v[2:3], v[16:17], -v[102:103]
	v_fma_f64 v[16:17], v[4:5], v[16:17], v[104:105]
	s_clause 0x2
	buffer_load_dword v109, off, s[0:3], 0 offset:764
	buffer_load_dword v105, off, s[0:3], 0 offset:740
	;; [unrolled: 1-line block ×3, first 2 shown]
	s_waitcnt vmcnt(59) lgkmcnt(0)
	v_mul_f64 v[113:114], v[10:11], v[18:19]
	v_mul_f64 v[18:19], v[12:13], v[18:19]
	s_waitcnt vmcnt(57)
	v_fma_f64 v[115:116], v[6:7], v[20:21], -v[111:112]
	ds_read_b128 v[2:5], v1 offset:1424
	v_fma_f64 v[14:15], v[8:9], v[20:21], v[14:15]
	s_clause 0x4
	buffer_load_dword v21, off, s[0:3], 0 offset:780
	buffer_load_dword v112, off, s[0:3], 0 offset:792
	;; [unrolled: 1-line block ×5, first 2 shown]
	ds_read_b128 v[6:9], v1 offset:1440
	v_add_f64 v[102:103], v[102:103], 0
	v_add_f64 v[16:17], v[16:17], 0
	s_waitcnt vmcnt(58) lgkmcnt(1)
	v_mul_f64 v[118:119], v[2:3], v[22:23]
	v_mul_f64 v[22:23], v[4:5], v[22:23]
	s_waitcnt vmcnt(56)
	v_fma_f64 v[18:19], v[10:11], v[28:29], -v[18:19]
	v_fma_f64 v[28:29], v[12:13], v[28:29], v[113:114]
	v_add_f64 v[102:103], v[102:103], v[115:116]
	v_add_f64 v[14:15], v[16:17], v[14:15]
	s_clause 0x2
	buffer_load_dword v113, off, s[0:3], 0 offset:796
	buffer_load_dword v17, off, s[0:3], 0 offset:772
	;; [unrolled: 1-line block ×3, first 2 shown]
	s_waitcnt vmcnt(58) lgkmcnt(0)
	v_mul_f64 v[114:115], v[6:7], v[24:25]
	v_mul_f64 v[24:25], v[8:9], v[24:25]
	s_waitcnt vmcnt(56)
	v_fma_f64 v[22:23], v[2:3], v[30:31], -v[22:23]
	ds_read_b128 v[10:13], v1 offset:1456
	v_fma_f64 v[30:31], v[4:5], v[30:31], v[118:119]
	v_add_f64 v[18:19], v[102:103], v[18:19]
	v_add_f64 v[14:15], v[14:15], v[28:29]
	s_clause 0x4
	buffer_load_dword v29, off, s[0:3], 0 offset:812
	buffer_load_dword v102, off, s[0:3], 0 offset:824
	;; [unrolled: 1-line block ×5, first 2 shown]
	ds_read_b128 v[2:5], v1 offset:1472
	s_waitcnt vmcnt(57) lgkmcnt(1)
	v_mul_f64 v[120:121], v[10:11], v[32:33]
	v_mul_f64 v[32:33], v[12:13], v[32:33]
	s_waitcnt vmcnt(56)
	v_fma_f64 v[24:25], v[6:7], v[26:27], -v[24:25]
	v_add_f64 v[18:19], v[18:19], v[22:23]
	v_fma_f64 v[22:23], v[8:9], v[26:27], v[114:115]
	v_add_f64 v[14:15], v[14:15], v[30:31]
	s_clause 0x2
	buffer_load_dword v103, off, s[0:3], 0 offset:828
	buffer_load_dword v27, off, s[0:3], 0 offset:804
	;; [unrolled: 1-line block ×3, first 2 shown]
	s_waitcnt vmcnt(58) lgkmcnt(0)
	v_mul_f64 v[30:31], v[2:3], v[34:35]
	v_mul_f64 v[34:35], v[4:5], v[34:35]
	s_waitcnt vmcnt(56)
	v_fma_f64 v[32:33], v[10:11], v[38:39], -v[32:33]
	ds_read_b128 v[6:9], v1 offset:1488
	v_add_f64 v[18:19], v[18:19], v[24:25]
	v_fma_f64 v[24:25], v[12:13], v[38:39], v[120:121]
	v_add_f64 v[14:15], v[14:15], v[22:23]
	s_clause 0x4
	buffer_load_dword v23, off, s[0:3], 0 offset:844
	buffer_load_dword v38, off, s[0:3], 0 offset:856
	;; [unrolled: 1-line block ×5, first 2 shown]
	ds_read_b128 v[10:13], v1 offset:1504
	s_waitcnt vmcnt(57) lgkmcnt(1)
	v_mul_f64 v[115:116], v[6:7], v[40:41]
	v_mul_f64 v[40:41], v[8:9], v[40:41]
	s_waitcnt vmcnt(56)
	v_fma_f64 v[34:35], v[2:3], v[36:37], -v[34:35]
	v_fma_f64 v[30:31], v[4:5], v[36:37], v[30:31]
	v_add_f64 v[18:19], v[18:19], v[32:33]
	v_add_f64 v[14:15], v[14:15], v[24:25]
	s_clause 0x2
	buffer_load_dword v39, off, s[0:3], 0 offset:860
	buffer_load_dword v25, off, s[0:3], 0 offset:836
	;; [unrolled: 1-line block ×3, first 2 shown]
	s_waitcnt vmcnt(58) lgkmcnt(0)
	v_mul_f64 v[36:37], v[12:13], v[42:43]
	ds_read_b128 v[2:5], v1 offset:1520
	s_waitcnt vmcnt(56)
	v_fma_f64 v[40:41], v[6:7], v[46:47], -v[40:41]
	v_mul_f64 v[32:33], v[10:11], v[42:43]
	v_add_f64 v[18:19], v[18:19], v[34:35]
	v_fma_f64 v[34:35], v[8:9], v[46:47], v[115:116]
	v_add_f64 v[14:15], v[14:15], v[30:31]
	s_clause 0x4
	buffer_load_dword v31, off, s[0:3], 0 offset:876
	buffer_load_dword v42, off, s[0:3], 0 offset:888
	;; [unrolled: 1-line block ×5, first 2 shown]
	s_waitcnt vmcnt(57) lgkmcnt(0)
	v_mul_f64 v[121:122], v[2:3], v[48:49]
	v_mul_f64 v[47:48], v[4:5], v[48:49]
	s_waitcnt vmcnt(56)
	v_fma_f64 v[36:37], v[10:11], v[44:45], -v[36:37]
	ds_read_b128 v[6:9], v1 offset:1536
	v_fma_f64 v[32:33], v[12:13], v[44:45], v[32:33]
	v_add_f64 v[18:19], v[18:19], v[40:41]
	v_add_f64 v[14:15], v[14:15], v[34:35]
	s_clause 0x2
	buffer_load_dword v43, off, s[0:3], 0 offset:892
	buffer_load_dword v35, off, s[0:3], 0 offset:868
	;; [unrolled: 1-line block ×3, first 2 shown]
	ds_read_b128 v[10:13], v1 offset:1552
	s_waitcnt vmcnt(58) lgkmcnt(1)
	v_mul_f64 v[44:45], v[8:9], v[50:51]
	s_waitcnt vmcnt(56)
	v_fma_f64 v[48:49], v[2:3], v[54:55], -v[47:48]
	v_mul_f64 v[40:41], v[6:7], v[50:51]
	v_add_f64 v[18:19], v[18:19], v[36:37]
	v_fma_f64 v[36:37], v[4:5], v[54:55], v[121:122]
	v_add_f64 v[14:15], v[14:15], v[32:33]
	s_clause 0x2
	buffer_load_dword v33, off, s[0:3], 0 offset:908
	buffer_load_dword v32, off, s[0:3], 0 offset:904
	;; [unrolled: 1-line block ×3, first 2 shown]
	s_waitcnt vmcnt(55) lgkmcnt(0)
	v_mul_f64 v[54:55], v[12:13], v[61:62]
	s_waitcnt vmcnt(54)
	v_fma_f64 v[44:45], v[6:7], v[52:53], -v[44:45]
	ds_read_b128 v[2:5], v1 offset:1568
	v_mul_f64 v[50:51], v[10:11], v[61:62]
	v_fma_f64 v[40:41], v[8:9], v[52:53], v[40:41]
	v_add_f64 v[18:19], v[18:19], v[48:49]
	v_add_f64 v[14:15], v[14:15], v[36:37]
	s_clause 0x1
	buffer_load_dword v37, off, s[0:3], 0 offset:900
	buffer_load_dword v36, off, s[0:3], 0 offset:896
	s_waitcnt vmcnt(55) lgkmcnt(0)
	v_mul_f64 v[52:53], v[4:5], v[63:64]
	s_waitcnt vmcnt(53)
	v_fma_f64 v[54:55], v[10:11], v[91:92], -v[54:55]
	ds_read_b128 v[6:9], v1 offset:1584
	v_mul_f64 v[48:49], v[2:3], v[63:64]
	v_add_f64 v[18:19], v[18:19], v[44:45]
	v_fma_f64 v[44:45], v[12:13], v[91:92], v[50:51]
	v_add_f64 v[14:15], v[14:15], v[40:41]
	ds_read_b128 v[10:13], v1 offset:1600
	s_waitcnt vmcnt(49) lgkmcnt(1)
	v_mul_f64 v[50:51], v[8:9], v[93:94]
	s_waitcnt vmcnt(48)
	v_fma_f64 v[52:53], v[2:3], v[89:90], -v[52:53]
	v_mul_f64 v[40:41], v[6:7], v[93:94]
	v_fma_f64 v[48:49], v[4:5], v[89:90], v[48:49]
	v_add_f64 v[18:19], v[18:19], v[54:55]
	s_waitcnt vmcnt(47) lgkmcnt(0)
	v_mul_f64 v[63:64], v[12:13], v[95:96]
	v_add_f64 v[14:15], v[14:15], v[44:45]
	s_clause 0x3
	buffer_load_dword v44, off, s[0:3], 0 offset:480
	buffer_load_dword v45, off, s[0:3], 0 offset:484
	;; [unrolled: 1-line block ×4, first 2 shown]
	s_waitcnt vmcnt(49)
	v_fma_f64 v[50:51], v[6:7], v[100:101], -v[50:51]
	ds_read_b128 v[2:5], v1 offset:1616
	v_mul_f64 v[61:62], v[10:11], v[95:96]
	v_fma_f64 v[40:41], v[8:9], v[100:101], v[40:41]
	ds_read_b128 v[6:9], v1 offset:1632
	v_add_f64 v[18:19], v[18:19], v[52:53]
	s_waitcnt vmcnt(44)
	v_fma_f64 v[63:64], v[10:11], v[98:99], -v[63:64]
	v_add_f64 v[14:15], v[14:15], v[48:49]
	s_waitcnt lgkmcnt(1)
	v_mul_f64 v[52:53], v[4:5], v[106:107]
	v_mul_f64 v[48:49], v[2:3], v[106:107]
	v_add_f64 v[18:19], v[18:19], v[50:51]
	v_fma_f64 v[50:51], v[12:13], v[98:99], v[61:62]
	v_add_f64 v[14:15], v[14:15], v[40:41]
	ds_read_b128 v[10:13], v1 offset:1648
	s_waitcnt vmcnt(43) lgkmcnt(1)
	v_mul_f64 v[61:62], v[8:9], v[108:109]
	v_mul_f64 v[40:41], v[6:7], v[108:109]
	s_waitcnt vmcnt(41)
	v_fma_f64 v[52:53], v[2:3], v[104:105], -v[52:53]
	v_fma_f64 v[48:49], v[4:5], v[104:105], v[48:49]
	ds_read_b128 v[2:5], v1 offset:1664
	v_add_f64 v[18:19], v[18:19], v[63:64]
	v_add_f64 v[14:15], v[14:15], v[50:51]
	s_waitcnt vmcnt(37) lgkmcnt(1)
	v_mul_f64 v[50:51], v[10:11], v[20:21]
	v_mul_f64 v[20:21], v[12:13], v[20:21]
	s_waitcnt vmcnt(36)
	v_fma_f64 v[61:62], v[6:7], v[110:111], -v[61:62]
	v_fma_f64 v[40:41], v[8:9], v[110:111], v[40:41]
	ds_read_b128 v[6:9], v1 offset:1680
	v_add_f64 v[18:19], v[18:19], v[52:53]
	v_add_f64 v[14:15], v[14:15], v[48:49]
	;; [unrolled: 9-line block ×3, first 2 shown]
	s_waitcnt vmcnt(29) lgkmcnt(1)
	v_mul_f64 v[40:41], v[6:7], v[28:29]
	v_mul_f64 v[28:29], v[8:9], v[28:29]
	s_waitcnt vmcnt(28)
	v_fma_f64 v[50:51], v[2:3], v[117:118], -v[52:53]
	v_add_f64 v[18:19], v[18:19], v[20:21]
	v_fma_f64 v[20:21], v[4:5], v[117:118], v[48:49]
	v_add_f64 v[14:15], v[14:15], v[16:17]
	ds_read_b128 v[2:5], v1 offset:1712
	s_waitcnt vmcnt(27) lgkmcnt(1)
	v_mul_f64 v[48:49], v[12:13], v[102:103]
	v_mul_f64 v[16:17], v[10:11], v[102:103]
	s_waitcnt vmcnt(25)
	v_fma_f64 v[28:29], v[6:7], v[26:27], -v[28:29]
	v_fma_f64 v[26:27], v[8:9], v[26:27], v[40:41]
	ds_read_b128 v[6:9], v1 offset:1728
	v_add_f64 v[18:19], v[18:19], v[50:51]
	v_add_f64 v[14:15], v[14:15], v[20:21]
	s_waitcnt vmcnt(21) lgkmcnt(1)
	v_mul_f64 v[20:21], v[2:3], v[22:23]
	v_mul_f64 v[22:23], v[4:5], v[22:23]
	s_waitcnt vmcnt(20)
	v_fma_f64 v[40:41], v[10:11], v[119:120], -v[48:49]
	v_fma_f64 v[16:17], v[12:13], v[119:120], v[16:17]
	ds_read_b128 v[10:13], v1 offset:1744
	v_add_f64 v[18:19], v[18:19], v[28:29]
	v_add_f64 v[14:15], v[14:15], v[26:27]
	;; [unrolled: 9-line block ×3, first 2 shown]
	s_waitcnt vmcnt(13) lgkmcnt(1)
	v_mul_f64 v[24:25], v[12:13], v[30:31]
	s_waitcnt vmcnt(12)
	v_fma_f64 v[28:29], v[6:7], v[114:115], -v[28:29]
	v_mul_f64 v[16:17], v[10:11], v[30:31]
	v_add_f64 v[18:19], v[18:19], v[22:23]
	v_fma_f64 v[22:23], v[8:9], v[114:115], v[26:27]
	v_add_f64 v[14:15], v[14:15], v[20:21]
	ds_read_b128 v[6:9], v1 offset:1776
	s_waitcnt vmcnt(11) lgkmcnt(1)
	v_mul_f64 v[26:27], v[4:5], v[42:43]
	v_mul_f64 v[20:21], v[2:3], v[42:43]
	s_waitcnt vmcnt(9)
	v_fma_f64 v[10:11], v[10:11], v[34:35], -v[24:25]
	v_fma_f64 v[12:13], v[12:13], v[34:35], v[16:17]
	v_add_f64 v[18:19], v[18:19], v[28:29]
	v_add_f64 v[14:15], v[14:15], v[22:23]
	s_waitcnt vmcnt(7) lgkmcnt(0)
	v_mul_f64 v[22:23], v[8:9], v[32:33]
	s_waitcnt vmcnt(6)
	v_fma_f64 v[1:2], v[2:3], v[46:47], -v[26:27]
	v_mul_f64 v[16:17], v[6:7], v[32:33]
	v_fma_f64 v[3:4], v[4:5], v[46:47], v[20:21]
	v_add_f64 v[10:11], v[18:19], v[10:11]
	v_add_f64 v[12:13], v[14:15], v[12:13]
	s_waitcnt vmcnt(4)
	v_fma_f64 v[5:6], v[6:7], v[36:37], -v[22:23]
	v_fma_f64 v[7:8], v[8:9], v[36:37], v[16:17]
	v_add_f64 v[1:2], v[10:11], v[1:2]
	v_add_f64 v[3:4], v[12:13], v[3:4]
	;; [unrolled: 1-line block ×4, first 2 shown]
	s_waitcnt vmcnt(2)
	v_add_f64 v[1:2], v[44:45], -v[1:2]
	s_waitcnt vmcnt(0)
	v_add_f64 v[3:4], v[54:55], -v[3:4]
	buffer_store_dword v2, off, s[0:3], 0 offset:484
	buffer_store_dword v1, off, s[0:3], 0 offset:480
	;; [unrolled: 1-line block ×4, first 2 shown]
	v_cmpx_lt_u32_e32 28, v0
	s_cbranch_execz .LBB55_293
; %bb.292:
	v_mov_b32_e32 v4, s40
	v_mov_b32_e32 v5, 0
	s_clause 0x3
	buffer_load_dword v1, v4, s[0:3], 0 offen
	buffer_load_dword v2, v4, s[0:3], 0 offen offset:4
	buffer_load_dword v3, v4, s[0:3], 0 offen offset:8
	;; [unrolled: 1-line block ×3, first 2 shown]
	buffer_store_dword v5, off, s[0:3], 0 offset:464
	buffer_store_dword v5, off, s[0:3], 0 offset:468
	;; [unrolled: 1-line block ×4, first 2 shown]
	s_waitcnt vmcnt(0)
	ds_write_b128 v97, v[1:4]
.LBB55_293:
	s_or_b32 exec_lo, exec_lo, s4
	s_waitcnt lgkmcnt(0)
	s_waitcnt_vscnt null, 0x0
	s_barrier
	buffer_gl0_inv
	s_clause 0x37
	buffer_load_dword v10, off, s[0:3], 0 offset:488
	buffer_load_dword v11, off, s[0:3], 0 offset:492
	;; [unrolled: 1-line block ×56, first 2 shown]
	v_mov_b32_e32 v1, 0
	s_mov_b32 s4, exec_lo
	ds_read_b128 v[2:5], v1 offset:1360
	s_clause 0x2
	buffer_load_dword v96, off, s[0:3], 0 offset:716
	buffer_load_dword v101, off, s[0:3], 0 offset:692
	;; [unrolled: 1-line block ×3, first 2 shown]
	ds_read_b128 v[6:9], v1 offset:1376
	s_clause 0x4
	buffer_load_dword v107, off, s[0:3], 0 offset:732
	buffer_load_dword v108, off, s[0:3], 0 offset:744
	;; [unrolled: 1-line block ×5, first 2 shown]
	s_waitcnt vmcnt(62) lgkmcnt(1)
	v_mul_f64 v[102:103], v[4:5], v[10:11]
	v_mul_f64 v[104:105], v[2:3], v[10:11]
	s_waitcnt vmcnt(60) lgkmcnt(0)
	v_mul_f64 v[111:112], v[8:9], v[14:15]
	ds_read_b128 v[10:13], v1 offset:1392
	v_mul_f64 v[14:15], v[6:7], v[14:15]
	s_waitcnt vmcnt(58)
	v_fma_f64 v[102:103], v[2:3], v[16:17], -v[102:103]
	v_fma_f64 v[16:17], v[4:5], v[16:17], v[104:105]
	s_clause 0x2
	buffer_load_dword v109, off, s[0:3], 0 offset:748
	buffer_load_dword v105, off, s[0:3], 0 offset:724
	;; [unrolled: 1-line block ×3, first 2 shown]
	s_waitcnt vmcnt(59) lgkmcnt(0)
	v_mul_f64 v[113:114], v[10:11], v[18:19]
	v_mul_f64 v[18:19], v[12:13], v[18:19]
	s_waitcnt vmcnt(57)
	v_fma_f64 v[115:116], v[6:7], v[20:21], -v[111:112]
	ds_read_b128 v[2:5], v1 offset:1408
	v_fma_f64 v[14:15], v[8:9], v[20:21], v[14:15]
	s_clause 0x4
	buffer_load_dword v21, off, s[0:3], 0 offset:764
	buffer_load_dword v112, off, s[0:3], 0 offset:776
	;; [unrolled: 1-line block ×5, first 2 shown]
	ds_read_b128 v[6:9], v1 offset:1424
	v_add_f64 v[102:103], v[102:103], 0
	v_add_f64 v[16:17], v[16:17], 0
	s_waitcnt vmcnt(58) lgkmcnt(1)
	v_mul_f64 v[118:119], v[2:3], v[22:23]
	v_mul_f64 v[22:23], v[4:5], v[22:23]
	s_waitcnt vmcnt(56)
	v_fma_f64 v[18:19], v[10:11], v[28:29], -v[18:19]
	v_fma_f64 v[28:29], v[12:13], v[28:29], v[113:114]
	v_add_f64 v[102:103], v[102:103], v[115:116]
	v_add_f64 v[14:15], v[16:17], v[14:15]
	s_clause 0x2
	buffer_load_dword v113, off, s[0:3], 0 offset:780
	buffer_load_dword v17, off, s[0:3], 0 offset:756
	;; [unrolled: 1-line block ×3, first 2 shown]
	s_waitcnt vmcnt(58) lgkmcnt(0)
	v_mul_f64 v[114:115], v[6:7], v[24:25]
	v_mul_f64 v[24:25], v[8:9], v[24:25]
	s_waitcnt vmcnt(56)
	v_fma_f64 v[22:23], v[2:3], v[30:31], -v[22:23]
	ds_read_b128 v[10:13], v1 offset:1440
	v_fma_f64 v[30:31], v[4:5], v[30:31], v[118:119]
	v_add_f64 v[18:19], v[102:103], v[18:19]
	v_add_f64 v[14:15], v[14:15], v[28:29]
	s_clause 0x4
	buffer_load_dword v29, off, s[0:3], 0 offset:796
	buffer_load_dword v102, off, s[0:3], 0 offset:808
	;; [unrolled: 1-line block ×5, first 2 shown]
	ds_read_b128 v[2:5], v1 offset:1456
	s_waitcnt vmcnt(57) lgkmcnt(1)
	v_mul_f64 v[120:121], v[10:11], v[32:33]
	v_mul_f64 v[32:33], v[12:13], v[32:33]
	s_waitcnt vmcnt(56)
	v_fma_f64 v[24:25], v[6:7], v[26:27], -v[24:25]
	v_add_f64 v[18:19], v[18:19], v[22:23]
	v_fma_f64 v[22:23], v[8:9], v[26:27], v[114:115]
	v_add_f64 v[14:15], v[14:15], v[30:31]
	s_clause 0x2
	buffer_load_dword v103, off, s[0:3], 0 offset:812
	buffer_load_dword v27, off, s[0:3], 0 offset:788
	;; [unrolled: 1-line block ×3, first 2 shown]
	s_waitcnt vmcnt(58) lgkmcnt(0)
	v_mul_f64 v[30:31], v[2:3], v[34:35]
	v_mul_f64 v[34:35], v[4:5], v[34:35]
	s_waitcnt vmcnt(56)
	v_fma_f64 v[32:33], v[10:11], v[38:39], -v[32:33]
	ds_read_b128 v[6:9], v1 offset:1472
	v_add_f64 v[18:19], v[18:19], v[24:25]
	v_fma_f64 v[24:25], v[12:13], v[38:39], v[120:121]
	v_add_f64 v[14:15], v[14:15], v[22:23]
	s_clause 0x4
	buffer_load_dword v23, off, s[0:3], 0 offset:828
	buffer_load_dword v38, off, s[0:3], 0 offset:840
	;; [unrolled: 1-line block ×5, first 2 shown]
	ds_read_b128 v[10:13], v1 offset:1488
	s_waitcnt vmcnt(57) lgkmcnt(1)
	v_mul_f64 v[115:116], v[6:7], v[40:41]
	v_mul_f64 v[40:41], v[8:9], v[40:41]
	s_waitcnt vmcnt(56)
	v_fma_f64 v[34:35], v[2:3], v[36:37], -v[34:35]
	v_fma_f64 v[30:31], v[4:5], v[36:37], v[30:31]
	v_add_f64 v[18:19], v[18:19], v[32:33]
	v_add_f64 v[14:15], v[14:15], v[24:25]
	s_clause 0x2
	buffer_load_dword v39, off, s[0:3], 0 offset:844
	buffer_load_dword v25, off, s[0:3], 0 offset:820
	;; [unrolled: 1-line block ×3, first 2 shown]
	s_waitcnt vmcnt(58) lgkmcnt(0)
	v_mul_f64 v[36:37], v[12:13], v[42:43]
	ds_read_b128 v[2:5], v1 offset:1504
	s_waitcnt vmcnt(56)
	v_fma_f64 v[40:41], v[6:7], v[46:47], -v[40:41]
	v_mul_f64 v[32:33], v[10:11], v[42:43]
	v_add_f64 v[18:19], v[18:19], v[34:35]
	v_fma_f64 v[34:35], v[8:9], v[46:47], v[115:116]
	v_add_f64 v[14:15], v[14:15], v[30:31]
	s_clause 0x4
	buffer_load_dword v31, off, s[0:3], 0 offset:860
	buffer_load_dword v42, off, s[0:3], 0 offset:872
	;; [unrolled: 1-line block ×5, first 2 shown]
	s_waitcnt vmcnt(57) lgkmcnt(0)
	v_mul_f64 v[121:122], v[2:3], v[48:49]
	v_mul_f64 v[47:48], v[4:5], v[48:49]
	s_waitcnt vmcnt(56)
	v_fma_f64 v[36:37], v[10:11], v[44:45], -v[36:37]
	ds_read_b128 v[6:9], v1 offset:1520
	v_fma_f64 v[32:33], v[12:13], v[44:45], v[32:33]
	v_add_f64 v[18:19], v[18:19], v[40:41]
	v_add_f64 v[14:15], v[14:15], v[34:35]
	s_clause 0x2
	buffer_load_dword v43, off, s[0:3], 0 offset:876
	buffer_load_dword v35, off, s[0:3], 0 offset:852
	;; [unrolled: 1-line block ×3, first 2 shown]
	ds_read_b128 v[10:13], v1 offset:1536
	s_waitcnt vmcnt(58) lgkmcnt(1)
	v_mul_f64 v[44:45], v[8:9], v[50:51]
	s_waitcnt vmcnt(56)
	v_fma_f64 v[48:49], v[2:3], v[54:55], -v[47:48]
	v_mul_f64 v[40:41], v[6:7], v[50:51]
	v_add_f64 v[18:19], v[18:19], v[36:37]
	v_fma_f64 v[36:37], v[4:5], v[54:55], v[121:122]
	v_add_f64 v[14:15], v[14:15], v[32:33]
	s_clause 0x4
	buffer_load_dword v33, off, s[0:3], 0 offset:892
	buffer_load_dword v50, off, s[0:3], 0 offset:904
	;; [unrolled: 1-line block ×5, first 2 shown]
	s_waitcnt vmcnt(57) lgkmcnt(0)
	v_mul_f64 v[55:56], v[10:11], v[61:62]
	v_mul_f64 v[61:62], v[12:13], v[61:62]
	s_waitcnt vmcnt(56)
	v_fma_f64 v[44:45], v[6:7], v[52:53], -v[44:45]
	ds_read_b128 v[2:5], v1 offset:1552
	v_fma_f64 v[40:41], v[8:9], v[52:53], v[40:41]
	v_add_f64 v[18:19], v[18:19], v[48:49]
	v_add_f64 v[14:15], v[14:15], v[36:37]
	s_clause 0x2
	buffer_load_dword v51, off, s[0:3], 0 offset:908
	buffer_load_dword v37, off, s[0:3], 0 offset:884
	;; [unrolled: 1-line block ×3, first 2 shown]
	ds_read_b128 v[6:9], v1 offset:1568
	s_waitcnt vmcnt(58) lgkmcnt(1)
	v_mul_f64 v[52:53], v[4:5], v[63:64]
	s_waitcnt vmcnt(56)
	v_fma_f64 v[61:62], v[10:11], v[91:92], -v[61:62]
	v_mul_f64 v[48:49], v[2:3], v[63:64]
	v_add_f64 v[18:19], v[18:19], v[44:45]
	v_fma_f64 v[44:45], v[12:13], v[91:92], v[55:56]
	v_add_f64 v[14:15], v[14:15], v[40:41]
	buffer_load_dword v55, off, s[0:3], 0 offset:900
	ds_read_b128 v[10:13], v1 offset:1584
	s_waitcnt vmcnt(53) lgkmcnt(1)
	v_mul_f64 v[63:64], v[8:9], v[93:94]
	s_waitcnt vmcnt(52)
	v_fma_f64 v[52:53], v[2:3], v[89:90], -v[52:53]
	v_mul_f64 v[40:41], v[6:7], v[93:94]
	v_fma_f64 v[48:49], v[4:5], v[89:90], v[48:49]
	ds_read_b128 v[2:5], v1 offset:1600
	v_add_f64 v[18:19], v[18:19], v[61:62]
	v_add_f64 v[14:15], v[14:15], v[44:45]
	s_waitcnt vmcnt(51) lgkmcnt(1)
	v_mul_f64 v[61:62], v[12:13], v[95:96]
	v_mul_f64 v[44:45], v[10:11], v[95:96]
	s_waitcnt vmcnt(49)
	v_fma_f64 v[63:64], v[6:7], v[100:101], -v[63:64]
	v_fma_f64 v[40:41], v[8:9], v[100:101], v[40:41]
	s_waitcnt vmcnt(45) lgkmcnt(0)
	v_mul_f64 v[91:92], v[4:5], v[106:107]
	v_mul_f64 v[89:90], v[2:3], v[106:107]
	v_add_f64 v[18:19], v[18:19], v[52:53]
	v_add_f64 v[14:15], v[14:15], v[48:49]
	s_clause 0x3
	buffer_load_dword v48, off, s[0:3], 0 offset:464
	buffer_load_dword v49, off, s[0:3], 0 offset:468
	;; [unrolled: 1-line block ×4, first 2 shown]
	s_waitcnt vmcnt(48)
	v_fma_f64 v[61:62], v[10:11], v[98:99], -v[61:62]
	ds_read_b128 v[6:9], v1 offset:1616
	v_fma_f64 v[44:45], v[12:13], v[98:99], v[44:45]
	ds_read_b128 v[10:13], v1 offset:1632
	v_add_f64 v[18:19], v[18:19], v[63:64]
	v_add_f64 v[14:15], v[14:15], v[40:41]
	s_waitcnt vmcnt(47) lgkmcnt(1)
	v_mul_f64 v[63:64], v[8:9], v[108:109]
	v_mul_f64 v[40:41], v[6:7], v[108:109]
	s_waitcnt vmcnt(45)
	v_fma_f64 v[91:92], v[2:3], v[104:105], -v[91:92]
	v_add_f64 v[18:19], v[18:19], v[61:62]
	v_fma_f64 v[61:62], v[4:5], v[104:105], v[89:90]
	v_add_f64 v[14:15], v[14:15], v[44:45]
	s_waitcnt vmcnt(41) lgkmcnt(0)
	v_mul_f64 v[44:45], v[10:11], v[20:21]
	v_mul_f64 v[20:21], v[12:13], v[20:21]
	ds_read_b128 v[2:5], v1 offset:1648
	s_waitcnt vmcnt(40)
	v_fma_f64 v[63:64], v[6:7], v[110:111], -v[63:64]
	v_fma_f64 v[40:41], v[8:9], v[110:111], v[40:41]
	ds_read_b128 v[6:9], v1 offset:1664
	v_add_f64 v[18:19], v[18:19], v[91:92]
	v_add_f64 v[14:15], v[14:15], v[61:62]
	s_waitcnt vmcnt(39) lgkmcnt(1)
	v_mul_f64 v[89:90], v[4:5], v[112:113]
	v_mul_f64 v[61:62], v[2:3], v[112:113]
	s_waitcnt vmcnt(37)
	v_fma_f64 v[20:21], v[10:11], v[16:17], -v[20:21]
	v_fma_f64 v[16:17], v[12:13], v[16:17], v[44:45]
	ds_read_b128 v[10:13], v1 offset:1680
	v_add_f64 v[18:19], v[18:19], v[63:64]
	v_add_f64 v[14:15], v[14:15], v[40:41]
	s_waitcnt vmcnt(33) lgkmcnt(1)
	v_mul_f64 v[40:41], v[6:7], v[28:29]
	v_mul_f64 v[28:29], v[8:9], v[28:29]
	s_waitcnt vmcnt(32)
	v_fma_f64 v[44:45], v[2:3], v[117:118], -v[89:90]
	v_add_f64 v[18:19], v[18:19], v[20:21]
	v_fma_f64 v[20:21], v[4:5], v[117:118], v[61:62]
	v_add_f64 v[14:15], v[14:15], v[16:17]
	ds_read_b128 v[2:5], v1 offset:1696
	s_waitcnt vmcnt(31) lgkmcnt(1)
	v_mul_f64 v[61:62], v[12:13], v[102:103]
	v_mul_f64 v[16:17], v[10:11], v[102:103]
	s_waitcnt vmcnt(29)
	v_fma_f64 v[28:29], v[6:7], v[26:27], -v[28:29]
	v_fma_f64 v[26:27], v[8:9], v[26:27], v[40:41]
	ds_read_b128 v[6:9], v1 offset:1712
	v_add_f64 v[18:19], v[18:19], v[44:45]
	v_add_f64 v[14:15], v[14:15], v[20:21]
	s_waitcnt vmcnt(25) lgkmcnt(1)
	v_mul_f64 v[20:21], v[2:3], v[22:23]
	v_mul_f64 v[22:23], v[4:5], v[22:23]
	s_waitcnt vmcnt(24)
	v_fma_f64 v[40:41], v[10:11], v[119:120], -v[61:62]
	v_fma_f64 v[16:17], v[12:13], v[119:120], v[16:17]
	ds_read_b128 v[10:13], v1 offset:1728
	v_add_f64 v[18:19], v[18:19], v[28:29]
	v_add_f64 v[14:15], v[14:15], v[26:27]
	;; [unrolled: 9-line block ×3, first 2 shown]
	s_waitcnt vmcnt(17) lgkmcnt(1)
	v_mul_f64 v[24:25], v[12:13], v[30:31]
	s_waitcnt vmcnt(16)
	v_fma_f64 v[28:29], v[6:7], v[114:115], -v[28:29]
	v_mul_f64 v[16:17], v[10:11], v[30:31]
	v_add_f64 v[18:19], v[18:19], v[22:23]
	v_fma_f64 v[22:23], v[8:9], v[114:115], v[26:27]
	v_add_f64 v[14:15], v[14:15], v[20:21]
	ds_read_b128 v[6:9], v1 offset:1760
	s_waitcnt vmcnt(15) lgkmcnt(1)
	v_mul_f64 v[26:27], v[4:5], v[42:43]
	v_mul_f64 v[20:21], v[2:3], v[42:43]
	s_waitcnt vmcnt(13)
	v_fma_f64 v[24:25], v[10:11], v[34:35], -v[24:25]
	v_fma_f64 v[16:17], v[12:13], v[34:35], v[16:17]
	ds_read_b128 v[10:13], v1 offset:1776
	v_add_f64 v[18:19], v[18:19], v[28:29]
	v_add_f64 v[14:15], v[14:15], v[22:23]
	s_waitcnt vmcnt(9) lgkmcnt(1)
	v_mul_f64 v[28:29], v[8:9], v[32:33]
	s_waitcnt vmcnt(8)
	v_fma_f64 v[2:3], v[2:3], v[46:47], -v[26:27]
	v_mul_f64 v[22:23], v[6:7], v[32:33]
	v_fma_f64 v[4:5], v[4:5], v[46:47], v[20:21]
	v_add_f64 v[18:19], v[18:19], v[24:25]
	v_add_f64 v[14:15], v[14:15], v[16:17]
	s_waitcnt vmcnt(7) lgkmcnt(0)
	v_mul_f64 v[20:21], v[12:13], v[50:51]
	v_mul_f64 v[16:17], v[10:11], v[50:51]
	s_waitcnt vmcnt(5)
	v_fma_f64 v[6:7], v[6:7], v[36:37], -v[28:29]
	v_fma_f64 v[8:9], v[8:9], v[36:37], v[22:23]
	v_add_f64 v[2:3], v[18:19], v[2:3]
	v_add_f64 v[4:5], v[14:15], v[4:5]
	s_waitcnt vmcnt(4)
	v_fma_f64 v[10:11], v[10:11], v[54:55], -v[20:21]
	v_add_f64 v[2:3], v[2:3], v[6:7]
	v_fma_f64 v[6:7], v[12:13], v[54:55], v[16:17]
	v_add_f64 v[4:5], v[4:5], v[8:9]
	v_add_f64 v[2:3], v[2:3], v[10:11]
	;; [unrolled: 1-line block ×3, first 2 shown]
	s_waitcnt vmcnt(2)
	v_add_f64 v[2:3], v[48:49], -v[2:3]
	s_waitcnt vmcnt(0)
	v_add_f64 v[4:5], v[52:53], -v[4:5]
	buffer_store_dword v3, off, s[0:3], 0 offset:468
	buffer_store_dword v2, off, s[0:3], 0 offset:464
	;; [unrolled: 1-line block ×4, first 2 shown]
	v_cmpx_lt_u32_e32 27, v0
	s_cbranch_execz .LBB55_295
; %bb.294:
	v_mov_b32_e32 v5, s41
	s_clause 0x3
	buffer_load_dword v2, v5, s[0:3], 0 offen
	buffer_load_dword v3, v5, s[0:3], 0 offen offset:4
	buffer_load_dword v4, v5, s[0:3], 0 offen offset:8
	;; [unrolled: 1-line block ×3, first 2 shown]
	buffer_store_dword v1, off, s[0:3], 0 offset:448
	buffer_store_dword v1, off, s[0:3], 0 offset:452
	;; [unrolled: 1-line block ×4, first 2 shown]
	s_waitcnt vmcnt(0)
	ds_write_b128 v97, v[2:5]
.LBB55_295:
	s_or_b32 exec_lo, exec_lo, s4
	s_waitcnt lgkmcnt(0)
	s_waitcnt_vscnt null, 0x0
	s_barrier
	buffer_gl0_inv
	s_clause 0x37
	buffer_load_dword v10, off, s[0:3], 0 offset:472
	buffer_load_dword v11, off, s[0:3], 0 offset:476
	;; [unrolled: 1-line block ×56, first 2 shown]
	ds_read_b128 v[2:5], v1 offset:1344
	s_clause 0x2
	buffer_load_dword v96, off, s[0:3], 0 offset:700
	buffer_load_dword v101, off, s[0:3], 0 offset:676
	;; [unrolled: 1-line block ×3, first 2 shown]
	ds_read_b128 v[6:9], v1 offset:1360
	s_clause 0x4
	buffer_load_dword v107, off, s[0:3], 0 offset:716
	buffer_load_dword v108, off, s[0:3], 0 offset:728
	;; [unrolled: 1-line block ×5, first 2 shown]
	s_mov_b32 s4, exec_lo
	s_waitcnt vmcnt(62) lgkmcnt(1)
	v_mul_f64 v[102:103], v[4:5], v[10:11]
	v_mul_f64 v[104:105], v[2:3], v[10:11]
	s_waitcnt vmcnt(60) lgkmcnt(0)
	v_mul_f64 v[111:112], v[8:9], v[14:15]
	ds_read_b128 v[10:13], v1 offset:1376
	v_mul_f64 v[14:15], v[6:7], v[14:15]
	s_waitcnt vmcnt(58)
	v_fma_f64 v[102:103], v[2:3], v[16:17], -v[102:103]
	v_fma_f64 v[16:17], v[4:5], v[16:17], v[104:105]
	s_clause 0x2
	buffer_load_dword v109, off, s[0:3], 0 offset:732
	buffer_load_dword v105, off, s[0:3], 0 offset:708
	;; [unrolled: 1-line block ×3, first 2 shown]
	s_waitcnt vmcnt(59) lgkmcnt(0)
	v_mul_f64 v[113:114], v[10:11], v[18:19]
	v_mul_f64 v[18:19], v[12:13], v[18:19]
	s_waitcnt vmcnt(57)
	v_fma_f64 v[115:116], v[6:7], v[20:21], -v[111:112]
	ds_read_b128 v[2:5], v1 offset:1392
	v_fma_f64 v[14:15], v[8:9], v[20:21], v[14:15]
	s_clause 0x4
	buffer_load_dword v21, off, s[0:3], 0 offset:748
	buffer_load_dword v112, off, s[0:3], 0 offset:760
	;; [unrolled: 1-line block ×5, first 2 shown]
	ds_read_b128 v[6:9], v1 offset:1408
	v_add_f64 v[102:103], v[102:103], 0
	v_add_f64 v[16:17], v[16:17], 0
	s_waitcnt vmcnt(58) lgkmcnt(1)
	v_mul_f64 v[118:119], v[2:3], v[22:23]
	v_mul_f64 v[22:23], v[4:5], v[22:23]
	s_waitcnt vmcnt(56)
	v_fma_f64 v[18:19], v[10:11], v[28:29], -v[18:19]
	v_fma_f64 v[28:29], v[12:13], v[28:29], v[113:114]
	v_add_f64 v[102:103], v[102:103], v[115:116]
	v_add_f64 v[14:15], v[16:17], v[14:15]
	s_clause 0x2
	buffer_load_dword v113, off, s[0:3], 0 offset:764
	buffer_load_dword v17, off, s[0:3], 0 offset:740
	;; [unrolled: 1-line block ×3, first 2 shown]
	s_waitcnt vmcnt(58) lgkmcnt(0)
	v_mul_f64 v[114:115], v[6:7], v[24:25]
	v_mul_f64 v[24:25], v[8:9], v[24:25]
	s_waitcnt vmcnt(56)
	v_fma_f64 v[22:23], v[2:3], v[30:31], -v[22:23]
	ds_read_b128 v[10:13], v1 offset:1424
	v_fma_f64 v[30:31], v[4:5], v[30:31], v[118:119]
	v_add_f64 v[18:19], v[102:103], v[18:19]
	v_add_f64 v[14:15], v[14:15], v[28:29]
	s_clause 0x4
	buffer_load_dword v29, off, s[0:3], 0 offset:780
	buffer_load_dword v102, off, s[0:3], 0 offset:792
	;; [unrolled: 1-line block ×5, first 2 shown]
	ds_read_b128 v[2:5], v1 offset:1440
	s_waitcnt vmcnt(57) lgkmcnt(1)
	v_mul_f64 v[120:121], v[10:11], v[32:33]
	v_mul_f64 v[32:33], v[12:13], v[32:33]
	s_waitcnt vmcnt(56)
	v_fma_f64 v[24:25], v[6:7], v[26:27], -v[24:25]
	v_add_f64 v[18:19], v[18:19], v[22:23]
	v_fma_f64 v[22:23], v[8:9], v[26:27], v[114:115]
	v_add_f64 v[14:15], v[14:15], v[30:31]
	s_clause 0x2
	buffer_load_dword v103, off, s[0:3], 0 offset:796
	buffer_load_dword v27, off, s[0:3], 0 offset:772
	;; [unrolled: 1-line block ×3, first 2 shown]
	s_waitcnt vmcnt(58) lgkmcnt(0)
	v_mul_f64 v[30:31], v[2:3], v[34:35]
	v_mul_f64 v[34:35], v[4:5], v[34:35]
	s_waitcnt vmcnt(56)
	v_fma_f64 v[32:33], v[10:11], v[38:39], -v[32:33]
	ds_read_b128 v[6:9], v1 offset:1456
	v_add_f64 v[18:19], v[18:19], v[24:25]
	v_fma_f64 v[24:25], v[12:13], v[38:39], v[120:121]
	v_add_f64 v[14:15], v[14:15], v[22:23]
	s_clause 0x4
	buffer_load_dword v23, off, s[0:3], 0 offset:812
	buffer_load_dword v38, off, s[0:3], 0 offset:824
	;; [unrolled: 1-line block ×5, first 2 shown]
	ds_read_b128 v[10:13], v1 offset:1472
	s_waitcnt vmcnt(57) lgkmcnt(1)
	v_mul_f64 v[115:116], v[6:7], v[40:41]
	v_mul_f64 v[40:41], v[8:9], v[40:41]
	s_waitcnt vmcnt(56)
	v_fma_f64 v[34:35], v[2:3], v[36:37], -v[34:35]
	v_fma_f64 v[30:31], v[4:5], v[36:37], v[30:31]
	v_add_f64 v[18:19], v[18:19], v[32:33]
	v_add_f64 v[14:15], v[14:15], v[24:25]
	s_clause 0x2
	buffer_load_dword v39, off, s[0:3], 0 offset:828
	buffer_load_dword v25, off, s[0:3], 0 offset:804
	;; [unrolled: 1-line block ×3, first 2 shown]
	s_waitcnt vmcnt(58) lgkmcnt(0)
	v_mul_f64 v[36:37], v[12:13], v[42:43]
	ds_read_b128 v[2:5], v1 offset:1488
	s_waitcnt vmcnt(56)
	v_fma_f64 v[40:41], v[6:7], v[46:47], -v[40:41]
	v_mul_f64 v[32:33], v[10:11], v[42:43]
	v_add_f64 v[18:19], v[18:19], v[34:35]
	v_fma_f64 v[34:35], v[8:9], v[46:47], v[115:116]
	v_add_f64 v[14:15], v[14:15], v[30:31]
	s_clause 0x4
	buffer_load_dword v31, off, s[0:3], 0 offset:844
	buffer_load_dword v42, off, s[0:3], 0 offset:856
	;; [unrolled: 1-line block ×5, first 2 shown]
	s_waitcnt vmcnt(57) lgkmcnt(0)
	v_mul_f64 v[121:122], v[2:3], v[48:49]
	v_mul_f64 v[47:48], v[4:5], v[48:49]
	s_waitcnt vmcnt(56)
	v_fma_f64 v[36:37], v[10:11], v[44:45], -v[36:37]
	ds_read_b128 v[6:9], v1 offset:1504
	v_fma_f64 v[32:33], v[12:13], v[44:45], v[32:33]
	v_add_f64 v[18:19], v[18:19], v[40:41]
	v_add_f64 v[14:15], v[14:15], v[34:35]
	s_clause 0x2
	buffer_load_dword v43, off, s[0:3], 0 offset:860
	buffer_load_dword v35, off, s[0:3], 0 offset:836
	;; [unrolled: 1-line block ×3, first 2 shown]
	ds_read_b128 v[10:13], v1 offset:1520
	s_waitcnt vmcnt(58) lgkmcnt(1)
	v_mul_f64 v[44:45], v[8:9], v[50:51]
	s_waitcnt vmcnt(56)
	v_fma_f64 v[48:49], v[2:3], v[54:55], -v[47:48]
	v_mul_f64 v[40:41], v[6:7], v[50:51]
	v_add_f64 v[18:19], v[18:19], v[36:37]
	v_fma_f64 v[36:37], v[4:5], v[54:55], v[121:122]
	v_add_f64 v[14:15], v[14:15], v[32:33]
	s_clause 0x4
	buffer_load_dword v33, off, s[0:3], 0 offset:876
	buffer_load_dword v50, off, s[0:3], 0 offset:888
	;; [unrolled: 1-line block ×5, first 2 shown]
	s_waitcnt vmcnt(57) lgkmcnt(0)
	v_mul_f64 v[55:56], v[10:11], v[61:62]
	v_mul_f64 v[61:62], v[12:13], v[61:62]
	s_waitcnt vmcnt(56)
	v_fma_f64 v[44:45], v[6:7], v[52:53], -v[44:45]
	ds_read_b128 v[2:5], v1 offset:1536
	v_fma_f64 v[40:41], v[8:9], v[52:53], v[40:41]
	v_add_f64 v[18:19], v[18:19], v[48:49]
	v_add_f64 v[14:15], v[14:15], v[36:37]
	s_clause 0x2
	buffer_load_dword v51, off, s[0:3], 0 offset:892
	buffer_load_dword v37, off, s[0:3], 0 offset:868
	buffer_load_dword v36, off, s[0:3], 0 offset:864
	ds_read_b128 v[6:9], v1 offset:1552
	s_waitcnt vmcnt(58) lgkmcnt(1)
	v_mul_f64 v[52:53], v[4:5], v[63:64]
	s_waitcnt vmcnt(56)
	v_fma_f64 v[61:62], v[10:11], v[91:92], -v[61:62]
	v_mul_f64 v[48:49], v[2:3], v[63:64]
	v_add_f64 v[18:19], v[18:19], v[44:45]
	v_fma_f64 v[44:45], v[12:13], v[91:92], v[55:56]
	v_add_f64 v[14:15], v[14:15], v[40:41]
	s_clause 0x2
	buffer_load_dword v41, off, s[0:3], 0 offset:908
	buffer_load_dword v40, off, s[0:3], 0 offset:904
	;; [unrolled: 1-line block ×3, first 2 shown]
	s_waitcnt vmcnt(55) lgkmcnt(0)
	v_mul_f64 v[91:92], v[8:9], v[93:94]
	s_waitcnt vmcnt(54)
	v_fma_f64 v[52:53], v[2:3], v[89:90], -v[52:53]
	ds_read_b128 v[10:13], v1 offset:1568
	v_mul_f64 v[63:64], v[6:7], v[93:94]
	v_fma_f64 v[48:49], v[4:5], v[89:90], v[48:49]
	v_add_f64 v[18:19], v[18:19], v[61:62]
	v_add_f64 v[14:15], v[14:15], v[44:45]
	s_clause 0x1
	buffer_load_dword v45, off, s[0:3], 0 offset:900
	buffer_load_dword v44, off, s[0:3], 0 offset:896
	s_waitcnt vmcnt(55) lgkmcnt(0)
	v_mul_f64 v[89:90], v[12:13], v[95:96]
	s_waitcnt vmcnt(53)
	v_fma_f64 v[91:92], v[6:7], v[100:101], -v[91:92]
	ds_read_b128 v[2:5], v1 offset:1584
	v_mul_f64 v[61:62], v[10:11], v[95:96]
	v_add_f64 v[18:19], v[18:19], v[52:53]
	v_fma_f64 v[52:53], v[8:9], v[100:101], v[63:64]
	v_add_f64 v[14:15], v[14:15], v[48:49]
	ds_read_b128 v[6:9], v1 offset:1600
	s_waitcnt vmcnt(49) lgkmcnt(1)
	v_mul_f64 v[63:64], v[4:5], v[106:107]
	s_waitcnt vmcnt(48)
	v_fma_f64 v[89:90], v[10:11], v[98:99], -v[89:90]
	v_mul_f64 v[48:49], v[2:3], v[106:107]
	v_fma_f64 v[61:62], v[12:13], v[98:99], v[61:62]
	v_add_f64 v[18:19], v[18:19], v[91:92]
	v_add_f64 v[14:15], v[14:15], v[52:53]
	s_clause 0x3
	buffer_load_dword v52, off, s[0:3], 0 offset:448
	buffer_load_dword v53, off, s[0:3], 0 offset:452
	;; [unrolled: 1-line block ×4, first 2 shown]
	ds_read_b128 v[10:13], v1 offset:1616
	s_waitcnt vmcnt(51) lgkmcnt(1)
	v_mul_f64 v[95:96], v[8:9], v[108:109]
	v_mul_f64 v[93:94], v[6:7], v[108:109]
	s_waitcnt vmcnt(49)
	v_fma_f64 v[63:64], v[2:3], v[104:105], -v[63:64]
	v_fma_f64 v[48:49], v[4:5], v[104:105], v[48:49]
	ds_read_b128 v[2:5], v1 offset:1632
	v_add_f64 v[18:19], v[18:19], v[89:90]
	v_add_f64 v[14:15], v[14:15], v[61:62]
	s_waitcnt vmcnt(45) lgkmcnt(1)
	v_mul_f64 v[61:62], v[10:11], v[20:21]
	v_mul_f64 v[20:21], v[12:13], v[20:21]
	s_waitcnt vmcnt(44)
	v_fma_f64 v[89:90], v[6:7], v[110:111], -v[95:96]
	v_add_f64 v[18:19], v[18:19], v[63:64]
	v_fma_f64 v[63:64], v[8:9], v[110:111], v[93:94]
	v_add_f64 v[14:15], v[14:15], v[48:49]
	ds_read_b128 v[6:9], v1 offset:1648
	s_waitcnt vmcnt(43) lgkmcnt(1)
	v_mul_f64 v[93:94], v[4:5], v[112:113]
	v_mul_f64 v[48:49], v[2:3], v[112:113]
	s_waitcnt vmcnt(41)
	v_fma_f64 v[20:21], v[10:11], v[16:17], -v[20:21]
	v_fma_f64 v[16:17], v[12:13], v[16:17], v[61:62]
	ds_read_b128 v[10:13], v1 offset:1664
	v_add_f64 v[18:19], v[18:19], v[89:90]
	v_add_f64 v[14:15], v[14:15], v[63:64]
	s_waitcnt vmcnt(37) lgkmcnt(1)
	v_mul_f64 v[61:62], v[6:7], v[28:29]
	v_mul_f64 v[28:29], v[8:9], v[28:29]
	s_waitcnt vmcnt(36)
	v_fma_f64 v[63:64], v[2:3], v[117:118], -v[93:94]
	v_add_f64 v[18:19], v[18:19], v[20:21]
	v_fma_f64 v[20:21], v[4:5], v[117:118], v[48:49]
	v_add_f64 v[14:15], v[14:15], v[16:17]
	ds_read_b128 v[2:5], v1 offset:1680
	s_waitcnt vmcnt(35) lgkmcnt(1)
	v_mul_f64 v[48:49], v[12:13], v[102:103]
	v_mul_f64 v[16:17], v[10:11], v[102:103]
	s_waitcnt vmcnt(33)
	v_fma_f64 v[28:29], v[6:7], v[26:27], -v[28:29]
	v_fma_f64 v[26:27], v[8:9], v[26:27], v[61:62]
	ds_read_b128 v[6:9], v1 offset:1696
	v_add_f64 v[18:19], v[18:19], v[63:64]
	v_add_f64 v[14:15], v[14:15], v[20:21]
	s_waitcnt vmcnt(29) lgkmcnt(1)
	v_mul_f64 v[20:21], v[2:3], v[22:23]
	v_mul_f64 v[22:23], v[4:5], v[22:23]
	s_waitcnt vmcnt(28)
	v_fma_f64 v[48:49], v[10:11], v[119:120], -v[48:49]
	v_fma_f64 v[16:17], v[12:13], v[119:120], v[16:17]
	ds_read_b128 v[10:13], v1 offset:1712
	v_add_f64 v[18:19], v[18:19], v[28:29]
	v_add_f64 v[14:15], v[14:15], v[26:27]
	;; [unrolled: 9-line block ×3, first 2 shown]
	s_waitcnt vmcnt(21) lgkmcnt(1)
	v_mul_f64 v[24:25], v[12:13], v[30:31]
	s_waitcnt vmcnt(20)
	v_fma_f64 v[28:29], v[6:7], v[114:115], -v[28:29]
	v_mul_f64 v[16:17], v[10:11], v[30:31]
	v_add_f64 v[18:19], v[18:19], v[22:23]
	v_fma_f64 v[22:23], v[8:9], v[114:115], v[26:27]
	v_add_f64 v[14:15], v[14:15], v[20:21]
	ds_read_b128 v[6:9], v1 offset:1744
	s_waitcnt vmcnt(19) lgkmcnt(1)
	v_mul_f64 v[26:27], v[4:5], v[42:43]
	v_mul_f64 v[20:21], v[2:3], v[42:43]
	s_waitcnt vmcnt(17)
	v_fma_f64 v[24:25], v[10:11], v[34:35], -v[24:25]
	v_fma_f64 v[16:17], v[12:13], v[34:35], v[16:17]
	ds_read_b128 v[10:13], v1 offset:1760
	v_add_f64 v[18:19], v[18:19], v[28:29]
	v_add_f64 v[14:15], v[14:15], v[22:23]
	s_waitcnt vmcnt(13) lgkmcnt(1)
	v_mul_f64 v[28:29], v[8:9], v[32:33]
	s_waitcnt vmcnt(12)
	v_fma_f64 v[26:27], v[2:3], v[46:47], -v[26:27]
	v_mul_f64 v[22:23], v[6:7], v[32:33]
	v_fma_f64 v[20:21], v[4:5], v[46:47], v[20:21]
	ds_read_b128 v[1:4], v1 offset:1776
	v_add_f64 v[18:19], v[18:19], v[24:25]
	v_add_f64 v[14:15], v[14:15], v[16:17]
	s_waitcnt vmcnt(11) lgkmcnt(1)
	v_mul_f64 v[24:25], v[12:13], v[50:51]
	v_mul_f64 v[16:17], v[10:11], v[50:51]
	s_waitcnt vmcnt(9)
	v_fma_f64 v[5:6], v[6:7], v[36:37], -v[28:29]
	v_fma_f64 v[7:8], v[8:9], v[36:37], v[22:23]
	v_add_f64 v[18:19], v[18:19], v[26:27]
	v_add_f64 v[14:15], v[14:15], v[20:21]
	s_waitcnt vmcnt(7) lgkmcnt(0)
	v_mul_f64 v[22:23], v[3:4], v[40:41]
	s_waitcnt vmcnt(6)
	v_fma_f64 v[9:10], v[10:11], v[54:55], -v[24:25]
	v_mul_f64 v[20:21], v[1:2], v[40:41]
	v_fma_f64 v[11:12], v[12:13], v[54:55], v[16:17]
	v_add_f64 v[5:6], v[18:19], v[5:6]
	v_add_f64 v[7:8], v[14:15], v[7:8]
	s_waitcnt vmcnt(4)
	v_fma_f64 v[1:2], v[1:2], v[44:45], -v[22:23]
	v_fma_f64 v[3:4], v[3:4], v[44:45], v[20:21]
	v_add_f64 v[5:6], v[5:6], v[9:10]
	v_add_f64 v[7:8], v[7:8], v[11:12]
	;; [unrolled: 1-line block ×4, first 2 shown]
	s_waitcnt vmcnt(2)
	v_add_f64 v[1:2], v[52:53], -v[1:2]
	s_waitcnt vmcnt(0)
	v_add_f64 v[3:4], v[91:92], -v[3:4]
	buffer_store_dword v2, off, s[0:3], 0 offset:452
	buffer_store_dword v1, off, s[0:3], 0 offset:448
	;; [unrolled: 1-line block ×4, first 2 shown]
	v_cmpx_lt_u32_e32 26, v0
	s_cbranch_execz .LBB55_297
; %bb.296:
	v_mov_b32_e32 v4, s42
	v_mov_b32_e32 v5, 0
	s_clause 0x3
	buffer_load_dword v1, v4, s[0:3], 0 offen
	buffer_load_dword v2, v4, s[0:3], 0 offen offset:4
	buffer_load_dword v3, v4, s[0:3], 0 offen offset:8
	;; [unrolled: 1-line block ×3, first 2 shown]
	buffer_store_dword v5, off, s[0:3], 0 offset:432
	buffer_store_dword v5, off, s[0:3], 0 offset:436
	buffer_store_dword v5, off, s[0:3], 0 offset:440
	buffer_store_dword v5, off, s[0:3], 0 offset:444
	s_waitcnt vmcnt(0)
	ds_write_b128 v97, v[1:4]
.LBB55_297:
	s_or_b32 exec_lo, exec_lo, s4
	s_waitcnt lgkmcnt(0)
	s_waitcnt_vscnt null, 0x0
	s_barrier
	buffer_gl0_inv
	s_clause 0x37
	buffer_load_dword v9, off, s[0:3], 0 offset:456
	buffer_load_dword v10, off, s[0:3], 0 offset:460
	;; [unrolled: 1-line block ×56, first 2 shown]
	v_mov_b32_e32 v11, 0
	s_mov_b32 s4, exec_lo
	ds_read_b128 v[5:8], v11 offset:1328
	s_clause 0x2
	buffer_load_dword v99, off, s[0:3], 0 offset:684
	buffer_load_dword v103, off, s[0:3], 0 offset:660
	;; [unrolled: 1-line block ×3, first 2 shown]
	ds_read_b128 v[12:15], v11 offset:1344
	s_clause 0x4
	buffer_load_dword v107, off, s[0:3], 0 offset:700
	buffer_load_dword v108, off, s[0:3], 0 offset:712
	buffer_load_dword v110, off, s[0:3], 0 offset:704
	buffer_load_dword v106, off, s[0:3], 0 offset:696
	buffer_load_dword v101, off, s[0:3], 0 offset:676
	ds_read_b128 v[16:19], v11 offset:1360
	s_waitcnt vmcnt(62) lgkmcnt(2)
	v_mul_f64 v[104:105], v[7:8], v[9:10]
	v_mul_f64 v[9:10], v[5:6], v[9:10]
	s_waitcnt vmcnt(60) lgkmcnt(1)
	v_mul_f64 v[111:112], v[14:15], v[20:21]
	v_mul_f64 v[20:21], v[12:13], v[20:21]
	;; [unrolled: 3-line block ×3, first 2 shown]
	v_fma_f64 v[104:105], v[5:6], v[22:23], -v[104:105]
	v_fma_f64 v[9:10], v[7:8], v[22:23], v[9:10]
	s_clause 0x2
	buffer_load_dword v109, off, s[0:3], 0 offset:716
	buffer_load_dword v23, off, s[0:3], 0 offset:692
	;; [unrolled: 1-line block ×3, first 2 shown]
	s_waitcnt vmcnt(57)
	v_fma_f64 v[12:13], v[12:13], v[1:2], -v[111:112]
	ds_read_b128 v[5:8], v11 offset:1376
	v_fma_f64 v[14:15], v[14:15], v[1:2], v[20:21]
	s_clause 0x4
	buffer_load_dword v21, off, s[0:3], 0 offset:732
	buffer_load_dword v112, off, s[0:3], 0 offset:744
	;; [unrolled: 1-line block ×5, first 2 shown]
	s_waitcnt vmcnt(56)
	v_fma_f64 v[16:17], v[16:17], v[30:31], -v[115:116]
	ds_read_b128 v[1:4], v11 offset:1392
	v_fma_f64 v[18:19], v[18:19], v[30:31], v[113:114]
	s_clause 0x2
	buffer_load_dword v113, off, s[0:3], 0 offset:748
	buffer_load_dword v31, off, s[0:3], 0 offset:724
	;; [unrolled: 1-line block ×3, first 2 shown]
	v_add_f64 v[104:105], v[104:105], 0
	v_add_f64 v[9:10], v[9:10], 0
	s_waitcnt lgkmcnt(1)
	v_mul_f64 v[118:119], v[5:6], v[24:25]
	v_mul_f64 v[24:25], v[7:8], v[24:25]
	s_waitcnt vmcnt(58) lgkmcnt(0)
	v_mul_f64 v[114:115], v[1:2], v[26:27]
	v_mul_f64 v[26:27], v[3:4], v[26:27]
	v_add_f64 v[104:105], v[104:105], v[12:13]
	v_add_f64 v[9:10], v[9:10], v[14:15]
	ds_read_b128 v[12:15], v11 offset:1408
	s_waitcnt vmcnt(56)
	v_fma_f64 v[24:25], v[5:6], v[32:33], -v[24:25]
	v_fma_f64 v[32:33], v[7:8], v[32:33], v[118:119]
	s_waitcnt vmcnt(51)
	v_fma_f64 v[26:27], v[1:2], v[28:29], -v[26:27]
	s_waitcnt lgkmcnt(0)
	v_mul_f64 v[120:121], v[12:13], v[34:35]
	v_add_f64 v[16:17], v[104:105], v[16:17]
	v_add_f64 v[9:10], v[9:10], v[18:19]
	s_clause 0x4
	buffer_load_dword v19, off, s[0:3], 0 offset:764
	buffer_load_dword v104, off, s[0:3], 0 offset:776
	;; [unrolled: 1-line block ×5, first 2 shown]
	v_mul_f64 v[34:35], v[14:15], v[34:35]
	ds_read_b128 v[5:8], v11 offset:1424
	v_add_f64 v[16:17], v[16:17], v[24:25]
	v_fma_f64 v[24:25], v[3:4], v[28:29], v[114:115]
	v_add_f64 v[9:10], v[9:10], v[32:33]
	s_clause 0x2
	buffer_load_dword v105, off, s[0:3], 0 offset:780
	buffer_load_dword v29, off, s[0:3], 0 offset:756
	;; [unrolled: 1-line block ×3, first 2 shown]
	s_waitcnt vmcnt(58) lgkmcnt(0)
	v_mul_f64 v[32:33], v[5:6], v[36:37]
	v_mul_f64 v[36:37], v[7:8], v[36:37]
	s_waitcnt vmcnt(56)
	v_fma_f64 v[34:35], v[12:13], v[40:41], -v[34:35]
	ds_read_b128 v[1:4], v11 offset:1440
	v_add_f64 v[16:17], v[16:17], v[26:27]
	v_fma_f64 v[26:27], v[14:15], v[40:41], v[120:121]
	v_add_f64 v[9:10], v[9:10], v[24:25]
	s_clause 0x4
	buffer_load_dword v25, off, s[0:3], 0 offset:796
	buffer_load_dword v40, off, s[0:3], 0 offset:808
	;; [unrolled: 1-line block ×5, first 2 shown]
	ds_read_b128 v[12:15], v11 offset:1456
	s_waitcnt vmcnt(57) lgkmcnt(1)
	v_mul_f64 v[115:116], v[1:2], v[42:43]
	v_mul_f64 v[42:43], v[3:4], v[42:43]
	s_waitcnt vmcnt(56)
	v_fma_f64 v[36:37], v[5:6], v[38:39], -v[36:37]
	v_fma_f64 v[32:33], v[7:8], v[38:39], v[32:33]
	v_add_f64 v[16:17], v[16:17], v[34:35]
	v_add_f64 v[9:10], v[9:10], v[26:27]
	s_clause 0x2
	buffer_load_dword v41, off, s[0:3], 0 offset:812
	buffer_load_dword v27, off, s[0:3], 0 offset:788
	;; [unrolled: 1-line block ×3, first 2 shown]
	s_waitcnt vmcnt(58) lgkmcnt(0)
	v_mul_f64 v[38:39], v[14:15], v[44:45]
	ds_read_b128 v[5:8], v11 offset:1472
	s_waitcnt vmcnt(56)
	v_fma_f64 v[42:43], v[1:2], v[48:49], -v[42:43]
	v_mul_f64 v[34:35], v[12:13], v[44:45]
	v_add_f64 v[16:17], v[16:17], v[36:37]
	v_fma_f64 v[36:37], v[3:4], v[48:49], v[115:116]
	v_add_f64 v[9:10], v[9:10], v[32:33]
	s_clause 0x4
	buffer_load_dword v33, off, s[0:3], 0 offset:828
	buffer_load_dword v44, off, s[0:3], 0 offset:840
	buffer_load_dword v48, off, s[0:3], 0 offset:832
	buffer_load_dword v32, off, s[0:3], 0 offset:824
	buffer_load_dword v115, off, s[0:3], 0 offset:804
	s_waitcnt vmcnt(57) lgkmcnt(0)
	v_mul_f64 v[121:122], v[5:6], v[50:51]
	v_mul_f64 v[49:50], v[7:8], v[50:51]
	s_waitcnt vmcnt(56)
	v_fma_f64 v[38:39], v[12:13], v[46:47], -v[38:39]
	ds_read_b128 v[1:4], v11 offset:1488
	v_fma_f64 v[34:35], v[14:15], v[46:47], v[34:35]
	v_add_f64 v[16:17], v[16:17], v[42:43]
	v_add_f64 v[9:10], v[9:10], v[36:37]
	s_clause 0x2
	buffer_load_dword v45, off, s[0:3], 0 offset:844
	buffer_load_dword v37, off, s[0:3], 0 offset:820
	buffer_load_dword v36, off, s[0:3], 0 offset:816
	ds_read_b128 v[12:15], v11 offset:1504
	s_waitcnt vmcnt(58) lgkmcnt(1)
	v_mul_f64 v[46:47], v[3:4], v[52:53]
	s_waitcnt vmcnt(56)
	v_fma_f64 v[50:51], v[5:6], v[61:62], -v[49:50]
	v_mul_f64 v[42:43], v[1:2], v[52:53]
	v_add_f64 v[16:17], v[16:17], v[38:39]
	v_fma_f64 v[38:39], v[7:8], v[61:62], v[121:122]
	v_add_f64 v[9:10], v[9:10], v[34:35]
	s_clause 0x4
	buffer_load_dword v35, off, s[0:3], 0 offset:860
	buffer_load_dword v52, off, s[0:3], 0 offset:872
	buffer_load_dword v61, off, s[0:3], 0 offset:864
	buffer_load_dword v34, off, s[0:3], 0 offset:856
	buffer_load_dword v49, off, s[0:3], 0 offset:836
	s_waitcnt vmcnt(57) lgkmcnt(0)
	v_mul_f64 v[121:122], v[12:13], v[63:64]
	v_mul_f64 v[62:63], v[14:15], v[63:64]
	s_waitcnt vmcnt(56)
	v_fma_f64 v[46:47], v[1:2], v[54:55], -v[46:47]
	ds_read_b128 v[5:8], v11 offset:1520
	v_fma_f64 v[42:43], v[3:4], v[54:55], v[42:43]
	v_add_f64 v[16:17], v[16:17], v[50:51]
	v_add_f64 v[9:10], v[9:10], v[38:39]
	s_clause 0x2
	buffer_load_dword v53, off, s[0:3], 0 offset:876
	buffer_load_dword v39, off, s[0:3], 0 offset:852
	buffer_load_dword v38, off, s[0:3], 0 offset:848
	ds_read_b128 v[1:4], v11 offset:1536
	s_waitcnt vmcnt(58) lgkmcnt(1)
	v_mul_f64 v[54:55], v[7:8], v[89:90]
	;; [unrolled: 28-line block ×3, first 2 shown]
	s_waitcnt vmcnt(56)
	v_fma_f64 v[95:96], v[1:2], v[102:103], -v[94:95]
	v_mul_f64 v[63:64], v[12:13], v[98:99]
	buffer_load_dword v94, off, s[0:3], 0 offset:900
	v_add_f64 v[16:17], v[16:17], v[54:55]
	v_fma_f64 v[54:55], v[3:4], v[102:103], v[121:122]
	v_add_f64 v[9:10], v[9:10], v[50:51]
	ds_read_b128 v[1:4], v11 offset:1584
	s_waitcnt vmcnt(53) lgkmcnt(1)
	v_mul_f64 v[98:99], v[7:8], v[106:107]
	s_waitcnt vmcnt(52)
	v_fma_f64 v[91:92], v[12:13], v[100:101], -v[91:92]
	v_mul_f64 v[50:51], v[5:6], v[106:107]
	v_fma_f64 v[63:64], v[14:15], v[100:101], v[63:64]
	ds_read_b128 v[12:15], v11 offset:1600
	v_add_f64 v[16:17], v[16:17], v[95:96]
	v_add_f64 v[9:10], v[9:10], v[54:55]
	s_waitcnt vmcnt(51) lgkmcnt(1)
	v_mul_f64 v[95:96], v[3:4], v[108:109]
	v_mul_f64 v[54:55], v[1:2], v[108:109]
	s_waitcnt vmcnt(49)
	v_fma_f64 v[98:99], v[5:6], v[22:23], -v[98:99]
	v_fma_f64 v[22:23], v[7:8], v[22:23], v[50:51]
	v_add_f64 v[16:17], v[16:17], v[91:92]
	s_waitcnt vmcnt(45) lgkmcnt(0)
	v_mul_f64 v[91:92], v[12:13], v[20:21]
	v_add_f64 v[9:10], v[9:10], v[63:64]
	s_clause 0x3
	buffer_load_dword v50, off, s[0:3], 0 offset:432
	buffer_load_dword v51, off, s[0:3], 0 offset:436
	buffer_load_dword v63, off, s[0:3], 0 offset:440
	buffer_load_dword v64, off, s[0:3], 0 offset:444
	v_mul_f64 v[20:21], v[14:15], v[20:21]
	ds_read_b128 v[5:8], v11 offset:1616
	s_waitcnt vmcnt(48)
	v_fma_f64 v[95:96], v[1:2], v[110:111], -v[95:96]
	v_fma_f64 v[54:55], v[3:4], v[110:111], v[54:55]
	ds_read_b128 v[1:4], v11 offset:1632
	v_add_f64 v[16:17], v[16:17], v[98:99]
	v_add_f64 v[9:10], v[9:10], v[22:23]
	s_waitcnt vmcnt(47) lgkmcnt(1)
	v_mul_f64 v[98:99], v[7:8], v[112:113]
	s_waitcnt vmcnt(45)
	v_fma_f64 v[20:21], v[12:13], v[30:31], -v[20:21]
	v_mul_f64 v[22:23], v[5:6], v[112:113]
	v_fma_f64 v[30:31], v[14:15], v[30:31], v[91:92]
	ds_read_b128 v[12:15], v11 offset:1648
	v_add_f64 v[16:17], v[16:17], v[95:96]
	v_add_f64 v[9:10], v[9:10], v[54:55]
	s_waitcnt vmcnt(41) lgkmcnt(1)
	v_mul_f64 v[54:55], v[1:2], v[18:19]
	v_mul_f64 v[18:19], v[3:4], v[18:19]
	s_waitcnt vmcnt(40)
	v_fma_f64 v[91:92], v[5:6], v[117:118], -v[98:99]
	v_add_f64 v[16:17], v[16:17], v[20:21]
	v_fma_f64 v[20:21], v[7:8], v[117:118], v[22:23]
	v_add_f64 v[9:10], v[9:10], v[30:31]
	ds_read_b128 v[5:8], v11 offset:1664
	s_waitcnt vmcnt(39) lgkmcnt(1)
	v_mul_f64 v[30:31], v[14:15], v[104:105]
	v_mul_f64 v[22:23], v[12:13], v[104:105]
	s_waitcnt vmcnt(37)
	v_fma_f64 v[18:19], v[1:2], v[28:29], -v[18:19]
	v_fma_f64 v[28:29], v[3:4], v[28:29], v[54:55]
	ds_read_b128 v[1:4], v11 offset:1680
	v_add_f64 v[16:17], v[16:17], v[91:92]
	v_add_f64 v[9:10], v[9:10], v[20:21]
	s_waitcnt vmcnt(33) lgkmcnt(1)
	v_mul_f64 v[20:21], v[5:6], v[24:25]
	v_mul_f64 v[24:25], v[7:8], v[24:25]
	s_waitcnt vmcnt(32)
	v_fma_f64 v[30:31], v[12:13], v[119:120], -v[30:31]
	v_add_f64 v[16:17], v[16:17], v[18:19]
	v_fma_f64 v[18:19], v[14:15], v[119:120], v[22:23]
	v_add_f64 v[9:10], v[9:10], v[28:29]
	ds_read_b128 v[12:15], v11 offset:1696
	s_waitcnt vmcnt(31) lgkmcnt(1)
	v_mul_f64 v[28:29], v[3:4], v[40:41]
	v_mul_f64 v[22:23], v[1:2], v[40:41]
	s_waitcnt vmcnt(29)
	v_fma_f64 v[24:25], v[5:6], v[26:27], -v[24:25]
	v_fma_f64 v[20:21], v[7:8], v[26:27], v[20:21]
	ds_read_b128 v[5:8], v11 offset:1712
	v_add_f64 v[16:17], v[16:17], v[30:31]
	v_add_f64 v[9:10], v[9:10], v[18:19]
	s_waitcnt vmcnt(25) lgkmcnt(1)
	v_mul_f64 v[26:27], v[14:15], v[32:33]
	s_waitcnt vmcnt(24)
	v_fma_f64 v[28:29], v[1:2], v[114:115], -v[28:29]
	v_mul_f64 v[18:19], v[12:13], v[32:33]
	v_fma_f64 v[22:23], v[3:4], v[114:115], v[22:23]
	ds_read_b128 v[1:4], v11 offset:1728
	v_add_f64 v[16:17], v[16:17], v[24:25]
	v_add_f64 v[9:10], v[9:10], v[20:21]
	s_waitcnt vmcnt(23) lgkmcnt(1)
	v_mul_f64 v[24:25], v[7:8], v[44:45]
	v_mul_f64 v[20:21], v[5:6], v[44:45]
	s_waitcnt vmcnt(21)
	v_fma_f64 v[26:27], v[12:13], v[36:37], -v[26:27]
	v_fma_f64 v[18:19], v[14:15], v[36:37], v[18:19]
	ds_read_b128 v[12:15], v11 offset:1744
	v_add_f64 v[16:17], v[16:17], v[28:29]
	v_add_f64 v[9:10], v[9:10], v[22:23]
	s_waitcnt vmcnt(17) lgkmcnt(1)
	v_mul_f64 v[28:29], v[3:4], v[34:35]
	s_waitcnt vmcnt(16)
	v_fma_f64 v[24:25], v[5:6], v[48:49], -v[24:25]
	v_mul_f64 v[22:23], v[1:2], v[34:35]
	v_fma_f64 v[20:21], v[7:8], v[48:49], v[20:21]
	ds_read_b128 v[5:8], v11 offset:1760
	v_add_f64 v[16:17], v[16:17], v[26:27]
	v_add_f64 v[9:10], v[9:10], v[18:19]
	s_waitcnt vmcnt(15) lgkmcnt(1)
	v_mul_f64 v[26:27], v[14:15], v[52:53]
	v_mul_f64 v[18:19], v[12:13], v[52:53]
	s_waitcnt vmcnt(13)
	v_fma_f64 v[28:29], v[1:2], v[38:39], -v[28:29]
	v_fma_f64 v[22:23], v[3:4], v[38:39], v[22:23]
	ds_read_b128 v[1:4], v11 offset:1776
	v_add_f64 v[16:17], v[16:17], v[24:25]
	v_add_f64 v[9:10], v[9:10], v[20:21]
	s_waitcnt vmcnt(9) lgkmcnt(1)
	v_mul_f64 v[24:25], v[7:8], v[42:43]
	s_waitcnt vmcnt(8)
	v_fma_f64 v[12:13], v[12:13], v[61:62], -v[26:27]
	v_mul_f64 v[20:21], v[5:6], v[42:43]
	v_fma_f64 v[14:15], v[14:15], v[61:62], v[18:19]
	v_add_f64 v[16:17], v[16:17], v[28:29]
	v_add_f64 v[9:10], v[9:10], v[22:23]
	s_waitcnt vmcnt(7) lgkmcnt(0)
	v_mul_f64 v[22:23], v[3:4], v[89:90]
	v_mul_f64 v[18:19], v[1:2], v[89:90]
	s_waitcnt vmcnt(5)
	v_fma_f64 v[5:6], v[5:6], v[46:47], -v[24:25]
	v_fma_f64 v[7:8], v[7:8], v[46:47], v[20:21]
	v_add_f64 v[12:13], v[16:17], v[12:13]
	v_add_f64 v[9:10], v[9:10], v[14:15]
	s_waitcnt vmcnt(4)
	v_fma_f64 v[1:2], v[1:2], v[93:94], -v[22:23]
	v_fma_f64 v[3:4], v[3:4], v[93:94], v[18:19]
	v_add_f64 v[5:6], v[12:13], v[5:6]
	v_add_f64 v[7:8], v[9:10], v[7:8]
	;; [unrolled: 1-line block ×4, first 2 shown]
	s_waitcnt vmcnt(2)
	v_add_f64 v[1:2], v[50:51], -v[1:2]
	s_waitcnt vmcnt(0)
	v_add_f64 v[3:4], v[63:64], -v[3:4]
	buffer_store_dword v2, off, s[0:3], 0 offset:436
	buffer_store_dword v1, off, s[0:3], 0 offset:432
	;; [unrolled: 1-line block ×4, first 2 shown]
	v_cmpx_lt_u32_e32 25, v0
	s_cbranch_execz .LBB55_299
; %bb.298:
	v_mov_b32_e32 v4, s43
	s_clause 0x3
	buffer_load_dword v1, v4, s[0:3], 0 offen
	buffer_load_dword v2, v4, s[0:3], 0 offen offset:4
	buffer_load_dword v3, v4, s[0:3], 0 offen offset:8
	;; [unrolled: 1-line block ×3, first 2 shown]
	buffer_store_dword v11, off, s[0:3], 0 offset:416
	buffer_store_dword v11, off, s[0:3], 0 offset:420
	;; [unrolled: 1-line block ×4, first 2 shown]
	s_waitcnt vmcnt(0)
	ds_write_b128 v97, v[1:4]
.LBB55_299:
	s_or_b32 exec_lo, exec_lo, s4
	s_waitcnt lgkmcnt(0)
	s_waitcnt_vscnt null, 0x0
	s_barrier
	buffer_gl0_inv
	s_clause 0x37
	buffer_load_dword v9, off, s[0:3], 0 offset:440
	buffer_load_dword v10, off, s[0:3], 0 offset:444
	;; [unrolled: 1-line block ×56, first 2 shown]
	ds_read_b128 v[12:15], v11 offset:1312
	s_clause 0x2
	buffer_load_dword v99, off, s[0:3], 0 offset:668
	buffer_load_dword v103, off, s[0:3], 0 offset:644
	;; [unrolled: 1-line block ×3, first 2 shown]
	ds_read_b128 v[16:19], v11 offset:1328
	s_clause 0x4
	buffer_load_dword v107, off, s[0:3], 0 offset:684
	buffer_load_dword v108, off, s[0:3], 0 offset:696
	;; [unrolled: 1-line block ×5, first 2 shown]
	ds_read_b128 v[20:23], v11 offset:1344
	s_clause 0x2
	buffer_load_dword v109, off, s[0:3], 0 offset:700
	buffer_load_dword v114, off, s[0:3], 0 offset:676
	;; [unrolled: 1-line block ×3, first 2 shown]
	s_mov_b32 s4, exec_lo
	s_waitcnt vmcnt(62) lgkmcnt(2)
	v_mul_f64 v[104:105], v[14:15], v[9:10]
	v_mul_f64 v[9:10], v[12:13], v[9:10]
	s_waitcnt lgkmcnt(1)
	v_mul_f64 v[111:112], v[18:19], v[5:6]
	s_waitcnt vmcnt(59) lgkmcnt(0)
	v_mul_f64 v[115:116], v[22:23], v[3:4]
	v_fma_f64 v[12:13], v[12:13], v[7:8], -v[104:105]
	v_mul_f64 v[104:105], v[16:17], v[5:6]
	v_fma_f64 v[9:10], v[14:15], v[7:8], v[9:10]
	s_waitcnt vmcnt(57)
	v_fma_f64 v[16:17], v[16:17], v[1:2], -v[111:112]
	ds_read_b128 v[5:8], v11 offset:1360
	v_mul_f64 v[14:15], v[20:21], v[3:4]
	s_waitcnt vmcnt(51)
	v_fma_f64 v[20:21], v[20:21], v[30:31], -v[115:116]
	v_add_f64 v[12:13], v[12:13], 0
	v_fma_f64 v[18:19], v[18:19], v[1:2], v[104:105]
	v_add_f64 v[9:10], v[9:10], 0
	s_clause 0x4
	buffer_load_dword v105, off, s[0:3], 0 offset:716
	buffer_load_dword v117, off, s[0:3], 0 offset:728
	;; [unrolled: 1-line block ×5, first 2 shown]
	s_waitcnt lgkmcnt(0)
	v_mul_f64 v[120:121], v[5:6], v[24:25]
	v_mul_f64 v[24:25], v[7:8], v[24:25]
	ds_read_b128 v[1:4], v11 offset:1376
	v_fma_f64 v[22:23], v[22:23], v[30:31], v[14:15]
	v_add_f64 v[16:17], v[12:13], v[16:17]
	v_add_f64 v[9:10], v[9:10], v[18:19]
	s_clause 0x2
	buffer_load_dword v118, off, s[0:3], 0 offset:732
	buffer_load_dword v19, off, s[0:3], 0 offset:708
	;; [unrolled: 1-line block ×3, first 2 shown]
	s_waitcnt vmcnt(58) lgkmcnt(0)
	v_mul_f64 v[30:31], v[1:2], v[26:27]
	v_mul_f64 v[26:27], v[3:4], v[26:27]
	s_waitcnt vmcnt(56)
	v_fma_f64 v[24:25], v[5:6], v[32:33], -v[24:25]
	ds_read_b128 v[12:15], v11 offset:1392
	v_add_f64 v[16:17], v[16:17], v[20:21]
	v_fma_f64 v[20:21], v[7:8], v[32:33], v[120:121]
	v_add_f64 v[9:10], v[9:10], v[22:23]
	s_clause 0x4
	buffer_load_dword v23, off, s[0:3], 0 offset:748
	buffer_load_dword v32, off, s[0:3], 0 offset:760
	buffer_load_dword v115, off, s[0:3], 0 offset:752
	buffer_load_dword v22, off, s[0:3], 0 offset:744
	buffer_load_dword v120, off, s[0:3], 0 offset:724
	ds_read_b128 v[5:8], v11 offset:1408
	s_waitcnt vmcnt(57) lgkmcnt(1)
	v_mul_f64 v[121:122], v[12:13], v[34:35]
	v_mul_f64 v[34:35], v[14:15], v[34:35]
	s_waitcnt vmcnt(56)
	v_fma_f64 v[26:27], v[1:2], v[28:29], -v[26:27]
	v_add_f64 v[16:17], v[16:17], v[24:25]
	v_fma_f64 v[24:25], v[3:4], v[28:29], v[30:31]
	v_add_f64 v[9:10], v[9:10], v[20:21]
	s_clause 0x2
	buffer_load_dword v33, off, s[0:3], 0 offset:764
	buffer_load_dword v21, off, s[0:3], 0 offset:740
	;; [unrolled: 1-line block ×3, first 2 shown]
	s_waitcnt vmcnt(58) lgkmcnt(0)
	v_mul_f64 v[30:31], v[7:8], v[36:37]
	ds_read_b128 v[1:4], v11 offset:1424
	s_waitcnt vmcnt(56)
	v_fma_f64 v[34:35], v[12:13], v[40:41], -v[34:35]
	v_mul_f64 v[28:29], v[5:6], v[36:37]
	v_add_f64 v[16:17], v[16:17], v[26:27]
	v_fma_f64 v[26:27], v[14:15], v[40:41], v[121:122]
	v_add_f64 v[9:10], v[9:10], v[24:25]
	s_clause 0x4
	buffer_load_dword v25, off, s[0:3], 0 offset:780
	buffer_load_dword v36, off, s[0:3], 0 offset:792
	buffer_load_dword v40, off, s[0:3], 0 offset:784
	buffer_load_dword v24, off, s[0:3], 0 offset:776
	buffer_load_dword v116, off, s[0:3], 0 offset:756
	s_waitcnt vmcnt(57) lgkmcnt(0)
	v_mul_f64 v[121:122], v[1:2], v[42:43]
	v_mul_f64 v[41:42], v[3:4], v[42:43]
	s_waitcnt vmcnt(56)
	v_fma_f64 v[30:31], v[5:6], v[38:39], -v[30:31]
	ds_read_b128 v[12:15], v11 offset:1440
	v_fma_f64 v[28:29], v[7:8], v[38:39], v[28:29]
	v_add_f64 v[16:17], v[16:17], v[34:35]
	v_add_f64 v[9:10], v[9:10], v[26:27]
	s_clause 0x2
	buffer_load_dword v37, off, s[0:3], 0 offset:796
	buffer_load_dword v27, off, s[0:3], 0 offset:772
	buffer_load_dword v26, off, s[0:3], 0 offset:768
	ds_read_b128 v[5:8], v11 offset:1456
	s_waitcnt vmcnt(58) lgkmcnt(1)
	v_mul_f64 v[38:39], v[14:15], v[44:45]
	s_waitcnt vmcnt(56)
	v_fma_f64 v[42:43], v[1:2], v[48:49], -v[41:42]
	v_mul_f64 v[34:35], v[12:13], v[44:45]
	v_add_f64 v[16:17], v[16:17], v[30:31]
	v_fma_f64 v[30:31], v[3:4], v[48:49], v[121:122]
	v_add_f64 v[9:10], v[9:10], v[28:29]
	s_clause 0x4
	buffer_load_dword v29, off, s[0:3], 0 offset:812
	buffer_load_dword v44, off, s[0:3], 0 offset:824
	buffer_load_dword v48, off, s[0:3], 0 offset:816
	buffer_load_dword v28, off, s[0:3], 0 offset:808
	buffer_load_dword v41, off, s[0:3], 0 offset:788
	s_waitcnt vmcnt(57) lgkmcnt(0)
	v_mul_f64 v[121:122], v[5:6], v[50:51]
	v_mul_f64 v[49:50], v[7:8], v[50:51]
	s_waitcnt vmcnt(56)
	v_fma_f64 v[38:39], v[12:13], v[46:47], -v[38:39]
	ds_read_b128 v[1:4], v11 offset:1472
	v_fma_f64 v[34:35], v[14:15], v[46:47], v[34:35]
	v_add_f64 v[16:17], v[16:17], v[42:43]
	v_add_f64 v[9:10], v[9:10], v[30:31]
	s_clause 0x2
	buffer_load_dword v45, off, s[0:3], 0 offset:828
	buffer_load_dword v31, off, s[0:3], 0 offset:804
	buffer_load_dword v30, off, s[0:3], 0 offset:800
	ds_read_b128 v[12:15], v11 offset:1488
	s_waitcnt vmcnt(58) lgkmcnt(1)
	v_mul_f64 v[46:47], v[3:4], v[52:53]
	;; [unrolled: 28-line block ×4, first 2 shown]
	s_waitcnt vmcnt(56)
	v_fma_f64 v[95:96], v[1:2], v[102:103], -v[94:95]
	v_mul_f64 v[63:64], v[12:13], v[98:99]
	v_add_f64 v[16:17], v[16:17], v[54:55]
	v_fma_f64 v[54:55], v[3:4], v[102:103], v[121:122]
	v_add_f64 v[9:10], v[9:10], v[50:51]
	s_clause 0x2
	buffer_load_dword v51, off, s[0:3], 0 offset:908
	buffer_load_dword v50, off, s[0:3], 0 offset:904
	;; [unrolled: 1-line block ×3, first 2 shown]
	s_waitcnt vmcnt(55) lgkmcnt(0)
	v_mul_f64 v[102:103], v[7:8], v[106:107]
	s_waitcnt vmcnt(54)
	v_fma_f64 v[91:92], v[12:13], v[100:101], -v[91:92]
	ds_read_b128 v[1:4], v11 offset:1568
	v_mul_f64 v[98:99], v[5:6], v[106:107]
	v_fma_f64 v[63:64], v[14:15], v[100:101], v[63:64]
	v_add_f64 v[16:17], v[16:17], v[95:96]
	v_add_f64 v[9:10], v[9:10], v[54:55]
	s_clause 0x1
	buffer_load_dword v55, off, s[0:3], 0 offset:900
	buffer_load_dword v54, off, s[0:3], 0 offset:896
	s_waitcnt vmcnt(55) lgkmcnt(0)
	v_mul_f64 v[100:101], v[3:4], v[108:109]
	s_waitcnt vmcnt(53)
	v_fma_f64 v[102:103], v[5:6], v[113:114], -v[102:103]
	ds_read_b128 v[12:15], v11 offset:1584
	v_mul_f64 v[95:96], v[1:2], v[108:109]
	v_add_f64 v[16:17], v[16:17], v[91:92]
	v_fma_f64 v[91:92], v[7:8], v[113:114], v[98:99]
	v_add_f64 v[9:10], v[9:10], v[63:64]
	ds_read_b128 v[5:8], v11 offset:1600
	s_waitcnt vmcnt(49) lgkmcnt(1)
	v_mul_f64 v[98:99], v[14:15], v[104:105]
	s_waitcnt vmcnt(48)
	v_fma_f64 v[100:101], v[1:2], v[110:111], -v[100:101]
	v_mul_f64 v[63:64], v[12:13], v[104:105]
	v_fma_f64 v[95:96], v[3:4], v[110:111], v[95:96]
	v_add_f64 v[16:17], v[16:17], v[102:103]
	v_add_f64 v[9:10], v[9:10], v[91:92]
	s_clause 0x3
	buffer_load_dword v91, off, s[0:3], 0 offset:416
	buffer_load_dword v92, off, s[0:3], 0 offset:420
	;; [unrolled: 1-line block ×4, first 2 shown]
	ds_read_b128 v[1:4], v11 offset:1616
	s_waitcnt vmcnt(51) lgkmcnt(1)
	v_mul_f64 v[106:107], v[7:8], v[117:118]
	v_mul_f64 v[104:105], v[5:6], v[117:118]
	s_waitcnt vmcnt(49)
	v_fma_f64 v[98:99], v[12:13], v[18:19], -v[98:99]
	v_fma_f64 v[18:19], v[14:15], v[18:19], v[63:64]
	ds_read_b128 v[12:15], v11 offset:1632
	v_add_f64 v[16:17], v[16:17], v[100:101]
	v_add_f64 v[9:10], v[9:10], v[95:96]
	s_waitcnt vmcnt(45) lgkmcnt(1)
	v_mul_f64 v[63:64], v[1:2], v[22:23]
	v_mul_f64 v[22:23], v[3:4], v[22:23]
	s_waitcnt vmcnt(44)
	v_fma_f64 v[95:96], v[5:6], v[119:120], -v[106:107]
	v_add_f64 v[16:17], v[16:17], v[98:99]
	v_fma_f64 v[98:99], v[7:8], v[119:120], v[104:105]
	v_add_f64 v[9:10], v[9:10], v[18:19]
	ds_read_b128 v[5:8], v11 offset:1648
	s_waitcnt vmcnt(43) lgkmcnt(1)
	v_mul_f64 v[18:19], v[12:13], v[32:33]
	v_mul_f64 v[32:33], v[14:15], v[32:33]
	s_waitcnt vmcnt(41)
	v_fma_f64 v[22:23], v[1:2], v[20:21], -v[22:23]
	v_fma_f64 v[20:21], v[3:4], v[20:21], v[63:64]
	ds_read_b128 v[1:4], v11 offset:1664
	v_add_f64 v[16:17], v[16:17], v[95:96]
	v_add_f64 v[9:10], v[9:10], v[98:99]
	s_waitcnt vmcnt(37) lgkmcnt(1)
	v_mul_f64 v[63:64], v[5:6], v[24:25]
	v_mul_f64 v[24:25], v[7:8], v[24:25]
	s_waitcnt vmcnt(36)
	v_fma_f64 v[32:33], v[12:13], v[115:116], -v[32:33]
	v_fma_f64 v[18:19], v[14:15], v[115:116], v[18:19]
	ds_read_b128 v[12:15], v11 offset:1680
	v_add_f64 v[16:17], v[16:17], v[22:23]
	v_add_f64 v[9:10], v[9:10], v[20:21]
	;; [unrolled: 9-line block ×5, first 2 shown]
	s_waitcnt vmcnt(21) lgkmcnt(1)
	v_mul_f64 v[22:23], v[3:4], v[34:35]
	s_waitcnt vmcnt(20)
	v_fma_f64 v[26:27], v[5:6], v[48:49], -v[26:27]
	v_mul_f64 v[20:21], v[1:2], v[34:35]
	v_fma_f64 v[24:25], v[7:8], v[48:49], v[24:25]
	ds_read_b128 v[5:8], v11 offset:1744
	v_add_f64 v[16:17], v[16:17], v[28:29]
	v_add_f64 v[9:10], v[9:10], v[18:19]
	s_waitcnt vmcnt(19) lgkmcnt(1)
	v_mul_f64 v[28:29], v[14:15], v[52:53]
	v_mul_f64 v[18:19], v[12:13], v[52:53]
	s_waitcnt vmcnt(17)
	v_fma_f64 v[22:23], v[1:2], v[38:39], -v[22:23]
	v_fma_f64 v[20:21], v[3:4], v[38:39], v[20:21]
	ds_read_b128 v[1:4], v11 offset:1760
	v_add_f64 v[16:17], v[16:17], v[26:27]
	v_add_f64 v[9:10], v[9:10], v[24:25]
	s_waitcnt vmcnt(13) lgkmcnt(1)
	v_mul_f64 v[26:27], v[7:8], v[42:43]
	s_waitcnt vmcnt(12)
	v_fma_f64 v[28:29], v[12:13], v[61:62], -v[28:29]
	v_mul_f64 v[24:25], v[5:6], v[42:43]
	v_fma_f64 v[13:14], v[14:15], v[61:62], v[18:19]
	v_add_f64 v[16:17], v[16:17], v[22:23]
	v_add_f64 v[18:19], v[9:10], v[20:21]
	ds_read_b128 v[9:12], v11 offset:1776
	s_waitcnt vmcnt(11) lgkmcnt(1)
	v_mul_f64 v[22:23], v[3:4], v[89:90]
	v_mul_f64 v[20:21], v[1:2], v[89:90]
	s_waitcnt vmcnt(9)
	v_fma_f64 v[5:6], v[5:6], v[46:47], -v[26:27]
	v_fma_f64 v[7:8], v[7:8], v[46:47], v[24:25]
	v_add_f64 v[15:16], v[16:17], v[28:29]
	v_add_f64 v[13:14], v[18:19], v[13:14]
	s_waitcnt vmcnt(7) lgkmcnt(0)
	v_mul_f64 v[24:25], v[11:12], v[50:51]
	s_waitcnt vmcnt(6)
	v_fma_f64 v[1:2], v[1:2], v[93:94], -v[22:23]
	v_mul_f64 v[17:18], v[9:10], v[50:51]
	v_fma_f64 v[3:4], v[3:4], v[93:94], v[20:21]
	v_add_f64 v[5:6], v[15:16], v[5:6]
	v_add_f64 v[7:8], v[13:14], v[7:8]
	s_waitcnt vmcnt(4)
	v_fma_f64 v[9:10], v[9:10], v[54:55], -v[24:25]
	v_add_f64 v[1:2], v[5:6], v[1:2]
	v_fma_f64 v[5:6], v[11:12], v[54:55], v[17:18]
	v_add_f64 v[3:4], v[7:8], v[3:4]
	v_add_f64 v[1:2], v[1:2], v[9:10]
	;; [unrolled: 1-line block ×3, first 2 shown]
	s_waitcnt vmcnt(2)
	v_add_f64 v[1:2], v[91:92], -v[1:2]
	s_waitcnt vmcnt(0)
	v_add_f64 v[3:4], v[102:103], -v[3:4]
	buffer_store_dword v2, off, s[0:3], 0 offset:420
	buffer_store_dword v1, off, s[0:3], 0 offset:416
	;; [unrolled: 1-line block ×4, first 2 shown]
	v_cmpx_lt_u32_e32 24, v0
	s_cbranch_execz .LBB55_301
; %bb.300:
	v_mov_b32_e32 v4, s44
	v_mov_b32_e32 v5, 0
	s_clause 0x3
	buffer_load_dword v1, v4, s[0:3], 0 offen
	buffer_load_dword v2, v4, s[0:3], 0 offen offset:4
	buffer_load_dword v3, v4, s[0:3], 0 offen offset:8
	;; [unrolled: 1-line block ×3, first 2 shown]
	buffer_store_dword v5, off, s[0:3], 0 offset:400
	buffer_store_dword v5, off, s[0:3], 0 offset:404
	;; [unrolled: 1-line block ×4, first 2 shown]
	s_waitcnt vmcnt(0)
	ds_write_b128 v97, v[1:4]
.LBB55_301:
	s_or_b32 exec_lo, exec_lo, s4
	s_waitcnt lgkmcnt(0)
	s_waitcnt_vscnt null, 0x0
	s_barrier
	buffer_gl0_inv
	s_clause 0x37
	buffer_load_dword v9, off, s[0:3], 0 offset:424
	buffer_load_dword v10, off, s[0:3], 0 offset:428
	;; [unrolled: 1-line block ×56, first 2 shown]
	v_mov_b32_e32 v29, 0
	s_mov_b32 s4, exec_lo
	ds_read_b128 v[17:20], v29 offset:1296
	s_clause 0x2
	buffer_load_dword v99, off, s[0:3], 0 offset:652
	buffer_load_dword v103, off, s[0:3], 0 offset:628
	;; [unrolled: 1-line block ×3, first 2 shown]
	ds_read_b128 v[21:24], v29 offset:1312
	s_clause 0x4
	buffer_load_dword v107, off, s[0:3], 0 offset:668
	buffer_load_dword v108, off, s[0:3], 0 offset:680
	;; [unrolled: 1-line block ×5, first 2 shown]
	ds_read_b128 v[25:28], v29 offset:1328
	s_clause 0x2
	buffer_load_dword v109, off, s[0:3], 0 offset:684
	buffer_load_dword v114, off, s[0:3], 0 offset:660
	;; [unrolled: 1-line block ×3, first 2 shown]
	s_waitcnt vmcnt(62) lgkmcnt(2)
	v_mul_f64 v[104:105], v[19:20], v[9:10]
	v_mul_f64 v[9:10], v[17:18], v[9:10]
	s_waitcnt lgkmcnt(1)
	v_mul_f64 v[111:112], v[23:24], v[5:6]
	s_waitcnt vmcnt(59) lgkmcnt(0)
	v_mul_f64 v[115:116], v[27:28], v[3:4]
	v_fma_f64 v[17:18], v[17:18], v[7:8], -v[104:105]
	v_mul_f64 v[104:105], v[21:22], v[5:6]
	v_fma_f64 v[9:10], v[19:20], v[7:8], v[9:10]
	s_waitcnt vmcnt(57)
	v_fma_f64 v[21:22], v[21:22], v[1:2], -v[111:112]
	ds_read_b128 v[5:8], v29 offset:1344
	v_mul_f64 v[19:20], v[25:26], v[3:4]
	s_waitcnt vmcnt(51)
	v_fma_f64 v[25:26], v[25:26], v[32:33], -v[115:116]
	v_add_f64 v[17:18], v[17:18], 0
	v_fma_f64 v[23:24], v[23:24], v[1:2], v[104:105]
	v_add_f64 v[9:10], v[9:10], 0
	s_clause 0x4
	buffer_load_dword v105, off, s[0:3], 0 offset:700
	buffer_load_dword v117, off, s[0:3], 0 offset:712
	;; [unrolled: 1-line block ×5, first 2 shown]
	s_waitcnt lgkmcnt(0)
	v_mul_f64 v[120:121], v[5:6], v[13:14]
	v_mul_f64 v[13:14], v[7:8], v[13:14]
	ds_read_b128 v[1:4], v29 offset:1360
	v_fma_f64 v[27:28], v[27:28], v[32:33], v[19:20]
	v_add_f64 v[21:22], v[17:18], v[21:22]
	v_add_f64 v[9:10], v[9:10], v[23:24]
	s_clause 0x2
	buffer_load_dword v118, off, s[0:3], 0 offset:716
	buffer_load_dword v24, off, s[0:3], 0 offset:692
	;; [unrolled: 1-line block ×3, first 2 shown]
	s_waitcnt vmcnt(58) lgkmcnt(0)
	v_mul_f64 v[32:33], v[1:2], v[30:31]
	v_mul_f64 v[30:31], v[3:4], v[30:31]
	s_waitcnt vmcnt(56)
	v_fma_f64 v[13:14], v[5:6], v[34:35], -v[13:14]
	ds_read_b128 v[17:20], v29 offset:1376
	v_add_f64 v[21:22], v[21:22], v[25:26]
	v_fma_f64 v[25:26], v[7:8], v[34:35], v[120:121]
	v_add_f64 v[9:10], v[9:10], v[27:28]
	s_clause 0x4
	buffer_load_dword v28, off, s[0:3], 0 offset:732
	buffer_load_dword v34, off, s[0:3], 0 offset:744
	;; [unrolled: 1-line block ×5, first 2 shown]
	ds_read_b128 v[5:8], v29 offset:1392
	s_waitcnt vmcnt(57) lgkmcnt(1)
	v_mul_f64 v[121:122], v[17:18], v[36:37]
	v_mul_f64 v[36:37], v[19:20], v[36:37]
	s_waitcnt vmcnt(56)
	v_fma_f64 v[30:31], v[1:2], v[11:12], -v[30:31]
	v_fma_f64 v[11:12], v[3:4], v[11:12], v[32:33]
	v_add_f64 v[13:14], v[21:22], v[13:14]
	s_clause 0x2
	buffer_load_dword v35, off, s[0:3], 0 offset:748
	buffer_load_dword v22, off, s[0:3], 0 offset:724
	;; [unrolled: 1-line block ×3, first 2 shown]
	v_add_f64 v[9:10], v[9:10], v[25:26]
	s_waitcnt vmcnt(58) lgkmcnt(0)
	v_mul_f64 v[32:33], v[7:8], v[38:39]
	ds_read_b128 v[1:4], v29 offset:1408
	v_mul_f64 v[25:26], v[5:6], v[38:39]
	s_waitcnt vmcnt(56)
	v_fma_f64 v[17:18], v[17:18], v[40:41], -v[36:37]
	v_fma_f64 v[19:20], v[19:20], v[40:41], v[121:122]
	s_clause 0x4
	buffer_load_dword v37, off, s[0:3], 0 offset:764
	buffer_load_dword v38, off, s[0:3], 0 offset:776
	;; [unrolled: 1-line block ×5, first 2 shown]
	v_add_f64 v[13:14], v[13:14], v[30:31]
	v_add_f64 v[30:31], v[9:10], v[11:12]
	s_waitcnt vmcnt(57) lgkmcnt(0)
	v_mul_f64 v[121:122], v[1:2], v[42:43]
	v_mul_f64 v[41:42], v[3:4], v[42:43]
	s_waitcnt vmcnt(56)
	v_fma_f64 v[32:33], v[5:6], v[15:16], -v[32:33]
	ds_read_b128 v[9:12], v29 offset:1424
	v_fma_f64 v[15:16], v[7:8], v[15:16], v[25:26]
	v_add_f64 v[13:14], v[13:14], v[17:18]
	v_add_f64 v[17:18], v[30:31], v[19:20]
	s_clause 0x2
	buffer_load_dword v39, off, s[0:3], 0 offset:780
	buffer_load_dword v20, off, s[0:3], 0 offset:756
	;; [unrolled: 1-line block ×3, first 2 shown]
	s_waitcnt vmcnt(58) lgkmcnt(0)
	v_mul_f64 v[30:31], v[11:12], v[44:45]
	s_waitcnt vmcnt(56)
	v_fma_f64 v[42:43], v[1:2], v[48:49], -v[41:42]
	ds_read_b128 v[5:8], v29 offset:1440
	v_mul_f64 v[25:26], v[9:10], v[44:45]
	v_add_f64 v[13:14], v[13:14], v[32:33]
	v_fma_f64 v[32:33], v[3:4], v[48:49], v[121:122]
	v_add_f64 v[15:16], v[17:18], v[15:16]
	s_clause 0x4
	buffer_load_dword v18, off, s[0:3], 0 offset:796
	buffer_load_dword v44, off, s[0:3], 0 offset:808
	buffer_load_dword v48, off, s[0:3], 0 offset:800
	buffer_load_dword v17, off, s[0:3], 0 offset:792
	buffer_load_dword v41, off, s[0:3], 0 offset:772
	s_waitcnt vmcnt(57) lgkmcnt(0)
	v_mul_f64 v[121:122], v[5:6], v[50:51]
	v_mul_f64 v[49:50], v[7:8], v[50:51]
	s_waitcnt vmcnt(56)
	v_fma_f64 v[30:31], v[9:10], v[46:47], -v[30:31]
	ds_read_b128 v[1:4], v29 offset:1456
	v_fma_f64 v[25:26], v[11:12], v[46:47], v[25:26]
	v_add_f64 v[13:14], v[13:14], v[42:43]
	v_add_f64 v[15:16], v[15:16], v[32:33]
	s_clause 0x2
	buffer_load_dword v45, off, s[0:3], 0 offset:812
	buffer_load_dword v33, off, s[0:3], 0 offset:788
	buffer_load_dword v32, off, s[0:3], 0 offset:784
	ds_read_b128 v[9:12], v29 offset:1472
	s_waitcnt vmcnt(58) lgkmcnt(1)
	v_mul_f64 v[46:47], v[3:4], v[52:53]
	s_waitcnt vmcnt(56)
	v_fma_f64 v[50:51], v[5:6], v[61:62], -v[49:50]
	v_mul_f64 v[42:43], v[1:2], v[52:53]
	v_add_f64 v[13:14], v[13:14], v[30:31]
	v_fma_f64 v[30:31], v[7:8], v[61:62], v[121:122]
	v_add_f64 v[15:16], v[15:16], v[25:26]
	s_clause 0x4
	buffer_load_dword v26, off, s[0:3], 0 offset:828
	buffer_load_dword v52, off, s[0:3], 0 offset:840
	buffer_load_dword v61, off, s[0:3], 0 offset:832
	buffer_load_dword v25, off, s[0:3], 0 offset:824
	buffer_load_dword v49, off, s[0:3], 0 offset:804
	s_waitcnt vmcnt(57) lgkmcnt(0)
	v_mul_f64 v[121:122], v[9:10], v[63:64]
	v_mul_f64 v[62:63], v[11:12], v[63:64]
	s_waitcnt vmcnt(56)
	v_fma_f64 v[46:47], v[1:2], v[54:55], -v[46:47]
	ds_read_b128 v[5:8], v29 offset:1488
	v_fma_f64 v[42:43], v[3:4], v[54:55], v[42:43]
	v_add_f64 v[13:14], v[13:14], v[50:51]
	v_add_f64 v[15:16], v[15:16], v[30:31]
	s_clause 0x2
	buffer_load_dword v53, off, s[0:3], 0 offset:844
	buffer_load_dword v31, off, s[0:3], 0 offset:820
	buffer_load_dword v30, off, s[0:3], 0 offset:816
	ds_read_b128 v[1:4], v29 offset:1504
	s_waitcnt vmcnt(58) lgkmcnt(1)
	v_mul_f64 v[54:55], v[7:8], v[89:90]
	s_waitcnt vmcnt(56)
	v_fma_f64 v[63:64], v[9:10], v[93:94], -v[62:63]
	;; [unrolled: 28-line block ×4, first 2 shown]
	v_mul_f64 v[95:96], v[1:2], v[108:109]
	buffer_load_dword v103, off, s[0:3], 0 offset:900
	v_add_f64 v[13:14], v[13:14], v[91:92]
	v_fma_f64 v[91:92], v[7:8], v[113:114], v[121:122]
	v_add_f64 v[15:16], v[15:16], v[63:64]
	ds_read_b128 v[5:8], v29 offset:1584
	s_waitcnt vmcnt(53) lgkmcnt(1)
	v_mul_f64 v[63:64], v[9:10], v[104:105]
	v_mul_f64 v[104:105], v[11:12], v[104:105]
	s_waitcnt vmcnt(52)
	v_fma_f64 v[100:101], v[1:2], v[110:111], -v[100:101]
	v_fma_f64 v[95:96], v[3:4], v[110:111], v[95:96]
	ds_read_b128 v[1:4], v29 offset:1600
	v_add_f64 v[13:14], v[13:14], v[106:107]
	v_add_f64 v[15:16], v[15:16], v[91:92]
	s_waitcnt vmcnt(51) lgkmcnt(1)
	v_mul_f64 v[106:107], v[7:8], v[117:118]
	v_mul_f64 v[91:92], v[5:6], v[117:118]
	s_waitcnt vmcnt(49)
	v_fma_f64 v[104:105], v[9:10], v[23:24], -v[104:105]
	v_fma_f64 v[23:24], v[11:12], v[23:24], v[63:64]
	v_add_f64 v[13:14], v[13:14], v[100:101]
	v_add_f64 v[15:16], v[15:16], v[95:96]
	s_clause 0x3
	buffer_load_dword v63, off, s[0:3], 0 offset:400
	buffer_load_dword v64, off, s[0:3], 0 offset:404
	;; [unrolled: 1-line block ×4, first 2 shown]
	ds_read_b128 v[9:12], v29 offset:1616
	s_waitcnt vmcnt(49) lgkmcnt(1)
	v_mul_f64 v[100:101], v[1:2], v[27:28]
	v_mul_f64 v[27:28], v[3:4], v[27:28]
	s_waitcnt vmcnt(48)
	v_fma_f64 v[106:107], v[5:6], v[119:120], -v[106:107]
	v_fma_f64 v[91:92], v[7:8], v[119:120], v[91:92]
	ds_read_b128 v[5:8], v29 offset:1632
	v_add_f64 v[13:14], v[13:14], v[104:105]
	v_add_f64 v[15:16], v[15:16], v[23:24]
	s_waitcnt vmcnt(47) lgkmcnt(1)
	v_mul_f64 v[23:24], v[9:10], v[34:35]
	v_mul_f64 v[34:35], v[11:12], v[34:35]
	s_waitcnt vmcnt(45)
	v_fma_f64 v[27:28], v[1:2], v[21:22], -v[27:28]
	v_fma_f64 v[21:22], v[3:4], v[21:22], v[100:101]
	ds_read_b128 v[1:4], v29 offset:1648
	v_add_f64 v[13:14], v[13:14], v[106:107]
	v_add_f64 v[15:16], v[15:16], v[91:92]
	s_waitcnt vmcnt(41) lgkmcnt(1)
	v_mul_f64 v[91:92], v[5:6], v[36:37]
	v_mul_f64 v[36:37], v[7:8], v[36:37]
	s_waitcnt vmcnt(40)
	v_fma_f64 v[23:24], v[11:12], v[115:116], v[23:24]
	v_fma_f64 v[34:35], v[9:10], v[115:116], -v[34:35]
	ds_read_b128 v[9:12], v29 offset:1664
	v_add_f64 v[13:14], v[13:14], v[27:28]
	v_add_f64 v[15:16], v[15:16], v[21:22]
	s_waitcnt vmcnt(39) lgkmcnt(1)
	v_mul_f64 v[27:28], v[3:4], v[38:39]
	v_mul_f64 v[21:22], v[1:2], v[38:39]
	s_waitcnt vmcnt(37)
	v_fma_f64 v[36:37], v[5:6], v[19:20], -v[36:37]
	v_fma_f64 v[19:20], v[7:8], v[19:20], v[91:92]
	ds_read_b128 v[5:8], v29 offset:1680
	v_add_f64 v[13:14], v[13:14], v[34:35]
	v_add_f64 v[15:16], v[15:16], v[23:24]
	s_waitcnt vmcnt(33) lgkmcnt(1)
	v_mul_f64 v[23:24], v[9:10], v[17:18]
	v_mul_f64 v[17:18], v[11:12], v[17:18]
	s_waitcnt vmcnt(32)
	v_fma_f64 v[27:28], v[1:2], v[40:41], -v[27:28]
	v_fma_f64 v[21:22], v[3:4], v[40:41], v[21:22]
	;; [unrolled: 9-line block ×3, first 2 shown]
	ds_read_b128 v[9:12], v29 offset:1712
	v_add_f64 v[13:14], v[13:14], v[27:28]
	v_add_f64 v[15:16], v[15:16], v[21:22]
	s_waitcnt vmcnt(25) lgkmcnt(1)
	v_mul_f64 v[21:22], v[1:2], v[25:26]
	v_mul_f64 v[25:26], v[3:4], v[25:26]
	s_waitcnt vmcnt(24)
	v_fma_f64 v[27:28], v[5:6], v[48:49], -v[34:35]
	v_add_f64 v[13:14], v[13:14], v[17:18]
	v_fma_f64 v[17:18], v[7:8], v[48:49], v[19:20]
	v_add_f64 v[15:16], v[15:16], v[23:24]
	ds_read_b128 v[5:8], v29 offset:1728
	s_waitcnt vmcnt(23) lgkmcnt(1)
	v_mul_f64 v[23:24], v[11:12], v[52:53]
	v_mul_f64 v[19:20], v[9:10], v[52:53]
	s_waitcnt vmcnt(21)
	v_fma_f64 v[25:26], v[1:2], v[30:31], -v[25:26]
	v_fma_f64 v[21:22], v[3:4], v[30:31], v[21:22]
	ds_read_b128 v[1:4], v29 offset:1744
	v_add_f64 v[13:14], v[13:14], v[27:28]
	v_add_f64 v[15:16], v[15:16], v[17:18]
	s_waitcnt vmcnt(17) lgkmcnt(1)
	v_mul_f64 v[27:28], v[7:8], v[42:43]
	s_waitcnt vmcnt(16)
	v_fma_f64 v[23:24], v[9:10], v[61:62], -v[23:24]
	v_mul_f64 v[17:18], v[5:6], v[42:43]
	v_fma_f64 v[19:20], v[11:12], v[61:62], v[19:20]
	ds_read_b128 v[9:12], v29 offset:1760
	v_add_f64 v[13:14], v[13:14], v[25:26]
	v_add_f64 v[15:16], v[15:16], v[21:22]
	s_waitcnt vmcnt(15) lgkmcnt(1)
	v_mul_f64 v[25:26], v[3:4], v[89:90]
	v_mul_f64 v[21:22], v[1:2], v[89:90]
	s_waitcnt vmcnt(13)
	v_fma_f64 v[27:28], v[5:6], v[46:47], -v[27:28]
	v_fma_f64 v[17:18], v[7:8], v[46:47], v[17:18]
	ds_read_b128 v[5:8], v29 offset:1776
	v_add_f64 v[13:14], v[13:14], v[23:24]
	v_add_f64 v[15:16], v[15:16], v[19:20]
	s_waitcnt vmcnt(9) lgkmcnt(1)
	v_mul_f64 v[23:24], v[11:12], v[50:51]
	s_waitcnt vmcnt(8)
	v_fma_f64 v[1:2], v[1:2], v[93:94], -v[25:26]
	v_mul_f64 v[19:20], v[9:10], v[50:51]
	v_fma_f64 v[3:4], v[3:4], v[93:94], v[21:22]
	v_add_f64 v[13:14], v[13:14], v[27:28]
	v_add_f64 v[15:16], v[15:16], v[17:18]
	s_waitcnt vmcnt(7) lgkmcnt(0)
	v_mul_f64 v[21:22], v[7:8], v[98:99]
	v_mul_f64 v[17:18], v[5:6], v[98:99]
	s_waitcnt vmcnt(5)
	v_fma_f64 v[9:10], v[9:10], v[54:55], -v[23:24]
	v_fma_f64 v[11:12], v[11:12], v[54:55], v[19:20]
	v_add_f64 v[1:2], v[13:14], v[1:2]
	v_add_f64 v[3:4], v[15:16], v[3:4]
	s_waitcnt vmcnt(4)
	v_fma_f64 v[5:6], v[5:6], v[102:103], -v[21:22]
	v_fma_f64 v[7:8], v[7:8], v[102:103], v[17:18]
	v_add_f64 v[1:2], v[1:2], v[9:10]
	v_add_f64 v[3:4], v[3:4], v[11:12]
	;; [unrolled: 1-line block ×4, first 2 shown]
	s_waitcnt vmcnt(2)
	v_add_f64 v[1:2], v[63:64], -v[1:2]
	s_waitcnt vmcnt(0)
	v_add_f64 v[3:4], v[95:96], -v[3:4]
	buffer_store_dword v2, off, s[0:3], 0 offset:404
	buffer_store_dword v1, off, s[0:3], 0 offset:400
	;; [unrolled: 1-line block ×4, first 2 shown]
	v_cmpx_lt_u32_e32 23, v0
	s_cbranch_execz .LBB55_303
; %bb.302:
	v_mov_b32_e32 v4, s45
	s_clause 0x3
	buffer_load_dword v1, v4, s[0:3], 0 offen
	buffer_load_dword v2, v4, s[0:3], 0 offen offset:4
	buffer_load_dword v3, v4, s[0:3], 0 offen offset:8
	;; [unrolled: 1-line block ×3, first 2 shown]
	buffer_store_dword v29, off, s[0:3], 0 offset:384
	buffer_store_dword v29, off, s[0:3], 0 offset:388
	;; [unrolled: 1-line block ×4, first 2 shown]
	s_waitcnt vmcnt(0)
	ds_write_b128 v97, v[1:4]
.LBB55_303:
	s_or_b32 exec_lo, exec_lo, s4
	s_waitcnt lgkmcnt(0)
	s_waitcnt_vscnt null, 0x0
	s_barrier
	buffer_gl0_inv
	s_clause 0x37
	buffer_load_dword v9, off, s[0:3], 0 offset:408
	buffer_load_dword v10, off, s[0:3], 0 offset:412
	;; [unrolled: 1-line block ×56, first 2 shown]
	ds_read_b128 v[30:33], v29 offset:1280
	s_clause 0x2
	buffer_load_dword v99, off, s[0:3], 0 offset:636
	buffer_load_dword v103, off, s[0:3], 0 offset:612
	;; [unrolled: 1-line block ×3, first 2 shown]
	ds_read_b128 v[34:37], v29 offset:1296
	s_clause 0x4
	buffer_load_dword v107, off, s[0:3], 0 offset:652
	buffer_load_dword v108, off, s[0:3], 0 offset:664
	;; [unrolled: 1-line block ×5, first 2 shown]
	ds_read_b128 v[38:41], v29 offset:1312
	s_clause 0x2
	buffer_load_dword v109, off, s[0:3], 0 offset:668
	buffer_load_dword v114, off, s[0:3], 0 offset:644
	;; [unrolled: 1-line block ×3, first 2 shown]
	s_mov_b32 s4, exec_lo
	s_waitcnt vmcnt(62) lgkmcnt(2)
	v_mul_f64 v[104:105], v[32:33], v[9:10]
	v_mul_f64 v[9:10], v[30:31], v[9:10]
	s_waitcnt lgkmcnt(1)
	v_mul_f64 v[111:112], v[36:37], v[5:6]
	s_waitcnt vmcnt(59) lgkmcnt(0)
	v_mul_f64 v[115:116], v[40:41], v[3:4]
	v_fma_f64 v[30:31], v[30:31], v[7:8], -v[104:105]
	v_mul_f64 v[104:105], v[34:35], v[5:6]
	v_fma_f64 v[9:10], v[32:33], v[7:8], v[9:10]
	s_waitcnt vmcnt(57)
	v_fma_f64 v[34:35], v[34:35], v[1:2], -v[111:112]
	ds_read_b128 v[5:8], v29 offset:1328
	v_mul_f64 v[32:33], v[38:39], v[3:4]
	s_waitcnt vmcnt(51)
	v_fma_f64 v[38:39], v[38:39], v[25:26], -v[115:116]
	v_add_f64 v[30:31], v[30:31], 0
	v_fma_f64 v[36:37], v[36:37], v[1:2], v[104:105]
	v_add_f64 v[9:10], v[9:10], 0
	s_clause 0x4
	buffer_load_dword v105, off, s[0:3], 0 offset:684
	buffer_load_dword v117, off, s[0:3], 0 offset:696
	;; [unrolled: 1-line block ×5, first 2 shown]
	s_waitcnt lgkmcnt(0)
	v_mul_f64 v[120:121], v[5:6], v[13:14]
	v_mul_f64 v[13:14], v[7:8], v[13:14]
	ds_read_b128 v[1:4], v29 offset:1344
	v_fma_f64 v[25:26], v[40:41], v[25:26], v[32:33]
	v_add_f64 v[34:35], v[30:31], v[34:35]
	v_add_f64 v[9:10], v[9:10], v[36:37]
	s_clause 0x2
	buffer_load_dword v118, off, s[0:3], 0 offset:700
	buffer_load_dword v37, off, s[0:3], 0 offset:676
	;; [unrolled: 1-line block ×3, first 2 shown]
	s_waitcnt vmcnt(58) lgkmcnt(0)
	v_mul_f64 v[40:41], v[1:2], v[17:18]
	v_mul_f64 v[17:18], v[3:4], v[17:18]
	s_waitcnt vmcnt(56)
	v_fma_f64 v[13:14], v[5:6], v[19:20], -v[13:14]
	ds_read_b128 v[30:33], v29 offset:1360
	v_fma_f64 v[19:20], v[7:8], v[19:20], v[120:121]
	v_add_f64 v[34:35], v[34:35], v[38:39]
	v_add_f64 v[9:10], v[9:10], v[25:26]
	s_clause 0x4
	buffer_load_dword v26, off, s[0:3], 0 offset:716
	buffer_load_dword v38, off, s[0:3], 0 offset:728
	;; [unrolled: 1-line block ×5, first 2 shown]
	ds_read_b128 v[5:8], v29 offset:1376
	s_waitcnt vmcnt(57) lgkmcnt(1)
	v_mul_f64 v[121:122], v[30:31], v[21:22]
	v_mul_f64 v[21:22], v[32:33], v[21:22]
	s_waitcnt vmcnt(56)
	v_fma_f64 v[17:18], v[1:2], v[11:12], -v[17:18]
	v_fma_f64 v[11:12], v[3:4], v[11:12], v[40:41]
	v_add_f64 v[13:14], v[34:35], v[13:14]
	v_add_f64 v[9:10], v[9:10], v[19:20]
	s_clause 0x2
	buffer_load_dword v39, off, s[0:3], 0 offset:732
	buffer_load_dword v20, off, s[0:3], 0 offset:708
	;; [unrolled: 1-line block ×3, first 2 shown]
	s_waitcnt vmcnt(58) lgkmcnt(0)
	v_mul_f64 v[34:35], v[5:6], v[27:28]
	v_mul_f64 v[27:28], v[7:8], v[27:28]
	s_waitcnt vmcnt(56)
	v_fma_f64 v[21:22], v[30:31], v[42:43], -v[21:22]
	ds_read_b128 v[1:4], v29 offset:1392
	v_add_f64 v[13:14], v[13:14], v[17:18]
	v_fma_f64 v[17:18], v[32:33], v[42:43], v[121:122]
	v_add_f64 v[30:31], v[9:10], v[11:12]
	s_clause 0x4
	buffer_load_dword v33, off, s[0:3], 0 offset:748
	buffer_load_dword v40, off, s[0:3], 0 offset:760
	;; [unrolled: 1-line block ×5, first 2 shown]
	ds_read_b128 v[9:12], v29 offset:1408
	s_waitcnt vmcnt(57) lgkmcnt(1)
	v_mul_f64 v[121:122], v[1:2], v[44:45]
	v_mul_f64 v[43:44], v[3:4], v[44:45]
	s_waitcnt vmcnt(56)
	v_fma_f64 v[27:28], v[5:6], v[15:16], -v[27:28]
	v_fma_f64 v[15:16], v[7:8], v[15:16], v[34:35]
	v_add_f64 v[13:14], v[13:14], v[21:22]
	s_clause 0x2
	buffer_load_dword v41, off, s[0:3], 0 offset:764
	buffer_load_dword v22, off, s[0:3], 0 offset:740
	;; [unrolled: 1-line block ×3, first 2 shown]
	v_add_f64 v[17:18], v[30:31], v[17:18]
	s_waitcnt vmcnt(58) lgkmcnt(0)
	v_mul_f64 v[34:35], v[11:12], v[46:47]
	ds_read_b128 v[5:8], v29 offset:1424
	v_mul_f64 v[30:31], v[9:10], v[46:47]
	s_waitcnt vmcnt(56)
	v_fma_f64 v[44:45], v[1:2], v[48:49], -v[43:44]
	v_add_f64 v[13:14], v[13:14], v[27:28]
	v_fma_f64 v[27:28], v[3:4], v[48:49], v[121:122]
	v_add_f64 v[15:16], v[17:18], v[15:16]
	s_clause 0x4
	buffer_load_dword v18, off, s[0:3], 0 offset:780
	buffer_load_dword v46, off, s[0:3], 0 offset:792
	buffer_load_dword v48, off, s[0:3], 0 offset:784
	buffer_load_dword v17, off, s[0:3], 0 offset:776
	buffer_load_dword v43, off, s[0:3], 0 offset:756
	s_waitcnt vmcnt(57) lgkmcnt(0)
	v_mul_f64 v[121:122], v[5:6], v[50:51]
	v_mul_f64 v[49:50], v[7:8], v[50:51]
	s_waitcnt vmcnt(56)
	v_fma_f64 v[34:35], v[9:10], v[23:24], -v[34:35]
	ds_read_b128 v[1:4], v29 offset:1440
	v_fma_f64 v[23:24], v[11:12], v[23:24], v[30:31]
	v_add_f64 v[13:14], v[13:14], v[44:45]
	v_add_f64 v[15:16], v[15:16], v[27:28]
	s_clause 0x2
	buffer_load_dword v47, off, s[0:3], 0 offset:796
	buffer_load_dword v28, off, s[0:3], 0 offset:772
	buffer_load_dword v27, off, s[0:3], 0 offset:768
	ds_read_b128 v[9:12], v29 offset:1456
	s_waitcnt vmcnt(58) lgkmcnt(1)
	v_mul_f64 v[44:45], v[3:4], v[52:53]
	s_waitcnt vmcnt(56)
	v_fma_f64 v[50:51], v[5:6], v[61:62], -v[49:50]
	v_mul_f64 v[30:31], v[1:2], v[52:53]
	v_add_f64 v[13:14], v[13:14], v[34:35]
	v_fma_f64 v[34:35], v[7:8], v[61:62], v[121:122]
	v_add_f64 v[15:16], v[15:16], v[23:24]
	s_clause 0x4
	buffer_load_dword v24, off, s[0:3], 0 offset:812
	buffer_load_dword v52, off, s[0:3], 0 offset:824
	buffer_load_dword v61, off, s[0:3], 0 offset:816
	buffer_load_dword v23, off, s[0:3], 0 offset:808
	buffer_load_dword v49, off, s[0:3], 0 offset:788
	s_waitcnt vmcnt(57) lgkmcnt(0)
	v_mul_f64 v[121:122], v[9:10], v[63:64]
	v_mul_f64 v[62:63], v[11:12], v[63:64]
	s_waitcnt vmcnt(56)
	v_fma_f64 v[44:45], v[1:2], v[54:55], -v[44:45]
	ds_read_b128 v[5:8], v29 offset:1472
	v_fma_f64 v[30:31], v[3:4], v[54:55], v[30:31]
	v_add_f64 v[13:14], v[13:14], v[50:51]
	v_add_f64 v[15:16], v[15:16], v[34:35]
	s_clause 0x2
	buffer_load_dword v53, off, s[0:3], 0 offset:828
	buffer_load_dword v35, off, s[0:3], 0 offset:804
	buffer_load_dword v34, off, s[0:3], 0 offset:800
	ds_read_b128 v[1:4], v29 offset:1488
	s_waitcnt vmcnt(58) lgkmcnt(1)
	v_mul_f64 v[54:55], v[7:8], v[89:90]
	s_waitcnt vmcnt(56)
	v_fma_f64 v[63:64], v[9:10], v[93:94], -v[62:63]
	v_mul_f64 v[50:51], v[5:6], v[89:90]
	;; [unrolled: 28-line block ×4, first 2 shown]
	v_add_f64 v[13:14], v[13:14], v[91:92]
	v_fma_f64 v[91:92], v[7:8], v[113:114], v[121:122]
	v_add_f64 v[15:16], v[15:16], v[63:64]
	s_clause 0x2
	buffer_load_dword v64, off, s[0:3], 0 offset:908
	buffer_load_dword v63, off, s[0:3], 0 offset:904
	;; [unrolled: 1-line block ×3, first 2 shown]
	ds_read_b128 v[5:8], v29 offset:1568
	s_waitcnt vmcnt(55) lgkmcnt(1)
	v_mul_f64 v[108:109], v[9:10], v[104:105]
	v_mul_f64 v[104:105], v[11:12], v[104:105]
	s_waitcnt vmcnt(54)
	v_fma_f64 v[100:101], v[1:2], v[110:111], -v[100:101]
	v_fma_f64 v[95:96], v[3:4], v[110:111], v[95:96]
	v_add_f64 v[13:14], v[13:14], v[106:107]
	v_add_f64 v[15:16], v[15:16], v[91:92]
	s_clause 0x1
	buffer_load_dword v92, off, s[0:3], 0 offset:900
	buffer_load_dword v91, off, s[0:3], 0 offset:896
	ds_read_b128 v[1:4], v29 offset:1584
	s_waitcnt vmcnt(55) lgkmcnt(1)
	v_mul_f64 v[110:111], v[7:8], v[117:118]
	v_mul_f64 v[106:107], v[5:6], v[117:118]
	s_waitcnt vmcnt(53)
	v_fma_f64 v[104:105], v[9:10], v[36:37], -v[104:105]
	v_fma_f64 v[36:37], v[11:12], v[36:37], v[108:109]
	ds_read_b128 v[9:12], v29 offset:1600
	v_add_f64 v[13:14], v[13:14], v[100:101]
	v_add_f64 v[15:16], v[15:16], v[95:96]
	s_waitcnt vmcnt(49) lgkmcnt(1)
	v_mul_f64 v[95:96], v[1:2], v[25:26]
	v_mul_f64 v[25:26], v[3:4], v[25:26]
	s_waitcnt vmcnt(48)
	v_fma_f64 v[100:101], v[5:6], v[119:120], -v[110:111]
	v_add_f64 v[13:14], v[13:14], v[104:105]
	v_fma_f64 v[104:105], v[7:8], v[119:120], v[106:107]
	v_add_f64 v[15:16], v[15:16], v[36:37]
	s_clause 0x3
	buffer_load_dword v36, off, s[0:3], 0 offset:384
	buffer_load_dword v37, off, s[0:3], 0 offset:388
	;; [unrolled: 1-line block ×4, first 2 shown]
	ds_read_b128 v[5:8], v29 offset:1616
	s_waitcnt vmcnt(51) lgkmcnt(1)
	v_mul_f64 v[108:109], v[9:10], v[38:39]
	v_mul_f64 v[38:39], v[11:12], v[38:39]
	s_waitcnt vmcnt(49)
	v_fma_f64 v[25:26], v[1:2], v[19:20], -v[25:26]
	v_fma_f64 v[19:20], v[3:4], v[19:20], v[95:96]
	ds_read_b128 v[1:4], v29 offset:1632
	v_add_f64 v[13:14], v[13:14], v[100:101]
	v_add_f64 v[15:16], v[15:16], v[104:105]
	s_waitcnt vmcnt(45) lgkmcnt(1)
	v_mul_f64 v[95:96], v[5:6], v[32:33]
	v_mul_f64 v[32:33], v[7:8], v[32:33]
	s_waitcnt vmcnt(44)
	v_fma_f64 v[38:39], v[9:10], v[115:116], -v[38:39]
	v_add_f64 v[13:14], v[13:14], v[25:26]
	v_fma_f64 v[25:26], v[11:12], v[115:116], v[108:109]
	v_add_f64 v[15:16], v[15:16], v[19:20]
	ds_read_b128 v[9:12], v29 offset:1648
	s_waitcnt vmcnt(43) lgkmcnt(1)
	v_mul_f64 v[19:20], v[1:2], v[40:41]
	v_mul_f64 v[40:41], v[3:4], v[40:41]
	s_waitcnt vmcnt(41)
	v_fma_f64 v[32:33], v[5:6], v[21:22], -v[32:33]
	v_fma_f64 v[21:22], v[7:8], v[21:22], v[95:96]
	ds_read_b128 v[5:8], v29 offset:1664
	v_add_f64 v[13:14], v[13:14], v[38:39]
	v_add_f64 v[15:16], v[15:16], v[25:26]
	s_waitcnt vmcnt(37) lgkmcnt(1)
	v_mul_f64 v[25:26], v[9:10], v[17:18]
	v_mul_f64 v[17:18], v[11:12], v[17:18]
	s_waitcnt vmcnt(36)
	v_fma_f64 v[38:39], v[1:2], v[42:43], -v[40:41]
	v_fma_f64 v[19:20], v[3:4], v[42:43], v[19:20]
	ds_read_b128 v[1:4], v29 offset:1680
	v_add_f64 v[13:14], v[13:14], v[32:33]
	v_add_f64 v[15:16], v[15:16], v[21:22]
	;; [unrolled: 9-line block ×3, first 2 shown]
	s_waitcnt vmcnt(29) lgkmcnt(1)
	v_mul_f64 v[19:20], v[1:2], v[23:24]
	v_mul_f64 v[23:24], v[3:4], v[23:24]
	s_waitcnt vmcnt(28)
	v_fma_f64 v[27:28], v[5:6], v[48:49], -v[32:33]
	v_add_f64 v[13:14], v[13:14], v[17:18]
	v_fma_f64 v[17:18], v[7:8], v[48:49], v[21:22]
	v_add_f64 v[15:16], v[15:16], v[25:26]
	ds_read_b128 v[5:8], v29 offset:1712
	s_waitcnt vmcnt(27) lgkmcnt(1)
	v_mul_f64 v[25:26], v[11:12], v[52:53]
	v_mul_f64 v[21:22], v[9:10], v[52:53]
	s_waitcnt vmcnt(25)
	v_fma_f64 v[23:24], v[1:2], v[34:35], -v[23:24]
	v_fma_f64 v[19:20], v[3:4], v[34:35], v[19:20]
	ds_read_b128 v[1:4], v29 offset:1728
	v_add_f64 v[13:14], v[13:14], v[27:28]
	v_add_f64 v[15:16], v[15:16], v[17:18]
	s_waitcnt vmcnt(21) lgkmcnt(1)
	v_mul_f64 v[27:28], v[7:8], v[30:31]
	s_waitcnt vmcnt(20)
	v_fma_f64 v[25:26], v[9:10], v[61:62], -v[25:26]
	v_mul_f64 v[17:18], v[5:6], v[30:31]
	v_fma_f64 v[21:22], v[11:12], v[61:62], v[21:22]
	ds_read_b128 v[9:12], v29 offset:1744
	v_add_f64 v[13:14], v[13:14], v[23:24]
	v_add_f64 v[15:16], v[15:16], v[19:20]
	s_waitcnt vmcnt(19) lgkmcnt(1)
	v_mul_f64 v[23:24], v[3:4], v[89:90]
	v_mul_f64 v[19:20], v[1:2], v[89:90]
	s_waitcnt vmcnt(17)
	v_fma_f64 v[27:28], v[5:6], v[44:45], -v[27:28]
	v_fma_f64 v[17:18], v[7:8], v[44:45], v[17:18]
	ds_read_b128 v[5:8], v29 offset:1760
	v_add_f64 v[13:14], v[13:14], v[25:26]
	v_add_f64 v[15:16], v[15:16], v[21:22]
	s_waitcnt vmcnt(13) lgkmcnt(1)
	v_mul_f64 v[25:26], v[11:12], v[50:51]
	s_waitcnt vmcnt(12)
	v_fma_f64 v[23:24], v[1:2], v[93:94], -v[23:24]
	v_mul_f64 v[21:22], v[9:10], v[50:51]
	v_fma_f64 v[19:20], v[3:4], v[93:94], v[19:20]
	ds_read_b128 v[1:4], v29 offset:1776
	v_add_f64 v[13:14], v[13:14], v[27:28]
	v_add_f64 v[15:16], v[15:16], v[17:18]
	s_waitcnt vmcnt(11) lgkmcnt(1)
	v_mul_f64 v[27:28], v[7:8], v[98:99]
	v_mul_f64 v[17:18], v[5:6], v[98:99]
	s_waitcnt vmcnt(9)
	v_fma_f64 v[9:10], v[9:10], v[54:55], -v[25:26]
	v_fma_f64 v[11:12], v[11:12], v[54:55], v[21:22]
	v_add_f64 v[13:14], v[13:14], v[23:24]
	v_add_f64 v[15:16], v[15:16], v[19:20]
	s_waitcnt vmcnt(7) lgkmcnt(0)
	v_mul_f64 v[21:22], v[3:4], v[63:64]
	s_waitcnt vmcnt(6)
	v_fma_f64 v[5:6], v[5:6], v[102:103], -v[27:28]
	v_mul_f64 v[19:20], v[1:2], v[63:64]
	v_fma_f64 v[7:8], v[7:8], v[102:103], v[17:18]
	v_add_f64 v[9:10], v[13:14], v[9:10]
	v_add_f64 v[11:12], v[15:16], v[11:12]
	s_waitcnt vmcnt(4)
	v_fma_f64 v[1:2], v[1:2], v[91:92], -v[21:22]
	v_fma_f64 v[3:4], v[3:4], v[91:92], v[19:20]
	v_add_f64 v[5:6], v[9:10], v[5:6]
	v_add_f64 v[7:8], v[11:12], v[7:8]
	;; [unrolled: 1-line block ×4, first 2 shown]
	s_waitcnt vmcnt(2)
	v_add_f64 v[1:2], v[36:37], -v[1:2]
	s_waitcnt vmcnt(0)
	v_add_f64 v[3:4], v[106:107], -v[3:4]
	buffer_store_dword v2, off, s[0:3], 0 offset:388
	buffer_store_dword v1, off, s[0:3], 0 offset:384
	;; [unrolled: 1-line block ×4, first 2 shown]
	v_cmpx_lt_u32_e32 22, v0
	s_cbranch_execz .LBB55_305
; %bb.304:
	v_mov_b32_e32 v4, s46
	v_mov_b32_e32 v5, 0
	s_clause 0x3
	buffer_load_dword v1, v4, s[0:3], 0 offen
	buffer_load_dword v2, v4, s[0:3], 0 offen offset:4
	buffer_load_dword v3, v4, s[0:3], 0 offen offset:8
	;; [unrolled: 1-line block ×3, first 2 shown]
	buffer_store_dword v5, off, s[0:3], 0 offset:368
	buffer_store_dword v5, off, s[0:3], 0 offset:372
	;; [unrolled: 1-line block ×4, first 2 shown]
	s_waitcnt vmcnt(0)
	ds_write_b128 v97, v[1:4]
.LBB55_305:
	s_or_b32 exec_lo, exec_lo, s4
	s_waitcnt lgkmcnt(0)
	s_waitcnt_vscnt null, 0x0
	s_barrier
	buffer_gl0_inv
	s_clause 0x37
	buffer_load_dword v9, off, s[0:3], 0 offset:392
	buffer_load_dword v10, off, s[0:3], 0 offset:396
	;; [unrolled: 1-line block ×56, first 2 shown]
	v_mov_b32_e32 v51, 0
	s_mov_b32 s4, exec_lo
	ds_read_b128 v[39:42], v51 offset:1264
	s_clause 0x2
	buffer_load_dword v99, off, s[0:3], 0 offset:620
	buffer_load_dword v103, off, s[0:3], 0 offset:596
	buffer_load_dword v102, off, s[0:3], 0 offset:592
	ds_read_b128 v[43:46], v51 offset:1280
	s_clause 0x4
	buffer_load_dword v107, off, s[0:3], 0 offset:636
	buffer_load_dword v108, off, s[0:3], 0 offset:648
	;; [unrolled: 1-line block ×5, first 2 shown]
	ds_read_b128 v[47:50], v51 offset:1296
	s_clause 0x2
	buffer_load_dword v109, off, s[0:3], 0 offset:652
	buffer_load_dword v114, off, s[0:3], 0 offset:628
	;; [unrolled: 1-line block ×3, first 2 shown]
	s_waitcnt vmcnt(62) lgkmcnt(2)
	v_mul_f64 v[104:105], v[41:42], v[9:10]
	v_mul_f64 v[9:10], v[39:40], v[9:10]
	s_waitcnt lgkmcnt(1)
	v_mul_f64 v[111:112], v[45:46], v[5:6]
	s_waitcnt vmcnt(59) lgkmcnt(0)
	v_mul_f64 v[115:116], v[49:50], v[3:4]
	v_fma_f64 v[39:40], v[39:40], v[7:8], -v[104:105]
	v_mul_f64 v[104:105], v[43:44], v[5:6]
	v_fma_f64 v[9:10], v[41:42], v[7:8], v[9:10]
	s_waitcnt vmcnt(57)
	v_fma_f64 v[43:44], v[43:44], v[1:2], -v[111:112]
	ds_read_b128 v[5:8], v51 offset:1312
	v_mul_f64 v[41:42], v[47:48], v[3:4]
	s_waitcnt vmcnt(51)
	v_fma_f64 v[47:48], v[47:48], v[25:26], -v[115:116]
	v_add_f64 v[39:40], v[39:40], 0
	v_fma_f64 v[45:46], v[45:46], v[1:2], v[104:105]
	v_add_f64 v[9:10], v[9:10], 0
	s_clause 0x4
	buffer_load_dword v105, off, s[0:3], 0 offset:668
	buffer_load_dword v117, off, s[0:3], 0 offset:680
	;; [unrolled: 1-line block ×5, first 2 shown]
	s_waitcnt lgkmcnt(0)
	v_mul_f64 v[120:121], v[5:6], v[13:14]
	v_mul_f64 v[13:14], v[7:8], v[13:14]
	ds_read_b128 v[1:4], v51 offset:1328
	v_fma_f64 v[25:26], v[49:50], v[25:26], v[41:42]
	v_add_f64 v[43:44], v[39:40], v[43:44]
	v_add_f64 v[9:10], v[9:10], v[45:46]
	s_clause 0x2
	buffer_load_dword v118, off, s[0:3], 0 offset:684
	buffer_load_dword v46, off, s[0:3], 0 offset:660
	;; [unrolled: 1-line block ×3, first 2 shown]
	s_waitcnt vmcnt(58) lgkmcnt(0)
	v_mul_f64 v[49:50], v[1:2], v[17:18]
	v_mul_f64 v[17:18], v[3:4], v[17:18]
	s_waitcnt vmcnt(56)
	v_fma_f64 v[13:14], v[5:6], v[19:20], -v[13:14]
	ds_read_b128 v[39:42], v51 offset:1344
	v_fma_f64 v[19:20], v[7:8], v[19:20], v[120:121]
	v_add_f64 v[43:44], v[43:44], v[47:48]
	v_add_f64 v[9:10], v[9:10], v[25:26]
	s_clause 0x4
	buffer_load_dword v26, off, s[0:3], 0 offset:700
	buffer_load_dword v47, off, s[0:3], 0 offset:712
	;; [unrolled: 1-line block ×5, first 2 shown]
	ds_read_b128 v[5:8], v51 offset:1360
	s_waitcnt vmcnt(57) lgkmcnt(1)
	v_mul_f64 v[121:122], v[39:40], v[21:22]
	v_mul_f64 v[21:22], v[41:42], v[21:22]
	s_waitcnt vmcnt(56)
	v_fma_f64 v[17:18], v[1:2], v[11:12], -v[17:18]
	v_fma_f64 v[11:12], v[3:4], v[11:12], v[49:50]
	v_add_f64 v[13:14], v[43:44], v[13:14]
	v_add_f64 v[9:10], v[9:10], v[19:20]
	s_clause 0x2
	buffer_load_dword v48, off, s[0:3], 0 offset:716
	buffer_load_dword v20, off, s[0:3], 0 offset:692
	;; [unrolled: 1-line block ×3, first 2 shown]
	s_waitcnt vmcnt(58) lgkmcnt(0)
	v_mul_f64 v[43:44], v[5:6], v[27:28]
	v_mul_f64 v[27:28], v[7:8], v[27:28]
	s_waitcnt vmcnt(56)
	v_fma_f64 v[21:22], v[39:40], v[29:30], -v[21:22]
	ds_read_b128 v[1:4], v51 offset:1376
	v_add_f64 v[13:14], v[13:14], v[17:18]
	v_fma_f64 v[17:18], v[41:42], v[29:30], v[121:122]
	v_add_f64 v[29:30], v[9:10], v[11:12]
	s_clause 0x4
	buffer_load_dword v40, off, s[0:3], 0 offset:732
	buffer_load_dword v41, off, s[0:3], 0 offset:744
	;; [unrolled: 1-line block ×5, first 2 shown]
	ds_read_b128 v[9:12], v51 offset:1392
	s_waitcnt vmcnt(57) lgkmcnt(1)
	v_mul_f64 v[121:122], v[1:2], v[31:32]
	v_mul_f64 v[31:32], v[3:4], v[31:32]
	s_waitcnt vmcnt(56)
	v_fma_f64 v[27:28], v[5:6], v[15:16], -v[27:28]
	v_fma_f64 v[15:16], v[7:8], v[15:16], v[43:44]
	v_add_f64 v[13:14], v[13:14], v[21:22]
	s_clause 0x2
	buffer_load_dword v42, off, s[0:3], 0 offset:748
	buffer_load_dword v22, off, s[0:3], 0 offset:724
	;; [unrolled: 1-line block ×3, first 2 shown]
	v_add_f64 v[17:18], v[29:30], v[17:18]
	s_waitcnt vmcnt(58) lgkmcnt(0)
	v_mul_f64 v[29:30], v[9:10], v[35:36]
	v_mul_f64 v[35:36], v[11:12], v[35:36]
	ds_read_b128 v[5:8], v51 offset:1408
	s_waitcnt vmcnt(56)
	v_fma_f64 v[31:32], v[1:2], v[37:38], -v[31:32]
	v_add_f64 v[13:14], v[13:14], v[27:28]
	v_fma_f64 v[27:28], v[3:4], v[37:38], v[121:122]
	v_add_f64 v[15:16], v[17:18], v[15:16]
	s_clause 0x4
	buffer_load_dword v18, off, s[0:3], 0 offset:764
	buffer_load_dword v37, off, s[0:3], 0 offset:776
	;; [unrolled: 1-line block ×5, first 2 shown]
	s_waitcnt vmcnt(57) lgkmcnt(0)
	v_mul_f64 v[121:122], v[5:6], v[52:53]
	v_mul_f64 v[52:53], v[7:8], v[52:53]
	s_waitcnt vmcnt(56)
	v_fma_f64 v[35:36], v[9:10], v[23:24], -v[35:36]
	ds_read_b128 v[1:4], v51 offset:1424
	v_fma_f64 v[23:24], v[11:12], v[23:24], v[29:30]
	v_add_f64 v[13:14], v[13:14], v[31:32]
	v_add_f64 v[15:16], v[15:16], v[27:28]
	s_clause 0x2
	buffer_load_dword v38, off, s[0:3], 0 offset:780
	buffer_load_dword v28, off, s[0:3], 0 offset:756
	;; [unrolled: 1-line block ×3, first 2 shown]
	ds_read_b128 v[9:12], v51 offset:1440
	s_waitcnt vmcnt(58) lgkmcnt(1)
	v_mul_f64 v[31:32], v[3:4], v[54:55]
	s_waitcnt vmcnt(56)
	v_fma_f64 v[52:53], v[5:6], v[61:62], -v[52:53]
	v_mul_f64 v[29:30], v[1:2], v[54:55]
	v_add_f64 v[13:14], v[13:14], v[35:36]
	v_fma_f64 v[35:36], v[7:8], v[61:62], v[121:122]
	v_add_f64 v[15:16], v[15:16], v[23:24]
	s_clause 0x4
	buffer_load_dword v24, off, s[0:3], 0 offset:796
	buffer_load_dword v54, off, s[0:3], 0 offset:808
	;; [unrolled: 1-line block ×5, first 2 shown]
	s_waitcnt vmcnt(57) lgkmcnt(0)
	v_mul_f64 v[121:122], v[9:10], v[63:64]
	v_mul_f64 v[62:63], v[11:12], v[63:64]
	s_waitcnt vmcnt(56)
	v_fma_f64 v[31:32], v[1:2], v[33:34], -v[31:32]
	ds_read_b128 v[5:8], v51 offset:1456
	v_fma_f64 v[29:30], v[3:4], v[33:34], v[29:30]
	s_clause 0x2
	buffer_load_dword v55, off, s[0:3], 0 offset:812
	buffer_load_dword v34, off, s[0:3], 0 offset:788
	;; [unrolled: 1-line block ×3, first 2 shown]
	ds_read_b128 v[1:4], v51 offset:1472
	v_add_f64 v[13:14], v[13:14], v[52:53]
	v_add_f64 v[15:16], v[15:16], v[35:36]
	s_waitcnt vmcnt(58) lgkmcnt(1)
	v_mul_f64 v[52:53], v[7:8], v[89:90]
	s_waitcnt vmcnt(56)
	v_fma_f64 v[63:64], v[9:10], v[93:94], -v[62:63]
	v_mul_f64 v[35:36], v[5:6], v[89:90]
	v_add_f64 v[13:14], v[13:14], v[31:32]
	v_fma_f64 v[31:32], v[11:12], v[93:94], v[121:122]
	v_add_f64 v[15:16], v[15:16], v[29:30]
	s_clause 0x4
	buffer_load_dword v30, off, s[0:3], 0 offset:828
	buffer_load_dword v89, off, s[0:3], 0 offset:840
	;; [unrolled: 1-line block ×5, first 2 shown]
	s_waitcnt vmcnt(57) lgkmcnt(0)
	v_mul_f64 v[121:122], v[1:2], v[95:96]
	v_mul_f64 v[94:95], v[3:4], v[95:96]
	s_waitcnt vmcnt(56)
	v_fma_f64 v[52:53], v[5:6], v[91:92], -v[52:53]
	ds_read_b128 v[9:12], v51 offset:1488
	v_fma_f64 v[35:36], v[7:8], v[91:92], v[35:36]
	v_add_f64 v[13:14], v[13:14], v[63:64]
	v_add_f64 v[15:16], v[15:16], v[31:32]
	s_clause 0x2
	buffer_load_dword v90, off, s[0:3], 0 offset:844
	buffer_load_dword v32, off, s[0:3], 0 offset:820
	;; [unrolled: 1-line block ×3, first 2 shown]
	ds_read_b128 v[5:8], v51 offset:1504
	s_waitcnt vmcnt(58) lgkmcnt(1)
	v_mul_f64 v[91:92], v[11:12], v[98:99]
	s_waitcnt vmcnt(56)
	v_fma_f64 v[95:96], v[1:2], v[102:103], -v[94:95]
	v_mul_f64 v[63:64], v[9:10], v[98:99]
	v_add_f64 v[13:14], v[13:14], v[52:53]
	v_fma_f64 v[52:53], v[3:4], v[102:103], v[121:122]
	v_add_f64 v[15:16], v[15:16], v[35:36]
	s_clause 0x4
	buffer_load_dword v36, off, s[0:3], 0 offset:860
	buffer_load_dword v98, off, s[0:3], 0 offset:872
	;; [unrolled: 1-line block ×5, first 2 shown]
	s_waitcnt vmcnt(57) lgkmcnt(0)
	v_mul_f64 v[121:122], v[5:6], v[106:107]
	v_mul_f64 v[106:107], v[7:8], v[106:107]
	s_waitcnt vmcnt(56)
	v_fma_f64 v[91:92], v[9:10], v[100:101], -v[91:92]
	ds_read_b128 v[1:4], v51 offset:1520
	v_fma_f64 v[63:64], v[11:12], v[100:101], v[63:64]
	v_add_f64 v[13:14], v[13:14], v[95:96]
	v_add_f64 v[15:16], v[15:16], v[52:53]
	s_clause 0x2
	buffer_load_dword v99, off, s[0:3], 0 offset:876
	buffer_load_dword v53, off, s[0:3], 0 offset:852
	;; [unrolled: 1-line block ×3, first 2 shown]
	ds_read_b128 v[9:12], v51 offset:1536
	s_waitcnt vmcnt(58) lgkmcnt(1)
	v_mul_f64 v[100:101], v[3:4], v[108:109]
	s_waitcnt vmcnt(56)
	v_fma_f64 v[106:107], v[5:6], v[113:114], -v[106:107]
	v_mul_f64 v[95:96], v[1:2], v[108:109]
	v_add_f64 v[13:14], v[13:14], v[91:92]
	v_fma_f64 v[91:92], v[7:8], v[113:114], v[121:122]
	v_add_f64 v[15:16], v[15:16], v[63:64]
	s_clause 0x4
	buffer_load_dword v64, off, s[0:3], 0 offset:892
	buffer_load_dword v108, off, s[0:3], 0 offset:904
	;; [unrolled: 1-line block ×5, first 2 shown]
	ds_read_b128 v[5:8], v51 offset:1552
	s_waitcnt vmcnt(57) lgkmcnt(1)
	v_mul_f64 v[113:114], v[9:10], v[104:105]
	v_mul_f64 v[104:105], v[11:12], v[104:105]
	s_waitcnt vmcnt(56)
	v_fma_f64 v[100:101], v[1:2], v[110:111], -v[100:101]
	v_fma_f64 v[95:96], v[3:4], v[110:111], v[95:96]
	v_add_f64 v[13:14], v[13:14], v[106:107]
	v_add_f64 v[15:16], v[15:16], v[91:92]
	s_clause 0x2
	buffer_load_dword v109, off, s[0:3], 0 offset:908
	buffer_load_dword v92, off, s[0:3], 0 offset:884
	;; [unrolled: 1-line block ×3, first 2 shown]
	ds_read_b128 v[1:4], v51 offset:1568
	s_waitcnt vmcnt(58) lgkmcnt(1)
	v_mul_f64 v[110:111], v[7:8], v[117:118]
	v_mul_f64 v[106:107], v[5:6], v[117:118]
	s_waitcnt vmcnt(56)
	v_fma_f64 v[104:105], v[9:10], v[45:46], -v[104:105]
	v_fma_f64 v[45:46], v[11:12], v[45:46], v[113:114]
	buffer_load_dword v113, off, s[0:3], 0 offset:900
	ds_read_b128 v[9:12], v51 offset:1584
	v_add_f64 v[13:14], v[13:14], v[100:101]
	v_add_f64 v[15:16], v[15:16], v[95:96]
	s_waitcnt vmcnt(53) lgkmcnt(1)
	v_mul_f64 v[95:96], v[1:2], v[25:26]
	v_mul_f64 v[25:26], v[3:4], v[25:26]
	s_waitcnt vmcnt(52)
	v_fma_f64 v[100:101], v[5:6], v[119:120], -v[110:111]
	v_add_f64 v[13:14], v[13:14], v[104:105]
	v_fma_f64 v[104:105], v[7:8], v[119:120], v[106:107]
	v_add_f64 v[15:16], v[15:16], v[45:46]
	ds_read_b128 v[5:8], v51 offset:1600
	s_waitcnt vmcnt(51) lgkmcnt(1)
	v_mul_f64 v[45:46], v[9:10], v[47:48]
	v_mul_f64 v[47:48], v[11:12], v[47:48]
	s_waitcnt vmcnt(49)
	v_fma_f64 v[25:26], v[1:2], v[19:20], -v[25:26]
	v_fma_f64 v[19:20], v[3:4], v[19:20], v[95:96]
	v_add_f64 v[13:14], v[13:14], v[100:101]
	s_clause 0x3
	buffer_load_dword v95, off, s[0:3], 0 offset:368
	buffer_load_dword v96, off, s[0:3], 0 offset:372
	;; [unrolled: 1-line block ×4, first 2 shown]
	v_add_f64 v[15:16], v[15:16], v[104:105]
	ds_read_b128 v[1:4], v51 offset:1616
	s_waitcnt vmcnt(49) lgkmcnt(1)
	v_mul_f64 v[104:105], v[5:6], v[39:40]
	v_mul_f64 v[39:40], v[7:8], v[39:40]
	s_waitcnt vmcnt(48)
	v_fma_f64 v[47:48], v[9:10], v[115:116], -v[47:48]
	v_add_f64 v[13:14], v[13:14], v[25:26]
	v_fma_f64 v[25:26], v[11:12], v[115:116], v[45:46]
	v_add_f64 v[15:16], v[15:16], v[19:20]
	ds_read_b128 v[9:12], v51 offset:1632
	s_waitcnt vmcnt(47) lgkmcnt(1)
	v_mul_f64 v[19:20], v[1:2], v[41:42]
	v_mul_f64 v[41:42], v[3:4], v[41:42]
	s_waitcnt vmcnt(45)
	v_fma_f64 v[39:40], v[5:6], v[21:22], -v[39:40]
	v_fma_f64 v[21:22], v[7:8], v[21:22], v[104:105]
	ds_read_b128 v[5:8], v51 offset:1648
	v_add_f64 v[13:14], v[13:14], v[47:48]
	v_add_f64 v[15:16], v[15:16], v[25:26]
	s_waitcnt vmcnt(41) lgkmcnt(1)
	v_mul_f64 v[25:26], v[9:10], v[17:18]
	v_mul_f64 v[17:18], v[11:12], v[17:18]
	s_waitcnt vmcnt(40)
	v_fma_f64 v[41:42], v[1:2], v[49:50], -v[41:42]
	v_fma_f64 v[19:20], v[3:4], v[49:50], v[19:20]
	ds_read_b128 v[1:4], v51 offset:1664
	v_add_f64 v[13:14], v[13:14], v[39:40]
	v_add_f64 v[15:16], v[15:16], v[21:22]
	;; [unrolled: 9-line block ×3, first 2 shown]
	s_waitcnt vmcnt(33) lgkmcnt(1)
	v_mul_f64 v[19:20], v[1:2], v[23:24]
	v_mul_f64 v[23:24], v[3:4], v[23:24]
	s_waitcnt vmcnt(32)
	v_fma_f64 v[27:28], v[5:6], v[43:44], -v[37:38]
	v_add_f64 v[13:14], v[13:14], v[17:18]
	v_fma_f64 v[17:18], v[7:8], v[43:44], v[21:22]
	v_add_f64 v[15:16], v[15:16], v[25:26]
	ds_read_b128 v[5:8], v51 offset:1696
	s_waitcnt vmcnt(31) lgkmcnt(1)
	v_mul_f64 v[25:26], v[11:12], v[54:55]
	v_mul_f64 v[21:22], v[9:10], v[54:55]
	s_waitcnt vmcnt(29)
	v_fma_f64 v[19:20], v[3:4], v[33:34], v[19:20]
	v_fma_f64 v[23:24], v[1:2], v[33:34], -v[23:24]
	ds_read_b128 v[1:4], v51 offset:1712
	v_add_f64 v[13:14], v[13:14], v[27:28]
	v_add_f64 v[15:16], v[15:16], v[17:18]
	s_waitcnt vmcnt(25) lgkmcnt(1)
	v_mul_f64 v[27:28], v[7:8], v[29:30]
	s_waitcnt vmcnt(24)
	v_fma_f64 v[25:26], v[9:10], v[61:62], -v[25:26]
	v_mul_f64 v[17:18], v[5:6], v[29:30]
	v_fma_f64 v[21:22], v[11:12], v[61:62], v[21:22]
	ds_read_b128 v[9:12], v51 offset:1728
	v_add_f64 v[13:14], v[13:14], v[23:24]
	v_add_f64 v[15:16], v[15:16], v[19:20]
	s_waitcnt vmcnt(23) lgkmcnt(1)
	v_mul_f64 v[23:24], v[3:4], v[89:90]
	v_mul_f64 v[19:20], v[1:2], v[89:90]
	s_waitcnt vmcnt(21)
	v_fma_f64 v[27:28], v[5:6], v[31:32], -v[27:28]
	v_fma_f64 v[17:18], v[7:8], v[31:32], v[17:18]
	ds_read_b128 v[5:8], v51 offset:1744
	v_add_f64 v[13:14], v[13:14], v[25:26]
	v_add_f64 v[15:16], v[15:16], v[21:22]
	s_waitcnt vmcnt(17) lgkmcnt(1)
	v_mul_f64 v[25:26], v[11:12], v[35:36]
	s_waitcnt vmcnt(16)
	v_fma_f64 v[23:24], v[1:2], v[93:94], -v[23:24]
	v_mul_f64 v[21:22], v[9:10], v[35:36]
	v_fma_f64 v[19:20], v[3:4], v[93:94], v[19:20]
	ds_read_b128 v[1:4], v51 offset:1760
	v_add_f64 v[13:14], v[13:14], v[27:28]
	v_add_f64 v[15:16], v[15:16], v[17:18]
	s_waitcnt vmcnt(15) lgkmcnt(1)
	v_mul_f64 v[27:28], v[7:8], v[98:99]
	v_mul_f64 v[17:18], v[5:6], v[98:99]
	s_waitcnt vmcnt(13)
	v_fma_f64 v[25:26], v[9:10], v[52:53], -v[25:26]
	v_fma_f64 v[21:22], v[11:12], v[52:53], v[21:22]
	ds_read_b128 v[9:12], v51 offset:1776
	v_add_f64 v[13:14], v[13:14], v[23:24]
	v_add_f64 v[15:16], v[15:16], v[19:20]
	s_waitcnt vmcnt(9) lgkmcnt(1)
	v_mul_f64 v[23:24], v[3:4], v[63:64]
	s_waitcnt vmcnt(8)
	v_fma_f64 v[5:6], v[5:6], v[102:103], -v[27:28]
	v_mul_f64 v[19:20], v[1:2], v[63:64]
	v_fma_f64 v[7:8], v[7:8], v[102:103], v[17:18]
	v_add_f64 v[13:14], v[13:14], v[25:26]
	v_add_f64 v[15:16], v[15:16], v[21:22]
	s_waitcnt vmcnt(7) lgkmcnt(0)
	v_mul_f64 v[21:22], v[11:12], v[108:109]
	v_mul_f64 v[17:18], v[9:10], v[108:109]
	s_waitcnt vmcnt(5)
	v_fma_f64 v[1:2], v[1:2], v[91:92], -v[23:24]
	v_fma_f64 v[3:4], v[3:4], v[91:92], v[19:20]
	v_add_f64 v[5:6], v[13:14], v[5:6]
	v_add_f64 v[7:8], v[15:16], v[7:8]
	s_waitcnt vmcnt(4)
	v_fma_f64 v[9:10], v[9:10], v[112:113], -v[21:22]
	v_add_f64 v[1:2], v[5:6], v[1:2]
	v_fma_f64 v[5:6], v[11:12], v[112:113], v[17:18]
	v_add_f64 v[3:4], v[7:8], v[3:4]
	v_add_f64 v[1:2], v[1:2], v[9:10]
	;; [unrolled: 1-line block ×3, first 2 shown]
	s_waitcnt vmcnt(2)
	v_add_f64 v[1:2], v[95:96], -v[1:2]
	s_waitcnt vmcnt(0)
	v_add_f64 v[3:4], v[100:101], -v[3:4]
	buffer_store_dword v2, off, s[0:3], 0 offset:372
	buffer_store_dword v1, off, s[0:3], 0 offset:368
	;; [unrolled: 1-line block ×4, first 2 shown]
	v_cmpx_lt_u32_e32 21, v0
	s_cbranch_execz .LBB55_307
; %bb.306:
	v_mov_b32_e32 v4, s47
	s_clause 0x3
	buffer_load_dword v1, v4, s[0:3], 0 offen
	buffer_load_dword v2, v4, s[0:3], 0 offen offset:4
	buffer_load_dword v3, v4, s[0:3], 0 offen offset:8
	;; [unrolled: 1-line block ×3, first 2 shown]
	buffer_store_dword v51, off, s[0:3], 0 offset:352
	buffer_store_dword v51, off, s[0:3], 0 offset:356
	;; [unrolled: 1-line block ×4, first 2 shown]
	s_waitcnt vmcnt(0)
	ds_write_b128 v97, v[1:4]
.LBB55_307:
	s_or_b32 exec_lo, exec_lo, s4
	s_waitcnt lgkmcnt(0)
	s_waitcnt_vscnt null, 0x0
	s_barrier
	buffer_gl0_inv
	s_clause 0x37
	buffer_load_dword v9, off, s[0:3], 0 offset:376
	buffer_load_dword v10, off, s[0:3], 0 offset:380
	;; [unrolled: 1-line block ×56, first 2 shown]
	ds_read_b128 v[52:55], v51 offset:1248
	s_clause 0x2
	buffer_load_dword v101, off, s[0:3], 0 offset:604
	buffer_load_dword v103, off, s[0:3], 0 offset:580
	;; [unrolled: 1-line block ×3, first 2 shown]
	ds_read_b128 v[61:64], v51 offset:1264
	s_clause 0x4
	buffer_load_dword v107, off, s[0:3], 0 offset:620
	buffer_load_dword v108, off, s[0:3], 0 offset:632
	;; [unrolled: 1-line block ×5, first 2 shown]
	ds_read_b128 v[89:92], v51 offset:1280
	s_clause 0x2
	buffer_load_dword v109, off, s[0:3], 0 offset:636
	buffer_load_dword v114, off, s[0:3], 0 offset:612
	;; [unrolled: 1-line block ×3, first 2 shown]
	s_mov_b32 s4, exec_lo
	s_waitcnt vmcnt(62) lgkmcnt(2)
	v_mul_f64 v[104:105], v[54:55], v[9:10]
	v_mul_f64 v[9:10], v[52:53], v[9:10]
	s_waitcnt lgkmcnt(1)
	v_mul_f64 v[111:112], v[63:64], v[5:6]
	s_waitcnt vmcnt(59) lgkmcnt(0)
	v_mul_f64 v[115:116], v[91:92], v[3:4]
	v_fma_f64 v[52:53], v[52:53], v[7:8], -v[104:105]
	v_mul_f64 v[104:105], v[61:62], v[5:6]
	v_fma_f64 v[9:10], v[54:55], v[7:8], v[9:10]
	s_waitcnt vmcnt(57)
	v_fma_f64 v[61:62], v[61:62], v[1:2], -v[111:112]
	ds_read_b128 v[5:8], v51 offset:1296
	v_mul_f64 v[54:55], v[89:90], v[3:4]
	s_waitcnt vmcnt(51)
	v_fma_f64 v[89:90], v[89:90], v[25:26], -v[115:116]
	v_add_f64 v[52:53], v[52:53], 0
	v_fma_f64 v[63:64], v[63:64], v[1:2], v[104:105]
	v_add_f64 v[9:10], v[9:10], 0
	s_clause 0x4
	buffer_load_dword v105, off, s[0:3], 0 offset:652
	buffer_load_dword v117, off, s[0:3], 0 offset:664
	;; [unrolled: 1-line block ×5, first 2 shown]
	s_waitcnt lgkmcnt(0)
	v_mul_f64 v[120:121], v[5:6], v[13:14]
	v_mul_f64 v[13:14], v[7:8], v[13:14]
	ds_read_b128 v[1:4], v51 offset:1312
	v_fma_f64 v[25:26], v[91:92], v[25:26], v[54:55]
	v_add_f64 v[61:62], v[52:53], v[61:62]
	v_add_f64 v[9:10], v[9:10], v[63:64]
	s_clause 0x2
	buffer_load_dword v118, off, s[0:3], 0 offset:668
	buffer_load_dword v64, off, s[0:3], 0 offset:644
	;; [unrolled: 1-line block ×3, first 2 shown]
	s_waitcnt vmcnt(58) lgkmcnt(0)
	v_mul_f64 v[91:92], v[1:2], v[17:18]
	v_mul_f64 v[17:18], v[3:4], v[17:18]
	s_waitcnt vmcnt(56)
	v_fma_f64 v[13:14], v[5:6], v[19:20], -v[13:14]
	ds_read_b128 v[52:55], v51 offset:1328
	v_fma_f64 v[19:20], v[7:8], v[19:20], v[120:121]
	v_add_f64 v[61:62], v[61:62], v[89:90]
	v_add_f64 v[9:10], v[9:10], v[25:26]
	s_clause 0x4
	buffer_load_dword v26, off, s[0:3], 0 offset:684
	buffer_load_dword v89, off, s[0:3], 0 offset:696
	;; [unrolled: 1-line block ×5, first 2 shown]
	ds_read_b128 v[5:8], v51 offset:1344
	s_waitcnt vmcnt(57) lgkmcnt(1)
	v_mul_f64 v[121:122], v[52:53], v[21:22]
	v_mul_f64 v[21:22], v[54:55], v[21:22]
	s_waitcnt vmcnt(56)
	v_fma_f64 v[17:18], v[1:2], v[11:12], -v[17:18]
	v_fma_f64 v[11:12], v[3:4], v[11:12], v[91:92]
	v_add_f64 v[13:14], v[61:62], v[13:14]
	v_add_f64 v[9:10], v[9:10], v[19:20]
	s_clause 0x2
	buffer_load_dword v90, off, s[0:3], 0 offset:700
	buffer_load_dword v20, off, s[0:3], 0 offset:676
	;; [unrolled: 1-line block ×3, first 2 shown]
	s_waitcnt vmcnt(58) lgkmcnt(0)
	v_mul_f64 v[61:62], v[5:6], v[27:28]
	v_mul_f64 v[27:28], v[7:8], v[27:28]
	s_waitcnt vmcnt(56)
	v_fma_f64 v[21:22], v[52:53], v[29:30], -v[21:22]
	ds_read_b128 v[1:4], v51 offset:1360
	v_add_f64 v[13:14], v[13:14], v[17:18]
	v_fma_f64 v[17:18], v[54:55], v[29:30], v[121:122]
	v_add_f64 v[29:30], v[9:10], v[11:12]
	s_clause 0x4
	buffer_load_dword v53, off, s[0:3], 0 offset:716
	buffer_load_dword v54, off, s[0:3], 0 offset:728
	;; [unrolled: 1-line block ×5, first 2 shown]
	ds_read_b128 v[9:12], v51 offset:1376
	s_waitcnt vmcnt(57) lgkmcnt(1)
	v_mul_f64 v[121:122], v[1:2], v[31:32]
	v_mul_f64 v[31:32], v[3:4], v[31:32]
	s_waitcnt vmcnt(56)
	v_fma_f64 v[27:28], v[5:6], v[15:16], -v[27:28]
	v_fma_f64 v[15:16], v[7:8], v[15:16], v[61:62]
	v_add_f64 v[13:14], v[13:14], v[21:22]
	s_clause 0x2
	buffer_load_dword v55, off, s[0:3], 0 offset:732
	buffer_load_dword v22, off, s[0:3], 0 offset:708
	;; [unrolled: 1-line block ×3, first 2 shown]
	v_add_f64 v[17:18], v[29:30], v[17:18]
	s_waitcnt vmcnt(58) lgkmcnt(0)
	v_mul_f64 v[29:30], v[9:10], v[35:36]
	v_mul_f64 v[35:36], v[11:12], v[35:36]
	ds_read_b128 v[5:8], v51 offset:1392
	s_waitcnt vmcnt(56)
	v_fma_f64 v[31:32], v[1:2], v[37:38], -v[31:32]
	v_add_f64 v[13:14], v[13:14], v[27:28]
	v_fma_f64 v[27:28], v[3:4], v[37:38], v[121:122]
	v_add_f64 v[15:16], v[17:18], v[15:16]
	s_clause 0x4
	buffer_load_dword v18, off, s[0:3], 0 offset:748
	buffer_load_dword v37, off, s[0:3], 0 offset:760
	;; [unrolled: 1-line block ×5, first 2 shown]
	s_waitcnt vmcnt(57) lgkmcnt(0)
	v_mul_f64 v[121:122], v[5:6], v[39:40]
	v_mul_f64 v[39:40], v[7:8], v[39:40]
	s_waitcnt vmcnt(56)
	v_fma_f64 v[35:36], v[9:10], v[23:24], -v[35:36]
	ds_read_b128 v[1:4], v51 offset:1408
	v_fma_f64 v[23:24], v[11:12], v[23:24], v[29:30]
	v_add_f64 v[13:14], v[13:14], v[31:32]
	v_add_f64 v[15:16], v[15:16], v[27:28]
	s_clause 0x2
	buffer_load_dword v38, off, s[0:3], 0 offset:764
	buffer_load_dword v28, off, s[0:3], 0 offset:740
	;; [unrolled: 1-line block ×3, first 2 shown]
	ds_read_b128 v[9:12], v51 offset:1424
	s_waitcnt vmcnt(58) lgkmcnt(1)
	v_mul_f64 v[31:32], v[3:4], v[43:44]
	s_waitcnt vmcnt(56)
	v_fma_f64 v[39:40], v[5:6], v[45:46], -v[39:40]
	v_mul_f64 v[29:30], v[1:2], v[43:44]
	v_add_f64 v[13:14], v[13:14], v[35:36]
	v_fma_f64 v[35:36], v[7:8], v[45:46], v[121:122]
	v_add_f64 v[15:16], v[15:16], v[23:24]
	s_clause 0x4
	buffer_load_dword v24, off, s[0:3], 0 offset:780
	buffer_load_dword v43, off, s[0:3], 0 offset:792
	;; [unrolled: 1-line block ×5, first 2 shown]
	s_waitcnt vmcnt(57) lgkmcnt(0)
	v_mul_f64 v[121:122], v[9:10], v[47:48]
	v_mul_f64 v[46:47], v[11:12], v[47:48]
	s_waitcnt vmcnt(56)
	v_fma_f64 v[31:32], v[1:2], v[33:34], -v[31:32]
	ds_read_b128 v[5:8], v51 offset:1440
	v_fma_f64 v[29:30], v[3:4], v[33:34], v[29:30]
	s_clause 0x2
	buffer_load_dword v44, off, s[0:3], 0 offset:796
	buffer_load_dword v34, off, s[0:3], 0 offset:772
	;; [unrolled: 1-line block ×3, first 2 shown]
	ds_read_b128 v[1:4], v51 offset:1456
	v_add_f64 v[13:14], v[13:14], v[39:40]
	v_add_f64 v[15:16], v[15:16], v[35:36]
	s_waitcnt vmcnt(58) lgkmcnt(1)
	v_mul_f64 v[39:40], v[7:8], v[93:94]
	s_waitcnt vmcnt(56)
	v_fma_f64 v[47:48], v[9:10], v[95:96], -v[46:47]
	v_mul_f64 v[35:36], v[5:6], v[93:94]
	v_add_f64 v[13:14], v[13:14], v[31:32]
	v_fma_f64 v[31:32], v[11:12], v[95:96], v[121:122]
	v_add_f64 v[15:16], v[15:16], v[29:30]
	s_clause 0x4
	buffer_load_dword v30, off, s[0:3], 0 offset:812
	buffer_load_dword v93, off, s[0:3], 0 offset:824
	;; [unrolled: 1-line block ×5, first 2 shown]
	s_waitcnt vmcnt(57) lgkmcnt(0)
	v_mul_f64 v[121:122], v[1:2], v[98:99]
	v_mul_f64 v[98:99], v[3:4], v[98:99]
	s_waitcnt vmcnt(56)
	v_fma_f64 v[39:40], v[5:6], v[41:42], -v[39:40]
	ds_read_b128 v[9:12], v51 offset:1472
	v_fma_f64 v[35:36], v[7:8], v[41:42], v[35:36]
	v_add_f64 v[13:14], v[13:14], v[47:48]
	v_add_f64 v[15:16], v[15:16], v[31:32]
	s_clause 0x2
	buffer_load_dword v94, off, s[0:3], 0 offset:828
	buffer_load_dword v32, off, s[0:3], 0 offset:804
	;; [unrolled: 1-line block ×3, first 2 shown]
	ds_read_b128 v[5:8], v51 offset:1488
	s_waitcnt vmcnt(58) lgkmcnt(1)
	v_mul_f64 v[47:48], v[11:12], v[100:101]
	s_waitcnt vmcnt(56)
	v_fma_f64 v[98:99], v[1:2], v[102:103], -v[98:99]
	v_mul_f64 v[41:42], v[9:10], v[100:101]
	v_add_f64 v[13:14], v[13:14], v[39:40]
	v_fma_f64 v[39:40], v[3:4], v[102:103], v[121:122]
	v_add_f64 v[15:16], v[15:16], v[35:36]
	s_clause 0x4
	buffer_load_dword v36, off, s[0:3], 0 offset:844
	buffer_load_dword v100, off, s[0:3], 0 offset:856
	;; [unrolled: 1-line block ×5, first 2 shown]
	s_waitcnt vmcnt(57) lgkmcnt(0)
	v_mul_f64 v[121:122], v[5:6], v[106:107]
	v_mul_f64 v[106:107], v[7:8], v[106:107]
	s_waitcnt vmcnt(56)
	v_fma_f64 v[47:48], v[9:10], v[49:50], -v[47:48]
	ds_read_b128 v[1:4], v51 offset:1504
	v_fma_f64 v[41:42], v[11:12], v[49:50], v[41:42]
	v_add_f64 v[13:14], v[13:14], v[98:99]
	v_add_f64 v[15:16], v[15:16], v[39:40]
	s_clause 0x2
	buffer_load_dword v101, off, s[0:3], 0 offset:860
	buffer_load_dword v40, off, s[0:3], 0 offset:836
	;; [unrolled: 1-line block ×3, first 2 shown]
	ds_read_b128 v[9:12], v51 offset:1520
	s_waitcnt vmcnt(58) lgkmcnt(1)
	v_mul_f64 v[98:99], v[3:4], v[108:109]
	s_waitcnt vmcnt(56)
	v_fma_f64 v[106:107], v[5:6], v[113:114], -v[106:107]
	v_mul_f64 v[49:50], v[1:2], v[108:109]
	v_add_f64 v[13:14], v[13:14], v[47:48]
	v_fma_f64 v[47:48], v[7:8], v[113:114], v[121:122]
	v_add_f64 v[15:16], v[15:16], v[41:42]
	s_clause 0x4
	buffer_load_dword v42, off, s[0:3], 0 offset:876
	buffer_load_dword v108, off, s[0:3], 0 offset:888
	;; [unrolled: 1-line block ×5, first 2 shown]
	ds_read_b128 v[5:8], v51 offset:1536
	s_waitcnt vmcnt(57) lgkmcnt(1)
	v_mul_f64 v[113:114], v[9:10], v[104:105]
	v_mul_f64 v[104:105], v[11:12], v[104:105]
	s_waitcnt vmcnt(56)
	v_fma_f64 v[98:99], v[1:2], v[110:111], -v[98:99]
	v_fma_f64 v[49:50], v[3:4], v[110:111], v[49:50]
	v_add_f64 v[13:14], v[13:14], v[106:107]
	v_add_f64 v[15:16], v[15:16], v[47:48]
	s_clause 0x2
	buffer_load_dword v109, off, s[0:3], 0 offset:892
	buffer_load_dword v48, off, s[0:3], 0 offset:868
	buffer_load_dword v47, off, s[0:3], 0 offset:864
	ds_read_b128 v[1:4], v51 offset:1552
	s_waitcnt vmcnt(58) lgkmcnt(1)
	v_mul_f64 v[110:111], v[7:8], v[117:118]
	v_mul_f64 v[106:107], v[5:6], v[117:118]
	s_waitcnt vmcnt(56)
	v_fma_f64 v[104:105], v[9:10], v[63:64], -v[104:105]
	v_fma_f64 v[63:64], v[11:12], v[63:64], v[113:114]
	v_add_f64 v[13:14], v[13:14], v[98:99]
	v_add_f64 v[15:16], v[15:16], v[49:50]
	s_clause 0x2
	buffer_load_dword v50, off, s[0:3], 0 offset:908
	buffer_load_dword v49, off, s[0:3], 0 offset:904
	buffer_load_dword v113, off, s[0:3], 0 offset:884
	ds_read_b128 v[9:12], v51 offset:1568
	s_waitcnt vmcnt(55) lgkmcnt(1)
	v_mul_f64 v[98:99], v[1:2], v[25:26]
	v_mul_f64 v[25:26], v[3:4], v[25:26]
	s_waitcnt vmcnt(54)
	v_fma_f64 v[110:111], v[5:6], v[119:120], -v[110:111]
	v_add_f64 v[13:14], v[13:14], v[104:105]
	v_fma_f64 v[104:105], v[7:8], v[119:120], v[106:107]
	v_add_f64 v[15:16], v[15:16], v[63:64]
	s_clause 0x1
	buffer_load_dword v64, off, s[0:3], 0 offset:900
	buffer_load_dword v63, off, s[0:3], 0 offset:896
	ds_read_b128 v[5:8], v51 offset:1584
	s_waitcnt vmcnt(55) lgkmcnt(1)
	v_mul_f64 v[106:107], v[9:10], v[89:90]
	v_mul_f64 v[89:90], v[11:12], v[89:90]
	s_waitcnt vmcnt(53)
	v_fma_f64 v[25:26], v[1:2], v[19:20], -v[25:26]
	v_fma_f64 v[19:20], v[3:4], v[19:20], v[98:99]
	ds_read_b128 v[1:4], v51 offset:1600
	v_add_f64 v[13:14], v[13:14], v[110:111]
	v_add_f64 v[15:16], v[15:16], v[104:105]
	s_waitcnt vmcnt(49) lgkmcnt(1)
	v_mul_f64 v[98:99], v[5:6], v[52:53]
	v_mul_f64 v[52:53], v[7:8], v[52:53]
	s_waitcnt vmcnt(48)
	v_fma_f64 v[89:90], v[9:10], v[115:116], -v[89:90]
	v_add_f64 v[13:14], v[13:14], v[25:26]
	v_fma_f64 v[25:26], v[11:12], v[115:116], v[106:107]
	v_add_f64 v[15:16], v[15:16], v[19:20]
	s_clause 0x3
	buffer_load_dword v19, off, s[0:3], 0 offset:352
	buffer_load_dword v20, off, s[0:3], 0 offset:356
	;; [unrolled: 1-line block ×4, first 2 shown]
	ds_read_b128 v[9:12], v51 offset:1616
	s_waitcnt vmcnt(51) lgkmcnt(1)
	v_mul_f64 v[106:107], v[1:2], v[54:55]
	v_mul_f64 v[54:55], v[3:4], v[54:55]
	s_waitcnt vmcnt(49)
	v_fma_f64 v[52:53], v[5:6], v[21:22], -v[52:53]
	v_fma_f64 v[21:22], v[7:8], v[21:22], v[98:99]
	ds_read_b128 v[5:8], v51 offset:1632
	v_add_f64 v[13:14], v[13:14], v[89:90]
	v_add_f64 v[15:16], v[15:16], v[25:26]
	s_waitcnt vmcnt(45) lgkmcnt(1)
	v_mul_f64 v[25:26], v[9:10], v[17:18]
	v_mul_f64 v[17:18], v[11:12], v[17:18]
	s_waitcnt vmcnt(44)
	v_fma_f64 v[54:55], v[1:2], v[91:92], -v[54:55]
	v_add_f64 v[13:14], v[13:14], v[52:53]
	v_fma_f64 v[52:53], v[3:4], v[91:92], v[106:107]
	v_add_f64 v[15:16], v[15:16], v[21:22]
	ds_read_b128 v[1:4], v51 offset:1648
	s_waitcnt vmcnt(43) lgkmcnt(1)
	v_mul_f64 v[21:22], v[5:6], v[37:38]
	v_mul_f64 v[37:38], v[7:8], v[37:38]
	s_waitcnt vmcnt(41)
	v_fma_f64 v[17:18], v[9:10], v[27:28], -v[17:18]
	v_fma_f64 v[25:26], v[11:12], v[27:28], v[25:26]
	ds_read_b128 v[9:12], v51 offset:1664
	v_add_f64 v[13:14], v[13:14], v[54:55]
	v_add_f64 v[15:16], v[15:16], v[52:53]
	s_waitcnt vmcnt(37) lgkmcnt(1)
	v_mul_f64 v[27:28], v[1:2], v[23:24]
	v_mul_f64 v[23:24], v[3:4], v[23:24]
	s_waitcnt vmcnt(36)
	v_fma_f64 v[37:38], v[5:6], v[61:62], -v[37:38]
	v_add_f64 v[13:14], v[13:14], v[17:18]
	v_fma_f64 v[17:18], v[7:8], v[61:62], v[21:22]
	v_add_f64 v[15:16], v[15:16], v[25:26]
	s_waitcnt vmcnt(35) lgkmcnt(0)
	v_mul_f64 v[25:26], v[11:12], v[43:44]
	ds_read_b128 v[5:8], v51 offset:1680
	v_mul_f64 v[21:22], v[9:10], v[43:44]
	s_waitcnt vmcnt(33)
	v_fma_f64 v[27:28], v[3:4], v[33:34], v[27:28]
	v_fma_f64 v[23:24], v[1:2], v[33:34], -v[23:24]
	ds_read_b128 v[1:4], v51 offset:1696
	v_add_f64 v[13:14], v[13:14], v[37:38]
	v_add_f64 v[15:16], v[15:16], v[17:18]
	s_waitcnt vmcnt(29) lgkmcnt(1)
	v_mul_f64 v[17:18], v[5:6], v[29:30]
	v_mul_f64 v[29:30], v[7:8], v[29:30]
	s_waitcnt vmcnt(28)
	v_fma_f64 v[25:26], v[9:10], v[45:46], -v[25:26]
	v_fma_f64 v[21:22], v[11:12], v[45:46], v[21:22]
	ds_read_b128 v[9:12], v51 offset:1712
	v_add_f64 v[13:14], v[13:14], v[23:24]
	v_add_f64 v[15:16], v[15:16], v[27:28]
	s_waitcnt vmcnt(27) lgkmcnt(1)
	v_mul_f64 v[27:28], v[3:4], v[93:94]
	v_mul_f64 v[23:24], v[1:2], v[93:94]
	s_waitcnt vmcnt(25)
	v_fma_f64 v[29:30], v[5:6], v[31:32], -v[29:30]
	v_fma_f64 v[17:18], v[7:8], v[31:32], v[17:18]
	ds_read_b128 v[5:8], v51 offset:1728
	v_add_f64 v[13:14], v[13:14], v[25:26]
	v_add_f64 v[15:16], v[15:16], v[21:22]
	s_waitcnt vmcnt(21) lgkmcnt(1)
	v_mul_f64 v[25:26], v[11:12], v[35:36]
	s_waitcnt vmcnt(20)
	v_fma_f64 v[27:28], v[1:2], v[95:96], -v[27:28]
	v_mul_f64 v[21:22], v[9:10], v[35:36]
	v_fma_f64 v[23:24], v[3:4], v[95:96], v[23:24]
	ds_read_b128 v[1:4], v51 offset:1744
	v_add_f64 v[13:14], v[13:14], v[29:30]
	v_add_f64 v[15:16], v[15:16], v[17:18]
	s_waitcnt vmcnt(19) lgkmcnt(1)
	v_mul_f64 v[29:30], v[7:8], v[100:101]
	v_mul_f64 v[17:18], v[5:6], v[100:101]
	s_waitcnt vmcnt(17)
	v_fma_f64 v[25:26], v[9:10], v[39:40], -v[25:26]
	v_fma_f64 v[21:22], v[11:12], v[39:40], v[21:22]
	ds_read_b128 v[9:12], v51 offset:1760
	v_add_f64 v[13:14], v[13:14], v[27:28]
	v_add_f64 v[15:16], v[15:16], v[23:24]
	s_waitcnt vmcnt(13) lgkmcnt(1)
	v_mul_f64 v[27:28], v[3:4], v[41:42]
	s_waitcnt vmcnt(12)
	v_fma_f64 v[29:30], v[5:6], v[102:103], -v[29:30]
	v_mul_f64 v[23:24], v[1:2], v[41:42]
	v_fma_f64 v[17:18], v[7:8], v[102:103], v[17:18]
	ds_read_b128 v[5:8], v51 offset:1776
	v_add_f64 v[13:14], v[13:14], v[25:26]
	v_add_f64 v[15:16], v[15:16], v[21:22]
	s_waitcnt vmcnt(11) lgkmcnt(1)
	v_mul_f64 v[25:26], v[11:12], v[108:109]
	v_mul_f64 v[21:22], v[9:10], v[108:109]
	s_waitcnt vmcnt(9)
	v_fma_f64 v[1:2], v[1:2], v[47:48], -v[27:28]
	v_fma_f64 v[3:4], v[3:4], v[47:48], v[23:24]
	v_add_f64 v[13:14], v[13:14], v[29:30]
	v_add_f64 v[15:16], v[15:16], v[17:18]
	s_waitcnt vmcnt(7) lgkmcnt(0)
	v_mul_f64 v[23:24], v[7:8], v[49:50]
	s_waitcnt vmcnt(6)
	v_fma_f64 v[9:10], v[9:10], v[112:113], -v[25:26]
	v_mul_f64 v[17:18], v[5:6], v[49:50]
	v_fma_f64 v[11:12], v[11:12], v[112:113], v[21:22]
	v_add_f64 v[1:2], v[13:14], v[1:2]
	v_add_f64 v[3:4], v[15:16], v[3:4]
	s_waitcnt vmcnt(4)
	v_fma_f64 v[5:6], v[5:6], v[63:64], -v[23:24]
	v_fma_f64 v[7:8], v[7:8], v[63:64], v[17:18]
	v_add_f64 v[1:2], v[1:2], v[9:10]
	v_add_f64 v[3:4], v[3:4], v[11:12]
	;; [unrolled: 1-line block ×4, first 2 shown]
	s_waitcnt vmcnt(2)
	v_add_f64 v[1:2], v[19:20], -v[1:2]
	s_waitcnt vmcnt(0)
	v_add_f64 v[3:4], v[104:105], -v[3:4]
	buffer_store_dword v2, off, s[0:3], 0 offset:356
	buffer_store_dword v1, off, s[0:3], 0 offset:352
	;; [unrolled: 1-line block ×4, first 2 shown]
	v_cmpx_lt_u32_e32 20, v0
	s_cbranch_execz .LBB55_309
; %bb.308:
	v_mov_b32_e32 v4, s48
	v_mov_b32_e32 v5, 0
	s_clause 0x3
	buffer_load_dword v1, v4, s[0:3], 0 offen
	buffer_load_dword v2, v4, s[0:3], 0 offen offset:4
	buffer_load_dword v3, v4, s[0:3], 0 offen offset:8
	;; [unrolled: 1-line block ×3, first 2 shown]
	buffer_store_dword v5, off, s[0:3], 0 offset:336
	buffer_store_dword v5, off, s[0:3], 0 offset:340
	buffer_store_dword v5, off, s[0:3], 0 offset:344
	buffer_store_dword v5, off, s[0:3], 0 offset:348
	s_waitcnt vmcnt(0)
	ds_write_b128 v97, v[1:4]
.LBB55_309:
	s_or_b32 exec_lo, exec_lo, s4
	s_waitcnt lgkmcnt(0)
	s_waitcnt_vscnt null, 0x0
	s_barrier
	buffer_gl0_inv
	s_clause 0x37
	buffer_load_dword v9, off, s[0:3], 0 offset:360
	buffer_load_dword v10, off, s[0:3], 0 offset:364
	;; [unrolled: 1-line block ×56, first 2 shown]
	v_mov_b32_e32 v89, 0
	s_mov_b32 s4, exec_lo
	ds_read_b128 v[90:93], v89 offset:1232
	s_clause 0x2
	buffer_load_dword v62, off, s[0:3], 0 offset:588
	buffer_load_dword v64, off, s[0:3], 0 offset:564
	;; [unrolled: 1-line block ×3, first 2 shown]
	ds_read_b128 v[98:101], v89 offset:1248
	s_clause 0x4
	buffer_load_dword v107, off, s[0:3], 0 offset:604
	buffer_load_dword v108, off, s[0:3], 0 offset:616
	;; [unrolled: 1-line block ×5, first 2 shown]
	ds_read_b128 v[102:105], v89 offset:1264
	s_clause 0x2
	buffer_load_dword v109, off, s[0:3], 0 offset:620
	buffer_load_dword v114, off, s[0:3], 0 offset:596
	;; [unrolled: 1-line block ×3, first 2 shown]
	s_waitcnt vmcnt(62) lgkmcnt(2)
	v_mul_f64 v[94:95], v[92:93], v[9:10]
	v_mul_f64 v[9:10], v[90:91], v[9:10]
	s_waitcnt lgkmcnt(1)
	v_mul_f64 v[111:112], v[100:101], v[5:6]
	s_waitcnt vmcnt(59) lgkmcnt(0)
	v_mul_f64 v[115:116], v[104:105], v[3:4]
	v_fma_f64 v[90:91], v[90:91], v[7:8], -v[94:95]
	v_mul_f64 v[94:95], v[98:99], v[5:6]
	v_fma_f64 v[9:10], v[92:93], v[7:8], v[9:10]
	s_waitcnt vmcnt(57)
	v_fma_f64 v[98:99], v[98:99], v[1:2], -v[111:112]
	ds_read_b128 v[5:8], v89 offset:1280
	v_mul_f64 v[92:93], v[102:103], v[3:4]
	s_waitcnt vmcnt(51)
	v_fma_f64 v[102:103], v[102:103], v[25:26], -v[115:116]
	v_add_f64 v[90:91], v[90:91], 0
	v_fma_f64 v[94:95], v[100:101], v[1:2], v[94:95]
	v_add_f64 v[9:10], v[9:10], 0
	s_clause 0x4
	buffer_load_dword v101, off, s[0:3], 0 offset:636
	buffer_load_dword v117, off, s[0:3], 0 offset:648
	;; [unrolled: 1-line block ×5, first 2 shown]
	s_waitcnt lgkmcnt(0)
	v_mul_f64 v[120:121], v[5:6], v[13:14]
	v_mul_f64 v[13:14], v[7:8], v[13:14]
	ds_read_b128 v[1:4], v89 offset:1296
	v_fma_f64 v[25:26], v[104:105], v[25:26], v[92:93]
	v_add_f64 v[98:99], v[90:91], v[98:99]
	v_add_f64 v[9:10], v[9:10], v[94:95]
	s_clause 0x2
	buffer_load_dword v118, off, s[0:3], 0 offset:652
	buffer_load_dword v95, off, s[0:3], 0 offset:628
	;; [unrolled: 1-line block ×3, first 2 shown]
	s_waitcnt vmcnt(58) lgkmcnt(0)
	v_mul_f64 v[104:105], v[1:2], v[17:18]
	v_mul_f64 v[17:18], v[3:4], v[17:18]
	s_waitcnt vmcnt(56)
	v_fma_f64 v[13:14], v[5:6], v[19:20], -v[13:14]
	ds_read_b128 v[90:93], v89 offset:1312
	v_fma_f64 v[19:20], v[7:8], v[19:20], v[120:121]
	v_add_f64 v[98:99], v[98:99], v[102:103]
	v_add_f64 v[9:10], v[9:10], v[25:26]
	s_clause 0x4
	buffer_load_dword v26, off, s[0:3], 0 offset:668
	buffer_load_dword v102, off, s[0:3], 0 offset:680
	;; [unrolled: 1-line block ×5, first 2 shown]
	ds_read_b128 v[5:8], v89 offset:1328
	s_waitcnt vmcnt(57) lgkmcnt(1)
	v_mul_f64 v[121:122], v[90:91], v[21:22]
	v_mul_f64 v[21:22], v[92:93], v[21:22]
	s_waitcnt vmcnt(56)
	v_fma_f64 v[17:18], v[1:2], v[11:12], -v[17:18]
	v_fma_f64 v[11:12], v[3:4], v[11:12], v[104:105]
	v_add_f64 v[13:14], v[98:99], v[13:14]
	v_add_f64 v[9:10], v[9:10], v[19:20]
	s_clause 0x2
	buffer_load_dword v103, off, s[0:3], 0 offset:684
	buffer_load_dword v20, off, s[0:3], 0 offset:660
	;; [unrolled: 1-line block ×3, first 2 shown]
	s_waitcnt vmcnt(58) lgkmcnt(0)
	v_mul_f64 v[98:99], v[5:6], v[27:28]
	v_mul_f64 v[27:28], v[7:8], v[27:28]
	s_waitcnt vmcnt(56)
	v_fma_f64 v[21:22], v[90:91], v[29:30], -v[21:22]
	ds_read_b128 v[1:4], v89 offset:1344
	v_add_f64 v[13:14], v[13:14], v[17:18]
	v_fma_f64 v[17:18], v[92:93], v[29:30], v[121:122]
	v_add_f64 v[29:30], v[9:10], v[11:12]
	s_clause 0x4
	buffer_load_dword v91, off, s[0:3], 0 offset:700
	buffer_load_dword v92, off, s[0:3], 0 offset:712
	;; [unrolled: 1-line block ×5, first 2 shown]
	ds_read_b128 v[9:12], v89 offset:1360
	s_waitcnt vmcnt(57) lgkmcnt(1)
	v_mul_f64 v[121:122], v[1:2], v[31:32]
	v_mul_f64 v[31:32], v[3:4], v[31:32]
	s_waitcnt vmcnt(56)
	v_fma_f64 v[27:28], v[5:6], v[15:16], -v[27:28]
	v_fma_f64 v[15:16], v[7:8], v[15:16], v[98:99]
	v_add_f64 v[13:14], v[13:14], v[21:22]
	s_clause 0x2
	buffer_load_dword v93, off, s[0:3], 0 offset:716
	buffer_load_dword v22, off, s[0:3], 0 offset:692
	;; [unrolled: 1-line block ×3, first 2 shown]
	v_add_f64 v[17:18], v[29:30], v[17:18]
	s_waitcnt vmcnt(58) lgkmcnt(0)
	v_mul_f64 v[29:30], v[9:10], v[35:36]
	v_mul_f64 v[35:36], v[11:12], v[35:36]
	ds_read_b128 v[5:8], v89 offset:1376
	s_waitcnt vmcnt(56)
	v_fma_f64 v[31:32], v[1:2], v[37:38], -v[31:32]
	v_add_f64 v[13:14], v[13:14], v[27:28]
	v_fma_f64 v[27:28], v[3:4], v[37:38], v[121:122]
	v_add_f64 v[15:16], v[17:18], v[15:16]
	s_clause 0x4
	buffer_load_dword v18, off, s[0:3], 0 offset:732
	buffer_load_dword v37, off, s[0:3], 0 offset:744
	;; [unrolled: 1-line block ×5, first 2 shown]
	s_waitcnt vmcnt(57) lgkmcnt(0)
	v_mul_f64 v[121:122], v[5:6], v[39:40]
	v_mul_f64 v[39:40], v[7:8], v[39:40]
	s_waitcnt vmcnt(56)
	v_fma_f64 v[35:36], v[9:10], v[23:24], -v[35:36]
	ds_read_b128 v[1:4], v89 offset:1392
	v_fma_f64 v[23:24], v[11:12], v[23:24], v[29:30]
	v_add_f64 v[13:14], v[13:14], v[31:32]
	v_add_f64 v[15:16], v[15:16], v[27:28]
	s_clause 0x2
	buffer_load_dword v38, off, s[0:3], 0 offset:748
	buffer_load_dword v28, off, s[0:3], 0 offset:724
	;; [unrolled: 1-line block ×3, first 2 shown]
	ds_read_b128 v[9:12], v89 offset:1408
	s_waitcnt vmcnt(58) lgkmcnt(1)
	v_mul_f64 v[31:32], v[3:4], v[43:44]
	s_waitcnt vmcnt(56)
	v_fma_f64 v[39:40], v[5:6], v[45:46], -v[39:40]
	v_mul_f64 v[29:30], v[1:2], v[43:44]
	v_add_f64 v[13:14], v[13:14], v[35:36]
	v_fma_f64 v[35:36], v[7:8], v[45:46], v[121:122]
	v_add_f64 v[15:16], v[15:16], v[23:24]
	s_clause 0x4
	buffer_load_dword v24, off, s[0:3], 0 offset:764
	buffer_load_dword v43, off, s[0:3], 0 offset:776
	;; [unrolled: 1-line block ×5, first 2 shown]
	s_waitcnt vmcnt(57) lgkmcnt(0)
	v_mul_f64 v[121:122], v[9:10], v[47:48]
	v_mul_f64 v[46:47], v[11:12], v[47:48]
	s_waitcnt vmcnt(56)
	v_fma_f64 v[31:32], v[1:2], v[33:34], -v[31:32]
	ds_read_b128 v[5:8], v89 offset:1424
	v_fma_f64 v[29:30], v[3:4], v[33:34], v[29:30]
	s_clause 0x2
	buffer_load_dword v44, off, s[0:3], 0 offset:780
	buffer_load_dword v34, off, s[0:3], 0 offset:756
	;; [unrolled: 1-line block ×3, first 2 shown]
	ds_read_b128 v[1:4], v89 offset:1440
	v_add_f64 v[13:14], v[13:14], v[39:40]
	v_add_f64 v[15:16], v[15:16], v[35:36]
	s_waitcnt vmcnt(58) lgkmcnt(1)
	v_mul_f64 v[39:40], v[7:8], v[51:52]
	s_waitcnt vmcnt(56)
	v_fma_f64 v[47:48], v[9:10], v[53:54], -v[46:47]
	v_mul_f64 v[35:36], v[5:6], v[51:52]
	v_add_f64 v[13:14], v[13:14], v[31:32]
	v_fma_f64 v[31:32], v[11:12], v[53:54], v[121:122]
	v_add_f64 v[15:16], v[15:16], v[29:30]
	s_clause 0x4
	buffer_load_dword v30, off, s[0:3], 0 offset:796
	buffer_load_dword v51, off, s[0:3], 0 offset:808
	;; [unrolled: 1-line block ×5, first 2 shown]
	s_waitcnt vmcnt(57) lgkmcnt(0)
	v_mul_f64 v[121:122], v[1:2], v[55:56]
	v_mul_f64 v[54:55], v[3:4], v[55:56]
	s_waitcnt vmcnt(56)
	v_fma_f64 v[39:40], v[5:6], v[41:42], -v[39:40]
	ds_read_b128 v[9:12], v89 offset:1456
	v_fma_f64 v[35:36], v[7:8], v[41:42], v[35:36]
	v_add_f64 v[13:14], v[13:14], v[47:48]
	v_add_f64 v[15:16], v[15:16], v[31:32]
	s_clause 0x2
	buffer_load_dword v52, off, s[0:3], 0 offset:812
	buffer_load_dword v32, off, s[0:3], 0 offset:788
	;; [unrolled: 1-line block ×3, first 2 shown]
	ds_read_b128 v[5:8], v89 offset:1472
	s_waitcnt vmcnt(58) lgkmcnt(1)
	v_mul_f64 v[47:48], v[11:12], v[61:62]
	s_waitcnt vmcnt(56)
	v_fma_f64 v[55:56], v[1:2], v[63:64], -v[54:55]
	v_mul_f64 v[41:42], v[9:10], v[61:62]
	v_add_f64 v[13:14], v[13:14], v[39:40]
	v_fma_f64 v[39:40], v[3:4], v[63:64], v[121:122]
	v_add_f64 v[15:16], v[15:16], v[35:36]
	s_clause 0x4
	buffer_load_dword v36, off, s[0:3], 0 offset:828
	buffer_load_dword v61, off, s[0:3], 0 offset:840
	buffer_load_dword v63, off, s[0:3], 0 offset:832
	buffer_load_dword v35, off, s[0:3], 0 offset:824
	buffer_load_dword v54, off, s[0:3], 0 offset:804
	s_waitcnt vmcnt(57) lgkmcnt(0)
	v_mul_f64 v[121:122], v[5:6], v[106:107]
	v_mul_f64 v[106:107], v[7:8], v[106:107]
	s_waitcnt vmcnt(56)
	v_fma_f64 v[47:48], v[9:10], v[49:50], -v[47:48]
	ds_read_b128 v[1:4], v89 offset:1488
	v_fma_f64 v[41:42], v[11:12], v[49:50], v[41:42]
	v_add_f64 v[13:14], v[13:14], v[55:56]
	v_add_f64 v[15:16], v[15:16], v[39:40]
	s_clause 0x2
	buffer_load_dword v62, off, s[0:3], 0 offset:844
	buffer_load_dword v40, off, s[0:3], 0 offset:820
	;; [unrolled: 1-line block ×3, first 2 shown]
	ds_read_b128 v[9:12], v89 offset:1504
	s_waitcnt vmcnt(58) lgkmcnt(1)
	v_mul_f64 v[55:56], v[3:4], v[108:109]
	s_waitcnt vmcnt(56)
	v_fma_f64 v[106:107], v[5:6], v[113:114], -v[106:107]
	v_mul_f64 v[49:50], v[1:2], v[108:109]
	v_add_f64 v[13:14], v[13:14], v[47:48]
	v_fma_f64 v[47:48], v[7:8], v[113:114], v[121:122]
	v_add_f64 v[15:16], v[15:16], v[41:42]
	s_clause 0x4
	buffer_load_dword v42, off, s[0:3], 0 offset:860
	buffer_load_dword v108, off, s[0:3], 0 offset:872
	;; [unrolled: 1-line block ×5, first 2 shown]
	ds_read_b128 v[5:8], v89 offset:1520
	s_waitcnt vmcnt(57) lgkmcnt(1)
	v_mul_f64 v[113:114], v[9:10], v[100:101]
	v_mul_f64 v[100:101], v[11:12], v[100:101]
	s_waitcnt vmcnt(56)
	v_fma_f64 v[55:56], v[1:2], v[110:111], -v[55:56]
	v_fma_f64 v[49:50], v[3:4], v[110:111], v[49:50]
	v_add_f64 v[13:14], v[13:14], v[106:107]
	v_add_f64 v[15:16], v[15:16], v[47:48]
	s_clause 0x2
	buffer_load_dword v109, off, s[0:3], 0 offset:876
	buffer_load_dword v48, off, s[0:3], 0 offset:852
	;; [unrolled: 1-line block ×3, first 2 shown]
	ds_read_b128 v[1:4], v89 offset:1536
	s_waitcnt vmcnt(58) lgkmcnt(1)
	v_mul_f64 v[110:111], v[7:8], v[117:118]
	v_mul_f64 v[106:107], v[5:6], v[117:118]
	s_waitcnt vmcnt(56)
	v_fma_f64 v[100:101], v[9:10], v[94:95], -v[100:101]
	v_add_f64 v[13:14], v[13:14], v[55:56]
	v_fma_f64 v[55:56], v[11:12], v[94:95], v[113:114]
	v_add_f64 v[15:16], v[15:16], v[49:50]
	s_clause 0x4
	buffer_load_dword v50, off, s[0:3], 0 offset:892
	buffer_load_dword v94, off, s[0:3], 0 offset:904
	;; [unrolled: 1-line block ×5, first 2 shown]
	ds_read_b128 v[9:12], v89 offset:1552
	s_waitcnt vmcnt(57) lgkmcnt(1)
	v_mul_f64 v[121:122], v[1:2], v[25:26]
	v_mul_f64 v[25:26], v[3:4], v[25:26]
	s_waitcnt vmcnt(56)
	v_fma_f64 v[110:111], v[5:6], v[119:120], -v[110:111]
	v_add_f64 v[13:14], v[13:14], v[100:101]
	v_fma_f64 v[100:101], v[7:8], v[119:120], v[106:107]
	v_add_f64 v[15:16], v[15:16], v[55:56]
	s_clause 0x2
	buffer_load_dword v95, off, s[0:3], 0 offset:908
	buffer_load_dword v56, off, s[0:3], 0 offset:884
	;; [unrolled: 1-line block ×3, first 2 shown]
	ds_read_b128 v[5:8], v89 offset:1568
	buffer_load_dword v118, off, s[0:3], 0 offset:900
	s_waitcnt vmcnt(59) lgkmcnt(1)
	v_mul_f64 v[106:107], v[9:10], v[102:103]
	v_mul_f64 v[102:103], v[11:12], v[102:103]
	s_waitcnt vmcnt(57)
	v_fma_f64 v[25:26], v[1:2], v[19:20], -v[25:26]
	v_fma_f64 v[19:20], v[3:4], v[19:20], v[121:122]
	ds_read_b128 v[1:4], v89 offset:1584
	v_add_f64 v[13:14], v[13:14], v[110:111]
	v_add_f64 v[15:16], v[15:16], v[100:101]
	s_waitcnt vmcnt(53) lgkmcnt(1)
	v_mul_f64 v[100:101], v[5:6], v[90:91]
	v_mul_f64 v[90:91], v[7:8], v[90:91]
	s_waitcnt vmcnt(52)
	v_fma_f64 v[102:103], v[9:10], v[115:116], -v[102:103]
	v_add_f64 v[13:14], v[13:14], v[25:26]
	v_fma_f64 v[25:26], v[11:12], v[115:116], v[106:107]
	v_add_f64 v[15:16], v[15:16], v[19:20]
	ds_read_b128 v[9:12], v89 offset:1600
	s_waitcnt vmcnt(51) lgkmcnt(1)
	v_mul_f64 v[19:20], v[1:2], v[92:93]
	v_mul_f64 v[92:93], v[3:4], v[92:93]
	s_waitcnt vmcnt(49)
	v_fma_f64 v[90:91], v[5:6], v[21:22], -v[90:91]
	v_fma_f64 v[21:22], v[7:8], v[21:22], v[100:101]
	v_add_f64 v[13:14], v[13:14], v[102:103]
	v_add_f64 v[15:16], v[15:16], v[25:26]
	s_clause 0x3
	buffer_load_dword v25, off, s[0:3], 0 offset:336
	buffer_load_dword v26, off, s[0:3], 0 offset:340
	;; [unrolled: 1-line block ×4, first 2 shown]
	ds_read_b128 v[5:8], v89 offset:1616
	s_waitcnt vmcnt(49) lgkmcnt(1)
	v_mul_f64 v[102:103], v[9:10], v[17:18]
	v_mul_f64 v[17:18], v[11:12], v[17:18]
	s_waitcnt vmcnt(48)
	v_fma_f64 v[92:93], v[1:2], v[104:105], -v[92:93]
	v_fma_f64 v[19:20], v[3:4], v[104:105], v[19:20]
	ds_read_b128 v[1:4], v89 offset:1632
	v_add_f64 v[13:14], v[13:14], v[90:91]
	v_add_f64 v[15:16], v[15:16], v[21:22]
	s_waitcnt vmcnt(47) lgkmcnt(1)
	v_mul_f64 v[21:22], v[5:6], v[37:38]
	v_mul_f64 v[37:38], v[7:8], v[37:38]
	s_waitcnt vmcnt(45)
	v_fma_f64 v[17:18], v[9:10], v[27:28], -v[17:18]
	v_fma_f64 v[27:28], v[11:12], v[27:28], v[102:103]
	ds_read_b128 v[9:12], v89 offset:1648
	v_add_f64 v[13:14], v[13:14], v[92:93]
	v_add_f64 v[15:16], v[15:16], v[19:20]
	s_waitcnt vmcnt(41) lgkmcnt(1)
	v_mul_f64 v[19:20], v[1:2], v[23:24]
	v_mul_f64 v[23:24], v[3:4], v[23:24]
	s_waitcnt vmcnt(40)
	v_fma_f64 v[37:38], v[5:6], v[98:99], -v[37:38]
	v_add_f64 v[13:14], v[13:14], v[17:18]
	v_fma_f64 v[17:18], v[7:8], v[98:99], v[21:22]
	v_add_f64 v[15:16], v[15:16], v[27:28]
	ds_read_b128 v[5:8], v89 offset:1664
	s_waitcnt vmcnt(39) lgkmcnt(1)
	v_mul_f64 v[27:28], v[11:12], v[43:44]
	v_mul_f64 v[21:22], v[9:10], v[43:44]
	s_waitcnt vmcnt(37)
	v_fma_f64 v[19:20], v[3:4], v[33:34], v[19:20]
	v_fma_f64 v[23:24], v[1:2], v[33:34], -v[23:24]
	ds_read_b128 v[1:4], v89 offset:1680
	v_add_f64 v[13:14], v[13:14], v[37:38]
	v_add_f64 v[15:16], v[15:16], v[17:18]
	s_waitcnt vmcnt(33) lgkmcnt(1)
	v_mul_f64 v[17:18], v[5:6], v[29:30]
	v_mul_f64 v[29:30], v[7:8], v[29:30]
	s_waitcnt vmcnt(32)
	v_fma_f64 v[27:28], v[9:10], v[45:46], -v[27:28]
	v_fma_f64 v[21:22], v[11:12], v[45:46], v[21:22]
	ds_read_b128 v[9:12], v89 offset:1696
	v_add_f64 v[13:14], v[13:14], v[23:24]
	v_add_f64 v[15:16], v[15:16], v[19:20]
	s_waitcnt vmcnt(31) lgkmcnt(1)
	v_mul_f64 v[23:24], v[3:4], v[51:52]
	v_mul_f64 v[19:20], v[1:2], v[51:52]
	s_waitcnt vmcnt(29)
	v_fma_f64 v[29:30], v[5:6], v[31:32], -v[29:30]
	v_fma_f64 v[17:18], v[7:8], v[31:32], v[17:18]
	ds_read_b128 v[5:8], v89 offset:1712
	v_add_f64 v[13:14], v[13:14], v[27:28]
	v_add_f64 v[15:16], v[15:16], v[21:22]
	s_waitcnt vmcnt(25) lgkmcnt(1)
	v_mul_f64 v[27:28], v[11:12], v[35:36]
	s_waitcnt vmcnt(24)
	v_fma_f64 v[23:24], v[1:2], v[53:54], -v[23:24]
	v_mul_f64 v[21:22], v[9:10], v[35:36]
	v_fma_f64 v[19:20], v[3:4], v[53:54], v[19:20]
	ds_read_b128 v[1:4], v89 offset:1728
	v_add_f64 v[13:14], v[13:14], v[29:30]
	v_add_f64 v[15:16], v[15:16], v[17:18]
	s_waitcnt vmcnt(23) lgkmcnt(1)
	v_mul_f64 v[29:30], v[7:8], v[61:62]
	v_mul_f64 v[17:18], v[5:6], v[61:62]
	s_waitcnt vmcnt(21)
	v_fma_f64 v[27:28], v[9:10], v[39:40], -v[27:28]
	v_fma_f64 v[21:22], v[11:12], v[39:40], v[21:22]
	ds_read_b128 v[9:12], v89 offset:1744
	v_add_f64 v[13:14], v[13:14], v[23:24]
	v_add_f64 v[15:16], v[15:16], v[19:20]
	s_waitcnt vmcnt(17) lgkmcnt(1)
	v_mul_f64 v[23:24], v[3:4], v[41:42]
	s_waitcnt vmcnt(16)
	v_fma_f64 v[29:30], v[5:6], v[63:64], -v[29:30]
	v_mul_f64 v[19:20], v[1:2], v[41:42]
	;; [unrolled: 18-line block ×3, first 2 shown]
	v_fma_f64 v[11:12], v[11:12], v[112:113], v[21:22]
	v_add_f64 v[13:14], v[13:14], v[23:24]
	v_add_f64 v[15:16], v[15:16], v[19:20]
	s_waitcnt vmcnt(7) lgkmcnt(0)
	v_mul_f64 v[21:22], v[3:4], v[94:95]
	v_mul_f64 v[19:20], v[1:2], v[94:95]
	s_waitcnt vmcnt(5)
	v_fma_f64 v[5:6], v[5:6], v[55:56], -v[29:30]
	v_fma_f64 v[7:8], v[7:8], v[55:56], v[17:18]
	v_add_f64 v[9:10], v[13:14], v[9:10]
	v_add_f64 v[11:12], v[15:16], v[11:12]
	s_waitcnt vmcnt(4)
	v_fma_f64 v[1:2], v[1:2], v[117:118], -v[21:22]
	v_fma_f64 v[3:4], v[3:4], v[117:118], v[19:20]
	v_add_f64 v[5:6], v[9:10], v[5:6]
	v_add_f64 v[7:8], v[11:12], v[7:8]
	;; [unrolled: 1-line block ×4, first 2 shown]
	s_waitcnt vmcnt(2)
	v_add_f64 v[1:2], v[25:26], -v[1:2]
	s_waitcnt vmcnt(0)
	v_add_f64 v[3:4], v[100:101], -v[3:4]
	buffer_store_dword v2, off, s[0:3], 0 offset:340
	buffer_store_dword v1, off, s[0:3], 0 offset:336
	;; [unrolled: 1-line block ×4, first 2 shown]
	v_cmpx_lt_u32_e32 19, v0
	s_cbranch_execz .LBB55_311
; %bb.310:
	v_mov_b32_e32 v4, s49
	s_clause 0x3
	buffer_load_dword v1, v4, s[0:3], 0 offen
	buffer_load_dword v2, v4, s[0:3], 0 offen offset:4
	buffer_load_dword v3, v4, s[0:3], 0 offen offset:8
	;; [unrolled: 1-line block ×3, first 2 shown]
	buffer_store_dword v89, off, s[0:3], 0 offset:320
	buffer_store_dword v89, off, s[0:3], 0 offset:324
	buffer_store_dword v89, off, s[0:3], 0 offset:328
	buffer_store_dword v89, off, s[0:3], 0 offset:332
	s_waitcnt vmcnt(0)
	ds_write_b128 v97, v[1:4]
.LBB55_311:
	s_or_b32 exec_lo, exec_lo, s4
	s_waitcnt lgkmcnt(0)
	s_waitcnt_vscnt null, 0x0
	s_barrier
	buffer_gl0_inv
	s_clause 0x37
	buffer_load_dword v9, off, s[0:3], 0 offset:344
	buffer_load_dword v10, off, s[0:3], 0 offset:348
	;; [unrolled: 1-line block ×56, first 2 shown]
	ds_read_b128 v[90:93], v89 offset:1216
	s_clause 0x2
	buffer_load_dword v62, off, s[0:3], 0 offset:572
	buffer_load_dword v64, off, s[0:3], 0 offset:548
	;; [unrolled: 1-line block ×3, first 2 shown]
	ds_read_b128 v[98:101], v89 offset:1232
	s_clause 0x4
	buffer_load_dword v107, off, s[0:3], 0 offset:588
	buffer_load_dword v108, off, s[0:3], 0 offset:600
	;; [unrolled: 1-line block ×5, first 2 shown]
	ds_read_b128 v[102:105], v89 offset:1248
	s_clause 0x2
	buffer_load_dword v109, off, s[0:3], 0 offset:604
	buffer_load_dword v114, off, s[0:3], 0 offset:580
	;; [unrolled: 1-line block ×3, first 2 shown]
	s_mov_b32 s4, exec_lo
	s_waitcnt vmcnt(62) lgkmcnt(2)
	v_mul_f64 v[94:95], v[92:93], v[9:10]
	v_mul_f64 v[9:10], v[90:91], v[9:10]
	s_waitcnt lgkmcnt(1)
	v_mul_f64 v[111:112], v[100:101], v[5:6]
	s_waitcnt vmcnt(59) lgkmcnt(0)
	v_mul_f64 v[115:116], v[104:105], v[3:4]
	v_fma_f64 v[90:91], v[90:91], v[7:8], -v[94:95]
	v_mul_f64 v[94:95], v[98:99], v[5:6]
	v_fma_f64 v[9:10], v[92:93], v[7:8], v[9:10]
	s_waitcnt vmcnt(57)
	v_fma_f64 v[98:99], v[98:99], v[1:2], -v[111:112]
	ds_read_b128 v[5:8], v89 offset:1264
	v_mul_f64 v[92:93], v[102:103], v[3:4]
	s_waitcnt vmcnt(51)
	v_fma_f64 v[102:103], v[102:103], v[25:26], -v[115:116]
	v_add_f64 v[90:91], v[90:91], 0
	v_fma_f64 v[94:95], v[100:101], v[1:2], v[94:95]
	v_add_f64 v[9:10], v[9:10], 0
	s_clause 0x4
	buffer_load_dword v101, off, s[0:3], 0 offset:620
	buffer_load_dword v117, off, s[0:3], 0 offset:632
	;; [unrolled: 1-line block ×5, first 2 shown]
	s_waitcnt lgkmcnt(0)
	v_mul_f64 v[120:121], v[5:6], v[13:14]
	v_mul_f64 v[13:14], v[7:8], v[13:14]
	ds_read_b128 v[1:4], v89 offset:1280
	v_fma_f64 v[25:26], v[104:105], v[25:26], v[92:93]
	v_add_f64 v[98:99], v[90:91], v[98:99]
	v_add_f64 v[9:10], v[9:10], v[94:95]
	s_clause 0x2
	buffer_load_dword v118, off, s[0:3], 0 offset:636
	buffer_load_dword v95, off, s[0:3], 0 offset:612
	;; [unrolled: 1-line block ×3, first 2 shown]
	s_waitcnt vmcnt(58) lgkmcnt(0)
	v_mul_f64 v[104:105], v[1:2], v[17:18]
	v_mul_f64 v[17:18], v[3:4], v[17:18]
	s_waitcnt vmcnt(56)
	v_fma_f64 v[13:14], v[5:6], v[19:20], -v[13:14]
	ds_read_b128 v[90:93], v89 offset:1296
	v_fma_f64 v[19:20], v[7:8], v[19:20], v[120:121]
	v_add_f64 v[98:99], v[98:99], v[102:103]
	v_add_f64 v[9:10], v[9:10], v[25:26]
	s_clause 0x4
	buffer_load_dword v26, off, s[0:3], 0 offset:652
	buffer_load_dword v102, off, s[0:3], 0 offset:664
	;; [unrolled: 1-line block ×5, first 2 shown]
	ds_read_b128 v[5:8], v89 offset:1312
	s_waitcnt vmcnt(57) lgkmcnt(1)
	v_mul_f64 v[121:122], v[90:91], v[21:22]
	v_mul_f64 v[21:22], v[92:93], v[21:22]
	s_waitcnt vmcnt(56)
	v_fma_f64 v[17:18], v[1:2], v[11:12], -v[17:18]
	v_fma_f64 v[11:12], v[3:4], v[11:12], v[104:105]
	v_add_f64 v[13:14], v[98:99], v[13:14]
	v_add_f64 v[9:10], v[9:10], v[19:20]
	s_clause 0x2
	buffer_load_dword v103, off, s[0:3], 0 offset:668
	buffer_load_dword v20, off, s[0:3], 0 offset:644
	;; [unrolled: 1-line block ×3, first 2 shown]
	s_waitcnt vmcnt(58) lgkmcnt(0)
	v_mul_f64 v[98:99], v[5:6], v[27:28]
	v_mul_f64 v[27:28], v[7:8], v[27:28]
	s_waitcnt vmcnt(56)
	v_fma_f64 v[21:22], v[90:91], v[29:30], -v[21:22]
	ds_read_b128 v[1:4], v89 offset:1328
	v_add_f64 v[13:14], v[13:14], v[17:18]
	v_fma_f64 v[17:18], v[92:93], v[29:30], v[121:122]
	v_add_f64 v[29:30], v[9:10], v[11:12]
	s_clause 0x4
	buffer_load_dword v91, off, s[0:3], 0 offset:684
	buffer_load_dword v92, off, s[0:3], 0 offset:696
	;; [unrolled: 1-line block ×5, first 2 shown]
	ds_read_b128 v[9:12], v89 offset:1344
	s_waitcnt vmcnt(57) lgkmcnt(1)
	v_mul_f64 v[121:122], v[1:2], v[31:32]
	v_mul_f64 v[31:32], v[3:4], v[31:32]
	s_waitcnt vmcnt(56)
	v_fma_f64 v[27:28], v[5:6], v[15:16], -v[27:28]
	v_fma_f64 v[15:16], v[7:8], v[15:16], v[98:99]
	v_add_f64 v[13:14], v[13:14], v[21:22]
	s_clause 0x2
	buffer_load_dword v93, off, s[0:3], 0 offset:700
	buffer_load_dword v22, off, s[0:3], 0 offset:676
	;; [unrolled: 1-line block ×3, first 2 shown]
	v_add_f64 v[17:18], v[29:30], v[17:18]
	s_waitcnt vmcnt(58) lgkmcnt(0)
	v_mul_f64 v[29:30], v[9:10], v[35:36]
	v_mul_f64 v[35:36], v[11:12], v[35:36]
	ds_read_b128 v[5:8], v89 offset:1360
	s_waitcnt vmcnt(56)
	v_fma_f64 v[31:32], v[1:2], v[37:38], -v[31:32]
	v_add_f64 v[13:14], v[13:14], v[27:28]
	v_fma_f64 v[27:28], v[3:4], v[37:38], v[121:122]
	v_add_f64 v[15:16], v[17:18], v[15:16]
	s_clause 0x4
	buffer_load_dword v18, off, s[0:3], 0 offset:716
	buffer_load_dword v37, off, s[0:3], 0 offset:728
	;; [unrolled: 1-line block ×5, first 2 shown]
	s_waitcnt vmcnt(57) lgkmcnt(0)
	v_mul_f64 v[121:122], v[5:6], v[39:40]
	v_mul_f64 v[39:40], v[7:8], v[39:40]
	s_waitcnt vmcnt(56)
	v_fma_f64 v[35:36], v[9:10], v[23:24], -v[35:36]
	ds_read_b128 v[1:4], v89 offset:1376
	v_fma_f64 v[23:24], v[11:12], v[23:24], v[29:30]
	v_add_f64 v[13:14], v[13:14], v[31:32]
	v_add_f64 v[15:16], v[15:16], v[27:28]
	s_clause 0x2
	buffer_load_dword v38, off, s[0:3], 0 offset:732
	buffer_load_dword v28, off, s[0:3], 0 offset:708
	;; [unrolled: 1-line block ×3, first 2 shown]
	ds_read_b128 v[9:12], v89 offset:1392
	s_waitcnt vmcnt(58) lgkmcnt(1)
	v_mul_f64 v[31:32], v[3:4], v[43:44]
	s_waitcnt vmcnt(56)
	v_fma_f64 v[39:40], v[5:6], v[45:46], -v[39:40]
	v_mul_f64 v[29:30], v[1:2], v[43:44]
	v_add_f64 v[13:14], v[13:14], v[35:36]
	v_fma_f64 v[35:36], v[7:8], v[45:46], v[121:122]
	v_add_f64 v[15:16], v[15:16], v[23:24]
	s_clause 0x4
	buffer_load_dword v24, off, s[0:3], 0 offset:748
	buffer_load_dword v43, off, s[0:3], 0 offset:760
	;; [unrolled: 1-line block ×5, first 2 shown]
	s_waitcnt vmcnt(57) lgkmcnt(0)
	v_mul_f64 v[121:122], v[9:10], v[47:48]
	v_mul_f64 v[46:47], v[11:12], v[47:48]
	s_waitcnt vmcnt(56)
	v_fma_f64 v[31:32], v[1:2], v[33:34], -v[31:32]
	ds_read_b128 v[5:8], v89 offset:1408
	v_fma_f64 v[29:30], v[3:4], v[33:34], v[29:30]
	s_clause 0x2
	buffer_load_dword v44, off, s[0:3], 0 offset:764
	buffer_load_dword v34, off, s[0:3], 0 offset:740
	;; [unrolled: 1-line block ×3, first 2 shown]
	ds_read_b128 v[1:4], v89 offset:1424
	v_add_f64 v[13:14], v[13:14], v[39:40]
	v_add_f64 v[15:16], v[15:16], v[35:36]
	s_waitcnt vmcnt(58) lgkmcnt(1)
	v_mul_f64 v[39:40], v[7:8], v[51:52]
	s_waitcnt vmcnt(56)
	v_fma_f64 v[47:48], v[9:10], v[53:54], -v[46:47]
	v_mul_f64 v[35:36], v[5:6], v[51:52]
	v_add_f64 v[13:14], v[13:14], v[31:32]
	v_fma_f64 v[31:32], v[11:12], v[53:54], v[121:122]
	v_add_f64 v[15:16], v[15:16], v[29:30]
	s_clause 0x4
	buffer_load_dword v30, off, s[0:3], 0 offset:780
	buffer_load_dword v51, off, s[0:3], 0 offset:792
	;; [unrolled: 1-line block ×5, first 2 shown]
	s_waitcnt vmcnt(57) lgkmcnt(0)
	v_mul_f64 v[121:122], v[1:2], v[55:56]
	v_mul_f64 v[54:55], v[3:4], v[55:56]
	s_waitcnt vmcnt(56)
	v_fma_f64 v[39:40], v[5:6], v[41:42], -v[39:40]
	ds_read_b128 v[9:12], v89 offset:1440
	v_fma_f64 v[35:36], v[7:8], v[41:42], v[35:36]
	v_add_f64 v[13:14], v[13:14], v[47:48]
	v_add_f64 v[15:16], v[15:16], v[31:32]
	s_clause 0x2
	buffer_load_dword v52, off, s[0:3], 0 offset:796
	buffer_load_dword v32, off, s[0:3], 0 offset:772
	buffer_load_dword v31, off, s[0:3], 0 offset:768
	ds_read_b128 v[5:8], v89 offset:1456
	s_waitcnt vmcnt(58) lgkmcnt(1)
	v_mul_f64 v[47:48], v[11:12], v[61:62]
	s_waitcnt vmcnt(56)
	v_fma_f64 v[55:56], v[1:2], v[63:64], -v[54:55]
	v_mul_f64 v[41:42], v[9:10], v[61:62]
	v_add_f64 v[13:14], v[13:14], v[39:40]
	v_fma_f64 v[39:40], v[3:4], v[63:64], v[121:122]
	v_add_f64 v[15:16], v[15:16], v[35:36]
	s_clause 0x4
	buffer_load_dword v36, off, s[0:3], 0 offset:812
	buffer_load_dword v61, off, s[0:3], 0 offset:824
	;; [unrolled: 1-line block ×5, first 2 shown]
	s_waitcnt vmcnt(57) lgkmcnt(0)
	v_mul_f64 v[121:122], v[5:6], v[106:107]
	v_mul_f64 v[106:107], v[7:8], v[106:107]
	s_waitcnt vmcnt(56)
	v_fma_f64 v[47:48], v[9:10], v[49:50], -v[47:48]
	ds_read_b128 v[1:4], v89 offset:1472
	v_fma_f64 v[41:42], v[11:12], v[49:50], v[41:42]
	v_add_f64 v[13:14], v[13:14], v[55:56]
	v_add_f64 v[15:16], v[15:16], v[39:40]
	s_clause 0x2
	buffer_load_dword v62, off, s[0:3], 0 offset:828
	buffer_load_dword v40, off, s[0:3], 0 offset:804
	;; [unrolled: 1-line block ×3, first 2 shown]
	ds_read_b128 v[9:12], v89 offset:1488
	s_waitcnt vmcnt(58) lgkmcnt(1)
	v_mul_f64 v[55:56], v[3:4], v[108:109]
	s_waitcnt vmcnt(56)
	v_fma_f64 v[106:107], v[5:6], v[113:114], -v[106:107]
	v_mul_f64 v[49:50], v[1:2], v[108:109]
	v_add_f64 v[13:14], v[13:14], v[47:48]
	v_fma_f64 v[47:48], v[7:8], v[113:114], v[121:122]
	v_add_f64 v[15:16], v[15:16], v[41:42]
	s_clause 0x4
	buffer_load_dword v42, off, s[0:3], 0 offset:844
	buffer_load_dword v108, off, s[0:3], 0 offset:856
	;; [unrolled: 1-line block ×5, first 2 shown]
	ds_read_b128 v[5:8], v89 offset:1504
	s_waitcnt vmcnt(57) lgkmcnt(1)
	v_mul_f64 v[113:114], v[9:10], v[100:101]
	v_mul_f64 v[100:101], v[11:12], v[100:101]
	s_waitcnt vmcnt(56)
	v_fma_f64 v[55:56], v[1:2], v[110:111], -v[55:56]
	v_fma_f64 v[49:50], v[3:4], v[110:111], v[49:50]
	v_add_f64 v[13:14], v[13:14], v[106:107]
	v_add_f64 v[15:16], v[15:16], v[47:48]
	s_clause 0x2
	buffer_load_dword v109, off, s[0:3], 0 offset:860
	buffer_load_dword v48, off, s[0:3], 0 offset:836
	;; [unrolled: 1-line block ×3, first 2 shown]
	ds_read_b128 v[1:4], v89 offset:1520
	s_waitcnt vmcnt(58) lgkmcnt(1)
	v_mul_f64 v[110:111], v[7:8], v[117:118]
	v_mul_f64 v[106:107], v[5:6], v[117:118]
	s_waitcnt vmcnt(56)
	v_fma_f64 v[100:101], v[9:10], v[94:95], -v[100:101]
	v_add_f64 v[13:14], v[13:14], v[55:56]
	v_fma_f64 v[55:56], v[11:12], v[94:95], v[113:114]
	v_add_f64 v[15:16], v[15:16], v[49:50]
	s_clause 0x4
	buffer_load_dword v50, off, s[0:3], 0 offset:876
	buffer_load_dword v94, off, s[0:3], 0 offset:888
	;; [unrolled: 1-line block ×5, first 2 shown]
	ds_read_b128 v[9:12], v89 offset:1536
	s_waitcnt vmcnt(57) lgkmcnt(1)
	v_mul_f64 v[121:122], v[1:2], v[25:26]
	v_mul_f64 v[25:26], v[3:4], v[25:26]
	s_waitcnt vmcnt(56)
	v_fma_f64 v[110:111], v[5:6], v[119:120], -v[110:111]
	v_add_f64 v[13:14], v[13:14], v[100:101]
	v_fma_f64 v[100:101], v[7:8], v[119:120], v[106:107]
	v_add_f64 v[15:16], v[15:16], v[55:56]
	s_clause 0x2
	buffer_load_dword v95, off, s[0:3], 0 offset:892
	buffer_load_dword v56, off, s[0:3], 0 offset:868
	buffer_load_dword v55, off, s[0:3], 0 offset:864
	ds_read_b128 v[5:8], v89 offset:1552
	s_waitcnt vmcnt(58) lgkmcnt(1)
	v_mul_f64 v[106:107], v[9:10], v[102:103]
	v_mul_f64 v[102:103], v[11:12], v[102:103]
	s_waitcnt vmcnt(56)
	v_fma_f64 v[25:26], v[1:2], v[19:20], -v[25:26]
	v_fma_f64 v[19:20], v[3:4], v[19:20], v[121:122]
	v_add_f64 v[13:14], v[13:14], v[110:111]
	v_add_f64 v[15:16], v[15:16], v[100:101]
	s_clause 0x2
	buffer_load_dword v101, off, s[0:3], 0 offset:908
	buffer_load_dword v100, off, s[0:3], 0 offset:904
	;; [unrolled: 1-line block ×3, first 2 shown]
	ds_read_b128 v[1:4], v89 offset:1568
	s_waitcnt vmcnt(55) lgkmcnt(1)
	v_mul_f64 v[110:111], v[5:6], v[90:91]
	v_mul_f64 v[90:91], v[7:8], v[90:91]
	s_waitcnt vmcnt(54)
	v_fma_f64 v[102:103], v[9:10], v[115:116], -v[102:103]
	v_add_f64 v[13:14], v[13:14], v[25:26]
	v_fma_f64 v[25:26], v[11:12], v[115:116], v[106:107]
	v_add_f64 v[15:16], v[15:16], v[19:20]
	s_clause 0x1
	buffer_load_dword v20, off, s[0:3], 0 offset:900
	buffer_load_dword v19, off, s[0:3], 0 offset:896
	ds_read_b128 v[9:12], v89 offset:1584
	s_waitcnt vmcnt(55) lgkmcnt(1)
	v_mul_f64 v[106:107], v[1:2], v[92:93]
	v_mul_f64 v[92:93], v[3:4], v[92:93]
	s_waitcnt vmcnt(53)
	v_fma_f64 v[90:91], v[5:6], v[21:22], -v[90:91]
	v_fma_f64 v[21:22], v[7:8], v[21:22], v[110:111]
	ds_read_b128 v[5:8], v89 offset:1600
	v_add_f64 v[13:14], v[13:14], v[102:103]
	v_add_f64 v[15:16], v[15:16], v[25:26]
	s_waitcnt vmcnt(49) lgkmcnt(1)
	v_mul_f64 v[25:26], v[9:10], v[17:18]
	v_mul_f64 v[17:18], v[11:12], v[17:18]
	s_waitcnt vmcnt(48)
	v_fma_f64 v[92:93], v[1:2], v[104:105], -v[92:93]
	v_add_f64 v[13:14], v[13:14], v[90:91]
	v_fma_f64 v[90:91], v[3:4], v[104:105], v[106:107]
	v_add_f64 v[15:16], v[15:16], v[21:22]
	s_clause 0x3
	buffer_load_dword v21, off, s[0:3], 0 offset:320
	buffer_load_dword v22, off, s[0:3], 0 offset:324
	;; [unrolled: 1-line block ×4, first 2 shown]
	ds_read_b128 v[1:4], v89 offset:1616
	s_waitcnt vmcnt(51) lgkmcnt(1)
	v_mul_f64 v[104:105], v[5:6], v[37:38]
	v_mul_f64 v[37:38], v[7:8], v[37:38]
	s_waitcnt vmcnt(49)
	v_fma_f64 v[17:18], v[9:10], v[27:28], -v[17:18]
	v_fma_f64 v[25:26], v[11:12], v[27:28], v[25:26]
	ds_read_b128 v[9:12], v89 offset:1632
	v_add_f64 v[13:14], v[13:14], v[92:93]
	v_add_f64 v[15:16], v[15:16], v[90:91]
	s_waitcnt vmcnt(45) lgkmcnt(1)
	v_mul_f64 v[27:28], v[1:2], v[23:24]
	v_mul_f64 v[23:24], v[3:4], v[23:24]
	s_waitcnt vmcnt(44)
	v_fma_f64 v[37:38], v[5:6], v[98:99], -v[37:38]
	v_add_f64 v[13:14], v[13:14], v[17:18]
	v_fma_f64 v[17:18], v[7:8], v[98:99], v[104:105]
	v_add_f64 v[15:16], v[15:16], v[25:26]
	s_waitcnt vmcnt(43) lgkmcnt(0)
	v_mul_f64 v[25:26], v[9:10], v[43:44]
	v_mul_f64 v[43:44], v[11:12], v[43:44]
	ds_read_b128 v[5:8], v89 offset:1648
	s_waitcnt vmcnt(41)
	v_fma_f64 v[27:28], v[3:4], v[33:34], v[27:28]
	v_fma_f64 v[23:24], v[1:2], v[33:34], -v[23:24]
	ds_read_b128 v[1:4], v89 offset:1664
	v_add_f64 v[13:14], v[13:14], v[37:38]
	v_add_f64 v[15:16], v[15:16], v[17:18]
	s_waitcnt vmcnt(37) lgkmcnt(1)
	v_mul_f64 v[17:18], v[5:6], v[29:30]
	v_mul_f64 v[29:30], v[7:8], v[29:30]
	s_waitcnt vmcnt(36)
	v_fma_f64 v[33:34], v[9:10], v[45:46], -v[43:44]
	v_add_f64 v[13:14], v[13:14], v[23:24]
	v_fma_f64 v[23:24], v[11:12], v[45:46], v[25:26]
	v_add_f64 v[15:16], v[15:16], v[27:28]
	ds_read_b128 v[9:12], v89 offset:1680
	s_waitcnt vmcnt(35) lgkmcnt(1)
	v_mul_f64 v[27:28], v[3:4], v[51:52]
	v_mul_f64 v[25:26], v[1:2], v[51:52]
	s_waitcnt vmcnt(33)
	v_fma_f64 v[29:30], v[5:6], v[31:32], -v[29:30]
	v_fma_f64 v[17:18], v[7:8], v[31:32], v[17:18]
	ds_read_b128 v[5:8], v89 offset:1696
	v_add_f64 v[13:14], v[13:14], v[33:34]
	v_add_f64 v[15:16], v[15:16], v[23:24]
	s_waitcnt vmcnt(29) lgkmcnt(1)
	v_mul_f64 v[31:32], v[11:12], v[35:36]
	s_waitcnt vmcnt(28)
	v_fma_f64 v[27:28], v[1:2], v[53:54], -v[27:28]
	v_mul_f64 v[23:24], v[9:10], v[35:36]
	v_fma_f64 v[25:26], v[3:4], v[53:54], v[25:26]
	ds_read_b128 v[1:4], v89 offset:1712
	v_add_f64 v[13:14], v[13:14], v[29:30]
	v_add_f64 v[15:16], v[15:16], v[17:18]
	s_waitcnt vmcnt(27) lgkmcnt(1)
	v_mul_f64 v[29:30], v[7:8], v[61:62]
	v_mul_f64 v[17:18], v[5:6], v[61:62]
	s_waitcnt vmcnt(25)
	v_fma_f64 v[31:32], v[9:10], v[39:40], -v[31:32]
	v_fma_f64 v[23:24], v[11:12], v[39:40], v[23:24]
	ds_read_b128 v[9:12], v89 offset:1728
	v_add_f64 v[13:14], v[13:14], v[27:28]
	v_add_f64 v[15:16], v[15:16], v[25:26]
	s_waitcnt vmcnt(21) lgkmcnt(1)
	v_mul_f64 v[27:28], v[3:4], v[41:42]
	s_waitcnt vmcnt(20)
	v_fma_f64 v[29:30], v[5:6], v[63:64], -v[29:30]
	v_mul_f64 v[25:26], v[1:2], v[41:42]
	v_fma_f64 v[17:18], v[7:8], v[63:64], v[17:18]
	ds_read_b128 v[5:8], v89 offset:1744
	v_add_f64 v[13:14], v[13:14], v[31:32]
	v_add_f64 v[15:16], v[15:16], v[23:24]
	;; [unrolled: 18-line block ×3, first 2 shown]
	s_waitcnt vmcnt(11) lgkmcnt(1)
	v_mul_f64 v[27:28], v[3:4], v[94:95]
	v_mul_f64 v[25:26], v[1:2], v[94:95]
	s_waitcnt vmcnt(9)
	v_fma_f64 v[5:6], v[5:6], v[55:56], -v[29:30]
	v_fma_f64 v[7:8], v[7:8], v[55:56], v[17:18]
	v_add_f64 v[13:14], v[13:14], v[31:32]
	v_add_f64 v[15:16], v[15:16], v[23:24]
	s_waitcnt vmcnt(7) lgkmcnt(0)
	v_mul_f64 v[23:24], v[11:12], v[100:101]
	s_waitcnt vmcnt(6)
	v_fma_f64 v[1:2], v[1:2], v[117:118], -v[27:28]
	v_mul_f64 v[17:18], v[9:10], v[100:101]
	v_fma_f64 v[3:4], v[3:4], v[117:118], v[25:26]
	v_add_f64 v[5:6], v[13:14], v[5:6]
	v_add_f64 v[7:8], v[15:16], v[7:8]
	s_waitcnt vmcnt(4)
	v_fma_f64 v[9:10], v[9:10], v[19:20], -v[23:24]
	v_add_f64 v[1:2], v[5:6], v[1:2]
	v_fma_f64 v[5:6], v[11:12], v[19:20], v[17:18]
	v_add_f64 v[3:4], v[7:8], v[3:4]
	v_add_f64 v[1:2], v[1:2], v[9:10]
	;; [unrolled: 1-line block ×3, first 2 shown]
	s_waitcnt vmcnt(2)
	v_add_f64 v[1:2], v[21:22], -v[1:2]
	s_waitcnt vmcnt(0)
	v_add_f64 v[3:4], v[102:103], -v[3:4]
	buffer_store_dword v2, off, s[0:3], 0 offset:324
	buffer_store_dword v1, off, s[0:3], 0 offset:320
	;; [unrolled: 1-line block ×4, first 2 shown]
	v_cmpx_lt_u32_e32 18, v0
	s_cbranch_execz .LBB55_313
; %bb.312:
	v_mov_b32_e32 v4, s50
	v_mov_b32_e32 v5, 0
	s_clause 0x3
	buffer_load_dword v1, v4, s[0:3], 0 offen
	buffer_load_dword v2, v4, s[0:3], 0 offen offset:4
	buffer_load_dword v3, v4, s[0:3], 0 offen offset:8
	buffer_load_dword v4, v4, s[0:3], 0 offen offset:12
	buffer_store_dword v5, off, s[0:3], 0 offset:304
	buffer_store_dword v5, off, s[0:3], 0 offset:308
	;; [unrolled: 1-line block ×4, first 2 shown]
	s_waitcnt vmcnt(0)
	ds_write_b128 v97, v[1:4]
.LBB55_313:
	s_or_b32 exec_lo, exec_lo, s4
	s_waitcnt lgkmcnt(0)
	s_waitcnt_vscnt null, 0x0
	s_barrier
	buffer_gl0_inv
	s_clause 0x37
	buffer_load_dword v9, off, s[0:3], 0 offset:328
	buffer_load_dword v10, off, s[0:3], 0 offset:332
	;; [unrolled: 1-line block ×56, first 2 shown]
	v_mov_b32_e32 v89, 0
	s_mov_b32 s4, exec_lo
	ds_read_b128 v[90:93], v89 offset:1200
	s_clause 0x2
	buffer_load_dword v62, off, s[0:3], 0 offset:556
	buffer_load_dword v64, off, s[0:3], 0 offset:532
	;; [unrolled: 1-line block ×3, first 2 shown]
	ds_read_b128 v[98:101], v89 offset:1216
	s_clause 0x4
	buffer_load_dword v107, off, s[0:3], 0 offset:572
	buffer_load_dword v108, off, s[0:3], 0 offset:584
	;; [unrolled: 1-line block ×5, first 2 shown]
	ds_read_b128 v[102:105], v89 offset:1232
	s_clause 0x2
	buffer_load_dword v109, off, s[0:3], 0 offset:588
	buffer_load_dword v114, off, s[0:3], 0 offset:564
	buffer_load_dword v113, off, s[0:3], 0 offset:560
	s_waitcnt vmcnt(62) lgkmcnt(2)
	v_mul_f64 v[94:95], v[92:93], v[9:10]
	v_mul_f64 v[9:10], v[90:91], v[9:10]
	s_waitcnt lgkmcnt(1)
	v_mul_f64 v[111:112], v[100:101], v[5:6]
	s_waitcnt vmcnt(59) lgkmcnt(0)
	v_mul_f64 v[115:116], v[104:105], v[3:4]
	v_fma_f64 v[90:91], v[90:91], v[7:8], -v[94:95]
	v_mul_f64 v[94:95], v[98:99], v[5:6]
	v_fma_f64 v[9:10], v[92:93], v[7:8], v[9:10]
	s_waitcnt vmcnt(57)
	v_fma_f64 v[98:99], v[98:99], v[1:2], -v[111:112]
	ds_read_b128 v[5:8], v89 offset:1248
	v_mul_f64 v[92:93], v[102:103], v[3:4]
	s_waitcnt vmcnt(51)
	v_fma_f64 v[102:103], v[102:103], v[25:26], -v[115:116]
	v_add_f64 v[90:91], v[90:91], 0
	v_fma_f64 v[94:95], v[100:101], v[1:2], v[94:95]
	v_add_f64 v[9:10], v[9:10], 0
	s_clause 0x4
	buffer_load_dword v101, off, s[0:3], 0 offset:604
	buffer_load_dword v117, off, s[0:3], 0 offset:616
	;; [unrolled: 1-line block ×5, first 2 shown]
	s_waitcnt lgkmcnt(0)
	v_mul_f64 v[120:121], v[5:6], v[13:14]
	v_mul_f64 v[13:14], v[7:8], v[13:14]
	ds_read_b128 v[1:4], v89 offset:1264
	v_fma_f64 v[25:26], v[104:105], v[25:26], v[92:93]
	v_add_f64 v[98:99], v[90:91], v[98:99]
	v_add_f64 v[9:10], v[9:10], v[94:95]
	s_clause 0x2
	buffer_load_dword v118, off, s[0:3], 0 offset:620
	buffer_load_dword v95, off, s[0:3], 0 offset:596
	;; [unrolled: 1-line block ×3, first 2 shown]
	s_waitcnt vmcnt(58) lgkmcnt(0)
	v_mul_f64 v[104:105], v[1:2], v[17:18]
	v_mul_f64 v[17:18], v[3:4], v[17:18]
	s_waitcnt vmcnt(56)
	v_fma_f64 v[13:14], v[5:6], v[19:20], -v[13:14]
	ds_read_b128 v[90:93], v89 offset:1280
	v_fma_f64 v[19:20], v[7:8], v[19:20], v[120:121]
	v_add_f64 v[98:99], v[98:99], v[102:103]
	v_add_f64 v[9:10], v[9:10], v[25:26]
	s_clause 0x4
	buffer_load_dword v26, off, s[0:3], 0 offset:636
	buffer_load_dword v102, off, s[0:3], 0 offset:648
	;; [unrolled: 1-line block ×5, first 2 shown]
	ds_read_b128 v[5:8], v89 offset:1296
	s_waitcnt vmcnt(57) lgkmcnt(1)
	v_mul_f64 v[121:122], v[90:91], v[21:22]
	v_mul_f64 v[21:22], v[92:93], v[21:22]
	s_waitcnt vmcnt(56)
	v_fma_f64 v[17:18], v[1:2], v[11:12], -v[17:18]
	v_fma_f64 v[11:12], v[3:4], v[11:12], v[104:105]
	v_add_f64 v[13:14], v[98:99], v[13:14]
	v_add_f64 v[9:10], v[9:10], v[19:20]
	s_clause 0x2
	buffer_load_dword v103, off, s[0:3], 0 offset:652
	buffer_load_dword v20, off, s[0:3], 0 offset:628
	;; [unrolled: 1-line block ×3, first 2 shown]
	s_waitcnt vmcnt(58) lgkmcnt(0)
	v_mul_f64 v[98:99], v[5:6], v[27:28]
	v_mul_f64 v[27:28], v[7:8], v[27:28]
	s_waitcnt vmcnt(56)
	v_fma_f64 v[21:22], v[90:91], v[29:30], -v[21:22]
	ds_read_b128 v[1:4], v89 offset:1312
	v_add_f64 v[13:14], v[13:14], v[17:18]
	v_fma_f64 v[17:18], v[92:93], v[29:30], v[121:122]
	v_add_f64 v[29:30], v[9:10], v[11:12]
	s_clause 0x4
	buffer_load_dword v91, off, s[0:3], 0 offset:668
	buffer_load_dword v92, off, s[0:3], 0 offset:680
	;; [unrolled: 1-line block ×5, first 2 shown]
	ds_read_b128 v[9:12], v89 offset:1328
	s_waitcnt vmcnt(57) lgkmcnt(1)
	v_mul_f64 v[121:122], v[1:2], v[31:32]
	v_mul_f64 v[31:32], v[3:4], v[31:32]
	s_waitcnt vmcnt(56)
	v_fma_f64 v[27:28], v[5:6], v[15:16], -v[27:28]
	v_fma_f64 v[15:16], v[7:8], v[15:16], v[98:99]
	v_add_f64 v[13:14], v[13:14], v[21:22]
	s_clause 0x2
	buffer_load_dword v93, off, s[0:3], 0 offset:684
	buffer_load_dword v22, off, s[0:3], 0 offset:660
	;; [unrolled: 1-line block ×3, first 2 shown]
	v_add_f64 v[17:18], v[29:30], v[17:18]
	s_waitcnt vmcnt(58) lgkmcnt(0)
	v_mul_f64 v[29:30], v[9:10], v[35:36]
	v_mul_f64 v[35:36], v[11:12], v[35:36]
	ds_read_b128 v[5:8], v89 offset:1344
	s_waitcnt vmcnt(56)
	v_fma_f64 v[31:32], v[1:2], v[37:38], -v[31:32]
	v_add_f64 v[13:14], v[13:14], v[27:28]
	v_fma_f64 v[27:28], v[3:4], v[37:38], v[121:122]
	v_add_f64 v[15:16], v[17:18], v[15:16]
	s_clause 0x4
	buffer_load_dword v18, off, s[0:3], 0 offset:700
	buffer_load_dword v37, off, s[0:3], 0 offset:712
	buffer_load_dword v98, off, s[0:3], 0 offset:704
	buffer_load_dword v17, off, s[0:3], 0 offset:696
	buffer_load_dword v105, off, s[0:3], 0 offset:676
	s_waitcnt vmcnt(57) lgkmcnt(0)
	v_mul_f64 v[121:122], v[5:6], v[39:40]
	v_mul_f64 v[39:40], v[7:8], v[39:40]
	s_waitcnt vmcnt(56)
	v_fma_f64 v[35:36], v[9:10], v[23:24], -v[35:36]
	ds_read_b128 v[1:4], v89 offset:1360
	v_fma_f64 v[23:24], v[11:12], v[23:24], v[29:30]
	v_add_f64 v[13:14], v[13:14], v[31:32]
	v_add_f64 v[15:16], v[15:16], v[27:28]
	s_clause 0x2
	buffer_load_dword v38, off, s[0:3], 0 offset:716
	buffer_load_dword v28, off, s[0:3], 0 offset:692
	;; [unrolled: 1-line block ×3, first 2 shown]
	ds_read_b128 v[9:12], v89 offset:1376
	s_waitcnt vmcnt(58) lgkmcnt(1)
	v_mul_f64 v[31:32], v[3:4], v[43:44]
	s_waitcnt vmcnt(56)
	v_fma_f64 v[39:40], v[5:6], v[45:46], -v[39:40]
	v_mul_f64 v[29:30], v[1:2], v[43:44]
	v_add_f64 v[13:14], v[13:14], v[35:36]
	v_fma_f64 v[35:36], v[7:8], v[45:46], v[121:122]
	v_add_f64 v[15:16], v[15:16], v[23:24]
	s_clause 0x4
	buffer_load_dword v24, off, s[0:3], 0 offset:732
	buffer_load_dword v43, off, s[0:3], 0 offset:744
	;; [unrolled: 1-line block ×5, first 2 shown]
	s_waitcnt vmcnt(57) lgkmcnt(0)
	v_mul_f64 v[121:122], v[9:10], v[47:48]
	v_mul_f64 v[46:47], v[11:12], v[47:48]
	s_waitcnt vmcnt(56)
	v_fma_f64 v[31:32], v[1:2], v[33:34], -v[31:32]
	ds_read_b128 v[5:8], v89 offset:1392
	v_fma_f64 v[29:30], v[3:4], v[33:34], v[29:30]
	s_clause 0x2
	buffer_load_dword v44, off, s[0:3], 0 offset:748
	buffer_load_dword v34, off, s[0:3], 0 offset:724
	;; [unrolled: 1-line block ×3, first 2 shown]
	ds_read_b128 v[1:4], v89 offset:1408
	v_add_f64 v[13:14], v[13:14], v[39:40]
	v_add_f64 v[15:16], v[15:16], v[35:36]
	s_waitcnt vmcnt(58) lgkmcnt(1)
	v_mul_f64 v[39:40], v[7:8], v[51:52]
	s_waitcnt vmcnt(56)
	v_fma_f64 v[47:48], v[9:10], v[53:54], -v[46:47]
	v_mul_f64 v[35:36], v[5:6], v[51:52]
	v_add_f64 v[13:14], v[13:14], v[31:32]
	v_fma_f64 v[31:32], v[11:12], v[53:54], v[121:122]
	v_add_f64 v[15:16], v[15:16], v[29:30]
	s_clause 0x4
	buffer_load_dword v30, off, s[0:3], 0 offset:764
	buffer_load_dword v51, off, s[0:3], 0 offset:776
	buffer_load_dword v53, off, s[0:3], 0 offset:768
	buffer_load_dword v29, off, s[0:3], 0 offset:760
	buffer_load_dword v46, off, s[0:3], 0 offset:740
	s_waitcnt vmcnt(57) lgkmcnt(0)
	v_mul_f64 v[121:122], v[1:2], v[55:56]
	v_mul_f64 v[54:55], v[3:4], v[55:56]
	s_waitcnt vmcnt(56)
	v_fma_f64 v[39:40], v[5:6], v[41:42], -v[39:40]
	ds_read_b128 v[9:12], v89 offset:1424
	v_fma_f64 v[35:36], v[7:8], v[41:42], v[35:36]
	v_add_f64 v[13:14], v[13:14], v[47:48]
	v_add_f64 v[15:16], v[15:16], v[31:32]
	s_clause 0x2
	buffer_load_dword v52, off, s[0:3], 0 offset:780
	buffer_load_dword v32, off, s[0:3], 0 offset:756
	buffer_load_dword v31, off, s[0:3], 0 offset:752
	ds_read_b128 v[5:8], v89 offset:1440
	s_waitcnt vmcnt(58) lgkmcnt(1)
	v_mul_f64 v[47:48], v[11:12], v[61:62]
	s_waitcnt vmcnt(56)
	v_fma_f64 v[55:56], v[1:2], v[63:64], -v[54:55]
	v_mul_f64 v[41:42], v[9:10], v[61:62]
	v_add_f64 v[13:14], v[13:14], v[39:40]
	v_fma_f64 v[39:40], v[3:4], v[63:64], v[121:122]
	v_add_f64 v[15:16], v[15:16], v[35:36]
	s_clause 0x4
	buffer_load_dword v36, off, s[0:3], 0 offset:796
	buffer_load_dword v61, off, s[0:3], 0 offset:808
	buffer_load_dword v63, off, s[0:3], 0 offset:800
	buffer_load_dword v35, off, s[0:3], 0 offset:792
	buffer_load_dword v54, off, s[0:3], 0 offset:772
	s_waitcnt vmcnt(57) lgkmcnt(0)
	v_mul_f64 v[121:122], v[5:6], v[106:107]
	v_mul_f64 v[106:107], v[7:8], v[106:107]
	s_waitcnt vmcnt(56)
	v_fma_f64 v[47:48], v[9:10], v[49:50], -v[47:48]
	ds_read_b128 v[1:4], v89 offset:1456
	v_fma_f64 v[41:42], v[11:12], v[49:50], v[41:42]
	v_add_f64 v[13:14], v[13:14], v[55:56]
	v_add_f64 v[15:16], v[15:16], v[39:40]
	s_clause 0x2
	buffer_load_dword v62, off, s[0:3], 0 offset:812
	buffer_load_dword v40, off, s[0:3], 0 offset:788
	;; [unrolled: 1-line block ×3, first 2 shown]
	ds_read_b128 v[9:12], v89 offset:1472
	s_waitcnt vmcnt(58) lgkmcnt(1)
	v_mul_f64 v[55:56], v[3:4], v[108:109]
	s_waitcnt vmcnt(56)
	v_fma_f64 v[106:107], v[5:6], v[113:114], -v[106:107]
	v_mul_f64 v[49:50], v[1:2], v[108:109]
	v_add_f64 v[13:14], v[13:14], v[47:48]
	v_fma_f64 v[47:48], v[7:8], v[113:114], v[121:122]
	v_add_f64 v[15:16], v[15:16], v[41:42]
	s_clause 0x4
	buffer_load_dword v42, off, s[0:3], 0 offset:828
	buffer_load_dword v108, off, s[0:3], 0 offset:840
	;; [unrolled: 1-line block ×5, first 2 shown]
	ds_read_b128 v[5:8], v89 offset:1488
	s_waitcnt vmcnt(57) lgkmcnt(1)
	v_mul_f64 v[113:114], v[9:10], v[100:101]
	v_mul_f64 v[100:101], v[11:12], v[100:101]
	s_waitcnt vmcnt(56)
	v_fma_f64 v[55:56], v[1:2], v[110:111], -v[55:56]
	v_fma_f64 v[49:50], v[3:4], v[110:111], v[49:50]
	v_add_f64 v[13:14], v[13:14], v[106:107]
	v_add_f64 v[15:16], v[15:16], v[47:48]
	s_clause 0x2
	buffer_load_dword v109, off, s[0:3], 0 offset:844
	buffer_load_dword v48, off, s[0:3], 0 offset:820
	;; [unrolled: 1-line block ×3, first 2 shown]
	ds_read_b128 v[1:4], v89 offset:1504
	s_waitcnt vmcnt(58) lgkmcnt(1)
	v_mul_f64 v[110:111], v[7:8], v[117:118]
	v_mul_f64 v[106:107], v[5:6], v[117:118]
	s_waitcnt vmcnt(56)
	v_fma_f64 v[100:101], v[9:10], v[94:95], -v[100:101]
	v_add_f64 v[13:14], v[13:14], v[55:56]
	v_fma_f64 v[55:56], v[11:12], v[94:95], v[113:114]
	v_add_f64 v[15:16], v[15:16], v[49:50]
	s_clause 0x4
	buffer_load_dword v50, off, s[0:3], 0 offset:860
	buffer_load_dword v94, off, s[0:3], 0 offset:872
	buffer_load_dword v117, off, s[0:3], 0 offset:864
	buffer_load_dword v49, off, s[0:3], 0 offset:856
	buffer_load_dword v113, off, s[0:3], 0 offset:836
	ds_read_b128 v[9:12], v89 offset:1520
	s_waitcnt vmcnt(57) lgkmcnt(1)
	v_mul_f64 v[121:122], v[1:2], v[25:26]
	v_mul_f64 v[25:26], v[3:4], v[25:26]
	s_waitcnt vmcnt(56)
	v_fma_f64 v[110:111], v[5:6], v[119:120], -v[110:111]
	v_add_f64 v[13:14], v[13:14], v[100:101]
	v_fma_f64 v[100:101], v[7:8], v[119:120], v[106:107]
	v_add_f64 v[15:16], v[15:16], v[55:56]
	s_clause 0x2
	buffer_load_dword v95, off, s[0:3], 0 offset:876
	buffer_load_dword v56, off, s[0:3], 0 offset:852
	;; [unrolled: 1-line block ×3, first 2 shown]
	ds_read_b128 v[5:8], v89 offset:1536
	s_waitcnt vmcnt(58) lgkmcnt(1)
	v_mul_f64 v[106:107], v[9:10], v[102:103]
	v_mul_f64 v[102:103], v[11:12], v[102:103]
	s_waitcnt vmcnt(56)
	v_fma_f64 v[25:26], v[1:2], v[19:20], -v[25:26]
	v_fma_f64 v[19:20], v[3:4], v[19:20], v[121:122]
	v_add_f64 v[13:14], v[13:14], v[110:111]
	v_add_f64 v[15:16], v[15:16], v[100:101]
	s_clause 0x4
	buffer_load_dword v101, off, s[0:3], 0 offset:892
	buffer_load_dword v110, off, s[0:3], 0 offset:904
	;; [unrolled: 1-line block ×5, first 2 shown]
	ds_read_b128 v[1:4], v89 offset:1552
	s_waitcnt vmcnt(57) lgkmcnt(1)
	v_mul_f64 v[119:120], v[5:6], v[90:91]
	v_mul_f64 v[90:91], v[7:8], v[90:91]
	s_waitcnt vmcnt(56)
	v_fma_f64 v[102:103], v[9:10], v[115:116], -v[102:103]
	v_add_f64 v[13:14], v[13:14], v[25:26]
	v_fma_f64 v[25:26], v[11:12], v[115:116], v[106:107]
	v_add_f64 v[15:16], v[15:16], v[19:20]
	s_clause 0x2
	buffer_load_dword v111, off, s[0:3], 0 offset:908
	buffer_load_dword v20, off, s[0:3], 0 offset:884
	;; [unrolled: 1-line block ×3, first 2 shown]
	ds_read_b128 v[9:12], v89 offset:1568
	buffer_load_dword v115, off, s[0:3], 0 offset:900
	s_waitcnt vmcnt(59) lgkmcnt(1)
	v_mul_f64 v[106:107], v[1:2], v[92:93]
	v_mul_f64 v[92:93], v[3:4], v[92:93]
	s_waitcnt vmcnt(57)
	v_fma_f64 v[90:91], v[5:6], v[21:22], -v[90:91]
	v_fma_f64 v[21:22], v[7:8], v[21:22], v[119:120]
	ds_read_b128 v[5:8], v89 offset:1584
	v_add_f64 v[13:14], v[13:14], v[102:103]
	v_add_f64 v[15:16], v[15:16], v[25:26]
	s_waitcnt vmcnt(53) lgkmcnt(1)
	v_mul_f64 v[25:26], v[9:10], v[17:18]
	v_mul_f64 v[17:18], v[11:12], v[17:18]
	s_waitcnt vmcnt(52)
	v_fma_f64 v[92:93], v[1:2], v[104:105], -v[92:93]
	v_add_f64 v[13:14], v[13:14], v[90:91]
	v_fma_f64 v[90:91], v[3:4], v[104:105], v[106:107]
	v_add_f64 v[15:16], v[15:16], v[21:22]
	ds_read_b128 v[1:4], v89 offset:1600
	s_waitcnt vmcnt(51) lgkmcnt(1)
	v_mul_f64 v[21:22], v[5:6], v[37:38]
	v_mul_f64 v[37:38], v[7:8], v[37:38]
	s_waitcnt vmcnt(49)
	v_fma_f64 v[17:18], v[9:10], v[27:28], -v[17:18]
	v_fma_f64 v[25:26], v[11:12], v[27:28], v[25:26]
	v_add_f64 v[13:14], v[13:14], v[92:93]
	v_add_f64 v[15:16], v[15:16], v[90:91]
	s_clause 0x3
	buffer_load_dword v27, off, s[0:3], 0 offset:304
	buffer_load_dword v28, off, s[0:3], 0 offset:308
	;; [unrolled: 1-line block ×4, first 2 shown]
	ds_read_b128 v[9:12], v89 offset:1616
	s_waitcnt vmcnt(49) lgkmcnt(1)
	v_mul_f64 v[92:93], v[1:2], v[23:24]
	v_mul_f64 v[23:24], v[3:4], v[23:24]
	s_waitcnt vmcnt(48)
	v_fma_f64 v[37:38], v[5:6], v[98:99], -v[37:38]
	v_add_f64 v[13:14], v[13:14], v[17:18]
	v_fma_f64 v[17:18], v[7:8], v[98:99], v[21:22]
	v_add_f64 v[15:16], v[15:16], v[25:26]
	ds_read_b128 v[5:8], v89 offset:1632
	s_waitcnt vmcnt(47) lgkmcnt(1)
	v_mul_f64 v[25:26], v[11:12], v[43:44]
	v_mul_f64 v[21:22], v[9:10], v[43:44]
	s_waitcnt vmcnt(45)
	v_fma_f64 v[23:24], v[1:2], v[33:34], -v[23:24]
	v_fma_f64 v[33:34], v[3:4], v[33:34], v[92:93]
	ds_read_b128 v[1:4], v89 offset:1648
	v_add_f64 v[13:14], v[13:14], v[37:38]
	v_add_f64 v[15:16], v[15:16], v[17:18]
	s_waitcnt vmcnt(41) lgkmcnt(1)
	v_mul_f64 v[17:18], v[5:6], v[29:30]
	v_mul_f64 v[29:30], v[7:8], v[29:30]
	s_waitcnt vmcnt(40)
	v_fma_f64 v[25:26], v[9:10], v[45:46], -v[25:26]
	v_fma_f64 v[21:22], v[11:12], v[45:46], v[21:22]
	ds_read_b128 v[9:12], v89 offset:1664
	v_add_f64 v[13:14], v[13:14], v[23:24]
	v_add_f64 v[15:16], v[15:16], v[33:34]
	;; [unrolled: 9-line block ×3, first 2 shown]
	s_waitcnt vmcnt(33) lgkmcnt(1)
	v_mul_f64 v[25:26], v[11:12], v[35:36]
	s_waitcnt vmcnt(32)
	v_fma_f64 v[31:32], v[1:2], v[53:54], -v[33:34]
	v_mul_f64 v[21:22], v[9:10], v[35:36]
	v_fma_f64 v[23:24], v[3:4], v[53:54], v[23:24]
	ds_read_b128 v[1:4], v89 offset:1696
	v_add_f64 v[13:14], v[13:14], v[29:30]
	v_add_f64 v[15:16], v[15:16], v[17:18]
	s_waitcnt vmcnt(31) lgkmcnt(1)
	v_mul_f64 v[29:30], v[7:8], v[61:62]
	v_mul_f64 v[17:18], v[5:6], v[61:62]
	s_waitcnt vmcnt(29)
	v_fma_f64 v[25:26], v[9:10], v[39:40], -v[25:26]
	v_fma_f64 v[21:22], v[11:12], v[39:40], v[21:22]
	ds_read_b128 v[9:12], v89 offset:1712
	v_add_f64 v[13:14], v[13:14], v[31:32]
	v_add_f64 v[15:16], v[15:16], v[23:24]
	s_waitcnt vmcnt(25) lgkmcnt(1)
	v_mul_f64 v[31:32], v[3:4], v[41:42]
	s_waitcnt vmcnt(24)
	v_fma_f64 v[29:30], v[5:6], v[63:64], -v[29:30]
	v_mul_f64 v[23:24], v[1:2], v[41:42]
	v_fma_f64 v[17:18], v[7:8], v[63:64], v[17:18]
	ds_read_b128 v[5:8], v89 offset:1728
	v_add_f64 v[13:14], v[13:14], v[25:26]
	v_add_f64 v[15:16], v[15:16], v[21:22]
	s_waitcnt vmcnt(23) lgkmcnt(1)
	v_mul_f64 v[25:26], v[11:12], v[108:109]
	v_mul_f64 v[21:22], v[9:10], v[108:109]
	s_waitcnt vmcnt(21)
	v_fma_f64 v[31:32], v[1:2], v[47:48], -v[31:32]
	v_fma_f64 v[23:24], v[3:4], v[47:48], v[23:24]
	ds_read_b128 v[1:4], v89 offset:1744
	v_add_f64 v[13:14], v[13:14], v[29:30]
	v_add_f64 v[15:16], v[15:16], v[17:18]
	;; [unrolled: 18-line block ×3, first 2 shown]
	s_waitcnt vmcnt(9) lgkmcnt(1)
	v_mul_f64 v[25:26], v[11:12], v[100:101]
	s_waitcnt vmcnt(8)
	v_fma_f64 v[1:2], v[1:2], v[117:118], -v[31:32]
	v_mul_f64 v[21:22], v[9:10], v[100:101]
	v_fma_f64 v[3:4], v[3:4], v[117:118], v[23:24]
	v_add_f64 v[13:14], v[13:14], v[29:30]
	v_add_f64 v[15:16], v[15:16], v[17:18]
	s_waitcnt vmcnt(7) lgkmcnt(0)
	v_mul_f64 v[23:24], v[7:8], v[110:111]
	v_mul_f64 v[17:18], v[5:6], v[110:111]
	s_waitcnt vmcnt(5)
	v_fma_f64 v[9:10], v[9:10], v[19:20], -v[25:26]
	v_fma_f64 v[11:12], v[11:12], v[19:20], v[21:22]
	v_add_f64 v[1:2], v[13:14], v[1:2]
	v_add_f64 v[3:4], v[15:16], v[3:4]
	s_waitcnt vmcnt(4)
	v_fma_f64 v[5:6], v[5:6], v[114:115], -v[23:24]
	v_fma_f64 v[7:8], v[7:8], v[114:115], v[17:18]
	v_add_f64 v[1:2], v[1:2], v[9:10]
	v_add_f64 v[3:4], v[3:4], v[11:12]
	;; [unrolled: 1-line block ×4, first 2 shown]
	s_waitcnt vmcnt(2)
	v_add_f64 v[1:2], v[27:28], -v[1:2]
	s_waitcnt vmcnt(0)
	v_add_f64 v[3:4], v[90:91], -v[3:4]
	buffer_store_dword v2, off, s[0:3], 0 offset:308
	buffer_store_dword v1, off, s[0:3], 0 offset:304
	;; [unrolled: 1-line block ×4, first 2 shown]
	v_cmpx_lt_u32_e32 17, v0
	s_cbranch_execz .LBB55_315
; %bb.314:
	v_mov_b32_e32 v4, s51
	s_clause 0x3
	buffer_load_dword v1, v4, s[0:3], 0 offen
	buffer_load_dword v2, v4, s[0:3], 0 offen offset:4
	buffer_load_dword v3, v4, s[0:3], 0 offen offset:8
	;; [unrolled: 1-line block ×3, first 2 shown]
	buffer_store_dword v89, off, s[0:3], 0 offset:288
	buffer_store_dword v89, off, s[0:3], 0 offset:292
	;; [unrolled: 1-line block ×4, first 2 shown]
	s_waitcnt vmcnt(0)
	ds_write_b128 v97, v[1:4]
.LBB55_315:
	s_or_b32 exec_lo, exec_lo, s4
	s_waitcnt lgkmcnt(0)
	s_waitcnt_vscnt null, 0x0
	s_barrier
	buffer_gl0_inv
	s_clause 0x37
	buffer_load_dword v9, off, s[0:3], 0 offset:312
	buffer_load_dword v10, off, s[0:3], 0 offset:316
	;; [unrolled: 1-line block ×56, first 2 shown]
	ds_read_b128 v[90:93], v89 offset:1184
	s_clause 0x2
	buffer_load_dword v62, off, s[0:3], 0 offset:540
	buffer_load_dword v64, off, s[0:3], 0 offset:516
	;; [unrolled: 1-line block ×3, first 2 shown]
	ds_read_b128 v[98:101], v89 offset:1200
	s_clause 0x4
	buffer_load_dword v107, off, s[0:3], 0 offset:556
	buffer_load_dword v108, off, s[0:3], 0 offset:568
	;; [unrolled: 1-line block ×5, first 2 shown]
	ds_read_b128 v[102:105], v89 offset:1216
	s_clause 0x2
	buffer_load_dword v109, off, s[0:3], 0 offset:572
	buffer_load_dword v114, off, s[0:3], 0 offset:548
	;; [unrolled: 1-line block ×3, first 2 shown]
	s_mov_b32 s4, exec_lo
	s_waitcnt vmcnt(62) lgkmcnt(2)
	v_mul_f64 v[94:95], v[92:93], v[9:10]
	v_mul_f64 v[9:10], v[90:91], v[9:10]
	s_waitcnt lgkmcnt(1)
	v_mul_f64 v[111:112], v[100:101], v[5:6]
	s_waitcnt vmcnt(59) lgkmcnt(0)
	v_mul_f64 v[115:116], v[104:105], v[3:4]
	v_fma_f64 v[90:91], v[90:91], v[7:8], -v[94:95]
	v_mul_f64 v[94:95], v[98:99], v[5:6]
	v_fma_f64 v[9:10], v[92:93], v[7:8], v[9:10]
	s_waitcnt vmcnt(57)
	v_fma_f64 v[98:99], v[98:99], v[1:2], -v[111:112]
	ds_read_b128 v[5:8], v89 offset:1232
	v_mul_f64 v[92:93], v[102:103], v[3:4]
	s_waitcnt vmcnt(51)
	v_fma_f64 v[102:103], v[102:103], v[25:26], -v[115:116]
	v_add_f64 v[90:91], v[90:91], 0
	v_fma_f64 v[94:95], v[100:101], v[1:2], v[94:95]
	v_add_f64 v[9:10], v[9:10], 0
	s_clause 0x4
	buffer_load_dword v101, off, s[0:3], 0 offset:588
	buffer_load_dword v117, off, s[0:3], 0 offset:600
	;; [unrolled: 1-line block ×5, first 2 shown]
	s_waitcnt lgkmcnt(0)
	v_mul_f64 v[120:121], v[5:6], v[13:14]
	v_mul_f64 v[13:14], v[7:8], v[13:14]
	ds_read_b128 v[1:4], v89 offset:1248
	v_fma_f64 v[25:26], v[104:105], v[25:26], v[92:93]
	v_add_f64 v[98:99], v[90:91], v[98:99]
	v_add_f64 v[9:10], v[9:10], v[94:95]
	s_clause 0x2
	buffer_load_dword v118, off, s[0:3], 0 offset:604
	buffer_load_dword v95, off, s[0:3], 0 offset:580
	;; [unrolled: 1-line block ×3, first 2 shown]
	s_waitcnt vmcnt(58) lgkmcnt(0)
	v_mul_f64 v[104:105], v[1:2], v[17:18]
	v_mul_f64 v[17:18], v[3:4], v[17:18]
	s_waitcnt vmcnt(56)
	v_fma_f64 v[13:14], v[5:6], v[19:20], -v[13:14]
	ds_read_b128 v[90:93], v89 offset:1264
	v_fma_f64 v[19:20], v[7:8], v[19:20], v[120:121]
	v_add_f64 v[98:99], v[98:99], v[102:103]
	v_add_f64 v[9:10], v[9:10], v[25:26]
	s_clause 0x4
	buffer_load_dword v26, off, s[0:3], 0 offset:620
	buffer_load_dword v102, off, s[0:3], 0 offset:632
	;; [unrolled: 1-line block ×5, first 2 shown]
	ds_read_b128 v[5:8], v89 offset:1280
	s_waitcnt vmcnt(57) lgkmcnt(1)
	v_mul_f64 v[121:122], v[90:91], v[21:22]
	v_mul_f64 v[21:22], v[92:93], v[21:22]
	s_waitcnt vmcnt(56)
	v_fma_f64 v[17:18], v[1:2], v[11:12], -v[17:18]
	v_fma_f64 v[11:12], v[3:4], v[11:12], v[104:105]
	v_add_f64 v[13:14], v[98:99], v[13:14]
	v_add_f64 v[9:10], v[9:10], v[19:20]
	s_clause 0x2
	buffer_load_dword v103, off, s[0:3], 0 offset:636
	buffer_load_dword v20, off, s[0:3], 0 offset:612
	buffer_load_dword v19, off, s[0:3], 0 offset:608
	s_waitcnt vmcnt(58) lgkmcnt(0)
	v_mul_f64 v[98:99], v[5:6], v[27:28]
	v_mul_f64 v[27:28], v[7:8], v[27:28]
	s_waitcnt vmcnt(56)
	v_fma_f64 v[21:22], v[90:91], v[29:30], -v[21:22]
	ds_read_b128 v[1:4], v89 offset:1296
	v_add_f64 v[13:14], v[13:14], v[17:18]
	v_fma_f64 v[17:18], v[92:93], v[29:30], v[121:122]
	v_add_f64 v[29:30], v[9:10], v[11:12]
	s_clause 0x4
	buffer_load_dword v91, off, s[0:3], 0 offset:652
	buffer_load_dword v92, off, s[0:3], 0 offset:664
	;; [unrolled: 1-line block ×5, first 2 shown]
	ds_read_b128 v[9:12], v89 offset:1312
	s_waitcnt vmcnt(57) lgkmcnt(1)
	v_mul_f64 v[121:122], v[1:2], v[31:32]
	v_mul_f64 v[31:32], v[3:4], v[31:32]
	s_waitcnt vmcnt(56)
	v_fma_f64 v[27:28], v[5:6], v[15:16], -v[27:28]
	v_fma_f64 v[15:16], v[7:8], v[15:16], v[98:99]
	v_add_f64 v[13:14], v[13:14], v[21:22]
	s_clause 0x2
	buffer_load_dword v93, off, s[0:3], 0 offset:668
	buffer_load_dword v22, off, s[0:3], 0 offset:644
	;; [unrolled: 1-line block ×3, first 2 shown]
	v_add_f64 v[17:18], v[29:30], v[17:18]
	s_waitcnt vmcnt(58) lgkmcnt(0)
	v_mul_f64 v[29:30], v[9:10], v[35:36]
	v_mul_f64 v[35:36], v[11:12], v[35:36]
	ds_read_b128 v[5:8], v89 offset:1328
	s_waitcnt vmcnt(56)
	v_fma_f64 v[31:32], v[1:2], v[37:38], -v[31:32]
	v_add_f64 v[13:14], v[13:14], v[27:28]
	v_fma_f64 v[27:28], v[3:4], v[37:38], v[121:122]
	v_add_f64 v[15:16], v[17:18], v[15:16]
	s_clause 0x4
	buffer_load_dword v18, off, s[0:3], 0 offset:684
	buffer_load_dword v37, off, s[0:3], 0 offset:696
	;; [unrolled: 1-line block ×5, first 2 shown]
	s_waitcnt vmcnt(57) lgkmcnt(0)
	v_mul_f64 v[121:122], v[5:6], v[39:40]
	v_mul_f64 v[39:40], v[7:8], v[39:40]
	s_waitcnt vmcnt(56)
	v_fma_f64 v[35:36], v[9:10], v[23:24], -v[35:36]
	ds_read_b128 v[1:4], v89 offset:1344
	v_fma_f64 v[23:24], v[11:12], v[23:24], v[29:30]
	v_add_f64 v[13:14], v[13:14], v[31:32]
	v_add_f64 v[15:16], v[15:16], v[27:28]
	s_clause 0x2
	buffer_load_dword v38, off, s[0:3], 0 offset:700
	buffer_load_dword v28, off, s[0:3], 0 offset:676
	;; [unrolled: 1-line block ×3, first 2 shown]
	ds_read_b128 v[9:12], v89 offset:1360
	s_waitcnt vmcnt(58) lgkmcnt(1)
	v_mul_f64 v[31:32], v[3:4], v[43:44]
	s_waitcnt vmcnt(56)
	v_fma_f64 v[39:40], v[5:6], v[45:46], -v[39:40]
	v_mul_f64 v[29:30], v[1:2], v[43:44]
	v_add_f64 v[13:14], v[13:14], v[35:36]
	v_fma_f64 v[35:36], v[7:8], v[45:46], v[121:122]
	v_add_f64 v[15:16], v[15:16], v[23:24]
	s_clause 0x4
	buffer_load_dword v24, off, s[0:3], 0 offset:716
	buffer_load_dword v43, off, s[0:3], 0 offset:728
	;; [unrolled: 1-line block ×5, first 2 shown]
	s_waitcnt vmcnt(57) lgkmcnt(0)
	v_mul_f64 v[121:122], v[9:10], v[47:48]
	v_mul_f64 v[46:47], v[11:12], v[47:48]
	s_waitcnt vmcnt(56)
	v_fma_f64 v[31:32], v[1:2], v[33:34], -v[31:32]
	ds_read_b128 v[5:8], v89 offset:1376
	v_fma_f64 v[29:30], v[3:4], v[33:34], v[29:30]
	s_clause 0x2
	buffer_load_dword v44, off, s[0:3], 0 offset:732
	buffer_load_dword v34, off, s[0:3], 0 offset:708
	;; [unrolled: 1-line block ×3, first 2 shown]
	ds_read_b128 v[1:4], v89 offset:1392
	v_add_f64 v[13:14], v[13:14], v[39:40]
	v_add_f64 v[15:16], v[15:16], v[35:36]
	s_waitcnt vmcnt(58) lgkmcnt(1)
	v_mul_f64 v[39:40], v[7:8], v[51:52]
	s_waitcnt vmcnt(56)
	v_fma_f64 v[47:48], v[9:10], v[53:54], -v[46:47]
	v_mul_f64 v[35:36], v[5:6], v[51:52]
	v_add_f64 v[13:14], v[13:14], v[31:32]
	v_fma_f64 v[31:32], v[11:12], v[53:54], v[121:122]
	v_add_f64 v[15:16], v[15:16], v[29:30]
	s_clause 0x4
	buffer_load_dword v30, off, s[0:3], 0 offset:748
	buffer_load_dword v51, off, s[0:3], 0 offset:760
	;; [unrolled: 1-line block ×5, first 2 shown]
	s_waitcnt vmcnt(57) lgkmcnt(0)
	v_mul_f64 v[121:122], v[1:2], v[55:56]
	v_mul_f64 v[54:55], v[3:4], v[55:56]
	s_waitcnt vmcnt(56)
	v_fma_f64 v[39:40], v[5:6], v[41:42], -v[39:40]
	ds_read_b128 v[9:12], v89 offset:1408
	v_fma_f64 v[35:36], v[7:8], v[41:42], v[35:36]
	v_add_f64 v[13:14], v[13:14], v[47:48]
	v_add_f64 v[15:16], v[15:16], v[31:32]
	s_clause 0x2
	buffer_load_dword v52, off, s[0:3], 0 offset:764
	buffer_load_dword v32, off, s[0:3], 0 offset:740
	;; [unrolled: 1-line block ×3, first 2 shown]
	ds_read_b128 v[5:8], v89 offset:1424
	s_waitcnt vmcnt(58) lgkmcnt(1)
	v_mul_f64 v[47:48], v[11:12], v[61:62]
	s_waitcnt vmcnt(56)
	v_fma_f64 v[55:56], v[1:2], v[63:64], -v[54:55]
	v_mul_f64 v[41:42], v[9:10], v[61:62]
	v_add_f64 v[13:14], v[13:14], v[39:40]
	v_fma_f64 v[39:40], v[3:4], v[63:64], v[121:122]
	v_add_f64 v[15:16], v[15:16], v[35:36]
	s_clause 0x4
	buffer_load_dword v36, off, s[0:3], 0 offset:780
	buffer_load_dword v61, off, s[0:3], 0 offset:792
	buffer_load_dword v63, off, s[0:3], 0 offset:784
	buffer_load_dword v35, off, s[0:3], 0 offset:776
	buffer_load_dword v54, off, s[0:3], 0 offset:756
	s_waitcnt vmcnt(57) lgkmcnt(0)
	v_mul_f64 v[121:122], v[5:6], v[106:107]
	v_mul_f64 v[106:107], v[7:8], v[106:107]
	s_waitcnt vmcnt(56)
	v_fma_f64 v[47:48], v[9:10], v[49:50], -v[47:48]
	ds_read_b128 v[1:4], v89 offset:1440
	v_fma_f64 v[41:42], v[11:12], v[49:50], v[41:42]
	v_add_f64 v[13:14], v[13:14], v[55:56]
	v_add_f64 v[15:16], v[15:16], v[39:40]
	s_clause 0x2
	buffer_load_dword v62, off, s[0:3], 0 offset:796
	buffer_load_dword v40, off, s[0:3], 0 offset:772
	;; [unrolled: 1-line block ×3, first 2 shown]
	ds_read_b128 v[9:12], v89 offset:1456
	s_waitcnt vmcnt(58) lgkmcnt(1)
	v_mul_f64 v[55:56], v[3:4], v[108:109]
	s_waitcnt vmcnt(56)
	v_fma_f64 v[106:107], v[5:6], v[113:114], -v[106:107]
	v_mul_f64 v[49:50], v[1:2], v[108:109]
	v_add_f64 v[13:14], v[13:14], v[47:48]
	v_fma_f64 v[47:48], v[7:8], v[113:114], v[121:122]
	v_add_f64 v[15:16], v[15:16], v[41:42]
	s_clause 0x4
	buffer_load_dword v42, off, s[0:3], 0 offset:812
	buffer_load_dword v108, off, s[0:3], 0 offset:824
	;; [unrolled: 1-line block ×5, first 2 shown]
	ds_read_b128 v[5:8], v89 offset:1472
	s_waitcnt vmcnt(57) lgkmcnt(1)
	v_mul_f64 v[113:114], v[9:10], v[100:101]
	v_mul_f64 v[100:101], v[11:12], v[100:101]
	s_waitcnt vmcnt(56)
	v_fma_f64 v[55:56], v[1:2], v[110:111], -v[55:56]
	v_fma_f64 v[49:50], v[3:4], v[110:111], v[49:50]
	v_add_f64 v[13:14], v[13:14], v[106:107]
	v_add_f64 v[15:16], v[15:16], v[47:48]
	s_clause 0x2
	buffer_load_dword v109, off, s[0:3], 0 offset:828
	buffer_load_dword v48, off, s[0:3], 0 offset:804
	;; [unrolled: 1-line block ×3, first 2 shown]
	ds_read_b128 v[1:4], v89 offset:1488
	s_waitcnt vmcnt(58) lgkmcnt(1)
	v_mul_f64 v[110:111], v[7:8], v[117:118]
	v_mul_f64 v[106:107], v[5:6], v[117:118]
	s_waitcnt vmcnt(56)
	v_fma_f64 v[100:101], v[9:10], v[94:95], -v[100:101]
	v_add_f64 v[13:14], v[13:14], v[55:56]
	v_fma_f64 v[55:56], v[11:12], v[94:95], v[113:114]
	v_add_f64 v[15:16], v[15:16], v[49:50]
	s_clause 0x4
	buffer_load_dword v50, off, s[0:3], 0 offset:844
	buffer_load_dword v94, off, s[0:3], 0 offset:856
	;; [unrolled: 1-line block ×5, first 2 shown]
	ds_read_b128 v[9:12], v89 offset:1504
	s_waitcnt vmcnt(57) lgkmcnt(1)
	v_mul_f64 v[121:122], v[1:2], v[25:26]
	v_mul_f64 v[25:26], v[3:4], v[25:26]
	s_waitcnt vmcnt(56)
	v_fma_f64 v[110:111], v[5:6], v[119:120], -v[110:111]
	v_add_f64 v[13:14], v[13:14], v[100:101]
	v_fma_f64 v[100:101], v[7:8], v[119:120], v[106:107]
	v_add_f64 v[15:16], v[15:16], v[55:56]
	s_clause 0x2
	buffer_load_dword v95, off, s[0:3], 0 offset:860
	buffer_load_dword v56, off, s[0:3], 0 offset:836
	;; [unrolled: 1-line block ×3, first 2 shown]
	ds_read_b128 v[5:8], v89 offset:1520
	s_waitcnt vmcnt(58) lgkmcnt(1)
	v_mul_f64 v[106:107], v[9:10], v[102:103]
	v_mul_f64 v[102:103], v[11:12], v[102:103]
	s_waitcnt vmcnt(56)
	v_fma_f64 v[25:26], v[1:2], v[19:20], -v[25:26]
	v_fma_f64 v[19:20], v[3:4], v[19:20], v[121:122]
	v_add_f64 v[13:14], v[13:14], v[110:111]
	v_add_f64 v[15:16], v[15:16], v[100:101]
	s_clause 0x4
	buffer_load_dword v101, off, s[0:3], 0 offset:876
	buffer_load_dword v110, off, s[0:3], 0 offset:888
	;; [unrolled: 1-line block ×5, first 2 shown]
	ds_read_b128 v[1:4], v89 offset:1536
	s_waitcnt vmcnt(57) lgkmcnt(1)
	v_mul_f64 v[119:120], v[5:6], v[90:91]
	v_mul_f64 v[90:91], v[7:8], v[90:91]
	s_waitcnt vmcnt(56)
	v_fma_f64 v[102:103], v[9:10], v[115:116], -v[102:103]
	v_add_f64 v[13:14], v[13:14], v[25:26]
	v_fma_f64 v[25:26], v[11:12], v[115:116], v[106:107]
	v_add_f64 v[15:16], v[15:16], v[19:20]
	s_clause 0x2
	buffer_load_dword v111, off, s[0:3], 0 offset:892
	buffer_load_dword v20, off, s[0:3], 0 offset:868
	;; [unrolled: 1-line block ×3, first 2 shown]
	ds_read_b128 v[9:12], v89 offset:1552
	s_waitcnt vmcnt(58) lgkmcnt(1)
	v_mul_f64 v[106:107], v[1:2], v[92:93]
	v_mul_f64 v[92:93], v[3:4], v[92:93]
	s_waitcnt vmcnt(56)
	v_fma_f64 v[90:91], v[5:6], v[21:22], -v[90:91]
	v_fma_f64 v[21:22], v[7:8], v[21:22], v[119:120]
	v_add_f64 v[13:14], v[13:14], v[102:103]
	v_add_f64 v[15:16], v[15:16], v[25:26]
	s_clause 0x2
	buffer_load_dword v26, off, s[0:3], 0 offset:908
	buffer_load_dword v25, off, s[0:3], 0 offset:904
	;; [unrolled: 1-line block ×3, first 2 shown]
	ds_read_b128 v[5:8], v89 offset:1568
	s_waitcnt vmcnt(55) lgkmcnt(1)
	v_mul_f64 v[102:103], v[9:10], v[17:18]
	v_mul_f64 v[17:18], v[11:12], v[17:18]
	s_waitcnt vmcnt(54)
	v_fma_f64 v[92:93], v[1:2], v[104:105], -v[92:93]
	v_add_f64 v[13:14], v[13:14], v[90:91]
	v_fma_f64 v[90:91], v[3:4], v[104:105], v[106:107]
	v_add_f64 v[15:16], v[15:16], v[21:22]
	s_clause 0x1
	buffer_load_dword v22, off, s[0:3], 0 offset:900
	buffer_load_dword v21, off, s[0:3], 0 offset:896
	ds_read_b128 v[1:4], v89 offset:1584
	s_waitcnt vmcnt(55) lgkmcnt(1)
	v_mul_f64 v[104:105], v[5:6], v[37:38]
	v_mul_f64 v[37:38], v[7:8], v[37:38]
	s_waitcnt vmcnt(53)
	v_fma_f64 v[17:18], v[9:10], v[27:28], -v[17:18]
	v_fma_f64 v[27:28], v[11:12], v[27:28], v[102:103]
	ds_read_b128 v[9:12], v89 offset:1600
	v_add_f64 v[13:14], v[13:14], v[92:93]
	v_add_f64 v[15:16], v[15:16], v[90:91]
	s_waitcnt vmcnt(49) lgkmcnt(1)
	v_mul_f64 v[90:91], v[1:2], v[23:24]
	v_mul_f64 v[23:24], v[3:4], v[23:24]
	s_waitcnt vmcnt(48)
	v_fma_f64 v[37:38], v[5:6], v[98:99], -v[37:38]
	v_add_f64 v[13:14], v[13:14], v[17:18]
	v_fma_f64 v[17:18], v[7:8], v[98:99], v[104:105]
	v_add_f64 v[15:16], v[15:16], v[27:28]
	s_clause 0x3
	buffer_load_dword v27, off, s[0:3], 0 offset:288
	buffer_load_dword v28, off, s[0:3], 0 offset:292
	;; [unrolled: 1-line block ×4, first 2 shown]
	s_waitcnt vmcnt(51) lgkmcnt(0)
	v_mul_f64 v[98:99], v[9:10], v[43:44]
	v_mul_f64 v[43:44], v[11:12], v[43:44]
	ds_read_b128 v[5:8], v89 offset:1616
	s_waitcnt vmcnt(49)
	v_fma_f64 v[23:24], v[1:2], v[33:34], -v[23:24]
	v_fma_f64 v[33:34], v[3:4], v[33:34], v[90:91]
	ds_read_b128 v[1:4], v89 offset:1632
	v_add_f64 v[13:14], v[13:14], v[37:38]
	v_add_f64 v[15:16], v[15:16], v[17:18]
	s_waitcnt vmcnt(45) lgkmcnt(1)
	v_mul_f64 v[17:18], v[5:6], v[29:30]
	v_mul_f64 v[29:30], v[7:8], v[29:30]
	s_waitcnt vmcnt(44)
	v_fma_f64 v[37:38], v[9:10], v[45:46], -v[43:44]
	v_add_f64 v[13:14], v[13:14], v[23:24]
	v_fma_f64 v[23:24], v[11:12], v[45:46], v[98:99]
	v_add_f64 v[15:16], v[15:16], v[33:34]
	ds_read_b128 v[9:12], v89 offset:1648
	s_waitcnt vmcnt(43) lgkmcnt(1)
	v_mul_f64 v[43:44], v[3:4], v[51:52]
	v_mul_f64 v[33:34], v[1:2], v[51:52]
	s_waitcnt vmcnt(41)
	v_fma_f64 v[29:30], v[5:6], v[31:32], -v[29:30]
	v_fma_f64 v[17:18], v[7:8], v[31:32], v[17:18]
	ds_read_b128 v[5:8], v89 offset:1664
	v_add_f64 v[13:14], v[13:14], v[37:38]
	v_add_f64 v[15:16], v[15:16], v[23:24]
	s_waitcnt vmcnt(37) lgkmcnt(1)
	v_mul_f64 v[23:24], v[9:10], v[35:36]
	v_mul_f64 v[31:32], v[11:12], v[35:36]
	s_waitcnt vmcnt(36)
	v_fma_f64 v[35:36], v[1:2], v[53:54], -v[43:44]
	v_add_f64 v[13:14], v[13:14], v[29:30]
	v_fma_f64 v[29:30], v[3:4], v[53:54], v[33:34]
	v_add_f64 v[15:16], v[15:16], v[17:18]
	ds_read_b128 v[1:4], v89 offset:1680
	s_waitcnt vmcnt(35) lgkmcnt(1)
	v_mul_f64 v[33:34], v[7:8], v[61:62]
	v_mul_f64 v[17:18], v[5:6], v[61:62]
	s_waitcnt vmcnt(33)
	v_fma_f64 v[31:32], v[9:10], v[39:40], -v[31:32]
	v_fma_f64 v[23:24], v[11:12], v[39:40], v[23:24]
	ds_read_b128 v[9:12], v89 offset:1696
	v_add_f64 v[13:14], v[13:14], v[35:36]
	v_add_f64 v[15:16], v[15:16], v[29:30]
	s_waitcnt vmcnt(29) lgkmcnt(1)
	v_mul_f64 v[35:36], v[3:4], v[41:42]
	s_waitcnt vmcnt(28)
	v_fma_f64 v[33:34], v[5:6], v[63:64], -v[33:34]
	v_mul_f64 v[29:30], v[1:2], v[41:42]
	v_fma_f64 v[17:18], v[7:8], v[63:64], v[17:18]
	ds_read_b128 v[5:8], v89 offset:1712
	v_add_f64 v[13:14], v[13:14], v[31:32]
	v_add_f64 v[15:16], v[15:16], v[23:24]
	s_waitcnt vmcnt(27) lgkmcnt(1)
	v_mul_f64 v[31:32], v[11:12], v[108:109]
	v_mul_f64 v[23:24], v[9:10], v[108:109]
	s_waitcnt vmcnt(25)
	v_fma_f64 v[35:36], v[1:2], v[47:48], -v[35:36]
	v_fma_f64 v[29:30], v[3:4], v[47:48], v[29:30]
	ds_read_b128 v[1:4], v89 offset:1728
	v_add_f64 v[13:14], v[13:14], v[33:34]
	v_add_f64 v[15:16], v[15:16], v[17:18]
	s_waitcnt vmcnt(21) lgkmcnt(1)
	v_mul_f64 v[33:34], v[7:8], v[49:50]
	s_waitcnt vmcnt(20)
	v_fma_f64 v[31:32], v[9:10], v[112:113], -v[31:32]
	v_mul_f64 v[17:18], v[5:6], v[49:50]
	v_fma_f64 v[23:24], v[11:12], v[112:113], v[23:24]
	ds_read_b128 v[9:12], v89 offset:1744
	v_add_f64 v[13:14], v[13:14], v[35:36]
	v_add_f64 v[15:16], v[15:16], v[29:30]
	;; [unrolled: 18-line block ×3, first 2 shown]
	s_waitcnt vmcnt(11) lgkmcnt(1)
	v_mul_f64 v[33:34], v[7:8], v[110:111]
	v_mul_f64 v[17:18], v[5:6], v[110:111]
	s_waitcnt vmcnt(9)
	v_fma_f64 v[9:10], v[9:10], v[19:20], -v[31:32]
	v_fma_f64 v[11:12], v[11:12], v[19:20], v[23:24]
	v_add_f64 v[13:14], v[13:14], v[35:36]
	v_add_f64 v[15:16], v[15:16], v[29:30]
	s_waitcnt vmcnt(7) lgkmcnt(0)
	v_mul_f64 v[23:24], v[3:4], v[25:26]
	s_waitcnt vmcnt(6)
	v_fma_f64 v[5:6], v[5:6], v[114:115], -v[33:34]
	v_mul_f64 v[19:20], v[1:2], v[25:26]
	v_fma_f64 v[7:8], v[7:8], v[114:115], v[17:18]
	v_add_f64 v[9:10], v[13:14], v[9:10]
	v_add_f64 v[11:12], v[15:16], v[11:12]
	s_waitcnt vmcnt(4)
	v_fma_f64 v[1:2], v[1:2], v[21:22], -v[23:24]
	v_fma_f64 v[3:4], v[3:4], v[21:22], v[19:20]
	v_add_f64 v[5:6], v[9:10], v[5:6]
	v_add_f64 v[7:8], v[11:12], v[7:8]
	;; [unrolled: 1-line block ×4, first 2 shown]
	s_waitcnt vmcnt(2)
	v_add_f64 v[1:2], v[27:28], -v[1:2]
	s_waitcnt vmcnt(0)
	v_add_f64 v[3:4], v[92:93], -v[3:4]
	buffer_store_dword v2, off, s[0:3], 0 offset:292
	buffer_store_dword v1, off, s[0:3], 0 offset:288
	;; [unrolled: 1-line block ×4, first 2 shown]
	v_cmpx_lt_u32_e32 16, v0
	s_cbranch_execz .LBB55_317
; %bb.316:
	v_mov_b32_e32 v4, s52
	v_mov_b32_e32 v5, 0
	s_clause 0x3
	buffer_load_dword v1, v4, s[0:3], 0 offen
	buffer_load_dword v2, v4, s[0:3], 0 offen offset:4
	buffer_load_dword v3, v4, s[0:3], 0 offen offset:8
	;; [unrolled: 1-line block ×3, first 2 shown]
	buffer_store_dword v5, off, s[0:3], 0 offset:272
	buffer_store_dword v5, off, s[0:3], 0 offset:276
	;; [unrolled: 1-line block ×4, first 2 shown]
	s_waitcnt vmcnt(0)
	ds_write_b128 v97, v[1:4]
.LBB55_317:
	s_or_b32 exec_lo, exec_lo, s4
	s_waitcnt lgkmcnt(0)
	s_waitcnt_vscnt null, 0x0
	s_barrier
	buffer_gl0_inv
	s_clause 0x37
	buffer_load_dword v9, off, s[0:3], 0 offset:296
	buffer_load_dword v10, off, s[0:3], 0 offset:300
	;; [unrolled: 1-line block ×56, first 2 shown]
	v_mov_b32_e32 v89, 0
	s_mov_b32 s4, exec_lo
	ds_read_b128 v[90:93], v89 offset:1168
	s_clause 0x2
	buffer_load_dword v62, off, s[0:3], 0 offset:524
	buffer_load_dword v64, off, s[0:3], 0 offset:500
	;; [unrolled: 1-line block ×3, first 2 shown]
	ds_read_b128 v[98:101], v89 offset:1184
	s_clause 0x4
	buffer_load_dword v107, off, s[0:3], 0 offset:540
	buffer_load_dword v108, off, s[0:3], 0 offset:552
	buffer_load_dword v110, off, s[0:3], 0 offset:544
	buffer_load_dword v106, off, s[0:3], 0 offset:536
	buffer_load_dword v50, off, s[0:3], 0 offset:516
	ds_read_b128 v[102:105], v89 offset:1200
	s_clause 0x2
	buffer_load_dword v109, off, s[0:3], 0 offset:556
	buffer_load_dword v114, off, s[0:3], 0 offset:532
	;; [unrolled: 1-line block ×3, first 2 shown]
	s_waitcnt vmcnt(62) lgkmcnt(2)
	v_mul_f64 v[94:95], v[92:93], v[9:10]
	v_mul_f64 v[9:10], v[90:91], v[9:10]
	s_waitcnt lgkmcnt(1)
	v_mul_f64 v[111:112], v[100:101], v[5:6]
	s_waitcnt vmcnt(59) lgkmcnt(0)
	v_mul_f64 v[115:116], v[104:105], v[3:4]
	v_fma_f64 v[90:91], v[90:91], v[7:8], -v[94:95]
	v_mul_f64 v[94:95], v[98:99], v[5:6]
	v_fma_f64 v[9:10], v[92:93], v[7:8], v[9:10]
	s_waitcnt vmcnt(57)
	v_fma_f64 v[98:99], v[98:99], v[1:2], -v[111:112]
	ds_read_b128 v[5:8], v89 offset:1216
	v_mul_f64 v[92:93], v[102:103], v[3:4]
	s_waitcnt vmcnt(51)
	v_fma_f64 v[102:103], v[102:103], v[25:26], -v[115:116]
	v_add_f64 v[90:91], v[90:91], 0
	v_fma_f64 v[94:95], v[100:101], v[1:2], v[94:95]
	v_add_f64 v[9:10], v[9:10], 0
	s_clause 0x4
	buffer_load_dword v101, off, s[0:3], 0 offset:572
	buffer_load_dword v117, off, s[0:3], 0 offset:584
	;; [unrolled: 1-line block ×5, first 2 shown]
	s_waitcnt lgkmcnt(0)
	v_mul_f64 v[120:121], v[5:6], v[13:14]
	v_mul_f64 v[13:14], v[7:8], v[13:14]
	ds_read_b128 v[1:4], v89 offset:1232
	v_fma_f64 v[25:26], v[104:105], v[25:26], v[92:93]
	v_add_f64 v[98:99], v[90:91], v[98:99]
	v_add_f64 v[9:10], v[9:10], v[94:95]
	s_clause 0x2
	buffer_load_dword v118, off, s[0:3], 0 offset:588
	buffer_load_dword v95, off, s[0:3], 0 offset:564
	;; [unrolled: 1-line block ×3, first 2 shown]
	s_waitcnt vmcnt(58) lgkmcnt(0)
	v_mul_f64 v[104:105], v[1:2], v[17:18]
	v_mul_f64 v[17:18], v[3:4], v[17:18]
	s_waitcnt vmcnt(56)
	v_fma_f64 v[13:14], v[5:6], v[19:20], -v[13:14]
	ds_read_b128 v[90:93], v89 offset:1248
	v_fma_f64 v[19:20], v[7:8], v[19:20], v[120:121]
	v_add_f64 v[98:99], v[98:99], v[102:103]
	v_add_f64 v[9:10], v[9:10], v[25:26]
	s_clause 0x4
	buffer_load_dword v26, off, s[0:3], 0 offset:604
	buffer_load_dword v102, off, s[0:3], 0 offset:616
	;; [unrolled: 1-line block ×5, first 2 shown]
	ds_read_b128 v[5:8], v89 offset:1264
	s_waitcnt vmcnt(57) lgkmcnt(1)
	v_mul_f64 v[121:122], v[90:91], v[21:22]
	v_mul_f64 v[21:22], v[92:93], v[21:22]
	s_waitcnt vmcnt(56)
	v_fma_f64 v[17:18], v[1:2], v[11:12], -v[17:18]
	v_fma_f64 v[11:12], v[3:4], v[11:12], v[104:105]
	v_add_f64 v[13:14], v[98:99], v[13:14]
	v_add_f64 v[9:10], v[9:10], v[19:20]
	s_clause 0x2
	buffer_load_dword v103, off, s[0:3], 0 offset:620
	buffer_load_dword v20, off, s[0:3], 0 offset:596
	;; [unrolled: 1-line block ×3, first 2 shown]
	s_waitcnt vmcnt(58) lgkmcnt(0)
	v_mul_f64 v[98:99], v[5:6], v[27:28]
	v_mul_f64 v[27:28], v[7:8], v[27:28]
	s_waitcnt vmcnt(56)
	v_fma_f64 v[21:22], v[90:91], v[29:30], -v[21:22]
	ds_read_b128 v[1:4], v89 offset:1280
	v_add_f64 v[13:14], v[13:14], v[17:18]
	v_fma_f64 v[17:18], v[92:93], v[29:30], v[121:122]
	v_add_f64 v[29:30], v[9:10], v[11:12]
	s_clause 0x4
	buffer_load_dword v91, off, s[0:3], 0 offset:636
	buffer_load_dword v92, off, s[0:3], 0 offset:648
	buffer_load_dword v104, off, s[0:3], 0 offset:640
	buffer_load_dword v90, off, s[0:3], 0 offset:632
	buffer_load_dword v116, off, s[0:3], 0 offset:612
	ds_read_b128 v[9:12], v89 offset:1296
	s_waitcnt vmcnt(57) lgkmcnt(1)
	v_mul_f64 v[121:122], v[1:2], v[31:32]
	v_mul_f64 v[31:32], v[3:4], v[31:32]
	s_waitcnt vmcnt(56)
	v_fma_f64 v[27:28], v[5:6], v[15:16], -v[27:28]
	v_fma_f64 v[15:16], v[7:8], v[15:16], v[98:99]
	v_add_f64 v[13:14], v[13:14], v[21:22]
	s_clause 0x2
	buffer_load_dword v93, off, s[0:3], 0 offset:652
	buffer_load_dword v22, off, s[0:3], 0 offset:628
	buffer_load_dword v21, off, s[0:3], 0 offset:624
	v_add_f64 v[17:18], v[29:30], v[17:18]
	s_waitcnt vmcnt(58) lgkmcnt(0)
	v_mul_f64 v[29:30], v[9:10], v[35:36]
	v_mul_f64 v[35:36], v[11:12], v[35:36]
	ds_read_b128 v[5:8], v89 offset:1312
	s_waitcnt vmcnt(56)
	v_fma_f64 v[31:32], v[1:2], v[37:38], -v[31:32]
	v_add_f64 v[13:14], v[13:14], v[27:28]
	v_fma_f64 v[27:28], v[3:4], v[37:38], v[121:122]
	v_add_f64 v[15:16], v[17:18], v[15:16]
	s_clause 0x4
	buffer_load_dword v18, off, s[0:3], 0 offset:668
	buffer_load_dword v37, off, s[0:3], 0 offset:680
	;; [unrolled: 1-line block ×5, first 2 shown]
	s_waitcnt vmcnt(57) lgkmcnt(0)
	v_mul_f64 v[121:122], v[5:6], v[39:40]
	v_mul_f64 v[39:40], v[7:8], v[39:40]
	s_waitcnt vmcnt(56)
	v_fma_f64 v[35:36], v[9:10], v[23:24], -v[35:36]
	ds_read_b128 v[1:4], v89 offset:1328
	v_fma_f64 v[23:24], v[11:12], v[23:24], v[29:30]
	v_add_f64 v[13:14], v[13:14], v[31:32]
	v_add_f64 v[15:16], v[15:16], v[27:28]
	s_clause 0x2
	buffer_load_dword v38, off, s[0:3], 0 offset:684
	buffer_load_dword v28, off, s[0:3], 0 offset:660
	;; [unrolled: 1-line block ×3, first 2 shown]
	ds_read_b128 v[9:12], v89 offset:1344
	s_waitcnt vmcnt(58) lgkmcnt(1)
	v_mul_f64 v[31:32], v[3:4], v[43:44]
	s_waitcnt vmcnt(56)
	v_fma_f64 v[39:40], v[5:6], v[45:46], -v[39:40]
	v_mul_f64 v[29:30], v[1:2], v[43:44]
	v_add_f64 v[13:14], v[13:14], v[35:36]
	v_fma_f64 v[35:36], v[7:8], v[45:46], v[121:122]
	v_add_f64 v[15:16], v[15:16], v[23:24]
	s_clause 0x4
	buffer_load_dword v24, off, s[0:3], 0 offset:700
	buffer_load_dword v43, off, s[0:3], 0 offset:712
	;; [unrolled: 1-line block ×5, first 2 shown]
	s_waitcnt vmcnt(57) lgkmcnt(0)
	v_mul_f64 v[121:122], v[9:10], v[47:48]
	v_mul_f64 v[46:47], v[11:12], v[47:48]
	s_waitcnt vmcnt(56)
	v_fma_f64 v[31:32], v[1:2], v[33:34], -v[31:32]
	ds_read_b128 v[5:8], v89 offset:1360
	v_fma_f64 v[29:30], v[3:4], v[33:34], v[29:30]
	s_clause 0x2
	buffer_load_dword v44, off, s[0:3], 0 offset:716
	buffer_load_dword v34, off, s[0:3], 0 offset:692
	;; [unrolled: 1-line block ×3, first 2 shown]
	ds_read_b128 v[1:4], v89 offset:1376
	v_add_f64 v[13:14], v[13:14], v[39:40]
	v_add_f64 v[15:16], v[15:16], v[35:36]
	s_waitcnt vmcnt(58) lgkmcnt(1)
	v_mul_f64 v[39:40], v[7:8], v[51:52]
	s_waitcnt vmcnt(56)
	v_fma_f64 v[47:48], v[9:10], v[53:54], -v[46:47]
	v_mul_f64 v[35:36], v[5:6], v[51:52]
	v_add_f64 v[13:14], v[13:14], v[31:32]
	v_fma_f64 v[31:32], v[11:12], v[53:54], v[121:122]
	v_add_f64 v[15:16], v[15:16], v[29:30]
	s_clause 0x4
	buffer_load_dword v30, off, s[0:3], 0 offset:732
	buffer_load_dword v51, off, s[0:3], 0 offset:744
	;; [unrolled: 1-line block ×5, first 2 shown]
	s_waitcnt vmcnt(57) lgkmcnt(0)
	v_mul_f64 v[121:122], v[1:2], v[55:56]
	v_mul_f64 v[54:55], v[3:4], v[55:56]
	s_waitcnt vmcnt(56)
	v_fma_f64 v[39:40], v[5:6], v[41:42], -v[39:40]
	ds_read_b128 v[9:12], v89 offset:1392
	v_fma_f64 v[35:36], v[7:8], v[41:42], v[35:36]
	v_add_f64 v[13:14], v[13:14], v[47:48]
	v_add_f64 v[15:16], v[15:16], v[31:32]
	s_clause 0x2
	buffer_load_dword v52, off, s[0:3], 0 offset:748
	buffer_load_dword v32, off, s[0:3], 0 offset:724
	;; [unrolled: 1-line block ×3, first 2 shown]
	ds_read_b128 v[5:8], v89 offset:1408
	s_waitcnt vmcnt(58) lgkmcnt(1)
	v_mul_f64 v[47:48], v[11:12], v[61:62]
	s_waitcnt vmcnt(56)
	v_fma_f64 v[55:56], v[1:2], v[63:64], -v[54:55]
	v_mul_f64 v[41:42], v[9:10], v[61:62]
	v_add_f64 v[13:14], v[13:14], v[39:40]
	v_fma_f64 v[39:40], v[3:4], v[63:64], v[121:122]
	v_add_f64 v[15:16], v[15:16], v[35:36]
	s_clause 0x4
	buffer_load_dword v36, off, s[0:3], 0 offset:764
	buffer_load_dword v61, off, s[0:3], 0 offset:776
	;; [unrolled: 1-line block ×5, first 2 shown]
	s_waitcnt vmcnt(57) lgkmcnt(0)
	v_mul_f64 v[121:122], v[5:6], v[106:107]
	v_mul_f64 v[106:107], v[7:8], v[106:107]
	s_waitcnt vmcnt(56)
	v_fma_f64 v[47:48], v[9:10], v[49:50], -v[47:48]
	ds_read_b128 v[1:4], v89 offset:1424
	v_fma_f64 v[41:42], v[11:12], v[49:50], v[41:42]
	v_add_f64 v[13:14], v[13:14], v[55:56]
	v_add_f64 v[15:16], v[15:16], v[39:40]
	s_clause 0x2
	buffer_load_dword v62, off, s[0:3], 0 offset:780
	buffer_load_dword v40, off, s[0:3], 0 offset:756
	;; [unrolled: 1-line block ×3, first 2 shown]
	ds_read_b128 v[9:12], v89 offset:1440
	s_waitcnt vmcnt(58) lgkmcnt(1)
	v_mul_f64 v[55:56], v[3:4], v[108:109]
	s_waitcnt vmcnt(56)
	v_fma_f64 v[106:107], v[5:6], v[113:114], -v[106:107]
	v_mul_f64 v[49:50], v[1:2], v[108:109]
	v_add_f64 v[13:14], v[13:14], v[47:48]
	v_fma_f64 v[47:48], v[7:8], v[113:114], v[121:122]
	v_add_f64 v[15:16], v[15:16], v[41:42]
	s_clause 0x4
	buffer_load_dword v42, off, s[0:3], 0 offset:796
	buffer_load_dword v108, off, s[0:3], 0 offset:808
	;; [unrolled: 1-line block ×5, first 2 shown]
	ds_read_b128 v[5:8], v89 offset:1456
	s_waitcnt vmcnt(57) lgkmcnt(1)
	v_mul_f64 v[113:114], v[9:10], v[100:101]
	v_mul_f64 v[100:101], v[11:12], v[100:101]
	s_waitcnt vmcnt(56)
	v_fma_f64 v[55:56], v[1:2], v[110:111], -v[55:56]
	v_fma_f64 v[49:50], v[3:4], v[110:111], v[49:50]
	v_add_f64 v[13:14], v[13:14], v[106:107]
	v_add_f64 v[15:16], v[15:16], v[47:48]
	s_clause 0x2
	buffer_load_dword v109, off, s[0:3], 0 offset:812
	buffer_load_dword v48, off, s[0:3], 0 offset:788
	buffer_load_dword v47, off, s[0:3], 0 offset:784
	ds_read_b128 v[1:4], v89 offset:1472
	s_waitcnt vmcnt(58) lgkmcnt(1)
	v_mul_f64 v[110:111], v[7:8], v[117:118]
	v_mul_f64 v[106:107], v[5:6], v[117:118]
	s_waitcnt vmcnt(56)
	v_fma_f64 v[100:101], v[9:10], v[94:95], -v[100:101]
	v_add_f64 v[13:14], v[13:14], v[55:56]
	v_fma_f64 v[55:56], v[11:12], v[94:95], v[113:114]
	v_add_f64 v[15:16], v[15:16], v[49:50]
	s_clause 0x4
	buffer_load_dword v50, off, s[0:3], 0 offset:828
	buffer_load_dword v94, off, s[0:3], 0 offset:840
	;; [unrolled: 1-line block ×5, first 2 shown]
	ds_read_b128 v[9:12], v89 offset:1488
	s_waitcnt vmcnt(57) lgkmcnt(1)
	v_mul_f64 v[121:122], v[1:2], v[25:26]
	v_mul_f64 v[25:26], v[3:4], v[25:26]
	s_waitcnt vmcnt(56)
	v_fma_f64 v[110:111], v[5:6], v[119:120], -v[110:111]
	v_add_f64 v[13:14], v[13:14], v[100:101]
	v_fma_f64 v[100:101], v[7:8], v[119:120], v[106:107]
	v_add_f64 v[15:16], v[15:16], v[55:56]
	s_clause 0x2
	buffer_load_dword v95, off, s[0:3], 0 offset:844
	buffer_load_dword v56, off, s[0:3], 0 offset:820
	;; [unrolled: 1-line block ×3, first 2 shown]
	ds_read_b128 v[5:8], v89 offset:1504
	s_waitcnt vmcnt(58) lgkmcnt(1)
	v_mul_f64 v[106:107], v[9:10], v[102:103]
	v_mul_f64 v[102:103], v[11:12], v[102:103]
	s_waitcnt vmcnt(56)
	v_fma_f64 v[25:26], v[1:2], v[19:20], -v[25:26]
	v_fma_f64 v[19:20], v[3:4], v[19:20], v[121:122]
	v_add_f64 v[13:14], v[13:14], v[110:111]
	v_add_f64 v[15:16], v[15:16], v[100:101]
	s_clause 0x4
	buffer_load_dword v101, off, s[0:3], 0 offset:860
	buffer_load_dword v110, off, s[0:3], 0 offset:872
	;; [unrolled: 1-line block ×5, first 2 shown]
	ds_read_b128 v[1:4], v89 offset:1520
	s_waitcnt vmcnt(57) lgkmcnt(1)
	v_mul_f64 v[119:120], v[5:6], v[90:91]
	v_mul_f64 v[90:91], v[7:8], v[90:91]
	s_waitcnt vmcnt(56)
	v_fma_f64 v[102:103], v[9:10], v[115:116], -v[102:103]
	v_add_f64 v[13:14], v[13:14], v[25:26]
	v_fma_f64 v[25:26], v[11:12], v[115:116], v[106:107]
	v_add_f64 v[15:16], v[15:16], v[19:20]
	s_clause 0x2
	buffer_load_dword v111, off, s[0:3], 0 offset:876
	buffer_load_dword v20, off, s[0:3], 0 offset:852
	;; [unrolled: 1-line block ×3, first 2 shown]
	ds_read_b128 v[9:12], v89 offset:1536
	s_waitcnt vmcnt(58) lgkmcnt(1)
	v_mul_f64 v[106:107], v[1:2], v[92:93]
	v_mul_f64 v[92:93], v[3:4], v[92:93]
	s_waitcnt vmcnt(56)
	v_fma_f64 v[90:91], v[5:6], v[21:22], -v[90:91]
	v_fma_f64 v[21:22], v[7:8], v[21:22], v[119:120]
	v_add_f64 v[13:14], v[13:14], v[102:103]
	v_add_f64 v[15:16], v[15:16], v[25:26]
	s_clause 0x4
	buffer_load_dword v26, off, s[0:3], 0 offset:892
	buffer_load_dword v102, off, s[0:3], 0 offset:904
	;; [unrolled: 1-line block ×5, first 2 shown]
	ds_read_b128 v[5:8], v89 offset:1552
	s_waitcnt vmcnt(57) lgkmcnt(1)
	v_mul_f64 v[120:121], v[9:10], v[17:18]
	v_mul_f64 v[17:18], v[11:12], v[17:18]
	s_waitcnt vmcnt(56)
	v_fma_f64 v[92:93], v[1:2], v[104:105], -v[92:93]
	v_add_f64 v[13:14], v[13:14], v[90:91]
	v_fma_f64 v[90:91], v[3:4], v[104:105], v[106:107]
	v_add_f64 v[15:16], v[15:16], v[21:22]
	s_clause 0x2
	buffer_load_dword v103, off, s[0:3], 0 offset:908
	buffer_load_dword v22, off, s[0:3], 0 offset:884
	;; [unrolled: 1-line block ×3, first 2 shown]
	ds_read_b128 v[1:4], v89 offset:1568
	s_waitcnt vmcnt(58) lgkmcnt(1)
	v_mul_f64 v[104:105], v[5:6], v[37:38]
	v_mul_f64 v[37:38], v[7:8], v[37:38]
	s_waitcnt vmcnt(56)
	v_fma_f64 v[17:18], v[9:10], v[27:28], -v[17:18]
	v_fma_f64 v[27:28], v[11:12], v[27:28], v[120:121]
	buffer_load_dword v120, off, s[0:3], 0 offset:900
	ds_read_b128 v[9:12], v89 offset:1584
	v_add_f64 v[13:14], v[13:14], v[92:93]
	v_add_f64 v[15:16], v[15:16], v[90:91]
	s_waitcnt vmcnt(53) lgkmcnt(1)
	v_mul_f64 v[90:91], v[1:2], v[23:24]
	v_mul_f64 v[23:24], v[3:4], v[23:24]
	s_waitcnt vmcnt(52)
	v_fma_f64 v[37:38], v[5:6], v[98:99], -v[37:38]
	v_add_f64 v[13:14], v[13:14], v[17:18]
	v_fma_f64 v[17:18], v[7:8], v[98:99], v[104:105]
	v_add_f64 v[15:16], v[15:16], v[27:28]
	s_waitcnt vmcnt(51) lgkmcnt(0)
	v_mul_f64 v[27:28], v[9:10], v[43:44]
	v_mul_f64 v[43:44], v[11:12], v[43:44]
	ds_read_b128 v[5:8], v89 offset:1600
	s_waitcnt vmcnt(49)
	v_fma_f64 v[23:24], v[1:2], v[33:34], -v[23:24]
	v_fma_f64 v[33:34], v[3:4], v[33:34], v[90:91]
	v_add_f64 v[13:14], v[13:14], v[37:38]
	v_add_f64 v[15:16], v[15:16], v[17:18]
	s_clause 0x3
	buffer_load_dword v17, off, s[0:3], 0 offset:272
	buffer_load_dword v18, off, s[0:3], 0 offset:276
	buffer_load_dword v37, off, s[0:3], 0 offset:280
	buffer_load_dword v38, off, s[0:3], 0 offset:284
	ds_read_b128 v[1:4], v89 offset:1616
	s_waitcnt vmcnt(49) lgkmcnt(1)
	v_mul_f64 v[90:91], v[5:6], v[29:30]
	v_mul_f64 v[29:30], v[7:8], v[29:30]
	s_waitcnt vmcnt(48)
	v_fma_f64 v[43:44], v[9:10], v[45:46], -v[43:44]
	v_add_f64 v[13:14], v[13:14], v[23:24]
	v_fma_f64 v[23:24], v[11:12], v[45:46], v[27:28]
	v_add_f64 v[15:16], v[15:16], v[33:34]
	ds_read_b128 v[9:12], v89 offset:1632
	s_waitcnt vmcnt(47) lgkmcnt(1)
	v_mul_f64 v[33:34], v[3:4], v[51:52]
	v_mul_f64 v[27:28], v[1:2], v[51:52]
	s_waitcnt vmcnt(45)
	v_fma_f64 v[29:30], v[5:6], v[31:32], -v[29:30]
	v_fma_f64 v[31:32], v[7:8], v[31:32], v[90:91]
	ds_read_b128 v[5:8], v89 offset:1648
	v_add_f64 v[13:14], v[13:14], v[43:44]
	v_add_f64 v[15:16], v[15:16], v[23:24]
	s_waitcnt vmcnt(41) lgkmcnt(1)
	v_mul_f64 v[23:24], v[9:10], v[35:36]
	v_mul_f64 v[35:36], v[11:12], v[35:36]
	s_waitcnt vmcnt(40)
	v_fma_f64 v[33:34], v[1:2], v[53:54], -v[33:34]
	v_fma_f64 v[27:28], v[3:4], v[53:54], v[27:28]
	ds_read_b128 v[1:4], v89 offset:1664
	v_add_f64 v[13:14], v[13:14], v[29:30]
	v_add_f64 v[15:16], v[15:16], v[31:32]
	;; [unrolled: 9-line block ×3, first 2 shown]
	s_waitcnt vmcnt(33) lgkmcnt(1)
	v_mul_f64 v[33:34], v[3:4], v[41:42]
	s_waitcnt vmcnt(32)
	v_fma_f64 v[31:32], v[5:6], v[63:64], -v[31:32]
	v_mul_f64 v[27:28], v[1:2], v[41:42]
	v_fma_f64 v[29:30], v[7:8], v[63:64], v[29:30]
	ds_read_b128 v[5:8], v89 offset:1696
	v_add_f64 v[13:14], v[13:14], v[35:36]
	v_add_f64 v[15:16], v[15:16], v[23:24]
	s_waitcnt vmcnt(31) lgkmcnt(1)
	v_mul_f64 v[35:36], v[11:12], v[108:109]
	v_mul_f64 v[23:24], v[9:10], v[108:109]
	s_waitcnt vmcnt(29)
	v_fma_f64 v[33:34], v[1:2], v[47:48], -v[33:34]
	v_fma_f64 v[27:28], v[3:4], v[47:48], v[27:28]
	ds_read_b128 v[1:4], v89 offset:1712
	v_add_f64 v[13:14], v[13:14], v[31:32]
	v_add_f64 v[15:16], v[15:16], v[29:30]
	s_waitcnt vmcnt(25) lgkmcnt(1)
	v_mul_f64 v[31:32], v[7:8], v[49:50]
	s_waitcnt vmcnt(24)
	v_fma_f64 v[35:36], v[9:10], v[112:113], -v[35:36]
	v_mul_f64 v[29:30], v[5:6], v[49:50]
	v_fma_f64 v[23:24], v[11:12], v[112:113], v[23:24]
	ds_read_b128 v[9:12], v89 offset:1728
	v_add_f64 v[13:14], v[13:14], v[33:34]
	v_add_f64 v[15:16], v[15:16], v[27:28]
	s_waitcnt vmcnt(23) lgkmcnt(1)
	v_mul_f64 v[33:34], v[3:4], v[94:95]
	v_mul_f64 v[27:28], v[1:2], v[94:95]
	s_waitcnt vmcnt(21)
	v_fma_f64 v[31:32], v[5:6], v[55:56], -v[31:32]
	v_fma_f64 v[29:30], v[7:8], v[55:56], v[29:30]
	ds_read_b128 v[5:8], v89 offset:1744
	v_add_f64 v[13:14], v[13:14], v[35:36]
	v_add_f64 v[15:16], v[15:16], v[23:24]
	;; [unrolled: 18-line block ×3, first 2 shown]
	s_waitcnt vmcnt(9) lgkmcnt(1)
	v_mul_f64 v[23:24], v[1:2], v[25:26]
	v_mul_f64 v[25:26], v[3:4], v[25:26]
	s_waitcnt vmcnt(8)
	v_fma_f64 v[5:6], v[5:6], v[114:115], -v[31:32]
	v_fma_f64 v[7:8], v[7:8], v[114:115], v[29:30]
	v_add_f64 v[13:14], v[13:14], v[35:36]
	v_add_f64 v[15:16], v[15:16], v[19:20]
	s_waitcnt vmcnt(7) lgkmcnt(0)
	v_mul_f64 v[27:28], v[11:12], v[102:103]
	v_mul_f64 v[19:20], v[9:10], v[102:103]
	s_waitcnt vmcnt(5)
	v_fma_f64 v[1:2], v[1:2], v[21:22], -v[25:26]
	v_fma_f64 v[3:4], v[3:4], v[21:22], v[23:24]
	v_add_f64 v[5:6], v[13:14], v[5:6]
	v_add_f64 v[7:8], v[15:16], v[7:8]
	s_waitcnt vmcnt(4)
	v_fma_f64 v[9:10], v[9:10], v[119:120], -v[27:28]
	v_add_f64 v[1:2], v[5:6], v[1:2]
	v_fma_f64 v[5:6], v[11:12], v[119:120], v[19:20]
	v_add_f64 v[3:4], v[7:8], v[3:4]
	v_add_f64 v[1:2], v[1:2], v[9:10]
	;; [unrolled: 1-line block ×3, first 2 shown]
	s_waitcnt vmcnt(2)
	v_add_f64 v[1:2], v[17:18], -v[1:2]
	s_waitcnt vmcnt(0)
	v_add_f64 v[3:4], v[37:38], -v[3:4]
	buffer_store_dword v2, off, s[0:3], 0 offset:276
	buffer_store_dword v1, off, s[0:3], 0 offset:272
	buffer_store_dword v4, off, s[0:3], 0 offset:284
	buffer_store_dword v3, off, s[0:3], 0 offset:280
	v_cmpx_lt_u32_e32 15, v0
	s_cbranch_execz .LBB55_319
; %bb.318:
	v_mov_b32_e32 v4, s53
	s_clause 0x3
	buffer_load_dword v1, v4, s[0:3], 0 offen
	buffer_load_dword v2, v4, s[0:3], 0 offen offset:4
	buffer_load_dword v3, v4, s[0:3], 0 offen offset:8
	;; [unrolled: 1-line block ×3, first 2 shown]
	buffer_store_dword v89, off, s[0:3], 0 offset:256
	buffer_store_dword v89, off, s[0:3], 0 offset:260
	;; [unrolled: 1-line block ×4, first 2 shown]
	s_waitcnt vmcnt(0)
	ds_write_b128 v97, v[1:4]
.LBB55_319:
	s_or_b32 exec_lo, exec_lo, s4
	s_waitcnt lgkmcnt(0)
	s_waitcnt_vscnt null, 0x0
	s_barrier
	buffer_gl0_inv
	s_clause 0x37
	buffer_load_dword v9, off, s[0:3], 0 offset:280
	buffer_load_dword v10, off, s[0:3], 0 offset:284
	;; [unrolled: 1-line block ×56, first 2 shown]
	ds_read_b128 v[90:93], v89 offset:1152
	s_clause 0x2
	buffer_load_dword v62, off, s[0:3], 0 offset:508
	buffer_load_dword v64, off, s[0:3], 0 offset:484
	;; [unrolled: 1-line block ×3, first 2 shown]
	ds_read_b128 v[98:101], v89 offset:1168
	s_clause 0x4
	buffer_load_dword v107, off, s[0:3], 0 offset:524
	buffer_load_dword v108, off, s[0:3], 0 offset:536
	;; [unrolled: 1-line block ×5, first 2 shown]
	ds_read_b128 v[102:105], v89 offset:1184
	s_clause 0x2
	buffer_load_dword v109, off, s[0:3], 0 offset:540
	buffer_load_dword v114, off, s[0:3], 0 offset:516
	;; [unrolled: 1-line block ×3, first 2 shown]
	s_mov_b32 s4, exec_lo
	s_waitcnt vmcnt(62) lgkmcnt(2)
	v_mul_f64 v[94:95], v[92:93], v[9:10]
	v_mul_f64 v[9:10], v[90:91], v[9:10]
	s_waitcnt lgkmcnt(1)
	v_mul_f64 v[111:112], v[100:101], v[5:6]
	s_waitcnt vmcnt(59) lgkmcnt(0)
	v_mul_f64 v[115:116], v[104:105], v[3:4]
	v_fma_f64 v[90:91], v[90:91], v[7:8], -v[94:95]
	v_mul_f64 v[94:95], v[98:99], v[5:6]
	v_fma_f64 v[9:10], v[92:93], v[7:8], v[9:10]
	s_waitcnt vmcnt(57)
	v_fma_f64 v[98:99], v[98:99], v[1:2], -v[111:112]
	ds_read_b128 v[5:8], v89 offset:1200
	v_mul_f64 v[92:93], v[102:103], v[3:4]
	s_waitcnt vmcnt(51)
	v_fma_f64 v[102:103], v[102:103], v[25:26], -v[115:116]
	v_add_f64 v[90:91], v[90:91], 0
	v_fma_f64 v[94:95], v[100:101], v[1:2], v[94:95]
	v_add_f64 v[9:10], v[9:10], 0
	s_clause 0x4
	buffer_load_dword v101, off, s[0:3], 0 offset:556
	buffer_load_dword v117, off, s[0:3], 0 offset:568
	;; [unrolled: 1-line block ×5, first 2 shown]
	s_waitcnt lgkmcnt(0)
	v_mul_f64 v[120:121], v[5:6], v[13:14]
	v_mul_f64 v[13:14], v[7:8], v[13:14]
	ds_read_b128 v[1:4], v89 offset:1216
	v_fma_f64 v[25:26], v[104:105], v[25:26], v[92:93]
	v_add_f64 v[98:99], v[90:91], v[98:99]
	v_add_f64 v[9:10], v[9:10], v[94:95]
	s_clause 0x2
	buffer_load_dword v118, off, s[0:3], 0 offset:572
	buffer_load_dword v95, off, s[0:3], 0 offset:548
	;; [unrolled: 1-line block ×3, first 2 shown]
	s_waitcnt vmcnt(58) lgkmcnt(0)
	v_mul_f64 v[104:105], v[1:2], v[17:18]
	v_mul_f64 v[17:18], v[3:4], v[17:18]
	s_waitcnt vmcnt(56)
	v_fma_f64 v[13:14], v[5:6], v[19:20], -v[13:14]
	ds_read_b128 v[90:93], v89 offset:1232
	v_fma_f64 v[19:20], v[7:8], v[19:20], v[120:121]
	v_add_f64 v[98:99], v[98:99], v[102:103]
	v_add_f64 v[9:10], v[9:10], v[25:26]
	s_clause 0x4
	buffer_load_dword v26, off, s[0:3], 0 offset:588
	buffer_load_dword v102, off, s[0:3], 0 offset:600
	;; [unrolled: 1-line block ×5, first 2 shown]
	ds_read_b128 v[5:8], v89 offset:1248
	s_waitcnt vmcnt(57) lgkmcnt(1)
	v_mul_f64 v[121:122], v[90:91], v[21:22]
	v_mul_f64 v[21:22], v[92:93], v[21:22]
	s_waitcnt vmcnt(56)
	v_fma_f64 v[17:18], v[1:2], v[11:12], -v[17:18]
	v_fma_f64 v[11:12], v[3:4], v[11:12], v[104:105]
	v_add_f64 v[13:14], v[98:99], v[13:14]
	v_add_f64 v[9:10], v[9:10], v[19:20]
	s_clause 0x2
	buffer_load_dword v103, off, s[0:3], 0 offset:604
	buffer_load_dword v20, off, s[0:3], 0 offset:580
	buffer_load_dword v19, off, s[0:3], 0 offset:576
	s_waitcnt vmcnt(58) lgkmcnt(0)
	v_mul_f64 v[98:99], v[5:6], v[27:28]
	v_mul_f64 v[27:28], v[7:8], v[27:28]
	s_waitcnt vmcnt(56)
	v_fma_f64 v[21:22], v[90:91], v[29:30], -v[21:22]
	ds_read_b128 v[1:4], v89 offset:1264
	v_add_f64 v[13:14], v[13:14], v[17:18]
	v_fma_f64 v[17:18], v[92:93], v[29:30], v[121:122]
	v_add_f64 v[29:30], v[9:10], v[11:12]
	s_clause 0x4
	buffer_load_dword v91, off, s[0:3], 0 offset:620
	buffer_load_dword v92, off, s[0:3], 0 offset:632
	buffer_load_dword v104, off, s[0:3], 0 offset:624
	buffer_load_dword v90, off, s[0:3], 0 offset:616
	buffer_load_dword v116, off, s[0:3], 0 offset:596
	ds_read_b128 v[9:12], v89 offset:1280
	s_waitcnt vmcnt(57) lgkmcnt(1)
	v_mul_f64 v[121:122], v[1:2], v[31:32]
	v_mul_f64 v[31:32], v[3:4], v[31:32]
	s_waitcnt vmcnt(56)
	v_fma_f64 v[27:28], v[5:6], v[15:16], -v[27:28]
	v_fma_f64 v[15:16], v[7:8], v[15:16], v[98:99]
	v_add_f64 v[13:14], v[13:14], v[21:22]
	s_clause 0x2
	buffer_load_dword v93, off, s[0:3], 0 offset:636
	buffer_load_dword v22, off, s[0:3], 0 offset:612
	;; [unrolled: 1-line block ×3, first 2 shown]
	v_add_f64 v[17:18], v[29:30], v[17:18]
	s_waitcnt vmcnt(58) lgkmcnt(0)
	v_mul_f64 v[29:30], v[9:10], v[35:36]
	v_mul_f64 v[35:36], v[11:12], v[35:36]
	ds_read_b128 v[5:8], v89 offset:1296
	s_waitcnt vmcnt(56)
	v_fma_f64 v[31:32], v[1:2], v[37:38], -v[31:32]
	v_add_f64 v[13:14], v[13:14], v[27:28]
	v_fma_f64 v[27:28], v[3:4], v[37:38], v[121:122]
	v_add_f64 v[15:16], v[17:18], v[15:16]
	s_clause 0x4
	buffer_load_dword v18, off, s[0:3], 0 offset:652
	buffer_load_dword v37, off, s[0:3], 0 offset:664
	;; [unrolled: 1-line block ×5, first 2 shown]
	s_waitcnt vmcnt(57) lgkmcnt(0)
	v_mul_f64 v[121:122], v[5:6], v[39:40]
	v_mul_f64 v[39:40], v[7:8], v[39:40]
	s_waitcnt vmcnt(56)
	v_fma_f64 v[35:36], v[9:10], v[23:24], -v[35:36]
	ds_read_b128 v[1:4], v89 offset:1312
	v_fma_f64 v[23:24], v[11:12], v[23:24], v[29:30]
	v_add_f64 v[13:14], v[13:14], v[31:32]
	v_add_f64 v[15:16], v[15:16], v[27:28]
	s_clause 0x2
	buffer_load_dword v38, off, s[0:3], 0 offset:668
	buffer_load_dword v28, off, s[0:3], 0 offset:644
	;; [unrolled: 1-line block ×3, first 2 shown]
	ds_read_b128 v[9:12], v89 offset:1328
	s_waitcnt vmcnt(58) lgkmcnt(1)
	v_mul_f64 v[31:32], v[3:4], v[43:44]
	s_waitcnt vmcnt(56)
	v_fma_f64 v[39:40], v[5:6], v[45:46], -v[39:40]
	v_mul_f64 v[29:30], v[1:2], v[43:44]
	v_add_f64 v[13:14], v[13:14], v[35:36]
	v_fma_f64 v[35:36], v[7:8], v[45:46], v[121:122]
	v_add_f64 v[15:16], v[15:16], v[23:24]
	s_clause 0x4
	buffer_load_dword v24, off, s[0:3], 0 offset:684
	buffer_load_dword v43, off, s[0:3], 0 offset:696
	;; [unrolled: 1-line block ×5, first 2 shown]
	s_waitcnt vmcnt(57) lgkmcnt(0)
	v_mul_f64 v[121:122], v[9:10], v[47:48]
	v_mul_f64 v[46:47], v[11:12], v[47:48]
	s_waitcnt vmcnt(56)
	v_fma_f64 v[31:32], v[1:2], v[33:34], -v[31:32]
	ds_read_b128 v[5:8], v89 offset:1344
	v_fma_f64 v[29:30], v[3:4], v[33:34], v[29:30]
	s_clause 0x2
	buffer_load_dword v44, off, s[0:3], 0 offset:700
	buffer_load_dword v34, off, s[0:3], 0 offset:676
	;; [unrolled: 1-line block ×3, first 2 shown]
	ds_read_b128 v[1:4], v89 offset:1360
	v_add_f64 v[13:14], v[13:14], v[39:40]
	v_add_f64 v[15:16], v[15:16], v[35:36]
	s_waitcnt vmcnt(58) lgkmcnt(1)
	v_mul_f64 v[39:40], v[7:8], v[51:52]
	s_waitcnt vmcnt(56)
	v_fma_f64 v[47:48], v[9:10], v[53:54], -v[46:47]
	v_mul_f64 v[35:36], v[5:6], v[51:52]
	v_add_f64 v[13:14], v[13:14], v[31:32]
	v_fma_f64 v[31:32], v[11:12], v[53:54], v[121:122]
	v_add_f64 v[15:16], v[15:16], v[29:30]
	s_clause 0x4
	buffer_load_dword v30, off, s[0:3], 0 offset:716
	buffer_load_dword v51, off, s[0:3], 0 offset:728
	;; [unrolled: 1-line block ×5, first 2 shown]
	s_waitcnt vmcnt(57) lgkmcnt(0)
	v_mul_f64 v[121:122], v[1:2], v[55:56]
	v_mul_f64 v[54:55], v[3:4], v[55:56]
	s_waitcnt vmcnt(56)
	v_fma_f64 v[39:40], v[5:6], v[41:42], -v[39:40]
	ds_read_b128 v[9:12], v89 offset:1376
	v_fma_f64 v[35:36], v[7:8], v[41:42], v[35:36]
	v_add_f64 v[13:14], v[13:14], v[47:48]
	v_add_f64 v[15:16], v[15:16], v[31:32]
	s_clause 0x2
	buffer_load_dword v52, off, s[0:3], 0 offset:732
	buffer_load_dword v32, off, s[0:3], 0 offset:708
	;; [unrolled: 1-line block ×3, first 2 shown]
	ds_read_b128 v[5:8], v89 offset:1392
	s_waitcnt vmcnt(58) lgkmcnt(1)
	v_mul_f64 v[47:48], v[11:12], v[61:62]
	s_waitcnt vmcnt(56)
	v_fma_f64 v[55:56], v[1:2], v[63:64], -v[54:55]
	v_mul_f64 v[41:42], v[9:10], v[61:62]
	v_add_f64 v[13:14], v[13:14], v[39:40]
	v_fma_f64 v[39:40], v[3:4], v[63:64], v[121:122]
	v_add_f64 v[15:16], v[15:16], v[35:36]
	s_clause 0x4
	buffer_load_dword v36, off, s[0:3], 0 offset:748
	buffer_load_dword v61, off, s[0:3], 0 offset:760
	;; [unrolled: 1-line block ×5, first 2 shown]
	s_waitcnt vmcnt(57) lgkmcnt(0)
	v_mul_f64 v[121:122], v[5:6], v[106:107]
	v_mul_f64 v[106:107], v[7:8], v[106:107]
	s_waitcnt vmcnt(56)
	v_fma_f64 v[47:48], v[9:10], v[49:50], -v[47:48]
	ds_read_b128 v[1:4], v89 offset:1408
	v_fma_f64 v[41:42], v[11:12], v[49:50], v[41:42]
	v_add_f64 v[13:14], v[13:14], v[55:56]
	v_add_f64 v[15:16], v[15:16], v[39:40]
	s_clause 0x2
	buffer_load_dword v62, off, s[0:3], 0 offset:764
	buffer_load_dword v40, off, s[0:3], 0 offset:740
	;; [unrolled: 1-line block ×3, first 2 shown]
	ds_read_b128 v[9:12], v89 offset:1424
	s_waitcnt vmcnt(58) lgkmcnt(1)
	v_mul_f64 v[55:56], v[3:4], v[108:109]
	s_waitcnt vmcnt(56)
	v_fma_f64 v[106:107], v[5:6], v[113:114], -v[106:107]
	v_mul_f64 v[49:50], v[1:2], v[108:109]
	v_add_f64 v[13:14], v[13:14], v[47:48]
	v_fma_f64 v[47:48], v[7:8], v[113:114], v[121:122]
	v_add_f64 v[15:16], v[15:16], v[41:42]
	s_clause 0x4
	buffer_load_dword v42, off, s[0:3], 0 offset:780
	buffer_load_dword v108, off, s[0:3], 0 offset:792
	;; [unrolled: 1-line block ×5, first 2 shown]
	ds_read_b128 v[5:8], v89 offset:1440
	s_waitcnt vmcnt(57) lgkmcnt(1)
	v_mul_f64 v[113:114], v[9:10], v[100:101]
	v_mul_f64 v[100:101], v[11:12], v[100:101]
	s_waitcnt vmcnt(56)
	v_fma_f64 v[55:56], v[1:2], v[110:111], -v[55:56]
	v_fma_f64 v[49:50], v[3:4], v[110:111], v[49:50]
	v_add_f64 v[13:14], v[13:14], v[106:107]
	v_add_f64 v[15:16], v[15:16], v[47:48]
	s_clause 0x2
	buffer_load_dword v109, off, s[0:3], 0 offset:796
	buffer_load_dword v48, off, s[0:3], 0 offset:772
	;; [unrolled: 1-line block ×3, first 2 shown]
	ds_read_b128 v[1:4], v89 offset:1456
	s_waitcnt vmcnt(58) lgkmcnt(1)
	v_mul_f64 v[110:111], v[7:8], v[117:118]
	v_mul_f64 v[106:107], v[5:6], v[117:118]
	s_waitcnt vmcnt(56)
	v_fma_f64 v[100:101], v[9:10], v[94:95], -v[100:101]
	v_add_f64 v[13:14], v[13:14], v[55:56]
	v_fma_f64 v[55:56], v[11:12], v[94:95], v[113:114]
	v_add_f64 v[15:16], v[15:16], v[49:50]
	s_clause 0x4
	buffer_load_dword v50, off, s[0:3], 0 offset:812
	buffer_load_dword v94, off, s[0:3], 0 offset:824
	buffer_load_dword v117, off, s[0:3], 0 offset:816
	buffer_load_dword v49, off, s[0:3], 0 offset:808
	buffer_load_dword v113, off, s[0:3], 0 offset:788
	ds_read_b128 v[9:12], v89 offset:1472
	s_waitcnt vmcnt(57) lgkmcnt(1)
	v_mul_f64 v[121:122], v[1:2], v[25:26]
	v_mul_f64 v[25:26], v[3:4], v[25:26]
	s_waitcnt vmcnt(56)
	v_fma_f64 v[110:111], v[5:6], v[119:120], -v[110:111]
	v_add_f64 v[13:14], v[13:14], v[100:101]
	v_fma_f64 v[100:101], v[7:8], v[119:120], v[106:107]
	v_add_f64 v[15:16], v[15:16], v[55:56]
	s_clause 0x2
	buffer_load_dword v95, off, s[0:3], 0 offset:828
	buffer_load_dword v56, off, s[0:3], 0 offset:804
	buffer_load_dword v55, off, s[0:3], 0 offset:800
	ds_read_b128 v[5:8], v89 offset:1488
	s_waitcnt vmcnt(58) lgkmcnt(1)
	v_mul_f64 v[106:107], v[9:10], v[102:103]
	v_mul_f64 v[102:103], v[11:12], v[102:103]
	s_waitcnt vmcnt(56)
	v_fma_f64 v[25:26], v[1:2], v[19:20], -v[25:26]
	v_fma_f64 v[19:20], v[3:4], v[19:20], v[121:122]
	v_add_f64 v[13:14], v[13:14], v[110:111]
	v_add_f64 v[15:16], v[15:16], v[100:101]
	s_clause 0x4
	buffer_load_dword v101, off, s[0:3], 0 offset:844
	buffer_load_dword v110, off, s[0:3], 0 offset:856
	buffer_load_dword v114, off, s[0:3], 0 offset:848
	buffer_load_dword v100, off, s[0:3], 0 offset:840
	buffer_load_dword v118, off, s[0:3], 0 offset:820
	ds_read_b128 v[1:4], v89 offset:1504
	s_waitcnt vmcnt(57) lgkmcnt(1)
	v_mul_f64 v[119:120], v[5:6], v[90:91]
	v_mul_f64 v[90:91], v[7:8], v[90:91]
	s_waitcnt vmcnt(56)
	v_fma_f64 v[102:103], v[9:10], v[115:116], -v[102:103]
	v_add_f64 v[13:14], v[13:14], v[25:26]
	v_fma_f64 v[25:26], v[11:12], v[115:116], v[106:107]
	v_add_f64 v[15:16], v[15:16], v[19:20]
	s_clause 0x2
	buffer_load_dword v111, off, s[0:3], 0 offset:860
	buffer_load_dword v20, off, s[0:3], 0 offset:836
	buffer_load_dword v19, off, s[0:3], 0 offset:832
	ds_read_b128 v[9:12], v89 offset:1520
	s_waitcnt vmcnt(58) lgkmcnt(1)
	v_mul_f64 v[106:107], v[1:2], v[92:93]
	v_mul_f64 v[92:93], v[3:4], v[92:93]
	s_waitcnt vmcnt(56)
	v_fma_f64 v[90:91], v[5:6], v[21:22], -v[90:91]
	v_fma_f64 v[21:22], v[7:8], v[21:22], v[119:120]
	v_add_f64 v[13:14], v[13:14], v[102:103]
	;; [unrolled: 28-line block ×3, first 2 shown]
	v_add_f64 v[15:16], v[15:16], v[90:91]
	s_clause 0x2
	buffer_load_dword v91, off, s[0:3], 0 offset:908
	buffer_load_dword v90, off, s[0:3], 0 offset:904
	;; [unrolled: 1-line block ×3, first 2 shown]
	ds_read_b128 v[9:12], v89 offset:1568
	s_waitcnt vmcnt(55) lgkmcnt(1)
	v_mul_f64 v[92:93], v[1:2], v[23:24]
	v_mul_f64 v[23:24], v[3:4], v[23:24]
	s_waitcnt vmcnt(54)
	v_fma_f64 v[37:38], v[5:6], v[98:99], -v[37:38]
	v_add_f64 v[13:14], v[13:14], v[17:18]
	v_fma_f64 v[17:18], v[7:8], v[98:99], v[104:105]
	v_add_f64 v[15:16], v[15:16], v[27:28]
	s_clause 0x1
	buffer_load_dword v28, off, s[0:3], 0 offset:900
	buffer_load_dword v27, off, s[0:3], 0 offset:896
	s_waitcnt vmcnt(55) lgkmcnt(0)
	v_mul_f64 v[98:99], v[9:10], v[43:44]
	v_mul_f64 v[43:44], v[11:12], v[43:44]
	ds_read_b128 v[5:8], v89 offset:1584
	s_waitcnt vmcnt(53)
	v_fma_f64 v[23:24], v[1:2], v[33:34], -v[23:24]
	v_fma_f64 v[33:34], v[3:4], v[33:34], v[92:93]
	ds_read_b128 v[1:4], v89 offset:1600
	v_add_f64 v[13:14], v[13:14], v[37:38]
	v_add_f64 v[15:16], v[15:16], v[17:18]
	s_waitcnt vmcnt(49) lgkmcnt(1)
	v_mul_f64 v[17:18], v[5:6], v[29:30]
	v_mul_f64 v[29:30], v[7:8], v[29:30]
	s_waitcnt vmcnt(48)
	v_fma_f64 v[37:38], v[9:10], v[45:46], -v[43:44]
	v_add_f64 v[13:14], v[13:14], v[23:24]
	v_fma_f64 v[23:24], v[11:12], v[45:46], v[98:99]
	v_add_f64 v[15:16], v[15:16], v[33:34]
	s_clause 0x3
	buffer_load_dword v33, off, s[0:3], 0 offset:256
	buffer_load_dword v34, off, s[0:3], 0 offset:260
	;; [unrolled: 1-line block ×4, first 2 shown]
	ds_read_b128 v[9:12], v89 offset:1616
	s_waitcnt vmcnt(51) lgkmcnt(1)
	v_mul_f64 v[45:46], v[1:2], v[51:52]
	v_mul_f64 v[51:52], v[3:4], v[51:52]
	s_waitcnt vmcnt(49)
	v_fma_f64 v[29:30], v[5:6], v[31:32], -v[29:30]
	v_fma_f64 v[17:18], v[7:8], v[31:32], v[17:18]
	ds_read_b128 v[5:8], v89 offset:1632
	v_add_f64 v[13:14], v[13:14], v[37:38]
	v_add_f64 v[15:16], v[15:16], v[23:24]
	s_waitcnt vmcnt(45) lgkmcnt(1)
	v_mul_f64 v[23:24], v[9:10], v[35:36]
	v_mul_f64 v[31:32], v[11:12], v[35:36]
	s_waitcnt vmcnt(44)
	v_fma_f64 v[35:36], v[1:2], v[53:54], -v[51:52]
	v_add_f64 v[13:14], v[13:14], v[29:30]
	v_fma_f64 v[29:30], v[3:4], v[53:54], v[45:46]
	v_add_f64 v[15:16], v[15:16], v[17:18]
	ds_read_b128 v[1:4], v89 offset:1648
	s_waitcnt vmcnt(43) lgkmcnt(1)
	v_mul_f64 v[37:38], v[7:8], v[61:62]
	v_mul_f64 v[17:18], v[5:6], v[61:62]
	s_waitcnt vmcnt(41)
	v_fma_f64 v[31:32], v[9:10], v[39:40], -v[31:32]
	v_fma_f64 v[23:24], v[11:12], v[39:40], v[23:24]
	ds_read_b128 v[9:12], v89 offset:1664
	v_add_f64 v[13:14], v[13:14], v[35:36]
	v_add_f64 v[15:16], v[15:16], v[29:30]
	s_waitcnt vmcnt(37) lgkmcnt(1)
	v_mul_f64 v[35:36], v[3:4], v[41:42]
	s_waitcnt vmcnt(36)
	v_fma_f64 v[37:38], v[5:6], v[63:64], -v[37:38]
	v_mul_f64 v[29:30], v[1:2], v[41:42]
	v_fma_f64 v[17:18], v[7:8], v[63:64], v[17:18]
	ds_read_b128 v[5:8], v89 offset:1680
	v_add_f64 v[13:14], v[13:14], v[31:32]
	v_add_f64 v[15:16], v[15:16], v[23:24]
	s_waitcnt vmcnt(35) lgkmcnt(1)
	v_mul_f64 v[31:32], v[11:12], v[108:109]
	v_mul_f64 v[23:24], v[9:10], v[108:109]
	s_waitcnt vmcnt(33)
	v_fma_f64 v[35:36], v[1:2], v[47:48], -v[35:36]
	v_fma_f64 v[29:30], v[3:4], v[47:48], v[29:30]
	ds_read_b128 v[1:4], v89 offset:1696
	v_add_f64 v[13:14], v[13:14], v[37:38]
	v_add_f64 v[15:16], v[15:16], v[17:18]
	s_waitcnt vmcnt(29) lgkmcnt(1)
	v_mul_f64 v[37:38], v[7:8], v[49:50]
	s_waitcnt vmcnt(28)
	v_fma_f64 v[31:32], v[9:10], v[112:113], -v[31:32]
	v_mul_f64 v[17:18], v[5:6], v[49:50]
	v_fma_f64 v[23:24], v[11:12], v[112:113], v[23:24]
	ds_read_b128 v[9:12], v89 offset:1712
	v_add_f64 v[13:14], v[13:14], v[35:36]
	v_add_f64 v[15:16], v[15:16], v[29:30]
	;; [unrolled: 18-line block ×3, first 2 shown]
	s_waitcnt vmcnt(19) lgkmcnt(1)
	v_mul_f64 v[37:38], v[7:8], v[110:111]
	v_mul_f64 v[17:18], v[5:6], v[110:111]
	s_waitcnt vmcnt(17)
	v_fma_f64 v[31:32], v[9:10], v[19:20], -v[31:32]
	v_fma_f64 v[19:20], v[11:12], v[19:20], v[23:24]
	ds_read_b128 v[9:12], v89 offset:1760
	v_add_f64 v[13:14], v[13:14], v[35:36]
	v_add_f64 v[15:16], v[15:16], v[29:30]
	s_waitcnt vmcnt(13) lgkmcnt(1)
	v_mul_f64 v[23:24], v[1:2], v[25:26]
	v_mul_f64 v[25:26], v[3:4], v[25:26]
	s_waitcnt vmcnt(12)
	v_fma_f64 v[29:30], v[5:6], v[114:115], -v[37:38]
	v_fma_f64 v[17:18], v[7:8], v[114:115], v[17:18]
	ds_read_b128 v[5:8], v89 offset:1776
	v_add_f64 v[13:14], v[13:14], v[31:32]
	v_add_f64 v[15:16], v[15:16], v[19:20]
	s_waitcnt vmcnt(11) lgkmcnt(1)
	v_mul_f64 v[31:32], v[11:12], v[102:103]
	v_mul_f64 v[19:20], v[9:10], v[102:103]
	s_waitcnt vmcnt(9)
	v_fma_f64 v[1:2], v[1:2], v[21:22], -v[25:26]
	v_fma_f64 v[3:4], v[3:4], v[21:22], v[23:24]
	v_add_f64 v[13:14], v[13:14], v[29:30]
	v_add_f64 v[15:16], v[15:16], v[17:18]
	s_waitcnt vmcnt(7) lgkmcnt(0)
	v_mul_f64 v[21:22], v[7:8], v[90:91]
	s_waitcnt vmcnt(6)
	v_fma_f64 v[9:10], v[9:10], v[119:120], -v[31:32]
	v_mul_f64 v[17:18], v[5:6], v[90:91]
	v_fma_f64 v[11:12], v[11:12], v[119:120], v[19:20]
	v_add_f64 v[1:2], v[13:14], v[1:2]
	v_add_f64 v[3:4], v[15:16], v[3:4]
	s_waitcnt vmcnt(4)
	v_fma_f64 v[5:6], v[5:6], v[27:28], -v[21:22]
	v_fma_f64 v[7:8], v[7:8], v[27:28], v[17:18]
	v_add_f64 v[1:2], v[1:2], v[9:10]
	v_add_f64 v[3:4], v[3:4], v[11:12]
	;; [unrolled: 1-line block ×4, first 2 shown]
	s_waitcnt vmcnt(2)
	v_add_f64 v[1:2], v[33:34], -v[1:2]
	s_waitcnt vmcnt(0)
	v_add_f64 v[3:4], v[43:44], -v[3:4]
	buffer_store_dword v2, off, s[0:3], 0 offset:260
	buffer_store_dword v1, off, s[0:3], 0 offset:256
	;; [unrolled: 1-line block ×4, first 2 shown]
	v_cmpx_lt_u32_e32 14, v0
	s_cbranch_execz .LBB55_321
; %bb.320:
	v_mov_b32_e32 v4, s54
	v_mov_b32_e32 v5, 0
	s_clause 0x3
	buffer_load_dword v1, v4, s[0:3], 0 offen
	buffer_load_dword v2, v4, s[0:3], 0 offen offset:4
	buffer_load_dword v3, v4, s[0:3], 0 offen offset:8
	;; [unrolled: 1-line block ×3, first 2 shown]
	buffer_store_dword v5, off, s[0:3], 0 offset:240
	buffer_store_dword v5, off, s[0:3], 0 offset:244
	;; [unrolled: 1-line block ×4, first 2 shown]
	s_waitcnt vmcnt(0)
	ds_write_b128 v97, v[1:4]
.LBB55_321:
	s_or_b32 exec_lo, exec_lo, s4
	s_waitcnt lgkmcnt(0)
	s_waitcnt_vscnt null, 0x0
	s_barrier
	buffer_gl0_inv
	s_clause 0x37
	buffer_load_dword v9, off, s[0:3], 0 offset:264
	buffer_load_dword v10, off, s[0:3], 0 offset:268
	;; [unrolled: 1-line block ×56, first 2 shown]
	v_mov_b32_e32 v89, 0
	s_mov_b32 s4, exec_lo
	ds_read_b128 v[90:93], v89 offset:1136
	s_clause 0x2
	buffer_load_dword v62, off, s[0:3], 0 offset:492
	buffer_load_dword v64, off, s[0:3], 0 offset:468
	;; [unrolled: 1-line block ×3, first 2 shown]
	ds_read_b128 v[98:101], v89 offset:1152
	s_clause 0x4
	buffer_load_dword v107, off, s[0:3], 0 offset:508
	buffer_load_dword v108, off, s[0:3], 0 offset:520
	;; [unrolled: 1-line block ×5, first 2 shown]
	ds_read_b128 v[102:105], v89 offset:1168
	s_clause 0x2
	buffer_load_dword v109, off, s[0:3], 0 offset:524
	buffer_load_dword v114, off, s[0:3], 0 offset:500
	;; [unrolled: 1-line block ×3, first 2 shown]
	s_waitcnt vmcnt(62) lgkmcnt(2)
	v_mul_f64 v[94:95], v[92:93], v[9:10]
	v_mul_f64 v[9:10], v[90:91], v[9:10]
	s_waitcnt lgkmcnt(1)
	v_mul_f64 v[111:112], v[100:101], v[5:6]
	s_waitcnt vmcnt(59) lgkmcnt(0)
	v_mul_f64 v[115:116], v[104:105], v[3:4]
	v_fma_f64 v[90:91], v[90:91], v[7:8], -v[94:95]
	v_mul_f64 v[94:95], v[98:99], v[5:6]
	v_fma_f64 v[9:10], v[92:93], v[7:8], v[9:10]
	s_waitcnt vmcnt(57)
	v_fma_f64 v[98:99], v[98:99], v[1:2], -v[111:112]
	ds_read_b128 v[5:8], v89 offset:1184
	v_mul_f64 v[92:93], v[102:103], v[3:4]
	s_waitcnt vmcnt(51)
	v_fma_f64 v[102:103], v[102:103], v[25:26], -v[115:116]
	v_add_f64 v[90:91], v[90:91], 0
	v_fma_f64 v[94:95], v[100:101], v[1:2], v[94:95]
	v_add_f64 v[9:10], v[9:10], 0
	s_clause 0x4
	buffer_load_dword v101, off, s[0:3], 0 offset:540
	buffer_load_dword v117, off, s[0:3], 0 offset:552
	;; [unrolled: 1-line block ×5, first 2 shown]
	s_waitcnt lgkmcnt(0)
	v_mul_f64 v[120:121], v[5:6], v[13:14]
	v_mul_f64 v[13:14], v[7:8], v[13:14]
	ds_read_b128 v[1:4], v89 offset:1200
	v_fma_f64 v[25:26], v[104:105], v[25:26], v[92:93]
	v_add_f64 v[98:99], v[90:91], v[98:99]
	v_add_f64 v[9:10], v[9:10], v[94:95]
	s_clause 0x2
	buffer_load_dword v118, off, s[0:3], 0 offset:556
	buffer_load_dword v95, off, s[0:3], 0 offset:532
	;; [unrolled: 1-line block ×3, first 2 shown]
	s_waitcnt vmcnt(58) lgkmcnt(0)
	v_mul_f64 v[104:105], v[1:2], v[17:18]
	v_mul_f64 v[17:18], v[3:4], v[17:18]
	s_waitcnt vmcnt(56)
	v_fma_f64 v[13:14], v[5:6], v[19:20], -v[13:14]
	ds_read_b128 v[90:93], v89 offset:1216
	v_fma_f64 v[19:20], v[7:8], v[19:20], v[120:121]
	v_add_f64 v[98:99], v[98:99], v[102:103]
	v_add_f64 v[9:10], v[9:10], v[25:26]
	s_clause 0x4
	buffer_load_dword v26, off, s[0:3], 0 offset:572
	buffer_load_dword v102, off, s[0:3], 0 offset:584
	;; [unrolled: 1-line block ×5, first 2 shown]
	ds_read_b128 v[5:8], v89 offset:1232
	s_waitcnt vmcnt(57) lgkmcnt(1)
	v_mul_f64 v[121:122], v[90:91], v[21:22]
	v_mul_f64 v[21:22], v[92:93], v[21:22]
	s_waitcnt vmcnt(56)
	v_fma_f64 v[17:18], v[1:2], v[11:12], -v[17:18]
	v_fma_f64 v[11:12], v[3:4], v[11:12], v[104:105]
	v_add_f64 v[13:14], v[98:99], v[13:14]
	v_add_f64 v[9:10], v[9:10], v[19:20]
	s_clause 0x2
	buffer_load_dword v103, off, s[0:3], 0 offset:588
	buffer_load_dword v20, off, s[0:3], 0 offset:564
	;; [unrolled: 1-line block ×3, first 2 shown]
	s_waitcnt vmcnt(58) lgkmcnt(0)
	v_mul_f64 v[98:99], v[5:6], v[27:28]
	v_mul_f64 v[27:28], v[7:8], v[27:28]
	s_waitcnt vmcnt(56)
	v_fma_f64 v[21:22], v[90:91], v[29:30], -v[21:22]
	ds_read_b128 v[1:4], v89 offset:1248
	v_add_f64 v[13:14], v[13:14], v[17:18]
	v_fma_f64 v[17:18], v[92:93], v[29:30], v[121:122]
	v_add_f64 v[29:30], v[9:10], v[11:12]
	s_clause 0x4
	buffer_load_dword v91, off, s[0:3], 0 offset:604
	buffer_load_dword v92, off, s[0:3], 0 offset:616
	;; [unrolled: 1-line block ×5, first 2 shown]
	ds_read_b128 v[9:12], v89 offset:1264
	s_waitcnt vmcnt(57) lgkmcnt(1)
	v_mul_f64 v[121:122], v[1:2], v[31:32]
	v_mul_f64 v[31:32], v[3:4], v[31:32]
	s_waitcnt vmcnt(56)
	v_fma_f64 v[27:28], v[5:6], v[15:16], -v[27:28]
	v_fma_f64 v[15:16], v[7:8], v[15:16], v[98:99]
	v_add_f64 v[13:14], v[13:14], v[21:22]
	s_clause 0x2
	buffer_load_dword v93, off, s[0:3], 0 offset:620
	buffer_load_dword v22, off, s[0:3], 0 offset:596
	;; [unrolled: 1-line block ×3, first 2 shown]
	v_add_f64 v[17:18], v[29:30], v[17:18]
	s_waitcnt vmcnt(58) lgkmcnt(0)
	v_mul_f64 v[29:30], v[9:10], v[35:36]
	v_mul_f64 v[35:36], v[11:12], v[35:36]
	ds_read_b128 v[5:8], v89 offset:1280
	s_waitcnt vmcnt(56)
	v_fma_f64 v[31:32], v[1:2], v[37:38], -v[31:32]
	v_add_f64 v[13:14], v[13:14], v[27:28]
	v_fma_f64 v[27:28], v[3:4], v[37:38], v[121:122]
	v_add_f64 v[15:16], v[17:18], v[15:16]
	s_clause 0x4
	buffer_load_dword v18, off, s[0:3], 0 offset:636
	buffer_load_dword v37, off, s[0:3], 0 offset:648
	;; [unrolled: 1-line block ×5, first 2 shown]
	s_waitcnt vmcnt(57) lgkmcnt(0)
	v_mul_f64 v[121:122], v[5:6], v[39:40]
	v_mul_f64 v[39:40], v[7:8], v[39:40]
	s_waitcnt vmcnt(56)
	v_fma_f64 v[35:36], v[9:10], v[23:24], -v[35:36]
	ds_read_b128 v[1:4], v89 offset:1296
	v_fma_f64 v[23:24], v[11:12], v[23:24], v[29:30]
	v_add_f64 v[13:14], v[13:14], v[31:32]
	v_add_f64 v[15:16], v[15:16], v[27:28]
	s_clause 0x2
	buffer_load_dword v38, off, s[0:3], 0 offset:652
	buffer_load_dword v28, off, s[0:3], 0 offset:628
	;; [unrolled: 1-line block ×3, first 2 shown]
	ds_read_b128 v[9:12], v89 offset:1312
	s_waitcnt vmcnt(58) lgkmcnt(1)
	v_mul_f64 v[31:32], v[3:4], v[43:44]
	s_waitcnt vmcnt(56)
	v_fma_f64 v[39:40], v[5:6], v[45:46], -v[39:40]
	v_mul_f64 v[29:30], v[1:2], v[43:44]
	v_add_f64 v[13:14], v[13:14], v[35:36]
	v_fma_f64 v[35:36], v[7:8], v[45:46], v[121:122]
	v_add_f64 v[15:16], v[15:16], v[23:24]
	s_clause 0x4
	buffer_load_dword v24, off, s[0:3], 0 offset:668
	buffer_load_dword v43, off, s[0:3], 0 offset:680
	;; [unrolled: 1-line block ×5, first 2 shown]
	s_waitcnt vmcnt(57) lgkmcnt(0)
	v_mul_f64 v[121:122], v[9:10], v[47:48]
	v_mul_f64 v[46:47], v[11:12], v[47:48]
	s_waitcnt vmcnt(56)
	v_fma_f64 v[31:32], v[1:2], v[33:34], -v[31:32]
	ds_read_b128 v[5:8], v89 offset:1328
	v_fma_f64 v[29:30], v[3:4], v[33:34], v[29:30]
	s_clause 0x2
	buffer_load_dword v44, off, s[0:3], 0 offset:684
	buffer_load_dword v34, off, s[0:3], 0 offset:660
	buffer_load_dword v33, off, s[0:3], 0 offset:656
	ds_read_b128 v[1:4], v89 offset:1344
	v_add_f64 v[13:14], v[13:14], v[39:40]
	v_add_f64 v[15:16], v[15:16], v[35:36]
	s_waitcnt vmcnt(58) lgkmcnt(1)
	v_mul_f64 v[39:40], v[7:8], v[51:52]
	s_waitcnt vmcnt(56)
	v_fma_f64 v[47:48], v[9:10], v[53:54], -v[46:47]
	v_mul_f64 v[35:36], v[5:6], v[51:52]
	v_add_f64 v[13:14], v[13:14], v[31:32]
	v_fma_f64 v[31:32], v[11:12], v[53:54], v[121:122]
	v_add_f64 v[15:16], v[15:16], v[29:30]
	s_clause 0x4
	buffer_load_dword v30, off, s[0:3], 0 offset:700
	buffer_load_dword v51, off, s[0:3], 0 offset:712
	;; [unrolled: 1-line block ×5, first 2 shown]
	s_waitcnt vmcnt(57) lgkmcnt(0)
	v_mul_f64 v[121:122], v[1:2], v[55:56]
	v_mul_f64 v[54:55], v[3:4], v[55:56]
	s_waitcnt vmcnt(56)
	v_fma_f64 v[39:40], v[5:6], v[41:42], -v[39:40]
	ds_read_b128 v[9:12], v89 offset:1360
	v_fma_f64 v[35:36], v[7:8], v[41:42], v[35:36]
	v_add_f64 v[13:14], v[13:14], v[47:48]
	v_add_f64 v[15:16], v[15:16], v[31:32]
	s_clause 0x2
	buffer_load_dword v52, off, s[0:3], 0 offset:716
	buffer_load_dword v32, off, s[0:3], 0 offset:692
	;; [unrolled: 1-line block ×3, first 2 shown]
	ds_read_b128 v[5:8], v89 offset:1376
	s_waitcnt vmcnt(58) lgkmcnt(1)
	v_mul_f64 v[47:48], v[11:12], v[61:62]
	s_waitcnt vmcnt(56)
	v_fma_f64 v[55:56], v[1:2], v[63:64], -v[54:55]
	v_mul_f64 v[41:42], v[9:10], v[61:62]
	v_add_f64 v[13:14], v[13:14], v[39:40]
	v_fma_f64 v[39:40], v[3:4], v[63:64], v[121:122]
	v_add_f64 v[15:16], v[15:16], v[35:36]
	s_clause 0x4
	buffer_load_dword v36, off, s[0:3], 0 offset:732
	buffer_load_dword v61, off, s[0:3], 0 offset:744
	;; [unrolled: 1-line block ×5, first 2 shown]
	s_waitcnt vmcnt(57) lgkmcnt(0)
	v_mul_f64 v[121:122], v[5:6], v[106:107]
	v_mul_f64 v[106:107], v[7:8], v[106:107]
	s_waitcnt vmcnt(56)
	v_fma_f64 v[47:48], v[9:10], v[49:50], -v[47:48]
	ds_read_b128 v[1:4], v89 offset:1392
	v_fma_f64 v[41:42], v[11:12], v[49:50], v[41:42]
	v_add_f64 v[13:14], v[13:14], v[55:56]
	v_add_f64 v[15:16], v[15:16], v[39:40]
	s_clause 0x2
	buffer_load_dword v62, off, s[0:3], 0 offset:748
	buffer_load_dword v40, off, s[0:3], 0 offset:724
	;; [unrolled: 1-line block ×3, first 2 shown]
	ds_read_b128 v[9:12], v89 offset:1408
	s_waitcnt vmcnt(58) lgkmcnt(1)
	v_mul_f64 v[55:56], v[3:4], v[108:109]
	s_waitcnt vmcnt(56)
	v_fma_f64 v[106:107], v[5:6], v[113:114], -v[106:107]
	v_mul_f64 v[49:50], v[1:2], v[108:109]
	v_add_f64 v[13:14], v[13:14], v[47:48]
	v_fma_f64 v[47:48], v[7:8], v[113:114], v[121:122]
	v_add_f64 v[15:16], v[15:16], v[41:42]
	s_clause 0x4
	buffer_load_dword v42, off, s[0:3], 0 offset:764
	buffer_load_dword v108, off, s[0:3], 0 offset:776
	buffer_load_dword v112, off, s[0:3], 0 offset:768
	buffer_load_dword v41, off, s[0:3], 0 offset:760
	buffer_load_dword v64, off, s[0:3], 0 offset:740
	ds_read_b128 v[5:8], v89 offset:1424
	s_waitcnt vmcnt(57) lgkmcnt(1)
	v_mul_f64 v[113:114], v[9:10], v[100:101]
	v_mul_f64 v[100:101], v[11:12], v[100:101]
	s_waitcnt vmcnt(56)
	v_fma_f64 v[55:56], v[1:2], v[110:111], -v[55:56]
	v_fma_f64 v[49:50], v[3:4], v[110:111], v[49:50]
	v_add_f64 v[13:14], v[13:14], v[106:107]
	v_add_f64 v[15:16], v[15:16], v[47:48]
	s_clause 0x2
	buffer_load_dword v109, off, s[0:3], 0 offset:780
	buffer_load_dword v48, off, s[0:3], 0 offset:756
	;; [unrolled: 1-line block ×3, first 2 shown]
	ds_read_b128 v[1:4], v89 offset:1440
	s_waitcnt vmcnt(58) lgkmcnt(1)
	v_mul_f64 v[110:111], v[7:8], v[117:118]
	v_mul_f64 v[106:107], v[5:6], v[117:118]
	s_waitcnt vmcnt(56)
	v_fma_f64 v[100:101], v[9:10], v[94:95], -v[100:101]
	v_add_f64 v[13:14], v[13:14], v[55:56]
	v_fma_f64 v[55:56], v[11:12], v[94:95], v[113:114]
	v_add_f64 v[15:16], v[15:16], v[49:50]
	s_clause 0x4
	buffer_load_dword v50, off, s[0:3], 0 offset:796
	buffer_load_dword v94, off, s[0:3], 0 offset:808
	buffer_load_dword v117, off, s[0:3], 0 offset:800
	buffer_load_dword v49, off, s[0:3], 0 offset:792
	buffer_load_dword v113, off, s[0:3], 0 offset:772
	ds_read_b128 v[9:12], v89 offset:1456
	s_waitcnt vmcnt(57) lgkmcnt(1)
	v_mul_f64 v[121:122], v[1:2], v[25:26]
	v_mul_f64 v[25:26], v[3:4], v[25:26]
	s_waitcnt vmcnt(56)
	v_fma_f64 v[110:111], v[5:6], v[119:120], -v[110:111]
	v_add_f64 v[13:14], v[13:14], v[100:101]
	v_fma_f64 v[100:101], v[7:8], v[119:120], v[106:107]
	v_add_f64 v[15:16], v[15:16], v[55:56]
	s_clause 0x2
	buffer_load_dword v95, off, s[0:3], 0 offset:812
	buffer_load_dword v56, off, s[0:3], 0 offset:788
	buffer_load_dword v55, off, s[0:3], 0 offset:784
	ds_read_b128 v[5:8], v89 offset:1472
	s_waitcnt vmcnt(58) lgkmcnt(1)
	v_mul_f64 v[106:107], v[9:10], v[102:103]
	v_mul_f64 v[102:103], v[11:12], v[102:103]
	s_waitcnt vmcnt(56)
	v_fma_f64 v[25:26], v[1:2], v[19:20], -v[25:26]
	v_fma_f64 v[19:20], v[3:4], v[19:20], v[121:122]
	v_add_f64 v[13:14], v[13:14], v[110:111]
	v_add_f64 v[15:16], v[15:16], v[100:101]
	s_clause 0x4
	buffer_load_dword v101, off, s[0:3], 0 offset:828
	buffer_load_dword v110, off, s[0:3], 0 offset:840
	buffer_load_dword v114, off, s[0:3], 0 offset:832
	buffer_load_dword v100, off, s[0:3], 0 offset:824
	buffer_load_dword v118, off, s[0:3], 0 offset:804
	ds_read_b128 v[1:4], v89 offset:1488
	s_waitcnt vmcnt(57) lgkmcnt(1)
	v_mul_f64 v[119:120], v[5:6], v[90:91]
	v_mul_f64 v[90:91], v[7:8], v[90:91]
	s_waitcnt vmcnt(56)
	v_fma_f64 v[102:103], v[9:10], v[115:116], -v[102:103]
	v_add_f64 v[13:14], v[13:14], v[25:26]
	v_fma_f64 v[25:26], v[11:12], v[115:116], v[106:107]
	v_add_f64 v[15:16], v[15:16], v[19:20]
	s_clause 0x2
	buffer_load_dword v111, off, s[0:3], 0 offset:844
	buffer_load_dword v20, off, s[0:3], 0 offset:820
	buffer_load_dword v19, off, s[0:3], 0 offset:816
	ds_read_b128 v[9:12], v89 offset:1504
	s_waitcnt vmcnt(58) lgkmcnt(1)
	v_mul_f64 v[106:107], v[1:2], v[92:93]
	v_mul_f64 v[92:93], v[3:4], v[92:93]
	s_waitcnt vmcnt(56)
	v_fma_f64 v[90:91], v[5:6], v[21:22], -v[90:91]
	v_fma_f64 v[21:22], v[7:8], v[21:22], v[119:120]
	v_add_f64 v[13:14], v[13:14], v[102:103]
	;; [unrolled: 28-line block ×3, first 2 shown]
	v_add_f64 v[15:16], v[15:16], v[90:91]
	s_clause 0x4
	buffer_load_dword v91, off, s[0:3], 0 offset:892
	buffer_load_dword v92, off, s[0:3], 0 offset:904
	;; [unrolled: 1-line block ×5, first 2 shown]
	ds_read_b128 v[9:12], v89 offset:1552
	s_waitcnt vmcnt(57) lgkmcnt(1)
	v_mul_f64 v[121:122], v[1:2], v[23:24]
	v_mul_f64 v[23:24], v[3:4], v[23:24]
	s_waitcnt vmcnt(56)
	v_fma_f64 v[37:38], v[5:6], v[98:99], -v[37:38]
	v_add_f64 v[13:14], v[13:14], v[17:18]
	v_fma_f64 v[17:18], v[7:8], v[98:99], v[104:105]
	v_add_f64 v[15:16], v[15:16], v[27:28]
	s_clause 0x2
	buffer_load_dword v93, off, s[0:3], 0 offset:908
	buffer_load_dword v28, off, s[0:3], 0 offset:884
	;; [unrolled: 1-line block ×3, first 2 shown]
	s_waitcnt vmcnt(58) lgkmcnt(0)
	v_mul_f64 v[98:99], v[9:10], v[43:44]
	v_mul_f64 v[43:44], v[11:12], v[43:44]
	ds_read_b128 v[5:8], v89 offset:1568
	buffer_load_dword v107, off, s[0:3], 0 offset:900
	s_waitcnt vmcnt(57)
	v_fma_f64 v[23:24], v[1:2], v[33:34], -v[23:24]
	v_fma_f64 v[33:34], v[3:4], v[33:34], v[121:122]
	ds_read_b128 v[1:4], v89 offset:1584
	v_add_f64 v[13:14], v[13:14], v[37:38]
	v_add_f64 v[15:16], v[15:16], v[17:18]
	s_waitcnt vmcnt(53) lgkmcnt(1)
	v_mul_f64 v[17:18], v[5:6], v[29:30]
	v_mul_f64 v[29:30], v[7:8], v[29:30]
	s_waitcnt vmcnt(52)
	v_fma_f64 v[37:38], v[9:10], v[45:46], -v[43:44]
	v_add_f64 v[13:14], v[13:14], v[23:24]
	v_fma_f64 v[23:24], v[11:12], v[45:46], v[98:99]
	v_add_f64 v[15:16], v[15:16], v[33:34]
	ds_read_b128 v[9:12], v89 offset:1600
	s_waitcnt vmcnt(51) lgkmcnt(1)
	v_mul_f64 v[43:44], v[3:4], v[51:52]
	v_mul_f64 v[33:34], v[1:2], v[51:52]
	s_waitcnt vmcnt(49)
	v_fma_f64 v[29:30], v[5:6], v[31:32], -v[29:30]
	v_fma_f64 v[17:18], v[7:8], v[31:32], v[17:18]
	v_add_f64 v[13:14], v[13:14], v[37:38]
	v_add_f64 v[15:16], v[15:16], v[23:24]
	s_clause 0x3
	buffer_load_dword v23, off, s[0:3], 0 offset:240
	buffer_load_dword v24, off, s[0:3], 0 offset:244
	;; [unrolled: 1-line block ×4, first 2 shown]
	ds_read_b128 v[5:8], v89 offset:1616
	s_waitcnt vmcnt(49) lgkmcnt(1)
	v_mul_f64 v[37:38], v[9:10], v[35:36]
	v_mul_f64 v[35:36], v[11:12], v[35:36]
	s_waitcnt vmcnt(48)
	v_fma_f64 v[43:44], v[1:2], v[53:54], -v[43:44]
	v_add_f64 v[13:14], v[13:14], v[29:30]
	v_fma_f64 v[29:30], v[3:4], v[53:54], v[33:34]
	v_add_f64 v[15:16], v[15:16], v[17:18]
	ds_read_b128 v[1:4], v89 offset:1632
	s_waitcnt vmcnt(47) lgkmcnt(1)
	v_mul_f64 v[33:34], v[7:8], v[61:62]
	v_mul_f64 v[17:18], v[5:6], v[61:62]
	s_waitcnt vmcnt(45)
	v_fma_f64 v[35:36], v[9:10], v[39:40], -v[35:36]
	v_fma_f64 v[37:38], v[11:12], v[39:40], v[37:38]
	ds_read_b128 v[9:12], v89 offset:1648
	v_add_f64 v[13:14], v[13:14], v[43:44]
	v_add_f64 v[15:16], v[15:16], v[29:30]
	s_waitcnt vmcnt(41) lgkmcnt(1)
	v_mul_f64 v[39:40], v[3:4], v[41:42]
	s_waitcnt vmcnt(40)
	v_fma_f64 v[33:34], v[5:6], v[63:64], -v[33:34]
	v_mul_f64 v[29:30], v[1:2], v[41:42]
	v_fma_f64 v[17:18], v[7:8], v[63:64], v[17:18]
	ds_read_b128 v[5:8], v89 offset:1664
	v_add_f64 v[13:14], v[13:14], v[35:36]
	v_add_f64 v[15:16], v[15:16], v[37:38]
	s_waitcnt vmcnt(39) lgkmcnt(1)
	v_mul_f64 v[37:38], v[11:12], v[108:109]
	v_mul_f64 v[35:36], v[9:10], v[108:109]
	s_waitcnt vmcnt(37)
	v_fma_f64 v[39:40], v[1:2], v[47:48], -v[39:40]
	v_fma_f64 v[29:30], v[3:4], v[47:48], v[29:30]
	ds_read_b128 v[1:4], v89 offset:1680
	v_add_f64 v[13:14], v[13:14], v[33:34]
	v_add_f64 v[15:16], v[15:16], v[17:18]
	s_waitcnt vmcnt(33) lgkmcnt(1)
	v_mul_f64 v[33:34], v[7:8], v[49:50]
	s_waitcnt vmcnt(32)
	v_fma_f64 v[37:38], v[9:10], v[112:113], -v[37:38]
	v_mul_f64 v[17:18], v[5:6], v[49:50]
	v_fma_f64 v[35:36], v[11:12], v[112:113], v[35:36]
	ds_read_b128 v[9:12], v89 offset:1696
	v_add_f64 v[13:14], v[13:14], v[39:40]
	v_add_f64 v[15:16], v[15:16], v[29:30]
	s_waitcnt vmcnt(31) lgkmcnt(1)
	v_mul_f64 v[39:40], v[3:4], v[94:95]
	v_mul_f64 v[29:30], v[1:2], v[94:95]
	s_waitcnt vmcnt(29)
	v_fma_f64 v[33:34], v[5:6], v[55:56], -v[33:34]
	v_fma_f64 v[17:18], v[7:8], v[55:56], v[17:18]
	ds_read_b128 v[5:8], v89 offset:1712
	v_add_f64 v[13:14], v[13:14], v[37:38]
	v_add_f64 v[15:16], v[15:16], v[35:36]
	s_waitcnt vmcnt(25) lgkmcnt(1)
	v_mul_f64 v[37:38], v[11:12], v[100:101]
	s_waitcnt vmcnt(24)
	v_fma_f64 v[39:40], v[1:2], v[117:118], -v[39:40]
	v_mul_f64 v[35:36], v[9:10], v[100:101]
	v_fma_f64 v[29:30], v[3:4], v[117:118], v[29:30]
	ds_read_b128 v[1:4], v89 offset:1728
	v_add_f64 v[13:14], v[13:14], v[33:34]
	v_add_f64 v[15:16], v[15:16], v[17:18]
	s_waitcnt vmcnt(23) lgkmcnt(1)
	v_mul_f64 v[33:34], v[7:8], v[110:111]
	v_mul_f64 v[17:18], v[5:6], v[110:111]
	s_waitcnt vmcnt(21)
	v_fma_f64 v[37:38], v[9:10], v[19:20], -v[37:38]
	v_fma_f64 v[19:20], v[11:12], v[19:20], v[35:36]
	ds_read_b128 v[9:12], v89 offset:1744
	v_add_f64 v[13:14], v[13:14], v[39:40]
	v_add_f64 v[15:16], v[15:16], v[29:30]
	s_waitcnt vmcnt(17) lgkmcnt(1)
	v_mul_f64 v[29:30], v[1:2], v[25:26]
	v_mul_f64 v[25:26], v[3:4], v[25:26]
	s_waitcnt vmcnt(16)
	v_fma_f64 v[33:34], v[5:6], v[114:115], -v[33:34]
	v_fma_f64 v[17:18], v[7:8], v[114:115], v[17:18]
	ds_read_b128 v[5:8], v89 offset:1760
	v_add_f64 v[13:14], v[13:14], v[37:38]
	v_add_f64 v[15:16], v[15:16], v[19:20]
	;; [unrolled: 9-line block ×3, first 2 shown]
	s_waitcnt vmcnt(9) lgkmcnt(1)
	v_mul_f64 v[29:30], v[7:8], v[90:91]
	s_waitcnt vmcnt(8)
	v_fma_f64 v[9:10], v[9:10], v[119:120], -v[35:36]
	v_mul_f64 v[17:18], v[5:6], v[90:91]
	v_fma_f64 v[11:12], v[11:12], v[119:120], v[19:20]
	v_add_f64 v[13:14], v[13:14], v[25:26]
	v_add_f64 v[15:16], v[15:16], v[21:22]
	s_waitcnt vmcnt(7) lgkmcnt(0)
	v_mul_f64 v[21:22], v[3:4], v[92:93]
	v_mul_f64 v[19:20], v[1:2], v[92:93]
	s_waitcnt vmcnt(5)
	v_fma_f64 v[5:6], v[5:6], v[27:28], -v[29:30]
	v_fma_f64 v[7:8], v[7:8], v[27:28], v[17:18]
	v_add_f64 v[9:10], v[13:14], v[9:10]
	v_add_f64 v[11:12], v[15:16], v[11:12]
	s_waitcnt vmcnt(4)
	v_fma_f64 v[1:2], v[1:2], v[106:107], -v[21:22]
	v_fma_f64 v[3:4], v[3:4], v[106:107], v[19:20]
	v_add_f64 v[5:6], v[9:10], v[5:6]
	v_add_f64 v[7:8], v[11:12], v[7:8]
	;; [unrolled: 1-line block ×4, first 2 shown]
	s_waitcnt vmcnt(2)
	v_add_f64 v[1:2], v[23:24], -v[1:2]
	s_waitcnt vmcnt(0)
	v_add_f64 v[3:4], v[31:32], -v[3:4]
	buffer_store_dword v2, off, s[0:3], 0 offset:244
	buffer_store_dword v1, off, s[0:3], 0 offset:240
	;; [unrolled: 1-line block ×4, first 2 shown]
	v_cmpx_lt_u32_e32 13, v0
	s_cbranch_execz .LBB55_323
; %bb.322:
	v_mov_b32_e32 v4, s55
	s_clause 0x3
	buffer_load_dword v1, v4, s[0:3], 0 offen
	buffer_load_dword v2, v4, s[0:3], 0 offen offset:4
	buffer_load_dword v3, v4, s[0:3], 0 offen offset:8
	;; [unrolled: 1-line block ×3, first 2 shown]
	buffer_store_dword v89, off, s[0:3], 0 offset:224
	buffer_store_dword v89, off, s[0:3], 0 offset:228
	;; [unrolled: 1-line block ×4, first 2 shown]
	s_waitcnt vmcnt(0)
	ds_write_b128 v97, v[1:4]
.LBB55_323:
	s_or_b32 exec_lo, exec_lo, s4
	s_waitcnt lgkmcnt(0)
	s_waitcnt_vscnt null, 0x0
	s_barrier
	buffer_gl0_inv
	s_clause 0x37
	buffer_load_dword v9, off, s[0:3], 0 offset:248
	buffer_load_dword v10, off, s[0:3], 0 offset:252
	;; [unrolled: 1-line block ×56, first 2 shown]
	ds_read_b128 v[90:93], v89 offset:1120
	s_clause 0x2
	buffer_load_dword v62, off, s[0:3], 0 offset:476
	buffer_load_dword v64, off, s[0:3], 0 offset:452
	;; [unrolled: 1-line block ×3, first 2 shown]
	ds_read_b128 v[98:101], v89 offset:1136
	s_clause 0x4
	buffer_load_dword v107, off, s[0:3], 0 offset:492
	buffer_load_dword v108, off, s[0:3], 0 offset:504
	buffer_load_dword v110, off, s[0:3], 0 offset:496
	buffer_load_dword v106, off, s[0:3], 0 offset:488
	buffer_load_dword v50, off, s[0:3], 0 offset:468
	ds_read_b128 v[102:105], v89 offset:1152
	s_clause 0x2
	buffer_load_dword v109, off, s[0:3], 0 offset:508
	buffer_load_dword v114, off, s[0:3], 0 offset:484
	;; [unrolled: 1-line block ×3, first 2 shown]
	s_mov_b32 s4, exec_lo
	s_waitcnt vmcnt(62) lgkmcnt(2)
	v_mul_f64 v[94:95], v[92:93], v[9:10]
	v_mul_f64 v[9:10], v[90:91], v[9:10]
	s_waitcnt lgkmcnt(1)
	v_mul_f64 v[111:112], v[100:101], v[5:6]
	s_waitcnt vmcnt(59) lgkmcnt(0)
	v_mul_f64 v[115:116], v[104:105], v[3:4]
	v_fma_f64 v[90:91], v[90:91], v[7:8], -v[94:95]
	v_mul_f64 v[94:95], v[98:99], v[5:6]
	v_fma_f64 v[9:10], v[92:93], v[7:8], v[9:10]
	s_waitcnt vmcnt(57)
	v_fma_f64 v[98:99], v[98:99], v[1:2], -v[111:112]
	ds_read_b128 v[5:8], v89 offset:1168
	v_mul_f64 v[92:93], v[102:103], v[3:4]
	s_waitcnt vmcnt(51)
	v_fma_f64 v[102:103], v[102:103], v[25:26], -v[115:116]
	v_add_f64 v[90:91], v[90:91], 0
	v_fma_f64 v[94:95], v[100:101], v[1:2], v[94:95]
	v_add_f64 v[9:10], v[9:10], 0
	s_clause 0x4
	buffer_load_dword v101, off, s[0:3], 0 offset:524
	buffer_load_dword v117, off, s[0:3], 0 offset:536
	;; [unrolled: 1-line block ×5, first 2 shown]
	s_waitcnt lgkmcnt(0)
	v_mul_f64 v[120:121], v[5:6], v[13:14]
	v_mul_f64 v[13:14], v[7:8], v[13:14]
	ds_read_b128 v[1:4], v89 offset:1184
	v_fma_f64 v[25:26], v[104:105], v[25:26], v[92:93]
	v_add_f64 v[98:99], v[90:91], v[98:99]
	v_add_f64 v[9:10], v[9:10], v[94:95]
	s_clause 0x2
	buffer_load_dword v118, off, s[0:3], 0 offset:540
	buffer_load_dword v95, off, s[0:3], 0 offset:516
	;; [unrolled: 1-line block ×3, first 2 shown]
	s_waitcnt vmcnt(58) lgkmcnt(0)
	v_mul_f64 v[104:105], v[1:2], v[17:18]
	v_mul_f64 v[17:18], v[3:4], v[17:18]
	s_waitcnt vmcnt(56)
	v_fma_f64 v[13:14], v[5:6], v[19:20], -v[13:14]
	ds_read_b128 v[90:93], v89 offset:1200
	v_fma_f64 v[19:20], v[7:8], v[19:20], v[120:121]
	v_add_f64 v[98:99], v[98:99], v[102:103]
	v_add_f64 v[9:10], v[9:10], v[25:26]
	s_clause 0x4
	buffer_load_dword v26, off, s[0:3], 0 offset:556
	buffer_load_dword v102, off, s[0:3], 0 offset:568
	;; [unrolled: 1-line block ×5, first 2 shown]
	ds_read_b128 v[5:8], v89 offset:1216
	s_waitcnt vmcnt(57) lgkmcnt(1)
	v_mul_f64 v[121:122], v[90:91], v[21:22]
	v_mul_f64 v[21:22], v[92:93], v[21:22]
	s_waitcnt vmcnt(56)
	v_fma_f64 v[17:18], v[1:2], v[11:12], -v[17:18]
	v_fma_f64 v[11:12], v[3:4], v[11:12], v[104:105]
	v_add_f64 v[13:14], v[98:99], v[13:14]
	v_add_f64 v[9:10], v[9:10], v[19:20]
	s_clause 0x2
	buffer_load_dword v103, off, s[0:3], 0 offset:572
	buffer_load_dword v20, off, s[0:3], 0 offset:548
	;; [unrolled: 1-line block ×3, first 2 shown]
	s_waitcnt vmcnt(58) lgkmcnt(0)
	v_mul_f64 v[98:99], v[5:6], v[27:28]
	v_mul_f64 v[27:28], v[7:8], v[27:28]
	s_waitcnt vmcnt(56)
	v_fma_f64 v[21:22], v[90:91], v[29:30], -v[21:22]
	ds_read_b128 v[1:4], v89 offset:1232
	v_add_f64 v[13:14], v[13:14], v[17:18]
	v_fma_f64 v[17:18], v[92:93], v[29:30], v[121:122]
	v_add_f64 v[29:30], v[9:10], v[11:12]
	s_clause 0x4
	buffer_load_dword v91, off, s[0:3], 0 offset:588
	buffer_load_dword v92, off, s[0:3], 0 offset:600
	;; [unrolled: 1-line block ×5, first 2 shown]
	ds_read_b128 v[9:12], v89 offset:1248
	s_waitcnt vmcnt(57) lgkmcnt(1)
	v_mul_f64 v[121:122], v[1:2], v[31:32]
	v_mul_f64 v[31:32], v[3:4], v[31:32]
	s_waitcnt vmcnt(56)
	v_fma_f64 v[27:28], v[5:6], v[15:16], -v[27:28]
	v_fma_f64 v[15:16], v[7:8], v[15:16], v[98:99]
	v_add_f64 v[13:14], v[13:14], v[21:22]
	s_clause 0x2
	buffer_load_dword v93, off, s[0:3], 0 offset:604
	buffer_load_dword v22, off, s[0:3], 0 offset:580
	;; [unrolled: 1-line block ×3, first 2 shown]
	v_add_f64 v[17:18], v[29:30], v[17:18]
	s_waitcnt vmcnt(58) lgkmcnt(0)
	v_mul_f64 v[29:30], v[9:10], v[35:36]
	v_mul_f64 v[35:36], v[11:12], v[35:36]
	ds_read_b128 v[5:8], v89 offset:1264
	s_waitcnt vmcnt(56)
	v_fma_f64 v[31:32], v[1:2], v[37:38], -v[31:32]
	v_add_f64 v[13:14], v[13:14], v[27:28]
	v_fma_f64 v[27:28], v[3:4], v[37:38], v[121:122]
	v_add_f64 v[15:16], v[17:18], v[15:16]
	s_clause 0x4
	buffer_load_dword v18, off, s[0:3], 0 offset:620
	buffer_load_dword v37, off, s[0:3], 0 offset:632
	;; [unrolled: 1-line block ×5, first 2 shown]
	s_waitcnt vmcnt(57) lgkmcnt(0)
	v_mul_f64 v[121:122], v[5:6], v[39:40]
	v_mul_f64 v[39:40], v[7:8], v[39:40]
	s_waitcnt vmcnt(56)
	v_fma_f64 v[35:36], v[9:10], v[23:24], -v[35:36]
	ds_read_b128 v[1:4], v89 offset:1280
	v_fma_f64 v[23:24], v[11:12], v[23:24], v[29:30]
	v_add_f64 v[13:14], v[13:14], v[31:32]
	v_add_f64 v[15:16], v[15:16], v[27:28]
	s_clause 0x2
	buffer_load_dword v38, off, s[0:3], 0 offset:636
	buffer_load_dword v28, off, s[0:3], 0 offset:612
	;; [unrolled: 1-line block ×3, first 2 shown]
	ds_read_b128 v[9:12], v89 offset:1296
	s_waitcnt vmcnt(58) lgkmcnt(1)
	v_mul_f64 v[31:32], v[3:4], v[43:44]
	s_waitcnt vmcnt(56)
	v_fma_f64 v[39:40], v[5:6], v[45:46], -v[39:40]
	v_mul_f64 v[29:30], v[1:2], v[43:44]
	v_add_f64 v[13:14], v[13:14], v[35:36]
	v_fma_f64 v[35:36], v[7:8], v[45:46], v[121:122]
	v_add_f64 v[15:16], v[15:16], v[23:24]
	s_clause 0x4
	buffer_load_dword v24, off, s[0:3], 0 offset:652
	buffer_load_dword v43, off, s[0:3], 0 offset:664
	buffer_load_dword v45, off, s[0:3], 0 offset:656
	buffer_load_dword v23, off, s[0:3], 0 offset:648
	buffer_load_dword v99, off, s[0:3], 0 offset:628
	s_waitcnt vmcnt(57) lgkmcnt(0)
	v_mul_f64 v[121:122], v[9:10], v[47:48]
	v_mul_f64 v[46:47], v[11:12], v[47:48]
	s_waitcnt vmcnt(56)
	v_fma_f64 v[31:32], v[1:2], v[33:34], -v[31:32]
	ds_read_b128 v[5:8], v89 offset:1312
	v_fma_f64 v[29:30], v[3:4], v[33:34], v[29:30]
	s_clause 0x2
	buffer_load_dword v44, off, s[0:3], 0 offset:668
	buffer_load_dword v34, off, s[0:3], 0 offset:644
	;; [unrolled: 1-line block ×3, first 2 shown]
	ds_read_b128 v[1:4], v89 offset:1328
	v_add_f64 v[13:14], v[13:14], v[39:40]
	v_add_f64 v[15:16], v[15:16], v[35:36]
	s_waitcnt vmcnt(58) lgkmcnt(1)
	v_mul_f64 v[39:40], v[7:8], v[51:52]
	s_waitcnt vmcnt(56)
	v_fma_f64 v[47:48], v[9:10], v[53:54], -v[46:47]
	v_mul_f64 v[35:36], v[5:6], v[51:52]
	v_add_f64 v[13:14], v[13:14], v[31:32]
	v_fma_f64 v[31:32], v[11:12], v[53:54], v[121:122]
	v_add_f64 v[15:16], v[15:16], v[29:30]
	s_clause 0x4
	buffer_load_dword v30, off, s[0:3], 0 offset:684
	buffer_load_dword v51, off, s[0:3], 0 offset:696
	;; [unrolled: 1-line block ×5, first 2 shown]
	s_waitcnt vmcnt(57) lgkmcnt(0)
	v_mul_f64 v[121:122], v[1:2], v[55:56]
	v_mul_f64 v[54:55], v[3:4], v[55:56]
	s_waitcnt vmcnt(56)
	v_fma_f64 v[39:40], v[5:6], v[41:42], -v[39:40]
	ds_read_b128 v[9:12], v89 offset:1344
	v_fma_f64 v[35:36], v[7:8], v[41:42], v[35:36]
	v_add_f64 v[13:14], v[13:14], v[47:48]
	v_add_f64 v[15:16], v[15:16], v[31:32]
	s_clause 0x2
	buffer_load_dword v52, off, s[0:3], 0 offset:700
	buffer_load_dword v32, off, s[0:3], 0 offset:676
	;; [unrolled: 1-line block ×3, first 2 shown]
	ds_read_b128 v[5:8], v89 offset:1360
	s_waitcnt vmcnt(58) lgkmcnt(1)
	v_mul_f64 v[47:48], v[11:12], v[61:62]
	s_waitcnt vmcnt(56)
	v_fma_f64 v[55:56], v[1:2], v[63:64], -v[54:55]
	v_mul_f64 v[41:42], v[9:10], v[61:62]
	v_add_f64 v[13:14], v[13:14], v[39:40]
	v_fma_f64 v[39:40], v[3:4], v[63:64], v[121:122]
	v_add_f64 v[15:16], v[15:16], v[35:36]
	s_clause 0x4
	buffer_load_dword v36, off, s[0:3], 0 offset:716
	buffer_load_dword v61, off, s[0:3], 0 offset:728
	;; [unrolled: 1-line block ×5, first 2 shown]
	s_waitcnt vmcnt(57) lgkmcnt(0)
	v_mul_f64 v[121:122], v[5:6], v[106:107]
	v_mul_f64 v[106:107], v[7:8], v[106:107]
	s_waitcnt vmcnt(56)
	v_fma_f64 v[47:48], v[9:10], v[49:50], -v[47:48]
	ds_read_b128 v[1:4], v89 offset:1376
	v_fma_f64 v[41:42], v[11:12], v[49:50], v[41:42]
	v_add_f64 v[13:14], v[13:14], v[55:56]
	v_add_f64 v[15:16], v[15:16], v[39:40]
	s_clause 0x2
	buffer_load_dword v62, off, s[0:3], 0 offset:732
	buffer_load_dword v40, off, s[0:3], 0 offset:708
	;; [unrolled: 1-line block ×3, first 2 shown]
	ds_read_b128 v[9:12], v89 offset:1392
	s_waitcnt vmcnt(58) lgkmcnt(1)
	v_mul_f64 v[55:56], v[3:4], v[108:109]
	s_waitcnt vmcnt(56)
	v_fma_f64 v[106:107], v[5:6], v[113:114], -v[106:107]
	v_mul_f64 v[49:50], v[1:2], v[108:109]
	v_add_f64 v[13:14], v[13:14], v[47:48]
	v_fma_f64 v[47:48], v[7:8], v[113:114], v[121:122]
	v_add_f64 v[15:16], v[15:16], v[41:42]
	s_clause 0x4
	buffer_load_dword v42, off, s[0:3], 0 offset:748
	buffer_load_dword v108, off, s[0:3], 0 offset:760
	;; [unrolled: 1-line block ×5, first 2 shown]
	ds_read_b128 v[5:8], v89 offset:1408
	s_waitcnt vmcnt(57) lgkmcnt(1)
	v_mul_f64 v[113:114], v[9:10], v[100:101]
	v_mul_f64 v[100:101], v[11:12], v[100:101]
	s_waitcnt vmcnt(56)
	v_fma_f64 v[55:56], v[1:2], v[110:111], -v[55:56]
	v_fma_f64 v[49:50], v[3:4], v[110:111], v[49:50]
	v_add_f64 v[13:14], v[13:14], v[106:107]
	v_add_f64 v[15:16], v[15:16], v[47:48]
	s_clause 0x2
	buffer_load_dword v109, off, s[0:3], 0 offset:764
	buffer_load_dword v48, off, s[0:3], 0 offset:740
	;; [unrolled: 1-line block ×3, first 2 shown]
	ds_read_b128 v[1:4], v89 offset:1424
	s_waitcnt vmcnt(58) lgkmcnt(1)
	v_mul_f64 v[110:111], v[7:8], v[117:118]
	v_mul_f64 v[106:107], v[5:6], v[117:118]
	s_waitcnt vmcnt(56)
	v_fma_f64 v[100:101], v[9:10], v[94:95], -v[100:101]
	v_add_f64 v[13:14], v[13:14], v[55:56]
	v_fma_f64 v[55:56], v[11:12], v[94:95], v[113:114]
	v_add_f64 v[15:16], v[15:16], v[49:50]
	s_clause 0x4
	buffer_load_dword v50, off, s[0:3], 0 offset:780
	buffer_load_dword v94, off, s[0:3], 0 offset:792
	buffer_load_dword v117, off, s[0:3], 0 offset:784
	buffer_load_dword v49, off, s[0:3], 0 offset:776
	buffer_load_dword v113, off, s[0:3], 0 offset:756
	ds_read_b128 v[9:12], v89 offset:1440
	s_waitcnt vmcnt(57) lgkmcnt(1)
	v_mul_f64 v[121:122], v[1:2], v[25:26]
	v_mul_f64 v[25:26], v[3:4], v[25:26]
	s_waitcnt vmcnt(56)
	v_fma_f64 v[110:111], v[5:6], v[119:120], -v[110:111]
	v_add_f64 v[13:14], v[13:14], v[100:101]
	v_fma_f64 v[100:101], v[7:8], v[119:120], v[106:107]
	v_add_f64 v[15:16], v[15:16], v[55:56]
	s_clause 0x2
	buffer_load_dword v95, off, s[0:3], 0 offset:796
	buffer_load_dword v56, off, s[0:3], 0 offset:772
	buffer_load_dword v55, off, s[0:3], 0 offset:768
	ds_read_b128 v[5:8], v89 offset:1456
	s_waitcnt vmcnt(58) lgkmcnt(1)
	v_mul_f64 v[106:107], v[9:10], v[102:103]
	v_mul_f64 v[102:103], v[11:12], v[102:103]
	s_waitcnt vmcnt(56)
	v_fma_f64 v[25:26], v[1:2], v[19:20], -v[25:26]
	v_fma_f64 v[19:20], v[3:4], v[19:20], v[121:122]
	v_add_f64 v[13:14], v[13:14], v[110:111]
	v_add_f64 v[15:16], v[15:16], v[100:101]
	s_clause 0x4
	buffer_load_dword v101, off, s[0:3], 0 offset:812
	buffer_load_dword v110, off, s[0:3], 0 offset:824
	buffer_load_dword v114, off, s[0:3], 0 offset:816
	buffer_load_dword v100, off, s[0:3], 0 offset:808
	buffer_load_dword v118, off, s[0:3], 0 offset:788
	ds_read_b128 v[1:4], v89 offset:1472
	s_waitcnt vmcnt(57) lgkmcnt(1)
	v_mul_f64 v[119:120], v[5:6], v[90:91]
	v_mul_f64 v[90:91], v[7:8], v[90:91]
	s_waitcnt vmcnt(56)
	v_fma_f64 v[102:103], v[9:10], v[115:116], -v[102:103]
	v_add_f64 v[13:14], v[13:14], v[25:26]
	v_fma_f64 v[25:26], v[11:12], v[115:116], v[106:107]
	v_add_f64 v[15:16], v[15:16], v[19:20]
	s_clause 0x2
	buffer_load_dword v111, off, s[0:3], 0 offset:828
	buffer_load_dword v20, off, s[0:3], 0 offset:804
	buffer_load_dword v19, off, s[0:3], 0 offset:800
	ds_read_b128 v[9:12], v89 offset:1488
	s_waitcnt vmcnt(58) lgkmcnt(1)
	v_mul_f64 v[106:107], v[1:2], v[92:93]
	v_mul_f64 v[92:93], v[3:4], v[92:93]
	s_waitcnt vmcnt(56)
	v_fma_f64 v[90:91], v[5:6], v[21:22], -v[90:91]
	v_fma_f64 v[21:22], v[7:8], v[21:22], v[119:120]
	v_add_f64 v[13:14], v[13:14], v[102:103]
	;; [unrolled: 28-line block ×3, first 2 shown]
	v_add_f64 v[15:16], v[15:16], v[90:91]
	s_clause 0x4
	buffer_load_dword v91, off, s[0:3], 0 offset:876
	buffer_load_dword v92, off, s[0:3], 0 offset:888
	;; [unrolled: 1-line block ×5, first 2 shown]
	ds_read_b128 v[9:12], v89 offset:1536
	s_waitcnt vmcnt(57) lgkmcnt(1)
	v_mul_f64 v[121:122], v[1:2], v[23:24]
	v_mul_f64 v[23:24], v[3:4], v[23:24]
	s_waitcnt vmcnt(56)
	v_fma_f64 v[37:38], v[5:6], v[98:99], -v[37:38]
	v_add_f64 v[13:14], v[13:14], v[17:18]
	v_fma_f64 v[17:18], v[7:8], v[98:99], v[104:105]
	v_add_f64 v[15:16], v[15:16], v[27:28]
	s_clause 0x2
	buffer_load_dword v93, off, s[0:3], 0 offset:892
	buffer_load_dword v28, off, s[0:3], 0 offset:868
	;; [unrolled: 1-line block ×3, first 2 shown]
	s_waitcnt vmcnt(58) lgkmcnt(0)
	v_mul_f64 v[98:99], v[9:10], v[43:44]
	v_mul_f64 v[43:44], v[11:12], v[43:44]
	ds_read_b128 v[5:8], v89 offset:1552
	s_waitcnt vmcnt(56)
	v_fma_f64 v[23:24], v[1:2], v[33:34], -v[23:24]
	v_fma_f64 v[33:34], v[3:4], v[33:34], v[121:122]
	v_add_f64 v[13:14], v[13:14], v[37:38]
	v_add_f64 v[15:16], v[15:16], v[17:18]
	s_clause 0x2
	buffer_load_dword v18, off, s[0:3], 0 offset:908
	buffer_load_dword v17, off, s[0:3], 0 offset:904
	;; [unrolled: 1-line block ×3, first 2 shown]
	ds_read_b128 v[1:4], v89 offset:1568
	s_waitcnt vmcnt(55) lgkmcnt(1)
	v_mul_f64 v[37:38], v[5:6], v[29:30]
	v_mul_f64 v[29:30], v[7:8], v[29:30]
	s_waitcnt vmcnt(54)
	v_fma_f64 v[43:44], v[9:10], v[45:46], -v[43:44]
	v_add_f64 v[13:14], v[13:14], v[23:24]
	v_fma_f64 v[23:24], v[11:12], v[45:46], v[98:99]
	v_add_f64 v[15:16], v[15:16], v[33:34]
	s_clause 0x1
	buffer_load_dword v34, off, s[0:3], 0 offset:900
	buffer_load_dword v33, off, s[0:3], 0 offset:896
	ds_read_b128 v[9:12], v89 offset:1584
	s_waitcnt vmcnt(55) lgkmcnt(1)
	v_mul_f64 v[45:46], v[1:2], v[51:52]
	v_mul_f64 v[51:52], v[3:4], v[51:52]
	s_waitcnt vmcnt(53)
	v_fma_f64 v[29:30], v[5:6], v[31:32], -v[29:30]
	v_fma_f64 v[31:32], v[7:8], v[31:32], v[37:38]
	ds_read_b128 v[5:8], v89 offset:1600
	v_add_f64 v[13:14], v[13:14], v[43:44]
	v_add_f64 v[15:16], v[15:16], v[23:24]
	s_waitcnt vmcnt(49) lgkmcnt(1)
	v_mul_f64 v[23:24], v[9:10], v[35:36]
	v_mul_f64 v[35:36], v[11:12], v[35:36]
	s_waitcnt vmcnt(48)
	v_fma_f64 v[37:38], v[1:2], v[53:54], -v[51:52]
	v_add_f64 v[13:14], v[13:14], v[29:30]
	v_fma_f64 v[29:30], v[3:4], v[53:54], v[45:46]
	v_add_f64 v[15:16], v[15:16], v[31:32]
	s_clause 0x3
	buffer_load_dword v31, off, s[0:3], 0 offset:224
	buffer_load_dword v32, off, s[0:3], 0 offset:228
	;; [unrolled: 1-line block ×4, first 2 shown]
	ds_read_b128 v[1:4], v89 offset:1616
	s_waitcnt vmcnt(51) lgkmcnt(1)
	v_mul_f64 v[51:52], v[7:8], v[61:62]
	v_mul_f64 v[45:46], v[5:6], v[61:62]
	s_waitcnt vmcnt(49)
	v_fma_f64 v[35:36], v[9:10], v[39:40], -v[35:36]
	v_fma_f64 v[23:24], v[11:12], v[39:40], v[23:24]
	ds_read_b128 v[9:12], v89 offset:1632
	v_add_f64 v[13:14], v[13:14], v[37:38]
	v_add_f64 v[15:16], v[15:16], v[29:30]
	s_waitcnt vmcnt(45) lgkmcnt(1)
	v_mul_f64 v[37:38], v[3:4], v[41:42]
	s_waitcnt vmcnt(44)
	v_fma_f64 v[39:40], v[5:6], v[63:64], -v[51:52]
	v_mul_f64 v[29:30], v[1:2], v[41:42]
	v_add_f64 v[13:14], v[13:14], v[35:36]
	v_fma_f64 v[35:36], v[7:8], v[63:64], v[45:46]
	v_add_f64 v[15:16], v[15:16], v[23:24]
	ds_read_b128 v[5:8], v89 offset:1648
	s_waitcnt vmcnt(43) lgkmcnt(1)
	v_mul_f64 v[41:42], v[11:12], v[108:109]
	v_mul_f64 v[23:24], v[9:10], v[108:109]
	s_waitcnt vmcnt(41)
	v_fma_f64 v[37:38], v[1:2], v[47:48], -v[37:38]
	v_fma_f64 v[29:30], v[3:4], v[47:48], v[29:30]
	ds_read_b128 v[1:4], v89 offset:1664
	v_add_f64 v[13:14], v[13:14], v[39:40]
	v_add_f64 v[15:16], v[15:16], v[35:36]
	s_waitcnt vmcnt(37) lgkmcnt(1)
	v_mul_f64 v[39:40], v[7:8], v[49:50]
	s_waitcnt vmcnt(36)
	v_fma_f64 v[41:42], v[9:10], v[112:113], -v[41:42]
	v_mul_f64 v[35:36], v[5:6], v[49:50]
	v_fma_f64 v[23:24], v[11:12], v[112:113], v[23:24]
	ds_read_b128 v[9:12], v89 offset:1680
	v_add_f64 v[13:14], v[13:14], v[37:38]
	v_add_f64 v[15:16], v[15:16], v[29:30]
	s_waitcnt vmcnt(35) lgkmcnt(1)
	v_mul_f64 v[37:38], v[3:4], v[94:95]
	v_mul_f64 v[29:30], v[1:2], v[94:95]
	s_waitcnt vmcnt(33)
	v_fma_f64 v[39:40], v[5:6], v[55:56], -v[39:40]
	v_fma_f64 v[35:36], v[7:8], v[55:56], v[35:36]
	ds_read_b128 v[5:8], v89 offset:1696
	v_add_f64 v[13:14], v[13:14], v[41:42]
	v_add_f64 v[15:16], v[15:16], v[23:24]
	s_waitcnt vmcnt(29) lgkmcnt(1)
	v_mul_f64 v[41:42], v[11:12], v[100:101]
	s_waitcnt vmcnt(28)
	v_fma_f64 v[37:38], v[1:2], v[117:118], -v[37:38]
	v_mul_f64 v[23:24], v[9:10], v[100:101]
	v_fma_f64 v[29:30], v[3:4], v[117:118], v[29:30]
	ds_read_b128 v[1:4], v89 offset:1712
	v_add_f64 v[13:14], v[13:14], v[39:40]
	v_add_f64 v[15:16], v[15:16], v[35:36]
	s_waitcnt vmcnt(27) lgkmcnt(1)
	v_mul_f64 v[39:40], v[7:8], v[110:111]
	v_mul_f64 v[35:36], v[5:6], v[110:111]
	s_waitcnt vmcnt(25)
	v_fma_f64 v[41:42], v[9:10], v[19:20], -v[41:42]
	v_fma_f64 v[19:20], v[11:12], v[19:20], v[23:24]
	ds_read_b128 v[9:12], v89 offset:1728
	v_add_f64 v[13:14], v[13:14], v[37:38]
	v_add_f64 v[15:16], v[15:16], v[29:30]
	s_waitcnt vmcnt(21) lgkmcnt(1)
	v_mul_f64 v[23:24], v[1:2], v[25:26]
	v_mul_f64 v[25:26], v[3:4], v[25:26]
	s_waitcnt vmcnt(20)
	v_fma_f64 v[29:30], v[5:6], v[114:115], -v[39:40]
	;; [unrolled: 9-line block ×3, first 2 shown]
	v_fma_f64 v[21:22], v[3:4], v[21:22], v[23:24]
	ds_read_b128 v[1:4], v89 offset:1760
	v_add_f64 v[13:14], v[13:14], v[29:30]
	v_add_f64 v[15:16], v[15:16], v[35:36]
	s_waitcnt vmcnt(13) lgkmcnt(1)
	v_mul_f64 v[29:30], v[7:8], v[90:91]
	s_waitcnt vmcnt(12)
	v_fma_f64 v[35:36], v[9:10], v[119:120], -v[37:38]
	v_mul_f64 v[23:24], v[5:6], v[90:91]
	v_fma_f64 v[19:20], v[11:12], v[119:120], v[19:20]
	ds_read_b128 v[9:12], v89 offset:1776
	v_add_f64 v[13:14], v[13:14], v[25:26]
	v_add_f64 v[15:16], v[15:16], v[21:22]
	s_waitcnt vmcnt(11) lgkmcnt(1)
	v_mul_f64 v[25:26], v[3:4], v[92:93]
	v_mul_f64 v[21:22], v[1:2], v[92:93]
	s_waitcnt vmcnt(9)
	v_fma_f64 v[5:6], v[5:6], v[27:28], -v[29:30]
	v_fma_f64 v[7:8], v[7:8], v[27:28], v[23:24]
	v_add_f64 v[13:14], v[13:14], v[35:36]
	v_add_f64 v[15:16], v[15:16], v[19:20]
	s_waitcnt vmcnt(7) lgkmcnt(0)
	v_mul_f64 v[19:20], v[9:10], v[17:18]
	v_mul_f64 v[17:18], v[11:12], v[17:18]
	s_waitcnt vmcnt(6)
	v_fma_f64 v[1:2], v[1:2], v[106:107], -v[25:26]
	v_fma_f64 v[3:4], v[3:4], v[106:107], v[21:22]
	v_add_f64 v[5:6], v[13:14], v[5:6]
	v_add_f64 v[7:8], v[15:16], v[7:8]
	s_waitcnt vmcnt(4)
	v_fma_f64 v[9:10], v[9:10], v[33:34], -v[17:18]
	v_add_f64 v[1:2], v[5:6], v[1:2]
	v_fma_f64 v[5:6], v[11:12], v[33:34], v[19:20]
	v_add_f64 v[3:4], v[7:8], v[3:4]
	v_add_f64 v[1:2], v[1:2], v[9:10]
	;; [unrolled: 1-line block ×3, first 2 shown]
	s_waitcnt vmcnt(2)
	v_add_f64 v[1:2], v[31:32], -v[1:2]
	s_waitcnt vmcnt(0)
	v_add_f64 v[3:4], v[43:44], -v[3:4]
	buffer_store_dword v2, off, s[0:3], 0 offset:228
	buffer_store_dword v1, off, s[0:3], 0 offset:224
	buffer_store_dword v4, off, s[0:3], 0 offset:236
	buffer_store_dword v3, off, s[0:3], 0 offset:232
	v_cmpx_lt_u32_e32 12, v0
	s_cbranch_execz .LBB55_325
; %bb.324:
	v_mov_b32_e32 v4, s56
	v_mov_b32_e32 v5, 0
	s_clause 0x3
	buffer_load_dword v1, v4, s[0:3], 0 offen
	buffer_load_dword v2, v4, s[0:3], 0 offen offset:4
	buffer_load_dword v3, v4, s[0:3], 0 offen offset:8
	buffer_load_dword v4, v4, s[0:3], 0 offen offset:12
	buffer_store_dword v5, off, s[0:3], 0 offset:208
	buffer_store_dword v5, off, s[0:3], 0 offset:212
	;; [unrolled: 1-line block ×4, first 2 shown]
	s_waitcnt vmcnt(0)
	ds_write_b128 v97, v[1:4]
.LBB55_325:
	s_or_b32 exec_lo, exec_lo, s4
	s_waitcnt lgkmcnt(0)
	s_waitcnt_vscnt null, 0x0
	s_barrier
	buffer_gl0_inv
	s_clause 0x37
	buffer_load_dword v9, off, s[0:3], 0 offset:232
	buffer_load_dword v10, off, s[0:3], 0 offset:236
	buffer_load_dword v5, off, s[0:3], 0 offset:248
	buffer_load_dword v6, off, s[0:3], 0 offset:252
	buffer_load_dword v7, off, s[0:3], 0 offset:224
	buffer_load_dword v8, off, s[0:3], 0 offset:228
	buffer_load_dword v3, off, s[0:3], 0 offset:264
	buffer_load_dword v4, off, s[0:3], 0 offset:268
	buffer_load_dword v1, off, s[0:3], 0 offset:240
	buffer_load_dword v2, off, s[0:3], 0 offset:244
	buffer_load_dword v14, off, s[0:3], 0 offset:284
	buffer_load_dword v17, off, s[0:3], 0 offset:296
	buffer_load_dword v11, off, s[0:3], 0 offset:288
	buffer_load_dword v13, off, s[0:3], 0 offset:280
	buffer_load_dword v25, off, s[0:3], 0 offset:256
	buffer_load_dword v26, off, s[0:3], 0 offset:260
	buffer_load_dword v18, off, s[0:3], 0 offset:300
	buffer_load_dword v20, off, s[0:3], 0 offset:276
	buffer_load_dword v19, off, s[0:3], 0 offset:272
	buffer_load_dword v22, off, s[0:3], 0 offset:316
	buffer_load_dword v27, off, s[0:3], 0 offset:328
	buffer_load_dword v15, off, s[0:3], 0 offset:320
	buffer_load_dword v21, off, s[0:3], 0 offset:312
	buffer_load_dword v12, off, s[0:3], 0 offset:292
	buffer_load_dword v28, off, s[0:3], 0 offset:332
	buffer_load_dword v30, off, s[0:3], 0 offset:308
	buffer_load_dword v29, off, s[0:3], 0 offset:304
	buffer_load_dword v32, off, s[0:3], 0 offset:348
	buffer_load_dword v35, off, s[0:3], 0 offset:360
	buffer_load_dword v23, off, s[0:3], 0 offset:352
	buffer_load_dword v31, off, s[0:3], 0 offset:344
	buffer_load_dword v16, off, s[0:3], 0 offset:324
	buffer_load_dword v36, off, s[0:3], 0 offset:364
	buffer_load_dword v38, off, s[0:3], 0 offset:340
	buffer_load_dword v37, off, s[0:3], 0 offset:336
	buffer_load_dword v40, off, s[0:3], 0 offset:380
	buffer_load_dword v43, off, s[0:3], 0 offset:392
	buffer_load_dword v33, off, s[0:3], 0 offset:384
	buffer_load_dword v39, off, s[0:3], 0 offset:376
	buffer_load_dword v24, off, s[0:3], 0 offset:356
	buffer_load_dword v44, off, s[0:3], 0 offset:396
	buffer_load_dword v46, off, s[0:3], 0 offset:372
	buffer_load_dword v45, off, s[0:3], 0 offset:368
	buffer_load_dword v48, off, s[0:3], 0 offset:412
	buffer_load_dword v51, off, s[0:3], 0 offset:424
	buffer_load_dword v41, off, s[0:3], 0 offset:416
	buffer_load_dword v47, off, s[0:3], 0 offset:408
	buffer_load_dword v34, off, s[0:3], 0 offset:388
	buffer_load_dword v52, off, s[0:3], 0 offset:428
	buffer_load_dword v54, off, s[0:3], 0 offset:404
	buffer_load_dword v53, off, s[0:3], 0 offset:400
	buffer_load_dword v56, off, s[0:3], 0 offset:444
	buffer_load_dword v61, off, s[0:3], 0 offset:456
	buffer_load_dword v49, off, s[0:3], 0 offset:448
	buffer_load_dword v55, off, s[0:3], 0 offset:440
	buffer_load_dword v42, off, s[0:3], 0 offset:420
	v_mov_b32_e32 v89, 0
	s_mov_b32 s4, exec_lo
	ds_read_b128 v[90:93], v89 offset:1104
	s_clause 0x2
	buffer_load_dword v62, off, s[0:3], 0 offset:460
	buffer_load_dword v64, off, s[0:3], 0 offset:436
	;; [unrolled: 1-line block ×3, first 2 shown]
	ds_read_b128 v[98:101], v89 offset:1120
	s_clause 0x4
	buffer_load_dword v107, off, s[0:3], 0 offset:476
	buffer_load_dword v108, off, s[0:3], 0 offset:488
	buffer_load_dword v110, off, s[0:3], 0 offset:480
	buffer_load_dword v106, off, s[0:3], 0 offset:472
	buffer_load_dword v50, off, s[0:3], 0 offset:452
	ds_read_b128 v[102:105], v89 offset:1136
	s_clause 0x2
	buffer_load_dword v109, off, s[0:3], 0 offset:492
	buffer_load_dword v114, off, s[0:3], 0 offset:468
	;; [unrolled: 1-line block ×3, first 2 shown]
	s_waitcnt vmcnt(62) lgkmcnt(2)
	v_mul_f64 v[94:95], v[92:93], v[9:10]
	v_mul_f64 v[9:10], v[90:91], v[9:10]
	s_waitcnt lgkmcnt(1)
	v_mul_f64 v[111:112], v[100:101], v[5:6]
	s_waitcnt vmcnt(59) lgkmcnt(0)
	v_mul_f64 v[115:116], v[104:105], v[3:4]
	v_fma_f64 v[90:91], v[90:91], v[7:8], -v[94:95]
	v_mul_f64 v[94:95], v[98:99], v[5:6]
	v_fma_f64 v[9:10], v[92:93], v[7:8], v[9:10]
	s_waitcnt vmcnt(57)
	v_fma_f64 v[98:99], v[98:99], v[1:2], -v[111:112]
	ds_read_b128 v[5:8], v89 offset:1152
	v_mul_f64 v[92:93], v[102:103], v[3:4]
	s_waitcnt vmcnt(51)
	v_fma_f64 v[102:103], v[102:103], v[25:26], -v[115:116]
	v_add_f64 v[90:91], v[90:91], 0
	v_fma_f64 v[94:95], v[100:101], v[1:2], v[94:95]
	v_add_f64 v[9:10], v[9:10], 0
	s_clause 0x4
	buffer_load_dword v101, off, s[0:3], 0 offset:508
	buffer_load_dword v117, off, s[0:3], 0 offset:520
	;; [unrolled: 1-line block ×5, first 2 shown]
	s_waitcnt lgkmcnt(0)
	v_mul_f64 v[120:121], v[5:6], v[13:14]
	v_mul_f64 v[13:14], v[7:8], v[13:14]
	ds_read_b128 v[1:4], v89 offset:1168
	v_fma_f64 v[25:26], v[104:105], v[25:26], v[92:93]
	v_add_f64 v[98:99], v[90:91], v[98:99]
	v_add_f64 v[9:10], v[9:10], v[94:95]
	s_clause 0x2
	buffer_load_dword v118, off, s[0:3], 0 offset:524
	buffer_load_dword v95, off, s[0:3], 0 offset:500
	;; [unrolled: 1-line block ×3, first 2 shown]
	s_waitcnt vmcnt(58) lgkmcnt(0)
	v_mul_f64 v[104:105], v[1:2], v[17:18]
	v_mul_f64 v[17:18], v[3:4], v[17:18]
	s_waitcnt vmcnt(56)
	v_fma_f64 v[13:14], v[5:6], v[19:20], -v[13:14]
	ds_read_b128 v[90:93], v89 offset:1184
	v_fma_f64 v[19:20], v[7:8], v[19:20], v[120:121]
	v_add_f64 v[98:99], v[98:99], v[102:103]
	v_add_f64 v[9:10], v[9:10], v[25:26]
	s_clause 0x4
	buffer_load_dword v26, off, s[0:3], 0 offset:540
	buffer_load_dword v102, off, s[0:3], 0 offset:552
	;; [unrolled: 1-line block ×5, first 2 shown]
	ds_read_b128 v[5:8], v89 offset:1200
	s_waitcnt vmcnt(57) lgkmcnt(1)
	v_mul_f64 v[121:122], v[90:91], v[21:22]
	v_mul_f64 v[21:22], v[92:93], v[21:22]
	s_waitcnt vmcnt(56)
	v_fma_f64 v[17:18], v[1:2], v[11:12], -v[17:18]
	v_fma_f64 v[11:12], v[3:4], v[11:12], v[104:105]
	v_add_f64 v[13:14], v[98:99], v[13:14]
	v_add_f64 v[9:10], v[9:10], v[19:20]
	s_clause 0x2
	buffer_load_dword v103, off, s[0:3], 0 offset:556
	buffer_load_dword v20, off, s[0:3], 0 offset:532
	;; [unrolled: 1-line block ×3, first 2 shown]
	s_waitcnt vmcnt(58) lgkmcnt(0)
	v_mul_f64 v[98:99], v[5:6], v[27:28]
	v_mul_f64 v[27:28], v[7:8], v[27:28]
	s_waitcnt vmcnt(56)
	v_fma_f64 v[21:22], v[90:91], v[29:30], -v[21:22]
	ds_read_b128 v[1:4], v89 offset:1216
	v_add_f64 v[13:14], v[13:14], v[17:18]
	v_fma_f64 v[17:18], v[92:93], v[29:30], v[121:122]
	v_add_f64 v[29:30], v[9:10], v[11:12]
	s_clause 0x4
	buffer_load_dword v91, off, s[0:3], 0 offset:572
	buffer_load_dword v92, off, s[0:3], 0 offset:584
	;; [unrolled: 1-line block ×5, first 2 shown]
	ds_read_b128 v[9:12], v89 offset:1232
	s_waitcnt vmcnt(57) lgkmcnt(1)
	v_mul_f64 v[121:122], v[1:2], v[31:32]
	v_mul_f64 v[31:32], v[3:4], v[31:32]
	s_waitcnt vmcnt(56)
	v_fma_f64 v[27:28], v[5:6], v[15:16], -v[27:28]
	v_fma_f64 v[15:16], v[7:8], v[15:16], v[98:99]
	v_add_f64 v[13:14], v[13:14], v[21:22]
	s_clause 0x2
	buffer_load_dword v93, off, s[0:3], 0 offset:588
	buffer_load_dword v22, off, s[0:3], 0 offset:564
	;; [unrolled: 1-line block ×3, first 2 shown]
	v_add_f64 v[17:18], v[29:30], v[17:18]
	s_waitcnt vmcnt(58) lgkmcnt(0)
	v_mul_f64 v[29:30], v[9:10], v[35:36]
	v_mul_f64 v[35:36], v[11:12], v[35:36]
	ds_read_b128 v[5:8], v89 offset:1248
	s_waitcnt vmcnt(56)
	v_fma_f64 v[31:32], v[1:2], v[37:38], -v[31:32]
	v_add_f64 v[13:14], v[13:14], v[27:28]
	v_fma_f64 v[27:28], v[3:4], v[37:38], v[121:122]
	v_add_f64 v[15:16], v[17:18], v[15:16]
	s_clause 0x4
	buffer_load_dword v18, off, s[0:3], 0 offset:604
	buffer_load_dword v37, off, s[0:3], 0 offset:616
	;; [unrolled: 1-line block ×5, first 2 shown]
	s_waitcnt vmcnt(57) lgkmcnt(0)
	v_mul_f64 v[121:122], v[5:6], v[39:40]
	v_mul_f64 v[39:40], v[7:8], v[39:40]
	s_waitcnt vmcnt(56)
	v_fma_f64 v[35:36], v[9:10], v[23:24], -v[35:36]
	ds_read_b128 v[1:4], v89 offset:1264
	v_fma_f64 v[23:24], v[11:12], v[23:24], v[29:30]
	v_add_f64 v[13:14], v[13:14], v[31:32]
	v_add_f64 v[15:16], v[15:16], v[27:28]
	s_clause 0x2
	buffer_load_dword v38, off, s[0:3], 0 offset:620
	buffer_load_dword v28, off, s[0:3], 0 offset:596
	;; [unrolled: 1-line block ×3, first 2 shown]
	ds_read_b128 v[9:12], v89 offset:1280
	s_waitcnt vmcnt(58) lgkmcnt(1)
	v_mul_f64 v[31:32], v[3:4], v[43:44]
	s_waitcnt vmcnt(56)
	v_fma_f64 v[39:40], v[5:6], v[45:46], -v[39:40]
	v_mul_f64 v[29:30], v[1:2], v[43:44]
	v_add_f64 v[13:14], v[13:14], v[35:36]
	v_fma_f64 v[35:36], v[7:8], v[45:46], v[121:122]
	v_add_f64 v[15:16], v[15:16], v[23:24]
	s_clause 0x4
	buffer_load_dword v24, off, s[0:3], 0 offset:636
	buffer_load_dword v43, off, s[0:3], 0 offset:648
	;; [unrolled: 1-line block ×5, first 2 shown]
	s_waitcnt vmcnt(57) lgkmcnt(0)
	v_mul_f64 v[121:122], v[9:10], v[47:48]
	v_mul_f64 v[46:47], v[11:12], v[47:48]
	s_waitcnt vmcnt(56)
	v_fma_f64 v[31:32], v[1:2], v[33:34], -v[31:32]
	ds_read_b128 v[5:8], v89 offset:1296
	v_fma_f64 v[29:30], v[3:4], v[33:34], v[29:30]
	s_clause 0x2
	buffer_load_dword v44, off, s[0:3], 0 offset:652
	buffer_load_dword v34, off, s[0:3], 0 offset:628
	;; [unrolled: 1-line block ×3, first 2 shown]
	ds_read_b128 v[1:4], v89 offset:1312
	v_add_f64 v[13:14], v[13:14], v[39:40]
	v_add_f64 v[15:16], v[15:16], v[35:36]
	s_waitcnt vmcnt(58) lgkmcnt(1)
	v_mul_f64 v[39:40], v[7:8], v[51:52]
	s_waitcnt vmcnt(56)
	v_fma_f64 v[47:48], v[9:10], v[53:54], -v[46:47]
	v_mul_f64 v[35:36], v[5:6], v[51:52]
	v_add_f64 v[13:14], v[13:14], v[31:32]
	v_fma_f64 v[31:32], v[11:12], v[53:54], v[121:122]
	v_add_f64 v[15:16], v[15:16], v[29:30]
	s_clause 0x4
	buffer_load_dword v30, off, s[0:3], 0 offset:668
	buffer_load_dword v51, off, s[0:3], 0 offset:680
	;; [unrolled: 1-line block ×5, first 2 shown]
	s_waitcnt vmcnt(57) lgkmcnt(0)
	v_mul_f64 v[121:122], v[1:2], v[55:56]
	v_mul_f64 v[54:55], v[3:4], v[55:56]
	s_waitcnt vmcnt(56)
	v_fma_f64 v[39:40], v[5:6], v[41:42], -v[39:40]
	ds_read_b128 v[9:12], v89 offset:1328
	v_fma_f64 v[35:36], v[7:8], v[41:42], v[35:36]
	v_add_f64 v[13:14], v[13:14], v[47:48]
	v_add_f64 v[15:16], v[15:16], v[31:32]
	s_clause 0x2
	buffer_load_dword v52, off, s[0:3], 0 offset:684
	buffer_load_dword v32, off, s[0:3], 0 offset:660
	;; [unrolled: 1-line block ×3, first 2 shown]
	ds_read_b128 v[5:8], v89 offset:1344
	s_waitcnt vmcnt(58) lgkmcnt(1)
	v_mul_f64 v[47:48], v[11:12], v[61:62]
	s_waitcnt vmcnt(56)
	v_fma_f64 v[55:56], v[1:2], v[63:64], -v[54:55]
	v_mul_f64 v[41:42], v[9:10], v[61:62]
	v_add_f64 v[13:14], v[13:14], v[39:40]
	v_fma_f64 v[39:40], v[3:4], v[63:64], v[121:122]
	v_add_f64 v[15:16], v[15:16], v[35:36]
	s_clause 0x4
	buffer_load_dword v36, off, s[0:3], 0 offset:700
	buffer_load_dword v61, off, s[0:3], 0 offset:712
	;; [unrolled: 1-line block ×5, first 2 shown]
	s_waitcnt vmcnt(57) lgkmcnt(0)
	v_mul_f64 v[121:122], v[5:6], v[106:107]
	v_mul_f64 v[106:107], v[7:8], v[106:107]
	s_waitcnt vmcnt(56)
	v_fma_f64 v[47:48], v[9:10], v[49:50], -v[47:48]
	ds_read_b128 v[1:4], v89 offset:1360
	v_fma_f64 v[41:42], v[11:12], v[49:50], v[41:42]
	v_add_f64 v[13:14], v[13:14], v[55:56]
	v_add_f64 v[15:16], v[15:16], v[39:40]
	s_clause 0x2
	buffer_load_dword v62, off, s[0:3], 0 offset:716
	buffer_load_dword v40, off, s[0:3], 0 offset:692
	;; [unrolled: 1-line block ×3, first 2 shown]
	ds_read_b128 v[9:12], v89 offset:1376
	s_waitcnt vmcnt(58) lgkmcnt(1)
	v_mul_f64 v[55:56], v[3:4], v[108:109]
	s_waitcnt vmcnt(56)
	v_fma_f64 v[106:107], v[5:6], v[113:114], -v[106:107]
	v_mul_f64 v[49:50], v[1:2], v[108:109]
	v_add_f64 v[13:14], v[13:14], v[47:48]
	v_fma_f64 v[47:48], v[7:8], v[113:114], v[121:122]
	v_add_f64 v[15:16], v[15:16], v[41:42]
	s_clause 0x4
	buffer_load_dword v42, off, s[0:3], 0 offset:732
	buffer_load_dword v108, off, s[0:3], 0 offset:744
	;; [unrolled: 1-line block ×5, first 2 shown]
	ds_read_b128 v[5:8], v89 offset:1392
	s_waitcnt vmcnt(57) lgkmcnt(1)
	v_mul_f64 v[113:114], v[9:10], v[100:101]
	v_mul_f64 v[100:101], v[11:12], v[100:101]
	s_waitcnt vmcnt(56)
	v_fma_f64 v[55:56], v[1:2], v[110:111], -v[55:56]
	v_fma_f64 v[49:50], v[3:4], v[110:111], v[49:50]
	v_add_f64 v[13:14], v[13:14], v[106:107]
	v_add_f64 v[15:16], v[15:16], v[47:48]
	s_clause 0x2
	buffer_load_dword v109, off, s[0:3], 0 offset:748
	buffer_load_dword v48, off, s[0:3], 0 offset:724
	;; [unrolled: 1-line block ×3, first 2 shown]
	ds_read_b128 v[1:4], v89 offset:1408
	s_waitcnt vmcnt(58) lgkmcnt(1)
	v_mul_f64 v[110:111], v[7:8], v[117:118]
	v_mul_f64 v[106:107], v[5:6], v[117:118]
	s_waitcnt vmcnt(56)
	v_fma_f64 v[100:101], v[9:10], v[94:95], -v[100:101]
	v_add_f64 v[13:14], v[13:14], v[55:56]
	v_fma_f64 v[55:56], v[11:12], v[94:95], v[113:114]
	v_add_f64 v[15:16], v[15:16], v[49:50]
	s_clause 0x4
	buffer_load_dword v50, off, s[0:3], 0 offset:764
	buffer_load_dword v94, off, s[0:3], 0 offset:776
	buffer_load_dword v117, off, s[0:3], 0 offset:768
	buffer_load_dword v49, off, s[0:3], 0 offset:760
	buffer_load_dword v113, off, s[0:3], 0 offset:740
	ds_read_b128 v[9:12], v89 offset:1424
	s_waitcnt vmcnt(57) lgkmcnt(1)
	v_mul_f64 v[121:122], v[1:2], v[25:26]
	v_mul_f64 v[25:26], v[3:4], v[25:26]
	s_waitcnt vmcnt(56)
	v_fma_f64 v[110:111], v[5:6], v[119:120], -v[110:111]
	v_add_f64 v[13:14], v[13:14], v[100:101]
	v_fma_f64 v[100:101], v[7:8], v[119:120], v[106:107]
	v_add_f64 v[15:16], v[15:16], v[55:56]
	s_clause 0x2
	buffer_load_dword v95, off, s[0:3], 0 offset:780
	buffer_load_dword v56, off, s[0:3], 0 offset:756
	buffer_load_dword v55, off, s[0:3], 0 offset:752
	ds_read_b128 v[5:8], v89 offset:1440
	s_waitcnt vmcnt(58) lgkmcnt(1)
	v_mul_f64 v[106:107], v[9:10], v[102:103]
	v_mul_f64 v[102:103], v[11:12], v[102:103]
	s_waitcnt vmcnt(56)
	v_fma_f64 v[25:26], v[1:2], v[19:20], -v[25:26]
	v_fma_f64 v[19:20], v[3:4], v[19:20], v[121:122]
	v_add_f64 v[13:14], v[13:14], v[110:111]
	v_add_f64 v[15:16], v[15:16], v[100:101]
	s_clause 0x4
	buffer_load_dword v101, off, s[0:3], 0 offset:796
	buffer_load_dword v110, off, s[0:3], 0 offset:808
	buffer_load_dword v114, off, s[0:3], 0 offset:800
	buffer_load_dword v100, off, s[0:3], 0 offset:792
	buffer_load_dword v118, off, s[0:3], 0 offset:772
	ds_read_b128 v[1:4], v89 offset:1456
	s_waitcnt vmcnt(57) lgkmcnt(1)
	v_mul_f64 v[119:120], v[5:6], v[90:91]
	v_mul_f64 v[90:91], v[7:8], v[90:91]
	s_waitcnt vmcnt(56)
	v_fma_f64 v[102:103], v[9:10], v[115:116], -v[102:103]
	v_add_f64 v[13:14], v[13:14], v[25:26]
	v_fma_f64 v[25:26], v[11:12], v[115:116], v[106:107]
	v_add_f64 v[15:16], v[15:16], v[19:20]
	s_clause 0x2
	buffer_load_dword v111, off, s[0:3], 0 offset:812
	buffer_load_dword v20, off, s[0:3], 0 offset:788
	buffer_load_dword v19, off, s[0:3], 0 offset:784
	ds_read_b128 v[9:12], v89 offset:1472
	s_waitcnt vmcnt(58) lgkmcnt(1)
	v_mul_f64 v[106:107], v[1:2], v[92:93]
	v_mul_f64 v[92:93], v[3:4], v[92:93]
	s_waitcnt vmcnt(56)
	v_fma_f64 v[90:91], v[5:6], v[21:22], -v[90:91]
	v_fma_f64 v[21:22], v[7:8], v[21:22], v[119:120]
	v_add_f64 v[13:14], v[13:14], v[102:103]
	;; [unrolled: 28-line block ×3, first 2 shown]
	v_add_f64 v[15:16], v[15:16], v[90:91]
	s_clause 0x4
	buffer_load_dword v91, off, s[0:3], 0 offset:860
	buffer_load_dword v92, off, s[0:3], 0 offset:872
	;; [unrolled: 1-line block ×5, first 2 shown]
	ds_read_b128 v[9:12], v89 offset:1520
	s_waitcnt vmcnt(57) lgkmcnt(1)
	v_mul_f64 v[121:122], v[1:2], v[23:24]
	v_mul_f64 v[23:24], v[3:4], v[23:24]
	s_waitcnt vmcnt(56)
	v_fma_f64 v[37:38], v[5:6], v[98:99], -v[37:38]
	v_add_f64 v[13:14], v[13:14], v[17:18]
	v_fma_f64 v[17:18], v[7:8], v[98:99], v[104:105]
	v_add_f64 v[15:16], v[15:16], v[27:28]
	s_clause 0x2
	buffer_load_dword v93, off, s[0:3], 0 offset:876
	buffer_load_dword v28, off, s[0:3], 0 offset:852
	;; [unrolled: 1-line block ×3, first 2 shown]
	s_waitcnt vmcnt(58) lgkmcnt(0)
	v_mul_f64 v[98:99], v[9:10], v[43:44]
	v_mul_f64 v[43:44], v[11:12], v[43:44]
	ds_read_b128 v[5:8], v89 offset:1536
	s_waitcnt vmcnt(56)
	v_fma_f64 v[23:24], v[1:2], v[33:34], -v[23:24]
	v_fma_f64 v[33:34], v[3:4], v[33:34], v[121:122]
	v_add_f64 v[13:14], v[13:14], v[37:38]
	v_add_f64 v[15:16], v[15:16], v[17:18]
	s_clause 0x4
	buffer_load_dword v18, off, s[0:3], 0 offset:892
	buffer_load_dword v37, off, s[0:3], 0 offset:904
	;; [unrolled: 1-line block ×5, first 2 shown]
	ds_read_b128 v[1:4], v89 offset:1552
	s_waitcnt vmcnt(57) lgkmcnt(1)
	v_mul_f64 v[121:122], v[5:6], v[29:30]
	v_mul_f64 v[29:30], v[7:8], v[29:30]
	s_waitcnt vmcnt(56)
	v_fma_f64 v[43:44], v[9:10], v[45:46], -v[43:44]
	v_add_f64 v[13:14], v[13:14], v[23:24]
	v_fma_f64 v[23:24], v[11:12], v[45:46], v[98:99]
	v_add_f64 v[15:16], v[15:16], v[33:34]
	s_clause 0x2
	buffer_load_dword v38, off, s[0:3], 0 offset:908
	buffer_load_dword v34, off, s[0:3], 0 offset:884
	;; [unrolled: 1-line block ×3, first 2 shown]
	ds_read_b128 v[9:12], v89 offset:1568
	buffer_load_dword v105, off, s[0:3], 0 offset:900
	s_waitcnt vmcnt(59) lgkmcnt(1)
	v_mul_f64 v[45:46], v[1:2], v[51:52]
	v_mul_f64 v[51:52], v[3:4], v[51:52]
	s_waitcnt vmcnt(57)
	v_fma_f64 v[29:30], v[5:6], v[31:32], -v[29:30]
	v_fma_f64 v[31:32], v[7:8], v[31:32], v[121:122]
	ds_read_b128 v[5:8], v89 offset:1584
	v_add_f64 v[13:14], v[13:14], v[43:44]
	v_add_f64 v[15:16], v[15:16], v[23:24]
	s_waitcnt vmcnt(53) lgkmcnt(1)
	v_mul_f64 v[23:24], v[9:10], v[35:36]
	v_mul_f64 v[35:36], v[11:12], v[35:36]
	s_waitcnt vmcnt(52)
	v_fma_f64 v[43:44], v[1:2], v[53:54], -v[51:52]
	v_add_f64 v[13:14], v[13:14], v[29:30]
	v_fma_f64 v[29:30], v[3:4], v[53:54], v[45:46]
	v_add_f64 v[15:16], v[15:16], v[31:32]
	ds_read_b128 v[1:4], v89 offset:1600
	s_waitcnt vmcnt(51) lgkmcnt(1)
	v_mul_f64 v[45:46], v[7:8], v[61:62]
	v_mul_f64 v[31:32], v[5:6], v[61:62]
	s_waitcnt vmcnt(49)
	v_fma_f64 v[35:36], v[9:10], v[39:40], -v[35:36]
	v_fma_f64 v[23:24], v[11:12], v[39:40], v[23:24]
	v_add_f64 v[13:14], v[13:14], v[43:44]
	v_add_f64 v[15:16], v[15:16], v[29:30]
	s_clause 0x3
	buffer_load_dword v29, off, s[0:3], 0 offset:208
	buffer_load_dword v30, off, s[0:3], 0 offset:212
	;; [unrolled: 1-line block ×4, first 2 shown]
	ds_read_b128 v[9:12], v89 offset:1616
	s_waitcnt vmcnt(49) lgkmcnt(1)
	v_mul_f64 v[43:44], v[1:2], v[41:42]
	v_mul_f64 v[41:42], v[3:4], v[41:42]
	s_waitcnt vmcnt(48)
	v_fma_f64 v[45:46], v[5:6], v[63:64], -v[45:46]
	v_fma_f64 v[31:32], v[7:8], v[63:64], v[31:32]
	ds_read_b128 v[5:8], v89 offset:1632
	v_add_f64 v[13:14], v[13:14], v[35:36]
	v_add_f64 v[15:16], v[15:16], v[23:24]
	s_waitcnt vmcnt(47) lgkmcnt(1)
	v_mul_f64 v[35:36], v[11:12], v[108:109]
	v_mul_f64 v[23:24], v[9:10], v[108:109]
	s_waitcnt vmcnt(45)
	v_fma_f64 v[41:42], v[1:2], v[47:48], -v[41:42]
	v_fma_f64 v[43:44], v[3:4], v[47:48], v[43:44]
	ds_read_b128 v[1:4], v89 offset:1648
	v_add_f64 v[13:14], v[13:14], v[45:46]
	v_add_f64 v[15:16], v[15:16], v[31:32]
	s_waitcnt vmcnt(41) lgkmcnt(1)
	v_mul_f64 v[45:46], v[7:8], v[49:50]
	s_waitcnt vmcnt(40)
	v_fma_f64 v[35:36], v[9:10], v[112:113], -v[35:36]
	v_mul_f64 v[31:32], v[5:6], v[49:50]
	v_fma_f64 v[23:24], v[11:12], v[112:113], v[23:24]
	ds_read_b128 v[9:12], v89 offset:1664
	v_add_f64 v[13:14], v[13:14], v[41:42]
	v_add_f64 v[15:16], v[15:16], v[43:44]
	s_waitcnt vmcnt(39) lgkmcnt(1)
	v_mul_f64 v[43:44], v[3:4], v[94:95]
	v_mul_f64 v[41:42], v[1:2], v[94:95]
	s_waitcnt vmcnt(37)
	v_fma_f64 v[45:46], v[5:6], v[55:56], -v[45:46]
	v_fma_f64 v[31:32], v[7:8], v[55:56], v[31:32]
	ds_read_b128 v[5:8], v89 offset:1680
	v_add_f64 v[13:14], v[13:14], v[35:36]
	v_add_f64 v[15:16], v[15:16], v[23:24]
	s_waitcnt vmcnt(33) lgkmcnt(1)
	v_mul_f64 v[35:36], v[11:12], v[100:101]
	s_waitcnt vmcnt(32)
	v_fma_f64 v[43:44], v[1:2], v[117:118], -v[43:44]
	v_mul_f64 v[23:24], v[9:10], v[100:101]
	v_fma_f64 v[41:42], v[3:4], v[117:118], v[41:42]
	ds_read_b128 v[1:4], v89 offset:1696
	v_add_f64 v[13:14], v[13:14], v[45:46]
	v_add_f64 v[15:16], v[15:16], v[31:32]
	s_waitcnt vmcnt(31) lgkmcnt(1)
	v_mul_f64 v[45:46], v[7:8], v[110:111]
	v_mul_f64 v[31:32], v[5:6], v[110:111]
	s_waitcnt vmcnt(29)
	v_fma_f64 v[35:36], v[9:10], v[19:20], -v[35:36]
	v_fma_f64 v[19:20], v[11:12], v[19:20], v[23:24]
	ds_read_b128 v[9:12], v89 offset:1712
	v_add_f64 v[13:14], v[13:14], v[43:44]
	v_add_f64 v[15:16], v[15:16], v[41:42]
	s_waitcnt vmcnt(25) lgkmcnt(1)
	v_mul_f64 v[23:24], v[1:2], v[25:26]
	v_mul_f64 v[25:26], v[3:4], v[25:26]
	s_waitcnt vmcnt(24)
	v_fma_f64 v[41:42], v[5:6], v[114:115], -v[45:46]
	;; [unrolled: 9-line block ×3, first 2 shown]
	v_fma_f64 v[21:22], v[3:4], v[21:22], v[23:24]
	ds_read_b128 v[1:4], v89 offset:1744
	v_add_f64 v[13:14], v[13:14], v[41:42]
	v_add_f64 v[15:16], v[15:16], v[31:32]
	s_waitcnt vmcnt(17) lgkmcnt(1)
	v_mul_f64 v[31:32], v[7:8], v[90:91]
	s_waitcnt vmcnt(16)
	v_fma_f64 v[35:36], v[9:10], v[119:120], -v[35:36]
	v_mul_f64 v[23:24], v[5:6], v[90:91]
	v_fma_f64 v[19:20], v[11:12], v[119:120], v[19:20]
	ds_read_b128 v[9:12], v89 offset:1760
	v_add_f64 v[13:14], v[13:14], v[25:26]
	v_add_f64 v[15:16], v[15:16], v[21:22]
	s_waitcnt vmcnt(15) lgkmcnt(1)
	v_mul_f64 v[25:26], v[3:4], v[92:93]
	v_mul_f64 v[21:22], v[1:2], v[92:93]
	s_waitcnt vmcnt(13)
	v_fma_f64 v[31:32], v[5:6], v[27:28], -v[31:32]
	v_fma_f64 v[23:24], v[7:8], v[27:28], v[23:24]
	ds_read_b128 v[5:8], v89 offset:1776
	v_add_f64 v[13:14], v[13:14], v[35:36]
	v_add_f64 v[15:16], v[15:16], v[19:20]
	s_waitcnt vmcnt(9) lgkmcnt(1)
	v_mul_f64 v[19:20], v[9:10], v[17:18]
	v_mul_f64 v[17:18], v[11:12], v[17:18]
	s_waitcnt vmcnt(8)
	v_fma_f64 v[1:2], v[1:2], v[106:107], -v[25:26]
	v_fma_f64 v[3:4], v[3:4], v[106:107], v[21:22]
	v_add_f64 v[13:14], v[13:14], v[31:32]
	v_add_f64 v[15:16], v[15:16], v[23:24]
	s_waitcnt vmcnt(7) lgkmcnt(0)
	v_mul_f64 v[23:24], v[7:8], v[37:38]
	v_mul_f64 v[21:22], v[5:6], v[37:38]
	s_waitcnt vmcnt(5)
	v_fma_f64 v[9:10], v[9:10], v[33:34], -v[17:18]
	v_fma_f64 v[11:12], v[11:12], v[33:34], v[19:20]
	v_add_f64 v[1:2], v[13:14], v[1:2]
	v_add_f64 v[3:4], v[15:16], v[3:4]
	s_waitcnt vmcnt(4)
	v_fma_f64 v[5:6], v[5:6], v[104:105], -v[23:24]
	v_fma_f64 v[7:8], v[7:8], v[104:105], v[21:22]
	v_add_f64 v[1:2], v[1:2], v[9:10]
	v_add_f64 v[3:4], v[3:4], v[11:12]
	;; [unrolled: 1-line block ×4, first 2 shown]
	s_waitcnt vmcnt(2)
	v_add_f64 v[1:2], v[29:30], -v[1:2]
	s_waitcnt vmcnt(0)
	v_add_f64 v[3:4], v[39:40], -v[3:4]
	buffer_store_dword v2, off, s[0:3], 0 offset:212
	buffer_store_dword v1, off, s[0:3], 0 offset:208
	;; [unrolled: 1-line block ×4, first 2 shown]
	v_cmpx_lt_u32_e32 11, v0
	s_cbranch_execz .LBB55_327
; %bb.326:
	v_mov_b32_e32 v4, s57
	s_clause 0x3
	buffer_load_dword v1, v4, s[0:3], 0 offen
	buffer_load_dword v2, v4, s[0:3], 0 offen offset:4
	buffer_load_dword v3, v4, s[0:3], 0 offen offset:8
	;; [unrolled: 1-line block ×3, first 2 shown]
	buffer_store_dword v89, off, s[0:3], 0 offset:192
	buffer_store_dword v89, off, s[0:3], 0 offset:196
	;; [unrolled: 1-line block ×4, first 2 shown]
	s_waitcnt vmcnt(0)
	ds_write_b128 v97, v[1:4]
.LBB55_327:
	s_or_b32 exec_lo, exec_lo, s4
	s_waitcnt lgkmcnt(0)
	s_waitcnt_vscnt null, 0x0
	s_barrier
	buffer_gl0_inv
	s_clause 0x37
	buffer_load_dword v9, off, s[0:3], 0 offset:216
	buffer_load_dword v10, off, s[0:3], 0 offset:220
	buffer_load_dword v5, off, s[0:3], 0 offset:232
	buffer_load_dword v6, off, s[0:3], 0 offset:236
	buffer_load_dword v7, off, s[0:3], 0 offset:208
	buffer_load_dword v8, off, s[0:3], 0 offset:212
	buffer_load_dword v3, off, s[0:3], 0 offset:248
	buffer_load_dword v4, off, s[0:3], 0 offset:252
	buffer_load_dword v1, off, s[0:3], 0 offset:224
	buffer_load_dword v2, off, s[0:3], 0 offset:228
	buffer_load_dword v14, off, s[0:3], 0 offset:268
	buffer_load_dword v17, off, s[0:3], 0 offset:280
	buffer_load_dword v11, off, s[0:3], 0 offset:272
	buffer_load_dword v13, off, s[0:3], 0 offset:264
	buffer_load_dword v25, off, s[0:3], 0 offset:240
	buffer_load_dword v26, off, s[0:3], 0 offset:244
	buffer_load_dword v18, off, s[0:3], 0 offset:284
	buffer_load_dword v20, off, s[0:3], 0 offset:260
	buffer_load_dword v19, off, s[0:3], 0 offset:256
	buffer_load_dword v22, off, s[0:3], 0 offset:300
	buffer_load_dword v27, off, s[0:3], 0 offset:312
	buffer_load_dword v15, off, s[0:3], 0 offset:304
	buffer_load_dword v21, off, s[0:3], 0 offset:296
	buffer_load_dword v12, off, s[0:3], 0 offset:276
	buffer_load_dword v28, off, s[0:3], 0 offset:316
	buffer_load_dword v30, off, s[0:3], 0 offset:292
	buffer_load_dword v29, off, s[0:3], 0 offset:288
	buffer_load_dword v32, off, s[0:3], 0 offset:332
	buffer_load_dword v35, off, s[0:3], 0 offset:344
	buffer_load_dword v23, off, s[0:3], 0 offset:336
	buffer_load_dword v31, off, s[0:3], 0 offset:328
	buffer_load_dword v16, off, s[0:3], 0 offset:308
	buffer_load_dword v36, off, s[0:3], 0 offset:348
	buffer_load_dword v38, off, s[0:3], 0 offset:324
	buffer_load_dword v37, off, s[0:3], 0 offset:320
	buffer_load_dword v40, off, s[0:3], 0 offset:364
	buffer_load_dword v43, off, s[0:3], 0 offset:376
	buffer_load_dword v33, off, s[0:3], 0 offset:368
	buffer_load_dword v39, off, s[0:3], 0 offset:360
	buffer_load_dword v24, off, s[0:3], 0 offset:340
	buffer_load_dword v44, off, s[0:3], 0 offset:380
	buffer_load_dword v46, off, s[0:3], 0 offset:356
	buffer_load_dword v45, off, s[0:3], 0 offset:352
	buffer_load_dword v48, off, s[0:3], 0 offset:396
	buffer_load_dword v51, off, s[0:3], 0 offset:408
	buffer_load_dword v41, off, s[0:3], 0 offset:400
	buffer_load_dword v47, off, s[0:3], 0 offset:392
	buffer_load_dword v34, off, s[0:3], 0 offset:372
	buffer_load_dword v52, off, s[0:3], 0 offset:412
	buffer_load_dword v54, off, s[0:3], 0 offset:388
	buffer_load_dword v53, off, s[0:3], 0 offset:384
	buffer_load_dword v56, off, s[0:3], 0 offset:428
	buffer_load_dword v61, off, s[0:3], 0 offset:440
	buffer_load_dword v49, off, s[0:3], 0 offset:432
	buffer_load_dword v55, off, s[0:3], 0 offset:424
	buffer_load_dword v42, off, s[0:3], 0 offset:404
	ds_read_b128 v[90:93], v89 offset:1088
	s_clause 0x2
	buffer_load_dword v62, off, s[0:3], 0 offset:444
	buffer_load_dword v64, off, s[0:3], 0 offset:420
	;; [unrolled: 1-line block ×3, first 2 shown]
	ds_read_b128 v[98:101], v89 offset:1104
	s_clause 0x4
	buffer_load_dword v107, off, s[0:3], 0 offset:460
	buffer_load_dword v108, off, s[0:3], 0 offset:472
	;; [unrolled: 1-line block ×5, first 2 shown]
	ds_read_b128 v[102:105], v89 offset:1120
	s_clause 0x2
	buffer_load_dword v109, off, s[0:3], 0 offset:476
	buffer_load_dword v114, off, s[0:3], 0 offset:452
	;; [unrolled: 1-line block ×3, first 2 shown]
	s_mov_b32 s4, exec_lo
	s_waitcnt vmcnt(62) lgkmcnt(2)
	v_mul_f64 v[94:95], v[92:93], v[9:10]
	v_mul_f64 v[9:10], v[90:91], v[9:10]
	s_waitcnt lgkmcnt(1)
	v_mul_f64 v[111:112], v[100:101], v[5:6]
	s_waitcnt vmcnt(59) lgkmcnt(0)
	v_mul_f64 v[115:116], v[104:105], v[3:4]
	v_fma_f64 v[90:91], v[90:91], v[7:8], -v[94:95]
	v_mul_f64 v[94:95], v[98:99], v[5:6]
	v_fma_f64 v[9:10], v[92:93], v[7:8], v[9:10]
	s_waitcnt vmcnt(57)
	v_fma_f64 v[98:99], v[98:99], v[1:2], -v[111:112]
	ds_read_b128 v[5:8], v89 offset:1136
	v_mul_f64 v[92:93], v[102:103], v[3:4]
	s_waitcnt vmcnt(51)
	v_fma_f64 v[102:103], v[102:103], v[25:26], -v[115:116]
	v_add_f64 v[90:91], v[90:91], 0
	v_fma_f64 v[94:95], v[100:101], v[1:2], v[94:95]
	v_add_f64 v[9:10], v[9:10], 0
	s_clause 0x4
	buffer_load_dword v101, off, s[0:3], 0 offset:492
	buffer_load_dword v117, off, s[0:3], 0 offset:504
	;; [unrolled: 1-line block ×5, first 2 shown]
	s_waitcnt lgkmcnt(0)
	v_mul_f64 v[120:121], v[5:6], v[13:14]
	v_mul_f64 v[13:14], v[7:8], v[13:14]
	ds_read_b128 v[1:4], v89 offset:1152
	v_fma_f64 v[25:26], v[104:105], v[25:26], v[92:93]
	v_add_f64 v[98:99], v[90:91], v[98:99]
	v_add_f64 v[9:10], v[9:10], v[94:95]
	s_clause 0x2
	buffer_load_dword v118, off, s[0:3], 0 offset:508
	buffer_load_dword v95, off, s[0:3], 0 offset:484
	;; [unrolled: 1-line block ×3, first 2 shown]
	s_waitcnt vmcnt(58) lgkmcnt(0)
	v_mul_f64 v[104:105], v[1:2], v[17:18]
	v_mul_f64 v[17:18], v[3:4], v[17:18]
	s_waitcnt vmcnt(56)
	v_fma_f64 v[13:14], v[5:6], v[19:20], -v[13:14]
	ds_read_b128 v[90:93], v89 offset:1168
	v_fma_f64 v[19:20], v[7:8], v[19:20], v[120:121]
	v_add_f64 v[98:99], v[98:99], v[102:103]
	v_add_f64 v[9:10], v[9:10], v[25:26]
	s_clause 0x4
	buffer_load_dword v26, off, s[0:3], 0 offset:524
	buffer_load_dword v102, off, s[0:3], 0 offset:536
	;; [unrolled: 1-line block ×5, first 2 shown]
	ds_read_b128 v[5:8], v89 offset:1184
	s_waitcnt vmcnt(57) lgkmcnt(1)
	v_mul_f64 v[121:122], v[90:91], v[21:22]
	v_mul_f64 v[21:22], v[92:93], v[21:22]
	s_waitcnt vmcnt(56)
	v_fma_f64 v[17:18], v[1:2], v[11:12], -v[17:18]
	v_fma_f64 v[11:12], v[3:4], v[11:12], v[104:105]
	v_add_f64 v[13:14], v[98:99], v[13:14]
	v_add_f64 v[9:10], v[9:10], v[19:20]
	s_clause 0x2
	buffer_load_dword v103, off, s[0:3], 0 offset:540
	buffer_load_dword v20, off, s[0:3], 0 offset:516
	;; [unrolled: 1-line block ×3, first 2 shown]
	s_waitcnt vmcnt(58) lgkmcnt(0)
	v_mul_f64 v[98:99], v[5:6], v[27:28]
	v_mul_f64 v[27:28], v[7:8], v[27:28]
	s_waitcnt vmcnt(56)
	v_fma_f64 v[21:22], v[90:91], v[29:30], -v[21:22]
	ds_read_b128 v[1:4], v89 offset:1200
	v_add_f64 v[13:14], v[13:14], v[17:18]
	v_fma_f64 v[17:18], v[92:93], v[29:30], v[121:122]
	v_add_f64 v[29:30], v[9:10], v[11:12]
	s_clause 0x4
	buffer_load_dword v91, off, s[0:3], 0 offset:556
	buffer_load_dword v92, off, s[0:3], 0 offset:568
	;; [unrolled: 1-line block ×5, first 2 shown]
	ds_read_b128 v[9:12], v89 offset:1216
	s_waitcnt vmcnt(57) lgkmcnt(1)
	v_mul_f64 v[121:122], v[1:2], v[31:32]
	v_mul_f64 v[31:32], v[3:4], v[31:32]
	s_waitcnt vmcnt(56)
	v_fma_f64 v[27:28], v[5:6], v[15:16], -v[27:28]
	v_fma_f64 v[15:16], v[7:8], v[15:16], v[98:99]
	v_add_f64 v[13:14], v[13:14], v[21:22]
	s_clause 0x2
	buffer_load_dword v93, off, s[0:3], 0 offset:572
	buffer_load_dword v22, off, s[0:3], 0 offset:548
	;; [unrolled: 1-line block ×3, first 2 shown]
	v_add_f64 v[17:18], v[29:30], v[17:18]
	s_waitcnt vmcnt(58) lgkmcnt(0)
	v_mul_f64 v[29:30], v[9:10], v[35:36]
	v_mul_f64 v[35:36], v[11:12], v[35:36]
	ds_read_b128 v[5:8], v89 offset:1232
	s_waitcnt vmcnt(56)
	v_fma_f64 v[31:32], v[1:2], v[37:38], -v[31:32]
	v_add_f64 v[13:14], v[13:14], v[27:28]
	v_fma_f64 v[27:28], v[3:4], v[37:38], v[121:122]
	v_add_f64 v[15:16], v[17:18], v[15:16]
	s_clause 0x4
	buffer_load_dword v18, off, s[0:3], 0 offset:588
	buffer_load_dword v37, off, s[0:3], 0 offset:600
	;; [unrolled: 1-line block ×5, first 2 shown]
	s_waitcnt vmcnt(57) lgkmcnt(0)
	v_mul_f64 v[121:122], v[5:6], v[39:40]
	v_mul_f64 v[39:40], v[7:8], v[39:40]
	s_waitcnt vmcnt(56)
	v_fma_f64 v[35:36], v[9:10], v[23:24], -v[35:36]
	ds_read_b128 v[1:4], v89 offset:1248
	v_fma_f64 v[23:24], v[11:12], v[23:24], v[29:30]
	v_add_f64 v[13:14], v[13:14], v[31:32]
	v_add_f64 v[15:16], v[15:16], v[27:28]
	s_clause 0x2
	buffer_load_dword v38, off, s[0:3], 0 offset:604
	buffer_load_dword v28, off, s[0:3], 0 offset:580
	;; [unrolled: 1-line block ×3, first 2 shown]
	ds_read_b128 v[9:12], v89 offset:1264
	s_waitcnt vmcnt(58) lgkmcnt(1)
	v_mul_f64 v[31:32], v[3:4], v[43:44]
	s_waitcnt vmcnt(56)
	v_fma_f64 v[39:40], v[5:6], v[45:46], -v[39:40]
	v_mul_f64 v[29:30], v[1:2], v[43:44]
	v_add_f64 v[13:14], v[13:14], v[35:36]
	v_fma_f64 v[35:36], v[7:8], v[45:46], v[121:122]
	v_add_f64 v[15:16], v[15:16], v[23:24]
	s_clause 0x4
	buffer_load_dword v24, off, s[0:3], 0 offset:620
	buffer_load_dword v43, off, s[0:3], 0 offset:632
	;; [unrolled: 1-line block ×5, first 2 shown]
	s_waitcnt vmcnt(57) lgkmcnt(0)
	v_mul_f64 v[121:122], v[9:10], v[47:48]
	v_mul_f64 v[46:47], v[11:12], v[47:48]
	s_waitcnt vmcnt(56)
	v_fma_f64 v[31:32], v[1:2], v[33:34], -v[31:32]
	ds_read_b128 v[5:8], v89 offset:1280
	v_fma_f64 v[29:30], v[3:4], v[33:34], v[29:30]
	s_clause 0x2
	buffer_load_dword v44, off, s[0:3], 0 offset:636
	buffer_load_dword v34, off, s[0:3], 0 offset:612
	;; [unrolled: 1-line block ×3, first 2 shown]
	ds_read_b128 v[1:4], v89 offset:1296
	v_add_f64 v[13:14], v[13:14], v[39:40]
	v_add_f64 v[15:16], v[15:16], v[35:36]
	s_waitcnt vmcnt(58) lgkmcnt(1)
	v_mul_f64 v[39:40], v[7:8], v[51:52]
	s_waitcnt vmcnt(56)
	v_fma_f64 v[47:48], v[9:10], v[53:54], -v[46:47]
	v_mul_f64 v[35:36], v[5:6], v[51:52]
	v_add_f64 v[13:14], v[13:14], v[31:32]
	v_fma_f64 v[31:32], v[11:12], v[53:54], v[121:122]
	v_add_f64 v[15:16], v[15:16], v[29:30]
	s_clause 0x4
	buffer_load_dword v30, off, s[0:3], 0 offset:652
	buffer_load_dword v51, off, s[0:3], 0 offset:664
	;; [unrolled: 1-line block ×5, first 2 shown]
	s_waitcnt vmcnt(57) lgkmcnt(0)
	v_mul_f64 v[121:122], v[1:2], v[55:56]
	v_mul_f64 v[54:55], v[3:4], v[55:56]
	s_waitcnt vmcnt(56)
	v_fma_f64 v[39:40], v[5:6], v[41:42], -v[39:40]
	ds_read_b128 v[9:12], v89 offset:1312
	v_fma_f64 v[35:36], v[7:8], v[41:42], v[35:36]
	v_add_f64 v[13:14], v[13:14], v[47:48]
	v_add_f64 v[15:16], v[15:16], v[31:32]
	s_clause 0x2
	buffer_load_dword v52, off, s[0:3], 0 offset:668
	buffer_load_dword v32, off, s[0:3], 0 offset:644
	;; [unrolled: 1-line block ×3, first 2 shown]
	ds_read_b128 v[5:8], v89 offset:1328
	s_waitcnt vmcnt(58) lgkmcnt(1)
	v_mul_f64 v[47:48], v[11:12], v[61:62]
	s_waitcnt vmcnt(56)
	v_fma_f64 v[55:56], v[1:2], v[63:64], -v[54:55]
	v_mul_f64 v[41:42], v[9:10], v[61:62]
	v_add_f64 v[13:14], v[13:14], v[39:40]
	v_fma_f64 v[39:40], v[3:4], v[63:64], v[121:122]
	v_add_f64 v[15:16], v[15:16], v[35:36]
	s_clause 0x4
	buffer_load_dword v36, off, s[0:3], 0 offset:684
	buffer_load_dword v61, off, s[0:3], 0 offset:696
	;; [unrolled: 1-line block ×5, first 2 shown]
	s_waitcnt vmcnt(57) lgkmcnt(0)
	v_mul_f64 v[121:122], v[5:6], v[106:107]
	v_mul_f64 v[106:107], v[7:8], v[106:107]
	s_waitcnt vmcnt(56)
	v_fma_f64 v[47:48], v[9:10], v[49:50], -v[47:48]
	ds_read_b128 v[1:4], v89 offset:1344
	v_fma_f64 v[41:42], v[11:12], v[49:50], v[41:42]
	v_add_f64 v[13:14], v[13:14], v[55:56]
	v_add_f64 v[15:16], v[15:16], v[39:40]
	s_clause 0x2
	buffer_load_dword v62, off, s[0:3], 0 offset:700
	buffer_load_dword v40, off, s[0:3], 0 offset:676
	;; [unrolled: 1-line block ×3, first 2 shown]
	ds_read_b128 v[9:12], v89 offset:1360
	s_waitcnt vmcnt(58) lgkmcnt(1)
	v_mul_f64 v[55:56], v[3:4], v[108:109]
	s_waitcnt vmcnt(56)
	v_fma_f64 v[106:107], v[5:6], v[113:114], -v[106:107]
	v_mul_f64 v[49:50], v[1:2], v[108:109]
	v_add_f64 v[13:14], v[13:14], v[47:48]
	v_fma_f64 v[47:48], v[7:8], v[113:114], v[121:122]
	v_add_f64 v[15:16], v[15:16], v[41:42]
	s_clause 0x4
	buffer_load_dword v42, off, s[0:3], 0 offset:716
	buffer_load_dword v108, off, s[0:3], 0 offset:728
	;; [unrolled: 1-line block ×5, first 2 shown]
	ds_read_b128 v[5:8], v89 offset:1376
	s_waitcnt vmcnt(57) lgkmcnt(1)
	v_mul_f64 v[113:114], v[9:10], v[100:101]
	v_mul_f64 v[100:101], v[11:12], v[100:101]
	s_waitcnt vmcnt(56)
	v_fma_f64 v[55:56], v[1:2], v[110:111], -v[55:56]
	v_fma_f64 v[49:50], v[3:4], v[110:111], v[49:50]
	v_add_f64 v[13:14], v[13:14], v[106:107]
	v_add_f64 v[15:16], v[15:16], v[47:48]
	s_clause 0x2
	buffer_load_dword v109, off, s[0:3], 0 offset:732
	buffer_load_dword v48, off, s[0:3], 0 offset:708
	;; [unrolled: 1-line block ×3, first 2 shown]
	ds_read_b128 v[1:4], v89 offset:1392
	s_waitcnt vmcnt(58) lgkmcnt(1)
	v_mul_f64 v[110:111], v[7:8], v[117:118]
	v_mul_f64 v[106:107], v[5:6], v[117:118]
	s_waitcnt vmcnt(56)
	v_fma_f64 v[100:101], v[9:10], v[94:95], -v[100:101]
	v_add_f64 v[13:14], v[13:14], v[55:56]
	v_fma_f64 v[55:56], v[11:12], v[94:95], v[113:114]
	v_add_f64 v[15:16], v[15:16], v[49:50]
	s_clause 0x4
	buffer_load_dword v50, off, s[0:3], 0 offset:748
	buffer_load_dword v94, off, s[0:3], 0 offset:760
	buffer_load_dword v117, off, s[0:3], 0 offset:752
	buffer_load_dword v49, off, s[0:3], 0 offset:744
	buffer_load_dword v113, off, s[0:3], 0 offset:724
	ds_read_b128 v[9:12], v89 offset:1408
	s_waitcnt vmcnt(57) lgkmcnt(1)
	v_mul_f64 v[121:122], v[1:2], v[25:26]
	v_mul_f64 v[25:26], v[3:4], v[25:26]
	s_waitcnt vmcnt(56)
	v_fma_f64 v[110:111], v[5:6], v[119:120], -v[110:111]
	v_add_f64 v[13:14], v[13:14], v[100:101]
	v_fma_f64 v[100:101], v[7:8], v[119:120], v[106:107]
	v_add_f64 v[15:16], v[15:16], v[55:56]
	s_clause 0x2
	buffer_load_dword v95, off, s[0:3], 0 offset:764
	buffer_load_dword v56, off, s[0:3], 0 offset:740
	buffer_load_dword v55, off, s[0:3], 0 offset:736
	ds_read_b128 v[5:8], v89 offset:1424
	s_waitcnt vmcnt(58) lgkmcnt(1)
	v_mul_f64 v[106:107], v[9:10], v[102:103]
	v_mul_f64 v[102:103], v[11:12], v[102:103]
	s_waitcnt vmcnt(56)
	v_fma_f64 v[25:26], v[1:2], v[19:20], -v[25:26]
	v_fma_f64 v[19:20], v[3:4], v[19:20], v[121:122]
	v_add_f64 v[13:14], v[13:14], v[110:111]
	v_add_f64 v[15:16], v[15:16], v[100:101]
	s_clause 0x4
	buffer_load_dword v101, off, s[0:3], 0 offset:780
	buffer_load_dword v110, off, s[0:3], 0 offset:792
	buffer_load_dword v114, off, s[0:3], 0 offset:784
	buffer_load_dword v100, off, s[0:3], 0 offset:776
	buffer_load_dword v118, off, s[0:3], 0 offset:756
	ds_read_b128 v[1:4], v89 offset:1440
	s_waitcnt vmcnt(57) lgkmcnt(1)
	v_mul_f64 v[119:120], v[5:6], v[90:91]
	v_mul_f64 v[90:91], v[7:8], v[90:91]
	s_waitcnt vmcnt(56)
	v_fma_f64 v[102:103], v[9:10], v[115:116], -v[102:103]
	v_add_f64 v[13:14], v[13:14], v[25:26]
	v_fma_f64 v[25:26], v[11:12], v[115:116], v[106:107]
	v_add_f64 v[15:16], v[15:16], v[19:20]
	s_clause 0x2
	buffer_load_dword v111, off, s[0:3], 0 offset:796
	buffer_load_dword v20, off, s[0:3], 0 offset:772
	buffer_load_dword v19, off, s[0:3], 0 offset:768
	ds_read_b128 v[9:12], v89 offset:1456
	s_waitcnt vmcnt(58) lgkmcnt(1)
	v_mul_f64 v[106:107], v[1:2], v[92:93]
	v_mul_f64 v[92:93], v[3:4], v[92:93]
	s_waitcnt vmcnt(56)
	v_fma_f64 v[90:91], v[5:6], v[21:22], -v[90:91]
	v_fma_f64 v[21:22], v[7:8], v[21:22], v[119:120]
	v_add_f64 v[13:14], v[13:14], v[102:103]
	;; [unrolled: 28-line block ×3, first 2 shown]
	v_add_f64 v[15:16], v[15:16], v[90:91]
	s_clause 0x4
	buffer_load_dword v91, off, s[0:3], 0 offset:844
	buffer_load_dword v92, off, s[0:3], 0 offset:856
	;; [unrolled: 1-line block ×5, first 2 shown]
	ds_read_b128 v[9:12], v89 offset:1504
	s_waitcnt vmcnt(57) lgkmcnt(1)
	v_mul_f64 v[121:122], v[1:2], v[23:24]
	v_mul_f64 v[23:24], v[3:4], v[23:24]
	s_waitcnt vmcnt(56)
	v_fma_f64 v[37:38], v[5:6], v[98:99], -v[37:38]
	v_add_f64 v[13:14], v[13:14], v[17:18]
	v_fma_f64 v[17:18], v[7:8], v[98:99], v[104:105]
	v_add_f64 v[15:16], v[15:16], v[27:28]
	s_clause 0x2
	buffer_load_dword v93, off, s[0:3], 0 offset:860
	buffer_load_dword v28, off, s[0:3], 0 offset:836
	;; [unrolled: 1-line block ×3, first 2 shown]
	s_waitcnt vmcnt(58) lgkmcnt(0)
	v_mul_f64 v[98:99], v[9:10], v[43:44]
	v_mul_f64 v[43:44], v[11:12], v[43:44]
	ds_read_b128 v[5:8], v89 offset:1520
	s_waitcnt vmcnt(56)
	v_fma_f64 v[23:24], v[1:2], v[33:34], -v[23:24]
	v_fma_f64 v[33:34], v[3:4], v[33:34], v[121:122]
	v_add_f64 v[13:14], v[13:14], v[37:38]
	v_add_f64 v[15:16], v[15:16], v[17:18]
	s_clause 0x4
	buffer_load_dword v18, off, s[0:3], 0 offset:876
	buffer_load_dword v37, off, s[0:3], 0 offset:888
	;; [unrolled: 1-line block ×5, first 2 shown]
	ds_read_b128 v[1:4], v89 offset:1536
	s_waitcnt vmcnt(57) lgkmcnt(1)
	v_mul_f64 v[121:122], v[5:6], v[29:30]
	v_mul_f64 v[29:30], v[7:8], v[29:30]
	s_waitcnt vmcnt(56)
	v_fma_f64 v[43:44], v[9:10], v[45:46], -v[43:44]
	v_add_f64 v[13:14], v[13:14], v[23:24]
	v_fma_f64 v[23:24], v[11:12], v[45:46], v[98:99]
	v_add_f64 v[15:16], v[15:16], v[33:34]
	s_clause 0x2
	buffer_load_dword v38, off, s[0:3], 0 offset:892
	buffer_load_dword v34, off, s[0:3], 0 offset:868
	;; [unrolled: 1-line block ×3, first 2 shown]
	ds_read_b128 v[9:12], v89 offset:1552
	s_waitcnt vmcnt(58) lgkmcnt(1)
	v_mul_f64 v[45:46], v[1:2], v[51:52]
	v_mul_f64 v[51:52], v[3:4], v[51:52]
	s_waitcnt vmcnt(56)
	v_fma_f64 v[29:30], v[5:6], v[31:32], -v[29:30]
	v_fma_f64 v[31:32], v[7:8], v[31:32], v[121:122]
	v_add_f64 v[13:14], v[13:14], v[43:44]
	v_add_f64 v[15:16], v[15:16], v[23:24]
	s_clause 0x2
	buffer_load_dword v24, off, s[0:3], 0 offset:908
	buffer_load_dword v23, off, s[0:3], 0 offset:904
	;; [unrolled: 1-line block ×3, first 2 shown]
	ds_read_b128 v[5:8], v89 offset:1568
	s_waitcnt vmcnt(55) lgkmcnt(1)
	v_mul_f64 v[43:44], v[9:10], v[35:36]
	v_mul_f64 v[35:36], v[11:12], v[35:36]
	s_waitcnt vmcnt(54)
	v_fma_f64 v[51:52], v[1:2], v[53:54], -v[51:52]
	v_add_f64 v[13:14], v[13:14], v[29:30]
	v_fma_f64 v[29:30], v[3:4], v[53:54], v[45:46]
	v_add_f64 v[15:16], v[15:16], v[31:32]
	s_clause 0x1
	buffer_load_dword v32, off, s[0:3], 0 offset:900
	buffer_load_dword v31, off, s[0:3], 0 offset:896
	ds_read_b128 v[1:4], v89 offset:1584
	s_waitcnt vmcnt(55) lgkmcnt(1)
	v_mul_f64 v[53:54], v[7:8], v[61:62]
	v_mul_f64 v[45:46], v[5:6], v[61:62]
	s_waitcnt vmcnt(53)
	v_fma_f64 v[35:36], v[9:10], v[39:40], -v[35:36]
	v_fma_f64 v[39:40], v[11:12], v[39:40], v[43:44]
	ds_read_b128 v[9:12], v89 offset:1600
	v_add_f64 v[13:14], v[13:14], v[51:52]
	v_add_f64 v[15:16], v[15:16], v[29:30]
	s_waitcnt vmcnt(49) lgkmcnt(1)
	v_mul_f64 v[29:30], v[1:2], v[41:42]
	v_mul_f64 v[41:42], v[3:4], v[41:42]
	s_waitcnt vmcnt(48)
	v_fma_f64 v[43:44], v[5:6], v[63:64], -v[53:54]
	v_add_f64 v[13:14], v[13:14], v[35:36]
	v_fma_f64 v[35:36], v[7:8], v[63:64], v[45:46]
	v_add_f64 v[15:16], v[15:16], v[39:40]
	s_clause 0x3
	buffer_load_dword v39, off, s[0:3], 0 offset:192
	buffer_load_dword v40, off, s[0:3], 0 offset:196
	;; [unrolled: 1-line block ×4, first 2 shown]
	ds_read_b128 v[5:8], v89 offset:1616
	s_waitcnt vmcnt(51) lgkmcnt(1)
	v_mul_f64 v[53:54], v[11:12], v[108:109]
	v_mul_f64 v[51:52], v[9:10], v[108:109]
	s_waitcnt vmcnt(49)
	v_fma_f64 v[41:42], v[1:2], v[47:48], -v[41:42]
	v_fma_f64 v[29:30], v[3:4], v[47:48], v[29:30]
	ds_read_b128 v[1:4], v89 offset:1632
	v_add_f64 v[13:14], v[13:14], v[43:44]
	v_add_f64 v[15:16], v[15:16], v[35:36]
	s_waitcnt vmcnt(45) lgkmcnt(1)
	v_mul_f64 v[43:44], v[7:8], v[49:50]
	s_waitcnt vmcnt(44)
	v_fma_f64 v[47:48], v[9:10], v[112:113], -v[53:54]
	v_mul_f64 v[35:36], v[5:6], v[49:50]
	v_add_f64 v[13:14], v[13:14], v[41:42]
	v_fma_f64 v[41:42], v[11:12], v[112:113], v[51:52]
	v_add_f64 v[15:16], v[15:16], v[29:30]
	ds_read_b128 v[9:12], v89 offset:1648
	s_waitcnt vmcnt(43) lgkmcnt(1)
	v_mul_f64 v[49:50], v[3:4], v[94:95]
	v_mul_f64 v[29:30], v[1:2], v[94:95]
	s_waitcnt vmcnt(41)
	v_fma_f64 v[43:44], v[5:6], v[55:56], -v[43:44]
	v_fma_f64 v[35:36], v[7:8], v[55:56], v[35:36]
	ds_read_b128 v[5:8], v89 offset:1664
	v_add_f64 v[13:14], v[13:14], v[47:48]
	v_add_f64 v[15:16], v[15:16], v[41:42]
	s_waitcnt vmcnt(37) lgkmcnt(1)
	v_mul_f64 v[47:48], v[11:12], v[100:101]
	s_waitcnt vmcnt(36)
	v_fma_f64 v[49:50], v[1:2], v[117:118], -v[49:50]
	v_mul_f64 v[41:42], v[9:10], v[100:101]
	v_fma_f64 v[29:30], v[3:4], v[117:118], v[29:30]
	ds_read_b128 v[1:4], v89 offset:1680
	v_add_f64 v[13:14], v[13:14], v[43:44]
	v_add_f64 v[15:16], v[15:16], v[35:36]
	s_waitcnt vmcnt(35) lgkmcnt(1)
	v_mul_f64 v[43:44], v[7:8], v[110:111]
	v_mul_f64 v[35:36], v[5:6], v[110:111]
	s_waitcnt vmcnt(33)
	v_fma_f64 v[47:48], v[9:10], v[19:20], -v[47:48]
	v_fma_f64 v[19:20], v[11:12], v[19:20], v[41:42]
	ds_read_b128 v[9:12], v89 offset:1696
	v_add_f64 v[13:14], v[13:14], v[49:50]
	v_add_f64 v[15:16], v[15:16], v[29:30]
	s_waitcnt vmcnt(29) lgkmcnt(1)
	v_mul_f64 v[29:30], v[1:2], v[25:26]
	v_mul_f64 v[25:26], v[3:4], v[25:26]
	s_waitcnt vmcnt(28)
	v_fma_f64 v[41:42], v[5:6], v[114:115], -v[43:44]
	;; [unrolled: 9-line block ×3, first 2 shown]
	v_fma_f64 v[21:22], v[3:4], v[21:22], v[29:30]
	ds_read_b128 v[1:4], v89 offset:1728
	v_add_f64 v[13:14], v[13:14], v[41:42]
	v_add_f64 v[15:16], v[15:16], v[35:36]
	s_waitcnt vmcnt(21) lgkmcnt(1)
	v_mul_f64 v[35:36], v[7:8], v[90:91]
	s_waitcnt vmcnt(20)
	v_fma_f64 v[41:42], v[9:10], v[119:120], -v[43:44]
	v_mul_f64 v[29:30], v[5:6], v[90:91]
	v_fma_f64 v[19:20], v[11:12], v[119:120], v[19:20]
	ds_read_b128 v[9:12], v89 offset:1744
	v_add_f64 v[13:14], v[13:14], v[25:26]
	v_add_f64 v[15:16], v[15:16], v[21:22]
	s_waitcnt vmcnt(19) lgkmcnt(1)
	v_mul_f64 v[25:26], v[3:4], v[92:93]
	v_mul_f64 v[21:22], v[1:2], v[92:93]
	s_waitcnt vmcnt(17)
	v_fma_f64 v[35:36], v[5:6], v[27:28], -v[35:36]
	v_fma_f64 v[27:28], v[7:8], v[27:28], v[29:30]
	ds_read_b128 v[5:8], v89 offset:1760
	v_add_f64 v[13:14], v[13:14], v[41:42]
	v_add_f64 v[15:16], v[15:16], v[19:20]
	s_waitcnt vmcnt(13) lgkmcnt(1)
	v_mul_f64 v[19:20], v[9:10], v[17:18]
	v_mul_f64 v[17:18], v[11:12], v[17:18]
	s_waitcnt vmcnt(12)
	v_fma_f64 v[25:26], v[1:2], v[106:107], -v[25:26]
	v_fma_f64 v[21:22], v[3:4], v[106:107], v[21:22]
	ds_read_b128 v[1:4], v89 offset:1776
	v_add_f64 v[13:14], v[13:14], v[35:36]
	v_add_f64 v[15:16], v[15:16], v[27:28]
	s_waitcnt vmcnt(11) lgkmcnt(1)
	v_mul_f64 v[29:30], v[7:8], v[37:38]
	v_mul_f64 v[27:28], v[5:6], v[37:38]
	s_waitcnt vmcnt(9)
	v_fma_f64 v[9:10], v[9:10], v[33:34], -v[17:18]
	v_fma_f64 v[11:12], v[11:12], v[33:34], v[19:20]
	v_add_f64 v[13:14], v[13:14], v[25:26]
	v_add_f64 v[15:16], v[15:16], v[21:22]
	s_waitcnt vmcnt(7) lgkmcnt(0)
	v_mul_f64 v[19:20], v[3:4], v[23:24]
	s_waitcnt vmcnt(6)
	v_fma_f64 v[5:6], v[5:6], v[104:105], -v[29:30]
	v_mul_f64 v[17:18], v[1:2], v[23:24]
	v_fma_f64 v[7:8], v[7:8], v[104:105], v[27:28]
	v_add_f64 v[9:10], v[13:14], v[9:10]
	v_add_f64 v[11:12], v[15:16], v[11:12]
	s_waitcnt vmcnt(4)
	v_fma_f64 v[1:2], v[1:2], v[31:32], -v[19:20]
	v_fma_f64 v[3:4], v[3:4], v[31:32], v[17:18]
	v_add_f64 v[5:6], v[9:10], v[5:6]
	v_add_f64 v[7:8], v[11:12], v[7:8]
	;; [unrolled: 1-line block ×4, first 2 shown]
	s_waitcnt vmcnt(2)
	v_add_f64 v[1:2], v[39:40], -v[1:2]
	s_waitcnt vmcnt(0)
	v_add_f64 v[3:4], v[45:46], -v[3:4]
	buffer_store_dword v2, off, s[0:3], 0 offset:196
	buffer_store_dword v1, off, s[0:3], 0 offset:192
	;; [unrolled: 1-line block ×4, first 2 shown]
	v_cmpx_lt_u32_e32 10, v0
	s_cbranch_execz .LBB55_329
; %bb.328:
	v_mov_b32_e32 v4, s58
	v_mov_b32_e32 v5, 0
	s_clause 0x3
	buffer_load_dword v1, v4, s[0:3], 0 offen
	buffer_load_dword v2, v4, s[0:3], 0 offen offset:4
	buffer_load_dword v3, v4, s[0:3], 0 offen offset:8
	;; [unrolled: 1-line block ×3, first 2 shown]
	buffer_store_dword v5, off, s[0:3], 0 offset:176
	buffer_store_dword v5, off, s[0:3], 0 offset:180
	;; [unrolled: 1-line block ×4, first 2 shown]
	s_waitcnt vmcnt(0)
	ds_write_b128 v97, v[1:4]
.LBB55_329:
	s_or_b32 exec_lo, exec_lo, s4
	s_waitcnt lgkmcnt(0)
	s_waitcnt_vscnt null, 0x0
	s_barrier
	buffer_gl0_inv
	s_clause 0x37
	buffer_load_dword v13, off, s[0:3], 0 offset:200
	buffer_load_dword v14, off, s[0:3], 0 offset:204
	;; [unrolled: 1-line block ×56, first 2 shown]
	v_mov_b32_e32 v98, 0
	s_mov_b32 s4, exec_lo
	ds_read_b128 v[93:96], v98 offset:1072
	s_clause 0x2
	buffer_load_dword v90, off, s[0:3], 0 offset:428
	buffer_load_dword v92, off, s[0:3], 0 offset:404
	;; [unrolled: 1-line block ×3, first 2 shown]
	ds_read_b128 v[1:4], v98 offset:1088
	s_clause 0x4
	buffer_load_dword v106, off, s[0:3], 0 offset:444
	buffer_load_dword v107, off, s[0:3], 0 offset:456
	;; [unrolled: 1-line block ×5, first 2 shown]
	ds_read_b128 v[99:102], v98 offset:1104
	s_waitcnt vmcnt(62) lgkmcnt(2)
	v_mul_f64 v[103:104], v[95:96], v[13:14]
	v_mul_f64 v[13:14], v[93:94], v[13:14]
	s_waitcnt vmcnt(60) lgkmcnt(1)
	v_mul_f64 v[110:111], v[3:4], v[9:10]
	s_waitcnt vmcnt(56) lgkmcnt(0)
	v_mul_f64 v[112:113], v[99:100], v[7:8]
	v_mul_f64 v[7:8], v[101:102], v[7:8]
	v_fma_f64 v[93:94], v[93:94], v[11:12], -v[103:104]
	v_mul_f64 v[103:104], v[1:2], v[9:10]
	v_fma_f64 v[13:14], v[95:96], v[11:12], v[13:14]
	s_clause 0x2
	buffer_load_dword v108, off, s[0:3], 0 offset:460
	buffer_load_dword v96, off, s[0:3], 0 offset:436
	;; [unrolled: 1-line block ×3, first 2 shown]
	s_waitcnt vmcnt(57)
	v_fma_f64 v[114:115], v[1:2], v[5:6], -v[110:111]
	ds_read_b128 v[9:12], v98 offset:1120
	s_waitcnt vmcnt(51)
	v_fma_f64 v[99:100], v[99:100], v[29:30], -v[7:8]
	v_fma_f64 v[29:30], v[101:102], v[29:30], v[112:113]
	v_add_f64 v[93:94], v[93:94], 0
	v_fma_f64 v[5:6], v[3:4], v[5:6], v[103:104]
	v_add_f64 v[13:14], v[13:14], 0
	s_clause 0x4
	buffer_load_dword v104, off, s[0:3], 0 offset:476
	buffer_load_dword v111, off, s[0:3], 0 offset:488
	;; [unrolled: 1-line block ×5, first 2 shown]
	s_waitcnt lgkmcnt(0)
	v_mul_f64 v[117:118], v[9:10], v[17:18]
	v_mul_f64 v[17:18], v[11:12], v[17:18]
	ds_read_b128 v[1:4], v98 offset:1136
	s_clause 0x2
	buffer_load_dword v112, off, s[0:3], 0 offset:492
	buffer_load_dword v102, off, s[0:3], 0 offset:468
	;; [unrolled: 1-line block ×3, first 2 shown]
	v_add_f64 v[93:94], v[93:94], v[114:115]
	v_add_f64 v[13:14], v[13:14], v[5:6]
	ds_read_b128 v[5:8], v98 offset:1152
	s_waitcnt vmcnt(58) lgkmcnt(1)
	v_mul_f64 v[113:114], v[1:2], v[21:22]
	v_mul_f64 v[21:22], v[3:4], v[21:22]
	s_waitcnt vmcnt(56)
	v_fma_f64 v[17:18], v[9:10], v[23:24], -v[17:18]
	v_fma_f64 v[23:24], v[11:12], v[23:24], v[117:118]
	v_add_f64 v[93:94], v[93:94], v[99:100]
	s_waitcnt vmcnt(52) lgkmcnt(0)
	v_mul_f64 v[119:120], v[5:6], v[25:26]
	v_add_f64 v[13:14], v[13:14], v[29:30]
	s_clause 0x4
	buffer_load_dword v30, off, s[0:3], 0 offset:508
	buffer_load_dword v99, off, s[0:3], 0 offset:520
	;; [unrolled: 1-line block ×5, first 2 shown]
	v_mul_f64 v[25:26], v[7:8], v[25:26]
	s_waitcnt vmcnt(56)
	v_fma_f64 v[21:22], v[1:2], v[15:16], -v[21:22]
	ds_read_b128 v[9:12], v98 offset:1168
	v_fma_f64 v[15:16], v[3:4], v[15:16], v[113:114]
	v_add_f64 v[17:18], v[93:94], v[17:18]
	v_add_f64 v[13:14], v[13:14], v[23:24]
	s_clause 0x2
	buffer_load_dword v100, off, s[0:3], 0 offset:524
	buffer_load_dword v24, off, s[0:3], 0 offset:500
	;; [unrolled: 1-line block ×3, first 2 shown]
	s_waitcnt vmcnt(58) lgkmcnt(0)
	v_mul_f64 v[93:94], v[9:10], v[31:32]
	v_mul_f64 v[31:32], v[11:12], v[31:32]
	s_waitcnt vmcnt(56)
	v_fma_f64 v[25:26], v[5:6], v[33:34], -v[25:26]
	ds_read_b128 v[1:4], v98 offset:1184
	v_add_f64 v[17:18], v[17:18], v[21:22]
	v_fma_f64 v[21:22], v[7:8], v[33:34], v[119:120]
	v_add_f64 v[13:14], v[13:14], v[15:16]
	s_clause 0x4
	buffer_load_dword v16, off, s[0:3], 0 offset:540
	buffer_load_dword v33, off, s[0:3], 0 offset:552
	;; [unrolled: 1-line block ×5, first 2 shown]
	ds_read_b128 v[5:8], v98 offset:1200
	s_waitcnt vmcnt(57) lgkmcnt(1)
	v_mul_f64 v[114:115], v[1:2], v[35:36]
	v_mul_f64 v[35:36], v[3:4], v[35:36]
	s_waitcnt vmcnt(56)
	v_fma_f64 v[31:32], v[9:10], v[19:20], -v[31:32]
	v_fma_f64 v[19:20], v[11:12], v[19:20], v[93:94]
	v_add_f64 v[17:18], v[17:18], v[25:26]
	v_add_f64 v[13:14], v[13:14], v[21:22]
	s_clause 0x2
	buffer_load_dword v34, off, s[0:3], 0 offset:556
	buffer_load_dword v22, off, s[0:3], 0 offset:532
	buffer_load_dword v21, off, s[0:3], 0 offset:528
	s_waitcnt vmcnt(58) lgkmcnt(0)
	v_mul_f64 v[25:26], v[5:6], v[39:40]
	v_mul_f64 v[39:40], v[7:8], v[39:40]
	s_waitcnt vmcnt(56)
	v_fma_f64 v[35:36], v[1:2], v[41:42], -v[35:36]
	ds_read_b128 v[9:12], v98 offset:1216
	v_add_f64 v[17:18], v[17:18], v[31:32]
	v_fma_f64 v[31:32], v[3:4], v[41:42], v[114:115]
	v_add_f64 v[13:14], v[13:14], v[19:20]
	s_clause 0x4
	buffer_load_dword v20, off, s[0:3], 0 offset:572
	buffer_load_dword v41, off, s[0:3], 0 offset:584
	buffer_load_dword v93, off, s[0:3], 0 offset:576
	buffer_load_dword v19, off, s[0:3], 0 offset:568
	buffer_load_dword v114, off, s[0:3], 0 offset:548
	ds_read_b128 v[1:4], v98 offset:1232
	s_waitcnt vmcnt(57) lgkmcnt(1)
	v_mul_f64 v[120:121], v[9:10], v[43:44]
	v_mul_f64 v[43:44], v[11:12], v[43:44]
	s_waitcnt vmcnt(56)
	v_fma_f64 v[39:40], v[5:6], v[27:28], -v[39:40]
	v_fma_f64 v[25:26], v[7:8], v[27:28], v[25:26]
	s_clause 0x2
	buffer_load_dword v42, off, s[0:3], 0 offset:588
	buffer_load_dword v28, off, s[0:3], 0 offset:564
	;; [unrolled: 1-line block ×3, first 2 shown]
	ds_read_b128 v[5:8], v98 offset:1248
	v_add_f64 v[17:18], v[17:18], v[35:36]
	v_add_f64 v[13:14], v[13:14], v[31:32]
	s_waitcnt vmcnt(58) lgkmcnt(1)
	v_mul_f64 v[35:36], v[3:4], v[47:48]
	v_mul_f64 v[31:32], v[1:2], v[47:48]
	s_waitcnt vmcnt(56)
	v_fma_f64 v[43:44], v[9:10], v[49:50], -v[43:44]
	v_add_f64 v[17:18], v[17:18], v[39:40]
	v_fma_f64 v[39:40], v[11:12], v[49:50], v[120:121]
	v_add_f64 v[13:14], v[13:14], v[25:26]
	s_clause 0x4
	buffer_load_dword v26, off, s[0:3], 0 offset:604
	buffer_load_dword v47, off, s[0:3], 0 offset:616
	;; [unrolled: 1-line block ×5, first 2 shown]
	s_waitcnt vmcnt(57) lgkmcnt(0)
	v_mul_f64 v[120:121], v[5:6], v[51:52]
	v_mul_f64 v[50:51], v[7:8], v[51:52]
	s_waitcnt vmcnt(56)
	v_fma_f64 v[35:36], v[1:2], v[37:38], -v[35:36]
	ds_read_b128 v[9:12], v98 offset:1264
	v_fma_f64 v[31:32], v[3:4], v[37:38], v[31:32]
	s_clause 0x2
	buffer_load_dword v48, off, s[0:3], 0 offset:620
	buffer_load_dword v38, off, s[0:3], 0 offset:596
	;; [unrolled: 1-line block ×3, first 2 shown]
	ds_read_b128 v[1:4], v98 offset:1280
	v_add_f64 v[17:18], v[17:18], v[43:44]
	v_add_f64 v[13:14], v[13:14], v[39:40]
	s_waitcnt vmcnt(58) lgkmcnt(1)
	v_mul_f64 v[43:44], v[11:12], v[55:56]
	s_waitcnt vmcnt(56)
	v_fma_f64 v[51:52], v[5:6], v[61:62], -v[50:51]
	v_mul_f64 v[39:40], v[9:10], v[55:56]
	v_add_f64 v[17:18], v[17:18], v[35:36]
	v_fma_f64 v[35:36], v[7:8], v[61:62], v[120:121]
	v_add_f64 v[13:14], v[13:14], v[31:32]
	s_clause 0x4
	buffer_load_dword v32, off, s[0:3], 0 offset:636
	buffer_load_dword v55, off, s[0:3], 0 offset:648
	;; [unrolled: 1-line block ×5, first 2 shown]
	s_waitcnt vmcnt(57) lgkmcnt(0)
	v_mul_f64 v[120:121], v[1:2], v[63:64]
	v_mul_f64 v[62:63], v[3:4], v[63:64]
	s_waitcnt vmcnt(56)
	v_fma_f64 v[43:44], v[9:10], v[45:46], -v[43:44]
	ds_read_b128 v[5:8], v98 offset:1296
	v_fma_f64 v[39:40], v[11:12], v[45:46], v[39:40]
	v_add_f64 v[17:18], v[17:18], v[51:52]
	v_add_f64 v[13:14], v[13:14], v[35:36]
	s_clause 0x2
	buffer_load_dword v56, off, s[0:3], 0 offset:652
	buffer_load_dword v36, off, s[0:3], 0 offset:628
	;; [unrolled: 1-line block ×3, first 2 shown]
	ds_read_b128 v[9:12], v98 offset:1312
	s_waitcnt vmcnt(58) lgkmcnt(1)
	v_mul_f64 v[51:52], v[7:8], v[89:90]
	s_waitcnt vmcnt(56)
	v_fma_f64 v[63:64], v[1:2], v[91:92], -v[62:63]
	v_mul_f64 v[45:46], v[5:6], v[89:90]
	v_add_f64 v[17:18], v[17:18], v[43:44]
	v_fma_f64 v[43:44], v[3:4], v[91:92], v[120:121]
	v_add_f64 v[13:14], v[13:14], v[39:40]
	s_clause 0x4
	buffer_load_dword v40, off, s[0:3], 0 offset:668
	buffer_load_dword v89, off, s[0:3], 0 offset:680
	;; [unrolled: 1-line block ×5, first 2 shown]
	s_waitcnt vmcnt(57) lgkmcnt(0)
	v_mul_f64 v[120:121], v[9:10], v[105:106]
	v_mul_f64 v[105:106], v[11:12], v[105:106]
	s_waitcnt vmcnt(56)
	v_fma_f64 v[51:52], v[5:6], v[53:54], -v[51:52]
	ds_read_b128 v[1:4], v98 offset:1328
	v_fma_f64 v[45:46], v[7:8], v[53:54], v[45:46]
	v_add_f64 v[17:18], v[17:18], v[63:64]
	v_add_f64 v[13:14], v[13:14], v[43:44]
	s_clause 0x2
	buffer_load_dword v90, off, s[0:3], 0 offset:684
	buffer_load_dword v44, off, s[0:3], 0 offset:660
	;; [unrolled: 1-line block ×3, first 2 shown]
	ds_read_b128 v[5:8], v98 offset:1344
	s_waitcnt vmcnt(58) lgkmcnt(1)
	v_mul_f64 v[63:64], v[3:4], v[107:108]
	v_mul_f64 v[53:54], v[1:2], v[107:108]
	s_waitcnt vmcnt(56)
	v_fma_f64 v[105:106], v[9:10], v[95:96], -v[105:106]
	v_add_f64 v[17:18], v[17:18], v[51:52]
	v_fma_f64 v[51:52], v[11:12], v[95:96], v[120:121]
	v_add_f64 v[13:14], v[13:14], v[45:46]
	s_clause 0x4
	buffer_load_dword v46, off, s[0:3], 0 offset:700
	buffer_load_dword v95, off, s[0:3], 0 offset:712
	;; [unrolled: 1-line block ×5, first 2 shown]
	ds_read_b128 v[9:12], v98 offset:1360
	s_waitcnt vmcnt(57) lgkmcnt(1)
	v_mul_f64 v[120:121], v[5:6], v[103:104]
	v_mul_f64 v[103:104], v[7:8], v[103:104]
	s_waitcnt vmcnt(56)
	v_fma_f64 v[63:64], v[1:2], v[109:110], -v[63:64]
	v_fma_f64 v[53:54], v[3:4], v[109:110], v[53:54]
	v_add_f64 v[17:18], v[17:18], v[105:106]
	v_add_f64 v[13:14], v[13:14], v[51:52]
	s_clause 0x2
	buffer_load_dword v96, off, s[0:3], 0 offset:716
	buffer_load_dword v52, off, s[0:3], 0 offset:692
	;; [unrolled: 1-line block ×3, first 2 shown]
	s_waitcnt vmcnt(58) lgkmcnt(0)
	v_mul_f64 v[109:110], v[11:12], v[111:112]
	ds_read_b128 v[1:4], v98 offset:1376
	v_mul_f64 v[105:106], v[9:10], v[111:112]
	s_waitcnt vmcnt(56)
	v_fma_f64 v[103:104], v[5:6], v[101:102], -v[103:104]
	v_add_f64 v[17:18], v[17:18], v[63:64]
	v_fma_f64 v[63:64], v[7:8], v[101:102], v[120:121]
	v_add_f64 v[13:14], v[13:14], v[53:54]
	s_clause 0x4
	buffer_load_dword v54, off, s[0:3], 0 offset:732
	buffer_load_dword v101, off, s[0:3], 0 offset:744
	;; [unrolled: 1-line block ×5, first 2 shown]
	ds_read_b128 v[5:8], v98 offset:1392
	s_waitcnt vmcnt(57) lgkmcnt(1)
	v_mul_f64 v[120:121], v[1:2], v[29:30]
	v_mul_f64 v[29:30], v[3:4], v[29:30]
	s_waitcnt vmcnt(56)
	v_fma_f64 v[109:110], v[9:10], v[116:117], -v[109:110]
	v_add_f64 v[17:18], v[17:18], v[103:104]
	v_fma_f64 v[103:104], v[11:12], v[116:117], v[105:106]
	v_add_f64 v[13:14], v[13:14], v[63:64]
	s_clause 0x2
	buffer_load_dword v102, off, s[0:3], 0 offset:748
	buffer_load_dword v64, off, s[0:3], 0 offset:724
	;; [unrolled: 1-line block ×3, first 2 shown]
	ds_read_b128 v[9:12], v98 offset:1408
	s_waitcnt vmcnt(58) lgkmcnt(1)
	v_mul_f64 v[105:106], v[5:6], v[99:100]
	v_mul_f64 v[99:100], v[7:8], v[99:100]
	s_waitcnt vmcnt(56)
	v_fma_f64 v[29:30], v[1:2], v[23:24], -v[29:30]
	v_fma_f64 v[23:24], v[3:4], v[23:24], v[120:121]
	v_add_f64 v[17:18], v[17:18], v[109:110]
	v_add_f64 v[13:14], v[13:14], v[103:104]
	s_clause 0x4
	buffer_load_dword v104, off, s[0:3], 0 offset:764
	buffer_load_dword v109, off, s[0:3], 0 offset:776
	;; [unrolled: 1-line block ×5, first 2 shown]
	ds_read_b128 v[1:4], v98 offset:1424
	s_waitcnt vmcnt(57) lgkmcnt(1)
	v_mul_f64 v[116:117], v[9:10], v[15:16]
	v_mul_f64 v[15:16], v[11:12], v[15:16]
	s_waitcnt vmcnt(56)
	v_fma_f64 v[99:100], v[5:6], v[118:119], -v[99:100]
	v_add_f64 v[17:18], v[17:18], v[29:30]
	v_fma_f64 v[29:30], v[7:8], v[118:119], v[105:106]
	v_add_f64 v[13:14], v[13:14], v[23:24]
	s_clause 0x2
	buffer_load_dword v110, off, s[0:3], 0 offset:780
	buffer_load_dword v24, off, s[0:3], 0 offset:756
	;; [unrolled: 1-line block ×3, first 2 shown]
	ds_read_b128 v[5:8], v98 offset:1440
	s_waitcnt vmcnt(58) lgkmcnt(1)
	v_mul_f64 v[105:106], v[1:2], v[33:34]
	v_mul_f64 v[33:34], v[3:4], v[33:34]
	s_waitcnt vmcnt(56)
	v_fma_f64 v[15:16], v[9:10], v[21:22], -v[15:16]
	v_fma_f64 v[21:22], v[11:12], v[21:22], v[116:117]
	v_add_f64 v[17:18], v[17:18], v[99:100]
	v_add_f64 v[13:14], v[13:14], v[29:30]
	s_clause 0x4
	buffer_load_dword v30, off, s[0:3], 0 offset:796
	buffer_load_dword v99, off, s[0:3], 0 offset:808
	;; [unrolled: 1-line block ×5, first 2 shown]
	ds_read_b128 v[9:12], v98 offset:1456
	s_waitcnt vmcnt(57) lgkmcnt(1)
	v_mul_f64 v[118:119], v[5:6], v[19:20]
	v_mul_f64 v[19:20], v[7:8], v[19:20]
	s_waitcnt vmcnt(56)
	v_fma_f64 v[33:34], v[1:2], v[113:114], -v[33:34]
	v_add_f64 v[15:16], v[17:18], v[15:16]
	v_fma_f64 v[17:18], v[3:4], v[113:114], v[105:106]
	v_add_f64 v[13:14], v[13:14], v[21:22]
	s_clause 0x2
	buffer_load_dword v100, off, s[0:3], 0 offset:812
	buffer_load_dword v22, off, s[0:3], 0 offset:788
	;; [unrolled: 1-line block ×3, first 2 shown]
	s_waitcnt vmcnt(58) lgkmcnt(0)
	v_mul_f64 v[105:106], v[9:10], v[41:42]
	v_mul_f64 v[41:42], v[11:12], v[41:42]
	ds_read_b128 v[1:4], v98 offset:1472
	s_waitcnt vmcnt(56)
	v_fma_f64 v[19:20], v[5:6], v[27:28], -v[19:20]
	v_fma_f64 v[27:28], v[7:8], v[27:28], v[118:119]
	v_add_f64 v[15:16], v[15:16], v[33:34]
	v_add_f64 v[13:14], v[13:14], v[17:18]
	s_clause 0x4
	buffer_load_dword v18, off, s[0:3], 0 offset:828
	buffer_load_dword v33, off, s[0:3], 0 offset:840
	;; [unrolled: 1-line block ×5, first 2 shown]
	ds_read_b128 v[5:8], v98 offset:1488
	s_waitcnt vmcnt(57) lgkmcnt(1)
	v_mul_f64 v[119:120], v[1:2], v[25:26]
	v_mul_f64 v[25:26], v[3:4], v[25:26]
	s_waitcnt vmcnt(56)
	v_fma_f64 v[41:42], v[9:10], v[93:94], -v[41:42]
	v_add_f64 v[15:16], v[15:16], v[19:20]
	v_fma_f64 v[19:20], v[11:12], v[93:94], v[105:106]
	v_add_f64 v[13:14], v[13:14], v[27:28]
	s_clause 0x2
	buffer_load_dword v34, off, s[0:3], 0 offset:844
	buffer_load_dword v28, off, s[0:3], 0 offset:820
	;; [unrolled: 1-line block ×3, first 2 shown]
	s_waitcnt vmcnt(58) lgkmcnt(0)
	v_mul_f64 v[93:94], v[5:6], v[47:48]
	v_mul_f64 v[47:48], v[7:8], v[47:48]
	ds_read_b128 v[9:12], v98 offset:1504
	s_waitcnt vmcnt(56)
	v_fma_f64 v[25:26], v[1:2], v[37:38], -v[25:26]
	v_fma_f64 v[37:38], v[3:4], v[37:38], v[119:120]
	v_add_f64 v[15:16], v[15:16], v[41:42]
	v_add_f64 v[13:14], v[13:14], v[19:20]
	s_clause 0x4
	buffer_load_dword v20, off, s[0:3], 0 offset:860
	buffer_load_dword v41, off, s[0:3], 0 offset:872
	;; [unrolled: 1-line block ×5, first 2 shown]
	ds_read_b128 v[1:4], v98 offset:1520
	s_waitcnt vmcnt(57) lgkmcnt(1)
	v_mul_f64 v[119:120], v[9:10], v[31:32]
	v_mul_f64 v[31:32], v[11:12], v[31:32]
	s_waitcnt vmcnt(56)
	v_fma_f64 v[47:48], v[5:6], v[49:50], -v[47:48]
	v_add_f64 v[15:16], v[15:16], v[25:26]
	v_fma_f64 v[25:26], v[7:8], v[49:50], v[93:94]
	v_add_f64 v[13:14], v[13:14], v[37:38]
	s_clause 0x2
	buffer_load_dword v42, off, s[0:3], 0 offset:876
	buffer_load_dword v38, off, s[0:3], 0 offset:852
	;; [unrolled: 1-line block ×3, first 2 shown]
	ds_read_b128 v[5:8], v98 offset:1536
	s_waitcnt vmcnt(58) lgkmcnt(1)
	v_mul_f64 v[49:50], v[1:2], v[55:56]
	v_mul_f64 v[55:56], v[3:4], v[55:56]
	s_waitcnt vmcnt(56)
	v_fma_f64 v[31:32], v[9:10], v[35:36], -v[31:32]
	v_fma_f64 v[35:36], v[11:12], v[35:36], v[119:120]
	v_add_f64 v[15:16], v[15:16], v[47:48]
	v_add_f64 v[13:14], v[13:14], v[25:26]
	s_clause 0x4
	buffer_load_dword v26, off, s[0:3], 0 offset:892
	buffer_load_dword v47, off, s[0:3], 0 offset:904
	;; [unrolled: 1-line block ×5, first 2 shown]
	ds_read_b128 v[9:12], v98 offset:1552
	s_waitcnt vmcnt(57) lgkmcnt(1)
	v_mul_f64 v[119:120], v[5:6], v[39:40]
	v_mul_f64 v[39:40], v[7:8], v[39:40]
	s_waitcnt vmcnt(56)
	v_fma_f64 v[55:56], v[1:2], v[61:62], -v[55:56]
	v_add_f64 v[15:16], v[15:16], v[31:32]
	v_fma_f64 v[31:32], v[3:4], v[61:62], v[49:50]
	v_add_f64 v[13:14], v[13:14], v[35:36]
	s_clause 0x2
	buffer_load_dword v48, off, s[0:3], 0 offset:908
	buffer_load_dword v36, off, s[0:3], 0 offset:884
	;; [unrolled: 1-line block ×3, first 2 shown]
	ds_read_b128 v[1:4], v98 offset:1568
	buffer_load_dword v94, off, s[0:3], 0 offset:900
	s_waitcnt vmcnt(59) lgkmcnt(1)
	v_mul_f64 v[61:62], v[11:12], v[89:90]
	v_mul_f64 v[49:50], v[9:10], v[89:90]
	s_waitcnt vmcnt(57)
	v_fma_f64 v[39:40], v[5:6], v[43:44], -v[39:40]
	v_fma_f64 v[43:44], v[7:8], v[43:44], v[119:120]
	ds_read_b128 v[5:8], v98 offset:1584
	v_add_f64 v[15:16], v[15:16], v[55:56]
	v_add_f64 v[13:14], v[13:14], v[31:32]
	s_waitcnt vmcnt(53) lgkmcnt(1)
	v_mul_f64 v[31:32], v[1:2], v[45:46]
	v_mul_f64 v[45:46], v[3:4], v[45:46]
	s_waitcnt vmcnt(52)
	v_fma_f64 v[55:56], v[9:10], v[91:92], -v[61:62]
	v_add_f64 v[15:16], v[15:16], v[39:40]
	v_fma_f64 v[39:40], v[11:12], v[91:92], v[49:50]
	v_add_f64 v[13:14], v[13:14], v[43:44]
	ds_read_b128 v[9:12], v98 offset:1600
	s_waitcnt vmcnt(51) lgkmcnt(1)
	v_mul_f64 v[49:50], v[7:8], v[95:96]
	v_mul_f64 v[43:44], v[5:6], v[95:96]
	s_waitcnt vmcnt(49)
	v_fma_f64 v[45:46], v[1:2], v[51:52], -v[45:46]
	v_fma_f64 v[31:32], v[3:4], v[51:52], v[31:32]
	v_add_f64 v[15:16], v[15:16], v[55:56]
	v_add_f64 v[13:14], v[13:14], v[39:40]
	s_clause 0x3
	buffer_load_dword v39, off, s[0:3], 0 offset:176
	buffer_load_dword v40, off, s[0:3], 0 offset:180
	;; [unrolled: 1-line block ×4, first 2 shown]
	ds_read_b128 v[1:4], v98 offset:1616
	s_waitcnt vmcnt(49) lgkmcnt(1)
	v_mul_f64 v[55:56], v[9:10], v[53:54]
	v_mul_f64 v[53:54], v[11:12], v[53:54]
	s_waitcnt vmcnt(48)
	v_fma_f64 v[49:50], v[5:6], v[107:108], -v[49:50]
	v_fma_f64 v[43:44], v[7:8], v[107:108], v[43:44]
	ds_read_b128 v[5:8], v98 offset:1632
	v_add_f64 v[15:16], v[15:16], v[45:46]
	v_add_f64 v[13:14], v[13:14], v[31:32]
	s_waitcnt vmcnt(47) lgkmcnt(1)
	v_mul_f64 v[45:46], v[3:4], v[101:102]
	v_mul_f64 v[31:32], v[1:2], v[101:102]
	s_waitcnt vmcnt(45)
	v_fma_f64 v[53:54], v[9:10], v[63:64], -v[53:54]
	v_add_f64 v[15:16], v[15:16], v[49:50]
	v_fma_f64 v[49:50], v[11:12], v[63:64], v[55:56]
	v_add_f64 v[13:14], v[13:14], v[43:44]
	ds_read_b128 v[9:12], v98 offset:1648
	s_waitcnt vmcnt(41) lgkmcnt(1)
	v_mul_f64 v[55:56], v[7:8], v[103:104]
	s_waitcnt vmcnt(40)
	v_fma_f64 v[45:46], v[1:2], v[111:112], -v[45:46]
	v_mul_f64 v[43:44], v[5:6], v[103:104]
	v_fma_f64 v[31:32], v[3:4], v[111:112], v[31:32]
	ds_read_b128 v[1:4], v98 offset:1664
	v_add_f64 v[15:16], v[15:16], v[53:54]
	v_add_f64 v[13:14], v[13:14], v[49:50]
	s_waitcnt vmcnt(39) lgkmcnt(1)
	v_mul_f64 v[53:54], v[11:12], v[109:110]
	v_mul_f64 v[49:50], v[9:10], v[109:110]
	s_waitcnt vmcnt(37)
	v_fma_f64 v[55:56], v[5:6], v[23:24], -v[55:56]
	v_fma_f64 v[23:24], v[7:8], v[23:24], v[43:44]
	ds_read_b128 v[5:8], v98 offset:1680
	v_add_f64 v[15:16], v[15:16], v[45:46]
	v_add_f64 v[13:14], v[13:14], v[31:32]
	s_waitcnt vmcnt(33) lgkmcnt(1)
	v_mul_f64 v[31:32], v[1:2], v[29:30]
	v_mul_f64 v[29:30], v[3:4], v[29:30]
	s_waitcnt vmcnt(32)
	v_fma_f64 v[43:44], v[9:10], v[115:116], -v[53:54]
	;; [unrolled: 9-line block ×6, first 2 shown]
	v_add_f64 v[15:16], v[15:16], v[17:18]
	v_fma_f64 v[17:18], v[3:4], v[113:114], v[21:22]
	v_add_f64 v[13:14], v[13:14], v[27:28]
	ds_read_b128 v[1:4], v98 offset:1760
	s_waitcnt vmcnt(15) lgkmcnt(1)
	v_mul_f64 v[27:28], v[11:12], v[41:42]
	v_mul_f64 v[21:22], v[9:10], v[41:42]
	s_waitcnt vmcnt(13)
	v_fma_f64 v[19:20], v[5:6], v[37:38], -v[19:20]
	v_fma_f64 v[23:24], v[7:8], v[37:38], v[23:24]
	ds_read_b128 v[5:8], v98 offset:1776
	v_add_f64 v[15:16], v[15:16], v[29:30]
	v_add_f64 v[13:14], v[13:14], v[17:18]
	s_waitcnt vmcnt(9) lgkmcnt(1)
	v_mul_f64 v[17:18], v[1:2], v[25:26]
	v_mul_f64 v[25:26], v[3:4], v[25:26]
	s_waitcnt vmcnt(8)
	v_fma_f64 v[9:10], v[9:10], v[105:106], -v[27:28]
	v_fma_f64 v[11:12], v[11:12], v[105:106], v[21:22]
	v_add_f64 v[15:16], v[15:16], v[19:20]
	v_add_f64 v[13:14], v[13:14], v[23:24]
	s_waitcnt vmcnt(7) lgkmcnt(0)
	v_mul_f64 v[21:22], v[7:8], v[47:48]
	v_mul_f64 v[19:20], v[5:6], v[47:48]
	s_waitcnt vmcnt(5)
	v_fma_f64 v[1:2], v[1:2], v[35:36], -v[25:26]
	v_fma_f64 v[3:4], v[3:4], v[35:36], v[17:18]
	v_add_f64 v[9:10], v[15:16], v[9:10]
	v_add_f64 v[11:12], v[13:14], v[11:12]
	s_waitcnt vmcnt(4)
	v_fma_f64 v[5:6], v[5:6], v[93:94], -v[21:22]
	v_fma_f64 v[7:8], v[7:8], v[93:94], v[19:20]
	v_add_f64 v[1:2], v[9:10], v[1:2]
	v_add_f64 v[3:4], v[11:12], v[3:4]
	;; [unrolled: 1-line block ×4, first 2 shown]
	s_waitcnt vmcnt(2)
	v_add_f64 v[1:2], v[39:40], -v[1:2]
	s_waitcnt vmcnt(0)
	v_add_f64 v[3:4], v[51:52], -v[3:4]
	buffer_store_dword v2, off, s[0:3], 0 offset:180
	buffer_store_dword v1, off, s[0:3], 0 offset:176
	;; [unrolled: 1-line block ×4, first 2 shown]
	v_cmpx_lt_u32_e32 9, v0
	s_cbranch_execz .LBB55_331
; %bb.330:
	v_mov_b32_e32 v4, s59
	s_clause 0x3
	buffer_load_dword v1, v4, s[0:3], 0 offen
	buffer_load_dword v2, v4, s[0:3], 0 offen offset:4
	buffer_load_dword v3, v4, s[0:3], 0 offen offset:8
	;; [unrolled: 1-line block ×3, first 2 shown]
	buffer_store_dword v98, off, s[0:3], 0 offset:160
	buffer_store_dword v98, off, s[0:3], 0 offset:164
	;; [unrolled: 1-line block ×4, first 2 shown]
	s_waitcnt vmcnt(0)
	ds_write_b128 v97, v[1:4]
.LBB55_331:
	s_or_b32 exec_lo, exec_lo, s4
	s_waitcnt lgkmcnt(0)
	s_waitcnt_vscnt null, 0x0
	s_barrier
	buffer_gl0_inv
	s_clause 0x37
	buffer_load_dword v17, off, s[0:3], 0 offset:184
	buffer_load_dword v18, off, s[0:3], 0 offset:188
	;; [unrolled: 1-line block ×56, first 2 shown]
	ds_read_b128 v[5:8], v98 offset:1056
	s_clause 0x2
	buffer_load_dword v94, off, s[0:3], 0 offset:412
	buffer_load_dword v96, off, s[0:3], 0 offset:388
	;; [unrolled: 1-line block ×3, first 2 shown]
	ds_read_b128 v[1:4], v98 offset:1072
	s_clause 0x4
	buffer_load_dword v106, off, s[0:3], 0 offset:428
	buffer_load_dword v107, off, s[0:3], 0 offset:440
	buffer_load_dword v109, off, s[0:3], 0 offset:432
	buffer_load_dword v105, off, s[0:3], 0 offset:424
	buffer_load_dword v62, off, s[0:3], 0 offset:404
	ds_read_b128 v[99:102], v98 offset:1088
	s_mov_b32 s4, exec_lo
	s_waitcnt vmcnt(62) lgkmcnt(2)
	v_mul_f64 v[103:104], v[7:8], v[17:18]
	v_mul_f64 v[17:18], v[5:6], v[17:18]
	s_waitcnt vmcnt(60) lgkmcnt(1)
	v_mul_f64 v[110:111], v[3:4], v[13:14]
	v_mul_f64 v[13:14], v[1:2], v[13:14]
	;; [unrolled: 3-line block ×3, first 2 shown]
	v_fma_f64 v[103:104], v[5:6], v[15:16], -v[103:104]
	v_fma_f64 v[15:16], v[7:8], v[15:16], v[17:18]
	s_clause 0x2
	buffer_load_dword v108, off, s[0:3], 0 offset:444
	buffer_load_dword v18, off, s[0:3], 0 offset:420
	;; [unrolled: 1-line block ×3, first 2 shown]
	s_waitcnt vmcnt(57)
	v_fma_f64 v[114:115], v[1:2], v[9:10], -v[110:111]
	ds_read_b128 v[5:8], v98 offset:1104
	v_fma_f64 v[9:10], v[3:4], v[9:10], v[13:14]
	s_waitcnt vmcnt(51)
	v_fma_f64 v[99:100], v[99:100], v[33:34], -v[11:12]
	v_fma_f64 v[33:34], v[101:102], v[33:34], v[112:113]
	v_add_f64 v[103:104], v[103:104], 0
	v_add_f64 v[13:14], v[15:16], 0
	s_clause 0x4
	buffer_load_dword v16, off, s[0:3], 0 offset:460
	buffer_load_dword v111, off, s[0:3], 0 offset:472
	buffer_load_dword v116, off, s[0:3], 0 offset:464
	buffer_load_dword v15, off, s[0:3], 0 offset:456
	buffer_load_dword v110, off, s[0:3], 0 offset:436
	s_waitcnt lgkmcnt(0)
	v_mul_f64 v[117:118], v[5:6], v[21:22]
	v_mul_f64 v[21:22], v[7:8], v[21:22]
	ds_read_b128 v[1:4], v98 offset:1120
	s_clause 0x2
	buffer_load_dword v112, off, s[0:3], 0 offset:476
	buffer_load_dword v102, off, s[0:3], 0 offset:452
	;; [unrolled: 1-line block ×3, first 2 shown]
	v_add_f64 v[103:104], v[103:104], v[114:115]
	v_add_f64 v[13:14], v[13:14], v[9:10]
	ds_read_b128 v[9:12], v98 offset:1136
	s_waitcnt vmcnt(58) lgkmcnt(1)
	v_mul_f64 v[113:114], v[1:2], v[25:26]
	v_mul_f64 v[25:26], v[3:4], v[25:26]
	s_waitcnt vmcnt(56)
	v_fma_f64 v[21:22], v[5:6], v[27:28], -v[21:22]
	v_fma_f64 v[27:28], v[7:8], v[27:28], v[117:118]
	s_waitcnt vmcnt(52) lgkmcnt(0)
	v_mul_f64 v[119:120], v[9:10], v[29:30]
	v_add_f64 v[99:100], v[103:104], v[99:100]
	v_add_f64 v[13:14], v[13:14], v[33:34]
	s_clause 0x4
	buffer_load_dword v34, off, s[0:3], 0 offset:492
	buffer_load_dword v103, off, s[0:3], 0 offset:504
	;; [unrolled: 1-line block ×5, first 2 shown]
	v_mul_f64 v[29:30], v[11:12], v[29:30]
	s_waitcnt vmcnt(56)
	v_fma_f64 v[25:26], v[1:2], v[19:20], -v[25:26]
	ds_read_b128 v[5:8], v98 offset:1152
	v_fma_f64 v[19:20], v[3:4], v[19:20], v[113:114]
	v_add_f64 v[21:22], v[99:100], v[21:22]
	v_add_f64 v[13:14], v[13:14], v[27:28]
	s_clause 0x2
	buffer_load_dword v104, off, s[0:3], 0 offset:508
	buffer_load_dword v28, off, s[0:3], 0 offset:484
	buffer_load_dword v27, off, s[0:3], 0 offset:480
	s_waitcnt vmcnt(58) lgkmcnt(0)
	v_mul_f64 v[99:100], v[5:6], v[35:36]
	v_mul_f64 v[35:36], v[7:8], v[35:36]
	s_waitcnt vmcnt(56)
	v_fma_f64 v[29:30], v[9:10], v[37:38], -v[29:30]
	ds_read_b128 v[1:4], v98 offset:1168
	v_add_f64 v[21:22], v[21:22], v[25:26]
	v_fma_f64 v[25:26], v[11:12], v[37:38], v[119:120]
	v_add_f64 v[13:14], v[13:14], v[19:20]
	s_clause 0x4
	buffer_load_dword v20, off, s[0:3], 0 offset:524
	buffer_load_dword v37, off, s[0:3], 0 offset:536
	;; [unrolled: 1-line block ×5, first 2 shown]
	s_waitcnt vmcnt(57) lgkmcnt(0)
	v_mul_f64 v[114:115], v[1:2], v[39:40]
	v_mul_f64 v[39:40], v[3:4], v[39:40]
	s_waitcnt vmcnt(56)
	v_fma_f64 v[35:36], v[5:6], v[23:24], -v[35:36]
	ds_read_b128 v[9:12], v98 offset:1184
	v_fma_f64 v[23:24], v[7:8], v[23:24], v[99:100]
	v_add_f64 v[21:22], v[21:22], v[29:30]
	v_add_f64 v[13:14], v[13:14], v[25:26]
	s_clause 0x2
	buffer_load_dword v38, off, s[0:3], 0 offset:540
	buffer_load_dword v26, off, s[0:3], 0 offset:516
	;; [unrolled: 1-line block ×3, first 2 shown]
	ds_read_b128 v[5:8], v98 offset:1200
	s_waitcnt vmcnt(58) lgkmcnt(1)
	v_mul_f64 v[29:30], v[9:10], v[43:44]
	v_mul_f64 v[43:44], v[11:12], v[43:44]
	s_waitcnt vmcnt(56)
	v_fma_f64 v[39:40], v[1:2], v[45:46], -v[39:40]
	v_add_f64 v[21:22], v[21:22], v[35:36]
	v_fma_f64 v[35:36], v[3:4], v[45:46], v[114:115]
	v_add_f64 v[13:14], v[13:14], v[23:24]
	s_clause 0x4
	buffer_load_dword v24, off, s[0:3], 0 offset:556
	buffer_load_dword v45, off, s[0:3], 0 offset:568
	;; [unrolled: 1-line block ×5, first 2 shown]
	s_waitcnt vmcnt(57) lgkmcnt(0)
	v_mul_f64 v[120:121], v[5:6], v[47:48]
	v_mul_f64 v[47:48], v[7:8], v[47:48]
	s_waitcnt vmcnt(56)
	v_fma_f64 v[43:44], v[9:10], v[31:32], -v[43:44]
	ds_read_b128 v[1:4], v98 offset:1216
	v_fma_f64 v[29:30], v[11:12], v[31:32], v[29:30]
	s_clause 0x2
	buffer_load_dword v46, off, s[0:3], 0 offset:572
	buffer_load_dword v32, off, s[0:3], 0 offset:548
	;; [unrolled: 1-line block ×3, first 2 shown]
	ds_read_b128 v[9:12], v98 offset:1232
	v_add_f64 v[21:22], v[21:22], v[39:40]
	v_add_f64 v[13:14], v[13:14], v[35:36]
	s_waitcnt vmcnt(58) lgkmcnt(1)
	v_mul_f64 v[39:40], v[3:4], v[51:52]
	s_waitcnt vmcnt(56)
	v_fma_f64 v[47:48], v[5:6], v[53:54], -v[47:48]
	v_mul_f64 v[35:36], v[1:2], v[51:52]
	v_add_f64 v[21:22], v[21:22], v[43:44]
	v_fma_f64 v[43:44], v[7:8], v[53:54], v[120:121]
	v_add_f64 v[13:14], v[13:14], v[29:30]
	s_clause 0x4
	buffer_load_dword v30, off, s[0:3], 0 offset:588
	buffer_load_dword v51, off, s[0:3], 0 offset:600
	;; [unrolled: 1-line block ×5, first 2 shown]
	s_waitcnt vmcnt(57) lgkmcnt(0)
	v_mul_f64 v[120:121], v[9:10], v[55:56]
	v_mul_f64 v[54:55], v[11:12], v[55:56]
	s_waitcnt vmcnt(56)
	v_fma_f64 v[39:40], v[1:2], v[41:42], -v[39:40]
	ds_read_b128 v[5:8], v98 offset:1248
	v_fma_f64 v[35:36], v[3:4], v[41:42], v[35:36]
	s_clause 0x2
	buffer_load_dword v52, off, s[0:3], 0 offset:604
	buffer_load_dword v42, off, s[0:3], 0 offset:580
	;; [unrolled: 1-line block ×3, first 2 shown]
	ds_read_b128 v[1:4], v98 offset:1264
	v_add_f64 v[21:22], v[21:22], v[47:48]
	v_add_f64 v[13:14], v[13:14], v[43:44]
	s_waitcnt vmcnt(58) lgkmcnt(1)
	v_mul_f64 v[47:48], v[7:8], v[63:64]
	s_waitcnt vmcnt(56)
	v_fma_f64 v[55:56], v[9:10], v[89:90], -v[54:55]
	v_mul_f64 v[43:44], v[5:6], v[63:64]
	v_add_f64 v[21:22], v[21:22], v[39:40]
	v_fma_f64 v[39:40], v[11:12], v[89:90], v[120:121]
	v_add_f64 v[13:14], v[13:14], v[35:36]
	s_clause 0x4
	buffer_load_dword v36, off, s[0:3], 0 offset:620
	buffer_load_dword v63, off, s[0:3], 0 offset:632
	;; [unrolled: 1-line block ×5, first 2 shown]
	s_waitcnt vmcnt(57) lgkmcnt(0)
	v_mul_f64 v[120:121], v[1:2], v[91:92]
	v_mul_f64 v[90:91], v[3:4], v[91:92]
	s_waitcnt vmcnt(56)
	v_fma_f64 v[47:48], v[5:6], v[49:50], -v[47:48]
	ds_read_b128 v[9:12], v98 offset:1280
	v_fma_f64 v[43:44], v[7:8], v[49:50], v[43:44]
	v_add_f64 v[21:22], v[21:22], v[55:56]
	v_add_f64 v[13:14], v[13:14], v[39:40]
	s_clause 0x2
	buffer_load_dword v64, off, s[0:3], 0 offset:636
	buffer_load_dword v40, off, s[0:3], 0 offset:612
	;; [unrolled: 1-line block ×3, first 2 shown]
	ds_read_b128 v[5:8], v98 offset:1296
	s_waitcnt vmcnt(58) lgkmcnt(1)
	v_mul_f64 v[55:56], v[11:12], v[93:94]
	s_waitcnt vmcnt(56)
	v_fma_f64 v[91:92], v[1:2], v[95:96], -v[90:91]
	v_mul_f64 v[49:50], v[9:10], v[93:94]
	v_add_f64 v[21:22], v[21:22], v[47:48]
	v_fma_f64 v[47:48], v[3:4], v[95:96], v[120:121]
	v_add_f64 v[13:14], v[13:14], v[43:44]
	s_clause 0x4
	buffer_load_dword v44, off, s[0:3], 0 offset:652
	buffer_load_dword v93, off, s[0:3], 0 offset:664
	;; [unrolled: 1-line block ×5, first 2 shown]
	s_waitcnt vmcnt(57) lgkmcnt(0)
	v_mul_f64 v[120:121], v[5:6], v[105:106]
	v_mul_f64 v[105:106], v[7:8], v[105:106]
	s_waitcnt vmcnt(56)
	v_fma_f64 v[55:56], v[9:10], v[61:62], -v[55:56]
	ds_read_b128 v[1:4], v98 offset:1312
	v_fma_f64 v[49:50], v[11:12], v[61:62], v[49:50]
	v_add_f64 v[21:22], v[21:22], v[91:92]
	v_add_f64 v[13:14], v[13:14], v[47:48]
	s_clause 0x2
	buffer_load_dword v94, off, s[0:3], 0 offset:668
	buffer_load_dword v48, off, s[0:3], 0 offset:644
	;; [unrolled: 1-line block ×3, first 2 shown]
	ds_read_b128 v[9:12], v98 offset:1328
	s_waitcnt vmcnt(58) lgkmcnt(1)
	v_mul_f64 v[91:92], v[3:4], v[107:108]
	v_mul_f64 v[61:62], v[1:2], v[107:108]
	s_waitcnt vmcnt(56)
	v_fma_f64 v[105:106], v[5:6], v[17:18], -v[105:106]
	v_fma_f64 v[17:18], v[7:8], v[17:18], v[120:121]
	v_add_f64 v[21:22], v[21:22], v[55:56]
	v_add_f64 v[13:14], v[13:14], v[49:50]
	s_clause 0x4
	buffer_load_dword v50, off, s[0:3], 0 offset:684
	buffer_load_dword v55, off, s[0:3], 0 offset:696
	;; [unrolled: 1-line block ×5, first 2 shown]
	ds_read_b128 v[5:8], v98 offset:1344
	s_waitcnt vmcnt(57) lgkmcnt(1)
	v_mul_f64 v[120:121], v[9:10], v[15:16]
	v_mul_f64 v[15:16], v[11:12], v[15:16]
	s_waitcnt vmcnt(56)
	v_fma_f64 v[91:92], v[1:2], v[109:110], -v[91:92]
	v_fma_f64 v[61:62], v[3:4], v[109:110], v[61:62]
	v_add_f64 v[21:22], v[21:22], v[105:106]
	v_add_f64 v[13:14], v[13:14], v[17:18]
	s_clause 0x2
	buffer_load_dword v56, off, s[0:3], 0 offset:700
	buffer_load_dword v18, off, s[0:3], 0 offset:676
	;; [unrolled: 1-line block ×3, first 2 shown]
	s_waitcnt vmcnt(58) lgkmcnt(0)
	v_mul_f64 v[109:110], v[7:8], v[111:112]
	ds_read_b128 v[1:4], v98 offset:1360
	v_mul_f64 v[105:106], v[5:6], v[111:112]
	s_waitcnt vmcnt(56)
	v_fma_f64 v[15:16], v[9:10], v[101:102], -v[15:16]
	v_add_f64 v[21:22], v[21:22], v[91:92]
	v_fma_f64 v[91:92], v[11:12], v[101:102], v[120:121]
	v_add_f64 v[13:14], v[13:14], v[61:62]
	s_clause 0x4
	buffer_load_dword v62, off, s[0:3], 0 offset:716
	buffer_load_dword v101, off, s[0:3], 0 offset:728
	;; [unrolled: 1-line block ×5, first 2 shown]
	ds_read_b128 v[9:12], v98 offset:1376
	s_waitcnt vmcnt(57) lgkmcnt(1)
	v_mul_f64 v[120:121], v[1:2], v[33:34]
	v_mul_f64 v[33:34], v[3:4], v[33:34]
	s_waitcnt vmcnt(56)
	v_fma_f64 v[109:110], v[5:6], v[116:117], -v[109:110]
	v_add_f64 v[15:16], v[21:22], v[15:16]
	v_fma_f64 v[21:22], v[7:8], v[116:117], v[105:106]
	v_add_f64 v[13:14], v[13:14], v[91:92]
	s_clause 0x2
	buffer_load_dword v102, off, s[0:3], 0 offset:732
	buffer_load_dword v92, off, s[0:3], 0 offset:708
	;; [unrolled: 1-line block ×3, first 2 shown]
	ds_read_b128 v[5:8], v98 offset:1392
	s_waitcnt vmcnt(58) lgkmcnt(1)
	v_mul_f64 v[105:106], v[9:10], v[103:104]
	v_mul_f64 v[103:104], v[11:12], v[103:104]
	s_waitcnt vmcnt(56)
	v_fma_f64 v[33:34], v[1:2], v[27:28], -v[33:34]
	v_fma_f64 v[27:28], v[3:4], v[27:28], v[120:121]
	v_add_f64 v[15:16], v[15:16], v[109:110]
	v_add_f64 v[13:14], v[13:14], v[21:22]
	s_clause 0x4
	buffer_load_dword v22, off, s[0:3], 0 offset:748
	buffer_load_dword v109, off, s[0:3], 0 offset:760
	;; [unrolled: 1-line block ×5, first 2 shown]
	ds_read_b128 v[1:4], v98 offset:1408
	s_waitcnt vmcnt(57) lgkmcnt(1)
	v_mul_f64 v[116:117], v[5:6], v[19:20]
	v_mul_f64 v[19:20], v[7:8], v[19:20]
	s_waitcnt vmcnt(56)
	v_fma_f64 v[103:104], v[9:10], v[118:119], -v[103:104]
	v_add_f64 v[15:16], v[15:16], v[33:34]
	v_fma_f64 v[33:34], v[11:12], v[118:119], v[105:106]
	v_add_f64 v[13:14], v[13:14], v[27:28]
	s_clause 0x2
	buffer_load_dword v110, off, s[0:3], 0 offset:764
	buffer_load_dword v28, off, s[0:3], 0 offset:740
	;; [unrolled: 1-line block ×3, first 2 shown]
	ds_read_b128 v[9:12], v98 offset:1424
	s_waitcnt vmcnt(58) lgkmcnt(1)
	v_mul_f64 v[105:106], v[1:2], v[37:38]
	v_mul_f64 v[37:38], v[3:4], v[37:38]
	s_waitcnt vmcnt(56)
	v_fma_f64 v[19:20], v[5:6], v[25:26], -v[19:20]
	v_fma_f64 v[25:26], v[7:8], v[25:26], v[116:117]
	v_add_f64 v[15:16], v[15:16], v[103:104]
	v_add_f64 v[13:14], v[13:14], v[33:34]
	s_clause 0x4
	buffer_load_dword v34, off, s[0:3], 0 offset:780
	buffer_load_dword v103, off, s[0:3], 0 offset:792
	;; [unrolled: 1-line block ×5, first 2 shown]
	ds_read_b128 v[5:8], v98 offset:1440
	s_waitcnt vmcnt(57) lgkmcnt(1)
	v_mul_f64 v[118:119], v[9:10], v[23:24]
	v_mul_f64 v[23:24], v[11:12], v[23:24]
	s_waitcnt vmcnt(56)
	v_fma_f64 v[37:38], v[1:2], v[113:114], -v[37:38]
	v_add_f64 v[15:16], v[15:16], v[19:20]
	v_fma_f64 v[19:20], v[3:4], v[113:114], v[105:106]
	v_add_f64 v[13:14], v[13:14], v[25:26]
	s_clause 0x2
	buffer_load_dword v104, off, s[0:3], 0 offset:796
	buffer_load_dword v26, off, s[0:3], 0 offset:772
	buffer_load_dword v25, off, s[0:3], 0 offset:768
	s_waitcnt vmcnt(58) lgkmcnt(0)
	v_mul_f64 v[105:106], v[5:6], v[45:46]
	v_mul_f64 v[45:46], v[7:8], v[45:46]
	ds_read_b128 v[1:4], v98 offset:1456
	s_waitcnt vmcnt(56)
	v_fma_f64 v[23:24], v[9:10], v[31:32], -v[23:24]
	v_fma_f64 v[31:32], v[11:12], v[31:32], v[118:119]
	v_add_f64 v[15:16], v[15:16], v[37:38]
	v_add_f64 v[13:14], v[13:14], v[19:20]
	s_clause 0x4
	buffer_load_dword v20, off, s[0:3], 0 offset:812
	buffer_load_dword v37, off, s[0:3], 0 offset:824
	;; [unrolled: 1-line block ×5, first 2 shown]
	ds_read_b128 v[9:12], v98 offset:1472
	s_waitcnt vmcnt(57) lgkmcnt(1)
	v_mul_f64 v[119:120], v[1:2], v[29:30]
	v_mul_f64 v[29:30], v[3:4], v[29:30]
	s_waitcnt vmcnt(56)
	v_fma_f64 v[45:46], v[5:6], v[99:100], -v[45:46]
	v_add_f64 v[15:16], v[15:16], v[23:24]
	v_fma_f64 v[23:24], v[7:8], v[99:100], v[105:106]
	v_add_f64 v[13:14], v[13:14], v[31:32]
	s_clause 0x2
	buffer_load_dword v38, off, s[0:3], 0 offset:828
	buffer_load_dword v32, off, s[0:3], 0 offset:804
	buffer_load_dword v31, off, s[0:3], 0 offset:800
	s_waitcnt vmcnt(58) lgkmcnt(0)
	v_mul_f64 v[99:100], v[9:10], v[51:52]
	v_mul_f64 v[51:52], v[11:12], v[51:52]
	ds_read_b128 v[5:8], v98 offset:1488
	s_waitcnt vmcnt(56)
	v_fma_f64 v[29:30], v[1:2], v[41:42], -v[29:30]
	v_fma_f64 v[41:42], v[3:4], v[41:42], v[119:120]
	v_add_f64 v[15:16], v[15:16], v[45:46]
	v_add_f64 v[13:14], v[13:14], v[23:24]
	s_clause 0x4
	buffer_load_dword v24, off, s[0:3], 0 offset:844
	buffer_load_dword v45, off, s[0:3], 0 offset:856
	;; [unrolled: 1-line block ×5, first 2 shown]
	ds_read_b128 v[1:4], v98 offset:1504
	s_waitcnt vmcnt(57) lgkmcnt(1)
	v_mul_f64 v[119:120], v[5:6], v[35:36]
	v_mul_f64 v[35:36], v[7:8], v[35:36]
	s_waitcnt vmcnt(56)
	v_fma_f64 v[51:52], v[9:10], v[53:54], -v[51:52]
	v_add_f64 v[15:16], v[15:16], v[29:30]
	v_fma_f64 v[29:30], v[11:12], v[53:54], v[99:100]
	v_add_f64 v[13:14], v[13:14], v[41:42]
	s_clause 0x2
	buffer_load_dword v46, off, s[0:3], 0 offset:860
	buffer_load_dword v42, off, s[0:3], 0 offset:836
	;; [unrolled: 1-line block ×3, first 2 shown]
	ds_read_b128 v[9:12], v98 offset:1520
	s_waitcnt vmcnt(58) lgkmcnt(1)
	v_mul_f64 v[53:54], v[1:2], v[63:64]
	v_mul_f64 v[63:64], v[3:4], v[63:64]
	s_waitcnt vmcnt(56)
	v_fma_f64 v[35:36], v[5:6], v[39:40], -v[35:36]
	v_fma_f64 v[39:40], v[7:8], v[39:40], v[119:120]
	v_add_f64 v[15:16], v[15:16], v[51:52]
	v_add_f64 v[13:14], v[13:14], v[29:30]
	s_clause 0x4
	buffer_load_dword v30, off, s[0:3], 0 offset:876
	buffer_load_dword v51, off, s[0:3], 0 offset:888
	;; [unrolled: 1-line block ×5, first 2 shown]
	ds_read_b128 v[5:8], v98 offset:1536
	s_waitcnt vmcnt(57) lgkmcnt(1)
	v_mul_f64 v[119:120], v[9:10], v[43:44]
	v_mul_f64 v[43:44], v[11:12], v[43:44]
	s_waitcnt vmcnt(56)
	v_fma_f64 v[63:64], v[1:2], v[89:90], -v[63:64]
	v_add_f64 v[15:16], v[15:16], v[35:36]
	v_fma_f64 v[35:36], v[3:4], v[89:90], v[53:54]
	v_add_f64 v[13:14], v[13:14], v[39:40]
	s_clause 0x2
	buffer_load_dword v52, off, s[0:3], 0 offset:892
	buffer_load_dword v40, off, s[0:3], 0 offset:868
	buffer_load_dword v39, off, s[0:3], 0 offset:864
	ds_read_b128 v[1:4], v98 offset:1552
	s_waitcnt vmcnt(58) lgkmcnt(1)
	v_mul_f64 v[89:90], v[7:8], v[93:94]
	v_mul_f64 v[53:54], v[5:6], v[93:94]
	s_waitcnt vmcnt(56)
	v_fma_f64 v[43:44], v[9:10], v[47:48], -v[43:44]
	v_fma_f64 v[47:48], v[11:12], v[47:48], v[119:120]
	v_add_f64 v[15:16], v[15:16], v[63:64]
	v_add_f64 v[13:14], v[13:14], v[35:36]
	s_clause 0x2
	buffer_load_dword v36, off, s[0:3], 0 offset:908
	buffer_load_dword v35, off, s[0:3], 0 offset:904
	;; [unrolled: 1-line block ×3, first 2 shown]
	ds_read_b128 v[9:12], v98 offset:1568
	s_waitcnt vmcnt(55) lgkmcnt(1)
	v_mul_f64 v[63:64], v[1:2], v[49:50]
	v_mul_f64 v[49:50], v[3:4], v[49:50]
	s_waitcnt vmcnt(54)
	v_fma_f64 v[89:90], v[5:6], v[95:96], -v[89:90]
	v_add_f64 v[15:16], v[15:16], v[43:44]
	v_fma_f64 v[43:44], v[7:8], v[95:96], v[53:54]
	v_add_f64 v[13:14], v[13:14], v[47:48]
	s_clause 0x1
	buffer_load_dword v48, off, s[0:3], 0 offset:900
	buffer_load_dword v47, off, s[0:3], 0 offset:896
	ds_read_b128 v[5:8], v98 offset:1584
	s_waitcnt vmcnt(55) lgkmcnt(1)
	v_mul_f64 v[53:54], v[9:10], v[55:56]
	v_mul_f64 v[55:56], v[11:12], v[55:56]
	s_waitcnt vmcnt(53)
	v_fma_f64 v[49:50], v[1:2], v[17:18], -v[49:50]
	v_fma_f64 v[17:18], v[3:4], v[17:18], v[63:64]
	ds_read_b128 v[1:4], v98 offset:1600
	v_add_f64 v[15:16], v[15:16], v[89:90]
	v_add_f64 v[13:14], v[13:14], v[43:44]
	s_waitcnt vmcnt(49) lgkmcnt(1)
	v_mul_f64 v[43:44], v[5:6], v[61:62]
	v_mul_f64 v[61:62], v[7:8], v[61:62]
	s_waitcnt vmcnt(48)
	v_fma_f64 v[55:56], v[9:10], v[107:108], -v[55:56]
	v_add_f64 v[15:16], v[15:16], v[49:50]
	v_fma_f64 v[49:50], v[11:12], v[107:108], v[53:54]
	v_add_f64 v[13:14], v[13:14], v[17:18]
	s_clause 0x3
	buffer_load_dword v17, off, s[0:3], 0 offset:160
	buffer_load_dword v18, off, s[0:3], 0 offset:164
	;; [unrolled: 1-line block ×4, first 2 shown]
	ds_read_b128 v[9:12], v98 offset:1616
	s_waitcnt vmcnt(51) lgkmcnt(1)
	v_mul_f64 v[89:90], v[3:4], v[101:102]
	v_mul_f64 v[63:64], v[1:2], v[101:102]
	s_waitcnt vmcnt(49)
	v_fma_f64 v[61:62], v[5:6], v[91:92], -v[61:62]
	v_fma_f64 v[43:44], v[7:8], v[91:92], v[43:44]
	ds_read_b128 v[5:8], v98 offset:1632
	v_add_f64 v[15:16], v[15:16], v[55:56]
	v_add_f64 v[13:14], v[13:14], v[49:50]
	s_waitcnt vmcnt(45) lgkmcnt(1)
	v_mul_f64 v[49:50], v[9:10], v[21:22]
	v_mul_f64 v[21:22], v[11:12], v[21:22]
	s_waitcnt vmcnt(44)
	v_fma_f64 v[55:56], v[1:2], v[111:112], -v[89:90]
	v_add_f64 v[15:16], v[15:16], v[61:62]
	v_fma_f64 v[61:62], v[3:4], v[111:112], v[63:64]
	v_add_f64 v[13:14], v[13:14], v[43:44]
	ds_read_b128 v[1:4], v98 offset:1648
	s_waitcnt vmcnt(43) lgkmcnt(1)
	v_mul_f64 v[63:64], v[7:8], v[109:110]
	v_mul_f64 v[43:44], v[5:6], v[109:110]
	s_waitcnt vmcnt(41)
	v_fma_f64 v[21:22], v[9:10], v[27:28], -v[21:22]
	v_fma_f64 v[27:28], v[11:12], v[27:28], v[49:50]
	ds_read_b128 v[9:12], v98 offset:1664
	v_add_f64 v[15:16], v[15:16], v[55:56]
	v_add_f64 v[13:14], v[13:14], v[61:62]
	s_waitcnt vmcnt(37) lgkmcnt(1)
	v_mul_f64 v[49:50], v[1:2], v[33:34]
	v_mul_f64 v[33:34], v[3:4], v[33:34]
	s_waitcnt vmcnt(36)
	v_fma_f64 v[55:56], v[5:6], v[115:116], -v[63:64]
	v_add_f64 v[15:16], v[15:16], v[21:22]
	v_fma_f64 v[21:22], v[7:8], v[115:116], v[43:44]
	v_add_f64 v[13:14], v[13:14], v[27:28]
	ds_read_b128 v[5:8], v98 offset:1680
	s_waitcnt vmcnt(35) lgkmcnt(1)
	v_mul_f64 v[43:44], v[11:12], v[103:104]
	v_mul_f64 v[27:28], v[9:10], v[103:104]
	s_waitcnt vmcnt(33)
	v_fma_f64 v[33:34], v[1:2], v[25:26], -v[33:34]
	v_fma_f64 v[25:26], v[3:4], v[25:26], v[49:50]
	ds_read_b128 v[1:4], v98 offset:1696
	v_add_f64 v[15:16], v[15:16], v[55:56]
	v_add_f64 v[13:14], v[13:14], v[21:22]
	s_waitcnt vmcnt(29) lgkmcnt(1)
	v_mul_f64 v[21:22], v[5:6], v[19:20]
	v_mul_f64 v[19:20], v[7:8], v[19:20]
	s_waitcnt vmcnt(28)
	v_fma_f64 v[43:44], v[9:10], v[117:118], -v[43:44]
	v_fma_f64 v[27:28], v[11:12], v[117:118], v[27:28]
	ds_read_b128 v[9:12], v98 offset:1712
	v_add_f64 v[15:16], v[15:16], v[33:34]
	v_add_f64 v[13:14], v[13:14], v[25:26]
	;; [unrolled: 9-line block ×3, first 2 shown]
	s_waitcnt vmcnt(21) lgkmcnt(1)
	v_mul_f64 v[27:28], v[9:10], v[23:24]
	v_mul_f64 v[23:24], v[11:12], v[23:24]
	s_waitcnt vmcnt(20)
	v_fma_f64 v[31:32], v[1:2], v[113:114], -v[33:34]
	v_add_f64 v[15:16], v[15:16], v[19:20]
	v_fma_f64 v[19:20], v[3:4], v[113:114], v[25:26]
	v_add_f64 v[13:14], v[13:14], v[21:22]
	ds_read_b128 v[1:4], v98 offset:1744
	s_waitcnt vmcnt(19) lgkmcnt(1)
	v_mul_f64 v[25:26], v[7:8], v[45:46]
	v_mul_f64 v[21:22], v[5:6], v[45:46]
	s_waitcnt vmcnt(17)
	v_fma_f64 v[23:24], v[9:10], v[41:42], -v[23:24]
	v_fma_f64 v[27:28], v[11:12], v[41:42], v[27:28]
	ds_read_b128 v[9:12], v98 offset:1760
	v_add_f64 v[15:16], v[15:16], v[31:32]
	v_add_f64 v[13:14], v[13:14], v[19:20]
	s_waitcnt vmcnt(13) lgkmcnt(1)
	v_mul_f64 v[19:20], v[1:2], v[29:30]
	v_mul_f64 v[29:30], v[3:4], v[29:30]
	s_waitcnt vmcnt(12)
	v_fma_f64 v[25:26], v[5:6], v[105:106], -v[25:26]
	v_fma_f64 v[21:22], v[7:8], v[105:106], v[21:22]
	ds_read_b128 v[5:8], v98 offset:1776
	v_add_f64 v[15:16], v[15:16], v[23:24]
	v_add_f64 v[13:14], v[13:14], v[27:28]
	s_waitcnt vmcnt(11) lgkmcnt(1)
	v_mul_f64 v[27:28], v[11:12], v[51:52]
	v_mul_f64 v[23:24], v[9:10], v[51:52]
	s_waitcnt vmcnt(9)
	v_fma_f64 v[1:2], v[1:2], v[39:40], -v[29:30]
	v_fma_f64 v[3:4], v[3:4], v[39:40], v[19:20]
	v_add_f64 v[15:16], v[15:16], v[25:26]
	v_add_f64 v[13:14], v[13:14], v[21:22]
	s_waitcnt vmcnt(7) lgkmcnt(0)
	v_mul_f64 v[21:22], v[7:8], v[35:36]
	s_waitcnt vmcnt(6)
	v_fma_f64 v[9:10], v[9:10], v[99:100], -v[27:28]
	v_mul_f64 v[19:20], v[5:6], v[35:36]
	v_fma_f64 v[11:12], v[11:12], v[99:100], v[23:24]
	v_add_f64 v[1:2], v[15:16], v[1:2]
	v_add_f64 v[3:4], v[13:14], v[3:4]
	s_waitcnt vmcnt(4)
	v_fma_f64 v[5:6], v[5:6], v[47:48], -v[21:22]
	v_fma_f64 v[7:8], v[7:8], v[47:48], v[19:20]
	v_add_f64 v[1:2], v[1:2], v[9:10]
	v_add_f64 v[3:4], v[3:4], v[11:12]
	;; [unrolled: 1-line block ×4, first 2 shown]
	s_waitcnt vmcnt(2)
	v_add_f64 v[1:2], v[17:18], -v[1:2]
	s_waitcnt vmcnt(0)
	v_add_f64 v[3:4], v[53:54], -v[3:4]
	buffer_store_dword v2, off, s[0:3], 0 offset:164
	buffer_store_dword v1, off, s[0:3], 0 offset:160
	;; [unrolled: 1-line block ×4, first 2 shown]
	v_cmpx_lt_u32_e32 8, v0
	s_cbranch_execz .LBB55_333
; %bb.332:
	v_mov_b32_e32 v4, s60
	v_mov_b32_e32 v5, 0
	s_clause 0x3
	buffer_load_dword v1, v4, s[0:3], 0 offen
	buffer_load_dword v2, v4, s[0:3], 0 offen offset:4
	buffer_load_dword v3, v4, s[0:3], 0 offen offset:8
	;; [unrolled: 1-line block ×3, first 2 shown]
	buffer_store_dword v5, off, s[0:3], 0 offset:144
	buffer_store_dword v5, off, s[0:3], 0 offset:148
	;; [unrolled: 1-line block ×4, first 2 shown]
	s_waitcnt vmcnt(0)
	ds_write_b128 v97, v[1:4]
.LBB55_333:
	s_or_b32 exec_lo, exec_lo, s4
	s_waitcnt lgkmcnt(0)
	s_waitcnt_vscnt null, 0x0
	s_barrier
	buffer_gl0_inv
	s_clause 0x37
	buffer_load_dword v17, off, s[0:3], 0 offset:168
	buffer_load_dword v18, off, s[0:3], 0 offset:172
	;; [unrolled: 1-line block ×56, first 2 shown]
	v_mov_b32_e32 v98, 0
	s_mov_b32 s4, exec_lo
	ds_read_b128 v[5:8], v98 offset:1040
	s_clause 0x2
	buffer_load_dword v94, off, s[0:3], 0 offset:396
	buffer_load_dword v96, off, s[0:3], 0 offset:372
	;; [unrolled: 1-line block ×3, first 2 shown]
	ds_read_b128 v[1:4], v98 offset:1056
	s_clause 0x4
	buffer_load_dword v106, off, s[0:3], 0 offset:412
	buffer_load_dword v107, off, s[0:3], 0 offset:424
	;; [unrolled: 1-line block ×5, first 2 shown]
	ds_read_b128 v[99:102], v98 offset:1072
	s_waitcnt vmcnt(62) lgkmcnt(2)
	v_mul_f64 v[103:104], v[7:8], v[17:18]
	v_mul_f64 v[17:18], v[5:6], v[17:18]
	s_waitcnt vmcnt(60) lgkmcnt(1)
	v_mul_f64 v[110:111], v[3:4], v[13:14]
	v_mul_f64 v[13:14], v[1:2], v[13:14]
	;; [unrolled: 3-line block ×3, first 2 shown]
	v_fma_f64 v[103:104], v[5:6], v[15:16], -v[103:104]
	v_fma_f64 v[15:16], v[7:8], v[15:16], v[17:18]
	s_clause 0x2
	buffer_load_dword v108, off, s[0:3], 0 offset:428
	buffer_load_dword v18, off, s[0:3], 0 offset:404
	buffer_load_dword v17, off, s[0:3], 0 offset:400
	s_waitcnt vmcnt(57)
	v_fma_f64 v[114:115], v[1:2], v[9:10], -v[110:111]
	ds_read_b128 v[5:8], v98 offset:1088
	v_fma_f64 v[9:10], v[3:4], v[9:10], v[13:14]
	s_waitcnt vmcnt(51)
	v_fma_f64 v[99:100], v[99:100], v[33:34], -v[11:12]
	v_fma_f64 v[33:34], v[101:102], v[33:34], v[112:113]
	v_add_f64 v[103:104], v[103:104], 0
	v_add_f64 v[13:14], v[15:16], 0
	s_clause 0x4
	buffer_load_dword v16, off, s[0:3], 0 offset:444
	buffer_load_dword v111, off, s[0:3], 0 offset:456
	;; [unrolled: 1-line block ×5, first 2 shown]
	s_waitcnt lgkmcnt(0)
	v_mul_f64 v[117:118], v[5:6], v[21:22]
	v_mul_f64 v[21:22], v[7:8], v[21:22]
	ds_read_b128 v[1:4], v98 offset:1104
	s_clause 0x2
	buffer_load_dword v112, off, s[0:3], 0 offset:460
	buffer_load_dword v102, off, s[0:3], 0 offset:436
	;; [unrolled: 1-line block ×3, first 2 shown]
	v_add_f64 v[103:104], v[103:104], v[114:115]
	v_add_f64 v[13:14], v[13:14], v[9:10]
	ds_read_b128 v[9:12], v98 offset:1120
	s_waitcnt vmcnt(58) lgkmcnt(1)
	v_mul_f64 v[113:114], v[1:2], v[25:26]
	v_mul_f64 v[25:26], v[3:4], v[25:26]
	s_waitcnt vmcnt(56)
	v_fma_f64 v[21:22], v[5:6], v[27:28], -v[21:22]
	v_fma_f64 v[27:28], v[7:8], v[27:28], v[117:118]
	s_waitcnt vmcnt(52) lgkmcnt(0)
	v_mul_f64 v[119:120], v[9:10], v[29:30]
	v_add_f64 v[99:100], v[103:104], v[99:100]
	v_add_f64 v[13:14], v[13:14], v[33:34]
	s_clause 0x4
	buffer_load_dword v34, off, s[0:3], 0 offset:476
	buffer_load_dword v103, off, s[0:3], 0 offset:488
	;; [unrolled: 1-line block ×5, first 2 shown]
	v_mul_f64 v[29:30], v[11:12], v[29:30]
	s_waitcnt vmcnt(56)
	v_fma_f64 v[25:26], v[1:2], v[19:20], -v[25:26]
	ds_read_b128 v[5:8], v98 offset:1136
	v_fma_f64 v[19:20], v[3:4], v[19:20], v[113:114]
	v_add_f64 v[21:22], v[99:100], v[21:22]
	v_add_f64 v[13:14], v[13:14], v[27:28]
	s_clause 0x2
	buffer_load_dword v104, off, s[0:3], 0 offset:492
	buffer_load_dword v28, off, s[0:3], 0 offset:468
	buffer_load_dword v27, off, s[0:3], 0 offset:464
	s_waitcnt vmcnt(58) lgkmcnt(0)
	v_mul_f64 v[99:100], v[5:6], v[35:36]
	v_mul_f64 v[35:36], v[7:8], v[35:36]
	s_waitcnt vmcnt(56)
	v_fma_f64 v[29:30], v[9:10], v[37:38], -v[29:30]
	ds_read_b128 v[1:4], v98 offset:1152
	v_add_f64 v[21:22], v[21:22], v[25:26]
	v_fma_f64 v[25:26], v[11:12], v[37:38], v[119:120]
	v_add_f64 v[13:14], v[13:14], v[19:20]
	s_clause 0x4
	buffer_load_dword v20, off, s[0:3], 0 offset:508
	buffer_load_dword v37, off, s[0:3], 0 offset:520
	;; [unrolled: 1-line block ×5, first 2 shown]
	s_waitcnt vmcnt(57) lgkmcnt(0)
	v_mul_f64 v[114:115], v[1:2], v[39:40]
	v_mul_f64 v[39:40], v[3:4], v[39:40]
	s_waitcnt vmcnt(56)
	v_fma_f64 v[35:36], v[5:6], v[23:24], -v[35:36]
	ds_read_b128 v[9:12], v98 offset:1168
	v_fma_f64 v[23:24], v[7:8], v[23:24], v[99:100]
	v_add_f64 v[21:22], v[21:22], v[29:30]
	v_add_f64 v[13:14], v[13:14], v[25:26]
	s_clause 0x2
	buffer_load_dword v38, off, s[0:3], 0 offset:524
	buffer_load_dword v26, off, s[0:3], 0 offset:500
	;; [unrolled: 1-line block ×3, first 2 shown]
	ds_read_b128 v[5:8], v98 offset:1184
	s_waitcnt vmcnt(58) lgkmcnt(1)
	v_mul_f64 v[29:30], v[9:10], v[43:44]
	v_mul_f64 v[43:44], v[11:12], v[43:44]
	s_waitcnt vmcnt(56)
	v_fma_f64 v[39:40], v[1:2], v[45:46], -v[39:40]
	v_add_f64 v[21:22], v[21:22], v[35:36]
	v_fma_f64 v[35:36], v[3:4], v[45:46], v[114:115]
	v_add_f64 v[13:14], v[13:14], v[23:24]
	s_clause 0x4
	buffer_load_dword v24, off, s[0:3], 0 offset:540
	buffer_load_dword v45, off, s[0:3], 0 offset:552
	;; [unrolled: 1-line block ×5, first 2 shown]
	s_waitcnt vmcnt(57) lgkmcnt(0)
	v_mul_f64 v[120:121], v[5:6], v[47:48]
	v_mul_f64 v[47:48], v[7:8], v[47:48]
	s_waitcnt vmcnt(56)
	v_fma_f64 v[43:44], v[9:10], v[31:32], -v[43:44]
	ds_read_b128 v[1:4], v98 offset:1200
	v_fma_f64 v[29:30], v[11:12], v[31:32], v[29:30]
	s_clause 0x2
	buffer_load_dword v46, off, s[0:3], 0 offset:556
	buffer_load_dword v32, off, s[0:3], 0 offset:532
	;; [unrolled: 1-line block ×3, first 2 shown]
	ds_read_b128 v[9:12], v98 offset:1216
	v_add_f64 v[21:22], v[21:22], v[39:40]
	v_add_f64 v[13:14], v[13:14], v[35:36]
	s_waitcnt vmcnt(58) lgkmcnt(1)
	v_mul_f64 v[39:40], v[3:4], v[51:52]
	s_waitcnt vmcnt(56)
	v_fma_f64 v[47:48], v[5:6], v[53:54], -v[47:48]
	v_mul_f64 v[35:36], v[1:2], v[51:52]
	v_add_f64 v[21:22], v[21:22], v[43:44]
	v_fma_f64 v[43:44], v[7:8], v[53:54], v[120:121]
	v_add_f64 v[13:14], v[13:14], v[29:30]
	s_clause 0x4
	buffer_load_dword v30, off, s[0:3], 0 offset:572
	buffer_load_dword v51, off, s[0:3], 0 offset:584
	;; [unrolled: 1-line block ×5, first 2 shown]
	s_waitcnt vmcnt(57) lgkmcnt(0)
	v_mul_f64 v[120:121], v[9:10], v[55:56]
	v_mul_f64 v[54:55], v[11:12], v[55:56]
	s_waitcnt vmcnt(56)
	v_fma_f64 v[39:40], v[1:2], v[41:42], -v[39:40]
	ds_read_b128 v[5:8], v98 offset:1232
	v_fma_f64 v[35:36], v[3:4], v[41:42], v[35:36]
	s_clause 0x2
	buffer_load_dword v52, off, s[0:3], 0 offset:588
	buffer_load_dword v42, off, s[0:3], 0 offset:564
	;; [unrolled: 1-line block ×3, first 2 shown]
	ds_read_b128 v[1:4], v98 offset:1248
	v_add_f64 v[21:22], v[21:22], v[47:48]
	v_add_f64 v[13:14], v[13:14], v[43:44]
	s_waitcnt vmcnt(58) lgkmcnt(1)
	v_mul_f64 v[47:48], v[7:8], v[63:64]
	s_waitcnt vmcnt(56)
	v_fma_f64 v[55:56], v[9:10], v[89:90], -v[54:55]
	v_mul_f64 v[43:44], v[5:6], v[63:64]
	v_add_f64 v[21:22], v[21:22], v[39:40]
	v_fma_f64 v[39:40], v[11:12], v[89:90], v[120:121]
	v_add_f64 v[13:14], v[13:14], v[35:36]
	s_clause 0x4
	buffer_load_dword v36, off, s[0:3], 0 offset:604
	buffer_load_dword v63, off, s[0:3], 0 offset:616
	;; [unrolled: 1-line block ×5, first 2 shown]
	s_waitcnt vmcnt(57) lgkmcnt(0)
	v_mul_f64 v[120:121], v[1:2], v[91:92]
	v_mul_f64 v[90:91], v[3:4], v[91:92]
	s_waitcnt vmcnt(56)
	v_fma_f64 v[47:48], v[5:6], v[49:50], -v[47:48]
	ds_read_b128 v[9:12], v98 offset:1264
	v_fma_f64 v[43:44], v[7:8], v[49:50], v[43:44]
	v_add_f64 v[21:22], v[21:22], v[55:56]
	v_add_f64 v[13:14], v[13:14], v[39:40]
	s_clause 0x2
	buffer_load_dword v64, off, s[0:3], 0 offset:620
	buffer_load_dword v40, off, s[0:3], 0 offset:596
	;; [unrolled: 1-line block ×3, first 2 shown]
	ds_read_b128 v[5:8], v98 offset:1280
	s_waitcnt vmcnt(58) lgkmcnt(1)
	v_mul_f64 v[55:56], v[11:12], v[93:94]
	s_waitcnt vmcnt(56)
	v_fma_f64 v[91:92], v[1:2], v[95:96], -v[90:91]
	v_mul_f64 v[49:50], v[9:10], v[93:94]
	v_add_f64 v[21:22], v[21:22], v[47:48]
	v_fma_f64 v[47:48], v[3:4], v[95:96], v[120:121]
	v_add_f64 v[13:14], v[13:14], v[43:44]
	s_clause 0x4
	buffer_load_dword v44, off, s[0:3], 0 offset:636
	buffer_load_dword v93, off, s[0:3], 0 offset:648
	;; [unrolled: 1-line block ×5, first 2 shown]
	s_waitcnt vmcnt(57) lgkmcnt(0)
	v_mul_f64 v[120:121], v[5:6], v[105:106]
	v_mul_f64 v[105:106], v[7:8], v[105:106]
	s_waitcnt vmcnt(56)
	v_fma_f64 v[55:56], v[9:10], v[61:62], -v[55:56]
	ds_read_b128 v[1:4], v98 offset:1296
	v_fma_f64 v[49:50], v[11:12], v[61:62], v[49:50]
	v_add_f64 v[21:22], v[21:22], v[91:92]
	v_add_f64 v[13:14], v[13:14], v[47:48]
	s_clause 0x2
	buffer_load_dword v94, off, s[0:3], 0 offset:652
	buffer_load_dword v48, off, s[0:3], 0 offset:628
	;; [unrolled: 1-line block ×3, first 2 shown]
	ds_read_b128 v[9:12], v98 offset:1312
	s_waitcnt vmcnt(58) lgkmcnt(1)
	v_mul_f64 v[91:92], v[3:4], v[107:108]
	v_mul_f64 v[61:62], v[1:2], v[107:108]
	s_waitcnt vmcnt(56)
	v_fma_f64 v[105:106], v[5:6], v[17:18], -v[105:106]
	v_fma_f64 v[17:18], v[7:8], v[17:18], v[120:121]
	v_add_f64 v[21:22], v[21:22], v[55:56]
	v_add_f64 v[13:14], v[13:14], v[49:50]
	s_clause 0x4
	buffer_load_dword v50, off, s[0:3], 0 offset:668
	buffer_load_dword v55, off, s[0:3], 0 offset:680
	;; [unrolled: 1-line block ×5, first 2 shown]
	ds_read_b128 v[5:8], v98 offset:1328
	s_waitcnt vmcnt(57) lgkmcnt(1)
	v_mul_f64 v[120:121], v[9:10], v[15:16]
	v_mul_f64 v[15:16], v[11:12], v[15:16]
	s_waitcnt vmcnt(56)
	v_fma_f64 v[91:92], v[1:2], v[109:110], -v[91:92]
	v_fma_f64 v[61:62], v[3:4], v[109:110], v[61:62]
	v_add_f64 v[21:22], v[21:22], v[105:106]
	v_add_f64 v[13:14], v[13:14], v[17:18]
	s_clause 0x2
	buffer_load_dword v56, off, s[0:3], 0 offset:684
	buffer_load_dword v18, off, s[0:3], 0 offset:660
	;; [unrolled: 1-line block ×3, first 2 shown]
	s_waitcnt vmcnt(58) lgkmcnt(0)
	v_mul_f64 v[109:110], v[7:8], v[111:112]
	ds_read_b128 v[1:4], v98 offset:1344
	v_mul_f64 v[105:106], v[5:6], v[111:112]
	s_waitcnt vmcnt(56)
	v_fma_f64 v[15:16], v[9:10], v[101:102], -v[15:16]
	v_add_f64 v[21:22], v[21:22], v[91:92]
	v_fma_f64 v[91:92], v[11:12], v[101:102], v[120:121]
	v_add_f64 v[13:14], v[13:14], v[61:62]
	s_clause 0x4
	buffer_load_dword v62, off, s[0:3], 0 offset:700
	buffer_load_dword v101, off, s[0:3], 0 offset:712
	;; [unrolled: 1-line block ×5, first 2 shown]
	ds_read_b128 v[9:12], v98 offset:1360
	s_waitcnt vmcnt(57) lgkmcnt(1)
	v_mul_f64 v[120:121], v[1:2], v[33:34]
	v_mul_f64 v[33:34], v[3:4], v[33:34]
	s_waitcnt vmcnt(56)
	v_fma_f64 v[109:110], v[5:6], v[116:117], -v[109:110]
	v_add_f64 v[15:16], v[21:22], v[15:16]
	v_fma_f64 v[21:22], v[7:8], v[116:117], v[105:106]
	v_add_f64 v[13:14], v[13:14], v[91:92]
	s_clause 0x2
	buffer_load_dword v102, off, s[0:3], 0 offset:716
	buffer_load_dword v92, off, s[0:3], 0 offset:692
	;; [unrolled: 1-line block ×3, first 2 shown]
	ds_read_b128 v[5:8], v98 offset:1376
	s_waitcnt vmcnt(58) lgkmcnt(1)
	v_mul_f64 v[105:106], v[9:10], v[103:104]
	v_mul_f64 v[103:104], v[11:12], v[103:104]
	s_waitcnt vmcnt(56)
	v_fma_f64 v[33:34], v[1:2], v[27:28], -v[33:34]
	v_fma_f64 v[27:28], v[3:4], v[27:28], v[120:121]
	v_add_f64 v[15:16], v[15:16], v[109:110]
	v_add_f64 v[13:14], v[13:14], v[21:22]
	s_clause 0x4
	buffer_load_dword v22, off, s[0:3], 0 offset:732
	buffer_load_dword v109, off, s[0:3], 0 offset:744
	buffer_load_dword v115, off, s[0:3], 0 offset:736
	buffer_load_dword v21, off, s[0:3], 0 offset:728
	buffer_load_dword v112, off, s[0:3], 0 offset:708
	ds_read_b128 v[1:4], v98 offset:1392
	s_waitcnt vmcnt(57) lgkmcnt(1)
	v_mul_f64 v[116:117], v[5:6], v[19:20]
	v_mul_f64 v[19:20], v[7:8], v[19:20]
	s_waitcnt vmcnt(56)
	v_fma_f64 v[103:104], v[9:10], v[118:119], -v[103:104]
	v_add_f64 v[15:16], v[15:16], v[33:34]
	v_fma_f64 v[33:34], v[11:12], v[118:119], v[105:106]
	v_add_f64 v[13:14], v[13:14], v[27:28]
	s_clause 0x2
	buffer_load_dword v110, off, s[0:3], 0 offset:748
	buffer_load_dword v28, off, s[0:3], 0 offset:724
	;; [unrolled: 1-line block ×3, first 2 shown]
	ds_read_b128 v[9:12], v98 offset:1408
	s_waitcnt vmcnt(58) lgkmcnt(1)
	v_mul_f64 v[105:106], v[1:2], v[37:38]
	v_mul_f64 v[37:38], v[3:4], v[37:38]
	s_waitcnt vmcnt(56)
	v_fma_f64 v[19:20], v[5:6], v[25:26], -v[19:20]
	v_fma_f64 v[25:26], v[7:8], v[25:26], v[116:117]
	v_add_f64 v[15:16], v[15:16], v[103:104]
	v_add_f64 v[13:14], v[13:14], v[33:34]
	s_clause 0x4
	buffer_load_dword v34, off, s[0:3], 0 offset:764
	buffer_load_dword v103, off, s[0:3], 0 offset:776
	;; [unrolled: 1-line block ×5, first 2 shown]
	ds_read_b128 v[5:8], v98 offset:1424
	s_waitcnt vmcnt(57) lgkmcnt(1)
	v_mul_f64 v[118:119], v[9:10], v[23:24]
	v_mul_f64 v[23:24], v[11:12], v[23:24]
	s_waitcnt vmcnt(56)
	v_fma_f64 v[37:38], v[1:2], v[113:114], -v[37:38]
	v_add_f64 v[15:16], v[15:16], v[19:20]
	v_fma_f64 v[19:20], v[3:4], v[113:114], v[105:106]
	v_add_f64 v[13:14], v[13:14], v[25:26]
	s_clause 0x2
	buffer_load_dword v104, off, s[0:3], 0 offset:780
	buffer_load_dword v26, off, s[0:3], 0 offset:756
	;; [unrolled: 1-line block ×3, first 2 shown]
	s_waitcnt vmcnt(58) lgkmcnt(0)
	v_mul_f64 v[105:106], v[5:6], v[45:46]
	v_mul_f64 v[45:46], v[7:8], v[45:46]
	ds_read_b128 v[1:4], v98 offset:1440
	s_waitcnt vmcnt(56)
	v_fma_f64 v[23:24], v[9:10], v[31:32], -v[23:24]
	v_fma_f64 v[31:32], v[11:12], v[31:32], v[118:119]
	v_add_f64 v[15:16], v[15:16], v[37:38]
	v_add_f64 v[13:14], v[13:14], v[19:20]
	s_clause 0x4
	buffer_load_dword v20, off, s[0:3], 0 offset:796
	buffer_load_dword v37, off, s[0:3], 0 offset:808
	;; [unrolled: 1-line block ×5, first 2 shown]
	ds_read_b128 v[9:12], v98 offset:1456
	s_waitcnt vmcnt(57) lgkmcnt(1)
	v_mul_f64 v[119:120], v[1:2], v[29:30]
	v_mul_f64 v[29:30], v[3:4], v[29:30]
	s_waitcnt vmcnt(56)
	v_fma_f64 v[45:46], v[5:6], v[99:100], -v[45:46]
	v_add_f64 v[15:16], v[15:16], v[23:24]
	v_fma_f64 v[23:24], v[7:8], v[99:100], v[105:106]
	v_add_f64 v[13:14], v[13:14], v[31:32]
	s_clause 0x2
	buffer_load_dword v38, off, s[0:3], 0 offset:812
	buffer_load_dword v32, off, s[0:3], 0 offset:788
	buffer_load_dword v31, off, s[0:3], 0 offset:784
	s_waitcnt vmcnt(58) lgkmcnt(0)
	v_mul_f64 v[99:100], v[9:10], v[51:52]
	v_mul_f64 v[51:52], v[11:12], v[51:52]
	ds_read_b128 v[5:8], v98 offset:1472
	s_waitcnt vmcnt(56)
	v_fma_f64 v[29:30], v[1:2], v[41:42], -v[29:30]
	v_fma_f64 v[41:42], v[3:4], v[41:42], v[119:120]
	v_add_f64 v[15:16], v[15:16], v[45:46]
	v_add_f64 v[13:14], v[13:14], v[23:24]
	s_clause 0x4
	buffer_load_dword v24, off, s[0:3], 0 offset:828
	buffer_load_dword v45, off, s[0:3], 0 offset:840
	;; [unrolled: 1-line block ×5, first 2 shown]
	ds_read_b128 v[1:4], v98 offset:1488
	s_waitcnt vmcnt(57) lgkmcnt(1)
	v_mul_f64 v[119:120], v[5:6], v[35:36]
	v_mul_f64 v[35:36], v[7:8], v[35:36]
	s_waitcnt vmcnt(56)
	v_fma_f64 v[51:52], v[9:10], v[53:54], -v[51:52]
	v_add_f64 v[15:16], v[15:16], v[29:30]
	v_fma_f64 v[29:30], v[11:12], v[53:54], v[99:100]
	v_add_f64 v[13:14], v[13:14], v[41:42]
	s_clause 0x2
	buffer_load_dword v46, off, s[0:3], 0 offset:844
	buffer_load_dword v42, off, s[0:3], 0 offset:820
	;; [unrolled: 1-line block ×3, first 2 shown]
	ds_read_b128 v[9:12], v98 offset:1504
	s_waitcnt vmcnt(58) lgkmcnt(1)
	v_mul_f64 v[53:54], v[1:2], v[63:64]
	v_mul_f64 v[63:64], v[3:4], v[63:64]
	s_waitcnt vmcnt(56)
	v_fma_f64 v[35:36], v[5:6], v[39:40], -v[35:36]
	v_fma_f64 v[39:40], v[7:8], v[39:40], v[119:120]
	v_add_f64 v[15:16], v[15:16], v[51:52]
	v_add_f64 v[13:14], v[13:14], v[29:30]
	s_clause 0x4
	buffer_load_dword v30, off, s[0:3], 0 offset:860
	buffer_load_dword v51, off, s[0:3], 0 offset:872
	;; [unrolled: 1-line block ×5, first 2 shown]
	ds_read_b128 v[5:8], v98 offset:1520
	s_waitcnt vmcnt(57) lgkmcnt(1)
	v_mul_f64 v[119:120], v[9:10], v[43:44]
	v_mul_f64 v[43:44], v[11:12], v[43:44]
	s_waitcnt vmcnt(56)
	v_fma_f64 v[63:64], v[1:2], v[89:90], -v[63:64]
	v_add_f64 v[15:16], v[15:16], v[35:36]
	v_fma_f64 v[35:36], v[3:4], v[89:90], v[53:54]
	v_add_f64 v[13:14], v[13:14], v[39:40]
	s_clause 0x2
	buffer_load_dword v52, off, s[0:3], 0 offset:876
	buffer_load_dword v40, off, s[0:3], 0 offset:852
	;; [unrolled: 1-line block ×3, first 2 shown]
	ds_read_b128 v[1:4], v98 offset:1536
	s_waitcnt vmcnt(58) lgkmcnt(1)
	v_mul_f64 v[89:90], v[7:8], v[93:94]
	v_mul_f64 v[53:54], v[5:6], v[93:94]
	s_waitcnt vmcnt(56)
	v_fma_f64 v[43:44], v[9:10], v[47:48], -v[43:44]
	v_fma_f64 v[47:48], v[11:12], v[47:48], v[119:120]
	v_add_f64 v[15:16], v[15:16], v[63:64]
	v_add_f64 v[13:14], v[13:14], v[35:36]
	s_clause 0x4
	buffer_load_dword v36, off, s[0:3], 0 offset:892
	buffer_load_dword v63, off, s[0:3], 0 offset:904
	;; [unrolled: 1-line block ×5, first 2 shown]
	ds_read_b128 v[9:12], v98 offset:1552
	s_waitcnt vmcnt(57) lgkmcnt(1)
	v_mul_f64 v[119:120], v[1:2], v[49:50]
	v_mul_f64 v[49:50], v[3:4], v[49:50]
	s_waitcnt vmcnt(56)
	v_fma_f64 v[89:90], v[5:6], v[95:96], -v[89:90]
	v_add_f64 v[15:16], v[15:16], v[43:44]
	v_fma_f64 v[43:44], v[7:8], v[95:96], v[53:54]
	v_add_f64 v[13:14], v[13:14], v[47:48]
	s_clause 0x2
	buffer_load_dword v64, off, s[0:3], 0 offset:908
	buffer_load_dword v48, off, s[0:3], 0 offset:884
	buffer_load_dword v47, off, s[0:3], 0 offset:880
	ds_read_b128 v[5:8], v98 offset:1568
	buffer_load_dword v94, off, s[0:3], 0 offset:900
	s_waitcnt vmcnt(59) lgkmcnt(1)
	v_mul_f64 v[53:54], v[9:10], v[55:56]
	v_mul_f64 v[55:56], v[11:12], v[55:56]
	s_waitcnt vmcnt(57)
	v_fma_f64 v[49:50], v[1:2], v[17:18], -v[49:50]
	v_fma_f64 v[17:18], v[3:4], v[17:18], v[119:120]
	ds_read_b128 v[1:4], v98 offset:1584
	v_add_f64 v[15:16], v[15:16], v[89:90]
	v_add_f64 v[13:14], v[13:14], v[43:44]
	s_waitcnt vmcnt(53) lgkmcnt(1)
	v_mul_f64 v[43:44], v[5:6], v[61:62]
	v_mul_f64 v[61:62], v[7:8], v[61:62]
	s_waitcnt vmcnt(52)
	v_fma_f64 v[55:56], v[9:10], v[107:108], -v[55:56]
	v_add_f64 v[15:16], v[15:16], v[49:50]
	v_fma_f64 v[49:50], v[11:12], v[107:108], v[53:54]
	v_add_f64 v[13:14], v[13:14], v[17:18]
	ds_read_b128 v[9:12], v98 offset:1600
	s_waitcnt vmcnt(51) lgkmcnt(1)
	v_mul_f64 v[53:54], v[3:4], v[101:102]
	v_mul_f64 v[17:18], v[1:2], v[101:102]
	s_waitcnt vmcnt(49)
	v_fma_f64 v[61:62], v[5:6], v[91:92], -v[61:62]
	v_fma_f64 v[43:44], v[7:8], v[91:92], v[43:44]
	v_add_f64 v[15:16], v[15:16], v[55:56]
	v_add_f64 v[13:14], v[13:14], v[49:50]
	s_clause 0x3
	buffer_load_dword v49, off, s[0:3], 0 offset:144
	buffer_load_dword v50, off, s[0:3], 0 offset:148
	;; [unrolled: 1-line block ×4, first 2 shown]
	ds_read_b128 v[5:8], v98 offset:1616
	s_waitcnt vmcnt(49) lgkmcnt(1)
	v_mul_f64 v[89:90], v[9:10], v[21:22]
	v_mul_f64 v[21:22], v[11:12], v[21:22]
	s_waitcnt vmcnt(48)
	v_fma_f64 v[53:54], v[1:2], v[111:112], -v[53:54]
	v_fma_f64 v[17:18], v[3:4], v[111:112], v[17:18]
	ds_read_b128 v[1:4], v98 offset:1632
	v_add_f64 v[15:16], v[15:16], v[61:62]
	v_add_f64 v[13:14], v[13:14], v[43:44]
	s_waitcnt vmcnt(47) lgkmcnt(1)
	v_mul_f64 v[61:62], v[7:8], v[109:110]
	v_mul_f64 v[43:44], v[5:6], v[109:110]
	s_waitcnt vmcnt(45)
	v_fma_f64 v[21:22], v[9:10], v[27:28], -v[21:22]
	v_fma_f64 v[27:28], v[11:12], v[27:28], v[89:90]
	ds_read_b128 v[9:12], v98 offset:1648
	v_add_f64 v[15:16], v[15:16], v[53:54]
	v_add_f64 v[13:14], v[13:14], v[17:18]
	s_waitcnt vmcnt(41) lgkmcnt(1)
	v_mul_f64 v[17:18], v[1:2], v[33:34]
	v_mul_f64 v[33:34], v[3:4], v[33:34]
	s_waitcnt vmcnt(40)
	v_fma_f64 v[53:54], v[5:6], v[115:116], -v[61:62]
	v_add_f64 v[15:16], v[15:16], v[21:22]
	v_fma_f64 v[21:22], v[7:8], v[115:116], v[43:44]
	v_add_f64 v[13:14], v[13:14], v[27:28]
	ds_read_b128 v[5:8], v98 offset:1664
	s_waitcnt vmcnt(39) lgkmcnt(1)
	v_mul_f64 v[43:44], v[11:12], v[103:104]
	v_mul_f64 v[27:28], v[9:10], v[103:104]
	s_waitcnt vmcnt(37)
	v_fma_f64 v[33:34], v[1:2], v[25:26], -v[33:34]
	v_fma_f64 v[17:18], v[3:4], v[25:26], v[17:18]
	ds_read_b128 v[1:4], v98 offset:1680
	v_add_f64 v[15:16], v[15:16], v[53:54]
	v_add_f64 v[13:14], v[13:14], v[21:22]
	s_waitcnt vmcnt(33) lgkmcnt(1)
	v_mul_f64 v[21:22], v[5:6], v[19:20]
	v_mul_f64 v[19:20], v[7:8], v[19:20]
	s_waitcnt vmcnt(32)
	v_fma_f64 v[25:26], v[9:10], v[117:118], -v[43:44]
	v_fma_f64 v[27:28], v[11:12], v[117:118], v[27:28]
	ds_read_b128 v[9:12], v98 offset:1696
	v_add_f64 v[15:16], v[15:16], v[33:34]
	v_add_f64 v[13:14], v[13:14], v[17:18]
	;; [unrolled: 9-line block ×5, first 2 shown]
	s_waitcnt vmcnt(17) lgkmcnt(1)
	v_mul_f64 v[27:28], v[3:4], v[29:30]
	s_waitcnt vmcnt(16)
	v_fma_f64 v[21:22], v[5:6], v[105:106], -v[21:22]
	v_mul_f64 v[17:18], v[1:2], v[29:30]
	v_fma_f64 v[19:20], v[7:8], v[105:106], v[19:20]
	ds_read_b128 v[5:8], v98 offset:1760
	v_add_f64 v[15:16], v[15:16], v[23:24]
	v_add_f64 v[13:14], v[13:14], v[25:26]
	s_waitcnt vmcnt(15) lgkmcnt(1)
	v_mul_f64 v[25:26], v[11:12], v[51:52]
	v_mul_f64 v[23:24], v[9:10], v[51:52]
	s_waitcnt vmcnt(13)
	v_fma_f64 v[27:28], v[1:2], v[39:40], -v[27:28]
	v_fma_f64 v[17:18], v[3:4], v[39:40], v[17:18]
	ds_read_b128 v[1:4], v98 offset:1776
	v_add_f64 v[15:16], v[15:16], v[21:22]
	v_add_f64 v[13:14], v[13:14], v[19:20]
	s_waitcnt vmcnt(9) lgkmcnt(1)
	v_mul_f64 v[21:22], v[7:8], v[35:36]
	s_waitcnt vmcnt(8)
	v_fma_f64 v[9:10], v[9:10], v[99:100], -v[25:26]
	v_mul_f64 v[19:20], v[5:6], v[35:36]
	v_fma_f64 v[11:12], v[11:12], v[99:100], v[23:24]
	v_add_f64 v[15:16], v[15:16], v[27:28]
	v_add_f64 v[13:14], v[13:14], v[17:18]
	s_waitcnt vmcnt(7) lgkmcnt(0)
	v_mul_f64 v[23:24], v[3:4], v[63:64]
	v_mul_f64 v[17:18], v[1:2], v[63:64]
	s_waitcnt vmcnt(5)
	v_fma_f64 v[5:6], v[5:6], v[47:48], -v[21:22]
	v_fma_f64 v[7:8], v[7:8], v[47:48], v[19:20]
	v_add_f64 v[9:10], v[15:16], v[9:10]
	v_add_f64 v[11:12], v[13:14], v[11:12]
	s_waitcnt vmcnt(4)
	v_fma_f64 v[1:2], v[1:2], v[93:94], -v[23:24]
	v_fma_f64 v[3:4], v[3:4], v[93:94], v[17:18]
	v_add_f64 v[5:6], v[9:10], v[5:6]
	v_add_f64 v[7:8], v[11:12], v[7:8]
	;; [unrolled: 1-line block ×4, first 2 shown]
	s_waitcnt vmcnt(2)
	v_add_f64 v[1:2], v[49:50], -v[1:2]
	s_waitcnt vmcnt(0)
	v_add_f64 v[3:4], v[55:56], -v[3:4]
	buffer_store_dword v2, off, s[0:3], 0 offset:148
	buffer_store_dword v1, off, s[0:3], 0 offset:144
	;; [unrolled: 1-line block ×4, first 2 shown]
	v_cmpx_lt_u32_e32 7, v0
	s_cbranch_execz .LBB55_335
; %bb.334:
	v_mov_b32_e32 v4, s61
	s_clause 0x3
	buffer_load_dword v1, v4, s[0:3], 0 offen
	buffer_load_dword v2, v4, s[0:3], 0 offen offset:4
	buffer_load_dword v3, v4, s[0:3], 0 offen offset:8
	;; [unrolled: 1-line block ×3, first 2 shown]
	buffer_store_dword v98, off, s[0:3], 0 offset:128
	buffer_store_dword v98, off, s[0:3], 0 offset:132
	;; [unrolled: 1-line block ×4, first 2 shown]
	s_waitcnt vmcnt(0)
	ds_write_b128 v97, v[1:4]
.LBB55_335:
	s_or_b32 exec_lo, exec_lo, s4
	s_waitcnt lgkmcnt(0)
	s_waitcnt_vscnt null, 0x0
	s_barrier
	buffer_gl0_inv
	s_clause 0x37
	buffer_load_dword v17, off, s[0:3], 0 offset:152
	buffer_load_dword v18, off, s[0:3], 0 offset:156
	;; [unrolled: 1-line block ×56, first 2 shown]
	ds_read_b128 v[5:8], v98 offset:1024
	s_clause 0x2
	buffer_load_dword v94, off, s[0:3], 0 offset:380
	buffer_load_dword v96, off, s[0:3], 0 offset:356
	;; [unrolled: 1-line block ×3, first 2 shown]
	ds_read_b128 v[1:4], v98 offset:1040
	s_clause 0x4
	buffer_load_dword v106, off, s[0:3], 0 offset:396
	buffer_load_dword v107, off, s[0:3], 0 offset:408
	;; [unrolled: 1-line block ×5, first 2 shown]
	ds_read_b128 v[99:102], v98 offset:1056
	s_mov_b32 s4, exec_lo
	s_waitcnt vmcnt(62) lgkmcnt(2)
	v_mul_f64 v[103:104], v[7:8], v[17:18]
	v_mul_f64 v[17:18], v[5:6], v[17:18]
	s_waitcnt vmcnt(60) lgkmcnt(1)
	v_mul_f64 v[110:111], v[3:4], v[13:14]
	v_mul_f64 v[13:14], v[1:2], v[13:14]
	;; [unrolled: 3-line block ×3, first 2 shown]
	v_fma_f64 v[103:104], v[5:6], v[15:16], -v[103:104]
	v_fma_f64 v[15:16], v[7:8], v[15:16], v[17:18]
	s_clause 0x2
	buffer_load_dword v108, off, s[0:3], 0 offset:412
	buffer_load_dword v18, off, s[0:3], 0 offset:388
	;; [unrolled: 1-line block ×3, first 2 shown]
	s_waitcnt vmcnt(57)
	v_fma_f64 v[114:115], v[1:2], v[9:10], -v[110:111]
	ds_read_b128 v[5:8], v98 offset:1072
	v_fma_f64 v[9:10], v[3:4], v[9:10], v[13:14]
	s_waitcnt vmcnt(51)
	v_fma_f64 v[99:100], v[99:100], v[33:34], -v[11:12]
	v_fma_f64 v[33:34], v[101:102], v[33:34], v[112:113]
	v_add_f64 v[103:104], v[103:104], 0
	v_add_f64 v[13:14], v[15:16], 0
	s_clause 0x4
	buffer_load_dword v16, off, s[0:3], 0 offset:428
	buffer_load_dword v111, off, s[0:3], 0 offset:440
	;; [unrolled: 1-line block ×5, first 2 shown]
	s_waitcnt lgkmcnt(0)
	v_mul_f64 v[117:118], v[5:6], v[21:22]
	v_mul_f64 v[21:22], v[7:8], v[21:22]
	ds_read_b128 v[1:4], v98 offset:1088
	s_clause 0x2
	buffer_load_dword v112, off, s[0:3], 0 offset:444
	buffer_load_dword v102, off, s[0:3], 0 offset:420
	;; [unrolled: 1-line block ×3, first 2 shown]
	v_add_f64 v[103:104], v[103:104], v[114:115]
	v_add_f64 v[13:14], v[13:14], v[9:10]
	ds_read_b128 v[9:12], v98 offset:1104
	s_waitcnt vmcnt(58) lgkmcnt(1)
	v_mul_f64 v[113:114], v[1:2], v[25:26]
	v_mul_f64 v[25:26], v[3:4], v[25:26]
	s_waitcnt vmcnt(56)
	v_fma_f64 v[21:22], v[5:6], v[27:28], -v[21:22]
	v_fma_f64 v[27:28], v[7:8], v[27:28], v[117:118]
	s_waitcnt vmcnt(52) lgkmcnt(0)
	v_mul_f64 v[119:120], v[9:10], v[29:30]
	v_add_f64 v[99:100], v[103:104], v[99:100]
	v_add_f64 v[13:14], v[13:14], v[33:34]
	s_clause 0x4
	buffer_load_dword v34, off, s[0:3], 0 offset:460
	buffer_load_dword v103, off, s[0:3], 0 offset:472
	;; [unrolled: 1-line block ×5, first 2 shown]
	v_mul_f64 v[29:30], v[11:12], v[29:30]
	s_waitcnt vmcnt(56)
	v_fma_f64 v[25:26], v[1:2], v[19:20], -v[25:26]
	ds_read_b128 v[5:8], v98 offset:1120
	v_fma_f64 v[19:20], v[3:4], v[19:20], v[113:114]
	v_add_f64 v[21:22], v[99:100], v[21:22]
	v_add_f64 v[13:14], v[13:14], v[27:28]
	s_clause 0x2
	buffer_load_dword v104, off, s[0:3], 0 offset:476
	buffer_load_dword v28, off, s[0:3], 0 offset:452
	buffer_load_dword v27, off, s[0:3], 0 offset:448
	s_waitcnt vmcnt(58) lgkmcnt(0)
	v_mul_f64 v[99:100], v[5:6], v[35:36]
	v_mul_f64 v[35:36], v[7:8], v[35:36]
	s_waitcnt vmcnt(56)
	v_fma_f64 v[29:30], v[9:10], v[37:38], -v[29:30]
	ds_read_b128 v[1:4], v98 offset:1136
	v_add_f64 v[21:22], v[21:22], v[25:26]
	v_fma_f64 v[25:26], v[11:12], v[37:38], v[119:120]
	v_add_f64 v[13:14], v[13:14], v[19:20]
	s_clause 0x4
	buffer_load_dword v20, off, s[0:3], 0 offset:492
	buffer_load_dword v37, off, s[0:3], 0 offset:504
	;; [unrolled: 1-line block ×5, first 2 shown]
	s_waitcnt vmcnt(57) lgkmcnt(0)
	v_mul_f64 v[114:115], v[1:2], v[39:40]
	v_mul_f64 v[39:40], v[3:4], v[39:40]
	s_waitcnt vmcnt(56)
	v_fma_f64 v[35:36], v[5:6], v[23:24], -v[35:36]
	ds_read_b128 v[9:12], v98 offset:1152
	v_fma_f64 v[23:24], v[7:8], v[23:24], v[99:100]
	v_add_f64 v[21:22], v[21:22], v[29:30]
	v_add_f64 v[13:14], v[13:14], v[25:26]
	s_clause 0x2
	buffer_load_dword v38, off, s[0:3], 0 offset:508
	buffer_load_dword v26, off, s[0:3], 0 offset:484
	;; [unrolled: 1-line block ×3, first 2 shown]
	ds_read_b128 v[5:8], v98 offset:1168
	s_waitcnt vmcnt(58) lgkmcnt(1)
	v_mul_f64 v[29:30], v[9:10], v[43:44]
	v_mul_f64 v[43:44], v[11:12], v[43:44]
	s_waitcnt vmcnt(56)
	v_fma_f64 v[39:40], v[1:2], v[45:46], -v[39:40]
	v_add_f64 v[21:22], v[21:22], v[35:36]
	v_fma_f64 v[35:36], v[3:4], v[45:46], v[114:115]
	v_add_f64 v[13:14], v[13:14], v[23:24]
	s_clause 0x4
	buffer_load_dword v24, off, s[0:3], 0 offset:524
	buffer_load_dword v45, off, s[0:3], 0 offset:536
	;; [unrolled: 1-line block ×5, first 2 shown]
	s_waitcnt vmcnt(57) lgkmcnt(0)
	v_mul_f64 v[120:121], v[5:6], v[47:48]
	v_mul_f64 v[47:48], v[7:8], v[47:48]
	s_waitcnt vmcnt(56)
	v_fma_f64 v[43:44], v[9:10], v[31:32], -v[43:44]
	ds_read_b128 v[1:4], v98 offset:1184
	v_fma_f64 v[29:30], v[11:12], v[31:32], v[29:30]
	s_clause 0x2
	buffer_load_dword v46, off, s[0:3], 0 offset:540
	buffer_load_dword v32, off, s[0:3], 0 offset:516
	buffer_load_dword v31, off, s[0:3], 0 offset:512
	ds_read_b128 v[9:12], v98 offset:1200
	v_add_f64 v[21:22], v[21:22], v[39:40]
	v_add_f64 v[13:14], v[13:14], v[35:36]
	s_waitcnt vmcnt(58) lgkmcnt(1)
	v_mul_f64 v[39:40], v[3:4], v[51:52]
	s_waitcnt vmcnt(56)
	v_fma_f64 v[47:48], v[5:6], v[53:54], -v[47:48]
	v_mul_f64 v[35:36], v[1:2], v[51:52]
	v_add_f64 v[21:22], v[21:22], v[43:44]
	v_fma_f64 v[43:44], v[7:8], v[53:54], v[120:121]
	v_add_f64 v[13:14], v[13:14], v[29:30]
	s_clause 0x4
	buffer_load_dword v30, off, s[0:3], 0 offset:556
	buffer_load_dword v51, off, s[0:3], 0 offset:568
	;; [unrolled: 1-line block ×5, first 2 shown]
	s_waitcnt vmcnt(57) lgkmcnt(0)
	v_mul_f64 v[120:121], v[9:10], v[55:56]
	v_mul_f64 v[54:55], v[11:12], v[55:56]
	s_waitcnt vmcnt(56)
	v_fma_f64 v[39:40], v[1:2], v[41:42], -v[39:40]
	ds_read_b128 v[5:8], v98 offset:1216
	v_fma_f64 v[35:36], v[3:4], v[41:42], v[35:36]
	s_clause 0x2
	buffer_load_dword v52, off, s[0:3], 0 offset:572
	buffer_load_dword v42, off, s[0:3], 0 offset:548
	buffer_load_dword v41, off, s[0:3], 0 offset:544
	ds_read_b128 v[1:4], v98 offset:1232
	v_add_f64 v[21:22], v[21:22], v[47:48]
	v_add_f64 v[13:14], v[13:14], v[43:44]
	s_waitcnt vmcnt(58) lgkmcnt(1)
	v_mul_f64 v[47:48], v[7:8], v[63:64]
	s_waitcnt vmcnt(56)
	v_fma_f64 v[55:56], v[9:10], v[89:90], -v[54:55]
	v_mul_f64 v[43:44], v[5:6], v[63:64]
	v_add_f64 v[21:22], v[21:22], v[39:40]
	v_fma_f64 v[39:40], v[11:12], v[89:90], v[120:121]
	v_add_f64 v[13:14], v[13:14], v[35:36]
	s_clause 0x4
	buffer_load_dword v36, off, s[0:3], 0 offset:588
	buffer_load_dword v63, off, s[0:3], 0 offset:600
	;; [unrolled: 1-line block ×5, first 2 shown]
	s_waitcnt vmcnt(57) lgkmcnt(0)
	v_mul_f64 v[120:121], v[1:2], v[91:92]
	v_mul_f64 v[90:91], v[3:4], v[91:92]
	s_waitcnt vmcnt(56)
	v_fma_f64 v[47:48], v[5:6], v[49:50], -v[47:48]
	ds_read_b128 v[9:12], v98 offset:1248
	v_fma_f64 v[43:44], v[7:8], v[49:50], v[43:44]
	v_add_f64 v[21:22], v[21:22], v[55:56]
	v_add_f64 v[13:14], v[13:14], v[39:40]
	s_clause 0x2
	buffer_load_dword v64, off, s[0:3], 0 offset:604
	buffer_load_dword v40, off, s[0:3], 0 offset:580
	;; [unrolled: 1-line block ×3, first 2 shown]
	ds_read_b128 v[5:8], v98 offset:1264
	s_waitcnt vmcnt(58) lgkmcnt(1)
	v_mul_f64 v[55:56], v[11:12], v[93:94]
	s_waitcnt vmcnt(56)
	v_fma_f64 v[91:92], v[1:2], v[95:96], -v[90:91]
	v_mul_f64 v[49:50], v[9:10], v[93:94]
	v_add_f64 v[21:22], v[21:22], v[47:48]
	v_fma_f64 v[47:48], v[3:4], v[95:96], v[120:121]
	v_add_f64 v[13:14], v[13:14], v[43:44]
	s_clause 0x4
	buffer_load_dword v44, off, s[0:3], 0 offset:620
	buffer_load_dword v93, off, s[0:3], 0 offset:632
	;; [unrolled: 1-line block ×5, first 2 shown]
	s_waitcnt vmcnt(57) lgkmcnt(0)
	v_mul_f64 v[120:121], v[5:6], v[105:106]
	v_mul_f64 v[105:106], v[7:8], v[105:106]
	s_waitcnt vmcnt(56)
	v_fma_f64 v[55:56], v[9:10], v[61:62], -v[55:56]
	ds_read_b128 v[1:4], v98 offset:1280
	v_fma_f64 v[49:50], v[11:12], v[61:62], v[49:50]
	v_add_f64 v[21:22], v[21:22], v[91:92]
	v_add_f64 v[13:14], v[13:14], v[47:48]
	s_clause 0x2
	buffer_load_dword v94, off, s[0:3], 0 offset:636
	buffer_load_dword v48, off, s[0:3], 0 offset:612
	;; [unrolled: 1-line block ×3, first 2 shown]
	ds_read_b128 v[9:12], v98 offset:1296
	s_waitcnt vmcnt(58) lgkmcnt(1)
	v_mul_f64 v[91:92], v[3:4], v[107:108]
	v_mul_f64 v[61:62], v[1:2], v[107:108]
	s_waitcnt vmcnt(56)
	v_fma_f64 v[105:106], v[5:6], v[17:18], -v[105:106]
	v_fma_f64 v[17:18], v[7:8], v[17:18], v[120:121]
	v_add_f64 v[21:22], v[21:22], v[55:56]
	v_add_f64 v[13:14], v[13:14], v[49:50]
	s_clause 0x4
	buffer_load_dword v50, off, s[0:3], 0 offset:652
	buffer_load_dword v55, off, s[0:3], 0 offset:664
	;; [unrolled: 1-line block ×5, first 2 shown]
	ds_read_b128 v[5:8], v98 offset:1312
	s_waitcnt vmcnt(57) lgkmcnt(1)
	v_mul_f64 v[120:121], v[9:10], v[15:16]
	v_mul_f64 v[15:16], v[11:12], v[15:16]
	s_waitcnt vmcnt(56)
	v_fma_f64 v[91:92], v[1:2], v[109:110], -v[91:92]
	v_fma_f64 v[61:62], v[3:4], v[109:110], v[61:62]
	v_add_f64 v[21:22], v[21:22], v[105:106]
	v_add_f64 v[13:14], v[13:14], v[17:18]
	s_clause 0x2
	buffer_load_dword v56, off, s[0:3], 0 offset:668
	buffer_load_dword v18, off, s[0:3], 0 offset:644
	;; [unrolled: 1-line block ×3, first 2 shown]
	s_waitcnt vmcnt(58) lgkmcnt(0)
	v_mul_f64 v[109:110], v[7:8], v[111:112]
	ds_read_b128 v[1:4], v98 offset:1328
	v_mul_f64 v[105:106], v[5:6], v[111:112]
	s_waitcnt vmcnt(56)
	v_fma_f64 v[15:16], v[9:10], v[101:102], -v[15:16]
	v_add_f64 v[21:22], v[21:22], v[91:92]
	v_fma_f64 v[91:92], v[11:12], v[101:102], v[120:121]
	v_add_f64 v[13:14], v[13:14], v[61:62]
	s_clause 0x4
	buffer_load_dword v62, off, s[0:3], 0 offset:684
	buffer_load_dword v101, off, s[0:3], 0 offset:696
	buffer_load_dword v111, off, s[0:3], 0 offset:688
	buffer_load_dword v61, off, s[0:3], 0 offset:680
	buffer_load_dword v108, off, s[0:3], 0 offset:660
	ds_read_b128 v[9:12], v98 offset:1344
	s_waitcnt vmcnt(57) lgkmcnt(1)
	v_mul_f64 v[120:121], v[1:2], v[33:34]
	v_mul_f64 v[33:34], v[3:4], v[33:34]
	s_waitcnt vmcnt(56)
	v_fma_f64 v[109:110], v[5:6], v[116:117], -v[109:110]
	v_add_f64 v[15:16], v[21:22], v[15:16]
	v_fma_f64 v[21:22], v[7:8], v[116:117], v[105:106]
	v_add_f64 v[13:14], v[13:14], v[91:92]
	s_clause 0x2
	buffer_load_dword v102, off, s[0:3], 0 offset:700
	buffer_load_dword v92, off, s[0:3], 0 offset:676
	;; [unrolled: 1-line block ×3, first 2 shown]
	ds_read_b128 v[5:8], v98 offset:1360
	s_waitcnt vmcnt(58) lgkmcnt(1)
	v_mul_f64 v[105:106], v[9:10], v[103:104]
	v_mul_f64 v[103:104], v[11:12], v[103:104]
	s_waitcnt vmcnt(56)
	v_fma_f64 v[33:34], v[1:2], v[27:28], -v[33:34]
	v_fma_f64 v[27:28], v[3:4], v[27:28], v[120:121]
	v_add_f64 v[15:16], v[15:16], v[109:110]
	v_add_f64 v[13:14], v[13:14], v[21:22]
	s_clause 0x4
	buffer_load_dword v22, off, s[0:3], 0 offset:716
	buffer_load_dword v109, off, s[0:3], 0 offset:728
	;; [unrolled: 1-line block ×5, first 2 shown]
	ds_read_b128 v[1:4], v98 offset:1376
	s_waitcnt vmcnt(57) lgkmcnt(1)
	v_mul_f64 v[116:117], v[5:6], v[19:20]
	v_mul_f64 v[19:20], v[7:8], v[19:20]
	s_waitcnt vmcnt(56)
	v_fma_f64 v[103:104], v[9:10], v[118:119], -v[103:104]
	v_add_f64 v[15:16], v[15:16], v[33:34]
	v_fma_f64 v[33:34], v[11:12], v[118:119], v[105:106]
	v_add_f64 v[13:14], v[13:14], v[27:28]
	s_clause 0x2
	buffer_load_dword v110, off, s[0:3], 0 offset:732
	buffer_load_dword v28, off, s[0:3], 0 offset:708
	;; [unrolled: 1-line block ×3, first 2 shown]
	ds_read_b128 v[9:12], v98 offset:1392
	s_waitcnt vmcnt(58) lgkmcnt(1)
	v_mul_f64 v[105:106], v[1:2], v[37:38]
	v_mul_f64 v[37:38], v[3:4], v[37:38]
	s_waitcnt vmcnt(56)
	v_fma_f64 v[19:20], v[5:6], v[25:26], -v[19:20]
	v_fma_f64 v[25:26], v[7:8], v[25:26], v[116:117]
	v_add_f64 v[15:16], v[15:16], v[103:104]
	v_add_f64 v[13:14], v[13:14], v[33:34]
	s_clause 0x4
	buffer_load_dword v34, off, s[0:3], 0 offset:748
	buffer_load_dword v103, off, s[0:3], 0 offset:760
	;; [unrolled: 1-line block ×5, first 2 shown]
	ds_read_b128 v[5:8], v98 offset:1408
	s_waitcnt vmcnt(57) lgkmcnt(1)
	v_mul_f64 v[118:119], v[9:10], v[23:24]
	v_mul_f64 v[23:24], v[11:12], v[23:24]
	s_waitcnt vmcnt(56)
	v_fma_f64 v[37:38], v[1:2], v[113:114], -v[37:38]
	v_add_f64 v[15:16], v[15:16], v[19:20]
	v_fma_f64 v[19:20], v[3:4], v[113:114], v[105:106]
	v_add_f64 v[13:14], v[13:14], v[25:26]
	s_clause 0x2
	buffer_load_dword v104, off, s[0:3], 0 offset:764
	buffer_load_dword v26, off, s[0:3], 0 offset:740
	;; [unrolled: 1-line block ×3, first 2 shown]
	s_waitcnt vmcnt(58) lgkmcnt(0)
	v_mul_f64 v[105:106], v[5:6], v[45:46]
	v_mul_f64 v[45:46], v[7:8], v[45:46]
	ds_read_b128 v[1:4], v98 offset:1424
	s_waitcnt vmcnt(56)
	v_fma_f64 v[23:24], v[9:10], v[31:32], -v[23:24]
	v_fma_f64 v[31:32], v[11:12], v[31:32], v[118:119]
	v_add_f64 v[15:16], v[15:16], v[37:38]
	v_add_f64 v[13:14], v[13:14], v[19:20]
	s_clause 0x4
	buffer_load_dword v20, off, s[0:3], 0 offset:780
	buffer_load_dword v37, off, s[0:3], 0 offset:792
	;; [unrolled: 1-line block ×5, first 2 shown]
	ds_read_b128 v[9:12], v98 offset:1440
	s_waitcnt vmcnt(57) lgkmcnt(1)
	v_mul_f64 v[119:120], v[1:2], v[29:30]
	v_mul_f64 v[29:30], v[3:4], v[29:30]
	s_waitcnt vmcnt(56)
	v_fma_f64 v[45:46], v[5:6], v[99:100], -v[45:46]
	v_add_f64 v[15:16], v[15:16], v[23:24]
	v_fma_f64 v[23:24], v[7:8], v[99:100], v[105:106]
	v_add_f64 v[13:14], v[13:14], v[31:32]
	s_clause 0x2
	buffer_load_dword v38, off, s[0:3], 0 offset:796
	buffer_load_dword v32, off, s[0:3], 0 offset:772
	;; [unrolled: 1-line block ×3, first 2 shown]
	s_waitcnt vmcnt(58) lgkmcnt(0)
	v_mul_f64 v[99:100], v[9:10], v[51:52]
	v_mul_f64 v[51:52], v[11:12], v[51:52]
	ds_read_b128 v[5:8], v98 offset:1456
	s_waitcnt vmcnt(56)
	v_fma_f64 v[29:30], v[1:2], v[41:42], -v[29:30]
	v_fma_f64 v[41:42], v[3:4], v[41:42], v[119:120]
	v_add_f64 v[15:16], v[15:16], v[45:46]
	v_add_f64 v[13:14], v[13:14], v[23:24]
	s_clause 0x4
	buffer_load_dword v24, off, s[0:3], 0 offset:812
	buffer_load_dword v45, off, s[0:3], 0 offset:824
	buffer_load_dword v105, off, s[0:3], 0 offset:816
	buffer_load_dword v23, off, s[0:3], 0 offset:808
	buffer_load_dword v114, off, s[0:3], 0 offset:788
	ds_read_b128 v[1:4], v98 offset:1472
	s_waitcnt vmcnt(57) lgkmcnt(1)
	v_mul_f64 v[119:120], v[5:6], v[35:36]
	v_mul_f64 v[35:36], v[7:8], v[35:36]
	s_waitcnt vmcnt(56)
	v_fma_f64 v[51:52], v[9:10], v[53:54], -v[51:52]
	v_add_f64 v[15:16], v[15:16], v[29:30]
	v_fma_f64 v[29:30], v[11:12], v[53:54], v[99:100]
	v_add_f64 v[13:14], v[13:14], v[41:42]
	s_clause 0x2
	buffer_load_dword v46, off, s[0:3], 0 offset:828
	buffer_load_dword v42, off, s[0:3], 0 offset:804
	buffer_load_dword v41, off, s[0:3], 0 offset:800
	ds_read_b128 v[9:12], v98 offset:1488
	s_waitcnt vmcnt(58) lgkmcnt(1)
	v_mul_f64 v[53:54], v[1:2], v[63:64]
	v_mul_f64 v[63:64], v[3:4], v[63:64]
	s_waitcnt vmcnt(56)
	v_fma_f64 v[35:36], v[5:6], v[39:40], -v[35:36]
	v_fma_f64 v[39:40], v[7:8], v[39:40], v[119:120]
	v_add_f64 v[15:16], v[15:16], v[51:52]
	v_add_f64 v[13:14], v[13:14], v[29:30]
	s_clause 0x4
	buffer_load_dword v30, off, s[0:3], 0 offset:844
	buffer_load_dword v51, off, s[0:3], 0 offset:856
	buffer_load_dword v99, off, s[0:3], 0 offset:848
	buffer_load_dword v29, off, s[0:3], 0 offset:840
	buffer_load_dword v106, off, s[0:3], 0 offset:820
	ds_read_b128 v[5:8], v98 offset:1504
	s_waitcnt vmcnt(57) lgkmcnt(1)
	v_mul_f64 v[119:120], v[9:10], v[43:44]
	v_mul_f64 v[43:44], v[11:12], v[43:44]
	s_waitcnt vmcnt(56)
	v_fma_f64 v[63:64], v[1:2], v[89:90], -v[63:64]
	v_add_f64 v[15:16], v[15:16], v[35:36]
	v_fma_f64 v[35:36], v[3:4], v[89:90], v[53:54]
	v_add_f64 v[13:14], v[13:14], v[39:40]
	s_clause 0x2
	buffer_load_dword v52, off, s[0:3], 0 offset:860
	buffer_load_dword v40, off, s[0:3], 0 offset:836
	buffer_load_dword v39, off, s[0:3], 0 offset:832
	ds_read_b128 v[1:4], v98 offset:1520
	s_waitcnt vmcnt(58) lgkmcnt(1)
	v_mul_f64 v[89:90], v[7:8], v[93:94]
	v_mul_f64 v[53:54], v[5:6], v[93:94]
	;; [unrolled: 28-line block ×3, first 2 shown]
	s_waitcnt vmcnt(56)
	v_fma_f64 v[49:50], v[1:2], v[17:18], -v[49:50]
	v_fma_f64 v[17:18], v[3:4], v[17:18], v[119:120]
	v_add_f64 v[15:16], v[15:16], v[89:90]
	v_add_f64 v[13:14], v[13:14], v[43:44]
	s_clause 0x2
	buffer_load_dword v44, off, s[0:3], 0 offset:908
	buffer_load_dword v43, off, s[0:3], 0 offset:904
	;; [unrolled: 1-line block ×3, first 2 shown]
	ds_read_b128 v[1:4], v98 offset:1568
	s_waitcnt vmcnt(55) lgkmcnt(1)
	v_mul_f64 v[89:90], v[5:6], v[61:62]
	v_mul_f64 v[61:62], v[7:8], v[61:62]
	s_waitcnt vmcnt(54)
	v_fma_f64 v[55:56], v[9:10], v[107:108], -v[55:56]
	v_add_f64 v[15:16], v[15:16], v[49:50]
	v_fma_f64 v[49:50], v[11:12], v[107:108], v[53:54]
	v_add_f64 v[13:14], v[13:14], v[17:18]
	s_clause 0x1
	buffer_load_dword v18, off, s[0:3], 0 offset:900
	buffer_load_dword v17, off, s[0:3], 0 offset:896
	ds_read_b128 v[9:12], v98 offset:1584
	s_waitcnt vmcnt(55) lgkmcnt(1)
	v_mul_f64 v[95:96], v[3:4], v[101:102]
	v_mul_f64 v[53:54], v[1:2], v[101:102]
	s_waitcnt vmcnt(53)
	v_fma_f64 v[61:62], v[5:6], v[91:92], -v[61:62]
	v_add_f64 v[15:16], v[15:16], v[55:56]
	v_fma_f64 v[55:56], v[7:8], v[91:92], v[89:90]
	v_add_f64 v[13:14], v[13:14], v[49:50]
	ds_read_b128 v[5:8], v98 offset:1600
	s_waitcnt vmcnt(49) lgkmcnt(1)
	v_mul_f64 v[49:50], v[9:10], v[21:22]
	v_mul_f64 v[21:22], v[11:12], v[21:22]
	s_waitcnt vmcnt(48)
	v_fma_f64 v[89:90], v[1:2], v[111:112], -v[95:96]
	v_fma_f64 v[53:54], v[3:4], v[111:112], v[53:54]
	v_add_f64 v[15:16], v[15:16], v[61:62]
	v_add_f64 v[13:14], v[13:14], v[55:56]
	s_clause 0x3
	buffer_load_dword v55, off, s[0:3], 0 offset:128
	buffer_load_dword v56, off, s[0:3], 0 offset:132
	;; [unrolled: 1-line block ×4, first 2 shown]
	ds_read_b128 v[1:4], v98 offset:1616
	s_waitcnt vmcnt(51) lgkmcnt(1)
	v_mul_f64 v[95:96], v[7:8], v[109:110]
	v_mul_f64 v[91:92], v[5:6], v[109:110]
	s_waitcnt vmcnt(49)
	v_fma_f64 v[21:22], v[9:10], v[27:28], -v[21:22]
	v_fma_f64 v[27:28], v[11:12], v[27:28], v[49:50]
	ds_read_b128 v[9:12], v98 offset:1632
	v_add_f64 v[15:16], v[15:16], v[89:90]
	v_add_f64 v[13:14], v[13:14], v[53:54]
	s_waitcnt vmcnt(45) lgkmcnt(1)
	v_mul_f64 v[49:50], v[1:2], v[33:34]
	v_mul_f64 v[33:34], v[3:4], v[33:34]
	s_waitcnt vmcnt(44)
	v_fma_f64 v[53:54], v[5:6], v[115:116], -v[95:96]
	v_add_f64 v[15:16], v[15:16], v[21:22]
	v_fma_f64 v[21:22], v[7:8], v[115:116], v[91:92]
	v_add_f64 v[13:14], v[13:14], v[27:28]
	ds_read_b128 v[5:8], v98 offset:1648
	s_waitcnt vmcnt(43) lgkmcnt(1)
	v_mul_f64 v[89:90], v[11:12], v[103:104]
	v_mul_f64 v[27:28], v[9:10], v[103:104]
	s_waitcnt vmcnt(41)
	v_fma_f64 v[33:34], v[1:2], v[25:26], -v[33:34]
	v_fma_f64 v[25:26], v[3:4], v[25:26], v[49:50]
	ds_read_b128 v[1:4], v98 offset:1664
	v_add_f64 v[15:16], v[15:16], v[53:54]
	v_add_f64 v[13:14], v[13:14], v[21:22]
	s_waitcnt vmcnt(37) lgkmcnt(1)
	v_mul_f64 v[21:22], v[5:6], v[19:20]
	v_mul_f64 v[19:20], v[7:8], v[19:20]
	s_waitcnt vmcnt(36)
	v_fma_f64 v[49:50], v[9:10], v[117:118], -v[89:90]
	v_fma_f64 v[27:28], v[11:12], v[117:118], v[27:28]
	ds_read_b128 v[9:12], v98 offset:1680
	v_add_f64 v[15:16], v[15:16], v[33:34]
	v_add_f64 v[13:14], v[13:14], v[25:26]
	;; [unrolled: 9-line block ×3, first 2 shown]
	s_waitcnt vmcnt(29) lgkmcnt(1)
	v_mul_f64 v[27:28], v[9:10], v[23:24]
	v_mul_f64 v[23:24], v[11:12], v[23:24]
	s_waitcnt vmcnt(28)
	v_fma_f64 v[31:32], v[1:2], v[113:114], -v[33:34]
	v_add_f64 v[15:16], v[15:16], v[19:20]
	v_fma_f64 v[19:20], v[3:4], v[113:114], v[25:26]
	v_add_f64 v[13:14], v[13:14], v[21:22]
	ds_read_b128 v[1:4], v98 offset:1712
	s_waitcnt vmcnt(27) lgkmcnt(1)
	v_mul_f64 v[25:26], v[7:8], v[45:46]
	v_mul_f64 v[21:22], v[5:6], v[45:46]
	s_waitcnt vmcnt(25)
	v_fma_f64 v[23:24], v[9:10], v[41:42], -v[23:24]
	v_fma_f64 v[27:28], v[11:12], v[41:42], v[27:28]
	ds_read_b128 v[9:12], v98 offset:1728
	v_add_f64 v[15:16], v[15:16], v[31:32]
	v_add_f64 v[13:14], v[13:14], v[19:20]
	s_waitcnt vmcnt(21) lgkmcnt(1)
	v_mul_f64 v[19:20], v[1:2], v[29:30]
	v_mul_f64 v[29:30], v[3:4], v[29:30]
	s_waitcnt vmcnt(20)
	v_fma_f64 v[25:26], v[5:6], v[105:106], -v[25:26]
	v_fma_f64 v[21:22], v[7:8], v[105:106], v[21:22]
	ds_read_b128 v[5:8], v98 offset:1744
	v_add_f64 v[15:16], v[15:16], v[23:24]
	v_add_f64 v[13:14], v[13:14], v[27:28]
	;; [unrolled: 9-line block ×3, first 2 shown]
	s_waitcnt vmcnt(13) lgkmcnt(1)
	v_mul_f64 v[25:26], v[7:8], v[35:36]
	s_waitcnt vmcnt(12)
	v_fma_f64 v[27:28], v[9:10], v[99:100], -v[27:28]
	v_mul_f64 v[21:22], v[5:6], v[35:36]
	v_fma_f64 v[23:24], v[11:12], v[99:100], v[23:24]
	ds_read_b128 v[9:12], v98 offset:1776
	v_add_f64 v[15:16], v[15:16], v[29:30]
	v_add_f64 v[13:14], v[13:14], v[19:20]
	s_waitcnt vmcnt(11) lgkmcnt(1)
	v_mul_f64 v[29:30], v[3:4], v[63:64]
	v_mul_f64 v[19:20], v[1:2], v[63:64]
	s_waitcnt vmcnt(9)
	v_fma_f64 v[5:6], v[5:6], v[47:48], -v[25:26]
	v_fma_f64 v[7:8], v[7:8], v[47:48], v[21:22]
	v_add_f64 v[15:16], v[15:16], v[27:28]
	v_add_f64 v[13:14], v[13:14], v[23:24]
	s_waitcnt vmcnt(7) lgkmcnt(0)
	v_mul_f64 v[23:24], v[11:12], v[43:44]
	s_waitcnt vmcnt(6)
	v_fma_f64 v[1:2], v[1:2], v[93:94], -v[29:30]
	v_mul_f64 v[21:22], v[9:10], v[43:44]
	v_fma_f64 v[3:4], v[3:4], v[93:94], v[19:20]
	v_add_f64 v[5:6], v[15:16], v[5:6]
	v_add_f64 v[7:8], v[13:14], v[7:8]
	s_waitcnt vmcnt(4)
	v_fma_f64 v[9:10], v[9:10], v[17:18], -v[23:24]
	v_add_f64 v[1:2], v[5:6], v[1:2]
	v_fma_f64 v[5:6], v[11:12], v[17:18], v[21:22]
	v_add_f64 v[3:4], v[7:8], v[3:4]
	v_add_f64 v[1:2], v[1:2], v[9:10]
	;; [unrolled: 1-line block ×3, first 2 shown]
	s_waitcnt vmcnt(2)
	v_add_f64 v[1:2], v[55:56], -v[1:2]
	s_waitcnt vmcnt(0)
	v_add_f64 v[3:4], v[61:62], -v[3:4]
	buffer_store_dword v2, off, s[0:3], 0 offset:132
	buffer_store_dword v1, off, s[0:3], 0 offset:128
	;; [unrolled: 1-line block ×4, first 2 shown]
	v_cmpx_lt_u32_e32 6, v0
	s_cbranch_execz .LBB55_337
; %bb.336:
	v_mov_b32_e32 v4, s62
	v_mov_b32_e32 v5, 0
	s_clause 0x3
	buffer_load_dword v1, v4, s[0:3], 0 offen
	buffer_load_dword v2, v4, s[0:3], 0 offen offset:4
	buffer_load_dword v3, v4, s[0:3], 0 offen offset:8
	buffer_load_dword v4, v4, s[0:3], 0 offen offset:12
	buffer_store_dword v5, off, s[0:3], 0 offset:112
	buffer_store_dword v5, off, s[0:3], 0 offset:116
	;; [unrolled: 1-line block ×4, first 2 shown]
	s_waitcnt vmcnt(0)
	ds_write_b128 v97, v[1:4]
.LBB55_337:
	s_or_b32 exec_lo, exec_lo, s4
	s_waitcnt lgkmcnt(0)
	s_waitcnt_vscnt null, 0x0
	s_barrier
	buffer_gl0_inv
	s_clause 0x37
	buffer_load_dword v17, off, s[0:3], 0 offset:136
	buffer_load_dword v18, off, s[0:3], 0 offset:140
	;; [unrolled: 1-line block ×56, first 2 shown]
	v_mov_b32_e32 v98, 0
	s_mov_b32 s4, exec_lo
	ds_read_b128 v[5:8], v98 offset:1008
	s_clause 0x2
	buffer_load_dword v94, off, s[0:3], 0 offset:364
	buffer_load_dword v96, off, s[0:3], 0 offset:340
	;; [unrolled: 1-line block ×3, first 2 shown]
	ds_read_b128 v[1:4], v98 offset:1024
	s_clause 0x4
	buffer_load_dword v106, off, s[0:3], 0 offset:380
	buffer_load_dword v107, off, s[0:3], 0 offset:392
	buffer_load_dword v109, off, s[0:3], 0 offset:384
	buffer_load_dword v105, off, s[0:3], 0 offset:376
	buffer_load_dword v62, off, s[0:3], 0 offset:356
	ds_read_b128 v[99:102], v98 offset:1040
	s_waitcnt vmcnt(62) lgkmcnt(2)
	v_mul_f64 v[103:104], v[7:8], v[17:18]
	v_mul_f64 v[17:18], v[5:6], v[17:18]
	s_waitcnt vmcnt(60) lgkmcnt(1)
	v_mul_f64 v[110:111], v[3:4], v[13:14]
	v_mul_f64 v[13:14], v[1:2], v[13:14]
	;; [unrolled: 3-line block ×3, first 2 shown]
	v_fma_f64 v[103:104], v[5:6], v[15:16], -v[103:104]
	v_fma_f64 v[15:16], v[7:8], v[15:16], v[17:18]
	s_clause 0x2
	buffer_load_dword v108, off, s[0:3], 0 offset:396
	buffer_load_dword v18, off, s[0:3], 0 offset:372
	;; [unrolled: 1-line block ×3, first 2 shown]
	s_waitcnt vmcnt(57)
	v_fma_f64 v[114:115], v[1:2], v[9:10], -v[110:111]
	ds_read_b128 v[5:8], v98 offset:1056
	v_fma_f64 v[9:10], v[3:4], v[9:10], v[13:14]
	s_waitcnt vmcnt(51)
	v_fma_f64 v[99:100], v[99:100], v[33:34], -v[11:12]
	v_fma_f64 v[33:34], v[101:102], v[33:34], v[112:113]
	v_add_f64 v[103:104], v[103:104], 0
	v_add_f64 v[13:14], v[15:16], 0
	s_clause 0x4
	buffer_load_dword v16, off, s[0:3], 0 offset:412
	buffer_load_dword v111, off, s[0:3], 0 offset:424
	;; [unrolled: 1-line block ×5, first 2 shown]
	s_waitcnt lgkmcnt(0)
	v_mul_f64 v[117:118], v[5:6], v[21:22]
	v_mul_f64 v[21:22], v[7:8], v[21:22]
	ds_read_b128 v[1:4], v98 offset:1072
	s_clause 0x2
	buffer_load_dword v112, off, s[0:3], 0 offset:428
	buffer_load_dword v102, off, s[0:3], 0 offset:404
	buffer_load_dword v101, off, s[0:3], 0 offset:400
	v_add_f64 v[103:104], v[103:104], v[114:115]
	v_add_f64 v[13:14], v[13:14], v[9:10]
	ds_read_b128 v[9:12], v98 offset:1088
	s_waitcnt vmcnt(58) lgkmcnt(1)
	v_mul_f64 v[113:114], v[1:2], v[25:26]
	v_mul_f64 v[25:26], v[3:4], v[25:26]
	s_waitcnt vmcnt(56)
	v_fma_f64 v[21:22], v[5:6], v[27:28], -v[21:22]
	v_fma_f64 v[27:28], v[7:8], v[27:28], v[117:118]
	s_waitcnt vmcnt(52) lgkmcnt(0)
	v_mul_f64 v[119:120], v[9:10], v[29:30]
	v_add_f64 v[99:100], v[103:104], v[99:100]
	v_add_f64 v[13:14], v[13:14], v[33:34]
	s_clause 0x4
	buffer_load_dword v34, off, s[0:3], 0 offset:444
	buffer_load_dword v103, off, s[0:3], 0 offset:456
	;; [unrolled: 1-line block ×5, first 2 shown]
	v_mul_f64 v[29:30], v[11:12], v[29:30]
	s_waitcnt vmcnt(56)
	v_fma_f64 v[25:26], v[1:2], v[19:20], -v[25:26]
	ds_read_b128 v[5:8], v98 offset:1104
	v_fma_f64 v[19:20], v[3:4], v[19:20], v[113:114]
	v_add_f64 v[21:22], v[99:100], v[21:22]
	v_add_f64 v[13:14], v[13:14], v[27:28]
	s_clause 0x2
	buffer_load_dword v104, off, s[0:3], 0 offset:460
	buffer_load_dword v28, off, s[0:3], 0 offset:436
	;; [unrolled: 1-line block ×3, first 2 shown]
	s_waitcnt vmcnt(58) lgkmcnt(0)
	v_mul_f64 v[99:100], v[5:6], v[35:36]
	v_mul_f64 v[35:36], v[7:8], v[35:36]
	s_waitcnt vmcnt(56)
	v_fma_f64 v[29:30], v[9:10], v[37:38], -v[29:30]
	ds_read_b128 v[1:4], v98 offset:1120
	v_add_f64 v[21:22], v[21:22], v[25:26]
	v_fma_f64 v[25:26], v[11:12], v[37:38], v[119:120]
	v_add_f64 v[13:14], v[13:14], v[19:20]
	s_clause 0x4
	buffer_load_dword v20, off, s[0:3], 0 offset:476
	buffer_load_dword v37, off, s[0:3], 0 offset:488
	;; [unrolled: 1-line block ×5, first 2 shown]
	s_waitcnt vmcnt(57) lgkmcnt(0)
	v_mul_f64 v[114:115], v[1:2], v[39:40]
	v_mul_f64 v[39:40], v[3:4], v[39:40]
	s_waitcnt vmcnt(56)
	v_fma_f64 v[35:36], v[5:6], v[23:24], -v[35:36]
	ds_read_b128 v[9:12], v98 offset:1136
	v_fma_f64 v[23:24], v[7:8], v[23:24], v[99:100]
	v_add_f64 v[21:22], v[21:22], v[29:30]
	v_add_f64 v[13:14], v[13:14], v[25:26]
	s_clause 0x2
	buffer_load_dword v38, off, s[0:3], 0 offset:492
	buffer_load_dword v26, off, s[0:3], 0 offset:468
	;; [unrolled: 1-line block ×3, first 2 shown]
	ds_read_b128 v[5:8], v98 offset:1152
	s_waitcnt vmcnt(58) lgkmcnt(1)
	v_mul_f64 v[29:30], v[9:10], v[43:44]
	v_mul_f64 v[43:44], v[11:12], v[43:44]
	s_waitcnt vmcnt(56)
	v_fma_f64 v[39:40], v[1:2], v[45:46], -v[39:40]
	v_add_f64 v[21:22], v[21:22], v[35:36]
	v_fma_f64 v[35:36], v[3:4], v[45:46], v[114:115]
	v_add_f64 v[13:14], v[13:14], v[23:24]
	s_clause 0x4
	buffer_load_dword v24, off, s[0:3], 0 offset:508
	buffer_load_dword v45, off, s[0:3], 0 offset:520
	;; [unrolled: 1-line block ×5, first 2 shown]
	s_waitcnt vmcnt(57) lgkmcnt(0)
	v_mul_f64 v[120:121], v[5:6], v[47:48]
	v_mul_f64 v[47:48], v[7:8], v[47:48]
	s_waitcnt vmcnt(56)
	v_fma_f64 v[43:44], v[9:10], v[31:32], -v[43:44]
	ds_read_b128 v[1:4], v98 offset:1168
	v_fma_f64 v[29:30], v[11:12], v[31:32], v[29:30]
	s_clause 0x2
	buffer_load_dword v46, off, s[0:3], 0 offset:524
	buffer_load_dword v32, off, s[0:3], 0 offset:500
	;; [unrolled: 1-line block ×3, first 2 shown]
	ds_read_b128 v[9:12], v98 offset:1184
	v_add_f64 v[21:22], v[21:22], v[39:40]
	v_add_f64 v[13:14], v[13:14], v[35:36]
	s_waitcnt vmcnt(58) lgkmcnt(1)
	v_mul_f64 v[39:40], v[3:4], v[51:52]
	s_waitcnt vmcnt(56)
	v_fma_f64 v[47:48], v[5:6], v[53:54], -v[47:48]
	v_mul_f64 v[35:36], v[1:2], v[51:52]
	v_add_f64 v[21:22], v[21:22], v[43:44]
	v_fma_f64 v[43:44], v[7:8], v[53:54], v[120:121]
	v_add_f64 v[13:14], v[13:14], v[29:30]
	s_clause 0x4
	buffer_load_dword v30, off, s[0:3], 0 offset:540
	buffer_load_dword v51, off, s[0:3], 0 offset:552
	;; [unrolled: 1-line block ×5, first 2 shown]
	s_waitcnt vmcnt(57) lgkmcnt(0)
	v_mul_f64 v[120:121], v[9:10], v[55:56]
	v_mul_f64 v[54:55], v[11:12], v[55:56]
	s_waitcnt vmcnt(56)
	v_fma_f64 v[39:40], v[1:2], v[41:42], -v[39:40]
	ds_read_b128 v[5:8], v98 offset:1200
	v_fma_f64 v[35:36], v[3:4], v[41:42], v[35:36]
	s_clause 0x2
	buffer_load_dword v52, off, s[0:3], 0 offset:556
	buffer_load_dword v42, off, s[0:3], 0 offset:532
	;; [unrolled: 1-line block ×3, first 2 shown]
	ds_read_b128 v[1:4], v98 offset:1216
	v_add_f64 v[21:22], v[21:22], v[47:48]
	v_add_f64 v[13:14], v[13:14], v[43:44]
	s_waitcnt vmcnt(58) lgkmcnt(1)
	v_mul_f64 v[47:48], v[7:8], v[63:64]
	s_waitcnt vmcnt(56)
	v_fma_f64 v[55:56], v[9:10], v[89:90], -v[54:55]
	v_mul_f64 v[43:44], v[5:6], v[63:64]
	v_add_f64 v[21:22], v[21:22], v[39:40]
	v_fma_f64 v[39:40], v[11:12], v[89:90], v[120:121]
	v_add_f64 v[13:14], v[13:14], v[35:36]
	s_clause 0x4
	buffer_load_dword v36, off, s[0:3], 0 offset:572
	buffer_load_dword v63, off, s[0:3], 0 offset:584
	buffer_load_dword v89, off, s[0:3], 0 offset:576
	buffer_load_dword v35, off, s[0:3], 0 offset:568
	buffer_load_dword v54, off, s[0:3], 0 offset:548
	s_waitcnt vmcnt(57) lgkmcnt(0)
	v_mul_f64 v[120:121], v[1:2], v[91:92]
	v_mul_f64 v[90:91], v[3:4], v[91:92]
	s_waitcnt vmcnt(56)
	v_fma_f64 v[47:48], v[5:6], v[49:50], -v[47:48]
	ds_read_b128 v[9:12], v98 offset:1232
	v_fma_f64 v[43:44], v[7:8], v[49:50], v[43:44]
	v_add_f64 v[21:22], v[21:22], v[55:56]
	v_add_f64 v[13:14], v[13:14], v[39:40]
	s_clause 0x2
	buffer_load_dword v64, off, s[0:3], 0 offset:588
	buffer_load_dword v40, off, s[0:3], 0 offset:564
	;; [unrolled: 1-line block ×3, first 2 shown]
	ds_read_b128 v[5:8], v98 offset:1248
	s_waitcnt vmcnt(58) lgkmcnt(1)
	v_mul_f64 v[55:56], v[11:12], v[93:94]
	s_waitcnt vmcnt(56)
	v_fma_f64 v[91:92], v[1:2], v[95:96], -v[90:91]
	v_mul_f64 v[49:50], v[9:10], v[93:94]
	v_add_f64 v[21:22], v[21:22], v[47:48]
	v_fma_f64 v[47:48], v[3:4], v[95:96], v[120:121]
	v_add_f64 v[13:14], v[13:14], v[43:44]
	s_clause 0x4
	buffer_load_dword v44, off, s[0:3], 0 offset:604
	buffer_load_dword v93, off, s[0:3], 0 offset:616
	;; [unrolled: 1-line block ×5, first 2 shown]
	s_waitcnt vmcnt(57) lgkmcnt(0)
	v_mul_f64 v[120:121], v[5:6], v[105:106]
	v_mul_f64 v[105:106], v[7:8], v[105:106]
	s_waitcnt vmcnt(56)
	v_fma_f64 v[55:56], v[9:10], v[61:62], -v[55:56]
	ds_read_b128 v[1:4], v98 offset:1264
	v_fma_f64 v[49:50], v[11:12], v[61:62], v[49:50]
	v_add_f64 v[21:22], v[21:22], v[91:92]
	v_add_f64 v[13:14], v[13:14], v[47:48]
	s_clause 0x2
	buffer_load_dword v94, off, s[0:3], 0 offset:620
	buffer_load_dword v48, off, s[0:3], 0 offset:596
	;; [unrolled: 1-line block ×3, first 2 shown]
	ds_read_b128 v[9:12], v98 offset:1280
	s_waitcnt vmcnt(58) lgkmcnt(1)
	v_mul_f64 v[91:92], v[3:4], v[107:108]
	v_mul_f64 v[61:62], v[1:2], v[107:108]
	s_waitcnt vmcnt(56)
	v_fma_f64 v[105:106], v[5:6], v[17:18], -v[105:106]
	v_fma_f64 v[17:18], v[7:8], v[17:18], v[120:121]
	v_add_f64 v[21:22], v[21:22], v[55:56]
	v_add_f64 v[13:14], v[13:14], v[49:50]
	s_clause 0x4
	buffer_load_dword v50, off, s[0:3], 0 offset:636
	buffer_load_dword v55, off, s[0:3], 0 offset:648
	;; [unrolled: 1-line block ×5, first 2 shown]
	ds_read_b128 v[5:8], v98 offset:1296
	s_waitcnt vmcnt(57) lgkmcnt(1)
	v_mul_f64 v[120:121], v[9:10], v[15:16]
	v_mul_f64 v[15:16], v[11:12], v[15:16]
	s_waitcnt vmcnt(56)
	v_fma_f64 v[91:92], v[1:2], v[109:110], -v[91:92]
	v_fma_f64 v[61:62], v[3:4], v[109:110], v[61:62]
	v_add_f64 v[21:22], v[21:22], v[105:106]
	v_add_f64 v[13:14], v[13:14], v[17:18]
	s_clause 0x2
	buffer_load_dword v56, off, s[0:3], 0 offset:652
	buffer_load_dword v18, off, s[0:3], 0 offset:628
	;; [unrolled: 1-line block ×3, first 2 shown]
	s_waitcnt vmcnt(58) lgkmcnt(0)
	v_mul_f64 v[109:110], v[7:8], v[111:112]
	ds_read_b128 v[1:4], v98 offset:1312
	v_mul_f64 v[105:106], v[5:6], v[111:112]
	s_waitcnt vmcnt(56)
	v_fma_f64 v[15:16], v[9:10], v[101:102], -v[15:16]
	v_add_f64 v[21:22], v[21:22], v[91:92]
	v_fma_f64 v[91:92], v[11:12], v[101:102], v[120:121]
	v_add_f64 v[13:14], v[13:14], v[61:62]
	s_clause 0x4
	buffer_load_dword v62, off, s[0:3], 0 offset:668
	buffer_load_dword v101, off, s[0:3], 0 offset:680
	;; [unrolled: 1-line block ×5, first 2 shown]
	ds_read_b128 v[9:12], v98 offset:1328
	s_waitcnt vmcnt(57) lgkmcnt(1)
	v_mul_f64 v[120:121], v[1:2], v[33:34]
	v_mul_f64 v[33:34], v[3:4], v[33:34]
	s_waitcnt vmcnt(56)
	v_fma_f64 v[109:110], v[5:6], v[116:117], -v[109:110]
	v_add_f64 v[15:16], v[21:22], v[15:16]
	v_fma_f64 v[21:22], v[7:8], v[116:117], v[105:106]
	v_add_f64 v[13:14], v[13:14], v[91:92]
	s_clause 0x2
	buffer_load_dword v102, off, s[0:3], 0 offset:684
	buffer_load_dword v92, off, s[0:3], 0 offset:660
	;; [unrolled: 1-line block ×3, first 2 shown]
	ds_read_b128 v[5:8], v98 offset:1344
	s_waitcnt vmcnt(58) lgkmcnt(1)
	v_mul_f64 v[105:106], v[9:10], v[103:104]
	v_mul_f64 v[103:104], v[11:12], v[103:104]
	s_waitcnt vmcnt(56)
	v_fma_f64 v[33:34], v[1:2], v[27:28], -v[33:34]
	v_fma_f64 v[27:28], v[3:4], v[27:28], v[120:121]
	v_add_f64 v[15:16], v[15:16], v[109:110]
	v_add_f64 v[13:14], v[13:14], v[21:22]
	s_clause 0x4
	buffer_load_dword v22, off, s[0:3], 0 offset:700
	buffer_load_dword v109, off, s[0:3], 0 offset:712
	;; [unrolled: 1-line block ×5, first 2 shown]
	ds_read_b128 v[1:4], v98 offset:1360
	s_waitcnt vmcnt(57) lgkmcnt(1)
	v_mul_f64 v[116:117], v[5:6], v[19:20]
	v_mul_f64 v[19:20], v[7:8], v[19:20]
	s_waitcnt vmcnt(56)
	v_fma_f64 v[103:104], v[9:10], v[118:119], -v[103:104]
	v_add_f64 v[15:16], v[15:16], v[33:34]
	v_fma_f64 v[33:34], v[11:12], v[118:119], v[105:106]
	v_add_f64 v[13:14], v[13:14], v[27:28]
	s_clause 0x2
	buffer_load_dword v110, off, s[0:3], 0 offset:716
	buffer_load_dword v28, off, s[0:3], 0 offset:692
	;; [unrolled: 1-line block ×3, first 2 shown]
	ds_read_b128 v[9:12], v98 offset:1376
	s_waitcnt vmcnt(58) lgkmcnt(1)
	v_mul_f64 v[105:106], v[1:2], v[37:38]
	v_mul_f64 v[37:38], v[3:4], v[37:38]
	s_waitcnt vmcnt(56)
	v_fma_f64 v[19:20], v[5:6], v[25:26], -v[19:20]
	v_fma_f64 v[25:26], v[7:8], v[25:26], v[116:117]
	v_add_f64 v[15:16], v[15:16], v[103:104]
	v_add_f64 v[13:14], v[13:14], v[33:34]
	s_clause 0x4
	buffer_load_dword v34, off, s[0:3], 0 offset:732
	buffer_load_dword v103, off, s[0:3], 0 offset:744
	;; [unrolled: 1-line block ×5, first 2 shown]
	ds_read_b128 v[5:8], v98 offset:1392
	s_waitcnt vmcnt(57) lgkmcnt(1)
	v_mul_f64 v[118:119], v[9:10], v[23:24]
	v_mul_f64 v[23:24], v[11:12], v[23:24]
	s_waitcnt vmcnt(56)
	v_fma_f64 v[37:38], v[1:2], v[113:114], -v[37:38]
	v_add_f64 v[15:16], v[15:16], v[19:20]
	v_fma_f64 v[19:20], v[3:4], v[113:114], v[105:106]
	v_add_f64 v[13:14], v[13:14], v[25:26]
	s_clause 0x2
	buffer_load_dword v104, off, s[0:3], 0 offset:748
	buffer_load_dword v26, off, s[0:3], 0 offset:724
	;; [unrolled: 1-line block ×3, first 2 shown]
	s_waitcnt vmcnt(58) lgkmcnt(0)
	v_mul_f64 v[105:106], v[5:6], v[45:46]
	v_mul_f64 v[45:46], v[7:8], v[45:46]
	ds_read_b128 v[1:4], v98 offset:1408
	s_waitcnt vmcnt(56)
	v_fma_f64 v[23:24], v[9:10], v[31:32], -v[23:24]
	v_fma_f64 v[31:32], v[11:12], v[31:32], v[118:119]
	v_add_f64 v[15:16], v[15:16], v[37:38]
	v_add_f64 v[13:14], v[13:14], v[19:20]
	s_clause 0x4
	buffer_load_dword v20, off, s[0:3], 0 offset:764
	buffer_load_dword v37, off, s[0:3], 0 offset:776
	;; [unrolled: 1-line block ×5, first 2 shown]
	ds_read_b128 v[9:12], v98 offset:1424
	s_waitcnt vmcnt(57) lgkmcnt(1)
	v_mul_f64 v[119:120], v[1:2], v[29:30]
	v_mul_f64 v[29:30], v[3:4], v[29:30]
	s_waitcnt vmcnt(56)
	v_fma_f64 v[45:46], v[5:6], v[99:100], -v[45:46]
	v_add_f64 v[15:16], v[15:16], v[23:24]
	v_fma_f64 v[23:24], v[7:8], v[99:100], v[105:106]
	v_add_f64 v[13:14], v[13:14], v[31:32]
	s_clause 0x2
	buffer_load_dword v38, off, s[0:3], 0 offset:780
	buffer_load_dword v32, off, s[0:3], 0 offset:756
	;; [unrolled: 1-line block ×3, first 2 shown]
	s_waitcnt vmcnt(58) lgkmcnt(0)
	v_mul_f64 v[99:100], v[9:10], v[51:52]
	v_mul_f64 v[51:52], v[11:12], v[51:52]
	ds_read_b128 v[5:8], v98 offset:1440
	s_waitcnt vmcnt(56)
	v_fma_f64 v[29:30], v[1:2], v[41:42], -v[29:30]
	v_fma_f64 v[41:42], v[3:4], v[41:42], v[119:120]
	v_add_f64 v[15:16], v[15:16], v[45:46]
	v_add_f64 v[13:14], v[13:14], v[23:24]
	s_clause 0x4
	buffer_load_dword v24, off, s[0:3], 0 offset:796
	buffer_load_dword v45, off, s[0:3], 0 offset:808
	buffer_load_dword v105, off, s[0:3], 0 offset:800
	buffer_load_dword v23, off, s[0:3], 0 offset:792
	buffer_load_dword v114, off, s[0:3], 0 offset:772
	ds_read_b128 v[1:4], v98 offset:1456
	s_waitcnt vmcnt(57) lgkmcnt(1)
	v_mul_f64 v[119:120], v[5:6], v[35:36]
	v_mul_f64 v[35:36], v[7:8], v[35:36]
	s_waitcnt vmcnt(56)
	v_fma_f64 v[51:52], v[9:10], v[53:54], -v[51:52]
	v_add_f64 v[15:16], v[15:16], v[29:30]
	v_fma_f64 v[29:30], v[11:12], v[53:54], v[99:100]
	v_add_f64 v[13:14], v[13:14], v[41:42]
	s_clause 0x2
	buffer_load_dword v46, off, s[0:3], 0 offset:812
	buffer_load_dword v42, off, s[0:3], 0 offset:788
	buffer_load_dword v41, off, s[0:3], 0 offset:784
	ds_read_b128 v[9:12], v98 offset:1472
	s_waitcnt vmcnt(58) lgkmcnt(1)
	v_mul_f64 v[53:54], v[1:2], v[63:64]
	v_mul_f64 v[63:64], v[3:4], v[63:64]
	s_waitcnt vmcnt(56)
	v_fma_f64 v[35:36], v[5:6], v[39:40], -v[35:36]
	v_fma_f64 v[39:40], v[7:8], v[39:40], v[119:120]
	v_add_f64 v[15:16], v[15:16], v[51:52]
	v_add_f64 v[13:14], v[13:14], v[29:30]
	s_clause 0x4
	buffer_load_dword v30, off, s[0:3], 0 offset:828
	buffer_load_dword v51, off, s[0:3], 0 offset:840
	buffer_load_dword v99, off, s[0:3], 0 offset:832
	buffer_load_dword v29, off, s[0:3], 0 offset:824
	buffer_load_dword v106, off, s[0:3], 0 offset:804
	ds_read_b128 v[5:8], v98 offset:1488
	s_waitcnt vmcnt(57) lgkmcnt(1)
	v_mul_f64 v[119:120], v[9:10], v[43:44]
	v_mul_f64 v[43:44], v[11:12], v[43:44]
	s_waitcnt vmcnt(56)
	v_fma_f64 v[63:64], v[1:2], v[89:90], -v[63:64]
	v_add_f64 v[15:16], v[15:16], v[35:36]
	v_fma_f64 v[35:36], v[3:4], v[89:90], v[53:54]
	v_add_f64 v[13:14], v[13:14], v[39:40]
	s_clause 0x2
	buffer_load_dword v52, off, s[0:3], 0 offset:844
	buffer_load_dword v40, off, s[0:3], 0 offset:820
	buffer_load_dword v39, off, s[0:3], 0 offset:816
	ds_read_b128 v[1:4], v98 offset:1504
	s_waitcnt vmcnt(58) lgkmcnt(1)
	v_mul_f64 v[89:90], v[7:8], v[93:94]
	v_mul_f64 v[53:54], v[5:6], v[93:94]
	;; [unrolled: 28-line block ×3, first 2 shown]
	s_waitcnt vmcnt(56)
	v_fma_f64 v[49:50], v[1:2], v[17:18], -v[49:50]
	v_fma_f64 v[17:18], v[3:4], v[17:18], v[119:120]
	v_add_f64 v[15:16], v[15:16], v[89:90]
	v_add_f64 v[13:14], v[13:14], v[43:44]
	s_clause 0x4
	buffer_load_dword v44, off, s[0:3], 0 offset:892
	buffer_load_dword v89, off, s[0:3], 0 offset:904
	;; [unrolled: 1-line block ×5, first 2 shown]
	ds_read_b128 v[1:4], v98 offset:1552
	s_waitcnt vmcnt(57) lgkmcnt(1)
	v_mul_f64 v[119:120], v[5:6], v[61:62]
	v_mul_f64 v[61:62], v[7:8], v[61:62]
	s_waitcnt vmcnt(56)
	v_fma_f64 v[55:56], v[9:10], v[107:108], -v[55:56]
	v_add_f64 v[15:16], v[15:16], v[49:50]
	v_fma_f64 v[49:50], v[11:12], v[107:108], v[53:54]
	v_add_f64 v[13:14], v[13:14], v[17:18]
	s_clause 0x2
	buffer_load_dword v90, off, s[0:3], 0 offset:908
	buffer_load_dword v18, off, s[0:3], 0 offset:884
	;; [unrolled: 1-line block ×3, first 2 shown]
	ds_read_b128 v[9:12], v98 offset:1568
	buffer_load_dword v96, off, s[0:3], 0 offset:900
	s_waitcnt vmcnt(59) lgkmcnt(1)
	v_mul_f64 v[53:54], v[1:2], v[101:102]
	v_mul_f64 v[101:102], v[3:4], v[101:102]
	s_waitcnt vmcnt(57)
	v_fma_f64 v[61:62], v[5:6], v[91:92], -v[61:62]
	v_add_f64 v[15:16], v[15:16], v[55:56]
	v_fma_f64 v[55:56], v[7:8], v[91:92], v[119:120]
	v_add_f64 v[13:14], v[13:14], v[49:50]
	ds_read_b128 v[5:8], v98 offset:1584
	s_waitcnt vmcnt(53) lgkmcnt(1)
	v_mul_f64 v[49:50], v[9:10], v[21:22]
	v_mul_f64 v[21:22], v[11:12], v[21:22]
	s_waitcnt vmcnt(52)
	v_fma_f64 v[91:92], v[1:2], v[111:112], -v[101:102]
	v_fma_f64 v[53:54], v[3:4], v[111:112], v[53:54]
	ds_read_b128 v[1:4], v98 offset:1600
	v_add_f64 v[15:16], v[15:16], v[61:62]
	v_add_f64 v[13:14], v[13:14], v[55:56]
	s_waitcnt vmcnt(51) lgkmcnt(1)
	v_mul_f64 v[61:62], v[7:8], v[109:110]
	v_mul_f64 v[55:56], v[5:6], v[109:110]
	s_waitcnt vmcnt(49)
	v_fma_f64 v[21:22], v[9:10], v[27:28], -v[21:22]
	v_fma_f64 v[27:28], v[11:12], v[27:28], v[49:50]
	v_add_f64 v[15:16], v[15:16], v[91:92]
	v_add_f64 v[13:14], v[13:14], v[53:54]
	s_clause 0x3
	buffer_load_dword v49, off, s[0:3], 0 offset:112
	buffer_load_dword v50, off, s[0:3], 0 offset:116
	;; [unrolled: 1-line block ×4, first 2 shown]
	ds_read_b128 v[9:12], v98 offset:1616
	s_waitcnt vmcnt(49) lgkmcnt(1)
	v_mul_f64 v[91:92], v[1:2], v[33:34]
	v_mul_f64 v[33:34], v[3:4], v[33:34]
	s_waitcnt vmcnt(48)
	v_fma_f64 v[61:62], v[5:6], v[115:116], -v[61:62]
	v_add_f64 v[15:16], v[15:16], v[21:22]
	v_fma_f64 v[21:22], v[7:8], v[115:116], v[55:56]
	v_add_f64 v[13:14], v[13:14], v[27:28]
	ds_read_b128 v[5:8], v98 offset:1632
	s_waitcnt vmcnt(47) lgkmcnt(1)
	v_mul_f64 v[55:56], v[11:12], v[103:104]
	v_mul_f64 v[27:28], v[9:10], v[103:104]
	s_waitcnt vmcnt(45)
	v_fma_f64 v[33:34], v[1:2], v[25:26], -v[33:34]
	v_fma_f64 v[25:26], v[3:4], v[25:26], v[91:92]
	ds_read_b128 v[1:4], v98 offset:1648
	v_add_f64 v[15:16], v[15:16], v[61:62]
	v_add_f64 v[13:14], v[13:14], v[21:22]
	s_waitcnt vmcnt(41) lgkmcnt(1)
	v_mul_f64 v[21:22], v[5:6], v[19:20]
	v_mul_f64 v[19:20], v[7:8], v[19:20]
	s_waitcnt vmcnt(40)
	v_fma_f64 v[55:56], v[9:10], v[117:118], -v[55:56]
	v_fma_f64 v[27:28], v[11:12], v[117:118], v[27:28]
	ds_read_b128 v[9:12], v98 offset:1664
	v_add_f64 v[15:16], v[15:16], v[33:34]
	v_add_f64 v[13:14], v[13:14], v[25:26]
	;; [unrolled: 9-line block ×3, first 2 shown]
	s_waitcnt vmcnt(33) lgkmcnt(1)
	v_mul_f64 v[27:28], v[9:10], v[23:24]
	v_mul_f64 v[23:24], v[11:12], v[23:24]
	s_waitcnt vmcnt(32)
	v_fma_f64 v[31:32], v[1:2], v[113:114], -v[33:34]
	v_add_f64 v[15:16], v[15:16], v[19:20]
	v_fma_f64 v[19:20], v[3:4], v[113:114], v[25:26]
	v_add_f64 v[13:14], v[13:14], v[21:22]
	ds_read_b128 v[1:4], v98 offset:1696
	s_waitcnt vmcnt(31) lgkmcnt(1)
	v_mul_f64 v[25:26], v[7:8], v[45:46]
	v_mul_f64 v[21:22], v[5:6], v[45:46]
	s_waitcnt vmcnt(29)
	v_fma_f64 v[23:24], v[9:10], v[41:42], -v[23:24]
	v_fma_f64 v[27:28], v[11:12], v[41:42], v[27:28]
	ds_read_b128 v[9:12], v98 offset:1712
	v_add_f64 v[15:16], v[15:16], v[31:32]
	v_add_f64 v[13:14], v[13:14], v[19:20]
	s_waitcnt vmcnt(25) lgkmcnt(1)
	v_mul_f64 v[19:20], v[1:2], v[29:30]
	v_mul_f64 v[29:30], v[3:4], v[29:30]
	s_waitcnt vmcnt(24)
	v_fma_f64 v[25:26], v[5:6], v[105:106], -v[25:26]
	v_fma_f64 v[21:22], v[7:8], v[105:106], v[21:22]
	ds_read_b128 v[5:8], v98 offset:1728
	v_add_f64 v[15:16], v[15:16], v[23:24]
	v_add_f64 v[13:14], v[13:14], v[27:28]
	;; [unrolled: 9-line block ×3, first 2 shown]
	s_waitcnt vmcnt(17) lgkmcnt(1)
	v_mul_f64 v[25:26], v[7:8], v[35:36]
	s_waitcnt vmcnt(16)
	v_fma_f64 v[27:28], v[9:10], v[99:100], -v[27:28]
	v_mul_f64 v[21:22], v[5:6], v[35:36]
	v_fma_f64 v[23:24], v[11:12], v[99:100], v[23:24]
	ds_read_b128 v[9:12], v98 offset:1760
	v_add_f64 v[15:16], v[15:16], v[29:30]
	v_add_f64 v[13:14], v[13:14], v[19:20]
	s_waitcnt vmcnt(15) lgkmcnt(1)
	v_mul_f64 v[29:30], v[3:4], v[63:64]
	v_mul_f64 v[19:20], v[1:2], v[63:64]
	s_waitcnt vmcnt(13)
	v_fma_f64 v[25:26], v[5:6], v[47:48], -v[25:26]
	v_fma_f64 v[21:22], v[7:8], v[47:48], v[21:22]
	ds_read_b128 v[5:8], v98 offset:1776
	v_add_f64 v[15:16], v[15:16], v[27:28]
	v_add_f64 v[13:14], v[13:14], v[23:24]
	s_waitcnt vmcnt(9) lgkmcnt(1)
	v_mul_f64 v[27:28], v[11:12], v[43:44]
	s_waitcnt vmcnt(8)
	v_fma_f64 v[1:2], v[1:2], v[93:94], -v[29:30]
	v_mul_f64 v[23:24], v[9:10], v[43:44]
	v_fma_f64 v[3:4], v[3:4], v[93:94], v[19:20]
	v_add_f64 v[15:16], v[15:16], v[25:26]
	v_add_f64 v[13:14], v[13:14], v[21:22]
	s_waitcnt vmcnt(7) lgkmcnt(0)
	v_mul_f64 v[21:22], v[7:8], v[89:90]
	v_mul_f64 v[19:20], v[5:6], v[89:90]
	s_waitcnt vmcnt(5)
	v_fma_f64 v[9:10], v[9:10], v[17:18], -v[27:28]
	v_fma_f64 v[11:12], v[11:12], v[17:18], v[23:24]
	v_add_f64 v[1:2], v[15:16], v[1:2]
	v_add_f64 v[3:4], v[13:14], v[3:4]
	s_waitcnt vmcnt(4)
	v_fma_f64 v[5:6], v[5:6], v[95:96], -v[21:22]
	v_fma_f64 v[7:8], v[7:8], v[95:96], v[19:20]
	v_add_f64 v[1:2], v[1:2], v[9:10]
	v_add_f64 v[3:4], v[3:4], v[11:12]
	;; [unrolled: 1-line block ×4, first 2 shown]
	s_waitcnt vmcnt(2)
	v_add_f64 v[1:2], v[49:50], -v[1:2]
	s_waitcnt vmcnt(0)
	v_add_f64 v[3:4], v[53:54], -v[3:4]
	buffer_store_dword v2, off, s[0:3], 0 offset:116
	buffer_store_dword v1, off, s[0:3], 0 offset:112
	;; [unrolled: 1-line block ×4, first 2 shown]
	v_cmpx_lt_u32_e32 5, v0
	s_cbranch_execz .LBB55_339
; %bb.338:
	v_mov_b32_e32 v4, s63
	s_clause 0x3
	buffer_load_dword v1, v4, s[0:3], 0 offen
	buffer_load_dword v2, v4, s[0:3], 0 offen offset:4
	buffer_load_dword v3, v4, s[0:3], 0 offen offset:8
	;; [unrolled: 1-line block ×3, first 2 shown]
	buffer_store_dword v98, off, s[0:3], 0 offset:96
	buffer_store_dword v98, off, s[0:3], 0 offset:100
	;; [unrolled: 1-line block ×4, first 2 shown]
	s_waitcnt vmcnt(0)
	ds_write_b128 v97, v[1:4]
.LBB55_339:
	s_or_b32 exec_lo, exec_lo, s4
	s_waitcnt lgkmcnt(0)
	s_waitcnt_vscnt null, 0x0
	s_barrier
	buffer_gl0_inv
	s_clause 0x37
	buffer_load_dword v17, off, s[0:3], 0 offset:120
	buffer_load_dword v18, off, s[0:3], 0 offset:124
	;; [unrolled: 1-line block ×56, first 2 shown]
	ds_read_b128 v[5:8], v98 offset:992
	s_clause 0x2
	buffer_load_dword v94, off, s[0:3], 0 offset:348
	buffer_load_dword v96, off, s[0:3], 0 offset:324
	;; [unrolled: 1-line block ×3, first 2 shown]
	ds_read_b128 v[1:4], v98 offset:1008
	s_clause 0x4
	buffer_load_dword v106, off, s[0:3], 0 offset:364
	buffer_load_dword v107, off, s[0:3], 0 offset:376
	buffer_load_dword v109, off, s[0:3], 0 offset:368
	buffer_load_dword v105, off, s[0:3], 0 offset:360
	buffer_load_dword v62, off, s[0:3], 0 offset:340
	ds_read_b128 v[99:102], v98 offset:1024
	s_mov_b32 s4, exec_lo
	s_waitcnt vmcnt(62) lgkmcnt(2)
	v_mul_f64 v[103:104], v[7:8], v[17:18]
	v_mul_f64 v[17:18], v[5:6], v[17:18]
	s_waitcnt vmcnt(60) lgkmcnt(1)
	v_mul_f64 v[110:111], v[3:4], v[13:14]
	v_mul_f64 v[13:14], v[1:2], v[13:14]
	;; [unrolled: 3-line block ×3, first 2 shown]
	v_fma_f64 v[103:104], v[5:6], v[15:16], -v[103:104]
	v_fma_f64 v[15:16], v[7:8], v[15:16], v[17:18]
	s_clause 0x2
	buffer_load_dword v108, off, s[0:3], 0 offset:380
	buffer_load_dword v18, off, s[0:3], 0 offset:356
	;; [unrolled: 1-line block ×3, first 2 shown]
	s_waitcnt vmcnt(57)
	v_fma_f64 v[114:115], v[1:2], v[9:10], -v[110:111]
	ds_read_b128 v[5:8], v98 offset:1040
	v_fma_f64 v[9:10], v[3:4], v[9:10], v[13:14]
	s_waitcnt vmcnt(51)
	v_fma_f64 v[99:100], v[99:100], v[33:34], -v[11:12]
	v_fma_f64 v[33:34], v[101:102], v[33:34], v[112:113]
	v_add_f64 v[103:104], v[103:104], 0
	v_add_f64 v[13:14], v[15:16], 0
	s_clause 0x4
	buffer_load_dword v16, off, s[0:3], 0 offset:396
	buffer_load_dword v111, off, s[0:3], 0 offset:408
	;; [unrolled: 1-line block ×5, first 2 shown]
	s_waitcnt lgkmcnt(0)
	v_mul_f64 v[117:118], v[5:6], v[21:22]
	v_mul_f64 v[21:22], v[7:8], v[21:22]
	ds_read_b128 v[1:4], v98 offset:1056
	s_clause 0x2
	buffer_load_dword v112, off, s[0:3], 0 offset:412
	buffer_load_dword v102, off, s[0:3], 0 offset:388
	;; [unrolled: 1-line block ×3, first 2 shown]
	v_add_f64 v[103:104], v[103:104], v[114:115]
	v_add_f64 v[13:14], v[13:14], v[9:10]
	ds_read_b128 v[9:12], v98 offset:1072
	s_waitcnt vmcnt(58) lgkmcnt(1)
	v_mul_f64 v[113:114], v[1:2], v[25:26]
	v_mul_f64 v[25:26], v[3:4], v[25:26]
	s_waitcnt vmcnt(56)
	v_fma_f64 v[21:22], v[5:6], v[27:28], -v[21:22]
	v_fma_f64 v[27:28], v[7:8], v[27:28], v[117:118]
	s_waitcnt vmcnt(52) lgkmcnt(0)
	v_mul_f64 v[119:120], v[9:10], v[29:30]
	v_add_f64 v[99:100], v[103:104], v[99:100]
	v_add_f64 v[13:14], v[13:14], v[33:34]
	s_clause 0x4
	buffer_load_dword v34, off, s[0:3], 0 offset:428
	buffer_load_dword v103, off, s[0:3], 0 offset:440
	;; [unrolled: 1-line block ×5, first 2 shown]
	v_mul_f64 v[29:30], v[11:12], v[29:30]
	s_waitcnt vmcnt(56)
	v_fma_f64 v[25:26], v[1:2], v[19:20], -v[25:26]
	ds_read_b128 v[5:8], v98 offset:1088
	v_fma_f64 v[19:20], v[3:4], v[19:20], v[113:114]
	v_add_f64 v[21:22], v[99:100], v[21:22]
	v_add_f64 v[13:14], v[13:14], v[27:28]
	s_clause 0x2
	buffer_load_dword v104, off, s[0:3], 0 offset:444
	buffer_load_dword v28, off, s[0:3], 0 offset:420
	buffer_load_dword v27, off, s[0:3], 0 offset:416
	s_waitcnt vmcnt(58) lgkmcnt(0)
	v_mul_f64 v[99:100], v[5:6], v[35:36]
	v_mul_f64 v[35:36], v[7:8], v[35:36]
	s_waitcnt vmcnt(56)
	v_fma_f64 v[29:30], v[9:10], v[37:38], -v[29:30]
	ds_read_b128 v[1:4], v98 offset:1104
	v_add_f64 v[21:22], v[21:22], v[25:26]
	v_fma_f64 v[25:26], v[11:12], v[37:38], v[119:120]
	v_add_f64 v[13:14], v[13:14], v[19:20]
	s_clause 0x4
	buffer_load_dword v20, off, s[0:3], 0 offset:460
	buffer_load_dword v37, off, s[0:3], 0 offset:472
	;; [unrolled: 1-line block ×5, first 2 shown]
	s_waitcnt vmcnt(57) lgkmcnt(0)
	v_mul_f64 v[114:115], v[1:2], v[39:40]
	v_mul_f64 v[39:40], v[3:4], v[39:40]
	s_waitcnt vmcnt(56)
	v_fma_f64 v[35:36], v[5:6], v[23:24], -v[35:36]
	ds_read_b128 v[9:12], v98 offset:1120
	v_fma_f64 v[23:24], v[7:8], v[23:24], v[99:100]
	v_add_f64 v[21:22], v[21:22], v[29:30]
	v_add_f64 v[13:14], v[13:14], v[25:26]
	s_clause 0x2
	buffer_load_dword v38, off, s[0:3], 0 offset:476
	buffer_load_dword v26, off, s[0:3], 0 offset:452
	;; [unrolled: 1-line block ×3, first 2 shown]
	ds_read_b128 v[5:8], v98 offset:1136
	s_waitcnt vmcnt(58) lgkmcnt(1)
	v_mul_f64 v[29:30], v[9:10], v[43:44]
	v_mul_f64 v[43:44], v[11:12], v[43:44]
	s_waitcnt vmcnt(56)
	v_fma_f64 v[39:40], v[1:2], v[45:46], -v[39:40]
	v_add_f64 v[21:22], v[21:22], v[35:36]
	v_fma_f64 v[35:36], v[3:4], v[45:46], v[114:115]
	v_add_f64 v[13:14], v[13:14], v[23:24]
	s_clause 0x4
	buffer_load_dword v24, off, s[0:3], 0 offset:492
	buffer_load_dword v45, off, s[0:3], 0 offset:504
	;; [unrolled: 1-line block ×5, first 2 shown]
	s_waitcnt vmcnt(57) lgkmcnt(0)
	v_mul_f64 v[120:121], v[5:6], v[47:48]
	v_mul_f64 v[47:48], v[7:8], v[47:48]
	s_waitcnt vmcnt(56)
	v_fma_f64 v[43:44], v[9:10], v[31:32], -v[43:44]
	ds_read_b128 v[1:4], v98 offset:1152
	v_fma_f64 v[29:30], v[11:12], v[31:32], v[29:30]
	s_clause 0x2
	buffer_load_dword v46, off, s[0:3], 0 offset:508
	buffer_load_dword v32, off, s[0:3], 0 offset:484
	;; [unrolled: 1-line block ×3, first 2 shown]
	ds_read_b128 v[9:12], v98 offset:1168
	v_add_f64 v[21:22], v[21:22], v[39:40]
	v_add_f64 v[13:14], v[13:14], v[35:36]
	s_waitcnt vmcnt(58) lgkmcnt(1)
	v_mul_f64 v[39:40], v[3:4], v[51:52]
	s_waitcnt vmcnt(56)
	v_fma_f64 v[47:48], v[5:6], v[53:54], -v[47:48]
	v_mul_f64 v[35:36], v[1:2], v[51:52]
	v_add_f64 v[21:22], v[21:22], v[43:44]
	v_fma_f64 v[43:44], v[7:8], v[53:54], v[120:121]
	v_add_f64 v[13:14], v[13:14], v[29:30]
	s_clause 0x4
	buffer_load_dword v30, off, s[0:3], 0 offset:524
	buffer_load_dword v51, off, s[0:3], 0 offset:536
	;; [unrolled: 1-line block ×5, first 2 shown]
	s_waitcnt vmcnt(57) lgkmcnt(0)
	v_mul_f64 v[120:121], v[9:10], v[55:56]
	v_mul_f64 v[54:55], v[11:12], v[55:56]
	s_waitcnt vmcnt(56)
	v_fma_f64 v[39:40], v[1:2], v[41:42], -v[39:40]
	ds_read_b128 v[5:8], v98 offset:1184
	v_fma_f64 v[35:36], v[3:4], v[41:42], v[35:36]
	s_clause 0x2
	buffer_load_dword v52, off, s[0:3], 0 offset:540
	buffer_load_dword v42, off, s[0:3], 0 offset:516
	;; [unrolled: 1-line block ×3, first 2 shown]
	ds_read_b128 v[1:4], v98 offset:1200
	v_add_f64 v[21:22], v[21:22], v[47:48]
	v_add_f64 v[13:14], v[13:14], v[43:44]
	s_waitcnt vmcnt(58) lgkmcnt(1)
	v_mul_f64 v[47:48], v[7:8], v[63:64]
	s_waitcnt vmcnt(56)
	v_fma_f64 v[55:56], v[9:10], v[89:90], -v[54:55]
	v_mul_f64 v[43:44], v[5:6], v[63:64]
	v_add_f64 v[21:22], v[21:22], v[39:40]
	v_fma_f64 v[39:40], v[11:12], v[89:90], v[120:121]
	v_add_f64 v[13:14], v[13:14], v[35:36]
	s_clause 0x4
	buffer_load_dword v36, off, s[0:3], 0 offset:556
	buffer_load_dword v63, off, s[0:3], 0 offset:568
	;; [unrolled: 1-line block ×5, first 2 shown]
	s_waitcnt vmcnt(57) lgkmcnt(0)
	v_mul_f64 v[120:121], v[1:2], v[91:92]
	v_mul_f64 v[90:91], v[3:4], v[91:92]
	s_waitcnt vmcnt(56)
	v_fma_f64 v[47:48], v[5:6], v[49:50], -v[47:48]
	ds_read_b128 v[9:12], v98 offset:1216
	v_fma_f64 v[43:44], v[7:8], v[49:50], v[43:44]
	v_add_f64 v[21:22], v[21:22], v[55:56]
	v_add_f64 v[13:14], v[13:14], v[39:40]
	s_clause 0x2
	buffer_load_dword v64, off, s[0:3], 0 offset:572
	buffer_load_dword v40, off, s[0:3], 0 offset:548
	;; [unrolled: 1-line block ×3, first 2 shown]
	ds_read_b128 v[5:8], v98 offset:1232
	s_waitcnt vmcnt(58) lgkmcnt(1)
	v_mul_f64 v[55:56], v[11:12], v[93:94]
	s_waitcnt vmcnt(56)
	v_fma_f64 v[91:92], v[1:2], v[95:96], -v[90:91]
	v_mul_f64 v[49:50], v[9:10], v[93:94]
	v_add_f64 v[21:22], v[21:22], v[47:48]
	v_fma_f64 v[47:48], v[3:4], v[95:96], v[120:121]
	v_add_f64 v[13:14], v[13:14], v[43:44]
	s_clause 0x4
	buffer_load_dword v44, off, s[0:3], 0 offset:588
	buffer_load_dword v93, off, s[0:3], 0 offset:600
	;; [unrolled: 1-line block ×5, first 2 shown]
	s_waitcnt vmcnt(57) lgkmcnt(0)
	v_mul_f64 v[120:121], v[5:6], v[105:106]
	v_mul_f64 v[105:106], v[7:8], v[105:106]
	s_waitcnt vmcnt(56)
	v_fma_f64 v[55:56], v[9:10], v[61:62], -v[55:56]
	ds_read_b128 v[1:4], v98 offset:1248
	v_fma_f64 v[49:50], v[11:12], v[61:62], v[49:50]
	v_add_f64 v[21:22], v[21:22], v[91:92]
	v_add_f64 v[13:14], v[13:14], v[47:48]
	s_clause 0x2
	buffer_load_dword v94, off, s[0:3], 0 offset:604
	buffer_load_dword v48, off, s[0:3], 0 offset:580
	;; [unrolled: 1-line block ×3, first 2 shown]
	ds_read_b128 v[9:12], v98 offset:1264
	s_waitcnt vmcnt(58) lgkmcnt(1)
	v_mul_f64 v[91:92], v[3:4], v[107:108]
	v_mul_f64 v[61:62], v[1:2], v[107:108]
	s_waitcnt vmcnt(56)
	v_fma_f64 v[105:106], v[5:6], v[17:18], -v[105:106]
	v_fma_f64 v[17:18], v[7:8], v[17:18], v[120:121]
	v_add_f64 v[21:22], v[21:22], v[55:56]
	v_add_f64 v[13:14], v[13:14], v[49:50]
	s_clause 0x4
	buffer_load_dword v50, off, s[0:3], 0 offset:620
	buffer_load_dword v55, off, s[0:3], 0 offset:632
	;; [unrolled: 1-line block ×5, first 2 shown]
	ds_read_b128 v[5:8], v98 offset:1280
	s_waitcnt vmcnt(57) lgkmcnt(1)
	v_mul_f64 v[120:121], v[9:10], v[15:16]
	v_mul_f64 v[15:16], v[11:12], v[15:16]
	s_waitcnt vmcnt(56)
	v_fma_f64 v[91:92], v[1:2], v[109:110], -v[91:92]
	v_fma_f64 v[61:62], v[3:4], v[109:110], v[61:62]
	v_add_f64 v[21:22], v[21:22], v[105:106]
	v_add_f64 v[13:14], v[13:14], v[17:18]
	s_clause 0x2
	buffer_load_dword v56, off, s[0:3], 0 offset:636
	buffer_load_dword v18, off, s[0:3], 0 offset:612
	;; [unrolled: 1-line block ×3, first 2 shown]
	s_waitcnt vmcnt(58) lgkmcnt(0)
	v_mul_f64 v[109:110], v[7:8], v[111:112]
	ds_read_b128 v[1:4], v98 offset:1296
	v_mul_f64 v[105:106], v[5:6], v[111:112]
	s_waitcnt vmcnt(56)
	v_fma_f64 v[15:16], v[9:10], v[101:102], -v[15:16]
	v_add_f64 v[21:22], v[21:22], v[91:92]
	v_fma_f64 v[91:92], v[11:12], v[101:102], v[120:121]
	v_add_f64 v[13:14], v[13:14], v[61:62]
	s_clause 0x4
	buffer_load_dword v62, off, s[0:3], 0 offset:652
	buffer_load_dword v101, off, s[0:3], 0 offset:664
	;; [unrolled: 1-line block ×5, first 2 shown]
	ds_read_b128 v[9:12], v98 offset:1312
	s_waitcnt vmcnt(57) lgkmcnt(1)
	v_mul_f64 v[120:121], v[1:2], v[33:34]
	v_mul_f64 v[33:34], v[3:4], v[33:34]
	s_waitcnt vmcnt(56)
	v_fma_f64 v[109:110], v[5:6], v[116:117], -v[109:110]
	v_add_f64 v[15:16], v[21:22], v[15:16]
	v_fma_f64 v[21:22], v[7:8], v[116:117], v[105:106]
	v_add_f64 v[13:14], v[13:14], v[91:92]
	s_clause 0x2
	buffer_load_dword v102, off, s[0:3], 0 offset:668
	buffer_load_dword v92, off, s[0:3], 0 offset:644
	;; [unrolled: 1-line block ×3, first 2 shown]
	ds_read_b128 v[5:8], v98 offset:1328
	s_waitcnt vmcnt(58) lgkmcnt(1)
	v_mul_f64 v[105:106], v[9:10], v[103:104]
	v_mul_f64 v[103:104], v[11:12], v[103:104]
	s_waitcnt vmcnt(56)
	v_fma_f64 v[33:34], v[1:2], v[27:28], -v[33:34]
	v_fma_f64 v[27:28], v[3:4], v[27:28], v[120:121]
	v_add_f64 v[15:16], v[15:16], v[109:110]
	v_add_f64 v[13:14], v[13:14], v[21:22]
	s_clause 0x4
	buffer_load_dword v22, off, s[0:3], 0 offset:684
	buffer_load_dword v109, off, s[0:3], 0 offset:696
	;; [unrolled: 1-line block ×5, first 2 shown]
	ds_read_b128 v[1:4], v98 offset:1344
	s_waitcnt vmcnt(57) lgkmcnt(1)
	v_mul_f64 v[116:117], v[5:6], v[19:20]
	v_mul_f64 v[19:20], v[7:8], v[19:20]
	s_waitcnt vmcnt(56)
	v_fma_f64 v[103:104], v[9:10], v[118:119], -v[103:104]
	v_add_f64 v[15:16], v[15:16], v[33:34]
	v_fma_f64 v[33:34], v[11:12], v[118:119], v[105:106]
	v_add_f64 v[13:14], v[13:14], v[27:28]
	s_clause 0x2
	buffer_load_dword v110, off, s[0:3], 0 offset:700
	buffer_load_dword v28, off, s[0:3], 0 offset:676
	;; [unrolled: 1-line block ×3, first 2 shown]
	ds_read_b128 v[9:12], v98 offset:1360
	s_waitcnt vmcnt(58) lgkmcnt(1)
	v_mul_f64 v[105:106], v[1:2], v[37:38]
	v_mul_f64 v[37:38], v[3:4], v[37:38]
	s_waitcnt vmcnt(56)
	v_fma_f64 v[19:20], v[5:6], v[25:26], -v[19:20]
	v_fma_f64 v[25:26], v[7:8], v[25:26], v[116:117]
	v_add_f64 v[15:16], v[15:16], v[103:104]
	v_add_f64 v[13:14], v[13:14], v[33:34]
	s_clause 0x4
	buffer_load_dword v34, off, s[0:3], 0 offset:716
	buffer_load_dword v103, off, s[0:3], 0 offset:728
	;; [unrolled: 1-line block ×5, first 2 shown]
	ds_read_b128 v[5:8], v98 offset:1376
	s_waitcnt vmcnt(57) lgkmcnt(1)
	v_mul_f64 v[118:119], v[9:10], v[23:24]
	v_mul_f64 v[23:24], v[11:12], v[23:24]
	s_waitcnt vmcnt(56)
	v_fma_f64 v[37:38], v[1:2], v[113:114], -v[37:38]
	v_add_f64 v[15:16], v[15:16], v[19:20]
	v_fma_f64 v[19:20], v[3:4], v[113:114], v[105:106]
	v_add_f64 v[13:14], v[13:14], v[25:26]
	s_clause 0x2
	buffer_load_dword v104, off, s[0:3], 0 offset:732
	buffer_load_dword v26, off, s[0:3], 0 offset:708
	;; [unrolled: 1-line block ×3, first 2 shown]
	s_waitcnt vmcnt(58) lgkmcnt(0)
	v_mul_f64 v[105:106], v[5:6], v[45:46]
	v_mul_f64 v[45:46], v[7:8], v[45:46]
	ds_read_b128 v[1:4], v98 offset:1392
	s_waitcnt vmcnt(56)
	v_fma_f64 v[23:24], v[9:10], v[31:32], -v[23:24]
	v_fma_f64 v[31:32], v[11:12], v[31:32], v[118:119]
	v_add_f64 v[15:16], v[15:16], v[37:38]
	v_add_f64 v[13:14], v[13:14], v[19:20]
	s_clause 0x4
	buffer_load_dword v20, off, s[0:3], 0 offset:748
	buffer_load_dword v37, off, s[0:3], 0 offset:760
	;; [unrolled: 1-line block ×5, first 2 shown]
	ds_read_b128 v[9:12], v98 offset:1408
	s_waitcnt vmcnt(57) lgkmcnt(1)
	v_mul_f64 v[119:120], v[1:2], v[29:30]
	v_mul_f64 v[29:30], v[3:4], v[29:30]
	s_waitcnt vmcnt(56)
	v_fma_f64 v[45:46], v[5:6], v[99:100], -v[45:46]
	v_add_f64 v[15:16], v[15:16], v[23:24]
	v_fma_f64 v[23:24], v[7:8], v[99:100], v[105:106]
	v_add_f64 v[13:14], v[13:14], v[31:32]
	s_clause 0x2
	buffer_load_dword v38, off, s[0:3], 0 offset:764
	buffer_load_dword v32, off, s[0:3], 0 offset:740
	;; [unrolled: 1-line block ×3, first 2 shown]
	s_waitcnt vmcnt(58) lgkmcnt(0)
	v_mul_f64 v[99:100], v[9:10], v[51:52]
	v_mul_f64 v[51:52], v[11:12], v[51:52]
	ds_read_b128 v[5:8], v98 offset:1424
	s_waitcnt vmcnt(56)
	v_fma_f64 v[29:30], v[1:2], v[41:42], -v[29:30]
	v_fma_f64 v[41:42], v[3:4], v[41:42], v[119:120]
	v_add_f64 v[15:16], v[15:16], v[45:46]
	v_add_f64 v[13:14], v[13:14], v[23:24]
	s_clause 0x4
	buffer_load_dword v24, off, s[0:3], 0 offset:780
	buffer_load_dword v45, off, s[0:3], 0 offset:792
	buffer_load_dword v105, off, s[0:3], 0 offset:784
	buffer_load_dword v23, off, s[0:3], 0 offset:776
	buffer_load_dword v114, off, s[0:3], 0 offset:756
	ds_read_b128 v[1:4], v98 offset:1440
	s_waitcnt vmcnt(57) lgkmcnt(1)
	v_mul_f64 v[119:120], v[5:6], v[35:36]
	v_mul_f64 v[35:36], v[7:8], v[35:36]
	s_waitcnt vmcnt(56)
	v_fma_f64 v[51:52], v[9:10], v[53:54], -v[51:52]
	v_add_f64 v[15:16], v[15:16], v[29:30]
	v_fma_f64 v[29:30], v[11:12], v[53:54], v[99:100]
	v_add_f64 v[13:14], v[13:14], v[41:42]
	s_clause 0x2
	buffer_load_dword v46, off, s[0:3], 0 offset:796
	buffer_load_dword v42, off, s[0:3], 0 offset:772
	buffer_load_dword v41, off, s[0:3], 0 offset:768
	ds_read_b128 v[9:12], v98 offset:1456
	s_waitcnt vmcnt(58) lgkmcnt(1)
	v_mul_f64 v[53:54], v[1:2], v[63:64]
	v_mul_f64 v[63:64], v[3:4], v[63:64]
	s_waitcnt vmcnt(56)
	v_fma_f64 v[35:36], v[5:6], v[39:40], -v[35:36]
	v_fma_f64 v[39:40], v[7:8], v[39:40], v[119:120]
	v_add_f64 v[15:16], v[15:16], v[51:52]
	v_add_f64 v[13:14], v[13:14], v[29:30]
	s_clause 0x4
	buffer_load_dword v30, off, s[0:3], 0 offset:812
	buffer_load_dword v51, off, s[0:3], 0 offset:824
	buffer_load_dword v99, off, s[0:3], 0 offset:816
	buffer_load_dword v29, off, s[0:3], 0 offset:808
	buffer_load_dword v106, off, s[0:3], 0 offset:788
	ds_read_b128 v[5:8], v98 offset:1472
	s_waitcnt vmcnt(57) lgkmcnt(1)
	v_mul_f64 v[119:120], v[9:10], v[43:44]
	v_mul_f64 v[43:44], v[11:12], v[43:44]
	s_waitcnt vmcnt(56)
	v_fma_f64 v[63:64], v[1:2], v[89:90], -v[63:64]
	v_add_f64 v[15:16], v[15:16], v[35:36]
	v_fma_f64 v[35:36], v[3:4], v[89:90], v[53:54]
	v_add_f64 v[13:14], v[13:14], v[39:40]
	s_clause 0x2
	buffer_load_dword v52, off, s[0:3], 0 offset:828
	buffer_load_dword v40, off, s[0:3], 0 offset:804
	buffer_load_dword v39, off, s[0:3], 0 offset:800
	ds_read_b128 v[1:4], v98 offset:1488
	s_waitcnt vmcnt(58) lgkmcnt(1)
	v_mul_f64 v[89:90], v[7:8], v[93:94]
	v_mul_f64 v[53:54], v[5:6], v[93:94]
	;; [unrolled: 28-line block ×4, first 2 shown]
	s_waitcnt vmcnt(56)
	v_fma_f64 v[61:62], v[5:6], v[91:92], -v[61:62]
	v_add_f64 v[15:16], v[15:16], v[55:56]
	v_fma_f64 v[55:56], v[7:8], v[91:92], v[119:120]
	v_add_f64 v[13:14], v[13:14], v[49:50]
	s_clause 0x2
	buffer_load_dword v50, off, s[0:3], 0 offset:908
	buffer_load_dword v49, off, s[0:3], 0 offset:904
	;; [unrolled: 1-line block ×3, first 2 shown]
	ds_read_b128 v[5:8], v98 offset:1568
	s_waitcnt vmcnt(55) lgkmcnt(1)
	v_mul_f64 v[91:92], v[9:10], v[21:22]
	v_mul_f64 v[21:22], v[11:12], v[21:22]
	s_waitcnt vmcnt(54)
	v_fma_f64 v[101:102], v[1:2], v[111:112], -v[101:102]
	v_fma_f64 v[53:54], v[3:4], v[111:112], v[53:54]
	v_add_f64 v[15:16], v[15:16], v[61:62]
	v_add_f64 v[13:14], v[13:14], v[55:56]
	s_clause 0x1
	buffer_load_dword v56, off, s[0:3], 0 offset:900
	buffer_load_dword v55, off, s[0:3], 0 offset:896
	ds_read_b128 v[1:4], v98 offset:1584
	s_waitcnt vmcnt(55) lgkmcnt(1)
	v_mul_f64 v[107:108], v[7:8], v[109:110]
	v_mul_f64 v[61:62], v[5:6], v[109:110]
	s_waitcnt vmcnt(53)
	v_fma_f64 v[21:22], v[9:10], v[27:28], -v[21:22]
	v_fma_f64 v[27:28], v[11:12], v[27:28], v[91:92]
	ds_read_b128 v[9:12], v98 offset:1600
	v_add_f64 v[15:16], v[15:16], v[101:102]
	v_add_f64 v[13:14], v[13:14], v[53:54]
	s_waitcnt vmcnt(49) lgkmcnt(1)
	v_mul_f64 v[53:54], v[1:2], v[33:34]
	v_mul_f64 v[33:34], v[3:4], v[33:34]
	s_waitcnt vmcnt(48)
	v_fma_f64 v[91:92], v[5:6], v[115:116], -v[107:108]
	v_add_f64 v[15:16], v[15:16], v[21:22]
	v_fma_f64 v[21:22], v[7:8], v[115:116], v[61:62]
	v_add_f64 v[13:14], v[13:14], v[27:28]
	s_clause 0x3
	buffer_load_dword v27, off, s[0:3], 0 offset:96
	buffer_load_dword v28, off, s[0:3], 0 offset:100
	;; [unrolled: 1-line block ×4, first 2 shown]
	ds_read_b128 v[5:8], v98 offset:1616
	s_waitcnt vmcnt(51) lgkmcnt(1)
	v_mul_f64 v[101:102], v[9:10], v[103:104]
	v_mul_f64 v[103:104], v[11:12], v[103:104]
	s_waitcnt vmcnt(49)
	v_fma_f64 v[33:34], v[1:2], v[25:26], -v[33:34]
	v_fma_f64 v[25:26], v[3:4], v[25:26], v[53:54]
	ds_read_b128 v[1:4], v98 offset:1632
	v_add_f64 v[15:16], v[15:16], v[91:92]
	v_add_f64 v[13:14], v[13:14], v[21:22]
	s_waitcnt vmcnt(45) lgkmcnt(1)
	v_mul_f64 v[21:22], v[5:6], v[19:20]
	v_mul_f64 v[19:20], v[7:8], v[19:20]
	s_waitcnt vmcnt(44)
	v_fma_f64 v[53:54], v[9:10], v[117:118], -v[103:104]
	v_add_f64 v[15:16], v[15:16], v[33:34]
	v_fma_f64 v[33:34], v[11:12], v[117:118], v[101:102]
	v_add_f64 v[13:14], v[13:14], v[25:26]
	ds_read_b128 v[9:12], v98 offset:1648
	s_waitcnt vmcnt(43) lgkmcnt(1)
	v_mul_f64 v[25:26], v[1:2], v[37:38]
	v_mul_f64 v[37:38], v[3:4], v[37:38]
	s_waitcnt vmcnt(41)
	v_fma_f64 v[19:20], v[5:6], v[31:32], -v[19:20]
	v_fma_f64 v[21:22], v[7:8], v[31:32], v[21:22]
	ds_read_b128 v[5:8], v98 offset:1664
	v_add_f64 v[15:16], v[15:16], v[53:54]
	v_add_f64 v[13:14], v[13:14], v[33:34]
	s_waitcnt vmcnt(37) lgkmcnt(1)
	v_mul_f64 v[31:32], v[9:10], v[23:24]
	v_mul_f64 v[23:24], v[11:12], v[23:24]
	s_waitcnt vmcnt(36)
	v_fma_f64 v[33:34], v[1:2], v[113:114], -v[37:38]
	v_add_f64 v[15:16], v[15:16], v[19:20]
	v_fma_f64 v[19:20], v[3:4], v[113:114], v[25:26]
	v_add_f64 v[13:14], v[13:14], v[21:22]
	ds_read_b128 v[1:4], v98 offset:1680
	s_waitcnt vmcnt(35) lgkmcnt(1)
	v_mul_f64 v[25:26], v[7:8], v[45:46]
	v_mul_f64 v[21:22], v[5:6], v[45:46]
	s_waitcnt vmcnt(33)
	v_fma_f64 v[23:24], v[9:10], v[41:42], -v[23:24]
	v_fma_f64 v[31:32], v[11:12], v[41:42], v[31:32]
	ds_read_b128 v[9:12], v98 offset:1696
	v_add_f64 v[15:16], v[15:16], v[33:34]
	v_add_f64 v[13:14], v[13:14], v[19:20]
	s_waitcnt vmcnt(29) lgkmcnt(1)
	v_mul_f64 v[19:20], v[1:2], v[29:30]
	v_mul_f64 v[29:30], v[3:4], v[29:30]
	s_waitcnt vmcnt(28)
	v_fma_f64 v[25:26], v[5:6], v[105:106], -v[25:26]
	v_fma_f64 v[21:22], v[7:8], v[105:106], v[21:22]
	ds_read_b128 v[5:8], v98 offset:1712
	v_add_f64 v[15:16], v[15:16], v[23:24]
	v_add_f64 v[13:14], v[13:14], v[31:32]
	;; [unrolled: 9-line block ×3, first 2 shown]
	s_waitcnt vmcnt(21) lgkmcnt(1)
	v_mul_f64 v[25:26], v[7:8], v[35:36]
	s_waitcnt vmcnt(20)
	v_fma_f64 v[31:32], v[9:10], v[99:100], -v[31:32]
	v_mul_f64 v[21:22], v[5:6], v[35:36]
	v_fma_f64 v[23:24], v[11:12], v[99:100], v[23:24]
	ds_read_b128 v[9:12], v98 offset:1744
	v_add_f64 v[15:16], v[15:16], v[29:30]
	v_add_f64 v[13:14], v[13:14], v[19:20]
	s_waitcnt vmcnt(19) lgkmcnt(1)
	v_mul_f64 v[29:30], v[3:4], v[63:64]
	v_mul_f64 v[19:20], v[1:2], v[63:64]
	s_waitcnt vmcnt(17)
	v_fma_f64 v[25:26], v[5:6], v[47:48], -v[25:26]
	v_fma_f64 v[21:22], v[7:8], v[47:48], v[21:22]
	ds_read_b128 v[5:8], v98 offset:1760
	v_add_f64 v[15:16], v[15:16], v[31:32]
	v_add_f64 v[13:14], v[13:14], v[23:24]
	s_waitcnt vmcnt(13) lgkmcnt(1)
	v_mul_f64 v[31:32], v[11:12], v[43:44]
	s_waitcnt vmcnt(12)
	v_fma_f64 v[29:30], v[1:2], v[93:94], -v[29:30]
	v_mul_f64 v[23:24], v[9:10], v[43:44]
	v_fma_f64 v[19:20], v[3:4], v[93:94], v[19:20]
	ds_read_b128 v[1:4], v98 offset:1776
	v_add_f64 v[15:16], v[15:16], v[25:26]
	v_add_f64 v[13:14], v[13:14], v[21:22]
	s_waitcnt vmcnt(11) lgkmcnt(1)
	v_mul_f64 v[25:26], v[7:8], v[89:90]
	v_mul_f64 v[21:22], v[5:6], v[89:90]
	s_waitcnt vmcnt(9)
	v_fma_f64 v[9:10], v[9:10], v[17:18], -v[31:32]
	v_fma_f64 v[11:12], v[11:12], v[17:18], v[23:24]
	v_add_f64 v[15:16], v[15:16], v[29:30]
	v_add_f64 v[13:14], v[13:14], v[19:20]
	s_waitcnt vmcnt(7) lgkmcnt(0)
	v_mul_f64 v[19:20], v[3:4], v[49:50]
	s_waitcnt vmcnt(6)
	v_fma_f64 v[5:6], v[5:6], v[95:96], -v[25:26]
	v_mul_f64 v[17:18], v[1:2], v[49:50]
	v_fma_f64 v[7:8], v[7:8], v[95:96], v[21:22]
	v_add_f64 v[9:10], v[15:16], v[9:10]
	v_add_f64 v[11:12], v[13:14], v[11:12]
	s_waitcnt vmcnt(4)
	v_fma_f64 v[1:2], v[1:2], v[55:56], -v[19:20]
	v_fma_f64 v[3:4], v[3:4], v[55:56], v[17:18]
	v_add_f64 v[5:6], v[9:10], v[5:6]
	v_add_f64 v[7:8], v[11:12], v[7:8]
	;; [unrolled: 1-line block ×4, first 2 shown]
	s_waitcnt vmcnt(2)
	v_add_f64 v[1:2], v[27:28], -v[1:2]
	s_waitcnt vmcnt(0)
	v_add_f64 v[3:4], v[61:62], -v[3:4]
	buffer_store_dword v2, off, s[0:3], 0 offset:100
	buffer_store_dword v1, off, s[0:3], 0 offset:96
	;; [unrolled: 1-line block ×4, first 2 shown]
	v_cmpx_lt_u32_e32 4, v0
	s_cbranch_execz .LBB55_341
; %bb.340:
	v_mov_b32_e32 v4, s64
	v_mov_b32_e32 v5, 0
	s_clause 0x3
	buffer_load_dword v1, v4, s[0:3], 0 offen
	buffer_load_dword v2, v4, s[0:3], 0 offen offset:4
	buffer_load_dword v3, v4, s[0:3], 0 offen offset:8
	;; [unrolled: 1-line block ×3, first 2 shown]
	buffer_store_dword v5, off, s[0:3], 0 offset:80
	buffer_store_dword v5, off, s[0:3], 0 offset:84
	;; [unrolled: 1-line block ×4, first 2 shown]
	s_waitcnt vmcnt(0)
	ds_write_b128 v97, v[1:4]
.LBB55_341:
	s_or_b32 exec_lo, exec_lo, s4
	s_waitcnt lgkmcnt(0)
	s_waitcnt_vscnt null, 0x0
	s_barrier
	buffer_gl0_inv
	s_clause 0x37
	buffer_load_dword v17, off, s[0:3], 0 offset:104
	buffer_load_dword v18, off, s[0:3], 0 offset:108
	;; [unrolled: 1-line block ×56, first 2 shown]
	v_mov_b32_e32 v98, 0
	s_mov_b32 s4, exec_lo
	ds_read_b128 v[5:8], v98 offset:976
	s_clause 0x2
	buffer_load_dword v94, off, s[0:3], 0 offset:332
	buffer_load_dword v96, off, s[0:3], 0 offset:308
	;; [unrolled: 1-line block ×3, first 2 shown]
	ds_read_b128 v[1:4], v98 offset:992
	s_clause 0x4
	buffer_load_dword v106, off, s[0:3], 0 offset:348
	buffer_load_dword v107, off, s[0:3], 0 offset:360
	;; [unrolled: 1-line block ×5, first 2 shown]
	ds_read_b128 v[99:102], v98 offset:1008
	s_waitcnt vmcnt(62) lgkmcnt(2)
	v_mul_f64 v[103:104], v[7:8], v[17:18]
	v_mul_f64 v[17:18], v[5:6], v[17:18]
	s_waitcnt vmcnt(60) lgkmcnt(1)
	v_mul_f64 v[110:111], v[3:4], v[13:14]
	v_mul_f64 v[13:14], v[1:2], v[13:14]
	;; [unrolled: 3-line block ×3, first 2 shown]
	v_fma_f64 v[103:104], v[5:6], v[15:16], -v[103:104]
	v_fma_f64 v[15:16], v[7:8], v[15:16], v[17:18]
	s_clause 0x2
	buffer_load_dword v108, off, s[0:3], 0 offset:364
	buffer_load_dword v18, off, s[0:3], 0 offset:340
	;; [unrolled: 1-line block ×3, first 2 shown]
	s_waitcnt vmcnt(57)
	v_fma_f64 v[114:115], v[1:2], v[9:10], -v[110:111]
	ds_read_b128 v[5:8], v98 offset:1024
	v_fma_f64 v[9:10], v[3:4], v[9:10], v[13:14]
	s_waitcnt vmcnt(51)
	v_fma_f64 v[99:100], v[99:100], v[33:34], -v[11:12]
	v_fma_f64 v[33:34], v[101:102], v[33:34], v[112:113]
	v_add_f64 v[103:104], v[103:104], 0
	v_add_f64 v[13:14], v[15:16], 0
	s_clause 0x4
	buffer_load_dword v16, off, s[0:3], 0 offset:380
	buffer_load_dword v111, off, s[0:3], 0 offset:392
	;; [unrolled: 1-line block ×5, first 2 shown]
	s_waitcnt lgkmcnt(0)
	v_mul_f64 v[117:118], v[5:6], v[21:22]
	v_mul_f64 v[21:22], v[7:8], v[21:22]
	ds_read_b128 v[1:4], v98 offset:1040
	s_clause 0x2
	buffer_load_dword v112, off, s[0:3], 0 offset:396
	buffer_load_dword v102, off, s[0:3], 0 offset:372
	;; [unrolled: 1-line block ×3, first 2 shown]
	v_add_f64 v[103:104], v[103:104], v[114:115]
	v_add_f64 v[13:14], v[13:14], v[9:10]
	ds_read_b128 v[9:12], v98 offset:1056
	s_waitcnt vmcnt(58) lgkmcnt(1)
	v_mul_f64 v[113:114], v[1:2], v[25:26]
	v_mul_f64 v[25:26], v[3:4], v[25:26]
	s_waitcnt vmcnt(56)
	v_fma_f64 v[21:22], v[5:6], v[27:28], -v[21:22]
	v_fma_f64 v[27:28], v[7:8], v[27:28], v[117:118]
	s_waitcnt vmcnt(52) lgkmcnt(0)
	v_mul_f64 v[119:120], v[9:10], v[29:30]
	v_add_f64 v[99:100], v[103:104], v[99:100]
	v_add_f64 v[13:14], v[13:14], v[33:34]
	s_clause 0x4
	buffer_load_dword v34, off, s[0:3], 0 offset:412
	buffer_load_dword v103, off, s[0:3], 0 offset:424
	;; [unrolled: 1-line block ×5, first 2 shown]
	v_mul_f64 v[29:30], v[11:12], v[29:30]
	s_waitcnt vmcnt(56)
	v_fma_f64 v[25:26], v[1:2], v[19:20], -v[25:26]
	ds_read_b128 v[5:8], v98 offset:1072
	v_fma_f64 v[19:20], v[3:4], v[19:20], v[113:114]
	v_add_f64 v[21:22], v[99:100], v[21:22]
	v_add_f64 v[13:14], v[13:14], v[27:28]
	s_clause 0x2
	buffer_load_dword v104, off, s[0:3], 0 offset:428
	buffer_load_dword v28, off, s[0:3], 0 offset:404
	;; [unrolled: 1-line block ×3, first 2 shown]
	s_waitcnt vmcnt(58) lgkmcnt(0)
	v_mul_f64 v[99:100], v[5:6], v[35:36]
	v_mul_f64 v[35:36], v[7:8], v[35:36]
	s_waitcnt vmcnt(56)
	v_fma_f64 v[29:30], v[9:10], v[37:38], -v[29:30]
	ds_read_b128 v[1:4], v98 offset:1088
	v_add_f64 v[21:22], v[21:22], v[25:26]
	v_fma_f64 v[25:26], v[11:12], v[37:38], v[119:120]
	v_add_f64 v[13:14], v[13:14], v[19:20]
	s_clause 0x4
	buffer_load_dword v20, off, s[0:3], 0 offset:444
	buffer_load_dword v37, off, s[0:3], 0 offset:456
	buffer_load_dword v113, off, s[0:3], 0 offset:448
	buffer_load_dword v19, off, s[0:3], 0 offset:440
	buffer_load_dword v119, off, s[0:3], 0 offset:420
	s_waitcnt vmcnt(57) lgkmcnt(0)
	v_mul_f64 v[114:115], v[1:2], v[39:40]
	v_mul_f64 v[39:40], v[3:4], v[39:40]
	s_waitcnt vmcnt(56)
	v_fma_f64 v[35:36], v[5:6], v[23:24], -v[35:36]
	ds_read_b128 v[9:12], v98 offset:1104
	v_fma_f64 v[23:24], v[7:8], v[23:24], v[99:100]
	v_add_f64 v[21:22], v[21:22], v[29:30]
	v_add_f64 v[13:14], v[13:14], v[25:26]
	s_clause 0x2
	buffer_load_dword v38, off, s[0:3], 0 offset:460
	buffer_load_dword v26, off, s[0:3], 0 offset:436
	buffer_load_dword v25, off, s[0:3], 0 offset:432
	ds_read_b128 v[5:8], v98 offset:1120
	s_waitcnt vmcnt(58) lgkmcnt(1)
	v_mul_f64 v[29:30], v[9:10], v[43:44]
	v_mul_f64 v[43:44], v[11:12], v[43:44]
	s_waitcnt vmcnt(56)
	v_fma_f64 v[39:40], v[1:2], v[45:46], -v[39:40]
	v_add_f64 v[21:22], v[21:22], v[35:36]
	v_fma_f64 v[35:36], v[3:4], v[45:46], v[114:115]
	v_add_f64 v[13:14], v[13:14], v[23:24]
	s_clause 0x4
	buffer_load_dword v24, off, s[0:3], 0 offset:476
	buffer_load_dword v45, off, s[0:3], 0 offset:488
	;; [unrolled: 1-line block ×5, first 2 shown]
	s_waitcnt vmcnt(57) lgkmcnt(0)
	v_mul_f64 v[120:121], v[5:6], v[47:48]
	v_mul_f64 v[47:48], v[7:8], v[47:48]
	s_waitcnt vmcnt(56)
	v_fma_f64 v[43:44], v[9:10], v[31:32], -v[43:44]
	ds_read_b128 v[1:4], v98 offset:1136
	v_fma_f64 v[29:30], v[11:12], v[31:32], v[29:30]
	s_clause 0x2
	buffer_load_dword v46, off, s[0:3], 0 offset:492
	buffer_load_dword v32, off, s[0:3], 0 offset:468
	buffer_load_dword v31, off, s[0:3], 0 offset:464
	ds_read_b128 v[9:12], v98 offset:1152
	v_add_f64 v[21:22], v[21:22], v[39:40]
	v_add_f64 v[13:14], v[13:14], v[35:36]
	s_waitcnt vmcnt(58) lgkmcnt(1)
	v_mul_f64 v[39:40], v[3:4], v[51:52]
	s_waitcnt vmcnt(56)
	v_fma_f64 v[47:48], v[5:6], v[53:54], -v[47:48]
	v_mul_f64 v[35:36], v[1:2], v[51:52]
	v_add_f64 v[21:22], v[21:22], v[43:44]
	v_fma_f64 v[43:44], v[7:8], v[53:54], v[120:121]
	v_add_f64 v[13:14], v[13:14], v[29:30]
	s_clause 0x4
	buffer_load_dword v30, off, s[0:3], 0 offset:508
	buffer_load_dword v51, off, s[0:3], 0 offset:520
	;; [unrolled: 1-line block ×5, first 2 shown]
	s_waitcnt vmcnt(57) lgkmcnt(0)
	v_mul_f64 v[120:121], v[9:10], v[55:56]
	v_mul_f64 v[54:55], v[11:12], v[55:56]
	s_waitcnt vmcnt(56)
	v_fma_f64 v[39:40], v[1:2], v[41:42], -v[39:40]
	ds_read_b128 v[5:8], v98 offset:1168
	v_fma_f64 v[35:36], v[3:4], v[41:42], v[35:36]
	s_clause 0x2
	buffer_load_dword v52, off, s[0:3], 0 offset:524
	buffer_load_dword v42, off, s[0:3], 0 offset:500
	;; [unrolled: 1-line block ×3, first 2 shown]
	ds_read_b128 v[1:4], v98 offset:1184
	v_add_f64 v[21:22], v[21:22], v[47:48]
	v_add_f64 v[13:14], v[13:14], v[43:44]
	s_waitcnt vmcnt(58) lgkmcnt(1)
	v_mul_f64 v[47:48], v[7:8], v[63:64]
	s_waitcnt vmcnt(56)
	v_fma_f64 v[55:56], v[9:10], v[89:90], -v[54:55]
	v_mul_f64 v[43:44], v[5:6], v[63:64]
	v_add_f64 v[21:22], v[21:22], v[39:40]
	v_fma_f64 v[39:40], v[11:12], v[89:90], v[120:121]
	v_add_f64 v[13:14], v[13:14], v[35:36]
	s_clause 0x4
	buffer_load_dword v36, off, s[0:3], 0 offset:540
	buffer_load_dword v63, off, s[0:3], 0 offset:552
	;; [unrolled: 1-line block ×5, first 2 shown]
	s_waitcnt vmcnt(57) lgkmcnt(0)
	v_mul_f64 v[120:121], v[1:2], v[91:92]
	v_mul_f64 v[90:91], v[3:4], v[91:92]
	s_waitcnt vmcnt(56)
	v_fma_f64 v[47:48], v[5:6], v[49:50], -v[47:48]
	ds_read_b128 v[9:12], v98 offset:1200
	v_fma_f64 v[43:44], v[7:8], v[49:50], v[43:44]
	v_add_f64 v[21:22], v[21:22], v[55:56]
	v_add_f64 v[13:14], v[13:14], v[39:40]
	s_clause 0x2
	buffer_load_dword v64, off, s[0:3], 0 offset:556
	buffer_load_dword v40, off, s[0:3], 0 offset:532
	;; [unrolled: 1-line block ×3, first 2 shown]
	ds_read_b128 v[5:8], v98 offset:1216
	s_waitcnt vmcnt(58) lgkmcnt(1)
	v_mul_f64 v[55:56], v[11:12], v[93:94]
	s_waitcnt vmcnt(56)
	v_fma_f64 v[91:92], v[1:2], v[95:96], -v[90:91]
	v_mul_f64 v[49:50], v[9:10], v[93:94]
	v_add_f64 v[21:22], v[21:22], v[47:48]
	v_fma_f64 v[47:48], v[3:4], v[95:96], v[120:121]
	v_add_f64 v[13:14], v[13:14], v[43:44]
	s_clause 0x4
	buffer_load_dword v44, off, s[0:3], 0 offset:572
	buffer_load_dword v93, off, s[0:3], 0 offset:584
	;; [unrolled: 1-line block ×5, first 2 shown]
	s_waitcnt vmcnt(57) lgkmcnt(0)
	v_mul_f64 v[120:121], v[5:6], v[105:106]
	v_mul_f64 v[105:106], v[7:8], v[105:106]
	s_waitcnt vmcnt(56)
	v_fma_f64 v[55:56], v[9:10], v[61:62], -v[55:56]
	ds_read_b128 v[1:4], v98 offset:1232
	v_fma_f64 v[49:50], v[11:12], v[61:62], v[49:50]
	v_add_f64 v[21:22], v[21:22], v[91:92]
	v_add_f64 v[13:14], v[13:14], v[47:48]
	s_clause 0x2
	buffer_load_dword v94, off, s[0:3], 0 offset:588
	buffer_load_dword v48, off, s[0:3], 0 offset:564
	buffer_load_dword v47, off, s[0:3], 0 offset:560
	ds_read_b128 v[9:12], v98 offset:1248
	s_waitcnt vmcnt(58) lgkmcnt(1)
	v_mul_f64 v[91:92], v[3:4], v[107:108]
	v_mul_f64 v[61:62], v[1:2], v[107:108]
	s_waitcnt vmcnt(56)
	v_fma_f64 v[105:106], v[5:6], v[17:18], -v[105:106]
	v_fma_f64 v[17:18], v[7:8], v[17:18], v[120:121]
	v_add_f64 v[21:22], v[21:22], v[55:56]
	v_add_f64 v[13:14], v[13:14], v[49:50]
	s_clause 0x4
	buffer_load_dword v50, off, s[0:3], 0 offset:604
	buffer_load_dword v55, off, s[0:3], 0 offset:616
	;; [unrolled: 1-line block ×5, first 2 shown]
	ds_read_b128 v[5:8], v98 offset:1264
	s_waitcnt vmcnt(57) lgkmcnt(1)
	v_mul_f64 v[120:121], v[9:10], v[15:16]
	v_mul_f64 v[15:16], v[11:12], v[15:16]
	s_waitcnt vmcnt(56)
	v_fma_f64 v[91:92], v[1:2], v[109:110], -v[91:92]
	v_fma_f64 v[61:62], v[3:4], v[109:110], v[61:62]
	v_add_f64 v[21:22], v[21:22], v[105:106]
	v_add_f64 v[13:14], v[13:14], v[17:18]
	s_clause 0x2
	buffer_load_dword v56, off, s[0:3], 0 offset:620
	buffer_load_dword v18, off, s[0:3], 0 offset:596
	;; [unrolled: 1-line block ×3, first 2 shown]
	s_waitcnt vmcnt(58) lgkmcnt(0)
	v_mul_f64 v[109:110], v[7:8], v[111:112]
	ds_read_b128 v[1:4], v98 offset:1280
	v_mul_f64 v[105:106], v[5:6], v[111:112]
	s_waitcnt vmcnt(56)
	v_fma_f64 v[15:16], v[9:10], v[101:102], -v[15:16]
	v_add_f64 v[21:22], v[21:22], v[91:92]
	v_fma_f64 v[91:92], v[11:12], v[101:102], v[120:121]
	v_add_f64 v[13:14], v[13:14], v[61:62]
	s_clause 0x4
	buffer_load_dword v62, off, s[0:3], 0 offset:636
	buffer_load_dword v101, off, s[0:3], 0 offset:648
	;; [unrolled: 1-line block ×5, first 2 shown]
	ds_read_b128 v[9:12], v98 offset:1296
	s_waitcnt vmcnt(57) lgkmcnt(1)
	v_mul_f64 v[120:121], v[1:2], v[33:34]
	v_mul_f64 v[33:34], v[3:4], v[33:34]
	s_waitcnt vmcnt(56)
	v_fma_f64 v[109:110], v[5:6], v[116:117], -v[109:110]
	v_add_f64 v[15:16], v[21:22], v[15:16]
	v_fma_f64 v[21:22], v[7:8], v[116:117], v[105:106]
	v_add_f64 v[13:14], v[13:14], v[91:92]
	s_clause 0x2
	buffer_load_dword v102, off, s[0:3], 0 offset:652
	buffer_load_dword v92, off, s[0:3], 0 offset:628
	;; [unrolled: 1-line block ×3, first 2 shown]
	ds_read_b128 v[5:8], v98 offset:1312
	s_waitcnt vmcnt(58) lgkmcnt(1)
	v_mul_f64 v[105:106], v[9:10], v[103:104]
	v_mul_f64 v[103:104], v[11:12], v[103:104]
	s_waitcnt vmcnt(56)
	v_fma_f64 v[33:34], v[1:2], v[27:28], -v[33:34]
	v_fma_f64 v[27:28], v[3:4], v[27:28], v[120:121]
	v_add_f64 v[15:16], v[15:16], v[109:110]
	v_add_f64 v[13:14], v[13:14], v[21:22]
	s_clause 0x4
	buffer_load_dword v22, off, s[0:3], 0 offset:668
	buffer_load_dword v109, off, s[0:3], 0 offset:680
	;; [unrolled: 1-line block ×5, first 2 shown]
	ds_read_b128 v[1:4], v98 offset:1328
	s_waitcnt vmcnt(57) lgkmcnt(1)
	v_mul_f64 v[116:117], v[5:6], v[19:20]
	v_mul_f64 v[19:20], v[7:8], v[19:20]
	s_waitcnt vmcnt(56)
	v_fma_f64 v[103:104], v[9:10], v[118:119], -v[103:104]
	v_add_f64 v[15:16], v[15:16], v[33:34]
	v_fma_f64 v[33:34], v[11:12], v[118:119], v[105:106]
	v_add_f64 v[13:14], v[13:14], v[27:28]
	s_clause 0x2
	buffer_load_dword v110, off, s[0:3], 0 offset:684
	buffer_load_dword v28, off, s[0:3], 0 offset:660
	;; [unrolled: 1-line block ×3, first 2 shown]
	ds_read_b128 v[9:12], v98 offset:1344
	s_waitcnt vmcnt(58) lgkmcnt(1)
	v_mul_f64 v[105:106], v[1:2], v[37:38]
	v_mul_f64 v[37:38], v[3:4], v[37:38]
	s_waitcnt vmcnt(56)
	v_fma_f64 v[19:20], v[5:6], v[25:26], -v[19:20]
	v_fma_f64 v[25:26], v[7:8], v[25:26], v[116:117]
	v_add_f64 v[15:16], v[15:16], v[103:104]
	v_add_f64 v[13:14], v[13:14], v[33:34]
	s_clause 0x4
	buffer_load_dword v34, off, s[0:3], 0 offset:700
	buffer_load_dword v103, off, s[0:3], 0 offset:712
	;; [unrolled: 1-line block ×5, first 2 shown]
	ds_read_b128 v[5:8], v98 offset:1360
	s_waitcnt vmcnt(57) lgkmcnt(1)
	v_mul_f64 v[118:119], v[9:10], v[23:24]
	v_mul_f64 v[23:24], v[11:12], v[23:24]
	s_waitcnt vmcnt(56)
	v_fma_f64 v[37:38], v[1:2], v[113:114], -v[37:38]
	v_add_f64 v[15:16], v[15:16], v[19:20]
	v_fma_f64 v[19:20], v[3:4], v[113:114], v[105:106]
	v_add_f64 v[13:14], v[13:14], v[25:26]
	s_clause 0x2
	buffer_load_dword v104, off, s[0:3], 0 offset:716
	buffer_load_dword v26, off, s[0:3], 0 offset:692
	;; [unrolled: 1-line block ×3, first 2 shown]
	s_waitcnt vmcnt(58) lgkmcnt(0)
	v_mul_f64 v[105:106], v[5:6], v[45:46]
	v_mul_f64 v[45:46], v[7:8], v[45:46]
	ds_read_b128 v[1:4], v98 offset:1376
	s_waitcnt vmcnt(56)
	v_fma_f64 v[23:24], v[9:10], v[31:32], -v[23:24]
	v_fma_f64 v[31:32], v[11:12], v[31:32], v[118:119]
	v_add_f64 v[15:16], v[15:16], v[37:38]
	v_add_f64 v[13:14], v[13:14], v[19:20]
	s_clause 0x4
	buffer_load_dword v20, off, s[0:3], 0 offset:732
	buffer_load_dword v37, off, s[0:3], 0 offset:744
	;; [unrolled: 1-line block ×5, first 2 shown]
	ds_read_b128 v[9:12], v98 offset:1392
	s_waitcnt vmcnt(57) lgkmcnt(1)
	v_mul_f64 v[119:120], v[1:2], v[29:30]
	v_mul_f64 v[29:30], v[3:4], v[29:30]
	s_waitcnt vmcnt(56)
	v_fma_f64 v[45:46], v[5:6], v[99:100], -v[45:46]
	v_add_f64 v[15:16], v[15:16], v[23:24]
	v_fma_f64 v[23:24], v[7:8], v[99:100], v[105:106]
	v_add_f64 v[13:14], v[13:14], v[31:32]
	s_clause 0x2
	buffer_load_dword v38, off, s[0:3], 0 offset:748
	buffer_load_dword v32, off, s[0:3], 0 offset:724
	;; [unrolled: 1-line block ×3, first 2 shown]
	s_waitcnt vmcnt(58) lgkmcnt(0)
	v_mul_f64 v[99:100], v[9:10], v[51:52]
	v_mul_f64 v[51:52], v[11:12], v[51:52]
	ds_read_b128 v[5:8], v98 offset:1408
	s_waitcnt vmcnt(56)
	v_fma_f64 v[29:30], v[1:2], v[41:42], -v[29:30]
	v_fma_f64 v[41:42], v[3:4], v[41:42], v[119:120]
	v_add_f64 v[15:16], v[15:16], v[45:46]
	v_add_f64 v[13:14], v[13:14], v[23:24]
	s_clause 0x4
	buffer_load_dword v24, off, s[0:3], 0 offset:764
	buffer_load_dword v45, off, s[0:3], 0 offset:776
	buffer_load_dword v105, off, s[0:3], 0 offset:768
	buffer_load_dword v23, off, s[0:3], 0 offset:760
	buffer_load_dword v114, off, s[0:3], 0 offset:740
	ds_read_b128 v[1:4], v98 offset:1424
	s_waitcnt vmcnt(57) lgkmcnt(1)
	v_mul_f64 v[119:120], v[5:6], v[35:36]
	v_mul_f64 v[35:36], v[7:8], v[35:36]
	s_waitcnt vmcnt(56)
	v_fma_f64 v[51:52], v[9:10], v[53:54], -v[51:52]
	v_add_f64 v[15:16], v[15:16], v[29:30]
	v_fma_f64 v[29:30], v[11:12], v[53:54], v[99:100]
	v_add_f64 v[13:14], v[13:14], v[41:42]
	s_clause 0x2
	buffer_load_dword v46, off, s[0:3], 0 offset:780
	buffer_load_dword v42, off, s[0:3], 0 offset:756
	buffer_load_dword v41, off, s[0:3], 0 offset:752
	ds_read_b128 v[9:12], v98 offset:1440
	s_waitcnt vmcnt(58) lgkmcnt(1)
	v_mul_f64 v[53:54], v[1:2], v[63:64]
	v_mul_f64 v[63:64], v[3:4], v[63:64]
	s_waitcnt vmcnt(56)
	v_fma_f64 v[35:36], v[5:6], v[39:40], -v[35:36]
	v_fma_f64 v[39:40], v[7:8], v[39:40], v[119:120]
	v_add_f64 v[15:16], v[15:16], v[51:52]
	v_add_f64 v[13:14], v[13:14], v[29:30]
	s_clause 0x4
	buffer_load_dword v30, off, s[0:3], 0 offset:796
	buffer_load_dword v51, off, s[0:3], 0 offset:808
	buffer_load_dword v99, off, s[0:3], 0 offset:800
	buffer_load_dword v29, off, s[0:3], 0 offset:792
	buffer_load_dword v106, off, s[0:3], 0 offset:772
	ds_read_b128 v[5:8], v98 offset:1456
	s_waitcnt vmcnt(57) lgkmcnt(1)
	v_mul_f64 v[119:120], v[9:10], v[43:44]
	v_mul_f64 v[43:44], v[11:12], v[43:44]
	s_waitcnt vmcnt(56)
	v_fma_f64 v[63:64], v[1:2], v[89:90], -v[63:64]
	v_add_f64 v[15:16], v[15:16], v[35:36]
	v_fma_f64 v[35:36], v[3:4], v[89:90], v[53:54]
	v_add_f64 v[13:14], v[13:14], v[39:40]
	s_clause 0x2
	buffer_load_dword v52, off, s[0:3], 0 offset:812
	buffer_load_dword v40, off, s[0:3], 0 offset:788
	buffer_load_dword v39, off, s[0:3], 0 offset:784
	ds_read_b128 v[1:4], v98 offset:1472
	s_waitcnt vmcnt(58) lgkmcnt(1)
	v_mul_f64 v[89:90], v[7:8], v[93:94]
	v_mul_f64 v[53:54], v[5:6], v[93:94]
	;; [unrolled: 28-line block ×4, first 2 shown]
	s_waitcnt vmcnt(56)
	v_fma_f64 v[61:62], v[5:6], v[91:92], -v[61:62]
	v_add_f64 v[15:16], v[15:16], v[55:56]
	v_fma_f64 v[55:56], v[7:8], v[91:92], v[119:120]
	v_add_f64 v[13:14], v[13:14], v[49:50]
	s_clause 0x4
	buffer_load_dword v50, off, s[0:3], 0 offset:892
	buffer_load_dword v91, off, s[0:3], 0 offset:904
	;; [unrolled: 1-line block ×5, first 2 shown]
	ds_read_b128 v[5:8], v98 offset:1552
	s_waitcnt vmcnt(57) lgkmcnt(1)
	v_mul_f64 v[119:120], v[9:10], v[21:22]
	v_mul_f64 v[21:22], v[11:12], v[21:22]
	s_waitcnt vmcnt(56)
	v_fma_f64 v[101:102], v[1:2], v[111:112], -v[101:102]
	v_fma_f64 v[53:54], v[3:4], v[111:112], v[53:54]
	v_add_f64 v[15:16], v[15:16], v[61:62]
	v_add_f64 v[13:14], v[13:14], v[55:56]
	s_clause 0x2
	buffer_load_dword v92, off, s[0:3], 0 offset:908
	buffer_load_dword v56, off, s[0:3], 0 offset:884
	;; [unrolled: 1-line block ×3, first 2 shown]
	ds_read_b128 v[1:4], v98 offset:1568
	buffer_load_dword v108, off, s[0:3], 0 offset:900
	s_waitcnt vmcnt(59) lgkmcnt(1)
	v_mul_f64 v[61:62], v[5:6], v[109:110]
	v_mul_f64 v[109:110], v[7:8], v[109:110]
	s_waitcnt vmcnt(57)
	v_fma_f64 v[21:22], v[9:10], v[27:28], -v[21:22]
	v_fma_f64 v[27:28], v[11:12], v[27:28], v[119:120]
	ds_read_b128 v[9:12], v98 offset:1584
	v_add_f64 v[15:16], v[15:16], v[101:102]
	v_add_f64 v[13:14], v[13:14], v[53:54]
	s_waitcnt vmcnt(53) lgkmcnt(1)
	v_mul_f64 v[53:54], v[1:2], v[33:34]
	v_mul_f64 v[33:34], v[3:4], v[33:34]
	s_waitcnt vmcnt(52)
	v_fma_f64 v[101:102], v[5:6], v[115:116], -v[109:110]
	v_add_f64 v[15:16], v[15:16], v[21:22]
	v_fma_f64 v[21:22], v[7:8], v[115:116], v[61:62]
	v_add_f64 v[13:14], v[13:14], v[27:28]
	ds_read_b128 v[5:8], v98 offset:1600
	s_waitcnt vmcnt(51) lgkmcnt(1)
	v_mul_f64 v[61:62], v[11:12], v[103:104]
	v_mul_f64 v[27:28], v[9:10], v[103:104]
	s_waitcnt vmcnt(49)
	v_fma_f64 v[33:34], v[1:2], v[25:26], -v[33:34]
	v_fma_f64 v[25:26], v[3:4], v[25:26], v[53:54]
	v_add_f64 v[15:16], v[15:16], v[101:102]
	v_add_f64 v[13:14], v[13:14], v[21:22]
	s_clause 0x3
	buffer_load_dword v21, off, s[0:3], 0 offset:80
	buffer_load_dword v22, off, s[0:3], 0 offset:84
	;; [unrolled: 1-line block ×4, first 2 shown]
	ds_read_b128 v[1:4], v98 offset:1616
	s_waitcnt vmcnt(49) lgkmcnt(1)
	v_mul_f64 v[101:102], v[5:6], v[19:20]
	v_mul_f64 v[19:20], v[7:8], v[19:20]
	s_waitcnt vmcnt(48)
	v_fma_f64 v[61:62], v[9:10], v[117:118], -v[61:62]
	v_fma_f64 v[27:28], v[11:12], v[117:118], v[27:28]
	ds_read_b128 v[9:12], v98 offset:1632
	v_add_f64 v[15:16], v[15:16], v[33:34]
	v_add_f64 v[13:14], v[13:14], v[25:26]
	s_waitcnt vmcnt(47) lgkmcnt(1)
	v_mul_f64 v[33:34], v[3:4], v[37:38]
	v_mul_f64 v[25:26], v[1:2], v[37:38]
	s_waitcnt vmcnt(45)
	v_fma_f64 v[19:20], v[5:6], v[31:32], -v[19:20]
	v_fma_f64 v[31:32], v[7:8], v[31:32], v[101:102]
	ds_read_b128 v[5:8], v98 offset:1648
	v_add_f64 v[15:16], v[15:16], v[61:62]
	v_add_f64 v[13:14], v[13:14], v[27:28]
	s_waitcnt vmcnt(41) lgkmcnt(1)
	v_mul_f64 v[27:28], v[9:10], v[23:24]
	v_mul_f64 v[23:24], v[11:12], v[23:24]
	s_waitcnt vmcnt(40)
	v_fma_f64 v[33:34], v[1:2], v[113:114], -v[33:34]
	v_add_f64 v[15:16], v[15:16], v[19:20]
	v_fma_f64 v[19:20], v[3:4], v[113:114], v[25:26]
	v_add_f64 v[13:14], v[13:14], v[31:32]
	ds_read_b128 v[1:4], v98 offset:1664
	s_waitcnt vmcnt(39) lgkmcnt(1)
	v_mul_f64 v[31:32], v[7:8], v[45:46]
	v_mul_f64 v[25:26], v[5:6], v[45:46]
	s_waitcnt vmcnt(37)
	v_fma_f64 v[23:24], v[9:10], v[41:42], -v[23:24]
	v_fma_f64 v[27:28], v[11:12], v[41:42], v[27:28]
	ds_read_b128 v[9:12], v98 offset:1680
	v_add_f64 v[15:16], v[15:16], v[33:34]
	v_add_f64 v[13:14], v[13:14], v[19:20]
	s_waitcnt vmcnt(33) lgkmcnt(1)
	v_mul_f64 v[19:20], v[1:2], v[29:30]
	v_mul_f64 v[29:30], v[3:4], v[29:30]
	s_waitcnt vmcnt(32)
	v_fma_f64 v[31:32], v[5:6], v[105:106], -v[31:32]
	v_add_f64 v[15:16], v[15:16], v[23:24]
	v_fma_f64 v[23:24], v[7:8], v[105:106], v[25:26]
	v_add_f64 v[13:14], v[13:14], v[27:28]
	ds_read_b128 v[5:8], v98 offset:1696
	s_waitcnt vmcnt(31) lgkmcnt(1)
	v_mul_f64 v[27:28], v[11:12], v[51:52]
	v_mul_f64 v[25:26], v[9:10], v[51:52]
	s_waitcnt vmcnt(29)
	v_fma_f64 v[29:30], v[1:2], v[39:40], -v[29:30]
	v_fma_f64 v[19:20], v[3:4], v[39:40], v[19:20]
	ds_read_b128 v[1:4], v98 offset:1712
	v_add_f64 v[15:16], v[15:16], v[31:32]
	v_add_f64 v[13:14], v[13:14], v[23:24]
	s_waitcnt vmcnt(25) lgkmcnt(1)
	v_mul_f64 v[31:32], v[7:8], v[35:36]
	s_waitcnt vmcnt(24)
	v_fma_f64 v[27:28], v[9:10], v[99:100], -v[27:28]
	v_mul_f64 v[23:24], v[5:6], v[35:36]
	v_fma_f64 v[25:26], v[11:12], v[99:100], v[25:26]
	ds_read_b128 v[9:12], v98 offset:1728
	v_add_f64 v[15:16], v[15:16], v[29:30]
	v_add_f64 v[13:14], v[13:14], v[19:20]
	s_waitcnt vmcnt(23) lgkmcnt(1)
	v_mul_f64 v[29:30], v[3:4], v[63:64]
	v_mul_f64 v[19:20], v[1:2], v[63:64]
	s_waitcnt vmcnt(21)
	v_fma_f64 v[31:32], v[5:6], v[47:48], -v[31:32]
	v_fma_f64 v[23:24], v[7:8], v[47:48], v[23:24]
	ds_read_b128 v[5:8], v98 offset:1744
	v_add_f64 v[15:16], v[15:16], v[27:28]
	v_add_f64 v[13:14], v[13:14], v[25:26]
	s_waitcnt vmcnt(17) lgkmcnt(1)
	v_mul_f64 v[27:28], v[11:12], v[43:44]
	s_waitcnt vmcnt(16)
	v_fma_f64 v[29:30], v[1:2], v[93:94], -v[29:30]
	v_mul_f64 v[25:26], v[9:10], v[43:44]
	v_fma_f64 v[19:20], v[3:4], v[93:94], v[19:20]
	ds_read_b128 v[1:4], v98 offset:1760
	v_add_f64 v[15:16], v[15:16], v[31:32]
	v_add_f64 v[13:14], v[13:14], v[23:24]
	s_waitcnt vmcnt(15) lgkmcnt(1)
	v_mul_f64 v[31:32], v[7:8], v[89:90]
	v_mul_f64 v[23:24], v[5:6], v[89:90]
	s_waitcnt vmcnt(13)
	v_fma_f64 v[27:28], v[9:10], v[17:18], -v[27:28]
	v_fma_f64 v[17:18], v[11:12], v[17:18], v[25:26]
	ds_read_b128 v[9:12], v98 offset:1776
	v_add_f64 v[15:16], v[15:16], v[29:30]
	v_add_f64 v[13:14], v[13:14], v[19:20]
	s_waitcnt vmcnt(9) lgkmcnt(1)
	v_mul_f64 v[25:26], v[3:4], v[49:50]
	s_waitcnt vmcnt(8)
	v_fma_f64 v[5:6], v[5:6], v[95:96], -v[31:32]
	v_mul_f64 v[19:20], v[1:2], v[49:50]
	v_fma_f64 v[7:8], v[7:8], v[95:96], v[23:24]
	v_add_f64 v[15:16], v[15:16], v[27:28]
	v_add_f64 v[13:14], v[13:14], v[17:18]
	s_waitcnt vmcnt(7) lgkmcnt(0)
	v_mul_f64 v[23:24], v[11:12], v[91:92]
	v_mul_f64 v[17:18], v[9:10], v[91:92]
	s_waitcnt vmcnt(5)
	v_fma_f64 v[1:2], v[1:2], v[55:56], -v[25:26]
	v_fma_f64 v[3:4], v[3:4], v[55:56], v[19:20]
	v_add_f64 v[5:6], v[15:16], v[5:6]
	v_add_f64 v[7:8], v[13:14], v[7:8]
	s_waitcnt vmcnt(4)
	v_fma_f64 v[9:10], v[9:10], v[107:108], -v[23:24]
	v_add_f64 v[1:2], v[5:6], v[1:2]
	v_fma_f64 v[5:6], v[11:12], v[107:108], v[17:18]
	v_add_f64 v[3:4], v[7:8], v[3:4]
	v_add_f64 v[1:2], v[1:2], v[9:10]
	;; [unrolled: 1-line block ×3, first 2 shown]
	s_waitcnt vmcnt(2)
	v_add_f64 v[1:2], v[21:22], -v[1:2]
	s_waitcnt vmcnt(0)
	v_add_f64 v[3:4], v[53:54], -v[3:4]
	buffer_store_dword v2, off, s[0:3], 0 offset:84
	buffer_store_dword v1, off, s[0:3], 0 offset:80
	;; [unrolled: 1-line block ×4, first 2 shown]
	v_cmpx_lt_u32_e32 3, v0
	s_cbranch_execz .LBB55_343
; %bb.342:
	v_mov_b32_e32 v4, s65
	s_clause 0x3
	buffer_load_dword v1, v4, s[0:3], 0 offen
	buffer_load_dword v2, v4, s[0:3], 0 offen offset:4
	buffer_load_dword v3, v4, s[0:3], 0 offen offset:8
	;; [unrolled: 1-line block ×3, first 2 shown]
	buffer_store_dword v98, off, s[0:3], 0 offset:64
	buffer_store_dword v98, off, s[0:3], 0 offset:68
	;; [unrolled: 1-line block ×4, first 2 shown]
	s_waitcnt vmcnt(0)
	ds_write_b128 v97, v[1:4]
.LBB55_343:
	s_or_b32 exec_lo, exec_lo, s4
	s_waitcnt lgkmcnt(0)
	s_waitcnt_vscnt null, 0x0
	s_barrier
	buffer_gl0_inv
	s_clause 0x37
	buffer_load_dword v17, off, s[0:3], 0 offset:88
	buffer_load_dword v18, off, s[0:3], 0 offset:92
	;; [unrolled: 1-line block ×56, first 2 shown]
	ds_read_b128 v[5:8], v98 offset:960
	s_clause 0x2
	buffer_load_dword v94, off, s[0:3], 0 offset:316
	buffer_load_dword v96, off, s[0:3], 0 offset:292
	;; [unrolled: 1-line block ×3, first 2 shown]
	ds_read_b128 v[1:4], v98 offset:976
	s_clause 0x4
	buffer_load_dword v106, off, s[0:3], 0 offset:332
	buffer_load_dword v107, off, s[0:3], 0 offset:344
	;; [unrolled: 1-line block ×5, first 2 shown]
	ds_read_b128 v[99:102], v98 offset:992
	s_mov_b32 s4, exec_lo
	s_waitcnt vmcnt(62) lgkmcnt(2)
	v_mul_f64 v[103:104], v[7:8], v[17:18]
	v_mul_f64 v[17:18], v[5:6], v[17:18]
	s_waitcnt vmcnt(60) lgkmcnt(1)
	v_mul_f64 v[110:111], v[3:4], v[13:14]
	v_mul_f64 v[13:14], v[1:2], v[13:14]
	;; [unrolled: 3-line block ×3, first 2 shown]
	v_fma_f64 v[103:104], v[5:6], v[15:16], -v[103:104]
	v_fma_f64 v[15:16], v[7:8], v[15:16], v[17:18]
	s_clause 0x2
	buffer_load_dword v108, off, s[0:3], 0 offset:348
	buffer_load_dword v18, off, s[0:3], 0 offset:324
	;; [unrolled: 1-line block ×3, first 2 shown]
	s_waitcnt vmcnt(57)
	v_fma_f64 v[114:115], v[1:2], v[9:10], -v[110:111]
	ds_read_b128 v[5:8], v98 offset:1008
	v_fma_f64 v[9:10], v[3:4], v[9:10], v[13:14]
	s_waitcnt vmcnt(51)
	v_fma_f64 v[99:100], v[99:100], v[33:34], -v[11:12]
	v_fma_f64 v[33:34], v[101:102], v[33:34], v[112:113]
	v_add_f64 v[103:104], v[103:104], 0
	v_add_f64 v[13:14], v[15:16], 0
	s_clause 0x4
	buffer_load_dword v16, off, s[0:3], 0 offset:364
	buffer_load_dword v111, off, s[0:3], 0 offset:376
	buffer_load_dword v116, off, s[0:3], 0 offset:368
	buffer_load_dword v15, off, s[0:3], 0 offset:360
	buffer_load_dword v110, off, s[0:3], 0 offset:340
	s_waitcnt lgkmcnt(0)
	v_mul_f64 v[117:118], v[5:6], v[21:22]
	v_mul_f64 v[21:22], v[7:8], v[21:22]
	ds_read_b128 v[1:4], v98 offset:1024
	s_clause 0x2
	buffer_load_dword v112, off, s[0:3], 0 offset:380
	buffer_load_dword v102, off, s[0:3], 0 offset:356
	;; [unrolled: 1-line block ×3, first 2 shown]
	v_add_f64 v[103:104], v[103:104], v[114:115]
	v_add_f64 v[13:14], v[13:14], v[9:10]
	ds_read_b128 v[9:12], v98 offset:1040
	s_waitcnt vmcnt(58) lgkmcnt(1)
	v_mul_f64 v[113:114], v[1:2], v[25:26]
	v_mul_f64 v[25:26], v[3:4], v[25:26]
	s_waitcnt vmcnt(56)
	v_fma_f64 v[21:22], v[5:6], v[27:28], -v[21:22]
	v_fma_f64 v[27:28], v[7:8], v[27:28], v[117:118]
	s_waitcnt vmcnt(52) lgkmcnt(0)
	v_mul_f64 v[119:120], v[9:10], v[29:30]
	v_add_f64 v[99:100], v[103:104], v[99:100]
	v_add_f64 v[13:14], v[13:14], v[33:34]
	s_clause 0x4
	buffer_load_dword v34, off, s[0:3], 0 offset:396
	buffer_load_dword v103, off, s[0:3], 0 offset:408
	;; [unrolled: 1-line block ×5, first 2 shown]
	v_mul_f64 v[29:30], v[11:12], v[29:30]
	s_waitcnt vmcnt(56)
	v_fma_f64 v[25:26], v[1:2], v[19:20], -v[25:26]
	ds_read_b128 v[5:8], v98 offset:1056
	v_fma_f64 v[19:20], v[3:4], v[19:20], v[113:114]
	v_add_f64 v[21:22], v[99:100], v[21:22]
	v_add_f64 v[13:14], v[13:14], v[27:28]
	s_clause 0x2
	buffer_load_dword v104, off, s[0:3], 0 offset:412
	buffer_load_dword v28, off, s[0:3], 0 offset:388
	;; [unrolled: 1-line block ×3, first 2 shown]
	s_waitcnt vmcnt(58) lgkmcnt(0)
	v_mul_f64 v[99:100], v[5:6], v[35:36]
	v_mul_f64 v[35:36], v[7:8], v[35:36]
	s_waitcnt vmcnt(56)
	v_fma_f64 v[29:30], v[9:10], v[37:38], -v[29:30]
	ds_read_b128 v[1:4], v98 offset:1072
	v_add_f64 v[21:22], v[21:22], v[25:26]
	v_fma_f64 v[25:26], v[11:12], v[37:38], v[119:120]
	v_add_f64 v[13:14], v[13:14], v[19:20]
	s_clause 0x4
	buffer_load_dword v20, off, s[0:3], 0 offset:428
	buffer_load_dword v37, off, s[0:3], 0 offset:440
	;; [unrolled: 1-line block ×5, first 2 shown]
	s_waitcnt vmcnt(57) lgkmcnt(0)
	v_mul_f64 v[114:115], v[1:2], v[39:40]
	v_mul_f64 v[39:40], v[3:4], v[39:40]
	s_waitcnt vmcnt(56)
	v_fma_f64 v[35:36], v[5:6], v[23:24], -v[35:36]
	ds_read_b128 v[9:12], v98 offset:1088
	v_fma_f64 v[23:24], v[7:8], v[23:24], v[99:100]
	v_add_f64 v[21:22], v[21:22], v[29:30]
	v_add_f64 v[13:14], v[13:14], v[25:26]
	s_clause 0x2
	buffer_load_dword v38, off, s[0:3], 0 offset:444
	buffer_load_dword v26, off, s[0:3], 0 offset:420
	;; [unrolled: 1-line block ×3, first 2 shown]
	ds_read_b128 v[5:8], v98 offset:1104
	s_waitcnt vmcnt(58) lgkmcnt(1)
	v_mul_f64 v[29:30], v[9:10], v[43:44]
	v_mul_f64 v[43:44], v[11:12], v[43:44]
	s_waitcnt vmcnt(56)
	v_fma_f64 v[39:40], v[1:2], v[45:46], -v[39:40]
	v_add_f64 v[21:22], v[21:22], v[35:36]
	v_fma_f64 v[35:36], v[3:4], v[45:46], v[114:115]
	v_add_f64 v[13:14], v[13:14], v[23:24]
	s_clause 0x4
	buffer_load_dword v24, off, s[0:3], 0 offset:460
	buffer_load_dword v45, off, s[0:3], 0 offset:472
	buffer_load_dword v99, off, s[0:3], 0 offset:464
	buffer_load_dword v23, off, s[0:3], 0 offset:456
	buffer_load_dword v114, off, s[0:3], 0 offset:436
	s_waitcnt vmcnt(57) lgkmcnt(0)
	v_mul_f64 v[120:121], v[5:6], v[47:48]
	v_mul_f64 v[47:48], v[7:8], v[47:48]
	s_waitcnt vmcnt(56)
	v_fma_f64 v[43:44], v[9:10], v[31:32], -v[43:44]
	ds_read_b128 v[1:4], v98 offset:1120
	v_fma_f64 v[29:30], v[11:12], v[31:32], v[29:30]
	s_clause 0x2
	buffer_load_dword v46, off, s[0:3], 0 offset:476
	buffer_load_dword v32, off, s[0:3], 0 offset:452
	;; [unrolled: 1-line block ×3, first 2 shown]
	ds_read_b128 v[9:12], v98 offset:1136
	v_add_f64 v[21:22], v[21:22], v[39:40]
	v_add_f64 v[13:14], v[13:14], v[35:36]
	s_waitcnt vmcnt(58) lgkmcnt(1)
	v_mul_f64 v[39:40], v[3:4], v[51:52]
	s_waitcnt vmcnt(56)
	v_fma_f64 v[47:48], v[5:6], v[53:54], -v[47:48]
	v_mul_f64 v[35:36], v[1:2], v[51:52]
	v_add_f64 v[21:22], v[21:22], v[43:44]
	v_fma_f64 v[43:44], v[7:8], v[53:54], v[120:121]
	v_add_f64 v[13:14], v[13:14], v[29:30]
	s_clause 0x4
	buffer_load_dword v30, off, s[0:3], 0 offset:492
	buffer_load_dword v51, off, s[0:3], 0 offset:504
	;; [unrolled: 1-line block ×5, first 2 shown]
	s_waitcnt vmcnt(57) lgkmcnt(0)
	v_mul_f64 v[120:121], v[9:10], v[55:56]
	v_mul_f64 v[54:55], v[11:12], v[55:56]
	s_waitcnt vmcnt(56)
	v_fma_f64 v[39:40], v[1:2], v[41:42], -v[39:40]
	ds_read_b128 v[5:8], v98 offset:1152
	v_fma_f64 v[35:36], v[3:4], v[41:42], v[35:36]
	s_clause 0x2
	buffer_load_dword v52, off, s[0:3], 0 offset:508
	buffer_load_dword v42, off, s[0:3], 0 offset:484
	;; [unrolled: 1-line block ×3, first 2 shown]
	ds_read_b128 v[1:4], v98 offset:1168
	v_add_f64 v[21:22], v[21:22], v[47:48]
	v_add_f64 v[13:14], v[13:14], v[43:44]
	s_waitcnt vmcnt(58) lgkmcnt(1)
	v_mul_f64 v[47:48], v[7:8], v[63:64]
	s_waitcnt vmcnt(56)
	v_fma_f64 v[55:56], v[9:10], v[89:90], -v[54:55]
	v_mul_f64 v[43:44], v[5:6], v[63:64]
	v_add_f64 v[21:22], v[21:22], v[39:40]
	v_fma_f64 v[39:40], v[11:12], v[89:90], v[120:121]
	v_add_f64 v[13:14], v[13:14], v[35:36]
	s_clause 0x4
	buffer_load_dword v36, off, s[0:3], 0 offset:524
	buffer_load_dword v63, off, s[0:3], 0 offset:536
	;; [unrolled: 1-line block ×5, first 2 shown]
	s_waitcnt vmcnt(57) lgkmcnt(0)
	v_mul_f64 v[120:121], v[1:2], v[91:92]
	v_mul_f64 v[90:91], v[3:4], v[91:92]
	s_waitcnt vmcnt(56)
	v_fma_f64 v[47:48], v[5:6], v[49:50], -v[47:48]
	ds_read_b128 v[9:12], v98 offset:1184
	v_fma_f64 v[43:44], v[7:8], v[49:50], v[43:44]
	v_add_f64 v[21:22], v[21:22], v[55:56]
	v_add_f64 v[13:14], v[13:14], v[39:40]
	s_clause 0x2
	buffer_load_dword v64, off, s[0:3], 0 offset:540
	buffer_load_dword v40, off, s[0:3], 0 offset:516
	buffer_load_dword v39, off, s[0:3], 0 offset:512
	ds_read_b128 v[5:8], v98 offset:1200
	s_waitcnt vmcnt(58) lgkmcnt(1)
	v_mul_f64 v[55:56], v[11:12], v[93:94]
	s_waitcnt vmcnt(56)
	v_fma_f64 v[91:92], v[1:2], v[95:96], -v[90:91]
	v_mul_f64 v[49:50], v[9:10], v[93:94]
	v_add_f64 v[21:22], v[21:22], v[47:48]
	v_fma_f64 v[47:48], v[3:4], v[95:96], v[120:121]
	v_add_f64 v[13:14], v[13:14], v[43:44]
	s_clause 0x4
	buffer_load_dword v44, off, s[0:3], 0 offset:556
	buffer_load_dword v93, off, s[0:3], 0 offset:568
	;; [unrolled: 1-line block ×5, first 2 shown]
	s_waitcnt vmcnt(57) lgkmcnt(0)
	v_mul_f64 v[120:121], v[5:6], v[105:106]
	v_mul_f64 v[105:106], v[7:8], v[105:106]
	s_waitcnt vmcnt(56)
	v_fma_f64 v[55:56], v[9:10], v[61:62], -v[55:56]
	ds_read_b128 v[1:4], v98 offset:1216
	v_fma_f64 v[49:50], v[11:12], v[61:62], v[49:50]
	v_add_f64 v[21:22], v[21:22], v[91:92]
	v_add_f64 v[13:14], v[13:14], v[47:48]
	s_clause 0x2
	buffer_load_dword v94, off, s[0:3], 0 offset:572
	buffer_load_dword v48, off, s[0:3], 0 offset:548
	buffer_load_dword v47, off, s[0:3], 0 offset:544
	ds_read_b128 v[9:12], v98 offset:1232
	s_waitcnt vmcnt(58) lgkmcnt(1)
	v_mul_f64 v[91:92], v[3:4], v[107:108]
	v_mul_f64 v[61:62], v[1:2], v[107:108]
	s_waitcnt vmcnt(56)
	v_fma_f64 v[105:106], v[5:6], v[17:18], -v[105:106]
	v_fma_f64 v[17:18], v[7:8], v[17:18], v[120:121]
	v_add_f64 v[21:22], v[21:22], v[55:56]
	v_add_f64 v[13:14], v[13:14], v[49:50]
	s_clause 0x4
	buffer_load_dword v50, off, s[0:3], 0 offset:588
	buffer_load_dword v55, off, s[0:3], 0 offset:600
	;; [unrolled: 1-line block ×5, first 2 shown]
	ds_read_b128 v[5:8], v98 offset:1248
	s_waitcnt vmcnt(57) lgkmcnt(1)
	v_mul_f64 v[120:121], v[9:10], v[15:16]
	v_mul_f64 v[15:16], v[11:12], v[15:16]
	s_waitcnt vmcnt(56)
	v_fma_f64 v[91:92], v[1:2], v[109:110], -v[91:92]
	v_fma_f64 v[61:62], v[3:4], v[109:110], v[61:62]
	v_add_f64 v[21:22], v[21:22], v[105:106]
	v_add_f64 v[13:14], v[13:14], v[17:18]
	s_clause 0x2
	buffer_load_dword v56, off, s[0:3], 0 offset:604
	buffer_load_dword v18, off, s[0:3], 0 offset:580
	;; [unrolled: 1-line block ×3, first 2 shown]
	s_waitcnt vmcnt(58) lgkmcnt(0)
	v_mul_f64 v[109:110], v[7:8], v[111:112]
	ds_read_b128 v[1:4], v98 offset:1264
	v_mul_f64 v[105:106], v[5:6], v[111:112]
	s_waitcnt vmcnt(56)
	v_fma_f64 v[15:16], v[9:10], v[101:102], -v[15:16]
	v_add_f64 v[21:22], v[21:22], v[91:92]
	v_fma_f64 v[91:92], v[11:12], v[101:102], v[120:121]
	v_add_f64 v[13:14], v[13:14], v[61:62]
	s_clause 0x4
	buffer_load_dword v62, off, s[0:3], 0 offset:620
	buffer_load_dword v101, off, s[0:3], 0 offset:632
	;; [unrolled: 1-line block ×5, first 2 shown]
	ds_read_b128 v[9:12], v98 offset:1280
	s_waitcnt vmcnt(57) lgkmcnt(1)
	v_mul_f64 v[120:121], v[1:2], v[33:34]
	v_mul_f64 v[33:34], v[3:4], v[33:34]
	s_waitcnt vmcnt(56)
	v_fma_f64 v[109:110], v[5:6], v[116:117], -v[109:110]
	v_add_f64 v[15:16], v[21:22], v[15:16]
	v_fma_f64 v[21:22], v[7:8], v[116:117], v[105:106]
	v_add_f64 v[13:14], v[13:14], v[91:92]
	s_clause 0x2
	buffer_load_dword v102, off, s[0:3], 0 offset:636
	buffer_load_dword v92, off, s[0:3], 0 offset:612
	buffer_load_dword v91, off, s[0:3], 0 offset:608
	ds_read_b128 v[5:8], v98 offset:1296
	s_waitcnt vmcnt(58) lgkmcnt(1)
	v_mul_f64 v[105:106], v[9:10], v[103:104]
	v_mul_f64 v[103:104], v[11:12], v[103:104]
	s_waitcnt vmcnt(56)
	v_fma_f64 v[33:34], v[1:2], v[27:28], -v[33:34]
	v_fma_f64 v[27:28], v[3:4], v[27:28], v[120:121]
	v_add_f64 v[15:16], v[15:16], v[109:110]
	v_add_f64 v[13:14], v[13:14], v[21:22]
	s_clause 0x4
	buffer_load_dword v22, off, s[0:3], 0 offset:652
	buffer_load_dword v109, off, s[0:3], 0 offset:664
	;; [unrolled: 1-line block ×5, first 2 shown]
	ds_read_b128 v[1:4], v98 offset:1312
	s_waitcnt vmcnt(57) lgkmcnt(1)
	v_mul_f64 v[116:117], v[5:6], v[19:20]
	v_mul_f64 v[19:20], v[7:8], v[19:20]
	s_waitcnt vmcnt(56)
	v_fma_f64 v[103:104], v[9:10], v[118:119], -v[103:104]
	v_add_f64 v[15:16], v[15:16], v[33:34]
	v_fma_f64 v[33:34], v[11:12], v[118:119], v[105:106]
	v_add_f64 v[13:14], v[13:14], v[27:28]
	s_clause 0x2
	buffer_load_dword v110, off, s[0:3], 0 offset:668
	buffer_load_dword v28, off, s[0:3], 0 offset:644
	;; [unrolled: 1-line block ×3, first 2 shown]
	ds_read_b128 v[9:12], v98 offset:1328
	s_waitcnt vmcnt(58) lgkmcnt(1)
	v_mul_f64 v[105:106], v[1:2], v[37:38]
	v_mul_f64 v[37:38], v[3:4], v[37:38]
	s_waitcnt vmcnt(56)
	v_fma_f64 v[19:20], v[5:6], v[25:26], -v[19:20]
	v_fma_f64 v[25:26], v[7:8], v[25:26], v[116:117]
	v_add_f64 v[15:16], v[15:16], v[103:104]
	v_add_f64 v[13:14], v[13:14], v[33:34]
	s_clause 0x4
	buffer_load_dword v34, off, s[0:3], 0 offset:684
	buffer_load_dword v103, off, s[0:3], 0 offset:696
	;; [unrolled: 1-line block ×5, first 2 shown]
	ds_read_b128 v[5:8], v98 offset:1344
	s_waitcnt vmcnt(57) lgkmcnt(1)
	v_mul_f64 v[118:119], v[9:10], v[23:24]
	v_mul_f64 v[23:24], v[11:12], v[23:24]
	s_waitcnt vmcnt(56)
	v_fma_f64 v[37:38], v[1:2], v[113:114], -v[37:38]
	v_add_f64 v[15:16], v[15:16], v[19:20]
	v_fma_f64 v[19:20], v[3:4], v[113:114], v[105:106]
	v_add_f64 v[13:14], v[13:14], v[25:26]
	s_clause 0x2
	buffer_load_dword v104, off, s[0:3], 0 offset:700
	buffer_load_dword v26, off, s[0:3], 0 offset:676
	;; [unrolled: 1-line block ×3, first 2 shown]
	s_waitcnt vmcnt(58) lgkmcnt(0)
	v_mul_f64 v[105:106], v[5:6], v[45:46]
	v_mul_f64 v[45:46], v[7:8], v[45:46]
	ds_read_b128 v[1:4], v98 offset:1360
	s_waitcnt vmcnt(56)
	v_fma_f64 v[23:24], v[9:10], v[31:32], -v[23:24]
	v_fma_f64 v[31:32], v[11:12], v[31:32], v[118:119]
	v_add_f64 v[15:16], v[15:16], v[37:38]
	v_add_f64 v[13:14], v[13:14], v[19:20]
	s_clause 0x4
	buffer_load_dword v20, off, s[0:3], 0 offset:716
	buffer_load_dword v37, off, s[0:3], 0 offset:728
	;; [unrolled: 1-line block ×5, first 2 shown]
	ds_read_b128 v[9:12], v98 offset:1376
	s_waitcnt vmcnt(57) lgkmcnt(1)
	v_mul_f64 v[119:120], v[1:2], v[29:30]
	v_mul_f64 v[29:30], v[3:4], v[29:30]
	s_waitcnt vmcnt(56)
	v_fma_f64 v[45:46], v[5:6], v[99:100], -v[45:46]
	v_add_f64 v[15:16], v[15:16], v[23:24]
	v_fma_f64 v[23:24], v[7:8], v[99:100], v[105:106]
	v_add_f64 v[13:14], v[13:14], v[31:32]
	s_clause 0x2
	buffer_load_dword v38, off, s[0:3], 0 offset:732
	buffer_load_dword v32, off, s[0:3], 0 offset:708
	;; [unrolled: 1-line block ×3, first 2 shown]
	s_waitcnt vmcnt(58) lgkmcnt(0)
	v_mul_f64 v[99:100], v[9:10], v[51:52]
	v_mul_f64 v[51:52], v[11:12], v[51:52]
	ds_read_b128 v[5:8], v98 offset:1392
	s_waitcnt vmcnt(56)
	v_fma_f64 v[29:30], v[1:2], v[41:42], -v[29:30]
	v_fma_f64 v[41:42], v[3:4], v[41:42], v[119:120]
	v_add_f64 v[15:16], v[15:16], v[45:46]
	v_add_f64 v[13:14], v[13:14], v[23:24]
	s_clause 0x4
	buffer_load_dword v24, off, s[0:3], 0 offset:748
	buffer_load_dword v45, off, s[0:3], 0 offset:760
	buffer_load_dword v105, off, s[0:3], 0 offset:752
	buffer_load_dword v23, off, s[0:3], 0 offset:744
	buffer_load_dword v114, off, s[0:3], 0 offset:724
	ds_read_b128 v[1:4], v98 offset:1408
	s_waitcnt vmcnt(57) lgkmcnt(1)
	v_mul_f64 v[119:120], v[5:6], v[35:36]
	v_mul_f64 v[35:36], v[7:8], v[35:36]
	s_waitcnt vmcnt(56)
	v_fma_f64 v[51:52], v[9:10], v[53:54], -v[51:52]
	v_add_f64 v[15:16], v[15:16], v[29:30]
	v_fma_f64 v[29:30], v[11:12], v[53:54], v[99:100]
	v_add_f64 v[13:14], v[13:14], v[41:42]
	s_clause 0x2
	buffer_load_dword v46, off, s[0:3], 0 offset:764
	buffer_load_dword v42, off, s[0:3], 0 offset:740
	buffer_load_dword v41, off, s[0:3], 0 offset:736
	ds_read_b128 v[9:12], v98 offset:1424
	s_waitcnt vmcnt(58) lgkmcnt(1)
	v_mul_f64 v[53:54], v[1:2], v[63:64]
	v_mul_f64 v[63:64], v[3:4], v[63:64]
	s_waitcnt vmcnt(56)
	v_fma_f64 v[35:36], v[5:6], v[39:40], -v[35:36]
	v_fma_f64 v[39:40], v[7:8], v[39:40], v[119:120]
	v_add_f64 v[15:16], v[15:16], v[51:52]
	v_add_f64 v[13:14], v[13:14], v[29:30]
	s_clause 0x4
	buffer_load_dword v30, off, s[0:3], 0 offset:780
	buffer_load_dword v51, off, s[0:3], 0 offset:792
	buffer_load_dword v99, off, s[0:3], 0 offset:784
	buffer_load_dword v29, off, s[0:3], 0 offset:776
	buffer_load_dword v106, off, s[0:3], 0 offset:756
	ds_read_b128 v[5:8], v98 offset:1440
	s_waitcnt vmcnt(57) lgkmcnt(1)
	v_mul_f64 v[119:120], v[9:10], v[43:44]
	v_mul_f64 v[43:44], v[11:12], v[43:44]
	s_waitcnt vmcnt(56)
	v_fma_f64 v[63:64], v[1:2], v[89:90], -v[63:64]
	v_add_f64 v[15:16], v[15:16], v[35:36]
	v_fma_f64 v[35:36], v[3:4], v[89:90], v[53:54]
	v_add_f64 v[13:14], v[13:14], v[39:40]
	s_clause 0x2
	buffer_load_dword v52, off, s[0:3], 0 offset:796
	buffer_load_dword v40, off, s[0:3], 0 offset:772
	buffer_load_dword v39, off, s[0:3], 0 offset:768
	ds_read_b128 v[1:4], v98 offset:1456
	s_waitcnt vmcnt(58) lgkmcnt(1)
	v_mul_f64 v[89:90], v[7:8], v[93:94]
	v_mul_f64 v[53:54], v[5:6], v[93:94]
	;; [unrolled: 28-line block ×4, first 2 shown]
	s_waitcnt vmcnt(56)
	v_fma_f64 v[61:62], v[5:6], v[91:92], -v[61:62]
	v_add_f64 v[15:16], v[15:16], v[55:56]
	v_fma_f64 v[55:56], v[7:8], v[91:92], v[119:120]
	v_add_f64 v[13:14], v[13:14], v[49:50]
	s_clause 0x4
	buffer_load_dword v50, off, s[0:3], 0 offset:876
	buffer_load_dword v91, off, s[0:3], 0 offset:888
	;; [unrolled: 1-line block ×5, first 2 shown]
	ds_read_b128 v[5:8], v98 offset:1536
	s_waitcnt vmcnt(57) lgkmcnt(1)
	v_mul_f64 v[119:120], v[9:10], v[21:22]
	v_mul_f64 v[21:22], v[11:12], v[21:22]
	s_waitcnt vmcnt(56)
	v_fma_f64 v[101:102], v[1:2], v[111:112], -v[101:102]
	v_fma_f64 v[53:54], v[3:4], v[111:112], v[53:54]
	v_add_f64 v[15:16], v[15:16], v[61:62]
	v_add_f64 v[13:14], v[13:14], v[55:56]
	s_clause 0x2
	buffer_load_dword v92, off, s[0:3], 0 offset:892
	buffer_load_dword v56, off, s[0:3], 0 offset:868
	;; [unrolled: 1-line block ×3, first 2 shown]
	ds_read_b128 v[1:4], v98 offset:1552
	s_waitcnt vmcnt(58) lgkmcnt(1)
	v_mul_f64 v[61:62], v[5:6], v[109:110]
	v_mul_f64 v[109:110], v[7:8], v[109:110]
	s_waitcnt vmcnt(56)
	v_fma_f64 v[21:22], v[9:10], v[27:28], -v[21:22]
	v_fma_f64 v[27:28], v[11:12], v[27:28], v[119:120]
	v_add_f64 v[15:16], v[15:16], v[101:102]
	v_add_f64 v[13:14], v[13:14], v[53:54]
	s_clause 0x2
	buffer_load_dword v54, off, s[0:3], 0 offset:908
	buffer_load_dword v53, off, s[0:3], 0 offset:904
	;; [unrolled: 1-line block ×3, first 2 shown]
	ds_read_b128 v[9:12], v98 offset:1568
	s_waitcnt vmcnt(55) lgkmcnt(1)
	v_mul_f64 v[101:102], v[1:2], v[33:34]
	v_mul_f64 v[33:34], v[3:4], v[33:34]
	s_waitcnt vmcnt(54)
	v_fma_f64 v[109:110], v[5:6], v[115:116], -v[109:110]
	v_add_f64 v[15:16], v[15:16], v[21:22]
	v_fma_f64 v[21:22], v[7:8], v[115:116], v[61:62]
	v_add_f64 v[13:14], v[13:14], v[27:28]
	s_clause 0x1
	buffer_load_dword v28, off, s[0:3], 0 offset:900
	buffer_load_dword v27, off, s[0:3], 0 offset:896
	ds_read_b128 v[5:8], v98 offset:1584
	s_waitcnt vmcnt(55) lgkmcnt(1)
	v_mul_f64 v[61:62], v[9:10], v[103:104]
	v_mul_f64 v[103:104], v[11:12], v[103:104]
	s_waitcnt vmcnt(53)
	v_fma_f64 v[33:34], v[1:2], v[25:26], -v[33:34]
	v_fma_f64 v[25:26], v[3:4], v[25:26], v[101:102]
	ds_read_b128 v[1:4], v98 offset:1600
	v_add_f64 v[15:16], v[15:16], v[109:110]
	v_add_f64 v[13:14], v[13:14], v[21:22]
	s_waitcnt vmcnt(49) lgkmcnt(1)
	v_mul_f64 v[21:22], v[5:6], v[19:20]
	v_mul_f64 v[19:20], v[7:8], v[19:20]
	s_waitcnt vmcnt(48)
	v_fma_f64 v[101:102], v[9:10], v[117:118], -v[103:104]
	v_add_f64 v[15:16], v[15:16], v[33:34]
	v_fma_f64 v[33:34], v[11:12], v[117:118], v[61:62]
	v_add_f64 v[13:14], v[13:14], v[25:26]
	s_clause 0x3
	buffer_load_dword v25, off, s[0:3], 0 offset:64
	buffer_load_dword v26, off, s[0:3], 0 offset:68
	buffer_load_dword v61, off, s[0:3], 0 offset:72
	buffer_load_dword v62, off, s[0:3], 0 offset:76
	ds_read_b128 v[9:12], v98 offset:1616
	s_waitcnt vmcnt(51) lgkmcnt(1)
	v_mul_f64 v[103:104], v[1:2], v[37:38]
	v_mul_f64 v[37:38], v[3:4], v[37:38]
	s_waitcnt vmcnt(49)
	v_fma_f64 v[19:20], v[5:6], v[31:32], -v[19:20]
	v_fma_f64 v[21:22], v[7:8], v[31:32], v[21:22]
	ds_read_b128 v[5:8], v98 offset:1632
	v_add_f64 v[15:16], v[15:16], v[101:102]
	v_add_f64 v[13:14], v[13:14], v[33:34]
	s_waitcnt vmcnt(45) lgkmcnt(1)
	v_mul_f64 v[31:32], v[9:10], v[23:24]
	v_mul_f64 v[23:24], v[11:12], v[23:24]
	s_waitcnt vmcnt(44)
	v_fma_f64 v[33:34], v[1:2], v[113:114], -v[37:38]
	v_add_f64 v[15:16], v[15:16], v[19:20]
	v_fma_f64 v[19:20], v[3:4], v[113:114], v[103:104]
	v_add_f64 v[13:14], v[13:14], v[21:22]
	ds_read_b128 v[1:4], v98 offset:1648
	s_waitcnt vmcnt(43) lgkmcnt(1)
	v_mul_f64 v[37:38], v[7:8], v[45:46]
	v_mul_f64 v[21:22], v[5:6], v[45:46]
	s_waitcnt vmcnt(41)
	v_fma_f64 v[23:24], v[9:10], v[41:42], -v[23:24]
	v_fma_f64 v[31:32], v[11:12], v[41:42], v[31:32]
	ds_read_b128 v[9:12], v98 offset:1664
	v_add_f64 v[15:16], v[15:16], v[33:34]
	v_add_f64 v[13:14], v[13:14], v[19:20]
	s_waitcnt vmcnt(37) lgkmcnt(1)
	v_mul_f64 v[19:20], v[1:2], v[29:30]
	v_mul_f64 v[29:30], v[3:4], v[29:30]
	s_waitcnt vmcnt(36)
	v_fma_f64 v[33:34], v[5:6], v[105:106], -v[37:38]
	v_fma_f64 v[21:22], v[7:8], v[105:106], v[21:22]
	ds_read_b128 v[5:8], v98 offset:1680
	v_add_f64 v[15:16], v[15:16], v[23:24]
	v_add_f64 v[13:14], v[13:14], v[31:32]
	;; [unrolled: 9-line block ×3, first 2 shown]
	s_waitcnt vmcnt(29) lgkmcnt(1)
	v_mul_f64 v[33:34], v[7:8], v[35:36]
	s_waitcnt vmcnt(28)
	v_fma_f64 v[31:32], v[9:10], v[99:100], -v[31:32]
	v_mul_f64 v[21:22], v[5:6], v[35:36]
	v_fma_f64 v[23:24], v[11:12], v[99:100], v[23:24]
	ds_read_b128 v[9:12], v98 offset:1712
	v_add_f64 v[15:16], v[15:16], v[29:30]
	v_add_f64 v[13:14], v[13:14], v[19:20]
	s_waitcnt vmcnt(27) lgkmcnt(1)
	v_mul_f64 v[29:30], v[3:4], v[63:64]
	v_mul_f64 v[19:20], v[1:2], v[63:64]
	s_waitcnt vmcnt(25)
	v_fma_f64 v[33:34], v[5:6], v[47:48], -v[33:34]
	v_fma_f64 v[21:22], v[7:8], v[47:48], v[21:22]
	ds_read_b128 v[5:8], v98 offset:1728
	v_add_f64 v[15:16], v[15:16], v[31:32]
	v_add_f64 v[13:14], v[13:14], v[23:24]
	s_waitcnt vmcnt(21) lgkmcnt(1)
	v_mul_f64 v[31:32], v[11:12], v[43:44]
	s_waitcnt vmcnt(20)
	v_fma_f64 v[29:30], v[1:2], v[93:94], -v[29:30]
	v_mul_f64 v[23:24], v[9:10], v[43:44]
	v_fma_f64 v[19:20], v[3:4], v[93:94], v[19:20]
	ds_read_b128 v[1:4], v98 offset:1744
	v_add_f64 v[15:16], v[15:16], v[33:34]
	v_add_f64 v[13:14], v[13:14], v[21:22]
	s_waitcnt vmcnt(19) lgkmcnt(1)
	v_mul_f64 v[33:34], v[7:8], v[89:90]
	v_mul_f64 v[21:22], v[5:6], v[89:90]
	s_waitcnt vmcnt(17)
	v_fma_f64 v[31:32], v[9:10], v[17:18], -v[31:32]
	v_fma_f64 v[17:18], v[11:12], v[17:18], v[23:24]
	ds_read_b128 v[9:12], v98 offset:1760
	v_add_f64 v[15:16], v[15:16], v[29:30]
	v_add_f64 v[13:14], v[13:14], v[19:20]
	s_waitcnt vmcnt(13) lgkmcnt(1)
	v_mul_f64 v[23:24], v[3:4], v[49:50]
	s_waitcnt vmcnt(12)
	v_fma_f64 v[29:30], v[5:6], v[95:96], -v[33:34]
	v_mul_f64 v[19:20], v[1:2], v[49:50]
	v_fma_f64 v[21:22], v[7:8], v[95:96], v[21:22]
	ds_read_b128 v[5:8], v98 offset:1776
	v_add_f64 v[15:16], v[15:16], v[31:32]
	v_add_f64 v[13:14], v[13:14], v[17:18]
	s_waitcnt vmcnt(11) lgkmcnt(1)
	v_mul_f64 v[31:32], v[11:12], v[91:92]
	v_mul_f64 v[17:18], v[9:10], v[91:92]
	s_waitcnt vmcnt(9)
	v_fma_f64 v[1:2], v[1:2], v[55:56], -v[23:24]
	v_fma_f64 v[3:4], v[3:4], v[55:56], v[19:20]
	v_add_f64 v[15:16], v[15:16], v[29:30]
	v_add_f64 v[13:14], v[13:14], v[21:22]
	s_waitcnt vmcnt(7) lgkmcnt(0)
	v_mul_f64 v[21:22], v[7:8], v[53:54]
	s_waitcnt vmcnt(6)
	v_fma_f64 v[9:10], v[9:10], v[107:108], -v[31:32]
	v_mul_f64 v[19:20], v[5:6], v[53:54]
	v_fma_f64 v[11:12], v[11:12], v[107:108], v[17:18]
	v_add_f64 v[1:2], v[15:16], v[1:2]
	v_add_f64 v[3:4], v[13:14], v[3:4]
	s_waitcnt vmcnt(4)
	v_fma_f64 v[5:6], v[5:6], v[27:28], -v[21:22]
	v_fma_f64 v[7:8], v[7:8], v[27:28], v[19:20]
	v_add_f64 v[1:2], v[1:2], v[9:10]
	v_add_f64 v[3:4], v[3:4], v[11:12]
	;; [unrolled: 1-line block ×4, first 2 shown]
	s_waitcnt vmcnt(2)
	v_add_f64 v[1:2], v[25:26], -v[1:2]
	s_waitcnt vmcnt(0)
	v_add_f64 v[3:4], v[61:62], -v[3:4]
	buffer_store_dword v2, off, s[0:3], 0 offset:68
	buffer_store_dword v1, off, s[0:3], 0 offset:64
	;; [unrolled: 1-line block ×4, first 2 shown]
	v_cmpx_lt_u32_e32 2, v0
	s_cbranch_execz .LBB55_345
; %bb.344:
	v_mov_b32_e32 v4, s66
	v_mov_b32_e32 v5, 0
	s_clause 0x3
	buffer_load_dword v1, v4, s[0:3], 0 offen
	buffer_load_dword v2, v4, s[0:3], 0 offen offset:4
	buffer_load_dword v3, v4, s[0:3], 0 offen offset:8
	;; [unrolled: 1-line block ×3, first 2 shown]
	buffer_store_dword v5, off, s[0:3], 0 offset:48
	buffer_store_dword v5, off, s[0:3], 0 offset:52
	buffer_store_dword v5, off, s[0:3], 0 offset:56
	buffer_store_dword v5, off, s[0:3], 0 offset:60
	s_waitcnt vmcnt(0)
	ds_write_b128 v97, v[1:4]
.LBB55_345:
	s_or_b32 exec_lo, exec_lo, s4
	s_waitcnt lgkmcnt(0)
	s_waitcnt_vscnt null, 0x0
	s_barrier
	buffer_gl0_inv
	s_clause 0x37
	buffer_load_dword v17, off, s[0:3], 0 offset:72
	buffer_load_dword v18, off, s[0:3], 0 offset:76
	;; [unrolled: 1-line block ×56, first 2 shown]
	v_mov_b32_e32 v98, 0
	s_mov_b32 s4, exec_lo
	ds_read_b128 v[5:8], v98 offset:944
	s_clause 0x2
	buffer_load_dword v94, off, s[0:3], 0 offset:300
	buffer_load_dword v96, off, s[0:3], 0 offset:276
	;; [unrolled: 1-line block ×3, first 2 shown]
	ds_read_b128 v[1:4], v98 offset:960
	s_clause 0x4
	buffer_load_dword v106, off, s[0:3], 0 offset:316
	buffer_load_dword v107, off, s[0:3], 0 offset:328
	;; [unrolled: 1-line block ×5, first 2 shown]
	ds_read_b128 v[99:102], v98 offset:976
	s_waitcnt vmcnt(62) lgkmcnt(2)
	v_mul_f64 v[103:104], v[7:8], v[17:18]
	v_mul_f64 v[17:18], v[5:6], v[17:18]
	s_waitcnt vmcnt(60) lgkmcnt(1)
	v_mul_f64 v[110:111], v[3:4], v[13:14]
	v_mul_f64 v[13:14], v[1:2], v[13:14]
	;; [unrolled: 3-line block ×3, first 2 shown]
	v_fma_f64 v[103:104], v[5:6], v[15:16], -v[103:104]
	v_fma_f64 v[15:16], v[7:8], v[15:16], v[17:18]
	s_clause 0x2
	buffer_load_dword v108, off, s[0:3], 0 offset:332
	buffer_load_dword v18, off, s[0:3], 0 offset:308
	;; [unrolled: 1-line block ×3, first 2 shown]
	s_waitcnt vmcnt(57)
	v_fma_f64 v[114:115], v[1:2], v[9:10], -v[110:111]
	ds_read_b128 v[5:8], v98 offset:992
	v_fma_f64 v[9:10], v[3:4], v[9:10], v[13:14]
	s_waitcnt vmcnt(51)
	v_fma_f64 v[99:100], v[99:100], v[33:34], -v[11:12]
	v_fma_f64 v[33:34], v[101:102], v[33:34], v[112:113]
	v_add_f64 v[103:104], v[103:104], 0
	v_add_f64 v[13:14], v[15:16], 0
	s_clause 0x4
	buffer_load_dword v16, off, s[0:3], 0 offset:348
	buffer_load_dword v111, off, s[0:3], 0 offset:360
	;; [unrolled: 1-line block ×5, first 2 shown]
	s_waitcnt lgkmcnt(0)
	v_mul_f64 v[117:118], v[5:6], v[21:22]
	v_mul_f64 v[21:22], v[7:8], v[21:22]
	ds_read_b128 v[1:4], v98 offset:1008
	s_clause 0x2
	buffer_load_dword v112, off, s[0:3], 0 offset:364
	buffer_load_dword v102, off, s[0:3], 0 offset:340
	;; [unrolled: 1-line block ×3, first 2 shown]
	v_add_f64 v[103:104], v[103:104], v[114:115]
	v_add_f64 v[13:14], v[13:14], v[9:10]
	ds_read_b128 v[9:12], v98 offset:1024
	s_waitcnt vmcnt(58) lgkmcnt(1)
	v_mul_f64 v[113:114], v[1:2], v[25:26]
	v_mul_f64 v[25:26], v[3:4], v[25:26]
	s_waitcnt vmcnt(56)
	v_fma_f64 v[21:22], v[5:6], v[27:28], -v[21:22]
	v_fma_f64 v[27:28], v[7:8], v[27:28], v[117:118]
	s_waitcnt vmcnt(52) lgkmcnt(0)
	v_mul_f64 v[119:120], v[9:10], v[29:30]
	v_add_f64 v[99:100], v[103:104], v[99:100]
	v_add_f64 v[13:14], v[13:14], v[33:34]
	s_clause 0x4
	buffer_load_dword v34, off, s[0:3], 0 offset:380
	buffer_load_dword v103, off, s[0:3], 0 offset:392
	;; [unrolled: 1-line block ×5, first 2 shown]
	v_mul_f64 v[29:30], v[11:12], v[29:30]
	s_waitcnt vmcnt(56)
	v_fma_f64 v[25:26], v[1:2], v[19:20], -v[25:26]
	ds_read_b128 v[5:8], v98 offset:1040
	v_fma_f64 v[19:20], v[3:4], v[19:20], v[113:114]
	v_add_f64 v[21:22], v[99:100], v[21:22]
	v_add_f64 v[13:14], v[13:14], v[27:28]
	s_clause 0x2
	buffer_load_dword v104, off, s[0:3], 0 offset:396
	buffer_load_dword v28, off, s[0:3], 0 offset:372
	buffer_load_dword v27, off, s[0:3], 0 offset:368
	s_waitcnt vmcnt(58) lgkmcnt(0)
	v_mul_f64 v[99:100], v[5:6], v[35:36]
	v_mul_f64 v[35:36], v[7:8], v[35:36]
	s_waitcnt vmcnt(56)
	v_fma_f64 v[29:30], v[9:10], v[37:38], -v[29:30]
	ds_read_b128 v[1:4], v98 offset:1056
	v_add_f64 v[21:22], v[21:22], v[25:26]
	v_fma_f64 v[25:26], v[11:12], v[37:38], v[119:120]
	v_add_f64 v[13:14], v[13:14], v[19:20]
	s_clause 0x4
	buffer_load_dword v20, off, s[0:3], 0 offset:412
	buffer_load_dword v37, off, s[0:3], 0 offset:424
	;; [unrolled: 1-line block ×5, first 2 shown]
	s_waitcnt vmcnt(57) lgkmcnt(0)
	v_mul_f64 v[114:115], v[1:2], v[39:40]
	v_mul_f64 v[39:40], v[3:4], v[39:40]
	s_waitcnt vmcnt(56)
	v_fma_f64 v[35:36], v[5:6], v[23:24], -v[35:36]
	ds_read_b128 v[9:12], v98 offset:1072
	v_fma_f64 v[23:24], v[7:8], v[23:24], v[99:100]
	v_add_f64 v[21:22], v[21:22], v[29:30]
	v_add_f64 v[13:14], v[13:14], v[25:26]
	s_clause 0x2
	buffer_load_dword v38, off, s[0:3], 0 offset:428
	buffer_load_dword v26, off, s[0:3], 0 offset:404
	;; [unrolled: 1-line block ×3, first 2 shown]
	ds_read_b128 v[5:8], v98 offset:1088
	s_waitcnt vmcnt(58) lgkmcnt(1)
	v_mul_f64 v[29:30], v[9:10], v[43:44]
	v_mul_f64 v[43:44], v[11:12], v[43:44]
	s_waitcnt vmcnt(56)
	v_fma_f64 v[39:40], v[1:2], v[45:46], -v[39:40]
	v_add_f64 v[21:22], v[21:22], v[35:36]
	v_fma_f64 v[35:36], v[3:4], v[45:46], v[114:115]
	v_add_f64 v[13:14], v[13:14], v[23:24]
	s_clause 0x4
	buffer_load_dword v24, off, s[0:3], 0 offset:444
	buffer_load_dword v45, off, s[0:3], 0 offset:456
	;; [unrolled: 1-line block ×5, first 2 shown]
	s_waitcnt vmcnt(57) lgkmcnt(0)
	v_mul_f64 v[120:121], v[5:6], v[47:48]
	v_mul_f64 v[47:48], v[7:8], v[47:48]
	s_waitcnt vmcnt(56)
	v_fma_f64 v[43:44], v[9:10], v[31:32], -v[43:44]
	ds_read_b128 v[1:4], v98 offset:1104
	v_fma_f64 v[29:30], v[11:12], v[31:32], v[29:30]
	s_clause 0x2
	buffer_load_dword v46, off, s[0:3], 0 offset:460
	buffer_load_dword v32, off, s[0:3], 0 offset:436
	;; [unrolled: 1-line block ×3, first 2 shown]
	ds_read_b128 v[9:12], v98 offset:1120
	v_add_f64 v[21:22], v[21:22], v[39:40]
	v_add_f64 v[13:14], v[13:14], v[35:36]
	s_waitcnt vmcnt(58) lgkmcnt(1)
	v_mul_f64 v[39:40], v[3:4], v[51:52]
	s_waitcnt vmcnt(56)
	v_fma_f64 v[47:48], v[5:6], v[53:54], -v[47:48]
	v_mul_f64 v[35:36], v[1:2], v[51:52]
	v_add_f64 v[21:22], v[21:22], v[43:44]
	v_fma_f64 v[43:44], v[7:8], v[53:54], v[120:121]
	v_add_f64 v[13:14], v[13:14], v[29:30]
	s_clause 0x4
	buffer_load_dword v30, off, s[0:3], 0 offset:476
	buffer_load_dword v51, off, s[0:3], 0 offset:488
	;; [unrolled: 1-line block ×5, first 2 shown]
	s_waitcnt vmcnt(57) lgkmcnt(0)
	v_mul_f64 v[120:121], v[9:10], v[55:56]
	v_mul_f64 v[54:55], v[11:12], v[55:56]
	s_waitcnt vmcnt(56)
	v_fma_f64 v[39:40], v[1:2], v[41:42], -v[39:40]
	ds_read_b128 v[5:8], v98 offset:1136
	v_fma_f64 v[35:36], v[3:4], v[41:42], v[35:36]
	s_clause 0x2
	buffer_load_dword v52, off, s[0:3], 0 offset:492
	buffer_load_dword v42, off, s[0:3], 0 offset:468
	;; [unrolled: 1-line block ×3, first 2 shown]
	ds_read_b128 v[1:4], v98 offset:1152
	v_add_f64 v[21:22], v[21:22], v[47:48]
	v_add_f64 v[13:14], v[13:14], v[43:44]
	s_waitcnt vmcnt(58) lgkmcnt(1)
	v_mul_f64 v[47:48], v[7:8], v[63:64]
	s_waitcnt vmcnt(56)
	v_fma_f64 v[55:56], v[9:10], v[89:90], -v[54:55]
	v_mul_f64 v[43:44], v[5:6], v[63:64]
	v_add_f64 v[21:22], v[21:22], v[39:40]
	v_fma_f64 v[39:40], v[11:12], v[89:90], v[120:121]
	v_add_f64 v[13:14], v[13:14], v[35:36]
	s_clause 0x4
	buffer_load_dword v36, off, s[0:3], 0 offset:508
	buffer_load_dword v63, off, s[0:3], 0 offset:520
	;; [unrolled: 1-line block ×5, first 2 shown]
	s_waitcnt vmcnt(57) lgkmcnt(0)
	v_mul_f64 v[120:121], v[1:2], v[91:92]
	v_mul_f64 v[90:91], v[3:4], v[91:92]
	s_waitcnt vmcnt(56)
	v_fma_f64 v[47:48], v[5:6], v[49:50], -v[47:48]
	ds_read_b128 v[9:12], v98 offset:1168
	v_fma_f64 v[43:44], v[7:8], v[49:50], v[43:44]
	v_add_f64 v[21:22], v[21:22], v[55:56]
	v_add_f64 v[13:14], v[13:14], v[39:40]
	s_clause 0x2
	buffer_load_dword v64, off, s[0:3], 0 offset:524
	buffer_load_dword v40, off, s[0:3], 0 offset:500
	;; [unrolled: 1-line block ×3, first 2 shown]
	ds_read_b128 v[5:8], v98 offset:1184
	s_waitcnt vmcnt(58) lgkmcnt(1)
	v_mul_f64 v[55:56], v[11:12], v[93:94]
	s_waitcnt vmcnt(56)
	v_fma_f64 v[91:92], v[1:2], v[95:96], -v[90:91]
	v_mul_f64 v[49:50], v[9:10], v[93:94]
	v_add_f64 v[21:22], v[21:22], v[47:48]
	v_fma_f64 v[47:48], v[3:4], v[95:96], v[120:121]
	v_add_f64 v[13:14], v[13:14], v[43:44]
	s_clause 0x4
	buffer_load_dword v44, off, s[0:3], 0 offset:540
	buffer_load_dword v93, off, s[0:3], 0 offset:552
	;; [unrolled: 1-line block ×5, first 2 shown]
	s_waitcnt vmcnt(57) lgkmcnt(0)
	v_mul_f64 v[120:121], v[5:6], v[105:106]
	v_mul_f64 v[105:106], v[7:8], v[105:106]
	s_waitcnt vmcnt(56)
	v_fma_f64 v[55:56], v[9:10], v[61:62], -v[55:56]
	ds_read_b128 v[1:4], v98 offset:1200
	v_fma_f64 v[49:50], v[11:12], v[61:62], v[49:50]
	v_add_f64 v[21:22], v[21:22], v[91:92]
	v_add_f64 v[13:14], v[13:14], v[47:48]
	s_clause 0x2
	buffer_load_dword v94, off, s[0:3], 0 offset:556
	buffer_load_dword v48, off, s[0:3], 0 offset:532
	;; [unrolled: 1-line block ×3, first 2 shown]
	ds_read_b128 v[9:12], v98 offset:1216
	s_waitcnt vmcnt(58) lgkmcnt(1)
	v_mul_f64 v[91:92], v[3:4], v[107:108]
	v_mul_f64 v[61:62], v[1:2], v[107:108]
	s_waitcnt vmcnt(56)
	v_fma_f64 v[105:106], v[5:6], v[17:18], -v[105:106]
	v_fma_f64 v[17:18], v[7:8], v[17:18], v[120:121]
	v_add_f64 v[21:22], v[21:22], v[55:56]
	v_add_f64 v[13:14], v[13:14], v[49:50]
	s_clause 0x4
	buffer_load_dword v50, off, s[0:3], 0 offset:572
	buffer_load_dword v55, off, s[0:3], 0 offset:584
	;; [unrolled: 1-line block ×5, first 2 shown]
	ds_read_b128 v[5:8], v98 offset:1232
	s_waitcnt vmcnt(57) lgkmcnt(1)
	v_mul_f64 v[120:121], v[9:10], v[15:16]
	v_mul_f64 v[15:16], v[11:12], v[15:16]
	s_waitcnt vmcnt(56)
	v_fma_f64 v[91:92], v[1:2], v[109:110], -v[91:92]
	v_fma_f64 v[61:62], v[3:4], v[109:110], v[61:62]
	v_add_f64 v[21:22], v[21:22], v[105:106]
	v_add_f64 v[13:14], v[13:14], v[17:18]
	s_clause 0x2
	buffer_load_dword v56, off, s[0:3], 0 offset:588
	buffer_load_dword v18, off, s[0:3], 0 offset:564
	buffer_load_dword v17, off, s[0:3], 0 offset:560
	s_waitcnt vmcnt(58) lgkmcnt(0)
	v_mul_f64 v[109:110], v[7:8], v[111:112]
	ds_read_b128 v[1:4], v98 offset:1248
	v_mul_f64 v[105:106], v[5:6], v[111:112]
	s_waitcnt vmcnt(56)
	v_fma_f64 v[15:16], v[9:10], v[101:102], -v[15:16]
	v_add_f64 v[21:22], v[21:22], v[91:92]
	v_fma_f64 v[91:92], v[11:12], v[101:102], v[120:121]
	v_add_f64 v[13:14], v[13:14], v[61:62]
	s_clause 0x4
	buffer_load_dword v62, off, s[0:3], 0 offset:604
	buffer_load_dword v101, off, s[0:3], 0 offset:616
	;; [unrolled: 1-line block ×5, first 2 shown]
	ds_read_b128 v[9:12], v98 offset:1264
	s_waitcnt vmcnt(57) lgkmcnt(1)
	v_mul_f64 v[120:121], v[1:2], v[33:34]
	v_mul_f64 v[33:34], v[3:4], v[33:34]
	s_waitcnt vmcnt(56)
	v_fma_f64 v[109:110], v[5:6], v[116:117], -v[109:110]
	v_add_f64 v[15:16], v[21:22], v[15:16]
	v_fma_f64 v[21:22], v[7:8], v[116:117], v[105:106]
	v_add_f64 v[13:14], v[13:14], v[91:92]
	s_clause 0x2
	buffer_load_dword v102, off, s[0:3], 0 offset:620
	buffer_load_dword v92, off, s[0:3], 0 offset:596
	;; [unrolled: 1-line block ×3, first 2 shown]
	ds_read_b128 v[5:8], v98 offset:1280
	s_waitcnt vmcnt(58) lgkmcnt(1)
	v_mul_f64 v[105:106], v[9:10], v[103:104]
	v_mul_f64 v[103:104], v[11:12], v[103:104]
	s_waitcnt vmcnt(56)
	v_fma_f64 v[33:34], v[1:2], v[27:28], -v[33:34]
	v_fma_f64 v[27:28], v[3:4], v[27:28], v[120:121]
	v_add_f64 v[15:16], v[15:16], v[109:110]
	v_add_f64 v[13:14], v[13:14], v[21:22]
	s_clause 0x4
	buffer_load_dword v22, off, s[0:3], 0 offset:636
	buffer_load_dword v109, off, s[0:3], 0 offset:648
	;; [unrolled: 1-line block ×5, first 2 shown]
	ds_read_b128 v[1:4], v98 offset:1296
	s_waitcnt vmcnt(57) lgkmcnt(1)
	v_mul_f64 v[116:117], v[5:6], v[19:20]
	v_mul_f64 v[19:20], v[7:8], v[19:20]
	s_waitcnt vmcnt(56)
	v_fma_f64 v[103:104], v[9:10], v[118:119], -v[103:104]
	v_add_f64 v[15:16], v[15:16], v[33:34]
	v_fma_f64 v[33:34], v[11:12], v[118:119], v[105:106]
	v_add_f64 v[13:14], v[13:14], v[27:28]
	s_clause 0x2
	buffer_load_dword v110, off, s[0:3], 0 offset:652
	buffer_load_dword v28, off, s[0:3], 0 offset:628
	buffer_load_dword v27, off, s[0:3], 0 offset:624
	ds_read_b128 v[9:12], v98 offset:1312
	s_waitcnt vmcnt(58) lgkmcnt(1)
	v_mul_f64 v[105:106], v[1:2], v[37:38]
	v_mul_f64 v[37:38], v[3:4], v[37:38]
	s_waitcnt vmcnt(56)
	v_fma_f64 v[19:20], v[5:6], v[25:26], -v[19:20]
	v_fma_f64 v[25:26], v[7:8], v[25:26], v[116:117]
	v_add_f64 v[15:16], v[15:16], v[103:104]
	v_add_f64 v[13:14], v[13:14], v[33:34]
	s_clause 0x4
	buffer_load_dword v34, off, s[0:3], 0 offset:668
	buffer_load_dword v103, off, s[0:3], 0 offset:680
	;; [unrolled: 1-line block ×5, first 2 shown]
	ds_read_b128 v[5:8], v98 offset:1328
	s_waitcnt vmcnt(57) lgkmcnt(1)
	v_mul_f64 v[118:119], v[9:10], v[23:24]
	v_mul_f64 v[23:24], v[11:12], v[23:24]
	s_waitcnt vmcnt(56)
	v_fma_f64 v[37:38], v[1:2], v[113:114], -v[37:38]
	v_add_f64 v[15:16], v[15:16], v[19:20]
	v_fma_f64 v[19:20], v[3:4], v[113:114], v[105:106]
	v_add_f64 v[13:14], v[13:14], v[25:26]
	s_clause 0x2
	buffer_load_dword v104, off, s[0:3], 0 offset:684
	buffer_load_dword v26, off, s[0:3], 0 offset:660
	;; [unrolled: 1-line block ×3, first 2 shown]
	s_waitcnt vmcnt(58) lgkmcnt(0)
	v_mul_f64 v[105:106], v[5:6], v[45:46]
	v_mul_f64 v[45:46], v[7:8], v[45:46]
	ds_read_b128 v[1:4], v98 offset:1344
	s_waitcnt vmcnt(56)
	v_fma_f64 v[23:24], v[9:10], v[31:32], -v[23:24]
	v_fma_f64 v[31:32], v[11:12], v[31:32], v[118:119]
	v_add_f64 v[15:16], v[15:16], v[37:38]
	v_add_f64 v[13:14], v[13:14], v[19:20]
	s_clause 0x4
	buffer_load_dword v20, off, s[0:3], 0 offset:700
	buffer_load_dword v37, off, s[0:3], 0 offset:712
	;; [unrolled: 1-line block ×5, first 2 shown]
	ds_read_b128 v[9:12], v98 offset:1360
	s_waitcnt vmcnt(57) lgkmcnt(1)
	v_mul_f64 v[119:120], v[1:2], v[29:30]
	v_mul_f64 v[29:30], v[3:4], v[29:30]
	s_waitcnt vmcnt(56)
	v_fma_f64 v[45:46], v[5:6], v[99:100], -v[45:46]
	v_add_f64 v[15:16], v[15:16], v[23:24]
	v_fma_f64 v[23:24], v[7:8], v[99:100], v[105:106]
	v_add_f64 v[13:14], v[13:14], v[31:32]
	s_clause 0x2
	buffer_load_dword v38, off, s[0:3], 0 offset:716
	buffer_load_dword v32, off, s[0:3], 0 offset:692
	buffer_load_dword v31, off, s[0:3], 0 offset:688
	s_waitcnt vmcnt(58) lgkmcnt(0)
	v_mul_f64 v[99:100], v[9:10], v[51:52]
	v_mul_f64 v[51:52], v[11:12], v[51:52]
	ds_read_b128 v[5:8], v98 offset:1376
	s_waitcnt vmcnt(56)
	v_fma_f64 v[29:30], v[1:2], v[41:42], -v[29:30]
	v_fma_f64 v[41:42], v[3:4], v[41:42], v[119:120]
	v_add_f64 v[15:16], v[15:16], v[45:46]
	v_add_f64 v[13:14], v[13:14], v[23:24]
	s_clause 0x4
	buffer_load_dword v24, off, s[0:3], 0 offset:732
	buffer_load_dword v45, off, s[0:3], 0 offset:744
	buffer_load_dword v105, off, s[0:3], 0 offset:736
	buffer_load_dword v23, off, s[0:3], 0 offset:728
	buffer_load_dword v114, off, s[0:3], 0 offset:708
	ds_read_b128 v[1:4], v98 offset:1392
	s_waitcnt vmcnt(57) lgkmcnt(1)
	v_mul_f64 v[119:120], v[5:6], v[35:36]
	v_mul_f64 v[35:36], v[7:8], v[35:36]
	s_waitcnt vmcnt(56)
	v_fma_f64 v[51:52], v[9:10], v[53:54], -v[51:52]
	v_add_f64 v[15:16], v[15:16], v[29:30]
	v_fma_f64 v[29:30], v[11:12], v[53:54], v[99:100]
	v_add_f64 v[13:14], v[13:14], v[41:42]
	s_clause 0x2
	buffer_load_dword v46, off, s[0:3], 0 offset:748
	buffer_load_dword v42, off, s[0:3], 0 offset:724
	buffer_load_dword v41, off, s[0:3], 0 offset:720
	ds_read_b128 v[9:12], v98 offset:1408
	s_waitcnt vmcnt(58) lgkmcnt(1)
	v_mul_f64 v[53:54], v[1:2], v[63:64]
	v_mul_f64 v[63:64], v[3:4], v[63:64]
	s_waitcnt vmcnt(56)
	v_fma_f64 v[35:36], v[5:6], v[39:40], -v[35:36]
	v_fma_f64 v[39:40], v[7:8], v[39:40], v[119:120]
	v_add_f64 v[15:16], v[15:16], v[51:52]
	v_add_f64 v[13:14], v[13:14], v[29:30]
	s_clause 0x4
	buffer_load_dword v30, off, s[0:3], 0 offset:764
	buffer_load_dword v51, off, s[0:3], 0 offset:776
	buffer_load_dword v99, off, s[0:3], 0 offset:768
	buffer_load_dword v29, off, s[0:3], 0 offset:760
	buffer_load_dword v106, off, s[0:3], 0 offset:740
	ds_read_b128 v[5:8], v98 offset:1424
	s_waitcnt vmcnt(57) lgkmcnt(1)
	v_mul_f64 v[119:120], v[9:10], v[43:44]
	v_mul_f64 v[43:44], v[11:12], v[43:44]
	s_waitcnt vmcnt(56)
	v_fma_f64 v[63:64], v[1:2], v[89:90], -v[63:64]
	v_add_f64 v[15:16], v[15:16], v[35:36]
	v_fma_f64 v[35:36], v[3:4], v[89:90], v[53:54]
	v_add_f64 v[13:14], v[13:14], v[39:40]
	s_clause 0x2
	buffer_load_dword v52, off, s[0:3], 0 offset:780
	buffer_load_dword v40, off, s[0:3], 0 offset:756
	buffer_load_dword v39, off, s[0:3], 0 offset:752
	ds_read_b128 v[1:4], v98 offset:1440
	s_waitcnt vmcnt(58) lgkmcnt(1)
	v_mul_f64 v[89:90], v[7:8], v[93:94]
	v_mul_f64 v[53:54], v[5:6], v[93:94]
	;; [unrolled: 28-line block ×4, first 2 shown]
	s_waitcnt vmcnt(56)
	v_fma_f64 v[61:62], v[5:6], v[91:92], -v[61:62]
	v_add_f64 v[15:16], v[15:16], v[55:56]
	v_fma_f64 v[55:56], v[7:8], v[91:92], v[119:120]
	v_add_f64 v[13:14], v[13:14], v[49:50]
	s_clause 0x4
	buffer_load_dword v50, off, s[0:3], 0 offset:860
	buffer_load_dword v91, off, s[0:3], 0 offset:872
	;; [unrolled: 1-line block ×5, first 2 shown]
	ds_read_b128 v[5:8], v98 offset:1520
	s_waitcnt vmcnt(57) lgkmcnt(1)
	v_mul_f64 v[119:120], v[9:10], v[21:22]
	v_mul_f64 v[21:22], v[11:12], v[21:22]
	s_waitcnt vmcnt(56)
	v_fma_f64 v[101:102], v[1:2], v[111:112], -v[101:102]
	v_fma_f64 v[53:54], v[3:4], v[111:112], v[53:54]
	v_add_f64 v[15:16], v[15:16], v[61:62]
	v_add_f64 v[13:14], v[13:14], v[55:56]
	s_clause 0x2
	buffer_load_dword v92, off, s[0:3], 0 offset:876
	buffer_load_dword v56, off, s[0:3], 0 offset:852
	;; [unrolled: 1-line block ×3, first 2 shown]
	ds_read_b128 v[1:4], v98 offset:1536
	s_waitcnt vmcnt(58) lgkmcnt(1)
	v_mul_f64 v[61:62], v[5:6], v[109:110]
	v_mul_f64 v[109:110], v[7:8], v[109:110]
	s_waitcnt vmcnt(56)
	v_fma_f64 v[21:22], v[9:10], v[27:28], -v[21:22]
	v_fma_f64 v[27:28], v[11:12], v[27:28], v[119:120]
	v_add_f64 v[15:16], v[15:16], v[101:102]
	v_add_f64 v[13:14], v[13:14], v[53:54]
	s_clause 0x4
	buffer_load_dword v54, off, s[0:3], 0 offset:892
	buffer_load_dword v101, off, s[0:3], 0 offset:904
	;; [unrolled: 1-line block ×5, first 2 shown]
	ds_read_b128 v[9:12], v98 offset:1552
	s_waitcnt vmcnt(57) lgkmcnt(1)
	v_mul_f64 v[119:120], v[1:2], v[33:34]
	v_mul_f64 v[33:34], v[3:4], v[33:34]
	s_waitcnt vmcnt(56)
	v_fma_f64 v[109:110], v[5:6], v[115:116], -v[109:110]
	v_add_f64 v[15:16], v[15:16], v[21:22]
	v_fma_f64 v[21:22], v[7:8], v[115:116], v[61:62]
	v_add_f64 v[13:14], v[13:14], v[27:28]
	s_clause 0x2
	buffer_load_dword v102, off, s[0:3], 0 offset:908
	buffer_load_dword v28, off, s[0:3], 0 offset:884
	;; [unrolled: 1-line block ×3, first 2 shown]
	ds_read_b128 v[5:8], v98 offset:1568
	buffer_load_dword v112, off, s[0:3], 0 offset:900
	s_waitcnt vmcnt(59) lgkmcnt(1)
	v_mul_f64 v[61:62], v[9:10], v[103:104]
	v_mul_f64 v[103:104], v[11:12], v[103:104]
	s_waitcnt vmcnt(57)
	v_fma_f64 v[33:34], v[1:2], v[25:26], -v[33:34]
	v_fma_f64 v[25:26], v[3:4], v[25:26], v[119:120]
	ds_read_b128 v[1:4], v98 offset:1584
	v_add_f64 v[15:16], v[15:16], v[109:110]
	v_add_f64 v[13:14], v[13:14], v[21:22]
	s_waitcnt vmcnt(53) lgkmcnt(1)
	v_mul_f64 v[21:22], v[5:6], v[19:20]
	v_mul_f64 v[19:20], v[7:8], v[19:20]
	s_waitcnt vmcnt(52)
	v_fma_f64 v[103:104], v[9:10], v[117:118], -v[103:104]
	v_add_f64 v[15:16], v[15:16], v[33:34]
	v_fma_f64 v[33:34], v[11:12], v[117:118], v[61:62]
	v_add_f64 v[13:14], v[13:14], v[25:26]
	ds_read_b128 v[9:12], v98 offset:1600
	s_waitcnt vmcnt(51) lgkmcnt(1)
	v_mul_f64 v[25:26], v[1:2], v[37:38]
	v_mul_f64 v[37:38], v[3:4], v[37:38]
	s_waitcnt vmcnt(49)
	v_fma_f64 v[19:20], v[5:6], v[31:32], -v[19:20]
	v_fma_f64 v[21:22], v[7:8], v[31:32], v[21:22]
	v_add_f64 v[15:16], v[15:16], v[103:104]
	v_add_f64 v[13:14], v[13:14], v[33:34]
	s_clause 0x3
	buffer_load_dword v31, off, s[0:3], 0 offset:48
	buffer_load_dword v32, off, s[0:3], 0 offset:52
	;; [unrolled: 1-line block ×4, first 2 shown]
	ds_read_b128 v[5:8], v98 offset:1616
	s_waitcnt vmcnt(49) lgkmcnt(1)
	v_mul_f64 v[61:62], v[9:10], v[23:24]
	v_mul_f64 v[23:24], v[11:12], v[23:24]
	s_waitcnt vmcnt(48)
	v_fma_f64 v[37:38], v[1:2], v[113:114], -v[37:38]
	v_add_f64 v[15:16], v[15:16], v[19:20]
	v_fma_f64 v[19:20], v[3:4], v[113:114], v[25:26]
	v_add_f64 v[13:14], v[13:14], v[21:22]
	ds_read_b128 v[1:4], v98 offset:1632
	s_waitcnt vmcnt(47) lgkmcnt(1)
	v_mul_f64 v[25:26], v[7:8], v[45:46]
	v_mul_f64 v[21:22], v[5:6], v[45:46]
	s_waitcnt vmcnt(45)
	v_fma_f64 v[23:24], v[9:10], v[41:42], -v[23:24]
	v_add_f64 v[15:16], v[15:16], v[37:38]
	v_fma_f64 v[37:38], v[11:12], v[41:42], v[61:62]
	v_add_f64 v[13:14], v[13:14], v[19:20]
	ds_read_b128 v[9:12], v98 offset:1648
	s_waitcnt vmcnt(41) lgkmcnt(1)
	v_mul_f64 v[19:20], v[1:2], v[29:30]
	v_mul_f64 v[29:30], v[3:4], v[29:30]
	s_waitcnt vmcnt(40)
	v_fma_f64 v[25:26], v[5:6], v[105:106], -v[25:26]
	v_fma_f64 v[21:22], v[7:8], v[105:106], v[21:22]
	ds_read_b128 v[5:8], v98 offset:1664
	v_add_f64 v[15:16], v[15:16], v[23:24]
	v_add_f64 v[13:14], v[13:14], v[37:38]
	s_waitcnt vmcnt(39) lgkmcnt(1)
	v_mul_f64 v[37:38], v[11:12], v[51:52]
	v_mul_f64 v[23:24], v[9:10], v[51:52]
	s_waitcnt vmcnt(37)
	v_fma_f64 v[29:30], v[1:2], v[39:40], -v[29:30]
	v_fma_f64 v[19:20], v[3:4], v[39:40], v[19:20]
	ds_read_b128 v[1:4], v98 offset:1680
	v_add_f64 v[15:16], v[15:16], v[25:26]
	v_add_f64 v[13:14], v[13:14], v[21:22]
	;; [unrolled: 9-line block ×4, first 2 shown]
	s_waitcnt vmcnt(25) lgkmcnt(1)
	v_mul_f64 v[35:36], v[11:12], v[43:44]
	s_waitcnt vmcnt(24)
	v_fma_f64 v[29:30], v[1:2], v[93:94], -v[29:30]
	v_mul_f64 v[23:24], v[9:10], v[43:44]
	v_fma_f64 v[19:20], v[3:4], v[93:94], v[19:20]
	ds_read_b128 v[1:4], v98 offset:1728
	v_add_f64 v[15:16], v[15:16], v[25:26]
	v_add_f64 v[13:14], v[13:14], v[21:22]
	s_waitcnt vmcnt(23) lgkmcnt(1)
	v_mul_f64 v[25:26], v[7:8], v[89:90]
	v_mul_f64 v[21:22], v[5:6], v[89:90]
	s_waitcnt vmcnt(21)
	v_fma_f64 v[35:36], v[9:10], v[17:18], -v[35:36]
	v_fma_f64 v[17:18], v[11:12], v[17:18], v[23:24]
	ds_read_b128 v[9:12], v98 offset:1744
	v_add_f64 v[15:16], v[15:16], v[29:30]
	v_add_f64 v[13:14], v[13:14], v[19:20]
	s_waitcnt vmcnt(17) lgkmcnt(1)
	v_mul_f64 v[23:24], v[3:4], v[49:50]
	s_waitcnt vmcnt(16)
	v_fma_f64 v[25:26], v[5:6], v[95:96], -v[25:26]
	v_mul_f64 v[19:20], v[1:2], v[49:50]
	v_fma_f64 v[21:22], v[7:8], v[95:96], v[21:22]
	ds_read_b128 v[5:8], v98 offset:1760
	v_add_f64 v[15:16], v[15:16], v[35:36]
	v_add_f64 v[13:14], v[13:14], v[17:18]
	s_waitcnt vmcnt(15) lgkmcnt(1)
	v_mul_f64 v[29:30], v[11:12], v[91:92]
	v_mul_f64 v[17:18], v[9:10], v[91:92]
	s_waitcnt vmcnt(13)
	v_fma_f64 v[23:24], v[1:2], v[55:56], -v[23:24]
	v_fma_f64 v[19:20], v[3:4], v[55:56], v[19:20]
	ds_read_b128 v[1:4], v98 offset:1776
	v_add_f64 v[15:16], v[15:16], v[25:26]
	v_add_f64 v[13:14], v[13:14], v[21:22]
	s_waitcnt vmcnt(9) lgkmcnt(1)
	v_mul_f64 v[25:26], v[7:8], v[53:54]
	s_waitcnt vmcnt(8)
	v_fma_f64 v[9:10], v[9:10], v[107:108], -v[29:30]
	v_mul_f64 v[21:22], v[5:6], v[53:54]
	v_fma_f64 v[11:12], v[11:12], v[107:108], v[17:18]
	v_add_f64 v[15:16], v[15:16], v[23:24]
	v_add_f64 v[13:14], v[13:14], v[19:20]
	s_waitcnt vmcnt(7) lgkmcnt(0)
	v_mul_f64 v[19:20], v[3:4], v[101:102]
	v_mul_f64 v[17:18], v[1:2], v[101:102]
	s_waitcnt vmcnt(5)
	v_fma_f64 v[5:6], v[5:6], v[27:28], -v[25:26]
	v_fma_f64 v[7:8], v[7:8], v[27:28], v[21:22]
	v_add_f64 v[9:10], v[15:16], v[9:10]
	v_add_f64 v[11:12], v[13:14], v[11:12]
	s_waitcnt vmcnt(4)
	v_fma_f64 v[1:2], v[1:2], v[111:112], -v[19:20]
	v_fma_f64 v[3:4], v[3:4], v[111:112], v[17:18]
	v_add_f64 v[5:6], v[9:10], v[5:6]
	v_add_f64 v[7:8], v[11:12], v[7:8]
	;; [unrolled: 1-line block ×4, first 2 shown]
	s_waitcnt vmcnt(2)
	v_add_f64 v[1:2], v[31:32], -v[1:2]
	s_waitcnt vmcnt(0)
	v_add_f64 v[3:4], v[33:34], -v[3:4]
	buffer_store_dword v2, off, s[0:3], 0 offset:52
	buffer_store_dword v1, off, s[0:3], 0 offset:48
	;; [unrolled: 1-line block ×4, first 2 shown]
	v_cmpx_lt_u32_e32 1, v0
	s_cbranch_execz .LBB55_347
; %bb.346:
	v_mov_b32_e32 v4, s67
	s_clause 0x3
	buffer_load_dword v1, v4, s[0:3], 0 offen
	buffer_load_dword v2, v4, s[0:3], 0 offen offset:4
	buffer_load_dword v3, v4, s[0:3], 0 offen offset:8
	;; [unrolled: 1-line block ×3, first 2 shown]
	buffer_store_dword v98, off, s[0:3], 0 offset:32
	buffer_store_dword v98, off, s[0:3], 0 offset:36
	buffer_store_dword v98, off, s[0:3], 0 offset:40
	buffer_store_dword v98, off, s[0:3], 0 offset:44
	s_waitcnt vmcnt(0)
	ds_write_b128 v97, v[1:4]
.LBB55_347:
	s_or_b32 exec_lo, exec_lo, s4
	s_waitcnt lgkmcnt(0)
	s_waitcnt_vscnt null, 0x0
	s_barrier
	buffer_gl0_inv
	s_clause 0x37
	buffer_load_dword v17, off, s[0:3], 0 offset:56
	buffer_load_dword v18, off, s[0:3], 0 offset:60
	;; [unrolled: 1-line block ×56, first 2 shown]
	ds_read_b128 v[5:8], v98 offset:928
	s_clause 0x2
	buffer_load_dword v94, off, s[0:3], 0 offset:284
	buffer_load_dword v96, off, s[0:3], 0 offset:260
	;; [unrolled: 1-line block ×3, first 2 shown]
	ds_read_b128 v[1:4], v98 offset:944
	s_clause 0x4
	buffer_load_dword v106, off, s[0:3], 0 offset:300
	buffer_load_dword v107, off, s[0:3], 0 offset:312
	;; [unrolled: 1-line block ×5, first 2 shown]
	ds_read_b128 v[99:102], v98 offset:960
	s_mov_b32 s4, exec_lo
	s_waitcnt vmcnt(62) lgkmcnt(2)
	v_mul_f64 v[103:104], v[7:8], v[17:18]
	v_mul_f64 v[17:18], v[5:6], v[17:18]
	s_waitcnt vmcnt(60) lgkmcnt(1)
	v_mul_f64 v[110:111], v[3:4], v[13:14]
	v_mul_f64 v[13:14], v[1:2], v[13:14]
	s_waitcnt vmcnt(56) lgkmcnt(0)
	v_mul_f64 v[112:113], v[99:100], v[11:12]
	v_mul_f64 v[11:12], v[101:102], v[11:12]
	v_fma_f64 v[103:104], v[5:6], v[15:16], -v[103:104]
	v_fma_f64 v[15:16], v[7:8], v[15:16], v[17:18]
	s_clause 0x2
	buffer_load_dword v108, off, s[0:3], 0 offset:316
	buffer_load_dword v18, off, s[0:3], 0 offset:292
	;; [unrolled: 1-line block ×3, first 2 shown]
	s_waitcnt vmcnt(57)
	v_fma_f64 v[114:115], v[1:2], v[9:10], -v[110:111]
	ds_read_b128 v[5:8], v98 offset:976
	v_fma_f64 v[9:10], v[3:4], v[9:10], v[13:14]
	s_waitcnt vmcnt(51)
	v_fma_f64 v[99:100], v[99:100], v[33:34], -v[11:12]
	v_fma_f64 v[33:34], v[101:102], v[33:34], v[112:113]
	v_add_f64 v[103:104], v[103:104], 0
	v_add_f64 v[13:14], v[15:16], 0
	s_clause 0x4
	buffer_load_dword v16, off, s[0:3], 0 offset:332
	buffer_load_dword v111, off, s[0:3], 0 offset:344
	;; [unrolled: 1-line block ×5, first 2 shown]
	s_waitcnt lgkmcnt(0)
	v_mul_f64 v[117:118], v[5:6], v[21:22]
	v_mul_f64 v[21:22], v[7:8], v[21:22]
	ds_read_b128 v[1:4], v98 offset:992
	s_clause 0x2
	buffer_load_dword v112, off, s[0:3], 0 offset:348
	buffer_load_dword v102, off, s[0:3], 0 offset:324
	;; [unrolled: 1-line block ×3, first 2 shown]
	v_add_f64 v[103:104], v[103:104], v[114:115]
	v_add_f64 v[13:14], v[13:14], v[9:10]
	ds_read_b128 v[9:12], v98 offset:1008
	s_waitcnt vmcnt(58) lgkmcnt(1)
	v_mul_f64 v[113:114], v[1:2], v[25:26]
	v_mul_f64 v[25:26], v[3:4], v[25:26]
	s_waitcnt vmcnt(56)
	v_fma_f64 v[21:22], v[5:6], v[27:28], -v[21:22]
	v_fma_f64 v[27:28], v[7:8], v[27:28], v[117:118]
	s_waitcnt vmcnt(52) lgkmcnt(0)
	v_mul_f64 v[119:120], v[9:10], v[29:30]
	v_add_f64 v[99:100], v[103:104], v[99:100]
	v_add_f64 v[13:14], v[13:14], v[33:34]
	s_clause 0x4
	buffer_load_dword v34, off, s[0:3], 0 offset:364
	buffer_load_dword v103, off, s[0:3], 0 offset:376
	;; [unrolled: 1-line block ×5, first 2 shown]
	v_mul_f64 v[29:30], v[11:12], v[29:30]
	s_waitcnt vmcnt(56)
	v_fma_f64 v[25:26], v[1:2], v[19:20], -v[25:26]
	ds_read_b128 v[5:8], v98 offset:1024
	v_fma_f64 v[19:20], v[3:4], v[19:20], v[113:114]
	v_add_f64 v[21:22], v[99:100], v[21:22]
	v_add_f64 v[13:14], v[13:14], v[27:28]
	s_clause 0x2
	buffer_load_dword v104, off, s[0:3], 0 offset:380
	buffer_load_dword v28, off, s[0:3], 0 offset:356
	;; [unrolled: 1-line block ×3, first 2 shown]
	s_waitcnt vmcnt(58) lgkmcnt(0)
	v_mul_f64 v[99:100], v[5:6], v[35:36]
	v_mul_f64 v[35:36], v[7:8], v[35:36]
	s_waitcnt vmcnt(56)
	v_fma_f64 v[29:30], v[9:10], v[37:38], -v[29:30]
	ds_read_b128 v[1:4], v98 offset:1040
	v_add_f64 v[21:22], v[21:22], v[25:26]
	v_fma_f64 v[25:26], v[11:12], v[37:38], v[119:120]
	v_add_f64 v[13:14], v[13:14], v[19:20]
	s_clause 0x4
	buffer_load_dword v20, off, s[0:3], 0 offset:396
	buffer_load_dword v37, off, s[0:3], 0 offset:408
	buffer_load_dword v113, off, s[0:3], 0 offset:400
	buffer_load_dword v19, off, s[0:3], 0 offset:392
	buffer_load_dword v119, off, s[0:3], 0 offset:372
	s_waitcnt vmcnt(57) lgkmcnt(0)
	v_mul_f64 v[114:115], v[1:2], v[39:40]
	v_mul_f64 v[39:40], v[3:4], v[39:40]
	s_waitcnt vmcnt(56)
	v_fma_f64 v[35:36], v[5:6], v[23:24], -v[35:36]
	ds_read_b128 v[9:12], v98 offset:1056
	v_fma_f64 v[23:24], v[7:8], v[23:24], v[99:100]
	v_add_f64 v[21:22], v[21:22], v[29:30]
	v_add_f64 v[13:14], v[13:14], v[25:26]
	s_clause 0x2
	buffer_load_dword v38, off, s[0:3], 0 offset:412
	buffer_load_dword v26, off, s[0:3], 0 offset:388
	;; [unrolled: 1-line block ×3, first 2 shown]
	ds_read_b128 v[5:8], v98 offset:1072
	s_waitcnt vmcnt(58) lgkmcnt(1)
	v_mul_f64 v[29:30], v[9:10], v[43:44]
	v_mul_f64 v[43:44], v[11:12], v[43:44]
	s_waitcnt vmcnt(56)
	v_fma_f64 v[39:40], v[1:2], v[45:46], -v[39:40]
	v_add_f64 v[21:22], v[21:22], v[35:36]
	v_fma_f64 v[35:36], v[3:4], v[45:46], v[114:115]
	v_add_f64 v[13:14], v[13:14], v[23:24]
	s_clause 0x4
	buffer_load_dword v24, off, s[0:3], 0 offset:428
	buffer_load_dword v45, off, s[0:3], 0 offset:440
	;; [unrolled: 1-line block ×5, first 2 shown]
	s_waitcnt vmcnt(57) lgkmcnt(0)
	v_mul_f64 v[120:121], v[5:6], v[47:48]
	v_mul_f64 v[47:48], v[7:8], v[47:48]
	s_waitcnt vmcnt(56)
	v_fma_f64 v[43:44], v[9:10], v[31:32], -v[43:44]
	ds_read_b128 v[1:4], v98 offset:1088
	v_fma_f64 v[29:30], v[11:12], v[31:32], v[29:30]
	s_clause 0x2
	buffer_load_dword v46, off, s[0:3], 0 offset:444
	buffer_load_dword v32, off, s[0:3], 0 offset:420
	;; [unrolled: 1-line block ×3, first 2 shown]
	ds_read_b128 v[9:12], v98 offset:1104
	v_add_f64 v[21:22], v[21:22], v[39:40]
	v_add_f64 v[13:14], v[13:14], v[35:36]
	s_waitcnt vmcnt(58) lgkmcnt(1)
	v_mul_f64 v[39:40], v[3:4], v[51:52]
	s_waitcnt vmcnt(56)
	v_fma_f64 v[47:48], v[5:6], v[53:54], -v[47:48]
	v_mul_f64 v[35:36], v[1:2], v[51:52]
	v_add_f64 v[21:22], v[21:22], v[43:44]
	v_fma_f64 v[43:44], v[7:8], v[53:54], v[120:121]
	v_add_f64 v[13:14], v[13:14], v[29:30]
	s_clause 0x4
	buffer_load_dword v30, off, s[0:3], 0 offset:460
	buffer_load_dword v51, off, s[0:3], 0 offset:472
	;; [unrolled: 1-line block ×5, first 2 shown]
	s_waitcnt vmcnt(57) lgkmcnt(0)
	v_mul_f64 v[120:121], v[9:10], v[55:56]
	v_mul_f64 v[54:55], v[11:12], v[55:56]
	s_waitcnt vmcnt(56)
	v_fma_f64 v[39:40], v[1:2], v[41:42], -v[39:40]
	ds_read_b128 v[5:8], v98 offset:1120
	v_fma_f64 v[35:36], v[3:4], v[41:42], v[35:36]
	s_clause 0x2
	buffer_load_dword v52, off, s[0:3], 0 offset:476
	buffer_load_dword v42, off, s[0:3], 0 offset:452
	;; [unrolled: 1-line block ×3, first 2 shown]
	ds_read_b128 v[1:4], v98 offset:1136
	v_add_f64 v[21:22], v[21:22], v[47:48]
	v_add_f64 v[13:14], v[13:14], v[43:44]
	s_waitcnt vmcnt(58) lgkmcnt(1)
	v_mul_f64 v[47:48], v[7:8], v[63:64]
	s_waitcnt vmcnt(56)
	v_fma_f64 v[55:56], v[9:10], v[89:90], -v[54:55]
	v_mul_f64 v[43:44], v[5:6], v[63:64]
	v_add_f64 v[21:22], v[21:22], v[39:40]
	v_fma_f64 v[39:40], v[11:12], v[89:90], v[120:121]
	v_add_f64 v[13:14], v[13:14], v[35:36]
	s_clause 0x4
	buffer_load_dword v36, off, s[0:3], 0 offset:492
	buffer_load_dword v63, off, s[0:3], 0 offset:504
	;; [unrolled: 1-line block ×5, first 2 shown]
	s_waitcnt vmcnt(57) lgkmcnt(0)
	v_mul_f64 v[120:121], v[1:2], v[91:92]
	v_mul_f64 v[90:91], v[3:4], v[91:92]
	s_waitcnt vmcnt(56)
	v_fma_f64 v[47:48], v[5:6], v[49:50], -v[47:48]
	ds_read_b128 v[9:12], v98 offset:1152
	v_fma_f64 v[43:44], v[7:8], v[49:50], v[43:44]
	v_add_f64 v[21:22], v[21:22], v[55:56]
	v_add_f64 v[13:14], v[13:14], v[39:40]
	s_clause 0x2
	buffer_load_dword v64, off, s[0:3], 0 offset:508
	buffer_load_dword v40, off, s[0:3], 0 offset:484
	buffer_load_dword v39, off, s[0:3], 0 offset:480
	ds_read_b128 v[5:8], v98 offset:1168
	s_waitcnt vmcnt(58) lgkmcnt(1)
	v_mul_f64 v[55:56], v[11:12], v[93:94]
	s_waitcnt vmcnt(56)
	v_fma_f64 v[91:92], v[1:2], v[95:96], -v[90:91]
	v_mul_f64 v[49:50], v[9:10], v[93:94]
	v_add_f64 v[21:22], v[21:22], v[47:48]
	v_fma_f64 v[47:48], v[3:4], v[95:96], v[120:121]
	v_add_f64 v[13:14], v[13:14], v[43:44]
	s_clause 0x4
	buffer_load_dword v44, off, s[0:3], 0 offset:524
	buffer_load_dword v93, off, s[0:3], 0 offset:536
	;; [unrolled: 1-line block ×5, first 2 shown]
	s_waitcnt vmcnt(57) lgkmcnt(0)
	v_mul_f64 v[120:121], v[5:6], v[105:106]
	v_mul_f64 v[105:106], v[7:8], v[105:106]
	s_waitcnt vmcnt(56)
	v_fma_f64 v[55:56], v[9:10], v[61:62], -v[55:56]
	ds_read_b128 v[1:4], v98 offset:1184
	v_fma_f64 v[49:50], v[11:12], v[61:62], v[49:50]
	v_add_f64 v[21:22], v[21:22], v[91:92]
	v_add_f64 v[13:14], v[13:14], v[47:48]
	s_clause 0x2
	buffer_load_dword v94, off, s[0:3], 0 offset:540
	buffer_load_dword v48, off, s[0:3], 0 offset:516
	;; [unrolled: 1-line block ×3, first 2 shown]
	ds_read_b128 v[9:12], v98 offset:1200
	s_waitcnt vmcnt(58) lgkmcnt(1)
	v_mul_f64 v[91:92], v[3:4], v[107:108]
	v_mul_f64 v[61:62], v[1:2], v[107:108]
	s_waitcnt vmcnt(56)
	v_fma_f64 v[105:106], v[5:6], v[17:18], -v[105:106]
	v_fma_f64 v[17:18], v[7:8], v[17:18], v[120:121]
	v_add_f64 v[21:22], v[21:22], v[55:56]
	v_add_f64 v[13:14], v[13:14], v[49:50]
	s_clause 0x4
	buffer_load_dword v50, off, s[0:3], 0 offset:556
	buffer_load_dword v55, off, s[0:3], 0 offset:568
	;; [unrolled: 1-line block ×5, first 2 shown]
	ds_read_b128 v[5:8], v98 offset:1216
	s_waitcnt vmcnt(57) lgkmcnt(1)
	v_mul_f64 v[120:121], v[9:10], v[15:16]
	v_mul_f64 v[15:16], v[11:12], v[15:16]
	s_waitcnt vmcnt(56)
	v_fma_f64 v[91:92], v[1:2], v[109:110], -v[91:92]
	v_fma_f64 v[61:62], v[3:4], v[109:110], v[61:62]
	v_add_f64 v[21:22], v[21:22], v[105:106]
	v_add_f64 v[13:14], v[13:14], v[17:18]
	s_clause 0x2
	buffer_load_dword v56, off, s[0:3], 0 offset:572
	buffer_load_dword v18, off, s[0:3], 0 offset:548
	buffer_load_dword v17, off, s[0:3], 0 offset:544
	s_waitcnt vmcnt(58) lgkmcnt(0)
	v_mul_f64 v[109:110], v[7:8], v[111:112]
	ds_read_b128 v[1:4], v98 offset:1232
	v_mul_f64 v[105:106], v[5:6], v[111:112]
	s_waitcnt vmcnt(56)
	v_fma_f64 v[15:16], v[9:10], v[101:102], -v[15:16]
	v_add_f64 v[21:22], v[21:22], v[91:92]
	v_fma_f64 v[91:92], v[11:12], v[101:102], v[120:121]
	v_add_f64 v[13:14], v[13:14], v[61:62]
	s_clause 0x4
	buffer_load_dword v62, off, s[0:3], 0 offset:588
	buffer_load_dword v101, off, s[0:3], 0 offset:600
	;; [unrolled: 1-line block ×5, first 2 shown]
	ds_read_b128 v[9:12], v98 offset:1248
	s_waitcnt vmcnt(57) lgkmcnt(1)
	v_mul_f64 v[120:121], v[1:2], v[33:34]
	v_mul_f64 v[33:34], v[3:4], v[33:34]
	s_waitcnt vmcnt(56)
	v_fma_f64 v[109:110], v[5:6], v[116:117], -v[109:110]
	v_add_f64 v[15:16], v[21:22], v[15:16]
	v_fma_f64 v[21:22], v[7:8], v[116:117], v[105:106]
	v_add_f64 v[13:14], v[13:14], v[91:92]
	s_clause 0x2
	buffer_load_dword v102, off, s[0:3], 0 offset:604
	buffer_load_dword v92, off, s[0:3], 0 offset:580
	;; [unrolled: 1-line block ×3, first 2 shown]
	ds_read_b128 v[5:8], v98 offset:1264
	s_waitcnt vmcnt(58) lgkmcnt(1)
	v_mul_f64 v[105:106], v[9:10], v[103:104]
	v_mul_f64 v[103:104], v[11:12], v[103:104]
	s_waitcnt vmcnt(56)
	v_fma_f64 v[33:34], v[1:2], v[27:28], -v[33:34]
	v_fma_f64 v[27:28], v[3:4], v[27:28], v[120:121]
	v_add_f64 v[15:16], v[15:16], v[109:110]
	v_add_f64 v[13:14], v[13:14], v[21:22]
	s_clause 0x4
	buffer_load_dword v22, off, s[0:3], 0 offset:620
	buffer_load_dword v109, off, s[0:3], 0 offset:632
	;; [unrolled: 1-line block ×5, first 2 shown]
	ds_read_b128 v[1:4], v98 offset:1280
	s_waitcnt vmcnt(57) lgkmcnt(1)
	v_mul_f64 v[116:117], v[5:6], v[19:20]
	v_mul_f64 v[19:20], v[7:8], v[19:20]
	s_waitcnt vmcnt(56)
	v_fma_f64 v[103:104], v[9:10], v[118:119], -v[103:104]
	v_add_f64 v[15:16], v[15:16], v[33:34]
	v_fma_f64 v[33:34], v[11:12], v[118:119], v[105:106]
	v_add_f64 v[13:14], v[13:14], v[27:28]
	s_clause 0x2
	buffer_load_dword v110, off, s[0:3], 0 offset:636
	buffer_load_dword v28, off, s[0:3], 0 offset:612
	buffer_load_dword v27, off, s[0:3], 0 offset:608
	ds_read_b128 v[9:12], v98 offset:1296
	s_waitcnt vmcnt(58) lgkmcnt(1)
	v_mul_f64 v[105:106], v[1:2], v[37:38]
	v_mul_f64 v[37:38], v[3:4], v[37:38]
	s_waitcnt vmcnt(56)
	v_fma_f64 v[19:20], v[5:6], v[25:26], -v[19:20]
	v_fma_f64 v[25:26], v[7:8], v[25:26], v[116:117]
	v_add_f64 v[15:16], v[15:16], v[103:104]
	v_add_f64 v[13:14], v[13:14], v[33:34]
	s_clause 0x4
	buffer_load_dword v34, off, s[0:3], 0 offset:652
	buffer_load_dword v103, off, s[0:3], 0 offset:664
	;; [unrolled: 1-line block ×5, first 2 shown]
	ds_read_b128 v[5:8], v98 offset:1312
	s_waitcnt vmcnt(57) lgkmcnt(1)
	v_mul_f64 v[118:119], v[9:10], v[23:24]
	v_mul_f64 v[23:24], v[11:12], v[23:24]
	s_waitcnt vmcnt(56)
	v_fma_f64 v[37:38], v[1:2], v[113:114], -v[37:38]
	v_add_f64 v[15:16], v[15:16], v[19:20]
	v_fma_f64 v[19:20], v[3:4], v[113:114], v[105:106]
	v_add_f64 v[13:14], v[13:14], v[25:26]
	s_clause 0x2
	buffer_load_dword v104, off, s[0:3], 0 offset:668
	buffer_load_dword v26, off, s[0:3], 0 offset:644
	;; [unrolled: 1-line block ×3, first 2 shown]
	s_waitcnt vmcnt(58) lgkmcnt(0)
	v_mul_f64 v[105:106], v[5:6], v[45:46]
	v_mul_f64 v[45:46], v[7:8], v[45:46]
	ds_read_b128 v[1:4], v98 offset:1328
	s_waitcnt vmcnt(56)
	v_fma_f64 v[23:24], v[9:10], v[31:32], -v[23:24]
	v_fma_f64 v[31:32], v[11:12], v[31:32], v[118:119]
	v_add_f64 v[15:16], v[15:16], v[37:38]
	v_add_f64 v[13:14], v[13:14], v[19:20]
	s_clause 0x4
	buffer_load_dword v20, off, s[0:3], 0 offset:684
	buffer_load_dword v37, off, s[0:3], 0 offset:696
	;; [unrolled: 1-line block ×5, first 2 shown]
	ds_read_b128 v[9:12], v98 offset:1344
	s_waitcnt vmcnt(57) lgkmcnt(1)
	v_mul_f64 v[119:120], v[1:2], v[29:30]
	v_mul_f64 v[29:30], v[3:4], v[29:30]
	s_waitcnt vmcnt(56)
	v_fma_f64 v[45:46], v[5:6], v[99:100], -v[45:46]
	v_add_f64 v[15:16], v[15:16], v[23:24]
	v_fma_f64 v[23:24], v[7:8], v[99:100], v[105:106]
	v_add_f64 v[13:14], v[13:14], v[31:32]
	s_clause 0x2
	buffer_load_dword v38, off, s[0:3], 0 offset:700
	buffer_load_dword v32, off, s[0:3], 0 offset:676
	;; [unrolled: 1-line block ×3, first 2 shown]
	s_waitcnt vmcnt(58) lgkmcnt(0)
	v_mul_f64 v[99:100], v[9:10], v[51:52]
	v_mul_f64 v[51:52], v[11:12], v[51:52]
	ds_read_b128 v[5:8], v98 offset:1360
	s_waitcnt vmcnt(56)
	v_fma_f64 v[29:30], v[1:2], v[41:42], -v[29:30]
	v_fma_f64 v[41:42], v[3:4], v[41:42], v[119:120]
	v_add_f64 v[15:16], v[15:16], v[45:46]
	v_add_f64 v[13:14], v[13:14], v[23:24]
	s_clause 0x4
	buffer_load_dword v24, off, s[0:3], 0 offset:716
	buffer_load_dword v45, off, s[0:3], 0 offset:728
	buffer_load_dword v105, off, s[0:3], 0 offset:720
	buffer_load_dword v23, off, s[0:3], 0 offset:712
	buffer_load_dword v114, off, s[0:3], 0 offset:692
	ds_read_b128 v[1:4], v98 offset:1376
	s_waitcnt vmcnt(57) lgkmcnt(1)
	v_mul_f64 v[119:120], v[5:6], v[35:36]
	v_mul_f64 v[35:36], v[7:8], v[35:36]
	s_waitcnt vmcnt(56)
	v_fma_f64 v[51:52], v[9:10], v[53:54], -v[51:52]
	v_add_f64 v[15:16], v[15:16], v[29:30]
	v_fma_f64 v[29:30], v[11:12], v[53:54], v[99:100]
	v_add_f64 v[13:14], v[13:14], v[41:42]
	s_clause 0x2
	buffer_load_dword v46, off, s[0:3], 0 offset:732
	buffer_load_dword v42, off, s[0:3], 0 offset:708
	buffer_load_dword v41, off, s[0:3], 0 offset:704
	ds_read_b128 v[9:12], v98 offset:1392
	s_waitcnt vmcnt(58) lgkmcnt(1)
	v_mul_f64 v[53:54], v[1:2], v[63:64]
	v_mul_f64 v[63:64], v[3:4], v[63:64]
	s_waitcnt vmcnt(56)
	v_fma_f64 v[35:36], v[5:6], v[39:40], -v[35:36]
	v_fma_f64 v[39:40], v[7:8], v[39:40], v[119:120]
	v_add_f64 v[15:16], v[15:16], v[51:52]
	v_add_f64 v[13:14], v[13:14], v[29:30]
	s_clause 0x4
	buffer_load_dword v30, off, s[0:3], 0 offset:748
	buffer_load_dword v51, off, s[0:3], 0 offset:760
	buffer_load_dword v99, off, s[0:3], 0 offset:752
	buffer_load_dword v29, off, s[0:3], 0 offset:744
	buffer_load_dword v106, off, s[0:3], 0 offset:724
	ds_read_b128 v[5:8], v98 offset:1408
	s_waitcnt vmcnt(57) lgkmcnt(1)
	v_mul_f64 v[119:120], v[9:10], v[43:44]
	v_mul_f64 v[43:44], v[11:12], v[43:44]
	s_waitcnt vmcnt(56)
	v_fma_f64 v[63:64], v[1:2], v[89:90], -v[63:64]
	v_add_f64 v[15:16], v[15:16], v[35:36]
	v_fma_f64 v[35:36], v[3:4], v[89:90], v[53:54]
	v_add_f64 v[13:14], v[13:14], v[39:40]
	s_clause 0x2
	buffer_load_dword v52, off, s[0:3], 0 offset:764
	buffer_load_dword v40, off, s[0:3], 0 offset:740
	buffer_load_dword v39, off, s[0:3], 0 offset:736
	ds_read_b128 v[1:4], v98 offset:1424
	s_waitcnt vmcnt(58) lgkmcnt(1)
	v_mul_f64 v[89:90], v[7:8], v[93:94]
	v_mul_f64 v[53:54], v[5:6], v[93:94]
	;; [unrolled: 28-line block ×4, first 2 shown]
	s_waitcnt vmcnt(56)
	v_fma_f64 v[61:62], v[5:6], v[91:92], -v[61:62]
	v_add_f64 v[15:16], v[15:16], v[55:56]
	v_fma_f64 v[55:56], v[7:8], v[91:92], v[119:120]
	v_add_f64 v[13:14], v[13:14], v[49:50]
	s_clause 0x4
	buffer_load_dword v50, off, s[0:3], 0 offset:844
	buffer_load_dword v91, off, s[0:3], 0 offset:856
	;; [unrolled: 1-line block ×5, first 2 shown]
	ds_read_b128 v[5:8], v98 offset:1504
	s_waitcnt vmcnt(57) lgkmcnt(1)
	v_mul_f64 v[119:120], v[9:10], v[21:22]
	v_mul_f64 v[21:22], v[11:12], v[21:22]
	s_waitcnt vmcnt(56)
	v_fma_f64 v[101:102], v[1:2], v[111:112], -v[101:102]
	v_fma_f64 v[53:54], v[3:4], v[111:112], v[53:54]
	v_add_f64 v[15:16], v[15:16], v[61:62]
	v_add_f64 v[13:14], v[13:14], v[55:56]
	s_clause 0x2
	buffer_load_dword v92, off, s[0:3], 0 offset:860
	buffer_load_dword v56, off, s[0:3], 0 offset:836
	;; [unrolled: 1-line block ×3, first 2 shown]
	ds_read_b128 v[1:4], v98 offset:1520
	s_waitcnt vmcnt(58) lgkmcnt(1)
	v_mul_f64 v[61:62], v[5:6], v[109:110]
	v_mul_f64 v[109:110], v[7:8], v[109:110]
	s_waitcnt vmcnt(56)
	v_fma_f64 v[21:22], v[9:10], v[27:28], -v[21:22]
	v_fma_f64 v[27:28], v[11:12], v[27:28], v[119:120]
	v_add_f64 v[15:16], v[15:16], v[101:102]
	v_add_f64 v[13:14], v[13:14], v[53:54]
	s_clause 0x4
	buffer_load_dword v54, off, s[0:3], 0 offset:876
	buffer_load_dword v101, off, s[0:3], 0 offset:888
	;; [unrolled: 1-line block ×5, first 2 shown]
	ds_read_b128 v[9:12], v98 offset:1536
	s_waitcnt vmcnt(57) lgkmcnt(1)
	v_mul_f64 v[119:120], v[1:2], v[33:34]
	v_mul_f64 v[33:34], v[3:4], v[33:34]
	s_waitcnt vmcnt(56)
	v_fma_f64 v[109:110], v[5:6], v[115:116], -v[109:110]
	v_add_f64 v[15:16], v[15:16], v[21:22]
	v_fma_f64 v[21:22], v[7:8], v[115:116], v[61:62]
	v_add_f64 v[13:14], v[13:14], v[27:28]
	s_clause 0x2
	buffer_load_dword v102, off, s[0:3], 0 offset:892
	buffer_load_dword v28, off, s[0:3], 0 offset:868
	;; [unrolled: 1-line block ×3, first 2 shown]
	ds_read_b128 v[5:8], v98 offset:1552
	s_waitcnt vmcnt(58) lgkmcnt(1)
	v_mul_f64 v[61:62], v[9:10], v[103:104]
	v_mul_f64 v[103:104], v[11:12], v[103:104]
	s_waitcnt vmcnt(56)
	v_fma_f64 v[33:34], v[1:2], v[25:26], -v[33:34]
	v_fma_f64 v[25:26], v[3:4], v[25:26], v[119:120]
	v_add_f64 v[15:16], v[15:16], v[109:110]
	v_add_f64 v[13:14], v[13:14], v[21:22]
	s_clause 0x2
	buffer_load_dword v22, off, s[0:3], 0 offset:908
	buffer_load_dword v21, off, s[0:3], 0 offset:904
	;; [unrolled: 1-line block ×3, first 2 shown]
	ds_read_b128 v[1:4], v98 offset:1568
	s_waitcnt vmcnt(55) lgkmcnt(1)
	v_mul_f64 v[109:110], v[5:6], v[19:20]
	v_mul_f64 v[19:20], v[7:8], v[19:20]
	s_waitcnt vmcnt(54)
	v_fma_f64 v[103:104], v[9:10], v[117:118], -v[103:104]
	v_add_f64 v[15:16], v[15:16], v[33:34]
	v_fma_f64 v[33:34], v[11:12], v[117:118], v[61:62]
	v_add_f64 v[13:14], v[13:14], v[25:26]
	s_clause 0x1
	buffer_load_dword v26, off, s[0:3], 0 offset:900
	buffer_load_dword v25, off, s[0:3], 0 offset:896
	ds_read_b128 v[9:12], v98 offset:1584
	s_waitcnt vmcnt(55) lgkmcnt(1)
	v_mul_f64 v[61:62], v[1:2], v[37:38]
	v_mul_f64 v[37:38], v[3:4], v[37:38]
	s_waitcnt vmcnt(53)
	v_fma_f64 v[19:20], v[5:6], v[31:32], -v[19:20]
	v_fma_f64 v[31:32], v[7:8], v[31:32], v[109:110]
	ds_read_b128 v[5:8], v98 offset:1600
	v_add_f64 v[15:16], v[15:16], v[103:104]
	v_add_f64 v[13:14], v[13:14], v[33:34]
	s_waitcnt vmcnt(49) lgkmcnt(1)
	v_mul_f64 v[33:34], v[9:10], v[23:24]
	v_mul_f64 v[23:24], v[11:12], v[23:24]
	s_waitcnt vmcnt(48)
	v_fma_f64 v[37:38], v[1:2], v[113:114], -v[37:38]
	v_add_f64 v[15:16], v[15:16], v[19:20]
	v_fma_f64 v[19:20], v[3:4], v[113:114], v[61:62]
	v_add_f64 v[13:14], v[13:14], v[31:32]
	s_clause 0x3
	buffer_load_dword v31, off, s[0:3], 0 offset:32
	buffer_load_dword v32, off, s[0:3], 0 offset:36
	;; [unrolled: 1-line block ×4, first 2 shown]
	ds_read_b128 v[1:4], v98 offset:1616
	s_waitcnt vmcnt(51) lgkmcnt(1)
	v_mul_f64 v[103:104], v[5:6], v[45:46]
	v_mul_f64 v[45:46], v[7:8], v[45:46]
	s_waitcnt vmcnt(49)
	v_fma_f64 v[23:24], v[9:10], v[41:42], -v[23:24]
	v_fma_f64 v[33:34], v[11:12], v[41:42], v[33:34]
	ds_read_b128 v[9:12], v98 offset:1632
	v_add_f64 v[15:16], v[15:16], v[37:38]
	v_add_f64 v[13:14], v[13:14], v[19:20]
	s_waitcnt vmcnt(45) lgkmcnt(1)
	v_mul_f64 v[19:20], v[1:2], v[29:30]
	v_mul_f64 v[29:30], v[3:4], v[29:30]
	s_waitcnt vmcnt(44)
	v_fma_f64 v[37:38], v[5:6], v[105:106], -v[45:46]
	v_add_f64 v[15:16], v[15:16], v[23:24]
	v_fma_f64 v[23:24], v[7:8], v[105:106], v[103:104]
	v_add_f64 v[13:14], v[13:14], v[33:34]
	ds_read_b128 v[5:8], v98 offset:1648
	s_waitcnt vmcnt(43) lgkmcnt(1)
	v_mul_f64 v[41:42], v[11:12], v[51:52]
	v_mul_f64 v[33:34], v[9:10], v[51:52]
	s_waitcnt vmcnt(41)
	v_fma_f64 v[29:30], v[1:2], v[39:40], -v[29:30]
	v_fma_f64 v[19:20], v[3:4], v[39:40], v[19:20]
	ds_read_b128 v[1:4], v98 offset:1664
	v_add_f64 v[15:16], v[15:16], v[37:38]
	v_add_f64 v[13:14], v[13:14], v[23:24]
	s_waitcnt vmcnt(37) lgkmcnt(1)
	v_mul_f64 v[23:24], v[5:6], v[35:36]
	v_mul_f64 v[35:36], v[7:8], v[35:36]
	s_waitcnt vmcnt(36)
	v_fma_f64 v[37:38], v[9:10], v[99:100], -v[41:42]
	v_add_f64 v[15:16], v[15:16], v[29:30]
	v_fma_f64 v[29:30], v[11:12], v[99:100], v[33:34]
	v_add_f64 v[13:14], v[13:14], v[19:20]
	ds_read_b128 v[9:12], v98 offset:1680
	s_waitcnt vmcnt(35) lgkmcnt(1)
	v_mul_f64 v[33:34], v[3:4], v[63:64]
	v_mul_f64 v[19:20], v[1:2], v[63:64]
	s_waitcnt vmcnt(33)
	v_fma_f64 v[35:36], v[5:6], v[47:48], -v[35:36]
	v_fma_f64 v[23:24], v[7:8], v[47:48], v[23:24]
	ds_read_b128 v[5:8], v98 offset:1696
	v_add_f64 v[15:16], v[15:16], v[37:38]
	v_add_f64 v[13:14], v[13:14], v[29:30]
	s_waitcnt vmcnt(29) lgkmcnt(1)
	v_mul_f64 v[37:38], v[11:12], v[43:44]
	s_waitcnt vmcnt(28)
	v_fma_f64 v[33:34], v[1:2], v[93:94], -v[33:34]
	v_mul_f64 v[29:30], v[9:10], v[43:44]
	v_fma_f64 v[19:20], v[3:4], v[93:94], v[19:20]
	ds_read_b128 v[1:4], v98 offset:1712
	v_add_f64 v[15:16], v[15:16], v[35:36]
	v_add_f64 v[13:14], v[13:14], v[23:24]
	s_waitcnt vmcnt(27) lgkmcnt(1)
	v_mul_f64 v[35:36], v[7:8], v[89:90]
	v_mul_f64 v[23:24], v[5:6], v[89:90]
	s_waitcnt vmcnt(25)
	v_fma_f64 v[37:38], v[9:10], v[17:18], -v[37:38]
	v_fma_f64 v[17:18], v[11:12], v[17:18], v[29:30]
	ds_read_b128 v[9:12], v98 offset:1728
	v_add_f64 v[15:16], v[15:16], v[33:34]
	v_add_f64 v[13:14], v[13:14], v[19:20]
	s_waitcnt vmcnt(21) lgkmcnt(1)
	v_mul_f64 v[29:30], v[3:4], v[49:50]
	s_waitcnt vmcnt(20)
	v_fma_f64 v[33:34], v[5:6], v[95:96], -v[35:36]
	v_mul_f64 v[19:20], v[1:2], v[49:50]
	v_fma_f64 v[23:24], v[7:8], v[95:96], v[23:24]
	ds_read_b128 v[5:8], v98 offset:1744
	v_add_f64 v[15:16], v[15:16], v[37:38]
	v_add_f64 v[13:14], v[13:14], v[17:18]
	;; [unrolled: 18-line block ×3, first 2 shown]
	s_waitcnt vmcnt(11) lgkmcnt(1)
	v_mul_f64 v[29:30], v[3:4], v[101:102]
	v_mul_f64 v[19:20], v[1:2], v[101:102]
	s_waitcnt vmcnt(9)
	v_fma_f64 v[5:6], v[5:6], v[27:28], -v[33:34]
	v_fma_f64 v[7:8], v[7:8], v[27:28], v[23:24]
	v_add_f64 v[15:16], v[15:16], v[35:36]
	v_add_f64 v[13:14], v[13:14], v[17:18]
	s_waitcnt vmcnt(7) lgkmcnt(0)
	v_mul_f64 v[17:18], v[9:10], v[21:22]
	v_mul_f64 v[21:22], v[11:12], v[21:22]
	s_waitcnt vmcnt(6)
	v_fma_f64 v[1:2], v[1:2], v[111:112], -v[29:30]
	v_fma_f64 v[3:4], v[3:4], v[111:112], v[19:20]
	v_add_f64 v[5:6], v[15:16], v[5:6]
	v_add_f64 v[7:8], v[13:14], v[7:8]
	s_waitcnt vmcnt(4)
	v_fma_f64 v[9:10], v[9:10], v[25:26], -v[21:22]
	v_add_f64 v[1:2], v[5:6], v[1:2]
	v_fma_f64 v[5:6], v[11:12], v[25:26], v[17:18]
	v_add_f64 v[3:4], v[7:8], v[3:4]
	v_add_f64 v[1:2], v[1:2], v[9:10]
	v_add_f64 v[3:4], v[3:4], v[5:6]
	s_waitcnt vmcnt(2)
	v_add_f64 v[1:2], v[31:32], -v[1:2]
	s_waitcnt vmcnt(0)
	v_add_f64 v[3:4], v[61:62], -v[3:4]
	buffer_store_dword v2, off, s[0:3], 0 offset:36
	buffer_store_dword v1, off, s[0:3], 0 offset:32
	;; [unrolled: 1-line block ×4, first 2 shown]
	v_cmpx_ne_u32_e32 0, v0
	s_cbranch_execz .LBB55_349
; %bb.348:
	s_clause 0x3
	buffer_load_dword v0, off, s[0:3], 0 offset:16
	buffer_load_dword v1, off, s[0:3], 0 offset:20
	;; [unrolled: 1-line block ×4, first 2 shown]
	v_mov_b32_e32 v4, 0
	buffer_store_dword v4, off, s[0:3], 0 offset:16
	buffer_store_dword v4, off, s[0:3], 0 offset:20
	buffer_store_dword v4, off, s[0:3], 0 offset:24
	buffer_store_dword v4, off, s[0:3], 0 offset:28
	s_waitcnt vmcnt(0)
	ds_write_b128 v97, v[0:3]
.LBB55_349:
	s_or_b32 exec_lo, exec_lo, s4
	s_waitcnt lgkmcnt(0)
	s_waitcnt_vscnt null, 0x0
	s_barrier
	buffer_gl0_inv
	s_clause 0x37
	buffer_load_dword v16, off, s[0:3], 0 offset:40
	buffer_load_dword v17, off, s[0:3], 0 offset:44
	;; [unrolled: 1-line block ×56, first 2 shown]
	v_mov_b32_e32 v56, 0
	s_and_b32 vcc_lo, exec_lo, s68
	ds_read_b128 v[4:7], v56 offset:912
	s_clause 0x2
	buffer_load_dword v94, off, s[0:3], 0 offset:268
	buffer_load_dword v96, off, s[0:3], 0 offset:244
	;; [unrolled: 1-line block ×3, first 2 shown]
	ds_read_b128 v[0:3], v56 offset:928
	s_clause 0x4
	buffer_load_dword v104, off, s[0:3], 0 offset:284
	buffer_load_dword v105, off, s[0:3], 0 offset:296
	;; [unrolled: 1-line block ×5, first 2 shown]
	ds_read_b128 v[97:100], v56 offset:944
	s_waitcnt vmcnt(62) lgkmcnt(2)
	v_mul_f64 v[101:102], v[6:7], v[16:17]
	v_mul_f64 v[16:17], v[4:5], v[16:17]
	s_waitcnt vmcnt(60) lgkmcnt(1)
	v_mul_f64 v[108:109], v[2:3], v[12:13]
	v_mul_f64 v[12:13], v[0:1], v[12:13]
	;; [unrolled: 3-line block ×3, first 2 shown]
	v_fma_f64 v[101:102], v[4:5], v[14:15], -v[101:102]
	v_fma_f64 v[14:15], v[6:7], v[14:15], v[16:17]
	s_clause 0x2
	buffer_load_dword v106, off, s[0:3], 0 offset:300
	buffer_load_dword v17, off, s[0:3], 0 offset:276
	buffer_load_dword v16, off, s[0:3], 0 offset:272
	s_waitcnt vmcnt(57)
	v_fma_f64 v[112:113], v[0:1], v[8:9], -v[108:109]
	ds_read_b128 v[4:7], v56 offset:960
	v_fma_f64 v[8:9], v[2:3], v[8:9], v[12:13]
	s_waitcnt vmcnt(51)
	v_fma_f64 v[97:98], v[97:98], v[32:33], -v[10:11]
	v_fma_f64 v[32:33], v[99:100], v[32:33], v[110:111]
	v_add_f64 v[101:102], v[101:102], 0
	v_add_f64 v[12:13], v[14:15], 0
	s_clause 0x4
	buffer_load_dword v15, off, s[0:3], 0 offset:316
	buffer_load_dword v109, off, s[0:3], 0 offset:328
	;; [unrolled: 1-line block ×5, first 2 shown]
	s_waitcnt lgkmcnt(0)
	v_mul_f64 v[115:116], v[4:5], v[20:21]
	v_mul_f64 v[20:21], v[6:7], v[20:21]
	ds_read_b128 v[0:3], v56 offset:976
	s_clause 0x2
	buffer_load_dword v110, off, s[0:3], 0 offset:332
	buffer_load_dword v100, off, s[0:3], 0 offset:308
	;; [unrolled: 1-line block ×3, first 2 shown]
	v_add_f64 v[101:102], v[101:102], v[112:113]
	v_add_f64 v[12:13], v[12:13], v[8:9]
	ds_read_b128 v[8:11], v56 offset:992
	s_waitcnt vmcnt(58) lgkmcnt(1)
	v_mul_f64 v[111:112], v[0:1], v[24:25]
	v_mul_f64 v[24:25], v[2:3], v[24:25]
	s_waitcnt vmcnt(56)
	v_fma_f64 v[20:21], v[4:5], v[26:27], -v[20:21]
	v_fma_f64 v[26:27], v[6:7], v[26:27], v[115:116]
	s_waitcnt vmcnt(52) lgkmcnt(0)
	v_mul_f64 v[117:118], v[8:9], v[28:29]
	v_add_f64 v[97:98], v[101:102], v[97:98]
	v_add_f64 v[12:13], v[12:13], v[32:33]
	s_clause 0x4
	buffer_load_dword v33, off, s[0:3], 0 offset:348
	buffer_load_dword v101, off, s[0:3], 0 offset:360
	buffer_load_dword v116, off, s[0:3], 0 offset:352
	buffer_load_dword v32, off, s[0:3], 0 offset:344
	buffer_load_dword v115, off, s[0:3], 0 offset:324
	v_mul_f64 v[28:29], v[10:11], v[28:29]
	s_waitcnt vmcnt(56)
	v_fma_f64 v[24:25], v[0:1], v[18:19], -v[24:25]
	ds_read_b128 v[4:7], v56 offset:1008
	v_fma_f64 v[18:19], v[2:3], v[18:19], v[111:112]
	v_add_f64 v[20:21], v[97:98], v[20:21]
	v_add_f64 v[12:13], v[12:13], v[26:27]
	s_clause 0x2
	buffer_load_dword v102, off, s[0:3], 0 offset:364
	buffer_load_dword v27, off, s[0:3], 0 offset:340
	;; [unrolled: 1-line block ×3, first 2 shown]
	s_waitcnt vmcnt(58) lgkmcnt(0)
	v_mul_f64 v[97:98], v[4:5], v[34:35]
	v_mul_f64 v[34:35], v[6:7], v[34:35]
	s_waitcnt vmcnt(56)
	v_fma_f64 v[28:29], v[8:9], v[36:37], -v[28:29]
	ds_read_b128 v[0:3], v56 offset:1024
	v_add_f64 v[20:21], v[20:21], v[24:25]
	v_fma_f64 v[24:25], v[10:11], v[36:37], v[117:118]
	v_add_f64 v[12:13], v[12:13], v[18:19]
	s_clause 0x4
	buffer_load_dword v19, off, s[0:3], 0 offset:380
	buffer_load_dword v36, off, s[0:3], 0 offset:392
	;; [unrolled: 1-line block ×5, first 2 shown]
	s_waitcnt vmcnt(57) lgkmcnt(0)
	v_mul_f64 v[112:113], v[0:1], v[38:39]
	v_mul_f64 v[38:39], v[2:3], v[38:39]
	s_waitcnt vmcnt(56)
	v_fma_f64 v[34:35], v[4:5], v[22:23], -v[34:35]
	ds_read_b128 v[8:11], v56 offset:1040
	v_fma_f64 v[22:23], v[6:7], v[22:23], v[97:98]
	v_add_f64 v[20:21], v[20:21], v[28:29]
	v_add_f64 v[12:13], v[12:13], v[24:25]
	s_clause 0x2
	buffer_load_dword v37, off, s[0:3], 0 offset:396
	buffer_load_dword v25, off, s[0:3], 0 offset:372
	;; [unrolled: 1-line block ×3, first 2 shown]
	ds_read_b128 v[4:7], v56 offset:1056
	s_waitcnt vmcnt(58) lgkmcnt(1)
	v_mul_f64 v[28:29], v[8:9], v[42:43]
	v_mul_f64 v[42:43], v[10:11], v[42:43]
	s_waitcnt vmcnt(56)
	v_fma_f64 v[38:39], v[0:1], v[44:45], -v[38:39]
	v_add_f64 v[20:21], v[20:21], v[34:35]
	v_fma_f64 v[34:35], v[2:3], v[44:45], v[112:113]
	v_add_f64 v[12:13], v[12:13], v[22:23]
	s_clause 0x4
	buffer_load_dword v23, off, s[0:3], 0 offset:412
	buffer_load_dword v44, off, s[0:3], 0 offset:424
	;; [unrolled: 1-line block ×5, first 2 shown]
	s_waitcnt vmcnt(57) lgkmcnt(0)
	v_mul_f64 v[118:119], v[4:5], v[46:47]
	v_mul_f64 v[46:47], v[6:7], v[46:47]
	s_waitcnt vmcnt(56)
	v_fma_f64 v[42:43], v[8:9], v[30:31], -v[42:43]
	ds_read_b128 v[0:3], v56 offset:1072
	v_fma_f64 v[28:29], v[10:11], v[30:31], v[28:29]
	s_clause 0x2
	buffer_load_dword v45, off, s[0:3], 0 offset:428
	buffer_load_dword v31, off, s[0:3], 0 offset:404
	;; [unrolled: 1-line block ×3, first 2 shown]
	ds_read_b128 v[8:11], v56 offset:1088
	v_add_f64 v[20:21], v[20:21], v[38:39]
	v_add_f64 v[12:13], v[12:13], v[34:35]
	s_waitcnt vmcnt(58) lgkmcnt(1)
	v_mul_f64 v[38:39], v[2:3], v[50:51]
	s_waitcnt vmcnt(56)
	v_fma_f64 v[46:47], v[4:5], v[52:53], -v[46:47]
	v_mul_f64 v[34:35], v[0:1], v[50:51]
	v_add_f64 v[20:21], v[20:21], v[42:43]
	v_fma_f64 v[42:43], v[6:7], v[52:53], v[118:119]
	v_add_f64 v[12:13], v[12:13], v[28:29]
	s_clause 0x4
	buffer_load_dword v29, off, s[0:3], 0 offset:444
	buffer_load_dword v50, off, s[0:3], 0 offset:456
	;; [unrolled: 1-line block ×5, first 2 shown]
	s_waitcnt vmcnt(57) lgkmcnt(0)
	v_mul_f64 v[118:119], v[8:9], v[54:55]
	v_mul_f64 v[53:54], v[10:11], v[54:55]
	s_waitcnt vmcnt(56)
	v_fma_f64 v[38:39], v[0:1], v[40:41], -v[38:39]
	ds_read_b128 v[4:7], v56 offset:1104
	v_fma_f64 v[34:35], v[2:3], v[40:41], v[34:35]
	s_clause 0x2
	buffer_load_dword v51, off, s[0:3], 0 offset:460
	buffer_load_dword v41, off, s[0:3], 0 offset:436
	;; [unrolled: 1-line block ×3, first 2 shown]
	ds_read_b128 v[0:3], v56 offset:1120
	v_add_f64 v[20:21], v[20:21], v[46:47]
	v_add_f64 v[12:13], v[12:13], v[42:43]
	s_waitcnt vmcnt(58) lgkmcnt(1)
	v_mul_f64 v[46:47], v[6:7], v[63:64]
	s_waitcnt vmcnt(56)
	v_fma_f64 v[54:55], v[8:9], v[89:90], -v[53:54]
	v_mul_f64 v[42:43], v[4:5], v[63:64]
	v_add_f64 v[20:21], v[20:21], v[38:39]
	v_fma_f64 v[38:39], v[10:11], v[89:90], v[118:119]
	v_add_f64 v[12:13], v[12:13], v[34:35]
	s_clause 0x4
	buffer_load_dword v35, off, s[0:3], 0 offset:476
	buffer_load_dword v63, off, s[0:3], 0 offset:488
	buffer_load_dword v89, off, s[0:3], 0 offset:480
	buffer_load_dword v34, off, s[0:3], 0 offset:472
	buffer_load_dword v53, off, s[0:3], 0 offset:452
	s_waitcnt vmcnt(57) lgkmcnt(0)
	v_mul_f64 v[118:119], v[0:1], v[91:92]
	v_mul_f64 v[90:91], v[2:3], v[91:92]
	s_waitcnt vmcnt(56)
	v_fma_f64 v[46:47], v[4:5], v[48:49], -v[46:47]
	ds_read_b128 v[8:11], v56 offset:1136
	v_fma_f64 v[42:43], v[6:7], v[48:49], v[42:43]
	v_add_f64 v[20:21], v[20:21], v[54:55]
	v_add_f64 v[12:13], v[12:13], v[38:39]
	s_clause 0x2
	buffer_load_dword v64, off, s[0:3], 0 offset:492
	buffer_load_dword v39, off, s[0:3], 0 offset:468
	;; [unrolled: 1-line block ×3, first 2 shown]
	ds_read_b128 v[4:7], v56 offset:1152
	s_waitcnt vmcnt(58) lgkmcnt(1)
	v_mul_f64 v[54:55], v[10:11], v[93:94]
	s_waitcnt vmcnt(56)
	v_fma_f64 v[91:92], v[0:1], v[95:96], -v[90:91]
	v_mul_f64 v[48:49], v[8:9], v[93:94]
	v_add_f64 v[20:21], v[20:21], v[46:47]
	v_fma_f64 v[46:47], v[2:3], v[95:96], v[118:119]
	v_add_f64 v[12:13], v[12:13], v[42:43]
	s_clause 0x4
	buffer_load_dword v43, off, s[0:3], 0 offset:508
	buffer_load_dword v93, off, s[0:3], 0 offset:520
	;; [unrolled: 1-line block ×5, first 2 shown]
	s_waitcnt vmcnt(57) lgkmcnt(0)
	v_mul_f64 v[118:119], v[4:5], v[103:104]
	v_mul_f64 v[103:104], v[6:7], v[103:104]
	s_waitcnt vmcnt(56)
	v_fma_f64 v[54:55], v[8:9], v[61:62], -v[54:55]
	ds_read_b128 v[0:3], v56 offset:1168
	v_fma_f64 v[48:49], v[10:11], v[61:62], v[48:49]
	v_add_f64 v[20:21], v[20:21], v[91:92]
	v_add_f64 v[12:13], v[12:13], v[46:47]
	s_clause 0x2
	buffer_load_dword v94, off, s[0:3], 0 offset:524
	buffer_load_dword v47, off, s[0:3], 0 offset:500
	buffer_load_dword v46, off, s[0:3], 0 offset:496
	ds_read_b128 v[8:11], v56 offset:1184
	s_waitcnt vmcnt(58) lgkmcnt(1)
	v_mul_f64 v[91:92], v[2:3], v[105:106]
	v_mul_f64 v[61:62], v[0:1], v[105:106]
	s_waitcnt vmcnt(56)
	v_fma_f64 v[103:104], v[4:5], v[16:17], -v[103:104]
	v_fma_f64 v[16:17], v[6:7], v[16:17], v[118:119]
	v_add_f64 v[20:21], v[20:21], v[54:55]
	v_add_f64 v[12:13], v[12:13], v[48:49]
	s_clause 0x4
	buffer_load_dword v49, off, s[0:3], 0 offset:540
	buffer_load_dword v54, off, s[0:3], 0 offset:552
	;; [unrolled: 1-line block ×5, first 2 shown]
	ds_read_b128 v[4:7], v56 offset:1200
	s_waitcnt vmcnt(57) lgkmcnt(1)
	v_mul_f64 v[118:119], v[8:9], v[14:15]
	v_mul_f64 v[14:15], v[10:11], v[14:15]
	s_waitcnt vmcnt(56)
	v_fma_f64 v[91:92], v[0:1], v[107:108], -v[91:92]
	v_fma_f64 v[61:62], v[2:3], v[107:108], v[61:62]
	v_add_f64 v[20:21], v[20:21], v[103:104]
	v_add_f64 v[12:13], v[12:13], v[16:17]
	s_clause 0x2
	buffer_load_dword v55, off, s[0:3], 0 offset:556
	buffer_load_dword v17, off, s[0:3], 0 offset:532
	;; [unrolled: 1-line block ×3, first 2 shown]
	s_waitcnt vmcnt(58) lgkmcnt(0)
	v_mul_f64 v[107:108], v[6:7], v[109:110]
	ds_read_b128 v[0:3], v56 offset:1216
	v_mul_f64 v[103:104], v[4:5], v[109:110]
	s_waitcnt vmcnt(56)
	v_fma_f64 v[14:15], v[8:9], v[99:100], -v[14:15]
	v_add_f64 v[20:21], v[20:21], v[91:92]
	v_fma_f64 v[91:92], v[10:11], v[99:100], v[118:119]
	v_add_f64 v[12:13], v[12:13], v[61:62]
	s_clause 0x4
	buffer_load_dword v62, off, s[0:3], 0 offset:572
	buffer_load_dword v99, off, s[0:3], 0 offset:584
	;; [unrolled: 1-line block ×5, first 2 shown]
	ds_read_b128 v[8:11], v56 offset:1232
	s_waitcnt vmcnt(57) lgkmcnt(1)
	v_mul_f64 v[118:119], v[0:1], v[32:33]
	v_mul_f64 v[32:33], v[2:3], v[32:33]
	s_waitcnt vmcnt(56)
	v_fma_f64 v[107:108], v[4:5], v[114:115], -v[107:108]
	v_add_f64 v[14:15], v[20:21], v[14:15]
	v_fma_f64 v[20:21], v[6:7], v[114:115], v[103:104]
	v_add_f64 v[12:13], v[12:13], v[91:92]
	s_clause 0x2
	buffer_load_dword v100, off, s[0:3], 0 offset:588
	buffer_load_dword v92, off, s[0:3], 0 offset:564
	;; [unrolled: 1-line block ×3, first 2 shown]
	ds_read_b128 v[4:7], v56 offset:1248
	s_waitcnt vmcnt(58) lgkmcnt(1)
	v_mul_f64 v[103:104], v[8:9], v[101:102]
	v_mul_f64 v[101:102], v[10:11], v[101:102]
	s_waitcnt vmcnt(56)
	v_fma_f64 v[32:33], v[0:1], v[26:27], -v[32:33]
	v_fma_f64 v[26:27], v[2:3], v[26:27], v[118:119]
	v_add_f64 v[14:15], v[14:15], v[107:108]
	v_add_f64 v[12:13], v[12:13], v[20:21]
	s_clause 0x4
	buffer_load_dword v21, off, s[0:3], 0 offset:604
	buffer_load_dword v107, off, s[0:3], 0 offset:616
	;; [unrolled: 1-line block ×5, first 2 shown]
	ds_read_b128 v[0:3], v56 offset:1264
	s_waitcnt vmcnt(57) lgkmcnt(1)
	v_mul_f64 v[114:115], v[4:5], v[18:19]
	v_mul_f64 v[18:19], v[6:7], v[18:19]
	s_waitcnt vmcnt(56)
	v_fma_f64 v[101:102], v[8:9], v[116:117], -v[101:102]
	v_add_f64 v[14:15], v[14:15], v[32:33]
	v_fma_f64 v[32:33], v[10:11], v[116:117], v[103:104]
	v_add_f64 v[12:13], v[12:13], v[26:27]
	s_clause 0x2
	buffer_load_dword v108, off, s[0:3], 0 offset:620
	buffer_load_dword v27, off, s[0:3], 0 offset:596
	;; [unrolled: 1-line block ×3, first 2 shown]
	ds_read_b128 v[8:11], v56 offset:1280
	s_waitcnt vmcnt(58) lgkmcnt(1)
	v_mul_f64 v[103:104], v[0:1], v[36:37]
	v_mul_f64 v[36:37], v[2:3], v[36:37]
	s_waitcnt vmcnt(56)
	v_fma_f64 v[18:19], v[4:5], v[24:25], -v[18:19]
	v_fma_f64 v[24:25], v[6:7], v[24:25], v[114:115]
	v_add_f64 v[14:15], v[14:15], v[101:102]
	v_add_f64 v[12:13], v[12:13], v[32:33]
	s_clause 0x4
	buffer_load_dword v33, off, s[0:3], 0 offset:636
	buffer_load_dword v101, off, s[0:3], 0 offset:648
	;; [unrolled: 1-line block ×5, first 2 shown]
	ds_read_b128 v[4:7], v56 offset:1296
	s_waitcnt vmcnt(57) lgkmcnt(1)
	v_mul_f64 v[116:117], v[8:9], v[22:23]
	v_mul_f64 v[22:23], v[10:11], v[22:23]
	s_waitcnt vmcnt(56)
	v_fma_f64 v[36:37], v[0:1], v[111:112], -v[36:37]
	v_add_f64 v[14:15], v[14:15], v[18:19]
	v_fma_f64 v[18:19], v[2:3], v[111:112], v[103:104]
	v_add_f64 v[12:13], v[12:13], v[24:25]
	s_clause 0x2
	buffer_load_dword v102, off, s[0:3], 0 offset:652
	buffer_load_dword v25, off, s[0:3], 0 offset:628
	;; [unrolled: 1-line block ×3, first 2 shown]
	s_waitcnt vmcnt(58) lgkmcnt(0)
	v_mul_f64 v[103:104], v[4:5], v[44:45]
	v_mul_f64 v[44:45], v[6:7], v[44:45]
	ds_read_b128 v[0:3], v56 offset:1312
	s_waitcnt vmcnt(56)
	v_fma_f64 v[22:23], v[8:9], v[30:31], -v[22:23]
	v_fma_f64 v[30:31], v[10:11], v[30:31], v[116:117]
	v_add_f64 v[14:15], v[14:15], v[36:37]
	v_add_f64 v[12:13], v[12:13], v[18:19]
	s_clause 0x4
	buffer_load_dword v19, off, s[0:3], 0 offset:668
	buffer_load_dword v36, off, s[0:3], 0 offset:680
	;; [unrolled: 1-line block ×5, first 2 shown]
	ds_read_b128 v[8:11], v56 offset:1328
	s_waitcnt vmcnt(57) lgkmcnt(1)
	v_mul_f64 v[117:118], v[0:1], v[28:29]
	v_mul_f64 v[28:29], v[2:3], v[28:29]
	s_waitcnt vmcnt(56)
	v_fma_f64 v[44:45], v[4:5], v[97:98], -v[44:45]
	v_add_f64 v[14:15], v[14:15], v[22:23]
	v_fma_f64 v[22:23], v[6:7], v[97:98], v[103:104]
	v_add_f64 v[12:13], v[12:13], v[30:31]
	s_clause 0x2
	buffer_load_dword v37, off, s[0:3], 0 offset:684
	buffer_load_dword v31, off, s[0:3], 0 offset:660
	buffer_load_dword v30, off, s[0:3], 0 offset:656
	s_waitcnt vmcnt(58) lgkmcnt(0)
	v_mul_f64 v[97:98], v[8:9], v[50:51]
	v_mul_f64 v[50:51], v[10:11], v[50:51]
	ds_read_b128 v[4:7], v56 offset:1344
	s_waitcnt vmcnt(56)
	v_fma_f64 v[28:29], v[0:1], v[40:41], -v[28:29]
	v_fma_f64 v[40:41], v[2:3], v[40:41], v[117:118]
	v_add_f64 v[14:15], v[14:15], v[44:45]
	v_add_f64 v[12:13], v[12:13], v[22:23]
	s_clause 0x4
	buffer_load_dword v23, off, s[0:3], 0 offset:700
	buffer_load_dword v44, off, s[0:3], 0 offset:712
	buffer_load_dword v103, off, s[0:3], 0 offset:704
	buffer_load_dword v22, off, s[0:3], 0 offset:696
	buffer_load_dword v112, off, s[0:3], 0 offset:676
	ds_read_b128 v[0:3], v56 offset:1360
	s_waitcnt vmcnt(57) lgkmcnt(1)
	v_mul_f64 v[117:118], v[4:5], v[34:35]
	v_mul_f64 v[34:35], v[6:7], v[34:35]
	s_waitcnt vmcnt(56)
	v_fma_f64 v[50:51], v[8:9], v[52:53], -v[50:51]
	v_add_f64 v[14:15], v[14:15], v[28:29]
	v_fma_f64 v[28:29], v[10:11], v[52:53], v[97:98]
	v_add_f64 v[12:13], v[12:13], v[40:41]
	s_clause 0x2
	buffer_load_dword v45, off, s[0:3], 0 offset:716
	buffer_load_dword v41, off, s[0:3], 0 offset:692
	buffer_load_dword v40, off, s[0:3], 0 offset:688
	ds_read_b128 v[8:11], v56 offset:1376
	s_waitcnt vmcnt(58) lgkmcnt(1)
	v_mul_f64 v[52:53], v[0:1], v[63:64]
	v_mul_f64 v[63:64], v[2:3], v[63:64]
	s_waitcnt vmcnt(56)
	v_fma_f64 v[34:35], v[4:5], v[38:39], -v[34:35]
	v_fma_f64 v[38:39], v[6:7], v[38:39], v[117:118]
	v_add_f64 v[14:15], v[14:15], v[50:51]
	v_add_f64 v[12:13], v[12:13], v[28:29]
	s_clause 0x4
	buffer_load_dword v29, off, s[0:3], 0 offset:732
	buffer_load_dword v50, off, s[0:3], 0 offset:744
	buffer_load_dword v97, off, s[0:3], 0 offset:736
	buffer_load_dword v28, off, s[0:3], 0 offset:728
	buffer_load_dword v104, off, s[0:3], 0 offset:708
	ds_read_b128 v[4:7], v56 offset:1392
	s_waitcnt vmcnt(57) lgkmcnt(1)
	v_mul_f64 v[117:118], v[8:9], v[42:43]
	v_mul_f64 v[42:43], v[10:11], v[42:43]
	s_waitcnt vmcnt(56)
	v_fma_f64 v[63:64], v[0:1], v[89:90], -v[63:64]
	v_add_f64 v[14:15], v[14:15], v[34:35]
	v_fma_f64 v[34:35], v[2:3], v[89:90], v[52:53]
	v_add_f64 v[12:13], v[12:13], v[38:39]
	s_clause 0x2
	buffer_load_dword v51, off, s[0:3], 0 offset:748
	buffer_load_dword v39, off, s[0:3], 0 offset:724
	buffer_load_dword v38, off, s[0:3], 0 offset:720
	ds_read_b128 v[0:3], v56 offset:1408
	s_waitcnt vmcnt(58) lgkmcnt(1)
	v_mul_f64 v[89:90], v[6:7], v[93:94]
	v_mul_f64 v[52:53], v[4:5], v[93:94]
	;; [unrolled: 28-line block ×4, first 2 shown]
	s_waitcnt vmcnt(56)
	v_fma_f64 v[61:62], v[4:5], v[91:92], -v[61:62]
	v_add_f64 v[14:15], v[14:15], v[54:55]
	v_fma_f64 v[54:55], v[6:7], v[91:92], v[117:118]
	v_add_f64 v[12:13], v[12:13], v[48:49]
	s_clause 0x4
	buffer_load_dword v49, off, s[0:3], 0 offset:828
	buffer_load_dword v91, off, s[0:3], 0 offset:840
	;; [unrolled: 1-line block ×5, first 2 shown]
	ds_read_b128 v[4:7], v56 offset:1488
	s_waitcnt vmcnt(57) lgkmcnt(1)
	v_mul_f64 v[117:118], v[8:9], v[20:21]
	v_mul_f64 v[20:21], v[10:11], v[20:21]
	s_waitcnt vmcnt(56)
	v_fma_f64 v[99:100], v[0:1], v[109:110], -v[99:100]
	v_fma_f64 v[52:53], v[2:3], v[109:110], v[52:53]
	v_add_f64 v[14:15], v[14:15], v[61:62]
	v_add_f64 v[12:13], v[12:13], v[54:55]
	s_clause 0x2
	buffer_load_dword v92, off, s[0:3], 0 offset:844
	buffer_load_dword v55, off, s[0:3], 0 offset:820
	;; [unrolled: 1-line block ×3, first 2 shown]
	ds_read_b128 v[0:3], v56 offset:1504
	s_waitcnt vmcnt(58) lgkmcnt(1)
	v_mul_f64 v[61:62], v[4:5], v[107:108]
	v_mul_f64 v[107:108], v[6:7], v[107:108]
	s_waitcnt vmcnt(56)
	v_fma_f64 v[20:21], v[8:9], v[26:27], -v[20:21]
	v_fma_f64 v[26:27], v[10:11], v[26:27], v[117:118]
	v_add_f64 v[14:15], v[14:15], v[99:100]
	v_add_f64 v[12:13], v[12:13], v[52:53]
	s_clause 0x4
	buffer_load_dword v53, off, s[0:3], 0 offset:860
	buffer_load_dword v99, off, s[0:3], 0 offset:872
	;; [unrolled: 1-line block ×5, first 2 shown]
	ds_read_b128 v[8:11], v56 offset:1520
	s_waitcnt vmcnt(57) lgkmcnt(1)
	v_mul_f64 v[117:118], v[0:1], v[32:33]
	v_mul_f64 v[32:33], v[2:3], v[32:33]
	s_waitcnt vmcnt(56)
	v_fma_f64 v[107:108], v[4:5], v[113:114], -v[107:108]
	v_add_f64 v[14:15], v[14:15], v[20:21]
	v_fma_f64 v[20:21], v[6:7], v[113:114], v[61:62]
	v_add_f64 v[12:13], v[12:13], v[26:27]
	s_clause 0x2
	buffer_load_dword v100, off, s[0:3], 0 offset:876
	buffer_load_dword v27, off, s[0:3], 0 offset:852
	;; [unrolled: 1-line block ×3, first 2 shown]
	ds_read_b128 v[4:7], v56 offset:1536
	s_waitcnt vmcnt(58) lgkmcnt(1)
	v_mul_f64 v[61:62], v[8:9], v[101:102]
	v_mul_f64 v[101:102], v[10:11], v[101:102]
	s_waitcnt vmcnt(56)
	v_fma_f64 v[32:33], v[0:1], v[24:25], -v[32:33]
	v_fma_f64 v[24:25], v[2:3], v[24:25], v[117:118]
	v_add_f64 v[14:15], v[14:15], v[107:108]
	v_add_f64 v[12:13], v[12:13], v[20:21]
	s_clause 0x4
	buffer_load_dword v21, off, s[0:3], 0 offset:892
	buffer_load_dword v107, off, s[0:3], 0 offset:904
	;; [unrolled: 1-line block ×5, first 2 shown]
	ds_read_b128 v[0:3], v56 offset:1552
	s_waitcnt vmcnt(57) lgkmcnt(1)
	v_mul_f64 v[117:118], v[4:5], v[18:19]
	v_mul_f64 v[18:19], v[6:7], v[18:19]
	s_waitcnt vmcnt(56)
	v_fma_f64 v[101:102], v[8:9], v[115:116], -v[101:102]
	v_add_f64 v[14:15], v[14:15], v[32:33]
	v_fma_f64 v[32:33], v[10:11], v[115:116], v[61:62]
	v_add_f64 v[12:13], v[12:13], v[24:25]
	s_clause 0x2
	buffer_load_dword v108, off, s[0:3], 0 offset:908
	buffer_load_dword v25, off, s[0:3], 0 offset:884
	;; [unrolled: 1-line block ×3, first 2 shown]
	ds_read_b128 v[8:11], v56 offset:1568
	buffer_load_dword v114, off, s[0:3], 0 offset:900
	s_waitcnt vmcnt(59) lgkmcnt(1)
	v_mul_f64 v[61:62], v[0:1], v[36:37]
	v_mul_f64 v[36:37], v[2:3], v[36:37]
	s_waitcnt vmcnt(57)
	v_fma_f64 v[18:19], v[4:5], v[30:31], -v[18:19]
	v_fma_f64 v[30:31], v[6:7], v[30:31], v[117:118]
	ds_read_b128 v[4:7], v56 offset:1584
	v_add_f64 v[14:15], v[14:15], v[101:102]
	v_add_f64 v[12:13], v[12:13], v[32:33]
	s_waitcnt vmcnt(53) lgkmcnt(1)
	v_mul_f64 v[32:33], v[8:9], v[22:23]
	v_mul_f64 v[22:23], v[10:11], v[22:23]
	s_waitcnt vmcnt(52)
	v_fma_f64 v[36:37], v[0:1], v[111:112], -v[36:37]
	v_add_f64 v[14:15], v[14:15], v[18:19]
	v_fma_f64 v[18:19], v[2:3], v[111:112], v[61:62]
	v_add_f64 v[12:13], v[12:13], v[30:31]
	ds_read_b128 v[0:3], v56 offset:1600
	s_waitcnt vmcnt(51) lgkmcnt(1)
	v_mul_f64 v[30:31], v[4:5], v[44:45]
	v_mul_f64 v[44:45], v[6:7], v[44:45]
	s_waitcnt vmcnt(49)
	v_fma_f64 v[22:23], v[8:9], v[40:41], -v[22:23]
	v_fma_f64 v[32:33], v[10:11], v[40:41], v[32:33]
	v_add_f64 v[14:15], v[14:15], v[36:37]
	v_add_f64 v[12:13], v[12:13], v[18:19]
	s_clause 0x3
	buffer_load_dword v18, off, s[0:3], 0 offset:16
	buffer_load_dword v19, off, s[0:3], 0 offset:20
	;; [unrolled: 1-line block ×4, first 2 shown]
	ds_read_b128 v[8:11], v56 offset:1616
	s_waitcnt vmcnt(49) lgkmcnt(1)
	v_mul_f64 v[40:41], v[0:1], v[28:29]
	v_mul_f64 v[28:29], v[2:3], v[28:29]
	s_waitcnt vmcnt(48)
	v_fma_f64 v[44:45], v[4:5], v[103:104], -v[44:45]
	v_add_f64 v[14:15], v[14:15], v[22:23]
	v_fma_f64 v[22:23], v[6:7], v[103:104], v[30:31]
	v_add_f64 v[12:13], v[12:13], v[32:33]
	ds_read_b128 v[4:7], v56 offset:1632
	s_waitcnt vmcnt(47) lgkmcnt(1)
	v_mul_f64 v[32:33], v[10:11], v[50:51]
	v_mul_f64 v[30:31], v[8:9], v[50:51]
	s_waitcnt vmcnt(45)
	v_fma_f64 v[28:29], v[0:1], v[38:39], -v[28:29]
	v_fma_f64 v[38:39], v[2:3], v[38:39], v[40:41]
	ds_read_b128 v[0:3], v56 offset:1648
	v_add_f64 v[14:15], v[14:15], v[44:45]
	v_add_f64 v[12:13], v[12:13], v[22:23]
	s_waitcnt vmcnt(41) lgkmcnt(1)
	v_mul_f64 v[22:23], v[4:5], v[34:35]
	v_mul_f64 v[34:35], v[6:7], v[34:35]
	s_waitcnt vmcnt(40)
	v_fma_f64 v[32:33], v[8:9], v[97:98], -v[32:33]
	v_add_f64 v[14:15], v[14:15], v[28:29]
	v_fma_f64 v[28:29], v[10:11], v[97:98], v[30:31]
	v_add_f64 v[12:13], v[12:13], v[38:39]
	ds_read_b128 v[8:11], v56 offset:1664
	s_waitcnt vmcnt(39) lgkmcnt(1)
	v_mul_f64 v[38:39], v[2:3], v[63:64]
	v_mul_f64 v[30:31], v[0:1], v[63:64]
	s_waitcnt vmcnt(37)
	v_fma_f64 v[34:35], v[4:5], v[46:47], -v[34:35]
	v_fma_f64 v[22:23], v[6:7], v[46:47], v[22:23]
	ds_read_b128 v[4:7], v56 offset:1680
	v_add_f64 v[14:15], v[14:15], v[32:33]
	v_add_f64 v[12:13], v[12:13], v[28:29]
	s_waitcnt vmcnt(33) lgkmcnt(1)
	v_mul_f64 v[32:33], v[10:11], v[42:43]
	s_waitcnt vmcnt(32)
	v_fma_f64 v[38:39], v[0:1], v[93:94], -v[38:39]
	v_mul_f64 v[28:29], v[8:9], v[42:43]
	v_fma_f64 v[30:31], v[2:3], v[93:94], v[30:31]
	ds_read_b128 v[0:3], v56 offset:1696
	v_add_f64 v[14:15], v[14:15], v[34:35]
	v_add_f64 v[12:13], v[12:13], v[22:23]
	s_waitcnt vmcnt(31) lgkmcnt(1)
	v_mul_f64 v[34:35], v[6:7], v[89:90]
	v_mul_f64 v[22:23], v[4:5], v[89:90]
	s_waitcnt vmcnt(29)
	v_fma_f64 v[32:33], v[8:9], v[16:17], -v[32:33]
	v_fma_f64 v[16:17], v[10:11], v[16:17], v[28:29]
	ds_read_b128 v[8:11], v56 offset:1712
	v_add_f64 v[14:15], v[14:15], v[38:39]
	v_add_f64 v[12:13], v[12:13], v[30:31]
	s_waitcnt vmcnt(25) lgkmcnt(1)
	v_mul_f64 v[30:31], v[2:3], v[48:49]
	s_waitcnt vmcnt(24)
	v_fma_f64 v[34:35], v[4:5], v[95:96], -v[34:35]
	v_mul_f64 v[28:29], v[0:1], v[48:49]
	v_fma_f64 v[22:23], v[6:7], v[95:96], v[22:23]
	ds_read_b128 v[4:7], v56 offset:1728
	v_add_f64 v[14:15], v[14:15], v[32:33]
	v_add_f64 v[12:13], v[12:13], v[16:17]
	;; [unrolled: 18-line block ×3, first 2 shown]
	s_waitcnt vmcnt(15) lgkmcnt(1)
	v_mul_f64 v[30:31], v[2:3], v[99:100]
	v_mul_f64 v[28:29], v[0:1], v[99:100]
	s_waitcnt vmcnt(13)
	v_fma_f64 v[34:35], v[4:5], v[26:27], -v[34:35]
	v_fma_f64 v[22:23], v[6:7], v[26:27], v[22:23]
	ds_read_b128 v[4:7], v56 offset:1776
	v_add_f64 v[14:15], v[14:15], v[32:33]
	v_add_f64 v[12:13], v[12:13], v[16:17]
	s_waitcnt vmcnt(9) lgkmcnt(1)
	v_mul_f64 v[16:17], v[8:9], v[20:21]
	v_mul_f64 v[20:21], v[10:11], v[20:21]
	s_waitcnt vmcnt(8)
	v_fma_f64 v[0:1], v[0:1], v[109:110], -v[30:31]
	v_fma_f64 v[2:3], v[2:3], v[109:110], v[28:29]
	v_add_f64 v[14:15], v[14:15], v[34:35]
	v_add_f64 v[12:13], v[12:13], v[22:23]
	s_waitcnt vmcnt(7) lgkmcnt(0)
	v_mul_f64 v[26:27], v[6:7], v[107:108]
	v_mul_f64 v[22:23], v[4:5], v[107:108]
	s_waitcnt vmcnt(5)
	v_fma_f64 v[8:9], v[8:9], v[24:25], -v[20:21]
	v_fma_f64 v[10:11], v[10:11], v[24:25], v[16:17]
	v_add_f64 v[0:1], v[14:15], v[0:1]
	v_add_f64 v[2:3], v[12:13], v[2:3]
	s_waitcnt vmcnt(4)
	v_fma_f64 v[4:5], v[4:5], v[113:114], -v[26:27]
	v_fma_f64 v[6:7], v[6:7], v[113:114], v[22:23]
	v_add_f64 v[0:1], v[0:1], v[8:9]
	v_add_f64 v[2:3], v[2:3], v[10:11]
	;; [unrolled: 1-line block ×4, first 2 shown]
	s_waitcnt vmcnt(2)
	v_add_f64 v[0:1], v[18:19], -v[0:1]
	s_waitcnt vmcnt(0)
	v_add_f64 v[2:3], v[36:37], -v[2:3]
	buffer_store_dword v1, off, s[0:3], 0 offset:20
	buffer_store_dword v0, off, s[0:3], 0 offset:16
	;; [unrolled: 1-line block ×4, first 2 shown]
	s_cbranch_vccz .LBB55_460
; %bb.350:
	global_load_dword v0, v56, s[20:21] offset:216
	s_waitcnt vmcnt(0)
	v_add_nc_u32_e32 v0, -1, v0
	v_cmp_ne_u32_e32 vcc_lo, 54, v0
	s_cbranch_vccz .LBB55_352
; %bb.351:
	v_lshlrev_b32_e32 v0, 4, v0
	v_mov_b32_e32 v1, s9
	v_add_nc_u32_e32 v0, 16, v0
	s_clause 0x7
	buffer_load_dword v2, v0, s[0:3], 0 offen
	buffer_load_dword v3, v0, s[0:3], 0 offen offset:4
	buffer_load_dword v4, v0, s[0:3], 0 offen offset:8
	;; [unrolled: 1-line block ×6, first 2 shown]
	buffer_load_dword v9, v1, s[0:3], 0 offen
	s_waitcnt vmcnt(7)
	buffer_store_dword v2, v1, s[0:3], 0 offen
	s_waitcnt vmcnt(6)
	buffer_store_dword v3, v1, s[0:3], 0 offen offset:4
	s_waitcnt vmcnt(5)
	buffer_store_dword v4, v1, s[0:3], 0 offen offset:8
	;; [unrolled: 2-line block ×6, first 2 shown]
	s_waitcnt vmcnt(0)
	buffer_store_dword v9, v0, s[0:3], 0 offen
.LBB55_352:
	v_mov_b32_e32 v0, 0
	global_load_dword v1, v0, s[20:21] offset:212
	s_waitcnt vmcnt(0)
	v_add_nc_u32_e32 v1, -1, v1
	v_cmp_eq_u32_e32 vcc_lo, 53, v1
	s_cbranch_vccnz .LBB55_354
; %bb.353:
	v_lshlrev_b32_e32 v1, 4, v1
	v_mov_b32_e32 v2, s12
	v_add_nc_u32_e32 v1, 16, v1
	s_clause 0x7
	buffer_load_dword v3, v1, s[0:3], 0 offen
	buffer_load_dword v4, v1, s[0:3], 0 offen offset:4
	buffer_load_dword v5, v1, s[0:3], 0 offen offset:8
	;; [unrolled: 1-line block ×6, first 2 shown]
	buffer_load_dword v10, v2, s[0:3], 0 offen
	s_waitcnt vmcnt(7)
	buffer_store_dword v3, v2, s[0:3], 0 offen
	s_waitcnt vmcnt(6)
	buffer_store_dword v4, v2, s[0:3], 0 offen offset:4
	s_waitcnt vmcnt(5)
	buffer_store_dword v5, v2, s[0:3], 0 offen offset:8
	;; [unrolled: 2-line block ×6, first 2 shown]
	s_waitcnt vmcnt(0)
	buffer_store_dword v10, v1, s[0:3], 0 offen
.LBB55_354:
	global_load_dword v0, v0, s[20:21] offset:208
	s_waitcnt vmcnt(0)
	v_add_nc_u32_e32 v0, -1, v0
	v_cmp_eq_u32_e32 vcc_lo, 52, v0
	s_cbranch_vccnz .LBB55_356
; %bb.355:
	v_lshlrev_b32_e32 v0, 4, v0
	v_mov_b32_e32 v1, s13
	v_add_nc_u32_e32 v0, 16, v0
	s_clause 0x7
	buffer_load_dword v2, v0, s[0:3], 0 offen
	buffer_load_dword v3, v0, s[0:3], 0 offen offset:4
	buffer_load_dword v4, v0, s[0:3], 0 offen offset:8
	;; [unrolled: 1-line block ×6, first 2 shown]
	buffer_load_dword v9, v1, s[0:3], 0 offen
	s_waitcnt vmcnt(7)
	buffer_store_dword v2, v1, s[0:3], 0 offen
	s_waitcnt vmcnt(6)
	buffer_store_dword v3, v1, s[0:3], 0 offen offset:4
	s_waitcnt vmcnt(5)
	buffer_store_dword v4, v1, s[0:3], 0 offen offset:8
	;; [unrolled: 2-line block ×6, first 2 shown]
	s_waitcnt vmcnt(0)
	buffer_store_dword v9, v0, s[0:3], 0 offen
.LBB55_356:
	v_mov_b32_e32 v0, 0
	global_load_dword v1, v0, s[20:21] offset:204
	s_waitcnt vmcnt(0)
	v_add_nc_u32_e32 v1, -1, v1
	v_cmp_eq_u32_e32 vcc_lo, 51, v1
	s_cbranch_vccnz .LBB55_358
; %bb.357:
	v_lshlrev_b32_e32 v1, 4, v1
	v_mov_b32_e32 v2, s14
	v_add_nc_u32_e32 v1, 16, v1
	s_clause 0x7
	buffer_load_dword v3, v1, s[0:3], 0 offen
	buffer_load_dword v4, v1, s[0:3], 0 offen offset:4
	buffer_load_dword v5, v1, s[0:3], 0 offen offset:8
	;; [unrolled: 1-line block ×6, first 2 shown]
	buffer_load_dword v10, v2, s[0:3], 0 offen
	s_waitcnt vmcnt(7)
	buffer_store_dword v3, v2, s[0:3], 0 offen
	s_waitcnt vmcnt(6)
	buffer_store_dword v4, v2, s[0:3], 0 offen offset:4
	s_waitcnt vmcnt(5)
	buffer_store_dword v5, v2, s[0:3], 0 offen offset:8
	;; [unrolled: 2-line block ×6, first 2 shown]
	s_waitcnt vmcnt(0)
	buffer_store_dword v10, v1, s[0:3], 0 offen
.LBB55_358:
	global_load_dword v0, v0, s[20:21] offset:200
	s_waitcnt vmcnt(0)
	v_add_nc_u32_e32 v0, -1, v0
	v_cmp_eq_u32_e32 vcc_lo, 50, v0
	s_cbranch_vccnz .LBB55_360
; %bb.359:
	v_lshlrev_b32_e32 v0, 4, v0
	v_mov_b32_e32 v1, s15
	v_add_nc_u32_e32 v0, 16, v0
	s_clause 0x7
	buffer_load_dword v2, v0, s[0:3], 0 offen
	buffer_load_dword v3, v0, s[0:3], 0 offen offset:4
	buffer_load_dword v4, v0, s[0:3], 0 offen offset:8
	;; [unrolled: 1-line block ×6, first 2 shown]
	buffer_load_dword v9, v1, s[0:3], 0 offen
	s_waitcnt vmcnt(7)
	buffer_store_dword v2, v1, s[0:3], 0 offen
	s_waitcnt vmcnt(6)
	buffer_store_dword v3, v1, s[0:3], 0 offen offset:4
	s_waitcnt vmcnt(5)
	buffer_store_dword v4, v1, s[0:3], 0 offen offset:8
	;; [unrolled: 2-line block ×6, first 2 shown]
	s_waitcnt vmcnt(0)
	buffer_store_dword v9, v0, s[0:3], 0 offen
.LBB55_360:
	v_mov_b32_e32 v0, 0
	global_load_dword v1, v0, s[20:21] offset:196
	s_waitcnt vmcnt(0)
	v_add_nc_u32_e32 v1, -1, v1
	v_cmp_eq_u32_e32 vcc_lo, 49, v1
	s_cbranch_vccnz .LBB55_362
; %bb.361:
	v_lshlrev_b32_e32 v1, 4, v1
	v_mov_b32_e32 v2, s16
	v_add_nc_u32_e32 v1, 16, v1
	s_clause 0x7
	buffer_load_dword v3, v1, s[0:3], 0 offen
	buffer_load_dword v4, v1, s[0:3], 0 offen offset:4
	buffer_load_dword v5, v1, s[0:3], 0 offen offset:8
	;; [unrolled: 1-line block ×6, first 2 shown]
	buffer_load_dword v10, v2, s[0:3], 0 offen
	s_waitcnt vmcnt(7)
	buffer_store_dword v3, v2, s[0:3], 0 offen
	s_waitcnt vmcnt(6)
	buffer_store_dword v4, v2, s[0:3], 0 offen offset:4
	s_waitcnt vmcnt(5)
	buffer_store_dword v5, v2, s[0:3], 0 offen offset:8
	;; [unrolled: 2-line block ×6, first 2 shown]
	s_waitcnt vmcnt(0)
	buffer_store_dword v10, v1, s[0:3], 0 offen
.LBB55_362:
	global_load_dword v0, v0, s[20:21] offset:192
	s_waitcnt vmcnt(0)
	v_add_nc_u32_e32 v0, -1, v0
	v_cmp_eq_u32_e32 vcc_lo, 48, v0
	s_cbranch_vccnz .LBB55_364
; %bb.363:
	v_lshlrev_b32_e32 v0, 4, v0
	v_mov_b32_e32 v1, s17
	v_add_nc_u32_e32 v0, 16, v0
	s_clause 0x7
	buffer_load_dword v2, v0, s[0:3], 0 offen
	buffer_load_dword v3, v0, s[0:3], 0 offen offset:4
	buffer_load_dword v4, v0, s[0:3], 0 offen offset:8
	;; [unrolled: 1-line block ×6, first 2 shown]
	buffer_load_dword v9, v1, s[0:3], 0 offen
	s_waitcnt vmcnt(7)
	buffer_store_dword v2, v1, s[0:3], 0 offen
	s_waitcnt vmcnt(6)
	buffer_store_dword v3, v1, s[0:3], 0 offen offset:4
	s_waitcnt vmcnt(5)
	buffer_store_dword v4, v1, s[0:3], 0 offen offset:8
	;; [unrolled: 2-line block ×6, first 2 shown]
	s_waitcnt vmcnt(0)
	buffer_store_dword v9, v0, s[0:3], 0 offen
.LBB55_364:
	v_mov_b32_e32 v0, 0
	global_load_dword v1, v0, s[20:21] offset:188
	s_waitcnt vmcnt(0)
	v_add_nc_u32_e32 v1, -1, v1
	v_cmp_eq_u32_e32 vcc_lo, 47, v1
	s_cbranch_vccnz .LBB55_366
; %bb.365:
	v_lshlrev_b32_e32 v1, 4, v1
	v_mov_b32_e32 v2, s18
	v_add_nc_u32_e32 v1, 16, v1
	s_clause 0x7
	buffer_load_dword v3, v1, s[0:3], 0 offen
	buffer_load_dword v4, v1, s[0:3], 0 offen offset:4
	buffer_load_dword v5, v1, s[0:3], 0 offen offset:8
	;; [unrolled: 1-line block ×6, first 2 shown]
	buffer_load_dword v10, v2, s[0:3], 0 offen
	s_waitcnt vmcnt(7)
	buffer_store_dword v3, v2, s[0:3], 0 offen
	s_waitcnt vmcnt(6)
	buffer_store_dword v4, v2, s[0:3], 0 offen offset:4
	s_waitcnt vmcnt(5)
	buffer_store_dword v5, v2, s[0:3], 0 offen offset:8
	;; [unrolled: 2-line block ×6, first 2 shown]
	s_waitcnt vmcnt(0)
	buffer_store_dword v10, v1, s[0:3], 0 offen
.LBB55_366:
	global_load_dword v0, v0, s[20:21] offset:184
	s_waitcnt vmcnt(0)
	v_add_nc_u32_e32 v0, -1, v0
	v_cmp_eq_u32_e32 vcc_lo, 46, v0
	s_cbranch_vccnz .LBB55_368
; %bb.367:
	v_lshlrev_b32_e32 v0, 4, v0
	v_mov_b32_e32 v1, s19
	v_add_nc_u32_e32 v0, 16, v0
	s_clause 0x7
	buffer_load_dword v2, v0, s[0:3], 0 offen
	buffer_load_dword v3, v0, s[0:3], 0 offen offset:4
	buffer_load_dword v4, v0, s[0:3], 0 offen offset:8
	;; [unrolled: 1-line block ×6, first 2 shown]
	buffer_load_dword v9, v1, s[0:3], 0 offen
	s_waitcnt vmcnt(7)
	buffer_store_dword v2, v1, s[0:3], 0 offen
	s_waitcnt vmcnt(6)
	buffer_store_dword v3, v1, s[0:3], 0 offen offset:4
	s_waitcnt vmcnt(5)
	buffer_store_dword v4, v1, s[0:3], 0 offen offset:8
	;; [unrolled: 2-line block ×6, first 2 shown]
	s_waitcnt vmcnt(0)
	buffer_store_dword v9, v0, s[0:3], 0 offen
.LBB55_368:
	v_mov_b32_e32 v0, 0
	global_load_dword v1, v0, s[20:21] offset:180
	s_waitcnt vmcnt(0)
	v_add_nc_u32_e32 v1, -1, v1
	v_cmp_eq_u32_e32 vcc_lo, 45, v1
	s_cbranch_vccnz .LBB55_370
; %bb.369:
	v_lshlrev_b32_e32 v1, 4, v1
	v_mov_b32_e32 v2, s22
	v_add_nc_u32_e32 v1, 16, v1
	s_clause 0x7
	buffer_load_dword v3, v1, s[0:3], 0 offen
	buffer_load_dword v4, v1, s[0:3], 0 offen offset:4
	buffer_load_dword v5, v1, s[0:3], 0 offen offset:8
	buffer_load_dword v6, v1, s[0:3], 0 offen offset:12
	buffer_load_dword v7, v2, s[0:3], 0 offen offset:12
	buffer_load_dword v8, v2, s[0:3], 0 offen offset:8
	buffer_load_dword v9, v2, s[0:3], 0 offen offset:4
	buffer_load_dword v10, v2, s[0:3], 0 offen
	s_waitcnt vmcnt(7)
	buffer_store_dword v3, v2, s[0:3], 0 offen
	s_waitcnt vmcnt(6)
	buffer_store_dword v4, v2, s[0:3], 0 offen offset:4
	s_waitcnt vmcnt(5)
	buffer_store_dword v5, v2, s[0:3], 0 offen offset:8
	;; [unrolled: 2-line block ×6, first 2 shown]
	s_waitcnt vmcnt(0)
	buffer_store_dword v10, v1, s[0:3], 0 offen
.LBB55_370:
	global_load_dword v0, v0, s[20:21] offset:176
	s_waitcnt vmcnt(0)
	v_add_nc_u32_e32 v0, -1, v0
	v_cmp_eq_u32_e32 vcc_lo, 44, v0
	s_cbranch_vccnz .LBB55_372
; %bb.371:
	v_lshlrev_b32_e32 v0, 4, v0
	v_mov_b32_e32 v1, s23
	v_add_nc_u32_e32 v0, 16, v0
	s_clause 0x7
	buffer_load_dword v2, v0, s[0:3], 0 offen
	buffer_load_dword v3, v0, s[0:3], 0 offen offset:4
	buffer_load_dword v4, v0, s[0:3], 0 offen offset:8
	;; [unrolled: 1-line block ×6, first 2 shown]
	buffer_load_dword v9, v1, s[0:3], 0 offen
	s_waitcnt vmcnt(7)
	buffer_store_dword v2, v1, s[0:3], 0 offen
	s_waitcnt vmcnt(6)
	buffer_store_dword v3, v1, s[0:3], 0 offen offset:4
	s_waitcnt vmcnt(5)
	buffer_store_dword v4, v1, s[0:3], 0 offen offset:8
	;; [unrolled: 2-line block ×6, first 2 shown]
	s_waitcnt vmcnt(0)
	buffer_store_dword v9, v0, s[0:3], 0 offen
.LBB55_372:
	v_mov_b32_e32 v0, 0
	global_load_dword v1, v0, s[20:21] offset:172
	s_waitcnt vmcnt(0)
	v_add_nc_u32_e32 v1, -1, v1
	v_cmp_eq_u32_e32 vcc_lo, 43, v1
	s_cbranch_vccnz .LBB55_374
; %bb.373:
	v_lshlrev_b32_e32 v1, 4, v1
	v_mov_b32_e32 v2, s24
	v_add_nc_u32_e32 v1, 16, v1
	s_clause 0x7
	buffer_load_dword v3, v1, s[0:3], 0 offen
	buffer_load_dword v4, v1, s[0:3], 0 offen offset:4
	buffer_load_dword v5, v1, s[0:3], 0 offen offset:8
	;; [unrolled: 1-line block ×6, first 2 shown]
	buffer_load_dword v10, v2, s[0:3], 0 offen
	s_waitcnt vmcnt(7)
	buffer_store_dword v3, v2, s[0:3], 0 offen
	s_waitcnt vmcnt(6)
	buffer_store_dword v4, v2, s[0:3], 0 offen offset:4
	s_waitcnt vmcnt(5)
	buffer_store_dword v5, v2, s[0:3], 0 offen offset:8
	;; [unrolled: 2-line block ×6, first 2 shown]
	s_waitcnt vmcnt(0)
	buffer_store_dword v10, v1, s[0:3], 0 offen
.LBB55_374:
	global_load_dword v0, v0, s[20:21] offset:168
	s_waitcnt vmcnt(0)
	v_add_nc_u32_e32 v0, -1, v0
	v_cmp_eq_u32_e32 vcc_lo, 42, v0
	s_cbranch_vccnz .LBB55_376
; %bb.375:
	v_lshlrev_b32_e32 v0, 4, v0
	v_mov_b32_e32 v1, s25
	v_add_nc_u32_e32 v0, 16, v0
	s_clause 0x7
	buffer_load_dword v2, v0, s[0:3], 0 offen
	buffer_load_dword v3, v0, s[0:3], 0 offen offset:4
	buffer_load_dword v4, v0, s[0:3], 0 offen offset:8
	;; [unrolled: 1-line block ×6, first 2 shown]
	buffer_load_dword v9, v1, s[0:3], 0 offen
	s_waitcnt vmcnt(7)
	buffer_store_dword v2, v1, s[0:3], 0 offen
	s_waitcnt vmcnt(6)
	buffer_store_dword v3, v1, s[0:3], 0 offen offset:4
	s_waitcnt vmcnt(5)
	buffer_store_dword v4, v1, s[0:3], 0 offen offset:8
	;; [unrolled: 2-line block ×6, first 2 shown]
	s_waitcnt vmcnt(0)
	buffer_store_dword v9, v0, s[0:3], 0 offen
.LBB55_376:
	v_mov_b32_e32 v0, 0
	global_load_dword v1, v0, s[20:21] offset:164
	s_waitcnt vmcnt(0)
	v_add_nc_u32_e32 v1, -1, v1
	v_cmp_eq_u32_e32 vcc_lo, 41, v1
	s_cbranch_vccnz .LBB55_378
; %bb.377:
	v_lshlrev_b32_e32 v1, 4, v1
	v_mov_b32_e32 v2, s26
	v_add_nc_u32_e32 v1, 16, v1
	s_clause 0x7
	buffer_load_dword v3, v1, s[0:3], 0 offen
	buffer_load_dword v4, v1, s[0:3], 0 offen offset:4
	buffer_load_dword v5, v1, s[0:3], 0 offen offset:8
	;; [unrolled: 1-line block ×6, first 2 shown]
	buffer_load_dword v10, v2, s[0:3], 0 offen
	s_waitcnt vmcnt(7)
	buffer_store_dword v3, v2, s[0:3], 0 offen
	s_waitcnt vmcnt(6)
	buffer_store_dword v4, v2, s[0:3], 0 offen offset:4
	s_waitcnt vmcnt(5)
	buffer_store_dword v5, v2, s[0:3], 0 offen offset:8
	;; [unrolled: 2-line block ×6, first 2 shown]
	s_waitcnt vmcnt(0)
	buffer_store_dword v10, v1, s[0:3], 0 offen
.LBB55_378:
	global_load_dword v0, v0, s[20:21] offset:160
	s_waitcnt vmcnt(0)
	v_add_nc_u32_e32 v0, -1, v0
	v_cmp_eq_u32_e32 vcc_lo, 40, v0
	s_cbranch_vccnz .LBB55_380
; %bb.379:
	v_lshlrev_b32_e32 v0, 4, v0
	v_mov_b32_e32 v1, s27
	v_add_nc_u32_e32 v0, 16, v0
	s_clause 0x7
	buffer_load_dword v2, v0, s[0:3], 0 offen
	buffer_load_dword v3, v0, s[0:3], 0 offen offset:4
	buffer_load_dword v4, v0, s[0:3], 0 offen offset:8
	;; [unrolled: 1-line block ×6, first 2 shown]
	buffer_load_dword v9, v1, s[0:3], 0 offen
	s_waitcnt vmcnt(7)
	buffer_store_dword v2, v1, s[0:3], 0 offen
	s_waitcnt vmcnt(6)
	buffer_store_dword v3, v1, s[0:3], 0 offen offset:4
	s_waitcnt vmcnt(5)
	buffer_store_dword v4, v1, s[0:3], 0 offen offset:8
	s_waitcnt vmcnt(4)
	buffer_store_dword v5, v1, s[0:3], 0 offen offset:12
	s_waitcnt vmcnt(3)
	buffer_store_dword v6, v0, s[0:3], 0 offen offset:12
	s_waitcnt vmcnt(2)
	buffer_store_dword v7, v0, s[0:3], 0 offen offset:8
	s_waitcnt vmcnt(1)
	buffer_store_dword v8, v0, s[0:3], 0 offen offset:4
	s_waitcnt vmcnt(0)
	buffer_store_dword v9, v0, s[0:3], 0 offen
.LBB55_380:
	v_mov_b32_e32 v0, 0
	global_load_dword v1, v0, s[20:21] offset:156
	s_waitcnt vmcnt(0)
	v_add_nc_u32_e32 v1, -1, v1
	v_cmp_eq_u32_e32 vcc_lo, 39, v1
	s_cbranch_vccnz .LBB55_382
; %bb.381:
	v_lshlrev_b32_e32 v1, 4, v1
	v_mov_b32_e32 v2, s28
	v_add_nc_u32_e32 v1, 16, v1
	s_clause 0x7
	buffer_load_dword v3, v1, s[0:3], 0 offen
	buffer_load_dword v4, v1, s[0:3], 0 offen offset:4
	buffer_load_dword v5, v1, s[0:3], 0 offen offset:8
	;; [unrolled: 1-line block ×6, first 2 shown]
	buffer_load_dword v10, v2, s[0:3], 0 offen
	s_waitcnt vmcnt(7)
	buffer_store_dword v3, v2, s[0:3], 0 offen
	s_waitcnt vmcnt(6)
	buffer_store_dword v4, v2, s[0:3], 0 offen offset:4
	s_waitcnt vmcnt(5)
	buffer_store_dword v5, v2, s[0:3], 0 offen offset:8
	;; [unrolled: 2-line block ×6, first 2 shown]
	s_waitcnt vmcnt(0)
	buffer_store_dword v10, v1, s[0:3], 0 offen
.LBB55_382:
	global_load_dword v0, v0, s[20:21] offset:152
	s_waitcnt vmcnt(0)
	v_add_nc_u32_e32 v0, -1, v0
	v_cmp_eq_u32_e32 vcc_lo, 38, v0
	s_cbranch_vccnz .LBB55_384
; %bb.383:
	v_lshlrev_b32_e32 v0, 4, v0
	v_mov_b32_e32 v1, s29
	v_add_nc_u32_e32 v0, 16, v0
	s_clause 0x7
	buffer_load_dword v2, v0, s[0:3], 0 offen
	buffer_load_dword v3, v0, s[0:3], 0 offen offset:4
	buffer_load_dword v4, v0, s[0:3], 0 offen offset:8
	buffer_load_dword v5, v0, s[0:3], 0 offen offset:12
	buffer_load_dword v6, v1, s[0:3], 0 offen offset:12
	buffer_load_dword v7, v1, s[0:3], 0 offen offset:8
	buffer_load_dword v8, v1, s[0:3], 0 offen offset:4
	buffer_load_dword v9, v1, s[0:3], 0 offen
	s_waitcnt vmcnt(7)
	buffer_store_dword v2, v1, s[0:3], 0 offen
	s_waitcnt vmcnt(6)
	buffer_store_dword v3, v1, s[0:3], 0 offen offset:4
	s_waitcnt vmcnt(5)
	buffer_store_dword v4, v1, s[0:3], 0 offen offset:8
	;; [unrolled: 2-line block ×6, first 2 shown]
	s_waitcnt vmcnt(0)
	buffer_store_dword v9, v0, s[0:3], 0 offen
.LBB55_384:
	v_mov_b32_e32 v0, 0
	global_load_dword v1, v0, s[20:21] offset:148
	s_waitcnt vmcnt(0)
	v_add_nc_u32_e32 v1, -1, v1
	v_cmp_eq_u32_e32 vcc_lo, 37, v1
	s_cbranch_vccnz .LBB55_386
; %bb.385:
	v_lshlrev_b32_e32 v1, 4, v1
	v_mov_b32_e32 v2, s30
	v_add_nc_u32_e32 v1, 16, v1
	s_clause 0x7
	buffer_load_dword v3, v1, s[0:3], 0 offen
	buffer_load_dword v4, v1, s[0:3], 0 offen offset:4
	buffer_load_dword v5, v1, s[0:3], 0 offen offset:8
	;; [unrolled: 1-line block ×6, first 2 shown]
	buffer_load_dword v10, v2, s[0:3], 0 offen
	s_waitcnt vmcnt(7)
	buffer_store_dword v3, v2, s[0:3], 0 offen
	s_waitcnt vmcnt(6)
	buffer_store_dword v4, v2, s[0:3], 0 offen offset:4
	s_waitcnt vmcnt(5)
	buffer_store_dword v5, v2, s[0:3], 0 offen offset:8
	;; [unrolled: 2-line block ×6, first 2 shown]
	s_waitcnt vmcnt(0)
	buffer_store_dword v10, v1, s[0:3], 0 offen
.LBB55_386:
	global_load_dword v0, v0, s[20:21] offset:144
	s_waitcnt vmcnt(0)
	v_add_nc_u32_e32 v0, -1, v0
	v_cmp_eq_u32_e32 vcc_lo, 36, v0
	s_cbranch_vccnz .LBB55_388
; %bb.387:
	v_lshlrev_b32_e32 v0, 4, v0
	v_mov_b32_e32 v1, s31
	v_add_nc_u32_e32 v0, 16, v0
	s_clause 0x7
	buffer_load_dword v2, v0, s[0:3], 0 offen
	buffer_load_dword v3, v0, s[0:3], 0 offen offset:4
	buffer_load_dword v4, v0, s[0:3], 0 offen offset:8
	;; [unrolled: 1-line block ×6, first 2 shown]
	buffer_load_dword v9, v1, s[0:3], 0 offen
	s_waitcnt vmcnt(7)
	buffer_store_dword v2, v1, s[0:3], 0 offen
	s_waitcnt vmcnt(6)
	buffer_store_dword v3, v1, s[0:3], 0 offen offset:4
	s_waitcnt vmcnt(5)
	buffer_store_dword v4, v1, s[0:3], 0 offen offset:8
	;; [unrolled: 2-line block ×6, first 2 shown]
	s_waitcnt vmcnt(0)
	buffer_store_dword v9, v0, s[0:3], 0 offen
.LBB55_388:
	v_mov_b32_e32 v0, 0
	global_load_dword v1, v0, s[20:21] offset:140
	s_waitcnt vmcnt(0)
	v_add_nc_u32_e32 v1, -1, v1
	v_cmp_eq_u32_e32 vcc_lo, 35, v1
	s_cbranch_vccnz .LBB55_390
; %bb.389:
	v_lshlrev_b32_e32 v1, 4, v1
	v_mov_b32_e32 v2, s33
	v_add_nc_u32_e32 v1, 16, v1
	s_clause 0x7
	buffer_load_dword v3, v1, s[0:3], 0 offen
	buffer_load_dword v4, v1, s[0:3], 0 offen offset:4
	buffer_load_dword v5, v1, s[0:3], 0 offen offset:8
	;; [unrolled: 1-line block ×6, first 2 shown]
	buffer_load_dword v10, v2, s[0:3], 0 offen
	s_waitcnt vmcnt(7)
	buffer_store_dword v3, v2, s[0:3], 0 offen
	s_waitcnt vmcnt(6)
	buffer_store_dword v4, v2, s[0:3], 0 offen offset:4
	s_waitcnt vmcnt(5)
	buffer_store_dword v5, v2, s[0:3], 0 offen offset:8
	;; [unrolled: 2-line block ×6, first 2 shown]
	s_waitcnt vmcnt(0)
	buffer_store_dword v10, v1, s[0:3], 0 offen
.LBB55_390:
	global_load_dword v0, v0, s[20:21] offset:136
	s_waitcnt vmcnt(0)
	v_add_nc_u32_e32 v0, -1, v0
	v_cmp_eq_u32_e32 vcc_lo, 34, v0
	s_cbranch_vccnz .LBB55_392
; %bb.391:
	v_lshlrev_b32_e32 v0, 4, v0
	v_mov_b32_e32 v1, s34
	v_add_nc_u32_e32 v0, 16, v0
	s_clause 0x7
	buffer_load_dword v2, v0, s[0:3], 0 offen
	buffer_load_dword v3, v0, s[0:3], 0 offen offset:4
	buffer_load_dword v4, v0, s[0:3], 0 offen offset:8
	;; [unrolled: 1-line block ×6, first 2 shown]
	buffer_load_dword v9, v1, s[0:3], 0 offen
	s_waitcnt vmcnt(7)
	buffer_store_dword v2, v1, s[0:3], 0 offen
	s_waitcnt vmcnt(6)
	buffer_store_dword v3, v1, s[0:3], 0 offen offset:4
	s_waitcnt vmcnt(5)
	buffer_store_dword v4, v1, s[0:3], 0 offen offset:8
	;; [unrolled: 2-line block ×6, first 2 shown]
	s_waitcnt vmcnt(0)
	buffer_store_dword v9, v0, s[0:3], 0 offen
.LBB55_392:
	v_mov_b32_e32 v0, 0
	global_load_dword v1, v0, s[20:21] offset:132
	s_waitcnt vmcnt(0)
	v_add_nc_u32_e32 v1, -1, v1
	v_cmp_eq_u32_e32 vcc_lo, 33, v1
	s_cbranch_vccnz .LBB55_394
; %bb.393:
	v_lshlrev_b32_e32 v1, 4, v1
	v_mov_b32_e32 v2, s35
	v_add_nc_u32_e32 v1, 16, v1
	s_clause 0x7
	buffer_load_dword v3, v1, s[0:3], 0 offen
	buffer_load_dword v4, v1, s[0:3], 0 offen offset:4
	buffer_load_dword v5, v1, s[0:3], 0 offen offset:8
	;; [unrolled: 1-line block ×6, first 2 shown]
	buffer_load_dword v10, v2, s[0:3], 0 offen
	s_waitcnt vmcnt(7)
	buffer_store_dword v3, v2, s[0:3], 0 offen
	s_waitcnt vmcnt(6)
	buffer_store_dword v4, v2, s[0:3], 0 offen offset:4
	s_waitcnt vmcnt(5)
	buffer_store_dword v5, v2, s[0:3], 0 offen offset:8
	;; [unrolled: 2-line block ×6, first 2 shown]
	s_waitcnt vmcnt(0)
	buffer_store_dword v10, v1, s[0:3], 0 offen
.LBB55_394:
	global_load_dword v0, v0, s[20:21] offset:128
	s_waitcnt vmcnt(0)
	v_add_nc_u32_e32 v0, -1, v0
	v_cmp_eq_u32_e32 vcc_lo, 32, v0
	s_cbranch_vccnz .LBB55_396
; %bb.395:
	v_lshlrev_b32_e32 v0, 4, v0
	v_mov_b32_e32 v1, s36
	v_add_nc_u32_e32 v0, 16, v0
	s_clause 0x7
	buffer_load_dword v2, v0, s[0:3], 0 offen
	buffer_load_dword v3, v0, s[0:3], 0 offen offset:4
	buffer_load_dword v4, v0, s[0:3], 0 offen offset:8
	;; [unrolled: 1-line block ×6, first 2 shown]
	buffer_load_dword v9, v1, s[0:3], 0 offen
	s_waitcnt vmcnt(7)
	buffer_store_dword v2, v1, s[0:3], 0 offen
	s_waitcnt vmcnt(6)
	buffer_store_dword v3, v1, s[0:3], 0 offen offset:4
	s_waitcnt vmcnt(5)
	buffer_store_dword v4, v1, s[0:3], 0 offen offset:8
	;; [unrolled: 2-line block ×6, first 2 shown]
	s_waitcnt vmcnt(0)
	buffer_store_dword v9, v0, s[0:3], 0 offen
.LBB55_396:
	v_mov_b32_e32 v0, 0
	global_load_dword v1, v0, s[20:21] offset:124
	s_waitcnt vmcnt(0)
	v_add_nc_u32_e32 v1, -1, v1
	v_cmp_eq_u32_e32 vcc_lo, 31, v1
	s_cbranch_vccnz .LBB55_398
; %bb.397:
	v_lshlrev_b32_e32 v1, 4, v1
	v_mov_b32_e32 v2, s37
	v_add_nc_u32_e32 v1, 16, v1
	s_clause 0x7
	buffer_load_dword v3, v1, s[0:3], 0 offen
	buffer_load_dword v4, v1, s[0:3], 0 offen offset:4
	buffer_load_dword v5, v1, s[0:3], 0 offen offset:8
	;; [unrolled: 1-line block ×6, first 2 shown]
	buffer_load_dword v10, v2, s[0:3], 0 offen
	s_waitcnt vmcnt(7)
	buffer_store_dword v3, v2, s[0:3], 0 offen
	s_waitcnt vmcnt(6)
	buffer_store_dword v4, v2, s[0:3], 0 offen offset:4
	s_waitcnt vmcnt(5)
	buffer_store_dword v5, v2, s[0:3], 0 offen offset:8
	;; [unrolled: 2-line block ×6, first 2 shown]
	s_waitcnt vmcnt(0)
	buffer_store_dword v10, v1, s[0:3], 0 offen
.LBB55_398:
	global_load_dword v0, v0, s[20:21] offset:120
	s_waitcnt vmcnt(0)
	v_add_nc_u32_e32 v0, -1, v0
	v_cmp_eq_u32_e32 vcc_lo, 30, v0
	s_cbranch_vccnz .LBB55_400
; %bb.399:
	v_lshlrev_b32_e32 v0, 4, v0
	v_mov_b32_e32 v1, s38
	v_add_nc_u32_e32 v0, 16, v0
	s_clause 0x7
	buffer_load_dword v2, v0, s[0:3], 0 offen
	buffer_load_dword v3, v0, s[0:3], 0 offen offset:4
	buffer_load_dword v4, v0, s[0:3], 0 offen offset:8
	;; [unrolled: 1-line block ×6, first 2 shown]
	buffer_load_dword v9, v1, s[0:3], 0 offen
	s_waitcnt vmcnt(7)
	buffer_store_dword v2, v1, s[0:3], 0 offen
	s_waitcnt vmcnt(6)
	buffer_store_dword v3, v1, s[0:3], 0 offen offset:4
	s_waitcnt vmcnt(5)
	buffer_store_dword v4, v1, s[0:3], 0 offen offset:8
	;; [unrolled: 2-line block ×6, first 2 shown]
	s_waitcnt vmcnt(0)
	buffer_store_dword v9, v0, s[0:3], 0 offen
.LBB55_400:
	v_mov_b32_e32 v0, 0
	global_load_dword v1, v0, s[20:21] offset:116
	s_waitcnt vmcnt(0)
	v_add_nc_u32_e32 v1, -1, v1
	v_cmp_eq_u32_e32 vcc_lo, 29, v1
	s_cbranch_vccnz .LBB55_402
; %bb.401:
	v_lshlrev_b32_e32 v1, 4, v1
	v_mov_b32_e32 v2, s39
	v_add_nc_u32_e32 v1, 16, v1
	s_clause 0x7
	buffer_load_dword v3, v1, s[0:3], 0 offen
	buffer_load_dword v4, v1, s[0:3], 0 offen offset:4
	buffer_load_dword v5, v1, s[0:3], 0 offen offset:8
	;; [unrolled: 1-line block ×6, first 2 shown]
	buffer_load_dword v10, v2, s[0:3], 0 offen
	s_waitcnt vmcnt(7)
	buffer_store_dword v3, v2, s[0:3], 0 offen
	s_waitcnt vmcnt(6)
	buffer_store_dword v4, v2, s[0:3], 0 offen offset:4
	s_waitcnt vmcnt(5)
	buffer_store_dword v5, v2, s[0:3], 0 offen offset:8
	;; [unrolled: 2-line block ×6, first 2 shown]
	s_waitcnt vmcnt(0)
	buffer_store_dword v10, v1, s[0:3], 0 offen
.LBB55_402:
	global_load_dword v0, v0, s[20:21] offset:112
	s_waitcnt vmcnt(0)
	v_add_nc_u32_e32 v0, -1, v0
	v_cmp_eq_u32_e32 vcc_lo, 28, v0
	s_cbranch_vccnz .LBB55_404
; %bb.403:
	v_lshlrev_b32_e32 v0, 4, v0
	v_mov_b32_e32 v1, s40
	v_add_nc_u32_e32 v0, 16, v0
	s_clause 0x7
	buffer_load_dword v2, v0, s[0:3], 0 offen
	buffer_load_dword v3, v0, s[0:3], 0 offen offset:4
	buffer_load_dword v4, v0, s[0:3], 0 offen offset:8
	;; [unrolled: 1-line block ×6, first 2 shown]
	buffer_load_dword v9, v1, s[0:3], 0 offen
	s_waitcnt vmcnt(7)
	buffer_store_dword v2, v1, s[0:3], 0 offen
	s_waitcnt vmcnt(6)
	buffer_store_dword v3, v1, s[0:3], 0 offen offset:4
	s_waitcnt vmcnt(5)
	buffer_store_dword v4, v1, s[0:3], 0 offen offset:8
	;; [unrolled: 2-line block ×6, first 2 shown]
	s_waitcnt vmcnt(0)
	buffer_store_dword v9, v0, s[0:3], 0 offen
.LBB55_404:
	v_mov_b32_e32 v0, 0
	global_load_dword v1, v0, s[20:21] offset:108
	s_waitcnt vmcnt(0)
	v_add_nc_u32_e32 v1, -1, v1
	v_cmp_eq_u32_e32 vcc_lo, 27, v1
	s_cbranch_vccnz .LBB55_406
; %bb.405:
	v_lshlrev_b32_e32 v1, 4, v1
	v_mov_b32_e32 v2, s41
	v_add_nc_u32_e32 v1, 16, v1
	s_clause 0x7
	buffer_load_dword v3, v1, s[0:3], 0 offen
	buffer_load_dword v4, v1, s[0:3], 0 offen offset:4
	buffer_load_dword v5, v1, s[0:3], 0 offen offset:8
	;; [unrolled: 1-line block ×6, first 2 shown]
	buffer_load_dword v10, v2, s[0:3], 0 offen
	s_waitcnt vmcnt(7)
	buffer_store_dword v3, v2, s[0:3], 0 offen
	s_waitcnt vmcnt(6)
	buffer_store_dword v4, v2, s[0:3], 0 offen offset:4
	s_waitcnt vmcnt(5)
	buffer_store_dword v5, v2, s[0:3], 0 offen offset:8
	;; [unrolled: 2-line block ×6, first 2 shown]
	s_waitcnt vmcnt(0)
	buffer_store_dword v10, v1, s[0:3], 0 offen
.LBB55_406:
	global_load_dword v0, v0, s[20:21] offset:104
	s_waitcnt vmcnt(0)
	v_add_nc_u32_e32 v0, -1, v0
	v_cmp_eq_u32_e32 vcc_lo, 26, v0
	s_cbranch_vccnz .LBB55_408
; %bb.407:
	v_lshlrev_b32_e32 v0, 4, v0
	v_mov_b32_e32 v1, s42
	v_add_nc_u32_e32 v0, 16, v0
	s_clause 0x7
	buffer_load_dword v2, v0, s[0:3], 0 offen
	buffer_load_dword v3, v0, s[0:3], 0 offen offset:4
	buffer_load_dword v4, v0, s[0:3], 0 offen offset:8
	;; [unrolled: 1-line block ×6, first 2 shown]
	buffer_load_dword v9, v1, s[0:3], 0 offen
	s_waitcnt vmcnt(7)
	buffer_store_dword v2, v1, s[0:3], 0 offen
	s_waitcnt vmcnt(6)
	buffer_store_dword v3, v1, s[0:3], 0 offen offset:4
	s_waitcnt vmcnt(5)
	buffer_store_dword v4, v1, s[0:3], 0 offen offset:8
	;; [unrolled: 2-line block ×6, first 2 shown]
	s_waitcnt vmcnt(0)
	buffer_store_dword v9, v0, s[0:3], 0 offen
.LBB55_408:
	v_mov_b32_e32 v0, 0
	global_load_dword v1, v0, s[20:21] offset:100
	s_waitcnt vmcnt(0)
	v_add_nc_u32_e32 v1, -1, v1
	v_cmp_eq_u32_e32 vcc_lo, 25, v1
	s_cbranch_vccnz .LBB55_410
; %bb.409:
	v_lshlrev_b32_e32 v1, 4, v1
	v_mov_b32_e32 v2, s43
	v_add_nc_u32_e32 v1, 16, v1
	s_clause 0x7
	buffer_load_dword v3, v1, s[0:3], 0 offen
	buffer_load_dword v4, v1, s[0:3], 0 offen offset:4
	buffer_load_dword v5, v1, s[0:3], 0 offen offset:8
	;; [unrolled: 1-line block ×6, first 2 shown]
	buffer_load_dword v10, v2, s[0:3], 0 offen
	s_waitcnt vmcnt(7)
	buffer_store_dword v3, v2, s[0:3], 0 offen
	s_waitcnt vmcnt(6)
	buffer_store_dword v4, v2, s[0:3], 0 offen offset:4
	s_waitcnt vmcnt(5)
	buffer_store_dword v5, v2, s[0:3], 0 offen offset:8
	s_waitcnt vmcnt(4)
	buffer_store_dword v6, v2, s[0:3], 0 offen offset:12
	s_waitcnt vmcnt(3)
	buffer_store_dword v7, v1, s[0:3], 0 offen offset:12
	s_waitcnt vmcnt(2)
	buffer_store_dword v8, v1, s[0:3], 0 offen offset:8
	s_waitcnt vmcnt(1)
	buffer_store_dword v9, v1, s[0:3], 0 offen offset:4
	s_waitcnt vmcnt(0)
	buffer_store_dword v10, v1, s[0:3], 0 offen
.LBB55_410:
	global_load_dword v0, v0, s[20:21] offset:96
	s_waitcnt vmcnt(0)
	v_add_nc_u32_e32 v0, -1, v0
	v_cmp_eq_u32_e32 vcc_lo, 24, v0
	s_cbranch_vccnz .LBB55_412
; %bb.411:
	v_lshlrev_b32_e32 v0, 4, v0
	v_mov_b32_e32 v1, s44
	v_add_nc_u32_e32 v0, 16, v0
	s_clause 0x7
	buffer_load_dword v2, v0, s[0:3], 0 offen
	buffer_load_dword v3, v0, s[0:3], 0 offen offset:4
	buffer_load_dword v4, v0, s[0:3], 0 offen offset:8
	;; [unrolled: 1-line block ×6, first 2 shown]
	buffer_load_dword v9, v1, s[0:3], 0 offen
	s_waitcnt vmcnt(7)
	buffer_store_dword v2, v1, s[0:3], 0 offen
	s_waitcnt vmcnt(6)
	buffer_store_dword v3, v1, s[0:3], 0 offen offset:4
	s_waitcnt vmcnt(5)
	buffer_store_dword v4, v1, s[0:3], 0 offen offset:8
	;; [unrolled: 2-line block ×6, first 2 shown]
	s_waitcnt vmcnt(0)
	buffer_store_dword v9, v0, s[0:3], 0 offen
.LBB55_412:
	v_mov_b32_e32 v0, 0
	global_load_dword v1, v0, s[20:21] offset:92
	s_waitcnt vmcnt(0)
	v_add_nc_u32_e32 v1, -1, v1
	v_cmp_eq_u32_e32 vcc_lo, 23, v1
	s_cbranch_vccnz .LBB55_414
; %bb.413:
	v_lshlrev_b32_e32 v1, 4, v1
	v_mov_b32_e32 v2, s45
	v_add_nc_u32_e32 v1, 16, v1
	s_clause 0x7
	buffer_load_dword v3, v1, s[0:3], 0 offen
	buffer_load_dword v4, v1, s[0:3], 0 offen offset:4
	buffer_load_dword v5, v1, s[0:3], 0 offen offset:8
	;; [unrolled: 1-line block ×6, first 2 shown]
	buffer_load_dword v10, v2, s[0:3], 0 offen
	s_waitcnt vmcnt(7)
	buffer_store_dword v3, v2, s[0:3], 0 offen
	s_waitcnt vmcnt(6)
	buffer_store_dword v4, v2, s[0:3], 0 offen offset:4
	s_waitcnt vmcnt(5)
	buffer_store_dword v5, v2, s[0:3], 0 offen offset:8
	;; [unrolled: 2-line block ×6, first 2 shown]
	s_waitcnt vmcnt(0)
	buffer_store_dword v10, v1, s[0:3], 0 offen
.LBB55_414:
	global_load_dword v0, v0, s[20:21] offset:88
	s_waitcnt vmcnt(0)
	v_add_nc_u32_e32 v0, -1, v0
	v_cmp_eq_u32_e32 vcc_lo, 22, v0
	s_cbranch_vccnz .LBB55_416
; %bb.415:
	v_lshlrev_b32_e32 v0, 4, v0
	v_mov_b32_e32 v1, s46
	v_add_nc_u32_e32 v0, 16, v0
	s_clause 0x7
	buffer_load_dword v2, v0, s[0:3], 0 offen
	buffer_load_dword v3, v0, s[0:3], 0 offen offset:4
	buffer_load_dword v4, v0, s[0:3], 0 offen offset:8
	;; [unrolled: 1-line block ×6, first 2 shown]
	buffer_load_dword v9, v1, s[0:3], 0 offen
	s_waitcnt vmcnt(7)
	buffer_store_dword v2, v1, s[0:3], 0 offen
	s_waitcnt vmcnt(6)
	buffer_store_dword v3, v1, s[0:3], 0 offen offset:4
	s_waitcnt vmcnt(5)
	buffer_store_dword v4, v1, s[0:3], 0 offen offset:8
	;; [unrolled: 2-line block ×6, first 2 shown]
	s_waitcnt vmcnt(0)
	buffer_store_dword v9, v0, s[0:3], 0 offen
.LBB55_416:
	v_mov_b32_e32 v0, 0
	global_load_dword v1, v0, s[20:21] offset:84
	s_waitcnt vmcnt(0)
	v_add_nc_u32_e32 v1, -1, v1
	v_cmp_eq_u32_e32 vcc_lo, 21, v1
	s_cbranch_vccnz .LBB55_418
; %bb.417:
	v_lshlrev_b32_e32 v1, 4, v1
	v_mov_b32_e32 v2, s47
	v_add_nc_u32_e32 v1, 16, v1
	s_clause 0x7
	buffer_load_dword v3, v1, s[0:3], 0 offen
	buffer_load_dword v4, v1, s[0:3], 0 offen offset:4
	buffer_load_dword v5, v1, s[0:3], 0 offen offset:8
	;; [unrolled: 1-line block ×6, first 2 shown]
	buffer_load_dword v10, v2, s[0:3], 0 offen
	s_waitcnt vmcnt(7)
	buffer_store_dword v3, v2, s[0:3], 0 offen
	s_waitcnt vmcnt(6)
	buffer_store_dword v4, v2, s[0:3], 0 offen offset:4
	s_waitcnt vmcnt(5)
	buffer_store_dword v5, v2, s[0:3], 0 offen offset:8
	;; [unrolled: 2-line block ×6, first 2 shown]
	s_waitcnt vmcnt(0)
	buffer_store_dword v10, v1, s[0:3], 0 offen
.LBB55_418:
	global_load_dword v0, v0, s[20:21] offset:80
	s_waitcnt vmcnt(0)
	v_add_nc_u32_e32 v0, -1, v0
	v_cmp_eq_u32_e32 vcc_lo, 20, v0
	s_cbranch_vccnz .LBB55_420
; %bb.419:
	v_lshlrev_b32_e32 v0, 4, v0
	v_mov_b32_e32 v1, s48
	v_add_nc_u32_e32 v0, 16, v0
	s_clause 0x7
	buffer_load_dword v2, v0, s[0:3], 0 offen
	buffer_load_dword v3, v0, s[0:3], 0 offen offset:4
	buffer_load_dword v4, v0, s[0:3], 0 offen offset:8
	;; [unrolled: 1-line block ×6, first 2 shown]
	buffer_load_dword v9, v1, s[0:3], 0 offen
	s_waitcnt vmcnt(7)
	buffer_store_dword v2, v1, s[0:3], 0 offen
	s_waitcnt vmcnt(6)
	buffer_store_dword v3, v1, s[0:3], 0 offen offset:4
	s_waitcnt vmcnt(5)
	buffer_store_dword v4, v1, s[0:3], 0 offen offset:8
	;; [unrolled: 2-line block ×6, first 2 shown]
	s_waitcnt vmcnt(0)
	buffer_store_dword v9, v0, s[0:3], 0 offen
.LBB55_420:
	v_mov_b32_e32 v0, 0
	global_load_dword v1, v0, s[20:21] offset:76
	s_waitcnt vmcnt(0)
	v_add_nc_u32_e32 v1, -1, v1
	v_cmp_eq_u32_e32 vcc_lo, 19, v1
	s_cbranch_vccnz .LBB55_422
; %bb.421:
	v_lshlrev_b32_e32 v1, 4, v1
	v_mov_b32_e32 v2, s49
	v_add_nc_u32_e32 v1, 16, v1
	s_clause 0x7
	buffer_load_dword v3, v1, s[0:3], 0 offen
	buffer_load_dword v4, v1, s[0:3], 0 offen offset:4
	buffer_load_dword v5, v1, s[0:3], 0 offen offset:8
	;; [unrolled: 1-line block ×6, first 2 shown]
	buffer_load_dword v10, v2, s[0:3], 0 offen
	s_waitcnt vmcnt(7)
	buffer_store_dword v3, v2, s[0:3], 0 offen
	s_waitcnt vmcnt(6)
	buffer_store_dword v4, v2, s[0:3], 0 offen offset:4
	s_waitcnt vmcnt(5)
	buffer_store_dword v5, v2, s[0:3], 0 offen offset:8
	;; [unrolled: 2-line block ×6, first 2 shown]
	s_waitcnt vmcnt(0)
	buffer_store_dword v10, v1, s[0:3], 0 offen
.LBB55_422:
	global_load_dword v0, v0, s[20:21] offset:72
	s_waitcnt vmcnt(0)
	v_add_nc_u32_e32 v0, -1, v0
	v_cmp_eq_u32_e32 vcc_lo, 18, v0
	s_cbranch_vccnz .LBB55_424
; %bb.423:
	v_lshlrev_b32_e32 v0, 4, v0
	v_mov_b32_e32 v1, s50
	v_add_nc_u32_e32 v0, 16, v0
	s_clause 0x7
	buffer_load_dword v2, v0, s[0:3], 0 offen
	buffer_load_dword v3, v0, s[0:3], 0 offen offset:4
	buffer_load_dword v4, v0, s[0:3], 0 offen offset:8
	;; [unrolled: 1-line block ×6, first 2 shown]
	buffer_load_dword v9, v1, s[0:3], 0 offen
	s_waitcnt vmcnt(7)
	buffer_store_dword v2, v1, s[0:3], 0 offen
	s_waitcnt vmcnt(6)
	buffer_store_dword v3, v1, s[0:3], 0 offen offset:4
	s_waitcnt vmcnt(5)
	buffer_store_dword v4, v1, s[0:3], 0 offen offset:8
	;; [unrolled: 2-line block ×6, first 2 shown]
	s_waitcnt vmcnt(0)
	buffer_store_dword v9, v0, s[0:3], 0 offen
.LBB55_424:
	v_mov_b32_e32 v0, 0
	global_load_dword v1, v0, s[20:21] offset:68
	s_waitcnt vmcnt(0)
	v_add_nc_u32_e32 v1, -1, v1
	v_cmp_eq_u32_e32 vcc_lo, 17, v1
	s_cbranch_vccnz .LBB55_426
; %bb.425:
	v_lshlrev_b32_e32 v1, 4, v1
	v_mov_b32_e32 v2, s51
	v_add_nc_u32_e32 v1, 16, v1
	s_clause 0x7
	buffer_load_dword v3, v1, s[0:3], 0 offen
	buffer_load_dword v4, v1, s[0:3], 0 offen offset:4
	buffer_load_dword v5, v1, s[0:3], 0 offen offset:8
	;; [unrolled: 1-line block ×6, first 2 shown]
	buffer_load_dword v10, v2, s[0:3], 0 offen
	s_waitcnt vmcnt(7)
	buffer_store_dword v3, v2, s[0:3], 0 offen
	s_waitcnt vmcnt(6)
	buffer_store_dword v4, v2, s[0:3], 0 offen offset:4
	s_waitcnt vmcnt(5)
	buffer_store_dword v5, v2, s[0:3], 0 offen offset:8
	s_waitcnt vmcnt(4)
	buffer_store_dword v6, v2, s[0:3], 0 offen offset:12
	s_waitcnt vmcnt(3)
	buffer_store_dword v7, v1, s[0:3], 0 offen offset:12
	s_waitcnt vmcnt(2)
	buffer_store_dword v8, v1, s[0:3], 0 offen offset:8
	s_waitcnt vmcnt(1)
	buffer_store_dword v9, v1, s[0:3], 0 offen offset:4
	s_waitcnt vmcnt(0)
	buffer_store_dword v10, v1, s[0:3], 0 offen
.LBB55_426:
	global_load_dword v0, v0, s[20:21] offset:64
	s_waitcnt vmcnt(0)
	v_add_nc_u32_e32 v0, -1, v0
	v_cmp_eq_u32_e32 vcc_lo, 16, v0
	s_cbranch_vccnz .LBB55_428
; %bb.427:
	v_lshlrev_b32_e32 v0, 4, v0
	v_mov_b32_e32 v1, s52
	v_add_nc_u32_e32 v0, 16, v0
	s_clause 0x7
	buffer_load_dword v2, v0, s[0:3], 0 offen
	buffer_load_dword v3, v0, s[0:3], 0 offen offset:4
	buffer_load_dword v4, v0, s[0:3], 0 offen offset:8
	;; [unrolled: 1-line block ×6, first 2 shown]
	buffer_load_dword v9, v1, s[0:3], 0 offen
	s_waitcnt vmcnt(7)
	buffer_store_dword v2, v1, s[0:3], 0 offen
	s_waitcnt vmcnt(6)
	buffer_store_dword v3, v1, s[0:3], 0 offen offset:4
	s_waitcnt vmcnt(5)
	buffer_store_dword v4, v1, s[0:3], 0 offen offset:8
	;; [unrolled: 2-line block ×6, first 2 shown]
	s_waitcnt vmcnt(0)
	buffer_store_dword v9, v0, s[0:3], 0 offen
.LBB55_428:
	v_mov_b32_e32 v0, 0
	global_load_dword v1, v0, s[20:21] offset:60
	s_waitcnt vmcnt(0)
	v_add_nc_u32_e32 v1, -1, v1
	v_cmp_eq_u32_e32 vcc_lo, 15, v1
	s_cbranch_vccnz .LBB55_430
; %bb.429:
	v_lshlrev_b32_e32 v1, 4, v1
	v_mov_b32_e32 v2, s53
	v_add_nc_u32_e32 v1, 16, v1
	s_clause 0x7
	buffer_load_dword v3, v1, s[0:3], 0 offen
	buffer_load_dword v4, v1, s[0:3], 0 offen offset:4
	buffer_load_dword v5, v1, s[0:3], 0 offen offset:8
	;; [unrolled: 1-line block ×6, first 2 shown]
	buffer_load_dword v10, v2, s[0:3], 0 offen
	s_waitcnt vmcnt(7)
	buffer_store_dword v3, v2, s[0:3], 0 offen
	s_waitcnt vmcnt(6)
	buffer_store_dword v4, v2, s[0:3], 0 offen offset:4
	s_waitcnt vmcnt(5)
	buffer_store_dword v5, v2, s[0:3], 0 offen offset:8
	;; [unrolled: 2-line block ×6, first 2 shown]
	s_waitcnt vmcnt(0)
	buffer_store_dword v10, v1, s[0:3], 0 offen
.LBB55_430:
	global_load_dword v0, v0, s[20:21] offset:56
	s_waitcnt vmcnt(0)
	v_add_nc_u32_e32 v0, -1, v0
	v_cmp_eq_u32_e32 vcc_lo, 14, v0
	s_cbranch_vccnz .LBB55_432
; %bb.431:
	v_lshlrev_b32_e32 v0, 4, v0
	v_mov_b32_e32 v1, s54
	v_add_nc_u32_e32 v0, 16, v0
	s_clause 0x7
	buffer_load_dword v2, v0, s[0:3], 0 offen
	buffer_load_dword v3, v0, s[0:3], 0 offen offset:4
	buffer_load_dword v4, v0, s[0:3], 0 offen offset:8
	;; [unrolled: 1-line block ×6, first 2 shown]
	buffer_load_dword v9, v1, s[0:3], 0 offen
	s_waitcnt vmcnt(7)
	buffer_store_dword v2, v1, s[0:3], 0 offen
	s_waitcnt vmcnt(6)
	buffer_store_dword v3, v1, s[0:3], 0 offen offset:4
	s_waitcnt vmcnt(5)
	buffer_store_dword v4, v1, s[0:3], 0 offen offset:8
	;; [unrolled: 2-line block ×6, first 2 shown]
	s_waitcnt vmcnt(0)
	buffer_store_dword v9, v0, s[0:3], 0 offen
.LBB55_432:
	v_mov_b32_e32 v0, 0
	global_load_dword v1, v0, s[20:21] offset:52
	s_waitcnt vmcnt(0)
	v_add_nc_u32_e32 v1, -1, v1
	v_cmp_eq_u32_e32 vcc_lo, 13, v1
	s_cbranch_vccnz .LBB55_434
; %bb.433:
	v_lshlrev_b32_e32 v1, 4, v1
	v_mov_b32_e32 v2, s55
	v_add_nc_u32_e32 v1, 16, v1
	s_clause 0x7
	buffer_load_dword v3, v1, s[0:3], 0 offen
	buffer_load_dword v4, v1, s[0:3], 0 offen offset:4
	buffer_load_dword v5, v1, s[0:3], 0 offen offset:8
	;; [unrolled: 1-line block ×6, first 2 shown]
	buffer_load_dword v10, v2, s[0:3], 0 offen
	s_waitcnt vmcnt(7)
	buffer_store_dword v3, v2, s[0:3], 0 offen
	s_waitcnt vmcnt(6)
	buffer_store_dword v4, v2, s[0:3], 0 offen offset:4
	s_waitcnt vmcnt(5)
	buffer_store_dword v5, v2, s[0:3], 0 offen offset:8
	;; [unrolled: 2-line block ×6, first 2 shown]
	s_waitcnt vmcnt(0)
	buffer_store_dword v10, v1, s[0:3], 0 offen
.LBB55_434:
	global_load_dword v0, v0, s[20:21] offset:48
	s_waitcnt vmcnt(0)
	v_add_nc_u32_e32 v0, -1, v0
	v_cmp_eq_u32_e32 vcc_lo, 12, v0
	s_cbranch_vccnz .LBB55_436
; %bb.435:
	v_lshlrev_b32_e32 v0, 4, v0
	v_mov_b32_e32 v1, s56
	v_add_nc_u32_e32 v0, 16, v0
	s_clause 0x7
	buffer_load_dword v2, v0, s[0:3], 0 offen
	buffer_load_dword v3, v0, s[0:3], 0 offen offset:4
	buffer_load_dword v4, v0, s[0:3], 0 offen offset:8
	;; [unrolled: 1-line block ×6, first 2 shown]
	buffer_load_dword v9, v1, s[0:3], 0 offen
	s_waitcnt vmcnt(7)
	buffer_store_dword v2, v1, s[0:3], 0 offen
	s_waitcnt vmcnt(6)
	buffer_store_dword v3, v1, s[0:3], 0 offen offset:4
	s_waitcnt vmcnt(5)
	buffer_store_dword v4, v1, s[0:3], 0 offen offset:8
	s_waitcnt vmcnt(4)
	buffer_store_dword v5, v1, s[0:3], 0 offen offset:12
	s_waitcnt vmcnt(3)
	buffer_store_dword v6, v0, s[0:3], 0 offen offset:12
	s_waitcnt vmcnt(2)
	buffer_store_dword v7, v0, s[0:3], 0 offen offset:8
	s_waitcnt vmcnt(1)
	buffer_store_dword v8, v0, s[0:3], 0 offen offset:4
	s_waitcnt vmcnt(0)
	buffer_store_dword v9, v0, s[0:3], 0 offen
.LBB55_436:
	v_mov_b32_e32 v0, 0
	global_load_dword v1, v0, s[20:21] offset:44
	s_waitcnt vmcnt(0)
	v_add_nc_u32_e32 v1, -1, v1
	v_cmp_eq_u32_e32 vcc_lo, 11, v1
	s_cbranch_vccnz .LBB55_438
; %bb.437:
	v_lshlrev_b32_e32 v1, 4, v1
	v_mov_b32_e32 v2, s57
	v_add_nc_u32_e32 v1, 16, v1
	s_clause 0x7
	buffer_load_dword v3, v1, s[0:3], 0 offen
	buffer_load_dword v4, v1, s[0:3], 0 offen offset:4
	buffer_load_dword v5, v1, s[0:3], 0 offen offset:8
	;; [unrolled: 1-line block ×6, first 2 shown]
	buffer_load_dword v10, v2, s[0:3], 0 offen
	s_waitcnt vmcnt(7)
	buffer_store_dword v3, v2, s[0:3], 0 offen
	s_waitcnt vmcnt(6)
	buffer_store_dword v4, v2, s[0:3], 0 offen offset:4
	s_waitcnt vmcnt(5)
	buffer_store_dword v5, v2, s[0:3], 0 offen offset:8
	;; [unrolled: 2-line block ×6, first 2 shown]
	s_waitcnt vmcnt(0)
	buffer_store_dword v10, v1, s[0:3], 0 offen
.LBB55_438:
	global_load_dword v0, v0, s[20:21] offset:40
	s_waitcnt vmcnt(0)
	v_add_nc_u32_e32 v0, -1, v0
	v_cmp_eq_u32_e32 vcc_lo, 10, v0
	s_cbranch_vccnz .LBB55_440
; %bb.439:
	v_lshlrev_b32_e32 v0, 4, v0
	v_mov_b32_e32 v1, s58
	v_add_nc_u32_e32 v0, 16, v0
	s_clause 0x7
	buffer_load_dword v2, v0, s[0:3], 0 offen
	buffer_load_dword v3, v0, s[0:3], 0 offen offset:4
	buffer_load_dword v4, v0, s[0:3], 0 offen offset:8
	;; [unrolled: 1-line block ×6, first 2 shown]
	buffer_load_dword v9, v1, s[0:3], 0 offen
	s_waitcnt vmcnt(7)
	buffer_store_dword v2, v1, s[0:3], 0 offen
	s_waitcnt vmcnt(6)
	buffer_store_dword v3, v1, s[0:3], 0 offen offset:4
	s_waitcnt vmcnt(5)
	buffer_store_dword v4, v1, s[0:3], 0 offen offset:8
	;; [unrolled: 2-line block ×6, first 2 shown]
	s_waitcnt vmcnt(0)
	buffer_store_dword v9, v0, s[0:3], 0 offen
.LBB55_440:
	v_mov_b32_e32 v0, 0
	global_load_dword v1, v0, s[20:21] offset:36
	s_waitcnt vmcnt(0)
	v_add_nc_u32_e32 v1, -1, v1
	v_cmp_eq_u32_e32 vcc_lo, 9, v1
	s_cbranch_vccnz .LBB55_442
; %bb.441:
	v_lshlrev_b32_e32 v1, 4, v1
	v_mov_b32_e32 v2, s59
	v_add_nc_u32_e32 v1, 16, v1
	s_clause 0x7
	buffer_load_dword v3, v1, s[0:3], 0 offen
	buffer_load_dword v4, v1, s[0:3], 0 offen offset:4
	buffer_load_dword v5, v1, s[0:3], 0 offen offset:8
	;; [unrolled: 1-line block ×6, first 2 shown]
	buffer_load_dword v10, v2, s[0:3], 0 offen
	s_waitcnt vmcnt(7)
	buffer_store_dword v3, v2, s[0:3], 0 offen
	s_waitcnt vmcnt(6)
	buffer_store_dword v4, v2, s[0:3], 0 offen offset:4
	s_waitcnt vmcnt(5)
	buffer_store_dword v5, v2, s[0:3], 0 offen offset:8
	;; [unrolled: 2-line block ×6, first 2 shown]
	s_waitcnt vmcnt(0)
	buffer_store_dword v10, v1, s[0:3], 0 offen
.LBB55_442:
	global_load_dword v0, v0, s[20:21] offset:32
	s_waitcnt vmcnt(0)
	v_add_nc_u32_e32 v0, -1, v0
	v_cmp_eq_u32_e32 vcc_lo, 8, v0
	s_cbranch_vccnz .LBB55_444
; %bb.443:
	v_lshlrev_b32_e32 v0, 4, v0
	v_mov_b32_e32 v1, s60
	v_add_nc_u32_e32 v0, 16, v0
	s_clause 0x7
	buffer_load_dword v2, v0, s[0:3], 0 offen
	buffer_load_dword v3, v0, s[0:3], 0 offen offset:4
	buffer_load_dword v4, v0, s[0:3], 0 offen offset:8
	;; [unrolled: 1-line block ×6, first 2 shown]
	buffer_load_dword v9, v1, s[0:3], 0 offen
	s_waitcnt vmcnt(7)
	buffer_store_dword v2, v1, s[0:3], 0 offen
	s_waitcnt vmcnt(6)
	buffer_store_dword v3, v1, s[0:3], 0 offen offset:4
	s_waitcnt vmcnt(5)
	buffer_store_dword v4, v1, s[0:3], 0 offen offset:8
	;; [unrolled: 2-line block ×6, first 2 shown]
	s_waitcnt vmcnt(0)
	buffer_store_dword v9, v0, s[0:3], 0 offen
.LBB55_444:
	v_mov_b32_e32 v0, 0
	global_load_dword v1, v0, s[20:21] offset:28
	s_waitcnt vmcnt(0)
	v_add_nc_u32_e32 v1, -1, v1
	v_cmp_eq_u32_e32 vcc_lo, 7, v1
	s_cbranch_vccnz .LBB55_446
; %bb.445:
	v_lshlrev_b32_e32 v1, 4, v1
	v_mov_b32_e32 v2, s61
	v_add_nc_u32_e32 v1, 16, v1
	s_clause 0x7
	buffer_load_dword v3, v1, s[0:3], 0 offen
	buffer_load_dword v4, v1, s[0:3], 0 offen offset:4
	buffer_load_dword v5, v1, s[0:3], 0 offen offset:8
	;; [unrolled: 1-line block ×6, first 2 shown]
	buffer_load_dword v10, v2, s[0:3], 0 offen
	s_waitcnt vmcnt(7)
	buffer_store_dword v3, v2, s[0:3], 0 offen
	s_waitcnt vmcnt(6)
	buffer_store_dword v4, v2, s[0:3], 0 offen offset:4
	s_waitcnt vmcnt(5)
	buffer_store_dword v5, v2, s[0:3], 0 offen offset:8
	;; [unrolled: 2-line block ×6, first 2 shown]
	s_waitcnt vmcnt(0)
	buffer_store_dword v10, v1, s[0:3], 0 offen
.LBB55_446:
	global_load_dword v0, v0, s[20:21] offset:24
	s_waitcnt vmcnt(0)
	v_add_nc_u32_e32 v0, -1, v0
	v_cmp_eq_u32_e32 vcc_lo, 6, v0
	s_cbranch_vccnz .LBB55_448
; %bb.447:
	v_lshlrev_b32_e32 v0, 4, v0
	v_mov_b32_e32 v1, s62
	v_add_nc_u32_e32 v0, 16, v0
	s_clause 0x7
	buffer_load_dword v2, v0, s[0:3], 0 offen
	buffer_load_dword v3, v0, s[0:3], 0 offen offset:4
	buffer_load_dword v4, v0, s[0:3], 0 offen offset:8
	;; [unrolled: 1-line block ×6, first 2 shown]
	buffer_load_dword v9, v1, s[0:3], 0 offen
	s_waitcnt vmcnt(7)
	buffer_store_dword v2, v1, s[0:3], 0 offen
	s_waitcnt vmcnt(6)
	buffer_store_dword v3, v1, s[0:3], 0 offen offset:4
	s_waitcnt vmcnt(5)
	buffer_store_dword v4, v1, s[0:3], 0 offen offset:8
	;; [unrolled: 2-line block ×6, first 2 shown]
	s_waitcnt vmcnt(0)
	buffer_store_dword v9, v0, s[0:3], 0 offen
.LBB55_448:
	v_mov_b32_e32 v0, 0
	global_load_dword v1, v0, s[20:21] offset:20
	s_waitcnt vmcnt(0)
	v_add_nc_u32_e32 v1, -1, v1
	v_cmp_eq_u32_e32 vcc_lo, 5, v1
	s_cbranch_vccnz .LBB55_450
; %bb.449:
	v_lshlrev_b32_e32 v1, 4, v1
	v_mov_b32_e32 v2, s63
	v_add_nc_u32_e32 v1, 16, v1
	s_clause 0x7
	buffer_load_dword v3, v1, s[0:3], 0 offen
	buffer_load_dword v4, v1, s[0:3], 0 offen offset:4
	buffer_load_dword v5, v1, s[0:3], 0 offen offset:8
	;; [unrolled: 1-line block ×6, first 2 shown]
	buffer_load_dword v10, v2, s[0:3], 0 offen
	s_waitcnt vmcnt(7)
	buffer_store_dword v3, v2, s[0:3], 0 offen
	s_waitcnt vmcnt(6)
	buffer_store_dword v4, v2, s[0:3], 0 offen offset:4
	s_waitcnt vmcnt(5)
	buffer_store_dword v5, v2, s[0:3], 0 offen offset:8
	;; [unrolled: 2-line block ×6, first 2 shown]
	s_waitcnt vmcnt(0)
	buffer_store_dword v10, v1, s[0:3], 0 offen
.LBB55_450:
	global_load_dword v0, v0, s[20:21] offset:16
	s_waitcnt vmcnt(0)
	v_add_nc_u32_e32 v0, -1, v0
	v_cmp_eq_u32_e32 vcc_lo, 4, v0
	s_cbranch_vccnz .LBB55_452
; %bb.451:
	v_lshlrev_b32_e32 v0, 4, v0
	v_mov_b32_e32 v1, s64
	v_add_nc_u32_e32 v0, 16, v0
	s_clause 0x7
	buffer_load_dword v2, v0, s[0:3], 0 offen
	buffer_load_dword v3, v0, s[0:3], 0 offen offset:4
	buffer_load_dword v4, v0, s[0:3], 0 offen offset:8
	;; [unrolled: 1-line block ×6, first 2 shown]
	buffer_load_dword v9, v1, s[0:3], 0 offen
	s_waitcnt vmcnt(7)
	buffer_store_dword v2, v1, s[0:3], 0 offen
	s_waitcnt vmcnt(6)
	buffer_store_dword v3, v1, s[0:3], 0 offen offset:4
	s_waitcnt vmcnt(5)
	buffer_store_dword v4, v1, s[0:3], 0 offen offset:8
	;; [unrolled: 2-line block ×6, first 2 shown]
	s_waitcnt vmcnt(0)
	buffer_store_dword v9, v0, s[0:3], 0 offen
.LBB55_452:
	v_mov_b32_e32 v0, 0
	global_load_dword v1, v0, s[20:21] offset:12
	s_waitcnt vmcnt(0)
	v_add_nc_u32_e32 v1, -1, v1
	v_cmp_eq_u32_e32 vcc_lo, 3, v1
	s_cbranch_vccnz .LBB55_454
; %bb.453:
	v_lshlrev_b32_e32 v1, 4, v1
	v_mov_b32_e32 v2, s65
	v_add_nc_u32_e32 v1, 16, v1
	s_clause 0x7
	buffer_load_dword v3, v1, s[0:3], 0 offen
	buffer_load_dword v4, v1, s[0:3], 0 offen offset:4
	buffer_load_dword v5, v1, s[0:3], 0 offen offset:8
	buffer_load_dword v6, v1, s[0:3], 0 offen offset:12
	buffer_load_dword v7, v2, s[0:3], 0 offen offset:12
	buffer_load_dword v8, v2, s[0:3], 0 offen offset:8
	buffer_load_dword v9, v2, s[0:3], 0 offen offset:4
	buffer_load_dword v10, v2, s[0:3], 0 offen
	s_waitcnt vmcnt(7)
	buffer_store_dword v3, v2, s[0:3], 0 offen
	s_waitcnt vmcnt(6)
	buffer_store_dword v4, v2, s[0:3], 0 offen offset:4
	s_waitcnt vmcnt(5)
	buffer_store_dword v5, v2, s[0:3], 0 offen offset:8
	;; [unrolled: 2-line block ×6, first 2 shown]
	s_waitcnt vmcnt(0)
	buffer_store_dword v10, v1, s[0:3], 0 offen
.LBB55_454:
	global_load_dword v0, v0, s[20:21] offset:8
	s_waitcnt vmcnt(0)
	v_add_nc_u32_e32 v0, -1, v0
	v_cmp_eq_u32_e32 vcc_lo, 2, v0
	s_cbranch_vccnz .LBB55_456
; %bb.455:
	v_lshlrev_b32_e32 v0, 4, v0
	v_mov_b32_e32 v1, s66
	v_add_nc_u32_e32 v0, 16, v0
	s_clause 0x7
	buffer_load_dword v2, v0, s[0:3], 0 offen
	buffer_load_dword v3, v0, s[0:3], 0 offen offset:4
	buffer_load_dword v4, v0, s[0:3], 0 offen offset:8
	;; [unrolled: 1-line block ×6, first 2 shown]
	buffer_load_dword v9, v1, s[0:3], 0 offen
	s_waitcnt vmcnt(7)
	buffer_store_dword v2, v1, s[0:3], 0 offen
	s_waitcnt vmcnt(6)
	buffer_store_dword v3, v1, s[0:3], 0 offen offset:4
	s_waitcnt vmcnt(5)
	buffer_store_dword v4, v1, s[0:3], 0 offen offset:8
	;; [unrolled: 2-line block ×6, first 2 shown]
	s_waitcnt vmcnt(0)
	buffer_store_dword v9, v0, s[0:3], 0 offen
.LBB55_456:
	v_mov_b32_e32 v0, 0
	global_load_dword v1, v0, s[20:21] offset:4
	s_waitcnt vmcnt(0)
	v_add_nc_u32_e32 v1, -1, v1
	v_cmp_eq_u32_e32 vcc_lo, 1, v1
	s_cbranch_vccnz .LBB55_458
; %bb.457:
	v_lshlrev_b32_e32 v1, 4, v1
	v_mov_b32_e32 v2, s67
	v_add_nc_u32_e32 v1, 16, v1
	s_clause 0x7
	buffer_load_dword v3, v1, s[0:3], 0 offen
	buffer_load_dword v4, v1, s[0:3], 0 offen offset:4
	buffer_load_dword v5, v1, s[0:3], 0 offen offset:8
	;; [unrolled: 1-line block ×6, first 2 shown]
	buffer_load_dword v10, v2, s[0:3], 0 offen
	s_waitcnt vmcnt(7)
	buffer_store_dword v3, v2, s[0:3], 0 offen
	s_waitcnt vmcnt(6)
	buffer_store_dword v4, v2, s[0:3], 0 offen offset:4
	s_waitcnt vmcnt(5)
	buffer_store_dword v5, v2, s[0:3], 0 offen offset:8
	s_waitcnt vmcnt(4)
	buffer_store_dword v6, v2, s[0:3], 0 offen offset:12
	s_waitcnt vmcnt(3)
	buffer_store_dword v7, v1, s[0:3], 0 offen offset:12
	s_waitcnt vmcnt(2)
	buffer_store_dword v8, v1, s[0:3], 0 offen offset:8
	s_waitcnt vmcnt(1)
	buffer_store_dword v9, v1, s[0:3], 0 offen offset:4
	s_waitcnt vmcnt(0)
	buffer_store_dword v10, v1, s[0:3], 0 offen
.LBB55_458:
	global_load_dword v0, v0, s[20:21]
	s_waitcnt vmcnt(0)
	v_add_nc_u32_e32 v0, -1, v0
	v_cmp_eq_u32_e32 vcc_lo, 0, v0
	s_cbranch_vccnz .LBB55_460
; %bb.459:
	v_lshlrev_b32_e32 v0, 4, v0
	v_add_nc_u32_e32 v0, 16, v0
	s_clause 0x7
	buffer_load_dword v1, v0, s[0:3], 0 offen
	buffer_load_dword v2, v0, s[0:3], 0 offen offset:4
	buffer_load_dword v3, v0, s[0:3], 0 offen offset:8
	;; [unrolled: 1-line block ×3, first 2 shown]
	buffer_load_dword v5, off, s[0:3], 0 offset:28
	buffer_load_dword v6, off, s[0:3], 0 offset:24
	;; [unrolled: 1-line block ×4, first 2 shown]
	s_waitcnt vmcnt(7)
	buffer_store_dword v1, off, s[0:3], 0 offset:16
	s_waitcnt vmcnt(6)
	buffer_store_dword v2, off, s[0:3], 0 offset:20
	;; [unrolled: 2-line block ×4, first 2 shown]
	s_waitcnt vmcnt(3)
	buffer_store_dword v5, v0, s[0:3], 0 offen offset:12
	s_waitcnt vmcnt(2)
	buffer_store_dword v6, v0, s[0:3], 0 offen offset:8
	;; [unrolled: 2-line block ×3, first 2 shown]
	s_waitcnt vmcnt(0)
	buffer_store_dword v8, v0, s[0:3], 0 offen
.LBB55_460:
	v_mov_b32_e32 v7, s67
	v_mov_b32_e32 v11, s66
	;; [unrolled: 1-line block ×3, first 2 shown]
	s_clause 0x3
	buffer_load_dword v0, off, s[0:3], 0 offset:16
	buffer_load_dword v1, off, s[0:3], 0 offset:20
	;; [unrolled: 1-line block ×4, first 2 shown]
	v_mov_b32_e32 v15, s55
	s_clause 0xb
	buffer_load_dword v4, v7, s[0:3], 0 offen
	buffer_load_dword v5, v7, s[0:3], 0 offen offset:4
	buffer_load_dword v6, v7, s[0:3], 0 offen offset:8
	buffer_load_dword v7, v7, s[0:3], 0 offen offset:12
	buffer_load_dword v8, v11, s[0:3], 0 offen
	buffer_load_dword v9, v11, s[0:3], 0 offen offset:4
	buffer_load_dword v10, v11, s[0:3], 0 offen offset:8
	buffer_load_dword v11, v11, s[0:3], 0 offen offset:12
	;; [unrolled: 4-line block ×3, first 2 shown]
	v_mov_b32_e32 v12, s64
	v_mov_b32_e32 v56, s54
	s_clause 0x3
	buffer_load_dword v20, v12, s[0:3], 0 offen
	buffer_load_dword v21, v12, s[0:3], 0 offen offset:4
	buffer_load_dword v22, v12, s[0:3], 0 offen offset:8
	buffer_load_dword v23, v12, s[0:3], 0 offen offset:12
	v_mov_b32_e32 v12, s63
	s_clause 0x3
	buffer_load_dword v24, v12, s[0:3], 0 offen
	buffer_load_dword v25, v12, s[0:3], 0 offen offset:4
	buffer_load_dword v26, v12, s[0:3], 0 offen offset:8
	buffer_load_dword v27, v12, s[0:3], 0 offen offset:12
	;; [unrolled: 6-line block ×8, first 2 shown]
	v_mov_b32_e32 v12, s56
	v_mov_b32_e32 v163, s40
	;; [unrolled: 1-line block ×18, first 2 shown]
	s_clause 0x7
	buffer_load_dword v52, v12, s[0:3], 0 offen
	buffer_load_dword v53, v12, s[0:3], 0 offen offset:4
	buffer_load_dword v54, v12, s[0:3], 0 offen offset:8
	;; [unrolled: 1-line block ×3, first 2 shown]
	buffer_load_dword v12, v15, s[0:3], 0 offen
	buffer_load_dword v13, v15, s[0:3], 0 offen offset:4
	buffer_load_dword v14, v15, s[0:3], 0 offen offset:8
	;; [unrolled: 1-line block ×3, first 2 shown]
	v_mov_b32_e32 v164, s39
	v_mov_b32_e32 v235, s31
	s_clause 0x37
	buffer_load_dword v61, v56, s[0:3], 0 offen
	buffer_load_dword v62, v56, s[0:3], 0 offen offset:4
	buffer_load_dword v63, v56, s[0:3], 0 offen offset:8
	buffer_load_dword v64, v56, s[0:3], 0 offen offset:12
	buffer_load_dword v89, v92, s[0:3], 0 offen
	buffer_load_dword v90, v92, s[0:3], 0 offen offset:4
	buffer_load_dword v91, v92, s[0:3], 0 offen offset:8
	buffer_load_dword v92, v92, s[0:3], 0 offen offset:12
	;; [unrolled: 4-line block ×14, first 2 shown]
	v_mov_b32_e32 v230, s37
	v_mov_b32_e32 v237, s29
	;; [unrolled: 1-line block ×22, first 2 shown]
	s_waitcnt vmcnt(62)
	global_store_dwordx4 v[141:142], v[0:3], off
	s_clause 0x7
	buffer_load_dword v0, v163, s[0:3], 0 offen
	buffer_load_dword v1, v163, s[0:3], 0 offen offset:4
	buffer_load_dword v2, v163, s[0:3], 0 offen offset:8
	buffer_load_dword v3, v163, s[0:3], 0 offen offset:12
	buffer_load_dword v225, v164, s[0:3], 0 offen
	buffer_load_dword v226, v164, s[0:3], 0 offen offset:4
	buffer_load_dword v227, v164, s[0:3], 0 offen offset:8
	buffer_load_dword v228, v164, s[0:3], 0 offen offset:12
	global_store_dwordx4 v[143:144], v[4:7], off
	s_clause 0x7
	buffer_load_dword v4, v229, s[0:3], 0 offen
	buffer_load_dword v5, v229, s[0:3], 0 offen offset:4
	buffer_load_dword v6, v229, s[0:3], 0 offen offset:8
	buffer_load_dword v7, v229, s[0:3], 0 offen offset:12
	buffer_load_dword v141, v230, s[0:3], 0 offen
	buffer_load_dword v142, v230, s[0:3], 0 offen offset:4
	buffer_load_dword v143, v230, s[0:3], 0 offen offset:8
	buffer_load_dword v144, v230, s[0:3], 0 offen offset:12
	;; [unrolled: 10-line block ×10, first 2 shown]
	buffer_load_dword v163, off, s[0:3], 0 offset:912
	buffer_load_dword v164, off, s[0:3], 0 offset:916
	s_waitcnt vmcnt(0)
	global_store_dwordx4 v[163:164], v[44:47], off
	s_clause 0x7
	buffer_load_dword v44, v247, s[0:3], 0 offen
	buffer_load_dword v45, v247, s[0:3], 0 offen offset:4
	buffer_load_dword v46, v247, s[0:3], 0 offen offset:8
	buffer_load_dword v47, v247, s[0:3], 0 offen offset:12
	buffer_load_dword v245, v248, s[0:3], 0 offen
	buffer_load_dword v246, v248, s[0:3], 0 offen offset:4
	buffer_load_dword v247, v248, s[0:3], 0 offen offset:8
	buffer_load_dword v248, v248, s[0:3], 0 offen offset:12
	global_store_dwordx4 v[169:170], v[48:51], off
	s_clause 0x7
	buffer_load_dword v48, v249, s[0:3], 0 offen
	buffer_load_dword v49, v249, s[0:3], 0 offen offset:4
	buffer_load_dword v50, v249, s[0:3], 0 offen offset:8
	buffer_load_dword v51, v249, s[0:3], 0 offen offset:12
	buffer_load_dword v249, v252, s[0:3], 0 offen
	buffer_load_dword v250, v252, s[0:3], 0 offen offset:4
	buffer_load_dword v251, v252, s[0:3], 0 offen offset:8
	buffer_load_dword v252, v252, s[0:3], 0 offen offset:12
	;; [unrolled: 10-line block ×4, first 2 shown]
	global_store_dwordx4 v[253:254], v[61:64], off
	global_store_dwordx4 v[171:172], v[89:92], off
	;; [unrolled: 1-line block ×34, first 2 shown]
	s_waitcnt vmcnt(28)
	global_store_dwordx4 v[69:70], v[44:47], off
	s_waitcnt vmcnt(24)
	global_store_dwordx4 v[71:72], v[245:248], off
	;; [unrolled: 2-line block ×8, first 2 shown]
	s_endpgm
	.section	.rodata,"a",@progbits
	.p2align	6, 0x0
	.amdhsa_kernel _ZN9rocsolver6v33100L18getri_kernel_smallILi56E19rocblas_complex_numIdEPS3_EEvT1_iilPiilS6_bb
		.amdhsa_group_segment_fixed_size 1800
		.amdhsa_private_segment_fixed_size 928
		.amdhsa_kernarg_size 60
		.amdhsa_user_sgpr_count 6
		.amdhsa_user_sgpr_private_segment_buffer 1
		.amdhsa_user_sgpr_dispatch_ptr 0
		.amdhsa_user_sgpr_queue_ptr 0
		.amdhsa_user_sgpr_kernarg_segment_ptr 1
		.amdhsa_user_sgpr_dispatch_id 0
		.amdhsa_user_sgpr_flat_scratch_init 0
		.amdhsa_user_sgpr_private_segment_size 0
		.amdhsa_wavefront_size32 1
		.amdhsa_uses_dynamic_stack 0
		.amdhsa_system_sgpr_private_segment_wavefront_offset 1
		.amdhsa_system_sgpr_workgroup_id_x 1
		.amdhsa_system_sgpr_workgroup_id_y 0
		.amdhsa_system_sgpr_workgroup_id_z 0
		.amdhsa_system_sgpr_workgroup_info 0
		.amdhsa_system_vgpr_workitem_id 0
		.amdhsa_next_free_vgpr 256
		.amdhsa_next_free_sgpr 72
		.amdhsa_reserve_vcc 1
		.amdhsa_reserve_flat_scratch 0
		.amdhsa_float_round_mode_32 0
		.amdhsa_float_round_mode_16_64 0
		.amdhsa_float_denorm_mode_32 3
		.amdhsa_float_denorm_mode_16_64 3
		.amdhsa_dx10_clamp 1
		.amdhsa_ieee_mode 1
		.amdhsa_fp16_overflow 0
		.amdhsa_workgroup_processor_mode 1
		.amdhsa_memory_ordered 1
		.amdhsa_forward_progress 1
		.amdhsa_shared_vgpr_count 0
		.amdhsa_exception_fp_ieee_invalid_op 0
		.amdhsa_exception_fp_denorm_src 0
		.amdhsa_exception_fp_ieee_div_zero 0
		.amdhsa_exception_fp_ieee_overflow 0
		.amdhsa_exception_fp_ieee_underflow 0
		.amdhsa_exception_fp_ieee_inexact 0
		.amdhsa_exception_int_div_zero 0
	.end_amdhsa_kernel
	.section	.text._ZN9rocsolver6v33100L18getri_kernel_smallILi56E19rocblas_complex_numIdEPS3_EEvT1_iilPiilS6_bb,"axG",@progbits,_ZN9rocsolver6v33100L18getri_kernel_smallILi56E19rocblas_complex_numIdEPS3_EEvT1_iilPiilS6_bb,comdat
.Lfunc_end55:
	.size	_ZN9rocsolver6v33100L18getri_kernel_smallILi56E19rocblas_complex_numIdEPS3_EEvT1_iilPiilS6_bb, .Lfunc_end55-_ZN9rocsolver6v33100L18getri_kernel_smallILi56E19rocblas_complex_numIdEPS3_EEvT1_iilPiilS6_bb
                                        ; -- End function
	.set _ZN9rocsolver6v33100L18getri_kernel_smallILi56E19rocblas_complex_numIdEPS3_EEvT1_iilPiilS6_bb.num_vgpr, 256
	.set _ZN9rocsolver6v33100L18getri_kernel_smallILi56E19rocblas_complex_numIdEPS3_EEvT1_iilPiilS6_bb.num_agpr, 0
	.set _ZN9rocsolver6v33100L18getri_kernel_smallILi56E19rocblas_complex_numIdEPS3_EEvT1_iilPiilS6_bb.numbered_sgpr, 72
	.set _ZN9rocsolver6v33100L18getri_kernel_smallILi56E19rocblas_complex_numIdEPS3_EEvT1_iilPiilS6_bb.num_named_barrier, 0
	.set _ZN9rocsolver6v33100L18getri_kernel_smallILi56E19rocblas_complex_numIdEPS3_EEvT1_iilPiilS6_bb.private_seg_size, 928
	.set _ZN9rocsolver6v33100L18getri_kernel_smallILi56E19rocblas_complex_numIdEPS3_EEvT1_iilPiilS6_bb.uses_vcc, 1
	.set _ZN9rocsolver6v33100L18getri_kernel_smallILi56E19rocblas_complex_numIdEPS3_EEvT1_iilPiilS6_bb.uses_flat_scratch, 0
	.set _ZN9rocsolver6v33100L18getri_kernel_smallILi56E19rocblas_complex_numIdEPS3_EEvT1_iilPiilS6_bb.has_dyn_sized_stack, 0
	.set _ZN9rocsolver6v33100L18getri_kernel_smallILi56E19rocblas_complex_numIdEPS3_EEvT1_iilPiilS6_bb.has_recursion, 0
	.set _ZN9rocsolver6v33100L18getri_kernel_smallILi56E19rocblas_complex_numIdEPS3_EEvT1_iilPiilS6_bb.has_indirect_call, 0
	.section	.AMDGPU.csdata,"",@progbits
; Kernel info:
; codeLenInByte = 203904
; TotalNumSgprs: 74
; NumVgprs: 256
; ScratchSize: 928
; MemoryBound: 0
; FloatMode: 240
; IeeeMode: 1
; LDSByteSize: 1800 bytes/workgroup (compile time only)
; SGPRBlocks: 0
; VGPRBlocks: 31
; NumSGPRsForWavesPerEU: 74
; NumVGPRsForWavesPerEU: 256
; Occupancy: 4
; WaveLimiterHint : 1
; COMPUTE_PGM_RSRC2:SCRATCH_EN: 1
; COMPUTE_PGM_RSRC2:USER_SGPR: 6
; COMPUTE_PGM_RSRC2:TRAP_HANDLER: 0
; COMPUTE_PGM_RSRC2:TGID_X_EN: 1
; COMPUTE_PGM_RSRC2:TGID_Y_EN: 0
; COMPUTE_PGM_RSRC2:TGID_Z_EN: 0
; COMPUTE_PGM_RSRC2:TIDIG_COMP_CNT: 0
	.section	.text._ZN9rocsolver6v33100L18getri_kernel_smallILi57E19rocblas_complex_numIdEPS3_EEvT1_iilPiilS6_bb,"axG",@progbits,_ZN9rocsolver6v33100L18getri_kernel_smallILi57E19rocblas_complex_numIdEPS3_EEvT1_iilPiilS6_bb,comdat
	.globl	_ZN9rocsolver6v33100L18getri_kernel_smallILi57E19rocblas_complex_numIdEPS3_EEvT1_iilPiilS6_bb ; -- Begin function _ZN9rocsolver6v33100L18getri_kernel_smallILi57E19rocblas_complex_numIdEPS3_EEvT1_iilPiilS6_bb
	.p2align	8
	.type	_ZN9rocsolver6v33100L18getri_kernel_smallILi57E19rocblas_complex_numIdEPS3_EEvT1_iilPiilS6_bb,@function
_ZN9rocsolver6v33100L18getri_kernel_smallILi57E19rocblas_complex_numIdEPS3_EEvT1_iilPiilS6_bb: ; @_ZN9rocsolver6v33100L18getri_kernel_smallILi57E19rocblas_complex_numIdEPS3_EEvT1_iilPiilS6_bb
; %bb.0:
	s_add_u32 s0, s0, s7
	s_addc_u32 s1, s1, 0
	s_mov_b32 s7, exec_lo
	v_cmpx_gt_u32_e32 57, v0
	s_cbranch_execz .LBB56_242
; %bb.1:
	s_clause 0x2
	s_load_dword s7, s[4:5], 0x38
	s_load_dwordx4 s[16:19], s[4:5], 0x10
	s_load_dwordx4 s[8:11], s[4:5], 0x28
                                        ; implicit-def: $sgpr20_sgpr21
	s_waitcnt lgkmcnt(0)
	s_bitcmp1_b32 s7, 8
	s_cselect_b32 s69, -1, 0
	s_bfe_u32 s12, s7, 0x10008
	s_ashr_i32 s7, s6, 31
	s_cmp_eq_u32 s12, 0
	s_cbranch_scc1 .LBB56_3
; %bb.2:
	s_load_dword s12, s[4:5], 0x20
	s_mul_i32 s13, s8, s7
	s_mul_hi_u32 s14, s8, s6
	s_mul_i32 s9, s9, s6
	s_add_i32 s13, s14, s13
	s_mul_i32 s8, s8, s6
	s_add_i32 s9, s13, s9
	s_lshl_b64 s[8:9], s[8:9], 2
	s_waitcnt lgkmcnt(0)
	s_ashr_i32 s13, s12, 31
	s_add_u32 s14, s18, s8
	s_addc_u32 s15, s19, s9
	s_lshl_b64 s[8:9], s[12:13], 2
	s_add_u32 s20, s14, s8
	s_addc_u32 s21, s15, s9
.LBB56_3:
	s_clause 0x1
	s_load_dwordx4 s[12:15], s[4:5], 0x0
	s_load_dword s70, s[4:5], 0x38
	s_mul_i32 s4, s16, s7
	s_mul_hi_u32 s5, s16, s6
	s_mul_i32 s8, s17, s6
	s_add_i32 s5, s5, s4
	s_mul_i32 s4, s16, s6
	s_add_i32 s5, s5, s8
	v_lshlrev_b32_e32 v233, 4, v0
	s_lshl_b64 s[4:5], s[4:5], 4
	s_mov_b32 s68, 32
	s_mov_b32 s67, 48
	s_mov_b32 s66, 64
	s_movk_i32 s65, 0x50
	s_waitcnt lgkmcnt(0)
	v_add3_u32 v5, s15, s15, v0
	s_ashr_i32 s9, s14, 31
	s_mov_b32 s8, s14
	s_add_u32 s12, s12, s4
	s_addc_u32 s13, s13, s5
	s_lshl_b64 s[4:5], s[8:9], 4
	v_ashrrev_i32_e32 v6, 31, v5
	s_add_u32 s4, s12, s4
	s_addc_u32 s5, s13, s5
	v_add_co_u32 v149, s12, s4, v233
	s_mov_b32 s8, s15
	s_ashr_i32 s9, s15, 31
	v_add_nc_u32_e32 v7, s15, v5
	v_lshlrev_b64 v[5:6], 4, v[5:6]
	v_add_co_ci_u32_e64 v150, null, s5, 0, s12
	s_lshl_b64 s[8:9], s[8:9], 4
	global_load_dwordx4 v[1:4], v233, s[4:5]
	v_add_co_u32 v254, vcc_lo, v149, s8
	v_add_co_ci_u32_e64 v255, null, s9, v150, vcc_lo
	v_add_co_u32 v13, vcc_lo, s4, v5
	v_add_co_ci_u32_e64 v14, null, s5, v6, vcc_lo
	global_load_dwordx4 v[73:76], v[254:255], off
	buffer_store_dword v13, off, s[0:3], 0 offset:928 ; 4-byte Folded Spill
	buffer_store_dword v14, off, s[0:3], 0 offset:932 ; 4-byte Folded Spill
	v_add_nc_u32_e32 v9, s15, v7
	v_ashrrev_i32_e32 v8, 31, v7
	v_ashrrev_i32_e32 v10, 31, v9
	v_add_nc_u32_e32 v11, s15, v9
	v_lshlrev_b64 v[7:8], 4, v[7:8]
	v_lshlrev_b64 v[5:6], 4, v[9:10]
	v_ashrrev_i32_e32 v12, 31, v11
	v_add_nc_u32_e32 v9, s15, v11
	v_add_co_u32 v155, vcc_lo, s4, v7
	v_add_co_ci_u32_e64 v156, null, s5, v8, vcc_lo
	v_lshlrev_b64 v[7:8], 4, v[11:12]
	v_ashrrev_i32_e32 v10, 31, v9
	v_add_nc_u32_e32 v11, s15, v9
	v_add_co_u32 v157, vcc_lo, s4, v5
	v_add_co_ci_u32_e64 v158, null, s5, v6, vcc_lo
	;; [unrolled: 5-line block ×16, first 2 shown]
	v_lshlrev_b64 v[5:6], 4, v[9:10]
	v_add_nc_u32_e32 v9, s15, v11
	v_ashrrev_i32_e32 v12, 31, v11
	v_add_co_u32 v187, vcc_lo, s4, v7
	v_add_co_ci_u32_e64 v188, null, s5, v8, vcc_lo
	v_ashrrev_i32_e32 v10, 31, v9
	v_lshlrev_b64 v[7:8], 4, v[11:12]
	v_add_co_u32 v189, vcc_lo, s4, v5
	v_add_co_ci_u32_e64 v190, null, s5, v6, vcc_lo
	v_lshlrev_b64 v[5:6], 4, v[9:10]
	v_add_co_u32 v191, vcc_lo, s4, v7
	v_add_co_ci_u32_e64 v192, null, s5, v8, vcc_lo
	s_clause 0x1
	global_load_dwordx4 v[41:44], v[157:158], off
	global_load_dwordx4 v[45:48], v[159:160], off
	v_add_co_u32 v193, vcc_lo, s4, v5
	v_add_co_ci_u32_e64 v194, null, s5, v6, vcc_lo
	s_clause 0x3
	global_load_dwordx4 v[49:52], v[161:162], off
	global_load_dwordx4 v[53:56], v[163:164], off
	;; [unrolled: 1-line block ×4, first 2 shown]
	v_add_nc_u32_e32 v9, s15, v9
	global_load_dwordx4 v[37:40], v[155:156], off
	v_add_nc_u32_e32 v11, s15, v9
	v_ashrrev_i32_e32 v10, 31, v9
	v_ashrrev_i32_e32 v12, 31, v11
	v_lshlrev_b64 v[9:10], 4, v[9:10]
	v_add_co_u32 v195, vcc_lo, s4, v9
	v_add_co_ci_u32_e64 v196, null, s5, v10, vcc_lo
	s_clause 0xd
	global_load_dwordx4 v[33:36], v[13:14], off
	global_load_dwordx4 v[65:68], v[169:170], off
	;; [unrolled: 1-line block ×14, first 2 shown]
	v_add_nc_u32_e32 v13, s15, v11
	v_lshlrev_b64 v[11:12], 4, v[11:12]
	v_add_nc_u32_e32 v15, s15, v13
	v_ashrrev_i32_e32 v14, 31, v13
	v_add_co_u32 v197, vcc_lo, s4, v11
	v_add_co_ci_u32_e64 v198, null, s5, v12, vcc_lo
	v_add_nc_u32_e32 v19, s15, v15
	v_ashrrev_i32_e32 v16, 31, v15
	v_lshlrev_b64 v[17:18], 4, v[13:14]
	v_add_nc_u32_e32 v23, s15, v19
	v_ashrrev_i32_e32 v20, 31, v19
	v_lshlrev_b64 v[21:22], 4, v[15:16]
	v_add_co_u32 v199, vcc_lo, s4, v17
	v_add_nc_u32_e32 v27, s15, v23
	v_ashrrev_i32_e32 v24, 31, v23
	v_lshlrev_b64 v[25:26], 4, v[19:20]
	v_add_co_ci_u32_e64 v200, null, s5, v18, vcc_lo
	v_add_nc_u32_e32 v31, s15, v27
	v_ashrrev_i32_e32 v28, 31, v27
	v_lshlrev_b64 v[29:30], 4, v[23:24]
	v_add_co_u32 v201, vcc_lo, s4, v21
	v_add_nc_u32_e32 v79, s15, v31
	v_ashrrev_i32_e32 v32, 31, v31
	v_lshlrev_b64 v[77:78], 4, v[27:28]
	v_add_co_ci_u32_e64 v202, null, s5, v22, vcc_lo
	v_add_nc_u32_e32 v91, s15, v79
	v_ashrrev_i32_e32 v80, 31, v79
	v_add_co_u32 v203, vcc_lo, s4, v25
	v_lshlrev_b64 v[89:90], 4, v[31:32]
	v_add_nc_u32_e32 v127, s15, v91
	v_ashrrev_i32_e32 v92, 31, v91
	v_add_co_ci_u32_e64 v204, null, s5, v26, vcc_lo
	v_add_co_u32 v205, vcc_lo, s4, v29
	v_add_nc_u32_e32 v131, s15, v127
	v_ashrrev_i32_e32 v128, 31, v127
	v_lshlrev_b64 v[125:126], 4, v[79:80]
	v_add_co_ci_u32_e64 v206, null, s5, v30, vcc_lo
	v_add_nc_u32_e32 v135, s15, v131
	v_ashrrev_i32_e32 v132, 31, v131
	v_add_co_u32 v207, vcc_lo, s4, v77
	v_lshlrev_b64 v[129:130], 4, v[91:92]
	v_add_nc_u32_e32 v139, s15, v135
	v_ashrrev_i32_e32 v136, 31, v135
	v_add_co_ci_u32_e64 v208, null, s5, v78, vcc_lo
	v_add_co_u32 v209, vcc_lo, s4, v89
	v_add_nc_u32_e32 v143, s15, v139
	v_lshlrev_b64 v[133:134], 4, v[127:128]
	v_ashrrev_i32_e32 v140, 31, v139
	v_add_co_ci_u32_e64 v210, null, s5, v90, vcc_lo
	v_add_nc_u32_e32 v147, s15, v143
	v_add_co_u32 v211, vcc_lo, s4, v125
	v_lshlrev_b64 v[137:138], 4, v[131:132]
	v_ashrrev_i32_e32 v144, 31, v143
	v_add_co_ci_u32_e64 v212, null, s5, v126, vcc_lo
	v_add_co_u32 v213, vcc_lo, s4, v129
	v_lshlrev_b64 v[141:142], 4, v[135:136]
	v_add_co_ci_u32_e64 v214, null, s5, v130, vcc_lo
	v_add_co_u32 v215, vcc_lo, s4, v133
	v_lshlrev_b64 v[145:146], 4, v[139:140]
	v_add_nc_u32_e32 v153, s15, v147
	v_add_co_ci_u32_e64 v216, null, s5, v134, vcc_lo
	v_add_co_u32 v217, vcc_lo, s4, v137
	v_lshlrev_b64 v[151:152], 4, v[143:144]
	v_add_co_ci_u32_e64 v218, null, s5, v138, vcc_lo
	v_add_co_u32 v219, vcc_lo, s4, v141
	v_ashrrev_i32_e32 v148, 31, v147
	v_ashrrev_i32_e32 v154, 31, v153
	v_add_nc_u32_e32 v227, s15, v153
	v_add_co_ci_u32_e64 v220, null, s5, v142, vcc_lo
	v_add_co_u32 v221, vcc_lo, s4, v145
	v_add_co_ci_u32_e64 v222, null, s5, v146, vcc_lo
	v_add_co_u32 v223, vcc_lo, s4, v151
	v_lshlrev_b64 v[225:226], 4, v[147:148]
	v_add_co_ci_u32_e64 v224, null, s5, v152, vcc_lo
	v_lshlrev_b64 v[151:152], 4, v[153:154]
	v_add_nc_u32_e32 v153, s15, v227
	v_ashrrev_i32_e32 v228, 31, v227
	v_add_co_u32 v225, vcc_lo, s4, v225
	v_add_co_ci_u32_e64 v226, null, s5, v226, vcc_lo
	v_ashrrev_i32_e32 v154, 31, v153
	v_add_nc_u32_e32 v231, s15, v153
	v_lshlrev_b64 v[229:230], 4, v[227:228]
	v_add_co_u32 v227, vcc_lo, s4, v151
	v_add_co_ci_u32_e64 v228, null, s5, v152, vcc_lo
	v_lshlrev_b64 v[151:152], 4, v[153:154]
	v_add_nc_u32_e32 v153, s15, v231
	v_ashrrev_i32_e32 v232, 31, v231
	v_add_co_u32 v229, vcc_lo, s4, v229
	v_add_co_ci_u32_e64 v230, null, s5, v230, vcc_lo
	v_ashrrev_i32_e32 v154, 31, v153
	v_add_nc_u32_e32 v248, s15, v153
	v_lshlrev_b64 v[246:247], 4, v[231:232]
	v_add_co_u32 v231, vcc_lo, s4, v151
	v_add_co_ci_u32_e64 v232, null, s5, v152, vcc_lo
	v_lshlrev_b64 v[151:152], 4, v[153:154]
	v_add_nc_u32_e32 v153, s15, v248
	s_clause 0xf
	global_load_dwordx4 v[13:16], v[195:196], off
	global_load_dwordx4 v[9:12], v[197:198], off
	;; [unrolled: 1-line block ×16, first 2 shown]
	s_waitcnt vmcnt(38)
	buffer_store_dword v4, off, s[0:3], 0 offset:28
	buffer_store_dword v3, off, s[0:3], 0 offset:24
	;; [unrolled: 1-line block ×4, first 2 shown]
	s_clause 0x1
	global_load_dwordx4 v[1:4], v[227:228], off
	global_load_dwordx4 v[242:245], v[229:230], off
	s_waitcnt vmcnt(39)
	buffer_store_dword v76, off, s[0:3], 0 offset:44
	buffer_store_dword v75, off, s[0:3], 0 offset:40
	;; [unrolled: 1-line block ×4, first 2 shown]
	v_add_co_u32 v73, vcc_lo, s4, v246
	v_add_co_ci_u32_e64 v74, null, s5, v247, vcc_lo
	v_add_co_u32 v75, vcc_lo, s4, v151
	v_add_nc_u32_e32 v151, s15, v153
	v_ashrrev_i32_e32 v249, 31, v248
	v_ashrrev_i32_e32 v154, 31, v153
	v_add_co_ci_u32_e64 v76, null, s5, v152, vcc_lo
	v_ashrrev_i32_e32 v152, 31, v151
	v_lshlrev_b64 v[246:247], 4, v[248:249]
	s_waitcnt vmcnt(31)
	buffer_store_dword v36, off, s[0:3], 0 offset:60
	buffer_store_dword v35, off, s[0:3], 0 offset:56
	;; [unrolled: 1-line block ×8, first 2 shown]
	s_clause 0x1
	global_load_dwordx4 v[33:36], v[231:232], off
	global_load_dwordx4 v[37:40], v[73:74], off
	buffer_store_dword v44, off, s[0:3], 0 offset:92
	buffer_store_dword v43, off, s[0:3], 0 offset:88
	;; [unrolled: 1-line block ×24, first 2 shown]
	s_waitcnt vmcnt(32)
	buffer_store_dword v65, off, s[0:3], 0 offset:176
	buffer_store_dword v66, off, s[0:3], 0 offset:180
	buffer_store_dword v67, off, s[0:3], 0 offset:184
	buffer_store_dword v68, off, s[0:3], 0 offset:188
	s_waitcnt vmcnt(31)
	buffer_store_dword v69, off, s[0:3], 0 offset:192
	buffer_store_dword v70, off, s[0:3], 0 offset:196
	buffer_store_dword v71, off, s[0:3], 0 offset:200
	buffer_store_dword v72, off, s[0:3], 0 offset:204
	;; [unrolled: 5-line block ×12, first 2 shown]
	s_waitcnt vmcnt(20)
	buffer_store_dword v8, off, s[0:3], 0 offset:380
	v_add_nc_u32_e32 v49, s15, v151
	v_lshlrev_b64 v[51:52], 4, v[153:154]
	v_add_co_u32 v60, vcc_lo, s4, v246
	v_lshlrev_b64 v[53:54], 4, v[151:152]
	v_add_nc_u32_e32 v55, s15, v49
	v_ashrrev_i32_e32 v50, 31, v49
	v_add_co_ci_u32_e64 v61, null, s5, v247, vcc_lo
	v_add_co_u32 v62, vcc_lo, s4, v51
	v_add_nc_u32_e32 v57, s15, v55
	v_ashrrev_i32_e32 v56, 31, v55
	v_lshlrev_b64 v[49:50], 4, v[49:50]
	v_add_co_ci_u32_e64 v63, null, s5, v52, vcc_lo
	v_ashrrev_i32_e32 v58, 31, v57
	v_add_nc_u32_e32 v70, s15, v57
	v_lshlrev_b64 v[51:52], 4, v[55:56]
	v_add_co_u32 v64, vcc_lo, s4, v53
	v_lshlrev_b64 v[57:58], 4, v[57:58]
	v_ashrrev_i32_e32 v71, 31, v70
	v_add_nc_u32_e32 v83, s15, v70
	v_add_co_ci_u32_e64 v65, null, s5, v54, vcc_lo
	v_add_co_u32 v66, vcc_lo, s4, v49
	v_add_co_ci_u32_e64 v67, null, s5, v50, vcc_lo
	v_add_co_u32 v68, vcc_lo, s4, v51
	v_add_co_ci_u32_e64 v69, null, s5, v52, vcc_lo
	v_lshlrev_b64 v[81:82], 4, v[70:71]
	v_add_co_u32 v70, vcc_lo, s4, v57
	v_add_nc_u32_e32 v57, s15, v83
	v_ashrrev_i32_e32 v84, 31, v83
	v_add_co_ci_u32_e64 v71, null, s5, v58, vcc_lo
	v_add_co_u32 v81, vcc_lo, s4, v81
	v_add_nc_u32_e32 v85, s15, v57
	v_ashrrev_i32_e32 v58, 31, v57
	v_lshlrev_b64 v[83:84], 4, v[83:84]
	v_add_co_ci_u32_e64 v82, null, s5, v82, vcc_lo
	v_add_nc_u32_e32 v87, s15, v85
	v_lshlrev_b64 v[57:58], 4, v[57:58]
	v_ashrrev_i32_e32 v86, 31, v85
	v_add_co_u32 v83, vcc_lo, s4, v83
	v_ashrrev_i32_e32 v88, 31, v87
	v_add_nc_u32_e32 v95, s15, v87
	v_add_co_ci_u32_e64 v84, null, s5, v84, vcc_lo
	v_lshlrev_b64 v[93:94], 4, v[85:86]
	v_add_co_u32 v85, vcc_lo, s4, v57
	v_add_co_ci_u32_e64 v86, null, s5, v58, vcc_lo
	v_lshlrev_b64 v[57:58], 4, v[87:88]
	v_add_nc_u32_e32 v97, s15, v95
	v_ashrrev_i32_e32 v96, 31, v95
	v_add_co_u32 v87, vcc_lo, s4, v93
	v_add_co_ci_u32_e64 v88, null, s5, v94, vcc_lo
	v_ashrrev_i32_e32 v98, 31, v97
	v_add_co_u32 v93, vcc_lo, s4, v57
	v_add_co_ci_u32_e64 v94, null, s5, v58, vcc_lo
	v_lshlrev_b64 v[57:58], 4, v[95:96]
	v_lshlrev_b64 v[95:96], 4, v[97:98]
	s_clause 0x7
	global_load_dwordx4 v[41:44], v[75:76], off
	global_load_dwordx4 v[45:48], v[60:61], off
	;; [unrolled: 1-line block ×8, first 2 shown]
	v_add_co_u32 v97, vcc_lo, s4, v57
	v_add_co_ci_u32_e64 v98, null, s5, v58, vcc_lo
	v_add_co_u32 v95, vcc_lo, s4, v95
	v_add_co_ci_u32_e64 v96, null, s5, v96, vcc_lo
	s_clause 0x4
	global_load_dwordx4 v[115:118], v[83:84], off
	global_load_dwordx4 v[119:122], v[85:86], off
	global_load_dwordx4 v[246:249], v[87:88], off
	global_load_dwordx4 v[250:253], v[93:94], off
	global_load_dwordx4 v[151:154], v[97:98], off
	buffer_store_dword v7, off, s[0:3], 0 offset:376
	buffer_store_dword v6, off, s[0:3], 0 offset:372
	;; [unrolled: 1-line block ×3, first 2 shown]
	global_load_dwordx4 v[5:8], v[95:96], off
	s_movk_i32 s4, 0x50
	s_movk_i32 s5, 0x60
	s_add_i32 s64, s4, 16
	s_add_i32 s63, s5, 16
	s_movk_i32 s4, 0x70
	s_movk_i32 s5, 0x80
	s_add_i32 s62, s4, 16
	s_add_i32 s61, s5, 16
	;; [unrolled: 4-line block ×26, first 2 shown]
	s_bitcmp0_b32 s70, 0
	s_mov_b32 s5, -1
	s_waitcnt vmcnt(33)
	buffer_store_dword v16, off, s[0:3], 0 offset:396
	buffer_store_dword v15, off, s[0:3], 0 offset:392
	buffer_store_dword v14, off, s[0:3], 0 offset:388
	buffer_store_dword v13, off, s[0:3], 0 offset:384
	s_waitcnt vmcnt(32)
	buffer_store_dword v12, off, s[0:3], 0 offset:412
	buffer_store_dword v11, off, s[0:3], 0 offset:408
	buffer_store_dword v10, off, s[0:3], 0 offset:404
	buffer_store_dword v9, off, s[0:3], 0 offset:400
	;; [unrolled: 5-line block ×34, first 2 shown]
	s_cbranch_scc1 .LBB56_240
; %bb.4:
	v_cmp_eq_u32_e64 s4, 0, v0
	s_and_saveexec_b32 s5, s4
; %bb.5:
	v_mov_b32_e32 v1, 0
	ds_write_b32 v1, v1 offset:1824
; %bb.6:
	s_or_b32 exec_lo, exec_lo, s5
	v_lshl_add_u32 v11, v0, 4, 16
	s_waitcnt lgkmcnt(0)
	s_waitcnt_vscnt null, 0x0
	s_barrier
	buffer_gl0_inv
	s_clause 0x3
	buffer_load_dword v1, v11, s[0:3], 0 offen
	buffer_load_dword v2, v11, s[0:3], 0 offen offset:4
	buffer_load_dword v3, v11, s[0:3], 0 offen offset:8
	buffer_load_dword v4, v11, s[0:3], 0 offen offset:12
	s_waitcnt vmcnt(2)
	v_cmp_eq_f64_e32 vcc_lo, 0, v[1:2]
	s_waitcnt vmcnt(0)
	v_cmp_eq_f64_e64 s5, 0, v[3:4]
	s_and_b32 s5, vcc_lo, s5
	s_and_saveexec_b32 s70, s5
	s_cbranch_execz .LBB56_10
; %bb.7:
	v_mov_b32_e32 v1, 0
	s_mov_b32 s71, 0
	ds_read_b32 v2, v1 offset:1824
	s_waitcnt lgkmcnt(0)
	v_readfirstlane_b32 s5, v2
	v_add_nc_u32_e32 v2, 1, v0
	s_cmp_eq_u32 s5, 0
	v_cmp_gt_i32_e32 vcc_lo, s5, v2
	s_cselect_b32 s72, -1, 0
	s_or_b32 s72, s72, vcc_lo
	s_and_b32 exec_lo, exec_lo, s72
	s_cbranch_execz .LBB56_10
; %bb.8:
	v_mov_b32_e32 v3, s5
.LBB56_9:                               ; =>This Inner Loop Header: Depth=1
	ds_cmpst_rtn_b32 v3, v1, v3, v2 offset:1824
	s_waitcnt lgkmcnt(0)
	v_cmp_ne_u32_e32 vcc_lo, 0, v3
	v_cmp_le_i32_e64 s5, v3, v2
	s_and_b32 s5, vcc_lo, s5
	s_and_b32 s5, exec_lo, s5
	s_or_b32 s71, s5, s71
	s_andn2_b32 exec_lo, exec_lo, s71
	s_cbranch_execnz .LBB56_9
.LBB56_10:
	s_or_b32 exec_lo, exec_lo, s70
	v_mov_b32_e32 v1, 0
	s_barrier
	buffer_gl0_inv
	ds_read_b32 v2, v1 offset:1824
	s_and_saveexec_b32 s5, s4
	s_cbranch_execz .LBB56_12
; %bb.11:
	s_lshl_b64 s[70:71], s[6:7], 2
	s_add_u32 s70, s10, s70
	s_addc_u32 s71, s11, s71
	s_waitcnt lgkmcnt(0)
	global_store_dword v1, v2, s[70:71]
.LBB56_12:
	s_or_b32 exec_lo, exec_lo, s5
	s_waitcnt lgkmcnt(0)
	v_cmp_ne_u32_e32 vcc_lo, 0, v2
	s_mov_b32 s5, 0
	s_cbranch_vccnz .LBB56_240
; %bb.13:
	s_clause 0x3
	buffer_load_dword v7, v11, s[0:3], 0 offen
	buffer_load_dword v8, v11, s[0:3], 0 offen offset:4
	buffer_load_dword v9, v11, s[0:3], 0 offen offset:8
	;; [unrolled: 1-line block ×3, first 2 shown]
                                        ; implicit-def: $vgpr5_vgpr6
                                        ; implicit-def: $vgpr3_vgpr4
	s_waitcnt vmcnt(0)
	v_cmp_ngt_f64_e64 s5, |v[7:8]|, |v[9:10]|
	s_and_saveexec_b32 s70, s5
	s_xor_b32 s5, exec_lo, s70
	s_cbranch_execz .LBB56_15
; %bb.14:
	v_div_scale_f64 v[1:2], null, v[9:10], v[9:10], v[7:8]
	v_div_scale_f64 v[12:13], vcc_lo, v[7:8], v[9:10], v[7:8]
	v_rcp_f64_e32 v[3:4], v[1:2]
	v_fma_f64 v[5:6], -v[1:2], v[3:4], 1.0
	v_fma_f64 v[3:4], v[3:4], v[5:6], v[3:4]
	v_fma_f64 v[5:6], -v[1:2], v[3:4], 1.0
	v_fma_f64 v[3:4], v[3:4], v[5:6], v[3:4]
	v_mul_f64 v[5:6], v[12:13], v[3:4]
	v_fma_f64 v[1:2], -v[1:2], v[5:6], v[12:13]
	v_div_fmas_f64 v[1:2], v[1:2], v[3:4], v[5:6]
	v_div_fixup_f64 v[1:2], v[1:2], v[9:10], v[7:8]
	v_fma_f64 v[3:4], v[7:8], v[1:2], v[9:10]
	v_div_scale_f64 v[5:6], null, v[3:4], v[3:4], 1.0
	v_div_scale_f64 v[12:13], vcc_lo, 1.0, v[3:4], 1.0
	v_rcp_f64_e32 v[7:8], v[5:6]
	v_fma_f64 v[9:10], -v[5:6], v[7:8], 1.0
	v_fma_f64 v[7:8], v[7:8], v[9:10], v[7:8]
	v_fma_f64 v[9:10], -v[5:6], v[7:8], 1.0
	v_fma_f64 v[7:8], v[7:8], v[9:10], v[7:8]
	v_mul_f64 v[9:10], v[12:13], v[7:8]
	v_fma_f64 v[5:6], -v[5:6], v[9:10], v[12:13]
	v_div_fmas_f64 v[5:6], v[5:6], v[7:8], v[9:10]
                                        ; implicit-def: $vgpr7_vgpr8
                                        ; implicit-def: $vgpr9_vgpr10
	v_div_fixup_f64 v[3:4], v[5:6], v[3:4], 1.0
	v_mul_f64 v[5:6], v[1:2], v[3:4]
	v_xor_b32_e32 v4, 0x80000000, v4
	v_xor_b32_e32 v2, 0x80000000, v6
	v_mov_b32_e32 v1, v5
.LBB56_15:
	s_andn2_saveexec_b32 s5, s5
	s_cbranch_execz .LBB56_17
; %bb.16:
	v_div_scale_f64 v[1:2], null, v[7:8], v[7:8], v[9:10]
	v_div_scale_f64 v[12:13], vcc_lo, v[9:10], v[7:8], v[9:10]
	v_rcp_f64_e32 v[3:4], v[1:2]
	v_fma_f64 v[5:6], -v[1:2], v[3:4], 1.0
	v_fma_f64 v[3:4], v[3:4], v[5:6], v[3:4]
	v_fma_f64 v[5:6], -v[1:2], v[3:4], 1.0
	v_fma_f64 v[3:4], v[3:4], v[5:6], v[3:4]
	v_mul_f64 v[5:6], v[12:13], v[3:4]
	v_fma_f64 v[1:2], -v[1:2], v[5:6], v[12:13]
	v_div_fmas_f64 v[1:2], v[1:2], v[3:4], v[5:6]
	v_div_fixup_f64 v[1:2], v[1:2], v[7:8], v[9:10]
	v_fma_f64 v[3:4], v[9:10], v[1:2], v[7:8]
	v_div_scale_f64 v[5:6], null, v[3:4], v[3:4], 1.0
	v_rcp_f64_e32 v[7:8], v[5:6]
	v_fma_f64 v[9:10], -v[5:6], v[7:8], 1.0
	v_fma_f64 v[7:8], v[7:8], v[9:10], v[7:8]
	v_fma_f64 v[9:10], -v[5:6], v[7:8], 1.0
	v_fma_f64 v[7:8], v[7:8], v[9:10], v[7:8]
	v_div_scale_f64 v[9:10], vcc_lo, 1.0, v[3:4], 1.0
	v_mul_f64 v[12:13], v[9:10], v[7:8]
	v_fma_f64 v[5:6], -v[5:6], v[12:13], v[9:10]
	v_div_fmas_f64 v[5:6], v[5:6], v[7:8], v[12:13]
	v_div_fixup_f64 v[5:6], v[5:6], v[3:4], 1.0
	v_mul_f64 v[3:4], v[1:2], -v[5:6]
	v_xor_b32_e32 v2, 0x80000000, v6
	v_mov_b32_e32 v1, v5
.LBB56_17:
	s_or_b32 exec_lo, exec_lo, s5
	v_mov_b32_e32 v10, s68
	buffer_store_dword v6, v11, s[0:3], 0 offen offset:4
	buffer_store_dword v5, v11, s[0:3], 0 offen
	buffer_store_dword v4, v11, s[0:3], 0 offen offset:12
	buffer_store_dword v3, v11, s[0:3], 0 offen offset:8
	v_xor_b32_e32 v4, 0x80000000, v4
	v_add_nc_u32_e32 v5, 0x390, v233
	s_clause 0x3
	buffer_load_dword v9, v10, s[0:3], 0 offen offset:12
	buffer_load_dword v8, v10, s[0:3], 0 offen offset:8
	;; [unrolled: 1-line block ×3, first 2 shown]
	buffer_load_dword v6, v10, s[0:3], 0 offen
	ds_write_b128 v233, v[1:4]
	s_waitcnt vmcnt(0)
	ds_write_b128 v233, v[6:9] offset:912
	s_waitcnt lgkmcnt(0)
	s_waitcnt_vscnt null, 0x0
	s_barrier
	buffer_gl0_inv
	s_and_saveexec_b32 s5, s4
	s_cbranch_execz .LBB56_19
; %bb.18:
	s_clause 0x3
	buffer_load_dword v12, v11, s[0:3], 0 offen offset:8
	buffer_load_dword v13, v11, s[0:3], 0 offen offset:12
	buffer_load_dword v14, v11, s[0:3], 0 offen
	buffer_load_dword v15, v11, s[0:3], 0 offen offset:4
	ds_read_b128 v[1:4], v5
	v_mov_b32_e32 v6, 0
	ds_read_b128 v[6:9], v6 offset:16
	s_waitcnt vmcnt(2) lgkmcnt(1)
	v_mul_f64 v[16:17], v[1:2], v[12:13]
	v_mul_f64 v[12:13], v[3:4], v[12:13]
	s_waitcnt vmcnt(0)
	v_fma_f64 v[3:4], v[3:4], v[14:15], v[16:17]
	v_fma_f64 v[1:2], v[1:2], v[14:15], -v[12:13]
	v_add_f64 v[3:4], v[3:4], 0
	v_add_f64 v[1:2], v[1:2], 0
	s_waitcnt lgkmcnt(0)
	v_mul_f64 v[12:13], v[3:4], v[8:9]
	v_mul_f64 v[8:9], v[1:2], v[8:9]
	v_fma_f64 v[1:2], v[1:2], v[6:7], -v[12:13]
	v_fma_f64 v[3:4], v[3:4], v[6:7], v[8:9]
	buffer_store_dword v1, off, s[0:3], 0 offset:32
	buffer_store_dword v2, off, s[0:3], 0 offset:36
	;; [unrolled: 1-line block ×4, first 2 shown]
.LBB56_19:
	s_or_b32 exec_lo, exec_lo, s5
	v_mov_b32_e32 v4, s67
	s_waitcnt_vscnt null, 0x0
	s_barrier
	buffer_gl0_inv
	s_mov_b32 s5, exec_lo
	s_clause 0x3
	buffer_load_dword v1, v4, s[0:3], 0 offen
	buffer_load_dword v2, v4, s[0:3], 0 offen offset:4
	buffer_load_dword v3, v4, s[0:3], 0 offen offset:8
	;; [unrolled: 1-line block ×3, first 2 shown]
	s_waitcnt vmcnt(0)
	ds_write_b128 v5, v[1:4]
	s_waitcnt lgkmcnt(0)
	s_barrier
	buffer_gl0_inv
	v_cmpx_gt_u32_e32 2, v0
	s_cbranch_execz .LBB56_23
; %bb.20:
	s_clause 0x3
	buffer_load_dword v6, v11, s[0:3], 0 offen offset:8
	buffer_load_dword v7, v11, s[0:3], 0 offen offset:12
	buffer_load_dword v8, v11, s[0:3], 0 offen
	buffer_load_dword v9, v11, s[0:3], 0 offen offset:4
	ds_read_b128 v[1:4], v5
	s_waitcnt vmcnt(2) lgkmcnt(0)
	v_mul_f64 v[10:11], v[3:4], v[6:7]
	v_mul_f64 v[6:7], v[1:2], v[6:7]
	s_waitcnt vmcnt(0)
	v_fma_f64 v[1:2], v[1:2], v[8:9], -v[10:11]
	v_fma_f64 v[3:4], v[3:4], v[8:9], v[6:7]
	v_add_f64 v[1:2], v[1:2], 0
	v_add_f64 v[3:4], v[3:4], 0
	s_and_saveexec_b32 s70, s4
	s_cbranch_execz .LBB56_22
; %bb.21:
	s_clause 0x3
	buffer_load_dword v10, off, s[0:3], 0 offset:40
	buffer_load_dword v11, off, s[0:3], 0 offset:44
	;; [unrolled: 1-line block ×4, first 2 shown]
	v_mov_b32_e32 v6, 0
	ds_read_b128 v[6:9], v6 offset:928
	s_waitcnt vmcnt(2) lgkmcnt(0)
	v_mul_f64 v[14:15], v[6:7], v[10:11]
	v_mul_f64 v[10:11], v[8:9], v[10:11]
	s_waitcnt vmcnt(0)
	v_fma_f64 v[8:9], v[8:9], v[12:13], v[14:15]
	v_fma_f64 v[6:7], v[6:7], v[12:13], -v[10:11]
	v_add_f64 v[3:4], v[3:4], v[8:9]
	v_add_f64 v[1:2], v[1:2], v[6:7]
.LBB56_22:
	s_or_b32 exec_lo, exec_lo, s70
	v_mov_b32_e32 v6, 0
	ds_read_b128 v[6:9], v6 offset:32
	s_waitcnt lgkmcnt(0)
	v_mul_f64 v[10:11], v[3:4], v[8:9]
	v_mul_f64 v[8:9], v[1:2], v[8:9]
	v_fma_f64 v[1:2], v[1:2], v[6:7], -v[10:11]
	v_fma_f64 v[3:4], v[3:4], v[6:7], v[8:9]
	buffer_store_dword v2, off, s[0:3], 0 offset:52
	buffer_store_dword v1, off, s[0:3], 0 offset:48
	;; [unrolled: 1-line block ×4, first 2 shown]
.LBB56_23:
	s_or_b32 exec_lo, exec_lo, s5
	v_mov_b32_e32 v4, s66
	s_waitcnt_vscnt null, 0x0
	s_barrier
	buffer_gl0_inv
	v_add_nc_u32_e32 v6, -1, v0
	s_clause 0x3
	buffer_load_dword v1, v4, s[0:3], 0 offen
	buffer_load_dword v2, v4, s[0:3], 0 offen offset:4
	buffer_load_dword v3, v4, s[0:3], 0 offen offset:8
	;; [unrolled: 1-line block ×3, first 2 shown]
	s_mov_b32 s4, exec_lo
	s_waitcnt vmcnt(0)
	ds_write_b128 v5, v[1:4]
	s_waitcnt lgkmcnt(0)
	s_barrier
	buffer_gl0_inv
	v_cmpx_gt_u32_e32 3, v0
	s_cbranch_execz .LBB56_27
; %bb.24:
	v_mov_b32_e32 v1, 0
	v_mov_b32_e32 v3, 0
	v_add_nc_u32_e32 v7, -1, v0
	v_add_nc_u32_e32 v8, 0x390, v233
	v_mov_b32_e32 v2, 0
	v_mov_b32_e32 v4, 0
	v_add_nc_u32_e32 v9, 16, v233
	s_mov_b32 s5, 0
	.p2align	6
.LBB56_25:                              ; =>This Inner Loop Header: Depth=1
	s_clause 0x3
	buffer_load_dword v14, v9, s[0:3], 0 offen offset:8
	buffer_load_dword v15, v9, s[0:3], 0 offen offset:12
	buffer_load_dword v16, v9, s[0:3], 0 offen
	buffer_load_dword v17, v9, s[0:3], 0 offen offset:4
	ds_read_b128 v[10:13], v8
	v_add_nc_u32_e32 v7, 1, v7
	v_add_nc_u32_e32 v8, 16, v8
	v_add_nc_u32_e32 v9, 16, v9
	v_cmp_lt_u32_e32 vcc_lo, 1, v7
	s_or_b32 s5, vcc_lo, s5
	s_waitcnt vmcnt(2) lgkmcnt(0)
	v_mul_f64 v[18:19], v[12:13], v[14:15]
	v_mul_f64 v[14:15], v[10:11], v[14:15]
	s_waitcnt vmcnt(0)
	v_fma_f64 v[10:11], v[10:11], v[16:17], -v[18:19]
	v_fma_f64 v[12:13], v[12:13], v[16:17], v[14:15]
	v_add_f64 v[3:4], v[3:4], v[10:11]
	v_add_f64 v[1:2], v[1:2], v[12:13]
	s_andn2_b32 exec_lo, exec_lo, s5
	s_cbranch_execnz .LBB56_25
; %bb.26:
	s_or_b32 exec_lo, exec_lo, s5
	v_mov_b32_e32 v7, 0
	ds_read_b128 v[7:10], v7 offset:48
	s_waitcnt lgkmcnt(0)
	v_mul_f64 v[11:12], v[1:2], v[9:10]
	v_mul_f64 v[9:10], v[3:4], v[9:10]
	v_fma_f64 v[3:4], v[3:4], v[7:8], -v[11:12]
	v_fma_f64 v[1:2], v[1:2], v[7:8], v[9:10]
	buffer_store_dword v4, off, s[0:3], 0 offset:68
	buffer_store_dword v3, off, s[0:3], 0 offset:64
	;; [unrolled: 1-line block ×4, first 2 shown]
.LBB56_27:
	s_or_b32 exec_lo, exec_lo, s4
	v_mov_b32_e32 v4, s65
	s_waitcnt_vscnt null, 0x0
	s_barrier
	buffer_gl0_inv
	s_mov_b32 s4, exec_lo
	s_clause 0x3
	buffer_load_dword v1, v4, s[0:3], 0 offen
	buffer_load_dword v2, v4, s[0:3], 0 offen offset:4
	buffer_load_dword v3, v4, s[0:3], 0 offen offset:8
	;; [unrolled: 1-line block ×3, first 2 shown]
	s_waitcnt vmcnt(0)
	ds_write_b128 v5, v[1:4]
	s_waitcnt lgkmcnt(0)
	s_barrier
	buffer_gl0_inv
	v_cmpx_gt_u32_e32 4, v0
	s_cbranch_execz .LBB56_31
; %bb.28:
	v_mov_b32_e32 v1, 0
	v_mov_b32_e32 v3, 0
	v_add_nc_u32_e32 v7, -1, v0
	v_add_nc_u32_e32 v8, 0x390, v233
	v_mov_b32_e32 v2, 0
	v_mov_b32_e32 v4, 0
	v_add_nc_u32_e32 v9, 16, v233
	s_mov_b32 s5, 0
	.p2align	6
.LBB56_29:                              ; =>This Inner Loop Header: Depth=1
	s_clause 0x3
	buffer_load_dword v14, v9, s[0:3], 0 offen offset:8
	buffer_load_dword v15, v9, s[0:3], 0 offen offset:12
	buffer_load_dword v16, v9, s[0:3], 0 offen
	buffer_load_dword v17, v9, s[0:3], 0 offen offset:4
	ds_read_b128 v[10:13], v8
	v_add_nc_u32_e32 v7, 1, v7
	v_add_nc_u32_e32 v8, 16, v8
	;; [unrolled: 1-line block ×3, first 2 shown]
	v_cmp_lt_u32_e32 vcc_lo, 2, v7
	s_or_b32 s5, vcc_lo, s5
	s_waitcnt vmcnt(2) lgkmcnt(0)
	v_mul_f64 v[18:19], v[12:13], v[14:15]
	v_mul_f64 v[14:15], v[10:11], v[14:15]
	s_waitcnt vmcnt(0)
	v_fma_f64 v[10:11], v[10:11], v[16:17], -v[18:19]
	v_fma_f64 v[12:13], v[12:13], v[16:17], v[14:15]
	v_add_f64 v[3:4], v[3:4], v[10:11]
	v_add_f64 v[1:2], v[1:2], v[12:13]
	s_andn2_b32 exec_lo, exec_lo, s5
	s_cbranch_execnz .LBB56_29
; %bb.30:
	s_or_b32 exec_lo, exec_lo, s5
	v_mov_b32_e32 v7, 0
	ds_read_b128 v[7:10], v7 offset:64
	s_waitcnt lgkmcnt(0)
	v_mul_f64 v[11:12], v[1:2], v[9:10]
	v_mul_f64 v[9:10], v[3:4], v[9:10]
	v_fma_f64 v[3:4], v[3:4], v[7:8], -v[11:12]
	v_fma_f64 v[1:2], v[1:2], v[7:8], v[9:10]
	buffer_store_dword v4, off, s[0:3], 0 offset:84
	buffer_store_dword v3, off, s[0:3], 0 offset:80
	;; [unrolled: 1-line block ×4, first 2 shown]
.LBB56_31:
	s_or_b32 exec_lo, exec_lo, s4
	v_mov_b32_e32 v4, s64
	s_waitcnt_vscnt null, 0x0
	s_barrier
	buffer_gl0_inv
	s_mov_b32 s4, exec_lo
	s_clause 0x3
	buffer_load_dword v1, v4, s[0:3], 0 offen
	buffer_load_dword v2, v4, s[0:3], 0 offen offset:4
	buffer_load_dword v3, v4, s[0:3], 0 offen offset:8
	;; [unrolled: 1-line block ×3, first 2 shown]
	s_waitcnt vmcnt(0)
	ds_write_b128 v5, v[1:4]
	s_waitcnt lgkmcnt(0)
	s_barrier
	buffer_gl0_inv
	v_cmpx_gt_u32_e32 5, v0
	s_cbranch_execz .LBB56_35
; %bb.32:
	v_mov_b32_e32 v1, 0
	v_mov_b32_e32 v3, 0
	v_add_nc_u32_e32 v7, -1, v0
	v_add_nc_u32_e32 v8, 0x390, v233
	v_mov_b32_e32 v2, 0
	v_mov_b32_e32 v4, 0
	v_add_nc_u32_e32 v9, 16, v233
	s_mov_b32 s5, 0
	.p2align	6
.LBB56_33:                              ; =>This Inner Loop Header: Depth=1
	s_clause 0x3
	buffer_load_dword v14, v9, s[0:3], 0 offen offset:8
	buffer_load_dword v15, v9, s[0:3], 0 offen offset:12
	buffer_load_dword v16, v9, s[0:3], 0 offen
	buffer_load_dword v17, v9, s[0:3], 0 offen offset:4
	ds_read_b128 v[10:13], v8
	v_add_nc_u32_e32 v7, 1, v7
	v_add_nc_u32_e32 v8, 16, v8
	;; [unrolled: 1-line block ×3, first 2 shown]
	v_cmp_lt_u32_e32 vcc_lo, 3, v7
	s_or_b32 s5, vcc_lo, s5
	s_waitcnt vmcnt(2) lgkmcnt(0)
	v_mul_f64 v[18:19], v[12:13], v[14:15]
	v_mul_f64 v[14:15], v[10:11], v[14:15]
	s_waitcnt vmcnt(0)
	v_fma_f64 v[10:11], v[10:11], v[16:17], -v[18:19]
	v_fma_f64 v[12:13], v[12:13], v[16:17], v[14:15]
	v_add_f64 v[3:4], v[3:4], v[10:11]
	v_add_f64 v[1:2], v[1:2], v[12:13]
	s_andn2_b32 exec_lo, exec_lo, s5
	s_cbranch_execnz .LBB56_33
; %bb.34:
	s_or_b32 exec_lo, exec_lo, s5
	v_mov_b32_e32 v7, 0
	ds_read_b128 v[7:10], v7 offset:80
	s_waitcnt lgkmcnt(0)
	v_mul_f64 v[11:12], v[1:2], v[9:10]
	v_mul_f64 v[9:10], v[3:4], v[9:10]
	v_fma_f64 v[3:4], v[3:4], v[7:8], -v[11:12]
	v_fma_f64 v[1:2], v[1:2], v[7:8], v[9:10]
	buffer_store_dword v4, off, s[0:3], 0 offset:100
	buffer_store_dword v3, off, s[0:3], 0 offset:96
	;; [unrolled: 1-line block ×4, first 2 shown]
.LBB56_35:
	s_or_b32 exec_lo, exec_lo, s4
	v_mov_b32_e32 v4, s63
	s_waitcnt_vscnt null, 0x0
	s_barrier
	buffer_gl0_inv
	s_mov_b32 s4, exec_lo
	s_clause 0x3
	buffer_load_dword v1, v4, s[0:3], 0 offen
	buffer_load_dword v2, v4, s[0:3], 0 offen offset:4
	buffer_load_dword v3, v4, s[0:3], 0 offen offset:8
	;; [unrolled: 1-line block ×3, first 2 shown]
	s_waitcnt vmcnt(0)
	ds_write_b128 v5, v[1:4]
	s_waitcnt lgkmcnt(0)
	s_barrier
	buffer_gl0_inv
	v_cmpx_gt_u32_e32 6, v0
	s_cbranch_execz .LBB56_39
; %bb.36:
	v_mov_b32_e32 v1, 0
	v_mov_b32_e32 v3, 0
	v_add_nc_u32_e32 v7, -1, v0
	v_add_nc_u32_e32 v8, 0x390, v233
	v_mov_b32_e32 v2, 0
	v_mov_b32_e32 v4, 0
	v_add_nc_u32_e32 v9, 16, v233
	s_mov_b32 s5, 0
	.p2align	6
.LBB56_37:                              ; =>This Inner Loop Header: Depth=1
	s_clause 0x3
	buffer_load_dword v14, v9, s[0:3], 0 offen offset:8
	buffer_load_dword v15, v9, s[0:3], 0 offen offset:12
	buffer_load_dword v16, v9, s[0:3], 0 offen
	buffer_load_dword v17, v9, s[0:3], 0 offen offset:4
	ds_read_b128 v[10:13], v8
	v_add_nc_u32_e32 v7, 1, v7
	v_add_nc_u32_e32 v8, 16, v8
	v_add_nc_u32_e32 v9, 16, v9
	v_cmp_lt_u32_e32 vcc_lo, 4, v7
	s_or_b32 s5, vcc_lo, s5
	s_waitcnt vmcnt(2) lgkmcnt(0)
	v_mul_f64 v[18:19], v[12:13], v[14:15]
	v_mul_f64 v[14:15], v[10:11], v[14:15]
	s_waitcnt vmcnt(0)
	v_fma_f64 v[10:11], v[10:11], v[16:17], -v[18:19]
	v_fma_f64 v[12:13], v[12:13], v[16:17], v[14:15]
	v_add_f64 v[3:4], v[3:4], v[10:11]
	v_add_f64 v[1:2], v[1:2], v[12:13]
	s_andn2_b32 exec_lo, exec_lo, s5
	s_cbranch_execnz .LBB56_37
; %bb.38:
	s_or_b32 exec_lo, exec_lo, s5
	v_mov_b32_e32 v7, 0
	ds_read_b128 v[7:10], v7 offset:96
	s_waitcnt lgkmcnt(0)
	v_mul_f64 v[11:12], v[1:2], v[9:10]
	v_mul_f64 v[9:10], v[3:4], v[9:10]
	v_fma_f64 v[3:4], v[3:4], v[7:8], -v[11:12]
	v_fma_f64 v[1:2], v[1:2], v[7:8], v[9:10]
	buffer_store_dword v4, off, s[0:3], 0 offset:116
	buffer_store_dword v3, off, s[0:3], 0 offset:112
	;; [unrolled: 1-line block ×4, first 2 shown]
.LBB56_39:
	s_or_b32 exec_lo, exec_lo, s4
	v_mov_b32_e32 v4, s62
	s_waitcnt_vscnt null, 0x0
	s_barrier
	buffer_gl0_inv
	s_mov_b32 s4, exec_lo
	s_clause 0x3
	buffer_load_dword v1, v4, s[0:3], 0 offen
	buffer_load_dword v2, v4, s[0:3], 0 offen offset:4
	buffer_load_dword v3, v4, s[0:3], 0 offen offset:8
	;; [unrolled: 1-line block ×3, first 2 shown]
	s_waitcnt vmcnt(0)
	ds_write_b128 v5, v[1:4]
	s_waitcnt lgkmcnt(0)
	s_barrier
	buffer_gl0_inv
	v_cmpx_gt_u32_e32 7, v0
	s_cbranch_execz .LBB56_43
; %bb.40:
	v_mov_b32_e32 v1, 0
	v_mov_b32_e32 v3, 0
	v_add_nc_u32_e32 v7, -1, v0
	v_add_nc_u32_e32 v8, 0x390, v233
	v_mov_b32_e32 v2, 0
	v_mov_b32_e32 v4, 0
	v_add_nc_u32_e32 v9, 16, v233
	s_mov_b32 s5, 0
	.p2align	6
.LBB56_41:                              ; =>This Inner Loop Header: Depth=1
	s_clause 0x3
	buffer_load_dword v14, v9, s[0:3], 0 offen offset:8
	buffer_load_dword v15, v9, s[0:3], 0 offen offset:12
	buffer_load_dword v16, v9, s[0:3], 0 offen
	buffer_load_dword v17, v9, s[0:3], 0 offen offset:4
	ds_read_b128 v[10:13], v8
	v_add_nc_u32_e32 v7, 1, v7
	v_add_nc_u32_e32 v8, 16, v8
	;; [unrolled: 1-line block ×3, first 2 shown]
	v_cmp_lt_u32_e32 vcc_lo, 5, v7
	s_or_b32 s5, vcc_lo, s5
	s_waitcnt vmcnt(2) lgkmcnt(0)
	v_mul_f64 v[18:19], v[12:13], v[14:15]
	v_mul_f64 v[14:15], v[10:11], v[14:15]
	s_waitcnt vmcnt(0)
	v_fma_f64 v[10:11], v[10:11], v[16:17], -v[18:19]
	v_fma_f64 v[12:13], v[12:13], v[16:17], v[14:15]
	v_add_f64 v[3:4], v[3:4], v[10:11]
	v_add_f64 v[1:2], v[1:2], v[12:13]
	s_andn2_b32 exec_lo, exec_lo, s5
	s_cbranch_execnz .LBB56_41
; %bb.42:
	s_or_b32 exec_lo, exec_lo, s5
	v_mov_b32_e32 v7, 0
	ds_read_b128 v[7:10], v7 offset:112
	s_waitcnt lgkmcnt(0)
	v_mul_f64 v[11:12], v[1:2], v[9:10]
	v_mul_f64 v[9:10], v[3:4], v[9:10]
	v_fma_f64 v[3:4], v[3:4], v[7:8], -v[11:12]
	v_fma_f64 v[1:2], v[1:2], v[7:8], v[9:10]
	buffer_store_dword v4, off, s[0:3], 0 offset:132
	buffer_store_dword v3, off, s[0:3], 0 offset:128
	;; [unrolled: 1-line block ×4, first 2 shown]
.LBB56_43:
	s_or_b32 exec_lo, exec_lo, s4
	v_mov_b32_e32 v4, s61
	s_waitcnt_vscnt null, 0x0
	s_barrier
	buffer_gl0_inv
	s_mov_b32 s4, exec_lo
	s_clause 0x3
	buffer_load_dword v1, v4, s[0:3], 0 offen
	buffer_load_dword v2, v4, s[0:3], 0 offen offset:4
	buffer_load_dword v3, v4, s[0:3], 0 offen offset:8
	;; [unrolled: 1-line block ×3, first 2 shown]
	s_waitcnt vmcnt(0)
	ds_write_b128 v5, v[1:4]
	s_waitcnt lgkmcnt(0)
	s_barrier
	buffer_gl0_inv
	v_cmpx_gt_u32_e32 8, v0
	s_cbranch_execz .LBB56_47
; %bb.44:
	v_mov_b32_e32 v1, 0
	v_mov_b32_e32 v3, 0
	v_add_nc_u32_e32 v7, -1, v0
	v_add_nc_u32_e32 v8, 0x390, v233
	v_mov_b32_e32 v2, 0
	v_mov_b32_e32 v4, 0
	v_add_nc_u32_e32 v9, 16, v233
	s_mov_b32 s5, 0
	.p2align	6
.LBB56_45:                              ; =>This Inner Loop Header: Depth=1
	s_clause 0x3
	buffer_load_dword v14, v9, s[0:3], 0 offen offset:8
	buffer_load_dword v15, v9, s[0:3], 0 offen offset:12
	buffer_load_dword v16, v9, s[0:3], 0 offen
	buffer_load_dword v17, v9, s[0:3], 0 offen offset:4
	ds_read_b128 v[10:13], v8
	v_add_nc_u32_e32 v7, 1, v7
	v_add_nc_u32_e32 v8, 16, v8
	;; [unrolled: 1-line block ×3, first 2 shown]
	v_cmp_lt_u32_e32 vcc_lo, 6, v7
	s_or_b32 s5, vcc_lo, s5
	s_waitcnt vmcnt(2) lgkmcnt(0)
	v_mul_f64 v[18:19], v[12:13], v[14:15]
	v_mul_f64 v[14:15], v[10:11], v[14:15]
	s_waitcnt vmcnt(0)
	v_fma_f64 v[10:11], v[10:11], v[16:17], -v[18:19]
	v_fma_f64 v[12:13], v[12:13], v[16:17], v[14:15]
	v_add_f64 v[3:4], v[3:4], v[10:11]
	v_add_f64 v[1:2], v[1:2], v[12:13]
	s_andn2_b32 exec_lo, exec_lo, s5
	s_cbranch_execnz .LBB56_45
; %bb.46:
	s_or_b32 exec_lo, exec_lo, s5
	v_mov_b32_e32 v7, 0
	ds_read_b128 v[7:10], v7 offset:128
	s_waitcnt lgkmcnt(0)
	v_mul_f64 v[11:12], v[1:2], v[9:10]
	v_mul_f64 v[9:10], v[3:4], v[9:10]
	v_fma_f64 v[3:4], v[3:4], v[7:8], -v[11:12]
	v_fma_f64 v[1:2], v[1:2], v[7:8], v[9:10]
	buffer_store_dword v4, off, s[0:3], 0 offset:148
	buffer_store_dword v3, off, s[0:3], 0 offset:144
	;; [unrolled: 1-line block ×4, first 2 shown]
.LBB56_47:
	s_or_b32 exec_lo, exec_lo, s4
	v_mov_b32_e32 v4, s60
	s_waitcnt_vscnt null, 0x0
	s_barrier
	buffer_gl0_inv
	s_mov_b32 s4, exec_lo
	s_clause 0x3
	buffer_load_dword v1, v4, s[0:3], 0 offen
	buffer_load_dword v2, v4, s[0:3], 0 offen offset:4
	buffer_load_dword v3, v4, s[0:3], 0 offen offset:8
	buffer_load_dword v4, v4, s[0:3], 0 offen offset:12
	s_waitcnt vmcnt(0)
	ds_write_b128 v5, v[1:4]
	s_waitcnt lgkmcnt(0)
	s_barrier
	buffer_gl0_inv
	v_cmpx_gt_u32_e32 9, v0
	s_cbranch_execz .LBB56_51
; %bb.48:
	v_mov_b32_e32 v1, 0
	v_mov_b32_e32 v3, 0
	v_add_nc_u32_e32 v7, -1, v0
	v_add_nc_u32_e32 v8, 0x390, v233
	v_mov_b32_e32 v2, 0
	v_mov_b32_e32 v4, 0
	v_add_nc_u32_e32 v9, 16, v233
	s_mov_b32 s5, 0
	.p2align	6
.LBB56_49:                              ; =>This Inner Loop Header: Depth=1
	s_clause 0x3
	buffer_load_dword v14, v9, s[0:3], 0 offen offset:8
	buffer_load_dword v15, v9, s[0:3], 0 offen offset:12
	buffer_load_dword v16, v9, s[0:3], 0 offen
	buffer_load_dword v17, v9, s[0:3], 0 offen offset:4
	ds_read_b128 v[10:13], v8
	v_add_nc_u32_e32 v7, 1, v7
	v_add_nc_u32_e32 v8, 16, v8
	;; [unrolled: 1-line block ×3, first 2 shown]
	v_cmp_lt_u32_e32 vcc_lo, 7, v7
	s_or_b32 s5, vcc_lo, s5
	s_waitcnt vmcnt(2) lgkmcnt(0)
	v_mul_f64 v[18:19], v[12:13], v[14:15]
	v_mul_f64 v[14:15], v[10:11], v[14:15]
	s_waitcnt vmcnt(0)
	v_fma_f64 v[10:11], v[10:11], v[16:17], -v[18:19]
	v_fma_f64 v[12:13], v[12:13], v[16:17], v[14:15]
	v_add_f64 v[3:4], v[3:4], v[10:11]
	v_add_f64 v[1:2], v[1:2], v[12:13]
	s_andn2_b32 exec_lo, exec_lo, s5
	s_cbranch_execnz .LBB56_49
; %bb.50:
	s_or_b32 exec_lo, exec_lo, s5
	v_mov_b32_e32 v7, 0
	ds_read_b128 v[7:10], v7 offset:144
	s_waitcnt lgkmcnt(0)
	v_mul_f64 v[11:12], v[1:2], v[9:10]
	v_mul_f64 v[9:10], v[3:4], v[9:10]
	v_fma_f64 v[3:4], v[3:4], v[7:8], -v[11:12]
	v_fma_f64 v[1:2], v[1:2], v[7:8], v[9:10]
	buffer_store_dword v4, off, s[0:3], 0 offset:164
	buffer_store_dword v3, off, s[0:3], 0 offset:160
	;; [unrolled: 1-line block ×4, first 2 shown]
.LBB56_51:
	s_or_b32 exec_lo, exec_lo, s4
	v_mov_b32_e32 v4, s59
	s_waitcnt_vscnt null, 0x0
	s_barrier
	buffer_gl0_inv
	s_mov_b32 s4, exec_lo
	s_clause 0x3
	buffer_load_dword v1, v4, s[0:3], 0 offen
	buffer_load_dword v2, v4, s[0:3], 0 offen offset:4
	buffer_load_dword v3, v4, s[0:3], 0 offen offset:8
	buffer_load_dword v4, v4, s[0:3], 0 offen offset:12
	s_waitcnt vmcnt(0)
	ds_write_b128 v5, v[1:4]
	s_waitcnt lgkmcnt(0)
	s_barrier
	buffer_gl0_inv
	v_cmpx_gt_u32_e32 10, v0
	s_cbranch_execz .LBB56_55
; %bb.52:
	v_mov_b32_e32 v1, 0
	v_mov_b32_e32 v3, 0
	v_add_nc_u32_e32 v7, -1, v0
	v_add_nc_u32_e32 v8, 0x390, v233
	v_mov_b32_e32 v2, 0
	v_mov_b32_e32 v4, 0
	v_add_nc_u32_e32 v9, 16, v233
	s_mov_b32 s5, 0
	.p2align	6
.LBB56_53:                              ; =>This Inner Loop Header: Depth=1
	s_clause 0x3
	buffer_load_dword v14, v9, s[0:3], 0 offen offset:8
	buffer_load_dword v15, v9, s[0:3], 0 offen offset:12
	buffer_load_dword v16, v9, s[0:3], 0 offen
	buffer_load_dword v17, v9, s[0:3], 0 offen offset:4
	ds_read_b128 v[10:13], v8
	v_add_nc_u32_e32 v7, 1, v7
	v_add_nc_u32_e32 v8, 16, v8
	v_add_nc_u32_e32 v9, 16, v9
	v_cmp_lt_u32_e32 vcc_lo, 8, v7
	s_or_b32 s5, vcc_lo, s5
	s_waitcnt vmcnt(2) lgkmcnt(0)
	v_mul_f64 v[18:19], v[12:13], v[14:15]
	v_mul_f64 v[14:15], v[10:11], v[14:15]
	s_waitcnt vmcnt(0)
	v_fma_f64 v[10:11], v[10:11], v[16:17], -v[18:19]
	v_fma_f64 v[12:13], v[12:13], v[16:17], v[14:15]
	v_add_f64 v[3:4], v[3:4], v[10:11]
	v_add_f64 v[1:2], v[1:2], v[12:13]
	s_andn2_b32 exec_lo, exec_lo, s5
	s_cbranch_execnz .LBB56_53
; %bb.54:
	s_or_b32 exec_lo, exec_lo, s5
	v_mov_b32_e32 v7, 0
	ds_read_b128 v[7:10], v7 offset:160
	s_waitcnt lgkmcnt(0)
	v_mul_f64 v[11:12], v[1:2], v[9:10]
	v_mul_f64 v[9:10], v[3:4], v[9:10]
	v_fma_f64 v[3:4], v[3:4], v[7:8], -v[11:12]
	v_fma_f64 v[1:2], v[1:2], v[7:8], v[9:10]
	buffer_store_dword v4, off, s[0:3], 0 offset:180
	buffer_store_dword v3, off, s[0:3], 0 offset:176
	;; [unrolled: 1-line block ×4, first 2 shown]
.LBB56_55:
	s_or_b32 exec_lo, exec_lo, s4
	v_mov_b32_e32 v4, s58
	s_waitcnt_vscnt null, 0x0
	s_barrier
	buffer_gl0_inv
	s_mov_b32 s4, exec_lo
	s_clause 0x3
	buffer_load_dword v1, v4, s[0:3], 0 offen
	buffer_load_dword v2, v4, s[0:3], 0 offen offset:4
	buffer_load_dword v3, v4, s[0:3], 0 offen offset:8
	;; [unrolled: 1-line block ×3, first 2 shown]
	s_waitcnt vmcnt(0)
	ds_write_b128 v5, v[1:4]
	s_waitcnt lgkmcnt(0)
	s_barrier
	buffer_gl0_inv
	v_cmpx_gt_u32_e32 11, v0
	s_cbranch_execz .LBB56_59
; %bb.56:
	v_mov_b32_e32 v1, 0
	v_mov_b32_e32 v3, 0
	v_add_nc_u32_e32 v7, -1, v0
	v_add_nc_u32_e32 v8, 0x390, v233
	v_mov_b32_e32 v2, 0
	v_mov_b32_e32 v4, 0
	v_add_nc_u32_e32 v9, 16, v233
	s_mov_b32 s5, 0
	.p2align	6
.LBB56_57:                              ; =>This Inner Loop Header: Depth=1
	s_clause 0x3
	buffer_load_dword v14, v9, s[0:3], 0 offen offset:8
	buffer_load_dword v15, v9, s[0:3], 0 offen offset:12
	buffer_load_dword v16, v9, s[0:3], 0 offen
	buffer_load_dword v17, v9, s[0:3], 0 offen offset:4
	ds_read_b128 v[10:13], v8
	v_add_nc_u32_e32 v7, 1, v7
	v_add_nc_u32_e32 v8, 16, v8
	;; [unrolled: 1-line block ×3, first 2 shown]
	v_cmp_lt_u32_e32 vcc_lo, 9, v7
	s_or_b32 s5, vcc_lo, s5
	s_waitcnt vmcnt(2) lgkmcnt(0)
	v_mul_f64 v[18:19], v[12:13], v[14:15]
	v_mul_f64 v[14:15], v[10:11], v[14:15]
	s_waitcnt vmcnt(0)
	v_fma_f64 v[10:11], v[10:11], v[16:17], -v[18:19]
	v_fma_f64 v[12:13], v[12:13], v[16:17], v[14:15]
	v_add_f64 v[3:4], v[3:4], v[10:11]
	v_add_f64 v[1:2], v[1:2], v[12:13]
	s_andn2_b32 exec_lo, exec_lo, s5
	s_cbranch_execnz .LBB56_57
; %bb.58:
	s_or_b32 exec_lo, exec_lo, s5
	v_mov_b32_e32 v7, 0
	ds_read_b128 v[7:10], v7 offset:176
	s_waitcnt lgkmcnt(0)
	v_mul_f64 v[11:12], v[1:2], v[9:10]
	v_mul_f64 v[9:10], v[3:4], v[9:10]
	v_fma_f64 v[3:4], v[3:4], v[7:8], -v[11:12]
	v_fma_f64 v[1:2], v[1:2], v[7:8], v[9:10]
	buffer_store_dword v4, off, s[0:3], 0 offset:196
	buffer_store_dword v3, off, s[0:3], 0 offset:192
	;; [unrolled: 1-line block ×4, first 2 shown]
.LBB56_59:
	s_or_b32 exec_lo, exec_lo, s4
	v_mov_b32_e32 v4, s57
	s_waitcnt_vscnt null, 0x0
	s_barrier
	buffer_gl0_inv
	s_mov_b32 s4, exec_lo
	s_clause 0x3
	buffer_load_dword v1, v4, s[0:3], 0 offen
	buffer_load_dword v2, v4, s[0:3], 0 offen offset:4
	buffer_load_dword v3, v4, s[0:3], 0 offen offset:8
	;; [unrolled: 1-line block ×3, first 2 shown]
	s_waitcnt vmcnt(0)
	ds_write_b128 v5, v[1:4]
	s_waitcnt lgkmcnt(0)
	s_barrier
	buffer_gl0_inv
	v_cmpx_gt_u32_e32 12, v0
	s_cbranch_execz .LBB56_63
; %bb.60:
	v_mov_b32_e32 v1, 0
	v_mov_b32_e32 v3, 0
	v_add_nc_u32_e32 v7, -1, v0
	v_add_nc_u32_e32 v8, 0x390, v233
	v_mov_b32_e32 v2, 0
	v_mov_b32_e32 v4, 0
	v_add_nc_u32_e32 v9, 16, v233
	s_mov_b32 s5, 0
	.p2align	6
.LBB56_61:                              ; =>This Inner Loop Header: Depth=1
	s_clause 0x3
	buffer_load_dword v14, v9, s[0:3], 0 offen offset:8
	buffer_load_dword v15, v9, s[0:3], 0 offen offset:12
	buffer_load_dword v16, v9, s[0:3], 0 offen
	buffer_load_dword v17, v9, s[0:3], 0 offen offset:4
	ds_read_b128 v[10:13], v8
	v_add_nc_u32_e32 v7, 1, v7
	v_add_nc_u32_e32 v8, 16, v8
	;; [unrolled: 1-line block ×3, first 2 shown]
	v_cmp_lt_u32_e32 vcc_lo, 10, v7
	s_or_b32 s5, vcc_lo, s5
	s_waitcnt vmcnt(2) lgkmcnt(0)
	v_mul_f64 v[18:19], v[12:13], v[14:15]
	v_mul_f64 v[14:15], v[10:11], v[14:15]
	s_waitcnt vmcnt(0)
	v_fma_f64 v[10:11], v[10:11], v[16:17], -v[18:19]
	v_fma_f64 v[12:13], v[12:13], v[16:17], v[14:15]
	v_add_f64 v[3:4], v[3:4], v[10:11]
	v_add_f64 v[1:2], v[1:2], v[12:13]
	s_andn2_b32 exec_lo, exec_lo, s5
	s_cbranch_execnz .LBB56_61
; %bb.62:
	s_or_b32 exec_lo, exec_lo, s5
	v_mov_b32_e32 v7, 0
	ds_read_b128 v[7:10], v7 offset:192
	s_waitcnt lgkmcnt(0)
	v_mul_f64 v[11:12], v[1:2], v[9:10]
	v_mul_f64 v[9:10], v[3:4], v[9:10]
	v_fma_f64 v[3:4], v[3:4], v[7:8], -v[11:12]
	v_fma_f64 v[1:2], v[1:2], v[7:8], v[9:10]
	buffer_store_dword v4, off, s[0:3], 0 offset:212
	buffer_store_dword v3, off, s[0:3], 0 offset:208
	;; [unrolled: 1-line block ×4, first 2 shown]
.LBB56_63:
	s_or_b32 exec_lo, exec_lo, s4
	v_mov_b32_e32 v4, s56
	s_waitcnt_vscnt null, 0x0
	s_barrier
	buffer_gl0_inv
	s_mov_b32 s4, exec_lo
	s_clause 0x3
	buffer_load_dword v1, v4, s[0:3], 0 offen
	buffer_load_dword v2, v4, s[0:3], 0 offen offset:4
	buffer_load_dword v3, v4, s[0:3], 0 offen offset:8
	;; [unrolled: 1-line block ×3, first 2 shown]
	s_waitcnt vmcnt(0)
	ds_write_b128 v5, v[1:4]
	s_waitcnt lgkmcnt(0)
	s_barrier
	buffer_gl0_inv
	v_cmpx_gt_u32_e32 13, v0
	s_cbranch_execz .LBB56_67
; %bb.64:
	v_mov_b32_e32 v1, 0
	v_mov_b32_e32 v3, 0
	v_add_nc_u32_e32 v7, -1, v0
	v_add_nc_u32_e32 v8, 0x390, v233
	v_mov_b32_e32 v2, 0
	v_mov_b32_e32 v4, 0
	v_add_nc_u32_e32 v9, 16, v233
	s_mov_b32 s5, 0
	.p2align	6
.LBB56_65:                              ; =>This Inner Loop Header: Depth=1
	s_clause 0x3
	buffer_load_dword v14, v9, s[0:3], 0 offen offset:8
	buffer_load_dword v15, v9, s[0:3], 0 offen offset:12
	buffer_load_dword v16, v9, s[0:3], 0 offen
	buffer_load_dword v17, v9, s[0:3], 0 offen offset:4
	ds_read_b128 v[10:13], v8
	v_add_nc_u32_e32 v7, 1, v7
	v_add_nc_u32_e32 v8, 16, v8
	;; [unrolled: 1-line block ×3, first 2 shown]
	v_cmp_lt_u32_e32 vcc_lo, 11, v7
	s_or_b32 s5, vcc_lo, s5
	s_waitcnt vmcnt(2) lgkmcnt(0)
	v_mul_f64 v[18:19], v[12:13], v[14:15]
	v_mul_f64 v[14:15], v[10:11], v[14:15]
	s_waitcnt vmcnt(0)
	v_fma_f64 v[10:11], v[10:11], v[16:17], -v[18:19]
	v_fma_f64 v[12:13], v[12:13], v[16:17], v[14:15]
	v_add_f64 v[3:4], v[3:4], v[10:11]
	v_add_f64 v[1:2], v[1:2], v[12:13]
	s_andn2_b32 exec_lo, exec_lo, s5
	s_cbranch_execnz .LBB56_65
; %bb.66:
	s_or_b32 exec_lo, exec_lo, s5
	v_mov_b32_e32 v7, 0
	ds_read_b128 v[7:10], v7 offset:208
	s_waitcnt lgkmcnt(0)
	v_mul_f64 v[11:12], v[1:2], v[9:10]
	v_mul_f64 v[9:10], v[3:4], v[9:10]
	v_fma_f64 v[3:4], v[3:4], v[7:8], -v[11:12]
	v_fma_f64 v[1:2], v[1:2], v[7:8], v[9:10]
	buffer_store_dword v4, off, s[0:3], 0 offset:228
	buffer_store_dword v3, off, s[0:3], 0 offset:224
	;; [unrolled: 1-line block ×4, first 2 shown]
.LBB56_67:
	s_or_b32 exec_lo, exec_lo, s4
	v_mov_b32_e32 v4, s55
	s_waitcnt_vscnt null, 0x0
	s_barrier
	buffer_gl0_inv
	s_mov_b32 s4, exec_lo
	s_clause 0x3
	buffer_load_dword v1, v4, s[0:3], 0 offen
	buffer_load_dword v2, v4, s[0:3], 0 offen offset:4
	buffer_load_dword v3, v4, s[0:3], 0 offen offset:8
	;; [unrolled: 1-line block ×3, first 2 shown]
	s_waitcnt vmcnt(0)
	ds_write_b128 v5, v[1:4]
	s_waitcnt lgkmcnt(0)
	s_barrier
	buffer_gl0_inv
	v_cmpx_gt_u32_e32 14, v0
	s_cbranch_execz .LBB56_71
; %bb.68:
	v_mov_b32_e32 v1, 0
	v_mov_b32_e32 v3, 0
	v_add_nc_u32_e32 v7, -1, v0
	v_add_nc_u32_e32 v8, 0x390, v233
	v_mov_b32_e32 v2, 0
	v_mov_b32_e32 v4, 0
	v_add_nc_u32_e32 v9, 16, v233
	s_mov_b32 s5, 0
	.p2align	6
.LBB56_69:                              ; =>This Inner Loop Header: Depth=1
	s_clause 0x3
	buffer_load_dword v14, v9, s[0:3], 0 offen offset:8
	buffer_load_dword v15, v9, s[0:3], 0 offen offset:12
	buffer_load_dword v16, v9, s[0:3], 0 offen
	buffer_load_dword v17, v9, s[0:3], 0 offen offset:4
	ds_read_b128 v[10:13], v8
	v_add_nc_u32_e32 v7, 1, v7
	v_add_nc_u32_e32 v8, 16, v8
	;; [unrolled: 1-line block ×3, first 2 shown]
	v_cmp_lt_u32_e32 vcc_lo, 12, v7
	s_or_b32 s5, vcc_lo, s5
	s_waitcnt vmcnt(2) lgkmcnt(0)
	v_mul_f64 v[18:19], v[12:13], v[14:15]
	v_mul_f64 v[14:15], v[10:11], v[14:15]
	s_waitcnt vmcnt(0)
	v_fma_f64 v[10:11], v[10:11], v[16:17], -v[18:19]
	v_fma_f64 v[12:13], v[12:13], v[16:17], v[14:15]
	v_add_f64 v[3:4], v[3:4], v[10:11]
	v_add_f64 v[1:2], v[1:2], v[12:13]
	s_andn2_b32 exec_lo, exec_lo, s5
	s_cbranch_execnz .LBB56_69
; %bb.70:
	s_or_b32 exec_lo, exec_lo, s5
	v_mov_b32_e32 v7, 0
	ds_read_b128 v[7:10], v7 offset:224
	s_waitcnt lgkmcnt(0)
	v_mul_f64 v[11:12], v[1:2], v[9:10]
	v_mul_f64 v[9:10], v[3:4], v[9:10]
	v_fma_f64 v[3:4], v[3:4], v[7:8], -v[11:12]
	v_fma_f64 v[1:2], v[1:2], v[7:8], v[9:10]
	buffer_store_dword v4, off, s[0:3], 0 offset:244
	buffer_store_dword v3, off, s[0:3], 0 offset:240
	;; [unrolled: 1-line block ×4, first 2 shown]
.LBB56_71:
	s_or_b32 exec_lo, exec_lo, s4
	v_mov_b32_e32 v4, s54
	s_waitcnt_vscnt null, 0x0
	s_barrier
	buffer_gl0_inv
	s_mov_b32 s4, exec_lo
	s_clause 0x3
	buffer_load_dword v1, v4, s[0:3], 0 offen
	buffer_load_dword v2, v4, s[0:3], 0 offen offset:4
	buffer_load_dword v3, v4, s[0:3], 0 offen offset:8
	buffer_load_dword v4, v4, s[0:3], 0 offen offset:12
	s_waitcnt vmcnt(0)
	ds_write_b128 v5, v[1:4]
	s_waitcnt lgkmcnt(0)
	s_barrier
	buffer_gl0_inv
	v_cmpx_gt_u32_e32 15, v0
	s_cbranch_execz .LBB56_75
; %bb.72:
	v_mov_b32_e32 v1, 0
	v_mov_b32_e32 v3, 0
	v_add_nc_u32_e32 v7, -1, v0
	v_add_nc_u32_e32 v8, 0x390, v233
	v_mov_b32_e32 v2, 0
	v_mov_b32_e32 v4, 0
	v_add_nc_u32_e32 v9, 16, v233
	s_mov_b32 s5, 0
	.p2align	6
.LBB56_73:                              ; =>This Inner Loop Header: Depth=1
	s_clause 0x3
	buffer_load_dword v14, v9, s[0:3], 0 offen offset:8
	buffer_load_dword v15, v9, s[0:3], 0 offen offset:12
	buffer_load_dword v16, v9, s[0:3], 0 offen
	buffer_load_dword v17, v9, s[0:3], 0 offen offset:4
	ds_read_b128 v[10:13], v8
	v_add_nc_u32_e32 v7, 1, v7
	v_add_nc_u32_e32 v8, 16, v8
	;; [unrolled: 1-line block ×3, first 2 shown]
	v_cmp_lt_u32_e32 vcc_lo, 13, v7
	s_or_b32 s5, vcc_lo, s5
	s_waitcnt vmcnt(2) lgkmcnt(0)
	v_mul_f64 v[18:19], v[12:13], v[14:15]
	v_mul_f64 v[14:15], v[10:11], v[14:15]
	s_waitcnt vmcnt(0)
	v_fma_f64 v[10:11], v[10:11], v[16:17], -v[18:19]
	v_fma_f64 v[12:13], v[12:13], v[16:17], v[14:15]
	v_add_f64 v[3:4], v[3:4], v[10:11]
	v_add_f64 v[1:2], v[1:2], v[12:13]
	s_andn2_b32 exec_lo, exec_lo, s5
	s_cbranch_execnz .LBB56_73
; %bb.74:
	s_or_b32 exec_lo, exec_lo, s5
	v_mov_b32_e32 v7, 0
	ds_read_b128 v[7:10], v7 offset:240
	s_waitcnt lgkmcnt(0)
	v_mul_f64 v[11:12], v[1:2], v[9:10]
	v_mul_f64 v[9:10], v[3:4], v[9:10]
	v_fma_f64 v[3:4], v[3:4], v[7:8], -v[11:12]
	v_fma_f64 v[1:2], v[1:2], v[7:8], v[9:10]
	buffer_store_dword v4, off, s[0:3], 0 offset:260
	buffer_store_dword v3, off, s[0:3], 0 offset:256
	;; [unrolled: 1-line block ×4, first 2 shown]
.LBB56_75:
	s_or_b32 exec_lo, exec_lo, s4
	v_mov_b32_e32 v4, s53
	s_waitcnt_vscnt null, 0x0
	s_barrier
	buffer_gl0_inv
	s_mov_b32 s4, exec_lo
	s_clause 0x3
	buffer_load_dword v1, v4, s[0:3], 0 offen
	buffer_load_dword v2, v4, s[0:3], 0 offen offset:4
	buffer_load_dword v3, v4, s[0:3], 0 offen offset:8
	;; [unrolled: 1-line block ×3, first 2 shown]
	s_waitcnt vmcnt(0)
	ds_write_b128 v5, v[1:4]
	s_waitcnt lgkmcnt(0)
	s_barrier
	buffer_gl0_inv
	v_cmpx_gt_u32_e32 16, v0
	s_cbranch_execz .LBB56_79
; %bb.76:
	v_mov_b32_e32 v1, 0
	v_mov_b32_e32 v3, 0
	v_add_nc_u32_e32 v7, -1, v0
	v_add_nc_u32_e32 v8, 0x390, v233
	v_mov_b32_e32 v2, 0
	v_mov_b32_e32 v4, 0
	v_add_nc_u32_e32 v9, 16, v233
	s_mov_b32 s5, 0
	.p2align	6
.LBB56_77:                              ; =>This Inner Loop Header: Depth=1
	s_clause 0x3
	buffer_load_dword v14, v9, s[0:3], 0 offen offset:8
	buffer_load_dword v15, v9, s[0:3], 0 offen offset:12
	buffer_load_dword v16, v9, s[0:3], 0 offen
	buffer_load_dword v17, v9, s[0:3], 0 offen offset:4
	ds_read_b128 v[10:13], v8
	v_add_nc_u32_e32 v7, 1, v7
	v_add_nc_u32_e32 v8, 16, v8
	;; [unrolled: 1-line block ×3, first 2 shown]
	v_cmp_lt_u32_e32 vcc_lo, 14, v7
	s_or_b32 s5, vcc_lo, s5
	s_waitcnt vmcnt(2) lgkmcnt(0)
	v_mul_f64 v[18:19], v[12:13], v[14:15]
	v_mul_f64 v[14:15], v[10:11], v[14:15]
	s_waitcnt vmcnt(0)
	v_fma_f64 v[10:11], v[10:11], v[16:17], -v[18:19]
	v_fma_f64 v[12:13], v[12:13], v[16:17], v[14:15]
	v_add_f64 v[3:4], v[3:4], v[10:11]
	v_add_f64 v[1:2], v[1:2], v[12:13]
	s_andn2_b32 exec_lo, exec_lo, s5
	s_cbranch_execnz .LBB56_77
; %bb.78:
	s_or_b32 exec_lo, exec_lo, s5
	v_mov_b32_e32 v7, 0
	ds_read_b128 v[7:10], v7 offset:256
	s_waitcnt lgkmcnt(0)
	v_mul_f64 v[11:12], v[1:2], v[9:10]
	v_mul_f64 v[9:10], v[3:4], v[9:10]
	v_fma_f64 v[3:4], v[3:4], v[7:8], -v[11:12]
	v_fma_f64 v[1:2], v[1:2], v[7:8], v[9:10]
	buffer_store_dword v4, off, s[0:3], 0 offset:276
	buffer_store_dword v3, off, s[0:3], 0 offset:272
	;; [unrolled: 1-line block ×4, first 2 shown]
.LBB56_79:
	s_or_b32 exec_lo, exec_lo, s4
	v_mov_b32_e32 v4, s52
	s_waitcnt_vscnt null, 0x0
	s_barrier
	buffer_gl0_inv
	s_mov_b32 s4, exec_lo
	s_clause 0x3
	buffer_load_dword v1, v4, s[0:3], 0 offen
	buffer_load_dword v2, v4, s[0:3], 0 offen offset:4
	buffer_load_dword v3, v4, s[0:3], 0 offen offset:8
	;; [unrolled: 1-line block ×3, first 2 shown]
	s_waitcnt vmcnt(0)
	ds_write_b128 v5, v[1:4]
	s_waitcnt lgkmcnt(0)
	s_barrier
	buffer_gl0_inv
	v_cmpx_gt_u32_e32 17, v0
	s_cbranch_execz .LBB56_83
; %bb.80:
	v_mov_b32_e32 v1, 0
	v_mov_b32_e32 v3, 0
	v_add_nc_u32_e32 v7, -1, v0
	v_add_nc_u32_e32 v8, 0x390, v233
	v_mov_b32_e32 v2, 0
	v_mov_b32_e32 v4, 0
	v_add_nc_u32_e32 v9, 16, v233
	s_mov_b32 s5, 0
	.p2align	6
.LBB56_81:                              ; =>This Inner Loop Header: Depth=1
	s_clause 0x3
	buffer_load_dword v14, v9, s[0:3], 0 offen offset:8
	buffer_load_dword v15, v9, s[0:3], 0 offen offset:12
	buffer_load_dword v16, v9, s[0:3], 0 offen
	buffer_load_dword v17, v9, s[0:3], 0 offen offset:4
	ds_read_b128 v[10:13], v8
	v_add_nc_u32_e32 v7, 1, v7
	v_add_nc_u32_e32 v8, 16, v8
	;; [unrolled: 1-line block ×3, first 2 shown]
	v_cmp_lt_u32_e32 vcc_lo, 15, v7
	s_or_b32 s5, vcc_lo, s5
	s_waitcnt vmcnt(2) lgkmcnt(0)
	v_mul_f64 v[18:19], v[12:13], v[14:15]
	v_mul_f64 v[14:15], v[10:11], v[14:15]
	s_waitcnt vmcnt(0)
	v_fma_f64 v[10:11], v[10:11], v[16:17], -v[18:19]
	v_fma_f64 v[12:13], v[12:13], v[16:17], v[14:15]
	v_add_f64 v[3:4], v[3:4], v[10:11]
	v_add_f64 v[1:2], v[1:2], v[12:13]
	s_andn2_b32 exec_lo, exec_lo, s5
	s_cbranch_execnz .LBB56_81
; %bb.82:
	s_or_b32 exec_lo, exec_lo, s5
	v_mov_b32_e32 v7, 0
	ds_read_b128 v[7:10], v7 offset:272
	s_waitcnt lgkmcnt(0)
	v_mul_f64 v[11:12], v[1:2], v[9:10]
	v_mul_f64 v[9:10], v[3:4], v[9:10]
	v_fma_f64 v[3:4], v[3:4], v[7:8], -v[11:12]
	v_fma_f64 v[1:2], v[1:2], v[7:8], v[9:10]
	buffer_store_dword v4, off, s[0:3], 0 offset:292
	buffer_store_dword v3, off, s[0:3], 0 offset:288
	;; [unrolled: 1-line block ×4, first 2 shown]
.LBB56_83:
	s_or_b32 exec_lo, exec_lo, s4
	v_mov_b32_e32 v4, s51
	s_waitcnt_vscnt null, 0x0
	s_barrier
	buffer_gl0_inv
	s_mov_b32 s4, exec_lo
	s_clause 0x3
	buffer_load_dword v1, v4, s[0:3], 0 offen
	buffer_load_dword v2, v4, s[0:3], 0 offen offset:4
	buffer_load_dword v3, v4, s[0:3], 0 offen offset:8
	;; [unrolled: 1-line block ×3, first 2 shown]
	s_waitcnt vmcnt(0)
	ds_write_b128 v5, v[1:4]
	s_waitcnt lgkmcnt(0)
	s_barrier
	buffer_gl0_inv
	v_cmpx_gt_u32_e32 18, v0
	s_cbranch_execz .LBB56_87
; %bb.84:
	v_mov_b32_e32 v1, 0
	v_mov_b32_e32 v3, 0
	v_add_nc_u32_e32 v7, -1, v0
	v_add_nc_u32_e32 v8, 0x390, v233
	v_mov_b32_e32 v2, 0
	v_mov_b32_e32 v4, 0
	v_add_nc_u32_e32 v9, 16, v233
	s_mov_b32 s5, 0
	.p2align	6
.LBB56_85:                              ; =>This Inner Loop Header: Depth=1
	s_clause 0x3
	buffer_load_dword v14, v9, s[0:3], 0 offen offset:8
	buffer_load_dword v15, v9, s[0:3], 0 offen offset:12
	buffer_load_dword v16, v9, s[0:3], 0 offen
	buffer_load_dword v17, v9, s[0:3], 0 offen offset:4
	ds_read_b128 v[10:13], v8
	v_add_nc_u32_e32 v7, 1, v7
	v_add_nc_u32_e32 v8, 16, v8
	;; [unrolled: 1-line block ×3, first 2 shown]
	v_cmp_lt_u32_e32 vcc_lo, 16, v7
	s_or_b32 s5, vcc_lo, s5
	s_waitcnt vmcnt(2) lgkmcnt(0)
	v_mul_f64 v[18:19], v[12:13], v[14:15]
	v_mul_f64 v[14:15], v[10:11], v[14:15]
	s_waitcnt vmcnt(0)
	v_fma_f64 v[10:11], v[10:11], v[16:17], -v[18:19]
	v_fma_f64 v[12:13], v[12:13], v[16:17], v[14:15]
	v_add_f64 v[3:4], v[3:4], v[10:11]
	v_add_f64 v[1:2], v[1:2], v[12:13]
	s_andn2_b32 exec_lo, exec_lo, s5
	s_cbranch_execnz .LBB56_85
; %bb.86:
	s_or_b32 exec_lo, exec_lo, s5
	v_mov_b32_e32 v7, 0
	ds_read_b128 v[7:10], v7 offset:288
	s_waitcnt lgkmcnt(0)
	v_mul_f64 v[11:12], v[1:2], v[9:10]
	v_mul_f64 v[9:10], v[3:4], v[9:10]
	v_fma_f64 v[3:4], v[3:4], v[7:8], -v[11:12]
	v_fma_f64 v[1:2], v[1:2], v[7:8], v[9:10]
	buffer_store_dword v4, off, s[0:3], 0 offset:308
	buffer_store_dword v3, off, s[0:3], 0 offset:304
	;; [unrolled: 1-line block ×4, first 2 shown]
.LBB56_87:
	s_or_b32 exec_lo, exec_lo, s4
	v_mov_b32_e32 v4, s50
	s_waitcnt_vscnt null, 0x0
	s_barrier
	buffer_gl0_inv
	s_mov_b32 s4, exec_lo
	s_clause 0x3
	buffer_load_dword v1, v4, s[0:3], 0 offen
	buffer_load_dword v2, v4, s[0:3], 0 offen offset:4
	buffer_load_dword v3, v4, s[0:3], 0 offen offset:8
	;; [unrolled: 1-line block ×3, first 2 shown]
	s_waitcnt vmcnt(0)
	ds_write_b128 v5, v[1:4]
	s_waitcnt lgkmcnt(0)
	s_barrier
	buffer_gl0_inv
	v_cmpx_gt_u32_e32 19, v0
	s_cbranch_execz .LBB56_91
; %bb.88:
	v_mov_b32_e32 v1, 0
	v_mov_b32_e32 v3, 0
	v_add_nc_u32_e32 v7, -1, v0
	v_add_nc_u32_e32 v8, 0x390, v233
	v_mov_b32_e32 v2, 0
	v_mov_b32_e32 v4, 0
	v_add_nc_u32_e32 v9, 16, v233
	s_mov_b32 s5, 0
	.p2align	6
.LBB56_89:                              ; =>This Inner Loop Header: Depth=1
	s_clause 0x3
	buffer_load_dword v14, v9, s[0:3], 0 offen offset:8
	buffer_load_dword v15, v9, s[0:3], 0 offen offset:12
	buffer_load_dword v16, v9, s[0:3], 0 offen
	buffer_load_dword v17, v9, s[0:3], 0 offen offset:4
	ds_read_b128 v[10:13], v8
	v_add_nc_u32_e32 v7, 1, v7
	v_add_nc_u32_e32 v8, 16, v8
	;; [unrolled: 1-line block ×3, first 2 shown]
	v_cmp_lt_u32_e32 vcc_lo, 17, v7
	s_or_b32 s5, vcc_lo, s5
	s_waitcnt vmcnt(2) lgkmcnt(0)
	v_mul_f64 v[18:19], v[12:13], v[14:15]
	v_mul_f64 v[14:15], v[10:11], v[14:15]
	s_waitcnt vmcnt(0)
	v_fma_f64 v[10:11], v[10:11], v[16:17], -v[18:19]
	v_fma_f64 v[12:13], v[12:13], v[16:17], v[14:15]
	v_add_f64 v[3:4], v[3:4], v[10:11]
	v_add_f64 v[1:2], v[1:2], v[12:13]
	s_andn2_b32 exec_lo, exec_lo, s5
	s_cbranch_execnz .LBB56_89
; %bb.90:
	s_or_b32 exec_lo, exec_lo, s5
	v_mov_b32_e32 v7, 0
	ds_read_b128 v[7:10], v7 offset:304
	s_waitcnt lgkmcnt(0)
	v_mul_f64 v[11:12], v[1:2], v[9:10]
	v_mul_f64 v[9:10], v[3:4], v[9:10]
	v_fma_f64 v[3:4], v[3:4], v[7:8], -v[11:12]
	v_fma_f64 v[1:2], v[1:2], v[7:8], v[9:10]
	buffer_store_dword v4, off, s[0:3], 0 offset:324
	buffer_store_dword v3, off, s[0:3], 0 offset:320
	;; [unrolled: 1-line block ×4, first 2 shown]
.LBB56_91:
	s_or_b32 exec_lo, exec_lo, s4
	v_mov_b32_e32 v4, s49
	s_waitcnt_vscnt null, 0x0
	s_barrier
	buffer_gl0_inv
	s_mov_b32 s4, exec_lo
	s_clause 0x3
	buffer_load_dword v1, v4, s[0:3], 0 offen
	buffer_load_dword v2, v4, s[0:3], 0 offen offset:4
	buffer_load_dword v3, v4, s[0:3], 0 offen offset:8
	;; [unrolled: 1-line block ×3, first 2 shown]
	s_waitcnt vmcnt(0)
	ds_write_b128 v5, v[1:4]
	s_waitcnt lgkmcnt(0)
	s_barrier
	buffer_gl0_inv
	v_cmpx_gt_u32_e32 20, v0
	s_cbranch_execz .LBB56_95
; %bb.92:
	v_mov_b32_e32 v1, 0
	v_mov_b32_e32 v3, 0
	v_add_nc_u32_e32 v7, -1, v0
	v_add_nc_u32_e32 v8, 0x390, v233
	v_mov_b32_e32 v2, 0
	v_mov_b32_e32 v4, 0
	v_add_nc_u32_e32 v9, 16, v233
	s_mov_b32 s5, 0
	.p2align	6
.LBB56_93:                              ; =>This Inner Loop Header: Depth=1
	s_clause 0x3
	buffer_load_dword v14, v9, s[0:3], 0 offen offset:8
	buffer_load_dword v15, v9, s[0:3], 0 offen offset:12
	buffer_load_dword v16, v9, s[0:3], 0 offen
	buffer_load_dword v17, v9, s[0:3], 0 offen offset:4
	ds_read_b128 v[10:13], v8
	v_add_nc_u32_e32 v7, 1, v7
	v_add_nc_u32_e32 v8, 16, v8
	v_add_nc_u32_e32 v9, 16, v9
	v_cmp_lt_u32_e32 vcc_lo, 18, v7
	s_or_b32 s5, vcc_lo, s5
	s_waitcnt vmcnt(2) lgkmcnt(0)
	v_mul_f64 v[18:19], v[12:13], v[14:15]
	v_mul_f64 v[14:15], v[10:11], v[14:15]
	s_waitcnt vmcnt(0)
	v_fma_f64 v[10:11], v[10:11], v[16:17], -v[18:19]
	v_fma_f64 v[12:13], v[12:13], v[16:17], v[14:15]
	v_add_f64 v[3:4], v[3:4], v[10:11]
	v_add_f64 v[1:2], v[1:2], v[12:13]
	s_andn2_b32 exec_lo, exec_lo, s5
	s_cbranch_execnz .LBB56_93
; %bb.94:
	s_or_b32 exec_lo, exec_lo, s5
	v_mov_b32_e32 v7, 0
	ds_read_b128 v[7:10], v7 offset:320
	s_waitcnt lgkmcnt(0)
	v_mul_f64 v[11:12], v[1:2], v[9:10]
	v_mul_f64 v[9:10], v[3:4], v[9:10]
	v_fma_f64 v[3:4], v[3:4], v[7:8], -v[11:12]
	v_fma_f64 v[1:2], v[1:2], v[7:8], v[9:10]
	buffer_store_dword v4, off, s[0:3], 0 offset:340
	buffer_store_dword v3, off, s[0:3], 0 offset:336
	;; [unrolled: 1-line block ×4, first 2 shown]
.LBB56_95:
	s_or_b32 exec_lo, exec_lo, s4
	v_mov_b32_e32 v4, s48
	s_waitcnt_vscnt null, 0x0
	s_barrier
	buffer_gl0_inv
	s_mov_b32 s4, exec_lo
	s_clause 0x3
	buffer_load_dword v1, v4, s[0:3], 0 offen
	buffer_load_dword v2, v4, s[0:3], 0 offen offset:4
	buffer_load_dword v3, v4, s[0:3], 0 offen offset:8
	;; [unrolled: 1-line block ×3, first 2 shown]
	s_waitcnt vmcnt(0)
	ds_write_b128 v5, v[1:4]
	s_waitcnt lgkmcnt(0)
	s_barrier
	buffer_gl0_inv
	v_cmpx_gt_u32_e32 21, v0
	s_cbranch_execz .LBB56_99
; %bb.96:
	v_mov_b32_e32 v1, 0
	v_mov_b32_e32 v3, 0
	v_add_nc_u32_e32 v7, -1, v0
	v_add_nc_u32_e32 v8, 0x390, v233
	v_mov_b32_e32 v2, 0
	v_mov_b32_e32 v4, 0
	v_add_nc_u32_e32 v9, 16, v233
	s_mov_b32 s5, 0
	.p2align	6
.LBB56_97:                              ; =>This Inner Loop Header: Depth=1
	s_clause 0x3
	buffer_load_dword v14, v9, s[0:3], 0 offen offset:8
	buffer_load_dword v15, v9, s[0:3], 0 offen offset:12
	buffer_load_dword v16, v9, s[0:3], 0 offen
	buffer_load_dword v17, v9, s[0:3], 0 offen offset:4
	ds_read_b128 v[10:13], v8
	v_add_nc_u32_e32 v7, 1, v7
	v_add_nc_u32_e32 v8, 16, v8
	;; [unrolled: 1-line block ×3, first 2 shown]
	v_cmp_lt_u32_e32 vcc_lo, 19, v7
	s_or_b32 s5, vcc_lo, s5
	s_waitcnt vmcnt(2) lgkmcnt(0)
	v_mul_f64 v[18:19], v[12:13], v[14:15]
	v_mul_f64 v[14:15], v[10:11], v[14:15]
	s_waitcnt vmcnt(0)
	v_fma_f64 v[10:11], v[10:11], v[16:17], -v[18:19]
	v_fma_f64 v[12:13], v[12:13], v[16:17], v[14:15]
	v_add_f64 v[3:4], v[3:4], v[10:11]
	v_add_f64 v[1:2], v[1:2], v[12:13]
	s_andn2_b32 exec_lo, exec_lo, s5
	s_cbranch_execnz .LBB56_97
; %bb.98:
	s_or_b32 exec_lo, exec_lo, s5
	v_mov_b32_e32 v7, 0
	ds_read_b128 v[7:10], v7 offset:336
	s_waitcnt lgkmcnt(0)
	v_mul_f64 v[11:12], v[1:2], v[9:10]
	v_mul_f64 v[9:10], v[3:4], v[9:10]
	v_fma_f64 v[3:4], v[3:4], v[7:8], -v[11:12]
	v_fma_f64 v[1:2], v[1:2], v[7:8], v[9:10]
	buffer_store_dword v4, off, s[0:3], 0 offset:356
	buffer_store_dword v3, off, s[0:3], 0 offset:352
	;; [unrolled: 1-line block ×4, first 2 shown]
.LBB56_99:
	s_or_b32 exec_lo, exec_lo, s4
	v_mov_b32_e32 v4, s47
	s_waitcnt_vscnt null, 0x0
	s_barrier
	buffer_gl0_inv
	s_mov_b32 s4, exec_lo
	s_clause 0x3
	buffer_load_dword v1, v4, s[0:3], 0 offen
	buffer_load_dword v2, v4, s[0:3], 0 offen offset:4
	buffer_load_dword v3, v4, s[0:3], 0 offen offset:8
	;; [unrolled: 1-line block ×3, first 2 shown]
	s_waitcnt vmcnt(0)
	ds_write_b128 v5, v[1:4]
	s_waitcnt lgkmcnt(0)
	s_barrier
	buffer_gl0_inv
	v_cmpx_gt_u32_e32 22, v0
	s_cbranch_execz .LBB56_103
; %bb.100:
	v_mov_b32_e32 v1, 0
	v_mov_b32_e32 v3, 0
	v_add_nc_u32_e32 v7, -1, v0
	v_add_nc_u32_e32 v8, 0x390, v233
	v_mov_b32_e32 v2, 0
	v_mov_b32_e32 v4, 0
	v_add_nc_u32_e32 v9, 16, v233
	s_mov_b32 s5, 0
	.p2align	6
.LBB56_101:                             ; =>This Inner Loop Header: Depth=1
	s_clause 0x3
	buffer_load_dword v14, v9, s[0:3], 0 offen offset:8
	buffer_load_dword v15, v9, s[0:3], 0 offen offset:12
	buffer_load_dword v16, v9, s[0:3], 0 offen
	buffer_load_dword v17, v9, s[0:3], 0 offen offset:4
	ds_read_b128 v[10:13], v8
	v_add_nc_u32_e32 v7, 1, v7
	v_add_nc_u32_e32 v8, 16, v8
	;; [unrolled: 1-line block ×3, first 2 shown]
	v_cmp_lt_u32_e32 vcc_lo, 20, v7
	s_or_b32 s5, vcc_lo, s5
	s_waitcnt vmcnt(2) lgkmcnt(0)
	v_mul_f64 v[18:19], v[12:13], v[14:15]
	v_mul_f64 v[14:15], v[10:11], v[14:15]
	s_waitcnt vmcnt(0)
	v_fma_f64 v[10:11], v[10:11], v[16:17], -v[18:19]
	v_fma_f64 v[12:13], v[12:13], v[16:17], v[14:15]
	v_add_f64 v[3:4], v[3:4], v[10:11]
	v_add_f64 v[1:2], v[1:2], v[12:13]
	s_andn2_b32 exec_lo, exec_lo, s5
	s_cbranch_execnz .LBB56_101
; %bb.102:
	s_or_b32 exec_lo, exec_lo, s5
	v_mov_b32_e32 v7, 0
	ds_read_b128 v[7:10], v7 offset:352
	s_waitcnt lgkmcnt(0)
	v_mul_f64 v[11:12], v[1:2], v[9:10]
	v_mul_f64 v[9:10], v[3:4], v[9:10]
	v_fma_f64 v[3:4], v[3:4], v[7:8], -v[11:12]
	v_fma_f64 v[1:2], v[1:2], v[7:8], v[9:10]
	buffer_store_dword v4, off, s[0:3], 0 offset:372
	buffer_store_dword v3, off, s[0:3], 0 offset:368
	;; [unrolled: 1-line block ×4, first 2 shown]
.LBB56_103:
	s_or_b32 exec_lo, exec_lo, s4
	v_mov_b32_e32 v4, s46
	s_waitcnt_vscnt null, 0x0
	s_barrier
	buffer_gl0_inv
	s_mov_b32 s4, exec_lo
	s_clause 0x3
	buffer_load_dword v1, v4, s[0:3], 0 offen
	buffer_load_dword v2, v4, s[0:3], 0 offen offset:4
	buffer_load_dword v3, v4, s[0:3], 0 offen offset:8
	;; [unrolled: 1-line block ×3, first 2 shown]
	s_waitcnt vmcnt(0)
	ds_write_b128 v5, v[1:4]
	s_waitcnt lgkmcnt(0)
	s_barrier
	buffer_gl0_inv
	v_cmpx_gt_u32_e32 23, v0
	s_cbranch_execz .LBB56_107
; %bb.104:
	v_mov_b32_e32 v1, 0
	v_mov_b32_e32 v3, 0
	v_add_nc_u32_e32 v7, -1, v0
	v_add_nc_u32_e32 v8, 0x390, v233
	v_mov_b32_e32 v2, 0
	v_mov_b32_e32 v4, 0
	v_add_nc_u32_e32 v9, 16, v233
	s_mov_b32 s5, 0
	.p2align	6
.LBB56_105:                             ; =>This Inner Loop Header: Depth=1
	s_clause 0x3
	buffer_load_dword v14, v9, s[0:3], 0 offen offset:8
	buffer_load_dword v15, v9, s[0:3], 0 offen offset:12
	buffer_load_dword v16, v9, s[0:3], 0 offen
	buffer_load_dword v17, v9, s[0:3], 0 offen offset:4
	ds_read_b128 v[10:13], v8
	v_add_nc_u32_e32 v7, 1, v7
	v_add_nc_u32_e32 v8, 16, v8
	;; [unrolled: 1-line block ×3, first 2 shown]
	v_cmp_lt_u32_e32 vcc_lo, 21, v7
	s_or_b32 s5, vcc_lo, s5
	s_waitcnt vmcnt(2) lgkmcnt(0)
	v_mul_f64 v[18:19], v[12:13], v[14:15]
	v_mul_f64 v[14:15], v[10:11], v[14:15]
	s_waitcnt vmcnt(0)
	v_fma_f64 v[10:11], v[10:11], v[16:17], -v[18:19]
	v_fma_f64 v[12:13], v[12:13], v[16:17], v[14:15]
	v_add_f64 v[3:4], v[3:4], v[10:11]
	v_add_f64 v[1:2], v[1:2], v[12:13]
	s_andn2_b32 exec_lo, exec_lo, s5
	s_cbranch_execnz .LBB56_105
; %bb.106:
	s_or_b32 exec_lo, exec_lo, s5
	v_mov_b32_e32 v7, 0
	ds_read_b128 v[7:10], v7 offset:368
	s_waitcnt lgkmcnt(0)
	v_mul_f64 v[11:12], v[1:2], v[9:10]
	v_mul_f64 v[9:10], v[3:4], v[9:10]
	v_fma_f64 v[3:4], v[3:4], v[7:8], -v[11:12]
	v_fma_f64 v[1:2], v[1:2], v[7:8], v[9:10]
	buffer_store_dword v4, off, s[0:3], 0 offset:388
	buffer_store_dword v3, off, s[0:3], 0 offset:384
	;; [unrolled: 1-line block ×4, first 2 shown]
.LBB56_107:
	s_or_b32 exec_lo, exec_lo, s4
	v_mov_b32_e32 v4, s45
	s_waitcnt_vscnt null, 0x0
	s_barrier
	buffer_gl0_inv
	s_mov_b32 s4, exec_lo
	s_clause 0x3
	buffer_load_dword v1, v4, s[0:3], 0 offen
	buffer_load_dword v2, v4, s[0:3], 0 offen offset:4
	buffer_load_dword v3, v4, s[0:3], 0 offen offset:8
	;; [unrolled: 1-line block ×3, first 2 shown]
	s_waitcnt vmcnt(0)
	ds_write_b128 v5, v[1:4]
	s_waitcnt lgkmcnt(0)
	s_barrier
	buffer_gl0_inv
	v_cmpx_gt_u32_e32 24, v0
	s_cbranch_execz .LBB56_111
; %bb.108:
	v_mov_b32_e32 v1, 0
	v_mov_b32_e32 v3, 0
	v_add_nc_u32_e32 v7, -1, v0
	v_add_nc_u32_e32 v8, 0x390, v233
	v_mov_b32_e32 v2, 0
	v_mov_b32_e32 v4, 0
	v_add_nc_u32_e32 v9, 16, v233
	s_mov_b32 s5, 0
	.p2align	6
.LBB56_109:                             ; =>This Inner Loop Header: Depth=1
	s_clause 0x3
	buffer_load_dword v14, v9, s[0:3], 0 offen offset:8
	buffer_load_dword v15, v9, s[0:3], 0 offen offset:12
	buffer_load_dword v16, v9, s[0:3], 0 offen
	buffer_load_dword v17, v9, s[0:3], 0 offen offset:4
	ds_read_b128 v[10:13], v8
	v_add_nc_u32_e32 v7, 1, v7
	v_add_nc_u32_e32 v8, 16, v8
	v_add_nc_u32_e32 v9, 16, v9
	v_cmp_lt_u32_e32 vcc_lo, 22, v7
	s_or_b32 s5, vcc_lo, s5
	s_waitcnt vmcnt(2) lgkmcnt(0)
	v_mul_f64 v[18:19], v[12:13], v[14:15]
	v_mul_f64 v[14:15], v[10:11], v[14:15]
	s_waitcnt vmcnt(0)
	v_fma_f64 v[10:11], v[10:11], v[16:17], -v[18:19]
	v_fma_f64 v[12:13], v[12:13], v[16:17], v[14:15]
	v_add_f64 v[3:4], v[3:4], v[10:11]
	v_add_f64 v[1:2], v[1:2], v[12:13]
	s_andn2_b32 exec_lo, exec_lo, s5
	s_cbranch_execnz .LBB56_109
; %bb.110:
	s_or_b32 exec_lo, exec_lo, s5
	v_mov_b32_e32 v7, 0
	ds_read_b128 v[7:10], v7 offset:384
	s_waitcnt lgkmcnt(0)
	v_mul_f64 v[11:12], v[1:2], v[9:10]
	v_mul_f64 v[9:10], v[3:4], v[9:10]
	v_fma_f64 v[3:4], v[3:4], v[7:8], -v[11:12]
	v_fma_f64 v[1:2], v[1:2], v[7:8], v[9:10]
	buffer_store_dword v4, off, s[0:3], 0 offset:404
	buffer_store_dword v3, off, s[0:3], 0 offset:400
	;; [unrolled: 1-line block ×4, first 2 shown]
.LBB56_111:
	s_or_b32 exec_lo, exec_lo, s4
	v_mov_b32_e32 v4, s44
	s_waitcnt_vscnt null, 0x0
	s_barrier
	buffer_gl0_inv
	s_mov_b32 s4, exec_lo
	s_clause 0x3
	buffer_load_dword v1, v4, s[0:3], 0 offen
	buffer_load_dword v2, v4, s[0:3], 0 offen offset:4
	buffer_load_dword v3, v4, s[0:3], 0 offen offset:8
	;; [unrolled: 1-line block ×3, first 2 shown]
	s_waitcnt vmcnt(0)
	ds_write_b128 v5, v[1:4]
	s_waitcnt lgkmcnt(0)
	s_barrier
	buffer_gl0_inv
	v_cmpx_gt_u32_e32 25, v0
	s_cbranch_execz .LBB56_115
; %bb.112:
	v_mov_b32_e32 v1, 0
	v_mov_b32_e32 v3, 0
	v_add_nc_u32_e32 v7, -1, v0
	v_add_nc_u32_e32 v8, 0x390, v233
	v_mov_b32_e32 v2, 0
	v_mov_b32_e32 v4, 0
	v_add_nc_u32_e32 v9, 16, v233
	s_mov_b32 s5, 0
	.p2align	6
.LBB56_113:                             ; =>This Inner Loop Header: Depth=1
	s_clause 0x3
	buffer_load_dword v14, v9, s[0:3], 0 offen offset:8
	buffer_load_dword v15, v9, s[0:3], 0 offen offset:12
	buffer_load_dword v16, v9, s[0:3], 0 offen
	buffer_load_dword v17, v9, s[0:3], 0 offen offset:4
	ds_read_b128 v[10:13], v8
	v_add_nc_u32_e32 v7, 1, v7
	v_add_nc_u32_e32 v8, 16, v8
	;; [unrolled: 1-line block ×3, first 2 shown]
	v_cmp_lt_u32_e32 vcc_lo, 23, v7
	s_or_b32 s5, vcc_lo, s5
	s_waitcnt vmcnt(2) lgkmcnt(0)
	v_mul_f64 v[18:19], v[12:13], v[14:15]
	v_mul_f64 v[14:15], v[10:11], v[14:15]
	s_waitcnt vmcnt(0)
	v_fma_f64 v[10:11], v[10:11], v[16:17], -v[18:19]
	v_fma_f64 v[12:13], v[12:13], v[16:17], v[14:15]
	v_add_f64 v[3:4], v[3:4], v[10:11]
	v_add_f64 v[1:2], v[1:2], v[12:13]
	s_andn2_b32 exec_lo, exec_lo, s5
	s_cbranch_execnz .LBB56_113
; %bb.114:
	s_or_b32 exec_lo, exec_lo, s5
	v_mov_b32_e32 v7, 0
	ds_read_b128 v[7:10], v7 offset:400
	s_waitcnt lgkmcnt(0)
	v_mul_f64 v[11:12], v[1:2], v[9:10]
	v_mul_f64 v[9:10], v[3:4], v[9:10]
	v_fma_f64 v[3:4], v[3:4], v[7:8], -v[11:12]
	v_fma_f64 v[1:2], v[1:2], v[7:8], v[9:10]
	buffer_store_dword v4, off, s[0:3], 0 offset:420
	buffer_store_dword v3, off, s[0:3], 0 offset:416
	;; [unrolled: 1-line block ×4, first 2 shown]
.LBB56_115:
	s_or_b32 exec_lo, exec_lo, s4
	v_mov_b32_e32 v4, s43
	s_waitcnt_vscnt null, 0x0
	s_barrier
	buffer_gl0_inv
	s_mov_b32 s4, exec_lo
	s_clause 0x3
	buffer_load_dword v1, v4, s[0:3], 0 offen
	buffer_load_dword v2, v4, s[0:3], 0 offen offset:4
	buffer_load_dword v3, v4, s[0:3], 0 offen offset:8
	;; [unrolled: 1-line block ×3, first 2 shown]
	s_waitcnt vmcnt(0)
	ds_write_b128 v5, v[1:4]
	s_waitcnt lgkmcnt(0)
	s_barrier
	buffer_gl0_inv
	v_cmpx_gt_u32_e32 26, v0
	s_cbranch_execz .LBB56_119
; %bb.116:
	v_mov_b32_e32 v1, 0
	v_mov_b32_e32 v3, 0
	v_add_nc_u32_e32 v7, -1, v0
	v_add_nc_u32_e32 v8, 0x390, v233
	v_mov_b32_e32 v2, 0
	v_mov_b32_e32 v4, 0
	v_add_nc_u32_e32 v9, 16, v233
	s_mov_b32 s5, 0
	.p2align	6
.LBB56_117:                             ; =>This Inner Loop Header: Depth=1
	s_clause 0x3
	buffer_load_dword v14, v9, s[0:3], 0 offen offset:8
	buffer_load_dword v15, v9, s[0:3], 0 offen offset:12
	buffer_load_dword v16, v9, s[0:3], 0 offen
	buffer_load_dword v17, v9, s[0:3], 0 offen offset:4
	ds_read_b128 v[10:13], v8
	v_add_nc_u32_e32 v7, 1, v7
	v_add_nc_u32_e32 v8, 16, v8
	;; [unrolled: 1-line block ×3, first 2 shown]
	v_cmp_lt_u32_e32 vcc_lo, 24, v7
	s_or_b32 s5, vcc_lo, s5
	s_waitcnt vmcnt(2) lgkmcnt(0)
	v_mul_f64 v[18:19], v[12:13], v[14:15]
	v_mul_f64 v[14:15], v[10:11], v[14:15]
	s_waitcnt vmcnt(0)
	v_fma_f64 v[10:11], v[10:11], v[16:17], -v[18:19]
	v_fma_f64 v[12:13], v[12:13], v[16:17], v[14:15]
	v_add_f64 v[3:4], v[3:4], v[10:11]
	v_add_f64 v[1:2], v[1:2], v[12:13]
	s_andn2_b32 exec_lo, exec_lo, s5
	s_cbranch_execnz .LBB56_117
; %bb.118:
	s_or_b32 exec_lo, exec_lo, s5
	v_mov_b32_e32 v7, 0
	ds_read_b128 v[7:10], v7 offset:416
	s_waitcnt lgkmcnt(0)
	v_mul_f64 v[11:12], v[1:2], v[9:10]
	v_mul_f64 v[9:10], v[3:4], v[9:10]
	v_fma_f64 v[3:4], v[3:4], v[7:8], -v[11:12]
	v_fma_f64 v[1:2], v[1:2], v[7:8], v[9:10]
	buffer_store_dword v4, off, s[0:3], 0 offset:436
	buffer_store_dword v3, off, s[0:3], 0 offset:432
	;; [unrolled: 1-line block ×4, first 2 shown]
.LBB56_119:
	s_or_b32 exec_lo, exec_lo, s4
	v_mov_b32_e32 v4, s42
	s_waitcnt_vscnt null, 0x0
	s_barrier
	buffer_gl0_inv
	s_mov_b32 s4, exec_lo
	s_clause 0x3
	buffer_load_dword v1, v4, s[0:3], 0 offen
	buffer_load_dword v2, v4, s[0:3], 0 offen offset:4
	buffer_load_dword v3, v4, s[0:3], 0 offen offset:8
	;; [unrolled: 1-line block ×3, first 2 shown]
	s_waitcnt vmcnt(0)
	ds_write_b128 v5, v[1:4]
	s_waitcnt lgkmcnt(0)
	s_barrier
	buffer_gl0_inv
	v_cmpx_gt_u32_e32 27, v0
	s_cbranch_execz .LBB56_123
; %bb.120:
	v_mov_b32_e32 v1, 0
	v_mov_b32_e32 v3, 0
	v_add_nc_u32_e32 v7, -1, v0
	v_add_nc_u32_e32 v8, 0x390, v233
	v_mov_b32_e32 v2, 0
	v_mov_b32_e32 v4, 0
	v_add_nc_u32_e32 v9, 16, v233
	s_mov_b32 s5, 0
	.p2align	6
.LBB56_121:                             ; =>This Inner Loop Header: Depth=1
	s_clause 0x3
	buffer_load_dword v14, v9, s[0:3], 0 offen offset:8
	buffer_load_dword v15, v9, s[0:3], 0 offen offset:12
	buffer_load_dword v16, v9, s[0:3], 0 offen
	buffer_load_dword v17, v9, s[0:3], 0 offen offset:4
	ds_read_b128 v[10:13], v8
	v_add_nc_u32_e32 v7, 1, v7
	v_add_nc_u32_e32 v8, 16, v8
	;; [unrolled: 1-line block ×3, first 2 shown]
	v_cmp_lt_u32_e32 vcc_lo, 25, v7
	s_or_b32 s5, vcc_lo, s5
	s_waitcnt vmcnt(2) lgkmcnt(0)
	v_mul_f64 v[18:19], v[12:13], v[14:15]
	v_mul_f64 v[14:15], v[10:11], v[14:15]
	s_waitcnt vmcnt(0)
	v_fma_f64 v[10:11], v[10:11], v[16:17], -v[18:19]
	v_fma_f64 v[12:13], v[12:13], v[16:17], v[14:15]
	v_add_f64 v[3:4], v[3:4], v[10:11]
	v_add_f64 v[1:2], v[1:2], v[12:13]
	s_andn2_b32 exec_lo, exec_lo, s5
	s_cbranch_execnz .LBB56_121
; %bb.122:
	s_or_b32 exec_lo, exec_lo, s5
	v_mov_b32_e32 v7, 0
	ds_read_b128 v[7:10], v7 offset:432
	s_waitcnt lgkmcnt(0)
	v_mul_f64 v[11:12], v[1:2], v[9:10]
	v_mul_f64 v[9:10], v[3:4], v[9:10]
	v_fma_f64 v[3:4], v[3:4], v[7:8], -v[11:12]
	v_fma_f64 v[1:2], v[1:2], v[7:8], v[9:10]
	buffer_store_dword v4, off, s[0:3], 0 offset:452
	buffer_store_dword v3, off, s[0:3], 0 offset:448
	;; [unrolled: 1-line block ×4, first 2 shown]
.LBB56_123:
	s_or_b32 exec_lo, exec_lo, s4
	v_mov_b32_e32 v4, s41
	s_waitcnt_vscnt null, 0x0
	s_barrier
	buffer_gl0_inv
	s_mov_b32 s4, exec_lo
	s_clause 0x3
	buffer_load_dword v1, v4, s[0:3], 0 offen
	buffer_load_dword v2, v4, s[0:3], 0 offen offset:4
	buffer_load_dword v3, v4, s[0:3], 0 offen offset:8
	;; [unrolled: 1-line block ×3, first 2 shown]
	s_waitcnt vmcnt(0)
	ds_write_b128 v5, v[1:4]
	s_waitcnt lgkmcnt(0)
	s_barrier
	buffer_gl0_inv
	v_cmpx_gt_u32_e32 28, v0
	s_cbranch_execz .LBB56_127
; %bb.124:
	v_mov_b32_e32 v1, 0
	v_mov_b32_e32 v3, 0
	v_add_nc_u32_e32 v7, -1, v0
	v_add_nc_u32_e32 v8, 0x390, v233
	v_mov_b32_e32 v2, 0
	v_mov_b32_e32 v4, 0
	v_add_nc_u32_e32 v9, 16, v233
	s_mov_b32 s5, 0
	.p2align	6
.LBB56_125:                             ; =>This Inner Loop Header: Depth=1
	s_clause 0x3
	buffer_load_dword v14, v9, s[0:3], 0 offen offset:8
	buffer_load_dword v15, v9, s[0:3], 0 offen offset:12
	buffer_load_dword v16, v9, s[0:3], 0 offen
	buffer_load_dword v17, v9, s[0:3], 0 offen offset:4
	ds_read_b128 v[10:13], v8
	v_add_nc_u32_e32 v7, 1, v7
	v_add_nc_u32_e32 v8, 16, v8
	;; [unrolled: 1-line block ×3, first 2 shown]
	v_cmp_lt_u32_e32 vcc_lo, 26, v7
	s_or_b32 s5, vcc_lo, s5
	s_waitcnt vmcnt(2) lgkmcnt(0)
	v_mul_f64 v[18:19], v[12:13], v[14:15]
	v_mul_f64 v[14:15], v[10:11], v[14:15]
	s_waitcnt vmcnt(0)
	v_fma_f64 v[10:11], v[10:11], v[16:17], -v[18:19]
	v_fma_f64 v[12:13], v[12:13], v[16:17], v[14:15]
	v_add_f64 v[3:4], v[3:4], v[10:11]
	v_add_f64 v[1:2], v[1:2], v[12:13]
	s_andn2_b32 exec_lo, exec_lo, s5
	s_cbranch_execnz .LBB56_125
; %bb.126:
	s_or_b32 exec_lo, exec_lo, s5
	v_mov_b32_e32 v7, 0
	ds_read_b128 v[7:10], v7 offset:448
	s_waitcnt lgkmcnt(0)
	v_mul_f64 v[11:12], v[1:2], v[9:10]
	v_mul_f64 v[9:10], v[3:4], v[9:10]
	v_fma_f64 v[3:4], v[3:4], v[7:8], -v[11:12]
	v_fma_f64 v[1:2], v[1:2], v[7:8], v[9:10]
	buffer_store_dword v4, off, s[0:3], 0 offset:468
	buffer_store_dword v3, off, s[0:3], 0 offset:464
	;; [unrolled: 1-line block ×4, first 2 shown]
.LBB56_127:
	s_or_b32 exec_lo, exec_lo, s4
	v_mov_b32_e32 v4, s40
	s_waitcnt_vscnt null, 0x0
	s_barrier
	buffer_gl0_inv
	s_mov_b32 s4, exec_lo
	s_clause 0x3
	buffer_load_dword v1, v4, s[0:3], 0 offen
	buffer_load_dword v2, v4, s[0:3], 0 offen offset:4
	buffer_load_dword v3, v4, s[0:3], 0 offen offset:8
	buffer_load_dword v4, v4, s[0:3], 0 offen offset:12
	s_waitcnt vmcnt(0)
	ds_write_b128 v5, v[1:4]
	s_waitcnt lgkmcnt(0)
	s_barrier
	buffer_gl0_inv
	v_cmpx_gt_u32_e32 29, v0
	s_cbranch_execz .LBB56_131
; %bb.128:
	v_mov_b32_e32 v1, 0
	v_mov_b32_e32 v3, 0
	v_add_nc_u32_e32 v7, -1, v0
	v_add_nc_u32_e32 v8, 0x390, v233
	v_mov_b32_e32 v2, 0
	v_mov_b32_e32 v4, 0
	v_add_nc_u32_e32 v9, 16, v233
	s_mov_b32 s5, 0
	.p2align	6
.LBB56_129:                             ; =>This Inner Loop Header: Depth=1
	s_clause 0x3
	buffer_load_dword v14, v9, s[0:3], 0 offen offset:8
	buffer_load_dword v15, v9, s[0:3], 0 offen offset:12
	buffer_load_dword v16, v9, s[0:3], 0 offen
	buffer_load_dword v17, v9, s[0:3], 0 offen offset:4
	ds_read_b128 v[10:13], v8
	v_add_nc_u32_e32 v7, 1, v7
	v_add_nc_u32_e32 v8, 16, v8
	;; [unrolled: 1-line block ×3, first 2 shown]
	v_cmp_lt_u32_e32 vcc_lo, 27, v7
	s_or_b32 s5, vcc_lo, s5
	s_waitcnt vmcnt(2) lgkmcnt(0)
	v_mul_f64 v[18:19], v[12:13], v[14:15]
	v_mul_f64 v[14:15], v[10:11], v[14:15]
	s_waitcnt vmcnt(0)
	v_fma_f64 v[10:11], v[10:11], v[16:17], -v[18:19]
	v_fma_f64 v[12:13], v[12:13], v[16:17], v[14:15]
	v_add_f64 v[3:4], v[3:4], v[10:11]
	v_add_f64 v[1:2], v[1:2], v[12:13]
	s_andn2_b32 exec_lo, exec_lo, s5
	s_cbranch_execnz .LBB56_129
; %bb.130:
	s_or_b32 exec_lo, exec_lo, s5
	v_mov_b32_e32 v7, 0
	ds_read_b128 v[7:10], v7 offset:464
	s_waitcnt lgkmcnt(0)
	v_mul_f64 v[11:12], v[1:2], v[9:10]
	v_mul_f64 v[9:10], v[3:4], v[9:10]
	v_fma_f64 v[3:4], v[3:4], v[7:8], -v[11:12]
	v_fma_f64 v[1:2], v[1:2], v[7:8], v[9:10]
	buffer_store_dword v4, off, s[0:3], 0 offset:484
	buffer_store_dword v3, off, s[0:3], 0 offset:480
	;; [unrolled: 1-line block ×4, first 2 shown]
.LBB56_131:
	s_or_b32 exec_lo, exec_lo, s4
	v_mov_b32_e32 v4, s39
	s_waitcnt_vscnt null, 0x0
	s_barrier
	buffer_gl0_inv
	s_mov_b32 s4, exec_lo
	s_clause 0x3
	buffer_load_dword v1, v4, s[0:3], 0 offen
	buffer_load_dword v2, v4, s[0:3], 0 offen offset:4
	buffer_load_dword v3, v4, s[0:3], 0 offen offset:8
	;; [unrolled: 1-line block ×3, first 2 shown]
	s_waitcnt vmcnt(0)
	ds_write_b128 v5, v[1:4]
	s_waitcnt lgkmcnt(0)
	s_barrier
	buffer_gl0_inv
	v_cmpx_gt_u32_e32 30, v0
	s_cbranch_execz .LBB56_135
; %bb.132:
	v_mov_b32_e32 v1, 0
	v_mov_b32_e32 v3, 0
	v_add_nc_u32_e32 v7, -1, v0
	v_add_nc_u32_e32 v8, 0x390, v233
	v_mov_b32_e32 v2, 0
	v_mov_b32_e32 v4, 0
	v_add_nc_u32_e32 v9, 16, v233
	s_mov_b32 s5, 0
	.p2align	6
.LBB56_133:                             ; =>This Inner Loop Header: Depth=1
	s_clause 0x3
	buffer_load_dword v14, v9, s[0:3], 0 offen offset:8
	buffer_load_dword v15, v9, s[0:3], 0 offen offset:12
	buffer_load_dword v16, v9, s[0:3], 0 offen
	buffer_load_dword v17, v9, s[0:3], 0 offen offset:4
	ds_read_b128 v[10:13], v8
	v_add_nc_u32_e32 v7, 1, v7
	v_add_nc_u32_e32 v8, 16, v8
	;; [unrolled: 1-line block ×3, first 2 shown]
	v_cmp_lt_u32_e32 vcc_lo, 28, v7
	s_or_b32 s5, vcc_lo, s5
	s_waitcnt vmcnt(2) lgkmcnt(0)
	v_mul_f64 v[18:19], v[12:13], v[14:15]
	v_mul_f64 v[14:15], v[10:11], v[14:15]
	s_waitcnt vmcnt(0)
	v_fma_f64 v[10:11], v[10:11], v[16:17], -v[18:19]
	v_fma_f64 v[12:13], v[12:13], v[16:17], v[14:15]
	v_add_f64 v[3:4], v[3:4], v[10:11]
	v_add_f64 v[1:2], v[1:2], v[12:13]
	s_andn2_b32 exec_lo, exec_lo, s5
	s_cbranch_execnz .LBB56_133
; %bb.134:
	s_or_b32 exec_lo, exec_lo, s5
	v_mov_b32_e32 v7, 0
	ds_read_b128 v[7:10], v7 offset:480
	s_waitcnt lgkmcnt(0)
	v_mul_f64 v[11:12], v[1:2], v[9:10]
	v_mul_f64 v[9:10], v[3:4], v[9:10]
	v_fma_f64 v[3:4], v[3:4], v[7:8], -v[11:12]
	v_fma_f64 v[1:2], v[1:2], v[7:8], v[9:10]
	buffer_store_dword v4, off, s[0:3], 0 offset:500
	buffer_store_dword v3, off, s[0:3], 0 offset:496
	;; [unrolled: 1-line block ×4, first 2 shown]
.LBB56_135:
	s_or_b32 exec_lo, exec_lo, s4
	v_mov_b32_e32 v4, s38
	s_waitcnt_vscnt null, 0x0
	s_barrier
	buffer_gl0_inv
	s_mov_b32 s4, exec_lo
	s_clause 0x3
	buffer_load_dword v1, v4, s[0:3], 0 offen
	buffer_load_dword v2, v4, s[0:3], 0 offen offset:4
	buffer_load_dword v3, v4, s[0:3], 0 offen offset:8
	;; [unrolled: 1-line block ×3, first 2 shown]
	s_waitcnt vmcnt(0)
	ds_write_b128 v5, v[1:4]
	s_waitcnt lgkmcnt(0)
	s_barrier
	buffer_gl0_inv
	v_cmpx_gt_u32_e32 31, v0
	s_cbranch_execz .LBB56_139
; %bb.136:
	v_mov_b32_e32 v1, 0
	v_mov_b32_e32 v3, 0
	v_add_nc_u32_e32 v7, -1, v0
	v_add_nc_u32_e32 v8, 0x390, v233
	v_mov_b32_e32 v2, 0
	v_mov_b32_e32 v4, 0
	v_add_nc_u32_e32 v9, 16, v233
	s_mov_b32 s5, 0
	.p2align	6
.LBB56_137:                             ; =>This Inner Loop Header: Depth=1
	s_clause 0x3
	buffer_load_dword v14, v9, s[0:3], 0 offen offset:8
	buffer_load_dword v15, v9, s[0:3], 0 offen offset:12
	buffer_load_dword v16, v9, s[0:3], 0 offen
	buffer_load_dword v17, v9, s[0:3], 0 offen offset:4
	ds_read_b128 v[10:13], v8
	v_add_nc_u32_e32 v7, 1, v7
	v_add_nc_u32_e32 v8, 16, v8
	;; [unrolled: 1-line block ×3, first 2 shown]
	v_cmp_lt_u32_e32 vcc_lo, 29, v7
	s_or_b32 s5, vcc_lo, s5
	s_waitcnt vmcnt(2) lgkmcnt(0)
	v_mul_f64 v[18:19], v[12:13], v[14:15]
	v_mul_f64 v[14:15], v[10:11], v[14:15]
	s_waitcnt vmcnt(0)
	v_fma_f64 v[10:11], v[10:11], v[16:17], -v[18:19]
	v_fma_f64 v[12:13], v[12:13], v[16:17], v[14:15]
	v_add_f64 v[3:4], v[3:4], v[10:11]
	v_add_f64 v[1:2], v[1:2], v[12:13]
	s_andn2_b32 exec_lo, exec_lo, s5
	s_cbranch_execnz .LBB56_137
; %bb.138:
	s_or_b32 exec_lo, exec_lo, s5
	v_mov_b32_e32 v7, 0
	ds_read_b128 v[7:10], v7 offset:496
	s_waitcnt lgkmcnt(0)
	v_mul_f64 v[11:12], v[1:2], v[9:10]
	v_mul_f64 v[9:10], v[3:4], v[9:10]
	v_fma_f64 v[3:4], v[3:4], v[7:8], -v[11:12]
	v_fma_f64 v[1:2], v[1:2], v[7:8], v[9:10]
	buffer_store_dword v4, off, s[0:3], 0 offset:516
	buffer_store_dword v3, off, s[0:3], 0 offset:512
	;; [unrolled: 1-line block ×4, first 2 shown]
.LBB56_139:
	s_or_b32 exec_lo, exec_lo, s4
	v_mov_b32_e32 v4, s37
	s_waitcnt_vscnt null, 0x0
	s_barrier
	buffer_gl0_inv
	s_mov_b32 s4, exec_lo
	s_clause 0x3
	buffer_load_dword v1, v4, s[0:3], 0 offen
	buffer_load_dword v2, v4, s[0:3], 0 offen offset:4
	buffer_load_dword v3, v4, s[0:3], 0 offen offset:8
	;; [unrolled: 1-line block ×3, first 2 shown]
	s_waitcnt vmcnt(0)
	ds_write_b128 v5, v[1:4]
	s_waitcnt lgkmcnt(0)
	s_barrier
	buffer_gl0_inv
	v_cmpx_gt_u32_e32 32, v0
	s_cbranch_execz .LBB56_143
; %bb.140:
	v_mov_b32_e32 v1, 0
	v_mov_b32_e32 v3, 0
	v_add_nc_u32_e32 v7, -1, v0
	v_add_nc_u32_e32 v8, 0x390, v233
	v_mov_b32_e32 v2, 0
	v_mov_b32_e32 v4, 0
	v_add_nc_u32_e32 v9, 16, v233
	s_mov_b32 s5, 0
	.p2align	6
.LBB56_141:                             ; =>This Inner Loop Header: Depth=1
	s_clause 0x3
	buffer_load_dword v14, v9, s[0:3], 0 offen offset:8
	buffer_load_dword v15, v9, s[0:3], 0 offen offset:12
	buffer_load_dword v16, v9, s[0:3], 0 offen
	buffer_load_dword v17, v9, s[0:3], 0 offen offset:4
	ds_read_b128 v[10:13], v8
	v_add_nc_u32_e32 v7, 1, v7
	v_add_nc_u32_e32 v8, 16, v8
	;; [unrolled: 1-line block ×3, first 2 shown]
	v_cmp_lt_u32_e32 vcc_lo, 30, v7
	s_or_b32 s5, vcc_lo, s5
	s_waitcnt vmcnt(2) lgkmcnt(0)
	v_mul_f64 v[18:19], v[12:13], v[14:15]
	v_mul_f64 v[14:15], v[10:11], v[14:15]
	s_waitcnt vmcnt(0)
	v_fma_f64 v[10:11], v[10:11], v[16:17], -v[18:19]
	v_fma_f64 v[12:13], v[12:13], v[16:17], v[14:15]
	v_add_f64 v[3:4], v[3:4], v[10:11]
	v_add_f64 v[1:2], v[1:2], v[12:13]
	s_andn2_b32 exec_lo, exec_lo, s5
	s_cbranch_execnz .LBB56_141
; %bb.142:
	s_or_b32 exec_lo, exec_lo, s5
	v_mov_b32_e32 v7, 0
	ds_read_b128 v[7:10], v7 offset:512
	s_waitcnt lgkmcnt(0)
	v_mul_f64 v[11:12], v[1:2], v[9:10]
	v_mul_f64 v[9:10], v[3:4], v[9:10]
	v_fma_f64 v[3:4], v[3:4], v[7:8], -v[11:12]
	v_fma_f64 v[1:2], v[1:2], v[7:8], v[9:10]
	buffer_store_dword v4, off, s[0:3], 0 offset:532
	buffer_store_dword v3, off, s[0:3], 0 offset:528
	;; [unrolled: 1-line block ×4, first 2 shown]
.LBB56_143:
	s_or_b32 exec_lo, exec_lo, s4
	v_mov_b32_e32 v4, s36
	s_waitcnt_vscnt null, 0x0
	s_barrier
	buffer_gl0_inv
	s_mov_b32 s4, exec_lo
	s_clause 0x3
	buffer_load_dword v1, v4, s[0:3], 0 offen
	buffer_load_dword v2, v4, s[0:3], 0 offen offset:4
	buffer_load_dword v3, v4, s[0:3], 0 offen offset:8
	;; [unrolled: 1-line block ×3, first 2 shown]
	s_waitcnt vmcnt(0)
	ds_write_b128 v5, v[1:4]
	s_waitcnt lgkmcnt(0)
	s_barrier
	buffer_gl0_inv
	v_cmpx_gt_u32_e32 33, v0
	s_cbranch_execz .LBB56_147
; %bb.144:
	v_mov_b32_e32 v1, 0
	v_mov_b32_e32 v3, 0
	v_add_nc_u32_e32 v7, -1, v0
	v_add_nc_u32_e32 v8, 0x390, v233
	v_mov_b32_e32 v2, 0
	v_mov_b32_e32 v4, 0
	v_add_nc_u32_e32 v9, 16, v233
	s_mov_b32 s5, 0
	.p2align	6
.LBB56_145:                             ; =>This Inner Loop Header: Depth=1
	s_clause 0x3
	buffer_load_dword v14, v9, s[0:3], 0 offen offset:8
	buffer_load_dword v15, v9, s[0:3], 0 offen offset:12
	buffer_load_dword v16, v9, s[0:3], 0 offen
	buffer_load_dword v17, v9, s[0:3], 0 offen offset:4
	ds_read_b128 v[10:13], v8
	v_add_nc_u32_e32 v7, 1, v7
	v_add_nc_u32_e32 v8, 16, v8
	;; [unrolled: 1-line block ×3, first 2 shown]
	v_cmp_lt_u32_e32 vcc_lo, 31, v7
	s_or_b32 s5, vcc_lo, s5
	s_waitcnt vmcnt(2) lgkmcnt(0)
	v_mul_f64 v[18:19], v[12:13], v[14:15]
	v_mul_f64 v[14:15], v[10:11], v[14:15]
	s_waitcnt vmcnt(0)
	v_fma_f64 v[10:11], v[10:11], v[16:17], -v[18:19]
	v_fma_f64 v[12:13], v[12:13], v[16:17], v[14:15]
	v_add_f64 v[3:4], v[3:4], v[10:11]
	v_add_f64 v[1:2], v[1:2], v[12:13]
	s_andn2_b32 exec_lo, exec_lo, s5
	s_cbranch_execnz .LBB56_145
; %bb.146:
	s_or_b32 exec_lo, exec_lo, s5
	v_mov_b32_e32 v7, 0
	ds_read_b128 v[7:10], v7 offset:528
	s_waitcnt lgkmcnt(0)
	v_mul_f64 v[11:12], v[1:2], v[9:10]
	v_mul_f64 v[9:10], v[3:4], v[9:10]
	v_fma_f64 v[3:4], v[3:4], v[7:8], -v[11:12]
	v_fma_f64 v[1:2], v[1:2], v[7:8], v[9:10]
	buffer_store_dword v4, off, s[0:3], 0 offset:548
	buffer_store_dword v3, off, s[0:3], 0 offset:544
	;; [unrolled: 1-line block ×4, first 2 shown]
.LBB56_147:
	s_or_b32 exec_lo, exec_lo, s4
	v_mov_b32_e32 v4, s35
	s_waitcnt_vscnt null, 0x0
	s_barrier
	buffer_gl0_inv
	s_mov_b32 s4, exec_lo
	s_clause 0x3
	buffer_load_dword v1, v4, s[0:3], 0 offen
	buffer_load_dword v2, v4, s[0:3], 0 offen offset:4
	buffer_load_dword v3, v4, s[0:3], 0 offen offset:8
	;; [unrolled: 1-line block ×3, first 2 shown]
	s_waitcnt vmcnt(0)
	ds_write_b128 v5, v[1:4]
	s_waitcnt lgkmcnt(0)
	s_barrier
	buffer_gl0_inv
	v_cmpx_gt_u32_e32 34, v0
	s_cbranch_execz .LBB56_151
; %bb.148:
	v_mov_b32_e32 v1, 0
	v_mov_b32_e32 v3, 0
	v_add_nc_u32_e32 v7, -1, v0
	v_add_nc_u32_e32 v8, 0x390, v233
	v_mov_b32_e32 v2, 0
	v_mov_b32_e32 v4, 0
	v_add_nc_u32_e32 v9, 16, v233
	s_mov_b32 s5, 0
	.p2align	6
.LBB56_149:                             ; =>This Inner Loop Header: Depth=1
	s_clause 0x3
	buffer_load_dword v14, v9, s[0:3], 0 offen offset:8
	buffer_load_dword v15, v9, s[0:3], 0 offen offset:12
	buffer_load_dword v16, v9, s[0:3], 0 offen
	buffer_load_dword v17, v9, s[0:3], 0 offen offset:4
	ds_read_b128 v[10:13], v8
	v_add_nc_u32_e32 v7, 1, v7
	v_add_nc_u32_e32 v8, 16, v8
	;; [unrolled: 1-line block ×3, first 2 shown]
	v_cmp_lt_u32_e32 vcc_lo, 32, v7
	s_or_b32 s5, vcc_lo, s5
	s_waitcnt vmcnt(2) lgkmcnt(0)
	v_mul_f64 v[18:19], v[12:13], v[14:15]
	v_mul_f64 v[14:15], v[10:11], v[14:15]
	s_waitcnt vmcnt(0)
	v_fma_f64 v[10:11], v[10:11], v[16:17], -v[18:19]
	v_fma_f64 v[12:13], v[12:13], v[16:17], v[14:15]
	v_add_f64 v[3:4], v[3:4], v[10:11]
	v_add_f64 v[1:2], v[1:2], v[12:13]
	s_andn2_b32 exec_lo, exec_lo, s5
	s_cbranch_execnz .LBB56_149
; %bb.150:
	s_or_b32 exec_lo, exec_lo, s5
	v_mov_b32_e32 v7, 0
	ds_read_b128 v[7:10], v7 offset:544
	s_waitcnt lgkmcnt(0)
	v_mul_f64 v[11:12], v[1:2], v[9:10]
	v_mul_f64 v[9:10], v[3:4], v[9:10]
	v_fma_f64 v[3:4], v[3:4], v[7:8], -v[11:12]
	v_fma_f64 v[1:2], v[1:2], v[7:8], v[9:10]
	buffer_store_dword v4, off, s[0:3], 0 offset:564
	buffer_store_dword v3, off, s[0:3], 0 offset:560
	;; [unrolled: 1-line block ×4, first 2 shown]
.LBB56_151:
	s_or_b32 exec_lo, exec_lo, s4
	v_mov_b32_e32 v4, s34
	s_waitcnt_vscnt null, 0x0
	s_barrier
	buffer_gl0_inv
	s_mov_b32 s4, exec_lo
	s_clause 0x3
	buffer_load_dword v1, v4, s[0:3], 0 offen
	buffer_load_dword v2, v4, s[0:3], 0 offen offset:4
	buffer_load_dword v3, v4, s[0:3], 0 offen offset:8
	;; [unrolled: 1-line block ×3, first 2 shown]
	s_waitcnt vmcnt(0)
	ds_write_b128 v5, v[1:4]
	s_waitcnt lgkmcnt(0)
	s_barrier
	buffer_gl0_inv
	v_cmpx_gt_u32_e32 35, v0
	s_cbranch_execz .LBB56_155
; %bb.152:
	v_mov_b32_e32 v1, 0
	v_mov_b32_e32 v3, 0
	v_add_nc_u32_e32 v7, -1, v0
	v_add_nc_u32_e32 v8, 0x390, v233
	v_mov_b32_e32 v2, 0
	v_mov_b32_e32 v4, 0
	v_add_nc_u32_e32 v9, 16, v233
	s_mov_b32 s5, 0
	.p2align	6
.LBB56_153:                             ; =>This Inner Loop Header: Depth=1
	s_clause 0x3
	buffer_load_dword v14, v9, s[0:3], 0 offen offset:8
	buffer_load_dword v15, v9, s[0:3], 0 offen offset:12
	buffer_load_dword v16, v9, s[0:3], 0 offen
	buffer_load_dword v17, v9, s[0:3], 0 offen offset:4
	ds_read_b128 v[10:13], v8
	v_add_nc_u32_e32 v7, 1, v7
	v_add_nc_u32_e32 v8, 16, v8
	;; [unrolled: 1-line block ×3, first 2 shown]
	v_cmp_lt_u32_e32 vcc_lo, 33, v7
	s_or_b32 s5, vcc_lo, s5
	s_waitcnt vmcnt(2) lgkmcnt(0)
	v_mul_f64 v[18:19], v[12:13], v[14:15]
	v_mul_f64 v[14:15], v[10:11], v[14:15]
	s_waitcnt vmcnt(0)
	v_fma_f64 v[10:11], v[10:11], v[16:17], -v[18:19]
	v_fma_f64 v[12:13], v[12:13], v[16:17], v[14:15]
	v_add_f64 v[3:4], v[3:4], v[10:11]
	v_add_f64 v[1:2], v[1:2], v[12:13]
	s_andn2_b32 exec_lo, exec_lo, s5
	s_cbranch_execnz .LBB56_153
; %bb.154:
	s_or_b32 exec_lo, exec_lo, s5
	v_mov_b32_e32 v7, 0
	ds_read_b128 v[7:10], v7 offset:560
	s_waitcnt lgkmcnt(0)
	v_mul_f64 v[11:12], v[1:2], v[9:10]
	v_mul_f64 v[9:10], v[3:4], v[9:10]
	v_fma_f64 v[3:4], v[3:4], v[7:8], -v[11:12]
	v_fma_f64 v[1:2], v[1:2], v[7:8], v[9:10]
	buffer_store_dword v4, off, s[0:3], 0 offset:580
	buffer_store_dword v3, off, s[0:3], 0 offset:576
	;; [unrolled: 1-line block ×4, first 2 shown]
.LBB56_155:
	s_or_b32 exec_lo, exec_lo, s4
	v_mov_b32_e32 v4, s33
	s_waitcnt_vscnt null, 0x0
	s_barrier
	buffer_gl0_inv
	s_mov_b32 s4, exec_lo
	s_clause 0x3
	buffer_load_dword v1, v4, s[0:3], 0 offen
	buffer_load_dword v2, v4, s[0:3], 0 offen offset:4
	buffer_load_dword v3, v4, s[0:3], 0 offen offset:8
	;; [unrolled: 1-line block ×3, first 2 shown]
	s_waitcnt vmcnt(0)
	ds_write_b128 v5, v[1:4]
	s_waitcnt lgkmcnt(0)
	s_barrier
	buffer_gl0_inv
	v_cmpx_gt_u32_e32 36, v0
	s_cbranch_execz .LBB56_159
; %bb.156:
	v_mov_b32_e32 v1, 0
	v_mov_b32_e32 v3, 0
	v_add_nc_u32_e32 v7, -1, v0
	v_add_nc_u32_e32 v8, 0x390, v233
	v_mov_b32_e32 v2, 0
	v_mov_b32_e32 v4, 0
	v_add_nc_u32_e32 v9, 16, v233
	s_mov_b32 s5, 0
	.p2align	6
.LBB56_157:                             ; =>This Inner Loop Header: Depth=1
	s_clause 0x3
	buffer_load_dword v14, v9, s[0:3], 0 offen offset:8
	buffer_load_dword v15, v9, s[0:3], 0 offen offset:12
	buffer_load_dword v16, v9, s[0:3], 0 offen
	buffer_load_dword v17, v9, s[0:3], 0 offen offset:4
	ds_read_b128 v[10:13], v8
	v_add_nc_u32_e32 v7, 1, v7
	v_add_nc_u32_e32 v8, 16, v8
	;; [unrolled: 1-line block ×3, first 2 shown]
	v_cmp_lt_u32_e32 vcc_lo, 34, v7
	s_or_b32 s5, vcc_lo, s5
	s_waitcnt vmcnt(2) lgkmcnt(0)
	v_mul_f64 v[18:19], v[12:13], v[14:15]
	v_mul_f64 v[14:15], v[10:11], v[14:15]
	s_waitcnt vmcnt(0)
	v_fma_f64 v[10:11], v[10:11], v[16:17], -v[18:19]
	v_fma_f64 v[12:13], v[12:13], v[16:17], v[14:15]
	v_add_f64 v[3:4], v[3:4], v[10:11]
	v_add_f64 v[1:2], v[1:2], v[12:13]
	s_andn2_b32 exec_lo, exec_lo, s5
	s_cbranch_execnz .LBB56_157
; %bb.158:
	s_or_b32 exec_lo, exec_lo, s5
	v_mov_b32_e32 v7, 0
	ds_read_b128 v[7:10], v7 offset:576
	s_waitcnt lgkmcnt(0)
	v_mul_f64 v[11:12], v[1:2], v[9:10]
	v_mul_f64 v[9:10], v[3:4], v[9:10]
	v_fma_f64 v[3:4], v[3:4], v[7:8], -v[11:12]
	v_fma_f64 v[1:2], v[1:2], v[7:8], v[9:10]
	buffer_store_dword v4, off, s[0:3], 0 offset:596
	buffer_store_dword v3, off, s[0:3], 0 offset:592
	;; [unrolled: 1-line block ×4, first 2 shown]
.LBB56_159:
	s_or_b32 exec_lo, exec_lo, s4
	v_mov_b32_e32 v4, s31
	s_waitcnt_vscnt null, 0x0
	s_barrier
	buffer_gl0_inv
	s_mov_b32 s4, exec_lo
	s_clause 0x3
	buffer_load_dword v1, v4, s[0:3], 0 offen
	buffer_load_dword v2, v4, s[0:3], 0 offen offset:4
	buffer_load_dword v3, v4, s[0:3], 0 offen offset:8
	;; [unrolled: 1-line block ×3, first 2 shown]
	s_waitcnt vmcnt(0)
	ds_write_b128 v5, v[1:4]
	s_waitcnt lgkmcnt(0)
	s_barrier
	buffer_gl0_inv
	v_cmpx_gt_u32_e32 37, v0
	s_cbranch_execz .LBB56_163
; %bb.160:
	v_mov_b32_e32 v1, 0
	v_mov_b32_e32 v3, 0
	v_add_nc_u32_e32 v7, -1, v0
	v_add_nc_u32_e32 v8, 0x390, v233
	v_mov_b32_e32 v2, 0
	v_mov_b32_e32 v4, 0
	v_add_nc_u32_e32 v9, 16, v233
	s_mov_b32 s5, 0
	.p2align	6
.LBB56_161:                             ; =>This Inner Loop Header: Depth=1
	s_clause 0x3
	buffer_load_dword v14, v9, s[0:3], 0 offen offset:8
	buffer_load_dword v15, v9, s[0:3], 0 offen offset:12
	buffer_load_dword v16, v9, s[0:3], 0 offen
	buffer_load_dword v17, v9, s[0:3], 0 offen offset:4
	ds_read_b128 v[10:13], v8
	v_add_nc_u32_e32 v7, 1, v7
	v_add_nc_u32_e32 v8, 16, v8
	;; [unrolled: 1-line block ×3, first 2 shown]
	v_cmp_lt_u32_e32 vcc_lo, 35, v7
	s_or_b32 s5, vcc_lo, s5
	s_waitcnt vmcnt(2) lgkmcnt(0)
	v_mul_f64 v[18:19], v[12:13], v[14:15]
	v_mul_f64 v[14:15], v[10:11], v[14:15]
	s_waitcnt vmcnt(0)
	v_fma_f64 v[10:11], v[10:11], v[16:17], -v[18:19]
	v_fma_f64 v[12:13], v[12:13], v[16:17], v[14:15]
	v_add_f64 v[3:4], v[3:4], v[10:11]
	v_add_f64 v[1:2], v[1:2], v[12:13]
	s_andn2_b32 exec_lo, exec_lo, s5
	s_cbranch_execnz .LBB56_161
; %bb.162:
	s_or_b32 exec_lo, exec_lo, s5
	v_mov_b32_e32 v7, 0
	ds_read_b128 v[7:10], v7 offset:592
	s_waitcnt lgkmcnt(0)
	v_mul_f64 v[11:12], v[1:2], v[9:10]
	v_mul_f64 v[9:10], v[3:4], v[9:10]
	v_fma_f64 v[3:4], v[3:4], v[7:8], -v[11:12]
	v_fma_f64 v[1:2], v[1:2], v[7:8], v[9:10]
	buffer_store_dword v4, off, s[0:3], 0 offset:612
	buffer_store_dword v3, off, s[0:3], 0 offset:608
	buffer_store_dword v2, off, s[0:3], 0 offset:620
	buffer_store_dword v1, off, s[0:3], 0 offset:616
.LBB56_163:
	s_or_b32 exec_lo, exec_lo, s4
	v_mov_b32_e32 v4, s30
	s_waitcnt_vscnt null, 0x0
	s_barrier
	buffer_gl0_inv
	s_mov_b32 s4, exec_lo
	s_clause 0x3
	buffer_load_dword v1, v4, s[0:3], 0 offen
	buffer_load_dword v2, v4, s[0:3], 0 offen offset:4
	buffer_load_dword v3, v4, s[0:3], 0 offen offset:8
	;; [unrolled: 1-line block ×3, first 2 shown]
	s_waitcnt vmcnt(0)
	ds_write_b128 v5, v[1:4]
	s_waitcnt lgkmcnt(0)
	s_barrier
	buffer_gl0_inv
	v_cmpx_gt_u32_e32 38, v0
	s_cbranch_execz .LBB56_167
; %bb.164:
	v_mov_b32_e32 v1, 0
	v_mov_b32_e32 v3, 0
	v_add_nc_u32_e32 v7, -1, v0
	v_add_nc_u32_e32 v8, 0x390, v233
	v_mov_b32_e32 v2, 0
	v_mov_b32_e32 v4, 0
	v_add_nc_u32_e32 v9, 16, v233
	s_mov_b32 s5, 0
	.p2align	6
.LBB56_165:                             ; =>This Inner Loop Header: Depth=1
	s_clause 0x3
	buffer_load_dword v14, v9, s[0:3], 0 offen offset:8
	buffer_load_dword v15, v9, s[0:3], 0 offen offset:12
	buffer_load_dword v16, v9, s[0:3], 0 offen
	buffer_load_dword v17, v9, s[0:3], 0 offen offset:4
	ds_read_b128 v[10:13], v8
	v_add_nc_u32_e32 v7, 1, v7
	v_add_nc_u32_e32 v8, 16, v8
	;; [unrolled: 1-line block ×3, first 2 shown]
	v_cmp_lt_u32_e32 vcc_lo, 36, v7
	s_or_b32 s5, vcc_lo, s5
	s_waitcnt vmcnt(2) lgkmcnt(0)
	v_mul_f64 v[18:19], v[12:13], v[14:15]
	v_mul_f64 v[14:15], v[10:11], v[14:15]
	s_waitcnt vmcnt(0)
	v_fma_f64 v[10:11], v[10:11], v[16:17], -v[18:19]
	v_fma_f64 v[12:13], v[12:13], v[16:17], v[14:15]
	v_add_f64 v[3:4], v[3:4], v[10:11]
	v_add_f64 v[1:2], v[1:2], v[12:13]
	s_andn2_b32 exec_lo, exec_lo, s5
	s_cbranch_execnz .LBB56_165
; %bb.166:
	s_or_b32 exec_lo, exec_lo, s5
	v_mov_b32_e32 v7, 0
	ds_read_b128 v[7:10], v7 offset:608
	s_waitcnt lgkmcnt(0)
	v_mul_f64 v[11:12], v[1:2], v[9:10]
	v_mul_f64 v[9:10], v[3:4], v[9:10]
	v_fma_f64 v[3:4], v[3:4], v[7:8], -v[11:12]
	v_fma_f64 v[1:2], v[1:2], v[7:8], v[9:10]
	buffer_store_dword v4, off, s[0:3], 0 offset:628
	buffer_store_dword v3, off, s[0:3], 0 offset:624
	;; [unrolled: 1-line block ×4, first 2 shown]
.LBB56_167:
	s_or_b32 exec_lo, exec_lo, s4
	v_mov_b32_e32 v4, s29
	s_waitcnt_vscnt null, 0x0
	s_barrier
	buffer_gl0_inv
	s_mov_b32 s4, exec_lo
	s_clause 0x3
	buffer_load_dword v1, v4, s[0:3], 0 offen
	buffer_load_dword v2, v4, s[0:3], 0 offen offset:4
	buffer_load_dword v3, v4, s[0:3], 0 offen offset:8
	;; [unrolled: 1-line block ×3, first 2 shown]
	s_waitcnt vmcnt(0)
	ds_write_b128 v5, v[1:4]
	s_waitcnt lgkmcnt(0)
	s_barrier
	buffer_gl0_inv
	v_cmpx_gt_u32_e32 39, v0
	s_cbranch_execz .LBB56_171
; %bb.168:
	v_mov_b32_e32 v1, 0
	v_mov_b32_e32 v3, 0
	v_add_nc_u32_e32 v7, -1, v0
	v_add_nc_u32_e32 v8, 0x390, v233
	v_mov_b32_e32 v2, 0
	v_mov_b32_e32 v4, 0
	v_add_nc_u32_e32 v9, 16, v233
	s_mov_b32 s5, 0
	.p2align	6
.LBB56_169:                             ; =>This Inner Loop Header: Depth=1
	s_clause 0x3
	buffer_load_dword v14, v9, s[0:3], 0 offen offset:8
	buffer_load_dword v15, v9, s[0:3], 0 offen offset:12
	buffer_load_dword v16, v9, s[0:3], 0 offen
	buffer_load_dword v17, v9, s[0:3], 0 offen offset:4
	ds_read_b128 v[10:13], v8
	v_add_nc_u32_e32 v7, 1, v7
	v_add_nc_u32_e32 v8, 16, v8
	v_add_nc_u32_e32 v9, 16, v9
	v_cmp_lt_u32_e32 vcc_lo, 37, v7
	s_or_b32 s5, vcc_lo, s5
	s_waitcnt vmcnt(2) lgkmcnt(0)
	v_mul_f64 v[18:19], v[12:13], v[14:15]
	v_mul_f64 v[14:15], v[10:11], v[14:15]
	s_waitcnt vmcnt(0)
	v_fma_f64 v[10:11], v[10:11], v[16:17], -v[18:19]
	v_fma_f64 v[12:13], v[12:13], v[16:17], v[14:15]
	v_add_f64 v[3:4], v[3:4], v[10:11]
	v_add_f64 v[1:2], v[1:2], v[12:13]
	s_andn2_b32 exec_lo, exec_lo, s5
	s_cbranch_execnz .LBB56_169
; %bb.170:
	s_or_b32 exec_lo, exec_lo, s5
	v_mov_b32_e32 v7, 0
	ds_read_b128 v[7:10], v7 offset:624
	s_waitcnt lgkmcnt(0)
	v_mul_f64 v[11:12], v[1:2], v[9:10]
	v_mul_f64 v[9:10], v[3:4], v[9:10]
	v_fma_f64 v[3:4], v[3:4], v[7:8], -v[11:12]
	v_fma_f64 v[1:2], v[1:2], v[7:8], v[9:10]
	buffer_store_dword v4, off, s[0:3], 0 offset:644
	buffer_store_dword v3, off, s[0:3], 0 offset:640
	;; [unrolled: 1-line block ×4, first 2 shown]
.LBB56_171:
	s_or_b32 exec_lo, exec_lo, s4
	v_mov_b32_e32 v4, s28
	s_waitcnt_vscnt null, 0x0
	s_barrier
	buffer_gl0_inv
	s_mov_b32 s4, exec_lo
	s_clause 0x3
	buffer_load_dword v1, v4, s[0:3], 0 offen
	buffer_load_dword v2, v4, s[0:3], 0 offen offset:4
	buffer_load_dword v3, v4, s[0:3], 0 offen offset:8
	;; [unrolled: 1-line block ×3, first 2 shown]
	s_waitcnt vmcnt(0)
	ds_write_b128 v5, v[1:4]
	s_waitcnt lgkmcnt(0)
	s_barrier
	buffer_gl0_inv
	v_cmpx_gt_u32_e32 40, v0
	s_cbranch_execz .LBB56_175
; %bb.172:
	v_mov_b32_e32 v1, 0
	v_mov_b32_e32 v3, 0
	v_add_nc_u32_e32 v7, -1, v0
	v_add_nc_u32_e32 v8, 0x390, v233
	v_mov_b32_e32 v2, 0
	v_mov_b32_e32 v4, 0
	v_add_nc_u32_e32 v9, 16, v233
	s_mov_b32 s5, 0
	.p2align	6
.LBB56_173:                             ; =>This Inner Loop Header: Depth=1
	s_clause 0x3
	buffer_load_dword v14, v9, s[0:3], 0 offen offset:8
	buffer_load_dword v15, v9, s[0:3], 0 offen offset:12
	buffer_load_dword v16, v9, s[0:3], 0 offen
	buffer_load_dword v17, v9, s[0:3], 0 offen offset:4
	ds_read_b128 v[10:13], v8
	v_add_nc_u32_e32 v7, 1, v7
	v_add_nc_u32_e32 v8, 16, v8
	;; [unrolled: 1-line block ×3, first 2 shown]
	v_cmp_lt_u32_e32 vcc_lo, 38, v7
	s_or_b32 s5, vcc_lo, s5
	s_waitcnt vmcnt(2) lgkmcnt(0)
	v_mul_f64 v[18:19], v[12:13], v[14:15]
	v_mul_f64 v[14:15], v[10:11], v[14:15]
	s_waitcnt vmcnt(0)
	v_fma_f64 v[10:11], v[10:11], v[16:17], -v[18:19]
	v_fma_f64 v[12:13], v[12:13], v[16:17], v[14:15]
	v_add_f64 v[3:4], v[3:4], v[10:11]
	v_add_f64 v[1:2], v[1:2], v[12:13]
	s_andn2_b32 exec_lo, exec_lo, s5
	s_cbranch_execnz .LBB56_173
; %bb.174:
	s_or_b32 exec_lo, exec_lo, s5
	v_mov_b32_e32 v7, 0
	ds_read_b128 v[7:10], v7 offset:640
	s_waitcnt lgkmcnt(0)
	v_mul_f64 v[11:12], v[1:2], v[9:10]
	v_mul_f64 v[9:10], v[3:4], v[9:10]
	v_fma_f64 v[3:4], v[3:4], v[7:8], -v[11:12]
	v_fma_f64 v[1:2], v[1:2], v[7:8], v[9:10]
	buffer_store_dword v4, off, s[0:3], 0 offset:660
	buffer_store_dword v3, off, s[0:3], 0 offset:656
	;; [unrolled: 1-line block ×4, first 2 shown]
.LBB56_175:
	s_or_b32 exec_lo, exec_lo, s4
	v_mov_b32_e32 v4, s27
	s_waitcnt_vscnt null, 0x0
	s_barrier
	buffer_gl0_inv
	s_mov_b32 s4, exec_lo
	s_clause 0x3
	buffer_load_dword v1, v4, s[0:3], 0 offen
	buffer_load_dword v2, v4, s[0:3], 0 offen offset:4
	buffer_load_dword v3, v4, s[0:3], 0 offen offset:8
	;; [unrolled: 1-line block ×3, first 2 shown]
	s_waitcnt vmcnt(0)
	ds_write_b128 v5, v[1:4]
	s_waitcnt lgkmcnt(0)
	s_barrier
	buffer_gl0_inv
	v_cmpx_gt_u32_e32 41, v0
	s_cbranch_execz .LBB56_179
; %bb.176:
	v_mov_b32_e32 v1, 0
	v_mov_b32_e32 v3, 0
	v_add_nc_u32_e32 v7, -1, v0
	v_add_nc_u32_e32 v8, 0x390, v233
	v_mov_b32_e32 v2, 0
	v_mov_b32_e32 v4, 0
	v_add_nc_u32_e32 v9, 16, v233
	s_mov_b32 s5, 0
	.p2align	6
.LBB56_177:                             ; =>This Inner Loop Header: Depth=1
	s_clause 0x3
	buffer_load_dword v14, v9, s[0:3], 0 offen offset:8
	buffer_load_dword v15, v9, s[0:3], 0 offen offset:12
	buffer_load_dword v16, v9, s[0:3], 0 offen
	buffer_load_dword v17, v9, s[0:3], 0 offen offset:4
	ds_read_b128 v[10:13], v8
	v_add_nc_u32_e32 v7, 1, v7
	v_add_nc_u32_e32 v8, 16, v8
	;; [unrolled: 1-line block ×3, first 2 shown]
	v_cmp_lt_u32_e32 vcc_lo, 39, v7
	s_or_b32 s5, vcc_lo, s5
	s_waitcnt vmcnt(2) lgkmcnt(0)
	v_mul_f64 v[18:19], v[12:13], v[14:15]
	v_mul_f64 v[14:15], v[10:11], v[14:15]
	s_waitcnt vmcnt(0)
	v_fma_f64 v[10:11], v[10:11], v[16:17], -v[18:19]
	v_fma_f64 v[12:13], v[12:13], v[16:17], v[14:15]
	v_add_f64 v[3:4], v[3:4], v[10:11]
	v_add_f64 v[1:2], v[1:2], v[12:13]
	s_andn2_b32 exec_lo, exec_lo, s5
	s_cbranch_execnz .LBB56_177
; %bb.178:
	s_or_b32 exec_lo, exec_lo, s5
	v_mov_b32_e32 v7, 0
	ds_read_b128 v[7:10], v7 offset:656
	s_waitcnt lgkmcnt(0)
	v_mul_f64 v[11:12], v[1:2], v[9:10]
	v_mul_f64 v[9:10], v[3:4], v[9:10]
	v_fma_f64 v[3:4], v[3:4], v[7:8], -v[11:12]
	v_fma_f64 v[1:2], v[1:2], v[7:8], v[9:10]
	buffer_store_dword v4, off, s[0:3], 0 offset:676
	buffer_store_dword v3, off, s[0:3], 0 offset:672
	;; [unrolled: 1-line block ×4, first 2 shown]
.LBB56_179:
	s_or_b32 exec_lo, exec_lo, s4
	v_mov_b32_e32 v4, s26
	s_waitcnt_vscnt null, 0x0
	s_barrier
	buffer_gl0_inv
	s_mov_b32 s4, exec_lo
	s_clause 0x3
	buffer_load_dword v1, v4, s[0:3], 0 offen
	buffer_load_dword v2, v4, s[0:3], 0 offen offset:4
	buffer_load_dword v3, v4, s[0:3], 0 offen offset:8
	;; [unrolled: 1-line block ×3, first 2 shown]
	s_waitcnt vmcnt(0)
	ds_write_b128 v5, v[1:4]
	s_waitcnt lgkmcnt(0)
	s_barrier
	buffer_gl0_inv
	v_cmpx_gt_u32_e32 42, v0
	s_cbranch_execz .LBB56_183
; %bb.180:
	v_mov_b32_e32 v1, 0
	v_mov_b32_e32 v3, 0
	v_add_nc_u32_e32 v7, -1, v0
	v_add_nc_u32_e32 v8, 0x390, v233
	v_mov_b32_e32 v2, 0
	v_mov_b32_e32 v4, 0
	v_add_nc_u32_e32 v9, 16, v233
	s_mov_b32 s5, 0
	.p2align	6
.LBB56_181:                             ; =>This Inner Loop Header: Depth=1
	s_clause 0x3
	buffer_load_dword v14, v9, s[0:3], 0 offen offset:8
	buffer_load_dword v15, v9, s[0:3], 0 offen offset:12
	buffer_load_dword v16, v9, s[0:3], 0 offen
	buffer_load_dword v17, v9, s[0:3], 0 offen offset:4
	ds_read_b128 v[10:13], v8
	v_add_nc_u32_e32 v7, 1, v7
	v_add_nc_u32_e32 v8, 16, v8
	v_add_nc_u32_e32 v9, 16, v9
	v_cmp_lt_u32_e32 vcc_lo, 40, v7
	s_or_b32 s5, vcc_lo, s5
	s_waitcnt vmcnt(2) lgkmcnt(0)
	v_mul_f64 v[18:19], v[12:13], v[14:15]
	v_mul_f64 v[14:15], v[10:11], v[14:15]
	s_waitcnt vmcnt(0)
	v_fma_f64 v[10:11], v[10:11], v[16:17], -v[18:19]
	v_fma_f64 v[12:13], v[12:13], v[16:17], v[14:15]
	v_add_f64 v[3:4], v[3:4], v[10:11]
	v_add_f64 v[1:2], v[1:2], v[12:13]
	s_andn2_b32 exec_lo, exec_lo, s5
	s_cbranch_execnz .LBB56_181
; %bb.182:
	s_or_b32 exec_lo, exec_lo, s5
	v_mov_b32_e32 v7, 0
	ds_read_b128 v[7:10], v7 offset:672
	s_waitcnt lgkmcnt(0)
	v_mul_f64 v[11:12], v[1:2], v[9:10]
	v_mul_f64 v[9:10], v[3:4], v[9:10]
	v_fma_f64 v[3:4], v[3:4], v[7:8], -v[11:12]
	v_fma_f64 v[1:2], v[1:2], v[7:8], v[9:10]
	buffer_store_dword v4, off, s[0:3], 0 offset:692
	buffer_store_dword v3, off, s[0:3], 0 offset:688
	;; [unrolled: 1-line block ×4, first 2 shown]
.LBB56_183:
	s_or_b32 exec_lo, exec_lo, s4
	v_mov_b32_e32 v4, s25
	s_waitcnt_vscnt null, 0x0
	s_barrier
	buffer_gl0_inv
	s_mov_b32 s4, exec_lo
	s_clause 0x3
	buffer_load_dword v1, v4, s[0:3], 0 offen
	buffer_load_dword v2, v4, s[0:3], 0 offen offset:4
	buffer_load_dword v3, v4, s[0:3], 0 offen offset:8
	;; [unrolled: 1-line block ×3, first 2 shown]
	s_waitcnt vmcnt(0)
	ds_write_b128 v5, v[1:4]
	s_waitcnt lgkmcnt(0)
	s_barrier
	buffer_gl0_inv
	v_cmpx_gt_u32_e32 43, v0
	s_cbranch_execz .LBB56_187
; %bb.184:
	v_mov_b32_e32 v1, 0
	v_mov_b32_e32 v3, 0
	v_add_nc_u32_e32 v7, -1, v0
	v_add_nc_u32_e32 v8, 0x390, v233
	v_mov_b32_e32 v2, 0
	v_mov_b32_e32 v4, 0
	v_add_nc_u32_e32 v9, 16, v233
	s_mov_b32 s5, 0
	.p2align	6
.LBB56_185:                             ; =>This Inner Loop Header: Depth=1
	s_clause 0x3
	buffer_load_dword v14, v9, s[0:3], 0 offen offset:8
	buffer_load_dword v15, v9, s[0:3], 0 offen offset:12
	buffer_load_dword v16, v9, s[0:3], 0 offen
	buffer_load_dword v17, v9, s[0:3], 0 offen offset:4
	ds_read_b128 v[10:13], v8
	v_add_nc_u32_e32 v7, 1, v7
	v_add_nc_u32_e32 v8, 16, v8
	;; [unrolled: 1-line block ×3, first 2 shown]
	v_cmp_lt_u32_e32 vcc_lo, 41, v7
	s_or_b32 s5, vcc_lo, s5
	s_waitcnt vmcnt(2) lgkmcnt(0)
	v_mul_f64 v[18:19], v[12:13], v[14:15]
	v_mul_f64 v[14:15], v[10:11], v[14:15]
	s_waitcnt vmcnt(0)
	v_fma_f64 v[10:11], v[10:11], v[16:17], -v[18:19]
	v_fma_f64 v[12:13], v[12:13], v[16:17], v[14:15]
	v_add_f64 v[3:4], v[3:4], v[10:11]
	v_add_f64 v[1:2], v[1:2], v[12:13]
	s_andn2_b32 exec_lo, exec_lo, s5
	s_cbranch_execnz .LBB56_185
; %bb.186:
	s_or_b32 exec_lo, exec_lo, s5
	v_mov_b32_e32 v7, 0
	ds_read_b128 v[7:10], v7 offset:688
	s_waitcnt lgkmcnt(0)
	v_mul_f64 v[11:12], v[1:2], v[9:10]
	v_mul_f64 v[9:10], v[3:4], v[9:10]
	v_fma_f64 v[3:4], v[3:4], v[7:8], -v[11:12]
	v_fma_f64 v[1:2], v[1:2], v[7:8], v[9:10]
	buffer_store_dword v4, off, s[0:3], 0 offset:708
	buffer_store_dword v3, off, s[0:3], 0 offset:704
	;; [unrolled: 1-line block ×4, first 2 shown]
.LBB56_187:
	s_or_b32 exec_lo, exec_lo, s4
	v_mov_b32_e32 v4, s24
	s_waitcnt_vscnt null, 0x0
	s_barrier
	buffer_gl0_inv
	s_mov_b32 s4, exec_lo
	s_clause 0x3
	buffer_load_dword v1, v4, s[0:3], 0 offen
	buffer_load_dword v2, v4, s[0:3], 0 offen offset:4
	buffer_load_dword v3, v4, s[0:3], 0 offen offset:8
	;; [unrolled: 1-line block ×3, first 2 shown]
	s_waitcnt vmcnt(0)
	ds_write_b128 v5, v[1:4]
	s_waitcnt lgkmcnt(0)
	s_barrier
	buffer_gl0_inv
	v_cmpx_gt_u32_e32 44, v0
	s_cbranch_execz .LBB56_191
; %bb.188:
	v_mov_b32_e32 v1, 0
	v_mov_b32_e32 v3, 0
	v_add_nc_u32_e32 v7, -1, v0
	v_add_nc_u32_e32 v8, 0x390, v233
	v_mov_b32_e32 v2, 0
	v_mov_b32_e32 v4, 0
	v_add_nc_u32_e32 v9, 16, v233
	s_mov_b32 s5, 0
	.p2align	6
.LBB56_189:                             ; =>This Inner Loop Header: Depth=1
	s_clause 0x3
	buffer_load_dword v14, v9, s[0:3], 0 offen offset:8
	buffer_load_dword v15, v9, s[0:3], 0 offen offset:12
	buffer_load_dword v16, v9, s[0:3], 0 offen
	buffer_load_dword v17, v9, s[0:3], 0 offen offset:4
	ds_read_b128 v[10:13], v8
	v_add_nc_u32_e32 v7, 1, v7
	v_add_nc_u32_e32 v8, 16, v8
	;; [unrolled: 1-line block ×3, first 2 shown]
	v_cmp_lt_u32_e32 vcc_lo, 42, v7
	s_or_b32 s5, vcc_lo, s5
	s_waitcnt vmcnt(2) lgkmcnt(0)
	v_mul_f64 v[18:19], v[12:13], v[14:15]
	v_mul_f64 v[14:15], v[10:11], v[14:15]
	s_waitcnt vmcnt(0)
	v_fma_f64 v[10:11], v[10:11], v[16:17], -v[18:19]
	v_fma_f64 v[12:13], v[12:13], v[16:17], v[14:15]
	v_add_f64 v[3:4], v[3:4], v[10:11]
	v_add_f64 v[1:2], v[1:2], v[12:13]
	s_andn2_b32 exec_lo, exec_lo, s5
	s_cbranch_execnz .LBB56_189
; %bb.190:
	s_or_b32 exec_lo, exec_lo, s5
	v_mov_b32_e32 v7, 0
	ds_read_b128 v[7:10], v7 offset:704
	s_waitcnt lgkmcnt(0)
	v_mul_f64 v[11:12], v[1:2], v[9:10]
	v_mul_f64 v[9:10], v[3:4], v[9:10]
	v_fma_f64 v[3:4], v[3:4], v[7:8], -v[11:12]
	v_fma_f64 v[1:2], v[1:2], v[7:8], v[9:10]
	buffer_store_dword v4, off, s[0:3], 0 offset:724
	buffer_store_dword v3, off, s[0:3], 0 offset:720
	buffer_store_dword v2, off, s[0:3], 0 offset:732
	buffer_store_dword v1, off, s[0:3], 0 offset:728
.LBB56_191:
	s_or_b32 exec_lo, exec_lo, s4
	v_mov_b32_e32 v4, s23
	s_waitcnt_vscnt null, 0x0
	s_barrier
	buffer_gl0_inv
	s_mov_b32 s4, exec_lo
	s_clause 0x3
	buffer_load_dword v1, v4, s[0:3], 0 offen
	buffer_load_dword v2, v4, s[0:3], 0 offen offset:4
	buffer_load_dword v3, v4, s[0:3], 0 offen offset:8
	;; [unrolled: 1-line block ×3, first 2 shown]
	s_waitcnt vmcnt(0)
	ds_write_b128 v5, v[1:4]
	s_waitcnt lgkmcnt(0)
	s_barrier
	buffer_gl0_inv
	v_cmpx_gt_u32_e32 45, v0
	s_cbranch_execz .LBB56_195
; %bb.192:
	v_mov_b32_e32 v1, 0
	v_mov_b32_e32 v3, 0
	v_add_nc_u32_e32 v7, -1, v0
	v_add_nc_u32_e32 v8, 0x390, v233
	v_mov_b32_e32 v2, 0
	v_mov_b32_e32 v4, 0
	v_add_nc_u32_e32 v9, 16, v233
	s_mov_b32 s5, 0
	.p2align	6
.LBB56_193:                             ; =>This Inner Loop Header: Depth=1
	s_clause 0x3
	buffer_load_dword v14, v9, s[0:3], 0 offen offset:8
	buffer_load_dword v15, v9, s[0:3], 0 offen offset:12
	buffer_load_dword v16, v9, s[0:3], 0 offen
	buffer_load_dword v17, v9, s[0:3], 0 offen offset:4
	ds_read_b128 v[10:13], v8
	v_add_nc_u32_e32 v7, 1, v7
	v_add_nc_u32_e32 v8, 16, v8
	;; [unrolled: 1-line block ×3, first 2 shown]
	v_cmp_lt_u32_e32 vcc_lo, 43, v7
	s_or_b32 s5, vcc_lo, s5
	s_waitcnt vmcnt(2) lgkmcnt(0)
	v_mul_f64 v[18:19], v[12:13], v[14:15]
	v_mul_f64 v[14:15], v[10:11], v[14:15]
	s_waitcnt vmcnt(0)
	v_fma_f64 v[10:11], v[10:11], v[16:17], -v[18:19]
	v_fma_f64 v[12:13], v[12:13], v[16:17], v[14:15]
	v_add_f64 v[3:4], v[3:4], v[10:11]
	v_add_f64 v[1:2], v[1:2], v[12:13]
	s_andn2_b32 exec_lo, exec_lo, s5
	s_cbranch_execnz .LBB56_193
; %bb.194:
	s_or_b32 exec_lo, exec_lo, s5
	v_mov_b32_e32 v7, 0
	ds_read_b128 v[7:10], v7 offset:720
	s_waitcnt lgkmcnt(0)
	v_mul_f64 v[11:12], v[1:2], v[9:10]
	v_mul_f64 v[9:10], v[3:4], v[9:10]
	v_fma_f64 v[3:4], v[3:4], v[7:8], -v[11:12]
	v_fma_f64 v[1:2], v[1:2], v[7:8], v[9:10]
	buffer_store_dword v4, off, s[0:3], 0 offset:740
	buffer_store_dword v3, off, s[0:3], 0 offset:736
	;; [unrolled: 1-line block ×4, first 2 shown]
.LBB56_195:
	s_or_b32 exec_lo, exec_lo, s4
	v_mov_b32_e32 v4, s22
	s_waitcnt_vscnt null, 0x0
	s_barrier
	buffer_gl0_inv
	s_mov_b32 s4, exec_lo
	s_clause 0x3
	buffer_load_dword v1, v4, s[0:3], 0 offen
	buffer_load_dword v2, v4, s[0:3], 0 offen offset:4
	buffer_load_dword v3, v4, s[0:3], 0 offen offset:8
	;; [unrolled: 1-line block ×3, first 2 shown]
	s_waitcnt vmcnt(0)
	ds_write_b128 v5, v[1:4]
	s_waitcnt lgkmcnt(0)
	s_barrier
	buffer_gl0_inv
	v_cmpx_gt_u32_e32 46, v0
	s_cbranch_execz .LBB56_199
; %bb.196:
	v_mov_b32_e32 v1, 0
	v_mov_b32_e32 v3, 0
	v_add_nc_u32_e32 v7, -1, v0
	v_add_nc_u32_e32 v8, 0x390, v233
	v_mov_b32_e32 v2, 0
	v_mov_b32_e32 v4, 0
	v_add_nc_u32_e32 v9, 16, v233
	s_mov_b32 s5, 0
	.p2align	6
.LBB56_197:                             ; =>This Inner Loop Header: Depth=1
	s_clause 0x3
	buffer_load_dword v14, v9, s[0:3], 0 offen offset:8
	buffer_load_dword v15, v9, s[0:3], 0 offen offset:12
	buffer_load_dword v16, v9, s[0:3], 0 offen
	buffer_load_dword v17, v9, s[0:3], 0 offen offset:4
	ds_read_b128 v[10:13], v8
	v_add_nc_u32_e32 v7, 1, v7
	v_add_nc_u32_e32 v8, 16, v8
	;; [unrolled: 1-line block ×3, first 2 shown]
	v_cmp_lt_u32_e32 vcc_lo, 44, v7
	s_or_b32 s5, vcc_lo, s5
	s_waitcnt vmcnt(2) lgkmcnt(0)
	v_mul_f64 v[18:19], v[12:13], v[14:15]
	v_mul_f64 v[14:15], v[10:11], v[14:15]
	s_waitcnt vmcnt(0)
	v_fma_f64 v[10:11], v[10:11], v[16:17], -v[18:19]
	v_fma_f64 v[12:13], v[12:13], v[16:17], v[14:15]
	v_add_f64 v[3:4], v[3:4], v[10:11]
	v_add_f64 v[1:2], v[1:2], v[12:13]
	s_andn2_b32 exec_lo, exec_lo, s5
	s_cbranch_execnz .LBB56_197
; %bb.198:
	s_or_b32 exec_lo, exec_lo, s5
	v_mov_b32_e32 v7, 0
	ds_read_b128 v[7:10], v7 offset:736
	s_waitcnt lgkmcnt(0)
	v_mul_f64 v[11:12], v[1:2], v[9:10]
	v_mul_f64 v[9:10], v[3:4], v[9:10]
	v_fma_f64 v[3:4], v[3:4], v[7:8], -v[11:12]
	v_fma_f64 v[1:2], v[1:2], v[7:8], v[9:10]
	buffer_store_dword v4, off, s[0:3], 0 offset:756
	buffer_store_dword v3, off, s[0:3], 0 offset:752
	;; [unrolled: 1-line block ×4, first 2 shown]
.LBB56_199:
	s_or_b32 exec_lo, exec_lo, s4
	v_mov_b32_e32 v4, s19
	s_waitcnt_vscnt null, 0x0
	s_barrier
	buffer_gl0_inv
	s_mov_b32 s4, exec_lo
	s_clause 0x3
	buffer_load_dword v1, v4, s[0:3], 0 offen
	buffer_load_dword v2, v4, s[0:3], 0 offen offset:4
	buffer_load_dword v3, v4, s[0:3], 0 offen offset:8
	;; [unrolled: 1-line block ×3, first 2 shown]
	s_waitcnt vmcnt(0)
	ds_write_b128 v5, v[1:4]
	s_waitcnt lgkmcnt(0)
	s_barrier
	buffer_gl0_inv
	v_cmpx_gt_u32_e32 47, v0
	s_cbranch_execz .LBB56_203
; %bb.200:
	v_mov_b32_e32 v1, 0
	v_mov_b32_e32 v3, 0
	v_add_nc_u32_e32 v7, -1, v0
	v_add_nc_u32_e32 v8, 0x390, v233
	v_mov_b32_e32 v2, 0
	v_mov_b32_e32 v4, 0
	v_add_nc_u32_e32 v9, 16, v233
	s_mov_b32 s5, 0
	.p2align	6
.LBB56_201:                             ; =>This Inner Loop Header: Depth=1
	s_clause 0x3
	buffer_load_dword v14, v9, s[0:3], 0 offen offset:8
	buffer_load_dword v15, v9, s[0:3], 0 offen offset:12
	buffer_load_dword v16, v9, s[0:3], 0 offen
	buffer_load_dword v17, v9, s[0:3], 0 offen offset:4
	ds_read_b128 v[10:13], v8
	v_add_nc_u32_e32 v7, 1, v7
	v_add_nc_u32_e32 v8, 16, v8
	;; [unrolled: 1-line block ×3, first 2 shown]
	v_cmp_lt_u32_e32 vcc_lo, 45, v7
	s_or_b32 s5, vcc_lo, s5
	s_waitcnt vmcnt(2) lgkmcnt(0)
	v_mul_f64 v[18:19], v[12:13], v[14:15]
	v_mul_f64 v[14:15], v[10:11], v[14:15]
	s_waitcnt vmcnt(0)
	v_fma_f64 v[10:11], v[10:11], v[16:17], -v[18:19]
	v_fma_f64 v[12:13], v[12:13], v[16:17], v[14:15]
	v_add_f64 v[3:4], v[3:4], v[10:11]
	v_add_f64 v[1:2], v[1:2], v[12:13]
	s_andn2_b32 exec_lo, exec_lo, s5
	s_cbranch_execnz .LBB56_201
; %bb.202:
	s_or_b32 exec_lo, exec_lo, s5
	v_mov_b32_e32 v7, 0
	ds_read_b128 v[7:10], v7 offset:752
	s_waitcnt lgkmcnt(0)
	v_mul_f64 v[11:12], v[1:2], v[9:10]
	v_mul_f64 v[9:10], v[3:4], v[9:10]
	v_fma_f64 v[3:4], v[3:4], v[7:8], -v[11:12]
	v_fma_f64 v[1:2], v[1:2], v[7:8], v[9:10]
	buffer_store_dword v4, off, s[0:3], 0 offset:772
	buffer_store_dword v3, off, s[0:3], 0 offset:768
	buffer_store_dword v2, off, s[0:3], 0 offset:780
	buffer_store_dword v1, off, s[0:3], 0 offset:776
.LBB56_203:
	s_or_b32 exec_lo, exec_lo, s4
	v_mov_b32_e32 v4, s18
	s_waitcnt_vscnt null, 0x0
	s_barrier
	buffer_gl0_inv
	s_mov_b32 s4, exec_lo
	s_clause 0x3
	buffer_load_dword v1, v4, s[0:3], 0 offen
	buffer_load_dword v2, v4, s[0:3], 0 offen offset:4
	buffer_load_dword v3, v4, s[0:3], 0 offen offset:8
	buffer_load_dword v4, v4, s[0:3], 0 offen offset:12
	s_waitcnt vmcnt(0)
	ds_write_b128 v5, v[1:4]
	s_waitcnt lgkmcnt(0)
	s_barrier
	buffer_gl0_inv
	v_cmpx_gt_u32_e32 48, v0
	s_cbranch_execz .LBB56_207
; %bb.204:
	v_mov_b32_e32 v1, 0
	v_mov_b32_e32 v3, 0
	v_add_nc_u32_e32 v7, -1, v0
	v_add_nc_u32_e32 v8, 0x390, v233
	v_mov_b32_e32 v2, 0
	v_mov_b32_e32 v4, 0
	v_add_nc_u32_e32 v9, 16, v233
	s_mov_b32 s5, 0
	.p2align	6
.LBB56_205:                             ; =>This Inner Loop Header: Depth=1
	s_clause 0x3
	buffer_load_dword v14, v9, s[0:3], 0 offen offset:8
	buffer_load_dword v15, v9, s[0:3], 0 offen offset:12
	buffer_load_dword v16, v9, s[0:3], 0 offen
	buffer_load_dword v17, v9, s[0:3], 0 offen offset:4
	ds_read_b128 v[10:13], v8
	v_add_nc_u32_e32 v7, 1, v7
	v_add_nc_u32_e32 v8, 16, v8
	v_add_nc_u32_e32 v9, 16, v9
	v_cmp_lt_u32_e32 vcc_lo, 46, v7
	s_or_b32 s5, vcc_lo, s5
	s_waitcnt vmcnt(2) lgkmcnt(0)
	v_mul_f64 v[18:19], v[12:13], v[14:15]
	v_mul_f64 v[14:15], v[10:11], v[14:15]
	s_waitcnt vmcnt(0)
	v_fma_f64 v[10:11], v[10:11], v[16:17], -v[18:19]
	v_fma_f64 v[12:13], v[12:13], v[16:17], v[14:15]
	v_add_f64 v[3:4], v[3:4], v[10:11]
	v_add_f64 v[1:2], v[1:2], v[12:13]
	s_andn2_b32 exec_lo, exec_lo, s5
	s_cbranch_execnz .LBB56_205
; %bb.206:
	s_or_b32 exec_lo, exec_lo, s5
	v_mov_b32_e32 v7, 0
	ds_read_b128 v[7:10], v7 offset:768
	s_waitcnt lgkmcnt(0)
	v_mul_f64 v[11:12], v[1:2], v[9:10]
	v_mul_f64 v[9:10], v[3:4], v[9:10]
	v_fma_f64 v[3:4], v[3:4], v[7:8], -v[11:12]
	v_fma_f64 v[1:2], v[1:2], v[7:8], v[9:10]
	buffer_store_dword v4, off, s[0:3], 0 offset:788
	buffer_store_dword v3, off, s[0:3], 0 offset:784
	;; [unrolled: 1-line block ×4, first 2 shown]
.LBB56_207:
	s_or_b32 exec_lo, exec_lo, s4
	v_mov_b32_e32 v4, s17
	s_waitcnt_vscnt null, 0x0
	s_barrier
	buffer_gl0_inv
	s_mov_b32 s4, exec_lo
	s_clause 0x3
	buffer_load_dword v1, v4, s[0:3], 0 offen
	buffer_load_dword v2, v4, s[0:3], 0 offen offset:4
	buffer_load_dword v3, v4, s[0:3], 0 offen offset:8
	;; [unrolled: 1-line block ×3, first 2 shown]
	s_waitcnt vmcnt(0)
	ds_write_b128 v5, v[1:4]
	s_waitcnt lgkmcnt(0)
	s_barrier
	buffer_gl0_inv
	v_cmpx_gt_u32_e32 49, v0
	s_cbranch_execz .LBB56_211
; %bb.208:
	v_mov_b32_e32 v1, 0
	v_mov_b32_e32 v3, 0
	v_add_nc_u32_e32 v7, -1, v0
	v_add_nc_u32_e32 v8, 0x390, v233
	v_mov_b32_e32 v2, 0
	v_mov_b32_e32 v4, 0
	v_add_nc_u32_e32 v9, 16, v233
	s_mov_b32 s5, 0
	.p2align	6
.LBB56_209:                             ; =>This Inner Loop Header: Depth=1
	s_clause 0x3
	buffer_load_dword v14, v9, s[0:3], 0 offen offset:8
	buffer_load_dword v15, v9, s[0:3], 0 offen offset:12
	buffer_load_dword v16, v9, s[0:3], 0 offen
	buffer_load_dword v17, v9, s[0:3], 0 offen offset:4
	ds_read_b128 v[10:13], v8
	v_add_nc_u32_e32 v7, 1, v7
	v_add_nc_u32_e32 v8, 16, v8
	v_add_nc_u32_e32 v9, 16, v9
	v_cmp_lt_u32_e32 vcc_lo, 47, v7
	s_or_b32 s5, vcc_lo, s5
	s_waitcnt vmcnt(2) lgkmcnt(0)
	v_mul_f64 v[18:19], v[12:13], v[14:15]
	v_mul_f64 v[14:15], v[10:11], v[14:15]
	s_waitcnt vmcnt(0)
	v_fma_f64 v[10:11], v[10:11], v[16:17], -v[18:19]
	v_fma_f64 v[12:13], v[12:13], v[16:17], v[14:15]
	v_add_f64 v[3:4], v[3:4], v[10:11]
	v_add_f64 v[1:2], v[1:2], v[12:13]
	s_andn2_b32 exec_lo, exec_lo, s5
	s_cbranch_execnz .LBB56_209
; %bb.210:
	s_or_b32 exec_lo, exec_lo, s5
	v_mov_b32_e32 v7, 0
	ds_read_b128 v[7:10], v7 offset:784
	s_waitcnt lgkmcnt(0)
	v_mul_f64 v[11:12], v[1:2], v[9:10]
	v_mul_f64 v[9:10], v[3:4], v[9:10]
	v_fma_f64 v[3:4], v[3:4], v[7:8], -v[11:12]
	v_fma_f64 v[1:2], v[1:2], v[7:8], v[9:10]
	buffer_store_dword v4, off, s[0:3], 0 offset:804
	buffer_store_dword v3, off, s[0:3], 0 offset:800
	;; [unrolled: 1-line block ×4, first 2 shown]
.LBB56_211:
	s_or_b32 exec_lo, exec_lo, s4
	v_mov_b32_e32 v4, s16
	s_waitcnt_vscnt null, 0x0
	s_barrier
	buffer_gl0_inv
	s_mov_b32 s4, exec_lo
	s_clause 0x3
	buffer_load_dword v1, v4, s[0:3], 0 offen
	buffer_load_dword v2, v4, s[0:3], 0 offen offset:4
	buffer_load_dword v3, v4, s[0:3], 0 offen offset:8
	;; [unrolled: 1-line block ×3, first 2 shown]
	s_waitcnt vmcnt(0)
	ds_write_b128 v5, v[1:4]
	s_waitcnt lgkmcnt(0)
	s_barrier
	buffer_gl0_inv
	v_cmpx_gt_u32_e32 50, v0
	s_cbranch_execz .LBB56_215
; %bb.212:
	v_mov_b32_e32 v1, 0
	v_mov_b32_e32 v3, 0
	v_add_nc_u32_e32 v7, -1, v0
	v_add_nc_u32_e32 v8, 0x390, v233
	v_mov_b32_e32 v2, 0
	v_mov_b32_e32 v4, 0
	v_add_nc_u32_e32 v9, 16, v233
	s_mov_b32 s5, 0
	.p2align	6
.LBB56_213:                             ; =>This Inner Loop Header: Depth=1
	s_clause 0x3
	buffer_load_dword v14, v9, s[0:3], 0 offen offset:8
	buffer_load_dword v15, v9, s[0:3], 0 offen offset:12
	buffer_load_dword v16, v9, s[0:3], 0 offen
	buffer_load_dword v17, v9, s[0:3], 0 offen offset:4
	ds_read_b128 v[10:13], v8
	v_add_nc_u32_e32 v7, 1, v7
	v_add_nc_u32_e32 v8, 16, v8
	;; [unrolled: 1-line block ×3, first 2 shown]
	v_cmp_lt_u32_e32 vcc_lo, 48, v7
	s_or_b32 s5, vcc_lo, s5
	s_waitcnt vmcnt(2) lgkmcnt(0)
	v_mul_f64 v[18:19], v[12:13], v[14:15]
	v_mul_f64 v[14:15], v[10:11], v[14:15]
	s_waitcnt vmcnt(0)
	v_fma_f64 v[10:11], v[10:11], v[16:17], -v[18:19]
	v_fma_f64 v[12:13], v[12:13], v[16:17], v[14:15]
	v_add_f64 v[3:4], v[3:4], v[10:11]
	v_add_f64 v[1:2], v[1:2], v[12:13]
	s_andn2_b32 exec_lo, exec_lo, s5
	s_cbranch_execnz .LBB56_213
; %bb.214:
	s_or_b32 exec_lo, exec_lo, s5
	v_mov_b32_e32 v7, 0
	ds_read_b128 v[7:10], v7 offset:800
	s_waitcnt lgkmcnt(0)
	v_mul_f64 v[11:12], v[1:2], v[9:10]
	v_mul_f64 v[9:10], v[3:4], v[9:10]
	v_fma_f64 v[3:4], v[3:4], v[7:8], -v[11:12]
	v_fma_f64 v[1:2], v[1:2], v[7:8], v[9:10]
	buffer_store_dword v4, off, s[0:3], 0 offset:820
	buffer_store_dword v3, off, s[0:3], 0 offset:816
	buffer_store_dword v2, off, s[0:3], 0 offset:828
	buffer_store_dword v1, off, s[0:3], 0 offset:824
.LBB56_215:
	s_or_b32 exec_lo, exec_lo, s4
	v_mov_b32_e32 v4, s15
	s_waitcnt_vscnt null, 0x0
	s_barrier
	buffer_gl0_inv
	s_mov_b32 s4, exec_lo
	s_clause 0x3
	buffer_load_dword v1, v4, s[0:3], 0 offen
	buffer_load_dword v2, v4, s[0:3], 0 offen offset:4
	buffer_load_dword v3, v4, s[0:3], 0 offen offset:8
	;; [unrolled: 1-line block ×3, first 2 shown]
	s_waitcnt vmcnt(0)
	ds_write_b128 v5, v[1:4]
	s_waitcnt lgkmcnt(0)
	s_barrier
	buffer_gl0_inv
	v_cmpx_gt_u32_e32 51, v0
	s_cbranch_execz .LBB56_219
; %bb.216:
	v_mov_b32_e32 v1, 0
	v_mov_b32_e32 v3, 0
	v_add_nc_u32_e32 v7, -1, v0
	v_add_nc_u32_e32 v8, 0x390, v233
	v_mov_b32_e32 v2, 0
	v_mov_b32_e32 v4, 0
	v_add_nc_u32_e32 v9, 16, v233
	s_mov_b32 s5, 0
	.p2align	6
.LBB56_217:                             ; =>This Inner Loop Header: Depth=1
	s_clause 0x3
	buffer_load_dword v14, v9, s[0:3], 0 offen offset:8
	buffer_load_dword v15, v9, s[0:3], 0 offen offset:12
	buffer_load_dword v16, v9, s[0:3], 0 offen
	buffer_load_dword v17, v9, s[0:3], 0 offen offset:4
	ds_read_b128 v[10:13], v8
	v_add_nc_u32_e32 v7, 1, v7
	v_add_nc_u32_e32 v8, 16, v8
	;; [unrolled: 1-line block ×3, first 2 shown]
	v_cmp_lt_u32_e32 vcc_lo, 49, v7
	s_or_b32 s5, vcc_lo, s5
	s_waitcnt vmcnt(2) lgkmcnt(0)
	v_mul_f64 v[18:19], v[12:13], v[14:15]
	v_mul_f64 v[14:15], v[10:11], v[14:15]
	s_waitcnt vmcnt(0)
	v_fma_f64 v[10:11], v[10:11], v[16:17], -v[18:19]
	v_fma_f64 v[12:13], v[12:13], v[16:17], v[14:15]
	v_add_f64 v[3:4], v[3:4], v[10:11]
	v_add_f64 v[1:2], v[1:2], v[12:13]
	s_andn2_b32 exec_lo, exec_lo, s5
	s_cbranch_execnz .LBB56_217
; %bb.218:
	s_or_b32 exec_lo, exec_lo, s5
	v_mov_b32_e32 v7, 0
	ds_read_b128 v[7:10], v7 offset:816
	s_waitcnt lgkmcnt(0)
	v_mul_f64 v[11:12], v[1:2], v[9:10]
	v_mul_f64 v[9:10], v[3:4], v[9:10]
	v_fma_f64 v[3:4], v[3:4], v[7:8], -v[11:12]
	v_fma_f64 v[1:2], v[1:2], v[7:8], v[9:10]
	buffer_store_dword v4, off, s[0:3], 0 offset:836
	buffer_store_dword v3, off, s[0:3], 0 offset:832
	;; [unrolled: 1-line block ×4, first 2 shown]
.LBB56_219:
	s_or_b32 exec_lo, exec_lo, s4
	v_mov_b32_e32 v4, s14
	s_waitcnt_vscnt null, 0x0
	s_barrier
	buffer_gl0_inv
	s_mov_b32 s4, exec_lo
	s_clause 0x3
	buffer_load_dword v1, v4, s[0:3], 0 offen
	buffer_load_dword v2, v4, s[0:3], 0 offen offset:4
	buffer_load_dword v3, v4, s[0:3], 0 offen offset:8
	;; [unrolled: 1-line block ×3, first 2 shown]
	s_waitcnt vmcnt(0)
	ds_write_b128 v5, v[1:4]
	s_waitcnt lgkmcnt(0)
	s_barrier
	buffer_gl0_inv
	v_cmpx_gt_u32_e32 52, v0
	s_cbranch_execz .LBB56_223
; %bb.220:
	v_mov_b32_e32 v1, 0
	v_mov_b32_e32 v3, 0
	v_add_nc_u32_e32 v7, -1, v0
	v_add_nc_u32_e32 v8, 0x390, v233
	v_mov_b32_e32 v2, 0
	v_mov_b32_e32 v4, 0
	v_add_nc_u32_e32 v9, 16, v233
	s_mov_b32 s5, 0
	.p2align	6
.LBB56_221:                             ; =>This Inner Loop Header: Depth=1
	s_clause 0x3
	buffer_load_dword v14, v9, s[0:3], 0 offen offset:8
	buffer_load_dword v15, v9, s[0:3], 0 offen offset:12
	buffer_load_dword v16, v9, s[0:3], 0 offen
	buffer_load_dword v17, v9, s[0:3], 0 offen offset:4
	ds_read_b128 v[10:13], v8
	v_add_nc_u32_e32 v7, 1, v7
	v_add_nc_u32_e32 v8, 16, v8
	;; [unrolled: 1-line block ×3, first 2 shown]
	v_cmp_lt_u32_e32 vcc_lo, 50, v7
	s_or_b32 s5, vcc_lo, s5
	s_waitcnt vmcnt(2) lgkmcnt(0)
	v_mul_f64 v[18:19], v[12:13], v[14:15]
	v_mul_f64 v[14:15], v[10:11], v[14:15]
	s_waitcnt vmcnt(0)
	v_fma_f64 v[10:11], v[10:11], v[16:17], -v[18:19]
	v_fma_f64 v[12:13], v[12:13], v[16:17], v[14:15]
	v_add_f64 v[3:4], v[3:4], v[10:11]
	v_add_f64 v[1:2], v[1:2], v[12:13]
	s_andn2_b32 exec_lo, exec_lo, s5
	s_cbranch_execnz .LBB56_221
; %bb.222:
	s_or_b32 exec_lo, exec_lo, s5
	v_mov_b32_e32 v7, 0
	ds_read_b128 v[7:10], v7 offset:832
	s_waitcnt lgkmcnt(0)
	v_mul_f64 v[11:12], v[1:2], v[9:10]
	v_mul_f64 v[9:10], v[3:4], v[9:10]
	v_fma_f64 v[3:4], v[3:4], v[7:8], -v[11:12]
	v_fma_f64 v[1:2], v[1:2], v[7:8], v[9:10]
	buffer_store_dword v4, off, s[0:3], 0 offset:852
	buffer_store_dword v3, off, s[0:3], 0 offset:848
	;; [unrolled: 1-line block ×4, first 2 shown]
.LBB56_223:
	s_or_b32 exec_lo, exec_lo, s4
	v_mov_b32_e32 v4, s13
	s_waitcnt_vscnt null, 0x0
	s_barrier
	buffer_gl0_inv
	s_mov_b32 s4, exec_lo
	s_clause 0x3
	buffer_load_dword v1, v4, s[0:3], 0 offen
	buffer_load_dword v2, v4, s[0:3], 0 offen offset:4
	buffer_load_dword v3, v4, s[0:3], 0 offen offset:8
	;; [unrolled: 1-line block ×3, first 2 shown]
	s_waitcnt vmcnt(0)
	ds_write_b128 v5, v[1:4]
	s_waitcnt lgkmcnt(0)
	s_barrier
	buffer_gl0_inv
	v_cmpx_gt_u32_e32 53, v0
	s_cbranch_execz .LBB56_227
; %bb.224:
	v_mov_b32_e32 v1, 0
	v_mov_b32_e32 v3, 0
	v_add_nc_u32_e32 v7, -1, v0
	v_add_nc_u32_e32 v8, 0x390, v233
	v_mov_b32_e32 v2, 0
	v_mov_b32_e32 v4, 0
	v_add_nc_u32_e32 v9, 16, v233
	s_mov_b32 s5, 0
	.p2align	6
.LBB56_225:                             ; =>This Inner Loop Header: Depth=1
	s_clause 0x3
	buffer_load_dword v14, v9, s[0:3], 0 offen offset:8
	buffer_load_dword v15, v9, s[0:3], 0 offen offset:12
	buffer_load_dword v16, v9, s[0:3], 0 offen
	buffer_load_dword v17, v9, s[0:3], 0 offen offset:4
	ds_read_b128 v[10:13], v8
	v_add_nc_u32_e32 v7, 1, v7
	v_add_nc_u32_e32 v8, 16, v8
	;; [unrolled: 1-line block ×3, first 2 shown]
	v_cmp_lt_u32_e32 vcc_lo, 51, v7
	s_or_b32 s5, vcc_lo, s5
	s_waitcnt vmcnt(2) lgkmcnt(0)
	v_mul_f64 v[18:19], v[12:13], v[14:15]
	v_mul_f64 v[14:15], v[10:11], v[14:15]
	s_waitcnt vmcnt(0)
	v_fma_f64 v[10:11], v[10:11], v[16:17], -v[18:19]
	v_fma_f64 v[12:13], v[12:13], v[16:17], v[14:15]
	v_add_f64 v[3:4], v[3:4], v[10:11]
	v_add_f64 v[1:2], v[1:2], v[12:13]
	s_andn2_b32 exec_lo, exec_lo, s5
	s_cbranch_execnz .LBB56_225
; %bb.226:
	s_or_b32 exec_lo, exec_lo, s5
	v_mov_b32_e32 v7, 0
	ds_read_b128 v[7:10], v7 offset:848
	s_waitcnt lgkmcnt(0)
	v_mul_f64 v[11:12], v[1:2], v[9:10]
	v_mul_f64 v[9:10], v[3:4], v[9:10]
	v_fma_f64 v[3:4], v[3:4], v[7:8], -v[11:12]
	v_fma_f64 v[1:2], v[1:2], v[7:8], v[9:10]
	buffer_store_dword v4, off, s[0:3], 0 offset:868
	buffer_store_dword v3, off, s[0:3], 0 offset:864
	;; [unrolled: 1-line block ×4, first 2 shown]
.LBB56_227:
	s_or_b32 exec_lo, exec_lo, s4
	v_mov_b32_e32 v4, s12
	s_waitcnt_vscnt null, 0x0
	s_barrier
	buffer_gl0_inv
	s_mov_b32 s4, exec_lo
	s_clause 0x3
	buffer_load_dword v1, v4, s[0:3], 0 offen
	buffer_load_dword v2, v4, s[0:3], 0 offen offset:4
	buffer_load_dword v3, v4, s[0:3], 0 offen offset:8
	;; [unrolled: 1-line block ×3, first 2 shown]
	s_waitcnt vmcnt(0)
	ds_write_b128 v5, v[1:4]
	s_waitcnt lgkmcnt(0)
	s_barrier
	buffer_gl0_inv
	v_cmpx_gt_u32_e32 54, v0
	s_cbranch_execz .LBB56_231
; %bb.228:
	v_mov_b32_e32 v1, 0
	v_mov_b32_e32 v3, 0
	v_add_nc_u32_e32 v7, -1, v0
	v_add_nc_u32_e32 v8, 0x390, v233
	v_mov_b32_e32 v2, 0
	v_mov_b32_e32 v4, 0
	v_add_nc_u32_e32 v9, 16, v233
	s_mov_b32 s5, 0
	.p2align	6
.LBB56_229:                             ; =>This Inner Loop Header: Depth=1
	s_clause 0x3
	buffer_load_dword v14, v9, s[0:3], 0 offen offset:8
	buffer_load_dword v15, v9, s[0:3], 0 offen offset:12
	buffer_load_dword v16, v9, s[0:3], 0 offen
	buffer_load_dword v17, v9, s[0:3], 0 offen offset:4
	ds_read_b128 v[10:13], v8
	v_add_nc_u32_e32 v7, 1, v7
	v_add_nc_u32_e32 v8, 16, v8
	;; [unrolled: 1-line block ×3, first 2 shown]
	v_cmp_lt_u32_e32 vcc_lo, 52, v7
	s_or_b32 s5, vcc_lo, s5
	s_waitcnt vmcnt(2) lgkmcnt(0)
	v_mul_f64 v[18:19], v[12:13], v[14:15]
	v_mul_f64 v[14:15], v[10:11], v[14:15]
	s_waitcnt vmcnt(0)
	v_fma_f64 v[10:11], v[10:11], v[16:17], -v[18:19]
	v_fma_f64 v[12:13], v[12:13], v[16:17], v[14:15]
	v_add_f64 v[3:4], v[3:4], v[10:11]
	v_add_f64 v[1:2], v[1:2], v[12:13]
	s_andn2_b32 exec_lo, exec_lo, s5
	s_cbranch_execnz .LBB56_229
; %bb.230:
	s_or_b32 exec_lo, exec_lo, s5
	v_mov_b32_e32 v7, 0
	ds_read_b128 v[7:10], v7 offset:864
	s_waitcnt lgkmcnt(0)
	v_mul_f64 v[11:12], v[1:2], v[9:10]
	v_mul_f64 v[9:10], v[3:4], v[9:10]
	v_fma_f64 v[3:4], v[3:4], v[7:8], -v[11:12]
	v_fma_f64 v[1:2], v[1:2], v[7:8], v[9:10]
	buffer_store_dword v4, off, s[0:3], 0 offset:884
	buffer_store_dword v3, off, s[0:3], 0 offset:880
	;; [unrolled: 1-line block ×4, first 2 shown]
.LBB56_231:
	s_or_b32 exec_lo, exec_lo, s4
	v_mov_b32_e32 v4, s9
	s_waitcnt_vscnt null, 0x0
	s_barrier
	buffer_gl0_inv
	s_mov_b32 s4, exec_lo
	s_clause 0x3
	buffer_load_dword v1, v4, s[0:3], 0 offen
	buffer_load_dword v2, v4, s[0:3], 0 offen offset:4
	buffer_load_dword v3, v4, s[0:3], 0 offen offset:8
	;; [unrolled: 1-line block ×3, first 2 shown]
	s_waitcnt vmcnt(0)
	ds_write_b128 v5, v[1:4]
	s_waitcnt lgkmcnt(0)
	s_barrier
	buffer_gl0_inv
	v_cmpx_gt_u32_e32 55, v0
	s_cbranch_execz .LBB56_235
; %bb.232:
	v_mov_b32_e32 v1, 0
	v_mov_b32_e32 v3, 0
	v_add_nc_u32_e32 v7, -1, v0
	v_add_nc_u32_e32 v8, 0x390, v233
	v_mov_b32_e32 v2, 0
	v_mov_b32_e32 v4, 0
	v_add_nc_u32_e32 v9, 16, v233
	s_mov_b32 s5, 0
	.p2align	6
.LBB56_233:                             ; =>This Inner Loop Header: Depth=1
	s_clause 0x3
	buffer_load_dword v14, v9, s[0:3], 0 offen offset:8
	buffer_load_dword v15, v9, s[0:3], 0 offen offset:12
	buffer_load_dword v16, v9, s[0:3], 0 offen
	buffer_load_dword v17, v9, s[0:3], 0 offen offset:4
	ds_read_b128 v[10:13], v8
	v_add_nc_u32_e32 v7, 1, v7
	v_add_nc_u32_e32 v8, 16, v8
	;; [unrolled: 1-line block ×3, first 2 shown]
	v_cmp_lt_u32_e32 vcc_lo, 53, v7
	s_or_b32 s5, vcc_lo, s5
	s_waitcnt vmcnt(2) lgkmcnt(0)
	v_mul_f64 v[18:19], v[12:13], v[14:15]
	v_mul_f64 v[14:15], v[10:11], v[14:15]
	s_waitcnt vmcnt(0)
	v_fma_f64 v[10:11], v[10:11], v[16:17], -v[18:19]
	v_fma_f64 v[12:13], v[12:13], v[16:17], v[14:15]
	v_add_f64 v[3:4], v[3:4], v[10:11]
	v_add_f64 v[1:2], v[1:2], v[12:13]
	s_andn2_b32 exec_lo, exec_lo, s5
	s_cbranch_execnz .LBB56_233
; %bb.234:
	s_or_b32 exec_lo, exec_lo, s5
	v_mov_b32_e32 v7, 0
	ds_read_b128 v[7:10], v7 offset:880
	s_waitcnt lgkmcnt(0)
	v_mul_f64 v[11:12], v[1:2], v[9:10]
	v_mul_f64 v[9:10], v[3:4], v[9:10]
	v_fma_f64 v[3:4], v[3:4], v[7:8], -v[11:12]
	v_fma_f64 v[1:2], v[1:2], v[7:8], v[9:10]
	buffer_store_dword v4, off, s[0:3], 0 offset:900
	buffer_store_dword v3, off, s[0:3], 0 offset:896
	;; [unrolled: 1-line block ×4, first 2 shown]
.LBB56_235:
	s_or_b32 exec_lo, exec_lo, s4
	v_mov_b32_e32 v4, s8
	s_waitcnt_vscnt null, 0x0
	s_barrier
	buffer_gl0_inv
	s_mov_b32 s4, exec_lo
	s_clause 0x3
	buffer_load_dword v1, v4, s[0:3], 0 offen
	buffer_load_dword v2, v4, s[0:3], 0 offen offset:4
	buffer_load_dword v3, v4, s[0:3], 0 offen offset:8
	;; [unrolled: 1-line block ×3, first 2 shown]
	s_waitcnt vmcnt(0)
	ds_write_b128 v5, v[1:4]
	s_waitcnt lgkmcnt(0)
	s_barrier
	buffer_gl0_inv
	v_cmpx_ne_u32_e32 56, v0
	s_cbranch_execz .LBB56_239
; %bb.236:
	v_mov_b32_e32 v1, 0
	v_mov_b32_e32 v3, 0
	;; [unrolled: 1-line block ×4, first 2 shown]
	v_add_nc_u32_e32 v7, 16, v233
	s_mov_b32 s5, 0
	.p2align	6
.LBB56_237:                             ; =>This Inner Loop Header: Depth=1
	s_clause 0x3
	buffer_load_dword v12, v7, s[0:3], 0 offen offset:8
	buffer_load_dword v13, v7, s[0:3], 0 offen offset:12
	buffer_load_dword v14, v7, s[0:3], 0 offen
	buffer_load_dword v15, v7, s[0:3], 0 offen offset:4
	ds_read_b128 v[8:11], v5
	v_add_nc_u32_e32 v6, 1, v6
	v_add_nc_u32_e32 v5, 16, v5
	;; [unrolled: 1-line block ×3, first 2 shown]
	v_cmp_lt_u32_e32 vcc_lo, 54, v6
	s_or_b32 s5, vcc_lo, s5
	s_waitcnt vmcnt(2) lgkmcnt(0)
	v_mul_f64 v[16:17], v[10:11], v[12:13]
	v_mul_f64 v[12:13], v[8:9], v[12:13]
	s_waitcnt vmcnt(0)
	v_fma_f64 v[8:9], v[8:9], v[14:15], -v[16:17]
	v_fma_f64 v[10:11], v[10:11], v[14:15], v[12:13]
	v_add_f64 v[3:4], v[3:4], v[8:9]
	v_add_f64 v[1:2], v[1:2], v[10:11]
	s_andn2_b32 exec_lo, exec_lo, s5
	s_cbranch_execnz .LBB56_237
; %bb.238:
	s_or_b32 exec_lo, exec_lo, s5
	v_mov_b32_e32 v5, 0
	ds_read_b128 v[5:8], v5 offset:896
	s_waitcnt lgkmcnt(0)
	v_mul_f64 v[9:10], v[1:2], v[7:8]
	v_mul_f64 v[7:8], v[3:4], v[7:8]
	v_fma_f64 v[3:4], v[3:4], v[5:6], -v[9:10]
	v_fma_f64 v[1:2], v[1:2], v[5:6], v[7:8]
	buffer_store_dword v4, off, s[0:3], 0 offset:916
	buffer_store_dword v3, off, s[0:3], 0 offset:912
	;; [unrolled: 1-line block ×4, first 2 shown]
.LBB56_239:
	s_or_b32 exec_lo, exec_lo, s4
	s_mov_b32 s5, -1
	s_waitcnt_vscnt null, 0x0
	s_barrier
	buffer_gl0_inv
.LBB56_240:
	s_and_b32 vcc_lo, exec_lo, s5
	s_cbranch_vccz .LBB56_242
; %bb.241:
	s_lshl_b64 s[4:5], s[6:7], 2
	v_mov_b32_e32 v1, 0
	s_add_u32 s4, s10, s4
	s_addc_u32 s5, s11, s5
	global_load_dword v1, v1, s[4:5]
	s_waitcnt vmcnt(0)
	v_cmp_ne_u32_e32 vcc_lo, 0, v1
	s_cbranch_vccz .LBB56_243
.LBB56_242:
	s_endpgm
.LBB56_243:
	v_lshl_add_u32 v59, v0, 4, 0x390
	s_mov_b32 s4, exec_lo
	v_cmpx_eq_u32_e32 56, v0
	s_cbranch_execz .LBB56_245
; %bb.244:
	v_mov_b32_e32 v4, s9
	v_mov_b32_e32 v5, 0
	s_clause 0x3
	buffer_load_dword v1, v4, s[0:3], 0 offen
	buffer_load_dword v2, v4, s[0:3], 0 offen offset:4
	buffer_load_dword v3, v4, s[0:3], 0 offen offset:8
	;; [unrolled: 1-line block ×3, first 2 shown]
	buffer_store_dword v5, off, s[0:3], 0 offset:896
	buffer_store_dword v5, off, s[0:3], 0 offset:900
	;; [unrolled: 1-line block ×4, first 2 shown]
	s_waitcnt vmcnt(0)
	ds_write_b128 v59, v[1:4]
.LBB56_245:
	s_or_b32 exec_lo, exec_lo, s4
	s_waitcnt lgkmcnt(0)
	s_waitcnt_vscnt null, 0x0
	s_barrier
	buffer_gl0_inv
	s_clause 0x7
	buffer_load_dword v6, off, s[0:3], 0 offset:920
	buffer_load_dword v7, off, s[0:3], 0 offset:924
	;; [unrolled: 1-line block ×8, first 2 shown]
	v_mov_b32_e32 v1, 0
	s_mov_b32 s4, exec_lo
	ds_read_b128 v[2:5], v1 offset:1808
	s_waitcnt vmcnt(6) lgkmcnt(0)
	v_mul_f64 v[14:15], v[4:5], v[6:7]
	v_mul_f64 v[6:7], v[2:3], v[6:7]
	s_waitcnt vmcnt(4)
	v_fma_f64 v[2:3], v[2:3], v[8:9], -v[14:15]
	v_fma_f64 v[4:5], v[4:5], v[8:9], v[6:7]
	v_add_f64 v[2:3], v[2:3], 0
	v_add_f64 v[4:5], v[4:5], 0
	s_waitcnt vmcnt(2)
	v_add_f64 v[2:3], v[10:11], -v[2:3]
	s_waitcnt vmcnt(0)
	v_add_f64 v[4:5], v[12:13], -v[4:5]
	buffer_store_dword v2, off, s[0:3], 0 offset:896
	buffer_store_dword v3, off, s[0:3], 0 offset:900
	;; [unrolled: 1-line block ×4, first 2 shown]
	v_cmpx_lt_u32_e32 54, v0
	s_cbranch_execz .LBB56_247
; %bb.246:
	v_mov_b32_e32 v5, s12
	s_clause 0x3
	buffer_load_dword v2, v5, s[0:3], 0 offen
	buffer_load_dword v3, v5, s[0:3], 0 offen offset:4
	buffer_load_dword v4, v5, s[0:3], 0 offen offset:8
	;; [unrolled: 1-line block ×3, first 2 shown]
	buffer_store_dword v1, off, s[0:3], 0 offset:880
	buffer_store_dword v1, off, s[0:3], 0 offset:884
	;; [unrolled: 1-line block ×4, first 2 shown]
	s_waitcnt vmcnt(0)
	ds_write_b128 v59, v[2:5]
.LBB56_247:
	s_or_b32 exec_lo, exec_lo, s4
	s_waitcnt lgkmcnt(0)
	s_waitcnt_vscnt null, 0x0
	s_barrier
	buffer_gl0_inv
	s_clause 0xb
	buffer_load_dword v10, off, s[0:3], 0 offset:904
	buffer_load_dword v11, off, s[0:3], 0 offset:908
	;; [unrolled: 1-line block ×12, first 2 shown]
	ds_read_b128 v[2:5], v1 offset:1792
	ds_read_b128 v[6:9], v1 offset:1808
	s_mov_b32 s4, exec_lo
	s_waitcnt vmcnt(10) lgkmcnt(1)
	v_mul_f64 v[22:23], v[4:5], v[10:11]
	v_mul_f64 v[10:11], v[2:3], v[10:11]
	s_waitcnt vmcnt(8) lgkmcnt(0)
	v_mul_f64 v[24:25], v[8:9], v[12:13]
	v_mul_f64 v[12:13], v[6:7], v[12:13]
	s_waitcnt vmcnt(6)
	v_fma_f64 v[1:2], v[2:3], v[14:15], -v[22:23]
	v_fma_f64 v[3:4], v[4:5], v[14:15], v[10:11]
	s_waitcnt vmcnt(4)
	v_fma_f64 v[5:6], v[6:7], v[16:17], -v[24:25]
	v_fma_f64 v[7:8], v[8:9], v[16:17], v[12:13]
	v_add_f64 v[1:2], v[1:2], 0
	v_add_f64 v[3:4], v[3:4], 0
	;; [unrolled: 1-line block ×4, first 2 shown]
	s_waitcnt vmcnt(2)
	v_add_f64 v[1:2], v[18:19], -v[1:2]
	s_waitcnt vmcnt(0)
	v_add_f64 v[3:4], v[20:21], -v[3:4]
	buffer_store_dword v1, off, s[0:3], 0 offset:880
	buffer_store_dword v2, off, s[0:3], 0 offset:884
	buffer_store_dword v3, off, s[0:3], 0 offset:888
	buffer_store_dword v4, off, s[0:3], 0 offset:892
	v_cmpx_lt_u32_e32 53, v0
	s_cbranch_execz .LBB56_249
; %bb.248:
	v_mov_b32_e32 v4, s13
	v_mov_b32_e32 v5, 0
	s_clause 0x3
	buffer_load_dword v1, v4, s[0:3], 0 offen
	buffer_load_dword v2, v4, s[0:3], 0 offen offset:4
	buffer_load_dword v3, v4, s[0:3], 0 offen offset:8
	buffer_load_dword v4, v4, s[0:3], 0 offen offset:12
	buffer_store_dword v5, off, s[0:3], 0 offset:864
	buffer_store_dword v5, off, s[0:3], 0 offset:868
	;; [unrolled: 1-line block ×4, first 2 shown]
	s_waitcnt vmcnt(0)
	ds_write_b128 v59, v[1:4]
.LBB56_249:
	s_or_b32 exec_lo, exec_lo, s4
	s_waitcnt lgkmcnt(0)
	s_waitcnt_vscnt null, 0x0
	s_barrier
	buffer_gl0_inv
	s_clause 0xf
	buffer_load_dword v10, off, s[0:3], 0 offset:888
	buffer_load_dword v11, off, s[0:3], 0 offset:892
	;; [unrolled: 1-line block ×16, first 2 shown]
	v_mov_b32_e32 v1, 0
	ds_read_b128 v[2:5], v1 offset:1776
	ds_read_b128 v[6:9], v1 offset:1792
	s_mov_b32 s4, exec_lo
	s_waitcnt vmcnt(14) lgkmcnt(1)
	v_mul_f64 v[28:29], v[4:5], v[10:11]
	v_mul_f64 v[30:31], v[2:3], v[10:11]
	s_waitcnt vmcnt(12) lgkmcnt(0)
	v_mul_f64 v[32:33], v[8:9], v[14:15]
	ds_read_b128 v[10:13], v1 offset:1808
	v_mul_f64 v[14:15], v[6:7], v[14:15]
	s_waitcnt vmcnt(10)
	v_fma_f64 v[2:3], v[2:3], v[16:17], -v[28:29]
	v_fma_f64 v[4:5], v[4:5], v[16:17], v[30:31]
	s_waitcnt vmcnt(8) lgkmcnt(0)
	v_mul_f64 v[16:17], v[10:11], v[18:19]
	v_mul_f64 v[18:19], v[12:13], v[18:19]
	s_waitcnt vmcnt(6)
	v_fma_f64 v[6:7], v[6:7], v[20:21], -v[32:33]
	v_fma_f64 v[8:9], v[8:9], v[20:21], v[14:15]
	v_add_f64 v[2:3], v[2:3], 0
	v_add_f64 v[4:5], v[4:5], 0
	s_waitcnt vmcnt(4)
	v_fma_f64 v[10:11], v[10:11], v[22:23], -v[18:19]
	v_add_f64 v[2:3], v[2:3], v[6:7]
	v_fma_f64 v[6:7], v[12:13], v[22:23], v[16:17]
	v_add_f64 v[4:5], v[4:5], v[8:9]
	v_add_f64 v[2:3], v[2:3], v[10:11]
	;; [unrolled: 1-line block ×3, first 2 shown]
	s_waitcnt vmcnt(2)
	v_add_f64 v[2:3], v[24:25], -v[2:3]
	s_waitcnt vmcnt(0)
	v_add_f64 v[4:5], v[26:27], -v[4:5]
	buffer_store_dword v2, off, s[0:3], 0 offset:864
	buffer_store_dword v3, off, s[0:3], 0 offset:868
	;; [unrolled: 1-line block ×4, first 2 shown]
	v_cmpx_lt_u32_e32 52, v0
	s_cbranch_execz .LBB56_251
; %bb.250:
	v_mov_b32_e32 v5, s14
	s_clause 0x3
	buffer_load_dword v2, v5, s[0:3], 0 offen
	buffer_load_dword v3, v5, s[0:3], 0 offen offset:4
	buffer_load_dword v4, v5, s[0:3], 0 offen offset:8
	buffer_load_dword v5, v5, s[0:3], 0 offen offset:12
	buffer_store_dword v1, off, s[0:3], 0 offset:848
	buffer_store_dword v1, off, s[0:3], 0 offset:852
	;; [unrolled: 1-line block ×4, first 2 shown]
	s_waitcnt vmcnt(0)
	ds_write_b128 v59, v[2:5]
.LBB56_251:
	s_or_b32 exec_lo, exec_lo, s4
	s_waitcnt lgkmcnt(0)
	s_waitcnt_vscnt null, 0x0
	s_barrier
	buffer_gl0_inv
	s_clause 0x13
	buffer_load_dword v10, off, s[0:3], 0 offset:872
	buffer_load_dword v11, off, s[0:3], 0 offset:876
	;; [unrolled: 1-line block ×20, first 2 shown]
	ds_read_b128 v[2:5], v1 offset:1760
	ds_read_b128 v[6:9], v1 offset:1776
	s_mov_b32 s4, exec_lo
	s_waitcnt vmcnt(18) lgkmcnt(1)
	v_mul_f64 v[32:33], v[4:5], v[10:11]
	v_mul_f64 v[34:35], v[2:3], v[10:11]
	s_waitcnt vmcnt(16) lgkmcnt(0)
	v_mul_f64 v[36:37], v[8:9], v[14:15]
	ds_read_b128 v[10:13], v1 offset:1792
	v_mul_f64 v[14:15], v[6:7], v[14:15]
	s_waitcnt vmcnt(14)
	v_fma_f64 v[32:33], v[2:3], v[16:17], -v[32:33]
	v_fma_f64 v[16:17], v[4:5], v[16:17], v[34:35]
	s_waitcnt vmcnt(12) lgkmcnt(0)
	v_mul_f64 v[34:35], v[10:11], v[18:19]
	v_mul_f64 v[18:19], v[12:13], v[18:19]
	s_waitcnt vmcnt(10)
	v_fma_f64 v[5:6], v[6:7], v[20:21], -v[36:37]
	ds_read_b128 v[1:4], v1 offset:1808
	v_fma_f64 v[7:8], v[8:9], v[20:21], v[14:15]
	v_add_f64 v[32:33], v[32:33], 0
	v_add_f64 v[14:15], v[16:17], 0
	s_waitcnt vmcnt(8) lgkmcnt(0)
	v_mul_f64 v[20:21], v[3:4], v[22:23]
	s_waitcnt vmcnt(6)
	v_fma_f64 v[9:10], v[10:11], v[24:25], -v[18:19]
	v_mul_f64 v[16:17], v[1:2], v[22:23]
	v_fma_f64 v[11:12], v[12:13], v[24:25], v[34:35]
	v_add_f64 v[5:6], v[32:33], v[5:6]
	v_add_f64 v[7:8], v[14:15], v[7:8]
	s_waitcnt vmcnt(4)
	v_fma_f64 v[1:2], v[1:2], v[26:27], -v[20:21]
	v_fma_f64 v[3:4], v[3:4], v[26:27], v[16:17]
	v_add_f64 v[5:6], v[5:6], v[9:10]
	v_add_f64 v[7:8], v[7:8], v[11:12]
	;; [unrolled: 1-line block ×4, first 2 shown]
	s_waitcnt vmcnt(2)
	v_add_f64 v[1:2], v[28:29], -v[1:2]
	s_waitcnt vmcnt(0)
	v_add_f64 v[3:4], v[30:31], -v[3:4]
	buffer_store_dword v1, off, s[0:3], 0 offset:848
	buffer_store_dword v2, off, s[0:3], 0 offset:852
	;; [unrolled: 1-line block ×4, first 2 shown]
	v_cmpx_lt_u32_e32 51, v0
	s_cbranch_execz .LBB56_253
; %bb.252:
	v_mov_b32_e32 v4, s15
	v_mov_b32_e32 v5, 0
	s_clause 0x3
	buffer_load_dword v1, v4, s[0:3], 0 offen
	buffer_load_dword v2, v4, s[0:3], 0 offen offset:4
	buffer_load_dword v3, v4, s[0:3], 0 offen offset:8
	;; [unrolled: 1-line block ×3, first 2 shown]
	buffer_store_dword v5, off, s[0:3], 0 offset:832
	buffer_store_dword v5, off, s[0:3], 0 offset:836
	;; [unrolled: 1-line block ×4, first 2 shown]
	s_waitcnt vmcnt(0)
	ds_write_b128 v59, v[1:4]
.LBB56_253:
	s_or_b32 exec_lo, exec_lo, s4
	s_waitcnt lgkmcnt(0)
	s_waitcnt_vscnt null, 0x0
	s_barrier
	buffer_gl0_inv
	s_clause 0x17
	buffer_load_dword v10, off, s[0:3], 0 offset:856
	buffer_load_dword v11, off, s[0:3], 0 offset:860
	;; [unrolled: 1-line block ×24, first 2 shown]
	v_mov_b32_e32 v1, 0
	ds_read_b128 v[2:5], v1 offset:1744
	ds_read_b128 v[6:9], v1 offset:1760
	s_mov_b32 s4, exec_lo
	s_waitcnt vmcnt(22) lgkmcnt(1)
	v_mul_f64 v[36:37], v[4:5], v[10:11]
	v_mul_f64 v[38:39], v[2:3], v[10:11]
	s_waitcnt vmcnt(20) lgkmcnt(0)
	v_mul_f64 v[40:41], v[8:9], v[14:15]
	ds_read_b128 v[10:13], v1 offset:1776
	v_mul_f64 v[14:15], v[6:7], v[14:15]
	s_waitcnt vmcnt(18)
	v_fma_f64 v[36:37], v[2:3], v[16:17], -v[36:37]
	v_fma_f64 v[16:17], v[4:5], v[16:17], v[38:39]
	ds_read_b128 v[2:5], v1 offset:1792
	s_waitcnt vmcnt(16) lgkmcnt(1)
	v_mul_f64 v[38:39], v[10:11], v[18:19]
	v_mul_f64 v[18:19], v[12:13], v[18:19]
	s_waitcnt vmcnt(14)
	v_fma_f64 v[40:41], v[6:7], v[20:21], -v[40:41]
	v_fma_f64 v[14:15], v[8:9], v[20:21], v[14:15]
	ds_read_b128 v[6:9], v1 offset:1808
	s_waitcnt vmcnt(10) lgkmcnt(1)
	v_mul_f64 v[20:21], v[2:3], v[22:23]
	v_add_f64 v[36:37], v[36:37], 0
	v_add_f64 v[16:17], v[16:17], 0
	v_mul_f64 v[22:23], v[4:5], v[22:23]
	s_waitcnt vmcnt(8)
	v_fma_f64 v[10:11], v[10:11], v[28:29], -v[18:19]
	v_fma_f64 v[12:13], v[12:13], v[28:29], v[38:39]
	s_waitcnt vmcnt(5)
	v_fma_f64 v[4:5], v[4:5], v[30:31], v[20:21]
	v_add_f64 v[18:19], v[36:37], v[40:41]
	v_add_f64 v[14:15], v[16:17], v[14:15]
	s_waitcnt lgkmcnt(0)
	v_mul_f64 v[16:17], v[6:7], v[24:25]
	v_mul_f64 v[24:25], v[8:9], v[24:25]
	v_fma_f64 v[2:3], v[2:3], v[30:31], -v[22:23]
	v_add_f64 v[10:11], v[18:19], v[10:11]
	v_add_f64 v[12:13], v[14:15], v[12:13]
	s_waitcnt vmcnt(4)
	v_fma_f64 v[8:9], v[8:9], v[26:27], v[16:17]
	v_fma_f64 v[6:7], v[6:7], v[26:27], -v[24:25]
	v_add_f64 v[2:3], v[10:11], v[2:3]
	v_add_f64 v[4:5], v[12:13], v[4:5]
	;; [unrolled: 1-line block ×4, first 2 shown]
	s_waitcnt vmcnt(2)
	v_add_f64 v[2:3], v[32:33], -v[2:3]
	s_waitcnt vmcnt(0)
	v_add_f64 v[4:5], v[34:35], -v[4:5]
	buffer_store_dword v3, off, s[0:3], 0 offset:836
	buffer_store_dword v2, off, s[0:3], 0 offset:832
	;; [unrolled: 1-line block ×4, first 2 shown]
	v_cmpx_lt_u32_e32 50, v0
	s_cbranch_execz .LBB56_255
; %bb.254:
	v_mov_b32_e32 v5, s16
	s_clause 0x3
	buffer_load_dword v2, v5, s[0:3], 0 offen
	buffer_load_dword v3, v5, s[0:3], 0 offen offset:4
	buffer_load_dword v4, v5, s[0:3], 0 offen offset:8
	;; [unrolled: 1-line block ×3, first 2 shown]
	buffer_store_dword v1, off, s[0:3], 0 offset:816
	buffer_store_dword v1, off, s[0:3], 0 offset:820
	;; [unrolled: 1-line block ×4, first 2 shown]
	s_waitcnt vmcnt(0)
	ds_write_b128 v59, v[2:5]
.LBB56_255:
	s_or_b32 exec_lo, exec_lo, s4
	s_waitcnt lgkmcnt(0)
	s_waitcnt_vscnt null, 0x0
	s_barrier
	buffer_gl0_inv
	s_clause 0x1b
	buffer_load_dword v10, off, s[0:3], 0 offset:840
	buffer_load_dword v11, off, s[0:3], 0 offset:844
	buffer_load_dword v14, off, s[0:3], 0 offset:856
	buffer_load_dword v15, off, s[0:3], 0 offset:860
	buffer_load_dword v16, off, s[0:3], 0 offset:832
	buffer_load_dword v17, off, s[0:3], 0 offset:836
	buffer_load_dword v18, off, s[0:3], 0 offset:872
	buffer_load_dword v19, off, s[0:3], 0 offset:876
	buffer_load_dword v20, off, s[0:3], 0 offset:848
	buffer_load_dword v21, off, s[0:3], 0 offset:852
	buffer_load_dword v23, off, s[0:3], 0 offset:892
	buffer_load_dword v24, off, s[0:3], 0 offset:904
	buffer_load_dword v26, off, s[0:3], 0 offset:896
	buffer_load_dword v22, off, s[0:3], 0 offset:888
	buffer_load_dword v28, off, s[0:3], 0 offset:864
	buffer_load_dword v29, off, s[0:3], 0 offset:868
	buffer_load_dword v25, off, s[0:3], 0 offset:908
	buffer_load_dword v31, off, s[0:3], 0 offset:884
	buffer_load_dword v30, off, s[0:3], 0 offset:880
	buffer_load_dword v33, off, s[0:3], 0 offset:924
	buffer_load_dword v32, off, s[0:3], 0 offset:920
	buffer_load_dword v27, off, s[0:3], 0 offset:900
	buffer_load_dword v35, off, s[0:3], 0 offset:916
	buffer_load_dword v34, off, s[0:3], 0 offset:912
	buffer_load_dword v36, off, s[0:3], 0 offset:816
	buffer_load_dword v37, off, s[0:3], 0 offset:820
	buffer_load_dword v38, off, s[0:3], 0 offset:824
	buffer_load_dword v39, off, s[0:3], 0 offset:828
	ds_read_b128 v[2:5], v1 offset:1728
	ds_read_b128 v[6:9], v1 offset:1744
	s_mov_b32 s4, exec_lo
	s_waitcnt vmcnt(26) lgkmcnt(1)
	v_mul_f64 v[40:41], v[4:5], v[10:11]
	v_mul_f64 v[42:43], v[2:3], v[10:11]
	s_waitcnt vmcnt(24) lgkmcnt(0)
	v_mul_f64 v[44:45], v[8:9], v[14:15]
	ds_read_b128 v[10:13], v1 offset:1760
	v_mul_f64 v[14:15], v[6:7], v[14:15]
	s_waitcnt vmcnt(22)
	v_fma_f64 v[40:41], v[2:3], v[16:17], -v[40:41]
	v_fma_f64 v[16:17], v[4:5], v[16:17], v[42:43]
	ds_read_b128 v[2:5], v1 offset:1776
	s_waitcnt vmcnt(20) lgkmcnt(1)
	v_mul_f64 v[42:43], v[10:11], v[18:19]
	v_mul_f64 v[18:19], v[12:13], v[18:19]
	s_waitcnt vmcnt(18)
	v_fma_f64 v[44:45], v[6:7], v[20:21], -v[44:45]
	v_fma_f64 v[14:15], v[8:9], v[20:21], v[14:15]
	ds_read_b128 v[6:9], v1 offset:1792
	s_waitcnt vmcnt(14) lgkmcnt(1)
	v_mul_f64 v[20:21], v[2:3], v[22:23]
	v_add_f64 v[40:41], v[40:41], 0
	v_add_f64 v[16:17], v[16:17], 0
	v_mul_f64 v[22:23], v[4:5], v[22:23]
	s_waitcnt vmcnt(12)
	v_fma_f64 v[18:19], v[10:11], v[28:29], -v[18:19]
	v_fma_f64 v[28:29], v[12:13], v[28:29], v[42:43]
	ds_read_b128 v[10:13], v1 offset:1808
	v_add_f64 v[40:41], v[40:41], v[44:45]
	v_add_f64 v[14:15], v[16:17], v[14:15]
	s_waitcnt vmcnt(11) lgkmcnt(1)
	v_mul_f64 v[16:17], v[6:7], v[24:25]
	v_mul_f64 v[24:25], v[8:9], v[24:25]
	s_waitcnt vmcnt(9)
	v_fma_f64 v[1:2], v[2:3], v[30:31], -v[22:23]
	v_fma_f64 v[3:4], v[4:5], v[30:31], v[20:21]
	s_waitcnt vmcnt(7) lgkmcnt(0)
	v_mul_f64 v[22:23], v[12:13], v[32:33]
	v_mul_f64 v[20:21], v[10:11], v[32:33]
	v_add_f64 v[18:19], v[40:41], v[18:19]
	v_add_f64 v[14:15], v[14:15], v[28:29]
	s_waitcnt vmcnt(6)
	v_fma_f64 v[5:6], v[6:7], v[26:27], -v[24:25]
	v_fma_f64 v[7:8], v[8:9], v[26:27], v[16:17]
	s_waitcnt vmcnt(4)
	v_fma_f64 v[9:10], v[10:11], v[34:35], -v[22:23]
	v_add_f64 v[1:2], v[18:19], v[1:2]
	v_add_f64 v[3:4], v[14:15], v[3:4]
	;; [unrolled: 1-line block ×3, first 2 shown]
	v_fma_f64 v[5:6], v[12:13], v[34:35], v[20:21]
	v_add_f64 v[3:4], v[3:4], v[7:8]
	v_add_f64 v[1:2], v[1:2], v[9:10]
	;; [unrolled: 1-line block ×3, first 2 shown]
	s_waitcnt vmcnt(2)
	v_add_f64 v[1:2], v[36:37], -v[1:2]
	s_waitcnt vmcnt(0)
	v_add_f64 v[3:4], v[38:39], -v[3:4]
	buffer_store_dword v2, off, s[0:3], 0 offset:820
	buffer_store_dword v1, off, s[0:3], 0 offset:816
	;; [unrolled: 1-line block ×4, first 2 shown]
	v_cmpx_lt_u32_e32 49, v0
	s_cbranch_execz .LBB56_257
; %bb.256:
	v_mov_b32_e32 v4, s17
	v_mov_b32_e32 v5, 0
	s_clause 0x3
	buffer_load_dword v1, v4, s[0:3], 0 offen
	buffer_load_dword v2, v4, s[0:3], 0 offen offset:4
	buffer_load_dword v3, v4, s[0:3], 0 offen offset:8
	;; [unrolled: 1-line block ×3, first 2 shown]
	buffer_store_dword v5, off, s[0:3], 0 offset:800
	buffer_store_dword v5, off, s[0:3], 0 offset:804
	;; [unrolled: 1-line block ×4, first 2 shown]
	s_waitcnt vmcnt(0)
	ds_write_b128 v59, v[1:4]
.LBB56_257:
	s_or_b32 exec_lo, exec_lo, s4
	s_waitcnt lgkmcnt(0)
	s_waitcnt_vscnt null, 0x0
	s_barrier
	buffer_gl0_inv
	s_clause 0x1f
	buffer_load_dword v10, off, s[0:3], 0 offset:824
	buffer_load_dword v11, off, s[0:3], 0 offset:828
	;; [unrolled: 1-line block ×32, first 2 shown]
	v_mov_b32_e32 v1, 0
	ds_read_b128 v[2:5], v1 offset:1712
	ds_read_b128 v[6:9], v1 offset:1728
	s_mov_b32 s4, exec_lo
	s_waitcnt vmcnt(30) lgkmcnt(1)
	v_mul_f64 v[44:45], v[4:5], v[10:11]
	v_mul_f64 v[46:47], v[2:3], v[10:11]
	s_waitcnt vmcnt(28) lgkmcnt(0)
	v_mul_f64 v[48:49], v[8:9], v[14:15]
	ds_read_b128 v[10:13], v1 offset:1744
	v_mul_f64 v[14:15], v[6:7], v[14:15]
	s_waitcnt vmcnt(26)
	v_fma_f64 v[44:45], v[2:3], v[16:17], -v[44:45]
	v_fma_f64 v[16:17], v[4:5], v[16:17], v[46:47]
	ds_read_b128 v[2:5], v1 offset:1760
	s_waitcnt vmcnt(24) lgkmcnt(1)
	v_mul_f64 v[46:47], v[10:11], v[18:19]
	v_mul_f64 v[18:19], v[12:13], v[18:19]
	s_waitcnt vmcnt(22)
	v_fma_f64 v[48:49], v[6:7], v[20:21], -v[48:49]
	v_fma_f64 v[14:15], v[8:9], v[20:21], v[14:15]
	ds_read_b128 v[6:9], v1 offset:1776
	s_waitcnt vmcnt(18) lgkmcnt(1)
	v_mul_f64 v[20:21], v[2:3], v[22:23]
	v_add_f64 v[44:45], v[44:45], 0
	v_add_f64 v[16:17], v[16:17], 0
	v_mul_f64 v[22:23], v[4:5], v[22:23]
	s_waitcnt vmcnt(16)
	v_fma_f64 v[18:19], v[10:11], v[28:29], -v[18:19]
	v_fma_f64 v[28:29], v[12:13], v[28:29], v[46:47]
	ds_read_b128 v[10:13], v1 offset:1792
	s_waitcnt vmcnt(13)
	v_fma_f64 v[20:21], v[4:5], v[30:31], v[20:21]
	v_add_f64 v[44:45], v[44:45], v[48:49]
	v_add_f64 v[14:15], v[16:17], v[14:15]
	s_waitcnt lgkmcnt(1)
	v_mul_f64 v[16:17], v[6:7], v[24:25]
	v_mul_f64 v[24:25], v[8:9], v[24:25]
	v_fma_f64 v[22:23], v[2:3], v[30:31], -v[22:23]
	s_waitcnt vmcnt(9) lgkmcnt(0)
	v_mul_f64 v[30:31], v[12:13], v[32:33]
	ds_read_b128 v[2:5], v1 offset:1808
	v_add_f64 v[18:19], v[44:45], v[18:19]
	v_add_f64 v[14:15], v[14:15], v[28:29]
	v_mul_f64 v[28:29], v[10:11], v[32:33]
	s_waitcnt vmcnt(8)
	v_fma_f64 v[6:7], v[6:7], v[26:27], -v[24:25]
	v_fma_f64 v[8:9], v[8:9], v[26:27], v[16:17]
	s_waitcnt vmcnt(5)
	v_fma_f64 v[10:11], v[10:11], v[38:39], -v[30:31]
	s_waitcnt lgkmcnt(0)
	v_mul_f64 v[16:17], v[2:3], v[34:35]
	v_add_f64 v[18:19], v[18:19], v[22:23]
	v_add_f64 v[14:15], v[14:15], v[20:21]
	v_mul_f64 v[20:21], v[4:5], v[34:35]
	v_fma_f64 v[12:13], v[12:13], v[38:39], v[28:29]
	s_waitcnt vmcnt(4)
	v_fma_f64 v[4:5], v[4:5], v[36:37], v[16:17]
	v_add_f64 v[6:7], v[18:19], v[6:7]
	v_add_f64 v[8:9], v[14:15], v[8:9]
	v_fma_f64 v[2:3], v[2:3], v[36:37], -v[20:21]
	v_add_f64 v[6:7], v[6:7], v[10:11]
	v_add_f64 v[8:9], v[8:9], v[12:13]
	;; [unrolled: 1-line block ×4, first 2 shown]
	s_waitcnt vmcnt(2)
	v_add_f64 v[2:3], v[40:41], -v[2:3]
	s_waitcnt vmcnt(0)
	v_add_f64 v[4:5], v[42:43], -v[4:5]
	buffer_store_dword v3, off, s[0:3], 0 offset:804
	buffer_store_dword v2, off, s[0:3], 0 offset:800
	buffer_store_dword v5, off, s[0:3], 0 offset:812
	buffer_store_dword v4, off, s[0:3], 0 offset:808
	v_cmpx_lt_u32_e32 48, v0
	s_cbranch_execz .LBB56_259
; %bb.258:
	v_mov_b32_e32 v5, s18
	s_clause 0x3
	buffer_load_dword v2, v5, s[0:3], 0 offen
	buffer_load_dword v3, v5, s[0:3], 0 offen offset:4
	buffer_load_dword v4, v5, s[0:3], 0 offen offset:8
	;; [unrolled: 1-line block ×3, first 2 shown]
	buffer_store_dword v1, off, s[0:3], 0 offset:784
	buffer_store_dword v1, off, s[0:3], 0 offset:788
	;; [unrolled: 1-line block ×4, first 2 shown]
	s_waitcnt vmcnt(0)
	ds_write_b128 v59, v[2:5]
.LBB56_259:
	s_or_b32 exec_lo, exec_lo, s4
	s_waitcnt lgkmcnt(0)
	s_waitcnt_vscnt null, 0x0
	s_barrier
	buffer_gl0_inv
	s_clause 0x23
	buffer_load_dword v10, off, s[0:3], 0 offset:808
	buffer_load_dword v11, off, s[0:3], 0 offset:812
	;; [unrolled: 1-line block ×36, first 2 shown]
	ds_read_b128 v[2:5], v1 offset:1696
	ds_read_b128 v[6:9], v1 offset:1712
	s_mov_b32 s4, exec_lo
	s_waitcnt vmcnt(34) lgkmcnt(1)
	v_mul_f64 v[48:49], v[4:5], v[10:11]
	v_mul_f64 v[50:51], v[2:3], v[10:11]
	s_waitcnt vmcnt(32) lgkmcnt(0)
	v_mul_f64 v[52:53], v[8:9], v[14:15]
	ds_read_b128 v[10:13], v1 offset:1728
	v_mul_f64 v[14:15], v[6:7], v[14:15]
	s_waitcnt vmcnt(30)
	v_fma_f64 v[48:49], v[2:3], v[16:17], -v[48:49]
	v_fma_f64 v[16:17], v[4:5], v[16:17], v[50:51]
	ds_read_b128 v[2:5], v1 offset:1744
	s_waitcnt vmcnt(28) lgkmcnt(1)
	v_mul_f64 v[50:51], v[10:11], v[18:19]
	v_mul_f64 v[18:19], v[12:13], v[18:19]
	s_waitcnt vmcnt(26)
	v_fma_f64 v[52:53], v[6:7], v[20:21], -v[52:53]
	v_fma_f64 v[14:15], v[8:9], v[20:21], v[14:15]
	ds_read_b128 v[6:9], v1 offset:1760
	s_waitcnt vmcnt(22) lgkmcnt(1)
	v_mul_f64 v[20:21], v[2:3], v[22:23]
	v_add_f64 v[48:49], v[48:49], 0
	v_add_f64 v[16:17], v[16:17], 0
	v_mul_f64 v[22:23], v[4:5], v[22:23]
	s_waitcnt vmcnt(20)
	v_fma_f64 v[18:19], v[10:11], v[28:29], -v[18:19]
	v_fma_f64 v[28:29], v[12:13], v[28:29], v[50:51]
	ds_read_b128 v[10:13], v1 offset:1776
	s_waitcnt vmcnt(17)
	v_fma_f64 v[20:21], v[4:5], v[30:31], v[20:21]
	v_add_f64 v[48:49], v[48:49], v[52:53]
	v_add_f64 v[14:15], v[16:17], v[14:15]
	s_waitcnt lgkmcnt(1)
	v_mul_f64 v[16:17], v[6:7], v[24:25]
	v_mul_f64 v[24:25], v[8:9], v[24:25]
	v_fma_f64 v[22:23], v[2:3], v[30:31], -v[22:23]
	s_waitcnt vmcnt(13) lgkmcnt(0)
	v_mul_f64 v[30:31], v[12:13], v[32:33]
	ds_read_b128 v[2:5], v1 offset:1792
	v_add_f64 v[18:19], v[48:49], v[18:19]
	v_add_f64 v[14:15], v[14:15], v[28:29]
	v_mul_f64 v[28:29], v[10:11], v[32:33]
	s_waitcnt vmcnt(12)
	v_fma_f64 v[24:25], v[6:7], v[26:27], -v[24:25]
	v_fma_f64 v[16:17], v[8:9], v[26:27], v[16:17]
	ds_read_b128 v[6:9], v1 offset:1808
	s_waitcnt vmcnt(9)
	v_fma_f64 v[10:11], v[10:11], v[38:39], -v[30:31]
	v_add_f64 v[18:19], v[18:19], v[22:23]
	v_add_f64 v[14:15], v[14:15], v[20:21]
	s_waitcnt lgkmcnt(1)
	v_mul_f64 v[22:23], v[4:5], v[34:35]
	v_mul_f64 v[20:21], v[2:3], v[34:35]
	v_fma_f64 v[12:13], v[12:13], v[38:39], v[28:29]
	v_add_f64 v[18:19], v[18:19], v[24:25]
	v_add_f64 v[14:15], v[14:15], v[16:17]
	s_waitcnt vmcnt(7) lgkmcnt(0)
	v_mul_f64 v[24:25], v[8:9], v[40:41]
	s_waitcnt vmcnt(6)
	v_fma_f64 v[1:2], v[2:3], v[36:37], -v[22:23]
	v_mul_f64 v[16:17], v[6:7], v[40:41]
	v_fma_f64 v[3:4], v[4:5], v[36:37], v[20:21]
	v_add_f64 v[10:11], v[18:19], v[10:11]
	v_add_f64 v[12:13], v[14:15], v[12:13]
	s_waitcnt vmcnt(4)
	v_fma_f64 v[5:6], v[6:7], v[42:43], -v[24:25]
	v_fma_f64 v[7:8], v[8:9], v[42:43], v[16:17]
	v_add_f64 v[1:2], v[10:11], v[1:2]
	v_add_f64 v[3:4], v[12:13], v[3:4]
	;; [unrolled: 1-line block ×4, first 2 shown]
	s_waitcnt vmcnt(2)
	v_add_f64 v[1:2], v[44:45], -v[1:2]
	s_waitcnt vmcnt(0)
	v_add_f64 v[3:4], v[46:47], -v[3:4]
	buffer_store_dword v2, off, s[0:3], 0 offset:788
	buffer_store_dword v1, off, s[0:3], 0 offset:784
	;; [unrolled: 1-line block ×4, first 2 shown]
	v_cmpx_lt_u32_e32 47, v0
	s_cbranch_execz .LBB56_261
; %bb.260:
	v_mov_b32_e32 v4, s19
	v_mov_b32_e32 v5, 0
	s_clause 0x3
	buffer_load_dword v1, v4, s[0:3], 0 offen
	buffer_load_dword v2, v4, s[0:3], 0 offen offset:4
	buffer_load_dword v3, v4, s[0:3], 0 offen offset:8
	;; [unrolled: 1-line block ×3, first 2 shown]
	buffer_store_dword v5, off, s[0:3], 0 offset:768
	buffer_store_dword v5, off, s[0:3], 0 offset:772
	buffer_store_dword v5, off, s[0:3], 0 offset:776
	buffer_store_dword v5, off, s[0:3], 0 offset:780
	s_waitcnt vmcnt(0)
	ds_write_b128 v59, v[1:4]
.LBB56_261:
	s_or_b32 exec_lo, exec_lo, s4
	s_waitcnt lgkmcnt(0)
	s_waitcnt_vscnt null, 0x0
	s_barrier
	buffer_gl0_inv
	s_clause 0x27
	buffer_load_dword v10, off, s[0:3], 0 offset:792
	buffer_load_dword v11, off, s[0:3], 0 offset:796
	;; [unrolled: 1-line block ×40, first 2 shown]
	v_mov_b32_e32 v1, 0
	ds_read_b128 v[2:5], v1 offset:1680
	ds_read_b128 v[6:9], v1 offset:1696
	s_mov_b32 s4, exec_lo
	s_waitcnt vmcnt(38) lgkmcnt(1)
	v_mul_f64 v[52:53], v[4:5], v[10:11]
	v_mul_f64 v[54:55], v[2:3], v[10:11]
	s_waitcnt vmcnt(36) lgkmcnt(0)
	v_mul_f64 v[56:57], v[8:9], v[14:15]
	ds_read_b128 v[10:13], v1 offset:1712
	v_mul_f64 v[14:15], v[6:7], v[14:15]
	s_waitcnt vmcnt(34)
	v_fma_f64 v[52:53], v[2:3], v[16:17], -v[52:53]
	v_fma_f64 v[16:17], v[4:5], v[16:17], v[54:55]
	ds_read_b128 v[2:5], v1 offset:1728
	s_waitcnt vmcnt(32) lgkmcnt(1)
	v_mul_f64 v[54:55], v[10:11], v[18:19]
	v_mul_f64 v[18:19], v[12:13], v[18:19]
	s_waitcnt vmcnt(30)
	v_fma_f64 v[56:57], v[6:7], v[20:21], -v[56:57]
	v_fma_f64 v[14:15], v[8:9], v[20:21], v[14:15]
	ds_read_b128 v[6:9], v1 offset:1744
	s_waitcnt vmcnt(26) lgkmcnt(1)
	v_mul_f64 v[20:21], v[2:3], v[22:23]
	v_add_f64 v[52:53], v[52:53], 0
	v_add_f64 v[16:17], v[16:17], 0
	v_mul_f64 v[22:23], v[4:5], v[22:23]
	s_waitcnt vmcnt(24)
	v_fma_f64 v[18:19], v[10:11], v[28:29], -v[18:19]
	v_fma_f64 v[28:29], v[12:13], v[28:29], v[54:55]
	ds_read_b128 v[10:13], v1 offset:1760
	s_waitcnt vmcnt(21)
	v_fma_f64 v[20:21], v[4:5], v[30:31], v[20:21]
	v_add_f64 v[52:53], v[52:53], v[56:57]
	v_add_f64 v[14:15], v[16:17], v[14:15]
	s_waitcnt lgkmcnt(1)
	v_mul_f64 v[16:17], v[6:7], v[24:25]
	v_mul_f64 v[24:25], v[8:9], v[24:25]
	v_fma_f64 v[22:23], v[2:3], v[30:31], -v[22:23]
	s_waitcnt vmcnt(17) lgkmcnt(0)
	v_mul_f64 v[30:31], v[12:13], v[32:33]
	ds_read_b128 v[2:5], v1 offset:1776
	v_add_f64 v[18:19], v[52:53], v[18:19]
	v_add_f64 v[14:15], v[14:15], v[28:29]
	v_mul_f64 v[28:29], v[10:11], v[32:33]
	s_waitcnt vmcnt(16)
	v_fma_f64 v[24:25], v[6:7], v[26:27], -v[24:25]
	v_fma_f64 v[16:17], v[8:9], v[26:27], v[16:17]
	ds_read_b128 v[6:9], v1 offset:1792
	s_waitcnt vmcnt(13)
	v_fma_f64 v[26:27], v[10:11], v[38:39], -v[30:31]
	v_add_f64 v[18:19], v[18:19], v[22:23]
	v_add_f64 v[14:15], v[14:15], v[20:21]
	s_waitcnt lgkmcnt(1)
	v_mul_f64 v[22:23], v[4:5], v[34:35]
	v_mul_f64 v[20:21], v[2:3], v[34:35]
	v_add_f64 v[18:19], v[18:19], v[24:25]
	v_fma_f64 v[24:25], v[12:13], v[38:39], v[28:29]
	v_add_f64 v[14:15], v[14:15], v[16:17]
	s_waitcnt vmcnt(9) lgkmcnt(0)
	v_mul_f64 v[28:29], v[8:9], v[40:41]
	s_waitcnt vmcnt(8)
	v_fma_f64 v[2:3], v[2:3], v[36:37], -v[22:23]
	ds_read_b128 v[10:13], v1 offset:1808
	v_mul_f64 v[16:17], v[6:7], v[40:41]
	v_fma_f64 v[4:5], v[4:5], v[36:37], v[20:21]
	v_add_f64 v[18:19], v[18:19], v[26:27]
	v_add_f64 v[14:15], v[14:15], v[24:25]
	s_waitcnt vmcnt(7) lgkmcnt(0)
	v_mul_f64 v[22:23], v[12:13], v[42:43]
	s_waitcnt vmcnt(5)
	v_fma_f64 v[6:7], v[6:7], v[46:47], -v[28:29]
	v_mul_f64 v[20:21], v[10:11], v[42:43]
	v_fma_f64 v[8:9], v[8:9], v[46:47], v[16:17]
	v_add_f64 v[2:3], v[18:19], v[2:3]
	v_add_f64 v[4:5], v[14:15], v[4:5]
	s_waitcnt vmcnt(4)
	v_fma_f64 v[10:11], v[10:11], v[44:45], -v[22:23]
	v_add_f64 v[2:3], v[2:3], v[6:7]
	v_fma_f64 v[6:7], v[12:13], v[44:45], v[20:21]
	v_add_f64 v[4:5], v[4:5], v[8:9]
	v_add_f64 v[2:3], v[2:3], v[10:11]
	;; [unrolled: 1-line block ×3, first 2 shown]
	s_waitcnt vmcnt(2)
	v_add_f64 v[2:3], v[48:49], -v[2:3]
	s_waitcnt vmcnt(0)
	v_add_f64 v[4:5], v[50:51], -v[4:5]
	buffer_store_dword v3, off, s[0:3], 0 offset:772
	buffer_store_dword v2, off, s[0:3], 0 offset:768
	;; [unrolled: 1-line block ×4, first 2 shown]
	v_cmpx_lt_u32_e32 46, v0
	s_cbranch_execz .LBB56_263
; %bb.262:
	v_mov_b32_e32 v5, s22
	s_clause 0x3
	buffer_load_dword v2, v5, s[0:3], 0 offen
	buffer_load_dword v3, v5, s[0:3], 0 offen offset:4
	buffer_load_dword v4, v5, s[0:3], 0 offen offset:8
	;; [unrolled: 1-line block ×3, first 2 shown]
	buffer_store_dword v1, off, s[0:3], 0 offset:752
	buffer_store_dword v1, off, s[0:3], 0 offset:756
	;; [unrolled: 1-line block ×4, first 2 shown]
	s_waitcnt vmcnt(0)
	ds_write_b128 v59, v[2:5]
.LBB56_263:
	s_or_b32 exec_lo, exec_lo, s4
	s_waitcnt lgkmcnt(0)
	s_waitcnt_vscnt null, 0x0
	s_barrier
	buffer_gl0_inv
	s_clause 0x2b
	buffer_load_dword v10, off, s[0:3], 0 offset:776
	buffer_load_dword v11, off, s[0:3], 0 offset:780
	;; [unrolled: 1-line block ×44, first 2 shown]
	ds_read_b128 v[2:5], v1 offset:1664
	ds_read_b128 v[6:9], v1 offset:1680
	s_mov_b32 s4, exec_lo
	s_waitcnt vmcnt(42) lgkmcnt(1)
	v_mul_f64 v[56:57], v[4:5], v[10:11]
	v_mul_f64 v[77:78], v[2:3], v[10:11]
	s_waitcnt vmcnt(40) lgkmcnt(0)
	v_mul_f64 v[79:80], v[8:9], v[14:15]
	ds_read_b128 v[10:13], v1 offset:1696
	v_mul_f64 v[14:15], v[6:7], v[14:15]
	s_waitcnt vmcnt(38)
	v_fma_f64 v[56:57], v[2:3], v[16:17], -v[56:57]
	v_fma_f64 v[16:17], v[4:5], v[16:17], v[77:78]
	ds_read_b128 v[2:5], v1 offset:1712
	s_waitcnt vmcnt(36) lgkmcnt(1)
	v_mul_f64 v[77:78], v[10:11], v[18:19]
	v_mul_f64 v[18:19], v[12:13], v[18:19]
	s_waitcnt vmcnt(34)
	v_fma_f64 v[79:80], v[6:7], v[20:21], -v[79:80]
	v_fma_f64 v[14:15], v[8:9], v[20:21], v[14:15]
	ds_read_b128 v[6:9], v1 offset:1728
	s_waitcnt vmcnt(30) lgkmcnt(1)
	v_mul_f64 v[20:21], v[2:3], v[22:23]
	v_add_f64 v[56:57], v[56:57], 0
	v_add_f64 v[16:17], v[16:17], 0
	v_mul_f64 v[22:23], v[4:5], v[22:23]
	s_waitcnt vmcnt(28)
	v_fma_f64 v[18:19], v[10:11], v[28:29], -v[18:19]
	v_fma_f64 v[28:29], v[12:13], v[28:29], v[77:78]
	ds_read_b128 v[10:13], v1 offset:1744
	s_waitcnt vmcnt(25)
	v_fma_f64 v[20:21], v[4:5], v[30:31], v[20:21]
	v_add_f64 v[56:57], v[56:57], v[79:80]
	v_add_f64 v[14:15], v[16:17], v[14:15]
	s_waitcnt lgkmcnt(1)
	v_mul_f64 v[16:17], v[6:7], v[24:25]
	v_mul_f64 v[24:25], v[8:9], v[24:25]
	v_fma_f64 v[22:23], v[2:3], v[30:31], -v[22:23]
	s_waitcnt vmcnt(21) lgkmcnt(0)
	v_mul_f64 v[30:31], v[12:13], v[32:33]
	ds_read_b128 v[2:5], v1 offset:1760
	v_add_f64 v[18:19], v[56:57], v[18:19]
	v_add_f64 v[14:15], v[14:15], v[28:29]
	v_mul_f64 v[28:29], v[10:11], v[32:33]
	s_waitcnt vmcnt(20)
	v_fma_f64 v[24:25], v[6:7], v[26:27], -v[24:25]
	v_fma_f64 v[16:17], v[8:9], v[26:27], v[16:17]
	ds_read_b128 v[6:9], v1 offset:1776
	s_waitcnt vmcnt(17)
	v_fma_f64 v[26:27], v[10:11], v[38:39], -v[30:31]
	v_add_f64 v[18:19], v[18:19], v[22:23]
	v_add_f64 v[14:15], v[14:15], v[20:21]
	s_waitcnt lgkmcnt(1)
	v_mul_f64 v[22:23], v[4:5], v[34:35]
	v_mul_f64 v[20:21], v[2:3], v[34:35]
	v_add_f64 v[18:19], v[18:19], v[24:25]
	v_fma_f64 v[24:25], v[12:13], v[38:39], v[28:29]
	v_add_f64 v[14:15], v[14:15], v[16:17]
	s_waitcnt vmcnt(13) lgkmcnt(0)
	v_mul_f64 v[28:29], v[8:9], v[40:41]
	s_waitcnt vmcnt(12)
	v_fma_f64 v[22:23], v[2:3], v[36:37], -v[22:23]
	ds_read_b128 v[10:13], v1 offset:1792
	v_mul_f64 v[16:17], v[6:7], v[40:41]
	v_fma_f64 v[20:21], v[4:5], v[36:37], v[20:21]
	ds_read_b128 v[1:4], v1 offset:1808
	v_add_f64 v[18:19], v[18:19], v[26:27]
	v_add_f64 v[14:15], v[14:15], v[24:25]
	s_waitcnt vmcnt(11) lgkmcnt(1)
	v_mul_f64 v[26:27], v[12:13], v[42:43]
	s_waitcnt vmcnt(9)
	v_fma_f64 v[5:6], v[6:7], v[46:47], -v[28:29]
	v_mul_f64 v[24:25], v[10:11], v[42:43]
	v_fma_f64 v[7:8], v[8:9], v[46:47], v[16:17]
	s_waitcnt vmcnt(7) lgkmcnt(0)
	v_mul_f64 v[16:17], v[1:2], v[48:49]
	v_add_f64 v[18:19], v[18:19], v[22:23]
	v_add_f64 v[14:15], v[14:15], v[20:21]
	v_mul_f64 v[20:21], v[3:4], v[48:49]
	s_waitcnt vmcnt(6)
	v_fma_f64 v[9:10], v[10:11], v[44:45], -v[26:27]
	v_fma_f64 v[11:12], v[12:13], v[44:45], v[24:25]
	s_waitcnt vmcnt(4)
	v_fma_f64 v[3:4], v[3:4], v[50:51], v[16:17]
	v_add_f64 v[5:6], v[18:19], v[5:6]
	v_add_f64 v[7:8], v[14:15], v[7:8]
	v_fma_f64 v[1:2], v[1:2], v[50:51], -v[20:21]
	v_add_f64 v[5:6], v[5:6], v[9:10]
	v_add_f64 v[7:8], v[7:8], v[11:12]
	v_add_f64 v[1:2], v[5:6], v[1:2]
	v_add_f64 v[3:4], v[7:8], v[3:4]
	s_waitcnt vmcnt(2)
	v_add_f64 v[1:2], v[52:53], -v[1:2]
	s_waitcnt vmcnt(0)
	v_add_f64 v[3:4], v[54:55], -v[3:4]
	buffer_store_dword v2, off, s[0:3], 0 offset:756
	buffer_store_dword v1, off, s[0:3], 0 offset:752
	;; [unrolled: 1-line block ×4, first 2 shown]
	v_cmpx_lt_u32_e32 45, v0
	s_cbranch_execz .LBB56_265
; %bb.264:
	v_mov_b32_e32 v4, s23
	v_mov_b32_e32 v5, 0
	s_clause 0x3
	buffer_load_dword v1, v4, s[0:3], 0 offen
	buffer_load_dword v2, v4, s[0:3], 0 offen offset:4
	buffer_load_dword v3, v4, s[0:3], 0 offen offset:8
	;; [unrolled: 1-line block ×3, first 2 shown]
	buffer_store_dword v5, off, s[0:3], 0 offset:736
	buffer_store_dword v5, off, s[0:3], 0 offset:740
	;; [unrolled: 1-line block ×4, first 2 shown]
	s_waitcnt vmcnt(0)
	ds_write_b128 v59, v[1:4]
.LBB56_265:
	s_or_b32 exec_lo, exec_lo, s4
	s_waitcnt lgkmcnt(0)
	s_waitcnt_vscnt null, 0x0
	s_barrier
	buffer_gl0_inv
	s_clause 0x2f
	buffer_load_dword v10, off, s[0:3], 0 offset:760
	buffer_load_dword v11, off, s[0:3], 0 offset:764
	;; [unrolled: 1-line block ×48, first 2 shown]
	v_mov_b32_e32 v1, 0
	ds_read_b128 v[2:5], v1 offset:1648
	ds_read_b128 v[6:9], v1 offset:1664
	s_mov_b32 s4, exec_lo
	s_waitcnt vmcnt(46) lgkmcnt(1)
	v_mul_f64 v[79:80], v[4:5], v[10:11]
	v_mul_f64 v[89:90], v[2:3], v[10:11]
	s_waitcnt vmcnt(44) lgkmcnt(0)
	v_mul_f64 v[91:92], v[8:9], v[14:15]
	ds_read_b128 v[10:13], v1 offset:1680
	v_mul_f64 v[14:15], v[6:7], v[14:15]
	s_waitcnt vmcnt(42)
	v_fma_f64 v[79:80], v[2:3], v[16:17], -v[79:80]
	v_fma_f64 v[16:17], v[4:5], v[16:17], v[89:90]
	ds_read_b128 v[2:5], v1 offset:1696
	s_waitcnt vmcnt(40) lgkmcnt(1)
	v_mul_f64 v[89:90], v[10:11], v[18:19]
	v_mul_f64 v[18:19], v[12:13], v[18:19]
	s_waitcnt vmcnt(38)
	v_fma_f64 v[91:92], v[6:7], v[20:21], -v[91:92]
	v_fma_f64 v[14:15], v[8:9], v[20:21], v[14:15]
	ds_read_b128 v[6:9], v1 offset:1712
	s_waitcnt vmcnt(34) lgkmcnt(1)
	v_mul_f64 v[20:21], v[2:3], v[22:23]
	v_add_f64 v[79:80], v[79:80], 0
	v_add_f64 v[16:17], v[16:17], 0
	v_mul_f64 v[22:23], v[4:5], v[22:23]
	s_waitcnt vmcnt(32)
	v_fma_f64 v[18:19], v[10:11], v[28:29], -v[18:19]
	v_fma_f64 v[28:29], v[12:13], v[28:29], v[89:90]
	ds_read_b128 v[10:13], v1 offset:1728
	s_waitcnt vmcnt(29)
	v_fma_f64 v[20:21], v[4:5], v[30:31], v[20:21]
	v_add_f64 v[79:80], v[79:80], v[91:92]
	v_add_f64 v[14:15], v[16:17], v[14:15]
	s_waitcnt lgkmcnt(1)
	v_mul_f64 v[16:17], v[6:7], v[24:25]
	v_mul_f64 v[24:25], v[8:9], v[24:25]
	v_fma_f64 v[22:23], v[2:3], v[30:31], -v[22:23]
	s_waitcnt vmcnt(25) lgkmcnt(0)
	v_mul_f64 v[30:31], v[12:13], v[32:33]
	ds_read_b128 v[2:5], v1 offset:1744
	v_add_f64 v[18:19], v[79:80], v[18:19]
	v_add_f64 v[14:15], v[14:15], v[28:29]
	v_mul_f64 v[28:29], v[10:11], v[32:33]
	s_waitcnt vmcnt(24)
	v_fma_f64 v[24:25], v[6:7], v[26:27], -v[24:25]
	v_fma_f64 v[16:17], v[8:9], v[26:27], v[16:17]
	ds_read_b128 v[6:9], v1 offset:1760
	s_waitcnt vmcnt(21)
	v_fma_f64 v[26:27], v[10:11], v[38:39], -v[30:31]
	v_add_f64 v[18:19], v[18:19], v[22:23]
	v_add_f64 v[14:15], v[14:15], v[20:21]
	s_waitcnt lgkmcnt(1)
	v_mul_f64 v[22:23], v[4:5], v[34:35]
	v_mul_f64 v[20:21], v[2:3], v[34:35]
	v_add_f64 v[18:19], v[18:19], v[24:25]
	v_fma_f64 v[24:25], v[12:13], v[38:39], v[28:29]
	v_add_f64 v[14:15], v[14:15], v[16:17]
	s_waitcnt vmcnt(17) lgkmcnt(0)
	v_mul_f64 v[28:29], v[8:9], v[40:41]
	s_waitcnt vmcnt(16)
	v_fma_f64 v[22:23], v[2:3], v[36:37], -v[22:23]
	ds_read_b128 v[10:13], v1 offset:1776
	v_mul_f64 v[16:17], v[6:7], v[40:41]
	v_fma_f64 v[20:21], v[4:5], v[36:37], v[20:21]
	ds_read_b128 v[2:5], v1 offset:1792
	v_add_f64 v[18:19], v[18:19], v[26:27]
	v_add_f64 v[14:15], v[14:15], v[24:25]
	s_waitcnt vmcnt(15) lgkmcnt(1)
	v_mul_f64 v[26:27], v[12:13], v[42:43]
	s_waitcnt vmcnt(13)
	v_fma_f64 v[28:29], v[6:7], v[46:47], -v[28:29]
	v_mul_f64 v[24:25], v[10:11], v[42:43]
	v_fma_f64 v[16:17], v[8:9], v[46:47], v[16:17]
	ds_read_b128 v[6:9], v1 offset:1808
	v_add_f64 v[18:19], v[18:19], v[22:23]
	s_waitcnt vmcnt(9) lgkmcnt(1)
	v_mul_f64 v[22:23], v[4:5], v[48:49]
	v_add_f64 v[14:15], v[14:15], v[20:21]
	s_waitcnt vmcnt(8)
	v_fma_f64 v[10:11], v[10:11], v[44:45], -v[26:27]
	v_mul_f64 v[20:21], v[2:3], v[48:49]
	v_fma_f64 v[12:13], v[12:13], v[44:45], v[24:25]
	s_waitcnt vmcnt(7) lgkmcnt(0)
	v_mul_f64 v[24:25], v[8:9], v[50:51]
	v_add_f64 v[18:19], v[18:19], v[28:29]
	s_waitcnt vmcnt(5)
	v_fma_f64 v[2:3], v[2:3], v[54:55], -v[22:23]
	v_add_f64 v[14:15], v[14:15], v[16:17]
	v_mul_f64 v[16:17], v[6:7], v[50:51]
	v_fma_f64 v[4:5], v[4:5], v[54:55], v[20:21]
	s_waitcnt vmcnt(4)
	v_fma_f64 v[6:7], v[6:7], v[52:53], -v[24:25]
	v_add_f64 v[10:11], v[18:19], v[10:11]
	v_add_f64 v[12:13], v[14:15], v[12:13]
	v_fma_f64 v[8:9], v[8:9], v[52:53], v[16:17]
	v_add_f64 v[2:3], v[10:11], v[2:3]
	v_add_f64 v[4:5], v[12:13], v[4:5]
	;; [unrolled: 1-line block ×4, first 2 shown]
	s_waitcnt vmcnt(2)
	v_add_f64 v[2:3], v[56:57], -v[2:3]
	s_waitcnt vmcnt(0)
	v_add_f64 v[4:5], v[77:78], -v[4:5]
	buffer_store_dword v3, off, s[0:3], 0 offset:740
	buffer_store_dword v2, off, s[0:3], 0 offset:736
	;; [unrolled: 1-line block ×4, first 2 shown]
	v_cmpx_lt_u32_e32 44, v0
	s_cbranch_execz .LBB56_267
; %bb.266:
	v_mov_b32_e32 v5, s24
	s_clause 0x3
	buffer_load_dword v2, v5, s[0:3], 0 offen
	buffer_load_dword v3, v5, s[0:3], 0 offen offset:4
	buffer_load_dword v4, v5, s[0:3], 0 offen offset:8
	;; [unrolled: 1-line block ×3, first 2 shown]
	buffer_store_dword v1, off, s[0:3], 0 offset:720
	buffer_store_dword v1, off, s[0:3], 0 offset:724
	;; [unrolled: 1-line block ×4, first 2 shown]
	s_waitcnt vmcnt(0)
	ds_write_b128 v59, v[2:5]
.LBB56_267:
	s_or_b32 exec_lo, exec_lo, s4
	s_waitcnt lgkmcnt(0)
	s_waitcnt_vscnt null, 0x0
	s_barrier
	buffer_gl0_inv
	s_clause 0x2f
	buffer_load_dword v10, off, s[0:3], 0 offset:744
	buffer_load_dword v11, off, s[0:3], 0 offset:748
	;; [unrolled: 1-line block ×48, first 2 shown]
	ds_read_b128 v[2:5], v1 offset:1632
	s_clause 0x3
	buffer_load_dword v79, off, s[0:3], 0 offset:720
	buffer_load_dword v80, off, s[0:3], 0 offset:724
	;; [unrolled: 1-line block ×4, first 2 shown]
	ds_read_b128 v[6:9], v1 offset:1648
	s_mov_b32 s4, exec_lo
	s_waitcnt vmcnt(50) lgkmcnt(1)
	v_mul_f64 v[91:92], v[4:5], v[10:11]
	v_mul_f64 v[99:100], v[2:3], v[10:11]
	ds_read_b128 v[10:13], v1 offset:1664
	s_waitcnt vmcnt(48) lgkmcnt(1)
	v_mul_f64 v[101:102], v[8:9], v[14:15]
	v_mul_f64 v[14:15], v[6:7], v[14:15]
	s_waitcnt vmcnt(46)
	v_fma_f64 v[91:92], v[2:3], v[16:17], -v[91:92]
	v_fma_f64 v[16:17], v[4:5], v[16:17], v[99:100]
	s_waitcnt vmcnt(44) lgkmcnt(0)
	v_mul_f64 v[99:100], v[10:11], v[18:19]
	v_mul_f64 v[18:19], v[12:13], v[18:19]
	s_waitcnt vmcnt(42)
	v_fma_f64 v[101:102], v[6:7], v[20:21], -v[101:102]
	ds_read_b128 v[2:5], v1 offset:1680
	v_fma_f64 v[14:15], v[8:9], v[20:21], v[14:15]
	ds_read_b128 v[6:9], v1 offset:1696
	v_add_f64 v[91:92], v[91:92], 0
	v_add_f64 v[16:17], v[16:17], 0
	s_waitcnt vmcnt(38) lgkmcnt(1)
	v_mul_f64 v[20:21], v[2:3], v[22:23]
	v_mul_f64 v[22:23], v[4:5], v[22:23]
	s_waitcnt vmcnt(36)
	v_fma_f64 v[18:19], v[10:11], v[28:29], -v[18:19]
	v_fma_f64 v[28:29], v[12:13], v[28:29], v[99:100]
	ds_read_b128 v[10:13], v1 offset:1712
	v_add_f64 v[91:92], v[91:92], v[101:102]
	v_add_f64 v[14:15], v[16:17], v[14:15]
	s_waitcnt vmcnt(35) lgkmcnt(1)
	v_mul_f64 v[16:17], v[6:7], v[24:25]
	v_mul_f64 v[24:25], v[8:9], v[24:25]
	s_waitcnt vmcnt(33)
	v_fma_f64 v[22:23], v[2:3], v[30:31], -v[22:23]
	v_fma_f64 v[20:21], v[4:5], v[30:31], v[20:21]
	ds_read_b128 v[2:5], v1 offset:1728
	s_waitcnt vmcnt(29) lgkmcnt(1)
	v_mul_f64 v[30:31], v[12:13], v[32:33]
	v_add_f64 v[18:19], v[91:92], v[18:19]
	v_add_f64 v[14:15], v[14:15], v[28:29]
	v_mul_f64 v[28:29], v[10:11], v[32:33]
	s_waitcnt vmcnt(28)
	v_fma_f64 v[24:25], v[6:7], v[26:27], -v[24:25]
	v_fma_f64 v[16:17], v[8:9], v[26:27], v[16:17]
	ds_read_b128 v[6:9], v1 offset:1744
	s_waitcnt vmcnt(25)
	v_fma_f64 v[26:27], v[10:11], v[38:39], -v[30:31]
	v_add_f64 v[18:19], v[18:19], v[22:23]
	v_add_f64 v[14:15], v[14:15], v[20:21]
	s_waitcnt lgkmcnt(1)
	v_mul_f64 v[22:23], v[4:5], v[34:35]
	v_mul_f64 v[20:21], v[2:3], v[34:35]
	v_add_f64 v[18:19], v[18:19], v[24:25]
	v_fma_f64 v[24:25], v[12:13], v[38:39], v[28:29]
	v_add_f64 v[14:15], v[14:15], v[16:17]
	ds_read_b128 v[10:13], v1 offset:1760
	s_waitcnt vmcnt(21) lgkmcnt(1)
	v_mul_f64 v[28:29], v[8:9], v[40:41]
	s_waitcnt vmcnt(20)
	v_fma_f64 v[22:23], v[2:3], v[36:37], -v[22:23]
	v_mul_f64 v[16:17], v[6:7], v[40:41]
	v_fma_f64 v[20:21], v[4:5], v[36:37], v[20:21]
	ds_read_b128 v[2:5], v1 offset:1776
	v_add_f64 v[18:19], v[18:19], v[26:27]
	s_waitcnt vmcnt(19) lgkmcnt(1)
	v_mul_f64 v[26:27], v[12:13], v[42:43]
	v_add_f64 v[14:15], v[14:15], v[24:25]
	v_mul_f64 v[24:25], v[10:11], v[42:43]
	s_waitcnt vmcnt(17)
	v_fma_f64 v[28:29], v[6:7], v[46:47], -v[28:29]
	v_fma_f64 v[16:17], v[8:9], v[46:47], v[16:17]
	ds_read_b128 v[6:9], v1 offset:1792
	v_add_f64 v[18:19], v[18:19], v[22:23]
	s_waitcnt vmcnt(13) lgkmcnt(1)
	v_mul_f64 v[22:23], v[4:5], v[48:49]
	v_add_f64 v[14:15], v[14:15], v[20:21]
	s_waitcnt vmcnt(12)
	v_fma_f64 v[26:27], v[10:11], v[44:45], -v[26:27]
	v_mul_f64 v[20:21], v[2:3], v[48:49]
	v_fma_f64 v[24:25], v[12:13], v[44:45], v[24:25]
	ds_read_b128 v[10:13], v1 offset:1808
	v_add_f64 v[18:19], v[18:19], v[28:29]
	s_waitcnt vmcnt(11) lgkmcnt(1)
	v_mul_f64 v[28:29], v[8:9], v[50:51]
	v_add_f64 v[14:15], v[14:15], v[16:17]
	s_waitcnt vmcnt(9)
	v_fma_f64 v[1:2], v[2:3], v[54:55], -v[22:23]
	v_mul_f64 v[16:17], v[6:7], v[50:51]
	v_fma_f64 v[3:4], v[4:5], v[54:55], v[20:21]
	s_waitcnt vmcnt(7) lgkmcnt(0)
	v_mul_f64 v[22:23], v[12:13], v[56:57]
	v_mul_f64 v[20:21], v[10:11], v[56:57]
	v_add_f64 v[18:19], v[18:19], v[26:27]
	s_waitcnt vmcnt(6)
	v_fma_f64 v[5:6], v[6:7], v[52:53], -v[28:29]
	v_add_f64 v[14:15], v[14:15], v[24:25]
	v_fma_f64 v[7:8], v[8:9], v[52:53], v[16:17]
	s_waitcnt vmcnt(4)
	v_fma_f64 v[9:10], v[10:11], v[77:78], -v[22:23]
	v_add_f64 v[1:2], v[18:19], v[1:2]
	v_add_f64 v[3:4], v[14:15], v[3:4]
	;; [unrolled: 1-line block ×3, first 2 shown]
	v_fma_f64 v[5:6], v[12:13], v[77:78], v[20:21]
	v_add_f64 v[3:4], v[3:4], v[7:8]
	v_add_f64 v[1:2], v[1:2], v[9:10]
	;; [unrolled: 1-line block ×3, first 2 shown]
	s_waitcnt vmcnt(2)
	v_add_f64 v[1:2], v[79:80], -v[1:2]
	s_waitcnt vmcnt(0)
	v_add_f64 v[3:4], v[89:90], -v[3:4]
	buffer_store_dword v2, off, s[0:3], 0 offset:724
	buffer_store_dword v1, off, s[0:3], 0 offset:720
	;; [unrolled: 1-line block ×4, first 2 shown]
	v_cmpx_lt_u32_e32 43, v0
	s_cbranch_execz .LBB56_269
; %bb.268:
	v_mov_b32_e32 v4, s25
	v_mov_b32_e32 v5, 0
	s_clause 0x3
	buffer_load_dword v1, v4, s[0:3], 0 offen
	buffer_load_dword v2, v4, s[0:3], 0 offen offset:4
	buffer_load_dword v3, v4, s[0:3], 0 offen offset:8
	;; [unrolled: 1-line block ×3, first 2 shown]
	buffer_store_dword v5, off, s[0:3], 0 offset:704
	buffer_store_dword v5, off, s[0:3], 0 offset:708
	;; [unrolled: 1-line block ×4, first 2 shown]
	s_waitcnt vmcnt(0)
	ds_write_b128 v59, v[1:4]
.LBB56_269:
	s_or_b32 exec_lo, exec_lo, s4
	s_waitcnt lgkmcnt(0)
	s_waitcnt_vscnt null, 0x0
	s_barrier
	buffer_gl0_inv
	s_clause 0x33
	buffer_load_dword v10, off, s[0:3], 0 offset:728
	buffer_load_dword v11, off, s[0:3], 0 offset:732
	;; [unrolled: 1-line block ×52, first 2 shown]
	v_mov_b32_e32 v1, 0
	ds_read_b128 v[2:5], v1 offset:1616
	ds_read_b128 v[6:9], v1 offset:1632
	s_clause 0x3
	buffer_load_dword v101, off, s[0:3], 0 offset:704
	buffer_load_dword v102, off, s[0:3], 0 offset:708
	;; [unrolled: 1-line block ×4, first 2 shown]
	s_mov_b32 s4, exec_lo
	s_waitcnt vmcnt(54) lgkmcnt(1)
	v_mul_f64 v[91:92], v[4:5], v[10:11]
	v_mul_f64 v[99:100], v[2:3], v[10:11]
	s_waitcnt vmcnt(52) lgkmcnt(0)
	v_mul_f64 v[105:106], v[8:9], v[14:15]
	ds_read_b128 v[10:13], v1 offset:1648
	v_mul_f64 v[14:15], v[6:7], v[14:15]
	s_waitcnt vmcnt(50)
	v_fma_f64 v[91:92], v[2:3], v[16:17], -v[91:92]
	v_fma_f64 v[16:17], v[4:5], v[16:17], v[99:100]
	ds_read_b128 v[2:5], v1 offset:1664
	s_waitcnt vmcnt(48) lgkmcnt(1)
	v_mul_f64 v[99:100], v[10:11], v[18:19]
	v_mul_f64 v[18:19], v[12:13], v[18:19]
	s_waitcnt vmcnt(46)
	v_fma_f64 v[105:106], v[6:7], v[20:21], -v[105:106]
	v_fma_f64 v[14:15], v[8:9], v[20:21], v[14:15]
	ds_read_b128 v[6:9], v1 offset:1680
	s_waitcnt vmcnt(42) lgkmcnt(1)
	v_mul_f64 v[20:21], v[2:3], v[22:23]
	v_add_f64 v[91:92], v[91:92], 0
	v_add_f64 v[16:17], v[16:17], 0
	v_mul_f64 v[22:23], v[4:5], v[22:23]
	s_waitcnt vmcnt(40)
	v_fma_f64 v[18:19], v[10:11], v[28:29], -v[18:19]
	v_fma_f64 v[28:29], v[12:13], v[28:29], v[99:100]
	ds_read_b128 v[10:13], v1 offset:1696
	s_waitcnt vmcnt(37)
	v_fma_f64 v[20:21], v[4:5], v[30:31], v[20:21]
	v_add_f64 v[91:92], v[91:92], v[105:106]
	v_add_f64 v[14:15], v[16:17], v[14:15]
	s_waitcnt lgkmcnt(1)
	v_mul_f64 v[16:17], v[6:7], v[24:25]
	v_mul_f64 v[24:25], v[8:9], v[24:25]
	v_fma_f64 v[22:23], v[2:3], v[30:31], -v[22:23]
	s_waitcnt vmcnt(33) lgkmcnt(0)
	v_mul_f64 v[30:31], v[12:13], v[32:33]
	ds_read_b128 v[2:5], v1 offset:1712
	v_add_f64 v[18:19], v[91:92], v[18:19]
	v_add_f64 v[14:15], v[14:15], v[28:29]
	v_mul_f64 v[28:29], v[10:11], v[32:33]
	s_waitcnt vmcnt(32)
	v_fma_f64 v[24:25], v[6:7], v[26:27], -v[24:25]
	v_fma_f64 v[16:17], v[8:9], v[26:27], v[16:17]
	ds_read_b128 v[6:9], v1 offset:1728
	s_waitcnt vmcnt(29)
	v_fma_f64 v[26:27], v[10:11], v[38:39], -v[30:31]
	v_add_f64 v[18:19], v[18:19], v[22:23]
	v_add_f64 v[14:15], v[14:15], v[20:21]
	s_waitcnt lgkmcnt(1)
	v_mul_f64 v[22:23], v[4:5], v[34:35]
	v_mul_f64 v[20:21], v[2:3], v[34:35]
	v_add_f64 v[18:19], v[18:19], v[24:25]
	v_fma_f64 v[24:25], v[12:13], v[38:39], v[28:29]
	v_add_f64 v[14:15], v[14:15], v[16:17]
	s_waitcnt vmcnt(25) lgkmcnt(0)
	v_mul_f64 v[28:29], v[8:9], v[40:41]
	s_waitcnt vmcnt(24)
	v_fma_f64 v[22:23], v[2:3], v[36:37], -v[22:23]
	ds_read_b128 v[10:13], v1 offset:1744
	v_mul_f64 v[16:17], v[6:7], v[40:41]
	v_fma_f64 v[20:21], v[4:5], v[36:37], v[20:21]
	ds_read_b128 v[2:5], v1 offset:1760
	v_add_f64 v[18:19], v[18:19], v[26:27]
	v_add_f64 v[14:15], v[14:15], v[24:25]
	s_waitcnt vmcnt(23) lgkmcnt(1)
	v_mul_f64 v[26:27], v[12:13], v[42:43]
	s_waitcnt vmcnt(21)
	v_fma_f64 v[28:29], v[6:7], v[46:47], -v[28:29]
	v_mul_f64 v[24:25], v[10:11], v[42:43]
	v_fma_f64 v[16:17], v[8:9], v[46:47], v[16:17]
	ds_read_b128 v[6:9], v1 offset:1776
	v_add_f64 v[18:19], v[18:19], v[22:23]
	s_waitcnt vmcnt(17) lgkmcnt(1)
	v_mul_f64 v[22:23], v[4:5], v[48:49]
	v_add_f64 v[14:15], v[14:15], v[20:21]
	s_waitcnt vmcnt(16)
	v_fma_f64 v[26:27], v[10:11], v[44:45], -v[26:27]
	v_mul_f64 v[20:21], v[2:3], v[48:49]
	v_fma_f64 v[24:25], v[12:13], v[44:45], v[24:25]
	ds_read_b128 v[10:13], v1 offset:1792
	v_add_f64 v[18:19], v[18:19], v[28:29]
	s_waitcnt vmcnt(15) lgkmcnt(1)
	v_mul_f64 v[28:29], v[8:9], v[50:51]
	v_add_f64 v[14:15], v[14:15], v[16:17]
	s_waitcnt vmcnt(13)
	v_fma_f64 v[22:23], v[2:3], v[54:55], -v[22:23]
	v_mul_f64 v[16:17], v[6:7], v[50:51]
	v_fma_f64 v[20:21], v[4:5], v[54:55], v[20:21]
	ds_read_b128 v[2:5], v1 offset:1808
	v_add_f64 v[18:19], v[18:19], v[26:27]
	s_waitcnt vmcnt(9) lgkmcnt(1)
	v_mul_f64 v[26:27], v[12:13], v[56:57]
	v_add_f64 v[14:15], v[14:15], v[24:25]
	s_waitcnt vmcnt(8)
	v_fma_f64 v[6:7], v[6:7], v[52:53], -v[28:29]
	v_mul_f64 v[24:25], v[10:11], v[56:57]
	v_fma_f64 v[8:9], v[8:9], v[52:53], v[16:17]
	s_waitcnt vmcnt(7) lgkmcnt(0)
	v_mul_f64 v[16:17], v[2:3], v[77:78]
	v_add_f64 v[18:19], v[18:19], v[22:23]
	s_waitcnt vmcnt(5)
	v_fma_f64 v[10:11], v[10:11], v[89:90], -v[26:27]
	v_add_f64 v[14:15], v[14:15], v[20:21]
	v_mul_f64 v[20:21], v[4:5], v[77:78]
	v_fma_f64 v[12:13], v[12:13], v[89:90], v[24:25]
	s_waitcnt vmcnt(4)
	v_fma_f64 v[4:5], v[4:5], v[79:80], v[16:17]
	v_add_f64 v[6:7], v[18:19], v[6:7]
	v_add_f64 v[8:9], v[14:15], v[8:9]
	v_fma_f64 v[2:3], v[2:3], v[79:80], -v[20:21]
	v_add_f64 v[6:7], v[6:7], v[10:11]
	v_add_f64 v[8:9], v[8:9], v[12:13]
	;; [unrolled: 1-line block ×4, first 2 shown]
	s_waitcnt vmcnt(2)
	v_add_f64 v[2:3], v[101:102], -v[2:3]
	s_waitcnt vmcnt(0)
	v_add_f64 v[4:5], v[103:104], -v[4:5]
	buffer_store_dword v3, off, s[0:3], 0 offset:708
	buffer_store_dword v2, off, s[0:3], 0 offset:704
	;; [unrolled: 1-line block ×4, first 2 shown]
	v_cmpx_lt_u32_e32 42, v0
	s_cbranch_execz .LBB56_271
; %bb.270:
	v_mov_b32_e32 v5, s26
	s_clause 0x3
	buffer_load_dword v2, v5, s[0:3], 0 offen
	buffer_load_dword v3, v5, s[0:3], 0 offen offset:4
	buffer_load_dword v4, v5, s[0:3], 0 offen offset:8
	;; [unrolled: 1-line block ×3, first 2 shown]
	buffer_store_dword v1, off, s[0:3], 0 offset:688
	buffer_store_dword v1, off, s[0:3], 0 offset:692
	buffer_store_dword v1, off, s[0:3], 0 offset:696
	buffer_store_dword v1, off, s[0:3], 0 offset:700
	s_waitcnt vmcnt(0)
	ds_write_b128 v59, v[2:5]
.LBB56_271:
	s_or_b32 exec_lo, exec_lo, s4
	s_waitcnt lgkmcnt(0)
	s_waitcnt_vscnt null, 0x0
	s_barrier
	buffer_gl0_inv
	s_clause 0x35
	buffer_load_dword v10, off, s[0:3], 0 offset:712
	buffer_load_dword v11, off, s[0:3], 0 offset:716
	;; [unrolled: 1-line block ×54, first 2 shown]
	ds_read_b128 v[2:5], v1 offset:1600
	s_clause 0x1
	buffer_load_dword v100, off, s[0:3], 0 offset:916
	buffer_load_dword v99, off, s[0:3], 0 offset:912
	ds_read_b128 v[6:9], v1 offset:1616
	s_mov_b32 s4, exec_lo
	s_waitcnt vmcnt(54) lgkmcnt(1)
	v_mul_f64 v[101:102], v[4:5], v[10:11]
	v_mul_f64 v[103:104], v[2:3], v[10:11]
	ds_read_b128 v[10:13], v1 offset:1632
	s_waitcnt vmcnt(52) lgkmcnt(1)
	v_mul_f64 v[105:106], v[8:9], v[14:15]
	v_mul_f64 v[14:15], v[6:7], v[14:15]
	s_waitcnt vmcnt(48) lgkmcnt(0)
	v_mul_f64 v[109:110], v[10:11], v[18:19]
	v_fma_f64 v[101:102], v[2:3], v[16:17], -v[101:102]
	v_fma_f64 v[16:17], v[4:5], v[16:17], v[103:104]
	s_clause 0x3
	buffer_load_dword v103, off, s[0:3], 0 offset:688
	buffer_load_dword v104, off, s[0:3], 0 offset:692
	;; [unrolled: 1-line block ×4, first 2 shown]
	v_mul_f64 v[18:19], v[12:13], v[18:19]
	s_waitcnt vmcnt(50)
	v_fma_f64 v[105:106], v[6:7], v[20:21], -v[105:106]
	ds_read_b128 v[2:5], v1 offset:1648
	v_fma_f64 v[14:15], v[8:9], v[20:21], v[14:15]
	ds_read_b128 v[6:9], v1 offset:1664
	v_add_f64 v[101:102], v[101:102], 0
	v_add_f64 v[16:17], v[16:17], 0
	s_waitcnt vmcnt(48) lgkmcnt(1)
	v_mul_f64 v[20:21], v[2:3], v[22:23]
	v_mul_f64 v[22:23], v[4:5], v[22:23]
	s_waitcnt vmcnt(46)
	v_fma_f64 v[18:19], v[10:11], v[24:25], -v[18:19]
	v_fma_f64 v[24:25], v[12:13], v[24:25], v[109:110]
	ds_read_b128 v[10:13], v1 offset:1680
	v_add_f64 v[101:102], v[101:102], v[105:106]
	v_add_f64 v[14:15], v[16:17], v[14:15]
	s_waitcnt vmcnt(44) lgkmcnt(1)
	v_mul_f64 v[16:17], v[6:7], v[26:27]
	v_mul_f64 v[26:27], v[8:9], v[26:27]
	s_waitcnt vmcnt(42)
	v_fma_f64 v[22:23], v[2:3], v[28:29], -v[22:23]
	v_fma_f64 v[20:21], v[4:5], v[28:29], v[20:21]
	ds_read_b128 v[2:5], v1 offset:1696
	s_waitcnt vmcnt(40) lgkmcnt(1)
	v_mul_f64 v[28:29], v[12:13], v[30:31]
	v_add_f64 v[18:19], v[101:102], v[18:19]
	v_add_f64 v[14:15], v[14:15], v[24:25]
	v_mul_f64 v[24:25], v[10:11], v[30:31]
	s_waitcnt vmcnt(38)
	v_fma_f64 v[26:27], v[6:7], v[32:33], -v[26:27]
	v_fma_f64 v[16:17], v[8:9], v[32:33], v[16:17]
	ds_read_b128 v[6:9], v1 offset:1712
	s_waitcnt vmcnt(34)
	v_fma_f64 v[28:29], v[10:11], v[36:37], -v[28:29]
	v_add_f64 v[18:19], v[18:19], v[22:23]
	v_add_f64 v[14:15], v[14:15], v[20:21]
	s_waitcnt lgkmcnt(1)
	v_mul_f64 v[22:23], v[4:5], v[34:35]
	v_mul_f64 v[20:21], v[2:3], v[34:35]
	v_fma_f64 v[24:25], v[12:13], v[36:37], v[24:25]
	ds_read_b128 v[10:13], v1 offset:1728
	v_add_f64 v[18:19], v[18:19], v[26:27]
	v_add_f64 v[14:15], v[14:15], v[16:17]
	s_waitcnt vmcnt(32) lgkmcnt(1)
	v_mul_f64 v[26:27], v[8:9], v[38:39]
	s_waitcnt vmcnt(30)
	v_fma_f64 v[22:23], v[2:3], v[40:41], -v[22:23]
	v_mul_f64 v[16:17], v[6:7], v[38:39]
	v_fma_f64 v[20:21], v[4:5], v[40:41], v[20:21]
	ds_read_b128 v[2:5], v1 offset:1744
	v_add_f64 v[18:19], v[18:19], v[28:29]
	v_add_f64 v[14:15], v[14:15], v[24:25]
	s_waitcnt vmcnt(28) lgkmcnt(1)
	v_mul_f64 v[28:29], v[12:13], v[42:43]
	s_waitcnt vmcnt(26)
	v_fma_f64 v[26:27], v[6:7], v[44:45], -v[26:27]
	;; [unrolled: 9-line block ×6, first 2 shown]
	v_mul_f64 v[20:21], v[2:3], v[77:78]
	v_fma_f64 v[12:13], v[12:13], v[79:80], v[24:25]
	s_waitcnt vmcnt(8) lgkmcnt(0)
	v_mul_f64 v[24:25], v[8:9], v[89:90]
	v_add_f64 v[18:19], v[18:19], v[26:27]
	v_add_f64 v[14:15], v[14:15], v[16:17]
	s_waitcnt vmcnt(6)
	v_fma_f64 v[1:2], v[2:3], v[91:92], -v[22:23]
	v_mul_f64 v[16:17], v[6:7], v[89:90]
	v_fma_f64 v[3:4], v[4:5], v[91:92], v[20:21]
	s_waitcnt vmcnt(4)
	v_fma_f64 v[5:6], v[6:7], v[99:100], -v[24:25]
	v_add_f64 v[10:11], v[18:19], v[10:11]
	v_add_f64 v[12:13], v[14:15], v[12:13]
	v_fma_f64 v[7:8], v[8:9], v[99:100], v[16:17]
	v_add_f64 v[1:2], v[10:11], v[1:2]
	v_add_f64 v[3:4], v[12:13], v[3:4]
	;; [unrolled: 1-line block ×4, first 2 shown]
	s_waitcnt vmcnt(2)
	v_add_f64 v[1:2], v[103:104], -v[1:2]
	s_waitcnt vmcnt(0)
	v_add_f64 v[3:4], v[107:108], -v[3:4]
	buffer_store_dword v2, off, s[0:3], 0 offset:692
	buffer_store_dword v1, off, s[0:3], 0 offset:688
	buffer_store_dword v4, off, s[0:3], 0 offset:700
	buffer_store_dword v3, off, s[0:3], 0 offset:696
	v_cmpx_lt_u32_e32 41, v0
	s_cbranch_execz .LBB56_273
; %bb.272:
	v_mov_b32_e32 v4, s27
	v_mov_b32_e32 v5, 0
	s_clause 0x3
	buffer_load_dword v1, v4, s[0:3], 0 offen
	buffer_load_dword v2, v4, s[0:3], 0 offen offset:4
	buffer_load_dword v3, v4, s[0:3], 0 offen offset:8
	;; [unrolled: 1-line block ×3, first 2 shown]
	buffer_store_dword v5, off, s[0:3], 0 offset:672
	buffer_store_dword v5, off, s[0:3], 0 offset:676
	;; [unrolled: 1-line block ×4, first 2 shown]
	s_waitcnt vmcnt(0)
	ds_write_b128 v59, v[1:4]
.LBB56_273:
	s_or_b32 exec_lo, exec_lo, s4
	s_waitcnt lgkmcnt(0)
	s_waitcnt_vscnt null, 0x0
	s_barrier
	buffer_gl0_inv
	s_clause 0x37
	buffer_load_dword v10, off, s[0:3], 0 offset:696
	buffer_load_dword v11, off, s[0:3], 0 offset:700
	;; [unrolled: 1-line block ×56, first 2 shown]
	v_mov_b32_e32 v1, 0
	s_mov_b32 s4, exec_lo
	ds_read_b128 v[2:5], v1 offset:1584
	s_clause 0x2
	buffer_load_dword v100, off, s[0:3], 0 offset:924
	buffer_load_dword v104, off, s[0:3], 0 offset:900
	;; [unrolled: 1-line block ×3, first 2 shown]
	ds_read_b128 v[6:9], v1 offset:1600
	buffer_load_dword v102, off, s[0:3], 0 offset:916
	s_waitcnt vmcnt(58) lgkmcnt(1)
	v_mul_f64 v[105:106], v[4:5], v[10:11]
	v_mul_f64 v[107:108], v[2:3], v[10:11]
	ds_read_b128 v[10:13], v1 offset:1616
	s_waitcnt vmcnt(56) lgkmcnt(1)
	v_mul_f64 v[109:110], v[8:9], v[14:15]
	v_mul_f64 v[14:15], v[6:7], v[14:15]
	s_waitcnt vmcnt(54)
	v_fma_f64 v[105:106], v[2:3], v[16:17], -v[105:106]
	v_fma_f64 v[16:17], v[4:5], v[16:17], v[107:108]
	s_waitcnt vmcnt(52) lgkmcnt(0)
	v_mul_f64 v[107:108], v[10:11], v[18:19]
	v_mul_f64 v[18:19], v[12:13], v[18:19]
	s_waitcnt vmcnt(50)
	v_fma_f64 v[109:110], v[6:7], v[20:21], -v[109:110]
	ds_read_b128 v[2:5], v1 offset:1632
	v_fma_f64 v[14:15], v[8:9], v[20:21], v[14:15]
	s_clause 0x3
	buffer_load_dword v20, off, s[0:3], 0 offset:672
	buffer_load_dword v21, off, s[0:3], 0 offset:676
	;; [unrolled: 1-line block ×4, first 2 shown]
	ds_read_b128 v[6:9], v1 offset:1648
	v_add_f64 v[105:106], v[105:106], 0
	v_add_f64 v[16:17], v[16:17], 0
	s_waitcnt vmcnt(50) lgkmcnt(1)
	v_mul_f64 v[113:114], v[2:3], v[22:23]
	v_mul_f64 v[22:23], v[4:5], v[22:23]
	s_waitcnt vmcnt(48)
	v_fma_f64 v[18:19], v[10:11], v[28:29], -v[18:19]
	v_fma_f64 v[28:29], v[12:13], v[28:29], v[107:108]
	ds_read_b128 v[10:13], v1 offset:1664
	v_add_f64 v[105:106], v[105:106], v[109:110]
	v_add_f64 v[14:15], v[16:17], v[14:15]
	s_waitcnt vmcnt(47) lgkmcnt(1)
	v_mul_f64 v[16:17], v[6:7], v[24:25]
	v_mul_f64 v[24:25], v[8:9], v[24:25]
	s_waitcnt vmcnt(45)
	v_fma_f64 v[22:23], v[2:3], v[30:31], -v[22:23]
	v_fma_f64 v[30:31], v[4:5], v[30:31], v[113:114]
	;; [unrolled: 9-line block ×3, first 2 shown]
	ds_read_b128 v[6:9], v1 offset:1696
	s_waitcnt vmcnt(39) lgkmcnt(1)
	v_mul_f64 v[26:27], v[4:5], v[34:35]
	v_add_f64 v[18:19], v[18:19], v[22:23]
	v_add_f64 v[14:15], v[14:15], v[30:31]
	v_mul_f64 v[22:23], v[2:3], v[34:35]
	s_waitcnt vmcnt(37)
	v_fma_f64 v[30:31], v[10:11], v[38:39], -v[32:33]
	s_waitcnt vmcnt(32)
	v_fma_f64 v[26:27], v[2:3], v[36:37], -v[26:27]
	v_add_f64 v[18:19], v[18:19], v[24:25]
	v_fma_f64 v[24:25], v[12:13], v[38:39], v[28:29]
	v_add_f64 v[14:15], v[14:15], v[16:17]
	s_waitcnt lgkmcnt(0)
	v_mul_f64 v[28:29], v[8:9], v[40:41]
	ds_read_b128 v[10:13], v1 offset:1712
	v_mul_f64 v[16:17], v[6:7], v[40:41]
	v_fma_f64 v[22:23], v[4:5], v[36:37], v[22:23]
	ds_read_b128 v[2:5], v1 offset:1728
	v_add_f64 v[18:19], v[18:19], v[30:31]
	v_add_f64 v[14:15], v[14:15], v[24:25]
	s_waitcnt vmcnt(31) lgkmcnt(1)
	v_mul_f64 v[30:31], v[12:13], v[42:43]
	s_waitcnt vmcnt(29)
	v_fma_f64 v[28:29], v[6:7], v[46:47], -v[28:29]
	v_mul_f64 v[24:25], v[10:11], v[42:43]
	v_fma_f64 v[16:17], v[8:9], v[46:47], v[16:17]
	ds_read_b128 v[6:9], v1 offset:1744
	v_add_f64 v[18:19], v[18:19], v[26:27]
	s_waitcnt vmcnt(25) lgkmcnt(1)
	v_mul_f64 v[26:27], v[4:5], v[48:49]
	v_add_f64 v[14:15], v[14:15], v[22:23]
	s_waitcnt vmcnt(24)
	v_fma_f64 v[30:31], v[10:11], v[44:45], -v[30:31]
	v_mul_f64 v[22:23], v[2:3], v[48:49]
	v_fma_f64 v[24:25], v[12:13], v[44:45], v[24:25]
	ds_read_b128 v[10:13], v1 offset:1760
	v_add_f64 v[18:19], v[18:19], v[28:29]
	s_waitcnt vmcnt(23) lgkmcnt(1)
	v_mul_f64 v[28:29], v[8:9], v[50:51]
	v_add_f64 v[14:15], v[14:15], v[16:17]
	;; [unrolled: 9-line block ×5, first 2 shown]
	s_waitcnt vmcnt(8)
	v_fma_f64 v[2:3], v[2:3], v[79:80], -v[26:27]
	v_mul_f64 v[16:17], v[6:7], v[91:92]
	v_fma_f64 v[4:5], v[4:5], v[79:80], v[22:23]
	s_waitcnt vmcnt(7) lgkmcnt(0)
	v_mul_f64 v[22:23], v[10:11], v[99:100]
	v_add_f64 v[18:19], v[18:19], v[30:31]
	s_waitcnt vmcnt(5)
	v_fma_f64 v[6:7], v[6:7], v[103:104], -v[28:29]
	v_add_f64 v[14:15], v[14:15], v[24:25]
	v_mul_f64 v[24:25], v[12:13], v[99:100]
	v_fma_f64 v[8:9], v[8:9], v[103:104], v[16:17]
	v_add_f64 v[2:3], v[18:19], v[2:3]
	v_add_f64 v[4:5], v[14:15], v[4:5]
	s_waitcnt vmcnt(4)
	v_fma_f64 v[10:11], v[10:11], v[101:102], -v[24:25]
	v_add_f64 v[2:3], v[2:3], v[6:7]
	v_fma_f64 v[6:7], v[12:13], v[101:102], v[22:23]
	v_add_f64 v[4:5], v[4:5], v[8:9]
	v_add_f64 v[2:3], v[2:3], v[10:11]
	;; [unrolled: 1-line block ×3, first 2 shown]
	s_waitcnt vmcnt(2)
	v_add_f64 v[2:3], v[20:21], -v[2:3]
	s_waitcnt vmcnt(0)
	v_add_f64 v[4:5], v[111:112], -v[4:5]
	buffer_store_dword v3, off, s[0:3], 0 offset:676
	buffer_store_dword v2, off, s[0:3], 0 offset:672
	;; [unrolled: 1-line block ×4, first 2 shown]
	v_cmpx_lt_u32_e32 40, v0
	s_cbranch_execz .LBB56_275
; %bb.274:
	v_mov_b32_e32 v5, s28
	s_clause 0x3
	buffer_load_dword v2, v5, s[0:3], 0 offen
	buffer_load_dword v3, v5, s[0:3], 0 offen offset:4
	buffer_load_dword v4, v5, s[0:3], 0 offen offset:8
	;; [unrolled: 1-line block ×3, first 2 shown]
	buffer_store_dword v1, off, s[0:3], 0 offset:656
	buffer_store_dword v1, off, s[0:3], 0 offset:660
	;; [unrolled: 1-line block ×4, first 2 shown]
	s_waitcnt vmcnt(0)
	ds_write_b128 v59, v[2:5]
.LBB56_275:
	s_or_b32 exec_lo, exec_lo, s4
	s_waitcnt lgkmcnt(0)
	s_waitcnt_vscnt null, 0x0
	s_barrier
	buffer_gl0_inv
	s_clause 0x37
	buffer_load_dword v10, off, s[0:3], 0 offset:680
	buffer_load_dword v11, off, s[0:3], 0 offset:684
	;; [unrolled: 1-line block ×56, first 2 shown]
	ds_read_b128 v[2:5], v1 offset:1568
	s_clause 0x2
	buffer_load_dword v100, off, s[0:3], 0 offset:908
	buffer_load_dword v104, off, s[0:3], 0 offset:884
	buffer_load_dword v103, off, s[0:3], 0 offset:880
	ds_read_b128 v[6:9], v1 offset:1584
	s_clause 0x2
	buffer_load_dword v110, off, s[0:3], 0 offset:924
	buffer_load_dword v109, off, s[0:3], 0 offset:920
	;; [unrolled: 1-line block ×3, first 2 shown]
	s_mov_b32 s4, exec_lo
	s_waitcnt vmcnt(60) lgkmcnt(1)
	v_mul_f64 v[105:106], v[4:5], v[10:11]
	v_mul_f64 v[107:108], v[2:3], v[10:11]
	s_waitcnt vmcnt(58) lgkmcnt(0)
	v_mul_f64 v[111:112], v[8:9], v[14:15]
	ds_read_b128 v[10:13], v1 offset:1600
	v_mul_f64 v[14:15], v[6:7], v[14:15]
	s_waitcnt vmcnt(56)
	v_fma_f64 v[105:106], v[2:3], v[16:17], -v[105:106]
	v_fma_f64 v[16:17], v[4:5], v[16:17], v[107:108]
	s_clause 0x1
	buffer_load_dword v108, off, s[0:3], 0 offset:916
	buffer_load_dword v107, off, s[0:3], 0 offset:912
	s_waitcnt vmcnt(56) lgkmcnt(0)
	v_mul_f64 v[113:114], v[10:11], v[18:19]
	v_mul_f64 v[18:19], v[12:13], v[18:19]
	s_waitcnt vmcnt(54)
	v_fma_f64 v[111:112], v[6:7], v[20:21], -v[111:112]
	ds_read_b128 v[2:5], v1 offset:1616
	v_fma_f64 v[14:15], v[8:9], v[20:21], v[14:15]
	ds_read_b128 v[6:9], v1 offset:1632
	v_add_f64 v[105:106], v[105:106], 0
	v_add_f64 v[16:17], v[16:17], 0
	s_waitcnt vmcnt(50) lgkmcnt(1)
	v_mul_f64 v[20:21], v[2:3], v[22:23]
	v_mul_f64 v[22:23], v[4:5], v[22:23]
	s_waitcnt vmcnt(48)
	v_fma_f64 v[18:19], v[10:11], v[28:29], -v[18:19]
	v_fma_f64 v[28:29], v[12:13], v[28:29], v[113:114]
	s_waitcnt vmcnt(47) lgkmcnt(0)
	v_mul_f64 v[113:114], v[6:7], v[24:25]
	v_mul_f64 v[24:25], v[8:9], v[24:25]
	v_add_f64 v[105:106], v[105:106], v[111:112]
	v_add_f64 v[14:15], v[16:17], v[14:15]
	s_clause 0x3
	buffer_load_dword v16, off, s[0:3], 0 offset:656
	buffer_load_dword v17, off, s[0:3], 0 offset:660
	buffer_load_dword v111, off, s[0:3], 0 offset:664
	buffer_load_dword v112, off, s[0:3], 0 offset:668
	ds_read_b128 v[10:13], v1 offset:1648
	s_waitcnt vmcnt(49)
	v_fma_f64 v[20:21], v[4:5], v[30:31], v[20:21]
	v_fma_f64 v[22:23], v[2:3], v[30:31], -v[22:23]
	ds_read_b128 v[2:5], v1 offset:1664
	s_waitcnt vmcnt(44)
	v_fma_f64 v[24:25], v[6:7], v[26:27], -v[24:25]
	v_add_f64 v[18:19], v[105:106], v[18:19]
	v_add_f64 v[14:15], v[14:15], v[28:29]
	s_waitcnt lgkmcnt(1)
	v_mul_f64 v[30:31], v[12:13], v[32:33]
	v_mul_f64 v[28:29], v[10:11], v[32:33]
	v_add_f64 v[18:19], v[18:19], v[22:23]
	v_fma_f64 v[22:23], v[8:9], v[26:27], v[113:114]
	v_add_f64 v[14:15], v[14:15], v[20:21]
	s_waitcnt vmcnt(43) lgkmcnt(0)
	v_mul_f64 v[26:27], v[4:5], v[34:35]
	s_waitcnt vmcnt(41)
	v_fma_f64 v[30:31], v[10:11], v[38:39], -v[30:31]
	ds_read_b128 v[6:9], v1 offset:1680
	v_mul_f64 v[20:21], v[2:3], v[34:35]
	v_add_f64 v[18:19], v[18:19], v[24:25]
	v_fma_f64 v[24:25], v[12:13], v[38:39], v[28:29]
	v_add_f64 v[14:15], v[14:15], v[22:23]
	ds_read_b128 v[10:13], v1 offset:1696
	s_waitcnt vmcnt(37) lgkmcnt(1)
	v_mul_f64 v[28:29], v[8:9], v[40:41]
	s_waitcnt vmcnt(36)
	v_fma_f64 v[26:27], v[2:3], v[36:37], -v[26:27]
	v_mul_f64 v[22:23], v[6:7], v[40:41]
	v_fma_f64 v[20:21], v[4:5], v[36:37], v[20:21]
	ds_read_b128 v[2:5], v1 offset:1712
	v_add_f64 v[18:19], v[18:19], v[30:31]
	s_waitcnt vmcnt(35) lgkmcnt(1)
	v_mul_f64 v[30:31], v[12:13], v[42:43]
	v_add_f64 v[14:15], v[14:15], v[24:25]
	v_mul_f64 v[24:25], v[10:11], v[42:43]
	s_waitcnt vmcnt(33)
	v_fma_f64 v[28:29], v[6:7], v[46:47], -v[28:29]
	v_fma_f64 v[22:23], v[8:9], v[46:47], v[22:23]
	ds_read_b128 v[6:9], v1 offset:1728
	v_add_f64 v[18:19], v[18:19], v[26:27]
	s_waitcnt vmcnt(29) lgkmcnt(1)
	v_mul_f64 v[26:27], v[4:5], v[48:49]
	v_add_f64 v[14:15], v[14:15], v[20:21]
	s_waitcnt vmcnt(28)
	v_fma_f64 v[30:31], v[10:11], v[44:45], -v[30:31]
	v_mul_f64 v[20:21], v[2:3], v[48:49]
	v_fma_f64 v[24:25], v[12:13], v[44:45], v[24:25]
	ds_read_b128 v[10:13], v1 offset:1744
	v_add_f64 v[18:19], v[18:19], v[28:29]
	s_waitcnt vmcnt(27) lgkmcnt(1)
	v_mul_f64 v[28:29], v[8:9], v[50:51]
	v_add_f64 v[14:15], v[14:15], v[22:23]
	s_waitcnt vmcnt(25)
	v_fma_f64 v[26:27], v[2:3], v[54:55], -v[26:27]
	v_mul_f64 v[22:23], v[6:7], v[50:51]
	;; [unrolled: 9-line block ×6, first 2 shown]
	v_fma_f64 v[7:8], v[8:9], v[103:104], v[22:23]
	s_waitcnt vmcnt(7) lgkmcnt(0)
	v_mul_f64 v[22:23], v[3:4], v[109:110]
	v_add_f64 v[18:19], v[18:19], v[26:27]
	s_waitcnt vmcnt(6)
	v_fma_f64 v[9:10], v[10:11], v[101:102], -v[30:31]
	v_add_f64 v[14:15], v[14:15], v[20:21]
	v_mul_f64 v[20:21], v[1:2], v[109:110]
	v_fma_f64 v[11:12], v[12:13], v[101:102], v[24:25]
	v_add_f64 v[5:6], v[18:19], v[5:6]
	v_add_f64 v[7:8], v[14:15], v[7:8]
	s_waitcnt vmcnt(4)
	v_fma_f64 v[1:2], v[1:2], v[107:108], -v[22:23]
	v_fma_f64 v[3:4], v[3:4], v[107:108], v[20:21]
	v_add_f64 v[5:6], v[5:6], v[9:10]
	v_add_f64 v[7:8], v[7:8], v[11:12]
	;; [unrolled: 1-line block ×4, first 2 shown]
	s_waitcnt vmcnt(2)
	v_add_f64 v[1:2], v[16:17], -v[1:2]
	s_waitcnt vmcnt(0)
	v_add_f64 v[3:4], v[111:112], -v[3:4]
	buffer_store_dword v2, off, s[0:3], 0 offset:660
	buffer_store_dword v1, off, s[0:3], 0 offset:656
	;; [unrolled: 1-line block ×4, first 2 shown]
	v_cmpx_lt_u32_e32 39, v0
	s_cbranch_execz .LBB56_277
; %bb.276:
	v_mov_b32_e32 v4, s29
	v_mov_b32_e32 v5, 0
	s_clause 0x3
	buffer_load_dword v1, v4, s[0:3], 0 offen
	buffer_load_dword v2, v4, s[0:3], 0 offen offset:4
	buffer_load_dword v3, v4, s[0:3], 0 offen offset:8
	;; [unrolled: 1-line block ×3, first 2 shown]
	buffer_store_dword v5, off, s[0:3], 0 offset:640
	buffer_store_dword v5, off, s[0:3], 0 offset:644
	buffer_store_dword v5, off, s[0:3], 0 offset:648
	buffer_store_dword v5, off, s[0:3], 0 offset:652
	s_waitcnt vmcnt(0)
	ds_write_b128 v59, v[1:4]
.LBB56_277:
	s_or_b32 exec_lo, exec_lo, s4
	s_waitcnt lgkmcnt(0)
	s_waitcnt_vscnt null, 0x0
	s_barrier
	buffer_gl0_inv
	s_clause 0x37
	buffer_load_dword v10, off, s[0:3], 0 offset:664
	buffer_load_dword v11, off, s[0:3], 0 offset:668
	;; [unrolled: 1-line block ×56, first 2 shown]
	v_mov_b32_e32 v1, 0
	s_mov_b32 s4, exec_lo
	ds_read_b128 v[2:5], v1 offset:1552
	s_clause 0x2
	buffer_load_dword v100, off, s[0:3], 0 offset:892
	buffer_load_dword v104, off, s[0:3], 0 offset:868
	;; [unrolled: 1-line block ×3, first 2 shown]
	ds_read_b128 v[6:9], v1 offset:1568
	s_clause 0x4
	buffer_load_dword v110, off, s[0:3], 0 offset:908
	buffer_load_dword v111, off, s[0:3], 0 offset:920
	buffer_load_dword v113, off, s[0:3], 0 offset:912
	buffer_load_dword v109, off, s[0:3], 0 offset:904
	buffer_load_dword v102, off, s[0:3], 0 offset:884
	s_waitcnt vmcnt(62) lgkmcnt(1)
	v_mul_f64 v[105:106], v[4:5], v[10:11]
	v_mul_f64 v[107:108], v[2:3], v[10:11]
	s_waitcnt vmcnt(60) lgkmcnt(0)
	v_mul_f64 v[114:115], v[8:9], v[14:15]
	ds_read_b128 v[10:13], v1 offset:1584
	v_mul_f64 v[14:15], v[6:7], v[14:15]
	s_waitcnt vmcnt(58)
	v_fma_f64 v[105:106], v[2:3], v[16:17], -v[105:106]
	v_fma_f64 v[16:17], v[4:5], v[16:17], v[107:108]
	s_clause 0x2
	buffer_load_dword v112, off, s[0:3], 0 offset:924
	buffer_load_dword v108, off, s[0:3], 0 offset:900
	;; [unrolled: 1-line block ×3, first 2 shown]
	s_waitcnt vmcnt(59) lgkmcnt(0)
	v_mul_f64 v[116:117], v[10:11], v[18:19]
	v_mul_f64 v[18:19], v[12:13], v[18:19]
	s_waitcnt vmcnt(57)
	v_fma_f64 v[118:119], v[6:7], v[20:21], -v[114:115]
	ds_read_b128 v[2:5], v1 offset:1600
	v_fma_f64 v[14:15], v[8:9], v[20:21], v[14:15]
	buffer_load_dword v114, off, s[0:3], 0 offset:916
	ds_read_b128 v[6:9], v1 offset:1616
	v_add_f64 v[105:106], v[105:106], 0
	v_add_f64 v[16:17], v[16:17], 0
	s_waitcnt vmcnt(54) lgkmcnt(1)
	v_mul_f64 v[20:21], v[2:3], v[22:23]
	v_mul_f64 v[22:23], v[4:5], v[22:23]
	s_waitcnt vmcnt(52)
	v_fma_f64 v[18:19], v[10:11], v[28:29], -v[18:19]
	v_fma_f64 v[28:29], v[12:13], v[28:29], v[116:117]
	ds_read_b128 v[10:13], v1 offset:1632
	v_add_f64 v[105:106], v[105:106], v[118:119]
	v_add_f64 v[14:15], v[16:17], v[14:15]
	s_waitcnt vmcnt(51) lgkmcnt(1)
	v_mul_f64 v[16:17], v[6:7], v[24:25]
	v_mul_f64 v[24:25], v[8:9], v[24:25]
	s_waitcnt vmcnt(49)
	v_fma_f64 v[20:21], v[4:5], v[30:31], v[20:21]
	v_fma_f64 v[22:23], v[2:3], v[30:31], -v[22:23]
	v_add_f64 v[18:19], v[105:106], v[18:19]
	v_add_f64 v[14:15], v[14:15], v[28:29]
	s_clause 0x3
	buffer_load_dword v28, off, s[0:3], 0 offset:640
	buffer_load_dword v29, off, s[0:3], 0 offset:644
	;; [unrolled: 1-line block ×4, first 2 shown]
	s_waitcnt vmcnt(49) lgkmcnt(0)
	v_mul_f64 v[105:106], v[10:11], v[32:33]
	v_mul_f64 v[32:33], v[12:13], v[32:33]
	s_waitcnt vmcnt(48)
	v_fma_f64 v[24:25], v[6:7], v[26:27], -v[24:25]
	ds_read_b128 v[2:5], v1 offset:1648
	v_fma_f64 v[16:17], v[8:9], v[26:27], v[16:17]
	ds_read_b128 v[6:9], v1 offset:1664
	v_add_f64 v[18:19], v[18:19], v[22:23]
	v_add_f64 v[14:15], v[14:15], v[20:21]
	s_waitcnt vmcnt(47) lgkmcnt(1)
	v_mul_f64 v[22:23], v[4:5], v[34:35]
	s_waitcnt vmcnt(45)
	v_fma_f64 v[26:27], v[10:11], v[38:39], -v[32:33]
	v_mul_f64 v[20:21], v[2:3], v[34:35]
	s_waitcnt vmcnt(41) lgkmcnt(0)
	v_mul_f64 v[32:33], v[8:9], v[40:41]
	v_add_f64 v[18:19], v[18:19], v[24:25]
	v_fma_f64 v[24:25], v[12:13], v[38:39], v[105:106]
	v_add_f64 v[14:15], v[14:15], v[16:17]
	ds_read_b128 v[10:13], v1 offset:1680
	s_waitcnt vmcnt(40)
	v_fma_f64 v[22:23], v[2:3], v[36:37], -v[22:23]
	v_mul_f64 v[16:17], v[6:7], v[40:41]
	v_fma_f64 v[20:21], v[4:5], v[36:37], v[20:21]
	ds_read_b128 v[2:5], v1 offset:1696
	s_waitcnt vmcnt(37)
	v_fma_f64 v[32:33], v[6:7], v[46:47], -v[32:33]
	v_add_f64 v[18:19], v[18:19], v[26:27]
	s_waitcnt lgkmcnt(1)
	v_mul_f64 v[26:27], v[12:13], v[42:43]
	v_add_f64 v[14:15], v[14:15], v[24:25]
	v_mul_f64 v[24:25], v[10:11], v[42:43]
	v_fma_f64 v[16:17], v[8:9], v[46:47], v[16:17]
	ds_read_b128 v[6:9], v1 offset:1712
	v_add_f64 v[18:19], v[18:19], v[22:23]
	s_waitcnt vmcnt(33) lgkmcnt(1)
	v_mul_f64 v[22:23], v[4:5], v[48:49]
	v_add_f64 v[14:15], v[14:15], v[20:21]
	s_waitcnt vmcnt(32)
	v_fma_f64 v[26:27], v[10:11], v[44:45], -v[26:27]
	v_mul_f64 v[20:21], v[2:3], v[48:49]
	v_fma_f64 v[24:25], v[12:13], v[44:45], v[24:25]
	ds_read_b128 v[10:13], v1 offset:1728
	v_add_f64 v[18:19], v[18:19], v[32:33]
	s_waitcnt vmcnt(31) lgkmcnt(1)
	v_mul_f64 v[32:33], v[8:9], v[50:51]
	v_add_f64 v[14:15], v[14:15], v[16:17]
	s_waitcnt vmcnt(29)
	v_fma_f64 v[22:23], v[2:3], v[54:55], -v[22:23]
	;; [unrolled: 9-line block ×7, first 2 shown]
	v_mul_f64 v[20:21], v[2:3], v[109:110]
	v_fma_f64 v[12:13], v[12:13], v[101:102], v[24:25]
	v_add_f64 v[18:19], v[18:19], v[32:33]
	v_add_f64 v[14:15], v[14:15], v[16:17]
	s_waitcnt vmcnt(7) lgkmcnt(0)
	v_mul_f64 v[24:25], v[8:9], v[111:112]
	v_mul_f64 v[16:17], v[6:7], v[111:112]
	s_waitcnt vmcnt(5)
	v_fma_f64 v[2:3], v[2:3], v[107:108], -v[22:23]
	v_fma_f64 v[4:5], v[4:5], v[107:108], v[20:21]
	v_add_f64 v[10:11], v[18:19], v[10:11]
	v_add_f64 v[12:13], v[14:15], v[12:13]
	s_waitcnt vmcnt(4)
	v_fma_f64 v[6:7], v[6:7], v[113:114], -v[24:25]
	v_fma_f64 v[8:9], v[8:9], v[113:114], v[16:17]
	v_add_f64 v[2:3], v[10:11], v[2:3]
	v_add_f64 v[4:5], v[12:13], v[4:5]
	;; [unrolled: 1-line block ×4, first 2 shown]
	s_waitcnt vmcnt(2)
	v_add_f64 v[2:3], v[28:29], -v[2:3]
	s_waitcnt vmcnt(0)
	v_add_f64 v[4:5], v[30:31], -v[4:5]
	buffer_store_dword v3, off, s[0:3], 0 offset:644
	buffer_store_dword v2, off, s[0:3], 0 offset:640
	;; [unrolled: 1-line block ×4, first 2 shown]
	v_cmpx_lt_u32_e32 38, v0
	s_cbranch_execz .LBB56_279
; %bb.278:
	v_mov_b32_e32 v5, s30
	s_clause 0x3
	buffer_load_dword v2, v5, s[0:3], 0 offen
	buffer_load_dword v3, v5, s[0:3], 0 offen offset:4
	buffer_load_dword v4, v5, s[0:3], 0 offen offset:8
	buffer_load_dword v5, v5, s[0:3], 0 offen offset:12
	buffer_store_dword v1, off, s[0:3], 0 offset:624
	buffer_store_dword v1, off, s[0:3], 0 offset:628
	;; [unrolled: 1-line block ×4, first 2 shown]
	s_waitcnt vmcnt(0)
	ds_write_b128 v59, v[2:5]
.LBB56_279:
	s_or_b32 exec_lo, exec_lo, s4
	s_waitcnt lgkmcnt(0)
	s_waitcnt_vscnt null, 0x0
	s_barrier
	buffer_gl0_inv
	s_clause 0x37
	buffer_load_dword v10, off, s[0:3], 0 offset:648
	buffer_load_dword v11, off, s[0:3], 0 offset:652
	;; [unrolled: 1-line block ×56, first 2 shown]
	ds_read_b128 v[2:5], v1 offset:1536
	s_clause 0x2
	buffer_load_dword v100, off, s[0:3], 0 offset:876
	buffer_load_dword v104, off, s[0:3], 0 offset:852
	;; [unrolled: 1-line block ×3, first 2 shown]
	ds_read_b128 v[6:9], v1 offset:1552
	s_clause 0x4
	buffer_load_dword v110, off, s[0:3], 0 offset:892
	buffer_load_dword v111, off, s[0:3], 0 offset:904
	;; [unrolled: 1-line block ×5, first 2 shown]
	s_mov_b32 s4, exec_lo
	s_waitcnt vmcnt(62) lgkmcnt(1)
	v_mul_f64 v[105:106], v[4:5], v[10:11]
	v_mul_f64 v[107:108], v[2:3], v[10:11]
	s_waitcnt vmcnt(60) lgkmcnt(0)
	v_mul_f64 v[114:115], v[8:9], v[14:15]
	ds_read_b128 v[10:13], v1 offset:1568
	v_mul_f64 v[14:15], v[6:7], v[14:15]
	s_waitcnt vmcnt(58)
	v_fma_f64 v[105:106], v[2:3], v[16:17], -v[105:106]
	v_fma_f64 v[16:17], v[4:5], v[16:17], v[107:108]
	s_clause 0x2
	buffer_load_dword v112, off, s[0:3], 0 offset:908
	buffer_load_dword v108, off, s[0:3], 0 offset:884
	;; [unrolled: 1-line block ×3, first 2 shown]
	s_waitcnt vmcnt(59) lgkmcnt(0)
	v_mul_f64 v[116:117], v[10:11], v[18:19]
	v_mul_f64 v[18:19], v[12:13], v[18:19]
	s_waitcnt vmcnt(57)
	v_fma_f64 v[118:119], v[6:7], v[20:21], -v[114:115]
	ds_read_b128 v[2:5], v1 offset:1584
	v_fma_f64 v[14:15], v[8:9], v[20:21], v[14:15]
	s_clause 0x2
	buffer_load_dword v21, off, s[0:3], 0 offset:924
	buffer_load_dword v20, off, s[0:3], 0 offset:920
	;; [unrolled: 1-line block ×3, first 2 shown]
	ds_read_b128 v[6:9], v1 offset:1600
	v_add_f64 v[105:106], v[105:106], 0
	v_add_f64 v[16:17], v[16:17], 0
	s_waitcnt vmcnt(56) lgkmcnt(1)
	v_mul_f64 v[120:121], v[2:3], v[22:23]
	v_mul_f64 v[22:23], v[4:5], v[22:23]
	s_waitcnt vmcnt(54)
	v_fma_f64 v[18:19], v[10:11], v[28:29], -v[18:19]
	v_fma_f64 v[28:29], v[12:13], v[28:29], v[116:117]
	s_waitcnt vmcnt(53) lgkmcnt(0)
	v_mul_f64 v[115:116], v[6:7], v[24:25]
	v_mul_f64 v[24:25], v[8:9], v[24:25]
	v_add_f64 v[105:106], v[105:106], v[118:119]
	v_add_f64 v[14:15], v[16:17], v[14:15]
	s_clause 0x1
	buffer_load_dword v17, off, s[0:3], 0 offset:916
	buffer_load_dword v16, off, s[0:3], 0 offset:912
	ds_read_b128 v[10:13], v1 offset:1616
	s_waitcnt vmcnt(53)
	v_fma_f64 v[22:23], v[2:3], v[30:31], -v[22:23]
	v_fma_f64 v[30:31], v[4:5], v[30:31], v[120:121]
	ds_read_b128 v[2:5], v1 offset:1632
	s_waitcnt vmcnt(48)
	v_fma_f64 v[24:25], v[6:7], v[26:27], -v[24:25]
	v_add_f64 v[18:19], v[105:106], v[18:19]
	v_add_f64 v[14:15], v[14:15], v[28:29]
	s_waitcnt lgkmcnt(1)
	v_mul_f64 v[28:29], v[10:11], v[32:33]
	v_mul_f64 v[32:33], v[12:13], v[32:33]
	s_waitcnt vmcnt(47) lgkmcnt(0)
	v_mul_f64 v[105:106], v[2:3], v[34:35]
	v_mul_f64 v[34:35], v[4:5], v[34:35]
	v_add_f64 v[18:19], v[18:19], v[22:23]
	v_fma_f64 v[22:23], v[8:9], v[26:27], v[115:116]
	v_add_f64 v[14:15], v[14:15], v[30:31]
	s_clause 0x3
	buffer_load_dword v26, off, s[0:3], 0 offset:624
	buffer_load_dword v27, off, s[0:3], 0 offset:628
	;; [unrolled: 1-line block ×4, first 2 shown]
	s_waitcnt vmcnt(49)
	v_fma_f64 v[32:33], v[10:11], v[38:39], -v[32:33]
	ds_read_b128 v[6:9], v1 offset:1648
	s_waitcnt vmcnt(44)
	v_fma_f64 v[34:35], v[2:3], v[36:37], -v[34:35]
	v_add_f64 v[18:19], v[18:19], v[24:25]
	v_fma_f64 v[24:25], v[12:13], v[38:39], v[28:29]
	v_add_f64 v[14:15], v[14:15], v[22:23]
	ds_read_b128 v[10:13], v1 offset:1664
	s_waitcnt lgkmcnt(1)
	v_mul_f64 v[28:29], v[8:9], v[40:41]
	v_mul_f64 v[22:23], v[6:7], v[40:41]
	v_add_f64 v[18:19], v[18:19], v[32:33]
	v_fma_f64 v[32:33], v[4:5], v[36:37], v[105:106]
	v_add_f64 v[14:15], v[14:15], v[24:25]
	s_waitcnt vmcnt(43) lgkmcnt(0)
	v_mul_f64 v[36:37], v[12:13], v[42:43]
	s_waitcnt vmcnt(41)
	v_fma_f64 v[28:29], v[6:7], v[46:47], -v[28:29]
	ds_read_b128 v[2:5], v1 offset:1680
	v_mul_f64 v[24:25], v[10:11], v[42:43]
	v_fma_f64 v[22:23], v[8:9], v[46:47], v[22:23]
	ds_read_b128 v[6:9], v1 offset:1696
	v_add_f64 v[18:19], v[18:19], v[34:35]
	v_add_f64 v[14:15], v[14:15], v[32:33]
	s_waitcnt vmcnt(37) lgkmcnt(1)
	v_mul_f64 v[34:35], v[4:5], v[48:49]
	s_waitcnt vmcnt(36)
	v_fma_f64 v[36:37], v[10:11], v[44:45], -v[36:37]
	v_mul_f64 v[32:33], v[2:3], v[48:49]
	v_fma_f64 v[24:25], v[12:13], v[44:45], v[24:25]
	ds_read_b128 v[10:13], v1 offset:1712
	v_add_f64 v[18:19], v[18:19], v[28:29]
	s_waitcnt vmcnt(35) lgkmcnt(1)
	v_mul_f64 v[28:29], v[8:9], v[50:51]
	v_add_f64 v[14:15], v[14:15], v[22:23]
	s_waitcnt vmcnt(33)
	v_fma_f64 v[34:35], v[2:3], v[54:55], -v[34:35]
	v_mul_f64 v[22:23], v[6:7], v[50:51]
	v_fma_f64 v[32:33], v[4:5], v[54:55], v[32:33]
	ds_read_b128 v[2:5], v1 offset:1728
	v_add_f64 v[18:19], v[18:19], v[36:37]
	s_waitcnt vmcnt(29) lgkmcnt(1)
	v_mul_f64 v[36:37], v[12:13], v[56:57]
	v_add_f64 v[14:15], v[14:15], v[24:25]
	;; [unrolled: 9-line block ×6, first 2 shown]
	s_waitcnt vmcnt(12)
	v_fma_f64 v[36:37], v[10:11], v[101:102], -v[36:37]
	v_mul_f64 v[32:33], v[2:3], v[109:110]
	v_fma_f64 v[24:25], v[12:13], v[101:102], v[24:25]
	ds_read_b128 v[10:13], v1 offset:1808
	v_add_f64 v[18:19], v[18:19], v[28:29]
	v_add_f64 v[14:15], v[14:15], v[22:23]
	s_waitcnt vmcnt(11) lgkmcnt(1)
	v_mul_f64 v[28:29], v[8:9], v[111:112]
	v_mul_f64 v[22:23], v[6:7], v[111:112]
	s_waitcnt vmcnt(9)
	v_fma_f64 v[1:2], v[2:3], v[107:108], -v[34:35]
	v_fma_f64 v[3:4], v[4:5], v[107:108], v[32:33]
	v_add_f64 v[18:19], v[18:19], v[36:37]
	v_add_f64 v[14:15], v[14:15], v[24:25]
	s_waitcnt vmcnt(7) lgkmcnt(0)
	v_mul_f64 v[24:25], v[10:11], v[20:21]
	v_mul_f64 v[20:21], v[12:13], v[20:21]
	s_waitcnt vmcnt(6)
	v_fma_f64 v[5:6], v[6:7], v[113:114], -v[28:29]
	v_fma_f64 v[7:8], v[8:9], v[113:114], v[22:23]
	v_add_f64 v[1:2], v[18:19], v[1:2]
	v_add_f64 v[3:4], v[14:15], v[3:4]
	s_waitcnt vmcnt(4)
	v_fma_f64 v[9:10], v[10:11], v[16:17], -v[20:21]
	v_add_f64 v[1:2], v[1:2], v[5:6]
	v_fma_f64 v[5:6], v[12:13], v[16:17], v[24:25]
	v_add_f64 v[3:4], v[3:4], v[7:8]
	v_add_f64 v[1:2], v[1:2], v[9:10]
	;; [unrolled: 1-line block ×3, first 2 shown]
	s_waitcnt vmcnt(2)
	v_add_f64 v[1:2], v[26:27], -v[1:2]
	s_waitcnt vmcnt(0)
	v_add_f64 v[3:4], v[30:31], -v[3:4]
	buffer_store_dword v2, off, s[0:3], 0 offset:628
	buffer_store_dword v1, off, s[0:3], 0 offset:624
	buffer_store_dword v4, off, s[0:3], 0 offset:636
	buffer_store_dword v3, off, s[0:3], 0 offset:632
	v_cmpx_lt_u32_e32 37, v0
	s_cbranch_execz .LBB56_281
; %bb.280:
	v_mov_b32_e32 v4, s31
	v_mov_b32_e32 v5, 0
	s_clause 0x3
	buffer_load_dword v1, v4, s[0:3], 0 offen
	buffer_load_dword v2, v4, s[0:3], 0 offen offset:4
	buffer_load_dword v3, v4, s[0:3], 0 offen offset:8
	;; [unrolled: 1-line block ×3, first 2 shown]
	buffer_store_dword v5, off, s[0:3], 0 offset:608
	buffer_store_dword v5, off, s[0:3], 0 offset:612
	;; [unrolled: 1-line block ×4, first 2 shown]
	s_waitcnt vmcnt(0)
	ds_write_b128 v59, v[1:4]
.LBB56_281:
	s_or_b32 exec_lo, exec_lo, s4
	s_waitcnt lgkmcnt(0)
	s_waitcnt_vscnt null, 0x0
	s_barrier
	buffer_gl0_inv
	s_clause 0x37
	buffer_load_dword v10, off, s[0:3], 0 offset:632
	buffer_load_dword v11, off, s[0:3], 0 offset:636
	;; [unrolled: 1-line block ×56, first 2 shown]
	v_mov_b32_e32 v1, 0
	s_mov_b32 s4, exec_lo
	ds_read_b128 v[2:5], v1 offset:1520
	s_clause 0x2
	buffer_load_dword v100, off, s[0:3], 0 offset:860
	buffer_load_dword v104, off, s[0:3], 0 offset:836
	;; [unrolled: 1-line block ×3, first 2 shown]
	ds_read_b128 v[6:9], v1 offset:1536
	s_clause 0x4
	buffer_load_dword v110, off, s[0:3], 0 offset:876
	buffer_load_dword v111, off, s[0:3], 0 offset:888
	;; [unrolled: 1-line block ×5, first 2 shown]
	s_waitcnt vmcnt(62) lgkmcnt(1)
	v_mul_f64 v[105:106], v[4:5], v[10:11]
	v_mul_f64 v[107:108], v[2:3], v[10:11]
	s_waitcnt vmcnt(60) lgkmcnt(0)
	v_mul_f64 v[114:115], v[8:9], v[14:15]
	ds_read_b128 v[10:13], v1 offset:1552
	v_mul_f64 v[14:15], v[6:7], v[14:15]
	s_waitcnt vmcnt(58)
	v_fma_f64 v[105:106], v[2:3], v[16:17], -v[105:106]
	v_fma_f64 v[16:17], v[4:5], v[16:17], v[107:108]
	s_clause 0x2
	buffer_load_dword v112, off, s[0:3], 0 offset:892
	buffer_load_dword v108, off, s[0:3], 0 offset:868
	buffer_load_dword v107, off, s[0:3], 0 offset:864
	s_waitcnt vmcnt(59) lgkmcnt(0)
	v_mul_f64 v[116:117], v[10:11], v[18:19]
	v_mul_f64 v[18:19], v[12:13], v[18:19]
	s_waitcnt vmcnt(57)
	v_fma_f64 v[118:119], v[6:7], v[20:21], -v[114:115]
	ds_read_b128 v[2:5], v1 offset:1568
	v_fma_f64 v[14:15], v[8:9], v[20:21], v[14:15]
	s_clause 0x4
	buffer_load_dword v21, off, s[0:3], 0 offset:908
	buffer_load_dword v115, off, s[0:3], 0 offset:920
	;; [unrolled: 1-line block ×5, first 2 shown]
	ds_read_b128 v[6:9], v1 offset:1584
	v_add_f64 v[105:106], v[105:106], 0
	v_add_f64 v[16:17], v[16:17], 0
	s_waitcnt vmcnt(58) lgkmcnt(1)
	v_mul_f64 v[121:122], v[2:3], v[22:23]
	v_mul_f64 v[22:23], v[4:5], v[22:23]
	s_waitcnt vmcnt(56)
	v_fma_f64 v[18:19], v[10:11], v[28:29], -v[18:19]
	v_fma_f64 v[28:29], v[12:13], v[28:29], v[116:117]
	v_add_f64 v[105:106], v[105:106], v[118:119]
	v_add_f64 v[14:15], v[16:17], v[14:15]
	s_clause 0x2
	buffer_load_dword v116, off, s[0:3], 0 offset:924
	buffer_load_dword v17, off, s[0:3], 0 offset:900
	;; [unrolled: 1-line block ×3, first 2 shown]
	s_waitcnt vmcnt(58) lgkmcnt(0)
	v_mul_f64 v[117:118], v[6:7], v[24:25]
	v_mul_f64 v[24:25], v[8:9], v[24:25]
	s_waitcnt vmcnt(56)
	v_fma_f64 v[22:23], v[2:3], v[30:31], -v[22:23]
	ds_read_b128 v[10:13], v1 offset:1600
	v_fma_f64 v[30:31], v[4:5], v[30:31], v[121:122]
	buffer_load_dword v121, off, s[0:3], 0 offset:916
	ds_read_b128 v[2:5], v1 offset:1616
	v_add_f64 v[18:19], v[105:106], v[18:19]
	v_add_f64 v[14:15], v[14:15], v[28:29]
	s_waitcnt vmcnt(53) lgkmcnt(1)
	v_mul_f64 v[28:29], v[10:11], v[32:33]
	v_mul_f64 v[32:33], v[12:13], v[32:33]
	s_waitcnt vmcnt(52)
	v_fma_f64 v[24:25], v[6:7], v[26:27], -v[24:25]
	v_add_f64 v[18:19], v[18:19], v[22:23]
	v_fma_f64 v[22:23], v[8:9], v[26:27], v[117:118]
	v_add_f64 v[14:15], v[14:15], v[30:31]
	s_waitcnt vmcnt(51) lgkmcnt(0)
	v_mul_f64 v[30:31], v[4:5], v[34:35]
	ds_read_b128 v[6:9], v1 offset:1632
	s_waitcnt vmcnt(49)
	v_fma_f64 v[32:33], v[10:11], v[38:39], -v[32:33]
	v_mul_f64 v[26:27], v[2:3], v[34:35]
	v_add_f64 v[18:19], v[18:19], v[24:25]
	v_fma_f64 v[24:25], v[12:13], v[38:39], v[28:29]
	v_add_f64 v[14:15], v[14:15], v[22:23]
	s_clause 0x3
	buffer_load_dword v22, off, s[0:3], 0 offset:608
	buffer_load_dword v23, off, s[0:3], 0 offset:612
	;; [unrolled: 1-line block ×4, first 2 shown]
	s_waitcnt vmcnt(49) lgkmcnt(0)
	v_mul_f64 v[38:39], v[8:9], v[40:41]
	s_waitcnt vmcnt(48)
	v_fma_f64 v[30:31], v[2:3], v[36:37], -v[30:31]
	ds_read_b128 v[10:13], v1 offset:1648
	v_mul_f64 v[34:35], v[6:7], v[40:41]
	v_fma_f64 v[26:27], v[4:5], v[36:37], v[26:27]
	ds_read_b128 v[2:5], v1 offset:1664
	v_add_f64 v[18:19], v[18:19], v[32:33]
	v_add_f64 v[14:15], v[14:15], v[24:25]
	s_waitcnt vmcnt(47) lgkmcnt(1)
	v_mul_f64 v[32:33], v[12:13], v[42:43]
	s_waitcnt vmcnt(45)
	v_fma_f64 v[36:37], v[6:7], v[46:47], -v[38:39]
	v_mul_f64 v[24:25], v[10:11], v[42:43]
	v_add_f64 v[18:19], v[18:19], v[30:31]
	v_fma_f64 v[30:31], v[8:9], v[46:47], v[34:35]
	v_add_f64 v[14:15], v[14:15], v[26:27]
	s_waitcnt vmcnt(41) lgkmcnt(0)
	v_mul_f64 v[34:35], v[4:5], v[48:49]
	s_waitcnt vmcnt(40)
	v_fma_f64 v[32:33], v[10:11], v[44:45], -v[32:33]
	ds_read_b128 v[6:9], v1 offset:1680
	v_mul_f64 v[26:27], v[2:3], v[48:49]
	v_fma_f64 v[24:25], v[12:13], v[44:45], v[24:25]
	ds_read_b128 v[10:13], v1 offset:1696
	v_add_f64 v[18:19], v[18:19], v[36:37]
	v_add_f64 v[14:15], v[14:15], v[30:31]
	s_waitcnt vmcnt(39) lgkmcnt(1)
	v_mul_f64 v[36:37], v[8:9], v[50:51]
	s_waitcnt vmcnt(37)
	v_fma_f64 v[34:35], v[2:3], v[54:55], -v[34:35]
	v_mul_f64 v[30:31], v[6:7], v[50:51]
	v_fma_f64 v[26:27], v[4:5], v[54:55], v[26:27]
	ds_read_b128 v[2:5], v1 offset:1712
	v_add_f64 v[18:19], v[18:19], v[32:33]
	s_waitcnt vmcnt(33) lgkmcnt(1)
	v_mul_f64 v[32:33], v[12:13], v[56:57]
	v_add_f64 v[14:15], v[14:15], v[24:25]
	s_waitcnt vmcnt(32)
	v_fma_f64 v[36:37], v[6:7], v[52:53], -v[36:37]
	v_mul_f64 v[24:25], v[10:11], v[56:57]
	v_fma_f64 v[30:31], v[8:9], v[52:53], v[30:31]
	ds_read_b128 v[6:9], v1 offset:1728
	v_add_f64 v[18:19], v[18:19], v[34:35]
	s_waitcnt vmcnt(31) lgkmcnt(1)
	v_mul_f64 v[34:35], v[4:5], v[77:78]
	v_add_f64 v[14:15], v[14:15], v[26:27]
	s_waitcnt vmcnt(29)
	v_fma_f64 v[32:33], v[10:11], v[89:90], -v[32:33]
	v_mul_f64 v[26:27], v[2:3], v[77:78]
	v_fma_f64 v[24:25], v[12:13], v[89:90], v[24:25]
	ds_read_b128 v[10:13], v1 offset:1744
	v_add_f64 v[18:19], v[18:19], v[36:37]
	s_waitcnt vmcnt(25) lgkmcnt(1)
	v_mul_f64 v[36:37], v[8:9], v[91:92]
	v_add_f64 v[14:15], v[14:15], v[30:31]
	s_waitcnt vmcnt(24)
	v_fma_f64 v[34:35], v[2:3], v[79:80], -v[34:35]
	v_mul_f64 v[30:31], v[6:7], v[91:92]
	v_fma_f64 v[26:27], v[4:5], v[79:80], v[26:27]
	ds_read_b128 v[2:5], v1 offset:1760
	v_add_f64 v[18:19], v[18:19], v[32:33]
	s_waitcnt vmcnt(23) lgkmcnt(1)
	v_mul_f64 v[32:33], v[12:13], v[99:100]
	v_add_f64 v[14:15], v[14:15], v[24:25]
	s_waitcnt vmcnt(21)
	v_fma_f64 v[36:37], v[6:7], v[103:104], -v[36:37]
	v_mul_f64 v[24:25], v[10:11], v[99:100]
	v_fma_f64 v[30:31], v[8:9], v[103:104], v[30:31]
	ds_read_b128 v[6:9], v1 offset:1776
	v_add_f64 v[18:19], v[18:19], v[34:35]
	s_waitcnt vmcnt(17) lgkmcnt(1)
	v_mul_f64 v[34:35], v[4:5], v[109:110]
	v_add_f64 v[14:15], v[14:15], v[26:27]
	s_waitcnt vmcnt(16)
	v_fma_f64 v[32:33], v[10:11], v[101:102], -v[32:33]
	v_mul_f64 v[26:27], v[2:3], v[109:110]
	v_fma_f64 v[24:25], v[12:13], v[101:102], v[24:25]
	ds_read_b128 v[10:13], v1 offset:1792
	v_add_f64 v[18:19], v[18:19], v[36:37]
	v_add_f64 v[14:15], v[14:15], v[30:31]
	s_waitcnt vmcnt(15) lgkmcnt(1)
	v_mul_f64 v[36:37], v[8:9], v[111:112]
	v_mul_f64 v[30:31], v[6:7], v[111:112]
	s_waitcnt vmcnt(13)
	v_fma_f64 v[34:35], v[2:3], v[107:108], -v[34:35]
	v_fma_f64 v[26:27], v[4:5], v[107:108], v[26:27]
	ds_read_b128 v[2:5], v1 offset:1808
	v_add_f64 v[18:19], v[18:19], v[32:33]
	v_add_f64 v[14:15], v[14:15], v[24:25]
	s_waitcnt vmcnt(9) lgkmcnt(1)
	v_mul_f64 v[24:25], v[10:11], v[20:21]
	v_mul_f64 v[20:21], v[12:13], v[20:21]
	s_waitcnt vmcnt(8)
	v_fma_f64 v[6:7], v[6:7], v[113:114], -v[36:37]
	v_fma_f64 v[8:9], v[8:9], v[113:114], v[30:31]
	v_add_f64 v[18:19], v[18:19], v[34:35]
	v_add_f64 v[14:15], v[14:15], v[26:27]
	s_waitcnt vmcnt(7) lgkmcnt(0)
	v_mul_f64 v[30:31], v[4:5], v[115:116]
	v_mul_f64 v[26:27], v[2:3], v[115:116]
	s_waitcnt vmcnt(5)
	v_fma_f64 v[10:11], v[10:11], v[16:17], -v[20:21]
	v_fma_f64 v[12:13], v[12:13], v[16:17], v[24:25]
	v_add_f64 v[6:7], v[18:19], v[6:7]
	v_add_f64 v[8:9], v[14:15], v[8:9]
	s_waitcnt vmcnt(4)
	v_fma_f64 v[2:3], v[2:3], v[120:121], -v[30:31]
	v_fma_f64 v[4:5], v[4:5], v[120:121], v[26:27]
	v_add_f64 v[6:7], v[6:7], v[10:11]
	v_add_f64 v[8:9], v[8:9], v[12:13]
	;; [unrolled: 1-line block ×4, first 2 shown]
	s_waitcnt vmcnt(2)
	v_add_f64 v[2:3], v[22:23], -v[2:3]
	s_waitcnt vmcnt(0)
	v_add_f64 v[4:5], v[28:29], -v[4:5]
	buffer_store_dword v3, off, s[0:3], 0 offset:612
	buffer_store_dword v2, off, s[0:3], 0 offset:608
	;; [unrolled: 1-line block ×4, first 2 shown]
	v_cmpx_lt_u32_e32 36, v0
	s_cbranch_execz .LBB56_283
; %bb.282:
	v_mov_b32_e32 v5, s33
	s_clause 0x3
	buffer_load_dword v2, v5, s[0:3], 0 offen
	buffer_load_dword v3, v5, s[0:3], 0 offen offset:4
	buffer_load_dword v4, v5, s[0:3], 0 offen offset:8
	;; [unrolled: 1-line block ×3, first 2 shown]
	buffer_store_dword v1, off, s[0:3], 0 offset:592
	buffer_store_dword v1, off, s[0:3], 0 offset:596
	;; [unrolled: 1-line block ×4, first 2 shown]
	s_waitcnt vmcnt(0)
	ds_write_b128 v59, v[2:5]
.LBB56_283:
	s_or_b32 exec_lo, exec_lo, s4
	s_waitcnt lgkmcnt(0)
	s_waitcnt_vscnt null, 0x0
	s_barrier
	buffer_gl0_inv
	s_clause 0x37
	buffer_load_dword v10, off, s[0:3], 0 offset:616
	buffer_load_dword v11, off, s[0:3], 0 offset:620
	;; [unrolled: 1-line block ×56, first 2 shown]
	ds_read_b128 v[2:5], v1 offset:1504
	s_clause 0x2
	buffer_load_dword v100, off, s[0:3], 0 offset:844
	buffer_load_dword v104, off, s[0:3], 0 offset:820
	;; [unrolled: 1-line block ×3, first 2 shown]
	ds_read_b128 v[6:9], v1 offset:1520
	s_clause 0x4
	buffer_load_dword v110, off, s[0:3], 0 offset:860
	buffer_load_dword v111, off, s[0:3], 0 offset:872
	;; [unrolled: 1-line block ×5, first 2 shown]
	s_mov_b32 s4, exec_lo
	s_waitcnt vmcnt(62) lgkmcnt(1)
	v_mul_f64 v[105:106], v[4:5], v[10:11]
	v_mul_f64 v[107:108], v[2:3], v[10:11]
	s_waitcnt vmcnt(60) lgkmcnt(0)
	v_mul_f64 v[114:115], v[8:9], v[14:15]
	ds_read_b128 v[10:13], v1 offset:1536
	v_mul_f64 v[14:15], v[6:7], v[14:15]
	s_waitcnt vmcnt(58)
	v_fma_f64 v[105:106], v[2:3], v[16:17], -v[105:106]
	v_fma_f64 v[16:17], v[4:5], v[16:17], v[107:108]
	s_clause 0x2
	buffer_load_dword v112, off, s[0:3], 0 offset:876
	buffer_load_dword v108, off, s[0:3], 0 offset:852
	;; [unrolled: 1-line block ×3, first 2 shown]
	s_waitcnt vmcnt(59) lgkmcnt(0)
	v_mul_f64 v[116:117], v[10:11], v[18:19]
	v_mul_f64 v[18:19], v[12:13], v[18:19]
	s_waitcnt vmcnt(57)
	v_fma_f64 v[118:119], v[6:7], v[20:21], -v[114:115]
	ds_read_b128 v[2:5], v1 offset:1552
	v_fma_f64 v[14:15], v[8:9], v[20:21], v[14:15]
	s_clause 0x4
	buffer_load_dword v21, off, s[0:3], 0 offset:892
	buffer_load_dword v115, off, s[0:3], 0 offset:904
	;; [unrolled: 1-line block ×5, first 2 shown]
	ds_read_b128 v[6:9], v1 offset:1568
	v_add_f64 v[105:106], v[105:106], 0
	v_add_f64 v[16:17], v[16:17], 0
	s_waitcnt vmcnt(58) lgkmcnt(1)
	v_mul_f64 v[121:122], v[2:3], v[22:23]
	v_mul_f64 v[22:23], v[4:5], v[22:23]
	s_waitcnt vmcnt(56)
	v_fma_f64 v[18:19], v[10:11], v[28:29], -v[18:19]
	v_fma_f64 v[28:29], v[12:13], v[28:29], v[116:117]
	v_add_f64 v[105:106], v[105:106], v[118:119]
	v_add_f64 v[14:15], v[16:17], v[14:15]
	s_clause 0x2
	buffer_load_dword v116, off, s[0:3], 0 offset:908
	buffer_load_dword v17, off, s[0:3], 0 offset:884
	;; [unrolled: 1-line block ×3, first 2 shown]
	s_waitcnt vmcnt(58) lgkmcnt(0)
	v_mul_f64 v[117:118], v[6:7], v[24:25]
	v_mul_f64 v[24:25], v[8:9], v[24:25]
	s_waitcnt vmcnt(56)
	v_fma_f64 v[22:23], v[2:3], v[30:31], -v[22:23]
	ds_read_b128 v[10:13], v1 offset:1584
	v_fma_f64 v[30:31], v[4:5], v[30:31], v[121:122]
	v_add_f64 v[18:19], v[105:106], v[18:19]
	v_add_f64 v[14:15], v[14:15], v[28:29]
	s_clause 0x2
	buffer_load_dword v29, off, s[0:3], 0 offset:924
	buffer_load_dword v28, off, s[0:3], 0 offset:920
	;; [unrolled: 1-line block ×3, first 2 shown]
	ds_read_b128 v[2:5], v1 offset:1600
	s_waitcnt vmcnt(55) lgkmcnt(1)
	v_mul_f64 v[105:106], v[10:11], v[32:33]
	v_mul_f64 v[32:33], v[12:13], v[32:33]
	s_waitcnt vmcnt(54)
	v_fma_f64 v[24:25], v[6:7], v[26:27], -v[24:25]
	v_add_f64 v[18:19], v[18:19], v[22:23]
	v_fma_f64 v[22:23], v[8:9], v[26:27], v[117:118]
	v_add_f64 v[14:15], v[14:15], v[30:31]
	s_clause 0x1
	buffer_load_dword v27, off, s[0:3], 0 offset:916
	buffer_load_dword v26, off, s[0:3], 0 offset:912
	s_waitcnt vmcnt(55) lgkmcnt(0)
	v_mul_f64 v[30:31], v[2:3], v[34:35]
	v_mul_f64 v[34:35], v[4:5], v[34:35]
	s_waitcnt vmcnt(53)
	v_fma_f64 v[32:33], v[10:11], v[38:39], -v[32:33]
	ds_read_b128 v[6:9], v1 offset:1616
	v_add_f64 v[18:19], v[18:19], v[24:25]
	v_fma_f64 v[24:25], v[12:13], v[38:39], v[105:106]
	v_add_f64 v[14:15], v[14:15], v[22:23]
	ds_read_b128 v[10:13], v1 offset:1632
	s_waitcnt vmcnt(48)
	v_fma_f64 v[30:31], v[4:5], v[36:37], v[30:31]
	s_waitcnt lgkmcnt(1)
	v_mul_f64 v[38:39], v[8:9], v[40:41]
	v_fma_f64 v[34:35], v[2:3], v[36:37], -v[34:35]
	v_mul_f64 v[22:23], v[6:7], v[40:41]
	v_add_f64 v[18:19], v[18:19], v[32:33]
	s_waitcnt vmcnt(47) lgkmcnt(0)
	v_mul_f64 v[40:41], v[12:13], v[42:43]
	v_add_f64 v[14:15], v[14:15], v[24:25]
	s_clause 0x3
	buffer_load_dword v24, off, s[0:3], 0 offset:592
	buffer_load_dword v25, off, s[0:3], 0 offset:596
	;; [unrolled: 1-line block ×4, first 2 shown]
	ds_read_b128 v[2:5], v1 offset:1648
	s_waitcnt vmcnt(49)
	v_fma_f64 v[38:39], v[6:7], v[46:47], -v[38:39]
	v_mul_f64 v[36:37], v[10:11], v[42:43]
	v_fma_f64 v[22:23], v[8:9], v[46:47], v[22:23]
	ds_read_b128 v[6:9], v1 offset:1664
	v_add_f64 v[18:19], v[18:19], v[34:35]
	s_waitcnt vmcnt(44)
	v_fma_f64 v[40:41], v[10:11], v[44:45], -v[40:41]
	v_add_f64 v[14:15], v[14:15], v[30:31]
	s_waitcnt lgkmcnt(1)
	v_mul_f64 v[34:35], v[4:5], v[48:49]
	v_mul_f64 v[30:31], v[2:3], v[48:49]
	v_fma_f64 v[36:37], v[12:13], v[44:45], v[36:37]
	ds_read_b128 v[10:13], v1 offset:1680
	v_add_f64 v[18:19], v[18:19], v[38:39]
	s_waitcnt vmcnt(43) lgkmcnt(1)
	v_mul_f64 v[38:39], v[8:9], v[50:51]
	v_add_f64 v[14:15], v[14:15], v[22:23]
	s_waitcnt vmcnt(41)
	v_fma_f64 v[34:35], v[2:3], v[54:55], -v[34:35]
	v_mul_f64 v[22:23], v[6:7], v[50:51]
	v_fma_f64 v[30:31], v[4:5], v[54:55], v[30:31]
	ds_read_b128 v[2:5], v1 offset:1696
	v_add_f64 v[18:19], v[18:19], v[40:41]
	s_waitcnt vmcnt(37) lgkmcnt(1)
	v_mul_f64 v[40:41], v[12:13], v[56:57]
	v_add_f64 v[14:15], v[14:15], v[36:37]
	s_waitcnt vmcnt(36)
	v_fma_f64 v[38:39], v[6:7], v[52:53], -v[38:39]
	;; [unrolled: 9-line block ×6, first 2 shown]
	v_mul_f64 v[30:31], v[2:3], v[109:110]
	v_fma_f64 v[36:37], v[12:13], v[101:102], v[36:37]
	ds_read_b128 v[10:13], v1 offset:1776
	v_add_f64 v[18:19], v[18:19], v[38:39]
	v_add_f64 v[14:15], v[14:15], v[22:23]
	s_waitcnt vmcnt(19) lgkmcnt(1)
	v_mul_f64 v[38:39], v[8:9], v[111:112]
	v_mul_f64 v[22:23], v[6:7], v[111:112]
	s_waitcnt vmcnt(17)
	v_fma_f64 v[34:35], v[2:3], v[107:108], -v[34:35]
	v_fma_f64 v[30:31], v[4:5], v[107:108], v[30:31]
	ds_read_b128 v[2:5], v1 offset:1792
	v_add_f64 v[18:19], v[18:19], v[40:41]
	v_add_f64 v[14:15], v[14:15], v[36:37]
	s_waitcnt vmcnt(13) lgkmcnt(1)
	v_mul_f64 v[36:37], v[10:11], v[20:21]
	v_mul_f64 v[20:21], v[12:13], v[20:21]
	s_waitcnt vmcnt(12)
	v_fma_f64 v[38:39], v[6:7], v[113:114], -v[38:39]
	;; [unrolled: 9-line block ×3, first 2 shown]
	v_fma_f64 v[12:13], v[12:13], v[16:17], v[36:37]
	v_add_f64 v[18:19], v[18:19], v[38:39]
	v_add_f64 v[14:15], v[14:15], v[22:23]
	s_waitcnt vmcnt(7) lgkmcnt(0)
	v_mul_f64 v[20:21], v[8:9], v[28:29]
	s_waitcnt vmcnt(6)
	v_fma_f64 v[1:2], v[2:3], v[120:121], -v[34:35]
	v_mul_f64 v[16:17], v[6:7], v[28:29]
	v_fma_f64 v[3:4], v[4:5], v[120:121], v[30:31]
	v_add_f64 v[10:11], v[18:19], v[10:11]
	v_add_f64 v[12:13], v[14:15], v[12:13]
	s_waitcnt vmcnt(4)
	v_fma_f64 v[5:6], v[6:7], v[26:27], -v[20:21]
	v_fma_f64 v[7:8], v[8:9], v[26:27], v[16:17]
	v_add_f64 v[1:2], v[10:11], v[1:2]
	v_add_f64 v[3:4], v[12:13], v[3:4]
	;; [unrolled: 1-line block ×4, first 2 shown]
	s_waitcnt vmcnt(2)
	v_add_f64 v[1:2], v[24:25], -v[1:2]
	s_waitcnt vmcnt(0)
	v_add_f64 v[3:4], v[32:33], -v[3:4]
	buffer_store_dword v2, off, s[0:3], 0 offset:596
	buffer_store_dword v1, off, s[0:3], 0 offset:592
	buffer_store_dword v4, off, s[0:3], 0 offset:604
	buffer_store_dword v3, off, s[0:3], 0 offset:600
	v_cmpx_lt_u32_e32 35, v0
	s_cbranch_execz .LBB56_285
; %bb.284:
	v_mov_b32_e32 v4, s34
	v_mov_b32_e32 v5, 0
	s_clause 0x3
	buffer_load_dword v1, v4, s[0:3], 0 offen
	buffer_load_dword v2, v4, s[0:3], 0 offen offset:4
	buffer_load_dword v3, v4, s[0:3], 0 offen offset:8
	;; [unrolled: 1-line block ×3, first 2 shown]
	buffer_store_dword v5, off, s[0:3], 0 offset:576
	buffer_store_dword v5, off, s[0:3], 0 offset:580
	;; [unrolled: 1-line block ×4, first 2 shown]
	s_waitcnt vmcnt(0)
	ds_write_b128 v59, v[1:4]
.LBB56_285:
	s_or_b32 exec_lo, exec_lo, s4
	s_waitcnt lgkmcnt(0)
	s_waitcnt_vscnt null, 0x0
	s_barrier
	buffer_gl0_inv
	s_clause 0x37
	buffer_load_dword v10, off, s[0:3], 0 offset:600
	buffer_load_dword v11, off, s[0:3], 0 offset:604
	;; [unrolled: 1-line block ×56, first 2 shown]
	v_mov_b32_e32 v1, 0
	s_mov_b32 s4, exec_lo
	ds_read_b128 v[2:5], v1 offset:1488
	s_clause 0x2
	buffer_load_dword v100, off, s[0:3], 0 offset:828
	buffer_load_dword v104, off, s[0:3], 0 offset:804
	;; [unrolled: 1-line block ×3, first 2 shown]
	ds_read_b128 v[6:9], v1 offset:1504
	s_clause 0x4
	buffer_load_dword v110, off, s[0:3], 0 offset:844
	buffer_load_dword v111, off, s[0:3], 0 offset:856
	buffer_load_dword v113, off, s[0:3], 0 offset:848
	buffer_load_dword v109, off, s[0:3], 0 offset:840
	buffer_load_dword v102, off, s[0:3], 0 offset:820
	s_waitcnt vmcnt(62) lgkmcnt(1)
	v_mul_f64 v[105:106], v[4:5], v[10:11]
	v_mul_f64 v[107:108], v[2:3], v[10:11]
	s_waitcnt vmcnt(60) lgkmcnt(0)
	v_mul_f64 v[114:115], v[8:9], v[14:15]
	ds_read_b128 v[10:13], v1 offset:1520
	v_mul_f64 v[14:15], v[6:7], v[14:15]
	s_waitcnt vmcnt(58)
	v_fma_f64 v[105:106], v[2:3], v[16:17], -v[105:106]
	v_fma_f64 v[16:17], v[4:5], v[16:17], v[107:108]
	s_clause 0x2
	buffer_load_dword v112, off, s[0:3], 0 offset:860
	buffer_load_dword v108, off, s[0:3], 0 offset:836
	;; [unrolled: 1-line block ×3, first 2 shown]
	s_waitcnt vmcnt(59) lgkmcnt(0)
	v_mul_f64 v[116:117], v[10:11], v[18:19]
	v_mul_f64 v[18:19], v[12:13], v[18:19]
	s_waitcnt vmcnt(57)
	v_fma_f64 v[118:119], v[6:7], v[20:21], -v[114:115]
	ds_read_b128 v[2:5], v1 offset:1536
	v_fma_f64 v[14:15], v[8:9], v[20:21], v[14:15]
	s_clause 0x4
	buffer_load_dword v21, off, s[0:3], 0 offset:876
	buffer_load_dword v115, off, s[0:3], 0 offset:888
	;; [unrolled: 1-line block ×5, first 2 shown]
	ds_read_b128 v[6:9], v1 offset:1552
	v_add_f64 v[105:106], v[105:106], 0
	v_add_f64 v[16:17], v[16:17], 0
	s_waitcnt vmcnt(58) lgkmcnt(1)
	v_mul_f64 v[121:122], v[2:3], v[22:23]
	v_mul_f64 v[22:23], v[4:5], v[22:23]
	s_waitcnt vmcnt(56)
	v_fma_f64 v[18:19], v[10:11], v[28:29], -v[18:19]
	v_fma_f64 v[28:29], v[12:13], v[28:29], v[116:117]
	v_add_f64 v[105:106], v[105:106], v[118:119]
	v_add_f64 v[14:15], v[16:17], v[14:15]
	s_clause 0x2
	buffer_load_dword v116, off, s[0:3], 0 offset:892
	buffer_load_dword v17, off, s[0:3], 0 offset:868
	;; [unrolled: 1-line block ×3, first 2 shown]
	s_waitcnt vmcnt(58) lgkmcnt(0)
	v_mul_f64 v[117:118], v[6:7], v[24:25]
	v_mul_f64 v[24:25], v[8:9], v[24:25]
	s_waitcnt vmcnt(56)
	v_fma_f64 v[22:23], v[2:3], v[30:31], -v[22:23]
	ds_read_b128 v[10:13], v1 offset:1568
	v_fma_f64 v[30:31], v[4:5], v[30:31], v[121:122]
	v_add_f64 v[18:19], v[105:106], v[18:19]
	v_add_f64 v[14:15], v[14:15], v[28:29]
	s_clause 0x4
	buffer_load_dword v29, off, s[0:3], 0 offset:908
	buffer_load_dword v105, off, s[0:3], 0 offset:920
	;; [unrolled: 1-line block ×5, first 2 shown]
	ds_read_b128 v[2:5], v1 offset:1584
	s_waitcnt vmcnt(57) lgkmcnt(1)
	v_mul_f64 v[123:124], v[10:11], v[32:33]
	v_mul_f64 v[32:33], v[12:13], v[32:33]
	s_waitcnt vmcnt(56)
	v_fma_f64 v[24:25], v[6:7], v[26:27], -v[24:25]
	v_add_f64 v[18:19], v[18:19], v[22:23]
	v_fma_f64 v[22:23], v[8:9], v[26:27], v[117:118]
	v_add_f64 v[14:15], v[14:15], v[30:31]
	s_clause 0x2
	buffer_load_dword v106, off, s[0:3], 0 offset:924
	buffer_load_dword v27, off, s[0:3], 0 offset:900
	;; [unrolled: 1-line block ×3, first 2 shown]
	s_waitcnt vmcnt(58) lgkmcnt(0)
	v_mul_f64 v[30:31], v[2:3], v[34:35]
	v_mul_f64 v[34:35], v[4:5], v[34:35]
	s_waitcnt vmcnt(56)
	v_fma_f64 v[32:33], v[10:11], v[38:39], -v[32:33]
	ds_read_b128 v[6:9], v1 offset:1600
	v_add_f64 v[18:19], v[18:19], v[24:25]
	v_fma_f64 v[24:25], v[12:13], v[38:39], v[123:124]
	v_add_f64 v[14:15], v[14:15], v[22:23]
	buffer_load_dword v123, off, s[0:3], 0 offset:916
	ds_read_b128 v[10:13], v1 offset:1616
	s_waitcnt vmcnt(53) lgkmcnt(1)
	v_mul_f64 v[38:39], v[8:9], v[40:41]
	s_waitcnt vmcnt(52)
	v_fma_f64 v[34:35], v[2:3], v[36:37], -v[34:35]
	v_mul_f64 v[22:23], v[6:7], v[40:41]
	v_fma_f64 v[30:31], v[4:5], v[36:37], v[30:31]
	ds_read_b128 v[2:5], v1 offset:1632
	v_add_f64 v[18:19], v[18:19], v[32:33]
	v_add_f64 v[14:15], v[14:15], v[24:25]
	s_waitcnt vmcnt(51) lgkmcnt(1)
	v_mul_f64 v[32:33], v[12:13], v[42:43]
	v_mul_f64 v[24:25], v[10:11], v[42:43]
	s_waitcnt vmcnt(49)
	v_fma_f64 v[36:37], v[6:7], v[46:47], -v[38:39]
	v_fma_f64 v[22:23], v[8:9], v[46:47], v[22:23]
	s_waitcnt vmcnt(45) lgkmcnt(0)
	v_mul_f64 v[40:41], v[4:5], v[48:49]
	v_mul_f64 v[38:39], v[2:3], v[48:49]
	v_add_f64 v[18:19], v[18:19], v[34:35]
	v_add_f64 v[14:15], v[14:15], v[30:31]
	s_clause 0x3
	buffer_load_dword v30, off, s[0:3], 0 offset:576
	buffer_load_dword v31, off, s[0:3], 0 offset:580
	;; [unrolled: 1-line block ×4, first 2 shown]
	s_waitcnt vmcnt(48)
	v_fma_f64 v[32:33], v[10:11], v[44:45], -v[32:33]
	ds_read_b128 v[6:9], v1 offset:1648
	v_fma_f64 v[24:25], v[12:13], v[44:45], v[24:25]
	ds_read_b128 v[10:13], v1 offset:1664
	s_waitcnt vmcnt(45)
	v_fma_f64 v[40:41], v[2:3], v[54:55], -v[40:41]
	v_add_f64 v[18:19], v[18:19], v[36:37]
	v_add_f64 v[14:15], v[14:15], v[22:23]
	s_waitcnt lgkmcnt(1)
	v_mul_f64 v[36:37], v[8:9], v[50:51]
	v_mul_f64 v[22:23], v[6:7], v[50:51]
	v_add_f64 v[18:19], v[18:19], v[32:33]
	v_fma_f64 v[32:33], v[4:5], v[54:55], v[38:39]
	v_add_f64 v[14:15], v[14:15], v[24:25]
	s_waitcnt vmcnt(41) lgkmcnt(0)
	v_mul_f64 v[38:39], v[12:13], v[56:57]
	s_waitcnt vmcnt(40)
	v_fma_f64 v[36:37], v[6:7], v[52:53], -v[36:37]
	ds_read_b128 v[2:5], v1 offset:1680
	v_mul_f64 v[24:25], v[10:11], v[56:57]
	v_fma_f64 v[22:23], v[8:9], v[52:53], v[22:23]
	ds_read_b128 v[6:9], v1 offset:1696
	v_add_f64 v[18:19], v[18:19], v[40:41]
	v_add_f64 v[14:15], v[14:15], v[32:33]
	s_waitcnt vmcnt(39) lgkmcnt(1)
	v_mul_f64 v[40:41], v[4:5], v[77:78]
	s_waitcnt vmcnt(37)
	v_fma_f64 v[38:39], v[10:11], v[89:90], -v[38:39]
	v_mul_f64 v[32:33], v[2:3], v[77:78]
	v_fma_f64 v[24:25], v[12:13], v[89:90], v[24:25]
	ds_read_b128 v[10:13], v1 offset:1712
	v_add_f64 v[18:19], v[18:19], v[36:37]
	s_waitcnt vmcnt(33) lgkmcnt(1)
	v_mul_f64 v[36:37], v[8:9], v[91:92]
	v_add_f64 v[14:15], v[14:15], v[22:23]
	s_waitcnt vmcnt(32)
	v_fma_f64 v[40:41], v[2:3], v[79:80], -v[40:41]
	v_mul_f64 v[22:23], v[6:7], v[91:92]
	v_fma_f64 v[32:33], v[4:5], v[79:80], v[32:33]
	ds_read_b128 v[2:5], v1 offset:1728
	v_add_f64 v[18:19], v[18:19], v[38:39]
	s_waitcnt vmcnt(31) lgkmcnt(1)
	v_mul_f64 v[38:39], v[12:13], v[99:100]
	v_add_f64 v[14:15], v[14:15], v[24:25]
	;; [unrolled: 9-line block ×3, first 2 shown]
	s_waitcnt vmcnt(24)
	v_fma_f64 v[38:39], v[10:11], v[101:102], -v[38:39]
	v_mul_f64 v[32:33], v[2:3], v[109:110]
	v_fma_f64 v[24:25], v[12:13], v[101:102], v[24:25]
	ds_read_b128 v[10:13], v1 offset:1760
	v_add_f64 v[18:19], v[18:19], v[36:37]
	v_add_f64 v[14:15], v[14:15], v[22:23]
	s_waitcnt vmcnt(23) lgkmcnt(1)
	v_mul_f64 v[36:37], v[8:9], v[111:112]
	v_mul_f64 v[22:23], v[6:7], v[111:112]
	s_waitcnt vmcnt(21)
	v_fma_f64 v[40:41], v[2:3], v[107:108], -v[40:41]
	v_fma_f64 v[32:33], v[4:5], v[107:108], v[32:33]
	ds_read_b128 v[2:5], v1 offset:1776
	v_add_f64 v[18:19], v[18:19], v[38:39]
	v_add_f64 v[14:15], v[14:15], v[24:25]
	s_waitcnt vmcnt(17) lgkmcnt(1)
	v_mul_f64 v[24:25], v[10:11], v[20:21]
	v_mul_f64 v[20:21], v[12:13], v[20:21]
	s_waitcnt vmcnt(16)
	v_fma_f64 v[36:37], v[6:7], v[113:114], -v[36:37]
	;; [unrolled: 9-line block ×3, first 2 shown]
	v_fma_f64 v[16:17], v[12:13], v[16:17], v[24:25]
	ds_read_b128 v[10:13], v1 offset:1808
	v_add_f64 v[18:19], v[18:19], v[36:37]
	v_add_f64 v[14:15], v[14:15], v[22:23]
	s_waitcnt vmcnt(9) lgkmcnt(1)
	v_mul_f64 v[24:25], v[8:9], v[28:29]
	s_waitcnt vmcnt(8)
	v_fma_f64 v[2:3], v[2:3], v[120:121], -v[38:39]
	v_mul_f64 v[22:23], v[6:7], v[28:29]
	v_fma_f64 v[4:5], v[4:5], v[120:121], v[32:33]
	v_add_f64 v[18:19], v[18:19], v[20:21]
	v_add_f64 v[14:15], v[14:15], v[16:17]
	s_waitcnt vmcnt(7) lgkmcnt(0)
	v_mul_f64 v[20:21], v[12:13], v[105:106]
	v_mul_f64 v[16:17], v[10:11], v[105:106]
	s_waitcnt vmcnt(5)
	v_fma_f64 v[6:7], v[6:7], v[26:27], -v[24:25]
	v_fma_f64 v[8:9], v[8:9], v[26:27], v[22:23]
	v_add_f64 v[2:3], v[18:19], v[2:3]
	v_add_f64 v[4:5], v[14:15], v[4:5]
	s_waitcnt vmcnt(4)
	v_fma_f64 v[10:11], v[10:11], v[122:123], -v[20:21]
	v_add_f64 v[2:3], v[2:3], v[6:7]
	v_fma_f64 v[6:7], v[12:13], v[122:123], v[16:17]
	v_add_f64 v[4:5], v[4:5], v[8:9]
	v_add_f64 v[2:3], v[2:3], v[10:11]
	;; [unrolled: 1-line block ×3, first 2 shown]
	s_waitcnt vmcnt(2)
	v_add_f64 v[2:3], v[30:31], -v[2:3]
	s_waitcnt vmcnt(0)
	v_add_f64 v[4:5], v[34:35], -v[4:5]
	buffer_store_dword v3, off, s[0:3], 0 offset:580
	buffer_store_dword v2, off, s[0:3], 0 offset:576
	;; [unrolled: 1-line block ×4, first 2 shown]
	v_cmpx_lt_u32_e32 34, v0
	s_cbranch_execz .LBB56_287
; %bb.286:
	v_mov_b32_e32 v5, s35
	s_clause 0x3
	buffer_load_dword v2, v5, s[0:3], 0 offen
	buffer_load_dword v3, v5, s[0:3], 0 offen offset:4
	buffer_load_dword v4, v5, s[0:3], 0 offen offset:8
	;; [unrolled: 1-line block ×3, first 2 shown]
	buffer_store_dword v1, off, s[0:3], 0 offset:560
	buffer_store_dword v1, off, s[0:3], 0 offset:564
	;; [unrolled: 1-line block ×4, first 2 shown]
	s_waitcnt vmcnt(0)
	ds_write_b128 v59, v[2:5]
.LBB56_287:
	s_or_b32 exec_lo, exec_lo, s4
	s_waitcnt lgkmcnt(0)
	s_waitcnt_vscnt null, 0x0
	s_barrier
	buffer_gl0_inv
	s_clause 0x37
	buffer_load_dword v10, off, s[0:3], 0 offset:584
	buffer_load_dword v11, off, s[0:3], 0 offset:588
	;; [unrolled: 1-line block ×56, first 2 shown]
	ds_read_b128 v[2:5], v1 offset:1472
	s_clause 0x2
	buffer_load_dword v100, off, s[0:3], 0 offset:812
	buffer_load_dword v104, off, s[0:3], 0 offset:788
	;; [unrolled: 1-line block ×3, first 2 shown]
	ds_read_b128 v[6:9], v1 offset:1488
	s_clause 0x4
	buffer_load_dword v110, off, s[0:3], 0 offset:828
	buffer_load_dword v111, off, s[0:3], 0 offset:840
	;; [unrolled: 1-line block ×5, first 2 shown]
	s_mov_b32 s4, exec_lo
	s_waitcnt vmcnt(62) lgkmcnt(1)
	v_mul_f64 v[105:106], v[4:5], v[10:11]
	v_mul_f64 v[107:108], v[2:3], v[10:11]
	s_waitcnt vmcnt(60) lgkmcnt(0)
	v_mul_f64 v[114:115], v[8:9], v[14:15]
	ds_read_b128 v[10:13], v1 offset:1504
	v_mul_f64 v[14:15], v[6:7], v[14:15]
	s_waitcnt vmcnt(58)
	v_fma_f64 v[105:106], v[2:3], v[16:17], -v[105:106]
	v_fma_f64 v[16:17], v[4:5], v[16:17], v[107:108]
	s_clause 0x2
	buffer_load_dword v112, off, s[0:3], 0 offset:844
	buffer_load_dword v108, off, s[0:3], 0 offset:820
	;; [unrolled: 1-line block ×3, first 2 shown]
	s_waitcnt vmcnt(59) lgkmcnt(0)
	v_mul_f64 v[116:117], v[10:11], v[18:19]
	v_mul_f64 v[18:19], v[12:13], v[18:19]
	s_waitcnt vmcnt(57)
	v_fma_f64 v[118:119], v[6:7], v[20:21], -v[114:115]
	ds_read_b128 v[2:5], v1 offset:1520
	v_fma_f64 v[14:15], v[8:9], v[20:21], v[14:15]
	s_clause 0x4
	buffer_load_dword v21, off, s[0:3], 0 offset:860
	buffer_load_dword v115, off, s[0:3], 0 offset:872
	buffer_load_dword v120, off, s[0:3], 0 offset:864
	buffer_load_dword v20, off, s[0:3], 0 offset:856
	buffer_load_dword v114, off, s[0:3], 0 offset:836
	ds_read_b128 v[6:9], v1 offset:1536
	v_add_f64 v[105:106], v[105:106], 0
	v_add_f64 v[16:17], v[16:17], 0
	s_waitcnt vmcnt(58) lgkmcnt(1)
	v_mul_f64 v[121:122], v[2:3], v[22:23]
	v_mul_f64 v[22:23], v[4:5], v[22:23]
	s_waitcnt vmcnt(56)
	v_fma_f64 v[18:19], v[10:11], v[28:29], -v[18:19]
	v_fma_f64 v[28:29], v[12:13], v[28:29], v[116:117]
	v_add_f64 v[105:106], v[105:106], v[118:119]
	v_add_f64 v[14:15], v[16:17], v[14:15]
	s_clause 0x2
	buffer_load_dword v116, off, s[0:3], 0 offset:876
	buffer_load_dword v17, off, s[0:3], 0 offset:852
	buffer_load_dword v16, off, s[0:3], 0 offset:848
	s_waitcnt vmcnt(58) lgkmcnt(0)
	v_mul_f64 v[117:118], v[6:7], v[24:25]
	v_mul_f64 v[24:25], v[8:9], v[24:25]
	s_waitcnt vmcnt(56)
	v_fma_f64 v[22:23], v[2:3], v[30:31], -v[22:23]
	ds_read_b128 v[10:13], v1 offset:1552
	v_fma_f64 v[30:31], v[4:5], v[30:31], v[121:122]
	v_add_f64 v[18:19], v[105:106], v[18:19]
	v_add_f64 v[14:15], v[14:15], v[28:29]
	s_clause 0x4
	buffer_load_dword v29, off, s[0:3], 0 offset:892
	buffer_load_dword v105, off, s[0:3], 0 offset:904
	;; [unrolled: 1-line block ×5, first 2 shown]
	ds_read_b128 v[2:5], v1 offset:1568
	s_waitcnt vmcnt(57) lgkmcnt(1)
	v_mul_f64 v[123:124], v[10:11], v[32:33]
	v_mul_f64 v[32:33], v[12:13], v[32:33]
	s_waitcnt vmcnt(56)
	v_fma_f64 v[24:25], v[6:7], v[26:27], -v[24:25]
	v_add_f64 v[18:19], v[18:19], v[22:23]
	v_fma_f64 v[22:23], v[8:9], v[26:27], v[117:118]
	v_add_f64 v[14:15], v[14:15], v[30:31]
	s_clause 0x2
	buffer_load_dword v106, off, s[0:3], 0 offset:908
	buffer_load_dword v27, off, s[0:3], 0 offset:884
	;; [unrolled: 1-line block ×3, first 2 shown]
	s_waitcnt vmcnt(58) lgkmcnt(0)
	v_mul_f64 v[30:31], v[2:3], v[34:35]
	v_mul_f64 v[34:35], v[4:5], v[34:35]
	s_waitcnt vmcnt(56)
	v_fma_f64 v[32:33], v[10:11], v[38:39], -v[32:33]
	ds_read_b128 v[6:9], v1 offset:1584
	v_add_f64 v[18:19], v[18:19], v[24:25]
	v_fma_f64 v[24:25], v[12:13], v[38:39], v[123:124]
	v_add_f64 v[14:15], v[14:15], v[22:23]
	s_clause 0x2
	buffer_load_dword v23, off, s[0:3], 0 offset:924
	buffer_load_dword v22, off, s[0:3], 0 offset:920
	;; [unrolled: 1-line block ×3, first 2 shown]
	ds_read_b128 v[10:13], v1 offset:1600
	s_waitcnt vmcnt(55) lgkmcnt(1)
	v_mul_f64 v[38:39], v[6:7], v[40:41]
	v_mul_f64 v[40:41], v[8:9], v[40:41]
	s_waitcnt vmcnt(54)
	v_fma_f64 v[34:35], v[2:3], v[36:37], -v[34:35]
	v_fma_f64 v[30:31], v[4:5], v[36:37], v[30:31]
	v_add_f64 v[18:19], v[18:19], v[32:33]
	v_add_f64 v[14:15], v[14:15], v[24:25]
	s_clause 0x1
	buffer_load_dword v25, off, s[0:3], 0 offset:916
	buffer_load_dword v24, off, s[0:3], 0 offset:912
	s_waitcnt vmcnt(55) lgkmcnt(0)
	v_mul_f64 v[36:37], v[12:13], v[42:43]
	ds_read_b128 v[2:5], v1 offset:1616
	s_waitcnt vmcnt(53)
	v_fma_f64 v[40:41], v[6:7], v[46:47], -v[40:41]
	v_mul_f64 v[32:33], v[10:11], v[42:43]
	v_add_f64 v[18:19], v[18:19], v[34:35]
	v_fma_f64 v[34:35], v[8:9], v[46:47], v[38:39]
	v_add_f64 v[14:15], v[14:15], v[30:31]
	ds_read_b128 v[6:9], v1 offset:1632
	s_waitcnt vmcnt(49) lgkmcnt(1)
	v_mul_f64 v[38:39], v[4:5], v[48:49]
	s_waitcnt vmcnt(48)
	v_fma_f64 v[36:37], v[10:11], v[44:45], -v[36:37]
	v_mul_f64 v[30:31], v[2:3], v[48:49]
	v_fma_f64 v[32:33], v[12:13], v[44:45], v[32:33]
	v_add_f64 v[18:19], v[18:19], v[40:41]
	s_waitcnt vmcnt(47) lgkmcnt(0)
	v_mul_f64 v[44:45], v[8:9], v[50:51]
	v_add_f64 v[14:15], v[14:15], v[34:35]
	s_clause 0x3
	buffer_load_dword v34, off, s[0:3], 0 offset:560
	buffer_load_dword v35, off, s[0:3], 0 offset:564
	;; [unrolled: 1-line block ×4, first 2 shown]
	s_waitcnt vmcnt(49)
	v_fma_f64 v[38:39], v[2:3], v[54:55], -v[38:39]
	ds_read_b128 v[10:13], v1 offset:1648
	v_mul_f64 v[42:43], v[6:7], v[50:51]
	v_fma_f64 v[30:31], v[4:5], v[54:55], v[30:31]
	ds_read_b128 v[2:5], v1 offset:1664
	v_add_f64 v[18:19], v[18:19], v[36:37]
	s_waitcnt vmcnt(44)
	v_fma_f64 v[44:45], v[6:7], v[52:53], -v[44:45]
	v_add_f64 v[14:15], v[14:15], v[32:33]
	s_waitcnt lgkmcnt(1)
	v_mul_f64 v[36:37], v[12:13], v[56:57]
	v_mul_f64 v[32:33], v[10:11], v[56:57]
	v_add_f64 v[18:19], v[18:19], v[38:39]
	v_fma_f64 v[38:39], v[8:9], v[52:53], v[42:43]
	v_add_f64 v[14:15], v[14:15], v[30:31]
	s_waitcnt vmcnt(43) lgkmcnt(0)
	v_mul_f64 v[42:43], v[4:5], v[77:78]
	s_waitcnt vmcnt(41)
	v_fma_f64 v[36:37], v[10:11], v[89:90], -v[36:37]
	ds_read_b128 v[6:9], v1 offset:1680
	v_mul_f64 v[30:31], v[2:3], v[77:78]
	v_fma_f64 v[32:33], v[12:13], v[89:90], v[32:33]
	ds_read_b128 v[10:13], v1 offset:1696
	v_add_f64 v[18:19], v[18:19], v[44:45]
	v_add_f64 v[14:15], v[14:15], v[38:39]
	s_waitcnt vmcnt(37) lgkmcnt(1)
	v_mul_f64 v[44:45], v[8:9], v[91:92]
	s_waitcnt vmcnt(36)
	v_fma_f64 v[42:43], v[2:3], v[79:80], -v[42:43]
	v_mul_f64 v[38:39], v[6:7], v[91:92]
	v_fma_f64 v[30:31], v[4:5], v[79:80], v[30:31]
	ds_read_b128 v[2:5], v1 offset:1712
	v_add_f64 v[18:19], v[18:19], v[36:37]
	s_waitcnt vmcnt(35) lgkmcnt(1)
	v_mul_f64 v[36:37], v[12:13], v[99:100]
	v_add_f64 v[14:15], v[14:15], v[32:33]
	s_waitcnt vmcnt(33)
	v_fma_f64 v[44:45], v[6:7], v[103:104], -v[44:45]
	v_mul_f64 v[32:33], v[10:11], v[99:100]
	v_fma_f64 v[38:39], v[8:9], v[103:104], v[38:39]
	ds_read_b128 v[6:9], v1 offset:1728
	v_add_f64 v[18:19], v[18:19], v[42:43]
	s_waitcnt vmcnt(29) lgkmcnt(1)
	v_mul_f64 v[42:43], v[4:5], v[109:110]
	v_add_f64 v[14:15], v[14:15], v[30:31]
	s_waitcnt vmcnt(28)
	v_fma_f64 v[36:37], v[10:11], v[101:102], -v[36:37]
	v_mul_f64 v[30:31], v[2:3], v[109:110]
	v_fma_f64 v[32:33], v[12:13], v[101:102], v[32:33]
	ds_read_b128 v[10:13], v1 offset:1744
	v_add_f64 v[18:19], v[18:19], v[44:45]
	v_add_f64 v[14:15], v[14:15], v[38:39]
	s_waitcnt vmcnt(27) lgkmcnt(1)
	v_mul_f64 v[44:45], v[8:9], v[111:112]
	v_mul_f64 v[38:39], v[6:7], v[111:112]
	s_waitcnt vmcnt(25)
	v_fma_f64 v[42:43], v[2:3], v[107:108], -v[42:43]
	v_fma_f64 v[30:31], v[4:5], v[107:108], v[30:31]
	ds_read_b128 v[2:5], v1 offset:1760
	v_add_f64 v[18:19], v[18:19], v[36:37]
	v_add_f64 v[14:15], v[14:15], v[32:33]
	s_waitcnt vmcnt(21) lgkmcnt(1)
	v_mul_f64 v[32:33], v[10:11], v[20:21]
	v_mul_f64 v[20:21], v[12:13], v[20:21]
	s_waitcnt vmcnt(20)
	v_fma_f64 v[36:37], v[6:7], v[113:114], -v[44:45]
	;; [unrolled: 9-line block ×4, first 2 shown]
	v_add_f64 v[18:19], v[18:19], v[20:21]
	v_fma_f64 v[20:21], v[4:5], v[120:121], v[30:31]
	v_add_f64 v[14:15], v[14:15], v[16:17]
	ds_read_b128 v[1:4], v1 offset:1808
	s_waitcnt vmcnt(11) lgkmcnt(1)
	v_mul_f64 v[30:31], v[12:13], v[105:106]
	v_mul_f64 v[16:17], v[10:11], v[105:106]
	s_waitcnt vmcnt(9)
	v_fma_f64 v[5:6], v[6:7], v[26:27], -v[28:29]
	v_fma_f64 v[7:8], v[8:9], v[26:27], v[32:33]
	v_add_f64 v[18:19], v[18:19], v[36:37]
	v_add_f64 v[14:15], v[14:15], v[20:21]
	s_waitcnt vmcnt(7) lgkmcnt(0)
	v_mul_f64 v[20:21], v[1:2], v[22:23]
	v_mul_f64 v[22:23], v[3:4], v[22:23]
	s_waitcnt vmcnt(6)
	v_fma_f64 v[9:10], v[10:11], v[122:123], -v[30:31]
	v_fma_f64 v[11:12], v[12:13], v[122:123], v[16:17]
	v_add_f64 v[5:6], v[18:19], v[5:6]
	v_add_f64 v[7:8], v[14:15], v[7:8]
	s_waitcnt vmcnt(4)
	v_fma_f64 v[1:2], v[1:2], v[24:25], -v[22:23]
	v_fma_f64 v[3:4], v[3:4], v[24:25], v[20:21]
	v_add_f64 v[5:6], v[5:6], v[9:10]
	v_add_f64 v[7:8], v[7:8], v[11:12]
	v_add_f64 v[1:2], v[5:6], v[1:2]
	v_add_f64 v[3:4], v[7:8], v[3:4]
	s_waitcnt vmcnt(2)
	v_add_f64 v[1:2], v[34:35], -v[1:2]
	s_waitcnt vmcnt(0)
	v_add_f64 v[3:4], v[40:41], -v[3:4]
	buffer_store_dword v2, off, s[0:3], 0 offset:564
	buffer_store_dword v1, off, s[0:3], 0 offset:560
	;; [unrolled: 1-line block ×4, first 2 shown]
	v_cmpx_lt_u32_e32 33, v0
	s_cbranch_execz .LBB56_289
; %bb.288:
	v_mov_b32_e32 v4, s36
	v_mov_b32_e32 v5, 0
	s_clause 0x3
	buffer_load_dword v1, v4, s[0:3], 0 offen
	buffer_load_dword v2, v4, s[0:3], 0 offen offset:4
	buffer_load_dword v3, v4, s[0:3], 0 offen offset:8
	;; [unrolled: 1-line block ×3, first 2 shown]
	buffer_store_dword v5, off, s[0:3], 0 offset:544
	buffer_store_dword v5, off, s[0:3], 0 offset:548
	;; [unrolled: 1-line block ×4, first 2 shown]
	s_waitcnt vmcnt(0)
	ds_write_b128 v59, v[1:4]
.LBB56_289:
	s_or_b32 exec_lo, exec_lo, s4
	s_waitcnt lgkmcnt(0)
	s_waitcnt_vscnt null, 0x0
	s_barrier
	buffer_gl0_inv
	s_clause 0x37
	buffer_load_dword v10, off, s[0:3], 0 offset:568
	buffer_load_dword v11, off, s[0:3], 0 offset:572
	buffer_load_dword v14, off, s[0:3], 0 offset:584
	buffer_load_dword v15, off, s[0:3], 0 offset:588
	buffer_load_dword v16, off, s[0:3], 0 offset:560
	buffer_load_dword v17, off, s[0:3], 0 offset:564
	buffer_load_dword v18, off, s[0:3], 0 offset:600
	buffer_load_dword v19, off, s[0:3], 0 offset:604
	buffer_load_dword v20, off, s[0:3], 0 offset:576
	buffer_load_dword v21, off, s[0:3], 0 offset:580
	buffer_load_dword v23, off, s[0:3], 0 offset:620
	buffer_load_dword v24, off, s[0:3], 0 offset:632
	buffer_load_dword v26, off, s[0:3], 0 offset:624
	buffer_load_dword v22, off, s[0:3], 0 offset:616
	buffer_load_dword v28, off, s[0:3], 0 offset:592
	buffer_load_dword v29, off, s[0:3], 0 offset:596
	buffer_load_dword v25, off, s[0:3], 0 offset:636
	buffer_load_dword v31, off, s[0:3], 0 offset:612
	buffer_load_dword v30, off, s[0:3], 0 offset:608
	buffer_load_dword v33, off, s[0:3], 0 offset:652
	buffer_load_dword v34, off, s[0:3], 0 offset:664
	buffer_load_dword v36, off, s[0:3], 0 offset:656
	buffer_load_dword v32, off, s[0:3], 0 offset:648
	buffer_load_dword v27, off, s[0:3], 0 offset:628
	buffer_load_dword v35, off, s[0:3], 0 offset:668
	buffer_load_dword v39, off, s[0:3], 0 offset:644
	buffer_load_dword v38, off, s[0:3], 0 offset:640
	buffer_load_dword v41, off, s[0:3], 0 offset:684
	buffer_load_dword v42, off, s[0:3], 0 offset:696
	buffer_load_dword v44, off, s[0:3], 0 offset:688
	buffer_load_dword v40, off, s[0:3], 0 offset:680
	buffer_load_dword v37, off, s[0:3], 0 offset:660
	buffer_load_dword v43, off, s[0:3], 0 offset:700
	buffer_load_dword v47, off, s[0:3], 0 offset:676
	buffer_load_dword v46, off, s[0:3], 0 offset:672
	buffer_load_dword v49, off, s[0:3], 0 offset:716
	buffer_load_dword v50, off, s[0:3], 0 offset:728
	buffer_load_dword v52, off, s[0:3], 0 offset:720
	buffer_load_dword v48, off, s[0:3], 0 offset:712
	buffer_load_dword v45, off, s[0:3], 0 offset:692
	buffer_load_dword v51, off, s[0:3], 0 offset:732
	buffer_load_dword v55, off, s[0:3], 0 offset:708
	buffer_load_dword v54, off, s[0:3], 0 offset:704
	buffer_load_dword v57, off, s[0:3], 0 offset:748
	buffer_load_dword v77, off, s[0:3], 0 offset:760
	buffer_load_dword v79, off, s[0:3], 0 offset:752
	buffer_load_dword v56, off, s[0:3], 0 offset:744
	buffer_load_dword v53, off, s[0:3], 0 offset:724
	buffer_load_dword v78, off, s[0:3], 0 offset:764
	buffer_load_dword v90, off, s[0:3], 0 offset:740
	buffer_load_dword v89, off, s[0:3], 0 offset:736
	buffer_load_dword v92, off, s[0:3], 0 offset:780
	buffer_load_dword v99, off, s[0:3], 0 offset:792
	buffer_load_dword v101, off, s[0:3], 0 offset:784
	buffer_load_dword v91, off, s[0:3], 0 offset:776
	buffer_load_dword v80, off, s[0:3], 0 offset:756
	v_mov_b32_e32 v1, 0
	s_mov_b32 s4, exec_lo
	ds_read_b128 v[2:5], v1 offset:1456
	s_clause 0x2
	buffer_load_dword v100, off, s[0:3], 0 offset:796
	buffer_load_dword v104, off, s[0:3], 0 offset:772
	;; [unrolled: 1-line block ×3, first 2 shown]
	ds_read_b128 v[6:9], v1 offset:1472
	s_clause 0x4
	buffer_load_dword v110, off, s[0:3], 0 offset:812
	buffer_load_dword v111, off, s[0:3], 0 offset:824
	;; [unrolled: 1-line block ×5, first 2 shown]
	s_waitcnt vmcnt(62) lgkmcnt(1)
	v_mul_f64 v[105:106], v[4:5], v[10:11]
	v_mul_f64 v[107:108], v[2:3], v[10:11]
	s_waitcnt vmcnt(60) lgkmcnt(0)
	v_mul_f64 v[114:115], v[8:9], v[14:15]
	ds_read_b128 v[10:13], v1 offset:1488
	v_mul_f64 v[14:15], v[6:7], v[14:15]
	s_waitcnt vmcnt(58)
	v_fma_f64 v[105:106], v[2:3], v[16:17], -v[105:106]
	v_fma_f64 v[16:17], v[4:5], v[16:17], v[107:108]
	s_clause 0x2
	buffer_load_dword v112, off, s[0:3], 0 offset:828
	buffer_load_dword v108, off, s[0:3], 0 offset:804
	;; [unrolled: 1-line block ×3, first 2 shown]
	s_waitcnt vmcnt(59) lgkmcnt(0)
	v_mul_f64 v[116:117], v[10:11], v[18:19]
	v_mul_f64 v[18:19], v[12:13], v[18:19]
	s_waitcnt vmcnt(57)
	v_fma_f64 v[118:119], v[6:7], v[20:21], -v[114:115]
	ds_read_b128 v[2:5], v1 offset:1504
	v_fma_f64 v[14:15], v[8:9], v[20:21], v[14:15]
	s_clause 0x4
	buffer_load_dword v21, off, s[0:3], 0 offset:844
	buffer_load_dword v115, off, s[0:3], 0 offset:856
	;; [unrolled: 1-line block ×5, first 2 shown]
	ds_read_b128 v[6:9], v1 offset:1520
	v_add_f64 v[105:106], v[105:106], 0
	v_add_f64 v[16:17], v[16:17], 0
	s_waitcnt vmcnt(58) lgkmcnt(1)
	v_mul_f64 v[121:122], v[2:3], v[22:23]
	v_mul_f64 v[22:23], v[4:5], v[22:23]
	s_waitcnt vmcnt(56)
	v_fma_f64 v[18:19], v[10:11], v[28:29], -v[18:19]
	v_fma_f64 v[28:29], v[12:13], v[28:29], v[116:117]
	v_add_f64 v[105:106], v[105:106], v[118:119]
	v_add_f64 v[14:15], v[16:17], v[14:15]
	s_clause 0x2
	buffer_load_dword v116, off, s[0:3], 0 offset:860
	buffer_load_dword v17, off, s[0:3], 0 offset:836
	;; [unrolled: 1-line block ×3, first 2 shown]
	s_waitcnt vmcnt(58) lgkmcnt(0)
	v_mul_f64 v[117:118], v[6:7], v[24:25]
	v_mul_f64 v[24:25], v[8:9], v[24:25]
	s_waitcnt vmcnt(56)
	v_fma_f64 v[22:23], v[2:3], v[30:31], -v[22:23]
	ds_read_b128 v[10:13], v1 offset:1536
	v_fma_f64 v[30:31], v[4:5], v[30:31], v[121:122]
	v_add_f64 v[18:19], v[105:106], v[18:19]
	v_add_f64 v[14:15], v[14:15], v[28:29]
	s_clause 0x4
	buffer_load_dword v29, off, s[0:3], 0 offset:876
	buffer_load_dword v105, off, s[0:3], 0 offset:888
	;; [unrolled: 1-line block ×5, first 2 shown]
	ds_read_b128 v[2:5], v1 offset:1552
	s_waitcnt vmcnt(57) lgkmcnt(1)
	v_mul_f64 v[123:124], v[10:11], v[32:33]
	v_mul_f64 v[32:33], v[12:13], v[32:33]
	s_waitcnt vmcnt(56)
	v_fma_f64 v[24:25], v[6:7], v[26:27], -v[24:25]
	v_add_f64 v[18:19], v[18:19], v[22:23]
	v_fma_f64 v[22:23], v[8:9], v[26:27], v[117:118]
	v_add_f64 v[14:15], v[14:15], v[30:31]
	s_clause 0x2
	buffer_load_dword v106, off, s[0:3], 0 offset:892
	buffer_load_dword v27, off, s[0:3], 0 offset:868
	;; [unrolled: 1-line block ×3, first 2 shown]
	s_waitcnt vmcnt(58) lgkmcnt(0)
	v_mul_f64 v[30:31], v[2:3], v[34:35]
	v_mul_f64 v[34:35], v[4:5], v[34:35]
	s_waitcnt vmcnt(56)
	v_fma_f64 v[32:33], v[10:11], v[38:39], -v[32:33]
	ds_read_b128 v[6:9], v1 offset:1568
	v_add_f64 v[18:19], v[18:19], v[24:25]
	v_fma_f64 v[24:25], v[12:13], v[38:39], v[123:124]
	v_add_f64 v[14:15], v[14:15], v[22:23]
	s_clause 0x4
	buffer_load_dword v23, off, s[0:3], 0 offset:908
	buffer_load_dword v38, off, s[0:3], 0 offset:920
	;; [unrolled: 1-line block ×5, first 2 shown]
	ds_read_b128 v[10:13], v1 offset:1584
	s_waitcnt vmcnt(57) lgkmcnt(1)
	v_mul_f64 v[118:119], v[6:7], v[40:41]
	v_mul_f64 v[40:41], v[8:9], v[40:41]
	s_waitcnt vmcnt(56)
	v_fma_f64 v[34:35], v[2:3], v[36:37], -v[34:35]
	v_fma_f64 v[30:31], v[4:5], v[36:37], v[30:31]
	v_add_f64 v[18:19], v[18:19], v[32:33]
	v_add_f64 v[14:15], v[14:15], v[24:25]
	s_clause 0x2
	buffer_load_dword v39, off, s[0:3], 0 offset:924
	buffer_load_dword v25, off, s[0:3], 0 offset:900
	;; [unrolled: 1-line block ×3, first 2 shown]
	s_waitcnt vmcnt(58) lgkmcnt(0)
	v_mul_f64 v[36:37], v[12:13], v[42:43]
	ds_read_b128 v[2:5], v1 offset:1600
	s_waitcnt vmcnt(56)
	v_fma_f64 v[40:41], v[6:7], v[46:47], -v[40:41]
	v_mul_f64 v[32:33], v[10:11], v[42:43]
	v_add_f64 v[18:19], v[18:19], v[34:35]
	v_fma_f64 v[34:35], v[8:9], v[46:47], v[118:119]
	v_add_f64 v[14:15], v[14:15], v[30:31]
	buffer_load_dword v118, off, s[0:3], 0 offset:916
	ds_read_b128 v[6:9], v1 offset:1616
	s_waitcnt vmcnt(53) lgkmcnt(1)
	v_mul_f64 v[42:43], v[4:5], v[48:49]
	s_waitcnt vmcnt(52)
	v_fma_f64 v[36:37], v[10:11], v[44:45], -v[36:37]
	v_mul_f64 v[30:31], v[2:3], v[48:49]
	v_fma_f64 v[32:33], v[12:13], v[44:45], v[32:33]
	ds_read_b128 v[10:13], v1 offset:1632
	v_add_f64 v[18:19], v[18:19], v[40:41]
	v_add_f64 v[14:15], v[14:15], v[34:35]
	s_waitcnt vmcnt(51) lgkmcnt(1)
	v_mul_f64 v[40:41], v[8:9], v[50:51]
	v_mul_f64 v[34:35], v[6:7], v[50:51]
	s_waitcnt vmcnt(49)
	v_fma_f64 v[42:43], v[2:3], v[54:55], -v[42:43]
	v_fma_f64 v[30:31], v[4:5], v[54:55], v[30:31]
	s_waitcnt vmcnt(45) lgkmcnt(0)
	v_mul_f64 v[46:47], v[12:13], v[56:57]
	v_mul_f64 v[44:45], v[10:11], v[56:57]
	v_add_f64 v[18:19], v[18:19], v[36:37]
	v_add_f64 v[14:15], v[14:15], v[32:33]
	s_clause 0x3
	buffer_load_dword v32, off, s[0:3], 0 offset:544
	buffer_load_dword v33, off, s[0:3], 0 offset:548
	;; [unrolled: 1-line block ×4, first 2 shown]
	s_waitcnt vmcnt(48)
	v_fma_f64 v[40:41], v[6:7], v[52:53], -v[40:41]
	ds_read_b128 v[2:5], v1 offset:1648
	v_fma_f64 v[34:35], v[8:9], v[52:53], v[34:35]
	ds_read_b128 v[6:9], v1 offset:1664
	s_waitcnt vmcnt(45)
	v_fma_f64 v[46:47], v[10:11], v[89:90], -v[46:47]
	v_add_f64 v[18:19], v[18:19], v[42:43]
	v_add_f64 v[14:15], v[14:15], v[30:31]
	s_waitcnt lgkmcnt(1)
	v_mul_f64 v[42:43], v[4:5], v[77:78]
	v_mul_f64 v[30:31], v[2:3], v[77:78]
	v_add_f64 v[18:19], v[18:19], v[40:41]
	v_fma_f64 v[40:41], v[12:13], v[89:90], v[44:45]
	v_add_f64 v[14:15], v[14:15], v[34:35]
	s_waitcnt vmcnt(41) lgkmcnt(0)
	v_mul_f64 v[44:45], v[8:9], v[91:92]
	s_waitcnt vmcnt(40)
	v_fma_f64 v[42:43], v[2:3], v[79:80], -v[42:43]
	ds_read_b128 v[10:13], v1 offset:1680
	v_mul_f64 v[34:35], v[6:7], v[91:92]
	v_fma_f64 v[30:31], v[4:5], v[79:80], v[30:31]
	ds_read_b128 v[2:5], v1 offset:1696
	v_add_f64 v[18:19], v[18:19], v[46:47]
	v_add_f64 v[14:15], v[14:15], v[40:41]
	s_waitcnt vmcnt(39) lgkmcnt(1)
	v_mul_f64 v[46:47], v[12:13], v[99:100]
	s_waitcnt vmcnt(37)
	v_fma_f64 v[44:45], v[6:7], v[103:104], -v[44:45]
	v_mul_f64 v[40:41], v[10:11], v[99:100]
	v_fma_f64 v[34:35], v[8:9], v[103:104], v[34:35]
	ds_read_b128 v[6:9], v1 offset:1712
	v_add_f64 v[18:19], v[18:19], v[42:43]
	s_waitcnt vmcnt(33) lgkmcnt(1)
	v_mul_f64 v[42:43], v[4:5], v[109:110]
	v_add_f64 v[14:15], v[14:15], v[30:31]
	s_waitcnt vmcnt(32)
	v_fma_f64 v[46:47], v[10:11], v[101:102], -v[46:47]
	v_mul_f64 v[30:31], v[2:3], v[109:110]
	v_fma_f64 v[40:41], v[12:13], v[101:102], v[40:41]
	ds_read_b128 v[10:13], v1 offset:1728
	v_add_f64 v[18:19], v[18:19], v[44:45]
	v_add_f64 v[14:15], v[14:15], v[34:35]
	s_waitcnt vmcnt(31) lgkmcnt(1)
	v_mul_f64 v[44:45], v[8:9], v[111:112]
	v_mul_f64 v[34:35], v[6:7], v[111:112]
	s_waitcnt vmcnt(29)
	v_fma_f64 v[42:43], v[2:3], v[107:108], -v[42:43]
	v_fma_f64 v[30:31], v[4:5], v[107:108], v[30:31]
	ds_read_b128 v[2:5], v1 offset:1744
	v_add_f64 v[18:19], v[18:19], v[46:47]
	v_add_f64 v[14:15], v[14:15], v[40:41]
	s_waitcnt vmcnt(25) lgkmcnt(1)
	v_mul_f64 v[40:41], v[10:11], v[20:21]
	v_mul_f64 v[20:21], v[12:13], v[20:21]
	s_waitcnt vmcnt(24)
	v_fma_f64 v[44:45], v[6:7], v[113:114], -v[44:45]
	;; [unrolled: 9-line block ×4, first 2 shown]
	v_add_f64 v[18:19], v[18:19], v[20:21]
	v_fma_f64 v[20:21], v[4:5], v[120:121], v[30:31]
	v_add_f64 v[14:15], v[14:15], v[16:17]
	ds_read_b128 v[2:5], v1 offset:1792
	s_waitcnt vmcnt(15) lgkmcnt(1)
	v_mul_f64 v[30:31], v[12:13], v[105:106]
	v_mul_f64 v[16:17], v[10:11], v[105:106]
	s_waitcnt vmcnt(13)
	v_fma_f64 v[28:29], v[6:7], v[26:27], -v[28:29]
	v_fma_f64 v[26:27], v[8:9], v[26:27], v[34:35]
	ds_read_b128 v[6:9], v1 offset:1808
	v_add_f64 v[18:19], v[18:19], v[40:41]
	v_add_f64 v[14:15], v[14:15], v[20:21]
	s_waitcnt vmcnt(9) lgkmcnt(1)
	v_mul_f64 v[20:21], v[2:3], v[22:23]
	v_mul_f64 v[22:23], v[4:5], v[22:23]
	s_waitcnt vmcnt(8)
	v_fma_f64 v[10:11], v[10:11], v[122:123], -v[30:31]
	v_fma_f64 v[12:13], v[12:13], v[122:123], v[16:17]
	v_add_f64 v[18:19], v[18:19], v[28:29]
	v_add_f64 v[14:15], v[14:15], v[26:27]
	s_waitcnt vmcnt(7) lgkmcnt(0)
	v_mul_f64 v[26:27], v[8:9], v[38:39]
	v_mul_f64 v[16:17], v[6:7], v[38:39]
	s_waitcnt vmcnt(5)
	v_fma_f64 v[2:3], v[2:3], v[24:25], -v[22:23]
	v_fma_f64 v[4:5], v[4:5], v[24:25], v[20:21]
	v_add_f64 v[10:11], v[18:19], v[10:11]
	v_add_f64 v[12:13], v[14:15], v[12:13]
	s_waitcnt vmcnt(4)
	v_fma_f64 v[6:7], v[6:7], v[117:118], -v[26:27]
	v_fma_f64 v[8:9], v[8:9], v[117:118], v[16:17]
	v_add_f64 v[2:3], v[10:11], v[2:3]
	v_add_f64 v[4:5], v[12:13], v[4:5]
	v_add_f64 v[2:3], v[2:3], v[6:7]
	v_add_f64 v[4:5], v[4:5], v[8:9]
	s_waitcnt vmcnt(2)
	v_add_f64 v[2:3], v[32:33], -v[2:3]
	s_waitcnt vmcnt(0)
	v_add_f64 v[4:5], v[36:37], -v[4:5]
	buffer_store_dword v3, off, s[0:3], 0 offset:548
	buffer_store_dword v2, off, s[0:3], 0 offset:544
	;; [unrolled: 1-line block ×4, first 2 shown]
	v_cmpx_lt_u32_e32 32, v0
	s_cbranch_execz .LBB56_291
; %bb.290:
	v_mov_b32_e32 v5, s37
	s_clause 0x3
	buffer_load_dword v2, v5, s[0:3], 0 offen
	buffer_load_dword v3, v5, s[0:3], 0 offen offset:4
	buffer_load_dword v4, v5, s[0:3], 0 offen offset:8
	;; [unrolled: 1-line block ×3, first 2 shown]
	buffer_store_dword v1, off, s[0:3], 0 offset:528
	buffer_store_dword v1, off, s[0:3], 0 offset:532
	;; [unrolled: 1-line block ×4, first 2 shown]
	s_waitcnt vmcnt(0)
	ds_write_b128 v59, v[2:5]
.LBB56_291:
	s_or_b32 exec_lo, exec_lo, s4
	s_waitcnt lgkmcnt(0)
	s_waitcnt_vscnt null, 0x0
	s_barrier
	buffer_gl0_inv
	s_clause 0x37
	buffer_load_dword v10, off, s[0:3], 0 offset:552
	buffer_load_dword v11, off, s[0:3], 0 offset:556
	;; [unrolled: 1-line block ×56, first 2 shown]
	ds_read_b128 v[2:5], v1 offset:1440
	s_clause 0x2
	buffer_load_dword v100, off, s[0:3], 0 offset:780
	buffer_load_dword v104, off, s[0:3], 0 offset:756
	;; [unrolled: 1-line block ×3, first 2 shown]
	ds_read_b128 v[6:9], v1 offset:1456
	s_clause 0x4
	buffer_load_dword v110, off, s[0:3], 0 offset:796
	buffer_load_dword v111, off, s[0:3], 0 offset:808
	;; [unrolled: 1-line block ×5, first 2 shown]
	s_mov_b32 s4, exec_lo
	s_waitcnt vmcnt(62) lgkmcnt(1)
	v_mul_f64 v[105:106], v[4:5], v[10:11]
	v_mul_f64 v[107:108], v[2:3], v[10:11]
	s_waitcnt vmcnt(60) lgkmcnt(0)
	v_mul_f64 v[114:115], v[8:9], v[14:15]
	ds_read_b128 v[10:13], v1 offset:1472
	v_mul_f64 v[14:15], v[6:7], v[14:15]
	s_waitcnt vmcnt(58)
	v_fma_f64 v[105:106], v[2:3], v[16:17], -v[105:106]
	v_fma_f64 v[16:17], v[4:5], v[16:17], v[107:108]
	s_clause 0x2
	buffer_load_dword v112, off, s[0:3], 0 offset:812
	buffer_load_dword v108, off, s[0:3], 0 offset:788
	;; [unrolled: 1-line block ×3, first 2 shown]
	s_waitcnt vmcnt(59) lgkmcnt(0)
	v_mul_f64 v[116:117], v[10:11], v[18:19]
	v_mul_f64 v[18:19], v[12:13], v[18:19]
	s_waitcnt vmcnt(57)
	v_fma_f64 v[118:119], v[6:7], v[20:21], -v[114:115]
	ds_read_b128 v[2:5], v1 offset:1488
	v_fma_f64 v[14:15], v[8:9], v[20:21], v[14:15]
	s_clause 0x4
	buffer_load_dword v21, off, s[0:3], 0 offset:828
	buffer_load_dword v115, off, s[0:3], 0 offset:840
	;; [unrolled: 1-line block ×5, first 2 shown]
	ds_read_b128 v[6:9], v1 offset:1504
	v_add_f64 v[105:106], v[105:106], 0
	v_add_f64 v[16:17], v[16:17], 0
	s_waitcnt vmcnt(58) lgkmcnt(1)
	v_mul_f64 v[121:122], v[2:3], v[22:23]
	v_mul_f64 v[22:23], v[4:5], v[22:23]
	s_waitcnt vmcnt(56)
	v_fma_f64 v[18:19], v[10:11], v[28:29], -v[18:19]
	v_fma_f64 v[28:29], v[12:13], v[28:29], v[116:117]
	v_add_f64 v[105:106], v[105:106], v[118:119]
	v_add_f64 v[14:15], v[16:17], v[14:15]
	s_clause 0x2
	buffer_load_dword v116, off, s[0:3], 0 offset:844
	buffer_load_dword v17, off, s[0:3], 0 offset:820
	;; [unrolled: 1-line block ×3, first 2 shown]
	s_waitcnt vmcnt(58) lgkmcnt(0)
	v_mul_f64 v[117:118], v[6:7], v[24:25]
	v_mul_f64 v[24:25], v[8:9], v[24:25]
	s_waitcnt vmcnt(56)
	v_fma_f64 v[22:23], v[2:3], v[30:31], -v[22:23]
	ds_read_b128 v[10:13], v1 offset:1520
	v_fma_f64 v[30:31], v[4:5], v[30:31], v[121:122]
	v_add_f64 v[18:19], v[105:106], v[18:19]
	v_add_f64 v[14:15], v[14:15], v[28:29]
	s_clause 0x4
	buffer_load_dword v29, off, s[0:3], 0 offset:860
	buffer_load_dword v105, off, s[0:3], 0 offset:872
	buffer_load_dword v122, off, s[0:3], 0 offset:864
	buffer_load_dword v28, off, s[0:3], 0 offset:856
	buffer_load_dword v121, off, s[0:3], 0 offset:836
	ds_read_b128 v[2:5], v1 offset:1536
	s_waitcnt vmcnt(57) lgkmcnt(1)
	v_mul_f64 v[123:124], v[10:11], v[32:33]
	v_mul_f64 v[32:33], v[12:13], v[32:33]
	s_waitcnt vmcnt(56)
	v_fma_f64 v[24:25], v[6:7], v[26:27], -v[24:25]
	v_add_f64 v[18:19], v[18:19], v[22:23]
	v_fma_f64 v[22:23], v[8:9], v[26:27], v[117:118]
	v_add_f64 v[14:15], v[14:15], v[30:31]
	s_clause 0x2
	buffer_load_dword v106, off, s[0:3], 0 offset:876
	buffer_load_dword v27, off, s[0:3], 0 offset:852
	;; [unrolled: 1-line block ×3, first 2 shown]
	s_waitcnt vmcnt(58) lgkmcnt(0)
	v_mul_f64 v[30:31], v[2:3], v[34:35]
	v_mul_f64 v[34:35], v[4:5], v[34:35]
	s_waitcnt vmcnt(56)
	v_fma_f64 v[32:33], v[10:11], v[38:39], -v[32:33]
	ds_read_b128 v[6:9], v1 offset:1552
	v_add_f64 v[18:19], v[18:19], v[24:25]
	v_fma_f64 v[24:25], v[12:13], v[38:39], v[123:124]
	v_add_f64 v[14:15], v[14:15], v[22:23]
	s_clause 0x4
	buffer_load_dword v23, off, s[0:3], 0 offset:892
	buffer_load_dword v38, off, s[0:3], 0 offset:904
	;; [unrolled: 1-line block ×5, first 2 shown]
	ds_read_b128 v[10:13], v1 offset:1568
	s_waitcnt vmcnt(57) lgkmcnt(1)
	v_mul_f64 v[118:119], v[6:7], v[40:41]
	v_mul_f64 v[40:41], v[8:9], v[40:41]
	s_waitcnt vmcnt(56)
	v_fma_f64 v[34:35], v[2:3], v[36:37], -v[34:35]
	v_fma_f64 v[30:31], v[4:5], v[36:37], v[30:31]
	v_add_f64 v[18:19], v[18:19], v[32:33]
	v_add_f64 v[14:15], v[14:15], v[24:25]
	s_clause 0x2
	buffer_load_dword v39, off, s[0:3], 0 offset:908
	buffer_load_dword v25, off, s[0:3], 0 offset:884
	;; [unrolled: 1-line block ×3, first 2 shown]
	s_waitcnt vmcnt(58) lgkmcnt(0)
	v_mul_f64 v[36:37], v[12:13], v[42:43]
	ds_read_b128 v[2:5], v1 offset:1584
	s_waitcnt vmcnt(56)
	v_fma_f64 v[40:41], v[6:7], v[46:47], -v[40:41]
	v_mul_f64 v[32:33], v[10:11], v[42:43]
	v_add_f64 v[18:19], v[18:19], v[34:35]
	v_fma_f64 v[34:35], v[8:9], v[46:47], v[118:119]
	v_add_f64 v[14:15], v[14:15], v[30:31]
	s_clause 0x2
	buffer_load_dword v31, off, s[0:3], 0 offset:924
	buffer_load_dword v30, off, s[0:3], 0 offset:920
	;; [unrolled: 1-line block ×3, first 2 shown]
	s_waitcnt vmcnt(55) lgkmcnt(0)
	v_mul_f64 v[46:47], v[4:5], v[48:49]
	s_waitcnt vmcnt(54)
	v_fma_f64 v[36:37], v[10:11], v[44:45], -v[36:37]
	ds_read_b128 v[6:9], v1 offset:1600
	v_mul_f64 v[42:43], v[2:3], v[48:49]
	v_fma_f64 v[32:33], v[12:13], v[44:45], v[32:33]
	v_add_f64 v[18:19], v[18:19], v[40:41]
	v_add_f64 v[14:15], v[14:15], v[34:35]
	s_clause 0x1
	buffer_load_dword v35, off, s[0:3], 0 offset:916
	buffer_load_dword v34, off, s[0:3], 0 offset:912
	s_waitcnt vmcnt(55) lgkmcnt(0)
	v_mul_f64 v[44:45], v[8:9], v[50:51]
	s_waitcnt vmcnt(53)
	v_fma_f64 v[46:47], v[2:3], v[54:55], -v[46:47]
	ds_read_b128 v[10:13], v1 offset:1616
	v_mul_f64 v[40:41], v[6:7], v[50:51]
	v_add_f64 v[18:19], v[18:19], v[36:37]
	v_fma_f64 v[36:37], v[4:5], v[54:55], v[42:43]
	v_add_f64 v[14:15], v[14:15], v[32:33]
	ds_read_b128 v[2:5], v1 offset:1632
	s_waitcnt vmcnt(49) lgkmcnt(1)
	v_mul_f64 v[42:43], v[12:13], v[56:57]
	s_waitcnt vmcnt(48)
	v_fma_f64 v[44:45], v[6:7], v[52:53], -v[44:45]
	v_mul_f64 v[32:33], v[10:11], v[56:57]
	v_fma_f64 v[40:41], v[8:9], v[52:53], v[40:41]
	v_add_f64 v[18:19], v[18:19], v[46:47]
	s_waitcnt vmcnt(47) lgkmcnt(0)
	v_mul_f64 v[50:51], v[4:5], v[77:78]
	v_add_f64 v[14:15], v[14:15], v[36:37]
	s_clause 0x3
	buffer_load_dword v36, off, s[0:3], 0 offset:528
	buffer_load_dword v37, off, s[0:3], 0 offset:532
	;; [unrolled: 1-line block ×4, first 2 shown]
	s_waitcnt vmcnt(49)
	v_fma_f64 v[42:43], v[10:11], v[89:90], -v[42:43]
	ds_read_b128 v[6:9], v1 offset:1648
	v_mul_f64 v[48:49], v[2:3], v[77:78]
	v_fma_f64 v[32:33], v[12:13], v[89:90], v[32:33]
	ds_read_b128 v[10:13], v1 offset:1664
	v_add_f64 v[18:19], v[18:19], v[44:45]
	s_waitcnt vmcnt(44)
	v_fma_f64 v[50:51], v[2:3], v[79:80], -v[50:51]
	v_add_f64 v[14:15], v[14:15], v[40:41]
	s_waitcnt lgkmcnt(1)
	v_mul_f64 v[44:45], v[8:9], v[91:92]
	v_mul_f64 v[40:41], v[6:7], v[91:92]
	v_add_f64 v[18:19], v[18:19], v[42:43]
	v_fma_f64 v[42:43], v[4:5], v[79:80], v[48:49]
	v_add_f64 v[14:15], v[14:15], v[32:33]
	s_waitcnt vmcnt(43) lgkmcnt(0)
	v_mul_f64 v[48:49], v[12:13], v[99:100]
	s_waitcnt vmcnt(41)
	v_fma_f64 v[44:45], v[6:7], v[103:104], -v[44:45]
	ds_read_b128 v[2:5], v1 offset:1680
	v_mul_f64 v[32:33], v[10:11], v[99:100]
	v_fma_f64 v[40:41], v[8:9], v[103:104], v[40:41]
	ds_read_b128 v[6:9], v1 offset:1696
	v_add_f64 v[18:19], v[18:19], v[50:51]
	v_add_f64 v[14:15], v[14:15], v[42:43]
	s_waitcnt vmcnt(37) lgkmcnt(1)
	v_mul_f64 v[50:51], v[4:5], v[109:110]
	s_waitcnt vmcnt(36)
	v_fma_f64 v[48:49], v[10:11], v[101:102], -v[48:49]
	v_mul_f64 v[42:43], v[2:3], v[109:110]
	v_fma_f64 v[32:33], v[12:13], v[101:102], v[32:33]
	ds_read_b128 v[10:13], v1 offset:1712
	v_add_f64 v[18:19], v[18:19], v[44:45]
	v_add_f64 v[14:15], v[14:15], v[40:41]
	s_waitcnt vmcnt(35) lgkmcnt(1)
	v_mul_f64 v[44:45], v[8:9], v[111:112]
	v_mul_f64 v[40:41], v[6:7], v[111:112]
	s_waitcnt vmcnt(33)
	v_fma_f64 v[50:51], v[2:3], v[107:108], -v[50:51]
	v_fma_f64 v[42:43], v[4:5], v[107:108], v[42:43]
	ds_read_b128 v[2:5], v1 offset:1728
	v_add_f64 v[18:19], v[18:19], v[48:49]
	v_add_f64 v[14:15], v[14:15], v[32:33]
	s_waitcnt vmcnt(29) lgkmcnt(1)
	v_mul_f64 v[32:33], v[10:11], v[20:21]
	v_mul_f64 v[20:21], v[12:13], v[20:21]
	s_waitcnt vmcnt(28)
	v_fma_f64 v[44:45], v[6:7], v[113:114], -v[44:45]
	;; [unrolled: 9-line block ×4, first 2 shown]
	v_add_f64 v[18:19], v[18:19], v[20:21]
	v_fma_f64 v[20:21], v[4:5], v[120:121], v[42:43]
	v_add_f64 v[14:15], v[14:15], v[16:17]
	ds_read_b128 v[2:5], v1 offset:1776
	s_waitcnt vmcnt(19) lgkmcnt(1)
	v_mul_f64 v[42:43], v[12:13], v[105:106]
	v_mul_f64 v[16:17], v[10:11], v[105:106]
	s_waitcnt vmcnt(17)
	v_fma_f64 v[28:29], v[6:7], v[26:27], -v[28:29]
	v_fma_f64 v[26:27], v[8:9], v[26:27], v[32:33]
	ds_read_b128 v[6:9], v1 offset:1792
	v_add_f64 v[18:19], v[18:19], v[40:41]
	v_add_f64 v[14:15], v[14:15], v[20:21]
	s_waitcnt vmcnt(13) lgkmcnt(1)
	v_mul_f64 v[20:21], v[2:3], v[22:23]
	v_mul_f64 v[22:23], v[4:5], v[22:23]
	s_waitcnt vmcnt(12)
	v_fma_f64 v[32:33], v[10:11], v[122:123], -v[42:43]
	v_fma_f64 v[16:17], v[12:13], v[122:123], v[16:17]
	ds_read_b128 v[10:13], v1 offset:1808
	v_add_f64 v[18:19], v[18:19], v[28:29]
	v_add_f64 v[14:15], v[14:15], v[26:27]
	s_waitcnt vmcnt(11) lgkmcnt(1)
	v_mul_f64 v[28:29], v[8:9], v[38:39]
	v_mul_f64 v[26:27], v[6:7], v[38:39]
	s_waitcnt vmcnt(9)
	v_fma_f64 v[1:2], v[2:3], v[24:25], -v[22:23]
	v_fma_f64 v[3:4], v[4:5], v[24:25], v[20:21]
	v_add_f64 v[18:19], v[18:19], v[32:33]
	v_add_f64 v[14:15], v[14:15], v[16:17]
	s_waitcnt vmcnt(7) lgkmcnt(0)
	v_mul_f64 v[20:21], v[12:13], v[30:31]
	s_waitcnt vmcnt(6)
	v_fma_f64 v[5:6], v[6:7], v[117:118], -v[28:29]
	v_mul_f64 v[16:17], v[10:11], v[30:31]
	v_fma_f64 v[7:8], v[8:9], v[117:118], v[26:27]
	v_add_f64 v[1:2], v[18:19], v[1:2]
	v_add_f64 v[3:4], v[14:15], v[3:4]
	s_waitcnt vmcnt(4)
	v_fma_f64 v[9:10], v[10:11], v[34:35], -v[20:21]
	v_add_f64 v[1:2], v[1:2], v[5:6]
	v_fma_f64 v[5:6], v[12:13], v[34:35], v[16:17]
	v_add_f64 v[3:4], v[3:4], v[7:8]
	v_add_f64 v[1:2], v[1:2], v[9:10]
	;; [unrolled: 1-line block ×3, first 2 shown]
	s_waitcnt vmcnt(2)
	v_add_f64 v[1:2], v[36:37], -v[1:2]
	s_waitcnt vmcnt(0)
	v_add_f64 v[3:4], v[46:47], -v[3:4]
	buffer_store_dword v2, off, s[0:3], 0 offset:532
	buffer_store_dword v1, off, s[0:3], 0 offset:528
	;; [unrolled: 1-line block ×4, first 2 shown]
	v_cmpx_lt_u32_e32 31, v0
	s_cbranch_execz .LBB56_293
; %bb.292:
	v_mov_b32_e32 v4, s38
	v_mov_b32_e32 v5, 0
	s_clause 0x3
	buffer_load_dword v1, v4, s[0:3], 0 offen
	buffer_load_dword v2, v4, s[0:3], 0 offen offset:4
	buffer_load_dword v3, v4, s[0:3], 0 offen offset:8
	;; [unrolled: 1-line block ×3, first 2 shown]
	buffer_store_dword v5, off, s[0:3], 0 offset:512
	buffer_store_dword v5, off, s[0:3], 0 offset:516
	;; [unrolled: 1-line block ×4, first 2 shown]
	s_waitcnt vmcnt(0)
	ds_write_b128 v59, v[1:4]
.LBB56_293:
	s_or_b32 exec_lo, exec_lo, s4
	s_waitcnt lgkmcnt(0)
	s_waitcnt_vscnt null, 0x0
	s_barrier
	buffer_gl0_inv
	s_clause 0x37
	buffer_load_dword v10, off, s[0:3], 0 offset:536
	buffer_load_dword v11, off, s[0:3], 0 offset:540
	;; [unrolled: 1-line block ×56, first 2 shown]
	v_mov_b32_e32 v1, 0
	s_mov_b32 s4, exec_lo
	ds_read_b128 v[2:5], v1 offset:1424
	s_clause 0x2
	buffer_load_dword v100, off, s[0:3], 0 offset:764
	buffer_load_dword v104, off, s[0:3], 0 offset:740
	;; [unrolled: 1-line block ×3, first 2 shown]
	ds_read_b128 v[6:9], v1 offset:1440
	s_clause 0x4
	buffer_load_dword v110, off, s[0:3], 0 offset:780
	buffer_load_dword v111, off, s[0:3], 0 offset:792
	;; [unrolled: 1-line block ×5, first 2 shown]
	s_waitcnt vmcnt(62) lgkmcnt(1)
	v_mul_f64 v[105:106], v[4:5], v[10:11]
	v_mul_f64 v[107:108], v[2:3], v[10:11]
	s_waitcnt vmcnt(60) lgkmcnt(0)
	v_mul_f64 v[114:115], v[8:9], v[14:15]
	ds_read_b128 v[10:13], v1 offset:1456
	v_mul_f64 v[14:15], v[6:7], v[14:15]
	s_waitcnt vmcnt(58)
	v_fma_f64 v[105:106], v[2:3], v[16:17], -v[105:106]
	v_fma_f64 v[16:17], v[4:5], v[16:17], v[107:108]
	s_clause 0x2
	buffer_load_dword v112, off, s[0:3], 0 offset:796
	buffer_load_dword v108, off, s[0:3], 0 offset:772
	;; [unrolled: 1-line block ×3, first 2 shown]
	s_waitcnt vmcnt(59) lgkmcnt(0)
	v_mul_f64 v[116:117], v[10:11], v[18:19]
	v_mul_f64 v[18:19], v[12:13], v[18:19]
	s_waitcnt vmcnt(57)
	v_fma_f64 v[118:119], v[6:7], v[20:21], -v[114:115]
	ds_read_b128 v[2:5], v1 offset:1472
	v_fma_f64 v[14:15], v[8:9], v[20:21], v[14:15]
	s_clause 0x4
	buffer_load_dword v21, off, s[0:3], 0 offset:812
	buffer_load_dword v115, off, s[0:3], 0 offset:824
	;; [unrolled: 1-line block ×5, first 2 shown]
	ds_read_b128 v[6:9], v1 offset:1488
	v_add_f64 v[105:106], v[105:106], 0
	v_add_f64 v[16:17], v[16:17], 0
	s_waitcnt vmcnt(58) lgkmcnt(1)
	v_mul_f64 v[121:122], v[2:3], v[22:23]
	v_mul_f64 v[22:23], v[4:5], v[22:23]
	s_waitcnt vmcnt(56)
	v_fma_f64 v[18:19], v[10:11], v[28:29], -v[18:19]
	v_fma_f64 v[28:29], v[12:13], v[28:29], v[116:117]
	v_add_f64 v[105:106], v[105:106], v[118:119]
	v_add_f64 v[14:15], v[16:17], v[14:15]
	s_clause 0x2
	buffer_load_dword v116, off, s[0:3], 0 offset:828
	buffer_load_dword v17, off, s[0:3], 0 offset:804
	;; [unrolled: 1-line block ×3, first 2 shown]
	s_waitcnt vmcnt(58) lgkmcnt(0)
	v_mul_f64 v[117:118], v[6:7], v[24:25]
	v_mul_f64 v[24:25], v[8:9], v[24:25]
	s_waitcnt vmcnt(56)
	v_fma_f64 v[22:23], v[2:3], v[30:31], -v[22:23]
	ds_read_b128 v[10:13], v1 offset:1504
	v_fma_f64 v[30:31], v[4:5], v[30:31], v[121:122]
	v_add_f64 v[18:19], v[105:106], v[18:19]
	v_add_f64 v[14:15], v[14:15], v[28:29]
	s_clause 0x4
	buffer_load_dword v29, off, s[0:3], 0 offset:844
	buffer_load_dword v105, off, s[0:3], 0 offset:856
	;; [unrolled: 1-line block ×5, first 2 shown]
	ds_read_b128 v[2:5], v1 offset:1520
	s_waitcnt vmcnt(57) lgkmcnt(1)
	v_mul_f64 v[123:124], v[10:11], v[32:33]
	v_mul_f64 v[32:33], v[12:13], v[32:33]
	s_waitcnt vmcnt(56)
	v_fma_f64 v[24:25], v[6:7], v[26:27], -v[24:25]
	v_add_f64 v[18:19], v[18:19], v[22:23]
	v_fma_f64 v[22:23], v[8:9], v[26:27], v[117:118]
	v_add_f64 v[14:15], v[14:15], v[30:31]
	s_clause 0x2
	buffer_load_dword v106, off, s[0:3], 0 offset:860
	buffer_load_dword v27, off, s[0:3], 0 offset:836
	;; [unrolled: 1-line block ×3, first 2 shown]
	s_waitcnt vmcnt(58) lgkmcnt(0)
	v_mul_f64 v[30:31], v[2:3], v[34:35]
	v_mul_f64 v[34:35], v[4:5], v[34:35]
	s_waitcnt vmcnt(56)
	v_fma_f64 v[32:33], v[10:11], v[38:39], -v[32:33]
	ds_read_b128 v[6:9], v1 offset:1536
	v_add_f64 v[18:19], v[18:19], v[24:25]
	v_fma_f64 v[24:25], v[12:13], v[38:39], v[123:124]
	v_add_f64 v[14:15], v[14:15], v[22:23]
	s_clause 0x4
	buffer_load_dword v23, off, s[0:3], 0 offset:876
	buffer_load_dword v38, off, s[0:3], 0 offset:888
	;; [unrolled: 1-line block ×5, first 2 shown]
	ds_read_b128 v[10:13], v1 offset:1552
	s_waitcnt vmcnt(57) lgkmcnt(1)
	v_mul_f64 v[118:119], v[6:7], v[40:41]
	v_mul_f64 v[40:41], v[8:9], v[40:41]
	s_waitcnt vmcnt(56)
	v_fma_f64 v[34:35], v[2:3], v[36:37], -v[34:35]
	v_fma_f64 v[30:31], v[4:5], v[36:37], v[30:31]
	v_add_f64 v[18:19], v[18:19], v[32:33]
	v_add_f64 v[14:15], v[14:15], v[24:25]
	s_clause 0x2
	buffer_load_dword v39, off, s[0:3], 0 offset:892
	buffer_load_dword v25, off, s[0:3], 0 offset:868
	;; [unrolled: 1-line block ×3, first 2 shown]
	s_waitcnt vmcnt(58) lgkmcnt(0)
	v_mul_f64 v[36:37], v[12:13], v[42:43]
	ds_read_b128 v[2:5], v1 offset:1568
	s_waitcnt vmcnt(56)
	v_fma_f64 v[40:41], v[6:7], v[46:47], -v[40:41]
	v_mul_f64 v[32:33], v[10:11], v[42:43]
	v_add_f64 v[18:19], v[18:19], v[34:35]
	v_fma_f64 v[34:35], v[8:9], v[46:47], v[118:119]
	v_add_f64 v[14:15], v[14:15], v[30:31]
	s_clause 0x4
	buffer_load_dword v31, off, s[0:3], 0 offset:908
	buffer_load_dword v42, off, s[0:3], 0 offset:920
	;; [unrolled: 1-line block ×5, first 2 shown]
	s_waitcnt vmcnt(57) lgkmcnt(0)
	v_mul_f64 v[124:125], v[2:3], v[48:49]
	v_mul_f64 v[47:48], v[4:5], v[48:49]
	s_waitcnt vmcnt(56)
	v_fma_f64 v[36:37], v[10:11], v[44:45], -v[36:37]
	ds_read_b128 v[6:9], v1 offset:1584
	v_fma_f64 v[32:33], v[12:13], v[44:45], v[32:33]
	v_add_f64 v[18:19], v[18:19], v[40:41]
	v_add_f64 v[14:15], v[14:15], v[34:35]
	s_clause 0x2
	buffer_load_dword v43, off, s[0:3], 0 offset:924
	buffer_load_dword v35, off, s[0:3], 0 offset:900
	;; [unrolled: 1-line block ×3, first 2 shown]
	ds_read_b128 v[10:13], v1 offset:1600
	s_waitcnt vmcnt(58) lgkmcnt(1)
	v_mul_f64 v[44:45], v[8:9], v[50:51]
	s_waitcnt vmcnt(56)
	v_fma_f64 v[48:49], v[2:3], v[54:55], -v[47:48]
	v_mul_f64 v[40:41], v[6:7], v[50:51]
	buffer_load_dword v47, off, s[0:3], 0 offset:916
	v_add_f64 v[18:19], v[18:19], v[36:37]
	v_fma_f64 v[36:37], v[4:5], v[54:55], v[124:125]
	v_add_f64 v[14:15], v[14:15], v[32:33]
	ds_read_b128 v[2:5], v1 offset:1616
	s_waitcnt vmcnt(53) lgkmcnt(1)
	v_mul_f64 v[50:51], v[12:13], v[56:57]
	s_waitcnt vmcnt(52)
	v_fma_f64 v[44:45], v[6:7], v[52:53], -v[44:45]
	v_mul_f64 v[32:33], v[10:11], v[56:57]
	v_fma_f64 v[40:41], v[8:9], v[52:53], v[40:41]
	ds_read_b128 v[6:9], v1 offset:1632
	v_add_f64 v[18:19], v[18:19], v[48:49]
	s_waitcnt vmcnt(51) lgkmcnt(1)
	v_mul_f64 v[48:49], v[4:5], v[77:78]
	v_add_f64 v[14:15], v[14:15], v[36:37]
	v_mul_f64 v[36:37], v[2:3], v[77:78]
	s_waitcnt vmcnt(49)
	v_fma_f64 v[50:51], v[10:11], v[89:90], -v[50:51]
	v_fma_f64 v[32:33], v[12:13], v[89:90], v[32:33]
	s_waitcnt vmcnt(45) lgkmcnt(0)
	v_mul_f64 v[54:55], v[8:9], v[91:92]
	v_mul_f64 v[52:53], v[6:7], v[91:92]
	v_add_f64 v[18:19], v[18:19], v[44:45]
	s_waitcnt vmcnt(44)
	v_fma_f64 v[48:49], v[2:3], v[79:80], -v[48:49]
	v_add_f64 v[14:15], v[14:15], v[40:41]
	s_clause 0x3
	buffer_load_dword v40, off, s[0:3], 0 offset:512
	buffer_load_dword v41, off, s[0:3], 0 offset:516
	;; [unrolled: 1-line block ×4, first 2 shown]
	ds_read_b128 v[10:13], v1 offset:1648
	v_fma_f64 v[36:37], v[4:5], v[79:80], v[36:37]
	ds_read_b128 v[2:5], v1 offset:1664
	s_waitcnt vmcnt(45)
	v_fma_f64 v[54:55], v[6:7], v[103:104], -v[54:55]
	v_add_f64 v[18:19], v[18:19], v[50:51]
	v_add_f64 v[14:15], v[14:15], v[32:33]
	s_waitcnt lgkmcnt(1)
	v_mul_f64 v[50:51], v[12:13], v[99:100]
	v_mul_f64 v[32:33], v[10:11], v[99:100]
	v_add_f64 v[18:19], v[18:19], v[48:49]
	v_fma_f64 v[48:49], v[8:9], v[103:104], v[52:53]
	v_add_f64 v[14:15], v[14:15], v[36:37]
	s_waitcnt vmcnt(41) lgkmcnt(0)
	v_mul_f64 v[52:53], v[4:5], v[109:110]
	s_waitcnt vmcnt(40)
	v_fma_f64 v[50:51], v[10:11], v[101:102], -v[50:51]
	ds_read_b128 v[6:9], v1 offset:1680
	v_mul_f64 v[36:37], v[2:3], v[109:110]
	v_fma_f64 v[32:33], v[12:13], v[101:102], v[32:33]
	ds_read_b128 v[10:13], v1 offset:1696
	v_add_f64 v[18:19], v[18:19], v[54:55]
	v_add_f64 v[14:15], v[14:15], v[48:49]
	s_waitcnt vmcnt(39) lgkmcnt(1)
	v_mul_f64 v[54:55], v[8:9], v[111:112]
	v_mul_f64 v[48:49], v[6:7], v[111:112]
	s_waitcnt vmcnt(37)
	v_fma_f64 v[52:53], v[2:3], v[107:108], -v[52:53]
	v_fma_f64 v[36:37], v[4:5], v[107:108], v[36:37]
	ds_read_b128 v[2:5], v1 offset:1712
	v_add_f64 v[18:19], v[18:19], v[50:51]
	v_add_f64 v[14:15], v[14:15], v[32:33]
	s_waitcnt vmcnt(33) lgkmcnt(1)
	v_mul_f64 v[32:33], v[10:11], v[20:21]
	v_mul_f64 v[20:21], v[12:13], v[20:21]
	s_waitcnt vmcnt(32)
	v_fma_f64 v[50:51], v[6:7], v[113:114], -v[54:55]
	;; [unrolled: 9-line block ×4, first 2 shown]
	v_add_f64 v[18:19], v[18:19], v[20:21]
	v_fma_f64 v[20:21], v[4:5], v[120:121], v[36:37]
	v_add_f64 v[14:15], v[14:15], v[16:17]
	ds_read_b128 v[2:5], v1 offset:1760
	s_waitcnt vmcnt(23) lgkmcnt(1)
	v_mul_f64 v[36:37], v[12:13], v[105:106]
	v_mul_f64 v[16:17], v[10:11], v[105:106]
	s_waitcnt vmcnt(21)
	v_fma_f64 v[28:29], v[6:7], v[26:27], -v[28:29]
	v_fma_f64 v[26:27], v[8:9], v[26:27], v[32:33]
	ds_read_b128 v[6:9], v1 offset:1776
	v_add_f64 v[18:19], v[18:19], v[48:49]
	v_add_f64 v[14:15], v[14:15], v[20:21]
	s_waitcnt vmcnt(17) lgkmcnt(1)
	v_mul_f64 v[20:21], v[2:3], v[22:23]
	v_mul_f64 v[22:23], v[4:5], v[22:23]
	s_waitcnt vmcnt(16)
	v_fma_f64 v[32:33], v[10:11], v[122:123], -v[36:37]
	v_fma_f64 v[16:17], v[12:13], v[122:123], v[16:17]
	ds_read_b128 v[10:13], v1 offset:1792
	v_add_f64 v[18:19], v[18:19], v[28:29]
	v_add_f64 v[14:15], v[14:15], v[26:27]
	;; [unrolled: 9-line block ×3, first 2 shown]
	s_waitcnt vmcnt(9) lgkmcnt(1)
	v_mul_f64 v[24:25], v[12:13], v[30:31]
	s_waitcnt vmcnt(8)
	v_fma_f64 v[6:7], v[6:7], v[117:118], -v[28:29]
	v_mul_f64 v[16:17], v[10:11], v[30:31]
	v_fma_f64 v[8:9], v[8:9], v[117:118], v[26:27]
	v_add_f64 v[18:19], v[18:19], v[22:23]
	v_add_f64 v[14:15], v[14:15], v[20:21]
	s_waitcnt vmcnt(7) lgkmcnt(0)
	v_mul_f64 v[22:23], v[4:5], v[42:43]
	v_mul_f64 v[20:21], v[2:3], v[42:43]
	s_waitcnt vmcnt(5)
	v_fma_f64 v[10:11], v[10:11], v[34:35], -v[24:25]
	v_fma_f64 v[12:13], v[12:13], v[34:35], v[16:17]
	v_add_f64 v[6:7], v[18:19], v[6:7]
	v_add_f64 v[8:9], v[14:15], v[8:9]
	s_waitcnt vmcnt(4)
	v_fma_f64 v[2:3], v[2:3], v[46:47], -v[22:23]
	v_fma_f64 v[4:5], v[4:5], v[46:47], v[20:21]
	v_add_f64 v[6:7], v[6:7], v[10:11]
	v_add_f64 v[8:9], v[8:9], v[12:13]
	;; [unrolled: 1-line block ×4, first 2 shown]
	s_waitcnt vmcnt(2)
	v_add_f64 v[2:3], v[40:41], -v[2:3]
	s_waitcnt vmcnt(0)
	v_add_f64 v[4:5], v[44:45], -v[4:5]
	buffer_store_dword v3, off, s[0:3], 0 offset:516
	buffer_store_dword v2, off, s[0:3], 0 offset:512
	;; [unrolled: 1-line block ×4, first 2 shown]
	v_cmpx_lt_u32_e32 30, v0
	s_cbranch_execz .LBB56_295
; %bb.294:
	v_mov_b32_e32 v5, s39
	s_clause 0x3
	buffer_load_dword v2, v5, s[0:3], 0 offen
	buffer_load_dword v3, v5, s[0:3], 0 offen offset:4
	buffer_load_dword v4, v5, s[0:3], 0 offen offset:8
	;; [unrolled: 1-line block ×3, first 2 shown]
	buffer_store_dword v1, off, s[0:3], 0 offset:496
	buffer_store_dword v1, off, s[0:3], 0 offset:500
	;; [unrolled: 1-line block ×4, first 2 shown]
	s_waitcnt vmcnt(0)
	ds_write_b128 v59, v[2:5]
.LBB56_295:
	s_or_b32 exec_lo, exec_lo, s4
	s_waitcnt lgkmcnt(0)
	s_waitcnt_vscnt null, 0x0
	s_barrier
	buffer_gl0_inv
	s_clause 0x37
	buffer_load_dword v10, off, s[0:3], 0 offset:520
	buffer_load_dword v11, off, s[0:3], 0 offset:524
	;; [unrolled: 1-line block ×56, first 2 shown]
	ds_read_b128 v[2:5], v1 offset:1408
	s_clause 0x2
	buffer_load_dword v100, off, s[0:3], 0 offset:748
	buffer_load_dword v104, off, s[0:3], 0 offset:724
	;; [unrolled: 1-line block ×3, first 2 shown]
	ds_read_b128 v[6:9], v1 offset:1424
	s_clause 0x4
	buffer_load_dword v110, off, s[0:3], 0 offset:764
	buffer_load_dword v111, off, s[0:3], 0 offset:776
	;; [unrolled: 1-line block ×5, first 2 shown]
	s_mov_b32 s4, exec_lo
	s_waitcnt vmcnt(62) lgkmcnt(1)
	v_mul_f64 v[105:106], v[4:5], v[10:11]
	v_mul_f64 v[107:108], v[2:3], v[10:11]
	s_waitcnt vmcnt(60) lgkmcnt(0)
	v_mul_f64 v[114:115], v[8:9], v[14:15]
	ds_read_b128 v[10:13], v1 offset:1440
	v_mul_f64 v[14:15], v[6:7], v[14:15]
	s_waitcnt vmcnt(58)
	v_fma_f64 v[105:106], v[2:3], v[16:17], -v[105:106]
	v_fma_f64 v[16:17], v[4:5], v[16:17], v[107:108]
	s_clause 0x2
	buffer_load_dword v112, off, s[0:3], 0 offset:780
	buffer_load_dword v108, off, s[0:3], 0 offset:756
	;; [unrolled: 1-line block ×3, first 2 shown]
	s_waitcnt vmcnt(59) lgkmcnt(0)
	v_mul_f64 v[116:117], v[10:11], v[18:19]
	v_mul_f64 v[18:19], v[12:13], v[18:19]
	s_waitcnt vmcnt(57)
	v_fma_f64 v[118:119], v[6:7], v[20:21], -v[114:115]
	ds_read_b128 v[2:5], v1 offset:1456
	v_fma_f64 v[14:15], v[8:9], v[20:21], v[14:15]
	s_clause 0x4
	buffer_load_dword v21, off, s[0:3], 0 offset:796
	buffer_load_dword v115, off, s[0:3], 0 offset:808
	;; [unrolled: 1-line block ×5, first 2 shown]
	ds_read_b128 v[6:9], v1 offset:1472
	v_add_f64 v[105:106], v[105:106], 0
	v_add_f64 v[16:17], v[16:17], 0
	s_waitcnt vmcnt(58) lgkmcnt(1)
	v_mul_f64 v[121:122], v[2:3], v[22:23]
	v_mul_f64 v[22:23], v[4:5], v[22:23]
	s_waitcnt vmcnt(56)
	v_fma_f64 v[18:19], v[10:11], v[28:29], -v[18:19]
	v_fma_f64 v[28:29], v[12:13], v[28:29], v[116:117]
	v_add_f64 v[105:106], v[105:106], v[118:119]
	v_add_f64 v[14:15], v[16:17], v[14:15]
	s_clause 0x2
	buffer_load_dword v116, off, s[0:3], 0 offset:812
	buffer_load_dword v17, off, s[0:3], 0 offset:788
	;; [unrolled: 1-line block ×3, first 2 shown]
	s_waitcnt vmcnt(58) lgkmcnt(0)
	v_mul_f64 v[117:118], v[6:7], v[24:25]
	v_mul_f64 v[24:25], v[8:9], v[24:25]
	s_waitcnt vmcnt(56)
	v_fma_f64 v[22:23], v[2:3], v[30:31], -v[22:23]
	ds_read_b128 v[10:13], v1 offset:1488
	v_fma_f64 v[30:31], v[4:5], v[30:31], v[121:122]
	v_add_f64 v[18:19], v[105:106], v[18:19]
	v_add_f64 v[14:15], v[14:15], v[28:29]
	s_clause 0x4
	buffer_load_dword v29, off, s[0:3], 0 offset:828
	buffer_load_dword v105, off, s[0:3], 0 offset:840
	;; [unrolled: 1-line block ×5, first 2 shown]
	ds_read_b128 v[2:5], v1 offset:1504
	s_waitcnt vmcnt(57) lgkmcnt(1)
	v_mul_f64 v[123:124], v[10:11], v[32:33]
	v_mul_f64 v[32:33], v[12:13], v[32:33]
	s_waitcnt vmcnt(56)
	v_fma_f64 v[24:25], v[6:7], v[26:27], -v[24:25]
	v_add_f64 v[18:19], v[18:19], v[22:23]
	v_fma_f64 v[22:23], v[8:9], v[26:27], v[117:118]
	v_add_f64 v[14:15], v[14:15], v[30:31]
	s_clause 0x2
	buffer_load_dword v106, off, s[0:3], 0 offset:844
	buffer_load_dword v27, off, s[0:3], 0 offset:820
	;; [unrolled: 1-line block ×3, first 2 shown]
	s_waitcnt vmcnt(58) lgkmcnt(0)
	v_mul_f64 v[30:31], v[2:3], v[34:35]
	v_mul_f64 v[34:35], v[4:5], v[34:35]
	s_waitcnt vmcnt(56)
	v_fma_f64 v[32:33], v[10:11], v[38:39], -v[32:33]
	ds_read_b128 v[6:9], v1 offset:1520
	v_add_f64 v[18:19], v[18:19], v[24:25]
	v_fma_f64 v[24:25], v[12:13], v[38:39], v[123:124]
	v_add_f64 v[14:15], v[14:15], v[22:23]
	s_clause 0x4
	buffer_load_dword v23, off, s[0:3], 0 offset:860
	buffer_load_dword v38, off, s[0:3], 0 offset:872
	;; [unrolled: 1-line block ×5, first 2 shown]
	ds_read_b128 v[10:13], v1 offset:1536
	s_waitcnt vmcnt(57) lgkmcnt(1)
	v_mul_f64 v[118:119], v[6:7], v[40:41]
	v_mul_f64 v[40:41], v[8:9], v[40:41]
	s_waitcnt vmcnt(56)
	v_fma_f64 v[34:35], v[2:3], v[36:37], -v[34:35]
	v_fma_f64 v[30:31], v[4:5], v[36:37], v[30:31]
	v_add_f64 v[18:19], v[18:19], v[32:33]
	v_add_f64 v[14:15], v[14:15], v[24:25]
	s_clause 0x2
	buffer_load_dword v39, off, s[0:3], 0 offset:876
	buffer_load_dword v25, off, s[0:3], 0 offset:852
	;; [unrolled: 1-line block ×3, first 2 shown]
	s_waitcnt vmcnt(58) lgkmcnt(0)
	v_mul_f64 v[36:37], v[12:13], v[42:43]
	ds_read_b128 v[2:5], v1 offset:1552
	s_waitcnt vmcnt(56)
	v_fma_f64 v[40:41], v[6:7], v[46:47], -v[40:41]
	v_mul_f64 v[32:33], v[10:11], v[42:43]
	v_add_f64 v[18:19], v[18:19], v[34:35]
	v_fma_f64 v[34:35], v[8:9], v[46:47], v[118:119]
	v_add_f64 v[14:15], v[14:15], v[30:31]
	s_clause 0x4
	buffer_load_dword v31, off, s[0:3], 0 offset:892
	buffer_load_dword v42, off, s[0:3], 0 offset:904
	;; [unrolled: 1-line block ×5, first 2 shown]
	s_waitcnt vmcnt(57) lgkmcnt(0)
	v_mul_f64 v[124:125], v[2:3], v[48:49]
	v_mul_f64 v[47:48], v[4:5], v[48:49]
	s_waitcnt vmcnt(56)
	v_fma_f64 v[36:37], v[10:11], v[44:45], -v[36:37]
	ds_read_b128 v[6:9], v1 offset:1568
	v_fma_f64 v[32:33], v[12:13], v[44:45], v[32:33]
	v_add_f64 v[18:19], v[18:19], v[40:41]
	v_add_f64 v[14:15], v[14:15], v[34:35]
	s_clause 0x2
	buffer_load_dword v43, off, s[0:3], 0 offset:908
	buffer_load_dword v35, off, s[0:3], 0 offset:884
	;; [unrolled: 1-line block ×3, first 2 shown]
	ds_read_b128 v[10:13], v1 offset:1584
	s_waitcnt vmcnt(58) lgkmcnt(1)
	v_mul_f64 v[44:45], v[8:9], v[50:51]
	s_waitcnt vmcnt(56)
	v_fma_f64 v[48:49], v[2:3], v[54:55], -v[47:48]
	v_mul_f64 v[40:41], v[6:7], v[50:51]
	v_add_f64 v[18:19], v[18:19], v[36:37]
	v_fma_f64 v[36:37], v[4:5], v[54:55], v[124:125]
	v_add_f64 v[14:15], v[14:15], v[32:33]
	s_clause 0x2
	buffer_load_dword v33, off, s[0:3], 0 offset:924
	buffer_load_dword v32, off, s[0:3], 0 offset:920
	;; [unrolled: 1-line block ×3, first 2 shown]
	s_waitcnt vmcnt(55) lgkmcnt(0)
	v_mul_f64 v[54:55], v[12:13], v[56:57]
	s_waitcnt vmcnt(54)
	v_fma_f64 v[44:45], v[6:7], v[52:53], -v[44:45]
	ds_read_b128 v[2:5], v1 offset:1600
	v_mul_f64 v[50:51], v[10:11], v[56:57]
	v_fma_f64 v[40:41], v[8:9], v[52:53], v[40:41]
	v_add_f64 v[18:19], v[18:19], v[48:49]
	v_add_f64 v[14:15], v[14:15], v[36:37]
	s_clause 0x1
	buffer_load_dword v37, off, s[0:3], 0 offset:916
	buffer_load_dword v36, off, s[0:3], 0 offset:912
	s_waitcnt vmcnt(55) lgkmcnt(0)
	v_mul_f64 v[52:53], v[4:5], v[77:78]
	s_waitcnt vmcnt(53)
	v_fma_f64 v[54:55], v[10:11], v[89:90], -v[54:55]
	ds_read_b128 v[6:9], v1 offset:1616
	v_mul_f64 v[48:49], v[2:3], v[77:78]
	v_add_f64 v[18:19], v[18:19], v[44:45]
	v_fma_f64 v[44:45], v[12:13], v[89:90], v[50:51]
	v_add_f64 v[14:15], v[14:15], v[40:41]
	ds_read_b128 v[10:13], v1 offset:1632
	s_waitcnt vmcnt(49) lgkmcnt(1)
	v_mul_f64 v[50:51], v[8:9], v[91:92]
	s_waitcnt vmcnt(48)
	v_fma_f64 v[52:53], v[2:3], v[79:80], -v[52:53]
	v_mul_f64 v[40:41], v[6:7], v[91:92]
	v_fma_f64 v[48:49], v[4:5], v[79:80], v[48:49]
	v_add_f64 v[18:19], v[18:19], v[54:55]
	s_waitcnt vmcnt(47) lgkmcnt(0)
	v_mul_f64 v[77:78], v[12:13], v[99:100]
	v_add_f64 v[14:15], v[14:15], v[44:45]
	s_clause 0x3
	buffer_load_dword v44, off, s[0:3], 0 offset:496
	buffer_load_dword v45, off, s[0:3], 0 offset:500
	;; [unrolled: 1-line block ×4, first 2 shown]
	s_waitcnt vmcnt(49)
	v_fma_f64 v[50:51], v[6:7], v[103:104], -v[50:51]
	ds_read_b128 v[2:5], v1 offset:1648
	v_mul_f64 v[56:57], v[10:11], v[99:100]
	v_fma_f64 v[40:41], v[8:9], v[103:104], v[40:41]
	ds_read_b128 v[6:9], v1 offset:1664
	v_add_f64 v[18:19], v[18:19], v[52:53]
	s_waitcnt vmcnt(44)
	v_fma_f64 v[77:78], v[10:11], v[101:102], -v[77:78]
	v_add_f64 v[14:15], v[14:15], v[48:49]
	s_waitcnt lgkmcnt(1)
	v_mul_f64 v[52:53], v[4:5], v[109:110]
	v_mul_f64 v[48:49], v[2:3], v[109:110]
	v_add_f64 v[18:19], v[18:19], v[50:51]
	v_fma_f64 v[50:51], v[12:13], v[101:102], v[56:57]
	v_add_f64 v[14:15], v[14:15], v[40:41]
	ds_read_b128 v[10:13], v1 offset:1680
	s_waitcnt vmcnt(43) lgkmcnt(1)
	v_mul_f64 v[56:57], v[8:9], v[111:112]
	v_mul_f64 v[40:41], v[6:7], v[111:112]
	s_waitcnt vmcnt(41)
	v_fma_f64 v[52:53], v[2:3], v[107:108], -v[52:53]
	v_fma_f64 v[48:49], v[4:5], v[107:108], v[48:49]
	ds_read_b128 v[2:5], v1 offset:1696
	v_add_f64 v[18:19], v[18:19], v[77:78]
	v_add_f64 v[14:15], v[14:15], v[50:51]
	s_waitcnt vmcnt(37) lgkmcnt(1)
	v_mul_f64 v[50:51], v[10:11], v[20:21]
	v_mul_f64 v[20:21], v[12:13], v[20:21]
	s_waitcnt vmcnt(36)
	v_fma_f64 v[56:57], v[6:7], v[113:114], -v[56:57]
	v_fma_f64 v[40:41], v[8:9], v[113:114], v[40:41]
	ds_read_b128 v[6:9], v1 offset:1712
	v_add_f64 v[18:19], v[18:19], v[52:53]
	v_add_f64 v[14:15], v[14:15], v[48:49]
	;; [unrolled: 9-line block ×3, first 2 shown]
	s_waitcnt vmcnt(29) lgkmcnt(1)
	v_mul_f64 v[40:41], v[6:7], v[28:29]
	v_mul_f64 v[28:29], v[8:9], v[28:29]
	s_waitcnt vmcnt(28)
	v_fma_f64 v[50:51], v[2:3], v[120:121], -v[52:53]
	v_add_f64 v[18:19], v[18:19], v[20:21]
	v_fma_f64 v[20:21], v[4:5], v[120:121], v[48:49]
	v_add_f64 v[14:15], v[14:15], v[16:17]
	ds_read_b128 v[2:5], v1 offset:1744
	s_waitcnt vmcnt(27) lgkmcnt(1)
	v_mul_f64 v[48:49], v[12:13], v[105:106]
	v_mul_f64 v[16:17], v[10:11], v[105:106]
	s_waitcnt vmcnt(25)
	v_fma_f64 v[28:29], v[6:7], v[26:27], -v[28:29]
	v_fma_f64 v[26:27], v[8:9], v[26:27], v[40:41]
	ds_read_b128 v[6:9], v1 offset:1760
	v_add_f64 v[18:19], v[18:19], v[50:51]
	v_add_f64 v[14:15], v[14:15], v[20:21]
	s_waitcnt vmcnt(21) lgkmcnt(1)
	v_mul_f64 v[20:21], v[2:3], v[22:23]
	v_mul_f64 v[22:23], v[4:5], v[22:23]
	s_waitcnt vmcnt(20)
	v_fma_f64 v[40:41], v[10:11], v[122:123], -v[48:49]
	v_fma_f64 v[16:17], v[12:13], v[122:123], v[16:17]
	ds_read_b128 v[10:13], v1 offset:1776
	v_add_f64 v[18:19], v[18:19], v[28:29]
	v_add_f64 v[14:15], v[14:15], v[26:27]
	;; [unrolled: 9-line block ×3, first 2 shown]
	s_waitcnt vmcnt(13) lgkmcnt(1)
	v_mul_f64 v[24:25], v[12:13], v[30:31]
	s_waitcnt vmcnt(12)
	v_fma_f64 v[28:29], v[6:7], v[117:118], -v[28:29]
	v_mul_f64 v[16:17], v[10:11], v[30:31]
	v_add_f64 v[18:19], v[18:19], v[22:23]
	v_fma_f64 v[22:23], v[8:9], v[117:118], v[26:27]
	v_add_f64 v[14:15], v[14:15], v[20:21]
	ds_read_b128 v[6:9], v1 offset:1808
	s_waitcnt vmcnt(11) lgkmcnt(1)
	v_mul_f64 v[26:27], v[4:5], v[42:43]
	v_mul_f64 v[20:21], v[2:3], v[42:43]
	s_waitcnt vmcnt(9)
	v_fma_f64 v[10:11], v[10:11], v[34:35], -v[24:25]
	v_fma_f64 v[12:13], v[12:13], v[34:35], v[16:17]
	v_add_f64 v[18:19], v[18:19], v[28:29]
	v_add_f64 v[14:15], v[14:15], v[22:23]
	s_waitcnt vmcnt(7) lgkmcnt(0)
	v_mul_f64 v[22:23], v[8:9], v[32:33]
	s_waitcnt vmcnt(6)
	v_fma_f64 v[1:2], v[2:3], v[46:47], -v[26:27]
	v_mul_f64 v[16:17], v[6:7], v[32:33]
	v_fma_f64 v[3:4], v[4:5], v[46:47], v[20:21]
	v_add_f64 v[10:11], v[18:19], v[10:11]
	v_add_f64 v[12:13], v[14:15], v[12:13]
	s_waitcnt vmcnt(4)
	v_fma_f64 v[5:6], v[6:7], v[36:37], -v[22:23]
	v_fma_f64 v[7:8], v[8:9], v[36:37], v[16:17]
	v_add_f64 v[1:2], v[10:11], v[1:2]
	v_add_f64 v[3:4], v[12:13], v[3:4]
	;; [unrolled: 1-line block ×4, first 2 shown]
	s_waitcnt vmcnt(2)
	v_add_f64 v[1:2], v[44:45], -v[1:2]
	s_waitcnt vmcnt(0)
	v_add_f64 v[3:4], v[54:55], -v[3:4]
	buffer_store_dword v2, off, s[0:3], 0 offset:500
	buffer_store_dword v1, off, s[0:3], 0 offset:496
	buffer_store_dword v4, off, s[0:3], 0 offset:508
	buffer_store_dword v3, off, s[0:3], 0 offset:504
	v_cmpx_lt_u32_e32 29, v0
	s_cbranch_execz .LBB56_297
; %bb.296:
	v_mov_b32_e32 v4, s40
	v_mov_b32_e32 v5, 0
	s_clause 0x3
	buffer_load_dword v1, v4, s[0:3], 0 offen
	buffer_load_dword v2, v4, s[0:3], 0 offen offset:4
	buffer_load_dword v3, v4, s[0:3], 0 offen offset:8
	;; [unrolled: 1-line block ×3, first 2 shown]
	buffer_store_dword v5, off, s[0:3], 0 offset:480
	buffer_store_dword v5, off, s[0:3], 0 offset:484
	;; [unrolled: 1-line block ×4, first 2 shown]
	s_waitcnt vmcnt(0)
	ds_write_b128 v59, v[1:4]
.LBB56_297:
	s_or_b32 exec_lo, exec_lo, s4
	s_waitcnt lgkmcnt(0)
	s_waitcnt_vscnt null, 0x0
	s_barrier
	buffer_gl0_inv
	s_clause 0x37
	buffer_load_dword v10, off, s[0:3], 0 offset:504
	buffer_load_dword v11, off, s[0:3], 0 offset:508
	;; [unrolled: 1-line block ×56, first 2 shown]
	v_mov_b32_e32 v1, 0
	s_mov_b32 s4, exec_lo
	ds_read_b128 v[2:5], v1 offset:1392
	s_clause 0x2
	buffer_load_dword v100, off, s[0:3], 0 offset:732
	buffer_load_dword v104, off, s[0:3], 0 offset:708
	;; [unrolled: 1-line block ×3, first 2 shown]
	ds_read_b128 v[6:9], v1 offset:1408
	s_clause 0x4
	buffer_load_dword v110, off, s[0:3], 0 offset:748
	buffer_load_dword v111, off, s[0:3], 0 offset:760
	;; [unrolled: 1-line block ×5, first 2 shown]
	s_waitcnt vmcnt(62) lgkmcnt(1)
	v_mul_f64 v[105:106], v[4:5], v[10:11]
	v_mul_f64 v[107:108], v[2:3], v[10:11]
	s_waitcnt vmcnt(60) lgkmcnt(0)
	v_mul_f64 v[114:115], v[8:9], v[14:15]
	ds_read_b128 v[10:13], v1 offset:1424
	v_mul_f64 v[14:15], v[6:7], v[14:15]
	s_waitcnt vmcnt(58)
	v_fma_f64 v[105:106], v[2:3], v[16:17], -v[105:106]
	v_fma_f64 v[16:17], v[4:5], v[16:17], v[107:108]
	s_clause 0x2
	buffer_load_dword v112, off, s[0:3], 0 offset:764
	buffer_load_dword v108, off, s[0:3], 0 offset:740
	buffer_load_dword v107, off, s[0:3], 0 offset:736
	s_waitcnt vmcnt(59) lgkmcnt(0)
	v_mul_f64 v[116:117], v[10:11], v[18:19]
	v_mul_f64 v[18:19], v[12:13], v[18:19]
	s_waitcnt vmcnt(57)
	v_fma_f64 v[118:119], v[6:7], v[20:21], -v[114:115]
	ds_read_b128 v[2:5], v1 offset:1440
	v_fma_f64 v[14:15], v[8:9], v[20:21], v[14:15]
	s_clause 0x4
	buffer_load_dword v21, off, s[0:3], 0 offset:780
	buffer_load_dword v115, off, s[0:3], 0 offset:792
	buffer_load_dword v120, off, s[0:3], 0 offset:784
	buffer_load_dword v20, off, s[0:3], 0 offset:776
	buffer_load_dword v114, off, s[0:3], 0 offset:756
	ds_read_b128 v[6:9], v1 offset:1456
	v_add_f64 v[105:106], v[105:106], 0
	v_add_f64 v[16:17], v[16:17], 0
	s_waitcnt vmcnt(58) lgkmcnt(1)
	v_mul_f64 v[121:122], v[2:3], v[22:23]
	v_mul_f64 v[22:23], v[4:5], v[22:23]
	s_waitcnt vmcnt(56)
	v_fma_f64 v[18:19], v[10:11], v[28:29], -v[18:19]
	v_fma_f64 v[28:29], v[12:13], v[28:29], v[116:117]
	v_add_f64 v[105:106], v[105:106], v[118:119]
	v_add_f64 v[14:15], v[16:17], v[14:15]
	s_clause 0x2
	buffer_load_dword v116, off, s[0:3], 0 offset:796
	buffer_load_dword v17, off, s[0:3], 0 offset:772
	;; [unrolled: 1-line block ×3, first 2 shown]
	s_waitcnt vmcnt(58) lgkmcnt(0)
	v_mul_f64 v[117:118], v[6:7], v[24:25]
	v_mul_f64 v[24:25], v[8:9], v[24:25]
	s_waitcnt vmcnt(56)
	v_fma_f64 v[22:23], v[2:3], v[30:31], -v[22:23]
	ds_read_b128 v[10:13], v1 offset:1472
	v_fma_f64 v[30:31], v[4:5], v[30:31], v[121:122]
	v_add_f64 v[18:19], v[105:106], v[18:19]
	v_add_f64 v[14:15], v[14:15], v[28:29]
	s_clause 0x4
	buffer_load_dword v29, off, s[0:3], 0 offset:812
	buffer_load_dword v105, off, s[0:3], 0 offset:824
	;; [unrolled: 1-line block ×5, first 2 shown]
	ds_read_b128 v[2:5], v1 offset:1488
	s_waitcnt vmcnt(57) lgkmcnt(1)
	v_mul_f64 v[123:124], v[10:11], v[32:33]
	v_mul_f64 v[32:33], v[12:13], v[32:33]
	s_waitcnt vmcnt(56)
	v_fma_f64 v[24:25], v[6:7], v[26:27], -v[24:25]
	v_add_f64 v[18:19], v[18:19], v[22:23]
	v_fma_f64 v[22:23], v[8:9], v[26:27], v[117:118]
	v_add_f64 v[14:15], v[14:15], v[30:31]
	s_clause 0x2
	buffer_load_dword v106, off, s[0:3], 0 offset:828
	buffer_load_dword v27, off, s[0:3], 0 offset:804
	;; [unrolled: 1-line block ×3, first 2 shown]
	s_waitcnt vmcnt(58) lgkmcnt(0)
	v_mul_f64 v[30:31], v[2:3], v[34:35]
	v_mul_f64 v[34:35], v[4:5], v[34:35]
	s_waitcnt vmcnt(56)
	v_fma_f64 v[32:33], v[10:11], v[38:39], -v[32:33]
	ds_read_b128 v[6:9], v1 offset:1504
	v_add_f64 v[18:19], v[18:19], v[24:25]
	v_fma_f64 v[24:25], v[12:13], v[38:39], v[123:124]
	v_add_f64 v[14:15], v[14:15], v[22:23]
	s_clause 0x4
	buffer_load_dword v23, off, s[0:3], 0 offset:844
	buffer_load_dword v38, off, s[0:3], 0 offset:856
	buffer_load_dword v117, off, s[0:3], 0 offset:848
	buffer_load_dword v22, off, s[0:3], 0 offset:840
	buffer_load_dword v123, off, s[0:3], 0 offset:820
	ds_read_b128 v[10:13], v1 offset:1520
	s_waitcnt vmcnt(57) lgkmcnt(1)
	v_mul_f64 v[118:119], v[6:7], v[40:41]
	v_mul_f64 v[40:41], v[8:9], v[40:41]
	s_waitcnt vmcnt(56)
	v_fma_f64 v[34:35], v[2:3], v[36:37], -v[34:35]
	v_fma_f64 v[30:31], v[4:5], v[36:37], v[30:31]
	v_add_f64 v[18:19], v[18:19], v[32:33]
	v_add_f64 v[14:15], v[14:15], v[24:25]
	s_clause 0x2
	buffer_load_dword v39, off, s[0:3], 0 offset:860
	buffer_load_dword v25, off, s[0:3], 0 offset:836
	;; [unrolled: 1-line block ×3, first 2 shown]
	s_waitcnt vmcnt(58) lgkmcnt(0)
	v_mul_f64 v[36:37], v[12:13], v[42:43]
	ds_read_b128 v[2:5], v1 offset:1536
	s_waitcnt vmcnt(56)
	v_fma_f64 v[40:41], v[6:7], v[46:47], -v[40:41]
	v_mul_f64 v[32:33], v[10:11], v[42:43]
	v_add_f64 v[18:19], v[18:19], v[34:35]
	v_fma_f64 v[34:35], v[8:9], v[46:47], v[118:119]
	v_add_f64 v[14:15], v[14:15], v[30:31]
	s_clause 0x4
	buffer_load_dword v31, off, s[0:3], 0 offset:876
	buffer_load_dword v42, off, s[0:3], 0 offset:888
	;; [unrolled: 1-line block ×5, first 2 shown]
	s_waitcnt vmcnt(57) lgkmcnt(0)
	v_mul_f64 v[124:125], v[2:3], v[48:49]
	v_mul_f64 v[47:48], v[4:5], v[48:49]
	s_waitcnt vmcnt(56)
	v_fma_f64 v[36:37], v[10:11], v[44:45], -v[36:37]
	ds_read_b128 v[6:9], v1 offset:1552
	v_fma_f64 v[32:33], v[12:13], v[44:45], v[32:33]
	v_add_f64 v[18:19], v[18:19], v[40:41]
	v_add_f64 v[14:15], v[14:15], v[34:35]
	s_clause 0x2
	buffer_load_dword v43, off, s[0:3], 0 offset:892
	buffer_load_dword v35, off, s[0:3], 0 offset:868
	buffer_load_dword v34, off, s[0:3], 0 offset:864
	ds_read_b128 v[10:13], v1 offset:1568
	s_waitcnt vmcnt(58) lgkmcnt(1)
	v_mul_f64 v[44:45], v[8:9], v[50:51]
	s_waitcnt vmcnt(56)
	v_fma_f64 v[48:49], v[2:3], v[54:55], -v[47:48]
	v_mul_f64 v[40:41], v[6:7], v[50:51]
	v_add_f64 v[18:19], v[18:19], v[36:37]
	v_fma_f64 v[36:37], v[4:5], v[54:55], v[124:125]
	v_add_f64 v[14:15], v[14:15], v[32:33]
	s_clause 0x4
	buffer_load_dword v33, off, s[0:3], 0 offset:908
	buffer_load_dword v50, off, s[0:3], 0 offset:920
	;; [unrolled: 1-line block ×5, first 2 shown]
	s_waitcnt vmcnt(57) lgkmcnt(0)
	v_mul_f64 v[124:125], v[10:11], v[56:57]
	v_mul_f64 v[55:56], v[12:13], v[56:57]
	s_waitcnt vmcnt(56)
	v_fma_f64 v[44:45], v[6:7], v[52:53], -v[44:45]
	ds_read_b128 v[2:5], v1 offset:1584
	v_fma_f64 v[40:41], v[8:9], v[52:53], v[40:41]
	v_add_f64 v[18:19], v[18:19], v[48:49]
	v_add_f64 v[14:15], v[14:15], v[36:37]
	s_clause 0x2
	buffer_load_dword v51, off, s[0:3], 0 offset:924
	buffer_load_dword v37, off, s[0:3], 0 offset:900
	buffer_load_dword v36, off, s[0:3], 0 offset:896
	ds_read_b128 v[6:9], v1 offset:1600
	s_waitcnt vmcnt(58) lgkmcnt(1)
	v_mul_f64 v[52:53], v[4:5], v[77:78]
	s_waitcnt vmcnt(56)
	v_fma_f64 v[56:57], v[10:11], v[89:90], -v[55:56]
	v_mul_f64 v[48:49], v[2:3], v[77:78]
	buffer_load_dword v55, off, s[0:3], 0 offset:916
	v_add_f64 v[18:19], v[18:19], v[44:45]
	v_fma_f64 v[44:45], v[12:13], v[89:90], v[124:125]
	v_add_f64 v[14:15], v[14:15], v[40:41]
	ds_read_b128 v[10:13], v1 offset:1616
	s_waitcnt vmcnt(53) lgkmcnt(1)
	v_mul_f64 v[77:78], v[8:9], v[91:92]
	s_waitcnt vmcnt(52)
	v_fma_f64 v[52:53], v[2:3], v[79:80], -v[52:53]
	v_mul_f64 v[40:41], v[6:7], v[91:92]
	v_fma_f64 v[48:49], v[4:5], v[79:80], v[48:49]
	ds_read_b128 v[2:5], v1 offset:1632
	v_add_f64 v[18:19], v[18:19], v[56:57]
	s_waitcnt vmcnt(51) lgkmcnt(1)
	v_mul_f64 v[56:57], v[12:13], v[99:100]
	v_add_f64 v[14:15], v[14:15], v[44:45]
	v_mul_f64 v[44:45], v[10:11], v[99:100]
	s_waitcnt vmcnt(49)
	v_fma_f64 v[77:78], v[6:7], v[103:104], -v[77:78]
	v_fma_f64 v[40:41], v[8:9], v[103:104], v[40:41]
	s_waitcnt vmcnt(45) lgkmcnt(0)
	v_mul_f64 v[89:90], v[4:5], v[109:110]
	v_mul_f64 v[79:80], v[2:3], v[109:110]
	v_add_f64 v[18:19], v[18:19], v[52:53]
	s_waitcnt vmcnt(44)
	v_fma_f64 v[56:57], v[10:11], v[101:102], -v[56:57]
	v_add_f64 v[14:15], v[14:15], v[48:49]
	s_clause 0x3
	buffer_load_dword v48, off, s[0:3], 0 offset:480
	buffer_load_dword v49, off, s[0:3], 0 offset:484
	;; [unrolled: 1-line block ×4, first 2 shown]
	ds_read_b128 v[6:9], v1 offset:1648
	v_fma_f64 v[44:45], v[12:13], v[101:102], v[44:45]
	ds_read_b128 v[10:13], v1 offset:1664
	v_add_f64 v[18:19], v[18:19], v[77:78]
	v_add_f64 v[14:15], v[14:15], v[40:41]
	s_waitcnt vmcnt(47) lgkmcnt(1)
	v_mul_f64 v[77:78], v[8:9], v[111:112]
	v_mul_f64 v[40:41], v[6:7], v[111:112]
	s_waitcnt vmcnt(45)
	v_fma_f64 v[89:90], v[2:3], v[107:108], -v[89:90]
	v_add_f64 v[18:19], v[18:19], v[56:57]
	v_fma_f64 v[56:57], v[4:5], v[107:108], v[79:80]
	v_add_f64 v[14:15], v[14:15], v[44:45]
	s_waitcnt vmcnt(41) lgkmcnt(0)
	v_mul_f64 v[44:45], v[10:11], v[20:21]
	v_mul_f64 v[20:21], v[12:13], v[20:21]
	ds_read_b128 v[2:5], v1 offset:1680
	s_waitcnt vmcnt(40)
	v_fma_f64 v[77:78], v[6:7], v[113:114], -v[77:78]
	v_fma_f64 v[40:41], v[8:9], v[113:114], v[40:41]
	ds_read_b128 v[6:9], v1 offset:1696
	v_add_f64 v[18:19], v[18:19], v[89:90]
	v_add_f64 v[14:15], v[14:15], v[56:57]
	s_waitcnt vmcnt(39) lgkmcnt(1)
	v_mul_f64 v[79:80], v[4:5], v[115:116]
	v_mul_f64 v[56:57], v[2:3], v[115:116]
	s_waitcnt vmcnt(37)
	v_fma_f64 v[20:21], v[10:11], v[16:17], -v[20:21]
	v_fma_f64 v[16:17], v[12:13], v[16:17], v[44:45]
	ds_read_b128 v[10:13], v1 offset:1712
	v_add_f64 v[18:19], v[18:19], v[77:78]
	v_add_f64 v[14:15], v[14:15], v[40:41]
	s_waitcnt vmcnt(33) lgkmcnt(1)
	v_mul_f64 v[40:41], v[6:7], v[28:29]
	v_mul_f64 v[28:29], v[8:9], v[28:29]
	s_waitcnt vmcnt(32)
	v_fma_f64 v[44:45], v[2:3], v[120:121], -v[79:80]
	v_add_f64 v[18:19], v[18:19], v[20:21]
	v_fma_f64 v[20:21], v[4:5], v[120:121], v[56:57]
	v_add_f64 v[14:15], v[14:15], v[16:17]
	ds_read_b128 v[2:5], v1 offset:1728
	s_waitcnt vmcnt(31) lgkmcnt(1)
	v_mul_f64 v[56:57], v[12:13], v[105:106]
	v_mul_f64 v[16:17], v[10:11], v[105:106]
	s_waitcnt vmcnt(29)
	v_fma_f64 v[28:29], v[6:7], v[26:27], -v[28:29]
	v_fma_f64 v[26:27], v[8:9], v[26:27], v[40:41]
	ds_read_b128 v[6:9], v1 offset:1744
	v_add_f64 v[18:19], v[18:19], v[44:45]
	v_add_f64 v[14:15], v[14:15], v[20:21]
	s_waitcnt vmcnt(25) lgkmcnt(1)
	v_mul_f64 v[20:21], v[2:3], v[22:23]
	v_mul_f64 v[22:23], v[4:5], v[22:23]
	s_waitcnt vmcnt(24)
	v_fma_f64 v[40:41], v[10:11], v[122:123], -v[56:57]
	v_fma_f64 v[16:17], v[12:13], v[122:123], v[16:17]
	ds_read_b128 v[10:13], v1 offset:1760
	v_add_f64 v[18:19], v[18:19], v[28:29]
	v_add_f64 v[14:15], v[14:15], v[26:27]
	;; [unrolled: 9-line block ×3, first 2 shown]
	s_waitcnt vmcnt(17) lgkmcnt(1)
	v_mul_f64 v[24:25], v[12:13], v[30:31]
	s_waitcnt vmcnt(16)
	v_fma_f64 v[28:29], v[6:7], v[117:118], -v[28:29]
	v_mul_f64 v[16:17], v[10:11], v[30:31]
	v_add_f64 v[18:19], v[18:19], v[22:23]
	v_fma_f64 v[22:23], v[8:9], v[117:118], v[26:27]
	v_add_f64 v[14:15], v[14:15], v[20:21]
	ds_read_b128 v[6:9], v1 offset:1792
	s_waitcnt vmcnt(15) lgkmcnt(1)
	v_mul_f64 v[26:27], v[4:5], v[42:43]
	v_mul_f64 v[20:21], v[2:3], v[42:43]
	s_waitcnt vmcnt(13)
	v_fma_f64 v[24:25], v[10:11], v[34:35], -v[24:25]
	v_fma_f64 v[16:17], v[12:13], v[34:35], v[16:17]
	ds_read_b128 v[10:13], v1 offset:1808
	v_add_f64 v[18:19], v[18:19], v[28:29]
	v_add_f64 v[14:15], v[14:15], v[22:23]
	s_waitcnt vmcnt(9) lgkmcnt(1)
	v_mul_f64 v[28:29], v[8:9], v[32:33]
	s_waitcnt vmcnt(8)
	v_fma_f64 v[2:3], v[2:3], v[46:47], -v[26:27]
	v_mul_f64 v[22:23], v[6:7], v[32:33]
	v_fma_f64 v[4:5], v[4:5], v[46:47], v[20:21]
	v_add_f64 v[18:19], v[18:19], v[24:25]
	v_add_f64 v[14:15], v[14:15], v[16:17]
	s_waitcnt vmcnt(7) lgkmcnt(0)
	v_mul_f64 v[20:21], v[12:13], v[50:51]
	v_mul_f64 v[16:17], v[10:11], v[50:51]
	s_waitcnt vmcnt(5)
	v_fma_f64 v[6:7], v[6:7], v[36:37], -v[28:29]
	v_fma_f64 v[8:9], v[8:9], v[36:37], v[22:23]
	v_add_f64 v[2:3], v[18:19], v[2:3]
	v_add_f64 v[4:5], v[14:15], v[4:5]
	s_waitcnt vmcnt(4)
	v_fma_f64 v[10:11], v[10:11], v[54:55], -v[20:21]
	v_add_f64 v[2:3], v[2:3], v[6:7]
	v_fma_f64 v[6:7], v[12:13], v[54:55], v[16:17]
	v_add_f64 v[4:5], v[4:5], v[8:9]
	v_add_f64 v[2:3], v[2:3], v[10:11]
	;; [unrolled: 1-line block ×3, first 2 shown]
	s_waitcnt vmcnt(2)
	v_add_f64 v[2:3], v[48:49], -v[2:3]
	s_waitcnt vmcnt(0)
	v_add_f64 v[4:5], v[52:53], -v[4:5]
	buffer_store_dword v3, off, s[0:3], 0 offset:484
	buffer_store_dword v2, off, s[0:3], 0 offset:480
	;; [unrolled: 1-line block ×4, first 2 shown]
	v_cmpx_lt_u32_e32 28, v0
	s_cbranch_execz .LBB56_299
; %bb.298:
	v_mov_b32_e32 v5, s41
	s_clause 0x3
	buffer_load_dword v2, v5, s[0:3], 0 offen
	buffer_load_dword v3, v5, s[0:3], 0 offen offset:4
	buffer_load_dword v4, v5, s[0:3], 0 offen offset:8
	;; [unrolled: 1-line block ×3, first 2 shown]
	buffer_store_dword v1, off, s[0:3], 0 offset:464
	buffer_store_dword v1, off, s[0:3], 0 offset:468
	;; [unrolled: 1-line block ×4, first 2 shown]
	s_waitcnt vmcnt(0)
	ds_write_b128 v59, v[2:5]
.LBB56_299:
	s_or_b32 exec_lo, exec_lo, s4
	s_waitcnt lgkmcnt(0)
	s_waitcnt_vscnt null, 0x0
	s_barrier
	buffer_gl0_inv
	s_clause 0x37
	buffer_load_dword v10, off, s[0:3], 0 offset:488
	buffer_load_dword v11, off, s[0:3], 0 offset:492
	;; [unrolled: 1-line block ×56, first 2 shown]
	ds_read_b128 v[2:5], v1 offset:1376
	s_clause 0x2
	buffer_load_dword v100, off, s[0:3], 0 offset:716
	buffer_load_dword v104, off, s[0:3], 0 offset:692
	;; [unrolled: 1-line block ×3, first 2 shown]
	ds_read_b128 v[6:9], v1 offset:1392
	s_clause 0x4
	buffer_load_dword v110, off, s[0:3], 0 offset:732
	buffer_load_dword v111, off, s[0:3], 0 offset:744
	;; [unrolled: 1-line block ×5, first 2 shown]
	s_mov_b32 s4, exec_lo
	s_waitcnt vmcnt(62) lgkmcnt(1)
	v_mul_f64 v[105:106], v[4:5], v[10:11]
	v_mul_f64 v[107:108], v[2:3], v[10:11]
	s_waitcnt vmcnt(60) lgkmcnt(0)
	v_mul_f64 v[114:115], v[8:9], v[14:15]
	ds_read_b128 v[10:13], v1 offset:1408
	v_mul_f64 v[14:15], v[6:7], v[14:15]
	s_waitcnt vmcnt(58)
	v_fma_f64 v[105:106], v[2:3], v[16:17], -v[105:106]
	v_fma_f64 v[16:17], v[4:5], v[16:17], v[107:108]
	s_clause 0x2
	buffer_load_dword v112, off, s[0:3], 0 offset:748
	buffer_load_dword v108, off, s[0:3], 0 offset:724
	;; [unrolled: 1-line block ×3, first 2 shown]
	s_waitcnt vmcnt(59) lgkmcnt(0)
	v_mul_f64 v[116:117], v[10:11], v[18:19]
	v_mul_f64 v[18:19], v[12:13], v[18:19]
	s_waitcnt vmcnt(57)
	v_fma_f64 v[118:119], v[6:7], v[20:21], -v[114:115]
	ds_read_b128 v[2:5], v1 offset:1424
	v_fma_f64 v[14:15], v[8:9], v[20:21], v[14:15]
	s_clause 0x4
	buffer_load_dword v21, off, s[0:3], 0 offset:764
	buffer_load_dword v115, off, s[0:3], 0 offset:776
	buffer_load_dword v120, off, s[0:3], 0 offset:768
	buffer_load_dword v20, off, s[0:3], 0 offset:760
	buffer_load_dword v114, off, s[0:3], 0 offset:740
	ds_read_b128 v[6:9], v1 offset:1440
	v_add_f64 v[105:106], v[105:106], 0
	v_add_f64 v[16:17], v[16:17], 0
	s_waitcnt vmcnt(58) lgkmcnt(1)
	v_mul_f64 v[121:122], v[2:3], v[22:23]
	v_mul_f64 v[22:23], v[4:5], v[22:23]
	s_waitcnt vmcnt(56)
	v_fma_f64 v[18:19], v[10:11], v[28:29], -v[18:19]
	v_fma_f64 v[28:29], v[12:13], v[28:29], v[116:117]
	v_add_f64 v[105:106], v[105:106], v[118:119]
	v_add_f64 v[14:15], v[16:17], v[14:15]
	s_clause 0x2
	buffer_load_dword v116, off, s[0:3], 0 offset:780
	buffer_load_dword v17, off, s[0:3], 0 offset:756
	;; [unrolled: 1-line block ×3, first 2 shown]
	s_waitcnt vmcnt(58) lgkmcnt(0)
	v_mul_f64 v[117:118], v[6:7], v[24:25]
	v_mul_f64 v[24:25], v[8:9], v[24:25]
	s_waitcnt vmcnt(56)
	v_fma_f64 v[22:23], v[2:3], v[30:31], -v[22:23]
	ds_read_b128 v[10:13], v1 offset:1456
	v_fma_f64 v[30:31], v[4:5], v[30:31], v[121:122]
	v_add_f64 v[18:19], v[105:106], v[18:19]
	v_add_f64 v[14:15], v[14:15], v[28:29]
	s_clause 0x4
	buffer_load_dword v29, off, s[0:3], 0 offset:796
	buffer_load_dword v105, off, s[0:3], 0 offset:808
	;; [unrolled: 1-line block ×5, first 2 shown]
	ds_read_b128 v[2:5], v1 offset:1472
	s_waitcnt vmcnt(57) lgkmcnt(1)
	v_mul_f64 v[123:124], v[10:11], v[32:33]
	v_mul_f64 v[32:33], v[12:13], v[32:33]
	s_waitcnt vmcnt(56)
	v_fma_f64 v[24:25], v[6:7], v[26:27], -v[24:25]
	v_add_f64 v[18:19], v[18:19], v[22:23]
	v_fma_f64 v[22:23], v[8:9], v[26:27], v[117:118]
	v_add_f64 v[14:15], v[14:15], v[30:31]
	s_clause 0x2
	buffer_load_dword v106, off, s[0:3], 0 offset:812
	buffer_load_dword v27, off, s[0:3], 0 offset:788
	;; [unrolled: 1-line block ×3, first 2 shown]
	s_waitcnt vmcnt(58) lgkmcnt(0)
	v_mul_f64 v[30:31], v[2:3], v[34:35]
	v_mul_f64 v[34:35], v[4:5], v[34:35]
	s_waitcnt vmcnt(56)
	v_fma_f64 v[32:33], v[10:11], v[38:39], -v[32:33]
	ds_read_b128 v[6:9], v1 offset:1488
	v_add_f64 v[18:19], v[18:19], v[24:25]
	v_fma_f64 v[24:25], v[12:13], v[38:39], v[123:124]
	v_add_f64 v[14:15], v[14:15], v[22:23]
	s_clause 0x4
	buffer_load_dword v23, off, s[0:3], 0 offset:828
	buffer_load_dword v38, off, s[0:3], 0 offset:840
	;; [unrolled: 1-line block ×5, first 2 shown]
	ds_read_b128 v[10:13], v1 offset:1504
	s_waitcnt vmcnt(57) lgkmcnt(1)
	v_mul_f64 v[118:119], v[6:7], v[40:41]
	v_mul_f64 v[40:41], v[8:9], v[40:41]
	s_waitcnt vmcnt(56)
	v_fma_f64 v[34:35], v[2:3], v[36:37], -v[34:35]
	v_fma_f64 v[30:31], v[4:5], v[36:37], v[30:31]
	v_add_f64 v[18:19], v[18:19], v[32:33]
	v_add_f64 v[14:15], v[14:15], v[24:25]
	s_clause 0x2
	buffer_load_dword v39, off, s[0:3], 0 offset:844
	buffer_load_dword v25, off, s[0:3], 0 offset:820
	;; [unrolled: 1-line block ×3, first 2 shown]
	s_waitcnt vmcnt(58) lgkmcnt(0)
	v_mul_f64 v[36:37], v[12:13], v[42:43]
	ds_read_b128 v[2:5], v1 offset:1520
	s_waitcnt vmcnt(56)
	v_fma_f64 v[40:41], v[6:7], v[46:47], -v[40:41]
	v_mul_f64 v[32:33], v[10:11], v[42:43]
	v_add_f64 v[18:19], v[18:19], v[34:35]
	v_fma_f64 v[34:35], v[8:9], v[46:47], v[118:119]
	v_add_f64 v[14:15], v[14:15], v[30:31]
	s_clause 0x4
	buffer_load_dword v31, off, s[0:3], 0 offset:860
	buffer_load_dword v42, off, s[0:3], 0 offset:872
	;; [unrolled: 1-line block ×5, first 2 shown]
	s_waitcnt vmcnt(57) lgkmcnt(0)
	v_mul_f64 v[124:125], v[2:3], v[48:49]
	v_mul_f64 v[47:48], v[4:5], v[48:49]
	s_waitcnt vmcnt(56)
	v_fma_f64 v[36:37], v[10:11], v[44:45], -v[36:37]
	ds_read_b128 v[6:9], v1 offset:1536
	v_fma_f64 v[32:33], v[12:13], v[44:45], v[32:33]
	v_add_f64 v[18:19], v[18:19], v[40:41]
	v_add_f64 v[14:15], v[14:15], v[34:35]
	s_clause 0x2
	buffer_load_dword v43, off, s[0:3], 0 offset:876
	buffer_load_dword v35, off, s[0:3], 0 offset:852
	buffer_load_dword v34, off, s[0:3], 0 offset:848
	ds_read_b128 v[10:13], v1 offset:1552
	s_waitcnt vmcnt(58) lgkmcnt(1)
	v_mul_f64 v[44:45], v[8:9], v[50:51]
	s_waitcnt vmcnt(56)
	v_fma_f64 v[48:49], v[2:3], v[54:55], -v[47:48]
	v_mul_f64 v[40:41], v[6:7], v[50:51]
	v_add_f64 v[18:19], v[18:19], v[36:37]
	v_fma_f64 v[36:37], v[4:5], v[54:55], v[124:125]
	v_add_f64 v[14:15], v[14:15], v[32:33]
	s_clause 0x4
	buffer_load_dword v33, off, s[0:3], 0 offset:892
	buffer_load_dword v50, off, s[0:3], 0 offset:904
	;; [unrolled: 1-line block ×5, first 2 shown]
	s_waitcnt vmcnt(57) lgkmcnt(0)
	v_mul_f64 v[124:125], v[10:11], v[56:57]
	v_mul_f64 v[55:56], v[12:13], v[56:57]
	s_waitcnt vmcnt(56)
	v_fma_f64 v[44:45], v[6:7], v[52:53], -v[44:45]
	ds_read_b128 v[2:5], v1 offset:1568
	v_fma_f64 v[40:41], v[8:9], v[52:53], v[40:41]
	v_add_f64 v[18:19], v[18:19], v[48:49]
	v_add_f64 v[14:15], v[14:15], v[36:37]
	s_clause 0x2
	buffer_load_dword v51, off, s[0:3], 0 offset:908
	buffer_load_dword v37, off, s[0:3], 0 offset:884
	;; [unrolled: 1-line block ×3, first 2 shown]
	ds_read_b128 v[6:9], v1 offset:1584
	s_waitcnt vmcnt(58) lgkmcnt(1)
	v_mul_f64 v[52:53], v[4:5], v[77:78]
	s_waitcnt vmcnt(56)
	v_fma_f64 v[56:57], v[10:11], v[89:90], -v[55:56]
	v_mul_f64 v[48:49], v[2:3], v[77:78]
	v_add_f64 v[18:19], v[18:19], v[44:45]
	v_fma_f64 v[44:45], v[12:13], v[89:90], v[124:125]
	v_add_f64 v[14:15], v[14:15], v[40:41]
	s_clause 0x2
	buffer_load_dword v41, off, s[0:3], 0 offset:924
	buffer_load_dword v40, off, s[0:3], 0 offset:920
	;; [unrolled: 1-line block ×3, first 2 shown]
	s_waitcnt vmcnt(55) lgkmcnt(0)
	v_mul_f64 v[89:90], v[8:9], v[91:92]
	s_waitcnt vmcnt(54)
	v_fma_f64 v[52:53], v[2:3], v[79:80], -v[52:53]
	ds_read_b128 v[10:13], v1 offset:1600
	v_mul_f64 v[77:78], v[6:7], v[91:92]
	v_fma_f64 v[48:49], v[4:5], v[79:80], v[48:49]
	v_add_f64 v[18:19], v[18:19], v[56:57]
	v_add_f64 v[14:15], v[14:15], v[44:45]
	s_clause 0x1
	buffer_load_dword v45, off, s[0:3], 0 offset:916
	buffer_load_dword v44, off, s[0:3], 0 offset:912
	s_waitcnt vmcnt(55) lgkmcnt(0)
	v_mul_f64 v[79:80], v[12:13], v[99:100]
	s_waitcnt vmcnt(53)
	v_fma_f64 v[89:90], v[6:7], v[103:104], -v[89:90]
	ds_read_b128 v[2:5], v1 offset:1616
	v_mul_f64 v[56:57], v[10:11], v[99:100]
	v_add_f64 v[18:19], v[18:19], v[52:53]
	v_fma_f64 v[52:53], v[8:9], v[103:104], v[77:78]
	v_add_f64 v[14:15], v[14:15], v[48:49]
	ds_read_b128 v[6:9], v1 offset:1632
	s_waitcnt vmcnt(49) lgkmcnt(1)
	v_mul_f64 v[77:78], v[4:5], v[109:110]
	s_waitcnt vmcnt(48)
	v_fma_f64 v[79:80], v[10:11], v[101:102], -v[79:80]
	v_mul_f64 v[48:49], v[2:3], v[109:110]
	v_fma_f64 v[56:57], v[12:13], v[101:102], v[56:57]
	v_add_f64 v[18:19], v[18:19], v[89:90]
	v_add_f64 v[14:15], v[14:15], v[52:53]
	s_clause 0x3
	buffer_load_dword v52, off, s[0:3], 0 offset:464
	buffer_load_dword v53, off, s[0:3], 0 offset:468
	buffer_load_dword v89, off, s[0:3], 0 offset:472
	buffer_load_dword v90, off, s[0:3], 0 offset:476
	ds_read_b128 v[10:13], v1 offset:1648
	s_waitcnt vmcnt(51) lgkmcnt(1)
	v_mul_f64 v[99:100], v[8:9], v[111:112]
	v_mul_f64 v[91:92], v[6:7], v[111:112]
	s_waitcnt vmcnt(49)
	v_fma_f64 v[77:78], v[2:3], v[107:108], -v[77:78]
	v_fma_f64 v[48:49], v[4:5], v[107:108], v[48:49]
	ds_read_b128 v[2:5], v1 offset:1664
	v_add_f64 v[18:19], v[18:19], v[79:80]
	v_add_f64 v[14:15], v[14:15], v[56:57]
	s_waitcnt vmcnt(45) lgkmcnt(1)
	v_mul_f64 v[56:57], v[10:11], v[20:21]
	v_mul_f64 v[20:21], v[12:13], v[20:21]
	s_waitcnt vmcnt(44)
	v_fma_f64 v[79:80], v[6:7], v[113:114], -v[99:100]
	v_add_f64 v[18:19], v[18:19], v[77:78]
	v_fma_f64 v[77:78], v[8:9], v[113:114], v[91:92]
	v_add_f64 v[14:15], v[14:15], v[48:49]
	ds_read_b128 v[6:9], v1 offset:1680
	s_waitcnt vmcnt(43) lgkmcnt(1)
	v_mul_f64 v[91:92], v[4:5], v[115:116]
	v_mul_f64 v[48:49], v[2:3], v[115:116]
	s_waitcnt vmcnt(41)
	v_fma_f64 v[20:21], v[10:11], v[16:17], -v[20:21]
	v_fma_f64 v[16:17], v[12:13], v[16:17], v[56:57]
	ds_read_b128 v[10:13], v1 offset:1696
	v_add_f64 v[18:19], v[18:19], v[79:80]
	v_add_f64 v[14:15], v[14:15], v[77:78]
	s_waitcnt vmcnt(37) lgkmcnt(1)
	v_mul_f64 v[56:57], v[6:7], v[28:29]
	v_mul_f64 v[28:29], v[8:9], v[28:29]
	s_waitcnt vmcnt(36)
	v_fma_f64 v[77:78], v[2:3], v[120:121], -v[91:92]
	v_add_f64 v[18:19], v[18:19], v[20:21]
	v_fma_f64 v[20:21], v[4:5], v[120:121], v[48:49]
	v_add_f64 v[14:15], v[14:15], v[16:17]
	ds_read_b128 v[2:5], v1 offset:1712
	s_waitcnt vmcnt(35) lgkmcnt(1)
	v_mul_f64 v[48:49], v[12:13], v[105:106]
	v_mul_f64 v[16:17], v[10:11], v[105:106]
	s_waitcnt vmcnt(33)
	v_fma_f64 v[28:29], v[6:7], v[26:27], -v[28:29]
	v_fma_f64 v[26:27], v[8:9], v[26:27], v[56:57]
	ds_read_b128 v[6:9], v1 offset:1728
	v_add_f64 v[18:19], v[18:19], v[77:78]
	v_add_f64 v[14:15], v[14:15], v[20:21]
	s_waitcnt vmcnt(29) lgkmcnt(1)
	v_mul_f64 v[20:21], v[2:3], v[22:23]
	v_mul_f64 v[22:23], v[4:5], v[22:23]
	s_waitcnt vmcnt(28)
	v_fma_f64 v[48:49], v[10:11], v[122:123], -v[48:49]
	v_fma_f64 v[16:17], v[12:13], v[122:123], v[16:17]
	ds_read_b128 v[10:13], v1 offset:1744
	v_add_f64 v[18:19], v[18:19], v[28:29]
	v_add_f64 v[14:15], v[14:15], v[26:27]
	;; [unrolled: 9-line block ×3, first 2 shown]
	s_waitcnt vmcnt(21) lgkmcnt(1)
	v_mul_f64 v[24:25], v[12:13], v[30:31]
	s_waitcnt vmcnt(20)
	v_fma_f64 v[28:29], v[6:7], v[117:118], -v[28:29]
	v_mul_f64 v[16:17], v[10:11], v[30:31]
	v_add_f64 v[18:19], v[18:19], v[22:23]
	v_fma_f64 v[22:23], v[8:9], v[117:118], v[26:27]
	v_add_f64 v[14:15], v[14:15], v[20:21]
	ds_read_b128 v[6:9], v1 offset:1776
	s_waitcnt vmcnt(19) lgkmcnt(1)
	v_mul_f64 v[26:27], v[4:5], v[42:43]
	v_mul_f64 v[20:21], v[2:3], v[42:43]
	s_waitcnt vmcnt(17)
	v_fma_f64 v[24:25], v[10:11], v[34:35], -v[24:25]
	v_fma_f64 v[16:17], v[12:13], v[34:35], v[16:17]
	ds_read_b128 v[10:13], v1 offset:1792
	v_add_f64 v[18:19], v[18:19], v[28:29]
	v_add_f64 v[14:15], v[14:15], v[22:23]
	s_waitcnt vmcnt(13) lgkmcnt(1)
	v_mul_f64 v[28:29], v[8:9], v[32:33]
	s_waitcnt vmcnt(12)
	v_fma_f64 v[26:27], v[2:3], v[46:47], -v[26:27]
	v_mul_f64 v[22:23], v[6:7], v[32:33]
	v_fma_f64 v[20:21], v[4:5], v[46:47], v[20:21]
	ds_read_b128 v[1:4], v1 offset:1808
	v_add_f64 v[18:19], v[18:19], v[24:25]
	v_add_f64 v[14:15], v[14:15], v[16:17]
	s_waitcnt vmcnt(11) lgkmcnt(1)
	v_mul_f64 v[24:25], v[12:13], v[50:51]
	v_mul_f64 v[16:17], v[10:11], v[50:51]
	s_waitcnt vmcnt(9)
	v_fma_f64 v[5:6], v[6:7], v[36:37], -v[28:29]
	v_fma_f64 v[7:8], v[8:9], v[36:37], v[22:23]
	v_add_f64 v[18:19], v[18:19], v[26:27]
	v_add_f64 v[14:15], v[14:15], v[20:21]
	s_waitcnt vmcnt(7) lgkmcnt(0)
	v_mul_f64 v[22:23], v[3:4], v[40:41]
	s_waitcnt vmcnt(6)
	v_fma_f64 v[9:10], v[10:11], v[54:55], -v[24:25]
	v_mul_f64 v[20:21], v[1:2], v[40:41]
	v_fma_f64 v[11:12], v[12:13], v[54:55], v[16:17]
	v_add_f64 v[5:6], v[18:19], v[5:6]
	v_add_f64 v[7:8], v[14:15], v[7:8]
	s_waitcnt vmcnt(4)
	v_fma_f64 v[1:2], v[1:2], v[44:45], -v[22:23]
	v_fma_f64 v[3:4], v[3:4], v[44:45], v[20:21]
	v_add_f64 v[5:6], v[5:6], v[9:10]
	v_add_f64 v[7:8], v[7:8], v[11:12]
	;; [unrolled: 1-line block ×4, first 2 shown]
	s_waitcnt vmcnt(2)
	v_add_f64 v[1:2], v[52:53], -v[1:2]
	s_waitcnt vmcnt(0)
	v_add_f64 v[3:4], v[89:90], -v[3:4]
	buffer_store_dword v2, off, s[0:3], 0 offset:468
	buffer_store_dword v1, off, s[0:3], 0 offset:464
	;; [unrolled: 1-line block ×4, first 2 shown]
	v_cmpx_lt_u32_e32 27, v0
	s_cbranch_execz .LBB56_301
; %bb.300:
	v_mov_b32_e32 v4, s42
	v_mov_b32_e32 v5, 0
	s_clause 0x3
	buffer_load_dword v1, v4, s[0:3], 0 offen
	buffer_load_dword v2, v4, s[0:3], 0 offen offset:4
	buffer_load_dword v3, v4, s[0:3], 0 offen offset:8
	;; [unrolled: 1-line block ×3, first 2 shown]
	buffer_store_dword v5, off, s[0:3], 0 offset:448
	buffer_store_dword v5, off, s[0:3], 0 offset:452
	;; [unrolled: 1-line block ×4, first 2 shown]
	s_waitcnt vmcnt(0)
	ds_write_b128 v59, v[1:4]
.LBB56_301:
	s_or_b32 exec_lo, exec_lo, s4
	s_waitcnt lgkmcnt(0)
	s_waitcnt_vscnt null, 0x0
	s_barrier
	buffer_gl0_inv
	s_clause 0x37
	buffer_load_dword v9, off, s[0:3], 0 offset:472
	buffer_load_dword v10, off, s[0:3], 0 offset:476
	;; [unrolled: 1-line block ×56, first 2 shown]
	v_mov_b32_e32 v11, 0
	s_mov_b32 s4, exec_lo
	ds_read_b128 v[5:8], v11 offset:1360
	s_clause 0x2
	buffer_load_dword v102, off, s[0:3], 0 offset:700
	buffer_load_dword v106, off, s[0:3], 0 offset:676
	;; [unrolled: 1-line block ×3, first 2 shown]
	ds_read_b128 v[12:15], v11 offset:1376
	s_clause 0x4
	buffer_load_dword v110, off, s[0:3], 0 offset:716
	buffer_load_dword v111, off, s[0:3], 0 offset:728
	;; [unrolled: 1-line block ×5, first 2 shown]
	ds_read_b128 v[16:19], v11 offset:1392
	s_waitcnt vmcnt(62) lgkmcnt(2)
	v_mul_f64 v[107:108], v[7:8], v[9:10]
	v_mul_f64 v[9:10], v[5:6], v[9:10]
	s_waitcnt vmcnt(60) lgkmcnt(1)
	v_mul_f64 v[114:115], v[14:15], v[20:21]
	v_mul_f64 v[20:21], v[12:13], v[20:21]
	;; [unrolled: 3-line block ×3, first 2 shown]
	v_fma_f64 v[107:108], v[5:6], v[22:23], -v[107:108]
	v_fma_f64 v[9:10], v[7:8], v[22:23], v[9:10]
	s_clause 0x2
	buffer_load_dword v112, off, s[0:3], 0 offset:732
	buffer_load_dword v23, off, s[0:3], 0 offset:708
	;; [unrolled: 1-line block ×3, first 2 shown]
	s_waitcnt vmcnt(57)
	v_fma_f64 v[12:13], v[12:13], v[1:2], -v[114:115]
	ds_read_b128 v[5:8], v11 offset:1408
	v_fma_f64 v[14:15], v[14:15], v[1:2], v[20:21]
	s_clause 0x4
	buffer_load_dword v21, off, s[0:3], 0 offset:748
	buffer_load_dword v115, off, s[0:3], 0 offset:760
	;; [unrolled: 1-line block ×5, first 2 shown]
	s_waitcnt vmcnt(56)
	v_fma_f64 v[16:17], v[16:17], v[30:31], -v[118:119]
	ds_read_b128 v[1:4], v11 offset:1424
	v_fma_f64 v[18:19], v[18:19], v[30:31], v[116:117]
	s_clause 0x2
	buffer_load_dword v116, off, s[0:3], 0 offset:764
	buffer_load_dword v31, off, s[0:3], 0 offset:740
	;; [unrolled: 1-line block ×3, first 2 shown]
	v_add_f64 v[107:108], v[107:108], 0
	v_add_f64 v[9:10], v[9:10], 0
	s_waitcnt lgkmcnt(1)
	v_mul_f64 v[121:122], v[5:6], v[24:25]
	v_mul_f64 v[24:25], v[7:8], v[24:25]
	s_waitcnt vmcnt(58) lgkmcnt(0)
	v_mul_f64 v[117:118], v[1:2], v[26:27]
	v_mul_f64 v[26:27], v[3:4], v[26:27]
	v_add_f64 v[107:108], v[107:108], v[12:13]
	v_add_f64 v[9:10], v[9:10], v[14:15]
	ds_read_b128 v[12:15], v11 offset:1440
	s_waitcnt vmcnt(56)
	v_fma_f64 v[24:25], v[5:6], v[32:33], -v[24:25]
	v_fma_f64 v[32:33], v[7:8], v[32:33], v[121:122]
	s_waitcnt vmcnt(51)
	v_fma_f64 v[26:27], v[1:2], v[28:29], -v[26:27]
	s_waitcnt lgkmcnt(0)
	v_mul_f64 v[123:124], v[12:13], v[34:35]
	v_add_f64 v[16:17], v[107:108], v[16:17]
	v_add_f64 v[9:10], v[9:10], v[18:19]
	s_clause 0x4
	buffer_load_dword v19, off, s[0:3], 0 offset:780
	buffer_load_dword v107, off, s[0:3], 0 offset:792
	;; [unrolled: 1-line block ×5, first 2 shown]
	v_mul_f64 v[34:35], v[14:15], v[34:35]
	ds_read_b128 v[5:8], v11 offset:1456
	v_add_f64 v[16:17], v[16:17], v[24:25]
	v_fma_f64 v[24:25], v[3:4], v[28:29], v[117:118]
	v_add_f64 v[9:10], v[9:10], v[32:33]
	s_clause 0x2
	buffer_load_dword v108, off, s[0:3], 0 offset:796
	buffer_load_dword v29, off, s[0:3], 0 offset:772
	;; [unrolled: 1-line block ×3, first 2 shown]
	s_waitcnt vmcnt(58) lgkmcnt(0)
	v_mul_f64 v[32:33], v[5:6], v[36:37]
	v_mul_f64 v[36:37], v[7:8], v[36:37]
	s_waitcnt vmcnt(56)
	v_fma_f64 v[34:35], v[12:13], v[40:41], -v[34:35]
	ds_read_b128 v[1:4], v11 offset:1472
	v_add_f64 v[16:17], v[16:17], v[26:27]
	v_fma_f64 v[26:27], v[14:15], v[40:41], v[123:124]
	v_add_f64 v[9:10], v[9:10], v[24:25]
	s_clause 0x4
	buffer_load_dword v25, off, s[0:3], 0 offset:812
	buffer_load_dword v40, off, s[0:3], 0 offset:824
	;; [unrolled: 1-line block ×5, first 2 shown]
	ds_read_b128 v[12:15], v11 offset:1488
	s_waitcnt vmcnt(57) lgkmcnt(1)
	v_mul_f64 v[118:119], v[1:2], v[42:43]
	v_mul_f64 v[42:43], v[3:4], v[42:43]
	s_waitcnt vmcnt(56)
	v_fma_f64 v[36:37], v[5:6], v[38:39], -v[36:37]
	v_fma_f64 v[32:33], v[7:8], v[38:39], v[32:33]
	v_add_f64 v[16:17], v[16:17], v[34:35]
	v_add_f64 v[9:10], v[9:10], v[26:27]
	s_clause 0x2
	buffer_load_dword v41, off, s[0:3], 0 offset:828
	buffer_load_dword v27, off, s[0:3], 0 offset:804
	;; [unrolled: 1-line block ×3, first 2 shown]
	s_waitcnt vmcnt(58) lgkmcnt(0)
	v_mul_f64 v[38:39], v[14:15], v[44:45]
	ds_read_b128 v[5:8], v11 offset:1504
	s_waitcnt vmcnt(56)
	v_fma_f64 v[42:43], v[1:2], v[48:49], -v[42:43]
	v_mul_f64 v[34:35], v[12:13], v[44:45]
	v_add_f64 v[16:17], v[16:17], v[36:37]
	v_fma_f64 v[36:37], v[3:4], v[48:49], v[118:119]
	v_add_f64 v[9:10], v[9:10], v[32:33]
	s_clause 0x4
	buffer_load_dword v33, off, s[0:3], 0 offset:844
	buffer_load_dword v44, off, s[0:3], 0 offset:856
	buffer_load_dword v48, off, s[0:3], 0 offset:848
	buffer_load_dword v32, off, s[0:3], 0 offset:840
	buffer_load_dword v118, off, s[0:3], 0 offset:820
	s_waitcnt vmcnt(57) lgkmcnt(0)
	v_mul_f64 v[124:125], v[5:6], v[50:51]
	v_mul_f64 v[49:50], v[7:8], v[50:51]
	s_waitcnt vmcnt(56)
	v_fma_f64 v[38:39], v[12:13], v[46:47], -v[38:39]
	ds_read_b128 v[1:4], v11 offset:1520
	v_fma_f64 v[34:35], v[14:15], v[46:47], v[34:35]
	v_add_f64 v[16:17], v[16:17], v[42:43]
	v_add_f64 v[9:10], v[9:10], v[36:37]
	s_clause 0x2
	buffer_load_dword v45, off, s[0:3], 0 offset:860
	buffer_load_dword v37, off, s[0:3], 0 offset:836
	buffer_load_dword v36, off, s[0:3], 0 offset:832
	ds_read_b128 v[12:15], v11 offset:1536
	s_waitcnt vmcnt(58) lgkmcnt(1)
	v_mul_f64 v[46:47], v[3:4], v[52:53]
	s_waitcnt vmcnt(56)
	v_fma_f64 v[50:51], v[5:6], v[56:57], -v[49:50]
	v_mul_f64 v[42:43], v[1:2], v[52:53]
	v_add_f64 v[16:17], v[16:17], v[38:39]
	v_fma_f64 v[38:39], v[7:8], v[56:57], v[124:125]
	v_add_f64 v[9:10], v[9:10], v[34:35]
	s_clause 0x4
	buffer_load_dword v35, off, s[0:3], 0 offset:876
	buffer_load_dword v52, off, s[0:3], 0 offset:888
	buffer_load_dword v56, off, s[0:3], 0 offset:880
	buffer_load_dword v34, off, s[0:3], 0 offset:872
	buffer_load_dword v49, off, s[0:3], 0 offset:852
	s_waitcnt vmcnt(57) lgkmcnt(0)
	v_mul_f64 v[57:58], v[12:13], v[77:78]
	v_mul_f64 v[77:78], v[14:15], v[77:78]
	s_waitcnt vmcnt(56)
	v_fma_f64 v[46:47], v[1:2], v[54:55], -v[46:47]
	ds_read_b128 v[5:8], v11 offset:1552
	v_fma_f64 v[42:43], v[3:4], v[54:55], v[42:43]
	v_add_f64 v[16:17], v[16:17], v[50:51]
	v_add_f64 v[9:10], v[9:10], v[38:39]
	s_clause 0x2
	buffer_load_dword v53, off, s[0:3], 0 offset:892
	buffer_load_dword v39, off, s[0:3], 0 offset:868
	buffer_load_dword v38, off, s[0:3], 0 offset:864
	ds_read_b128 v[1:4], v11 offset:1568
	s_waitcnt vmcnt(58) lgkmcnt(1)
	v_mul_f64 v[54:55], v[7:8], v[79:80]
	;; [unrolled: 28-line block ×3, first 2 shown]
	s_waitcnt vmcnt(56)
	v_fma_f64 v[99:100], v[1:2], v[105:106], -v[99:100]
	v_mul_f64 v[77:78], v[12:13], v[101:102]
	buffer_load_dword v92, off, s[0:3], 0 offset:916
	v_add_f64 v[16:17], v[16:17], v[54:55]
	v_fma_f64 v[54:55], v[3:4], v[105:106], v[124:125]
	v_add_f64 v[9:10], v[9:10], v[50:51]
	ds_read_b128 v[1:4], v11 offset:1616
	s_waitcnt vmcnt(53) lgkmcnt(1)
	v_mul_f64 v[101:102], v[7:8], v[109:110]
	s_waitcnt vmcnt(52)
	v_fma_f64 v[89:90], v[12:13], v[103:104], -v[89:90]
	v_mul_f64 v[50:51], v[5:6], v[109:110]
	v_fma_f64 v[77:78], v[14:15], v[103:104], v[77:78]
	ds_read_b128 v[12:15], v11 offset:1632
	v_add_f64 v[16:17], v[16:17], v[99:100]
	v_add_f64 v[9:10], v[9:10], v[54:55]
	s_waitcnt vmcnt(51) lgkmcnt(1)
	v_mul_f64 v[99:100], v[3:4], v[111:112]
	v_mul_f64 v[54:55], v[1:2], v[111:112]
	s_waitcnt vmcnt(49)
	v_fma_f64 v[101:102], v[5:6], v[22:23], -v[101:102]
	v_fma_f64 v[22:23], v[7:8], v[22:23], v[50:51]
	v_add_f64 v[16:17], v[16:17], v[89:90]
	s_waitcnt vmcnt(45) lgkmcnt(0)
	v_mul_f64 v[89:90], v[12:13], v[20:21]
	v_add_f64 v[9:10], v[9:10], v[77:78]
	s_clause 0x3
	buffer_load_dword v50, off, s[0:3], 0 offset:448
	buffer_load_dword v51, off, s[0:3], 0 offset:452
	;; [unrolled: 1-line block ×4, first 2 shown]
	v_mul_f64 v[20:21], v[14:15], v[20:21]
	ds_read_b128 v[5:8], v11 offset:1648
	s_waitcnt vmcnt(48)
	v_fma_f64 v[99:100], v[1:2], v[113:114], -v[99:100]
	v_fma_f64 v[54:55], v[3:4], v[113:114], v[54:55]
	ds_read_b128 v[1:4], v11 offset:1664
	v_add_f64 v[16:17], v[16:17], v[101:102]
	v_add_f64 v[9:10], v[9:10], v[22:23]
	s_waitcnt vmcnt(47) lgkmcnt(1)
	v_mul_f64 v[101:102], v[7:8], v[115:116]
	s_waitcnt vmcnt(45)
	v_fma_f64 v[20:21], v[12:13], v[30:31], -v[20:21]
	v_mul_f64 v[22:23], v[5:6], v[115:116]
	v_fma_f64 v[30:31], v[14:15], v[30:31], v[89:90]
	ds_read_b128 v[12:15], v11 offset:1680
	v_add_f64 v[16:17], v[16:17], v[99:100]
	v_add_f64 v[9:10], v[9:10], v[54:55]
	s_waitcnt vmcnt(41) lgkmcnt(1)
	v_mul_f64 v[54:55], v[1:2], v[18:19]
	v_mul_f64 v[18:19], v[3:4], v[18:19]
	s_waitcnt vmcnt(40)
	v_fma_f64 v[89:90], v[5:6], v[120:121], -v[101:102]
	v_add_f64 v[16:17], v[16:17], v[20:21]
	v_fma_f64 v[20:21], v[7:8], v[120:121], v[22:23]
	v_add_f64 v[9:10], v[9:10], v[30:31]
	ds_read_b128 v[5:8], v11 offset:1696
	s_waitcnt vmcnt(39) lgkmcnt(1)
	v_mul_f64 v[30:31], v[14:15], v[107:108]
	v_mul_f64 v[22:23], v[12:13], v[107:108]
	s_waitcnt vmcnt(37)
	v_fma_f64 v[18:19], v[1:2], v[28:29], -v[18:19]
	v_fma_f64 v[28:29], v[3:4], v[28:29], v[54:55]
	ds_read_b128 v[1:4], v11 offset:1712
	v_add_f64 v[16:17], v[16:17], v[89:90]
	v_add_f64 v[9:10], v[9:10], v[20:21]
	s_waitcnt vmcnt(33) lgkmcnt(1)
	v_mul_f64 v[20:21], v[5:6], v[24:25]
	v_mul_f64 v[24:25], v[7:8], v[24:25]
	s_waitcnt vmcnt(32)
	v_fma_f64 v[30:31], v[12:13], v[122:123], -v[30:31]
	v_add_f64 v[16:17], v[16:17], v[18:19]
	v_fma_f64 v[18:19], v[14:15], v[122:123], v[22:23]
	v_add_f64 v[9:10], v[9:10], v[28:29]
	ds_read_b128 v[12:15], v11 offset:1728
	s_waitcnt vmcnt(31) lgkmcnt(1)
	v_mul_f64 v[28:29], v[3:4], v[40:41]
	v_mul_f64 v[22:23], v[1:2], v[40:41]
	s_waitcnt vmcnt(29)
	v_fma_f64 v[24:25], v[5:6], v[26:27], -v[24:25]
	v_fma_f64 v[20:21], v[7:8], v[26:27], v[20:21]
	ds_read_b128 v[5:8], v11 offset:1744
	v_add_f64 v[16:17], v[16:17], v[30:31]
	v_add_f64 v[9:10], v[9:10], v[18:19]
	s_waitcnt vmcnt(25) lgkmcnt(1)
	v_mul_f64 v[26:27], v[14:15], v[32:33]
	s_waitcnt vmcnt(24)
	v_fma_f64 v[28:29], v[1:2], v[117:118], -v[28:29]
	v_mul_f64 v[18:19], v[12:13], v[32:33]
	v_fma_f64 v[22:23], v[3:4], v[117:118], v[22:23]
	ds_read_b128 v[1:4], v11 offset:1760
	v_add_f64 v[16:17], v[16:17], v[24:25]
	v_add_f64 v[9:10], v[9:10], v[20:21]
	s_waitcnt vmcnt(23) lgkmcnt(1)
	v_mul_f64 v[24:25], v[7:8], v[44:45]
	v_mul_f64 v[20:21], v[5:6], v[44:45]
	s_waitcnt vmcnt(21)
	v_fma_f64 v[26:27], v[12:13], v[36:37], -v[26:27]
	v_fma_f64 v[18:19], v[14:15], v[36:37], v[18:19]
	ds_read_b128 v[12:15], v11 offset:1776
	v_add_f64 v[16:17], v[16:17], v[28:29]
	v_add_f64 v[9:10], v[9:10], v[22:23]
	s_waitcnt vmcnt(17) lgkmcnt(1)
	v_mul_f64 v[28:29], v[3:4], v[34:35]
	s_waitcnt vmcnt(16)
	v_fma_f64 v[24:25], v[5:6], v[48:49], -v[24:25]
	v_mul_f64 v[22:23], v[1:2], v[34:35]
	v_fma_f64 v[20:21], v[7:8], v[48:49], v[20:21]
	ds_read_b128 v[5:8], v11 offset:1792
	v_add_f64 v[16:17], v[16:17], v[26:27]
	v_add_f64 v[9:10], v[9:10], v[18:19]
	s_waitcnt vmcnt(15) lgkmcnt(1)
	v_mul_f64 v[26:27], v[14:15], v[52:53]
	v_mul_f64 v[18:19], v[12:13], v[52:53]
	s_waitcnt vmcnt(13)
	v_fma_f64 v[28:29], v[1:2], v[38:39], -v[28:29]
	v_fma_f64 v[22:23], v[3:4], v[38:39], v[22:23]
	ds_read_b128 v[1:4], v11 offset:1808
	v_add_f64 v[16:17], v[16:17], v[24:25]
	v_add_f64 v[9:10], v[9:10], v[20:21]
	s_waitcnt vmcnt(9) lgkmcnt(1)
	v_mul_f64 v[24:25], v[7:8], v[42:43]
	s_waitcnt vmcnt(8)
	v_fma_f64 v[12:13], v[12:13], v[56:57], -v[26:27]
	v_mul_f64 v[20:21], v[5:6], v[42:43]
	v_fma_f64 v[14:15], v[14:15], v[56:57], v[18:19]
	v_add_f64 v[16:17], v[16:17], v[28:29]
	v_add_f64 v[9:10], v[9:10], v[22:23]
	s_waitcnt vmcnt(7) lgkmcnt(0)
	v_mul_f64 v[22:23], v[3:4], v[79:80]
	v_mul_f64 v[18:19], v[1:2], v[79:80]
	s_waitcnt vmcnt(5)
	v_fma_f64 v[5:6], v[5:6], v[46:47], -v[24:25]
	v_fma_f64 v[7:8], v[7:8], v[46:47], v[20:21]
	v_add_f64 v[12:13], v[16:17], v[12:13]
	v_add_f64 v[9:10], v[9:10], v[14:15]
	s_waitcnt vmcnt(4)
	v_fma_f64 v[1:2], v[1:2], v[91:92], -v[22:23]
	v_fma_f64 v[3:4], v[3:4], v[91:92], v[18:19]
	v_add_f64 v[5:6], v[12:13], v[5:6]
	v_add_f64 v[7:8], v[9:10], v[7:8]
	v_add_f64 v[1:2], v[5:6], v[1:2]
	v_add_f64 v[3:4], v[7:8], v[3:4]
	s_waitcnt vmcnt(2)
	v_add_f64 v[1:2], v[50:51], -v[1:2]
	s_waitcnt vmcnt(0)
	v_add_f64 v[3:4], v[77:78], -v[3:4]
	buffer_store_dword v2, off, s[0:3], 0 offset:452
	buffer_store_dword v1, off, s[0:3], 0 offset:448
	;; [unrolled: 1-line block ×4, first 2 shown]
	v_cmpx_lt_u32_e32 26, v0
	s_cbranch_execz .LBB56_303
; %bb.302:
	v_mov_b32_e32 v4, s43
	s_clause 0x3
	buffer_load_dword v1, v4, s[0:3], 0 offen
	buffer_load_dword v2, v4, s[0:3], 0 offen offset:4
	buffer_load_dword v3, v4, s[0:3], 0 offen offset:8
	;; [unrolled: 1-line block ×3, first 2 shown]
	buffer_store_dword v11, off, s[0:3], 0 offset:432
	buffer_store_dword v11, off, s[0:3], 0 offset:436
	;; [unrolled: 1-line block ×4, first 2 shown]
	s_waitcnt vmcnt(0)
	ds_write_b128 v59, v[1:4]
.LBB56_303:
	s_or_b32 exec_lo, exec_lo, s4
	s_waitcnt lgkmcnt(0)
	s_waitcnt_vscnt null, 0x0
	s_barrier
	buffer_gl0_inv
	s_clause 0x37
	buffer_load_dword v9, off, s[0:3], 0 offset:456
	buffer_load_dword v10, off, s[0:3], 0 offset:460
	;; [unrolled: 1-line block ×56, first 2 shown]
	ds_read_b128 v[12:15], v11 offset:1344
	s_clause 0x2
	buffer_load_dword v102, off, s[0:3], 0 offset:684
	buffer_load_dword v106, off, s[0:3], 0 offset:660
	;; [unrolled: 1-line block ×3, first 2 shown]
	ds_read_b128 v[16:19], v11 offset:1360
	s_clause 0x4
	buffer_load_dword v110, off, s[0:3], 0 offset:700
	buffer_load_dword v111, off, s[0:3], 0 offset:712
	;; [unrolled: 1-line block ×5, first 2 shown]
	ds_read_b128 v[20:23], v11 offset:1376
	s_clause 0x2
	buffer_load_dword v112, off, s[0:3], 0 offset:716
	buffer_load_dword v117, off, s[0:3], 0 offset:692
	;; [unrolled: 1-line block ×3, first 2 shown]
	s_mov_b32 s4, exec_lo
	s_waitcnt vmcnt(62) lgkmcnt(2)
	v_mul_f64 v[107:108], v[14:15], v[9:10]
	v_mul_f64 v[9:10], v[12:13], v[9:10]
	s_waitcnt lgkmcnt(1)
	v_mul_f64 v[114:115], v[18:19], v[5:6]
	s_waitcnt vmcnt(59) lgkmcnt(0)
	v_mul_f64 v[118:119], v[22:23], v[3:4]
	v_fma_f64 v[12:13], v[12:13], v[7:8], -v[107:108]
	v_mul_f64 v[107:108], v[16:17], v[5:6]
	v_fma_f64 v[9:10], v[14:15], v[7:8], v[9:10]
	s_waitcnt vmcnt(57)
	v_fma_f64 v[16:17], v[16:17], v[1:2], -v[114:115]
	ds_read_b128 v[5:8], v11 offset:1392
	v_mul_f64 v[14:15], v[20:21], v[3:4]
	s_waitcnt vmcnt(51)
	v_fma_f64 v[20:21], v[20:21], v[30:31], -v[118:119]
	v_add_f64 v[12:13], v[12:13], 0
	v_fma_f64 v[18:19], v[18:19], v[1:2], v[107:108]
	v_add_f64 v[9:10], v[9:10], 0
	s_clause 0x4
	buffer_load_dword v108, off, s[0:3], 0 offset:732
	buffer_load_dword v120, off, s[0:3], 0 offset:744
	;; [unrolled: 1-line block ×5, first 2 shown]
	s_waitcnt lgkmcnt(0)
	v_mul_f64 v[123:124], v[5:6], v[24:25]
	v_mul_f64 v[24:25], v[7:8], v[24:25]
	ds_read_b128 v[1:4], v11 offset:1408
	v_fma_f64 v[22:23], v[22:23], v[30:31], v[14:15]
	v_add_f64 v[16:17], v[12:13], v[16:17]
	v_add_f64 v[9:10], v[9:10], v[18:19]
	s_clause 0x2
	buffer_load_dword v121, off, s[0:3], 0 offset:748
	buffer_load_dword v19, off, s[0:3], 0 offset:724
	;; [unrolled: 1-line block ×3, first 2 shown]
	s_waitcnt vmcnt(58) lgkmcnt(0)
	v_mul_f64 v[30:31], v[1:2], v[26:27]
	v_mul_f64 v[26:27], v[3:4], v[26:27]
	s_waitcnt vmcnt(56)
	v_fma_f64 v[24:25], v[5:6], v[32:33], -v[24:25]
	ds_read_b128 v[12:15], v11 offset:1424
	v_add_f64 v[16:17], v[16:17], v[20:21]
	v_fma_f64 v[20:21], v[7:8], v[32:33], v[123:124]
	v_add_f64 v[9:10], v[9:10], v[22:23]
	s_clause 0x4
	buffer_load_dword v23, off, s[0:3], 0 offset:764
	buffer_load_dword v32, off, s[0:3], 0 offset:776
	;; [unrolled: 1-line block ×5, first 2 shown]
	ds_read_b128 v[5:8], v11 offset:1440
	s_waitcnt vmcnt(57) lgkmcnt(1)
	v_mul_f64 v[124:125], v[12:13], v[34:35]
	v_mul_f64 v[34:35], v[14:15], v[34:35]
	s_waitcnt vmcnt(56)
	v_fma_f64 v[26:27], v[1:2], v[28:29], -v[26:27]
	v_add_f64 v[16:17], v[16:17], v[24:25]
	v_fma_f64 v[24:25], v[3:4], v[28:29], v[30:31]
	v_add_f64 v[9:10], v[9:10], v[20:21]
	s_clause 0x2
	buffer_load_dword v33, off, s[0:3], 0 offset:780
	buffer_load_dword v21, off, s[0:3], 0 offset:756
	;; [unrolled: 1-line block ×3, first 2 shown]
	s_waitcnt vmcnt(58) lgkmcnt(0)
	v_mul_f64 v[30:31], v[7:8], v[36:37]
	ds_read_b128 v[1:4], v11 offset:1456
	s_waitcnt vmcnt(56)
	v_fma_f64 v[34:35], v[12:13], v[40:41], -v[34:35]
	v_mul_f64 v[28:29], v[5:6], v[36:37]
	v_add_f64 v[16:17], v[16:17], v[26:27]
	v_fma_f64 v[26:27], v[14:15], v[40:41], v[124:125]
	v_add_f64 v[9:10], v[9:10], v[24:25]
	s_clause 0x4
	buffer_load_dword v25, off, s[0:3], 0 offset:796
	buffer_load_dword v36, off, s[0:3], 0 offset:808
	buffer_load_dword v40, off, s[0:3], 0 offset:800
	buffer_load_dword v24, off, s[0:3], 0 offset:792
	buffer_load_dword v119, off, s[0:3], 0 offset:772
	s_waitcnt vmcnt(57) lgkmcnt(0)
	v_mul_f64 v[124:125], v[1:2], v[42:43]
	v_mul_f64 v[41:42], v[3:4], v[42:43]
	s_waitcnt vmcnt(56)
	v_fma_f64 v[30:31], v[5:6], v[38:39], -v[30:31]
	ds_read_b128 v[12:15], v11 offset:1472
	v_fma_f64 v[28:29], v[7:8], v[38:39], v[28:29]
	v_add_f64 v[16:17], v[16:17], v[34:35]
	v_add_f64 v[9:10], v[9:10], v[26:27]
	s_clause 0x2
	buffer_load_dword v37, off, s[0:3], 0 offset:812
	buffer_load_dword v27, off, s[0:3], 0 offset:788
	buffer_load_dword v26, off, s[0:3], 0 offset:784
	ds_read_b128 v[5:8], v11 offset:1488
	s_waitcnt vmcnt(58) lgkmcnt(1)
	v_mul_f64 v[38:39], v[14:15], v[44:45]
	s_waitcnt vmcnt(56)
	v_fma_f64 v[42:43], v[1:2], v[48:49], -v[41:42]
	v_mul_f64 v[34:35], v[12:13], v[44:45]
	v_add_f64 v[16:17], v[16:17], v[30:31]
	v_fma_f64 v[30:31], v[3:4], v[48:49], v[124:125]
	v_add_f64 v[9:10], v[9:10], v[28:29]
	s_clause 0x4
	buffer_load_dword v29, off, s[0:3], 0 offset:828
	buffer_load_dword v44, off, s[0:3], 0 offset:840
	buffer_load_dword v48, off, s[0:3], 0 offset:832
	buffer_load_dword v28, off, s[0:3], 0 offset:824
	buffer_load_dword v41, off, s[0:3], 0 offset:804
	s_waitcnt vmcnt(57) lgkmcnt(0)
	v_mul_f64 v[124:125], v[5:6], v[50:51]
	v_mul_f64 v[49:50], v[7:8], v[50:51]
	s_waitcnt vmcnt(56)
	v_fma_f64 v[38:39], v[12:13], v[46:47], -v[38:39]
	ds_read_b128 v[1:4], v11 offset:1504
	v_fma_f64 v[34:35], v[14:15], v[46:47], v[34:35]
	v_add_f64 v[16:17], v[16:17], v[42:43]
	v_add_f64 v[9:10], v[9:10], v[30:31]
	s_clause 0x2
	buffer_load_dword v45, off, s[0:3], 0 offset:844
	buffer_load_dword v31, off, s[0:3], 0 offset:820
	buffer_load_dword v30, off, s[0:3], 0 offset:816
	ds_read_b128 v[12:15], v11 offset:1520
	s_waitcnt vmcnt(58) lgkmcnt(1)
	v_mul_f64 v[46:47], v[3:4], v[52:53]
	;; [unrolled: 28-line block ×4, first 2 shown]
	s_waitcnt vmcnt(56)
	v_fma_f64 v[99:100], v[1:2], v[105:106], -v[99:100]
	v_mul_f64 v[77:78], v[12:13], v[101:102]
	v_add_f64 v[16:17], v[16:17], v[54:55]
	v_fma_f64 v[54:55], v[3:4], v[105:106], v[124:125]
	v_add_f64 v[9:10], v[9:10], v[50:51]
	s_clause 0x2
	buffer_load_dword v51, off, s[0:3], 0 offset:924
	buffer_load_dword v50, off, s[0:3], 0 offset:920
	;; [unrolled: 1-line block ×3, first 2 shown]
	s_waitcnt vmcnt(55) lgkmcnt(0)
	v_mul_f64 v[105:106], v[7:8], v[109:110]
	s_waitcnt vmcnt(54)
	v_fma_f64 v[89:90], v[12:13], v[103:104], -v[89:90]
	ds_read_b128 v[1:4], v11 offset:1600
	v_mul_f64 v[101:102], v[5:6], v[109:110]
	v_fma_f64 v[77:78], v[14:15], v[103:104], v[77:78]
	v_add_f64 v[16:17], v[16:17], v[99:100]
	v_add_f64 v[9:10], v[9:10], v[54:55]
	s_clause 0x1
	buffer_load_dword v55, off, s[0:3], 0 offset:916
	buffer_load_dword v54, off, s[0:3], 0 offset:912
	s_waitcnt vmcnt(55) lgkmcnt(0)
	v_mul_f64 v[103:104], v[3:4], v[111:112]
	s_waitcnt vmcnt(53)
	v_fma_f64 v[105:106], v[5:6], v[116:117], -v[105:106]
	ds_read_b128 v[12:15], v11 offset:1616
	v_mul_f64 v[99:100], v[1:2], v[111:112]
	v_add_f64 v[16:17], v[16:17], v[89:90]
	v_fma_f64 v[89:90], v[7:8], v[116:117], v[101:102]
	v_add_f64 v[9:10], v[9:10], v[77:78]
	ds_read_b128 v[5:8], v11 offset:1632
	s_waitcnt vmcnt(49) lgkmcnt(1)
	v_mul_f64 v[101:102], v[14:15], v[107:108]
	s_waitcnt vmcnt(48)
	v_fma_f64 v[103:104], v[1:2], v[113:114], -v[103:104]
	v_mul_f64 v[77:78], v[12:13], v[107:108]
	v_fma_f64 v[99:100], v[3:4], v[113:114], v[99:100]
	v_add_f64 v[16:17], v[16:17], v[105:106]
	v_add_f64 v[9:10], v[9:10], v[89:90]
	s_clause 0x3
	buffer_load_dword v89, off, s[0:3], 0 offset:432
	buffer_load_dword v90, off, s[0:3], 0 offset:436
	;; [unrolled: 1-line block ×4, first 2 shown]
	ds_read_b128 v[1:4], v11 offset:1648
	s_waitcnt vmcnt(51) lgkmcnt(1)
	v_mul_f64 v[109:110], v[7:8], v[120:121]
	v_mul_f64 v[107:108], v[5:6], v[120:121]
	s_waitcnt vmcnt(49)
	v_fma_f64 v[101:102], v[12:13], v[18:19], -v[101:102]
	v_fma_f64 v[18:19], v[14:15], v[18:19], v[77:78]
	ds_read_b128 v[12:15], v11 offset:1664
	v_add_f64 v[16:17], v[16:17], v[103:104]
	v_add_f64 v[9:10], v[9:10], v[99:100]
	s_waitcnt vmcnt(45) lgkmcnt(1)
	v_mul_f64 v[77:78], v[1:2], v[22:23]
	v_mul_f64 v[22:23], v[3:4], v[22:23]
	s_waitcnt vmcnt(44)
	v_fma_f64 v[99:100], v[5:6], v[122:123], -v[109:110]
	v_add_f64 v[16:17], v[16:17], v[101:102]
	v_fma_f64 v[101:102], v[7:8], v[122:123], v[107:108]
	v_add_f64 v[9:10], v[9:10], v[18:19]
	ds_read_b128 v[5:8], v11 offset:1680
	s_waitcnt vmcnt(43) lgkmcnt(1)
	v_mul_f64 v[18:19], v[12:13], v[32:33]
	v_mul_f64 v[32:33], v[14:15], v[32:33]
	s_waitcnt vmcnt(41)
	v_fma_f64 v[22:23], v[1:2], v[20:21], -v[22:23]
	v_fma_f64 v[20:21], v[3:4], v[20:21], v[77:78]
	ds_read_b128 v[1:4], v11 offset:1696
	v_add_f64 v[16:17], v[16:17], v[99:100]
	v_add_f64 v[9:10], v[9:10], v[101:102]
	s_waitcnt vmcnt(37) lgkmcnt(1)
	v_mul_f64 v[77:78], v[5:6], v[24:25]
	v_mul_f64 v[24:25], v[7:8], v[24:25]
	s_waitcnt vmcnt(36)
	v_fma_f64 v[32:33], v[12:13], v[118:119], -v[32:33]
	v_fma_f64 v[18:19], v[14:15], v[118:119], v[18:19]
	ds_read_b128 v[12:15], v11 offset:1712
	v_add_f64 v[16:17], v[16:17], v[22:23]
	v_add_f64 v[9:10], v[9:10], v[20:21]
	;; [unrolled: 9-line block ×5, first 2 shown]
	s_waitcnt vmcnt(21) lgkmcnt(1)
	v_mul_f64 v[22:23], v[3:4], v[34:35]
	s_waitcnt vmcnt(20)
	v_fma_f64 v[26:27], v[5:6], v[48:49], -v[26:27]
	v_mul_f64 v[20:21], v[1:2], v[34:35]
	v_fma_f64 v[24:25], v[7:8], v[48:49], v[24:25]
	ds_read_b128 v[5:8], v11 offset:1776
	v_add_f64 v[16:17], v[16:17], v[28:29]
	v_add_f64 v[9:10], v[9:10], v[18:19]
	s_waitcnt vmcnt(19) lgkmcnt(1)
	v_mul_f64 v[28:29], v[14:15], v[52:53]
	v_mul_f64 v[18:19], v[12:13], v[52:53]
	s_waitcnt vmcnt(17)
	v_fma_f64 v[22:23], v[1:2], v[38:39], -v[22:23]
	v_fma_f64 v[20:21], v[3:4], v[38:39], v[20:21]
	ds_read_b128 v[1:4], v11 offset:1792
	v_add_f64 v[16:17], v[16:17], v[26:27]
	v_add_f64 v[9:10], v[9:10], v[24:25]
	s_waitcnt vmcnt(13) lgkmcnt(1)
	v_mul_f64 v[26:27], v[7:8], v[42:43]
	s_waitcnt vmcnt(12)
	v_fma_f64 v[28:29], v[12:13], v[56:57], -v[28:29]
	v_mul_f64 v[24:25], v[5:6], v[42:43]
	v_fma_f64 v[13:14], v[14:15], v[56:57], v[18:19]
	v_add_f64 v[16:17], v[16:17], v[22:23]
	v_add_f64 v[18:19], v[9:10], v[20:21]
	ds_read_b128 v[9:12], v11 offset:1808
	s_waitcnt vmcnt(11) lgkmcnt(1)
	v_mul_f64 v[22:23], v[3:4], v[79:80]
	v_mul_f64 v[20:21], v[1:2], v[79:80]
	s_waitcnt vmcnt(9)
	v_fma_f64 v[5:6], v[5:6], v[46:47], -v[26:27]
	v_fma_f64 v[7:8], v[7:8], v[46:47], v[24:25]
	v_add_f64 v[15:16], v[16:17], v[28:29]
	v_add_f64 v[13:14], v[18:19], v[13:14]
	s_waitcnt vmcnt(7) lgkmcnt(0)
	v_mul_f64 v[24:25], v[11:12], v[50:51]
	s_waitcnt vmcnt(6)
	v_fma_f64 v[1:2], v[1:2], v[91:92], -v[22:23]
	v_mul_f64 v[17:18], v[9:10], v[50:51]
	v_fma_f64 v[3:4], v[3:4], v[91:92], v[20:21]
	v_add_f64 v[5:6], v[15:16], v[5:6]
	v_add_f64 v[7:8], v[13:14], v[7:8]
	s_waitcnt vmcnt(4)
	v_fma_f64 v[9:10], v[9:10], v[54:55], -v[24:25]
	v_add_f64 v[1:2], v[5:6], v[1:2]
	v_fma_f64 v[5:6], v[11:12], v[54:55], v[17:18]
	v_add_f64 v[3:4], v[7:8], v[3:4]
	v_add_f64 v[1:2], v[1:2], v[9:10]
	;; [unrolled: 1-line block ×3, first 2 shown]
	s_waitcnt vmcnt(2)
	v_add_f64 v[1:2], v[89:90], -v[1:2]
	s_waitcnt vmcnt(0)
	v_add_f64 v[3:4], v[105:106], -v[3:4]
	buffer_store_dword v2, off, s[0:3], 0 offset:436
	buffer_store_dword v1, off, s[0:3], 0 offset:432
	;; [unrolled: 1-line block ×4, first 2 shown]
	v_cmpx_lt_u32_e32 25, v0
	s_cbranch_execz .LBB56_305
; %bb.304:
	v_mov_b32_e32 v4, s44
	v_mov_b32_e32 v5, 0
	s_clause 0x3
	buffer_load_dword v1, v4, s[0:3], 0 offen
	buffer_load_dword v2, v4, s[0:3], 0 offen offset:4
	buffer_load_dword v3, v4, s[0:3], 0 offen offset:8
	;; [unrolled: 1-line block ×3, first 2 shown]
	buffer_store_dword v5, off, s[0:3], 0 offset:416
	buffer_store_dword v5, off, s[0:3], 0 offset:420
	;; [unrolled: 1-line block ×4, first 2 shown]
	s_waitcnt vmcnt(0)
	ds_write_b128 v59, v[1:4]
.LBB56_305:
	s_or_b32 exec_lo, exec_lo, s4
	s_waitcnt lgkmcnt(0)
	s_waitcnt_vscnt null, 0x0
	s_barrier
	buffer_gl0_inv
	s_clause 0x37
	buffer_load_dword v9, off, s[0:3], 0 offset:440
	buffer_load_dword v10, off, s[0:3], 0 offset:444
	buffer_load_dword v5, off, s[0:3], 0 offset:456
	buffer_load_dword v6, off, s[0:3], 0 offset:460
	buffer_load_dword v7, off, s[0:3], 0 offset:432
	buffer_load_dword v8, off, s[0:3], 0 offset:436
	buffer_load_dword v3, off, s[0:3], 0 offset:472
	buffer_load_dword v4, off, s[0:3], 0 offset:476
	buffer_load_dword v1, off, s[0:3], 0 offset:448
	buffer_load_dword v2, off, s[0:3], 0 offset:452
	buffer_load_dword v14, off, s[0:3], 0 offset:492
	buffer_load_dword v30, off, s[0:3], 0 offset:504
	buffer_load_dword v11, off, s[0:3], 0 offset:496
	buffer_load_dword v13, off, s[0:3], 0 offset:488
	buffer_load_dword v32, off, s[0:3], 0 offset:464
	buffer_load_dword v33, off, s[0:3], 0 offset:468
	buffer_load_dword v31, off, s[0:3], 0 offset:508
	buffer_load_dword v35, off, s[0:3], 0 offset:484
	buffer_load_dword v34, off, s[0:3], 0 offset:480
	buffer_load_dword v37, off, s[0:3], 0 offset:524
	buffer_load_dword v38, off, s[0:3], 0 offset:536
	buffer_load_dword v15, off, s[0:3], 0 offset:528
	buffer_load_dword v36, off, s[0:3], 0 offset:520
	buffer_load_dword v12, off, s[0:3], 0 offset:500
	buffer_load_dword v39, off, s[0:3], 0 offset:540
	buffer_load_dword v41, off, s[0:3], 0 offset:516
	buffer_load_dword v40, off, s[0:3], 0 offset:512
	buffer_load_dword v43, off, s[0:3], 0 offset:556
	buffer_load_dword v44, off, s[0:3], 0 offset:568
	buffer_load_dword v46, off, s[0:3], 0 offset:560
	buffer_load_dword v42, off, s[0:3], 0 offset:552
	buffer_load_dword v16, off, s[0:3], 0 offset:532
	buffer_load_dword v45, off, s[0:3], 0 offset:572
	buffer_load_dword v49, off, s[0:3], 0 offset:548
	buffer_load_dword v48, off, s[0:3], 0 offset:544
	buffer_load_dword v51, off, s[0:3], 0 offset:588
	buffer_load_dword v52, off, s[0:3], 0 offset:600
	buffer_load_dword v54, off, s[0:3], 0 offset:592
	buffer_load_dword v50, off, s[0:3], 0 offset:584
	buffer_load_dword v47, off, s[0:3], 0 offset:564
	buffer_load_dword v53, off, s[0:3], 0 offset:604
	buffer_load_dword v57, off, s[0:3], 0 offset:580
	buffer_load_dword v56, off, s[0:3], 0 offset:576
	buffer_load_dword v78, off, s[0:3], 0 offset:620
	buffer_load_dword v79, off, s[0:3], 0 offset:632
	buffer_load_dword v89, off, s[0:3], 0 offset:624
	buffer_load_dword v77, off, s[0:3], 0 offset:616
	buffer_load_dword v55, off, s[0:3], 0 offset:596
	buffer_load_dword v80, off, s[0:3], 0 offset:636
	buffer_load_dword v92, off, s[0:3], 0 offset:612
	buffer_load_dword v91, off, s[0:3], 0 offset:608
	buffer_load_dword v100, off, s[0:3], 0 offset:652
	buffer_load_dword v101, off, s[0:3], 0 offset:664
	buffer_load_dword v103, off, s[0:3], 0 offset:656
	buffer_load_dword v99, off, s[0:3], 0 offset:648
	buffer_load_dword v90, off, s[0:3], 0 offset:628
	v_mov_b32_e32 v29, 0
	s_mov_b32 s4, exec_lo
	ds_read_b128 v[17:20], v29 offset:1328
	s_clause 0x2
	buffer_load_dword v102, off, s[0:3], 0 offset:668
	buffer_load_dword v106, off, s[0:3], 0 offset:644
	;; [unrolled: 1-line block ×3, first 2 shown]
	ds_read_b128 v[21:24], v29 offset:1344
	s_clause 0x4
	buffer_load_dword v110, off, s[0:3], 0 offset:684
	buffer_load_dword v111, off, s[0:3], 0 offset:696
	;; [unrolled: 1-line block ×5, first 2 shown]
	ds_read_b128 v[25:28], v29 offset:1360
	s_clause 0x2
	buffer_load_dword v112, off, s[0:3], 0 offset:700
	buffer_load_dword v117, off, s[0:3], 0 offset:676
	;; [unrolled: 1-line block ×3, first 2 shown]
	s_waitcnt vmcnt(62) lgkmcnt(2)
	v_mul_f64 v[107:108], v[19:20], v[9:10]
	v_mul_f64 v[9:10], v[17:18], v[9:10]
	s_waitcnt lgkmcnt(1)
	v_mul_f64 v[114:115], v[23:24], v[5:6]
	s_waitcnt vmcnt(59) lgkmcnt(0)
	v_mul_f64 v[118:119], v[27:28], v[3:4]
	v_fma_f64 v[17:18], v[17:18], v[7:8], -v[107:108]
	v_mul_f64 v[107:108], v[21:22], v[5:6]
	v_fma_f64 v[9:10], v[19:20], v[7:8], v[9:10]
	s_waitcnt vmcnt(57)
	v_fma_f64 v[21:22], v[21:22], v[1:2], -v[114:115]
	ds_read_b128 v[5:8], v29 offset:1376
	v_mul_f64 v[19:20], v[25:26], v[3:4]
	s_waitcnt vmcnt(51)
	v_fma_f64 v[25:26], v[25:26], v[32:33], -v[118:119]
	v_add_f64 v[17:18], v[17:18], 0
	v_fma_f64 v[23:24], v[23:24], v[1:2], v[107:108]
	v_add_f64 v[9:10], v[9:10], 0
	s_clause 0x4
	buffer_load_dword v108, off, s[0:3], 0 offset:716
	buffer_load_dword v120, off, s[0:3], 0 offset:728
	;; [unrolled: 1-line block ×5, first 2 shown]
	s_waitcnt lgkmcnt(0)
	v_mul_f64 v[123:124], v[5:6], v[13:14]
	v_mul_f64 v[13:14], v[7:8], v[13:14]
	ds_read_b128 v[1:4], v29 offset:1392
	v_fma_f64 v[27:28], v[27:28], v[32:33], v[19:20]
	v_add_f64 v[21:22], v[17:18], v[21:22]
	v_add_f64 v[9:10], v[9:10], v[23:24]
	s_clause 0x2
	buffer_load_dword v121, off, s[0:3], 0 offset:732
	buffer_load_dword v24, off, s[0:3], 0 offset:708
	;; [unrolled: 1-line block ×3, first 2 shown]
	s_waitcnt vmcnt(58) lgkmcnt(0)
	v_mul_f64 v[32:33], v[1:2], v[30:31]
	v_mul_f64 v[30:31], v[3:4], v[30:31]
	s_waitcnt vmcnt(56)
	v_fma_f64 v[13:14], v[5:6], v[34:35], -v[13:14]
	ds_read_b128 v[17:20], v29 offset:1408
	v_add_f64 v[21:22], v[21:22], v[25:26]
	v_fma_f64 v[25:26], v[7:8], v[34:35], v[123:124]
	v_add_f64 v[9:10], v[9:10], v[27:28]
	s_clause 0x4
	buffer_load_dword v28, off, s[0:3], 0 offset:748
	buffer_load_dword v34, off, s[0:3], 0 offset:760
	;; [unrolled: 1-line block ×5, first 2 shown]
	ds_read_b128 v[5:8], v29 offset:1424
	s_waitcnt vmcnt(57) lgkmcnt(1)
	v_mul_f64 v[124:125], v[17:18], v[36:37]
	v_mul_f64 v[36:37], v[19:20], v[36:37]
	s_waitcnt vmcnt(56)
	v_fma_f64 v[30:31], v[1:2], v[11:12], -v[30:31]
	v_fma_f64 v[11:12], v[3:4], v[11:12], v[32:33]
	v_add_f64 v[13:14], v[21:22], v[13:14]
	s_clause 0x2
	buffer_load_dword v35, off, s[0:3], 0 offset:764
	buffer_load_dword v22, off, s[0:3], 0 offset:740
	buffer_load_dword v21, off, s[0:3], 0 offset:736
	v_add_f64 v[9:10], v[9:10], v[25:26]
	s_waitcnt vmcnt(58) lgkmcnt(0)
	v_mul_f64 v[32:33], v[7:8], v[38:39]
	ds_read_b128 v[1:4], v29 offset:1440
	v_mul_f64 v[25:26], v[5:6], v[38:39]
	s_waitcnt vmcnt(56)
	v_fma_f64 v[17:18], v[17:18], v[40:41], -v[36:37]
	v_fma_f64 v[19:20], v[19:20], v[40:41], v[124:125]
	s_clause 0x4
	buffer_load_dword v37, off, s[0:3], 0 offset:780
	buffer_load_dword v38, off, s[0:3], 0 offset:792
	;; [unrolled: 1-line block ×5, first 2 shown]
	v_add_f64 v[13:14], v[13:14], v[30:31]
	v_add_f64 v[30:31], v[9:10], v[11:12]
	s_waitcnt vmcnt(57) lgkmcnt(0)
	v_mul_f64 v[124:125], v[1:2], v[42:43]
	v_mul_f64 v[41:42], v[3:4], v[42:43]
	s_waitcnt vmcnt(56)
	v_fma_f64 v[32:33], v[5:6], v[15:16], -v[32:33]
	ds_read_b128 v[9:12], v29 offset:1456
	v_fma_f64 v[15:16], v[7:8], v[15:16], v[25:26]
	v_add_f64 v[13:14], v[13:14], v[17:18]
	v_add_f64 v[17:18], v[30:31], v[19:20]
	s_clause 0x2
	buffer_load_dword v39, off, s[0:3], 0 offset:796
	buffer_load_dword v20, off, s[0:3], 0 offset:772
	;; [unrolled: 1-line block ×3, first 2 shown]
	s_waitcnt vmcnt(58) lgkmcnt(0)
	v_mul_f64 v[30:31], v[11:12], v[44:45]
	s_waitcnt vmcnt(56)
	v_fma_f64 v[42:43], v[1:2], v[48:49], -v[41:42]
	ds_read_b128 v[5:8], v29 offset:1472
	v_mul_f64 v[25:26], v[9:10], v[44:45]
	v_add_f64 v[13:14], v[13:14], v[32:33]
	v_fma_f64 v[32:33], v[3:4], v[48:49], v[124:125]
	v_add_f64 v[15:16], v[17:18], v[15:16]
	s_clause 0x4
	buffer_load_dword v18, off, s[0:3], 0 offset:812
	buffer_load_dword v44, off, s[0:3], 0 offset:824
	buffer_load_dword v48, off, s[0:3], 0 offset:816
	buffer_load_dword v17, off, s[0:3], 0 offset:808
	buffer_load_dword v41, off, s[0:3], 0 offset:788
	s_waitcnt vmcnt(57) lgkmcnt(0)
	v_mul_f64 v[124:125], v[5:6], v[50:51]
	v_mul_f64 v[49:50], v[7:8], v[50:51]
	s_waitcnt vmcnt(56)
	v_fma_f64 v[30:31], v[9:10], v[46:47], -v[30:31]
	ds_read_b128 v[1:4], v29 offset:1488
	v_fma_f64 v[25:26], v[11:12], v[46:47], v[25:26]
	v_add_f64 v[13:14], v[13:14], v[42:43]
	v_add_f64 v[15:16], v[15:16], v[32:33]
	s_clause 0x2
	buffer_load_dword v45, off, s[0:3], 0 offset:828
	buffer_load_dword v33, off, s[0:3], 0 offset:804
	buffer_load_dword v32, off, s[0:3], 0 offset:800
	ds_read_b128 v[9:12], v29 offset:1504
	s_waitcnt vmcnt(58) lgkmcnt(1)
	v_mul_f64 v[46:47], v[3:4], v[52:53]
	s_waitcnt vmcnt(56)
	v_fma_f64 v[50:51], v[5:6], v[56:57], -v[49:50]
	v_mul_f64 v[42:43], v[1:2], v[52:53]
	v_add_f64 v[13:14], v[13:14], v[30:31]
	v_fma_f64 v[30:31], v[7:8], v[56:57], v[124:125]
	v_add_f64 v[15:16], v[15:16], v[25:26]
	s_clause 0x4
	buffer_load_dword v26, off, s[0:3], 0 offset:844
	buffer_load_dword v52, off, s[0:3], 0 offset:856
	buffer_load_dword v56, off, s[0:3], 0 offset:848
	buffer_load_dword v25, off, s[0:3], 0 offset:840
	buffer_load_dword v49, off, s[0:3], 0 offset:820
	s_waitcnt vmcnt(57) lgkmcnt(0)
	v_mul_f64 v[57:58], v[9:10], v[77:78]
	v_mul_f64 v[77:78], v[11:12], v[77:78]
	s_waitcnt vmcnt(56)
	v_fma_f64 v[46:47], v[1:2], v[54:55], -v[46:47]
	ds_read_b128 v[5:8], v29 offset:1520
	v_fma_f64 v[42:43], v[3:4], v[54:55], v[42:43]
	v_add_f64 v[13:14], v[13:14], v[50:51]
	v_add_f64 v[15:16], v[15:16], v[30:31]
	s_clause 0x2
	buffer_load_dword v53, off, s[0:3], 0 offset:860
	buffer_load_dword v31, off, s[0:3], 0 offset:836
	buffer_load_dword v30, off, s[0:3], 0 offset:832
	ds_read_b128 v[1:4], v29 offset:1536
	s_waitcnt vmcnt(58) lgkmcnt(1)
	v_mul_f64 v[54:55], v[7:8], v[79:80]
	s_waitcnt vmcnt(56)
	v_fma_f64 v[77:78], v[9:10], v[91:92], -v[77:78]
	;; [unrolled: 28-line block ×4, first 2 shown]
	v_mul_f64 v[99:100], v[1:2], v[111:112]
	buffer_load_dword v106, off, s[0:3], 0 offset:916
	v_add_f64 v[13:14], v[13:14], v[89:90]
	v_fma_f64 v[89:90], v[7:8], v[116:117], v[124:125]
	v_add_f64 v[15:16], v[15:16], v[77:78]
	ds_read_b128 v[5:8], v29 offset:1616
	s_waitcnt vmcnt(53) lgkmcnt(1)
	v_mul_f64 v[77:78], v[9:10], v[107:108]
	v_mul_f64 v[107:108], v[11:12], v[107:108]
	s_waitcnt vmcnt(52)
	v_fma_f64 v[103:104], v[1:2], v[113:114], -v[103:104]
	v_fma_f64 v[99:100], v[3:4], v[113:114], v[99:100]
	ds_read_b128 v[1:4], v29 offset:1632
	v_add_f64 v[13:14], v[13:14], v[109:110]
	v_add_f64 v[15:16], v[15:16], v[89:90]
	s_waitcnt vmcnt(51) lgkmcnt(1)
	v_mul_f64 v[109:110], v[7:8], v[120:121]
	v_mul_f64 v[89:90], v[5:6], v[120:121]
	s_waitcnt vmcnt(49)
	v_fma_f64 v[107:108], v[9:10], v[23:24], -v[107:108]
	v_fma_f64 v[23:24], v[11:12], v[23:24], v[77:78]
	v_add_f64 v[13:14], v[13:14], v[103:104]
	v_add_f64 v[15:16], v[15:16], v[99:100]
	s_clause 0x3
	buffer_load_dword v77, off, s[0:3], 0 offset:416
	buffer_load_dword v78, off, s[0:3], 0 offset:420
	;; [unrolled: 1-line block ×4, first 2 shown]
	ds_read_b128 v[9:12], v29 offset:1648
	s_waitcnt vmcnt(49) lgkmcnt(1)
	v_mul_f64 v[103:104], v[1:2], v[27:28]
	v_mul_f64 v[27:28], v[3:4], v[27:28]
	s_waitcnt vmcnt(48)
	v_fma_f64 v[109:110], v[5:6], v[122:123], -v[109:110]
	v_fma_f64 v[89:90], v[7:8], v[122:123], v[89:90]
	ds_read_b128 v[5:8], v29 offset:1664
	v_add_f64 v[13:14], v[13:14], v[107:108]
	v_add_f64 v[15:16], v[15:16], v[23:24]
	s_waitcnt vmcnt(47) lgkmcnt(1)
	v_mul_f64 v[23:24], v[9:10], v[34:35]
	v_mul_f64 v[34:35], v[11:12], v[34:35]
	s_waitcnt vmcnt(45)
	v_fma_f64 v[27:28], v[1:2], v[21:22], -v[27:28]
	v_fma_f64 v[21:22], v[3:4], v[21:22], v[103:104]
	ds_read_b128 v[1:4], v29 offset:1680
	v_add_f64 v[13:14], v[13:14], v[109:110]
	v_add_f64 v[15:16], v[15:16], v[89:90]
	s_waitcnt vmcnt(41) lgkmcnt(1)
	v_mul_f64 v[89:90], v[5:6], v[36:37]
	v_mul_f64 v[36:37], v[7:8], v[36:37]
	s_waitcnt vmcnt(40)
	v_fma_f64 v[23:24], v[11:12], v[118:119], v[23:24]
	v_fma_f64 v[34:35], v[9:10], v[118:119], -v[34:35]
	ds_read_b128 v[9:12], v29 offset:1696
	v_add_f64 v[13:14], v[13:14], v[27:28]
	v_add_f64 v[15:16], v[15:16], v[21:22]
	s_waitcnt vmcnt(39) lgkmcnt(1)
	v_mul_f64 v[27:28], v[3:4], v[38:39]
	v_mul_f64 v[21:22], v[1:2], v[38:39]
	s_waitcnt vmcnt(37)
	v_fma_f64 v[36:37], v[5:6], v[19:20], -v[36:37]
	v_fma_f64 v[19:20], v[7:8], v[19:20], v[89:90]
	ds_read_b128 v[5:8], v29 offset:1712
	v_add_f64 v[13:14], v[13:14], v[34:35]
	v_add_f64 v[15:16], v[15:16], v[23:24]
	s_waitcnt vmcnt(33) lgkmcnt(1)
	v_mul_f64 v[23:24], v[9:10], v[17:18]
	v_mul_f64 v[17:18], v[11:12], v[17:18]
	s_waitcnt vmcnt(32)
	v_fma_f64 v[27:28], v[1:2], v[40:41], -v[27:28]
	v_fma_f64 v[21:22], v[3:4], v[40:41], v[21:22]
	;; [unrolled: 9-line block ×3, first 2 shown]
	ds_read_b128 v[9:12], v29 offset:1744
	v_add_f64 v[13:14], v[13:14], v[27:28]
	v_add_f64 v[15:16], v[15:16], v[21:22]
	s_waitcnt vmcnt(25) lgkmcnt(1)
	v_mul_f64 v[21:22], v[1:2], v[25:26]
	v_mul_f64 v[25:26], v[3:4], v[25:26]
	s_waitcnt vmcnt(24)
	v_fma_f64 v[27:28], v[5:6], v[48:49], -v[34:35]
	v_add_f64 v[13:14], v[13:14], v[17:18]
	v_fma_f64 v[17:18], v[7:8], v[48:49], v[19:20]
	v_add_f64 v[15:16], v[15:16], v[23:24]
	ds_read_b128 v[5:8], v29 offset:1760
	s_waitcnt vmcnt(23) lgkmcnt(1)
	v_mul_f64 v[23:24], v[11:12], v[52:53]
	v_mul_f64 v[19:20], v[9:10], v[52:53]
	s_waitcnt vmcnt(21)
	v_fma_f64 v[25:26], v[1:2], v[30:31], -v[25:26]
	v_fma_f64 v[21:22], v[3:4], v[30:31], v[21:22]
	ds_read_b128 v[1:4], v29 offset:1776
	v_add_f64 v[13:14], v[13:14], v[27:28]
	v_add_f64 v[15:16], v[15:16], v[17:18]
	s_waitcnt vmcnt(17) lgkmcnt(1)
	v_mul_f64 v[27:28], v[7:8], v[42:43]
	s_waitcnt vmcnt(16)
	v_fma_f64 v[23:24], v[9:10], v[56:57], -v[23:24]
	v_mul_f64 v[17:18], v[5:6], v[42:43]
	v_fma_f64 v[19:20], v[11:12], v[56:57], v[19:20]
	ds_read_b128 v[9:12], v29 offset:1792
	v_add_f64 v[13:14], v[13:14], v[25:26]
	v_add_f64 v[15:16], v[15:16], v[21:22]
	s_waitcnt vmcnt(15) lgkmcnt(1)
	v_mul_f64 v[25:26], v[3:4], v[79:80]
	v_mul_f64 v[21:22], v[1:2], v[79:80]
	s_waitcnt vmcnt(13)
	v_fma_f64 v[27:28], v[5:6], v[46:47], -v[27:28]
	v_fma_f64 v[17:18], v[7:8], v[46:47], v[17:18]
	ds_read_b128 v[5:8], v29 offset:1808
	v_add_f64 v[13:14], v[13:14], v[23:24]
	v_add_f64 v[15:16], v[15:16], v[19:20]
	s_waitcnt vmcnt(9) lgkmcnt(1)
	v_mul_f64 v[23:24], v[11:12], v[50:51]
	s_waitcnt vmcnt(8)
	v_fma_f64 v[1:2], v[1:2], v[91:92], -v[25:26]
	v_mul_f64 v[19:20], v[9:10], v[50:51]
	v_fma_f64 v[3:4], v[3:4], v[91:92], v[21:22]
	v_add_f64 v[13:14], v[13:14], v[27:28]
	v_add_f64 v[15:16], v[15:16], v[17:18]
	s_waitcnt vmcnt(7) lgkmcnt(0)
	v_mul_f64 v[21:22], v[7:8], v[101:102]
	v_mul_f64 v[17:18], v[5:6], v[101:102]
	s_waitcnt vmcnt(5)
	v_fma_f64 v[9:10], v[9:10], v[54:55], -v[23:24]
	v_fma_f64 v[11:12], v[11:12], v[54:55], v[19:20]
	v_add_f64 v[1:2], v[13:14], v[1:2]
	v_add_f64 v[3:4], v[15:16], v[3:4]
	s_waitcnt vmcnt(4)
	v_fma_f64 v[5:6], v[5:6], v[105:106], -v[21:22]
	v_fma_f64 v[7:8], v[7:8], v[105:106], v[17:18]
	v_add_f64 v[1:2], v[1:2], v[9:10]
	v_add_f64 v[3:4], v[3:4], v[11:12]
	;; [unrolled: 1-line block ×4, first 2 shown]
	s_waitcnt vmcnt(2)
	v_add_f64 v[1:2], v[77:78], -v[1:2]
	s_waitcnt vmcnt(0)
	v_add_f64 v[3:4], v[99:100], -v[3:4]
	buffer_store_dword v2, off, s[0:3], 0 offset:420
	buffer_store_dword v1, off, s[0:3], 0 offset:416
	;; [unrolled: 1-line block ×4, first 2 shown]
	v_cmpx_lt_u32_e32 24, v0
	s_cbranch_execz .LBB56_307
; %bb.306:
	v_mov_b32_e32 v4, s45
	s_clause 0x3
	buffer_load_dword v1, v4, s[0:3], 0 offen
	buffer_load_dword v2, v4, s[0:3], 0 offen offset:4
	buffer_load_dword v3, v4, s[0:3], 0 offen offset:8
	;; [unrolled: 1-line block ×3, first 2 shown]
	buffer_store_dword v29, off, s[0:3], 0 offset:400
	buffer_store_dword v29, off, s[0:3], 0 offset:404
	;; [unrolled: 1-line block ×4, first 2 shown]
	s_waitcnt vmcnt(0)
	ds_write_b128 v59, v[1:4]
.LBB56_307:
	s_or_b32 exec_lo, exec_lo, s4
	s_waitcnt lgkmcnt(0)
	s_waitcnt_vscnt null, 0x0
	s_barrier
	buffer_gl0_inv
	s_clause 0x37
	buffer_load_dword v9, off, s[0:3], 0 offset:424
	buffer_load_dword v10, off, s[0:3], 0 offset:428
	;; [unrolled: 1-line block ×56, first 2 shown]
	ds_read_b128 v[30:33], v29 offset:1312
	s_clause 0x2
	buffer_load_dword v102, off, s[0:3], 0 offset:652
	buffer_load_dword v106, off, s[0:3], 0 offset:628
	;; [unrolled: 1-line block ×3, first 2 shown]
	ds_read_b128 v[34:37], v29 offset:1328
	s_clause 0x4
	buffer_load_dword v110, off, s[0:3], 0 offset:668
	buffer_load_dword v111, off, s[0:3], 0 offset:680
	;; [unrolled: 1-line block ×5, first 2 shown]
	ds_read_b128 v[38:41], v29 offset:1344
	s_clause 0x2
	buffer_load_dword v112, off, s[0:3], 0 offset:684
	buffer_load_dword v117, off, s[0:3], 0 offset:660
	;; [unrolled: 1-line block ×3, first 2 shown]
	s_mov_b32 s4, exec_lo
	s_waitcnt vmcnt(62) lgkmcnt(2)
	v_mul_f64 v[107:108], v[32:33], v[9:10]
	v_mul_f64 v[9:10], v[30:31], v[9:10]
	s_waitcnt lgkmcnt(1)
	v_mul_f64 v[114:115], v[36:37], v[5:6]
	s_waitcnt vmcnt(59) lgkmcnt(0)
	v_mul_f64 v[118:119], v[40:41], v[3:4]
	v_fma_f64 v[30:31], v[30:31], v[7:8], -v[107:108]
	v_mul_f64 v[107:108], v[34:35], v[5:6]
	v_fma_f64 v[9:10], v[32:33], v[7:8], v[9:10]
	s_waitcnt vmcnt(57)
	v_fma_f64 v[34:35], v[34:35], v[1:2], -v[114:115]
	ds_read_b128 v[5:8], v29 offset:1360
	v_mul_f64 v[32:33], v[38:39], v[3:4]
	s_waitcnt vmcnt(51)
	v_fma_f64 v[38:39], v[38:39], v[25:26], -v[118:119]
	v_add_f64 v[30:31], v[30:31], 0
	v_fma_f64 v[36:37], v[36:37], v[1:2], v[107:108]
	v_add_f64 v[9:10], v[9:10], 0
	s_clause 0x4
	buffer_load_dword v108, off, s[0:3], 0 offset:700
	buffer_load_dword v120, off, s[0:3], 0 offset:712
	;; [unrolled: 1-line block ×5, first 2 shown]
	s_waitcnt lgkmcnt(0)
	v_mul_f64 v[123:124], v[5:6], v[13:14]
	v_mul_f64 v[13:14], v[7:8], v[13:14]
	ds_read_b128 v[1:4], v29 offset:1376
	v_fma_f64 v[25:26], v[40:41], v[25:26], v[32:33]
	v_add_f64 v[34:35], v[30:31], v[34:35]
	v_add_f64 v[9:10], v[9:10], v[36:37]
	s_clause 0x2
	buffer_load_dword v121, off, s[0:3], 0 offset:716
	buffer_load_dword v37, off, s[0:3], 0 offset:692
	buffer_load_dword v36, off, s[0:3], 0 offset:688
	s_waitcnt vmcnt(58) lgkmcnt(0)
	v_mul_f64 v[40:41], v[1:2], v[17:18]
	v_mul_f64 v[17:18], v[3:4], v[17:18]
	s_waitcnt vmcnt(56)
	v_fma_f64 v[13:14], v[5:6], v[19:20], -v[13:14]
	ds_read_b128 v[30:33], v29 offset:1392
	v_fma_f64 v[19:20], v[7:8], v[19:20], v[123:124]
	v_add_f64 v[34:35], v[34:35], v[38:39]
	v_add_f64 v[9:10], v[9:10], v[25:26]
	s_clause 0x4
	buffer_load_dword v26, off, s[0:3], 0 offset:732
	buffer_load_dword v38, off, s[0:3], 0 offset:744
	buffer_load_dword v118, off, s[0:3], 0 offset:736
	buffer_load_dword v25, off, s[0:3], 0 offset:728
	buffer_load_dword v123, off, s[0:3], 0 offset:708
	ds_read_b128 v[5:8], v29 offset:1408
	s_waitcnt vmcnt(57) lgkmcnt(1)
	v_mul_f64 v[124:125], v[30:31], v[21:22]
	v_mul_f64 v[21:22], v[32:33], v[21:22]
	s_waitcnt vmcnt(56)
	v_fma_f64 v[17:18], v[1:2], v[11:12], -v[17:18]
	v_fma_f64 v[11:12], v[3:4], v[11:12], v[40:41]
	v_add_f64 v[13:14], v[34:35], v[13:14]
	v_add_f64 v[9:10], v[9:10], v[19:20]
	s_clause 0x2
	buffer_load_dword v39, off, s[0:3], 0 offset:748
	buffer_load_dword v20, off, s[0:3], 0 offset:724
	;; [unrolled: 1-line block ×3, first 2 shown]
	s_waitcnt vmcnt(58) lgkmcnt(0)
	v_mul_f64 v[34:35], v[5:6], v[27:28]
	v_mul_f64 v[27:28], v[7:8], v[27:28]
	s_waitcnt vmcnt(56)
	v_fma_f64 v[21:22], v[30:31], v[42:43], -v[21:22]
	ds_read_b128 v[1:4], v29 offset:1424
	v_add_f64 v[13:14], v[13:14], v[17:18]
	v_fma_f64 v[17:18], v[32:33], v[42:43], v[124:125]
	v_add_f64 v[30:31], v[9:10], v[11:12]
	s_clause 0x4
	buffer_load_dword v33, off, s[0:3], 0 offset:764
	buffer_load_dword v40, off, s[0:3], 0 offset:776
	;; [unrolled: 1-line block ×5, first 2 shown]
	ds_read_b128 v[9:12], v29 offset:1440
	s_waitcnt vmcnt(57) lgkmcnt(1)
	v_mul_f64 v[124:125], v[1:2], v[44:45]
	v_mul_f64 v[43:44], v[3:4], v[44:45]
	s_waitcnt vmcnt(56)
	v_fma_f64 v[27:28], v[5:6], v[15:16], -v[27:28]
	v_fma_f64 v[15:16], v[7:8], v[15:16], v[34:35]
	v_add_f64 v[13:14], v[13:14], v[21:22]
	s_clause 0x2
	buffer_load_dword v41, off, s[0:3], 0 offset:780
	buffer_load_dword v22, off, s[0:3], 0 offset:756
	;; [unrolled: 1-line block ×3, first 2 shown]
	v_add_f64 v[17:18], v[30:31], v[17:18]
	s_waitcnt vmcnt(58) lgkmcnt(0)
	v_mul_f64 v[34:35], v[11:12], v[46:47]
	ds_read_b128 v[5:8], v29 offset:1456
	v_mul_f64 v[30:31], v[9:10], v[46:47]
	s_waitcnt vmcnt(56)
	v_fma_f64 v[44:45], v[1:2], v[48:49], -v[43:44]
	v_add_f64 v[13:14], v[13:14], v[27:28]
	v_fma_f64 v[27:28], v[3:4], v[48:49], v[124:125]
	v_add_f64 v[15:16], v[17:18], v[15:16]
	s_clause 0x4
	buffer_load_dword v18, off, s[0:3], 0 offset:796
	buffer_load_dword v46, off, s[0:3], 0 offset:808
	buffer_load_dword v48, off, s[0:3], 0 offset:800
	buffer_load_dword v17, off, s[0:3], 0 offset:792
	buffer_load_dword v43, off, s[0:3], 0 offset:772
	s_waitcnt vmcnt(57) lgkmcnt(0)
	v_mul_f64 v[124:125], v[5:6], v[50:51]
	v_mul_f64 v[49:50], v[7:8], v[50:51]
	s_waitcnt vmcnt(56)
	v_fma_f64 v[34:35], v[9:10], v[23:24], -v[34:35]
	ds_read_b128 v[1:4], v29 offset:1472
	v_fma_f64 v[23:24], v[11:12], v[23:24], v[30:31]
	v_add_f64 v[13:14], v[13:14], v[44:45]
	v_add_f64 v[15:16], v[15:16], v[27:28]
	s_clause 0x2
	buffer_load_dword v47, off, s[0:3], 0 offset:812
	buffer_load_dword v28, off, s[0:3], 0 offset:788
	buffer_load_dword v27, off, s[0:3], 0 offset:784
	ds_read_b128 v[9:12], v29 offset:1488
	s_waitcnt vmcnt(58) lgkmcnt(1)
	v_mul_f64 v[44:45], v[3:4], v[52:53]
	s_waitcnt vmcnt(56)
	v_fma_f64 v[50:51], v[5:6], v[56:57], -v[49:50]
	v_mul_f64 v[30:31], v[1:2], v[52:53]
	v_add_f64 v[13:14], v[13:14], v[34:35]
	v_fma_f64 v[34:35], v[7:8], v[56:57], v[124:125]
	v_add_f64 v[15:16], v[15:16], v[23:24]
	s_clause 0x4
	buffer_load_dword v24, off, s[0:3], 0 offset:828
	buffer_load_dword v52, off, s[0:3], 0 offset:840
	buffer_load_dword v56, off, s[0:3], 0 offset:832
	buffer_load_dword v23, off, s[0:3], 0 offset:824
	buffer_load_dword v49, off, s[0:3], 0 offset:804
	s_waitcnt vmcnt(57) lgkmcnt(0)
	v_mul_f64 v[57:58], v[9:10], v[77:78]
	v_mul_f64 v[77:78], v[11:12], v[77:78]
	s_waitcnt vmcnt(56)
	v_fma_f64 v[44:45], v[1:2], v[54:55], -v[44:45]
	ds_read_b128 v[5:8], v29 offset:1504
	v_fma_f64 v[30:31], v[3:4], v[54:55], v[30:31]
	v_add_f64 v[13:14], v[13:14], v[50:51]
	v_add_f64 v[15:16], v[15:16], v[34:35]
	s_clause 0x2
	buffer_load_dword v53, off, s[0:3], 0 offset:844
	buffer_load_dword v35, off, s[0:3], 0 offset:820
	buffer_load_dword v34, off, s[0:3], 0 offset:816
	ds_read_b128 v[1:4], v29 offset:1520
	s_waitcnt vmcnt(58) lgkmcnt(1)
	v_mul_f64 v[54:55], v[7:8], v[79:80]
	s_waitcnt vmcnt(56)
	v_fma_f64 v[77:78], v[9:10], v[91:92], -v[77:78]
	v_mul_f64 v[50:51], v[5:6], v[79:80]
	;; [unrolled: 28-line block ×4, first 2 shown]
	v_add_f64 v[13:14], v[13:14], v[89:90]
	v_fma_f64 v[89:90], v[7:8], v[116:117], v[124:125]
	v_add_f64 v[15:16], v[15:16], v[77:78]
	s_clause 0x2
	buffer_load_dword v78, off, s[0:3], 0 offset:924
	buffer_load_dword v77, off, s[0:3], 0 offset:920
	;; [unrolled: 1-line block ×3, first 2 shown]
	ds_read_b128 v[5:8], v29 offset:1600
	s_waitcnt vmcnt(55) lgkmcnt(1)
	v_mul_f64 v[111:112], v[9:10], v[107:108]
	v_mul_f64 v[107:108], v[11:12], v[107:108]
	s_waitcnt vmcnt(54)
	v_fma_f64 v[103:104], v[1:2], v[113:114], -v[103:104]
	v_fma_f64 v[99:100], v[3:4], v[113:114], v[99:100]
	v_add_f64 v[13:14], v[13:14], v[109:110]
	v_add_f64 v[15:16], v[15:16], v[89:90]
	s_clause 0x1
	buffer_load_dword v90, off, s[0:3], 0 offset:916
	buffer_load_dword v89, off, s[0:3], 0 offset:912
	ds_read_b128 v[1:4], v29 offset:1616
	s_waitcnt vmcnt(55) lgkmcnt(1)
	v_mul_f64 v[113:114], v[7:8], v[120:121]
	v_mul_f64 v[109:110], v[5:6], v[120:121]
	s_waitcnt vmcnt(53)
	v_fma_f64 v[107:108], v[9:10], v[36:37], -v[107:108]
	v_fma_f64 v[36:37], v[11:12], v[36:37], v[111:112]
	ds_read_b128 v[9:12], v29 offset:1632
	v_add_f64 v[13:14], v[13:14], v[103:104]
	v_add_f64 v[15:16], v[15:16], v[99:100]
	s_waitcnt vmcnt(49) lgkmcnt(1)
	v_mul_f64 v[99:100], v[1:2], v[25:26]
	v_mul_f64 v[25:26], v[3:4], v[25:26]
	s_waitcnt vmcnt(48)
	v_fma_f64 v[103:104], v[5:6], v[122:123], -v[113:114]
	v_add_f64 v[13:14], v[13:14], v[107:108]
	v_fma_f64 v[107:108], v[7:8], v[122:123], v[109:110]
	v_add_f64 v[15:16], v[15:16], v[36:37]
	s_clause 0x3
	buffer_load_dword v36, off, s[0:3], 0 offset:400
	buffer_load_dword v37, off, s[0:3], 0 offset:404
	;; [unrolled: 1-line block ×4, first 2 shown]
	ds_read_b128 v[5:8], v29 offset:1648
	s_waitcnt vmcnt(51) lgkmcnt(1)
	v_mul_f64 v[111:112], v[9:10], v[38:39]
	v_mul_f64 v[38:39], v[11:12], v[38:39]
	s_waitcnt vmcnt(49)
	v_fma_f64 v[25:26], v[1:2], v[19:20], -v[25:26]
	v_fma_f64 v[19:20], v[3:4], v[19:20], v[99:100]
	ds_read_b128 v[1:4], v29 offset:1664
	v_add_f64 v[13:14], v[13:14], v[103:104]
	v_add_f64 v[15:16], v[15:16], v[107:108]
	s_waitcnt vmcnt(45) lgkmcnt(1)
	v_mul_f64 v[99:100], v[5:6], v[32:33]
	v_mul_f64 v[32:33], v[7:8], v[32:33]
	s_waitcnt vmcnt(44)
	v_fma_f64 v[38:39], v[9:10], v[118:119], -v[38:39]
	v_add_f64 v[13:14], v[13:14], v[25:26]
	v_fma_f64 v[25:26], v[11:12], v[118:119], v[111:112]
	v_add_f64 v[15:16], v[15:16], v[19:20]
	ds_read_b128 v[9:12], v29 offset:1680
	s_waitcnt vmcnt(43) lgkmcnt(1)
	v_mul_f64 v[19:20], v[1:2], v[40:41]
	v_mul_f64 v[40:41], v[3:4], v[40:41]
	s_waitcnt vmcnt(41)
	v_fma_f64 v[32:33], v[5:6], v[21:22], -v[32:33]
	v_fma_f64 v[21:22], v[7:8], v[21:22], v[99:100]
	ds_read_b128 v[5:8], v29 offset:1696
	v_add_f64 v[13:14], v[13:14], v[38:39]
	v_add_f64 v[15:16], v[15:16], v[25:26]
	s_waitcnt vmcnt(37) lgkmcnt(1)
	v_mul_f64 v[25:26], v[9:10], v[17:18]
	v_mul_f64 v[17:18], v[11:12], v[17:18]
	s_waitcnt vmcnt(36)
	v_fma_f64 v[38:39], v[1:2], v[42:43], -v[40:41]
	v_fma_f64 v[19:20], v[3:4], v[42:43], v[19:20]
	ds_read_b128 v[1:4], v29 offset:1712
	v_add_f64 v[13:14], v[13:14], v[32:33]
	v_add_f64 v[15:16], v[15:16], v[21:22]
	s_waitcnt vmcnt(35) lgkmcnt(1)
	v_mul_f64 v[32:33], v[7:8], v[46:47]
	v_mul_f64 v[21:22], v[5:6], v[46:47]
	s_waitcnt vmcnt(33)
	v_fma_f64 v[17:18], v[9:10], v[27:28], -v[17:18]
	v_fma_f64 v[25:26], v[11:12], v[27:28], v[25:26]
	ds_read_b128 v[9:12], v29 offset:1728
	v_add_f64 v[13:14], v[13:14], v[38:39]
	v_add_f64 v[15:16], v[15:16], v[19:20]
	s_waitcnt vmcnt(29) lgkmcnt(1)
	v_mul_f64 v[19:20], v[1:2], v[23:24]
	v_mul_f64 v[23:24], v[3:4], v[23:24]
	s_waitcnt vmcnt(28)
	v_fma_f64 v[27:28], v[5:6], v[48:49], -v[32:33]
	v_add_f64 v[13:14], v[13:14], v[17:18]
	v_fma_f64 v[17:18], v[7:8], v[48:49], v[21:22]
	v_add_f64 v[15:16], v[15:16], v[25:26]
	ds_read_b128 v[5:8], v29 offset:1744
	s_waitcnt vmcnt(27) lgkmcnt(1)
	v_mul_f64 v[25:26], v[11:12], v[52:53]
	v_mul_f64 v[21:22], v[9:10], v[52:53]
	s_waitcnt vmcnt(25)
	v_fma_f64 v[23:24], v[1:2], v[34:35], -v[23:24]
	v_fma_f64 v[19:20], v[3:4], v[34:35], v[19:20]
	ds_read_b128 v[1:4], v29 offset:1760
	v_add_f64 v[13:14], v[13:14], v[27:28]
	v_add_f64 v[15:16], v[15:16], v[17:18]
	s_waitcnt vmcnt(21) lgkmcnt(1)
	v_mul_f64 v[27:28], v[7:8], v[30:31]
	s_waitcnt vmcnt(20)
	v_fma_f64 v[25:26], v[9:10], v[56:57], -v[25:26]
	v_mul_f64 v[17:18], v[5:6], v[30:31]
	v_fma_f64 v[21:22], v[11:12], v[56:57], v[21:22]
	ds_read_b128 v[9:12], v29 offset:1776
	v_add_f64 v[13:14], v[13:14], v[23:24]
	v_add_f64 v[15:16], v[15:16], v[19:20]
	s_waitcnt vmcnt(19) lgkmcnt(1)
	v_mul_f64 v[23:24], v[3:4], v[79:80]
	v_mul_f64 v[19:20], v[1:2], v[79:80]
	s_waitcnt vmcnt(17)
	v_fma_f64 v[27:28], v[5:6], v[44:45], -v[27:28]
	v_fma_f64 v[17:18], v[7:8], v[44:45], v[17:18]
	ds_read_b128 v[5:8], v29 offset:1792
	v_add_f64 v[13:14], v[13:14], v[25:26]
	v_add_f64 v[15:16], v[15:16], v[21:22]
	s_waitcnt vmcnt(13) lgkmcnt(1)
	v_mul_f64 v[25:26], v[11:12], v[50:51]
	s_waitcnt vmcnt(12)
	v_fma_f64 v[23:24], v[1:2], v[91:92], -v[23:24]
	v_mul_f64 v[21:22], v[9:10], v[50:51]
	v_fma_f64 v[19:20], v[3:4], v[91:92], v[19:20]
	ds_read_b128 v[1:4], v29 offset:1808
	v_add_f64 v[13:14], v[13:14], v[27:28]
	v_add_f64 v[15:16], v[15:16], v[17:18]
	s_waitcnt vmcnt(11) lgkmcnt(1)
	v_mul_f64 v[27:28], v[7:8], v[101:102]
	v_mul_f64 v[17:18], v[5:6], v[101:102]
	s_waitcnt vmcnt(9)
	v_fma_f64 v[9:10], v[9:10], v[54:55], -v[25:26]
	v_fma_f64 v[11:12], v[11:12], v[54:55], v[21:22]
	v_add_f64 v[13:14], v[13:14], v[23:24]
	v_add_f64 v[15:16], v[15:16], v[19:20]
	s_waitcnt vmcnt(7) lgkmcnt(0)
	v_mul_f64 v[21:22], v[3:4], v[77:78]
	s_waitcnt vmcnt(6)
	v_fma_f64 v[5:6], v[5:6], v[105:106], -v[27:28]
	v_mul_f64 v[19:20], v[1:2], v[77:78]
	v_fma_f64 v[7:8], v[7:8], v[105:106], v[17:18]
	v_add_f64 v[9:10], v[13:14], v[9:10]
	v_add_f64 v[11:12], v[15:16], v[11:12]
	s_waitcnt vmcnt(4)
	v_fma_f64 v[1:2], v[1:2], v[89:90], -v[21:22]
	v_fma_f64 v[3:4], v[3:4], v[89:90], v[19:20]
	v_add_f64 v[5:6], v[9:10], v[5:6]
	v_add_f64 v[7:8], v[11:12], v[7:8]
	;; [unrolled: 1-line block ×4, first 2 shown]
	s_waitcnt vmcnt(2)
	v_add_f64 v[1:2], v[36:37], -v[1:2]
	s_waitcnt vmcnt(0)
	v_add_f64 v[3:4], v[109:110], -v[3:4]
	buffer_store_dword v2, off, s[0:3], 0 offset:404
	buffer_store_dword v1, off, s[0:3], 0 offset:400
	;; [unrolled: 1-line block ×4, first 2 shown]
	v_cmpx_lt_u32_e32 23, v0
	s_cbranch_execz .LBB56_309
; %bb.308:
	v_mov_b32_e32 v4, s46
	v_mov_b32_e32 v5, 0
	s_clause 0x3
	buffer_load_dword v1, v4, s[0:3], 0 offen
	buffer_load_dword v2, v4, s[0:3], 0 offen offset:4
	buffer_load_dword v3, v4, s[0:3], 0 offen offset:8
	;; [unrolled: 1-line block ×3, first 2 shown]
	buffer_store_dword v5, off, s[0:3], 0 offset:384
	buffer_store_dword v5, off, s[0:3], 0 offset:388
	;; [unrolled: 1-line block ×4, first 2 shown]
	s_waitcnt vmcnt(0)
	ds_write_b128 v59, v[1:4]
.LBB56_309:
	s_or_b32 exec_lo, exec_lo, s4
	s_waitcnt lgkmcnt(0)
	s_waitcnt_vscnt null, 0x0
	s_barrier
	buffer_gl0_inv
	s_clause 0x37
	buffer_load_dword v9, off, s[0:3], 0 offset:408
	buffer_load_dword v10, off, s[0:3], 0 offset:412
	;; [unrolled: 1-line block ×56, first 2 shown]
	v_mov_b32_e32 v51, 0
	s_mov_b32 s4, exec_lo
	ds_read_b128 v[39:42], v51 offset:1296
	s_clause 0x2
	buffer_load_dword v102, off, s[0:3], 0 offset:636
	buffer_load_dword v106, off, s[0:3], 0 offset:612
	;; [unrolled: 1-line block ×3, first 2 shown]
	ds_read_b128 v[43:46], v51 offset:1312
	s_clause 0x4
	buffer_load_dword v110, off, s[0:3], 0 offset:652
	buffer_load_dword v111, off, s[0:3], 0 offset:664
	;; [unrolled: 1-line block ×5, first 2 shown]
	ds_read_b128 v[47:50], v51 offset:1328
	s_clause 0x2
	buffer_load_dword v112, off, s[0:3], 0 offset:668
	buffer_load_dword v117, off, s[0:3], 0 offset:644
	;; [unrolled: 1-line block ×3, first 2 shown]
	s_waitcnt vmcnt(62) lgkmcnt(2)
	v_mul_f64 v[107:108], v[41:42], v[9:10]
	v_mul_f64 v[9:10], v[39:40], v[9:10]
	s_waitcnt lgkmcnt(1)
	v_mul_f64 v[114:115], v[45:46], v[5:6]
	s_waitcnt vmcnt(59) lgkmcnt(0)
	v_mul_f64 v[118:119], v[49:50], v[3:4]
	v_fma_f64 v[39:40], v[39:40], v[7:8], -v[107:108]
	v_mul_f64 v[107:108], v[43:44], v[5:6]
	v_fma_f64 v[9:10], v[41:42], v[7:8], v[9:10]
	s_waitcnt vmcnt(57)
	v_fma_f64 v[43:44], v[43:44], v[1:2], -v[114:115]
	ds_read_b128 v[5:8], v51 offset:1344
	v_mul_f64 v[41:42], v[47:48], v[3:4]
	s_waitcnt vmcnt(51)
	v_fma_f64 v[47:48], v[47:48], v[25:26], -v[118:119]
	v_add_f64 v[39:40], v[39:40], 0
	v_fma_f64 v[45:46], v[45:46], v[1:2], v[107:108]
	v_add_f64 v[9:10], v[9:10], 0
	s_clause 0x4
	buffer_load_dword v108, off, s[0:3], 0 offset:684
	buffer_load_dword v120, off, s[0:3], 0 offset:696
	;; [unrolled: 1-line block ×5, first 2 shown]
	s_waitcnt lgkmcnt(0)
	v_mul_f64 v[123:124], v[5:6], v[13:14]
	v_mul_f64 v[13:14], v[7:8], v[13:14]
	ds_read_b128 v[1:4], v51 offset:1360
	v_fma_f64 v[25:26], v[49:50], v[25:26], v[41:42]
	v_add_f64 v[43:44], v[39:40], v[43:44]
	v_add_f64 v[9:10], v[9:10], v[45:46]
	s_clause 0x2
	buffer_load_dword v121, off, s[0:3], 0 offset:700
	buffer_load_dword v46, off, s[0:3], 0 offset:676
	;; [unrolled: 1-line block ×3, first 2 shown]
	s_waitcnt vmcnt(58) lgkmcnt(0)
	v_mul_f64 v[49:50], v[1:2], v[17:18]
	v_mul_f64 v[17:18], v[3:4], v[17:18]
	s_waitcnt vmcnt(56)
	v_fma_f64 v[13:14], v[5:6], v[19:20], -v[13:14]
	ds_read_b128 v[39:42], v51 offset:1376
	v_fma_f64 v[19:20], v[7:8], v[19:20], v[123:124]
	v_add_f64 v[43:44], v[43:44], v[47:48]
	v_add_f64 v[9:10], v[9:10], v[25:26]
	s_clause 0x4
	buffer_load_dword v26, off, s[0:3], 0 offset:716
	buffer_load_dword v47, off, s[0:3], 0 offset:728
	;; [unrolled: 1-line block ×5, first 2 shown]
	ds_read_b128 v[5:8], v51 offset:1392
	s_waitcnt vmcnt(57) lgkmcnt(1)
	v_mul_f64 v[124:125], v[39:40], v[21:22]
	v_mul_f64 v[21:22], v[41:42], v[21:22]
	s_waitcnt vmcnt(56)
	v_fma_f64 v[17:18], v[1:2], v[11:12], -v[17:18]
	v_fma_f64 v[11:12], v[3:4], v[11:12], v[49:50]
	v_add_f64 v[13:14], v[43:44], v[13:14]
	v_add_f64 v[9:10], v[9:10], v[19:20]
	s_clause 0x2
	buffer_load_dword v48, off, s[0:3], 0 offset:732
	buffer_load_dword v20, off, s[0:3], 0 offset:708
	;; [unrolled: 1-line block ×3, first 2 shown]
	s_waitcnt vmcnt(58) lgkmcnt(0)
	v_mul_f64 v[43:44], v[5:6], v[27:28]
	v_mul_f64 v[27:28], v[7:8], v[27:28]
	s_waitcnt vmcnt(56)
	v_fma_f64 v[21:22], v[39:40], v[29:30], -v[21:22]
	ds_read_b128 v[1:4], v51 offset:1408
	v_add_f64 v[13:14], v[13:14], v[17:18]
	v_fma_f64 v[17:18], v[41:42], v[29:30], v[124:125]
	v_add_f64 v[29:30], v[9:10], v[11:12]
	s_clause 0x4
	buffer_load_dword v40, off, s[0:3], 0 offset:748
	buffer_load_dword v41, off, s[0:3], 0 offset:760
	;; [unrolled: 1-line block ×5, first 2 shown]
	ds_read_b128 v[9:12], v51 offset:1424
	s_waitcnt vmcnt(57) lgkmcnt(1)
	v_mul_f64 v[124:125], v[1:2], v[31:32]
	v_mul_f64 v[31:32], v[3:4], v[31:32]
	s_waitcnt vmcnt(56)
	v_fma_f64 v[27:28], v[5:6], v[15:16], -v[27:28]
	v_fma_f64 v[15:16], v[7:8], v[15:16], v[43:44]
	v_add_f64 v[13:14], v[13:14], v[21:22]
	s_clause 0x2
	buffer_load_dword v42, off, s[0:3], 0 offset:764
	buffer_load_dword v22, off, s[0:3], 0 offset:740
	buffer_load_dword v21, off, s[0:3], 0 offset:736
	v_add_f64 v[17:18], v[29:30], v[17:18]
	s_waitcnt vmcnt(58) lgkmcnt(0)
	v_mul_f64 v[29:30], v[9:10], v[35:36]
	v_mul_f64 v[35:36], v[11:12], v[35:36]
	ds_read_b128 v[5:8], v51 offset:1440
	s_waitcnt vmcnt(56)
	v_fma_f64 v[31:32], v[1:2], v[37:38], -v[31:32]
	v_add_f64 v[13:14], v[13:14], v[27:28]
	v_fma_f64 v[27:28], v[3:4], v[37:38], v[124:125]
	v_add_f64 v[15:16], v[17:18], v[15:16]
	s_clause 0x4
	buffer_load_dword v18, off, s[0:3], 0 offset:780
	buffer_load_dword v37, off, s[0:3], 0 offset:792
	;; [unrolled: 1-line block ×5, first 2 shown]
	s_waitcnt vmcnt(57) lgkmcnt(0)
	v_mul_f64 v[124:125], v[5:6], v[52:53]
	v_mul_f64 v[52:53], v[7:8], v[52:53]
	s_waitcnt vmcnt(56)
	v_fma_f64 v[35:36], v[9:10], v[23:24], -v[35:36]
	ds_read_b128 v[1:4], v51 offset:1456
	v_fma_f64 v[23:24], v[11:12], v[23:24], v[29:30]
	v_add_f64 v[13:14], v[13:14], v[31:32]
	v_add_f64 v[15:16], v[15:16], v[27:28]
	s_clause 0x2
	buffer_load_dword v38, off, s[0:3], 0 offset:796
	buffer_load_dword v28, off, s[0:3], 0 offset:772
	;; [unrolled: 1-line block ×3, first 2 shown]
	ds_read_b128 v[9:12], v51 offset:1472
	s_waitcnt vmcnt(58) lgkmcnt(1)
	v_mul_f64 v[31:32], v[3:4], v[54:55]
	s_waitcnt vmcnt(56)
	v_fma_f64 v[52:53], v[5:6], v[56:57], -v[52:53]
	v_mul_f64 v[29:30], v[1:2], v[54:55]
	v_add_f64 v[13:14], v[13:14], v[35:36]
	v_fma_f64 v[35:36], v[7:8], v[56:57], v[124:125]
	v_add_f64 v[15:16], v[15:16], v[23:24]
	s_clause 0x4
	buffer_load_dword v24, off, s[0:3], 0 offset:812
	buffer_load_dword v54, off, s[0:3], 0 offset:824
	buffer_load_dword v56, off, s[0:3], 0 offset:816
	buffer_load_dword v23, off, s[0:3], 0 offset:808
	buffer_load_dword v44, off, s[0:3], 0 offset:788
	s_waitcnt vmcnt(57) lgkmcnt(0)
	v_mul_f64 v[57:58], v[9:10], v[77:78]
	v_mul_f64 v[77:78], v[11:12], v[77:78]
	s_waitcnt vmcnt(56)
	v_fma_f64 v[31:32], v[1:2], v[33:34], -v[31:32]
	ds_read_b128 v[5:8], v51 offset:1488
	v_fma_f64 v[29:30], v[3:4], v[33:34], v[29:30]
	s_clause 0x2
	buffer_load_dword v55, off, s[0:3], 0 offset:828
	buffer_load_dword v34, off, s[0:3], 0 offset:804
	;; [unrolled: 1-line block ×3, first 2 shown]
	ds_read_b128 v[1:4], v51 offset:1504
	v_add_f64 v[13:14], v[13:14], v[52:53]
	v_add_f64 v[15:16], v[15:16], v[35:36]
	s_waitcnt vmcnt(58) lgkmcnt(1)
	v_mul_f64 v[52:53], v[7:8], v[79:80]
	s_waitcnt vmcnt(56)
	v_fma_f64 v[77:78], v[9:10], v[91:92], -v[77:78]
	v_mul_f64 v[35:36], v[5:6], v[79:80]
	s_waitcnt vmcnt(52) lgkmcnt(0)
	v_mul_f64 v[124:125], v[1:2], v[99:100]
	v_mul_f64 v[99:100], v[3:4], v[99:100]
	v_add_f64 v[13:14], v[13:14], v[31:32]
	v_fma_f64 v[31:32], v[11:12], v[91:92], v[57:58]
	v_add_f64 v[15:16], v[15:16], v[29:30]
	s_clause 0x4
	buffer_load_dword v30, off, s[0:3], 0 offset:844
	buffer_load_dword v79, off, s[0:3], 0 offset:856
	;; [unrolled: 1-line block ×5, first 2 shown]
	ds_read_b128 v[9:12], v51 offset:1520
	s_waitcnt vmcnt(56)
	v_fma_f64 v[52:53], v[5:6], v[89:90], -v[52:53]
	v_fma_f64 v[35:36], v[7:8], v[89:90], v[35:36]
	s_waitcnt vmcnt(53)
	v_fma_f64 v[99:100], v[1:2], v[105:106], -v[99:100]
	v_add_f64 v[13:14], v[13:14], v[77:78]
	v_add_f64 v[15:16], v[15:16], v[31:32]
	s_clause 0x2
	buffer_load_dword v80, off, s[0:3], 0 offset:860
	buffer_load_dword v32, off, s[0:3], 0 offset:836
	;; [unrolled: 1-line block ×3, first 2 shown]
	s_waitcnt lgkmcnt(0)
	v_mul_f64 v[89:90], v[11:12], v[101:102]
	ds_read_b128 v[5:8], v51 offset:1536
	v_mul_f64 v[77:78], v[9:10], v[101:102]
	v_add_f64 v[13:14], v[13:14], v[52:53]
	v_fma_f64 v[52:53], v[3:4], v[105:106], v[124:125]
	v_add_f64 v[15:16], v[15:16], v[35:36]
	s_clause 0x4
	buffer_load_dword v36, off, s[0:3], 0 offset:876
	buffer_load_dword v101, off, s[0:3], 0 offset:888
	buffer_load_dword v105, off, s[0:3], 0 offset:880
	buffer_load_dword v35, off, s[0:3], 0 offset:872
	buffer_load_dword v92, off, s[0:3], 0 offset:852
	s_waitcnt vmcnt(57) lgkmcnt(0)
	v_mul_f64 v[124:125], v[5:6], v[109:110]
	v_mul_f64 v[109:110], v[7:8], v[109:110]
	s_waitcnt vmcnt(56)
	v_fma_f64 v[89:90], v[9:10], v[103:104], -v[89:90]
	ds_read_b128 v[1:4], v51 offset:1552
	v_fma_f64 v[77:78], v[11:12], v[103:104], v[77:78]
	v_add_f64 v[13:14], v[13:14], v[99:100]
	v_add_f64 v[15:16], v[15:16], v[52:53]
	s_clause 0x2
	buffer_load_dword v102, off, s[0:3], 0 offset:892
	buffer_load_dword v53, off, s[0:3], 0 offset:868
	;; [unrolled: 1-line block ×3, first 2 shown]
	ds_read_b128 v[9:12], v51 offset:1568
	s_waitcnt vmcnt(58) lgkmcnt(1)
	v_mul_f64 v[103:104], v[3:4], v[111:112]
	s_waitcnt vmcnt(56)
	v_fma_f64 v[109:110], v[5:6], v[116:117], -v[109:110]
	v_mul_f64 v[99:100], v[1:2], v[111:112]
	v_add_f64 v[13:14], v[13:14], v[89:90]
	v_fma_f64 v[89:90], v[7:8], v[116:117], v[124:125]
	v_add_f64 v[15:16], v[15:16], v[77:78]
	s_clause 0x4
	buffer_load_dword v78, off, s[0:3], 0 offset:908
	buffer_load_dword v111, off, s[0:3], 0 offset:920
	;; [unrolled: 1-line block ×5, first 2 shown]
	ds_read_b128 v[5:8], v51 offset:1584
	s_waitcnt vmcnt(57) lgkmcnt(1)
	v_mul_f64 v[116:117], v[9:10], v[107:108]
	v_mul_f64 v[107:108], v[11:12], v[107:108]
	s_waitcnt vmcnt(56)
	v_fma_f64 v[103:104], v[1:2], v[113:114], -v[103:104]
	v_fma_f64 v[99:100], v[3:4], v[113:114], v[99:100]
	v_add_f64 v[13:14], v[13:14], v[109:110]
	v_add_f64 v[15:16], v[15:16], v[89:90]
	s_clause 0x2
	buffer_load_dword v112, off, s[0:3], 0 offset:924
	buffer_load_dword v90, off, s[0:3], 0 offset:900
	;; [unrolled: 1-line block ×3, first 2 shown]
	ds_read_b128 v[1:4], v51 offset:1600
	s_waitcnt vmcnt(58) lgkmcnt(1)
	v_mul_f64 v[113:114], v[7:8], v[120:121]
	v_mul_f64 v[109:110], v[5:6], v[120:121]
	s_waitcnt vmcnt(56)
	v_fma_f64 v[107:108], v[9:10], v[45:46], -v[107:108]
	v_fma_f64 v[45:46], v[11:12], v[45:46], v[116:117]
	buffer_load_dword v116, off, s[0:3], 0 offset:916
	ds_read_b128 v[9:12], v51 offset:1616
	v_add_f64 v[13:14], v[13:14], v[103:104]
	v_add_f64 v[15:16], v[15:16], v[99:100]
	s_waitcnt vmcnt(53) lgkmcnt(1)
	v_mul_f64 v[99:100], v[1:2], v[25:26]
	v_mul_f64 v[25:26], v[3:4], v[25:26]
	s_waitcnt vmcnt(52)
	v_fma_f64 v[103:104], v[5:6], v[122:123], -v[113:114]
	v_add_f64 v[13:14], v[13:14], v[107:108]
	v_fma_f64 v[107:108], v[7:8], v[122:123], v[109:110]
	v_add_f64 v[15:16], v[15:16], v[45:46]
	ds_read_b128 v[5:8], v51 offset:1632
	s_waitcnt vmcnt(51) lgkmcnt(1)
	v_mul_f64 v[45:46], v[9:10], v[47:48]
	v_mul_f64 v[47:48], v[11:12], v[47:48]
	s_waitcnt vmcnt(49)
	v_fma_f64 v[25:26], v[1:2], v[19:20], -v[25:26]
	v_fma_f64 v[19:20], v[3:4], v[19:20], v[99:100]
	v_add_f64 v[13:14], v[13:14], v[103:104]
	s_clause 0x3
	buffer_load_dword v99, off, s[0:3], 0 offset:384
	buffer_load_dword v100, off, s[0:3], 0 offset:388
	;; [unrolled: 1-line block ×4, first 2 shown]
	v_add_f64 v[15:16], v[15:16], v[107:108]
	ds_read_b128 v[1:4], v51 offset:1648
	s_waitcnt vmcnt(49) lgkmcnt(1)
	v_mul_f64 v[107:108], v[5:6], v[39:40]
	v_mul_f64 v[39:40], v[7:8], v[39:40]
	s_waitcnt vmcnt(48)
	v_fma_f64 v[47:48], v[9:10], v[118:119], -v[47:48]
	v_add_f64 v[13:14], v[13:14], v[25:26]
	v_fma_f64 v[25:26], v[11:12], v[118:119], v[45:46]
	v_add_f64 v[15:16], v[15:16], v[19:20]
	ds_read_b128 v[9:12], v51 offset:1664
	s_waitcnt vmcnt(47) lgkmcnt(1)
	v_mul_f64 v[19:20], v[1:2], v[41:42]
	v_mul_f64 v[41:42], v[3:4], v[41:42]
	s_waitcnt vmcnt(45)
	v_fma_f64 v[39:40], v[5:6], v[21:22], -v[39:40]
	v_fma_f64 v[21:22], v[7:8], v[21:22], v[107:108]
	ds_read_b128 v[5:8], v51 offset:1680
	v_add_f64 v[13:14], v[13:14], v[47:48]
	v_add_f64 v[15:16], v[15:16], v[25:26]
	s_waitcnt vmcnt(41) lgkmcnt(1)
	v_mul_f64 v[25:26], v[9:10], v[17:18]
	v_mul_f64 v[17:18], v[11:12], v[17:18]
	s_waitcnt vmcnt(40)
	v_fma_f64 v[41:42], v[1:2], v[49:50], -v[41:42]
	v_fma_f64 v[19:20], v[3:4], v[49:50], v[19:20]
	ds_read_b128 v[1:4], v51 offset:1696
	v_add_f64 v[13:14], v[13:14], v[39:40]
	v_add_f64 v[15:16], v[15:16], v[21:22]
	;; [unrolled: 9-line block ×3, first 2 shown]
	s_waitcnt vmcnt(33) lgkmcnt(1)
	v_mul_f64 v[19:20], v[1:2], v[23:24]
	v_mul_f64 v[23:24], v[3:4], v[23:24]
	s_waitcnt vmcnt(32)
	v_fma_f64 v[27:28], v[5:6], v[43:44], -v[37:38]
	v_add_f64 v[13:14], v[13:14], v[17:18]
	v_fma_f64 v[17:18], v[7:8], v[43:44], v[21:22]
	v_add_f64 v[15:16], v[15:16], v[25:26]
	ds_read_b128 v[5:8], v51 offset:1728
	s_waitcnt vmcnt(31) lgkmcnt(1)
	v_mul_f64 v[25:26], v[11:12], v[54:55]
	v_mul_f64 v[21:22], v[9:10], v[54:55]
	s_waitcnt vmcnt(29)
	v_fma_f64 v[19:20], v[3:4], v[33:34], v[19:20]
	v_fma_f64 v[23:24], v[1:2], v[33:34], -v[23:24]
	ds_read_b128 v[1:4], v51 offset:1744
	v_add_f64 v[13:14], v[13:14], v[27:28]
	v_add_f64 v[15:16], v[15:16], v[17:18]
	s_waitcnt vmcnt(25) lgkmcnt(1)
	v_mul_f64 v[27:28], v[7:8], v[29:30]
	s_waitcnt vmcnt(24)
	v_fma_f64 v[25:26], v[9:10], v[56:57], -v[25:26]
	v_mul_f64 v[17:18], v[5:6], v[29:30]
	v_fma_f64 v[21:22], v[11:12], v[56:57], v[21:22]
	ds_read_b128 v[9:12], v51 offset:1760
	v_add_f64 v[13:14], v[13:14], v[23:24]
	v_add_f64 v[15:16], v[15:16], v[19:20]
	s_waitcnt vmcnt(23) lgkmcnt(1)
	v_mul_f64 v[23:24], v[3:4], v[79:80]
	v_mul_f64 v[19:20], v[1:2], v[79:80]
	s_waitcnt vmcnt(21)
	v_fma_f64 v[27:28], v[5:6], v[31:32], -v[27:28]
	v_fma_f64 v[17:18], v[7:8], v[31:32], v[17:18]
	ds_read_b128 v[5:8], v51 offset:1776
	v_add_f64 v[13:14], v[13:14], v[25:26]
	v_add_f64 v[15:16], v[15:16], v[21:22]
	s_waitcnt vmcnt(17) lgkmcnt(1)
	v_mul_f64 v[25:26], v[11:12], v[35:36]
	s_waitcnt vmcnt(16)
	v_fma_f64 v[23:24], v[1:2], v[91:92], -v[23:24]
	v_mul_f64 v[21:22], v[9:10], v[35:36]
	v_fma_f64 v[19:20], v[3:4], v[91:92], v[19:20]
	ds_read_b128 v[1:4], v51 offset:1792
	v_add_f64 v[13:14], v[13:14], v[27:28]
	v_add_f64 v[15:16], v[15:16], v[17:18]
	s_waitcnt vmcnt(15) lgkmcnt(1)
	v_mul_f64 v[27:28], v[7:8], v[101:102]
	v_mul_f64 v[17:18], v[5:6], v[101:102]
	s_waitcnt vmcnt(13)
	v_fma_f64 v[25:26], v[9:10], v[52:53], -v[25:26]
	v_fma_f64 v[21:22], v[11:12], v[52:53], v[21:22]
	ds_read_b128 v[9:12], v51 offset:1808
	v_add_f64 v[13:14], v[13:14], v[23:24]
	v_add_f64 v[15:16], v[15:16], v[19:20]
	s_waitcnt vmcnt(9) lgkmcnt(1)
	v_mul_f64 v[23:24], v[3:4], v[77:78]
	s_waitcnt vmcnt(8)
	v_fma_f64 v[5:6], v[5:6], v[105:106], -v[27:28]
	v_mul_f64 v[19:20], v[1:2], v[77:78]
	v_fma_f64 v[7:8], v[7:8], v[105:106], v[17:18]
	v_add_f64 v[13:14], v[13:14], v[25:26]
	v_add_f64 v[15:16], v[15:16], v[21:22]
	s_waitcnt vmcnt(7) lgkmcnt(0)
	v_mul_f64 v[21:22], v[11:12], v[111:112]
	v_mul_f64 v[17:18], v[9:10], v[111:112]
	s_waitcnt vmcnt(5)
	v_fma_f64 v[1:2], v[1:2], v[89:90], -v[23:24]
	v_fma_f64 v[3:4], v[3:4], v[89:90], v[19:20]
	v_add_f64 v[5:6], v[13:14], v[5:6]
	v_add_f64 v[7:8], v[15:16], v[7:8]
	s_waitcnt vmcnt(4)
	v_fma_f64 v[9:10], v[9:10], v[115:116], -v[21:22]
	v_add_f64 v[1:2], v[5:6], v[1:2]
	v_fma_f64 v[5:6], v[11:12], v[115:116], v[17:18]
	v_add_f64 v[3:4], v[7:8], v[3:4]
	v_add_f64 v[1:2], v[1:2], v[9:10]
	v_add_f64 v[3:4], v[3:4], v[5:6]
	s_waitcnt vmcnt(2)
	v_add_f64 v[1:2], v[99:100], -v[1:2]
	s_waitcnt vmcnt(0)
	v_add_f64 v[3:4], v[103:104], -v[3:4]
	buffer_store_dword v2, off, s[0:3], 0 offset:388
	buffer_store_dword v1, off, s[0:3], 0 offset:384
	;; [unrolled: 1-line block ×4, first 2 shown]
	v_cmpx_lt_u32_e32 22, v0
	s_cbranch_execz .LBB56_311
; %bb.310:
	v_mov_b32_e32 v4, s47
	s_clause 0x3
	buffer_load_dword v1, v4, s[0:3], 0 offen
	buffer_load_dword v2, v4, s[0:3], 0 offen offset:4
	buffer_load_dword v3, v4, s[0:3], 0 offen offset:8
	;; [unrolled: 1-line block ×3, first 2 shown]
	buffer_store_dword v51, off, s[0:3], 0 offset:368
	buffer_store_dword v51, off, s[0:3], 0 offset:372
	;; [unrolled: 1-line block ×4, first 2 shown]
	s_waitcnt vmcnt(0)
	ds_write_b128 v59, v[1:4]
.LBB56_311:
	s_or_b32 exec_lo, exec_lo, s4
	s_waitcnt lgkmcnt(0)
	s_waitcnt_vscnt null, 0x0
	s_barrier
	buffer_gl0_inv
	s_clause 0x37
	buffer_load_dword v9, off, s[0:3], 0 offset:392
	buffer_load_dword v10, off, s[0:3], 0 offset:396
	buffer_load_dword v5, off, s[0:3], 0 offset:408
	buffer_load_dword v6, off, s[0:3], 0 offset:412
	buffer_load_dword v7, off, s[0:3], 0 offset:384
	buffer_load_dword v8, off, s[0:3], 0 offset:388
	buffer_load_dword v3, off, s[0:3], 0 offset:424
	buffer_load_dword v4, off, s[0:3], 0 offset:428
	buffer_load_dword v1, off, s[0:3], 0 offset:400
	buffer_load_dword v2, off, s[0:3], 0 offset:404
	buffer_load_dword v14, off, s[0:3], 0 offset:444
	buffer_load_dword v17, off, s[0:3], 0 offset:456
	buffer_load_dword v11, off, s[0:3], 0 offset:448
	buffer_load_dword v13, off, s[0:3], 0 offset:440
	buffer_load_dword v25, off, s[0:3], 0 offset:416
	buffer_load_dword v26, off, s[0:3], 0 offset:420
	buffer_load_dword v18, off, s[0:3], 0 offset:460
	buffer_load_dword v20, off, s[0:3], 0 offset:436
	buffer_load_dword v19, off, s[0:3], 0 offset:432
	buffer_load_dword v22, off, s[0:3], 0 offset:476
	buffer_load_dword v27, off, s[0:3], 0 offset:488
	buffer_load_dword v15, off, s[0:3], 0 offset:480
	buffer_load_dword v21, off, s[0:3], 0 offset:472
	buffer_load_dword v12, off, s[0:3], 0 offset:452
	buffer_load_dword v28, off, s[0:3], 0 offset:492
	buffer_load_dword v30, off, s[0:3], 0 offset:468
	buffer_load_dword v29, off, s[0:3], 0 offset:464
	buffer_load_dword v32, off, s[0:3], 0 offset:508
	buffer_load_dword v35, off, s[0:3], 0 offset:520
	buffer_load_dword v23, off, s[0:3], 0 offset:512
	buffer_load_dword v31, off, s[0:3], 0 offset:504
	buffer_load_dword v16, off, s[0:3], 0 offset:484
	buffer_load_dword v36, off, s[0:3], 0 offset:524
	buffer_load_dword v38, off, s[0:3], 0 offset:500
	buffer_load_dword v37, off, s[0:3], 0 offset:496
	buffer_load_dword v40, off, s[0:3], 0 offset:540
	buffer_load_dword v43, off, s[0:3], 0 offset:552
	buffer_load_dword v33, off, s[0:3], 0 offset:544
	buffer_load_dword v39, off, s[0:3], 0 offset:536
	buffer_load_dword v24, off, s[0:3], 0 offset:516
	buffer_load_dword v44, off, s[0:3], 0 offset:556
	buffer_load_dword v46, off, s[0:3], 0 offset:532
	buffer_load_dword v45, off, s[0:3], 0 offset:528
	buffer_load_dword v48, off, s[0:3], 0 offset:572
	buffer_load_dword v56, off, s[0:3], 0 offset:584
	buffer_load_dword v41, off, s[0:3], 0 offset:576
	buffer_load_dword v47, off, s[0:3], 0 offset:568
	buffer_load_dword v34, off, s[0:3], 0 offset:548
	buffer_load_dword v57, off, s[0:3], 0 offset:588
	buffer_load_dword v100, off, s[0:3], 0 offset:564
	buffer_load_dword v99, off, s[0:3], 0 offset:560
	buffer_load_dword v102, off, s[0:3], 0 offset:604
	buffer_load_dword v103, off, s[0:3], 0 offset:616
	buffer_load_dword v49, off, s[0:3], 0 offset:608
	buffer_load_dword v101, off, s[0:3], 0 offset:600
	buffer_load_dword v42, off, s[0:3], 0 offset:580
	ds_read_b128 v[52:55], v51 offset:1280
	s_clause 0x2
	buffer_load_dword v104, off, s[0:3], 0 offset:620
	buffer_load_dword v106, off, s[0:3], 0 offset:596
	;; [unrolled: 1-line block ×3, first 2 shown]
	ds_read_b128 v[77:80], v51 offset:1296
	s_clause 0x4
	buffer_load_dword v110, off, s[0:3], 0 offset:636
	buffer_load_dword v111, off, s[0:3], 0 offset:648
	;; [unrolled: 1-line block ×5, first 2 shown]
	ds_read_b128 v[89:92], v51 offset:1312
	s_clause 0x2
	buffer_load_dword v112, off, s[0:3], 0 offset:652
	buffer_load_dword v117, off, s[0:3], 0 offset:628
	;; [unrolled: 1-line block ×3, first 2 shown]
	s_mov_b32 s4, exec_lo
	s_waitcnt vmcnt(62) lgkmcnt(2)
	v_mul_f64 v[107:108], v[54:55], v[9:10]
	v_mul_f64 v[9:10], v[52:53], v[9:10]
	s_waitcnt lgkmcnt(1)
	v_mul_f64 v[114:115], v[79:80], v[5:6]
	s_waitcnt vmcnt(59) lgkmcnt(0)
	v_mul_f64 v[118:119], v[91:92], v[3:4]
	v_fma_f64 v[52:53], v[52:53], v[7:8], -v[107:108]
	v_mul_f64 v[107:108], v[77:78], v[5:6]
	v_fma_f64 v[9:10], v[54:55], v[7:8], v[9:10]
	s_waitcnt vmcnt(57)
	v_fma_f64 v[77:78], v[77:78], v[1:2], -v[114:115]
	ds_read_b128 v[5:8], v51 offset:1328
	v_mul_f64 v[54:55], v[89:90], v[3:4]
	s_waitcnt vmcnt(51)
	v_fma_f64 v[89:90], v[89:90], v[25:26], -v[118:119]
	v_add_f64 v[52:53], v[52:53], 0
	v_fma_f64 v[79:80], v[79:80], v[1:2], v[107:108]
	v_add_f64 v[9:10], v[9:10], 0
	s_clause 0x4
	buffer_load_dword v108, off, s[0:3], 0 offset:668
	buffer_load_dword v120, off, s[0:3], 0 offset:680
	;; [unrolled: 1-line block ×5, first 2 shown]
	s_waitcnt lgkmcnt(0)
	v_mul_f64 v[123:124], v[5:6], v[13:14]
	v_mul_f64 v[13:14], v[7:8], v[13:14]
	ds_read_b128 v[1:4], v51 offset:1344
	v_fma_f64 v[25:26], v[91:92], v[25:26], v[54:55]
	v_add_f64 v[77:78], v[52:53], v[77:78]
	v_add_f64 v[9:10], v[9:10], v[79:80]
	s_clause 0x2
	buffer_load_dword v121, off, s[0:3], 0 offset:684
	buffer_load_dword v80, off, s[0:3], 0 offset:660
	;; [unrolled: 1-line block ×3, first 2 shown]
	s_waitcnt vmcnt(58) lgkmcnt(0)
	v_mul_f64 v[91:92], v[1:2], v[17:18]
	v_mul_f64 v[17:18], v[3:4], v[17:18]
	s_waitcnt vmcnt(56)
	v_fma_f64 v[13:14], v[5:6], v[19:20], -v[13:14]
	ds_read_b128 v[52:55], v51 offset:1360
	v_fma_f64 v[19:20], v[7:8], v[19:20], v[123:124]
	v_add_f64 v[77:78], v[77:78], v[89:90]
	v_add_f64 v[9:10], v[9:10], v[25:26]
	s_clause 0x4
	buffer_load_dword v26, off, s[0:3], 0 offset:700
	buffer_load_dword v89, off, s[0:3], 0 offset:712
	;; [unrolled: 1-line block ×5, first 2 shown]
	ds_read_b128 v[5:8], v51 offset:1376
	s_waitcnt vmcnt(57) lgkmcnt(1)
	v_mul_f64 v[124:125], v[52:53], v[21:22]
	v_mul_f64 v[21:22], v[54:55], v[21:22]
	s_waitcnt vmcnt(56)
	v_fma_f64 v[17:18], v[1:2], v[11:12], -v[17:18]
	v_fma_f64 v[11:12], v[3:4], v[11:12], v[91:92]
	v_add_f64 v[13:14], v[77:78], v[13:14]
	v_add_f64 v[9:10], v[9:10], v[19:20]
	s_clause 0x2
	buffer_load_dword v90, off, s[0:3], 0 offset:716
	buffer_load_dword v20, off, s[0:3], 0 offset:692
	;; [unrolled: 1-line block ×3, first 2 shown]
	s_waitcnt vmcnt(58) lgkmcnt(0)
	v_mul_f64 v[77:78], v[5:6], v[27:28]
	v_mul_f64 v[27:28], v[7:8], v[27:28]
	s_waitcnt vmcnt(56)
	v_fma_f64 v[21:22], v[52:53], v[29:30], -v[21:22]
	ds_read_b128 v[1:4], v51 offset:1392
	v_add_f64 v[13:14], v[13:14], v[17:18]
	v_fma_f64 v[17:18], v[54:55], v[29:30], v[124:125]
	v_add_f64 v[29:30], v[9:10], v[11:12]
	s_clause 0x4
	buffer_load_dword v53, off, s[0:3], 0 offset:732
	buffer_load_dword v54, off, s[0:3], 0 offset:744
	;; [unrolled: 1-line block ×5, first 2 shown]
	ds_read_b128 v[9:12], v51 offset:1408
	s_waitcnt vmcnt(57) lgkmcnt(1)
	v_mul_f64 v[124:125], v[1:2], v[31:32]
	v_mul_f64 v[31:32], v[3:4], v[31:32]
	s_waitcnt vmcnt(56)
	v_fma_f64 v[27:28], v[5:6], v[15:16], -v[27:28]
	v_fma_f64 v[15:16], v[7:8], v[15:16], v[77:78]
	v_add_f64 v[13:14], v[13:14], v[21:22]
	s_clause 0x2
	buffer_load_dword v55, off, s[0:3], 0 offset:748
	buffer_load_dword v22, off, s[0:3], 0 offset:724
	;; [unrolled: 1-line block ×3, first 2 shown]
	v_add_f64 v[17:18], v[29:30], v[17:18]
	s_waitcnt vmcnt(58) lgkmcnt(0)
	v_mul_f64 v[29:30], v[9:10], v[35:36]
	v_mul_f64 v[35:36], v[11:12], v[35:36]
	ds_read_b128 v[5:8], v51 offset:1424
	s_waitcnt vmcnt(56)
	v_fma_f64 v[31:32], v[1:2], v[37:38], -v[31:32]
	v_add_f64 v[13:14], v[13:14], v[27:28]
	v_fma_f64 v[27:28], v[3:4], v[37:38], v[124:125]
	v_add_f64 v[15:16], v[17:18], v[15:16]
	s_clause 0x4
	buffer_load_dword v18, off, s[0:3], 0 offset:764
	buffer_load_dword v37, off, s[0:3], 0 offset:776
	;; [unrolled: 1-line block ×5, first 2 shown]
	s_waitcnt vmcnt(57) lgkmcnt(0)
	v_mul_f64 v[124:125], v[5:6], v[39:40]
	v_mul_f64 v[39:40], v[7:8], v[39:40]
	s_waitcnt vmcnt(56)
	v_fma_f64 v[35:36], v[9:10], v[23:24], -v[35:36]
	ds_read_b128 v[1:4], v51 offset:1440
	v_fma_f64 v[23:24], v[11:12], v[23:24], v[29:30]
	v_add_f64 v[13:14], v[13:14], v[31:32]
	v_add_f64 v[15:16], v[15:16], v[27:28]
	s_clause 0x2
	buffer_load_dword v38, off, s[0:3], 0 offset:780
	buffer_load_dword v28, off, s[0:3], 0 offset:756
	buffer_load_dword v27, off, s[0:3], 0 offset:752
	ds_read_b128 v[9:12], v51 offset:1456
	s_waitcnt vmcnt(58) lgkmcnt(1)
	v_mul_f64 v[31:32], v[3:4], v[43:44]
	s_waitcnt vmcnt(56)
	v_fma_f64 v[39:40], v[5:6], v[45:46], -v[39:40]
	v_mul_f64 v[29:30], v[1:2], v[43:44]
	v_add_f64 v[13:14], v[13:14], v[35:36]
	v_fma_f64 v[35:36], v[7:8], v[45:46], v[124:125]
	v_add_f64 v[15:16], v[15:16], v[23:24]
	s_clause 0x4
	buffer_load_dword v24, off, s[0:3], 0 offset:796
	buffer_load_dword v43, off, s[0:3], 0 offset:808
	;; [unrolled: 1-line block ×5, first 2 shown]
	s_waitcnt vmcnt(57) lgkmcnt(0)
	v_mul_f64 v[124:125], v[9:10], v[47:48]
	v_mul_f64 v[46:47], v[11:12], v[47:48]
	s_waitcnt vmcnt(56)
	v_fma_f64 v[31:32], v[1:2], v[33:34], -v[31:32]
	ds_read_b128 v[5:8], v51 offset:1472
	v_fma_f64 v[29:30], v[3:4], v[33:34], v[29:30]
	s_clause 0x2
	buffer_load_dword v44, off, s[0:3], 0 offset:812
	buffer_load_dword v34, off, s[0:3], 0 offset:788
	;; [unrolled: 1-line block ×3, first 2 shown]
	ds_read_b128 v[1:4], v51 offset:1488
	v_add_f64 v[13:14], v[13:14], v[39:40]
	v_add_f64 v[15:16], v[15:16], v[35:36]
	s_waitcnt vmcnt(58) lgkmcnt(1)
	v_mul_f64 v[39:40], v[7:8], v[56:57]
	s_waitcnt vmcnt(56)
	v_fma_f64 v[47:48], v[9:10], v[99:100], -v[46:47]
	v_mul_f64 v[35:36], v[5:6], v[56:57]
	v_add_f64 v[13:14], v[13:14], v[31:32]
	v_fma_f64 v[31:32], v[11:12], v[99:100], v[124:125]
	v_add_f64 v[15:16], v[15:16], v[29:30]
	s_clause 0x4
	buffer_load_dword v30, off, s[0:3], 0 offset:828
	buffer_load_dword v56, off, s[0:3], 0 offset:840
	;; [unrolled: 1-line block ×5, first 2 shown]
	s_waitcnt vmcnt(57) lgkmcnt(0)
	v_mul_f64 v[124:125], v[1:2], v[101:102]
	v_mul_f64 v[100:101], v[3:4], v[101:102]
	s_waitcnt vmcnt(56)
	v_fma_f64 v[39:40], v[5:6], v[41:42], -v[39:40]
	ds_read_b128 v[9:12], v51 offset:1504
	v_fma_f64 v[35:36], v[7:8], v[41:42], v[35:36]
	v_add_f64 v[13:14], v[13:14], v[47:48]
	v_add_f64 v[15:16], v[15:16], v[31:32]
	s_clause 0x2
	buffer_load_dword v57, off, s[0:3], 0 offset:844
	buffer_load_dword v32, off, s[0:3], 0 offset:820
	;; [unrolled: 1-line block ×3, first 2 shown]
	ds_read_b128 v[5:8], v51 offset:1520
	s_waitcnt vmcnt(58) lgkmcnt(1)
	v_mul_f64 v[47:48], v[11:12], v[103:104]
	s_waitcnt vmcnt(56)
	v_fma_f64 v[101:102], v[1:2], v[105:106], -v[100:101]
	v_mul_f64 v[41:42], v[9:10], v[103:104]
	v_add_f64 v[13:14], v[13:14], v[39:40]
	v_fma_f64 v[39:40], v[3:4], v[105:106], v[124:125]
	v_add_f64 v[15:16], v[15:16], v[35:36]
	s_clause 0x4
	buffer_load_dword v36, off, s[0:3], 0 offset:860
	buffer_load_dword v103, off, s[0:3], 0 offset:872
	;; [unrolled: 1-line block ×5, first 2 shown]
	s_waitcnt vmcnt(57) lgkmcnt(0)
	v_mul_f64 v[124:125], v[5:6], v[109:110]
	v_mul_f64 v[109:110], v[7:8], v[109:110]
	s_waitcnt vmcnt(56)
	v_fma_f64 v[47:48], v[9:10], v[49:50], -v[47:48]
	ds_read_b128 v[1:4], v51 offset:1536
	v_fma_f64 v[41:42], v[11:12], v[49:50], v[41:42]
	v_add_f64 v[13:14], v[13:14], v[101:102]
	v_add_f64 v[15:16], v[15:16], v[39:40]
	s_clause 0x2
	buffer_load_dword v104, off, s[0:3], 0 offset:876
	buffer_load_dword v40, off, s[0:3], 0 offset:852
	;; [unrolled: 1-line block ×3, first 2 shown]
	ds_read_b128 v[9:12], v51 offset:1552
	s_waitcnt vmcnt(58) lgkmcnt(1)
	v_mul_f64 v[101:102], v[3:4], v[111:112]
	s_waitcnt vmcnt(56)
	v_fma_f64 v[109:110], v[5:6], v[116:117], -v[109:110]
	v_mul_f64 v[49:50], v[1:2], v[111:112]
	v_add_f64 v[13:14], v[13:14], v[47:48]
	v_fma_f64 v[47:48], v[7:8], v[116:117], v[124:125]
	v_add_f64 v[15:16], v[15:16], v[41:42]
	s_clause 0x4
	buffer_load_dword v42, off, s[0:3], 0 offset:892
	buffer_load_dword v111, off, s[0:3], 0 offset:904
	;; [unrolled: 1-line block ×5, first 2 shown]
	ds_read_b128 v[5:8], v51 offset:1568
	s_waitcnt vmcnt(57) lgkmcnt(1)
	v_mul_f64 v[116:117], v[9:10], v[107:108]
	v_mul_f64 v[107:108], v[11:12], v[107:108]
	s_waitcnt vmcnt(56)
	v_fma_f64 v[101:102], v[1:2], v[113:114], -v[101:102]
	v_fma_f64 v[49:50], v[3:4], v[113:114], v[49:50]
	v_add_f64 v[13:14], v[13:14], v[109:110]
	v_add_f64 v[15:16], v[15:16], v[47:48]
	s_clause 0x2
	buffer_load_dword v112, off, s[0:3], 0 offset:908
	buffer_load_dword v48, off, s[0:3], 0 offset:884
	;; [unrolled: 1-line block ×3, first 2 shown]
	ds_read_b128 v[1:4], v51 offset:1584
	s_waitcnt vmcnt(58) lgkmcnt(1)
	v_mul_f64 v[113:114], v[7:8], v[120:121]
	v_mul_f64 v[109:110], v[5:6], v[120:121]
	s_waitcnt vmcnt(56)
	v_fma_f64 v[107:108], v[9:10], v[79:80], -v[107:108]
	v_fma_f64 v[79:80], v[11:12], v[79:80], v[116:117]
	v_add_f64 v[13:14], v[13:14], v[101:102]
	v_add_f64 v[15:16], v[15:16], v[49:50]
	s_clause 0x2
	buffer_load_dword v50, off, s[0:3], 0 offset:924
	buffer_load_dword v49, off, s[0:3], 0 offset:920
	;; [unrolled: 1-line block ×3, first 2 shown]
	ds_read_b128 v[9:12], v51 offset:1600
	s_waitcnt vmcnt(55) lgkmcnt(1)
	v_mul_f64 v[101:102], v[1:2], v[25:26]
	v_mul_f64 v[25:26], v[3:4], v[25:26]
	s_waitcnt vmcnt(54)
	v_fma_f64 v[113:114], v[5:6], v[122:123], -v[113:114]
	v_add_f64 v[13:14], v[13:14], v[107:108]
	v_fma_f64 v[107:108], v[7:8], v[122:123], v[109:110]
	v_add_f64 v[15:16], v[15:16], v[79:80]
	s_clause 0x1
	buffer_load_dword v80, off, s[0:3], 0 offset:916
	buffer_load_dword v79, off, s[0:3], 0 offset:912
	ds_read_b128 v[5:8], v51 offset:1616
	s_waitcnt vmcnt(55) lgkmcnt(1)
	v_mul_f64 v[109:110], v[9:10], v[89:90]
	v_mul_f64 v[89:90], v[11:12], v[89:90]
	s_waitcnt vmcnt(53)
	v_fma_f64 v[25:26], v[1:2], v[19:20], -v[25:26]
	v_fma_f64 v[19:20], v[3:4], v[19:20], v[101:102]
	ds_read_b128 v[1:4], v51 offset:1632
	v_add_f64 v[13:14], v[13:14], v[113:114]
	v_add_f64 v[15:16], v[15:16], v[107:108]
	s_waitcnt vmcnt(49) lgkmcnt(1)
	v_mul_f64 v[101:102], v[5:6], v[52:53]
	v_mul_f64 v[52:53], v[7:8], v[52:53]
	s_waitcnt vmcnt(48)
	v_fma_f64 v[89:90], v[9:10], v[118:119], -v[89:90]
	v_add_f64 v[13:14], v[13:14], v[25:26]
	v_fma_f64 v[25:26], v[11:12], v[118:119], v[109:110]
	v_add_f64 v[15:16], v[15:16], v[19:20]
	s_clause 0x3
	buffer_load_dword v19, off, s[0:3], 0 offset:368
	buffer_load_dword v20, off, s[0:3], 0 offset:372
	;; [unrolled: 1-line block ×4, first 2 shown]
	ds_read_b128 v[9:12], v51 offset:1648
	s_waitcnt vmcnt(51) lgkmcnt(1)
	v_mul_f64 v[109:110], v[1:2], v[54:55]
	v_mul_f64 v[54:55], v[3:4], v[54:55]
	s_waitcnt vmcnt(49)
	v_fma_f64 v[52:53], v[5:6], v[21:22], -v[52:53]
	v_fma_f64 v[21:22], v[7:8], v[21:22], v[101:102]
	ds_read_b128 v[5:8], v51 offset:1664
	v_add_f64 v[13:14], v[13:14], v[89:90]
	v_add_f64 v[15:16], v[15:16], v[25:26]
	s_waitcnt vmcnt(45) lgkmcnt(1)
	v_mul_f64 v[25:26], v[9:10], v[17:18]
	v_mul_f64 v[17:18], v[11:12], v[17:18]
	s_waitcnt vmcnt(44)
	v_fma_f64 v[54:55], v[1:2], v[91:92], -v[54:55]
	v_add_f64 v[13:14], v[13:14], v[52:53]
	v_fma_f64 v[52:53], v[3:4], v[91:92], v[109:110]
	v_add_f64 v[15:16], v[15:16], v[21:22]
	ds_read_b128 v[1:4], v51 offset:1680
	s_waitcnt vmcnt(43) lgkmcnt(1)
	v_mul_f64 v[21:22], v[5:6], v[37:38]
	v_mul_f64 v[37:38], v[7:8], v[37:38]
	s_waitcnt vmcnt(41)
	v_fma_f64 v[17:18], v[9:10], v[27:28], -v[17:18]
	v_fma_f64 v[25:26], v[11:12], v[27:28], v[25:26]
	ds_read_b128 v[9:12], v51 offset:1696
	v_add_f64 v[13:14], v[13:14], v[54:55]
	v_add_f64 v[15:16], v[15:16], v[52:53]
	s_waitcnt vmcnt(37) lgkmcnt(1)
	v_mul_f64 v[27:28], v[1:2], v[23:24]
	v_mul_f64 v[23:24], v[3:4], v[23:24]
	s_waitcnt vmcnt(36)
	v_fma_f64 v[37:38], v[5:6], v[77:78], -v[37:38]
	v_add_f64 v[13:14], v[13:14], v[17:18]
	v_fma_f64 v[17:18], v[7:8], v[77:78], v[21:22]
	v_add_f64 v[15:16], v[15:16], v[25:26]
	s_waitcnt vmcnt(35) lgkmcnt(0)
	v_mul_f64 v[25:26], v[11:12], v[43:44]
	ds_read_b128 v[5:8], v51 offset:1712
	v_mul_f64 v[21:22], v[9:10], v[43:44]
	s_waitcnt vmcnt(33)
	v_fma_f64 v[27:28], v[3:4], v[33:34], v[27:28]
	v_fma_f64 v[23:24], v[1:2], v[33:34], -v[23:24]
	ds_read_b128 v[1:4], v51 offset:1728
	v_add_f64 v[13:14], v[13:14], v[37:38]
	v_add_f64 v[15:16], v[15:16], v[17:18]
	s_waitcnt vmcnt(29) lgkmcnt(1)
	v_mul_f64 v[17:18], v[5:6], v[29:30]
	v_mul_f64 v[29:30], v[7:8], v[29:30]
	s_waitcnt vmcnt(28)
	v_fma_f64 v[25:26], v[9:10], v[45:46], -v[25:26]
	v_fma_f64 v[21:22], v[11:12], v[45:46], v[21:22]
	ds_read_b128 v[9:12], v51 offset:1744
	v_add_f64 v[13:14], v[13:14], v[23:24]
	v_add_f64 v[15:16], v[15:16], v[27:28]
	s_waitcnt vmcnt(27) lgkmcnt(1)
	v_mul_f64 v[27:28], v[3:4], v[56:57]
	v_mul_f64 v[23:24], v[1:2], v[56:57]
	s_waitcnt vmcnt(25)
	v_fma_f64 v[29:30], v[5:6], v[31:32], -v[29:30]
	v_fma_f64 v[17:18], v[7:8], v[31:32], v[17:18]
	ds_read_b128 v[5:8], v51 offset:1760
	v_add_f64 v[13:14], v[13:14], v[25:26]
	v_add_f64 v[15:16], v[15:16], v[21:22]
	s_waitcnt vmcnt(21) lgkmcnt(1)
	v_mul_f64 v[25:26], v[11:12], v[35:36]
	s_waitcnt vmcnt(20)
	v_fma_f64 v[27:28], v[1:2], v[99:100], -v[27:28]
	v_mul_f64 v[21:22], v[9:10], v[35:36]
	v_fma_f64 v[23:24], v[3:4], v[99:100], v[23:24]
	ds_read_b128 v[1:4], v51 offset:1776
	v_add_f64 v[13:14], v[13:14], v[29:30]
	v_add_f64 v[15:16], v[15:16], v[17:18]
	s_waitcnt vmcnt(19) lgkmcnt(1)
	v_mul_f64 v[29:30], v[7:8], v[103:104]
	v_mul_f64 v[17:18], v[5:6], v[103:104]
	s_waitcnt vmcnt(17)
	v_fma_f64 v[25:26], v[9:10], v[39:40], -v[25:26]
	v_fma_f64 v[21:22], v[11:12], v[39:40], v[21:22]
	ds_read_b128 v[9:12], v51 offset:1792
	v_add_f64 v[13:14], v[13:14], v[27:28]
	v_add_f64 v[15:16], v[15:16], v[23:24]
	s_waitcnt vmcnt(13) lgkmcnt(1)
	v_mul_f64 v[27:28], v[3:4], v[41:42]
	s_waitcnt vmcnt(12)
	v_fma_f64 v[29:30], v[5:6], v[105:106], -v[29:30]
	v_mul_f64 v[23:24], v[1:2], v[41:42]
	v_fma_f64 v[17:18], v[7:8], v[105:106], v[17:18]
	ds_read_b128 v[5:8], v51 offset:1808
	v_add_f64 v[13:14], v[13:14], v[25:26]
	v_add_f64 v[15:16], v[15:16], v[21:22]
	s_waitcnt vmcnt(11) lgkmcnt(1)
	v_mul_f64 v[25:26], v[11:12], v[111:112]
	v_mul_f64 v[21:22], v[9:10], v[111:112]
	s_waitcnt vmcnt(9)
	v_fma_f64 v[1:2], v[1:2], v[47:48], -v[27:28]
	v_fma_f64 v[3:4], v[3:4], v[47:48], v[23:24]
	v_add_f64 v[13:14], v[13:14], v[29:30]
	v_add_f64 v[15:16], v[15:16], v[17:18]
	s_waitcnt vmcnt(7) lgkmcnt(0)
	v_mul_f64 v[23:24], v[7:8], v[49:50]
	s_waitcnt vmcnt(6)
	v_fma_f64 v[9:10], v[9:10], v[115:116], -v[25:26]
	v_mul_f64 v[17:18], v[5:6], v[49:50]
	v_fma_f64 v[11:12], v[11:12], v[115:116], v[21:22]
	v_add_f64 v[1:2], v[13:14], v[1:2]
	v_add_f64 v[3:4], v[15:16], v[3:4]
	s_waitcnt vmcnt(4)
	v_fma_f64 v[5:6], v[5:6], v[79:80], -v[23:24]
	v_fma_f64 v[7:8], v[7:8], v[79:80], v[17:18]
	v_add_f64 v[1:2], v[1:2], v[9:10]
	v_add_f64 v[3:4], v[3:4], v[11:12]
	v_add_f64 v[1:2], v[1:2], v[5:6]
	v_add_f64 v[3:4], v[3:4], v[7:8]
	s_waitcnt vmcnt(2)
	v_add_f64 v[1:2], v[19:20], -v[1:2]
	s_waitcnt vmcnt(0)
	v_add_f64 v[3:4], v[107:108], -v[3:4]
	buffer_store_dword v2, off, s[0:3], 0 offset:372
	buffer_store_dword v1, off, s[0:3], 0 offset:368
	;; [unrolled: 1-line block ×4, first 2 shown]
	v_cmpx_lt_u32_e32 21, v0
	s_cbranch_execz .LBB56_313
; %bb.312:
	v_mov_b32_e32 v4, s48
	v_mov_b32_e32 v5, 0
	s_clause 0x3
	buffer_load_dword v1, v4, s[0:3], 0 offen
	buffer_load_dword v2, v4, s[0:3], 0 offen offset:4
	buffer_load_dword v3, v4, s[0:3], 0 offen offset:8
	;; [unrolled: 1-line block ×3, first 2 shown]
	buffer_store_dword v5, off, s[0:3], 0 offset:352
	buffer_store_dword v5, off, s[0:3], 0 offset:356
	buffer_store_dword v5, off, s[0:3], 0 offset:360
	buffer_store_dword v5, off, s[0:3], 0 offset:364
	s_waitcnt vmcnt(0)
	ds_write_b128 v59, v[1:4]
.LBB56_313:
	s_or_b32 exec_lo, exec_lo, s4
	s_waitcnt lgkmcnt(0)
	s_waitcnt_vscnt null, 0x0
	s_barrier
	buffer_gl0_inv
	s_clause 0x37
	buffer_load_dword v9, off, s[0:3], 0 offset:376
	buffer_load_dword v10, off, s[0:3], 0 offset:380
	;; [unrolled: 1-line block ×56, first 2 shown]
	v_mov_b32_e32 v72, 0
	s_mov_b32 s4, exec_lo
	ds_read_b128 v[77:80], v72 offset:1264
	s_clause 0x2
	buffer_load_dword v58, off, s[0:3], 0 offset:604
	buffer_load_dword v104, off, s[0:3], 0 offset:580
	;; [unrolled: 1-line block ×3, first 2 shown]
	ds_read_b128 v[89:92], v72 offset:1280
	s_clause 0x4
	buffer_load_dword v108, off, s[0:3], 0 offset:620
	buffer_load_dword v109, off, s[0:3], 0 offset:632
	;; [unrolled: 1-line block ×5, first 2 shown]
	ds_read_b128 v[99:102], v72 offset:1296
	s_clause 0x2
	buffer_load_dword v110, off, s[0:3], 0 offset:636
	buffer_load_dword v115, off, s[0:3], 0 offset:612
	;; [unrolled: 1-line block ×3, first 2 shown]
	s_waitcnt vmcnt(62) lgkmcnt(2)
	v_mul_f64 v[105:106], v[79:80], v[9:10]
	v_mul_f64 v[9:10], v[77:78], v[9:10]
	s_waitcnt lgkmcnt(1)
	v_mul_f64 v[112:113], v[91:92], v[5:6]
	s_waitcnt vmcnt(59) lgkmcnt(0)
	v_mul_f64 v[116:117], v[101:102], v[3:4]
	v_fma_f64 v[77:78], v[77:78], v[7:8], -v[105:106]
	v_mul_f64 v[105:106], v[89:90], v[5:6]
	v_fma_f64 v[9:10], v[79:80], v[7:8], v[9:10]
	s_waitcnt vmcnt(57)
	v_fma_f64 v[89:90], v[89:90], v[1:2], -v[112:113]
	ds_read_b128 v[5:8], v72 offset:1312
	v_mul_f64 v[79:80], v[99:100], v[3:4]
	s_waitcnt vmcnt(51)
	v_fma_f64 v[99:100], v[99:100], v[25:26], -v[116:117]
	v_add_f64 v[77:78], v[77:78], 0
	v_fma_f64 v[91:92], v[91:92], v[1:2], v[105:106]
	v_add_f64 v[9:10], v[9:10], 0
	s_clause 0x4
	buffer_load_dword v106, off, s[0:3], 0 offset:652
	buffer_load_dword v118, off, s[0:3], 0 offset:664
	;; [unrolled: 1-line block ×5, first 2 shown]
	s_waitcnt lgkmcnt(0)
	v_mul_f64 v[121:122], v[5:6], v[13:14]
	v_mul_f64 v[13:14], v[7:8], v[13:14]
	ds_read_b128 v[1:4], v72 offset:1328
	v_fma_f64 v[25:26], v[101:102], v[25:26], v[79:80]
	v_add_f64 v[89:90], v[77:78], v[89:90]
	v_add_f64 v[9:10], v[9:10], v[91:92]
	s_clause 0x2
	buffer_load_dword v119, off, s[0:3], 0 offset:668
	buffer_load_dword v92, off, s[0:3], 0 offset:644
	;; [unrolled: 1-line block ×3, first 2 shown]
	s_waitcnt vmcnt(58) lgkmcnt(0)
	v_mul_f64 v[101:102], v[1:2], v[17:18]
	v_mul_f64 v[17:18], v[3:4], v[17:18]
	s_waitcnt vmcnt(56)
	v_fma_f64 v[13:14], v[5:6], v[19:20], -v[13:14]
	ds_read_b128 v[77:80], v72 offset:1344
	v_fma_f64 v[19:20], v[7:8], v[19:20], v[121:122]
	v_add_f64 v[89:90], v[89:90], v[99:100]
	v_add_f64 v[9:10], v[9:10], v[25:26]
	s_clause 0x4
	buffer_load_dword v26, off, s[0:3], 0 offset:684
	buffer_load_dword v99, off, s[0:3], 0 offset:696
	;; [unrolled: 1-line block ×5, first 2 shown]
	ds_read_b128 v[5:8], v72 offset:1360
	s_waitcnt vmcnt(57) lgkmcnt(1)
	v_mul_f64 v[122:123], v[77:78], v[21:22]
	v_mul_f64 v[21:22], v[79:80], v[21:22]
	s_waitcnt vmcnt(56)
	v_fma_f64 v[17:18], v[1:2], v[11:12], -v[17:18]
	v_fma_f64 v[11:12], v[3:4], v[11:12], v[101:102]
	v_add_f64 v[13:14], v[89:90], v[13:14]
	v_add_f64 v[9:10], v[9:10], v[19:20]
	s_clause 0x2
	buffer_load_dword v100, off, s[0:3], 0 offset:700
	buffer_load_dword v20, off, s[0:3], 0 offset:676
	;; [unrolled: 1-line block ×3, first 2 shown]
	s_waitcnt vmcnt(58) lgkmcnt(0)
	v_mul_f64 v[89:90], v[5:6], v[27:28]
	v_mul_f64 v[27:28], v[7:8], v[27:28]
	s_waitcnt vmcnt(56)
	v_fma_f64 v[21:22], v[77:78], v[29:30], -v[21:22]
	ds_read_b128 v[1:4], v72 offset:1376
	v_add_f64 v[13:14], v[13:14], v[17:18]
	v_fma_f64 v[17:18], v[79:80], v[29:30], v[122:123]
	v_add_f64 v[29:30], v[9:10], v[11:12]
	s_clause 0x4
	buffer_load_dword v78, off, s[0:3], 0 offset:716
	buffer_load_dword v79, off, s[0:3], 0 offset:728
	;; [unrolled: 1-line block ×5, first 2 shown]
	ds_read_b128 v[9:12], v72 offset:1392
	s_waitcnt vmcnt(57) lgkmcnt(1)
	v_mul_f64 v[122:123], v[1:2], v[31:32]
	v_mul_f64 v[31:32], v[3:4], v[31:32]
	s_waitcnt vmcnt(56)
	v_fma_f64 v[27:28], v[5:6], v[15:16], -v[27:28]
	v_fma_f64 v[15:16], v[7:8], v[15:16], v[89:90]
	v_add_f64 v[13:14], v[13:14], v[21:22]
	s_clause 0x2
	buffer_load_dword v80, off, s[0:3], 0 offset:732
	buffer_load_dword v22, off, s[0:3], 0 offset:708
	;; [unrolled: 1-line block ×3, first 2 shown]
	v_add_f64 v[17:18], v[29:30], v[17:18]
	s_waitcnt vmcnt(58) lgkmcnt(0)
	v_mul_f64 v[29:30], v[9:10], v[35:36]
	v_mul_f64 v[35:36], v[11:12], v[35:36]
	ds_read_b128 v[5:8], v72 offset:1408
	s_waitcnt vmcnt(56)
	v_fma_f64 v[31:32], v[1:2], v[37:38], -v[31:32]
	v_add_f64 v[13:14], v[13:14], v[27:28]
	v_fma_f64 v[27:28], v[3:4], v[37:38], v[122:123]
	v_add_f64 v[15:16], v[17:18], v[15:16]
	s_clause 0x4
	buffer_load_dword v18, off, s[0:3], 0 offset:748
	buffer_load_dword v37, off, s[0:3], 0 offset:760
	;; [unrolled: 1-line block ×5, first 2 shown]
	s_waitcnt vmcnt(57) lgkmcnt(0)
	v_mul_f64 v[122:123], v[5:6], v[39:40]
	v_mul_f64 v[39:40], v[7:8], v[39:40]
	s_waitcnt vmcnt(56)
	v_fma_f64 v[35:36], v[9:10], v[23:24], -v[35:36]
	ds_read_b128 v[1:4], v72 offset:1424
	v_fma_f64 v[23:24], v[11:12], v[23:24], v[29:30]
	v_add_f64 v[13:14], v[13:14], v[31:32]
	v_add_f64 v[15:16], v[15:16], v[27:28]
	s_clause 0x2
	buffer_load_dword v38, off, s[0:3], 0 offset:764
	buffer_load_dword v28, off, s[0:3], 0 offset:740
	;; [unrolled: 1-line block ×3, first 2 shown]
	ds_read_b128 v[9:12], v72 offset:1440
	s_waitcnt vmcnt(58) lgkmcnt(1)
	v_mul_f64 v[31:32], v[3:4], v[43:44]
	s_waitcnt vmcnt(56)
	v_fma_f64 v[39:40], v[5:6], v[45:46], -v[39:40]
	v_mul_f64 v[29:30], v[1:2], v[43:44]
	v_add_f64 v[13:14], v[13:14], v[35:36]
	v_fma_f64 v[35:36], v[7:8], v[45:46], v[122:123]
	v_add_f64 v[15:16], v[15:16], v[23:24]
	s_clause 0x4
	buffer_load_dword v24, off, s[0:3], 0 offset:780
	buffer_load_dword v43, off, s[0:3], 0 offset:792
	;; [unrolled: 1-line block ×5, first 2 shown]
	s_waitcnt vmcnt(57) lgkmcnt(0)
	v_mul_f64 v[122:123], v[9:10], v[47:48]
	v_mul_f64 v[46:47], v[11:12], v[47:48]
	s_waitcnt vmcnt(56)
	v_fma_f64 v[31:32], v[1:2], v[33:34], -v[31:32]
	ds_read_b128 v[5:8], v72 offset:1456
	v_fma_f64 v[29:30], v[3:4], v[33:34], v[29:30]
	s_clause 0x2
	buffer_load_dword v44, off, s[0:3], 0 offset:796
	buffer_load_dword v34, off, s[0:3], 0 offset:772
	;; [unrolled: 1-line block ×3, first 2 shown]
	ds_read_b128 v[1:4], v72 offset:1472
	v_add_f64 v[13:14], v[13:14], v[39:40]
	v_add_f64 v[15:16], v[15:16], v[35:36]
	s_waitcnt vmcnt(58) lgkmcnt(1)
	v_mul_f64 v[39:40], v[7:8], v[51:52]
	s_waitcnt vmcnt(56)
	v_fma_f64 v[47:48], v[9:10], v[53:54], -v[46:47]
	v_mul_f64 v[35:36], v[5:6], v[51:52]
	v_add_f64 v[13:14], v[13:14], v[31:32]
	v_fma_f64 v[31:32], v[11:12], v[53:54], v[122:123]
	v_add_f64 v[15:16], v[15:16], v[29:30]
	s_clause 0x4
	buffer_load_dword v30, off, s[0:3], 0 offset:812
	buffer_load_dword v51, off, s[0:3], 0 offset:824
	;; [unrolled: 1-line block ×5, first 2 shown]
	s_waitcnt vmcnt(57) lgkmcnt(0)
	v_mul_f64 v[122:123], v[1:2], v[55:56]
	v_mul_f64 v[54:55], v[3:4], v[55:56]
	s_waitcnt vmcnt(56)
	v_fma_f64 v[39:40], v[5:6], v[41:42], -v[39:40]
	ds_read_b128 v[9:12], v72 offset:1488
	v_fma_f64 v[35:36], v[7:8], v[41:42], v[35:36]
	v_add_f64 v[13:14], v[13:14], v[47:48]
	v_add_f64 v[15:16], v[15:16], v[31:32]
	s_clause 0x2
	buffer_load_dword v52, off, s[0:3], 0 offset:828
	buffer_load_dword v32, off, s[0:3], 0 offset:804
	;; [unrolled: 1-line block ×3, first 2 shown]
	ds_read_b128 v[5:8], v72 offset:1504
	s_waitcnt vmcnt(58) lgkmcnt(1)
	v_mul_f64 v[47:48], v[11:12], v[57:58]
	s_waitcnt vmcnt(56)
	v_fma_f64 v[55:56], v[1:2], v[103:104], -v[54:55]
	v_mul_f64 v[41:42], v[9:10], v[57:58]
	v_add_f64 v[13:14], v[13:14], v[39:40]
	v_fma_f64 v[39:40], v[3:4], v[103:104], v[122:123]
	v_add_f64 v[15:16], v[15:16], v[35:36]
	s_clause 0x4
	buffer_load_dword v36, off, s[0:3], 0 offset:844
	buffer_load_dword v57, off, s[0:3], 0 offset:856
	;; [unrolled: 1-line block ×5, first 2 shown]
	s_waitcnt vmcnt(57) lgkmcnt(0)
	v_mul_f64 v[122:123], v[5:6], v[107:108]
	v_mul_f64 v[107:108], v[7:8], v[107:108]
	s_waitcnt vmcnt(56)
	v_fma_f64 v[47:48], v[9:10], v[49:50], -v[47:48]
	ds_read_b128 v[1:4], v72 offset:1520
	v_fma_f64 v[41:42], v[11:12], v[49:50], v[41:42]
	v_add_f64 v[13:14], v[13:14], v[55:56]
	v_add_f64 v[15:16], v[15:16], v[39:40]
	s_clause 0x2
	buffer_load_dword v58, off, s[0:3], 0 offset:860
	buffer_load_dword v40, off, s[0:3], 0 offset:836
	;; [unrolled: 1-line block ×3, first 2 shown]
	ds_read_b128 v[9:12], v72 offset:1536
	s_waitcnt vmcnt(58) lgkmcnt(1)
	v_mul_f64 v[55:56], v[3:4], v[109:110]
	s_waitcnt vmcnt(56)
	v_fma_f64 v[107:108], v[5:6], v[114:115], -v[107:108]
	v_mul_f64 v[49:50], v[1:2], v[109:110]
	v_add_f64 v[13:14], v[13:14], v[47:48]
	v_fma_f64 v[47:48], v[7:8], v[114:115], v[122:123]
	v_add_f64 v[15:16], v[15:16], v[41:42]
	s_clause 0x4
	buffer_load_dword v42, off, s[0:3], 0 offset:876
	buffer_load_dword v109, off, s[0:3], 0 offset:888
	;; [unrolled: 1-line block ×5, first 2 shown]
	ds_read_b128 v[5:8], v72 offset:1552
	s_waitcnt vmcnt(57) lgkmcnt(1)
	v_mul_f64 v[114:115], v[9:10], v[105:106]
	v_mul_f64 v[105:106], v[11:12], v[105:106]
	s_waitcnt vmcnt(56)
	v_fma_f64 v[55:56], v[1:2], v[111:112], -v[55:56]
	v_fma_f64 v[49:50], v[3:4], v[111:112], v[49:50]
	v_add_f64 v[13:14], v[13:14], v[107:108]
	v_add_f64 v[15:16], v[15:16], v[47:48]
	s_clause 0x2
	buffer_load_dword v110, off, s[0:3], 0 offset:892
	buffer_load_dword v48, off, s[0:3], 0 offset:868
	;; [unrolled: 1-line block ×3, first 2 shown]
	ds_read_b128 v[1:4], v72 offset:1568
	s_waitcnt vmcnt(58) lgkmcnt(1)
	v_mul_f64 v[111:112], v[7:8], v[118:119]
	v_mul_f64 v[107:108], v[5:6], v[118:119]
	s_waitcnt vmcnt(56)
	v_fma_f64 v[105:106], v[9:10], v[91:92], -v[105:106]
	v_add_f64 v[13:14], v[13:14], v[55:56]
	v_fma_f64 v[55:56], v[11:12], v[91:92], v[114:115]
	v_add_f64 v[15:16], v[15:16], v[49:50]
	s_clause 0x4
	buffer_load_dword v50, off, s[0:3], 0 offset:908
	buffer_load_dword v91, off, s[0:3], 0 offset:920
	;; [unrolled: 1-line block ×5, first 2 shown]
	ds_read_b128 v[9:12], v72 offset:1584
	s_waitcnt vmcnt(57) lgkmcnt(1)
	v_mul_f64 v[122:123], v[1:2], v[25:26]
	v_mul_f64 v[25:26], v[3:4], v[25:26]
	s_waitcnt vmcnt(56)
	v_fma_f64 v[111:112], v[5:6], v[120:121], -v[111:112]
	v_add_f64 v[13:14], v[13:14], v[105:106]
	v_fma_f64 v[105:106], v[7:8], v[120:121], v[107:108]
	v_add_f64 v[15:16], v[15:16], v[55:56]
	s_clause 0x2
	buffer_load_dword v92, off, s[0:3], 0 offset:924
	buffer_load_dword v56, off, s[0:3], 0 offset:900
	;; [unrolled: 1-line block ×3, first 2 shown]
	ds_read_b128 v[5:8], v72 offset:1600
	buffer_load_dword v119, off, s[0:3], 0 offset:916
	s_waitcnt vmcnt(59) lgkmcnt(1)
	v_mul_f64 v[107:108], v[9:10], v[99:100]
	v_mul_f64 v[99:100], v[11:12], v[99:100]
	s_waitcnt vmcnt(57)
	v_fma_f64 v[25:26], v[1:2], v[19:20], -v[25:26]
	v_fma_f64 v[19:20], v[3:4], v[19:20], v[122:123]
	ds_read_b128 v[1:4], v72 offset:1616
	v_add_f64 v[13:14], v[13:14], v[111:112]
	v_add_f64 v[15:16], v[15:16], v[105:106]
	s_waitcnt vmcnt(53) lgkmcnt(1)
	v_mul_f64 v[105:106], v[5:6], v[77:78]
	v_mul_f64 v[77:78], v[7:8], v[77:78]
	s_waitcnt vmcnt(52)
	v_fma_f64 v[99:100], v[9:10], v[116:117], -v[99:100]
	v_add_f64 v[13:14], v[13:14], v[25:26]
	v_fma_f64 v[25:26], v[11:12], v[116:117], v[107:108]
	v_add_f64 v[15:16], v[15:16], v[19:20]
	ds_read_b128 v[9:12], v72 offset:1632
	s_waitcnt vmcnt(51) lgkmcnt(1)
	v_mul_f64 v[19:20], v[1:2], v[79:80]
	v_mul_f64 v[79:80], v[3:4], v[79:80]
	s_waitcnt vmcnt(49)
	v_fma_f64 v[77:78], v[5:6], v[21:22], -v[77:78]
	v_fma_f64 v[21:22], v[7:8], v[21:22], v[105:106]
	v_add_f64 v[13:14], v[13:14], v[99:100]
	v_add_f64 v[15:16], v[15:16], v[25:26]
	s_clause 0x3
	buffer_load_dword v25, off, s[0:3], 0 offset:352
	buffer_load_dword v26, off, s[0:3], 0 offset:356
	buffer_load_dword v99, off, s[0:3], 0 offset:360
	buffer_load_dword v100, off, s[0:3], 0 offset:364
	ds_read_b128 v[5:8], v72 offset:1648
	s_waitcnt vmcnt(49) lgkmcnt(1)
	v_mul_f64 v[105:106], v[9:10], v[17:18]
	v_mul_f64 v[17:18], v[11:12], v[17:18]
	s_waitcnt vmcnt(48)
	v_fma_f64 v[79:80], v[1:2], v[101:102], -v[79:80]
	v_fma_f64 v[19:20], v[3:4], v[101:102], v[19:20]
	ds_read_b128 v[1:4], v72 offset:1664
	v_add_f64 v[13:14], v[13:14], v[77:78]
	v_add_f64 v[15:16], v[15:16], v[21:22]
	s_waitcnt vmcnt(47) lgkmcnt(1)
	v_mul_f64 v[21:22], v[5:6], v[37:38]
	v_mul_f64 v[37:38], v[7:8], v[37:38]
	s_waitcnt vmcnt(45)
	v_fma_f64 v[17:18], v[9:10], v[27:28], -v[17:18]
	v_fma_f64 v[27:28], v[11:12], v[27:28], v[105:106]
	ds_read_b128 v[9:12], v72 offset:1680
	v_add_f64 v[13:14], v[13:14], v[79:80]
	v_add_f64 v[15:16], v[15:16], v[19:20]
	s_waitcnt vmcnt(41) lgkmcnt(1)
	v_mul_f64 v[19:20], v[1:2], v[23:24]
	v_mul_f64 v[23:24], v[3:4], v[23:24]
	s_waitcnt vmcnt(40)
	v_fma_f64 v[37:38], v[5:6], v[89:90], -v[37:38]
	v_add_f64 v[13:14], v[13:14], v[17:18]
	v_fma_f64 v[17:18], v[7:8], v[89:90], v[21:22]
	v_add_f64 v[15:16], v[15:16], v[27:28]
	ds_read_b128 v[5:8], v72 offset:1696
	s_waitcnt vmcnt(39) lgkmcnt(1)
	v_mul_f64 v[27:28], v[11:12], v[43:44]
	v_mul_f64 v[21:22], v[9:10], v[43:44]
	s_waitcnt vmcnt(37)
	v_fma_f64 v[19:20], v[3:4], v[33:34], v[19:20]
	v_fma_f64 v[23:24], v[1:2], v[33:34], -v[23:24]
	ds_read_b128 v[1:4], v72 offset:1712
	v_add_f64 v[13:14], v[13:14], v[37:38]
	v_add_f64 v[15:16], v[15:16], v[17:18]
	s_waitcnt vmcnt(33) lgkmcnt(1)
	v_mul_f64 v[17:18], v[5:6], v[29:30]
	v_mul_f64 v[29:30], v[7:8], v[29:30]
	s_waitcnt vmcnt(32)
	v_fma_f64 v[27:28], v[9:10], v[45:46], -v[27:28]
	v_fma_f64 v[21:22], v[11:12], v[45:46], v[21:22]
	ds_read_b128 v[9:12], v72 offset:1728
	v_add_f64 v[13:14], v[13:14], v[23:24]
	v_add_f64 v[15:16], v[15:16], v[19:20]
	s_waitcnt vmcnt(31) lgkmcnt(1)
	v_mul_f64 v[23:24], v[3:4], v[51:52]
	v_mul_f64 v[19:20], v[1:2], v[51:52]
	s_waitcnt vmcnt(29)
	v_fma_f64 v[29:30], v[5:6], v[31:32], -v[29:30]
	v_fma_f64 v[17:18], v[7:8], v[31:32], v[17:18]
	ds_read_b128 v[5:8], v72 offset:1744
	v_add_f64 v[13:14], v[13:14], v[27:28]
	v_add_f64 v[15:16], v[15:16], v[21:22]
	s_waitcnt vmcnt(25) lgkmcnt(1)
	v_mul_f64 v[27:28], v[11:12], v[35:36]
	s_waitcnt vmcnt(24)
	v_fma_f64 v[23:24], v[1:2], v[53:54], -v[23:24]
	v_mul_f64 v[21:22], v[9:10], v[35:36]
	v_fma_f64 v[19:20], v[3:4], v[53:54], v[19:20]
	ds_read_b128 v[1:4], v72 offset:1760
	v_add_f64 v[13:14], v[13:14], v[29:30]
	v_add_f64 v[15:16], v[15:16], v[17:18]
	s_waitcnt vmcnt(23) lgkmcnt(1)
	v_mul_f64 v[29:30], v[7:8], v[57:58]
	v_mul_f64 v[17:18], v[5:6], v[57:58]
	s_waitcnt vmcnt(21)
	v_fma_f64 v[27:28], v[9:10], v[39:40], -v[27:28]
	v_fma_f64 v[21:22], v[11:12], v[39:40], v[21:22]
	ds_read_b128 v[9:12], v72 offset:1776
	v_add_f64 v[13:14], v[13:14], v[23:24]
	v_add_f64 v[15:16], v[15:16], v[19:20]
	s_waitcnt vmcnt(17) lgkmcnt(1)
	v_mul_f64 v[23:24], v[3:4], v[41:42]
	s_waitcnt vmcnt(16)
	v_fma_f64 v[29:30], v[5:6], v[103:104], -v[29:30]
	v_mul_f64 v[19:20], v[1:2], v[41:42]
	;; [unrolled: 18-line block ×3, first 2 shown]
	v_fma_f64 v[11:12], v[11:12], v[113:114], v[21:22]
	v_add_f64 v[13:14], v[13:14], v[23:24]
	v_add_f64 v[15:16], v[15:16], v[19:20]
	s_waitcnt vmcnt(7) lgkmcnt(0)
	v_mul_f64 v[21:22], v[3:4], v[91:92]
	v_mul_f64 v[19:20], v[1:2], v[91:92]
	s_waitcnt vmcnt(5)
	v_fma_f64 v[5:6], v[5:6], v[55:56], -v[29:30]
	v_fma_f64 v[7:8], v[7:8], v[55:56], v[17:18]
	v_add_f64 v[9:10], v[13:14], v[9:10]
	v_add_f64 v[11:12], v[15:16], v[11:12]
	s_waitcnt vmcnt(4)
	v_fma_f64 v[1:2], v[1:2], v[118:119], -v[21:22]
	v_fma_f64 v[3:4], v[3:4], v[118:119], v[19:20]
	v_add_f64 v[5:6], v[9:10], v[5:6]
	v_add_f64 v[7:8], v[11:12], v[7:8]
	;; [unrolled: 1-line block ×4, first 2 shown]
	s_waitcnt vmcnt(2)
	v_add_f64 v[1:2], v[25:26], -v[1:2]
	s_waitcnt vmcnt(0)
	v_add_f64 v[3:4], v[99:100], -v[3:4]
	buffer_store_dword v2, off, s[0:3], 0 offset:356
	buffer_store_dword v1, off, s[0:3], 0 offset:352
	;; [unrolled: 1-line block ×4, first 2 shown]
	v_cmpx_lt_u32_e32 20, v0
	s_cbranch_execz .LBB56_315
; %bb.314:
	v_mov_b32_e32 v4, s49
	s_clause 0x3
	buffer_load_dword v1, v4, s[0:3], 0 offen
	buffer_load_dword v2, v4, s[0:3], 0 offen offset:4
	buffer_load_dword v3, v4, s[0:3], 0 offen offset:8
	;; [unrolled: 1-line block ×3, first 2 shown]
	buffer_store_dword v72, off, s[0:3], 0 offset:336
	buffer_store_dword v72, off, s[0:3], 0 offset:340
	;; [unrolled: 1-line block ×4, first 2 shown]
	s_waitcnt vmcnt(0)
	ds_write_b128 v59, v[1:4]
.LBB56_315:
	s_or_b32 exec_lo, exec_lo, s4
	s_waitcnt lgkmcnt(0)
	s_waitcnt_vscnt null, 0x0
	s_barrier
	buffer_gl0_inv
	s_clause 0x37
	buffer_load_dword v9, off, s[0:3], 0 offset:360
	buffer_load_dword v10, off, s[0:3], 0 offset:364
	;; [unrolled: 1-line block ×56, first 2 shown]
	ds_read_b128 v[89:92], v72 offset:1248
	s_clause 0x2
	buffer_load_dword v58, off, s[0:3], 0 offset:588
	buffer_load_dword v78, off, s[0:3], 0 offset:564
	;; [unrolled: 1-line block ×3, first 2 shown]
	ds_read_b128 v[99:102], v72 offset:1264
	s_clause 0x4
	buffer_load_dword v108, off, s[0:3], 0 offset:604
	buffer_load_dword v109, off, s[0:3], 0 offset:616
	;; [unrolled: 1-line block ×5, first 2 shown]
	ds_read_b128 v[103:106], v72 offset:1280
	s_clause 0x2
	buffer_load_dword v110, off, s[0:3], 0 offset:620
	buffer_load_dword v115, off, s[0:3], 0 offset:596
	;; [unrolled: 1-line block ×3, first 2 shown]
	s_mov_b32 s4, exec_lo
	s_waitcnt vmcnt(62) lgkmcnt(2)
	v_mul_f64 v[79:80], v[91:92], v[9:10]
	v_mul_f64 v[9:10], v[89:90], v[9:10]
	s_waitcnt lgkmcnt(1)
	v_mul_f64 v[112:113], v[101:102], v[5:6]
	s_waitcnt vmcnt(59) lgkmcnt(0)
	v_mul_f64 v[116:117], v[105:106], v[3:4]
	v_fma_f64 v[79:80], v[89:90], v[7:8], -v[79:80]
	v_mul_f64 v[89:90], v[99:100], v[5:6]
	v_fma_f64 v[9:10], v[91:92], v[7:8], v[9:10]
	s_waitcnt vmcnt(57)
	v_fma_f64 v[99:100], v[99:100], v[1:2], -v[112:113]
	ds_read_b128 v[5:8], v72 offset:1296
	v_mul_f64 v[91:92], v[103:104], v[3:4]
	s_waitcnt vmcnt(51)
	v_fma_f64 v[103:104], v[103:104], v[25:26], -v[116:117]
	v_add_f64 v[79:80], v[79:80], 0
	v_fma_f64 v[89:90], v[101:102], v[1:2], v[89:90]
	v_add_f64 v[9:10], v[9:10], 0
	s_clause 0x4
	buffer_load_dword v102, off, s[0:3], 0 offset:636
	buffer_load_dword v118, off, s[0:3], 0 offset:648
	;; [unrolled: 1-line block ×5, first 2 shown]
	s_waitcnt lgkmcnt(0)
	v_mul_f64 v[121:122], v[5:6], v[13:14]
	v_mul_f64 v[13:14], v[7:8], v[13:14]
	ds_read_b128 v[1:4], v72 offset:1312
	v_fma_f64 v[25:26], v[105:106], v[25:26], v[91:92]
	v_add_f64 v[79:80], v[79:80], v[99:100]
	s_clause 0x2
	buffer_load_dword v119, off, s[0:3], 0 offset:652
	buffer_load_dword v100, off, s[0:3], 0 offset:628
	;; [unrolled: 1-line block ×3, first 2 shown]
	v_add_f64 v[9:10], v[9:10], v[89:90]
	ds_read_b128 v[89:92], v72 offset:1328
	s_waitcnt vmcnt(58) lgkmcnt(1)
	v_mul_f64 v[105:106], v[1:2], v[17:18]
	v_mul_f64 v[17:18], v[3:4], v[17:18]
	s_waitcnt vmcnt(56)
	v_fma_f64 v[13:14], v[5:6], v[19:20], -v[13:14]
	v_fma_f64 v[19:20], v[7:8], v[19:20], v[121:122]
	v_add_f64 v[79:80], v[79:80], v[103:104]
	s_waitcnt vmcnt(52) lgkmcnt(0)
	v_mul_f64 v[122:123], v[89:90], v[21:22]
	v_add_f64 v[9:10], v[9:10], v[25:26]
	s_clause 0x4
	buffer_load_dword v26, off, s[0:3], 0 offset:668
	buffer_load_dword v103, off, s[0:3], 0 offset:680
	;; [unrolled: 1-line block ×5, first 2 shown]
	v_mul_f64 v[21:22], v[91:92], v[21:22]
	s_waitcnt vmcnt(56)
	v_fma_f64 v[17:18], v[1:2], v[11:12], -v[17:18]
	ds_read_b128 v[5:8], v72 offset:1344
	v_fma_f64 v[11:12], v[3:4], v[11:12], v[105:106]
	v_add_f64 v[13:14], v[79:80], v[13:14]
	v_add_f64 v[9:10], v[9:10], v[19:20]
	s_clause 0x2
	buffer_load_dword v104, off, s[0:3], 0 offset:684
	buffer_load_dword v20, off, s[0:3], 0 offset:660
	;; [unrolled: 1-line block ×3, first 2 shown]
	s_waitcnt vmcnt(58) lgkmcnt(0)
	v_mul_f64 v[79:80], v[5:6], v[27:28]
	v_mul_f64 v[27:28], v[7:8], v[27:28]
	s_waitcnt vmcnt(56)
	v_fma_f64 v[21:22], v[89:90], v[29:30], -v[21:22]
	ds_read_b128 v[1:4], v72 offset:1360
	v_add_f64 v[13:14], v[13:14], v[17:18]
	v_fma_f64 v[17:18], v[91:92], v[29:30], v[122:123]
	v_add_f64 v[29:30], v[9:10], v[11:12]
	s_clause 0x4
	buffer_load_dword v90, off, s[0:3], 0 offset:700
	buffer_load_dword v91, off, s[0:3], 0 offset:712
	;; [unrolled: 1-line block ×5, first 2 shown]
	ds_read_b128 v[9:12], v72 offset:1376
	s_waitcnt vmcnt(57) lgkmcnt(1)
	v_mul_f64 v[122:123], v[1:2], v[31:32]
	v_mul_f64 v[31:32], v[3:4], v[31:32]
	s_waitcnt vmcnt(56)
	v_fma_f64 v[27:28], v[5:6], v[15:16], -v[27:28]
	v_fma_f64 v[15:16], v[7:8], v[15:16], v[79:80]
	v_add_f64 v[13:14], v[13:14], v[21:22]
	s_clause 0x2
	buffer_load_dword v92, off, s[0:3], 0 offset:716
	buffer_load_dword v22, off, s[0:3], 0 offset:692
	;; [unrolled: 1-line block ×3, first 2 shown]
	v_add_f64 v[17:18], v[29:30], v[17:18]
	s_waitcnt vmcnt(58) lgkmcnt(0)
	v_mul_f64 v[29:30], v[9:10], v[35:36]
	v_mul_f64 v[35:36], v[11:12], v[35:36]
	ds_read_b128 v[5:8], v72 offset:1392
	s_waitcnt vmcnt(56)
	v_fma_f64 v[31:32], v[1:2], v[37:38], -v[31:32]
	v_add_f64 v[13:14], v[13:14], v[27:28]
	v_fma_f64 v[27:28], v[3:4], v[37:38], v[122:123]
	v_add_f64 v[15:16], v[17:18], v[15:16]
	s_clause 0x4
	buffer_load_dword v18, off, s[0:3], 0 offset:732
	buffer_load_dword v37, off, s[0:3], 0 offset:744
	;; [unrolled: 1-line block ×5, first 2 shown]
	s_waitcnt vmcnt(57) lgkmcnt(0)
	v_mul_f64 v[122:123], v[5:6], v[39:40]
	v_mul_f64 v[39:40], v[7:8], v[39:40]
	s_waitcnt vmcnt(56)
	v_fma_f64 v[35:36], v[9:10], v[23:24], -v[35:36]
	ds_read_b128 v[1:4], v72 offset:1408
	v_fma_f64 v[23:24], v[11:12], v[23:24], v[29:30]
	v_add_f64 v[13:14], v[13:14], v[31:32]
	v_add_f64 v[15:16], v[15:16], v[27:28]
	s_clause 0x2
	buffer_load_dword v38, off, s[0:3], 0 offset:748
	buffer_load_dword v28, off, s[0:3], 0 offset:724
	;; [unrolled: 1-line block ×3, first 2 shown]
	ds_read_b128 v[9:12], v72 offset:1424
	s_waitcnt vmcnt(58) lgkmcnt(1)
	v_mul_f64 v[31:32], v[3:4], v[43:44]
	s_waitcnt vmcnt(56)
	v_fma_f64 v[39:40], v[5:6], v[45:46], -v[39:40]
	v_mul_f64 v[29:30], v[1:2], v[43:44]
	v_add_f64 v[13:14], v[13:14], v[35:36]
	v_fma_f64 v[35:36], v[7:8], v[45:46], v[122:123]
	v_add_f64 v[15:16], v[15:16], v[23:24]
	s_clause 0x4
	buffer_load_dword v24, off, s[0:3], 0 offset:764
	buffer_load_dword v43, off, s[0:3], 0 offset:776
	;; [unrolled: 1-line block ×5, first 2 shown]
	s_waitcnt vmcnt(57) lgkmcnt(0)
	v_mul_f64 v[122:123], v[9:10], v[47:48]
	v_mul_f64 v[46:47], v[11:12], v[47:48]
	s_waitcnt vmcnt(56)
	v_fma_f64 v[31:32], v[1:2], v[33:34], -v[31:32]
	ds_read_b128 v[5:8], v72 offset:1440
	v_fma_f64 v[29:30], v[3:4], v[33:34], v[29:30]
	s_clause 0x2
	buffer_load_dword v44, off, s[0:3], 0 offset:780
	buffer_load_dword v34, off, s[0:3], 0 offset:756
	;; [unrolled: 1-line block ×3, first 2 shown]
	ds_read_b128 v[1:4], v72 offset:1456
	v_add_f64 v[13:14], v[13:14], v[39:40]
	v_add_f64 v[15:16], v[15:16], v[35:36]
	s_waitcnt vmcnt(58) lgkmcnt(1)
	v_mul_f64 v[39:40], v[7:8], v[51:52]
	s_waitcnt vmcnt(56)
	v_fma_f64 v[47:48], v[9:10], v[53:54], -v[46:47]
	v_mul_f64 v[35:36], v[5:6], v[51:52]
	v_add_f64 v[13:14], v[13:14], v[31:32]
	v_fma_f64 v[31:32], v[11:12], v[53:54], v[122:123]
	v_add_f64 v[15:16], v[15:16], v[29:30]
	s_clause 0x4
	buffer_load_dword v30, off, s[0:3], 0 offset:796
	buffer_load_dword v51, off, s[0:3], 0 offset:808
	;; [unrolled: 1-line block ×5, first 2 shown]
	s_waitcnt vmcnt(57) lgkmcnt(0)
	v_mul_f64 v[122:123], v[1:2], v[55:56]
	v_mul_f64 v[54:55], v[3:4], v[55:56]
	s_waitcnt vmcnt(56)
	v_fma_f64 v[39:40], v[5:6], v[41:42], -v[39:40]
	ds_read_b128 v[9:12], v72 offset:1472
	v_fma_f64 v[35:36], v[7:8], v[41:42], v[35:36]
	v_add_f64 v[13:14], v[13:14], v[47:48]
	v_add_f64 v[15:16], v[15:16], v[31:32]
	s_clause 0x2
	buffer_load_dword v52, off, s[0:3], 0 offset:812
	buffer_load_dword v32, off, s[0:3], 0 offset:788
	;; [unrolled: 1-line block ×3, first 2 shown]
	ds_read_b128 v[5:8], v72 offset:1488
	s_waitcnt vmcnt(58) lgkmcnt(1)
	v_mul_f64 v[47:48], v[11:12], v[57:58]
	s_waitcnt vmcnt(56)
	v_fma_f64 v[55:56], v[1:2], v[77:78], -v[54:55]
	v_mul_f64 v[41:42], v[9:10], v[57:58]
	v_add_f64 v[13:14], v[13:14], v[39:40]
	v_fma_f64 v[39:40], v[3:4], v[77:78], v[122:123]
	v_add_f64 v[15:16], v[15:16], v[35:36]
	s_clause 0x4
	buffer_load_dword v36, off, s[0:3], 0 offset:828
	buffer_load_dword v57, off, s[0:3], 0 offset:840
	;; [unrolled: 1-line block ×5, first 2 shown]
	s_waitcnt vmcnt(57) lgkmcnt(0)
	v_mul_f64 v[122:123], v[5:6], v[107:108]
	v_mul_f64 v[107:108], v[7:8], v[107:108]
	s_waitcnt vmcnt(56)
	v_fma_f64 v[47:48], v[9:10], v[49:50], -v[47:48]
	ds_read_b128 v[1:4], v72 offset:1504
	v_fma_f64 v[41:42], v[11:12], v[49:50], v[41:42]
	v_add_f64 v[13:14], v[13:14], v[55:56]
	v_add_f64 v[15:16], v[15:16], v[39:40]
	s_clause 0x2
	buffer_load_dword v58, off, s[0:3], 0 offset:844
	buffer_load_dword v40, off, s[0:3], 0 offset:820
	;; [unrolled: 1-line block ×3, first 2 shown]
	ds_read_b128 v[9:12], v72 offset:1520
	s_waitcnt vmcnt(58) lgkmcnt(1)
	v_mul_f64 v[55:56], v[3:4], v[109:110]
	s_waitcnt vmcnt(56)
	v_fma_f64 v[107:108], v[5:6], v[114:115], -v[107:108]
	v_mul_f64 v[49:50], v[1:2], v[109:110]
	v_add_f64 v[13:14], v[13:14], v[47:48]
	v_fma_f64 v[47:48], v[7:8], v[114:115], v[122:123]
	v_add_f64 v[15:16], v[15:16], v[41:42]
	s_clause 0x4
	buffer_load_dword v42, off, s[0:3], 0 offset:860
	buffer_load_dword v109, off, s[0:3], 0 offset:872
	;; [unrolled: 1-line block ×5, first 2 shown]
	ds_read_b128 v[5:8], v72 offset:1536
	s_waitcnt vmcnt(57) lgkmcnt(1)
	v_mul_f64 v[114:115], v[9:10], v[101:102]
	v_mul_f64 v[101:102], v[11:12], v[101:102]
	s_waitcnt vmcnt(56)
	v_fma_f64 v[55:56], v[1:2], v[111:112], -v[55:56]
	v_fma_f64 v[49:50], v[3:4], v[111:112], v[49:50]
	v_add_f64 v[13:14], v[13:14], v[107:108]
	v_add_f64 v[15:16], v[15:16], v[47:48]
	s_clause 0x2
	buffer_load_dword v110, off, s[0:3], 0 offset:876
	buffer_load_dword v48, off, s[0:3], 0 offset:852
	;; [unrolled: 1-line block ×3, first 2 shown]
	ds_read_b128 v[1:4], v72 offset:1552
	s_waitcnt vmcnt(58) lgkmcnt(1)
	v_mul_f64 v[111:112], v[7:8], v[118:119]
	v_mul_f64 v[107:108], v[5:6], v[118:119]
	s_waitcnt vmcnt(56)
	v_fma_f64 v[101:102], v[9:10], v[99:100], -v[101:102]
	v_add_f64 v[13:14], v[13:14], v[55:56]
	v_fma_f64 v[55:56], v[11:12], v[99:100], v[114:115]
	v_add_f64 v[15:16], v[15:16], v[49:50]
	s_clause 0x4
	buffer_load_dword v50, off, s[0:3], 0 offset:892
	buffer_load_dword v99, off, s[0:3], 0 offset:904
	buffer_load_dword v118, off, s[0:3], 0 offset:896
	buffer_load_dword v49, off, s[0:3], 0 offset:888
	buffer_load_dword v114, off, s[0:3], 0 offset:868
	ds_read_b128 v[9:12], v72 offset:1568
	s_waitcnt vmcnt(57) lgkmcnt(1)
	v_mul_f64 v[122:123], v[1:2], v[25:26]
	v_mul_f64 v[25:26], v[3:4], v[25:26]
	s_waitcnt vmcnt(56)
	v_fma_f64 v[111:112], v[5:6], v[120:121], -v[111:112]
	v_add_f64 v[13:14], v[13:14], v[101:102]
	v_fma_f64 v[101:102], v[7:8], v[120:121], v[107:108]
	v_add_f64 v[15:16], v[15:16], v[55:56]
	s_clause 0x2
	buffer_load_dword v100, off, s[0:3], 0 offset:908
	buffer_load_dword v56, off, s[0:3], 0 offset:884
	;; [unrolled: 1-line block ×3, first 2 shown]
	ds_read_b128 v[5:8], v72 offset:1584
	s_waitcnt vmcnt(58) lgkmcnt(1)
	v_mul_f64 v[107:108], v[9:10], v[103:104]
	v_mul_f64 v[103:104], v[11:12], v[103:104]
	s_waitcnt vmcnt(56)
	v_fma_f64 v[25:26], v[1:2], v[19:20], -v[25:26]
	v_fma_f64 v[19:20], v[3:4], v[19:20], v[122:123]
	v_add_f64 v[13:14], v[13:14], v[111:112]
	v_add_f64 v[15:16], v[15:16], v[101:102]
	s_clause 0x2
	buffer_load_dword v102, off, s[0:3], 0 offset:924
	buffer_load_dword v101, off, s[0:3], 0 offset:920
	;; [unrolled: 1-line block ×3, first 2 shown]
	ds_read_b128 v[1:4], v72 offset:1600
	s_waitcnt vmcnt(55) lgkmcnt(1)
	v_mul_f64 v[111:112], v[5:6], v[89:90]
	v_mul_f64 v[89:90], v[7:8], v[89:90]
	s_waitcnt vmcnt(54)
	v_fma_f64 v[103:104], v[9:10], v[116:117], -v[103:104]
	v_add_f64 v[13:14], v[13:14], v[25:26]
	v_fma_f64 v[25:26], v[11:12], v[116:117], v[107:108]
	v_add_f64 v[15:16], v[15:16], v[19:20]
	s_clause 0x1
	buffer_load_dword v20, off, s[0:3], 0 offset:916
	buffer_load_dword v19, off, s[0:3], 0 offset:912
	ds_read_b128 v[9:12], v72 offset:1616
	s_waitcnt vmcnt(55) lgkmcnt(1)
	v_mul_f64 v[107:108], v[1:2], v[91:92]
	v_mul_f64 v[91:92], v[3:4], v[91:92]
	s_waitcnt vmcnt(53)
	v_fma_f64 v[89:90], v[5:6], v[21:22], -v[89:90]
	v_fma_f64 v[21:22], v[7:8], v[21:22], v[111:112]
	ds_read_b128 v[5:8], v72 offset:1632
	v_add_f64 v[13:14], v[13:14], v[103:104]
	v_add_f64 v[15:16], v[15:16], v[25:26]
	s_waitcnt vmcnt(49) lgkmcnt(1)
	v_mul_f64 v[25:26], v[9:10], v[17:18]
	v_mul_f64 v[17:18], v[11:12], v[17:18]
	s_waitcnt vmcnt(48)
	v_fma_f64 v[91:92], v[1:2], v[105:106], -v[91:92]
	v_add_f64 v[13:14], v[13:14], v[89:90]
	v_fma_f64 v[89:90], v[3:4], v[105:106], v[107:108]
	v_add_f64 v[15:16], v[15:16], v[21:22]
	s_clause 0x3
	buffer_load_dword v21, off, s[0:3], 0 offset:336
	buffer_load_dword v22, off, s[0:3], 0 offset:340
	;; [unrolled: 1-line block ×4, first 2 shown]
	ds_read_b128 v[1:4], v72 offset:1648
	s_waitcnt vmcnt(51) lgkmcnt(1)
	v_mul_f64 v[105:106], v[5:6], v[37:38]
	v_mul_f64 v[37:38], v[7:8], v[37:38]
	s_waitcnt vmcnt(49)
	v_fma_f64 v[17:18], v[9:10], v[27:28], -v[17:18]
	v_fma_f64 v[25:26], v[11:12], v[27:28], v[25:26]
	ds_read_b128 v[9:12], v72 offset:1664
	v_add_f64 v[13:14], v[13:14], v[91:92]
	v_add_f64 v[15:16], v[15:16], v[89:90]
	s_waitcnt vmcnt(45) lgkmcnt(1)
	v_mul_f64 v[27:28], v[1:2], v[23:24]
	v_mul_f64 v[23:24], v[3:4], v[23:24]
	s_waitcnt vmcnt(44)
	v_fma_f64 v[37:38], v[5:6], v[79:80], -v[37:38]
	v_add_f64 v[13:14], v[13:14], v[17:18]
	v_fma_f64 v[17:18], v[7:8], v[79:80], v[105:106]
	v_add_f64 v[15:16], v[15:16], v[25:26]
	s_waitcnt vmcnt(43) lgkmcnt(0)
	v_mul_f64 v[25:26], v[9:10], v[43:44]
	v_mul_f64 v[43:44], v[11:12], v[43:44]
	ds_read_b128 v[5:8], v72 offset:1680
	s_waitcnt vmcnt(41)
	v_fma_f64 v[27:28], v[3:4], v[33:34], v[27:28]
	v_fma_f64 v[23:24], v[1:2], v[33:34], -v[23:24]
	ds_read_b128 v[1:4], v72 offset:1696
	v_add_f64 v[13:14], v[13:14], v[37:38]
	v_add_f64 v[15:16], v[15:16], v[17:18]
	s_waitcnt vmcnt(37) lgkmcnt(1)
	v_mul_f64 v[17:18], v[5:6], v[29:30]
	v_mul_f64 v[29:30], v[7:8], v[29:30]
	s_waitcnt vmcnt(36)
	v_fma_f64 v[33:34], v[9:10], v[45:46], -v[43:44]
	v_add_f64 v[13:14], v[13:14], v[23:24]
	v_fma_f64 v[23:24], v[11:12], v[45:46], v[25:26]
	v_add_f64 v[15:16], v[15:16], v[27:28]
	ds_read_b128 v[9:12], v72 offset:1712
	s_waitcnt vmcnt(35) lgkmcnt(1)
	v_mul_f64 v[27:28], v[3:4], v[51:52]
	v_mul_f64 v[25:26], v[1:2], v[51:52]
	s_waitcnt vmcnt(33)
	v_fma_f64 v[29:30], v[5:6], v[31:32], -v[29:30]
	v_fma_f64 v[17:18], v[7:8], v[31:32], v[17:18]
	ds_read_b128 v[5:8], v72 offset:1728
	v_add_f64 v[13:14], v[13:14], v[33:34]
	v_add_f64 v[15:16], v[15:16], v[23:24]
	s_waitcnt vmcnt(29) lgkmcnt(1)
	v_mul_f64 v[31:32], v[11:12], v[35:36]
	s_waitcnt vmcnt(28)
	v_fma_f64 v[27:28], v[1:2], v[53:54], -v[27:28]
	v_mul_f64 v[23:24], v[9:10], v[35:36]
	v_fma_f64 v[25:26], v[3:4], v[53:54], v[25:26]
	ds_read_b128 v[1:4], v72 offset:1744
	v_add_f64 v[13:14], v[13:14], v[29:30]
	v_add_f64 v[15:16], v[15:16], v[17:18]
	s_waitcnt vmcnt(27) lgkmcnt(1)
	v_mul_f64 v[29:30], v[7:8], v[57:58]
	v_mul_f64 v[17:18], v[5:6], v[57:58]
	s_waitcnt vmcnt(25)
	v_fma_f64 v[31:32], v[9:10], v[39:40], -v[31:32]
	v_fma_f64 v[23:24], v[11:12], v[39:40], v[23:24]
	ds_read_b128 v[9:12], v72 offset:1760
	v_add_f64 v[13:14], v[13:14], v[27:28]
	v_add_f64 v[15:16], v[15:16], v[25:26]
	s_waitcnt vmcnt(21) lgkmcnt(1)
	v_mul_f64 v[27:28], v[3:4], v[41:42]
	s_waitcnt vmcnt(20)
	v_fma_f64 v[29:30], v[5:6], v[77:78], -v[29:30]
	v_mul_f64 v[25:26], v[1:2], v[41:42]
	v_fma_f64 v[17:18], v[7:8], v[77:78], v[17:18]
	ds_read_b128 v[5:8], v72 offset:1776
	v_add_f64 v[13:14], v[13:14], v[31:32]
	v_add_f64 v[15:16], v[15:16], v[23:24]
	;; [unrolled: 18-line block ×3, first 2 shown]
	s_waitcnt vmcnt(11) lgkmcnt(1)
	v_mul_f64 v[27:28], v[3:4], v[99:100]
	v_mul_f64 v[25:26], v[1:2], v[99:100]
	s_waitcnt vmcnt(9)
	v_fma_f64 v[5:6], v[5:6], v[55:56], -v[29:30]
	v_fma_f64 v[7:8], v[7:8], v[55:56], v[17:18]
	v_add_f64 v[13:14], v[13:14], v[31:32]
	v_add_f64 v[15:16], v[15:16], v[23:24]
	s_waitcnt vmcnt(7) lgkmcnt(0)
	v_mul_f64 v[23:24], v[11:12], v[101:102]
	s_waitcnt vmcnt(6)
	v_fma_f64 v[1:2], v[1:2], v[118:119], -v[27:28]
	v_mul_f64 v[17:18], v[9:10], v[101:102]
	v_fma_f64 v[3:4], v[3:4], v[118:119], v[25:26]
	v_add_f64 v[5:6], v[13:14], v[5:6]
	v_add_f64 v[7:8], v[15:16], v[7:8]
	s_waitcnt vmcnt(4)
	v_fma_f64 v[9:10], v[9:10], v[19:20], -v[23:24]
	v_add_f64 v[1:2], v[5:6], v[1:2]
	v_fma_f64 v[5:6], v[11:12], v[19:20], v[17:18]
	v_add_f64 v[3:4], v[7:8], v[3:4]
	v_add_f64 v[1:2], v[1:2], v[9:10]
	;; [unrolled: 1-line block ×3, first 2 shown]
	s_waitcnt vmcnt(2)
	v_add_f64 v[1:2], v[21:22], -v[1:2]
	s_waitcnt vmcnt(0)
	v_add_f64 v[3:4], v[103:104], -v[3:4]
	buffer_store_dword v2, off, s[0:3], 0 offset:340
	buffer_store_dword v1, off, s[0:3], 0 offset:336
	;; [unrolled: 1-line block ×4, first 2 shown]
	v_cmpx_lt_u32_e32 19, v0
	s_cbranch_execz .LBB56_317
; %bb.316:
	v_mov_b32_e32 v4, s50
	v_mov_b32_e32 v5, 0
	s_clause 0x3
	buffer_load_dword v1, v4, s[0:3], 0 offen
	buffer_load_dword v2, v4, s[0:3], 0 offen offset:4
	buffer_load_dword v3, v4, s[0:3], 0 offen offset:8
	;; [unrolled: 1-line block ×3, first 2 shown]
	buffer_store_dword v5, off, s[0:3], 0 offset:320
	buffer_store_dword v5, off, s[0:3], 0 offset:324
	;; [unrolled: 1-line block ×4, first 2 shown]
	s_waitcnt vmcnt(0)
	ds_write_b128 v59, v[1:4]
.LBB56_317:
	s_or_b32 exec_lo, exec_lo, s4
	s_waitcnt lgkmcnt(0)
	s_waitcnt_vscnt null, 0x0
	s_barrier
	buffer_gl0_inv
	s_clause 0x37
	buffer_load_dword v9, off, s[0:3], 0 offset:344
	buffer_load_dword v10, off, s[0:3], 0 offset:348
	;; [unrolled: 1-line block ×56, first 2 shown]
	v_mov_b32_e32 v72, 0
	s_mov_b32 s4, exec_lo
	ds_read_b128 v[89:92], v72 offset:1232
	s_clause 0x2
	buffer_load_dword v58, off, s[0:3], 0 offset:572
	buffer_load_dword v78, off, s[0:3], 0 offset:548
	;; [unrolled: 1-line block ×3, first 2 shown]
	ds_read_b128 v[99:102], v72 offset:1248
	s_clause 0x4
	buffer_load_dword v108, off, s[0:3], 0 offset:588
	buffer_load_dword v109, off, s[0:3], 0 offset:600
	;; [unrolled: 1-line block ×5, first 2 shown]
	ds_read_b128 v[103:106], v72 offset:1264
	s_clause 0x2
	buffer_load_dword v110, off, s[0:3], 0 offset:604
	buffer_load_dword v115, off, s[0:3], 0 offset:580
	buffer_load_dword v114, off, s[0:3], 0 offset:576
	s_waitcnt vmcnt(62) lgkmcnt(2)
	v_mul_f64 v[79:80], v[91:92], v[9:10]
	v_mul_f64 v[9:10], v[89:90], v[9:10]
	s_waitcnt lgkmcnt(1)
	v_mul_f64 v[112:113], v[101:102], v[5:6]
	s_waitcnt vmcnt(59) lgkmcnt(0)
	v_mul_f64 v[116:117], v[105:106], v[3:4]
	v_fma_f64 v[79:80], v[89:90], v[7:8], -v[79:80]
	v_mul_f64 v[89:90], v[99:100], v[5:6]
	v_fma_f64 v[9:10], v[91:92], v[7:8], v[9:10]
	s_waitcnt vmcnt(57)
	v_fma_f64 v[99:100], v[99:100], v[1:2], -v[112:113]
	ds_read_b128 v[5:8], v72 offset:1280
	v_mul_f64 v[91:92], v[103:104], v[3:4]
	s_waitcnt vmcnt(51)
	v_fma_f64 v[103:104], v[103:104], v[25:26], -v[116:117]
	v_add_f64 v[79:80], v[79:80], 0
	v_fma_f64 v[89:90], v[101:102], v[1:2], v[89:90]
	v_add_f64 v[9:10], v[9:10], 0
	s_clause 0x4
	buffer_load_dword v102, off, s[0:3], 0 offset:620
	buffer_load_dword v118, off, s[0:3], 0 offset:632
	;; [unrolled: 1-line block ×5, first 2 shown]
	s_waitcnt lgkmcnt(0)
	v_mul_f64 v[121:122], v[5:6], v[13:14]
	v_mul_f64 v[13:14], v[7:8], v[13:14]
	ds_read_b128 v[1:4], v72 offset:1296
	v_fma_f64 v[25:26], v[105:106], v[25:26], v[91:92]
	v_add_f64 v[79:80], v[79:80], v[99:100]
	s_clause 0x2
	buffer_load_dword v119, off, s[0:3], 0 offset:636
	buffer_load_dword v100, off, s[0:3], 0 offset:612
	buffer_load_dword v99, off, s[0:3], 0 offset:608
	v_add_f64 v[9:10], v[9:10], v[89:90]
	ds_read_b128 v[89:92], v72 offset:1312
	s_waitcnt vmcnt(58) lgkmcnt(1)
	v_mul_f64 v[105:106], v[1:2], v[17:18]
	v_mul_f64 v[17:18], v[3:4], v[17:18]
	s_waitcnt vmcnt(56)
	v_fma_f64 v[13:14], v[5:6], v[19:20], -v[13:14]
	v_fma_f64 v[19:20], v[7:8], v[19:20], v[121:122]
	v_add_f64 v[79:80], v[79:80], v[103:104]
	s_waitcnt vmcnt(52) lgkmcnt(0)
	v_mul_f64 v[122:123], v[89:90], v[21:22]
	v_add_f64 v[9:10], v[9:10], v[25:26]
	s_clause 0x4
	buffer_load_dword v26, off, s[0:3], 0 offset:652
	buffer_load_dword v103, off, s[0:3], 0 offset:664
	;; [unrolled: 1-line block ×5, first 2 shown]
	v_mul_f64 v[21:22], v[91:92], v[21:22]
	s_waitcnt vmcnt(56)
	v_fma_f64 v[17:18], v[1:2], v[11:12], -v[17:18]
	ds_read_b128 v[5:8], v72 offset:1328
	v_fma_f64 v[11:12], v[3:4], v[11:12], v[105:106]
	v_add_f64 v[13:14], v[79:80], v[13:14]
	v_add_f64 v[9:10], v[9:10], v[19:20]
	s_clause 0x2
	buffer_load_dword v104, off, s[0:3], 0 offset:668
	buffer_load_dword v20, off, s[0:3], 0 offset:644
	;; [unrolled: 1-line block ×3, first 2 shown]
	s_waitcnt vmcnt(58) lgkmcnt(0)
	v_mul_f64 v[79:80], v[5:6], v[27:28]
	v_mul_f64 v[27:28], v[7:8], v[27:28]
	s_waitcnt vmcnt(56)
	v_fma_f64 v[21:22], v[89:90], v[29:30], -v[21:22]
	ds_read_b128 v[1:4], v72 offset:1344
	v_add_f64 v[13:14], v[13:14], v[17:18]
	v_fma_f64 v[17:18], v[91:92], v[29:30], v[122:123]
	v_add_f64 v[29:30], v[9:10], v[11:12]
	s_clause 0x4
	buffer_load_dword v90, off, s[0:3], 0 offset:684
	buffer_load_dword v91, off, s[0:3], 0 offset:696
	;; [unrolled: 1-line block ×5, first 2 shown]
	ds_read_b128 v[9:12], v72 offset:1360
	s_waitcnt vmcnt(57) lgkmcnt(1)
	v_mul_f64 v[122:123], v[1:2], v[31:32]
	v_mul_f64 v[31:32], v[3:4], v[31:32]
	s_waitcnt vmcnt(56)
	v_fma_f64 v[27:28], v[5:6], v[15:16], -v[27:28]
	v_fma_f64 v[15:16], v[7:8], v[15:16], v[79:80]
	v_add_f64 v[13:14], v[13:14], v[21:22]
	s_clause 0x2
	buffer_load_dword v92, off, s[0:3], 0 offset:700
	buffer_load_dword v22, off, s[0:3], 0 offset:676
	;; [unrolled: 1-line block ×3, first 2 shown]
	v_add_f64 v[17:18], v[29:30], v[17:18]
	s_waitcnt vmcnt(58) lgkmcnt(0)
	v_mul_f64 v[29:30], v[9:10], v[35:36]
	v_mul_f64 v[35:36], v[11:12], v[35:36]
	ds_read_b128 v[5:8], v72 offset:1376
	s_waitcnt vmcnt(56)
	v_fma_f64 v[31:32], v[1:2], v[37:38], -v[31:32]
	v_add_f64 v[13:14], v[13:14], v[27:28]
	v_fma_f64 v[27:28], v[3:4], v[37:38], v[122:123]
	v_add_f64 v[15:16], v[17:18], v[15:16]
	s_clause 0x4
	buffer_load_dword v18, off, s[0:3], 0 offset:716
	buffer_load_dword v37, off, s[0:3], 0 offset:728
	;; [unrolled: 1-line block ×5, first 2 shown]
	s_waitcnt vmcnt(57) lgkmcnt(0)
	v_mul_f64 v[122:123], v[5:6], v[39:40]
	v_mul_f64 v[39:40], v[7:8], v[39:40]
	s_waitcnt vmcnt(56)
	v_fma_f64 v[35:36], v[9:10], v[23:24], -v[35:36]
	ds_read_b128 v[1:4], v72 offset:1392
	v_fma_f64 v[23:24], v[11:12], v[23:24], v[29:30]
	v_add_f64 v[13:14], v[13:14], v[31:32]
	v_add_f64 v[15:16], v[15:16], v[27:28]
	s_clause 0x2
	buffer_load_dword v38, off, s[0:3], 0 offset:732
	buffer_load_dword v28, off, s[0:3], 0 offset:708
	buffer_load_dword v27, off, s[0:3], 0 offset:704
	ds_read_b128 v[9:12], v72 offset:1408
	s_waitcnt vmcnt(58) lgkmcnt(1)
	v_mul_f64 v[31:32], v[3:4], v[43:44]
	s_waitcnt vmcnt(56)
	v_fma_f64 v[39:40], v[5:6], v[45:46], -v[39:40]
	v_mul_f64 v[29:30], v[1:2], v[43:44]
	v_add_f64 v[13:14], v[13:14], v[35:36]
	v_fma_f64 v[35:36], v[7:8], v[45:46], v[122:123]
	v_add_f64 v[15:16], v[15:16], v[23:24]
	s_clause 0x4
	buffer_load_dword v24, off, s[0:3], 0 offset:748
	buffer_load_dword v43, off, s[0:3], 0 offset:760
	;; [unrolled: 1-line block ×5, first 2 shown]
	s_waitcnt vmcnt(57) lgkmcnt(0)
	v_mul_f64 v[122:123], v[9:10], v[47:48]
	v_mul_f64 v[46:47], v[11:12], v[47:48]
	s_waitcnt vmcnt(56)
	v_fma_f64 v[31:32], v[1:2], v[33:34], -v[31:32]
	ds_read_b128 v[5:8], v72 offset:1424
	v_fma_f64 v[29:30], v[3:4], v[33:34], v[29:30]
	s_clause 0x2
	buffer_load_dword v44, off, s[0:3], 0 offset:764
	buffer_load_dword v34, off, s[0:3], 0 offset:740
	;; [unrolled: 1-line block ×3, first 2 shown]
	ds_read_b128 v[1:4], v72 offset:1440
	v_add_f64 v[13:14], v[13:14], v[39:40]
	v_add_f64 v[15:16], v[15:16], v[35:36]
	s_waitcnt vmcnt(58) lgkmcnt(1)
	v_mul_f64 v[39:40], v[7:8], v[51:52]
	s_waitcnt vmcnt(56)
	v_fma_f64 v[47:48], v[9:10], v[53:54], -v[46:47]
	v_mul_f64 v[35:36], v[5:6], v[51:52]
	v_add_f64 v[13:14], v[13:14], v[31:32]
	v_fma_f64 v[31:32], v[11:12], v[53:54], v[122:123]
	v_add_f64 v[15:16], v[15:16], v[29:30]
	s_clause 0x4
	buffer_load_dword v30, off, s[0:3], 0 offset:780
	buffer_load_dword v51, off, s[0:3], 0 offset:792
	;; [unrolled: 1-line block ×5, first 2 shown]
	s_waitcnt vmcnt(57) lgkmcnt(0)
	v_mul_f64 v[122:123], v[1:2], v[55:56]
	v_mul_f64 v[54:55], v[3:4], v[55:56]
	s_waitcnt vmcnt(56)
	v_fma_f64 v[39:40], v[5:6], v[41:42], -v[39:40]
	ds_read_b128 v[9:12], v72 offset:1456
	v_fma_f64 v[35:36], v[7:8], v[41:42], v[35:36]
	v_add_f64 v[13:14], v[13:14], v[47:48]
	v_add_f64 v[15:16], v[15:16], v[31:32]
	s_clause 0x2
	buffer_load_dword v52, off, s[0:3], 0 offset:796
	buffer_load_dword v32, off, s[0:3], 0 offset:772
	buffer_load_dword v31, off, s[0:3], 0 offset:768
	ds_read_b128 v[5:8], v72 offset:1472
	s_waitcnt vmcnt(58) lgkmcnt(1)
	v_mul_f64 v[47:48], v[11:12], v[57:58]
	s_waitcnt vmcnt(56)
	v_fma_f64 v[55:56], v[1:2], v[77:78], -v[54:55]
	v_mul_f64 v[41:42], v[9:10], v[57:58]
	v_add_f64 v[13:14], v[13:14], v[39:40]
	v_fma_f64 v[39:40], v[3:4], v[77:78], v[122:123]
	v_add_f64 v[15:16], v[15:16], v[35:36]
	s_clause 0x4
	buffer_load_dword v36, off, s[0:3], 0 offset:812
	buffer_load_dword v57, off, s[0:3], 0 offset:824
	;; [unrolled: 1-line block ×5, first 2 shown]
	s_waitcnt vmcnt(57) lgkmcnt(0)
	v_mul_f64 v[122:123], v[5:6], v[107:108]
	v_mul_f64 v[107:108], v[7:8], v[107:108]
	s_waitcnt vmcnt(56)
	v_fma_f64 v[47:48], v[9:10], v[49:50], -v[47:48]
	ds_read_b128 v[1:4], v72 offset:1488
	v_fma_f64 v[41:42], v[11:12], v[49:50], v[41:42]
	v_add_f64 v[13:14], v[13:14], v[55:56]
	v_add_f64 v[15:16], v[15:16], v[39:40]
	s_clause 0x2
	buffer_load_dword v58, off, s[0:3], 0 offset:828
	buffer_load_dword v40, off, s[0:3], 0 offset:804
	buffer_load_dword v39, off, s[0:3], 0 offset:800
	ds_read_b128 v[9:12], v72 offset:1504
	s_waitcnt vmcnt(58) lgkmcnt(1)
	v_mul_f64 v[55:56], v[3:4], v[109:110]
	s_waitcnt vmcnt(56)
	v_fma_f64 v[107:108], v[5:6], v[114:115], -v[107:108]
	v_mul_f64 v[49:50], v[1:2], v[109:110]
	v_add_f64 v[13:14], v[13:14], v[47:48]
	v_fma_f64 v[47:48], v[7:8], v[114:115], v[122:123]
	v_add_f64 v[15:16], v[15:16], v[41:42]
	s_clause 0x4
	buffer_load_dword v42, off, s[0:3], 0 offset:844
	buffer_load_dword v109, off, s[0:3], 0 offset:856
	;; [unrolled: 1-line block ×5, first 2 shown]
	ds_read_b128 v[5:8], v72 offset:1520
	s_waitcnt vmcnt(57) lgkmcnt(1)
	v_mul_f64 v[114:115], v[9:10], v[101:102]
	v_mul_f64 v[101:102], v[11:12], v[101:102]
	s_waitcnt vmcnt(56)
	v_fma_f64 v[55:56], v[1:2], v[111:112], -v[55:56]
	v_fma_f64 v[49:50], v[3:4], v[111:112], v[49:50]
	v_add_f64 v[13:14], v[13:14], v[107:108]
	v_add_f64 v[15:16], v[15:16], v[47:48]
	s_clause 0x2
	buffer_load_dword v110, off, s[0:3], 0 offset:860
	buffer_load_dword v48, off, s[0:3], 0 offset:836
	;; [unrolled: 1-line block ×3, first 2 shown]
	ds_read_b128 v[1:4], v72 offset:1536
	s_waitcnt vmcnt(58) lgkmcnt(1)
	v_mul_f64 v[111:112], v[7:8], v[118:119]
	v_mul_f64 v[107:108], v[5:6], v[118:119]
	s_waitcnt vmcnt(56)
	v_fma_f64 v[101:102], v[9:10], v[99:100], -v[101:102]
	v_add_f64 v[13:14], v[13:14], v[55:56]
	v_fma_f64 v[55:56], v[11:12], v[99:100], v[114:115]
	v_add_f64 v[15:16], v[15:16], v[49:50]
	s_clause 0x4
	buffer_load_dword v50, off, s[0:3], 0 offset:876
	buffer_load_dword v99, off, s[0:3], 0 offset:888
	;; [unrolled: 1-line block ×5, first 2 shown]
	ds_read_b128 v[9:12], v72 offset:1552
	s_waitcnt vmcnt(57) lgkmcnt(1)
	v_mul_f64 v[122:123], v[1:2], v[25:26]
	v_mul_f64 v[25:26], v[3:4], v[25:26]
	s_waitcnt vmcnt(56)
	v_fma_f64 v[111:112], v[5:6], v[120:121], -v[111:112]
	v_add_f64 v[13:14], v[13:14], v[101:102]
	v_fma_f64 v[101:102], v[7:8], v[120:121], v[107:108]
	v_add_f64 v[15:16], v[15:16], v[55:56]
	s_clause 0x2
	buffer_load_dword v100, off, s[0:3], 0 offset:892
	buffer_load_dword v56, off, s[0:3], 0 offset:868
	;; [unrolled: 1-line block ×3, first 2 shown]
	ds_read_b128 v[5:8], v72 offset:1568
	s_waitcnt vmcnt(58) lgkmcnt(1)
	v_mul_f64 v[107:108], v[9:10], v[103:104]
	v_mul_f64 v[103:104], v[11:12], v[103:104]
	s_waitcnt vmcnt(56)
	v_fma_f64 v[25:26], v[1:2], v[19:20], -v[25:26]
	v_fma_f64 v[19:20], v[3:4], v[19:20], v[122:123]
	v_add_f64 v[13:14], v[13:14], v[111:112]
	v_add_f64 v[15:16], v[15:16], v[101:102]
	s_clause 0x4
	buffer_load_dword v102, off, s[0:3], 0 offset:908
	buffer_load_dword v111, off, s[0:3], 0 offset:920
	;; [unrolled: 1-line block ×5, first 2 shown]
	ds_read_b128 v[1:4], v72 offset:1584
	s_waitcnt vmcnt(57) lgkmcnt(1)
	v_mul_f64 v[120:121], v[5:6], v[89:90]
	v_mul_f64 v[89:90], v[7:8], v[89:90]
	s_waitcnt vmcnt(56)
	v_fma_f64 v[103:104], v[9:10], v[116:117], -v[103:104]
	v_add_f64 v[13:14], v[13:14], v[25:26]
	v_fma_f64 v[25:26], v[11:12], v[116:117], v[107:108]
	v_add_f64 v[15:16], v[15:16], v[19:20]
	s_clause 0x2
	buffer_load_dword v112, off, s[0:3], 0 offset:924
	buffer_load_dword v20, off, s[0:3], 0 offset:900
	;; [unrolled: 1-line block ×3, first 2 shown]
	ds_read_b128 v[9:12], v72 offset:1600
	buffer_load_dword v116, off, s[0:3], 0 offset:916
	s_waitcnt vmcnt(59) lgkmcnt(1)
	v_mul_f64 v[107:108], v[1:2], v[91:92]
	v_mul_f64 v[91:92], v[3:4], v[91:92]
	s_waitcnt vmcnt(57)
	v_fma_f64 v[89:90], v[5:6], v[21:22], -v[89:90]
	v_fma_f64 v[21:22], v[7:8], v[21:22], v[120:121]
	ds_read_b128 v[5:8], v72 offset:1616
	v_add_f64 v[13:14], v[13:14], v[103:104]
	v_add_f64 v[15:16], v[15:16], v[25:26]
	s_waitcnt vmcnt(53) lgkmcnt(1)
	v_mul_f64 v[25:26], v[9:10], v[17:18]
	v_mul_f64 v[17:18], v[11:12], v[17:18]
	s_waitcnt vmcnt(52)
	v_fma_f64 v[91:92], v[1:2], v[105:106], -v[91:92]
	v_add_f64 v[13:14], v[13:14], v[89:90]
	v_fma_f64 v[89:90], v[3:4], v[105:106], v[107:108]
	v_add_f64 v[15:16], v[15:16], v[21:22]
	ds_read_b128 v[1:4], v72 offset:1632
	s_waitcnt vmcnt(51) lgkmcnt(1)
	v_mul_f64 v[21:22], v[5:6], v[37:38]
	v_mul_f64 v[37:38], v[7:8], v[37:38]
	s_waitcnt vmcnt(49)
	v_fma_f64 v[17:18], v[9:10], v[27:28], -v[17:18]
	v_fma_f64 v[25:26], v[11:12], v[27:28], v[25:26]
	v_add_f64 v[13:14], v[13:14], v[91:92]
	v_add_f64 v[15:16], v[15:16], v[89:90]
	s_clause 0x3
	buffer_load_dword v27, off, s[0:3], 0 offset:320
	buffer_load_dword v28, off, s[0:3], 0 offset:324
	;; [unrolled: 1-line block ×4, first 2 shown]
	ds_read_b128 v[9:12], v72 offset:1648
	s_waitcnt vmcnt(49) lgkmcnt(1)
	v_mul_f64 v[91:92], v[1:2], v[23:24]
	v_mul_f64 v[23:24], v[3:4], v[23:24]
	s_waitcnt vmcnt(48)
	v_fma_f64 v[37:38], v[5:6], v[79:80], -v[37:38]
	v_add_f64 v[13:14], v[13:14], v[17:18]
	v_fma_f64 v[17:18], v[7:8], v[79:80], v[21:22]
	v_add_f64 v[15:16], v[15:16], v[25:26]
	ds_read_b128 v[5:8], v72 offset:1664
	s_waitcnt vmcnt(47) lgkmcnt(1)
	v_mul_f64 v[25:26], v[11:12], v[43:44]
	v_mul_f64 v[21:22], v[9:10], v[43:44]
	s_waitcnt vmcnt(45)
	v_fma_f64 v[23:24], v[1:2], v[33:34], -v[23:24]
	v_fma_f64 v[33:34], v[3:4], v[33:34], v[91:92]
	ds_read_b128 v[1:4], v72 offset:1680
	v_add_f64 v[13:14], v[13:14], v[37:38]
	v_add_f64 v[15:16], v[15:16], v[17:18]
	s_waitcnt vmcnt(41) lgkmcnt(1)
	v_mul_f64 v[17:18], v[5:6], v[29:30]
	v_mul_f64 v[29:30], v[7:8], v[29:30]
	s_waitcnt vmcnt(40)
	v_fma_f64 v[25:26], v[9:10], v[45:46], -v[25:26]
	v_fma_f64 v[21:22], v[11:12], v[45:46], v[21:22]
	ds_read_b128 v[9:12], v72 offset:1696
	v_add_f64 v[13:14], v[13:14], v[23:24]
	v_add_f64 v[15:16], v[15:16], v[33:34]
	;; [unrolled: 9-line block ×3, first 2 shown]
	s_waitcnt vmcnt(33) lgkmcnt(1)
	v_mul_f64 v[25:26], v[11:12], v[35:36]
	s_waitcnt vmcnt(32)
	v_fma_f64 v[31:32], v[1:2], v[53:54], -v[33:34]
	v_mul_f64 v[21:22], v[9:10], v[35:36]
	v_fma_f64 v[23:24], v[3:4], v[53:54], v[23:24]
	ds_read_b128 v[1:4], v72 offset:1728
	v_add_f64 v[13:14], v[13:14], v[29:30]
	v_add_f64 v[15:16], v[15:16], v[17:18]
	s_waitcnt vmcnt(31) lgkmcnt(1)
	v_mul_f64 v[29:30], v[7:8], v[57:58]
	v_mul_f64 v[17:18], v[5:6], v[57:58]
	s_waitcnt vmcnt(29)
	v_fma_f64 v[25:26], v[9:10], v[39:40], -v[25:26]
	v_fma_f64 v[21:22], v[11:12], v[39:40], v[21:22]
	ds_read_b128 v[9:12], v72 offset:1744
	v_add_f64 v[13:14], v[13:14], v[31:32]
	v_add_f64 v[15:16], v[15:16], v[23:24]
	s_waitcnt vmcnt(25) lgkmcnt(1)
	v_mul_f64 v[31:32], v[3:4], v[41:42]
	s_waitcnt vmcnt(24)
	v_fma_f64 v[29:30], v[5:6], v[77:78], -v[29:30]
	v_mul_f64 v[23:24], v[1:2], v[41:42]
	v_fma_f64 v[17:18], v[7:8], v[77:78], v[17:18]
	ds_read_b128 v[5:8], v72 offset:1760
	v_add_f64 v[13:14], v[13:14], v[25:26]
	v_add_f64 v[15:16], v[15:16], v[21:22]
	s_waitcnt vmcnt(23) lgkmcnt(1)
	v_mul_f64 v[25:26], v[11:12], v[109:110]
	v_mul_f64 v[21:22], v[9:10], v[109:110]
	s_waitcnt vmcnt(21)
	v_fma_f64 v[31:32], v[1:2], v[47:48], -v[31:32]
	v_fma_f64 v[23:24], v[3:4], v[47:48], v[23:24]
	ds_read_b128 v[1:4], v72 offset:1776
	v_add_f64 v[13:14], v[13:14], v[29:30]
	v_add_f64 v[15:16], v[15:16], v[17:18]
	;; [unrolled: 18-line block ×3, first 2 shown]
	s_waitcnt vmcnt(9) lgkmcnt(1)
	v_mul_f64 v[25:26], v[11:12], v[101:102]
	s_waitcnt vmcnt(8)
	v_fma_f64 v[1:2], v[1:2], v[118:119], -v[31:32]
	v_mul_f64 v[21:22], v[9:10], v[101:102]
	v_fma_f64 v[3:4], v[3:4], v[118:119], v[23:24]
	v_add_f64 v[13:14], v[13:14], v[29:30]
	v_add_f64 v[15:16], v[15:16], v[17:18]
	s_waitcnt vmcnt(7) lgkmcnt(0)
	v_mul_f64 v[23:24], v[7:8], v[111:112]
	v_mul_f64 v[17:18], v[5:6], v[111:112]
	s_waitcnt vmcnt(5)
	v_fma_f64 v[9:10], v[9:10], v[19:20], -v[25:26]
	v_fma_f64 v[11:12], v[11:12], v[19:20], v[21:22]
	v_add_f64 v[1:2], v[13:14], v[1:2]
	v_add_f64 v[3:4], v[15:16], v[3:4]
	s_waitcnt vmcnt(4)
	v_fma_f64 v[5:6], v[5:6], v[115:116], -v[23:24]
	v_fma_f64 v[7:8], v[7:8], v[115:116], v[17:18]
	v_add_f64 v[1:2], v[1:2], v[9:10]
	v_add_f64 v[3:4], v[3:4], v[11:12]
	;; [unrolled: 1-line block ×4, first 2 shown]
	s_waitcnt vmcnt(2)
	v_add_f64 v[1:2], v[27:28], -v[1:2]
	s_waitcnt vmcnt(0)
	v_add_f64 v[3:4], v[89:90], -v[3:4]
	buffer_store_dword v2, off, s[0:3], 0 offset:324
	buffer_store_dword v1, off, s[0:3], 0 offset:320
	;; [unrolled: 1-line block ×4, first 2 shown]
	v_cmpx_lt_u32_e32 18, v0
	s_cbranch_execz .LBB56_319
; %bb.318:
	v_mov_b32_e32 v4, s51
	s_clause 0x3
	buffer_load_dword v1, v4, s[0:3], 0 offen
	buffer_load_dword v2, v4, s[0:3], 0 offen offset:4
	buffer_load_dword v3, v4, s[0:3], 0 offen offset:8
	;; [unrolled: 1-line block ×3, first 2 shown]
	buffer_store_dword v72, off, s[0:3], 0 offset:304
	buffer_store_dword v72, off, s[0:3], 0 offset:308
	;; [unrolled: 1-line block ×4, first 2 shown]
	s_waitcnt vmcnt(0)
	ds_write_b128 v59, v[1:4]
.LBB56_319:
	s_or_b32 exec_lo, exec_lo, s4
	s_waitcnt lgkmcnt(0)
	s_waitcnt_vscnt null, 0x0
	s_barrier
	buffer_gl0_inv
	s_clause 0x37
	buffer_load_dword v9, off, s[0:3], 0 offset:328
	buffer_load_dword v10, off, s[0:3], 0 offset:332
	buffer_load_dword v5, off, s[0:3], 0 offset:344
	buffer_load_dword v6, off, s[0:3], 0 offset:348
	buffer_load_dword v7, off, s[0:3], 0 offset:320
	buffer_load_dword v8, off, s[0:3], 0 offset:324
	buffer_load_dword v3, off, s[0:3], 0 offset:360
	buffer_load_dword v4, off, s[0:3], 0 offset:364
	buffer_load_dword v1, off, s[0:3], 0 offset:336
	buffer_load_dword v2, off, s[0:3], 0 offset:340
	buffer_load_dword v14, off, s[0:3], 0 offset:380
	buffer_load_dword v17, off, s[0:3], 0 offset:392
	buffer_load_dword v11, off, s[0:3], 0 offset:384
	buffer_load_dword v13, off, s[0:3], 0 offset:376
	buffer_load_dword v25, off, s[0:3], 0 offset:352
	buffer_load_dword v26, off, s[0:3], 0 offset:356
	buffer_load_dword v18, off, s[0:3], 0 offset:396
	buffer_load_dword v20, off, s[0:3], 0 offset:372
	buffer_load_dword v19, off, s[0:3], 0 offset:368
	buffer_load_dword v22, off, s[0:3], 0 offset:412
	buffer_load_dword v27, off, s[0:3], 0 offset:424
	buffer_load_dword v15, off, s[0:3], 0 offset:416
	buffer_load_dword v21, off, s[0:3], 0 offset:408
	buffer_load_dword v12, off, s[0:3], 0 offset:388
	buffer_load_dword v28, off, s[0:3], 0 offset:428
	buffer_load_dword v30, off, s[0:3], 0 offset:404
	buffer_load_dword v29, off, s[0:3], 0 offset:400
	buffer_load_dword v32, off, s[0:3], 0 offset:444
	buffer_load_dword v35, off, s[0:3], 0 offset:456
	buffer_load_dword v23, off, s[0:3], 0 offset:448
	buffer_load_dword v31, off, s[0:3], 0 offset:440
	buffer_load_dword v16, off, s[0:3], 0 offset:420
	buffer_load_dword v36, off, s[0:3], 0 offset:460
	buffer_load_dword v38, off, s[0:3], 0 offset:436
	buffer_load_dword v37, off, s[0:3], 0 offset:432
	buffer_load_dword v40, off, s[0:3], 0 offset:476
	buffer_load_dword v43, off, s[0:3], 0 offset:488
	buffer_load_dword v33, off, s[0:3], 0 offset:480
	buffer_load_dword v39, off, s[0:3], 0 offset:472
	buffer_load_dword v24, off, s[0:3], 0 offset:452
	buffer_load_dword v44, off, s[0:3], 0 offset:492
	buffer_load_dword v46, off, s[0:3], 0 offset:468
	buffer_load_dword v45, off, s[0:3], 0 offset:464
	buffer_load_dword v48, off, s[0:3], 0 offset:508
	buffer_load_dword v51, off, s[0:3], 0 offset:520
	buffer_load_dword v41, off, s[0:3], 0 offset:512
	buffer_load_dword v47, off, s[0:3], 0 offset:504
	buffer_load_dword v34, off, s[0:3], 0 offset:484
	buffer_load_dword v52, off, s[0:3], 0 offset:524
	buffer_load_dword v54, off, s[0:3], 0 offset:500
	buffer_load_dword v53, off, s[0:3], 0 offset:496
	buffer_load_dword v56, off, s[0:3], 0 offset:540
	buffer_load_dword v57, off, s[0:3], 0 offset:552
	buffer_load_dword v49, off, s[0:3], 0 offset:544
	buffer_load_dword v55, off, s[0:3], 0 offset:536
	buffer_load_dword v42, off, s[0:3], 0 offset:516
	ds_read_b128 v[89:92], v72 offset:1216
	s_clause 0x2
	buffer_load_dword v58, off, s[0:3], 0 offset:556
	buffer_load_dword v78, off, s[0:3], 0 offset:532
	;; [unrolled: 1-line block ×3, first 2 shown]
	ds_read_b128 v[99:102], v72 offset:1232
	s_clause 0x4
	buffer_load_dword v108, off, s[0:3], 0 offset:572
	buffer_load_dword v109, off, s[0:3], 0 offset:584
	;; [unrolled: 1-line block ×5, first 2 shown]
	ds_read_b128 v[103:106], v72 offset:1248
	s_clause 0x2
	buffer_load_dword v110, off, s[0:3], 0 offset:588
	buffer_load_dword v115, off, s[0:3], 0 offset:564
	;; [unrolled: 1-line block ×3, first 2 shown]
	s_mov_b32 s4, exec_lo
	s_waitcnt vmcnt(62) lgkmcnt(2)
	v_mul_f64 v[79:80], v[91:92], v[9:10]
	v_mul_f64 v[9:10], v[89:90], v[9:10]
	s_waitcnt lgkmcnt(1)
	v_mul_f64 v[112:113], v[101:102], v[5:6]
	s_waitcnt vmcnt(59) lgkmcnt(0)
	v_mul_f64 v[116:117], v[105:106], v[3:4]
	v_fma_f64 v[79:80], v[89:90], v[7:8], -v[79:80]
	v_mul_f64 v[89:90], v[99:100], v[5:6]
	v_fma_f64 v[9:10], v[91:92], v[7:8], v[9:10]
	s_waitcnt vmcnt(57)
	v_fma_f64 v[99:100], v[99:100], v[1:2], -v[112:113]
	ds_read_b128 v[5:8], v72 offset:1264
	v_mul_f64 v[91:92], v[103:104], v[3:4]
	s_waitcnt vmcnt(51)
	v_fma_f64 v[103:104], v[103:104], v[25:26], -v[116:117]
	v_add_f64 v[79:80], v[79:80], 0
	v_fma_f64 v[89:90], v[101:102], v[1:2], v[89:90]
	v_add_f64 v[9:10], v[9:10], 0
	s_clause 0x4
	buffer_load_dword v102, off, s[0:3], 0 offset:604
	buffer_load_dword v118, off, s[0:3], 0 offset:616
	;; [unrolled: 1-line block ×5, first 2 shown]
	s_waitcnt lgkmcnt(0)
	v_mul_f64 v[121:122], v[5:6], v[13:14]
	v_mul_f64 v[13:14], v[7:8], v[13:14]
	ds_read_b128 v[1:4], v72 offset:1280
	v_fma_f64 v[25:26], v[105:106], v[25:26], v[91:92]
	v_add_f64 v[79:80], v[79:80], v[99:100]
	s_clause 0x2
	buffer_load_dword v119, off, s[0:3], 0 offset:620
	buffer_load_dword v100, off, s[0:3], 0 offset:596
	;; [unrolled: 1-line block ×3, first 2 shown]
	v_add_f64 v[9:10], v[9:10], v[89:90]
	ds_read_b128 v[89:92], v72 offset:1296
	s_waitcnt vmcnt(58) lgkmcnt(1)
	v_mul_f64 v[105:106], v[1:2], v[17:18]
	v_mul_f64 v[17:18], v[3:4], v[17:18]
	s_waitcnt vmcnt(56)
	v_fma_f64 v[13:14], v[5:6], v[19:20], -v[13:14]
	v_fma_f64 v[19:20], v[7:8], v[19:20], v[121:122]
	v_add_f64 v[79:80], v[79:80], v[103:104]
	s_waitcnt vmcnt(52) lgkmcnt(0)
	v_mul_f64 v[122:123], v[89:90], v[21:22]
	v_add_f64 v[9:10], v[9:10], v[25:26]
	s_clause 0x4
	buffer_load_dword v26, off, s[0:3], 0 offset:636
	buffer_load_dword v103, off, s[0:3], 0 offset:648
	;; [unrolled: 1-line block ×5, first 2 shown]
	v_mul_f64 v[21:22], v[91:92], v[21:22]
	s_waitcnt vmcnt(56)
	v_fma_f64 v[17:18], v[1:2], v[11:12], -v[17:18]
	ds_read_b128 v[5:8], v72 offset:1312
	v_fma_f64 v[11:12], v[3:4], v[11:12], v[105:106]
	v_add_f64 v[13:14], v[79:80], v[13:14]
	v_add_f64 v[9:10], v[9:10], v[19:20]
	s_clause 0x2
	buffer_load_dword v104, off, s[0:3], 0 offset:652
	buffer_load_dword v20, off, s[0:3], 0 offset:628
	;; [unrolled: 1-line block ×3, first 2 shown]
	s_waitcnt vmcnt(58) lgkmcnt(0)
	v_mul_f64 v[79:80], v[5:6], v[27:28]
	v_mul_f64 v[27:28], v[7:8], v[27:28]
	s_waitcnt vmcnt(56)
	v_fma_f64 v[21:22], v[89:90], v[29:30], -v[21:22]
	ds_read_b128 v[1:4], v72 offset:1328
	v_add_f64 v[13:14], v[13:14], v[17:18]
	v_fma_f64 v[17:18], v[91:92], v[29:30], v[122:123]
	v_add_f64 v[29:30], v[9:10], v[11:12]
	s_clause 0x4
	buffer_load_dword v90, off, s[0:3], 0 offset:668
	buffer_load_dword v91, off, s[0:3], 0 offset:680
	;; [unrolled: 1-line block ×5, first 2 shown]
	ds_read_b128 v[9:12], v72 offset:1344
	s_waitcnt vmcnt(57) lgkmcnt(1)
	v_mul_f64 v[122:123], v[1:2], v[31:32]
	v_mul_f64 v[31:32], v[3:4], v[31:32]
	s_waitcnt vmcnt(56)
	v_fma_f64 v[27:28], v[5:6], v[15:16], -v[27:28]
	v_fma_f64 v[15:16], v[7:8], v[15:16], v[79:80]
	v_add_f64 v[13:14], v[13:14], v[21:22]
	s_clause 0x2
	buffer_load_dword v92, off, s[0:3], 0 offset:684
	buffer_load_dword v22, off, s[0:3], 0 offset:660
	;; [unrolled: 1-line block ×3, first 2 shown]
	v_add_f64 v[17:18], v[29:30], v[17:18]
	s_waitcnt vmcnt(58) lgkmcnt(0)
	v_mul_f64 v[29:30], v[9:10], v[35:36]
	v_mul_f64 v[35:36], v[11:12], v[35:36]
	ds_read_b128 v[5:8], v72 offset:1360
	s_waitcnt vmcnt(56)
	v_fma_f64 v[31:32], v[1:2], v[37:38], -v[31:32]
	v_add_f64 v[13:14], v[13:14], v[27:28]
	v_fma_f64 v[27:28], v[3:4], v[37:38], v[122:123]
	v_add_f64 v[15:16], v[17:18], v[15:16]
	s_clause 0x4
	buffer_load_dword v18, off, s[0:3], 0 offset:700
	buffer_load_dword v37, off, s[0:3], 0 offset:712
	;; [unrolled: 1-line block ×5, first 2 shown]
	s_waitcnt vmcnt(57) lgkmcnt(0)
	v_mul_f64 v[122:123], v[5:6], v[39:40]
	v_mul_f64 v[39:40], v[7:8], v[39:40]
	s_waitcnt vmcnt(56)
	v_fma_f64 v[35:36], v[9:10], v[23:24], -v[35:36]
	ds_read_b128 v[1:4], v72 offset:1376
	v_fma_f64 v[23:24], v[11:12], v[23:24], v[29:30]
	v_add_f64 v[13:14], v[13:14], v[31:32]
	v_add_f64 v[15:16], v[15:16], v[27:28]
	s_clause 0x2
	buffer_load_dword v38, off, s[0:3], 0 offset:716
	buffer_load_dword v28, off, s[0:3], 0 offset:692
	;; [unrolled: 1-line block ×3, first 2 shown]
	ds_read_b128 v[9:12], v72 offset:1392
	s_waitcnt vmcnt(58) lgkmcnt(1)
	v_mul_f64 v[31:32], v[3:4], v[43:44]
	s_waitcnt vmcnt(56)
	v_fma_f64 v[39:40], v[5:6], v[45:46], -v[39:40]
	v_mul_f64 v[29:30], v[1:2], v[43:44]
	v_add_f64 v[13:14], v[13:14], v[35:36]
	v_fma_f64 v[35:36], v[7:8], v[45:46], v[122:123]
	v_add_f64 v[15:16], v[15:16], v[23:24]
	s_clause 0x4
	buffer_load_dword v24, off, s[0:3], 0 offset:732
	buffer_load_dword v43, off, s[0:3], 0 offset:744
	;; [unrolled: 1-line block ×5, first 2 shown]
	s_waitcnt vmcnt(57) lgkmcnt(0)
	v_mul_f64 v[122:123], v[9:10], v[47:48]
	v_mul_f64 v[46:47], v[11:12], v[47:48]
	s_waitcnt vmcnt(56)
	v_fma_f64 v[31:32], v[1:2], v[33:34], -v[31:32]
	ds_read_b128 v[5:8], v72 offset:1408
	v_fma_f64 v[29:30], v[3:4], v[33:34], v[29:30]
	s_clause 0x2
	buffer_load_dword v44, off, s[0:3], 0 offset:748
	buffer_load_dword v34, off, s[0:3], 0 offset:724
	;; [unrolled: 1-line block ×3, first 2 shown]
	ds_read_b128 v[1:4], v72 offset:1424
	v_add_f64 v[13:14], v[13:14], v[39:40]
	v_add_f64 v[15:16], v[15:16], v[35:36]
	s_waitcnt vmcnt(58) lgkmcnt(1)
	v_mul_f64 v[39:40], v[7:8], v[51:52]
	s_waitcnt vmcnt(56)
	v_fma_f64 v[47:48], v[9:10], v[53:54], -v[46:47]
	v_mul_f64 v[35:36], v[5:6], v[51:52]
	v_add_f64 v[13:14], v[13:14], v[31:32]
	v_fma_f64 v[31:32], v[11:12], v[53:54], v[122:123]
	v_add_f64 v[15:16], v[15:16], v[29:30]
	s_clause 0x4
	buffer_load_dword v30, off, s[0:3], 0 offset:764
	buffer_load_dword v51, off, s[0:3], 0 offset:776
	;; [unrolled: 1-line block ×5, first 2 shown]
	s_waitcnt vmcnt(57) lgkmcnt(0)
	v_mul_f64 v[122:123], v[1:2], v[55:56]
	v_mul_f64 v[54:55], v[3:4], v[55:56]
	s_waitcnt vmcnt(56)
	v_fma_f64 v[39:40], v[5:6], v[41:42], -v[39:40]
	ds_read_b128 v[9:12], v72 offset:1440
	v_fma_f64 v[35:36], v[7:8], v[41:42], v[35:36]
	v_add_f64 v[13:14], v[13:14], v[47:48]
	v_add_f64 v[15:16], v[15:16], v[31:32]
	s_clause 0x2
	buffer_load_dword v52, off, s[0:3], 0 offset:780
	buffer_load_dword v32, off, s[0:3], 0 offset:756
	;; [unrolled: 1-line block ×3, first 2 shown]
	ds_read_b128 v[5:8], v72 offset:1456
	s_waitcnt vmcnt(58) lgkmcnt(1)
	v_mul_f64 v[47:48], v[11:12], v[57:58]
	s_waitcnt vmcnt(56)
	v_fma_f64 v[55:56], v[1:2], v[77:78], -v[54:55]
	v_mul_f64 v[41:42], v[9:10], v[57:58]
	v_add_f64 v[13:14], v[13:14], v[39:40]
	v_fma_f64 v[39:40], v[3:4], v[77:78], v[122:123]
	v_add_f64 v[15:16], v[15:16], v[35:36]
	s_clause 0x4
	buffer_load_dword v36, off, s[0:3], 0 offset:796
	buffer_load_dword v57, off, s[0:3], 0 offset:808
	;; [unrolled: 1-line block ×5, first 2 shown]
	s_waitcnt vmcnt(57) lgkmcnt(0)
	v_mul_f64 v[122:123], v[5:6], v[107:108]
	v_mul_f64 v[107:108], v[7:8], v[107:108]
	s_waitcnt vmcnt(56)
	v_fma_f64 v[47:48], v[9:10], v[49:50], -v[47:48]
	ds_read_b128 v[1:4], v72 offset:1472
	v_fma_f64 v[41:42], v[11:12], v[49:50], v[41:42]
	v_add_f64 v[13:14], v[13:14], v[55:56]
	v_add_f64 v[15:16], v[15:16], v[39:40]
	s_clause 0x2
	buffer_load_dword v58, off, s[0:3], 0 offset:812
	buffer_load_dword v40, off, s[0:3], 0 offset:788
	;; [unrolled: 1-line block ×3, first 2 shown]
	ds_read_b128 v[9:12], v72 offset:1488
	s_waitcnt vmcnt(58) lgkmcnt(1)
	v_mul_f64 v[55:56], v[3:4], v[109:110]
	s_waitcnt vmcnt(56)
	v_fma_f64 v[107:108], v[5:6], v[114:115], -v[107:108]
	v_mul_f64 v[49:50], v[1:2], v[109:110]
	v_add_f64 v[13:14], v[13:14], v[47:48]
	v_fma_f64 v[47:48], v[7:8], v[114:115], v[122:123]
	v_add_f64 v[15:16], v[15:16], v[41:42]
	s_clause 0x4
	buffer_load_dword v42, off, s[0:3], 0 offset:828
	buffer_load_dword v109, off, s[0:3], 0 offset:840
	;; [unrolled: 1-line block ×5, first 2 shown]
	ds_read_b128 v[5:8], v72 offset:1504
	s_waitcnt vmcnt(57) lgkmcnt(1)
	v_mul_f64 v[114:115], v[9:10], v[101:102]
	v_mul_f64 v[101:102], v[11:12], v[101:102]
	s_waitcnt vmcnt(56)
	v_fma_f64 v[55:56], v[1:2], v[111:112], -v[55:56]
	v_fma_f64 v[49:50], v[3:4], v[111:112], v[49:50]
	v_add_f64 v[13:14], v[13:14], v[107:108]
	v_add_f64 v[15:16], v[15:16], v[47:48]
	s_clause 0x2
	buffer_load_dword v110, off, s[0:3], 0 offset:844
	buffer_load_dword v48, off, s[0:3], 0 offset:820
	;; [unrolled: 1-line block ×3, first 2 shown]
	ds_read_b128 v[1:4], v72 offset:1520
	s_waitcnt vmcnt(58) lgkmcnt(1)
	v_mul_f64 v[111:112], v[7:8], v[118:119]
	v_mul_f64 v[107:108], v[5:6], v[118:119]
	s_waitcnt vmcnt(56)
	v_fma_f64 v[101:102], v[9:10], v[99:100], -v[101:102]
	v_add_f64 v[13:14], v[13:14], v[55:56]
	v_fma_f64 v[55:56], v[11:12], v[99:100], v[114:115]
	v_add_f64 v[15:16], v[15:16], v[49:50]
	s_clause 0x4
	buffer_load_dword v50, off, s[0:3], 0 offset:860
	buffer_load_dword v99, off, s[0:3], 0 offset:872
	;; [unrolled: 1-line block ×5, first 2 shown]
	ds_read_b128 v[9:12], v72 offset:1536
	s_waitcnt vmcnt(57) lgkmcnt(1)
	v_mul_f64 v[122:123], v[1:2], v[25:26]
	v_mul_f64 v[25:26], v[3:4], v[25:26]
	s_waitcnt vmcnt(56)
	v_fma_f64 v[111:112], v[5:6], v[120:121], -v[111:112]
	v_add_f64 v[13:14], v[13:14], v[101:102]
	v_fma_f64 v[101:102], v[7:8], v[120:121], v[107:108]
	v_add_f64 v[15:16], v[15:16], v[55:56]
	s_clause 0x2
	buffer_load_dword v100, off, s[0:3], 0 offset:876
	buffer_load_dword v56, off, s[0:3], 0 offset:852
	;; [unrolled: 1-line block ×3, first 2 shown]
	ds_read_b128 v[5:8], v72 offset:1552
	s_waitcnt vmcnt(58) lgkmcnt(1)
	v_mul_f64 v[107:108], v[9:10], v[103:104]
	v_mul_f64 v[103:104], v[11:12], v[103:104]
	s_waitcnt vmcnt(56)
	v_fma_f64 v[25:26], v[1:2], v[19:20], -v[25:26]
	v_fma_f64 v[19:20], v[3:4], v[19:20], v[122:123]
	v_add_f64 v[13:14], v[13:14], v[111:112]
	v_add_f64 v[15:16], v[15:16], v[101:102]
	s_clause 0x4
	buffer_load_dword v102, off, s[0:3], 0 offset:892
	buffer_load_dword v111, off, s[0:3], 0 offset:904
	;; [unrolled: 1-line block ×5, first 2 shown]
	ds_read_b128 v[1:4], v72 offset:1568
	s_waitcnt vmcnt(57) lgkmcnt(1)
	v_mul_f64 v[120:121], v[5:6], v[89:90]
	v_mul_f64 v[89:90], v[7:8], v[89:90]
	s_waitcnt vmcnt(56)
	v_fma_f64 v[103:104], v[9:10], v[116:117], -v[103:104]
	v_add_f64 v[13:14], v[13:14], v[25:26]
	v_fma_f64 v[25:26], v[11:12], v[116:117], v[107:108]
	v_add_f64 v[15:16], v[15:16], v[19:20]
	s_clause 0x2
	buffer_load_dword v112, off, s[0:3], 0 offset:908
	buffer_load_dword v20, off, s[0:3], 0 offset:884
	;; [unrolled: 1-line block ×3, first 2 shown]
	ds_read_b128 v[9:12], v72 offset:1584
	s_waitcnt vmcnt(58) lgkmcnt(1)
	v_mul_f64 v[107:108], v[1:2], v[91:92]
	v_mul_f64 v[91:92], v[3:4], v[91:92]
	s_waitcnt vmcnt(56)
	v_fma_f64 v[89:90], v[5:6], v[21:22], -v[89:90]
	v_fma_f64 v[21:22], v[7:8], v[21:22], v[120:121]
	v_add_f64 v[13:14], v[13:14], v[103:104]
	v_add_f64 v[15:16], v[15:16], v[25:26]
	s_clause 0x2
	buffer_load_dword v26, off, s[0:3], 0 offset:924
	buffer_load_dword v25, off, s[0:3], 0 offset:920
	;; [unrolled: 1-line block ×3, first 2 shown]
	ds_read_b128 v[5:8], v72 offset:1600
	s_waitcnt vmcnt(55) lgkmcnt(1)
	v_mul_f64 v[103:104], v[9:10], v[17:18]
	v_mul_f64 v[17:18], v[11:12], v[17:18]
	s_waitcnt vmcnt(54)
	v_fma_f64 v[91:92], v[1:2], v[105:106], -v[91:92]
	v_add_f64 v[13:14], v[13:14], v[89:90]
	v_fma_f64 v[89:90], v[3:4], v[105:106], v[107:108]
	v_add_f64 v[15:16], v[15:16], v[21:22]
	s_clause 0x1
	buffer_load_dword v22, off, s[0:3], 0 offset:916
	buffer_load_dword v21, off, s[0:3], 0 offset:912
	ds_read_b128 v[1:4], v72 offset:1616
	s_waitcnt vmcnt(55) lgkmcnt(1)
	v_mul_f64 v[105:106], v[5:6], v[37:38]
	v_mul_f64 v[37:38], v[7:8], v[37:38]
	s_waitcnt vmcnt(53)
	v_fma_f64 v[17:18], v[9:10], v[27:28], -v[17:18]
	v_fma_f64 v[27:28], v[11:12], v[27:28], v[103:104]
	ds_read_b128 v[9:12], v72 offset:1632
	v_add_f64 v[13:14], v[13:14], v[91:92]
	v_add_f64 v[15:16], v[15:16], v[89:90]
	s_waitcnt vmcnt(49) lgkmcnt(1)
	v_mul_f64 v[89:90], v[1:2], v[23:24]
	v_mul_f64 v[23:24], v[3:4], v[23:24]
	s_waitcnt vmcnt(48)
	v_fma_f64 v[37:38], v[5:6], v[79:80], -v[37:38]
	s_waitcnt vmcnt(47) lgkmcnt(0)
	v_mul_f64 v[91:92], v[9:10], v[43:44]
	v_mul_f64 v[43:44], v[11:12], v[43:44]
	v_add_f64 v[13:14], v[13:14], v[17:18]
	v_fma_f64 v[17:18], v[7:8], v[79:80], v[105:106]
	v_add_f64 v[15:16], v[15:16], v[27:28]
	s_clause 0x3
	buffer_load_dword v27, off, s[0:3], 0 offset:304
	buffer_load_dword v28, off, s[0:3], 0 offset:308
	;; [unrolled: 1-line block ×4, first 2 shown]
	ds_read_b128 v[5:8], v72 offset:1648
	s_waitcnt vmcnt(49)
	v_fma_f64 v[23:24], v[1:2], v[33:34], -v[23:24]
	v_fma_f64 v[33:34], v[3:4], v[33:34], v[89:90]
	ds_read_b128 v[1:4], v72 offset:1664
	v_add_f64 v[13:14], v[13:14], v[37:38]
	v_add_f64 v[15:16], v[15:16], v[17:18]
	s_waitcnt vmcnt(45) lgkmcnt(1)
	v_mul_f64 v[17:18], v[5:6], v[29:30]
	v_mul_f64 v[29:30], v[7:8], v[29:30]
	s_waitcnt vmcnt(44)
	v_fma_f64 v[37:38], v[9:10], v[45:46], -v[43:44]
	v_add_f64 v[13:14], v[13:14], v[23:24]
	v_fma_f64 v[23:24], v[11:12], v[45:46], v[91:92]
	v_add_f64 v[15:16], v[15:16], v[33:34]
	ds_read_b128 v[9:12], v72 offset:1680
	s_waitcnt vmcnt(43) lgkmcnt(1)
	v_mul_f64 v[43:44], v[3:4], v[51:52]
	v_mul_f64 v[33:34], v[1:2], v[51:52]
	s_waitcnt vmcnt(41)
	v_fma_f64 v[29:30], v[5:6], v[31:32], -v[29:30]
	v_fma_f64 v[17:18], v[7:8], v[31:32], v[17:18]
	ds_read_b128 v[5:8], v72 offset:1696
	v_add_f64 v[13:14], v[13:14], v[37:38]
	v_add_f64 v[15:16], v[15:16], v[23:24]
	s_waitcnt vmcnt(37) lgkmcnt(1)
	v_mul_f64 v[23:24], v[9:10], v[35:36]
	v_mul_f64 v[31:32], v[11:12], v[35:36]
	s_waitcnt vmcnt(36)
	v_fma_f64 v[35:36], v[1:2], v[53:54], -v[43:44]
	v_add_f64 v[13:14], v[13:14], v[29:30]
	v_fma_f64 v[29:30], v[3:4], v[53:54], v[33:34]
	v_add_f64 v[15:16], v[15:16], v[17:18]
	ds_read_b128 v[1:4], v72 offset:1712
	s_waitcnt vmcnt(35) lgkmcnt(1)
	v_mul_f64 v[33:34], v[7:8], v[57:58]
	v_mul_f64 v[17:18], v[5:6], v[57:58]
	s_waitcnt vmcnt(33)
	v_fma_f64 v[31:32], v[9:10], v[39:40], -v[31:32]
	v_fma_f64 v[23:24], v[11:12], v[39:40], v[23:24]
	ds_read_b128 v[9:12], v72 offset:1728
	v_add_f64 v[13:14], v[13:14], v[35:36]
	v_add_f64 v[15:16], v[15:16], v[29:30]
	s_waitcnt vmcnt(29) lgkmcnt(1)
	v_mul_f64 v[35:36], v[3:4], v[41:42]
	s_waitcnt vmcnt(28)
	v_fma_f64 v[33:34], v[5:6], v[77:78], -v[33:34]
	v_mul_f64 v[29:30], v[1:2], v[41:42]
	v_fma_f64 v[17:18], v[7:8], v[77:78], v[17:18]
	ds_read_b128 v[5:8], v72 offset:1744
	v_add_f64 v[13:14], v[13:14], v[31:32]
	v_add_f64 v[15:16], v[15:16], v[23:24]
	s_waitcnt vmcnt(27) lgkmcnt(1)
	v_mul_f64 v[31:32], v[11:12], v[109:110]
	v_mul_f64 v[23:24], v[9:10], v[109:110]
	s_waitcnt vmcnt(25)
	v_fma_f64 v[35:36], v[1:2], v[47:48], -v[35:36]
	v_fma_f64 v[29:30], v[3:4], v[47:48], v[29:30]
	ds_read_b128 v[1:4], v72 offset:1760
	v_add_f64 v[13:14], v[13:14], v[33:34]
	v_add_f64 v[15:16], v[15:16], v[17:18]
	s_waitcnt vmcnt(21) lgkmcnt(1)
	v_mul_f64 v[33:34], v[7:8], v[49:50]
	s_waitcnt vmcnt(20)
	v_fma_f64 v[31:32], v[9:10], v[113:114], -v[31:32]
	v_mul_f64 v[17:18], v[5:6], v[49:50]
	v_fma_f64 v[23:24], v[11:12], v[113:114], v[23:24]
	ds_read_b128 v[9:12], v72 offset:1776
	v_add_f64 v[13:14], v[13:14], v[35:36]
	v_add_f64 v[15:16], v[15:16], v[29:30]
	;; [unrolled: 18-line block ×3, first 2 shown]
	s_waitcnt vmcnt(11) lgkmcnt(1)
	v_mul_f64 v[33:34], v[7:8], v[111:112]
	v_mul_f64 v[17:18], v[5:6], v[111:112]
	s_waitcnt vmcnt(9)
	v_fma_f64 v[9:10], v[9:10], v[19:20], -v[31:32]
	v_fma_f64 v[11:12], v[11:12], v[19:20], v[23:24]
	v_add_f64 v[13:14], v[13:14], v[35:36]
	v_add_f64 v[15:16], v[15:16], v[29:30]
	s_waitcnt vmcnt(7) lgkmcnt(0)
	v_mul_f64 v[23:24], v[3:4], v[25:26]
	s_waitcnt vmcnt(6)
	v_fma_f64 v[5:6], v[5:6], v[115:116], -v[33:34]
	v_mul_f64 v[19:20], v[1:2], v[25:26]
	v_fma_f64 v[7:8], v[7:8], v[115:116], v[17:18]
	v_add_f64 v[9:10], v[13:14], v[9:10]
	v_add_f64 v[11:12], v[15:16], v[11:12]
	s_waitcnt vmcnt(4)
	v_fma_f64 v[1:2], v[1:2], v[21:22], -v[23:24]
	v_fma_f64 v[3:4], v[3:4], v[21:22], v[19:20]
	v_add_f64 v[5:6], v[9:10], v[5:6]
	v_add_f64 v[7:8], v[11:12], v[7:8]
	;; [unrolled: 1-line block ×4, first 2 shown]
	s_waitcnt vmcnt(2)
	v_add_f64 v[1:2], v[27:28], -v[1:2]
	s_waitcnt vmcnt(0)
	v_add_f64 v[3:4], v[79:80], -v[3:4]
	buffer_store_dword v2, off, s[0:3], 0 offset:308
	buffer_store_dword v1, off, s[0:3], 0 offset:304
	;; [unrolled: 1-line block ×4, first 2 shown]
	v_cmpx_lt_u32_e32 17, v0
	s_cbranch_execz .LBB56_321
; %bb.320:
	v_mov_b32_e32 v4, s52
	v_mov_b32_e32 v5, 0
	s_clause 0x3
	buffer_load_dword v1, v4, s[0:3], 0 offen
	buffer_load_dword v2, v4, s[0:3], 0 offen offset:4
	buffer_load_dword v3, v4, s[0:3], 0 offen offset:8
	;; [unrolled: 1-line block ×3, first 2 shown]
	buffer_store_dword v5, off, s[0:3], 0 offset:288
	buffer_store_dword v5, off, s[0:3], 0 offset:292
	;; [unrolled: 1-line block ×4, first 2 shown]
	s_waitcnt vmcnt(0)
	ds_write_b128 v59, v[1:4]
.LBB56_321:
	s_or_b32 exec_lo, exec_lo, s4
	s_waitcnt lgkmcnt(0)
	s_waitcnt_vscnt null, 0x0
	s_barrier
	buffer_gl0_inv
	s_clause 0x37
	buffer_load_dword v9, off, s[0:3], 0 offset:312
	buffer_load_dword v10, off, s[0:3], 0 offset:316
	;; [unrolled: 1-line block ×56, first 2 shown]
	v_mov_b32_e32 v72, 0
	s_mov_b32 s4, exec_lo
	ds_read_b128 v[89:92], v72 offset:1200
	s_clause 0x2
	buffer_load_dword v58, off, s[0:3], 0 offset:540
	buffer_load_dword v78, off, s[0:3], 0 offset:516
	;; [unrolled: 1-line block ×3, first 2 shown]
	ds_read_b128 v[99:102], v72 offset:1216
	s_clause 0x4
	buffer_load_dword v108, off, s[0:3], 0 offset:556
	buffer_load_dword v109, off, s[0:3], 0 offset:568
	;; [unrolled: 1-line block ×5, first 2 shown]
	ds_read_b128 v[103:106], v72 offset:1232
	s_clause 0x2
	buffer_load_dword v110, off, s[0:3], 0 offset:572
	buffer_load_dword v115, off, s[0:3], 0 offset:548
	;; [unrolled: 1-line block ×3, first 2 shown]
	s_waitcnt vmcnt(62) lgkmcnt(2)
	v_mul_f64 v[79:80], v[91:92], v[9:10]
	v_mul_f64 v[9:10], v[89:90], v[9:10]
	s_waitcnt lgkmcnt(1)
	v_mul_f64 v[112:113], v[101:102], v[5:6]
	s_waitcnt vmcnt(59) lgkmcnt(0)
	v_mul_f64 v[116:117], v[105:106], v[3:4]
	v_fma_f64 v[79:80], v[89:90], v[7:8], -v[79:80]
	v_mul_f64 v[89:90], v[99:100], v[5:6]
	v_fma_f64 v[9:10], v[91:92], v[7:8], v[9:10]
	s_waitcnt vmcnt(57)
	v_fma_f64 v[99:100], v[99:100], v[1:2], -v[112:113]
	ds_read_b128 v[5:8], v72 offset:1248
	v_mul_f64 v[91:92], v[103:104], v[3:4]
	s_waitcnt vmcnt(51)
	v_fma_f64 v[103:104], v[103:104], v[25:26], -v[116:117]
	v_add_f64 v[79:80], v[79:80], 0
	v_fma_f64 v[89:90], v[101:102], v[1:2], v[89:90]
	v_add_f64 v[9:10], v[9:10], 0
	s_clause 0x4
	buffer_load_dword v102, off, s[0:3], 0 offset:588
	buffer_load_dword v118, off, s[0:3], 0 offset:600
	;; [unrolled: 1-line block ×5, first 2 shown]
	s_waitcnt lgkmcnt(0)
	v_mul_f64 v[121:122], v[5:6], v[13:14]
	v_mul_f64 v[13:14], v[7:8], v[13:14]
	ds_read_b128 v[1:4], v72 offset:1264
	v_fma_f64 v[25:26], v[105:106], v[25:26], v[91:92]
	v_add_f64 v[79:80], v[79:80], v[99:100]
	s_clause 0x2
	buffer_load_dword v119, off, s[0:3], 0 offset:604
	buffer_load_dword v100, off, s[0:3], 0 offset:580
	;; [unrolled: 1-line block ×3, first 2 shown]
	v_add_f64 v[9:10], v[9:10], v[89:90]
	ds_read_b128 v[89:92], v72 offset:1280
	s_waitcnt vmcnt(58) lgkmcnt(1)
	v_mul_f64 v[105:106], v[1:2], v[17:18]
	v_mul_f64 v[17:18], v[3:4], v[17:18]
	s_waitcnt vmcnt(56)
	v_fma_f64 v[13:14], v[5:6], v[19:20], -v[13:14]
	v_fma_f64 v[19:20], v[7:8], v[19:20], v[121:122]
	v_add_f64 v[79:80], v[79:80], v[103:104]
	s_waitcnt vmcnt(52) lgkmcnt(0)
	v_mul_f64 v[122:123], v[89:90], v[21:22]
	v_add_f64 v[9:10], v[9:10], v[25:26]
	s_clause 0x4
	buffer_load_dword v26, off, s[0:3], 0 offset:620
	buffer_load_dword v103, off, s[0:3], 0 offset:632
	;; [unrolled: 1-line block ×5, first 2 shown]
	v_mul_f64 v[21:22], v[91:92], v[21:22]
	s_waitcnt vmcnt(56)
	v_fma_f64 v[17:18], v[1:2], v[11:12], -v[17:18]
	ds_read_b128 v[5:8], v72 offset:1296
	v_fma_f64 v[11:12], v[3:4], v[11:12], v[105:106]
	v_add_f64 v[13:14], v[79:80], v[13:14]
	v_add_f64 v[9:10], v[9:10], v[19:20]
	s_clause 0x2
	buffer_load_dword v104, off, s[0:3], 0 offset:636
	buffer_load_dword v20, off, s[0:3], 0 offset:612
	;; [unrolled: 1-line block ×3, first 2 shown]
	s_waitcnt vmcnt(58) lgkmcnt(0)
	v_mul_f64 v[79:80], v[5:6], v[27:28]
	v_mul_f64 v[27:28], v[7:8], v[27:28]
	s_waitcnt vmcnt(56)
	v_fma_f64 v[21:22], v[89:90], v[29:30], -v[21:22]
	ds_read_b128 v[1:4], v72 offset:1312
	v_add_f64 v[13:14], v[13:14], v[17:18]
	v_fma_f64 v[17:18], v[91:92], v[29:30], v[122:123]
	v_add_f64 v[29:30], v[9:10], v[11:12]
	s_clause 0x4
	buffer_load_dword v90, off, s[0:3], 0 offset:652
	buffer_load_dword v91, off, s[0:3], 0 offset:664
	buffer_load_dword v105, off, s[0:3], 0 offset:656
	buffer_load_dword v89, off, s[0:3], 0 offset:648
	buffer_load_dword v117, off, s[0:3], 0 offset:628
	ds_read_b128 v[9:12], v72 offset:1328
	s_waitcnt vmcnt(57) lgkmcnt(1)
	v_mul_f64 v[122:123], v[1:2], v[31:32]
	v_mul_f64 v[31:32], v[3:4], v[31:32]
	s_waitcnt vmcnt(56)
	v_fma_f64 v[27:28], v[5:6], v[15:16], -v[27:28]
	v_fma_f64 v[15:16], v[7:8], v[15:16], v[79:80]
	v_add_f64 v[13:14], v[13:14], v[21:22]
	s_clause 0x2
	buffer_load_dword v92, off, s[0:3], 0 offset:668
	buffer_load_dword v22, off, s[0:3], 0 offset:644
	;; [unrolled: 1-line block ×3, first 2 shown]
	v_add_f64 v[17:18], v[29:30], v[17:18]
	s_waitcnt vmcnt(58) lgkmcnt(0)
	v_mul_f64 v[29:30], v[9:10], v[35:36]
	v_mul_f64 v[35:36], v[11:12], v[35:36]
	ds_read_b128 v[5:8], v72 offset:1344
	s_waitcnt vmcnt(56)
	v_fma_f64 v[31:32], v[1:2], v[37:38], -v[31:32]
	v_add_f64 v[13:14], v[13:14], v[27:28]
	v_fma_f64 v[27:28], v[3:4], v[37:38], v[122:123]
	v_add_f64 v[15:16], v[17:18], v[15:16]
	s_clause 0x4
	buffer_load_dword v18, off, s[0:3], 0 offset:684
	buffer_load_dword v37, off, s[0:3], 0 offset:696
	;; [unrolled: 1-line block ×5, first 2 shown]
	s_waitcnt vmcnt(57) lgkmcnt(0)
	v_mul_f64 v[122:123], v[5:6], v[39:40]
	v_mul_f64 v[39:40], v[7:8], v[39:40]
	s_waitcnt vmcnt(56)
	v_fma_f64 v[35:36], v[9:10], v[23:24], -v[35:36]
	ds_read_b128 v[1:4], v72 offset:1360
	v_fma_f64 v[23:24], v[11:12], v[23:24], v[29:30]
	v_add_f64 v[13:14], v[13:14], v[31:32]
	v_add_f64 v[15:16], v[15:16], v[27:28]
	s_clause 0x2
	buffer_load_dword v38, off, s[0:3], 0 offset:700
	buffer_load_dword v28, off, s[0:3], 0 offset:676
	;; [unrolled: 1-line block ×3, first 2 shown]
	ds_read_b128 v[9:12], v72 offset:1376
	s_waitcnt vmcnt(58) lgkmcnt(1)
	v_mul_f64 v[31:32], v[3:4], v[43:44]
	s_waitcnt vmcnt(56)
	v_fma_f64 v[39:40], v[5:6], v[45:46], -v[39:40]
	v_mul_f64 v[29:30], v[1:2], v[43:44]
	v_add_f64 v[13:14], v[13:14], v[35:36]
	v_fma_f64 v[35:36], v[7:8], v[45:46], v[122:123]
	v_add_f64 v[15:16], v[15:16], v[23:24]
	s_clause 0x4
	buffer_load_dword v24, off, s[0:3], 0 offset:716
	buffer_load_dword v43, off, s[0:3], 0 offset:728
	;; [unrolled: 1-line block ×5, first 2 shown]
	s_waitcnt vmcnt(57) lgkmcnt(0)
	v_mul_f64 v[122:123], v[9:10], v[47:48]
	v_mul_f64 v[46:47], v[11:12], v[47:48]
	s_waitcnt vmcnt(56)
	v_fma_f64 v[31:32], v[1:2], v[33:34], -v[31:32]
	ds_read_b128 v[5:8], v72 offset:1392
	v_fma_f64 v[29:30], v[3:4], v[33:34], v[29:30]
	s_clause 0x2
	buffer_load_dword v44, off, s[0:3], 0 offset:732
	buffer_load_dword v34, off, s[0:3], 0 offset:708
	;; [unrolled: 1-line block ×3, first 2 shown]
	ds_read_b128 v[1:4], v72 offset:1408
	v_add_f64 v[13:14], v[13:14], v[39:40]
	v_add_f64 v[15:16], v[15:16], v[35:36]
	s_waitcnt vmcnt(58) lgkmcnt(1)
	v_mul_f64 v[39:40], v[7:8], v[51:52]
	s_waitcnt vmcnt(56)
	v_fma_f64 v[47:48], v[9:10], v[53:54], -v[46:47]
	v_mul_f64 v[35:36], v[5:6], v[51:52]
	v_add_f64 v[13:14], v[13:14], v[31:32]
	v_fma_f64 v[31:32], v[11:12], v[53:54], v[122:123]
	v_add_f64 v[15:16], v[15:16], v[29:30]
	s_clause 0x4
	buffer_load_dword v30, off, s[0:3], 0 offset:748
	buffer_load_dword v51, off, s[0:3], 0 offset:760
	;; [unrolled: 1-line block ×5, first 2 shown]
	s_waitcnt vmcnt(57) lgkmcnt(0)
	v_mul_f64 v[122:123], v[1:2], v[55:56]
	v_mul_f64 v[54:55], v[3:4], v[55:56]
	s_waitcnt vmcnt(56)
	v_fma_f64 v[39:40], v[5:6], v[41:42], -v[39:40]
	ds_read_b128 v[9:12], v72 offset:1424
	v_fma_f64 v[35:36], v[7:8], v[41:42], v[35:36]
	v_add_f64 v[13:14], v[13:14], v[47:48]
	v_add_f64 v[15:16], v[15:16], v[31:32]
	s_clause 0x2
	buffer_load_dword v52, off, s[0:3], 0 offset:764
	buffer_load_dword v32, off, s[0:3], 0 offset:740
	;; [unrolled: 1-line block ×3, first 2 shown]
	ds_read_b128 v[5:8], v72 offset:1440
	s_waitcnt vmcnt(58) lgkmcnt(1)
	v_mul_f64 v[47:48], v[11:12], v[57:58]
	s_waitcnt vmcnt(56)
	v_fma_f64 v[55:56], v[1:2], v[77:78], -v[54:55]
	v_mul_f64 v[41:42], v[9:10], v[57:58]
	v_add_f64 v[13:14], v[13:14], v[39:40]
	v_fma_f64 v[39:40], v[3:4], v[77:78], v[122:123]
	v_add_f64 v[15:16], v[15:16], v[35:36]
	s_clause 0x4
	buffer_load_dword v36, off, s[0:3], 0 offset:780
	buffer_load_dword v57, off, s[0:3], 0 offset:792
	;; [unrolled: 1-line block ×5, first 2 shown]
	s_waitcnt vmcnt(57) lgkmcnt(0)
	v_mul_f64 v[122:123], v[5:6], v[107:108]
	v_mul_f64 v[107:108], v[7:8], v[107:108]
	s_waitcnt vmcnt(56)
	v_fma_f64 v[47:48], v[9:10], v[49:50], -v[47:48]
	ds_read_b128 v[1:4], v72 offset:1456
	v_fma_f64 v[41:42], v[11:12], v[49:50], v[41:42]
	v_add_f64 v[13:14], v[13:14], v[55:56]
	v_add_f64 v[15:16], v[15:16], v[39:40]
	s_clause 0x2
	buffer_load_dword v58, off, s[0:3], 0 offset:796
	buffer_load_dword v40, off, s[0:3], 0 offset:772
	;; [unrolled: 1-line block ×3, first 2 shown]
	ds_read_b128 v[9:12], v72 offset:1472
	s_waitcnt vmcnt(58) lgkmcnt(1)
	v_mul_f64 v[55:56], v[3:4], v[109:110]
	s_waitcnt vmcnt(56)
	v_fma_f64 v[107:108], v[5:6], v[114:115], -v[107:108]
	v_mul_f64 v[49:50], v[1:2], v[109:110]
	v_add_f64 v[13:14], v[13:14], v[47:48]
	v_fma_f64 v[47:48], v[7:8], v[114:115], v[122:123]
	v_add_f64 v[15:16], v[15:16], v[41:42]
	s_clause 0x4
	buffer_load_dword v42, off, s[0:3], 0 offset:812
	buffer_load_dword v109, off, s[0:3], 0 offset:824
	;; [unrolled: 1-line block ×5, first 2 shown]
	ds_read_b128 v[5:8], v72 offset:1488
	s_waitcnt vmcnt(57) lgkmcnt(1)
	v_mul_f64 v[114:115], v[9:10], v[101:102]
	v_mul_f64 v[101:102], v[11:12], v[101:102]
	s_waitcnt vmcnt(56)
	v_fma_f64 v[55:56], v[1:2], v[111:112], -v[55:56]
	v_fma_f64 v[49:50], v[3:4], v[111:112], v[49:50]
	v_add_f64 v[13:14], v[13:14], v[107:108]
	v_add_f64 v[15:16], v[15:16], v[47:48]
	s_clause 0x2
	buffer_load_dword v110, off, s[0:3], 0 offset:828
	buffer_load_dword v48, off, s[0:3], 0 offset:804
	;; [unrolled: 1-line block ×3, first 2 shown]
	ds_read_b128 v[1:4], v72 offset:1504
	s_waitcnt vmcnt(58) lgkmcnt(1)
	v_mul_f64 v[111:112], v[7:8], v[118:119]
	v_mul_f64 v[107:108], v[5:6], v[118:119]
	s_waitcnt vmcnt(56)
	v_fma_f64 v[101:102], v[9:10], v[99:100], -v[101:102]
	v_add_f64 v[13:14], v[13:14], v[55:56]
	v_fma_f64 v[55:56], v[11:12], v[99:100], v[114:115]
	v_add_f64 v[15:16], v[15:16], v[49:50]
	s_clause 0x4
	buffer_load_dword v50, off, s[0:3], 0 offset:844
	buffer_load_dword v99, off, s[0:3], 0 offset:856
	;; [unrolled: 1-line block ×5, first 2 shown]
	ds_read_b128 v[9:12], v72 offset:1520
	s_waitcnt vmcnt(57) lgkmcnt(1)
	v_mul_f64 v[122:123], v[1:2], v[25:26]
	v_mul_f64 v[25:26], v[3:4], v[25:26]
	s_waitcnt vmcnt(56)
	v_fma_f64 v[111:112], v[5:6], v[120:121], -v[111:112]
	v_add_f64 v[13:14], v[13:14], v[101:102]
	v_fma_f64 v[101:102], v[7:8], v[120:121], v[107:108]
	v_add_f64 v[15:16], v[15:16], v[55:56]
	s_clause 0x2
	buffer_load_dword v100, off, s[0:3], 0 offset:860
	buffer_load_dword v56, off, s[0:3], 0 offset:836
	;; [unrolled: 1-line block ×3, first 2 shown]
	ds_read_b128 v[5:8], v72 offset:1536
	s_waitcnt vmcnt(58) lgkmcnt(1)
	v_mul_f64 v[107:108], v[9:10], v[103:104]
	v_mul_f64 v[103:104], v[11:12], v[103:104]
	s_waitcnt vmcnt(56)
	v_fma_f64 v[25:26], v[1:2], v[19:20], -v[25:26]
	v_fma_f64 v[19:20], v[3:4], v[19:20], v[122:123]
	v_add_f64 v[13:14], v[13:14], v[111:112]
	v_add_f64 v[15:16], v[15:16], v[101:102]
	s_clause 0x4
	buffer_load_dword v102, off, s[0:3], 0 offset:876
	buffer_load_dword v111, off, s[0:3], 0 offset:888
	;; [unrolled: 1-line block ×5, first 2 shown]
	ds_read_b128 v[1:4], v72 offset:1552
	s_waitcnt vmcnt(57) lgkmcnt(1)
	v_mul_f64 v[120:121], v[5:6], v[89:90]
	v_mul_f64 v[89:90], v[7:8], v[89:90]
	s_waitcnt vmcnt(56)
	v_fma_f64 v[103:104], v[9:10], v[116:117], -v[103:104]
	v_add_f64 v[13:14], v[13:14], v[25:26]
	v_fma_f64 v[25:26], v[11:12], v[116:117], v[107:108]
	v_add_f64 v[15:16], v[15:16], v[19:20]
	s_clause 0x2
	buffer_load_dword v112, off, s[0:3], 0 offset:892
	buffer_load_dword v20, off, s[0:3], 0 offset:868
	buffer_load_dword v19, off, s[0:3], 0 offset:864
	ds_read_b128 v[9:12], v72 offset:1568
	s_waitcnt vmcnt(58) lgkmcnt(1)
	v_mul_f64 v[107:108], v[1:2], v[91:92]
	v_mul_f64 v[91:92], v[3:4], v[91:92]
	s_waitcnt vmcnt(56)
	v_fma_f64 v[89:90], v[5:6], v[21:22], -v[89:90]
	v_fma_f64 v[21:22], v[7:8], v[21:22], v[120:121]
	v_add_f64 v[13:14], v[13:14], v[103:104]
	v_add_f64 v[15:16], v[15:16], v[25:26]
	s_clause 0x4
	buffer_load_dword v26, off, s[0:3], 0 offset:908
	buffer_load_dword v103, off, s[0:3], 0 offset:920
	;; [unrolled: 1-line block ×5, first 2 shown]
	ds_read_b128 v[5:8], v72 offset:1584
	s_waitcnt vmcnt(57) lgkmcnt(1)
	v_mul_f64 v[121:122], v[9:10], v[17:18]
	v_mul_f64 v[17:18], v[11:12], v[17:18]
	s_waitcnt vmcnt(56)
	v_fma_f64 v[91:92], v[1:2], v[105:106], -v[91:92]
	v_add_f64 v[13:14], v[13:14], v[89:90]
	v_fma_f64 v[89:90], v[3:4], v[105:106], v[107:108]
	v_add_f64 v[15:16], v[15:16], v[21:22]
	s_clause 0x2
	buffer_load_dword v104, off, s[0:3], 0 offset:924
	buffer_load_dword v22, off, s[0:3], 0 offset:900
	;; [unrolled: 1-line block ×3, first 2 shown]
	ds_read_b128 v[1:4], v72 offset:1600
	s_waitcnt vmcnt(58) lgkmcnt(1)
	v_mul_f64 v[105:106], v[5:6], v[37:38]
	v_mul_f64 v[37:38], v[7:8], v[37:38]
	s_waitcnt vmcnt(56)
	v_fma_f64 v[17:18], v[9:10], v[27:28], -v[17:18]
	v_fma_f64 v[27:28], v[11:12], v[27:28], v[121:122]
	buffer_load_dword v121, off, s[0:3], 0 offset:916
	ds_read_b128 v[9:12], v72 offset:1616
	v_add_f64 v[13:14], v[13:14], v[91:92]
	v_add_f64 v[15:16], v[15:16], v[89:90]
	s_waitcnt vmcnt(53) lgkmcnt(1)
	v_mul_f64 v[89:90], v[1:2], v[23:24]
	v_mul_f64 v[23:24], v[3:4], v[23:24]
	s_waitcnt vmcnt(52)
	v_fma_f64 v[37:38], v[5:6], v[79:80], -v[37:38]
	v_add_f64 v[13:14], v[13:14], v[17:18]
	v_fma_f64 v[17:18], v[7:8], v[79:80], v[105:106]
	v_add_f64 v[15:16], v[15:16], v[27:28]
	s_waitcnt vmcnt(51) lgkmcnt(0)
	v_mul_f64 v[27:28], v[9:10], v[43:44]
	v_mul_f64 v[43:44], v[11:12], v[43:44]
	ds_read_b128 v[5:8], v72 offset:1632
	s_waitcnt vmcnt(49)
	v_fma_f64 v[23:24], v[1:2], v[33:34], -v[23:24]
	v_fma_f64 v[33:34], v[3:4], v[33:34], v[89:90]
	v_add_f64 v[13:14], v[13:14], v[37:38]
	v_add_f64 v[15:16], v[15:16], v[17:18]
	s_clause 0x3
	buffer_load_dword v17, off, s[0:3], 0 offset:288
	buffer_load_dword v18, off, s[0:3], 0 offset:292
	;; [unrolled: 1-line block ×4, first 2 shown]
	ds_read_b128 v[1:4], v72 offset:1648
	s_waitcnt vmcnt(49) lgkmcnt(1)
	v_mul_f64 v[79:80], v[5:6], v[29:30]
	v_mul_f64 v[29:30], v[7:8], v[29:30]
	s_waitcnt vmcnt(48)
	v_fma_f64 v[43:44], v[9:10], v[45:46], -v[43:44]
	v_add_f64 v[13:14], v[13:14], v[23:24]
	v_fma_f64 v[23:24], v[11:12], v[45:46], v[27:28]
	v_add_f64 v[15:16], v[15:16], v[33:34]
	ds_read_b128 v[9:12], v72 offset:1664
	s_waitcnt vmcnt(47) lgkmcnt(1)
	v_mul_f64 v[33:34], v[3:4], v[51:52]
	v_mul_f64 v[27:28], v[1:2], v[51:52]
	s_waitcnt vmcnt(45)
	v_fma_f64 v[29:30], v[5:6], v[31:32], -v[29:30]
	v_fma_f64 v[31:32], v[7:8], v[31:32], v[79:80]
	ds_read_b128 v[5:8], v72 offset:1680
	v_add_f64 v[13:14], v[13:14], v[43:44]
	v_add_f64 v[15:16], v[15:16], v[23:24]
	s_waitcnt vmcnt(41) lgkmcnt(1)
	v_mul_f64 v[23:24], v[9:10], v[35:36]
	v_mul_f64 v[35:36], v[11:12], v[35:36]
	s_waitcnt vmcnt(40)
	v_fma_f64 v[33:34], v[1:2], v[53:54], -v[33:34]
	v_fma_f64 v[27:28], v[3:4], v[53:54], v[27:28]
	ds_read_b128 v[1:4], v72 offset:1696
	v_add_f64 v[13:14], v[13:14], v[29:30]
	v_add_f64 v[15:16], v[15:16], v[31:32]
	;; [unrolled: 9-line block ×3, first 2 shown]
	s_waitcnt vmcnt(33) lgkmcnt(1)
	v_mul_f64 v[33:34], v[3:4], v[41:42]
	s_waitcnt vmcnt(32)
	v_fma_f64 v[31:32], v[5:6], v[77:78], -v[31:32]
	v_mul_f64 v[27:28], v[1:2], v[41:42]
	v_fma_f64 v[29:30], v[7:8], v[77:78], v[29:30]
	ds_read_b128 v[5:8], v72 offset:1728
	v_add_f64 v[13:14], v[13:14], v[35:36]
	v_add_f64 v[15:16], v[15:16], v[23:24]
	s_waitcnt vmcnt(31) lgkmcnt(1)
	v_mul_f64 v[35:36], v[11:12], v[109:110]
	v_mul_f64 v[23:24], v[9:10], v[109:110]
	s_waitcnt vmcnt(29)
	v_fma_f64 v[33:34], v[1:2], v[47:48], -v[33:34]
	v_fma_f64 v[27:28], v[3:4], v[47:48], v[27:28]
	ds_read_b128 v[1:4], v72 offset:1744
	v_add_f64 v[13:14], v[13:14], v[31:32]
	v_add_f64 v[15:16], v[15:16], v[29:30]
	s_waitcnt vmcnt(25) lgkmcnt(1)
	v_mul_f64 v[31:32], v[7:8], v[49:50]
	s_waitcnt vmcnt(24)
	v_fma_f64 v[35:36], v[9:10], v[113:114], -v[35:36]
	v_mul_f64 v[29:30], v[5:6], v[49:50]
	v_fma_f64 v[23:24], v[11:12], v[113:114], v[23:24]
	ds_read_b128 v[9:12], v72 offset:1760
	v_add_f64 v[13:14], v[13:14], v[33:34]
	v_add_f64 v[15:16], v[15:16], v[27:28]
	s_waitcnt vmcnt(23) lgkmcnt(1)
	v_mul_f64 v[33:34], v[3:4], v[99:100]
	v_mul_f64 v[27:28], v[1:2], v[99:100]
	s_waitcnt vmcnt(21)
	v_fma_f64 v[31:32], v[5:6], v[55:56], -v[31:32]
	v_fma_f64 v[29:30], v[7:8], v[55:56], v[29:30]
	ds_read_b128 v[5:8], v72 offset:1776
	v_add_f64 v[13:14], v[13:14], v[35:36]
	v_add_f64 v[15:16], v[15:16], v[23:24]
	;; [unrolled: 18-line block ×3, first 2 shown]
	s_waitcnt vmcnt(9) lgkmcnt(1)
	v_mul_f64 v[23:24], v[1:2], v[25:26]
	v_mul_f64 v[25:26], v[3:4], v[25:26]
	s_waitcnt vmcnt(8)
	v_fma_f64 v[5:6], v[5:6], v[115:116], -v[31:32]
	v_fma_f64 v[7:8], v[7:8], v[115:116], v[29:30]
	v_add_f64 v[13:14], v[13:14], v[35:36]
	v_add_f64 v[15:16], v[15:16], v[19:20]
	s_waitcnt vmcnt(7) lgkmcnt(0)
	v_mul_f64 v[27:28], v[11:12], v[103:104]
	v_mul_f64 v[19:20], v[9:10], v[103:104]
	s_waitcnt vmcnt(5)
	v_fma_f64 v[1:2], v[1:2], v[21:22], -v[25:26]
	v_fma_f64 v[3:4], v[3:4], v[21:22], v[23:24]
	v_add_f64 v[5:6], v[13:14], v[5:6]
	v_add_f64 v[7:8], v[15:16], v[7:8]
	s_waitcnt vmcnt(4)
	v_fma_f64 v[9:10], v[9:10], v[120:121], -v[27:28]
	v_add_f64 v[1:2], v[5:6], v[1:2]
	v_fma_f64 v[5:6], v[11:12], v[120:121], v[19:20]
	v_add_f64 v[3:4], v[7:8], v[3:4]
	v_add_f64 v[1:2], v[1:2], v[9:10]
	;; [unrolled: 1-line block ×3, first 2 shown]
	s_waitcnt vmcnt(2)
	v_add_f64 v[1:2], v[17:18], -v[1:2]
	s_waitcnt vmcnt(0)
	v_add_f64 v[3:4], v[37:38], -v[3:4]
	buffer_store_dword v2, off, s[0:3], 0 offset:292
	buffer_store_dword v1, off, s[0:3], 0 offset:288
	;; [unrolled: 1-line block ×4, first 2 shown]
	v_cmpx_lt_u32_e32 16, v0
	s_cbranch_execz .LBB56_323
; %bb.322:
	v_mov_b32_e32 v4, s53
	s_clause 0x3
	buffer_load_dword v1, v4, s[0:3], 0 offen
	buffer_load_dword v2, v4, s[0:3], 0 offen offset:4
	buffer_load_dword v3, v4, s[0:3], 0 offen offset:8
	;; [unrolled: 1-line block ×3, first 2 shown]
	buffer_store_dword v72, off, s[0:3], 0 offset:272
	buffer_store_dword v72, off, s[0:3], 0 offset:276
	;; [unrolled: 1-line block ×4, first 2 shown]
	s_waitcnt vmcnt(0)
	ds_write_b128 v59, v[1:4]
.LBB56_323:
	s_or_b32 exec_lo, exec_lo, s4
	s_waitcnt lgkmcnt(0)
	s_waitcnt_vscnt null, 0x0
	s_barrier
	buffer_gl0_inv
	s_clause 0x37
	buffer_load_dword v9, off, s[0:3], 0 offset:296
	buffer_load_dword v10, off, s[0:3], 0 offset:300
	;; [unrolled: 1-line block ×56, first 2 shown]
	ds_read_b128 v[89:92], v72 offset:1184
	s_clause 0x2
	buffer_load_dword v58, off, s[0:3], 0 offset:524
	buffer_load_dword v78, off, s[0:3], 0 offset:500
	;; [unrolled: 1-line block ×3, first 2 shown]
	ds_read_b128 v[99:102], v72 offset:1200
	s_clause 0x4
	buffer_load_dword v108, off, s[0:3], 0 offset:540
	buffer_load_dword v109, off, s[0:3], 0 offset:552
	;; [unrolled: 1-line block ×5, first 2 shown]
	ds_read_b128 v[103:106], v72 offset:1216
	s_clause 0x2
	buffer_load_dword v110, off, s[0:3], 0 offset:556
	buffer_load_dword v115, off, s[0:3], 0 offset:532
	;; [unrolled: 1-line block ×3, first 2 shown]
	s_mov_b32 s4, exec_lo
	s_waitcnt vmcnt(62) lgkmcnt(2)
	v_mul_f64 v[79:80], v[91:92], v[9:10]
	v_mul_f64 v[9:10], v[89:90], v[9:10]
	s_waitcnt lgkmcnt(1)
	v_mul_f64 v[112:113], v[101:102], v[5:6]
	s_waitcnt vmcnt(59) lgkmcnt(0)
	v_mul_f64 v[116:117], v[105:106], v[3:4]
	v_fma_f64 v[79:80], v[89:90], v[7:8], -v[79:80]
	v_mul_f64 v[89:90], v[99:100], v[5:6]
	v_fma_f64 v[9:10], v[91:92], v[7:8], v[9:10]
	s_waitcnt vmcnt(57)
	v_fma_f64 v[99:100], v[99:100], v[1:2], -v[112:113]
	ds_read_b128 v[5:8], v72 offset:1232
	v_mul_f64 v[91:92], v[103:104], v[3:4]
	s_waitcnt vmcnt(51)
	v_fma_f64 v[103:104], v[103:104], v[25:26], -v[116:117]
	v_add_f64 v[79:80], v[79:80], 0
	v_fma_f64 v[89:90], v[101:102], v[1:2], v[89:90]
	v_add_f64 v[9:10], v[9:10], 0
	s_clause 0x4
	buffer_load_dword v102, off, s[0:3], 0 offset:572
	buffer_load_dword v118, off, s[0:3], 0 offset:584
	;; [unrolled: 1-line block ×5, first 2 shown]
	s_waitcnt lgkmcnt(0)
	v_mul_f64 v[121:122], v[5:6], v[13:14]
	v_mul_f64 v[13:14], v[7:8], v[13:14]
	ds_read_b128 v[1:4], v72 offset:1248
	v_fma_f64 v[25:26], v[105:106], v[25:26], v[91:92]
	v_add_f64 v[79:80], v[79:80], v[99:100]
	s_clause 0x2
	buffer_load_dword v119, off, s[0:3], 0 offset:588
	buffer_load_dword v100, off, s[0:3], 0 offset:564
	;; [unrolled: 1-line block ×3, first 2 shown]
	v_add_f64 v[9:10], v[9:10], v[89:90]
	ds_read_b128 v[89:92], v72 offset:1264
	s_waitcnt vmcnt(58) lgkmcnt(1)
	v_mul_f64 v[105:106], v[1:2], v[17:18]
	v_mul_f64 v[17:18], v[3:4], v[17:18]
	s_waitcnt vmcnt(56)
	v_fma_f64 v[13:14], v[5:6], v[19:20], -v[13:14]
	v_fma_f64 v[19:20], v[7:8], v[19:20], v[121:122]
	v_add_f64 v[79:80], v[79:80], v[103:104]
	s_waitcnt vmcnt(52) lgkmcnt(0)
	v_mul_f64 v[122:123], v[89:90], v[21:22]
	v_add_f64 v[9:10], v[9:10], v[25:26]
	s_clause 0x4
	buffer_load_dword v26, off, s[0:3], 0 offset:604
	buffer_load_dword v103, off, s[0:3], 0 offset:616
	buffer_load_dword v116, off, s[0:3], 0 offset:608
	buffer_load_dword v25, off, s[0:3], 0 offset:600
	buffer_load_dword v121, off, s[0:3], 0 offset:580
	v_mul_f64 v[21:22], v[91:92], v[21:22]
	s_waitcnt vmcnt(56)
	v_fma_f64 v[17:18], v[1:2], v[11:12], -v[17:18]
	ds_read_b128 v[5:8], v72 offset:1280
	v_fma_f64 v[11:12], v[3:4], v[11:12], v[105:106]
	v_add_f64 v[13:14], v[79:80], v[13:14]
	v_add_f64 v[9:10], v[9:10], v[19:20]
	s_clause 0x2
	buffer_load_dword v104, off, s[0:3], 0 offset:620
	buffer_load_dword v20, off, s[0:3], 0 offset:596
	;; [unrolled: 1-line block ×3, first 2 shown]
	s_waitcnt vmcnt(58) lgkmcnt(0)
	v_mul_f64 v[79:80], v[5:6], v[27:28]
	v_mul_f64 v[27:28], v[7:8], v[27:28]
	s_waitcnt vmcnt(56)
	v_fma_f64 v[21:22], v[89:90], v[29:30], -v[21:22]
	ds_read_b128 v[1:4], v72 offset:1296
	v_add_f64 v[13:14], v[13:14], v[17:18]
	v_fma_f64 v[17:18], v[91:92], v[29:30], v[122:123]
	v_add_f64 v[29:30], v[9:10], v[11:12]
	s_clause 0x4
	buffer_load_dword v90, off, s[0:3], 0 offset:636
	buffer_load_dword v91, off, s[0:3], 0 offset:648
	;; [unrolled: 1-line block ×5, first 2 shown]
	ds_read_b128 v[9:12], v72 offset:1312
	s_waitcnt vmcnt(57) lgkmcnt(1)
	v_mul_f64 v[122:123], v[1:2], v[31:32]
	v_mul_f64 v[31:32], v[3:4], v[31:32]
	s_waitcnt vmcnt(56)
	v_fma_f64 v[27:28], v[5:6], v[15:16], -v[27:28]
	v_fma_f64 v[15:16], v[7:8], v[15:16], v[79:80]
	v_add_f64 v[13:14], v[13:14], v[21:22]
	s_clause 0x2
	buffer_load_dword v92, off, s[0:3], 0 offset:652
	buffer_load_dword v22, off, s[0:3], 0 offset:628
	;; [unrolled: 1-line block ×3, first 2 shown]
	v_add_f64 v[17:18], v[29:30], v[17:18]
	s_waitcnt vmcnt(58) lgkmcnt(0)
	v_mul_f64 v[29:30], v[9:10], v[35:36]
	v_mul_f64 v[35:36], v[11:12], v[35:36]
	ds_read_b128 v[5:8], v72 offset:1328
	s_waitcnt vmcnt(56)
	v_fma_f64 v[31:32], v[1:2], v[37:38], -v[31:32]
	v_add_f64 v[13:14], v[13:14], v[27:28]
	v_fma_f64 v[27:28], v[3:4], v[37:38], v[122:123]
	v_add_f64 v[15:16], v[17:18], v[15:16]
	s_clause 0x4
	buffer_load_dword v18, off, s[0:3], 0 offset:668
	buffer_load_dword v37, off, s[0:3], 0 offset:680
	;; [unrolled: 1-line block ×5, first 2 shown]
	s_waitcnt vmcnt(57) lgkmcnt(0)
	v_mul_f64 v[122:123], v[5:6], v[39:40]
	v_mul_f64 v[39:40], v[7:8], v[39:40]
	s_waitcnt vmcnt(56)
	v_fma_f64 v[35:36], v[9:10], v[23:24], -v[35:36]
	ds_read_b128 v[1:4], v72 offset:1344
	v_fma_f64 v[23:24], v[11:12], v[23:24], v[29:30]
	v_add_f64 v[13:14], v[13:14], v[31:32]
	v_add_f64 v[15:16], v[15:16], v[27:28]
	s_clause 0x2
	buffer_load_dword v38, off, s[0:3], 0 offset:684
	buffer_load_dword v28, off, s[0:3], 0 offset:660
	;; [unrolled: 1-line block ×3, first 2 shown]
	ds_read_b128 v[9:12], v72 offset:1360
	s_waitcnt vmcnt(58) lgkmcnt(1)
	v_mul_f64 v[31:32], v[3:4], v[43:44]
	s_waitcnt vmcnt(56)
	v_fma_f64 v[39:40], v[5:6], v[45:46], -v[39:40]
	v_mul_f64 v[29:30], v[1:2], v[43:44]
	v_add_f64 v[13:14], v[13:14], v[35:36]
	v_fma_f64 v[35:36], v[7:8], v[45:46], v[122:123]
	v_add_f64 v[15:16], v[15:16], v[23:24]
	s_clause 0x4
	buffer_load_dword v24, off, s[0:3], 0 offset:700
	buffer_load_dword v43, off, s[0:3], 0 offset:712
	;; [unrolled: 1-line block ×5, first 2 shown]
	s_waitcnt vmcnt(57) lgkmcnt(0)
	v_mul_f64 v[122:123], v[9:10], v[47:48]
	v_mul_f64 v[46:47], v[11:12], v[47:48]
	s_waitcnt vmcnt(56)
	v_fma_f64 v[31:32], v[1:2], v[33:34], -v[31:32]
	ds_read_b128 v[5:8], v72 offset:1376
	v_fma_f64 v[29:30], v[3:4], v[33:34], v[29:30]
	s_clause 0x2
	buffer_load_dword v44, off, s[0:3], 0 offset:716
	buffer_load_dword v34, off, s[0:3], 0 offset:692
	;; [unrolled: 1-line block ×3, first 2 shown]
	ds_read_b128 v[1:4], v72 offset:1392
	v_add_f64 v[13:14], v[13:14], v[39:40]
	v_add_f64 v[15:16], v[15:16], v[35:36]
	s_waitcnt vmcnt(58) lgkmcnt(1)
	v_mul_f64 v[39:40], v[7:8], v[51:52]
	s_waitcnt vmcnt(56)
	v_fma_f64 v[47:48], v[9:10], v[53:54], -v[46:47]
	v_mul_f64 v[35:36], v[5:6], v[51:52]
	v_add_f64 v[13:14], v[13:14], v[31:32]
	v_fma_f64 v[31:32], v[11:12], v[53:54], v[122:123]
	v_add_f64 v[15:16], v[15:16], v[29:30]
	s_clause 0x4
	buffer_load_dword v30, off, s[0:3], 0 offset:732
	buffer_load_dword v51, off, s[0:3], 0 offset:744
	;; [unrolled: 1-line block ×5, first 2 shown]
	s_waitcnt vmcnt(57) lgkmcnt(0)
	v_mul_f64 v[122:123], v[1:2], v[55:56]
	v_mul_f64 v[54:55], v[3:4], v[55:56]
	s_waitcnt vmcnt(56)
	v_fma_f64 v[39:40], v[5:6], v[41:42], -v[39:40]
	ds_read_b128 v[9:12], v72 offset:1408
	v_fma_f64 v[35:36], v[7:8], v[41:42], v[35:36]
	v_add_f64 v[13:14], v[13:14], v[47:48]
	v_add_f64 v[15:16], v[15:16], v[31:32]
	s_clause 0x2
	buffer_load_dword v52, off, s[0:3], 0 offset:748
	buffer_load_dword v32, off, s[0:3], 0 offset:724
	;; [unrolled: 1-line block ×3, first 2 shown]
	ds_read_b128 v[5:8], v72 offset:1424
	s_waitcnt vmcnt(58) lgkmcnt(1)
	v_mul_f64 v[47:48], v[11:12], v[57:58]
	s_waitcnt vmcnt(56)
	v_fma_f64 v[55:56], v[1:2], v[77:78], -v[54:55]
	v_mul_f64 v[41:42], v[9:10], v[57:58]
	v_add_f64 v[13:14], v[13:14], v[39:40]
	v_fma_f64 v[39:40], v[3:4], v[77:78], v[122:123]
	v_add_f64 v[15:16], v[15:16], v[35:36]
	s_clause 0x4
	buffer_load_dword v36, off, s[0:3], 0 offset:764
	buffer_load_dword v57, off, s[0:3], 0 offset:776
	buffer_load_dword v77, off, s[0:3], 0 offset:768
	buffer_load_dword v35, off, s[0:3], 0 offset:760
	buffer_load_dword v54, off, s[0:3], 0 offset:740
	s_waitcnt vmcnt(57) lgkmcnt(0)
	v_mul_f64 v[122:123], v[5:6], v[107:108]
	v_mul_f64 v[107:108], v[7:8], v[107:108]
	s_waitcnt vmcnt(56)
	v_fma_f64 v[47:48], v[9:10], v[49:50], -v[47:48]
	ds_read_b128 v[1:4], v72 offset:1440
	v_fma_f64 v[41:42], v[11:12], v[49:50], v[41:42]
	v_add_f64 v[13:14], v[13:14], v[55:56]
	v_add_f64 v[15:16], v[15:16], v[39:40]
	s_clause 0x2
	buffer_load_dword v58, off, s[0:3], 0 offset:780
	buffer_load_dword v40, off, s[0:3], 0 offset:756
	;; [unrolled: 1-line block ×3, first 2 shown]
	ds_read_b128 v[9:12], v72 offset:1456
	s_waitcnt vmcnt(58) lgkmcnt(1)
	v_mul_f64 v[55:56], v[3:4], v[109:110]
	s_waitcnt vmcnt(56)
	v_fma_f64 v[107:108], v[5:6], v[114:115], -v[107:108]
	v_mul_f64 v[49:50], v[1:2], v[109:110]
	v_add_f64 v[13:14], v[13:14], v[47:48]
	v_fma_f64 v[47:48], v[7:8], v[114:115], v[122:123]
	v_add_f64 v[15:16], v[15:16], v[41:42]
	s_clause 0x4
	buffer_load_dword v42, off, s[0:3], 0 offset:796
	buffer_load_dword v109, off, s[0:3], 0 offset:808
	;; [unrolled: 1-line block ×5, first 2 shown]
	ds_read_b128 v[5:8], v72 offset:1472
	s_waitcnt vmcnt(57) lgkmcnt(1)
	v_mul_f64 v[114:115], v[9:10], v[101:102]
	v_mul_f64 v[101:102], v[11:12], v[101:102]
	s_waitcnt vmcnt(56)
	v_fma_f64 v[55:56], v[1:2], v[111:112], -v[55:56]
	v_fma_f64 v[49:50], v[3:4], v[111:112], v[49:50]
	v_add_f64 v[13:14], v[13:14], v[107:108]
	v_add_f64 v[15:16], v[15:16], v[47:48]
	s_clause 0x2
	buffer_load_dword v110, off, s[0:3], 0 offset:812
	buffer_load_dword v48, off, s[0:3], 0 offset:788
	;; [unrolled: 1-line block ×3, first 2 shown]
	ds_read_b128 v[1:4], v72 offset:1488
	s_waitcnt vmcnt(58) lgkmcnt(1)
	v_mul_f64 v[111:112], v[7:8], v[118:119]
	v_mul_f64 v[107:108], v[5:6], v[118:119]
	s_waitcnt vmcnt(56)
	v_fma_f64 v[101:102], v[9:10], v[99:100], -v[101:102]
	v_add_f64 v[13:14], v[13:14], v[55:56]
	v_fma_f64 v[55:56], v[11:12], v[99:100], v[114:115]
	v_add_f64 v[15:16], v[15:16], v[49:50]
	s_clause 0x4
	buffer_load_dword v50, off, s[0:3], 0 offset:828
	buffer_load_dword v99, off, s[0:3], 0 offset:840
	buffer_load_dword v118, off, s[0:3], 0 offset:832
	buffer_load_dword v49, off, s[0:3], 0 offset:824
	buffer_load_dword v114, off, s[0:3], 0 offset:804
	ds_read_b128 v[9:12], v72 offset:1504
	s_waitcnt vmcnt(57) lgkmcnt(1)
	v_mul_f64 v[122:123], v[1:2], v[25:26]
	v_mul_f64 v[25:26], v[3:4], v[25:26]
	s_waitcnt vmcnt(56)
	v_fma_f64 v[111:112], v[5:6], v[120:121], -v[111:112]
	v_add_f64 v[13:14], v[13:14], v[101:102]
	v_fma_f64 v[101:102], v[7:8], v[120:121], v[107:108]
	v_add_f64 v[15:16], v[15:16], v[55:56]
	s_clause 0x2
	buffer_load_dword v100, off, s[0:3], 0 offset:844
	buffer_load_dword v56, off, s[0:3], 0 offset:820
	buffer_load_dword v55, off, s[0:3], 0 offset:816
	ds_read_b128 v[5:8], v72 offset:1520
	s_waitcnt vmcnt(58) lgkmcnt(1)
	v_mul_f64 v[107:108], v[9:10], v[103:104]
	v_mul_f64 v[103:104], v[11:12], v[103:104]
	s_waitcnt vmcnt(56)
	v_fma_f64 v[25:26], v[1:2], v[19:20], -v[25:26]
	v_fma_f64 v[19:20], v[3:4], v[19:20], v[122:123]
	v_add_f64 v[13:14], v[13:14], v[111:112]
	v_add_f64 v[15:16], v[15:16], v[101:102]
	s_clause 0x4
	buffer_load_dword v102, off, s[0:3], 0 offset:860
	buffer_load_dword v111, off, s[0:3], 0 offset:872
	buffer_load_dword v115, off, s[0:3], 0 offset:864
	buffer_load_dword v101, off, s[0:3], 0 offset:856
	buffer_load_dword v119, off, s[0:3], 0 offset:836
	ds_read_b128 v[1:4], v72 offset:1536
	s_waitcnt vmcnt(57) lgkmcnt(1)
	v_mul_f64 v[120:121], v[5:6], v[89:90]
	v_mul_f64 v[89:90], v[7:8], v[89:90]
	s_waitcnt vmcnt(56)
	v_fma_f64 v[103:104], v[9:10], v[116:117], -v[103:104]
	v_add_f64 v[13:14], v[13:14], v[25:26]
	v_fma_f64 v[25:26], v[11:12], v[116:117], v[107:108]
	v_add_f64 v[15:16], v[15:16], v[19:20]
	s_clause 0x2
	buffer_load_dword v112, off, s[0:3], 0 offset:876
	buffer_load_dword v20, off, s[0:3], 0 offset:852
	buffer_load_dword v19, off, s[0:3], 0 offset:848
	ds_read_b128 v[9:12], v72 offset:1552
	s_waitcnt vmcnt(58) lgkmcnt(1)
	v_mul_f64 v[107:108], v[1:2], v[91:92]
	v_mul_f64 v[91:92], v[3:4], v[91:92]
	s_waitcnt vmcnt(56)
	v_fma_f64 v[89:90], v[5:6], v[21:22], -v[89:90]
	v_fma_f64 v[21:22], v[7:8], v[21:22], v[120:121]
	v_add_f64 v[13:14], v[13:14], v[103:104]
	;; [unrolled: 28-line block ×3, first 2 shown]
	v_add_f64 v[15:16], v[15:16], v[89:90]
	s_clause 0x2
	buffer_load_dword v90, off, s[0:3], 0 offset:924
	buffer_load_dword v89, off, s[0:3], 0 offset:920
	;; [unrolled: 1-line block ×3, first 2 shown]
	ds_read_b128 v[9:12], v72 offset:1600
	s_waitcnt vmcnt(55) lgkmcnt(1)
	v_mul_f64 v[91:92], v[1:2], v[23:24]
	v_mul_f64 v[23:24], v[3:4], v[23:24]
	s_waitcnt vmcnt(54)
	v_fma_f64 v[37:38], v[5:6], v[79:80], -v[37:38]
	v_add_f64 v[13:14], v[13:14], v[17:18]
	v_fma_f64 v[17:18], v[7:8], v[79:80], v[105:106]
	v_add_f64 v[15:16], v[15:16], v[27:28]
	s_clause 0x1
	buffer_load_dword v28, off, s[0:3], 0 offset:916
	buffer_load_dword v27, off, s[0:3], 0 offset:912
	s_waitcnt vmcnt(55) lgkmcnt(0)
	v_mul_f64 v[79:80], v[9:10], v[43:44]
	v_mul_f64 v[43:44], v[11:12], v[43:44]
	ds_read_b128 v[5:8], v72 offset:1616
	s_waitcnt vmcnt(53)
	v_fma_f64 v[23:24], v[1:2], v[33:34], -v[23:24]
	v_fma_f64 v[33:34], v[3:4], v[33:34], v[91:92]
	ds_read_b128 v[1:4], v72 offset:1632
	v_add_f64 v[13:14], v[13:14], v[37:38]
	v_add_f64 v[15:16], v[15:16], v[17:18]
	s_waitcnt vmcnt(49) lgkmcnt(1)
	v_mul_f64 v[17:18], v[5:6], v[29:30]
	v_mul_f64 v[29:30], v[7:8], v[29:30]
	s_waitcnt vmcnt(48)
	v_fma_f64 v[37:38], v[9:10], v[45:46], -v[43:44]
	v_add_f64 v[13:14], v[13:14], v[23:24]
	v_fma_f64 v[23:24], v[11:12], v[45:46], v[79:80]
	v_add_f64 v[15:16], v[15:16], v[33:34]
	s_clause 0x3
	buffer_load_dword v33, off, s[0:3], 0 offset:272
	buffer_load_dword v34, off, s[0:3], 0 offset:276
	;; [unrolled: 1-line block ×4, first 2 shown]
	ds_read_b128 v[9:12], v72 offset:1648
	s_waitcnt vmcnt(51) lgkmcnt(1)
	v_mul_f64 v[45:46], v[1:2], v[51:52]
	v_mul_f64 v[51:52], v[3:4], v[51:52]
	s_waitcnt vmcnt(49)
	v_fma_f64 v[29:30], v[5:6], v[31:32], -v[29:30]
	v_fma_f64 v[17:18], v[7:8], v[31:32], v[17:18]
	ds_read_b128 v[5:8], v72 offset:1664
	v_add_f64 v[13:14], v[13:14], v[37:38]
	v_add_f64 v[15:16], v[15:16], v[23:24]
	s_waitcnt vmcnt(45) lgkmcnt(1)
	v_mul_f64 v[23:24], v[9:10], v[35:36]
	v_mul_f64 v[31:32], v[11:12], v[35:36]
	s_waitcnt vmcnt(44)
	v_fma_f64 v[35:36], v[1:2], v[53:54], -v[51:52]
	v_add_f64 v[13:14], v[13:14], v[29:30]
	v_fma_f64 v[29:30], v[3:4], v[53:54], v[45:46]
	v_add_f64 v[15:16], v[15:16], v[17:18]
	ds_read_b128 v[1:4], v72 offset:1680
	s_waitcnt vmcnt(43) lgkmcnt(1)
	v_mul_f64 v[37:38], v[7:8], v[57:58]
	v_mul_f64 v[17:18], v[5:6], v[57:58]
	s_waitcnt vmcnt(41)
	v_fma_f64 v[31:32], v[9:10], v[39:40], -v[31:32]
	v_fma_f64 v[23:24], v[11:12], v[39:40], v[23:24]
	ds_read_b128 v[9:12], v72 offset:1696
	v_add_f64 v[13:14], v[13:14], v[35:36]
	v_add_f64 v[15:16], v[15:16], v[29:30]
	s_waitcnt vmcnt(37) lgkmcnt(1)
	v_mul_f64 v[35:36], v[3:4], v[41:42]
	s_waitcnt vmcnt(36)
	v_fma_f64 v[37:38], v[5:6], v[77:78], -v[37:38]
	v_mul_f64 v[29:30], v[1:2], v[41:42]
	v_fma_f64 v[17:18], v[7:8], v[77:78], v[17:18]
	ds_read_b128 v[5:8], v72 offset:1712
	v_add_f64 v[13:14], v[13:14], v[31:32]
	v_add_f64 v[15:16], v[15:16], v[23:24]
	s_waitcnt vmcnt(35) lgkmcnt(1)
	v_mul_f64 v[31:32], v[11:12], v[109:110]
	v_mul_f64 v[23:24], v[9:10], v[109:110]
	s_waitcnt vmcnt(33)
	v_fma_f64 v[35:36], v[1:2], v[47:48], -v[35:36]
	v_fma_f64 v[29:30], v[3:4], v[47:48], v[29:30]
	ds_read_b128 v[1:4], v72 offset:1728
	v_add_f64 v[13:14], v[13:14], v[37:38]
	v_add_f64 v[15:16], v[15:16], v[17:18]
	s_waitcnt vmcnt(29) lgkmcnt(1)
	v_mul_f64 v[37:38], v[7:8], v[49:50]
	s_waitcnt vmcnt(28)
	v_fma_f64 v[31:32], v[9:10], v[113:114], -v[31:32]
	v_mul_f64 v[17:18], v[5:6], v[49:50]
	v_fma_f64 v[23:24], v[11:12], v[113:114], v[23:24]
	ds_read_b128 v[9:12], v72 offset:1744
	v_add_f64 v[13:14], v[13:14], v[35:36]
	v_add_f64 v[15:16], v[15:16], v[29:30]
	;; [unrolled: 18-line block ×3, first 2 shown]
	s_waitcnt vmcnt(19) lgkmcnt(1)
	v_mul_f64 v[37:38], v[7:8], v[111:112]
	v_mul_f64 v[17:18], v[5:6], v[111:112]
	s_waitcnt vmcnt(17)
	v_fma_f64 v[31:32], v[9:10], v[19:20], -v[31:32]
	v_fma_f64 v[19:20], v[11:12], v[19:20], v[23:24]
	ds_read_b128 v[9:12], v72 offset:1792
	v_add_f64 v[13:14], v[13:14], v[35:36]
	v_add_f64 v[15:16], v[15:16], v[29:30]
	s_waitcnt vmcnt(13) lgkmcnt(1)
	v_mul_f64 v[23:24], v[1:2], v[25:26]
	v_mul_f64 v[25:26], v[3:4], v[25:26]
	s_waitcnt vmcnt(12)
	v_fma_f64 v[29:30], v[5:6], v[115:116], -v[37:38]
	v_fma_f64 v[17:18], v[7:8], v[115:116], v[17:18]
	ds_read_b128 v[5:8], v72 offset:1808
	v_add_f64 v[13:14], v[13:14], v[31:32]
	v_add_f64 v[15:16], v[15:16], v[19:20]
	s_waitcnt vmcnt(11) lgkmcnt(1)
	v_mul_f64 v[31:32], v[11:12], v[103:104]
	v_mul_f64 v[19:20], v[9:10], v[103:104]
	s_waitcnt vmcnt(9)
	v_fma_f64 v[1:2], v[1:2], v[21:22], -v[25:26]
	v_fma_f64 v[3:4], v[3:4], v[21:22], v[23:24]
	v_add_f64 v[13:14], v[13:14], v[29:30]
	v_add_f64 v[15:16], v[15:16], v[17:18]
	s_waitcnt vmcnt(7) lgkmcnt(0)
	v_mul_f64 v[21:22], v[7:8], v[89:90]
	s_waitcnt vmcnt(6)
	v_fma_f64 v[9:10], v[9:10], v[120:121], -v[31:32]
	v_mul_f64 v[17:18], v[5:6], v[89:90]
	v_fma_f64 v[11:12], v[11:12], v[120:121], v[19:20]
	v_add_f64 v[1:2], v[13:14], v[1:2]
	v_add_f64 v[3:4], v[15:16], v[3:4]
	s_waitcnt vmcnt(4)
	v_fma_f64 v[5:6], v[5:6], v[27:28], -v[21:22]
	v_fma_f64 v[7:8], v[7:8], v[27:28], v[17:18]
	v_add_f64 v[1:2], v[1:2], v[9:10]
	v_add_f64 v[3:4], v[3:4], v[11:12]
	;; [unrolled: 1-line block ×4, first 2 shown]
	s_waitcnt vmcnt(2)
	v_add_f64 v[1:2], v[33:34], -v[1:2]
	s_waitcnt vmcnt(0)
	v_add_f64 v[3:4], v[43:44], -v[3:4]
	buffer_store_dword v2, off, s[0:3], 0 offset:276
	buffer_store_dword v1, off, s[0:3], 0 offset:272
	;; [unrolled: 1-line block ×4, first 2 shown]
	v_cmpx_lt_u32_e32 15, v0
	s_cbranch_execz .LBB56_325
; %bb.324:
	v_mov_b32_e32 v4, s54
	v_mov_b32_e32 v5, 0
	s_clause 0x3
	buffer_load_dword v1, v4, s[0:3], 0 offen
	buffer_load_dword v2, v4, s[0:3], 0 offen offset:4
	buffer_load_dword v3, v4, s[0:3], 0 offen offset:8
	;; [unrolled: 1-line block ×3, first 2 shown]
	buffer_store_dword v5, off, s[0:3], 0 offset:256
	buffer_store_dword v5, off, s[0:3], 0 offset:260
	;; [unrolled: 1-line block ×4, first 2 shown]
	s_waitcnt vmcnt(0)
	ds_write_b128 v59, v[1:4]
.LBB56_325:
	s_or_b32 exec_lo, exec_lo, s4
	s_waitcnt lgkmcnt(0)
	s_waitcnt_vscnt null, 0x0
	s_barrier
	buffer_gl0_inv
	s_clause 0x37
	buffer_load_dword v9, off, s[0:3], 0 offset:280
	buffer_load_dword v10, off, s[0:3], 0 offset:284
	;; [unrolled: 1-line block ×56, first 2 shown]
	v_mov_b32_e32 v72, 0
	s_mov_b32 s4, exec_lo
	ds_read_b128 v[89:92], v72 offset:1168
	s_clause 0x2
	buffer_load_dword v58, off, s[0:3], 0 offset:508
	buffer_load_dword v78, off, s[0:3], 0 offset:484
	;; [unrolled: 1-line block ×3, first 2 shown]
	ds_read_b128 v[99:102], v72 offset:1184
	s_clause 0x4
	buffer_load_dword v108, off, s[0:3], 0 offset:524
	buffer_load_dword v109, off, s[0:3], 0 offset:536
	;; [unrolled: 1-line block ×5, first 2 shown]
	ds_read_b128 v[103:106], v72 offset:1200
	s_clause 0x2
	buffer_load_dword v110, off, s[0:3], 0 offset:540
	buffer_load_dword v115, off, s[0:3], 0 offset:516
	;; [unrolled: 1-line block ×3, first 2 shown]
	s_waitcnt vmcnt(62) lgkmcnt(2)
	v_mul_f64 v[79:80], v[91:92], v[9:10]
	v_mul_f64 v[9:10], v[89:90], v[9:10]
	s_waitcnt lgkmcnt(1)
	v_mul_f64 v[112:113], v[101:102], v[5:6]
	s_waitcnt vmcnt(59) lgkmcnt(0)
	v_mul_f64 v[116:117], v[105:106], v[3:4]
	v_fma_f64 v[79:80], v[89:90], v[7:8], -v[79:80]
	v_mul_f64 v[89:90], v[99:100], v[5:6]
	v_fma_f64 v[9:10], v[91:92], v[7:8], v[9:10]
	s_waitcnt vmcnt(57)
	v_fma_f64 v[99:100], v[99:100], v[1:2], -v[112:113]
	ds_read_b128 v[5:8], v72 offset:1216
	v_mul_f64 v[91:92], v[103:104], v[3:4]
	s_waitcnt vmcnt(51)
	v_fma_f64 v[103:104], v[103:104], v[25:26], -v[116:117]
	v_add_f64 v[79:80], v[79:80], 0
	v_fma_f64 v[89:90], v[101:102], v[1:2], v[89:90]
	v_add_f64 v[9:10], v[9:10], 0
	s_clause 0x4
	buffer_load_dword v102, off, s[0:3], 0 offset:556
	buffer_load_dword v118, off, s[0:3], 0 offset:568
	;; [unrolled: 1-line block ×5, first 2 shown]
	s_waitcnt lgkmcnt(0)
	v_mul_f64 v[121:122], v[5:6], v[13:14]
	v_mul_f64 v[13:14], v[7:8], v[13:14]
	ds_read_b128 v[1:4], v72 offset:1232
	v_fma_f64 v[25:26], v[105:106], v[25:26], v[91:92]
	v_add_f64 v[79:80], v[79:80], v[99:100]
	s_clause 0x2
	buffer_load_dword v119, off, s[0:3], 0 offset:572
	buffer_load_dword v100, off, s[0:3], 0 offset:548
	;; [unrolled: 1-line block ×3, first 2 shown]
	v_add_f64 v[9:10], v[9:10], v[89:90]
	ds_read_b128 v[89:92], v72 offset:1248
	s_waitcnt vmcnt(58) lgkmcnt(1)
	v_mul_f64 v[105:106], v[1:2], v[17:18]
	v_mul_f64 v[17:18], v[3:4], v[17:18]
	s_waitcnt vmcnt(56)
	v_fma_f64 v[13:14], v[5:6], v[19:20], -v[13:14]
	v_fma_f64 v[19:20], v[7:8], v[19:20], v[121:122]
	v_add_f64 v[79:80], v[79:80], v[103:104]
	s_waitcnt vmcnt(52) lgkmcnt(0)
	v_mul_f64 v[122:123], v[89:90], v[21:22]
	v_add_f64 v[9:10], v[9:10], v[25:26]
	s_clause 0x4
	buffer_load_dword v26, off, s[0:3], 0 offset:588
	buffer_load_dword v103, off, s[0:3], 0 offset:600
	;; [unrolled: 1-line block ×5, first 2 shown]
	v_mul_f64 v[21:22], v[91:92], v[21:22]
	s_waitcnt vmcnt(56)
	v_fma_f64 v[17:18], v[1:2], v[11:12], -v[17:18]
	ds_read_b128 v[5:8], v72 offset:1264
	v_fma_f64 v[11:12], v[3:4], v[11:12], v[105:106]
	v_add_f64 v[13:14], v[79:80], v[13:14]
	v_add_f64 v[9:10], v[9:10], v[19:20]
	s_clause 0x2
	buffer_load_dword v104, off, s[0:3], 0 offset:604
	buffer_load_dword v20, off, s[0:3], 0 offset:580
	;; [unrolled: 1-line block ×3, first 2 shown]
	s_waitcnt vmcnt(58) lgkmcnt(0)
	v_mul_f64 v[79:80], v[5:6], v[27:28]
	v_mul_f64 v[27:28], v[7:8], v[27:28]
	s_waitcnt vmcnt(56)
	v_fma_f64 v[21:22], v[89:90], v[29:30], -v[21:22]
	ds_read_b128 v[1:4], v72 offset:1280
	v_add_f64 v[13:14], v[13:14], v[17:18]
	v_fma_f64 v[17:18], v[91:92], v[29:30], v[122:123]
	v_add_f64 v[29:30], v[9:10], v[11:12]
	s_clause 0x4
	buffer_load_dword v90, off, s[0:3], 0 offset:620
	buffer_load_dword v91, off, s[0:3], 0 offset:632
	;; [unrolled: 1-line block ×5, first 2 shown]
	ds_read_b128 v[9:12], v72 offset:1296
	s_waitcnt vmcnt(57) lgkmcnt(1)
	v_mul_f64 v[122:123], v[1:2], v[31:32]
	v_mul_f64 v[31:32], v[3:4], v[31:32]
	s_waitcnt vmcnt(56)
	v_fma_f64 v[27:28], v[5:6], v[15:16], -v[27:28]
	v_fma_f64 v[15:16], v[7:8], v[15:16], v[79:80]
	v_add_f64 v[13:14], v[13:14], v[21:22]
	s_clause 0x2
	buffer_load_dword v92, off, s[0:3], 0 offset:636
	buffer_load_dword v22, off, s[0:3], 0 offset:612
	;; [unrolled: 1-line block ×3, first 2 shown]
	v_add_f64 v[17:18], v[29:30], v[17:18]
	s_waitcnt vmcnt(58) lgkmcnt(0)
	v_mul_f64 v[29:30], v[9:10], v[35:36]
	v_mul_f64 v[35:36], v[11:12], v[35:36]
	ds_read_b128 v[5:8], v72 offset:1312
	s_waitcnt vmcnt(56)
	v_fma_f64 v[31:32], v[1:2], v[37:38], -v[31:32]
	v_add_f64 v[13:14], v[13:14], v[27:28]
	v_fma_f64 v[27:28], v[3:4], v[37:38], v[122:123]
	v_add_f64 v[15:16], v[17:18], v[15:16]
	s_clause 0x4
	buffer_load_dword v18, off, s[0:3], 0 offset:652
	buffer_load_dword v37, off, s[0:3], 0 offset:664
	;; [unrolled: 1-line block ×5, first 2 shown]
	s_waitcnt vmcnt(57) lgkmcnt(0)
	v_mul_f64 v[122:123], v[5:6], v[39:40]
	v_mul_f64 v[39:40], v[7:8], v[39:40]
	s_waitcnt vmcnt(56)
	v_fma_f64 v[35:36], v[9:10], v[23:24], -v[35:36]
	ds_read_b128 v[1:4], v72 offset:1328
	v_fma_f64 v[23:24], v[11:12], v[23:24], v[29:30]
	v_add_f64 v[13:14], v[13:14], v[31:32]
	v_add_f64 v[15:16], v[15:16], v[27:28]
	s_clause 0x2
	buffer_load_dword v38, off, s[0:3], 0 offset:668
	buffer_load_dword v28, off, s[0:3], 0 offset:644
	;; [unrolled: 1-line block ×3, first 2 shown]
	ds_read_b128 v[9:12], v72 offset:1344
	s_waitcnt vmcnt(58) lgkmcnt(1)
	v_mul_f64 v[31:32], v[3:4], v[43:44]
	s_waitcnt vmcnt(56)
	v_fma_f64 v[39:40], v[5:6], v[45:46], -v[39:40]
	v_mul_f64 v[29:30], v[1:2], v[43:44]
	v_add_f64 v[13:14], v[13:14], v[35:36]
	v_fma_f64 v[35:36], v[7:8], v[45:46], v[122:123]
	v_add_f64 v[15:16], v[15:16], v[23:24]
	s_clause 0x4
	buffer_load_dword v24, off, s[0:3], 0 offset:684
	buffer_load_dword v43, off, s[0:3], 0 offset:696
	;; [unrolled: 1-line block ×5, first 2 shown]
	s_waitcnt vmcnt(57) lgkmcnt(0)
	v_mul_f64 v[122:123], v[9:10], v[47:48]
	v_mul_f64 v[46:47], v[11:12], v[47:48]
	s_waitcnt vmcnt(56)
	v_fma_f64 v[31:32], v[1:2], v[33:34], -v[31:32]
	ds_read_b128 v[5:8], v72 offset:1360
	v_fma_f64 v[29:30], v[3:4], v[33:34], v[29:30]
	s_clause 0x2
	buffer_load_dword v44, off, s[0:3], 0 offset:700
	buffer_load_dword v34, off, s[0:3], 0 offset:676
	;; [unrolled: 1-line block ×3, first 2 shown]
	ds_read_b128 v[1:4], v72 offset:1376
	v_add_f64 v[13:14], v[13:14], v[39:40]
	v_add_f64 v[15:16], v[15:16], v[35:36]
	s_waitcnt vmcnt(58) lgkmcnt(1)
	v_mul_f64 v[39:40], v[7:8], v[51:52]
	s_waitcnt vmcnt(56)
	v_fma_f64 v[47:48], v[9:10], v[53:54], -v[46:47]
	v_mul_f64 v[35:36], v[5:6], v[51:52]
	v_add_f64 v[13:14], v[13:14], v[31:32]
	v_fma_f64 v[31:32], v[11:12], v[53:54], v[122:123]
	v_add_f64 v[15:16], v[15:16], v[29:30]
	s_clause 0x4
	buffer_load_dword v30, off, s[0:3], 0 offset:716
	buffer_load_dword v51, off, s[0:3], 0 offset:728
	;; [unrolled: 1-line block ×5, first 2 shown]
	s_waitcnt vmcnt(57) lgkmcnt(0)
	v_mul_f64 v[122:123], v[1:2], v[55:56]
	v_mul_f64 v[54:55], v[3:4], v[55:56]
	s_waitcnt vmcnt(56)
	v_fma_f64 v[39:40], v[5:6], v[41:42], -v[39:40]
	ds_read_b128 v[9:12], v72 offset:1392
	v_fma_f64 v[35:36], v[7:8], v[41:42], v[35:36]
	v_add_f64 v[13:14], v[13:14], v[47:48]
	v_add_f64 v[15:16], v[15:16], v[31:32]
	s_clause 0x2
	buffer_load_dword v52, off, s[0:3], 0 offset:732
	buffer_load_dword v32, off, s[0:3], 0 offset:708
	;; [unrolled: 1-line block ×3, first 2 shown]
	ds_read_b128 v[5:8], v72 offset:1408
	s_waitcnt vmcnt(58) lgkmcnt(1)
	v_mul_f64 v[47:48], v[11:12], v[57:58]
	s_waitcnt vmcnt(56)
	v_fma_f64 v[55:56], v[1:2], v[77:78], -v[54:55]
	v_mul_f64 v[41:42], v[9:10], v[57:58]
	v_add_f64 v[13:14], v[13:14], v[39:40]
	v_fma_f64 v[39:40], v[3:4], v[77:78], v[122:123]
	v_add_f64 v[15:16], v[15:16], v[35:36]
	s_clause 0x4
	buffer_load_dword v36, off, s[0:3], 0 offset:748
	buffer_load_dword v57, off, s[0:3], 0 offset:760
	;; [unrolled: 1-line block ×5, first 2 shown]
	s_waitcnt vmcnt(57) lgkmcnt(0)
	v_mul_f64 v[122:123], v[5:6], v[107:108]
	v_mul_f64 v[107:108], v[7:8], v[107:108]
	s_waitcnt vmcnt(56)
	v_fma_f64 v[47:48], v[9:10], v[49:50], -v[47:48]
	ds_read_b128 v[1:4], v72 offset:1424
	v_fma_f64 v[41:42], v[11:12], v[49:50], v[41:42]
	v_add_f64 v[13:14], v[13:14], v[55:56]
	v_add_f64 v[15:16], v[15:16], v[39:40]
	s_clause 0x2
	buffer_load_dword v58, off, s[0:3], 0 offset:764
	buffer_load_dword v40, off, s[0:3], 0 offset:740
	;; [unrolled: 1-line block ×3, first 2 shown]
	ds_read_b128 v[9:12], v72 offset:1440
	s_waitcnt vmcnt(58) lgkmcnt(1)
	v_mul_f64 v[55:56], v[3:4], v[109:110]
	s_waitcnt vmcnt(56)
	v_fma_f64 v[107:108], v[5:6], v[114:115], -v[107:108]
	v_mul_f64 v[49:50], v[1:2], v[109:110]
	v_add_f64 v[13:14], v[13:14], v[47:48]
	v_fma_f64 v[47:48], v[7:8], v[114:115], v[122:123]
	v_add_f64 v[15:16], v[15:16], v[41:42]
	s_clause 0x4
	buffer_load_dword v42, off, s[0:3], 0 offset:780
	buffer_load_dword v109, off, s[0:3], 0 offset:792
	;; [unrolled: 1-line block ×5, first 2 shown]
	ds_read_b128 v[5:8], v72 offset:1456
	s_waitcnt vmcnt(57) lgkmcnt(1)
	v_mul_f64 v[114:115], v[9:10], v[101:102]
	v_mul_f64 v[101:102], v[11:12], v[101:102]
	s_waitcnt vmcnt(56)
	v_fma_f64 v[55:56], v[1:2], v[111:112], -v[55:56]
	v_fma_f64 v[49:50], v[3:4], v[111:112], v[49:50]
	v_add_f64 v[13:14], v[13:14], v[107:108]
	v_add_f64 v[15:16], v[15:16], v[47:48]
	s_clause 0x2
	buffer_load_dword v110, off, s[0:3], 0 offset:796
	buffer_load_dword v48, off, s[0:3], 0 offset:772
	;; [unrolled: 1-line block ×3, first 2 shown]
	ds_read_b128 v[1:4], v72 offset:1472
	s_waitcnt vmcnt(58) lgkmcnt(1)
	v_mul_f64 v[111:112], v[7:8], v[118:119]
	v_mul_f64 v[107:108], v[5:6], v[118:119]
	s_waitcnt vmcnt(56)
	v_fma_f64 v[101:102], v[9:10], v[99:100], -v[101:102]
	v_add_f64 v[13:14], v[13:14], v[55:56]
	v_fma_f64 v[55:56], v[11:12], v[99:100], v[114:115]
	v_add_f64 v[15:16], v[15:16], v[49:50]
	s_clause 0x4
	buffer_load_dword v50, off, s[0:3], 0 offset:812
	buffer_load_dword v99, off, s[0:3], 0 offset:824
	buffer_load_dword v118, off, s[0:3], 0 offset:816
	buffer_load_dword v49, off, s[0:3], 0 offset:808
	buffer_load_dword v114, off, s[0:3], 0 offset:788
	ds_read_b128 v[9:12], v72 offset:1488
	s_waitcnt vmcnt(57) lgkmcnt(1)
	v_mul_f64 v[122:123], v[1:2], v[25:26]
	v_mul_f64 v[25:26], v[3:4], v[25:26]
	s_waitcnt vmcnt(56)
	v_fma_f64 v[111:112], v[5:6], v[120:121], -v[111:112]
	v_add_f64 v[13:14], v[13:14], v[101:102]
	v_fma_f64 v[101:102], v[7:8], v[120:121], v[107:108]
	v_add_f64 v[15:16], v[15:16], v[55:56]
	s_clause 0x2
	buffer_load_dword v100, off, s[0:3], 0 offset:828
	buffer_load_dword v56, off, s[0:3], 0 offset:804
	buffer_load_dword v55, off, s[0:3], 0 offset:800
	ds_read_b128 v[5:8], v72 offset:1504
	s_waitcnt vmcnt(58) lgkmcnt(1)
	v_mul_f64 v[107:108], v[9:10], v[103:104]
	v_mul_f64 v[103:104], v[11:12], v[103:104]
	s_waitcnt vmcnt(56)
	v_fma_f64 v[25:26], v[1:2], v[19:20], -v[25:26]
	v_fma_f64 v[19:20], v[3:4], v[19:20], v[122:123]
	v_add_f64 v[13:14], v[13:14], v[111:112]
	v_add_f64 v[15:16], v[15:16], v[101:102]
	s_clause 0x4
	buffer_load_dword v102, off, s[0:3], 0 offset:844
	buffer_load_dword v111, off, s[0:3], 0 offset:856
	buffer_load_dword v115, off, s[0:3], 0 offset:848
	buffer_load_dword v101, off, s[0:3], 0 offset:840
	buffer_load_dword v119, off, s[0:3], 0 offset:820
	ds_read_b128 v[1:4], v72 offset:1520
	s_waitcnt vmcnt(57) lgkmcnt(1)
	v_mul_f64 v[120:121], v[5:6], v[89:90]
	v_mul_f64 v[89:90], v[7:8], v[89:90]
	s_waitcnt vmcnt(56)
	v_fma_f64 v[103:104], v[9:10], v[116:117], -v[103:104]
	v_add_f64 v[13:14], v[13:14], v[25:26]
	v_fma_f64 v[25:26], v[11:12], v[116:117], v[107:108]
	v_add_f64 v[15:16], v[15:16], v[19:20]
	s_clause 0x2
	buffer_load_dword v112, off, s[0:3], 0 offset:860
	buffer_load_dword v20, off, s[0:3], 0 offset:836
	buffer_load_dword v19, off, s[0:3], 0 offset:832
	ds_read_b128 v[9:12], v72 offset:1536
	s_waitcnt vmcnt(58) lgkmcnt(1)
	v_mul_f64 v[107:108], v[1:2], v[91:92]
	v_mul_f64 v[91:92], v[3:4], v[91:92]
	s_waitcnt vmcnt(56)
	v_fma_f64 v[89:90], v[5:6], v[21:22], -v[89:90]
	v_fma_f64 v[21:22], v[7:8], v[21:22], v[120:121]
	v_add_f64 v[13:14], v[13:14], v[103:104]
	;; [unrolled: 28-line block ×3, first 2 shown]
	v_add_f64 v[15:16], v[15:16], v[89:90]
	s_clause 0x4
	buffer_load_dword v90, off, s[0:3], 0 offset:908
	buffer_load_dword v91, off, s[0:3], 0 offset:920
	;; [unrolled: 1-line block ×5, first 2 shown]
	ds_read_b128 v[9:12], v72 offset:1584
	s_waitcnt vmcnt(57) lgkmcnt(1)
	v_mul_f64 v[122:123], v[1:2], v[23:24]
	v_mul_f64 v[23:24], v[3:4], v[23:24]
	s_waitcnt vmcnt(56)
	v_fma_f64 v[37:38], v[5:6], v[79:80], -v[37:38]
	v_add_f64 v[13:14], v[13:14], v[17:18]
	v_fma_f64 v[17:18], v[7:8], v[79:80], v[105:106]
	v_add_f64 v[15:16], v[15:16], v[27:28]
	s_clause 0x2
	buffer_load_dword v92, off, s[0:3], 0 offset:924
	buffer_load_dword v28, off, s[0:3], 0 offset:900
	;; [unrolled: 1-line block ×3, first 2 shown]
	s_waitcnt vmcnt(58) lgkmcnt(0)
	v_mul_f64 v[79:80], v[9:10], v[43:44]
	v_mul_f64 v[43:44], v[11:12], v[43:44]
	ds_read_b128 v[5:8], v72 offset:1600
	buffer_load_dword v108, off, s[0:3], 0 offset:916
	s_waitcnt vmcnt(57)
	v_fma_f64 v[23:24], v[1:2], v[33:34], -v[23:24]
	v_fma_f64 v[33:34], v[3:4], v[33:34], v[122:123]
	ds_read_b128 v[1:4], v72 offset:1616
	v_add_f64 v[13:14], v[13:14], v[37:38]
	v_add_f64 v[15:16], v[15:16], v[17:18]
	s_waitcnt vmcnt(53) lgkmcnt(1)
	v_mul_f64 v[17:18], v[5:6], v[29:30]
	v_mul_f64 v[29:30], v[7:8], v[29:30]
	s_waitcnt vmcnt(52)
	v_fma_f64 v[37:38], v[9:10], v[45:46], -v[43:44]
	v_add_f64 v[13:14], v[13:14], v[23:24]
	v_fma_f64 v[23:24], v[11:12], v[45:46], v[79:80]
	v_add_f64 v[15:16], v[15:16], v[33:34]
	ds_read_b128 v[9:12], v72 offset:1632
	s_waitcnt vmcnt(51) lgkmcnt(1)
	v_mul_f64 v[43:44], v[3:4], v[51:52]
	v_mul_f64 v[33:34], v[1:2], v[51:52]
	s_waitcnt vmcnt(49)
	v_fma_f64 v[29:30], v[5:6], v[31:32], -v[29:30]
	v_fma_f64 v[17:18], v[7:8], v[31:32], v[17:18]
	v_add_f64 v[13:14], v[13:14], v[37:38]
	v_add_f64 v[15:16], v[15:16], v[23:24]
	s_clause 0x3
	buffer_load_dword v23, off, s[0:3], 0 offset:256
	buffer_load_dword v24, off, s[0:3], 0 offset:260
	;; [unrolled: 1-line block ×4, first 2 shown]
	ds_read_b128 v[5:8], v72 offset:1648
	s_waitcnt vmcnt(49) lgkmcnt(1)
	v_mul_f64 v[37:38], v[9:10], v[35:36]
	v_mul_f64 v[35:36], v[11:12], v[35:36]
	s_waitcnt vmcnt(48)
	v_fma_f64 v[43:44], v[1:2], v[53:54], -v[43:44]
	v_add_f64 v[13:14], v[13:14], v[29:30]
	v_fma_f64 v[29:30], v[3:4], v[53:54], v[33:34]
	v_add_f64 v[15:16], v[15:16], v[17:18]
	ds_read_b128 v[1:4], v72 offset:1664
	s_waitcnt vmcnt(47) lgkmcnt(1)
	v_mul_f64 v[33:34], v[7:8], v[57:58]
	v_mul_f64 v[17:18], v[5:6], v[57:58]
	s_waitcnt vmcnt(45)
	v_fma_f64 v[35:36], v[9:10], v[39:40], -v[35:36]
	v_fma_f64 v[37:38], v[11:12], v[39:40], v[37:38]
	ds_read_b128 v[9:12], v72 offset:1680
	v_add_f64 v[13:14], v[13:14], v[43:44]
	v_add_f64 v[15:16], v[15:16], v[29:30]
	s_waitcnt vmcnt(41) lgkmcnt(1)
	v_mul_f64 v[39:40], v[3:4], v[41:42]
	s_waitcnt vmcnt(40)
	v_fma_f64 v[33:34], v[5:6], v[77:78], -v[33:34]
	v_mul_f64 v[29:30], v[1:2], v[41:42]
	v_fma_f64 v[17:18], v[7:8], v[77:78], v[17:18]
	ds_read_b128 v[5:8], v72 offset:1696
	v_add_f64 v[13:14], v[13:14], v[35:36]
	v_add_f64 v[15:16], v[15:16], v[37:38]
	s_waitcnt vmcnt(39) lgkmcnt(1)
	v_mul_f64 v[37:38], v[11:12], v[109:110]
	v_mul_f64 v[35:36], v[9:10], v[109:110]
	s_waitcnt vmcnt(37)
	v_fma_f64 v[39:40], v[1:2], v[47:48], -v[39:40]
	v_fma_f64 v[29:30], v[3:4], v[47:48], v[29:30]
	ds_read_b128 v[1:4], v72 offset:1712
	v_add_f64 v[13:14], v[13:14], v[33:34]
	v_add_f64 v[15:16], v[15:16], v[17:18]
	s_waitcnt vmcnt(33) lgkmcnt(1)
	v_mul_f64 v[33:34], v[7:8], v[49:50]
	s_waitcnt vmcnt(32)
	v_fma_f64 v[37:38], v[9:10], v[113:114], -v[37:38]
	v_mul_f64 v[17:18], v[5:6], v[49:50]
	v_fma_f64 v[35:36], v[11:12], v[113:114], v[35:36]
	ds_read_b128 v[9:12], v72 offset:1728
	v_add_f64 v[13:14], v[13:14], v[39:40]
	v_add_f64 v[15:16], v[15:16], v[29:30]
	s_waitcnt vmcnt(31) lgkmcnt(1)
	v_mul_f64 v[39:40], v[3:4], v[99:100]
	v_mul_f64 v[29:30], v[1:2], v[99:100]
	s_waitcnt vmcnt(29)
	v_fma_f64 v[33:34], v[5:6], v[55:56], -v[33:34]
	v_fma_f64 v[17:18], v[7:8], v[55:56], v[17:18]
	ds_read_b128 v[5:8], v72 offset:1744
	v_add_f64 v[13:14], v[13:14], v[37:38]
	v_add_f64 v[15:16], v[15:16], v[35:36]
	s_waitcnt vmcnt(25) lgkmcnt(1)
	v_mul_f64 v[37:38], v[11:12], v[101:102]
	s_waitcnt vmcnt(24)
	v_fma_f64 v[39:40], v[1:2], v[118:119], -v[39:40]
	v_mul_f64 v[35:36], v[9:10], v[101:102]
	v_fma_f64 v[29:30], v[3:4], v[118:119], v[29:30]
	ds_read_b128 v[1:4], v72 offset:1760
	v_add_f64 v[13:14], v[13:14], v[33:34]
	v_add_f64 v[15:16], v[15:16], v[17:18]
	s_waitcnt vmcnt(23) lgkmcnt(1)
	v_mul_f64 v[33:34], v[7:8], v[111:112]
	v_mul_f64 v[17:18], v[5:6], v[111:112]
	s_waitcnt vmcnt(21)
	v_fma_f64 v[37:38], v[9:10], v[19:20], -v[37:38]
	v_fma_f64 v[19:20], v[11:12], v[19:20], v[35:36]
	ds_read_b128 v[9:12], v72 offset:1776
	v_add_f64 v[13:14], v[13:14], v[39:40]
	v_add_f64 v[15:16], v[15:16], v[29:30]
	s_waitcnt vmcnt(17) lgkmcnt(1)
	v_mul_f64 v[29:30], v[1:2], v[25:26]
	v_mul_f64 v[25:26], v[3:4], v[25:26]
	s_waitcnt vmcnt(16)
	v_fma_f64 v[33:34], v[5:6], v[115:116], -v[33:34]
	v_fma_f64 v[17:18], v[7:8], v[115:116], v[17:18]
	ds_read_b128 v[5:8], v72 offset:1792
	v_add_f64 v[13:14], v[13:14], v[37:38]
	v_add_f64 v[15:16], v[15:16], v[19:20]
	;; [unrolled: 9-line block ×3, first 2 shown]
	s_waitcnt vmcnt(9) lgkmcnt(1)
	v_mul_f64 v[29:30], v[7:8], v[89:90]
	s_waitcnt vmcnt(8)
	v_fma_f64 v[9:10], v[9:10], v[120:121], -v[35:36]
	v_mul_f64 v[17:18], v[5:6], v[89:90]
	v_fma_f64 v[11:12], v[11:12], v[120:121], v[19:20]
	v_add_f64 v[13:14], v[13:14], v[25:26]
	v_add_f64 v[15:16], v[15:16], v[21:22]
	s_waitcnt vmcnt(7) lgkmcnt(0)
	v_mul_f64 v[21:22], v[3:4], v[91:92]
	v_mul_f64 v[19:20], v[1:2], v[91:92]
	s_waitcnt vmcnt(5)
	v_fma_f64 v[5:6], v[5:6], v[27:28], -v[29:30]
	v_fma_f64 v[7:8], v[7:8], v[27:28], v[17:18]
	v_add_f64 v[9:10], v[13:14], v[9:10]
	v_add_f64 v[11:12], v[15:16], v[11:12]
	s_waitcnt vmcnt(4)
	v_fma_f64 v[1:2], v[1:2], v[107:108], -v[21:22]
	v_fma_f64 v[3:4], v[3:4], v[107:108], v[19:20]
	v_add_f64 v[5:6], v[9:10], v[5:6]
	v_add_f64 v[7:8], v[11:12], v[7:8]
	;; [unrolled: 1-line block ×4, first 2 shown]
	s_waitcnt vmcnt(2)
	v_add_f64 v[1:2], v[23:24], -v[1:2]
	s_waitcnt vmcnt(0)
	v_add_f64 v[3:4], v[31:32], -v[3:4]
	buffer_store_dword v2, off, s[0:3], 0 offset:260
	buffer_store_dword v1, off, s[0:3], 0 offset:256
	buffer_store_dword v4, off, s[0:3], 0 offset:268
	buffer_store_dword v3, off, s[0:3], 0 offset:264
	v_cmpx_lt_u32_e32 14, v0
	s_cbranch_execz .LBB56_327
; %bb.326:
	v_mov_b32_e32 v4, s55
	s_clause 0x3
	buffer_load_dword v1, v4, s[0:3], 0 offen
	buffer_load_dword v2, v4, s[0:3], 0 offen offset:4
	buffer_load_dword v3, v4, s[0:3], 0 offen offset:8
	buffer_load_dword v4, v4, s[0:3], 0 offen offset:12
	buffer_store_dword v72, off, s[0:3], 0 offset:240
	buffer_store_dword v72, off, s[0:3], 0 offset:244
	buffer_store_dword v72, off, s[0:3], 0 offset:248
	buffer_store_dword v72, off, s[0:3], 0 offset:252
	s_waitcnt vmcnt(0)
	ds_write_b128 v59, v[1:4]
.LBB56_327:
	s_or_b32 exec_lo, exec_lo, s4
	s_waitcnt lgkmcnt(0)
	s_waitcnt_vscnt null, 0x0
	s_barrier
	buffer_gl0_inv
	s_clause 0x37
	buffer_load_dword v9, off, s[0:3], 0 offset:264
	buffer_load_dword v10, off, s[0:3], 0 offset:268
	;; [unrolled: 1-line block ×56, first 2 shown]
	ds_read_b128 v[89:92], v72 offset:1152
	s_clause 0x2
	buffer_load_dword v58, off, s[0:3], 0 offset:492
	buffer_load_dword v78, off, s[0:3], 0 offset:468
	buffer_load_dword v77, off, s[0:3], 0 offset:464
	ds_read_b128 v[99:102], v72 offset:1168
	s_clause 0x4
	buffer_load_dword v108, off, s[0:3], 0 offset:508
	buffer_load_dword v109, off, s[0:3], 0 offset:520
	;; [unrolled: 1-line block ×5, first 2 shown]
	ds_read_b128 v[103:106], v72 offset:1184
	s_clause 0x2
	buffer_load_dword v110, off, s[0:3], 0 offset:524
	buffer_load_dword v115, off, s[0:3], 0 offset:500
	;; [unrolled: 1-line block ×3, first 2 shown]
	s_mov_b32 s4, exec_lo
	s_waitcnt vmcnt(62) lgkmcnt(2)
	v_mul_f64 v[79:80], v[91:92], v[9:10]
	v_mul_f64 v[9:10], v[89:90], v[9:10]
	s_waitcnt lgkmcnt(1)
	v_mul_f64 v[112:113], v[101:102], v[5:6]
	s_waitcnt vmcnt(59) lgkmcnt(0)
	v_mul_f64 v[116:117], v[105:106], v[3:4]
	v_fma_f64 v[79:80], v[89:90], v[7:8], -v[79:80]
	v_mul_f64 v[89:90], v[99:100], v[5:6]
	v_fma_f64 v[9:10], v[91:92], v[7:8], v[9:10]
	s_waitcnt vmcnt(57)
	v_fma_f64 v[99:100], v[99:100], v[1:2], -v[112:113]
	ds_read_b128 v[5:8], v72 offset:1200
	v_mul_f64 v[91:92], v[103:104], v[3:4]
	s_waitcnt vmcnt(51)
	v_fma_f64 v[103:104], v[103:104], v[25:26], -v[116:117]
	v_add_f64 v[79:80], v[79:80], 0
	v_fma_f64 v[89:90], v[101:102], v[1:2], v[89:90]
	v_add_f64 v[9:10], v[9:10], 0
	s_clause 0x4
	buffer_load_dword v102, off, s[0:3], 0 offset:540
	buffer_load_dword v118, off, s[0:3], 0 offset:552
	;; [unrolled: 1-line block ×5, first 2 shown]
	s_waitcnt lgkmcnt(0)
	v_mul_f64 v[121:122], v[5:6], v[13:14]
	v_mul_f64 v[13:14], v[7:8], v[13:14]
	ds_read_b128 v[1:4], v72 offset:1216
	v_fma_f64 v[25:26], v[105:106], v[25:26], v[91:92]
	v_add_f64 v[79:80], v[79:80], v[99:100]
	s_clause 0x2
	buffer_load_dword v119, off, s[0:3], 0 offset:556
	buffer_load_dword v100, off, s[0:3], 0 offset:532
	buffer_load_dword v99, off, s[0:3], 0 offset:528
	v_add_f64 v[9:10], v[9:10], v[89:90]
	ds_read_b128 v[89:92], v72 offset:1232
	s_waitcnt vmcnt(58) lgkmcnt(1)
	v_mul_f64 v[105:106], v[1:2], v[17:18]
	v_mul_f64 v[17:18], v[3:4], v[17:18]
	s_waitcnt vmcnt(56)
	v_fma_f64 v[13:14], v[5:6], v[19:20], -v[13:14]
	v_fma_f64 v[19:20], v[7:8], v[19:20], v[121:122]
	v_add_f64 v[79:80], v[79:80], v[103:104]
	s_waitcnt vmcnt(52) lgkmcnt(0)
	v_mul_f64 v[122:123], v[89:90], v[21:22]
	v_add_f64 v[9:10], v[9:10], v[25:26]
	s_clause 0x4
	buffer_load_dword v26, off, s[0:3], 0 offset:572
	buffer_load_dword v103, off, s[0:3], 0 offset:584
	;; [unrolled: 1-line block ×5, first 2 shown]
	v_mul_f64 v[21:22], v[91:92], v[21:22]
	s_waitcnt vmcnt(56)
	v_fma_f64 v[17:18], v[1:2], v[11:12], -v[17:18]
	ds_read_b128 v[5:8], v72 offset:1248
	v_fma_f64 v[11:12], v[3:4], v[11:12], v[105:106]
	v_add_f64 v[13:14], v[79:80], v[13:14]
	v_add_f64 v[9:10], v[9:10], v[19:20]
	s_clause 0x2
	buffer_load_dword v104, off, s[0:3], 0 offset:588
	buffer_load_dword v20, off, s[0:3], 0 offset:564
	;; [unrolled: 1-line block ×3, first 2 shown]
	s_waitcnt vmcnt(58) lgkmcnt(0)
	v_mul_f64 v[79:80], v[5:6], v[27:28]
	v_mul_f64 v[27:28], v[7:8], v[27:28]
	s_waitcnt vmcnt(56)
	v_fma_f64 v[21:22], v[89:90], v[29:30], -v[21:22]
	ds_read_b128 v[1:4], v72 offset:1264
	v_add_f64 v[13:14], v[13:14], v[17:18]
	v_fma_f64 v[17:18], v[91:92], v[29:30], v[122:123]
	v_add_f64 v[29:30], v[9:10], v[11:12]
	s_clause 0x4
	buffer_load_dword v90, off, s[0:3], 0 offset:604
	buffer_load_dword v91, off, s[0:3], 0 offset:616
	;; [unrolled: 1-line block ×5, first 2 shown]
	ds_read_b128 v[9:12], v72 offset:1280
	s_waitcnt vmcnt(57) lgkmcnt(1)
	v_mul_f64 v[122:123], v[1:2], v[31:32]
	v_mul_f64 v[31:32], v[3:4], v[31:32]
	s_waitcnt vmcnt(56)
	v_fma_f64 v[27:28], v[5:6], v[15:16], -v[27:28]
	v_fma_f64 v[15:16], v[7:8], v[15:16], v[79:80]
	v_add_f64 v[13:14], v[13:14], v[21:22]
	s_clause 0x2
	buffer_load_dword v92, off, s[0:3], 0 offset:620
	buffer_load_dword v22, off, s[0:3], 0 offset:596
	;; [unrolled: 1-line block ×3, first 2 shown]
	v_add_f64 v[17:18], v[29:30], v[17:18]
	s_waitcnt vmcnt(58) lgkmcnt(0)
	v_mul_f64 v[29:30], v[9:10], v[35:36]
	v_mul_f64 v[35:36], v[11:12], v[35:36]
	ds_read_b128 v[5:8], v72 offset:1296
	s_waitcnt vmcnt(56)
	v_fma_f64 v[31:32], v[1:2], v[37:38], -v[31:32]
	v_add_f64 v[13:14], v[13:14], v[27:28]
	v_fma_f64 v[27:28], v[3:4], v[37:38], v[122:123]
	v_add_f64 v[15:16], v[17:18], v[15:16]
	s_clause 0x4
	buffer_load_dword v18, off, s[0:3], 0 offset:636
	buffer_load_dword v37, off, s[0:3], 0 offset:648
	;; [unrolled: 1-line block ×5, first 2 shown]
	s_waitcnt vmcnt(57) lgkmcnt(0)
	v_mul_f64 v[122:123], v[5:6], v[39:40]
	v_mul_f64 v[39:40], v[7:8], v[39:40]
	s_waitcnt vmcnt(56)
	v_fma_f64 v[35:36], v[9:10], v[23:24], -v[35:36]
	ds_read_b128 v[1:4], v72 offset:1312
	v_fma_f64 v[23:24], v[11:12], v[23:24], v[29:30]
	v_add_f64 v[13:14], v[13:14], v[31:32]
	v_add_f64 v[15:16], v[15:16], v[27:28]
	s_clause 0x2
	buffer_load_dword v38, off, s[0:3], 0 offset:652
	buffer_load_dword v28, off, s[0:3], 0 offset:628
	;; [unrolled: 1-line block ×3, first 2 shown]
	ds_read_b128 v[9:12], v72 offset:1328
	s_waitcnt vmcnt(58) lgkmcnt(1)
	v_mul_f64 v[31:32], v[3:4], v[43:44]
	s_waitcnt vmcnt(56)
	v_fma_f64 v[39:40], v[5:6], v[45:46], -v[39:40]
	v_mul_f64 v[29:30], v[1:2], v[43:44]
	v_add_f64 v[13:14], v[13:14], v[35:36]
	v_fma_f64 v[35:36], v[7:8], v[45:46], v[122:123]
	v_add_f64 v[15:16], v[15:16], v[23:24]
	s_clause 0x4
	buffer_load_dword v24, off, s[0:3], 0 offset:668
	buffer_load_dword v43, off, s[0:3], 0 offset:680
	;; [unrolled: 1-line block ×5, first 2 shown]
	s_waitcnt vmcnt(57) lgkmcnt(0)
	v_mul_f64 v[122:123], v[9:10], v[47:48]
	v_mul_f64 v[46:47], v[11:12], v[47:48]
	s_waitcnt vmcnt(56)
	v_fma_f64 v[31:32], v[1:2], v[33:34], -v[31:32]
	ds_read_b128 v[5:8], v72 offset:1344
	v_fma_f64 v[29:30], v[3:4], v[33:34], v[29:30]
	s_clause 0x2
	buffer_load_dword v44, off, s[0:3], 0 offset:684
	buffer_load_dword v34, off, s[0:3], 0 offset:660
	;; [unrolled: 1-line block ×3, first 2 shown]
	ds_read_b128 v[1:4], v72 offset:1360
	v_add_f64 v[13:14], v[13:14], v[39:40]
	v_add_f64 v[15:16], v[15:16], v[35:36]
	s_waitcnt vmcnt(58) lgkmcnt(1)
	v_mul_f64 v[39:40], v[7:8], v[51:52]
	s_waitcnt vmcnt(56)
	v_fma_f64 v[47:48], v[9:10], v[53:54], -v[46:47]
	v_mul_f64 v[35:36], v[5:6], v[51:52]
	v_add_f64 v[13:14], v[13:14], v[31:32]
	v_fma_f64 v[31:32], v[11:12], v[53:54], v[122:123]
	v_add_f64 v[15:16], v[15:16], v[29:30]
	s_clause 0x4
	buffer_load_dword v30, off, s[0:3], 0 offset:700
	buffer_load_dword v51, off, s[0:3], 0 offset:712
	;; [unrolled: 1-line block ×5, first 2 shown]
	s_waitcnt vmcnt(57) lgkmcnt(0)
	v_mul_f64 v[122:123], v[1:2], v[55:56]
	v_mul_f64 v[54:55], v[3:4], v[55:56]
	s_waitcnt vmcnt(56)
	v_fma_f64 v[39:40], v[5:6], v[41:42], -v[39:40]
	ds_read_b128 v[9:12], v72 offset:1376
	v_fma_f64 v[35:36], v[7:8], v[41:42], v[35:36]
	v_add_f64 v[13:14], v[13:14], v[47:48]
	v_add_f64 v[15:16], v[15:16], v[31:32]
	s_clause 0x2
	buffer_load_dword v52, off, s[0:3], 0 offset:716
	buffer_load_dword v32, off, s[0:3], 0 offset:692
	;; [unrolled: 1-line block ×3, first 2 shown]
	ds_read_b128 v[5:8], v72 offset:1392
	s_waitcnt vmcnt(58) lgkmcnt(1)
	v_mul_f64 v[47:48], v[11:12], v[57:58]
	s_waitcnt vmcnt(56)
	v_fma_f64 v[55:56], v[1:2], v[77:78], -v[54:55]
	v_mul_f64 v[41:42], v[9:10], v[57:58]
	v_add_f64 v[13:14], v[13:14], v[39:40]
	v_fma_f64 v[39:40], v[3:4], v[77:78], v[122:123]
	v_add_f64 v[15:16], v[15:16], v[35:36]
	s_clause 0x4
	buffer_load_dword v36, off, s[0:3], 0 offset:732
	buffer_load_dword v57, off, s[0:3], 0 offset:744
	;; [unrolled: 1-line block ×5, first 2 shown]
	s_waitcnt vmcnt(57) lgkmcnt(0)
	v_mul_f64 v[122:123], v[5:6], v[107:108]
	v_mul_f64 v[107:108], v[7:8], v[107:108]
	s_waitcnt vmcnt(56)
	v_fma_f64 v[47:48], v[9:10], v[49:50], -v[47:48]
	ds_read_b128 v[1:4], v72 offset:1408
	v_fma_f64 v[41:42], v[11:12], v[49:50], v[41:42]
	v_add_f64 v[13:14], v[13:14], v[55:56]
	v_add_f64 v[15:16], v[15:16], v[39:40]
	s_clause 0x2
	buffer_load_dword v58, off, s[0:3], 0 offset:748
	buffer_load_dword v40, off, s[0:3], 0 offset:724
	;; [unrolled: 1-line block ×3, first 2 shown]
	ds_read_b128 v[9:12], v72 offset:1424
	s_waitcnt vmcnt(58) lgkmcnt(1)
	v_mul_f64 v[55:56], v[3:4], v[109:110]
	s_waitcnt vmcnt(56)
	v_fma_f64 v[107:108], v[5:6], v[114:115], -v[107:108]
	v_mul_f64 v[49:50], v[1:2], v[109:110]
	v_add_f64 v[13:14], v[13:14], v[47:48]
	v_fma_f64 v[47:48], v[7:8], v[114:115], v[122:123]
	v_add_f64 v[15:16], v[15:16], v[41:42]
	s_clause 0x4
	buffer_load_dword v42, off, s[0:3], 0 offset:764
	buffer_load_dword v109, off, s[0:3], 0 offset:776
	buffer_load_dword v113, off, s[0:3], 0 offset:768
	buffer_load_dword v41, off, s[0:3], 0 offset:760
	buffer_load_dword v78, off, s[0:3], 0 offset:740
	ds_read_b128 v[5:8], v72 offset:1440
	s_waitcnt vmcnt(57) lgkmcnt(1)
	v_mul_f64 v[114:115], v[9:10], v[101:102]
	v_mul_f64 v[101:102], v[11:12], v[101:102]
	s_waitcnt vmcnt(56)
	v_fma_f64 v[55:56], v[1:2], v[111:112], -v[55:56]
	v_fma_f64 v[49:50], v[3:4], v[111:112], v[49:50]
	v_add_f64 v[13:14], v[13:14], v[107:108]
	v_add_f64 v[15:16], v[15:16], v[47:48]
	s_clause 0x2
	buffer_load_dword v110, off, s[0:3], 0 offset:780
	buffer_load_dword v48, off, s[0:3], 0 offset:756
	;; [unrolled: 1-line block ×3, first 2 shown]
	ds_read_b128 v[1:4], v72 offset:1456
	s_waitcnt vmcnt(58) lgkmcnt(1)
	v_mul_f64 v[111:112], v[7:8], v[118:119]
	v_mul_f64 v[107:108], v[5:6], v[118:119]
	s_waitcnt vmcnt(56)
	v_fma_f64 v[101:102], v[9:10], v[99:100], -v[101:102]
	v_add_f64 v[13:14], v[13:14], v[55:56]
	v_fma_f64 v[55:56], v[11:12], v[99:100], v[114:115]
	v_add_f64 v[15:16], v[15:16], v[49:50]
	s_clause 0x4
	buffer_load_dword v50, off, s[0:3], 0 offset:796
	buffer_load_dword v99, off, s[0:3], 0 offset:808
	buffer_load_dword v118, off, s[0:3], 0 offset:800
	buffer_load_dword v49, off, s[0:3], 0 offset:792
	buffer_load_dword v114, off, s[0:3], 0 offset:772
	ds_read_b128 v[9:12], v72 offset:1472
	s_waitcnt vmcnt(57) lgkmcnt(1)
	v_mul_f64 v[122:123], v[1:2], v[25:26]
	v_mul_f64 v[25:26], v[3:4], v[25:26]
	s_waitcnt vmcnt(56)
	v_fma_f64 v[111:112], v[5:6], v[120:121], -v[111:112]
	v_add_f64 v[13:14], v[13:14], v[101:102]
	v_fma_f64 v[101:102], v[7:8], v[120:121], v[107:108]
	v_add_f64 v[15:16], v[15:16], v[55:56]
	s_clause 0x2
	buffer_load_dword v100, off, s[0:3], 0 offset:812
	buffer_load_dword v56, off, s[0:3], 0 offset:788
	buffer_load_dword v55, off, s[0:3], 0 offset:784
	ds_read_b128 v[5:8], v72 offset:1488
	s_waitcnt vmcnt(58) lgkmcnt(1)
	v_mul_f64 v[107:108], v[9:10], v[103:104]
	v_mul_f64 v[103:104], v[11:12], v[103:104]
	s_waitcnt vmcnt(56)
	v_fma_f64 v[25:26], v[1:2], v[19:20], -v[25:26]
	v_fma_f64 v[19:20], v[3:4], v[19:20], v[122:123]
	v_add_f64 v[13:14], v[13:14], v[111:112]
	v_add_f64 v[15:16], v[15:16], v[101:102]
	s_clause 0x4
	buffer_load_dword v102, off, s[0:3], 0 offset:828
	buffer_load_dword v111, off, s[0:3], 0 offset:840
	buffer_load_dword v115, off, s[0:3], 0 offset:832
	buffer_load_dword v101, off, s[0:3], 0 offset:824
	buffer_load_dword v119, off, s[0:3], 0 offset:804
	ds_read_b128 v[1:4], v72 offset:1504
	s_waitcnt vmcnt(57) lgkmcnt(1)
	v_mul_f64 v[120:121], v[5:6], v[89:90]
	v_mul_f64 v[89:90], v[7:8], v[89:90]
	s_waitcnt vmcnt(56)
	v_fma_f64 v[103:104], v[9:10], v[116:117], -v[103:104]
	v_add_f64 v[13:14], v[13:14], v[25:26]
	v_fma_f64 v[25:26], v[11:12], v[116:117], v[107:108]
	v_add_f64 v[15:16], v[15:16], v[19:20]
	s_clause 0x2
	buffer_load_dword v112, off, s[0:3], 0 offset:844
	buffer_load_dword v20, off, s[0:3], 0 offset:820
	buffer_load_dword v19, off, s[0:3], 0 offset:816
	ds_read_b128 v[9:12], v72 offset:1520
	s_waitcnt vmcnt(58) lgkmcnt(1)
	v_mul_f64 v[107:108], v[1:2], v[91:92]
	v_mul_f64 v[91:92], v[3:4], v[91:92]
	s_waitcnt vmcnt(56)
	v_fma_f64 v[89:90], v[5:6], v[21:22], -v[89:90]
	v_fma_f64 v[21:22], v[7:8], v[21:22], v[120:121]
	v_add_f64 v[13:14], v[13:14], v[103:104]
	;; [unrolled: 28-line block ×3, first 2 shown]
	v_add_f64 v[15:16], v[15:16], v[89:90]
	s_clause 0x4
	buffer_load_dword v90, off, s[0:3], 0 offset:892
	buffer_load_dword v91, off, s[0:3], 0 offset:904
	;; [unrolled: 1-line block ×5, first 2 shown]
	ds_read_b128 v[9:12], v72 offset:1568
	s_waitcnt vmcnt(57) lgkmcnt(1)
	v_mul_f64 v[122:123], v[1:2], v[23:24]
	v_mul_f64 v[23:24], v[3:4], v[23:24]
	s_waitcnt vmcnt(56)
	v_fma_f64 v[37:38], v[5:6], v[79:80], -v[37:38]
	v_add_f64 v[13:14], v[13:14], v[17:18]
	v_fma_f64 v[17:18], v[7:8], v[79:80], v[105:106]
	v_add_f64 v[15:16], v[15:16], v[27:28]
	s_clause 0x2
	buffer_load_dword v92, off, s[0:3], 0 offset:908
	buffer_load_dword v28, off, s[0:3], 0 offset:884
	;; [unrolled: 1-line block ×3, first 2 shown]
	s_waitcnt vmcnt(58) lgkmcnt(0)
	v_mul_f64 v[79:80], v[9:10], v[43:44]
	v_mul_f64 v[43:44], v[11:12], v[43:44]
	ds_read_b128 v[5:8], v72 offset:1584
	s_waitcnt vmcnt(56)
	v_fma_f64 v[23:24], v[1:2], v[33:34], -v[23:24]
	v_fma_f64 v[33:34], v[3:4], v[33:34], v[122:123]
	v_add_f64 v[13:14], v[13:14], v[37:38]
	v_add_f64 v[15:16], v[15:16], v[17:18]
	s_clause 0x2
	buffer_load_dword v18, off, s[0:3], 0 offset:924
	buffer_load_dword v17, off, s[0:3], 0 offset:920
	;; [unrolled: 1-line block ×3, first 2 shown]
	ds_read_b128 v[1:4], v72 offset:1600
	s_waitcnt vmcnt(55) lgkmcnt(1)
	v_mul_f64 v[37:38], v[5:6], v[29:30]
	v_mul_f64 v[29:30], v[7:8], v[29:30]
	s_waitcnt vmcnt(54)
	v_fma_f64 v[43:44], v[9:10], v[45:46], -v[43:44]
	v_add_f64 v[13:14], v[13:14], v[23:24]
	v_fma_f64 v[23:24], v[11:12], v[45:46], v[79:80]
	v_add_f64 v[15:16], v[15:16], v[33:34]
	s_clause 0x1
	buffer_load_dword v34, off, s[0:3], 0 offset:916
	buffer_load_dword v33, off, s[0:3], 0 offset:912
	ds_read_b128 v[9:12], v72 offset:1616
	s_waitcnt vmcnt(55) lgkmcnt(1)
	v_mul_f64 v[45:46], v[1:2], v[51:52]
	v_mul_f64 v[51:52], v[3:4], v[51:52]
	s_waitcnt vmcnt(53)
	v_fma_f64 v[29:30], v[5:6], v[31:32], -v[29:30]
	v_fma_f64 v[31:32], v[7:8], v[31:32], v[37:38]
	ds_read_b128 v[5:8], v72 offset:1632
	v_add_f64 v[13:14], v[13:14], v[43:44]
	v_add_f64 v[15:16], v[15:16], v[23:24]
	s_waitcnt vmcnt(49) lgkmcnt(1)
	v_mul_f64 v[23:24], v[9:10], v[35:36]
	v_mul_f64 v[35:36], v[11:12], v[35:36]
	s_waitcnt vmcnt(48)
	v_fma_f64 v[37:38], v[1:2], v[53:54], -v[51:52]
	v_add_f64 v[13:14], v[13:14], v[29:30]
	v_fma_f64 v[29:30], v[3:4], v[53:54], v[45:46]
	v_add_f64 v[15:16], v[15:16], v[31:32]
	s_clause 0x3
	buffer_load_dword v31, off, s[0:3], 0 offset:240
	buffer_load_dword v32, off, s[0:3], 0 offset:244
	;; [unrolled: 1-line block ×4, first 2 shown]
	ds_read_b128 v[1:4], v72 offset:1648
	s_waitcnt vmcnt(51) lgkmcnt(1)
	v_mul_f64 v[51:52], v[7:8], v[57:58]
	v_mul_f64 v[45:46], v[5:6], v[57:58]
	s_waitcnt vmcnt(49)
	v_fma_f64 v[35:36], v[9:10], v[39:40], -v[35:36]
	v_fma_f64 v[23:24], v[11:12], v[39:40], v[23:24]
	ds_read_b128 v[9:12], v72 offset:1664
	v_add_f64 v[13:14], v[13:14], v[37:38]
	v_add_f64 v[15:16], v[15:16], v[29:30]
	s_waitcnt vmcnt(45) lgkmcnt(1)
	v_mul_f64 v[37:38], v[3:4], v[41:42]
	s_waitcnt vmcnt(44)
	v_fma_f64 v[39:40], v[5:6], v[77:78], -v[51:52]
	v_mul_f64 v[29:30], v[1:2], v[41:42]
	v_add_f64 v[13:14], v[13:14], v[35:36]
	v_fma_f64 v[35:36], v[7:8], v[77:78], v[45:46]
	v_add_f64 v[15:16], v[15:16], v[23:24]
	ds_read_b128 v[5:8], v72 offset:1680
	s_waitcnt vmcnt(43) lgkmcnt(1)
	v_mul_f64 v[41:42], v[11:12], v[109:110]
	v_mul_f64 v[23:24], v[9:10], v[109:110]
	s_waitcnt vmcnt(41)
	v_fma_f64 v[37:38], v[1:2], v[47:48], -v[37:38]
	v_fma_f64 v[29:30], v[3:4], v[47:48], v[29:30]
	ds_read_b128 v[1:4], v72 offset:1696
	v_add_f64 v[13:14], v[13:14], v[39:40]
	v_add_f64 v[15:16], v[15:16], v[35:36]
	s_waitcnt vmcnt(37) lgkmcnt(1)
	v_mul_f64 v[39:40], v[7:8], v[49:50]
	s_waitcnt vmcnt(36)
	v_fma_f64 v[41:42], v[9:10], v[113:114], -v[41:42]
	v_mul_f64 v[35:36], v[5:6], v[49:50]
	v_fma_f64 v[23:24], v[11:12], v[113:114], v[23:24]
	ds_read_b128 v[9:12], v72 offset:1712
	v_add_f64 v[13:14], v[13:14], v[37:38]
	v_add_f64 v[15:16], v[15:16], v[29:30]
	s_waitcnt vmcnt(35) lgkmcnt(1)
	v_mul_f64 v[37:38], v[3:4], v[99:100]
	v_mul_f64 v[29:30], v[1:2], v[99:100]
	s_waitcnt vmcnt(33)
	v_fma_f64 v[39:40], v[5:6], v[55:56], -v[39:40]
	v_fma_f64 v[35:36], v[7:8], v[55:56], v[35:36]
	ds_read_b128 v[5:8], v72 offset:1728
	v_add_f64 v[13:14], v[13:14], v[41:42]
	v_add_f64 v[15:16], v[15:16], v[23:24]
	s_waitcnt vmcnt(29) lgkmcnt(1)
	v_mul_f64 v[41:42], v[11:12], v[101:102]
	s_waitcnt vmcnt(28)
	v_fma_f64 v[37:38], v[1:2], v[118:119], -v[37:38]
	v_mul_f64 v[23:24], v[9:10], v[101:102]
	v_fma_f64 v[29:30], v[3:4], v[118:119], v[29:30]
	ds_read_b128 v[1:4], v72 offset:1744
	v_add_f64 v[13:14], v[13:14], v[39:40]
	v_add_f64 v[15:16], v[15:16], v[35:36]
	s_waitcnt vmcnt(27) lgkmcnt(1)
	v_mul_f64 v[39:40], v[7:8], v[111:112]
	v_mul_f64 v[35:36], v[5:6], v[111:112]
	s_waitcnt vmcnt(25)
	v_fma_f64 v[41:42], v[9:10], v[19:20], -v[41:42]
	v_fma_f64 v[19:20], v[11:12], v[19:20], v[23:24]
	ds_read_b128 v[9:12], v72 offset:1760
	v_add_f64 v[13:14], v[13:14], v[37:38]
	v_add_f64 v[15:16], v[15:16], v[29:30]
	s_waitcnt vmcnt(21) lgkmcnt(1)
	v_mul_f64 v[23:24], v[1:2], v[25:26]
	v_mul_f64 v[25:26], v[3:4], v[25:26]
	s_waitcnt vmcnt(20)
	v_fma_f64 v[29:30], v[5:6], v[115:116], -v[39:40]
	;; [unrolled: 9-line block ×3, first 2 shown]
	v_fma_f64 v[21:22], v[3:4], v[21:22], v[23:24]
	ds_read_b128 v[1:4], v72 offset:1792
	v_add_f64 v[13:14], v[13:14], v[29:30]
	v_add_f64 v[15:16], v[15:16], v[35:36]
	s_waitcnt vmcnt(13) lgkmcnt(1)
	v_mul_f64 v[29:30], v[7:8], v[89:90]
	s_waitcnt vmcnt(12)
	v_fma_f64 v[35:36], v[9:10], v[120:121], -v[37:38]
	v_mul_f64 v[23:24], v[5:6], v[89:90]
	v_fma_f64 v[19:20], v[11:12], v[120:121], v[19:20]
	ds_read_b128 v[9:12], v72 offset:1808
	v_add_f64 v[13:14], v[13:14], v[25:26]
	v_add_f64 v[15:16], v[15:16], v[21:22]
	s_waitcnt vmcnt(11) lgkmcnt(1)
	v_mul_f64 v[25:26], v[3:4], v[91:92]
	v_mul_f64 v[21:22], v[1:2], v[91:92]
	s_waitcnt vmcnt(9)
	v_fma_f64 v[5:6], v[5:6], v[27:28], -v[29:30]
	v_fma_f64 v[7:8], v[7:8], v[27:28], v[23:24]
	v_add_f64 v[13:14], v[13:14], v[35:36]
	v_add_f64 v[15:16], v[15:16], v[19:20]
	s_waitcnt vmcnt(7) lgkmcnt(0)
	v_mul_f64 v[19:20], v[9:10], v[17:18]
	v_mul_f64 v[17:18], v[11:12], v[17:18]
	s_waitcnt vmcnt(6)
	v_fma_f64 v[1:2], v[1:2], v[107:108], -v[25:26]
	v_fma_f64 v[3:4], v[3:4], v[107:108], v[21:22]
	v_add_f64 v[5:6], v[13:14], v[5:6]
	v_add_f64 v[7:8], v[15:16], v[7:8]
	s_waitcnt vmcnt(4)
	v_fma_f64 v[9:10], v[9:10], v[33:34], -v[17:18]
	v_add_f64 v[1:2], v[5:6], v[1:2]
	v_fma_f64 v[5:6], v[11:12], v[33:34], v[19:20]
	v_add_f64 v[3:4], v[7:8], v[3:4]
	v_add_f64 v[1:2], v[1:2], v[9:10]
	;; [unrolled: 1-line block ×3, first 2 shown]
	s_waitcnt vmcnt(2)
	v_add_f64 v[1:2], v[31:32], -v[1:2]
	s_waitcnt vmcnt(0)
	v_add_f64 v[3:4], v[43:44], -v[3:4]
	buffer_store_dword v2, off, s[0:3], 0 offset:244
	buffer_store_dword v1, off, s[0:3], 0 offset:240
	buffer_store_dword v4, off, s[0:3], 0 offset:252
	buffer_store_dword v3, off, s[0:3], 0 offset:248
	v_cmpx_lt_u32_e32 13, v0
	s_cbranch_execz .LBB56_329
; %bb.328:
	v_mov_b32_e32 v4, s56
	v_mov_b32_e32 v5, 0
	s_clause 0x3
	buffer_load_dword v1, v4, s[0:3], 0 offen
	buffer_load_dword v2, v4, s[0:3], 0 offen offset:4
	buffer_load_dword v3, v4, s[0:3], 0 offen offset:8
	buffer_load_dword v4, v4, s[0:3], 0 offen offset:12
	buffer_store_dword v5, off, s[0:3], 0 offset:224
	buffer_store_dword v5, off, s[0:3], 0 offset:228
	;; [unrolled: 1-line block ×4, first 2 shown]
	s_waitcnt vmcnt(0)
	ds_write_b128 v59, v[1:4]
.LBB56_329:
	s_or_b32 exec_lo, exec_lo, s4
	s_waitcnt lgkmcnt(0)
	s_waitcnt_vscnt null, 0x0
	s_barrier
	buffer_gl0_inv
	s_clause 0x37
	buffer_load_dword v9, off, s[0:3], 0 offset:248
	buffer_load_dword v10, off, s[0:3], 0 offset:252
	;; [unrolled: 1-line block ×56, first 2 shown]
	v_mov_b32_e32 v72, 0
	s_mov_b32 s4, exec_lo
	ds_read_b128 v[89:92], v72 offset:1136
	s_clause 0x2
	buffer_load_dword v58, off, s[0:3], 0 offset:476
	buffer_load_dword v78, off, s[0:3], 0 offset:452
	;; [unrolled: 1-line block ×3, first 2 shown]
	ds_read_b128 v[99:102], v72 offset:1152
	s_clause 0x4
	buffer_load_dword v108, off, s[0:3], 0 offset:492
	buffer_load_dword v109, off, s[0:3], 0 offset:504
	buffer_load_dword v111, off, s[0:3], 0 offset:496
	buffer_load_dword v107, off, s[0:3], 0 offset:488
	buffer_load_dword v50, off, s[0:3], 0 offset:468
	ds_read_b128 v[103:106], v72 offset:1168
	s_clause 0x2
	buffer_load_dword v110, off, s[0:3], 0 offset:508
	buffer_load_dword v115, off, s[0:3], 0 offset:484
	;; [unrolled: 1-line block ×3, first 2 shown]
	s_waitcnt vmcnt(62) lgkmcnt(2)
	v_mul_f64 v[79:80], v[91:92], v[9:10]
	v_mul_f64 v[9:10], v[89:90], v[9:10]
	s_waitcnt lgkmcnt(1)
	v_mul_f64 v[112:113], v[101:102], v[5:6]
	s_waitcnt vmcnt(59) lgkmcnt(0)
	v_mul_f64 v[116:117], v[105:106], v[3:4]
	v_fma_f64 v[79:80], v[89:90], v[7:8], -v[79:80]
	v_mul_f64 v[89:90], v[99:100], v[5:6]
	v_fma_f64 v[9:10], v[91:92], v[7:8], v[9:10]
	s_waitcnt vmcnt(57)
	v_fma_f64 v[99:100], v[99:100], v[1:2], -v[112:113]
	ds_read_b128 v[5:8], v72 offset:1184
	v_mul_f64 v[91:92], v[103:104], v[3:4]
	s_waitcnt vmcnt(51)
	v_fma_f64 v[103:104], v[103:104], v[25:26], -v[116:117]
	v_add_f64 v[79:80], v[79:80], 0
	v_fma_f64 v[89:90], v[101:102], v[1:2], v[89:90]
	v_add_f64 v[9:10], v[9:10], 0
	s_clause 0x4
	buffer_load_dword v102, off, s[0:3], 0 offset:524
	buffer_load_dword v118, off, s[0:3], 0 offset:536
	;; [unrolled: 1-line block ×5, first 2 shown]
	s_waitcnt lgkmcnt(0)
	v_mul_f64 v[121:122], v[5:6], v[13:14]
	v_mul_f64 v[13:14], v[7:8], v[13:14]
	ds_read_b128 v[1:4], v72 offset:1200
	v_fma_f64 v[25:26], v[105:106], v[25:26], v[91:92]
	v_add_f64 v[79:80], v[79:80], v[99:100]
	s_clause 0x2
	buffer_load_dword v119, off, s[0:3], 0 offset:540
	buffer_load_dword v100, off, s[0:3], 0 offset:516
	;; [unrolled: 1-line block ×3, first 2 shown]
	v_add_f64 v[9:10], v[9:10], v[89:90]
	ds_read_b128 v[89:92], v72 offset:1216
	s_waitcnt vmcnt(58) lgkmcnt(1)
	v_mul_f64 v[105:106], v[1:2], v[17:18]
	v_mul_f64 v[17:18], v[3:4], v[17:18]
	s_waitcnt vmcnt(56)
	v_fma_f64 v[13:14], v[5:6], v[19:20], -v[13:14]
	v_fma_f64 v[19:20], v[7:8], v[19:20], v[121:122]
	v_add_f64 v[79:80], v[79:80], v[103:104]
	s_waitcnt vmcnt(52) lgkmcnt(0)
	v_mul_f64 v[122:123], v[89:90], v[21:22]
	v_add_f64 v[9:10], v[9:10], v[25:26]
	s_clause 0x4
	buffer_load_dword v26, off, s[0:3], 0 offset:556
	buffer_load_dword v103, off, s[0:3], 0 offset:568
	;; [unrolled: 1-line block ×5, first 2 shown]
	v_mul_f64 v[21:22], v[91:92], v[21:22]
	s_waitcnt vmcnt(56)
	v_fma_f64 v[17:18], v[1:2], v[11:12], -v[17:18]
	ds_read_b128 v[5:8], v72 offset:1232
	v_fma_f64 v[11:12], v[3:4], v[11:12], v[105:106]
	v_add_f64 v[13:14], v[79:80], v[13:14]
	v_add_f64 v[9:10], v[9:10], v[19:20]
	s_clause 0x2
	buffer_load_dword v104, off, s[0:3], 0 offset:572
	buffer_load_dword v20, off, s[0:3], 0 offset:548
	buffer_load_dword v19, off, s[0:3], 0 offset:544
	s_waitcnt vmcnt(58) lgkmcnt(0)
	v_mul_f64 v[79:80], v[5:6], v[27:28]
	v_mul_f64 v[27:28], v[7:8], v[27:28]
	s_waitcnt vmcnt(56)
	v_fma_f64 v[21:22], v[89:90], v[29:30], -v[21:22]
	ds_read_b128 v[1:4], v72 offset:1248
	v_add_f64 v[13:14], v[13:14], v[17:18]
	v_fma_f64 v[17:18], v[91:92], v[29:30], v[122:123]
	v_add_f64 v[29:30], v[9:10], v[11:12]
	s_clause 0x4
	buffer_load_dword v90, off, s[0:3], 0 offset:588
	buffer_load_dword v91, off, s[0:3], 0 offset:600
	;; [unrolled: 1-line block ×5, first 2 shown]
	ds_read_b128 v[9:12], v72 offset:1264
	s_waitcnt vmcnt(57) lgkmcnt(1)
	v_mul_f64 v[122:123], v[1:2], v[31:32]
	v_mul_f64 v[31:32], v[3:4], v[31:32]
	s_waitcnt vmcnt(56)
	v_fma_f64 v[27:28], v[5:6], v[15:16], -v[27:28]
	v_fma_f64 v[15:16], v[7:8], v[15:16], v[79:80]
	v_add_f64 v[13:14], v[13:14], v[21:22]
	s_clause 0x2
	buffer_load_dword v92, off, s[0:3], 0 offset:604
	buffer_load_dword v22, off, s[0:3], 0 offset:580
	;; [unrolled: 1-line block ×3, first 2 shown]
	v_add_f64 v[17:18], v[29:30], v[17:18]
	s_waitcnt vmcnt(58) lgkmcnt(0)
	v_mul_f64 v[29:30], v[9:10], v[35:36]
	v_mul_f64 v[35:36], v[11:12], v[35:36]
	ds_read_b128 v[5:8], v72 offset:1280
	s_waitcnt vmcnt(56)
	v_fma_f64 v[31:32], v[1:2], v[37:38], -v[31:32]
	v_add_f64 v[13:14], v[13:14], v[27:28]
	v_fma_f64 v[27:28], v[3:4], v[37:38], v[122:123]
	v_add_f64 v[15:16], v[17:18], v[15:16]
	s_clause 0x4
	buffer_load_dword v18, off, s[0:3], 0 offset:620
	buffer_load_dword v37, off, s[0:3], 0 offset:632
	;; [unrolled: 1-line block ×5, first 2 shown]
	s_waitcnt vmcnt(57) lgkmcnt(0)
	v_mul_f64 v[122:123], v[5:6], v[39:40]
	v_mul_f64 v[39:40], v[7:8], v[39:40]
	s_waitcnt vmcnt(56)
	v_fma_f64 v[35:36], v[9:10], v[23:24], -v[35:36]
	ds_read_b128 v[1:4], v72 offset:1296
	v_fma_f64 v[23:24], v[11:12], v[23:24], v[29:30]
	v_add_f64 v[13:14], v[13:14], v[31:32]
	v_add_f64 v[15:16], v[15:16], v[27:28]
	s_clause 0x2
	buffer_load_dword v38, off, s[0:3], 0 offset:636
	buffer_load_dword v28, off, s[0:3], 0 offset:612
	;; [unrolled: 1-line block ×3, first 2 shown]
	ds_read_b128 v[9:12], v72 offset:1312
	s_waitcnt vmcnt(58) lgkmcnt(1)
	v_mul_f64 v[31:32], v[3:4], v[43:44]
	s_waitcnt vmcnt(56)
	v_fma_f64 v[39:40], v[5:6], v[45:46], -v[39:40]
	v_mul_f64 v[29:30], v[1:2], v[43:44]
	v_add_f64 v[13:14], v[13:14], v[35:36]
	v_fma_f64 v[35:36], v[7:8], v[45:46], v[122:123]
	v_add_f64 v[15:16], v[15:16], v[23:24]
	s_clause 0x4
	buffer_load_dword v24, off, s[0:3], 0 offset:652
	buffer_load_dword v43, off, s[0:3], 0 offset:664
	;; [unrolled: 1-line block ×5, first 2 shown]
	s_waitcnt vmcnt(57) lgkmcnt(0)
	v_mul_f64 v[122:123], v[9:10], v[47:48]
	v_mul_f64 v[46:47], v[11:12], v[47:48]
	s_waitcnt vmcnt(56)
	v_fma_f64 v[31:32], v[1:2], v[33:34], -v[31:32]
	ds_read_b128 v[5:8], v72 offset:1328
	v_fma_f64 v[29:30], v[3:4], v[33:34], v[29:30]
	s_clause 0x2
	buffer_load_dword v44, off, s[0:3], 0 offset:668
	buffer_load_dword v34, off, s[0:3], 0 offset:644
	;; [unrolled: 1-line block ×3, first 2 shown]
	ds_read_b128 v[1:4], v72 offset:1344
	v_add_f64 v[13:14], v[13:14], v[39:40]
	v_add_f64 v[15:16], v[15:16], v[35:36]
	s_waitcnt vmcnt(58) lgkmcnt(1)
	v_mul_f64 v[39:40], v[7:8], v[51:52]
	s_waitcnt vmcnt(56)
	v_fma_f64 v[47:48], v[9:10], v[53:54], -v[46:47]
	v_mul_f64 v[35:36], v[5:6], v[51:52]
	v_add_f64 v[13:14], v[13:14], v[31:32]
	v_fma_f64 v[31:32], v[11:12], v[53:54], v[122:123]
	v_add_f64 v[15:16], v[15:16], v[29:30]
	s_clause 0x4
	buffer_load_dword v30, off, s[0:3], 0 offset:684
	buffer_load_dword v51, off, s[0:3], 0 offset:696
	;; [unrolled: 1-line block ×5, first 2 shown]
	s_waitcnt vmcnt(57) lgkmcnt(0)
	v_mul_f64 v[122:123], v[1:2], v[55:56]
	v_mul_f64 v[54:55], v[3:4], v[55:56]
	s_waitcnt vmcnt(56)
	v_fma_f64 v[39:40], v[5:6], v[41:42], -v[39:40]
	ds_read_b128 v[9:12], v72 offset:1360
	v_fma_f64 v[35:36], v[7:8], v[41:42], v[35:36]
	v_add_f64 v[13:14], v[13:14], v[47:48]
	v_add_f64 v[15:16], v[15:16], v[31:32]
	s_clause 0x2
	buffer_load_dword v52, off, s[0:3], 0 offset:700
	buffer_load_dword v32, off, s[0:3], 0 offset:676
	;; [unrolled: 1-line block ×3, first 2 shown]
	ds_read_b128 v[5:8], v72 offset:1376
	s_waitcnt vmcnt(58) lgkmcnt(1)
	v_mul_f64 v[47:48], v[11:12], v[57:58]
	s_waitcnt vmcnt(56)
	v_fma_f64 v[55:56], v[1:2], v[77:78], -v[54:55]
	v_mul_f64 v[41:42], v[9:10], v[57:58]
	v_add_f64 v[13:14], v[13:14], v[39:40]
	v_fma_f64 v[39:40], v[3:4], v[77:78], v[122:123]
	v_add_f64 v[15:16], v[15:16], v[35:36]
	s_clause 0x4
	buffer_load_dword v36, off, s[0:3], 0 offset:716
	buffer_load_dword v57, off, s[0:3], 0 offset:728
	;; [unrolled: 1-line block ×5, first 2 shown]
	s_waitcnt vmcnt(57) lgkmcnt(0)
	v_mul_f64 v[122:123], v[5:6], v[107:108]
	v_mul_f64 v[107:108], v[7:8], v[107:108]
	s_waitcnt vmcnt(56)
	v_fma_f64 v[47:48], v[9:10], v[49:50], -v[47:48]
	ds_read_b128 v[1:4], v72 offset:1392
	v_fma_f64 v[41:42], v[11:12], v[49:50], v[41:42]
	v_add_f64 v[13:14], v[13:14], v[55:56]
	v_add_f64 v[15:16], v[15:16], v[39:40]
	s_clause 0x2
	buffer_load_dword v58, off, s[0:3], 0 offset:732
	buffer_load_dword v40, off, s[0:3], 0 offset:708
	;; [unrolled: 1-line block ×3, first 2 shown]
	ds_read_b128 v[9:12], v72 offset:1408
	s_waitcnt vmcnt(58) lgkmcnt(1)
	v_mul_f64 v[55:56], v[3:4], v[109:110]
	s_waitcnt vmcnt(56)
	v_fma_f64 v[107:108], v[5:6], v[114:115], -v[107:108]
	v_mul_f64 v[49:50], v[1:2], v[109:110]
	v_add_f64 v[13:14], v[13:14], v[47:48]
	v_fma_f64 v[47:48], v[7:8], v[114:115], v[122:123]
	v_add_f64 v[15:16], v[15:16], v[41:42]
	s_clause 0x4
	buffer_load_dword v42, off, s[0:3], 0 offset:748
	buffer_load_dword v109, off, s[0:3], 0 offset:760
	;; [unrolled: 1-line block ×5, first 2 shown]
	ds_read_b128 v[5:8], v72 offset:1424
	s_waitcnt vmcnt(57) lgkmcnt(1)
	v_mul_f64 v[114:115], v[9:10], v[101:102]
	v_mul_f64 v[101:102], v[11:12], v[101:102]
	s_waitcnt vmcnt(56)
	v_fma_f64 v[55:56], v[1:2], v[111:112], -v[55:56]
	v_fma_f64 v[49:50], v[3:4], v[111:112], v[49:50]
	v_add_f64 v[13:14], v[13:14], v[107:108]
	v_add_f64 v[15:16], v[15:16], v[47:48]
	s_clause 0x2
	buffer_load_dword v110, off, s[0:3], 0 offset:764
	buffer_load_dword v48, off, s[0:3], 0 offset:740
	;; [unrolled: 1-line block ×3, first 2 shown]
	ds_read_b128 v[1:4], v72 offset:1440
	s_waitcnt vmcnt(58) lgkmcnt(1)
	v_mul_f64 v[111:112], v[7:8], v[118:119]
	v_mul_f64 v[107:108], v[5:6], v[118:119]
	s_waitcnt vmcnt(56)
	v_fma_f64 v[101:102], v[9:10], v[99:100], -v[101:102]
	v_add_f64 v[13:14], v[13:14], v[55:56]
	v_fma_f64 v[55:56], v[11:12], v[99:100], v[114:115]
	v_add_f64 v[15:16], v[15:16], v[49:50]
	s_clause 0x4
	buffer_load_dword v50, off, s[0:3], 0 offset:780
	buffer_load_dword v99, off, s[0:3], 0 offset:792
	buffer_load_dword v118, off, s[0:3], 0 offset:784
	buffer_load_dword v49, off, s[0:3], 0 offset:776
	buffer_load_dword v114, off, s[0:3], 0 offset:756
	ds_read_b128 v[9:12], v72 offset:1456
	s_waitcnt vmcnt(57) lgkmcnt(1)
	v_mul_f64 v[122:123], v[1:2], v[25:26]
	v_mul_f64 v[25:26], v[3:4], v[25:26]
	s_waitcnt vmcnt(56)
	v_fma_f64 v[111:112], v[5:6], v[120:121], -v[111:112]
	v_add_f64 v[13:14], v[13:14], v[101:102]
	v_fma_f64 v[101:102], v[7:8], v[120:121], v[107:108]
	v_add_f64 v[15:16], v[15:16], v[55:56]
	s_clause 0x2
	buffer_load_dword v100, off, s[0:3], 0 offset:796
	buffer_load_dword v56, off, s[0:3], 0 offset:772
	buffer_load_dword v55, off, s[0:3], 0 offset:768
	ds_read_b128 v[5:8], v72 offset:1472
	s_waitcnt vmcnt(58) lgkmcnt(1)
	v_mul_f64 v[107:108], v[9:10], v[103:104]
	v_mul_f64 v[103:104], v[11:12], v[103:104]
	s_waitcnt vmcnt(56)
	v_fma_f64 v[25:26], v[1:2], v[19:20], -v[25:26]
	v_fma_f64 v[19:20], v[3:4], v[19:20], v[122:123]
	v_add_f64 v[13:14], v[13:14], v[111:112]
	v_add_f64 v[15:16], v[15:16], v[101:102]
	s_clause 0x4
	buffer_load_dword v102, off, s[0:3], 0 offset:812
	buffer_load_dword v111, off, s[0:3], 0 offset:824
	buffer_load_dword v115, off, s[0:3], 0 offset:816
	buffer_load_dword v101, off, s[0:3], 0 offset:808
	buffer_load_dword v119, off, s[0:3], 0 offset:788
	ds_read_b128 v[1:4], v72 offset:1488
	s_waitcnt vmcnt(57) lgkmcnt(1)
	v_mul_f64 v[120:121], v[5:6], v[89:90]
	v_mul_f64 v[89:90], v[7:8], v[89:90]
	s_waitcnt vmcnt(56)
	v_fma_f64 v[103:104], v[9:10], v[116:117], -v[103:104]
	v_add_f64 v[13:14], v[13:14], v[25:26]
	v_fma_f64 v[25:26], v[11:12], v[116:117], v[107:108]
	v_add_f64 v[15:16], v[15:16], v[19:20]
	s_clause 0x2
	buffer_load_dword v112, off, s[0:3], 0 offset:828
	buffer_load_dword v20, off, s[0:3], 0 offset:804
	buffer_load_dword v19, off, s[0:3], 0 offset:800
	ds_read_b128 v[9:12], v72 offset:1504
	s_waitcnt vmcnt(58) lgkmcnt(1)
	v_mul_f64 v[107:108], v[1:2], v[91:92]
	v_mul_f64 v[91:92], v[3:4], v[91:92]
	s_waitcnt vmcnt(56)
	v_fma_f64 v[89:90], v[5:6], v[21:22], -v[89:90]
	v_fma_f64 v[21:22], v[7:8], v[21:22], v[120:121]
	v_add_f64 v[13:14], v[13:14], v[103:104]
	;; [unrolled: 28-line block ×3, first 2 shown]
	v_add_f64 v[15:16], v[15:16], v[89:90]
	s_clause 0x4
	buffer_load_dword v90, off, s[0:3], 0 offset:876
	buffer_load_dword v91, off, s[0:3], 0 offset:888
	;; [unrolled: 1-line block ×5, first 2 shown]
	ds_read_b128 v[9:12], v72 offset:1552
	s_waitcnt vmcnt(57) lgkmcnt(1)
	v_mul_f64 v[122:123], v[1:2], v[23:24]
	v_mul_f64 v[23:24], v[3:4], v[23:24]
	s_waitcnt vmcnt(56)
	v_fma_f64 v[37:38], v[5:6], v[79:80], -v[37:38]
	v_add_f64 v[13:14], v[13:14], v[17:18]
	v_fma_f64 v[17:18], v[7:8], v[79:80], v[105:106]
	v_add_f64 v[15:16], v[15:16], v[27:28]
	s_clause 0x2
	buffer_load_dword v92, off, s[0:3], 0 offset:892
	buffer_load_dword v28, off, s[0:3], 0 offset:868
	;; [unrolled: 1-line block ×3, first 2 shown]
	s_waitcnt vmcnt(58) lgkmcnt(0)
	v_mul_f64 v[79:80], v[9:10], v[43:44]
	v_mul_f64 v[43:44], v[11:12], v[43:44]
	ds_read_b128 v[5:8], v72 offset:1568
	s_waitcnt vmcnt(56)
	v_fma_f64 v[23:24], v[1:2], v[33:34], -v[23:24]
	v_fma_f64 v[33:34], v[3:4], v[33:34], v[122:123]
	v_add_f64 v[13:14], v[13:14], v[37:38]
	v_add_f64 v[15:16], v[15:16], v[17:18]
	s_clause 0x4
	buffer_load_dword v18, off, s[0:3], 0 offset:908
	buffer_load_dword v37, off, s[0:3], 0 offset:920
	;; [unrolled: 1-line block ×5, first 2 shown]
	ds_read_b128 v[1:4], v72 offset:1584
	s_waitcnt vmcnt(57) lgkmcnt(1)
	v_mul_f64 v[122:123], v[5:6], v[29:30]
	v_mul_f64 v[29:30], v[7:8], v[29:30]
	s_waitcnt vmcnt(56)
	v_fma_f64 v[43:44], v[9:10], v[45:46], -v[43:44]
	v_add_f64 v[13:14], v[13:14], v[23:24]
	v_fma_f64 v[23:24], v[11:12], v[45:46], v[79:80]
	v_add_f64 v[15:16], v[15:16], v[33:34]
	s_clause 0x2
	buffer_load_dword v38, off, s[0:3], 0 offset:924
	buffer_load_dword v34, off, s[0:3], 0 offset:900
	;; [unrolled: 1-line block ×3, first 2 shown]
	ds_read_b128 v[9:12], v72 offset:1600
	buffer_load_dword v106, off, s[0:3], 0 offset:916
	s_waitcnt vmcnt(59) lgkmcnt(1)
	v_mul_f64 v[45:46], v[1:2], v[51:52]
	v_mul_f64 v[51:52], v[3:4], v[51:52]
	s_waitcnt vmcnt(57)
	v_fma_f64 v[29:30], v[5:6], v[31:32], -v[29:30]
	v_fma_f64 v[31:32], v[7:8], v[31:32], v[122:123]
	ds_read_b128 v[5:8], v72 offset:1616
	v_add_f64 v[13:14], v[13:14], v[43:44]
	v_add_f64 v[15:16], v[15:16], v[23:24]
	s_waitcnt vmcnt(53) lgkmcnt(1)
	v_mul_f64 v[23:24], v[9:10], v[35:36]
	v_mul_f64 v[35:36], v[11:12], v[35:36]
	s_waitcnt vmcnt(52)
	v_fma_f64 v[43:44], v[1:2], v[53:54], -v[51:52]
	v_add_f64 v[13:14], v[13:14], v[29:30]
	v_fma_f64 v[29:30], v[3:4], v[53:54], v[45:46]
	v_add_f64 v[15:16], v[15:16], v[31:32]
	ds_read_b128 v[1:4], v72 offset:1632
	s_waitcnt vmcnt(51) lgkmcnt(1)
	v_mul_f64 v[45:46], v[7:8], v[57:58]
	v_mul_f64 v[31:32], v[5:6], v[57:58]
	s_waitcnt vmcnt(49)
	v_fma_f64 v[35:36], v[9:10], v[39:40], -v[35:36]
	v_fma_f64 v[23:24], v[11:12], v[39:40], v[23:24]
	v_add_f64 v[13:14], v[13:14], v[43:44]
	v_add_f64 v[15:16], v[15:16], v[29:30]
	s_clause 0x3
	buffer_load_dword v29, off, s[0:3], 0 offset:224
	buffer_load_dword v30, off, s[0:3], 0 offset:228
	;; [unrolled: 1-line block ×4, first 2 shown]
	ds_read_b128 v[9:12], v72 offset:1648
	s_waitcnt vmcnt(49) lgkmcnt(1)
	v_mul_f64 v[43:44], v[1:2], v[41:42]
	v_mul_f64 v[41:42], v[3:4], v[41:42]
	s_waitcnt vmcnt(48)
	v_fma_f64 v[45:46], v[5:6], v[77:78], -v[45:46]
	v_fma_f64 v[31:32], v[7:8], v[77:78], v[31:32]
	ds_read_b128 v[5:8], v72 offset:1664
	v_add_f64 v[13:14], v[13:14], v[35:36]
	v_add_f64 v[15:16], v[15:16], v[23:24]
	s_waitcnt vmcnt(47) lgkmcnt(1)
	v_mul_f64 v[35:36], v[11:12], v[109:110]
	v_mul_f64 v[23:24], v[9:10], v[109:110]
	s_waitcnt vmcnt(45)
	v_fma_f64 v[41:42], v[1:2], v[47:48], -v[41:42]
	v_fma_f64 v[43:44], v[3:4], v[47:48], v[43:44]
	ds_read_b128 v[1:4], v72 offset:1680
	v_add_f64 v[13:14], v[13:14], v[45:46]
	v_add_f64 v[15:16], v[15:16], v[31:32]
	s_waitcnt vmcnt(41) lgkmcnt(1)
	v_mul_f64 v[45:46], v[7:8], v[49:50]
	s_waitcnt vmcnt(40)
	v_fma_f64 v[35:36], v[9:10], v[113:114], -v[35:36]
	v_mul_f64 v[31:32], v[5:6], v[49:50]
	v_fma_f64 v[23:24], v[11:12], v[113:114], v[23:24]
	ds_read_b128 v[9:12], v72 offset:1696
	v_add_f64 v[13:14], v[13:14], v[41:42]
	v_add_f64 v[15:16], v[15:16], v[43:44]
	s_waitcnt vmcnt(39) lgkmcnt(1)
	v_mul_f64 v[43:44], v[3:4], v[99:100]
	v_mul_f64 v[41:42], v[1:2], v[99:100]
	s_waitcnt vmcnt(37)
	v_fma_f64 v[45:46], v[5:6], v[55:56], -v[45:46]
	v_fma_f64 v[31:32], v[7:8], v[55:56], v[31:32]
	ds_read_b128 v[5:8], v72 offset:1712
	v_add_f64 v[13:14], v[13:14], v[35:36]
	v_add_f64 v[15:16], v[15:16], v[23:24]
	s_waitcnt vmcnt(33) lgkmcnt(1)
	v_mul_f64 v[35:36], v[11:12], v[101:102]
	s_waitcnt vmcnt(32)
	v_fma_f64 v[43:44], v[1:2], v[118:119], -v[43:44]
	v_mul_f64 v[23:24], v[9:10], v[101:102]
	v_fma_f64 v[41:42], v[3:4], v[118:119], v[41:42]
	ds_read_b128 v[1:4], v72 offset:1728
	v_add_f64 v[13:14], v[13:14], v[45:46]
	v_add_f64 v[15:16], v[15:16], v[31:32]
	s_waitcnt vmcnt(31) lgkmcnt(1)
	v_mul_f64 v[45:46], v[7:8], v[111:112]
	v_mul_f64 v[31:32], v[5:6], v[111:112]
	s_waitcnt vmcnt(29)
	v_fma_f64 v[35:36], v[9:10], v[19:20], -v[35:36]
	v_fma_f64 v[19:20], v[11:12], v[19:20], v[23:24]
	ds_read_b128 v[9:12], v72 offset:1744
	v_add_f64 v[13:14], v[13:14], v[43:44]
	v_add_f64 v[15:16], v[15:16], v[41:42]
	s_waitcnt vmcnt(25) lgkmcnt(1)
	v_mul_f64 v[23:24], v[1:2], v[25:26]
	v_mul_f64 v[25:26], v[3:4], v[25:26]
	s_waitcnt vmcnt(24)
	v_fma_f64 v[41:42], v[5:6], v[115:116], -v[45:46]
	;; [unrolled: 9-line block ×3, first 2 shown]
	v_fma_f64 v[21:22], v[3:4], v[21:22], v[23:24]
	ds_read_b128 v[1:4], v72 offset:1776
	v_add_f64 v[13:14], v[13:14], v[41:42]
	v_add_f64 v[15:16], v[15:16], v[31:32]
	s_waitcnt vmcnt(17) lgkmcnt(1)
	v_mul_f64 v[31:32], v[7:8], v[89:90]
	s_waitcnt vmcnt(16)
	v_fma_f64 v[35:36], v[9:10], v[120:121], -v[35:36]
	v_mul_f64 v[23:24], v[5:6], v[89:90]
	v_fma_f64 v[19:20], v[11:12], v[120:121], v[19:20]
	ds_read_b128 v[9:12], v72 offset:1792
	v_add_f64 v[13:14], v[13:14], v[25:26]
	v_add_f64 v[15:16], v[15:16], v[21:22]
	s_waitcnt vmcnt(15) lgkmcnt(1)
	v_mul_f64 v[25:26], v[3:4], v[91:92]
	v_mul_f64 v[21:22], v[1:2], v[91:92]
	s_waitcnt vmcnt(13)
	v_fma_f64 v[31:32], v[5:6], v[27:28], -v[31:32]
	v_fma_f64 v[23:24], v[7:8], v[27:28], v[23:24]
	ds_read_b128 v[5:8], v72 offset:1808
	v_add_f64 v[13:14], v[13:14], v[35:36]
	v_add_f64 v[15:16], v[15:16], v[19:20]
	s_waitcnt vmcnt(9) lgkmcnt(1)
	v_mul_f64 v[19:20], v[9:10], v[17:18]
	v_mul_f64 v[17:18], v[11:12], v[17:18]
	s_waitcnt vmcnt(8)
	v_fma_f64 v[1:2], v[1:2], v[107:108], -v[25:26]
	v_fma_f64 v[3:4], v[3:4], v[107:108], v[21:22]
	v_add_f64 v[13:14], v[13:14], v[31:32]
	v_add_f64 v[15:16], v[15:16], v[23:24]
	s_waitcnt vmcnt(7) lgkmcnt(0)
	v_mul_f64 v[23:24], v[7:8], v[37:38]
	v_mul_f64 v[21:22], v[5:6], v[37:38]
	s_waitcnt vmcnt(5)
	v_fma_f64 v[9:10], v[9:10], v[33:34], -v[17:18]
	v_fma_f64 v[11:12], v[11:12], v[33:34], v[19:20]
	v_add_f64 v[1:2], v[13:14], v[1:2]
	v_add_f64 v[3:4], v[15:16], v[3:4]
	s_waitcnt vmcnt(4)
	v_fma_f64 v[5:6], v[5:6], v[105:106], -v[23:24]
	v_fma_f64 v[7:8], v[7:8], v[105:106], v[21:22]
	v_add_f64 v[1:2], v[1:2], v[9:10]
	v_add_f64 v[3:4], v[3:4], v[11:12]
	;; [unrolled: 1-line block ×4, first 2 shown]
	s_waitcnt vmcnt(2)
	v_add_f64 v[1:2], v[29:30], -v[1:2]
	s_waitcnt vmcnt(0)
	v_add_f64 v[3:4], v[39:40], -v[3:4]
	buffer_store_dword v2, off, s[0:3], 0 offset:228
	buffer_store_dword v1, off, s[0:3], 0 offset:224
	;; [unrolled: 1-line block ×4, first 2 shown]
	v_cmpx_lt_u32_e32 12, v0
	s_cbranch_execz .LBB56_331
; %bb.330:
	v_mov_b32_e32 v4, s57
	s_clause 0x3
	buffer_load_dword v1, v4, s[0:3], 0 offen
	buffer_load_dword v2, v4, s[0:3], 0 offen offset:4
	buffer_load_dword v3, v4, s[0:3], 0 offen offset:8
	;; [unrolled: 1-line block ×3, first 2 shown]
	buffer_store_dword v72, off, s[0:3], 0 offset:208
	buffer_store_dword v72, off, s[0:3], 0 offset:212
	;; [unrolled: 1-line block ×4, first 2 shown]
	s_waitcnt vmcnt(0)
	ds_write_b128 v59, v[1:4]
.LBB56_331:
	s_or_b32 exec_lo, exec_lo, s4
	s_waitcnt lgkmcnt(0)
	s_waitcnt_vscnt null, 0x0
	s_barrier
	buffer_gl0_inv
	s_clause 0x37
	buffer_load_dword v9, off, s[0:3], 0 offset:232
	buffer_load_dword v10, off, s[0:3], 0 offset:236
	;; [unrolled: 1-line block ×56, first 2 shown]
	ds_read_b128 v[89:92], v72 offset:1120
	s_clause 0x2
	buffer_load_dword v58, off, s[0:3], 0 offset:460
	buffer_load_dword v78, off, s[0:3], 0 offset:436
	;; [unrolled: 1-line block ×3, first 2 shown]
	ds_read_b128 v[99:102], v72 offset:1136
	s_clause 0x4
	buffer_load_dword v108, off, s[0:3], 0 offset:476
	buffer_load_dword v109, off, s[0:3], 0 offset:488
	;; [unrolled: 1-line block ×5, first 2 shown]
	ds_read_b128 v[103:106], v72 offset:1152
	s_clause 0x2
	buffer_load_dword v110, off, s[0:3], 0 offset:492
	buffer_load_dword v115, off, s[0:3], 0 offset:468
	;; [unrolled: 1-line block ×3, first 2 shown]
	s_mov_b32 s4, exec_lo
	s_waitcnt vmcnt(62) lgkmcnt(2)
	v_mul_f64 v[79:80], v[91:92], v[9:10]
	v_mul_f64 v[9:10], v[89:90], v[9:10]
	s_waitcnt lgkmcnt(1)
	v_mul_f64 v[112:113], v[101:102], v[5:6]
	s_waitcnt vmcnt(59) lgkmcnt(0)
	v_mul_f64 v[116:117], v[105:106], v[3:4]
	v_fma_f64 v[79:80], v[89:90], v[7:8], -v[79:80]
	v_mul_f64 v[89:90], v[99:100], v[5:6]
	v_fma_f64 v[9:10], v[91:92], v[7:8], v[9:10]
	s_waitcnt vmcnt(57)
	v_fma_f64 v[99:100], v[99:100], v[1:2], -v[112:113]
	ds_read_b128 v[5:8], v72 offset:1168
	v_mul_f64 v[91:92], v[103:104], v[3:4]
	s_waitcnt vmcnt(51)
	v_fma_f64 v[103:104], v[103:104], v[25:26], -v[116:117]
	v_add_f64 v[79:80], v[79:80], 0
	v_fma_f64 v[89:90], v[101:102], v[1:2], v[89:90]
	v_add_f64 v[9:10], v[9:10], 0
	s_clause 0x4
	buffer_load_dword v102, off, s[0:3], 0 offset:508
	buffer_load_dword v118, off, s[0:3], 0 offset:520
	;; [unrolled: 1-line block ×5, first 2 shown]
	s_waitcnt lgkmcnt(0)
	v_mul_f64 v[121:122], v[5:6], v[13:14]
	v_mul_f64 v[13:14], v[7:8], v[13:14]
	ds_read_b128 v[1:4], v72 offset:1184
	v_fma_f64 v[25:26], v[105:106], v[25:26], v[91:92]
	v_add_f64 v[79:80], v[79:80], v[99:100]
	s_clause 0x2
	buffer_load_dword v119, off, s[0:3], 0 offset:524
	buffer_load_dword v100, off, s[0:3], 0 offset:500
	;; [unrolled: 1-line block ×3, first 2 shown]
	v_add_f64 v[9:10], v[9:10], v[89:90]
	ds_read_b128 v[89:92], v72 offset:1200
	s_waitcnt vmcnt(58) lgkmcnt(1)
	v_mul_f64 v[105:106], v[1:2], v[17:18]
	v_mul_f64 v[17:18], v[3:4], v[17:18]
	s_waitcnt vmcnt(56)
	v_fma_f64 v[13:14], v[5:6], v[19:20], -v[13:14]
	v_fma_f64 v[19:20], v[7:8], v[19:20], v[121:122]
	v_add_f64 v[79:80], v[79:80], v[103:104]
	s_waitcnt vmcnt(52) lgkmcnt(0)
	v_mul_f64 v[122:123], v[89:90], v[21:22]
	v_add_f64 v[9:10], v[9:10], v[25:26]
	s_clause 0x4
	buffer_load_dword v26, off, s[0:3], 0 offset:540
	buffer_load_dword v103, off, s[0:3], 0 offset:552
	;; [unrolled: 1-line block ×5, first 2 shown]
	v_mul_f64 v[21:22], v[91:92], v[21:22]
	s_waitcnt vmcnt(56)
	v_fma_f64 v[17:18], v[1:2], v[11:12], -v[17:18]
	ds_read_b128 v[5:8], v72 offset:1216
	v_fma_f64 v[11:12], v[3:4], v[11:12], v[105:106]
	v_add_f64 v[13:14], v[79:80], v[13:14]
	v_add_f64 v[9:10], v[9:10], v[19:20]
	s_clause 0x2
	buffer_load_dword v104, off, s[0:3], 0 offset:556
	buffer_load_dword v20, off, s[0:3], 0 offset:532
	;; [unrolled: 1-line block ×3, first 2 shown]
	s_waitcnt vmcnt(58) lgkmcnt(0)
	v_mul_f64 v[79:80], v[5:6], v[27:28]
	v_mul_f64 v[27:28], v[7:8], v[27:28]
	s_waitcnt vmcnt(56)
	v_fma_f64 v[21:22], v[89:90], v[29:30], -v[21:22]
	ds_read_b128 v[1:4], v72 offset:1232
	v_add_f64 v[13:14], v[13:14], v[17:18]
	v_fma_f64 v[17:18], v[91:92], v[29:30], v[122:123]
	v_add_f64 v[29:30], v[9:10], v[11:12]
	s_clause 0x4
	buffer_load_dword v90, off, s[0:3], 0 offset:572
	buffer_load_dword v91, off, s[0:3], 0 offset:584
	;; [unrolled: 1-line block ×5, first 2 shown]
	ds_read_b128 v[9:12], v72 offset:1248
	s_waitcnt vmcnt(57) lgkmcnt(1)
	v_mul_f64 v[122:123], v[1:2], v[31:32]
	v_mul_f64 v[31:32], v[3:4], v[31:32]
	s_waitcnt vmcnt(56)
	v_fma_f64 v[27:28], v[5:6], v[15:16], -v[27:28]
	v_fma_f64 v[15:16], v[7:8], v[15:16], v[79:80]
	v_add_f64 v[13:14], v[13:14], v[21:22]
	s_clause 0x2
	buffer_load_dword v92, off, s[0:3], 0 offset:588
	buffer_load_dword v22, off, s[0:3], 0 offset:564
	;; [unrolled: 1-line block ×3, first 2 shown]
	v_add_f64 v[17:18], v[29:30], v[17:18]
	s_waitcnt vmcnt(58) lgkmcnt(0)
	v_mul_f64 v[29:30], v[9:10], v[35:36]
	v_mul_f64 v[35:36], v[11:12], v[35:36]
	ds_read_b128 v[5:8], v72 offset:1264
	s_waitcnt vmcnt(56)
	v_fma_f64 v[31:32], v[1:2], v[37:38], -v[31:32]
	v_add_f64 v[13:14], v[13:14], v[27:28]
	v_fma_f64 v[27:28], v[3:4], v[37:38], v[122:123]
	v_add_f64 v[15:16], v[17:18], v[15:16]
	s_clause 0x4
	buffer_load_dword v18, off, s[0:3], 0 offset:604
	buffer_load_dword v37, off, s[0:3], 0 offset:616
	;; [unrolled: 1-line block ×5, first 2 shown]
	s_waitcnt vmcnt(57) lgkmcnt(0)
	v_mul_f64 v[122:123], v[5:6], v[39:40]
	v_mul_f64 v[39:40], v[7:8], v[39:40]
	s_waitcnt vmcnt(56)
	v_fma_f64 v[35:36], v[9:10], v[23:24], -v[35:36]
	ds_read_b128 v[1:4], v72 offset:1280
	v_fma_f64 v[23:24], v[11:12], v[23:24], v[29:30]
	v_add_f64 v[13:14], v[13:14], v[31:32]
	v_add_f64 v[15:16], v[15:16], v[27:28]
	s_clause 0x2
	buffer_load_dword v38, off, s[0:3], 0 offset:620
	buffer_load_dword v28, off, s[0:3], 0 offset:596
	;; [unrolled: 1-line block ×3, first 2 shown]
	ds_read_b128 v[9:12], v72 offset:1296
	s_waitcnt vmcnt(58) lgkmcnt(1)
	v_mul_f64 v[31:32], v[3:4], v[43:44]
	s_waitcnt vmcnt(56)
	v_fma_f64 v[39:40], v[5:6], v[45:46], -v[39:40]
	v_mul_f64 v[29:30], v[1:2], v[43:44]
	v_add_f64 v[13:14], v[13:14], v[35:36]
	v_fma_f64 v[35:36], v[7:8], v[45:46], v[122:123]
	v_add_f64 v[15:16], v[15:16], v[23:24]
	s_clause 0x4
	buffer_load_dword v24, off, s[0:3], 0 offset:636
	buffer_load_dword v43, off, s[0:3], 0 offset:648
	;; [unrolled: 1-line block ×5, first 2 shown]
	s_waitcnt vmcnt(57) lgkmcnt(0)
	v_mul_f64 v[122:123], v[9:10], v[47:48]
	v_mul_f64 v[46:47], v[11:12], v[47:48]
	s_waitcnt vmcnt(56)
	v_fma_f64 v[31:32], v[1:2], v[33:34], -v[31:32]
	ds_read_b128 v[5:8], v72 offset:1312
	v_fma_f64 v[29:30], v[3:4], v[33:34], v[29:30]
	s_clause 0x2
	buffer_load_dword v44, off, s[0:3], 0 offset:652
	buffer_load_dword v34, off, s[0:3], 0 offset:628
	;; [unrolled: 1-line block ×3, first 2 shown]
	ds_read_b128 v[1:4], v72 offset:1328
	v_add_f64 v[13:14], v[13:14], v[39:40]
	v_add_f64 v[15:16], v[15:16], v[35:36]
	s_waitcnt vmcnt(58) lgkmcnt(1)
	v_mul_f64 v[39:40], v[7:8], v[51:52]
	s_waitcnt vmcnt(56)
	v_fma_f64 v[47:48], v[9:10], v[53:54], -v[46:47]
	v_mul_f64 v[35:36], v[5:6], v[51:52]
	v_add_f64 v[13:14], v[13:14], v[31:32]
	v_fma_f64 v[31:32], v[11:12], v[53:54], v[122:123]
	v_add_f64 v[15:16], v[15:16], v[29:30]
	s_clause 0x4
	buffer_load_dword v30, off, s[0:3], 0 offset:668
	buffer_load_dword v51, off, s[0:3], 0 offset:680
	buffer_load_dword v53, off, s[0:3], 0 offset:672
	buffer_load_dword v29, off, s[0:3], 0 offset:664
	buffer_load_dword v46, off, s[0:3], 0 offset:644
	s_waitcnt vmcnt(57) lgkmcnt(0)
	v_mul_f64 v[122:123], v[1:2], v[55:56]
	v_mul_f64 v[54:55], v[3:4], v[55:56]
	s_waitcnt vmcnt(56)
	v_fma_f64 v[39:40], v[5:6], v[41:42], -v[39:40]
	ds_read_b128 v[9:12], v72 offset:1344
	v_fma_f64 v[35:36], v[7:8], v[41:42], v[35:36]
	v_add_f64 v[13:14], v[13:14], v[47:48]
	v_add_f64 v[15:16], v[15:16], v[31:32]
	s_clause 0x2
	buffer_load_dword v52, off, s[0:3], 0 offset:684
	buffer_load_dword v32, off, s[0:3], 0 offset:660
	;; [unrolled: 1-line block ×3, first 2 shown]
	ds_read_b128 v[5:8], v72 offset:1360
	s_waitcnt vmcnt(58) lgkmcnt(1)
	v_mul_f64 v[47:48], v[11:12], v[57:58]
	s_waitcnt vmcnt(56)
	v_fma_f64 v[55:56], v[1:2], v[77:78], -v[54:55]
	v_mul_f64 v[41:42], v[9:10], v[57:58]
	v_add_f64 v[13:14], v[13:14], v[39:40]
	v_fma_f64 v[39:40], v[3:4], v[77:78], v[122:123]
	v_add_f64 v[15:16], v[15:16], v[35:36]
	s_clause 0x4
	buffer_load_dword v36, off, s[0:3], 0 offset:700
	buffer_load_dword v57, off, s[0:3], 0 offset:712
	;; [unrolled: 1-line block ×5, first 2 shown]
	s_waitcnt vmcnt(57) lgkmcnt(0)
	v_mul_f64 v[122:123], v[5:6], v[107:108]
	v_mul_f64 v[107:108], v[7:8], v[107:108]
	s_waitcnt vmcnt(56)
	v_fma_f64 v[47:48], v[9:10], v[49:50], -v[47:48]
	ds_read_b128 v[1:4], v72 offset:1376
	v_fma_f64 v[41:42], v[11:12], v[49:50], v[41:42]
	v_add_f64 v[13:14], v[13:14], v[55:56]
	v_add_f64 v[15:16], v[15:16], v[39:40]
	s_clause 0x2
	buffer_load_dword v58, off, s[0:3], 0 offset:716
	buffer_load_dword v40, off, s[0:3], 0 offset:692
	;; [unrolled: 1-line block ×3, first 2 shown]
	ds_read_b128 v[9:12], v72 offset:1392
	s_waitcnt vmcnt(58) lgkmcnt(1)
	v_mul_f64 v[55:56], v[3:4], v[109:110]
	s_waitcnt vmcnt(56)
	v_fma_f64 v[107:108], v[5:6], v[114:115], -v[107:108]
	v_mul_f64 v[49:50], v[1:2], v[109:110]
	v_add_f64 v[13:14], v[13:14], v[47:48]
	v_fma_f64 v[47:48], v[7:8], v[114:115], v[122:123]
	v_add_f64 v[15:16], v[15:16], v[41:42]
	s_clause 0x4
	buffer_load_dword v42, off, s[0:3], 0 offset:732
	buffer_load_dword v109, off, s[0:3], 0 offset:744
	;; [unrolled: 1-line block ×5, first 2 shown]
	ds_read_b128 v[5:8], v72 offset:1408
	s_waitcnt vmcnt(57) lgkmcnt(1)
	v_mul_f64 v[114:115], v[9:10], v[101:102]
	v_mul_f64 v[101:102], v[11:12], v[101:102]
	s_waitcnt vmcnt(56)
	v_fma_f64 v[55:56], v[1:2], v[111:112], -v[55:56]
	v_fma_f64 v[49:50], v[3:4], v[111:112], v[49:50]
	v_add_f64 v[13:14], v[13:14], v[107:108]
	v_add_f64 v[15:16], v[15:16], v[47:48]
	s_clause 0x2
	buffer_load_dword v110, off, s[0:3], 0 offset:748
	buffer_load_dword v48, off, s[0:3], 0 offset:724
	;; [unrolled: 1-line block ×3, first 2 shown]
	ds_read_b128 v[1:4], v72 offset:1424
	s_waitcnt vmcnt(58) lgkmcnt(1)
	v_mul_f64 v[111:112], v[7:8], v[118:119]
	v_mul_f64 v[107:108], v[5:6], v[118:119]
	s_waitcnt vmcnt(56)
	v_fma_f64 v[101:102], v[9:10], v[99:100], -v[101:102]
	v_add_f64 v[13:14], v[13:14], v[55:56]
	v_fma_f64 v[55:56], v[11:12], v[99:100], v[114:115]
	v_add_f64 v[15:16], v[15:16], v[49:50]
	s_clause 0x4
	buffer_load_dword v50, off, s[0:3], 0 offset:764
	buffer_load_dword v99, off, s[0:3], 0 offset:776
	buffer_load_dword v118, off, s[0:3], 0 offset:768
	buffer_load_dword v49, off, s[0:3], 0 offset:760
	buffer_load_dword v114, off, s[0:3], 0 offset:740
	ds_read_b128 v[9:12], v72 offset:1440
	s_waitcnt vmcnt(57) lgkmcnt(1)
	v_mul_f64 v[122:123], v[1:2], v[25:26]
	v_mul_f64 v[25:26], v[3:4], v[25:26]
	s_waitcnt vmcnt(56)
	v_fma_f64 v[111:112], v[5:6], v[120:121], -v[111:112]
	v_add_f64 v[13:14], v[13:14], v[101:102]
	v_fma_f64 v[101:102], v[7:8], v[120:121], v[107:108]
	v_add_f64 v[15:16], v[15:16], v[55:56]
	s_clause 0x2
	buffer_load_dword v100, off, s[0:3], 0 offset:780
	buffer_load_dword v56, off, s[0:3], 0 offset:756
	buffer_load_dword v55, off, s[0:3], 0 offset:752
	ds_read_b128 v[5:8], v72 offset:1456
	s_waitcnt vmcnt(58) lgkmcnt(1)
	v_mul_f64 v[107:108], v[9:10], v[103:104]
	v_mul_f64 v[103:104], v[11:12], v[103:104]
	s_waitcnt vmcnt(56)
	v_fma_f64 v[25:26], v[1:2], v[19:20], -v[25:26]
	v_fma_f64 v[19:20], v[3:4], v[19:20], v[122:123]
	v_add_f64 v[13:14], v[13:14], v[111:112]
	v_add_f64 v[15:16], v[15:16], v[101:102]
	s_clause 0x4
	buffer_load_dword v102, off, s[0:3], 0 offset:796
	buffer_load_dword v111, off, s[0:3], 0 offset:808
	buffer_load_dword v115, off, s[0:3], 0 offset:800
	buffer_load_dword v101, off, s[0:3], 0 offset:792
	buffer_load_dword v119, off, s[0:3], 0 offset:772
	ds_read_b128 v[1:4], v72 offset:1472
	s_waitcnt vmcnt(57) lgkmcnt(1)
	v_mul_f64 v[120:121], v[5:6], v[89:90]
	v_mul_f64 v[89:90], v[7:8], v[89:90]
	s_waitcnt vmcnt(56)
	v_fma_f64 v[103:104], v[9:10], v[116:117], -v[103:104]
	v_add_f64 v[13:14], v[13:14], v[25:26]
	v_fma_f64 v[25:26], v[11:12], v[116:117], v[107:108]
	v_add_f64 v[15:16], v[15:16], v[19:20]
	s_clause 0x2
	buffer_load_dword v112, off, s[0:3], 0 offset:812
	buffer_load_dword v20, off, s[0:3], 0 offset:788
	buffer_load_dword v19, off, s[0:3], 0 offset:784
	ds_read_b128 v[9:12], v72 offset:1488
	s_waitcnt vmcnt(58) lgkmcnt(1)
	v_mul_f64 v[107:108], v[1:2], v[91:92]
	v_mul_f64 v[91:92], v[3:4], v[91:92]
	s_waitcnt vmcnt(56)
	v_fma_f64 v[89:90], v[5:6], v[21:22], -v[89:90]
	v_fma_f64 v[21:22], v[7:8], v[21:22], v[120:121]
	v_add_f64 v[13:14], v[13:14], v[103:104]
	;; [unrolled: 28-line block ×3, first 2 shown]
	v_add_f64 v[15:16], v[15:16], v[89:90]
	s_clause 0x4
	buffer_load_dword v90, off, s[0:3], 0 offset:860
	buffer_load_dword v91, off, s[0:3], 0 offset:872
	buffer_load_dword v107, off, s[0:3], 0 offset:864
	buffer_load_dword v89, off, s[0:3], 0 offset:856
	buffer_load_dword v121, off, s[0:3], 0 offset:836
	ds_read_b128 v[9:12], v72 offset:1536
	s_waitcnt vmcnt(57) lgkmcnt(1)
	v_mul_f64 v[122:123], v[1:2], v[23:24]
	v_mul_f64 v[23:24], v[3:4], v[23:24]
	s_waitcnt vmcnt(56)
	v_fma_f64 v[37:38], v[5:6], v[79:80], -v[37:38]
	v_add_f64 v[13:14], v[13:14], v[17:18]
	v_fma_f64 v[17:18], v[7:8], v[79:80], v[105:106]
	v_add_f64 v[15:16], v[15:16], v[27:28]
	s_clause 0x2
	buffer_load_dword v92, off, s[0:3], 0 offset:876
	buffer_load_dword v28, off, s[0:3], 0 offset:852
	;; [unrolled: 1-line block ×3, first 2 shown]
	s_waitcnt vmcnt(58) lgkmcnt(0)
	v_mul_f64 v[79:80], v[9:10], v[43:44]
	v_mul_f64 v[43:44], v[11:12], v[43:44]
	ds_read_b128 v[5:8], v72 offset:1552
	s_waitcnt vmcnt(56)
	v_fma_f64 v[23:24], v[1:2], v[33:34], -v[23:24]
	v_fma_f64 v[33:34], v[3:4], v[33:34], v[122:123]
	v_add_f64 v[13:14], v[13:14], v[37:38]
	v_add_f64 v[15:16], v[15:16], v[17:18]
	s_clause 0x4
	buffer_load_dword v18, off, s[0:3], 0 offset:892
	buffer_load_dword v37, off, s[0:3], 0 offset:904
	;; [unrolled: 1-line block ×5, first 2 shown]
	ds_read_b128 v[1:4], v72 offset:1568
	s_waitcnt vmcnt(57) lgkmcnt(1)
	v_mul_f64 v[122:123], v[5:6], v[29:30]
	v_mul_f64 v[29:30], v[7:8], v[29:30]
	s_waitcnt vmcnt(56)
	v_fma_f64 v[43:44], v[9:10], v[45:46], -v[43:44]
	v_add_f64 v[13:14], v[13:14], v[23:24]
	v_fma_f64 v[23:24], v[11:12], v[45:46], v[79:80]
	v_add_f64 v[15:16], v[15:16], v[33:34]
	s_clause 0x2
	buffer_load_dword v38, off, s[0:3], 0 offset:908
	buffer_load_dword v34, off, s[0:3], 0 offset:884
	;; [unrolled: 1-line block ×3, first 2 shown]
	ds_read_b128 v[9:12], v72 offset:1584
	s_waitcnt vmcnt(58) lgkmcnt(1)
	v_mul_f64 v[45:46], v[1:2], v[51:52]
	v_mul_f64 v[51:52], v[3:4], v[51:52]
	s_waitcnt vmcnt(56)
	v_fma_f64 v[29:30], v[5:6], v[31:32], -v[29:30]
	v_fma_f64 v[31:32], v[7:8], v[31:32], v[122:123]
	v_add_f64 v[13:14], v[13:14], v[43:44]
	v_add_f64 v[15:16], v[15:16], v[23:24]
	s_clause 0x2
	buffer_load_dword v24, off, s[0:3], 0 offset:924
	buffer_load_dword v23, off, s[0:3], 0 offset:920
	;; [unrolled: 1-line block ×3, first 2 shown]
	ds_read_b128 v[5:8], v72 offset:1600
	s_waitcnt vmcnt(55) lgkmcnt(1)
	v_mul_f64 v[43:44], v[9:10], v[35:36]
	v_mul_f64 v[35:36], v[11:12], v[35:36]
	s_waitcnt vmcnt(54)
	v_fma_f64 v[51:52], v[1:2], v[53:54], -v[51:52]
	v_add_f64 v[13:14], v[13:14], v[29:30]
	v_fma_f64 v[29:30], v[3:4], v[53:54], v[45:46]
	v_add_f64 v[15:16], v[15:16], v[31:32]
	s_clause 0x1
	buffer_load_dword v32, off, s[0:3], 0 offset:916
	buffer_load_dword v31, off, s[0:3], 0 offset:912
	ds_read_b128 v[1:4], v72 offset:1616
	s_waitcnt vmcnt(55) lgkmcnt(1)
	v_mul_f64 v[53:54], v[7:8], v[57:58]
	v_mul_f64 v[45:46], v[5:6], v[57:58]
	s_waitcnt vmcnt(53)
	v_fma_f64 v[35:36], v[9:10], v[39:40], -v[35:36]
	v_fma_f64 v[39:40], v[11:12], v[39:40], v[43:44]
	ds_read_b128 v[9:12], v72 offset:1632
	v_add_f64 v[13:14], v[13:14], v[51:52]
	v_add_f64 v[15:16], v[15:16], v[29:30]
	s_waitcnt vmcnt(49) lgkmcnt(1)
	v_mul_f64 v[29:30], v[1:2], v[41:42]
	v_mul_f64 v[41:42], v[3:4], v[41:42]
	s_waitcnt vmcnt(48)
	v_fma_f64 v[43:44], v[5:6], v[77:78], -v[53:54]
	v_add_f64 v[13:14], v[13:14], v[35:36]
	v_fma_f64 v[35:36], v[7:8], v[77:78], v[45:46]
	v_add_f64 v[15:16], v[15:16], v[39:40]
	s_clause 0x3
	buffer_load_dword v39, off, s[0:3], 0 offset:208
	buffer_load_dword v40, off, s[0:3], 0 offset:212
	;; [unrolled: 1-line block ×4, first 2 shown]
	ds_read_b128 v[5:8], v72 offset:1648
	s_waitcnt vmcnt(51) lgkmcnt(1)
	v_mul_f64 v[53:54], v[11:12], v[109:110]
	v_mul_f64 v[51:52], v[9:10], v[109:110]
	s_waitcnt vmcnt(49)
	v_fma_f64 v[41:42], v[1:2], v[47:48], -v[41:42]
	v_fma_f64 v[29:30], v[3:4], v[47:48], v[29:30]
	ds_read_b128 v[1:4], v72 offset:1664
	v_add_f64 v[13:14], v[13:14], v[43:44]
	v_add_f64 v[15:16], v[15:16], v[35:36]
	s_waitcnt vmcnt(45) lgkmcnt(1)
	v_mul_f64 v[43:44], v[7:8], v[49:50]
	s_waitcnt vmcnt(44)
	v_fma_f64 v[47:48], v[9:10], v[113:114], -v[53:54]
	v_mul_f64 v[35:36], v[5:6], v[49:50]
	v_add_f64 v[13:14], v[13:14], v[41:42]
	v_fma_f64 v[41:42], v[11:12], v[113:114], v[51:52]
	v_add_f64 v[15:16], v[15:16], v[29:30]
	ds_read_b128 v[9:12], v72 offset:1680
	s_waitcnt vmcnt(43) lgkmcnt(1)
	v_mul_f64 v[49:50], v[3:4], v[99:100]
	v_mul_f64 v[29:30], v[1:2], v[99:100]
	s_waitcnt vmcnt(41)
	v_fma_f64 v[43:44], v[5:6], v[55:56], -v[43:44]
	v_fma_f64 v[35:36], v[7:8], v[55:56], v[35:36]
	ds_read_b128 v[5:8], v72 offset:1696
	v_add_f64 v[13:14], v[13:14], v[47:48]
	v_add_f64 v[15:16], v[15:16], v[41:42]
	s_waitcnt vmcnt(37) lgkmcnt(1)
	v_mul_f64 v[47:48], v[11:12], v[101:102]
	s_waitcnt vmcnt(36)
	v_fma_f64 v[49:50], v[1:2], v[118:119], -v[49:50]
	v_mul_f64 v[41:42], v[9:10], v[101:102]
	v_fma_f64 v[29:30], v[3:4], v[118:119], v[29:30]
	ds_read_b128 v[1:4], v72 offset:1712
	v_add_f64 v[13:14], v[13:14], v[43:44]
	v_add_f64 v[15:16], v[15:16], v[35:36]
	s_waitcnt vmcnt(35) lgkmcnt(1)
	v_mul_f64 v[43:44], v[7:8], v[111:112]
	v_mul_f64 v[35:36], v[5:6], v[111:112]
	s_waitcnt vmcnt(33)
	v_fma_f64 v[47:48], v[9:10], v[19:20], -v[47:48]
	v_fma_f64 v[19:20], v[11:12], v[19:20], v[41:42]
	ds_read_b128 v[9:12], v72 offset:1728
	v_add_f64 v[13:14], v[13:14], v[49:50]
	v_add_f64 v[15:16], v[15:16], v[29:30]
	s_waitcnt vmcnt(29) lgkmcnt(1)
	v_mul_f64 v[29:30], v[1:2], v[25:26]
	v_mul_f64 v[25:26], v[3:4], v[25:26]
	s_waitcnt vmcnt(28)
	v_fma_f64 v[41:42], v[5:6], v[115:116], -v[43:44]
	;; [unrolled: 9-line block ×3, first 2 shown]
	v_fma_f64 v[21:22], v[3:4], v[21:22], v[29:30]
	ds_read_b128 v[1:4], v72 offset:1760
	v_add_f64 v[13:14], v[13:14], v[41:42]
	v_add_f64 v[15:16], v[15:16], v[35:36]
	s_waitcnt vmcnt(21) lgkmcnt(1)
	v_mul_f64 v[35:36], v[7:8], v[89:90]
	s_waitcnt vmcnt(20)
	v_fma_f64 v[41:42], v[9:10], v[120:121], -v[43:44]
	v_mul_f64 v[29:30], v[5:6], v[89:90]
	v_fma_f64 v[19:20], v[11:12], v[120:121], v[19:20]
	ds_read_b128 v[9:12], v72 offset:1776
	v_add_f64 v[13:14], v[13:14], v[25:26]
	v_add_f64 v[15:16], v[15:16], v[21:22]
	s_waitcnt vmcnt(19) lgkmcnt(1)
	v_mul_f64 v[25:26], v[3:4], v[91:92]
	v_mul_f64 v[21:22], v[1:2], v[91:92]
	s_waitcnt vmcnt(17)
	v_fma_f64 v[35:36], v[5:6], v[27:28], -v[35:36]
	v_fma_f64 v[27:28], v[7:8], v[27:28], v[29:30]
	ds_read_b128 v[5:8], v72 offset:1792
	v_add_f64 v[13:14], v[13:14], v[41:42]
	v_add_f64 v[15:16], v[15:16], v[19:20]
	s_waitcnt vmcnt(13) lgkmcnt(1)
	v_mul_f64 v[19:20], v[9:10], v[17:18]
	v_mul_f64 v[17:18], v[11:12], v[17:18]
	s_waitcnt vmcnt(12)
	v_fma_f64 v[25:26], v[1:2], v[107:108], -v[25:26]
	;; [unrolled: 9-line block ×3, first 2 shown]
	v_fma_f64 v[11:12], v[11:12], v[33:34], v[19:20]
	v_add_f64 v[13:14], v[13:14], v[25:26]
	v_add_f64 v[15:16], v[15:16], v[21:22]
	s_waitcnt vmcnt(7) lgkmcnt(0)
	v_mul_f64 v[19:20], v[3:4], v[23:24]
	s_waitcnt vmcnt(6)
	v_fma_f64 v[5:6], v[5:6], v[105:106], -v[29:30]
	v_mul_f64 v[17:18], v[1:2], v[23:24]
	v_fma_f64 v[7:8], v[7:8], v[105:106], v[27:28]
	v_add_f64 v[9:10], v[13:14], v[9:10]
	v_add_f64 v[11:12], v[15:16], v[11:12]
	s_waitcnt vmcnt(4)
	v_fma_f64 v[1:2], v[1:2], v[31:32], -v[19:20]
	v_fma_f64 v[3:4], v[3:4], v[31:32], v[17:18]
	v_add_f64 v[5:6], v[9:10], v[5:6]
	v_add_f64 v[7:8], v[11:12], v[7:8]
	;; [unrolled: 1-line block ×4, first 2 shown]
	s_waitcnt vmcnt(2)
	v_add_f64 v[1:2], v[39:40], -v[1:2]
	s_waitcnt vmcnt(0)
	v_add_f64 v[3:4], v[45:46], -v[3:4]
	buffer_store_dword v2, off, s[0:3], 0 offset:212
	buffer_store_dword v1, off, s[0:3], 0 offset:208
	buffer_store_dword v4, off, s[0:3], 0 offset:220
	buffer_store_dword v3, off, s[0:3], 0 offset:216
	v_cmpx_lt_u32_e32 11, v0
	s_cbranch_execz .LBB56_333
; %bb.332:
	v_mov_b32_e32 v4, s58
	v_mov_b32_e32 v5, 0
	s_clause 0x3
	buffer_load_dword v1, v4, s[0:3], 0 offen
	buffer_load_dword v2, v4, s[0:3], 0 offen offset:4
	buffer_load_dword v3, v4, s[0:3], 0 offen offset:8
	;; [unrolled: 1-line block ×3, first 2 shown]
	buffer_store_dword v5, off, s[0:3], 0 offset:192
	buffer_store_dword v5, off, s[0:3], 0 offset:196
	;; [unrolled: 1-line block ×4, first 2 shown]
	s_waitcnt vmcnt(0)
	ds_write_b128 v59, v[1:4]
.LBB56_333:
	s_or_b32 exec_lo, exec_lo, s4
	s_waitcnt lgkmcnt(0)
	s_waitcnt_vscnt null, 0x0
	s_barrier
	buffer_gl0_inv
	s_clause 0x37
	buffer_load_dword v13, off, s[0:3], 0 offset:216
	buffer_load_dword v14, off, s[0:3], 0 offset:220
	;; [unrolled: 1-line block ×56, first 2 shown]
	v_mov_b32_e32 v72, 0
	s_mov_b32 s4, exec_lo
	ds_read_b128 v[99:102], v72 offset:1104
	s_clause 0x2
	buffer_load_dword v80, off, s[0:3], 0 offset:444
	buffer_load_dword v90, off, s[0:3], 0 offset:420
	;; [unrolled: 1-line block ×3, first 2 shown]
	ds_read_b128 v[1:4], v72 offset:1120
	s_clause 0x4
	buffer_load_dword v108, off, s[0:3], 0 offset:460
	buffer_load_dword v109, off, s[0:3], 0 offset:472
	;; [unrolled: 1-line block ×5, first 2 shown]
	ds_read_b128 v[103:106], v72 offset:1136
	s_waitcnt vmcnt(62) lgkmcnt(2)
	v_mul_f64 v[91:92], v[101:102], v[13:14]
	v_mul_f64 v[13:14], v[99:100], v[13:14]
	s_waitcnt vmcnt(60) lgkmcnt(1)
	v_mul_f64 v[112:113], v[3:4], v[9:10]
	s_waitcnt vmcnt(56) lgkmcnt(0)
	v_mul_f64 v[114:115], v[103:104], v[7:8]
	v_mul_f64 v[7:8], v[105:106], v[7:8]
	v_fma_f64 v[91:92], v[99:100], v[11:12], -v[91:92]
	v_mul_f64 v[99:100], v[1:2], v[9:10]
	v_fma_f64 v[13:14], v[101:102], v[11:12], v[13:14]
	s_clause 0x2
	buffer_load_dword v110, off, s[0:3], 0 offset:476
	buffer_load_dword v102, off, s[0:3], 0 offset:452
	;; [unrolled: 1-line block ×3, first 2 shown]
	s_waitcnt vmcnt(57)
	v_fma_f64 v[116:117], v[1:2], v[5:6], -v[112:113]
	ds_read_b128 v[9:12], v72 offset:1152
	s_waitcnt vmcnt(51)
	v_fma_f64 v[103:104], v[103:104], v[29:30], -v[7:8]
	v_fma_f64 v[29:30], v[105:106], v[29:30], v[114:115]
	v_add_f64 v[91:92], v[91:92], 0
	v_fma_f64 v[5:6], v[3:4], v[5:6], v[99:100]
	v_add_f64 v[13:14], v[13:14], 0
	s_clause 0x4
	buffer_load_dword v100, off, s[0:3], 0 offset:492
	buffer_load_dword v113, off, s[0:3], 0 offset:504
	;; [unrolled: 1-line block ×5, first 2 shown]
	s_waitcnt lgkmcnt(0)
	v_mul_f64 v[119:120], v[9:10], v[17:18]
	v_mul_f64 v[17:18], v[11:12], v[17:18]
	ds_read_b128 v[1:4], v72 offset:1168
	s_clause 0x2
	buffer_load_dword v114, off, s[0:3], 0 offset:508
	buffer_load_dword v106, off, s[0:3], 0 offset:484
	;; [unrolled: 1-line block ×3, first 2 shown]
	v_add_f64 v[91:92], v[91:92], v[116:117]
	v_add_f64 v[13:14], v[13:14], v[5:6]
	ds_read_b128 v[5:8], v72 offset:1184
	s_waitcnt vmcnt(58) lgkmcnt(1)
	v_mul_f64 v[115:116], v[1:2], v[21:22]
	v_mul_f64 v[21:22], v[3:4], v[21:22]
	s_waitcnt vmcnt(56)
	v_fma_f64 v[17:18], v[9:10], v[23:24], -v[17:18]
	v_fma_f64 v[23:24], v[11:12], v[23:24], v[119:120]
	v_add_f64 v[91:92], v[91:92], v[103:104]
	s_waitcnt vmcnt(52) lgkmcnt(0)
	v_mul_f64 v[121:122], v[5:6], v[25:26]
	v_add_f64 v[13:14], v[13:14], v[29:30]
	s_clause 0x4
	buffer_load_dword v30, off, s[0:3], 0 offset:524
	buffer_load_dword v103, off, s[0:3], 0 offset:536
	;; [unrolled: 1-line block ×5, first 2 shown]
	v_mul_f64 v[25:26], v[7:8], v[25:26]
	s_waitcnt vmcnt(56)
	v_fma_f64 v[21:22], v[1:2], v[15:16], -v[21:22]
	ds_read_b128 v[9:12], v72 offset:1200
	v_fma_f64 v[15:16], v[3:4], v[15:16], v[115:116]
	v_add_f64 v[17:18], v[91:92], v[17:18]
	v_add_f64 v[13:14], v[13:14], v[23:24]
	s_clause 0x2
	buffer_load_dword v104, off, s[0:3], 0 offset:540
	buffer_load_dword v24, off, s[0:3], 0 offset:516
	;; [unrolled: 1-line block ×3, first 2 shown]
	s_waitcnt vmcnt(58) lgkmcnt(0)
	v_mul_f64 v[91:92], v[9:10], v[31:32]
	v_mul_f64 v[31:32], v[11:12], v[31:32]
	s_waitcnt vmcnt(56)
	v_fma_f64 v[25:26], v[5:6], v[33:34], -v[25:26]
	ds_read_b128 v[1:4], v72 offset:1216
	v_add_f64 v[17:18], v[17:18], v[21:22]
	v_fma_f64 v[21:22], v[7:8], v[33:34], v[121:122]
	v_add_f64 v[13:14], v[13:14], v[15:16]
	s_clause 0x4
	buffer_load_dword v16, off, s[0:3], 0 offset:556
	buffer_load_dword v33, off, s[0:3], 0 offset:568
	;; [unrolled: 1-line block ×5, first 2 shown]
	ds_read_b128 v[5:8], v72 offset:1232
	s_waitcnt vmcnt(57) lgkmcnt(1)
	v_mul_f64 v[116:117], v[1:2], v[35:36]
	v_mul_f64 v[35:36], v[3:4], v[35:36]
	s_waitcnt vmcnt(56)
	v_fma_f64 v[31:32], v[9:10], v[19:20], -v[31:32]
	v_fma_f64 v[19:20], v[11:12], v[19:20], v[91:92]
	v_add_f64 v[17:18], v[17:18], v[25:26]
	v_add_f64 v[13:14], v[13:14], v[21:22]
	s_clause 0x2
	buffer_load_dword v34, off, s[0:3], 0 offset:572
	buffer_load_dword v22, off, s[0:3], 0 offset:548
	;; [unrolled: 1-line block ×3, first 2 shown]
	s_waitcnt vmcnt(58) lgkmcnt(0)
	v_mul_f64 v[25:26], v[5:6], v[39:40]
	v_mul_f64 v[39:40], v[7:8], v[39:40]
	s_waitcnt vmcnt(56)
	v_fma_f64 v[35:36], v[1:2], v[41:42], -v[35:36]
	ds_read_b128 v[9:12], v72 offset:1248
	v_add_f64 v[17:18], v[17:18], v[31:32]
	v_fma_f64 v[31:32], v[3:4], v[41:42], v[116:117]
	v_add_f64 v[13:14], v[13:14], v[19:20]
	s_clause 0x4
	buffer_load_dword v20, off, s[0:3], 0 offset:588
	buffer_load_dword v41, off, s[0:3], 0 offset:600
	;; [unrolled: 1-line block ×5, first 2 shown]
	ds_read_b128 v[1:4], v72 offset:1264
	s_waitcnt vmcnt(57) lgkmcnt(1)
	v_mul_f64 v[122:123], v[9:10], v[43:44]
	v_mul_f64 v[43:44], v[11:12], v[43:44]
	s_waitcnt vmcnt(56)
	v_fma_f64 v[39:40], v[5:6], v[27:28], -v[39:40]
	v_fma_f64 v[25:26], v[7:8], v[27:28], v[25:26]
	s_clause 0x2
	buffer_load_dword v42, off, s[0:3], 0 offset:604
	buffer_load_dword v28, off, s[0:3], 0 offset:580
	;; [unrolled: 1-line block ×3, first 2 shown]
	ds_read_b128 v[5:8], v72 offset:1280
	v_add_f64 v[17:18], v[17:18], v[35:36]
	v_add_f64 v[13:14], v[13:14], v[31:32]
	s_waitcnt vmcnt(58) lgkmcnt(1)
	v_mul_f64 v[35:36], v[3:4], v[47:48]
	v_mul_f64 v[31:32], v[1:2], v[47:48]
	s_waitcnt vmcnt(56)
	v_fma_f64 v[43:44], v[9:10], v[49:50], -v[43:44]
	v_add_f64 v[17:18], v[17:18], v[39:40]
	v_fma_f64 v[39:40], v[11:12], v[49:50], v[122:123]
	v_add_f64 v[13:14], v[13:14], v[25:26]
	s_clause 0x4
	buffer_load_dword v26, off, s[0:3], 0 offset:620
	buffer_load_dword v47, off, s[0:3], 0 offset:632
	;; [unrolled: 1-line block ×5, first 2 shown]
	s_waitcnt vmcnt(57) lgkmcnt(0)
	v_mul_f64 v[122:123], v[5:6], v[51:52]
	v_mul_f64 v[50:51], v[7:8], v[51:52]
	s_waitcnt vmcnt(56)
	v_fma_f64 v[35:36], v[1:2], v[37:38], -v[35:36]
	ds_read_b128 v[9:12], v72 offset:1296
	v_fma_f64 v[31:32], v[3:4], v[37:38], v[31:32]
	s_clause 0x2
	buffer_load_dword v48, off, s[0:3], 0 offset:636
	buffer_load_dword v38, off, s[0:3], 0 offset:612
	;; [unrolled: 1-line block ×3, first 2 shown]
	ds_read_b128 v[1:4], v72 offset:1312
	v_add_f64 v[17:18], v[17:18], v[43:44]
	v_add_f64 v[13:14], v[13:14], v[39:40]
	s_waitcnt vmcnt(58) lgkmcnt(1)
	v_mul_f64 v[43:44], v[11:12], v[55:56]
	s_waitcnt vmcnt(56)
	v_fma_f64 v[51:52], v[5:6], v[57:58], -v[50:51]
	v_mul_f64 v[39:40], v[9:10], v[55:56]
	v_add_f64 v[17:18], v[17:18], v[35:36]
	v_fma_f64 v[35:36], v[7:8], v[57:58], v[122:123]
	v_add_f64 v[13:14], v[13:14], v[31:32]
	s_clause 0x4
	buffer_load_dword v32, off, s[0:3], 0 offset:652
	buffer_load_dword v55, off, s[0:3], 0 offset:664
	;; [unrolled: 1-line block ×5, first 2 shown]
	s_waitcnt vmcnt(57) lgkmcnt(0)
	v_mul_f64 v[122:123], v[1:2], v[77:78]
	v_mul_f64 v[77:78], v[3:4], v[77:78]
	s_waitcnt vmcnt(56)
	v_fma_f64 v[43:44], v[9:10], v[45:46], -v[43:44]
	ds_read_b128 v[5:8], v72 offset:1328
	v_fma_f64 v[39:40], v[11:12], v[45:46], v[39:40]
	v_add_f64 v[17:18], v[17:18], v[51:52]
	v_add_f64 v[13:14], v[13:14], v[35:36]
	s_clause 0x2
	buffer_load_dword v56, off, s[0:3], 0 offset:668
	buffer_load_dword v36, off, s[0:3], 0 offset:644
	;; [unrolled: 1-line block ×3, first 2 shown]
	ds_read_b128 v[9:12], v72 offset:1344
	s_waitcnt vmcnt(58) lgkmcnt(1)
	v_mul_f64 v[51:52], v[7:8], v[79:80]
	s_waitcnt vmcnt(56)
	v_fma_f64 v[77:78], v[1:2], v[89:90], -v[77:78]
	v_mul_f64 v[45:46], v[5:6], v[79:80]
	v_add_f64 v[17:18], v[17:18], v[43:44]
	v_fma_f64 v[43:44], v[3:4], v[89:90], v[122:123]
	v_add_f64 v[13:14], v[13:14], v[39:40]
	s_clause 0x4
	buffer_load_dword v40, off, s[0:3], 0 offset:684
	buffer_load_dword v79, off, s[0:3], 0 offset:696
	;; [unrolled: 1-line block ×5, first 2 shown]
	s_waitcnt vmcnt(57) lgkmcnt(0)
	v_mul_f64 v[122:123], v[9:10], v[107:108]
	v_mul_f64 v[107:108], v[11:12], v[107:108]
	s_waitcnt vmcnt(56)
	v_fma_f64 v[51:52], v[5:6], v[53:54], -v[51:52]
	ds_read_b128 v[1:4], v72 offset:1360
	v_fma_f64 v[45:46], v[7:8], v[53:54], v[45:46]
	v_add_f64 v[17:18], v[17:18], v[77:78]
	v_add_f64 v[13:14], v[13:14], v[43:44]
	s_clause 0x2
	buffer_load_dword v80, off, s[0:3], 0 offset:700
	buffer_load_dword v44, off, s[0:3], 0 offset:676
	;; [unrolled: 1-line block ×3, first 2 shown]
	ds_read_b128 v[5:8], v72 offset:1376
	s_waitcnt vmcnt(58) lgkmcnt(1)
	v_mul_f64 v[77:78], v[3:4], v[109:110]
	v_mul_f64 v[53:54], v[1:2], v[109:110]
	s_waitcnt vmcnt(56)
	v_fma_f64 v[107:108], v[9:10], v[101:102], -v[107:108]
	v_add_f64 v[17:18], v[17:18], v[51:52]
	v_fma_f64 v[51:52], v[11:12], v[101:102], v[122:123]
	v_add_f64 v[13:14], v[13:14], v[45:46]
	s_clause 0x4
	buffer_load_dword v46, off, s[0:3], 0 offset:716
	buffer_load_dword v101, off, s[0:3], 0 offset:728
	;; [unrolled: 1-line block ×5, first 2 shown]
	ds_read_b128 v[9:12], v72 offset:1392
	s_waitcnt vmcnt(57) lgkmcnt(1)
	v_mul_f64 v[122:123], v[5:6], v[99:100]
	v_mul_f64 v[99:100], v[7:8], v[99:100]
	s_waitcnt vmcnt(56)
	v_fma_f64 v[77:78], v[1:2], v[111:112], -v[77:78]
	v_fma_f64 v[53:54], v[3:4], v[111:112], v[53:54]
	v_add_f64 v[17:18], v[17:18], v[107:108]
	v_add_f64 v[13:14], v[13:14], v[51:52]
	s_clause 0x2
	buffer_load_dword v102, off, s[0:3], 0 offset:732
	buffer_load_dword v52, off, s[0:3], 0 offset:708
	buffer_load_dword v51, off, s[0:3], 0 offset:704
	s_waitcnt vmcnt(58) lgkmcnt(0)
	v_mul_f64 v[111:112], v[11:12], v[113:114]
	ds_read_b128 v[1:4], v72 offset:1408
	v_mul_f64 v[107:108], v[9:10], v[113:114]
	s_waitcnt vmcnt(56)
	v_fma_f64 v[99:100], v[5:6], v[105:106], -v[99:100]
	v_add_f64 v[17:18], v[17:18], v[77:78]
	v_fma_f64 v[77:78], v[7:8], v[105:106], v[122:123]
	v_add_f64 v[13:14], v[13:14], v[53:54]
	s_clause 0x4
	buffer_load_dword v54, off, s[0:3], 0 offset:748
	buffer_load_dword v105, off, s[0:3], 0 offset:760
	;; [unrolled: 1-line block ×5, first 2 shown]
	ds_read_b128 v[5:8], v72 offset:1424
	s_waitcnt vmcnt(57) lgkmcnt(1)
	v_mul_f64 v[122:123], v[1:2], v[29:30]
	v_mul_f64 v[29:30], v[3:4], v[29:30]
	s_waitcnt vmcnt(56)
	v_fma_f64 v[111:112], v[9:10], v[118:119], -v[111:112]
	v_add_f64 v[17:18], v[17:18], v[99:100]
	v_fma_f64 v[99:100], v[11:12], v[118:119], v[107:108]
	v_add_f64 v[13:14], v[13:14], v[77:78]
	s_clause 0x2
	buffer_load_dword v106, off, s[0:3], 0 offset:764
	buffer_load_dword v78, off, s[0:3], 0 offset:740
	;; [unrolled: 1-line block ×3, first 2 shown]
	ds_read_b128 v[9:12], v72 offset:1440
	s_waitcnt vmcnt(58) lgkmcnt(1)
	v_mul_f64 v[107:108], v[5:6], v[103:104]
	v_mul_f64 v[103:104], v[7:8], v[103:104]
	s_waitcnt vmcnt(56)
	v_fma_f64 v[29:30], v[1:2], v[23:24], -v[29:30]
	v_fma_f64 v[23:24], v[3:4], v[23:24], v[122:123]
	v_add_f64 v[17:18], v[17:18], v[111:112]
	v_add_f64 v[13:14], v[13:14], v[99:100]
	s_clause 0x4
	buffer_load_dword v100, off, s[0:3], 0 offset:780
	buffer_load_dword v111, off, s[0:3], 0 offset:792
	;; [unrolled: 1-line block ×5, first 2 shown]
	ds_read_b128 v[1:4], v72 offset:1456
	s_waitcnt vmcnt(57) lgkmcnt(1)
	v_mul_f64 v[118:119], v[9:10], v[15:16]
	v_mul_f64 v[15:16], v[11:12], v[15:16]
	s_waitcnt vmcnt(56)
	v_fma_f64 v[103:104], v[5:6], v[120:121], -v[103:104]
	v_add_f64 v[17:18], v[17:18], v[29:30]
	v_fma_f64 v[29:30], v[7:8], v[120:121], v[107:108]
	v_add_f64 v[13:14], v[13:14], v[23:24]
	s_clause 0x2
	buffer_load_dword v112, off, s[0:3], 0 offset:796
	buffer_load_dword v24, off, s[0:3], 0 offset:772
	;; [unrolled: 1-line block ×3, first 2 shown]
	ds_read_b128 v[5:8], v72 offset:1472
	s_waitcnt vmcnt(58) lgkmcnt(1)
	v_mul_f64 v[107:108], v[1:2], v[33:34]
	v_mul_f64 v[33:34], v[3:4], v[33:34]
	s_waitcnt vmcnt(56)
	v_fma_f64 v[15:16], v[9:10], v[21:22], -v[15:16]
	v_fma_f64 v[21:22], v[11:12], v[21:22], v[118:119]
	v_add_f64 v[17:18], v[17:18], v[103:104]
	v_add_f64 v[13:14], v[13:14], v[29:30]
	s_clause 0x4
	buffer_load_dword v30, off, s[0:3], 0 offset:812
	buffer_load_dword v103, off, s[0:3], 0 offset:824
	;; [unrolled: 1-line block ×5, first 2 shown]
	ds_read_b128 v[9:12], v72 offset:1488
	s_waitcnt vmcnt(57) lgkmcnt(1)
	v_mul_f64 v[120:121], v[5:6], v[19:20]
	v_mul_f64 v[19:20], v[7:8], v[19:20]
	s_waitcnt vmcnt(56)
	v_fma_f64 v[33:34], v[1:2], v[115:116], -v[33:34]
	v_add_f64 v[15:16], v[17:18], v[15:16]
	v_fma_f64 v[17:18], v[3:4], v[115:116], v[107:108]
	v_add_f64 v[13:14], v[13:14], v[21:22]
	s_clause 0x2
	buffer_load_dword v104, off, s[0:3], 0 offset:828
	buffer_load_dword v22, off, s[0:3], 0 offset:804
	;; [unrolled: 1-line block ×3, first 2 shown]
	s_waitcnt vmcnt(58) lgkmcnt(0)
	v_mul_f64 v[107:108], v[9:10], v[41:42]
	v_mul_f64 v[41:42], v[11:12], v[41:42]
	ds_read_b128 v[1:4], v72 offset:1504
	s_waitcnt vmcnt(56)
	v_fma_f64 v[19:20], v[5:6], v[27:28], -v[19:20]
	v_fma_f64 v[27:28], v[7:8], v[27:28], v[120:121]
	v_add_f64 v[15:16], v[15:16], v[33:34]
	v_add_f64 v[13:14], v[13:14], v[17:18]
	s_clause 0x4
	buffer_load_dword v18, off, s[0:3], 0 offset:844
	buffer_load_dword v33, off, s[0:3], 0 offset:856
	;; [unrolled: 1-line block ×5, first 2 shown]
	ds_read_b128 v[5:8], v72 offset:1520
	s_waitcnt vmcnt(57) lgkmcnt(1)
	v_mul_f64 v[121:122], v[1:2], v[25:26]
	v_mul_f64 v[25:26], v[3:4], v[25:26]
	s_waitcnt vmcnt(56)
	v_fma_f64 v[41:42], v[9:10], v[91:92], -v[41:42]
	v_add_f64 v[15:16], v[15:16], v[19:20]
	v_fma_f64 v[19:20], v[11:12], v[91:92], v[107:108]
	v_add_f64 v[13:14], v[13:14], v[27:28]
	s_clause 0x2
	buffer_load_dword v34, off, s[0:3], 0 offset:860
	buffer_load_dword v28, off, s[0:3], 0 offset:836
	;; [unrolled: 1-line block ×3, first 2 shown]
	s_waitcnt vmcnt(58) lgkmcnt(0)
	v_mul_f64 v[91:92], v[5:6], v[47:48]
	v_mul_f64 v[47:48], v[7:8], v[47:48]
	ds_read_b128 v[9:12], v72 offset:1536
	s_waitcnt vmcnt(56)
	v_fma_f64 v[25:26], v[1:2], v[37:38], -v[25:26]
	v_fma_f64 v[37:38], v[3:4], v[37:38], v[121:122]
	v_add_f64 v[15:16], v[15:16], v[41:42]
	v_add_f64 v[13:14], v[13:14], v[19:20]
	s_clause 0x4
	buffer_load_dword v20, off, s[0:3], 0 offset:876
	buffer_load_dword v41, off, s[0:3], 0 offset:888
	;; [unrolled: 1-line block ×5, first 2 shown]
	ds_read_b128 v[1:4], v72 offset:1552
	s_waitcnt vmcnt(57) lgkmcnt(1)
	v_mul_f64 v[121:122], v[9:10], v[31:32]
	v_mul_f64 v[31:32], v[11:12], v[31:32]
	s_waitcnt vmcnt(56)
	v_fma_f64 v[47:48], v[5:6], v[49:50], -v[47:48]
	v_add_f64 v[15:16], v[15:16], v[25:26]
	v_fma_f64 v[25:26], v[7:8], v[49:50], v[91:92]
	v_add_f64 v[13:14], v[13:14], v[37:38]
	s_clause 0x2
	buffer_load_dword v42, off, s[0:3], 0 offset:892
	buffer_load_dword v38, off, s[0:3], 0 offset:868
	;; [unrolled: 1-line block ×3, first 2 shown]
	ds_read_b128 v[5:8], v72 offset:1568
	s_waitcnt vmcnt(58) lgkmcnt(1)
	v_mul_f64 v[49:50], v[1:2], v[55:56]
	v_mul_f64 v[55:56], v[3:4], v[55:56]
	s_waitcnt vmcnt(56)
	v_fma_f64 v[31:32], v[9:10], v[35:36], -v[31:32]
	v_fma_f64 v[35:36], v[11:12], v[35:36], v[121:122]
	v_add_f64 v[15:16], v[15:16], v[47:48]
	v_add_f64 v[13:14], v[13:14], v[25:26]
	s_clause 0x4
	buffer_load_dword v26, off, s[0:3], 0 offset:908
	buffer_load_dword v47, off, s[0:3], 0 offset:920
	;; [unrolled: 1-line block ×5, first 2 shown]
	ds_read_b128 v[9:12], v72 offset:1584
	s_waitcnt vmcnt(57) lgkmcnt(1)
	v_mul_f64 v[121:122], v[5:6], v[39:40]
	v_mul_f64 v[39:40], v[7:8], v[39:40]
	s_waitcnt vmcnt(56)
	v_fma_f64 v[55:56], v[1:2], v[57:58], -v[55:56]
	v_add_f64 v[15:16], v[15:16], v[31:32]
	v_fma_f64 v[31:32], v[3:4], v[57:58], v[49:50]
	v_add_f64 v[13:14], v[13:14], v[35:36]
	s_clause 0x2
	buffer_load_dword v48, off, s[0:3], 0 offset:924
	buffer_load_dword v36, off, s[0:3], 0 offset:900
	;; [unrolled: 1-line block ×3, first 2 shown]
	ds_read_b128 v[1:4], v72 offset:1600
	buffer_load_dword v92, off, s[0:3], 0 offset:916
	s_waitcnt vmcnt(59) lgkmcnt(1)
	v_mul_f64 v[57:58], v[11:12], v[79:80]
	v_mul_f64 v[49:50], v[9:10], v[79:80]
	s_waitcnt vmcnt(57)
	v_fma_f64 v[39:40], v[5:6], v[43:44], -v[39:40]
	v_fma_f64 v[43:44], v[7:8], v[43:44], v[121:122]
	ds_read_b128 v[5:8], v72 offset:1616
	v_add_f64 v[15:16], v[15:16], v[55:56]
	v_add_f64 v[13:14], v[13:14], v[31:32]
	s_waitcnt vmcnt(53) lgkmcnt(1)
	v_mul_f64 v[31:32], v[1:2], v[45:46]
	v_mul_f64 v[45:46], v[3:4], v[45:46]
	s_waitcnt vmcnt(52)
	v_fma_f64 v[55:56], v[9:10], v[89:90], -v[57:58]
	v_add_f64 v[15:16], v[15:16], v[39:40]
	v_fma_f64 v[39:40], v[11:12], v[89:90], v[49:50]
	v_add_f64 v[13:14], v[13:14], v[43:44]
	ds_read_b128 v[9:12], v72 offset:1632
	s_waitcnt vmcnt(51) lgkmcnt(1)
	v_mul_f64 v[49:50], v[7:8], v[101:102]
	v_mul_f64 v[43:44], v[5:6], v[101:102]
	s_waitcnt vmcnt(49)
	v_fma_f64 v[45:46], v[1:2], v[51:52], -v[45:46]
	v_fma_f64 v[31:32], v[3:4], v[51:52], v[31:32]
	v_add_f64 v[15:16], v[15:16], v[55:56]
	v_add_f64 v[13:14], v[13:14], v[39:40]
	s_clause 0x3
	buffer_load_dword v39, off, s[0:3], 0 offset:192
	buffer_load_dword v40, off, s[0:3], 0 offset:196
	;; [unrolled: 1-line block ×4, first 2 shown]
	ds_read_b128 v[1:4], v72 offset:1648
	s_waitcnt vmcnt(49) lgkmcnt(1)
	v_mul_f64 v[55:56], v[9:10], v[53:54]
	v_mul_f64 v[53:54], v[11:12], v[53:54]
	s_waitcnt vmcnt(48)
	v_fma_f64 v[49:50], v[5:6], v[109:110], -v[49:50]
	v_fma_f64 v[43:44], v[7:8], v[109:110], v[43:44]
	ds_read_b128 v[5:8], v72 offset:1664
	v_add_f64 v[15:16], v[15:16], v[45:46]
	v_add_f64 v[13:14], v[13:14], v[31:32]
	s_waitcnt vmcnt(47) lgkmcnt(1)
	v_mul_f64 v[45:46], v[3:4], v[105:106]
	v_mul_f64 v[31:32], v[1:2], v[105:106]
	s_waitcnt vmcnt(45)
	v_fma_f64 v[53:54], v[9:10], v[77:78], -v[53:54]
	v_add_f64 v[15:16], v[15:16], v[49:50]
	v_fma_f64 v[49:50], v[11:12], v[77:78], v[55:56]
	v_add_f64 v[13:14], v[13:14], v[43:44]
	ds_read_b128 v[9:12], v72 offset:1680
	s_waitcnt vmcnt(41) lgkmcnt(1)
	v_mul_f64 v[55:56], v[7:8], v[99:100]
	s_waitcnt vmcnt(40)
	v_fma_f64 v[45:46], v[1:2], v[113:114], -v[45:46]
	v_mul_f64 v[43:44], v[5:6], v[99:100]
	v_fma_f64 v[31:32], v[3:4], v[113:114], v[31:32]
	ds_read_b128 v[1:4], v72 offset:1696
	v_add_f64 v[15:16], v[15:16], v[53:54]
	v_add_f64 v[13:14], v[13:14], v[49:50]
	s_waitcnt vmcnt(39) lgkmcnt(1)
	v_mul_f64 v[53:54], v[11:12], v[111:112]
	v_mul_f64 v[49:50], v[9:10], v[111:112]
	s_waitcnt vmcnt(37)
	v_fma_f64 v[55:56], v[5:6], v[23:24], -v[55:56]
	v_fma_f64 v[23:24], v[7:8], v[23:24], v[43:44]
	ds_read_b128 v[5:8], v72 offset:1712
	v_add_f64 v[15:16], v[15:16], v[45:46]
	v_add_f64 v[13:14], v[13:14], v[31:32]
	s_waitcnt vmcnt(33) lgkmcnt(1)
	v_mul_f64 v[31:32], v[1:2], v[29:30]
	v_mul_f64 v[29:30], v[3:4], v[29:30]
	s_waitcnt vmcnt(32)
	v_fma_f64 v[43:44], v[9:10], v[117:118], -v[53:54]
	;; [unrolled: 9-line block ×6, first 2 shown]
	v_add_f64 v[15:16], v[15:16], v[17:18]
	v_fma_f64 v[17:18], v[3:4], v[115:116], v[21:22]
	v_add_f64 v[13:14], v[13:14], v[27:28]
	ds_read_b128 v[1:4], v72 offset:1792
	s_waitcnt vmcnt(15) lgkmcnt(1)
	v_mul_f64 v[27:28], v[11:12], v[41:42]
	v_mul_f64 v[21:22], v[9:10], v[41:42]
	s_waitcnt vmcnt(13)
	v_fma_f64 v[19:20], v[5:6], v[37:38], -v[19:20]
	v_fma_f64 v[23:24], v[7:8], v[37:38], v[23:24]
	ds_read_b128 v[5:8], v72 offset:1808
	v_add_f64 v[15:16], v[15:16], v[29:30]
	v_add_f64 v[13:14], v[13:14], v[17:18]
	s_waitcnt vmcnt(9) lgkmcnt(1)
	v_mul_f64 v[17:18], v[1:2], v[25:26]
	v_mul_f64 v[25:26], v[3:4], v[25:26]
	s_waitcnt vmcnt(8)
	v_fma_f64 v[9:10], v[9:10], v[107:108], -v[27:28]
	v_fma_f64 v[11:12], v[11:12], v[107:108], v[21:22]
	v_add_f64 v[15:16], v[15:16], v[19:20]
	v_add_f64 v[13:14], v[13:14], v[23:24]
	s_waitcnt vmcnt(7) lgkmcnt(0)
	v_mul_f64 v[21:22], v[7:8], v[47:48]
	v_mul_f64 v[19:20], v[5:6], v[47:48]
	s_waitcnt vmcnt(5)
	v_fma_f64 v[1:2], v[1:2], v[35:36], -v[25:26]
	v_fma_f64 v[3:4], v[3:4], v[35:36], v[17:18]
	v_add_f64 v[9:10], v[15:16], v[9:10]
	v_add_f64 v[11:12], v[13:14], v[11:12]
	s_waitcnt vmcnt(4)
	v_fma_f64 v[5:6], v[5:6], v[91:92], -v[21:22]
	v_fma_f64 v[7:8], v[7:8], v[91:92], v[19:20]
	v_add_f64 v[1:2], v[9:10], v[1:2]
	v_add_f64 v[3:4], v[11:12], v[3:4]
	;; [unrolled: 1-line block ×4, first 2 shown]
	s_waitcnt vmcnt(2)
	v_add_f64 v[1:2], v[39:40], -v[1:2]
	s_waitcnt vmcnt(0)
	v_add_f64 v[3:4], v[51:52], -v[3:4]
	buffer_store_dword v2, off, s[0:3], 0 offset:196
	buffer_store_dword v1, off, s[0:3], 0 offset:192
	;; [unrolled: 1-line block ×4, first 2 shown]
	v_cmpx_lt_u32_e32 10, v0
	s_cbranch_execz .LBB56_335
; %bb.334:
	v_mov_b32_e32 v4, s59
	s_clause 0x3
	buffer_load_dword v1, v4, s[0:3], 0 offen
	buffer_load_dword v2, v4, s[0:3], 0 offen offset:4
	buffer_load_dword v3, v4, s[0:3], 0 offen offset:8
	;; [unrolled: 1-line block ×3, first 2 shown]
	buffer_store_dword v72, off, s[0:3], 0 offset:176
	buffer_store_dword v72, off, s[0:3], 0 offset:180
	;; [unrolled: 1-line block ×4, first 2 shown]
	s_waitcnt vmcnt(0)
	ds_write_b128 v59, v[1:4]
.LBB56_335:
	s_or_b32 exec_lo, exec_lo, s4
	s_waitcnt lgkmcnt(0)
	s_waitcnt_vscnt null, 0x0
	s_barrier
	buffer_gl0_inv
	s_clause 0x37
	buffer_load_dword v17, off, s[0:3], 0 offset:200
	buffer_load_dword v18, off, s[0:3], 0 offset:204
	;; [unrolled: 1-line block ×56, first 2 shown]
	ds_read_b128 v[5:8], v72 offset:1088
	s_clause 0x2
	buffer_load_dword v92, off, s[0:3], 0 offset:428
	buffer_load_dword v100, off, s[0:3], 0 offset:404
	;; [unrolled: 1-line block ×3, first 2 shown]
	ds_read_b128 v[1:4], v72 offset:1104
	s_clause 0x4
	buffer_load_dword v108, off, s[0:3], 0 offset:444
	buffer_load_dword v109, off, s[0:3], 0 offset:456
	;; [unrolled: 1-line block ×5, first 2 shown]
	ds_read_b128 v[101:104], v72 offset:1120
	s_mov_b32 s4, exec_lo
	s_waitcnt vmcnt(62) lgkmcnt(2)
	v_mul_f64 v[105:106], v[7:8], v[17:18]
	v_mul_f64 v[17:18], v[5:6], v[17:18]
	s_waitcnt vmcnt(60) lgkmcnt(1)
	v_mul_f64 v[112:113], v[3:4], v[13:14]
	v_mul_f64 v[13:14], v[1:2], v[13:14]
	s_waitcnt vmcnt(56) lgkmcnt(0)
	v_mul_f64 v[114:115], v[101:102], v[11:12]
	v_mul_f64 v[11:12], v[103:104], v[11:12]
	v_fma_f64 v[105:106], v[5:6], v[15:16], -v[105:106]
	v_fma_f64 v[15:16], v[7:8], v[15:16], v[17:18]
	s_clause 0x2
	buffer_load_dword v110, off, s[0:3], 0 offset:460
	buffer_load_dword v18, off, s[0:3], 0 offset:436
	buffer_load_dword v17, off, s[0:3], 0 offset:432
	s_waitcnt vmcnt(57)
	v_fma_f64 v[116:117], v[1:2], v[9:10], -v[112:113]
	ds_read_b128 v[5:8], v72 offset:1136
	v_fma_f64 v[9:10], v[3:4], v[9:10], v[13:14]
	s_waitcnt vmcnt(51)
	v_fma_f64 v[101:102], v[101:102], v[33:34], -v[11:12]
	v_fma_f64 v[33:34], v[103:104], v[33:34], v[114:115]
	v_add_f64 v[105:106], v[105:106], 0
	v_add_f64 v[13:14], v[15:16], 0
	s_clause 0x4
	buffer_load_dword v16, off, s[0:3], 0 offset:476
	buffer_load_dword v113, off, s[0:3], 0 offset:488
	;; [unrolled: 1-line block ×5, first 2 shown]
	s_waitcnt lgkmcnt(0)
	v_mul_f64 v[119:120], v[5:6], v[21:22]
	v_mul_f64 v[21:22], v[7:8], v[21:22]
	ds_read_b128 v[1:4], v72 offset:1152
	s_clause 0x2
	buffer_load_dword v114, off, s[0:3], 0 offset:492
	buffer_load_dword v104, off, s[0:3], 0 offset:468
	;; [unrolled: 1-line block ×3, first 2 shown]
	v_add_f64 v[105:106], v[105:106], v[116:117]
	v_add_f64 v[13:14], v[13:14], v[9:10]
	ds_read_b128 v[9:12], v72 offset:1168
	s_waitcnt vmcnt(58) lgkmcnt(1)
	v_mul_f64 v[115:116], v[1:2], v[25:26]
	v_mul_f64 v[25:26], v[3:4], v[25:26]
	s_waitcnt vmcnt(56)
	v_fma_f64 v[21:22], v[5:6], v[27:28], -v[21:22]
	v_fma_f64 v[27:28], v[7:8], v[27:28], v[119:120]
	s_waitcnt vmcnt(52) lgkmcnt(0)
	v_mul_f64 v[121:122], v[9:10], v[29:30]
	v_add_f64 v[101:102], v[105:106], v[101:102]
	v_add_f64 v[13:14], v[13:14], v[33:34]
	s_clause 0x4
	buffer_load_dword v34, off, s[0:3], 0 offset:508
	buffer_load_dword v105, off, s[0:3], 0 offset:520
	buffer_load_dword v120, off, s[0:3], 0 offset:512
	buffer_load_dword v33, off, s[0:3], 0 offset:504
	buffer_load_dword v119, off, s[0:3], 0 offset:484
	v_mul_f64 v[29:30], v[11:12], v[29:30]
	s_waitcnt vmcnt(56)
	v_fma_f64 v[25:26], v[1:2], v[19:20], -v[25:26]
	ds_read_b128 v[5:8], v72 offset:1184
	v_fma_f64 v[19:20], v[3:4], v[19:20], v[115:116]
	v_add_f64 v[21:22], v[101:102], v[21:22]
	v_add_f64 v[13:14], v[13:14], v[27:28]
	s_clause 0x2
	buffer_load_dword v106, off, s[0:3], 0 offset:524
	buffer_load_dword v28, off, s[0:3], 0 offset:500
	;; [unrolled: 1-line block ×3, first 2 shown]
	s_waitcnt vmcnt(58) lgkmcnt(0)
	v_mul_f64 v[101:102], v[5:6], v[35:36]
	v_mul_f64 v[35:36], v[7:8], v[35:36]
	s_waitcnt vmcnt(56)
	v_fma_f64 v[29:30], v[9:10], v[37:38], -v[29:30]
	ds_read_b128 v[1:4], v72 offset:1200
	v_add_f64 v[21:22], v[21:22], v[25:26]
	v_fma_f64 v[25:26], v[11:12], v[37:38], v[121:122]
	v_add_f64 v[13:14], v[13:14], v[19:20]
	s_clause 0x4
	buffer_load_dword v20, off, s[0:3], 0 offset:540
	buffer_load_dword v37, off, s[0:3], 0 offset:552
	buffer_load_dword v115, off, s[0:3], 0 offset:544
	buffer_load_dword v19, off, s[0:3], 0 offset:536
	buffer_load_dword v121, off, s[0:3], 0 offset:516
	s_waitcnt vmcnt(57) lgkmcnt(0)
	v_mul_f64 v[116:117], v[1:2], v[39:40]
	v_mul_f64 v[39:40], v[3:4], v[39:40]
	s_waitcnt vmcnt(56)
	v_fma_f64 v[35:36], v[5:6], v[23:24], -v[35:36]
	ds_read_b128 v[9:12], v72 offset:1216
	v_fma_f64 v[23:24], v[7:8], v[23:24], v[101:102]
	v_add_f64 v[21:22], v[21:22], v[29:30]
	v_add_f64 v[13:14], v[13:14], v[25:26]
	s_clause 0x2
	buffer_load_dword v38, off, s[0:3], 0 offset:556
	buffer_load_dword v26, off, s[0:3], 0 offset:532
	;; [unrolled: 1-line block ×3, first 2 shown]
	ds_read_b128 v[5:8], v72 offset:1232
	s_waitcnt vmcnt(58) lgkmcnt(1)
	v_mul_f64 v[29:30], v[9:10], v[43:44]
	v_mul_f64 v[43:44], v[11:12], v[43:44]
	s_waitcnt vmcnt(56)
	v_fma_f64 v[39:40], v[1:2], v[45:46], -v[39:40]
	v_add_f64 v[21:22], v[21:22], v[35:36]
	v_fma_f64 v[35:36], v[3:4], v[45:46], v[116:117]
	v_add_f64 v[13:14], v[13:14], v[23:24]
	s_clause 0x4
	buffer_load_dword v24, off, s[0:3], 0 offset:572
	buffer_load_dword v45, off, s[0:3], 0 offset:584
	;; [unrolled: 1-line block ×5, first 2 shown]
	s_waitcnt vmcnt(57) lgkmcnt(0)
	v_mul_f64 v[122:123], v[5:6], v[47:48]
	v_mul_f64 v[47:48], v[7:8], v[47:48]
	s_waitcnt vmcnt(56)
	v_fma_f64 v[43:44], v[9:10], v[31:32], -v[43:44]
	ds_read_b128 v[1:4], v72 offset:1248
	v_fma_f64 v[29:30], v[11:12], v[31:32], v[29:30]
	s_clause 0x2
	buffer_load_dword v46, off, s[0:3], 0 offset:588
	buffer_load_dword v32, off, s[0:3], 0 offset:564
	;; [unrolled: 1-line block ×3, first 2 shown]
	ds_read_b128 v[9:12], v72 offset:1264
	v_add_f64 v[21:22], v[21:22], v[39:40]
	v_add_f64 v[13:14], v[13:14], v[35:36]
	s_waitcnt vmcnt(58) lgkmcnt(1)
	v_mul_f64 v[39:40], v[3:4], v[51:52]
	s_waitcnt vmcnt(56)
	v_fma_f64 v[47:48], v[5:6], v[53:54], -v[47:48]
	v_mul_f64 v[35:36], v[1:2], v[51:52]
	v_add_f64 v[21:22], v[21:22], v[43:44]
	v_fma_f64 v[43:44], v[7:8], v[53:54], v[122:123]
	v_add_f64 v[13:14], v[13:14], v[29:30]
	s_clause 0x4
	buffer_load_dword v30, off, s[0:3], 0 offset:604
	buffer_load_dword v51, off, s[0:3], 0 offset:616
	;; [unrolled: 1-line block ×5, first 2 shown]
	s_waitcnt vmcnt(57) lgkmcnt(0)
	v_mul_f64 v[122:123], v[9:10], v[55:56]
	v_mul_f64 v[54:55], v[11:12], v[55:56]
	s_waitcnt vmcnt(56)
	v_fma_f64 v[39:40], v[1:2], v[41:42], -v[39:40]
	ds_read_b128 v[5:8], v72 offset:1280
	v_fma_f64 v[35:36], v[3:4], v[41:42], v[35:36]
	s_clause 0x2
	buffer_load_dword v52, off, s[0:3], 0 offset:620
	buffer_load_dword v42, off, s[0:3], 0 offset:596
	;; [unrolled: 1-line block ×3, first 2 shown]
	ds_read_b128 v[1:4], v72 offset:1296
	v_add_f64 v[21:22], v[21:22], v[47:48]
	v_add_f64 v[13:14], v[13:14], v[43:44]
	s_waitcnt vmcnt(58) lgkmcnt(1)
	v_mul_f64 v[47:48], v[7:8], v[77:78]
	s_waitcnt vmcnt(56)
	v_fma_f64 v[55:56], v[9:10], v[79:80], -v[54:55]
	v_mul_f64 v[43:44], v[5:6], v[77:78]
	v_add_f64 v[21:22], v[21:22], v[39:40]
	v_fma_f64 v[39:40], v[11:12], v[79:80], v[122:123]
	v_add_f64 v[13:14], v[13:14], v[35:36]
	s_clause 0x4
	buffer_load_dword v36, off, s[0:3], 0 offset:636
	buffer_load_dword v77, off, s[0:3], 0 offset:648
	;; [unrolled: 1-line block ×5, first 2 shown]
	s_waitcnt vmcnt(57) lgkmcnt(0)
	v_mul_f64 v[122:123], v[1:2], v[89:90]
	v_mul_f64 v[89:90], v[3:4], v[89:90]
	s_waitcnt vmcnt(56)
	v_fma_f64 v[47:48], v[5:6], v[49:50], -v[47:48]
	ds_read_b128 v[9:12], v72 offset:1312
	v_fma_f64 v[43:44], v[7:8], v[49:50], v[43:44]
	v_add_f64 v[21:22], v[21:22], v[55:56]
	v_add_f64 v[13:14], v[13:14], v[39:40]
	s_clause 0x2
	buffer_load_dword v78, off, s[0:3], 0 offset:652
	buffer_load_dword v40, off, s[0:3], 0 offset:628
	;; [unrolled: 1-line block ×3, first 2 shown]
	ds_read_b128 v[5:8], v72 offset:1328
	s_waitcnt vmcnt(58) lgkmcnt(1)
	v_mul_f64 v[55:56], v[11:12], v[91:92]
	s_waitcnt vmcnt(56)
	v_fma_f64 v[89:90], v[1:2], v[99:100], -v[89:90]
	v_mul_f64 v[49:50], v[9:10], v[91:92]
	v_add_f64 v[21:22], v[21:22], v[47:48]
	v_fma_f64 v[47:48], v[3:4], v[99:100], v[122:123]
	v_add_f64 v[13:14], v[13:14], v[43:44]
	s_clause 0x4
	buffer_load_dword v44, off, s[0:3], 0 offset:668
	buffer_load_dword v91, off, s[0:3], 0 offset:680
	;; [unrolled: 1-line block ×5, first 2 shown]
	s_waitcnt vmcnt(57) lgkmcnt(0)
	v_mul_f64 v[122:123], v[5:6], v[107:108]
	v_mul_f64 v[107:108], v[7:8], v[107:108]
	s_waitcnt vmcnt(56)
	v_fma_f64 v[55:56], v[9:10], v[57:58], -v[55:56]
	ds_read_b128 v[1:4], v72 offset:1344
	v_fma_f64 v[49:50], v[11:12], v[57:58], v[49:50]
	v_add_f64 v[21:22], v[21:22], v[89:90]
	v_add_f64 v[13:14], v[13:14], v[47:48]
	s_clause 0x2
	buffer_load_dword v92, off, s[0:3], 0 offset:684
	buffer_load_dword v48, off, s[0:3], 0 offset:660
	;; [unrolled: 1-line block ×3, first 2 shown]
	ds_read_b128 v[9:12], v72 offset:1360
	s_waitcnt vmcnt(58) lgkmcnt(1)
	v_mul_f64 v[89:90], v[3:4], v[109:110]
	v_mul_f64 v[57:58], v[1:2], v[109:110]
	s_waitcnt vmcnt(56)
	v_fma_f64 v[107:108], v[5:6], v[17:18], -v[107:108]
	v_fma_f64 v[17:18], v[7:8], v[17:18], v[122:123]
	v_add_f64 v[21:22], v[21:22], v[55:56]
	v_add_f64 v[13:14], v[13:14], v[49:50]
	s_clause 0x4
	buffer_load_dword v50, off, s[0:3], 0 offset:700
	buffer_load_dword v55, off, s[0:3], 0 offset:712
	;; [unrolled: 1-line block ×5, first 2 shown]
	ds_read_b128 v[5:8], v72 offset:1376
	s_waitcnt vmcnt(57) lgkmcnt(1)
	v_mul_f64 v[122:123], v[9:10], v[15:16]
	v_mul_f64 v[15:16], v[11:12], v[15:16]
	s_waitcnt vmcnt(56)
	v_fma_f64 v[89:90], v[1:2], v[111:112], -v[89:90]
	v_fma_f64 v[57:58], v[3:4], v[111:112], v[57:58]
	v_add_f64 v[21:22], v[21:22], v[107:108]
	v_add_f64 v[13:14], v[13:14], v[17:18]
	s_clause 0x2
	buffer_load_dword v56, off, s[0:3], 0 offset:716
	buffer_load_dword v18, off, s[0:3], 0 offset:692
	;; [unrolled: 1-line block ×3, first 2 shown]
	s_waitcnt vmcnt(58) lgkmcnt(0)
	v_mul_f64 v[111:112], v[7:8], v[113:114]
	ds_read_b128 v[1:4], v72 offset:1392
	v_mul_f64 v[107:108], v[5:6], v[113:114]
	s_waitcnt vmcnt(56)
	v_fma_f64 v[15:16], v[9:10], v[103:104], -v[15:16]
	v_add_f64 v[21:22], v[21:22], v[89:90]
	v_fma_f64 v[89:90], v[11:12], v[103:104], v[122:123]
	v_add_f64 v[13:14], v[13:14], v[57:58]
	s_clause 0x4
	buffer_load_dword v58, off, s[0:3], 0 offset:732
	buffer_load_dword v103, off, s[0:3], 0 offset:744
	;; [unrolled: 1-line block ×5, first 2 shown]
	ds_read_b128 v[9:12], v72 offset:1408
	s_waitcnt vmcnt(57) lgkmcnt(1)
	v_mul_f64 v[122:123], v[1:2], v[33:34]
	v_mul_f64 v[33:34], v[3:4], v[33:34]
	s_waitcnt vmcnt(56)
	v_fma_f64 v[111:112], v[5:6], v[118:119], -v[111:112]
	v_add_f64 v[15:16], v[21:22], v[15:16]
	v_fma_f64 v[21:22], v[7:8], v[118:119], v[107:108]
	v_add_f64 v[13:14], v[13:14], v[89:90]
	s_clause 0x2
	buffer_load_dword v104, off, s[0:3], 0 offset:748
	buffer_load_dword v90, off, s[0:3], 0 offset:724
	;; [unrolled: 1-line block ×3, first 2 shown]
	ds_read_b128 v[5:8], v72 offset:1424
	s_waitcnt vmcnt(58) lgkmcnt(1)
	v_mul_f64 v[107:108], v[9:10], v[105:106]
	v_mul_f64 v[105:106], v[11:12], v[105:106]
	s_waitcnt vmcnt(56)
	v_fma_f64 v[33:34], v[1:2], v[27:28], -v[33:34]
	v_fma_f64 v[27:28], v[3:4], v[27:28], v[122:123]
	v_add_f64 v[15:16], v[15:16], v[111:112]
	v_add_f64 v[13:14], v[13:14], v[21:22]
	s_clause 0x4
	buffer_load_dword v22, off, s[0:3], 0 offset:764
	buffer_load_dword v111, off, s[0:3], 0 offset:776
	;; [unrolled: 1-line block ×5, first 2 shown]
	ds_read_b128 v[1:4], v72 offset:1440
	s_waitcnt vmcnt(57) lgkmcnt(1)
	v_mul_f64 v[118:119], v[5:6], v[19:20]
	v_mul_f64 v[19:20], v[7:8], v[19:20]
	s_waitcnt vmcnt(56)
	v_fma_f64 v[105:106], v[9:10], v[120:121], -v[105:106]
	v_add_f64 v[15:16], v[15:16], v[33:34]
	v_fma_f64 v[33:34], v[11:12], v[120:121], v[107:108]
	v_add_f64 v[13:14], v[13:14], v[27:28]
	s_clause 0x2
	buffer_load_dword v112, off, s[0:3], 0 offset:780
	buffer_load_dword v28, off, s[0:3], 0 offset:756
	;; [unrolled: 1-line block ×3, first 2 shown]
	ds_read_b128 v[9:12], v72 offset:1456
	s_waitcnt vmcnt(58) lgkmcnt(1)
	v_mul_f64 v[107:108], v[1:2], v[37:38]
	v_mul_f64 v[37:38], v[3:4], v[37:38]
	s_waitcnt vmcnt(56)
	v_fma_f64 v[19:20], v[5:6], v[25:26], -v[19:20]
	v_fma_f64 v[25:26], v[7:8], v[25:26], v[118:119]
	v_add_f64 v[15:16], v[15:16], v[105:106]
	v_add_f64 v[13:14], v[13:14], v[33:34]
	s_clause 0x4
	buffer_load_dword v34, off, s[0:3], 0 offset:796
	buffer_load_dword v105, off, s[0:3], 0 offset:808
	;; [unrolled: 1-line block ×5, first 2 shown]
	ds_read_b128 v[5:8], v72 offset:1472
	s_waitcnt vmcnt(57) lgkmcnt(1)
	v_mul_f64 v[120:121], v[9:10], v[23:24]
	v_mul_f64 v[23:24], v[11:12], v[23:24]
	s_waitcnt vmcnt(56)
	v_fma_f64 v[37:38], v[1:2], v[115:116], -v[37:38]
	v_add_f64 v[15:16], v[15:16], v[19:20]
	v_fma_f64 v[19:20], v[3:4], v[115:116], v[107:108]
	v_add_f64 v[13:14], v[13:14], v[25:26]
	s_clause 0x2
	buffer_load_dword v106, off, s[0:3], 0 offset:812
	buffer_load_dword v26, off, s[0:3], 0 offset:788
	;; [unrolled: 1-line block ×3, first 2 shown]
	s_waitcnt vmcnt(58) lgkmcnt(0)
	v_mul_f64 v[107:108], v[5:6], v[45:46]
	v_mul_f64 v[45:46], v[7:8], v[45:46]
	ds_read_b128 v[1:4], v72 offset:1488
	s_waitcnt vmcnt(56)
	v_fma_f64 v[23:24], v[9:10], v[31:32], -v[23:24]
	v_fma_f64 v[31:32], v[11:12], v[31:32], v[120:121]
	v_add_f64 v[15:16], v[15:16], v[37:38]
	v_add_f64 v[13:14], v[13:14], v[19:20]
	s_clause 0x4
	buffer_load_dword v20, off, s[0:3], 0 offset:828
	buffer_load_dword v37, off, s[0:3], 0 offset:840
	;; [unrolled: 1-line block ×5, first 2 shown]
	ds_read_b128 v[9:12], v72 offset:1504
	s_waitcnt vmcnt(57) lgkmcnt(1)
	v_mul_f64 v[121:122], v[1:2], v[29:30]
	v_mul_f64 v[29:30], v[3:4], v[29:30]
	s_waitcnt vmcnt(56)
	v_fma_f64 v[45:46], v[5:6], v[101:102], -v[45:46]
	v_add_f64 v[15:16], v[15:16], v[23:24]
	v_fma_f64 v[23:24], v[7:8], v[101:102], v[107:108]
	v_add_f64 v[13:14], v[13:14], v[31:32]
	s_clause 0x2
	buffer_load_dword v38, off, s[0:3], 0 offset:844
	buffer_load_dword v32, off, s[0:3], 0 offset:820
	;; [unrolled: 1-line block ×3, first 2 shown]
	s_waitcnt vmcnt(58) lgkmcnt(0)
	v_mul_f64 v[101:102], v[9:10], v[51:52]
	v_mul_f64 v[51:52], v[11:12], v[51:52]
	ds_read_b128 v[5:8], v72 offset:1520
	s_waitcnt vmcnt(56)
	v_fma_f64 v[29:30], v[1:2], v[41:42], -v[29:30]
	v_fma_f64 v[41:42], v[3:4], v[41:42], v[121:122]
	v_add_f64 v[15:16], v[15:16], v[45:46]
	v_add_f64 v[13:14], v[13:14], v[23:24]
	s_clause 0x4
	buffer_load_dword v24, off, s[0:3], 0 offset:860
	buffer_load_dword v45, off, s[0:3], 0 offset:872
	;; [unrolled: 1-line block ×5, first 2 shown]
	ds_read_b128 v[1:4], v72 offset:1536
	s_waitcnt vmcnt(57) lgkmcnt(1)
	v_mul_f64 v[121:122], v[5:6], v[35:36]
	v_mul_f64 v[35:36], v[7:8], v[35:36]
	s_waitcnt vmcnt(56)
	v_fma_f64 v[51:52], v[9:10], v[53:54], -v[51:52]
	v_add_f64 v[15:16], v[15:16], v[29:30]
	v_fma_f64 v[29:30], v[11:12], v[53:54], v[101:102]
	v_add_f64 v[13:14], v[13:14], v[41:42]
	s_clause 0x2
	buffer_load_dword v46, off, s[0:3], 0 offset:876
	buffer_load_dword v42, off, s[0:3], 0 offset:852
	;; [unrolled: 1-line block ×3, first 2 shown]
	ds_read_b128 v[9:12], v72 offset:1552
	s_waitcnt vmcnt(58) lgkmcnt(1)
	v_mul_f64 v[53:54], v[1:2], v[77:78]
	v_mul_f64 v[77:78], v[3:4], v[77:78]
	s_waitcnt vmcnt(56)
	v_fma_f64 v[35:36], v[5:6], v[39:40], -v[35:36]
	v_fma_f64 v[39:40], v[7:8], v[39:40], v[121:122]
	v_add_f64 v[15:16], v[15:16], v[51:52]
	v_add_f64 v[13:14], v[13:14], v[29:30]
	s_clause 0x4
	buffer_load_dword v30, off, s[0:3], 0 offset:892
	buffer_load_dword v51, off, s[0:3], 0 offset:904
	;; [unrolled: 1-line block ×5, first 2 shown]
	ds_read_b128 v[5:8], v72 offset:1568
	s_waitcnt vmcnt(57) lgkmcnt(1)
	v_mul_f64 v[121:122], v[9:10], v[43:44]
	v_mul_f64 v[43:44], v[11:12], v[43:44]
	s_waitcnt vmcnt(56)
	v_fma_f64 v[77:78], v[1:2], v[79:80], -v[77:78]
	v_add_f64 v[15:16], v[15:16], v[35:36]
	v_fma_f64 v[35:36], v[3:4], v[79:80], v[53:54]
	v_add_f64 v[13:14], v[13:14], v[39:40]
	s_clause 0x2
	buffer_load_dword v52, off, s[0:3], 0 offset:908
	buffer_load_dword v40, off, s[0:3], 0 offset:884
	;; [unrolled: 1-line block ×3, first 2 shown]
	ds_read_b128 v[1:4], v72 offset:1584
	s_waitcnt vmcnt(58) lgkmcnt(1)
	v_mul_f64 v[79:80], v[7:8], v[91:92]
	v_mul_f64 v[53:54], v[5:6], v[91:92]
	s_waitcnt vmcnt(56)
	v_fma_f64 v[43:44], v[9:10], v[47:48], -v[43:44]
	v_fma_f64 v[47:48], v[11:12], v[47:48], v[121:122]
	v_add_f64 v[15:16], v[15:16], v[77:78]
	v_add_f64 v[13:14], v[13:14], v[35:36]
	s_clause 0x2
	buffer_load_dword v36, off, s[0:3], 0 offset:924
	buffer_load_dword v35, off, s[0:3], 0 offset:920
	;; [unrolled: 1-line block ×3, first 2 shown]
	ds_read_b128 v[9:12], v72 offset:1600
	s_waitcnt vmcnt(55) lgkmcnt(1)
	v_mul_f64 v[77:78], v[1:2], v[49:50]
	v_mul_f64 v[49:50], v[3:4], v[49:50]
	s_waitcnt vmcnt(54)
	v_fma_f64 v[79:80], v[5:6], v[99:100], -v[79:80]
	v_add_f64 v[15:16], v[15:16], v[43:44]
	v_fma_f64 v[43:44], v[7:8], v[99:100], v[53:54]
	v_add_f64 v[13:14], v[13:14], v[47:48]
	s_clause 0x1
	buffer_load_dword v48, off, s[0:3], 0 offset:916
	buffer_load_dword v47, off, s[0:3], 0 offset:912
	ds_read_b128 v[5:8], v72 offset:1616
	s_waitcnt vmcnt(55) lgkmcnt(1)
	v_mul_f64 v[53:54], v[9:10], v[55:56]
	v_mul_f64 v[55:56], v[11:12], v[55:56]
	s_waitcnt vmcnt(53)
	v_fma_f64 v[49:50], v[1:2], v[17:18], -v[49:50]
	v_fma_f64 v[17:18], v[3:4], v[17:18], v[77:78]
	ds_read_b128 v[1:4], v72 offset:1632
	v_add_f64 v[15:16], v[15:16], v[79:80]
	v_add_f64 v[13:14], v[13:14], v[43:44]
	s_waitcnt vmcnt(49) lgkmcnt(1)
	v_mul_f64 v[43:44], v[5:6], v[57:58]
	v_mul_f64 v[57:58], v[7:8], v[57:58]
	s_waitcnt vmcnt(48)
	v_fma_f64 v[55:56], v[9:10], v[109:110], -v[55:56]
	v_add_f64 v[15:16], v[15:16], v[49:50]
	v_fma_f64 v[49:50], v[11:12], v[109:110], v[53:54]
	v_add_f64 v[13:14], v[13:14], v[17:18]
	s_clause 0x3
	buffer_load_dword v17, off, s[0:3], 0 offset:176
	buffer_load_dword v18, off, s[0:3], 0 offset:180
	;; [unrolled: 1-line block ×4, first 2 shown]
	ds_read_b128 v[9:12], v72 offset:1648
	s_waitcnt vmcnt(51) lgkmcnt(1)
	v_mul_f64 v[79:80], v[3:4], v[103:104]
	v_mul_f64 v[77:78], v[1:2], v[103:104]
	s_waitcnt vmcnt(49)
	v_fma_f64 v[57:58], v[5:6], v[89:90], -v[57:58]
	v_fma_f64 v[43:44], v[7:8], v[89:90], v[43:44]
	ds_read_b128 v[5:8], v72 offset:1664
	v_add_f64 v[15:16], v[15:16], v[55:56]
	v_add_f64 v[13:14], v[13:14], v[49:50]
	s_waitcnt vmcnt(45) lgkmcnt(1)
	v_mul_f64 v[49:50], v[9:10], v[21:22]
	v_mul_f64 v[21:22], v[11:12], v[21:22]
	s_waitcnt vmcnt(44)
	v_fma_f64 v[55:56], v[1:2], v[113:114], -v[79:80]
	v_add_f64 v[15:16], v[15:16], v[57:58]
	v_fma_f64 v[57:58], v[3:4], v[113:114], v[77:78]
	v_add_f64 v[13:14], v[13:14], v[43:44]
	ds_read_b128 v[1:4], v72 offset:1680
	s_waitcnt vmcnt(43) lgkmcnt(1)
	v_mul_f64 v[77:78], v[7:8], v[111:112]
	v_mul_f64 v[43:44], v[5:6], v[111:112]
	s_waitcnt vmcnt(41)
	v_fma_f64 v[21:22], v[9:10], v[27:28], -v[21:22]
	v_fma_f64 v[27:28], v[11:12], v[27:28], v[49:50]
	ds_read_b128 v[9:12], v72 offset:1696
	v_add_f64 v[15:16], v[15:16], v[55:56]
	v_add_f64 v[13:14], v[13:14], v[57:58]
	s_waitcnt vmcnt(37) lgkmcnt(1)
	v_mul_f64 v[49:50], v[1:2], v[33:34]
	v_mul_f64 v[33:34], v[3:4], v[33:34]
	s_waitcnt vmcnt(36)
	v_fma_f64 v[55:56], v[5:6], v[117:118], -v[77:78]
	v_add_f64 v[15:16], v[15:16], v[21:22]
	v_fma_f64 v[21:22], v[7:8], v[117:118], v[43:44]
	v_add_f64 v[13:14], v[13:14], v[27:28]
	ds_read_b128 v[5:8], v72 offset:1712
	s_waitcnt vmcnt(35) lgkmcnt(1)
	v_mul_f64 v[43:44], v[11:12], v[105:106]
	v_mul_f64 v[27:28], v[9:10], v[105:106]
	s_waitcnt vmcnt(33)
	v_fma_f64 v[33:34], v[1:2], v[25:26], -v[33:34]
	v_fma_f64 v[25:26], v[3:4], v[25:26], v[49:50]
	ds_read_b128 v[1:4], v72 offset:1728
	v_add_f64 v[15:16], v[15:16], v[55:56]
	v_add_f64 v[13:14], v[13:14], v[21:22]
	s_waitcnt vmcnt(29) lgkmcnt(1)
	v_mul_f64 v[21:22], v[5:6], v[19:20]
	v_mul_f64 v[19:20], v[7:8], v[19:20]
	s_waitcnt vmcnt(28)
	v_fma_f64 v[43:44], v[9:10], v[119:120], -v[43:44]
	v_fma_f64 v[27:28], v[11:12], v[119:120], v[27:28]
	ds_read_b128 v[9:12], v72 offset:1744
	v_add_f64 v[15:16], v[15:16], v[33:34]
	v_add_f64 v[13:14], v[13:14], v[25:26]
	;; [unrolled: 9-line block ×3, first 2 shown]
	s_waitcnt vmcnt(21) lgkmcnt(1)
	v_mul_f64 v[27:28], v[9:10], v[23:24]
	v_mul_f64 v[23:24], v[11:12], v[23:24]
	s_waitcnt vmcnt(20)
	v_fma_f64 v[31:32], v[1:2], v[115:116], -v[33:34]
	v_add_f64 v[15:16], v[15:16], v[19:20]
	v_fma_f64 v[19:20], v[3:4], v[115:116], v[25:26]
	v_add_f64 v[13:14], v[13:14], v[21:22]
	ds_read_b128 v[1:4], v72 offset:1776
	s_waitcnt vmcnt(19) lgkmcnt(1)
	v_mul_f64 v[25:26], v[7:8], v[45:46]
	v_mul_f64 v[21:22], v[5:6], v[45:46]
	s_waitcnt vmcnt(17)
	v_fma_f64 v[23:24], v[9:10], v[41:42], -v[23:24]
	v_fma_f64 v[27:28], v[11:12], v[41:42], v[27:28]
	ds_read_b128 v[9:12], v72 offset:1792
	v_add_f64 v[15:16], v[15:16], v[31:32]
	v_add_f64 v[13:14], v[13:14], v[19:20]
	s_waitcnt vmcnt(13) lgkmcnt(1)
	v_mul_f64 v[19:20], v[1:2], v[29:30]
	v_mul_f64 v[29:30], v[3:4], v[29:30]
	s_waitcnt vmcnt(12)
	v_fma_f64 v[25:26], v[5:6], v[107:108], -v[25:26]
	v_fma_f64 v[21:22], v[7:8], v[107:108], v[21:22]
	ds_read_b128 v[5:8], v72 offset:1808
	v_add_f64 v[15:16], v[15:16], v[23:24]
	v_add_f64 v[13:14], v[13:14], v[27:28]
	s_waitcnt vmcnt(11) lgkmcnt(1)
	v_mul_f64 v[27:28], v[11:12], v[51:52]
	v_mul_f64 v[23:24], v[9:10], v[51:52]
	s_waitcnt vmcnt(9)
	v_fma_f64 v[1:2], v[1:2], v[39:40], -v[29:30]
	v_fma_f64 v[3:4], v[3:4], v[39:40], v[19:20]
	v_add_f64 v[15:16], v[15:16], v[25:26]
	v_add_f64 v[13:14], v[13:14], v[21:22]
	s_waitcnt vmcnt(7) lgkmcnt(0)
	v_mul_f64 v[21:22], v[7:8], v[35:36]
	s_waitcnt vmcnt(6)
	v_fma_f64 v[9:10], v[9:10], v[101:102], -v[27:28]
	v_mul_f64 v[19:20], v[5:6], v[35:36]
	v_fma_f64 v[11:12], v[11:12], v[101:102], v[23:24]
	v_add_f64 v[1:2], v[15:16], v[1:2]
	v_add_f64 v[3:4], v[13:14], v[3:4]
	s_waitcnt vmcnt(4)
	v_fma_f64 v[5:6], v[5:6], v[47:48], -v[21:22]
	v_fma_f64 v[7:8], v[7:8], v[47:48], v[19:20]
	v_add_f64 v[1:2], v[1:2], v[9:10]
	v_add_f64 v[3:4], v[3:4], v[11:12]
	;; [unrolled: 1-line block ×4, first 2 shown]
	s_waitcnt vmcnt(2)
	v_add_f64 v[1:2], v[17:18], -v[1:2]
	s_waitcnt vmcnt(0)
	v_add_f64 v[3:4], v[53:54], -v[3:4]
	buffer_store_dword v2, off, s[0:3], 0 offset:180
	buffer_store_dword v1, off, s[0:3], 0 offset:176
	;; [unrolled: 1-line block ×4, first 2 shown]
	v_cmpx_lt_u32_e32 9, v0
	s_cbranch_execz .LBB56_337
; %bb.336:
	v_mov_b32_e32 v4, s60
	v_mov_b32_e32 v5, 0
	s_clause 0x3
	buffer_load_dword v1, v4, s[0:3], 0 offen
	buffer_load_dword v2, v4, s[0:3], 0 offen offset:4
	buffer_load_dword v3, v4, s[0:3], 0 offen offset:8
	;; [unrolled: 1-line block ×3, first 2 shown]
	buffer_store_dword v5, off, s[0:3], 0 offset:160
	buffer_store_dword v5, off, s[0:3], 0 offset:164
	;; [unrolled: 1-line block ×4, first 2 shown]
	s_waitcnt vmcnt(0)
	ds_write_b128 v59, v[1:4]
.LBB56_337:
	s_or_b32 exec_lo, exec_lo, s4
	s_waitcnt lgkmcnt(0)
	s_waitcnt_vscnt null, 0x0
	s_barrier
	buffer_gl0_inv
	s_clause 0x37
	buffer_load_dword v17, off, s[0:3], 0 offset:184
	buffer_load_dword v18, off, s[0:3], 0 offset:188
	;; [unrolled: 1-line block ×56, first 2 shown]
	v_mov_b32_e32 v72, 0
	s_mov_b32 s4, exec_lo
	ds_read_b128 v[5:8], v72 offset:1072
	s_clause 0x2
	buffer_load_dword v92, off, s[0:3], 0 offset:412
	buffer_load_dword v100, off, s[0:3], 0 offset:388
	;; [unrolled: 1-line block ×3, first 2 shown]
	ds_read_b128 v[1:4], v72 offset:1088
	s_clause 0x4
	buffer_load_dword v108, off, s[0:3], 0 offset:428
	buffer_load_dword v109, off, s[0:3], 0 offset:440
	;; [unrolled: 1-line block ×5, first 2 shown]
	ds_read_b128 v[101:104], v72 offset:1104
	s_waitcnt vmcnt(62) lgkmcnt(2)
	v_mul_f64 v[105:106], v[7:8], v[17:18]
	v_mul_f64 v[17:18], v[5:6], v[17:18]
	s_waitcnt vmcnt(60) lgkmcnt(1)
	v_mul_f64 v[112:113], v[3:4], v[13:14]
	v_mul_f64 v[13:14], v[1:2], v[13:14]
	;; [unrolled: 3-line block ×3, first 2 shown]
	v_fma_f64 v[105:106], v[5:6], v[15:16], -v[105:106]
	v_fma_f64 v[15:16], v[7:8], v[15:16], v[17:18]
	s_clause 0x2
	buffer_load_dword v110, off, s[0:3], 0 offset:444
	buffer_load_dword v18, off, s[0:3], 0 offset:420
	;; [unrolled: 1-line block ×3, first 2 shown]
	s_waitcnt vmcnt(57)
	v_fma_f64 v[116:117], v[1:2], v[9:10], -v[112:113]
	ds_read_b128 v[5:8], v72 offset:1120
	v_fma_f64 v[9:10], v[3:4], v[9:10], v[13:14]
	s_waitcnt vmcnt(51)
	v_fma_f64 v[101:102], v[101:102], v[33:34], -v[11:12]
	v_fma_f64 v[33:34], v[103:104], v[33:34], v[114:115]
	v_add_f64 v[105:106], v[105:106], 0
	v_add_f64 v[13:14], v[15:16], 0
	s_clause 0x4
	buffer_load_dword v16, off, s[0:3], 0 offset:460
	buffer_load_dword v113, off, s[0:3], 0 offset:472
	;; [unrolled: 1-line block ×5, first 2 shown]
	s_waitcnt lgkmcnt(0)
	v_mul_f64 v[119:120], v[5:6], v[21:22]
	v_mul_f64 v[21:22], v[7:8], v[21:22]
	ds_read_b128 v[1:4], v72 offset:1136
	s_clause 0x2
	buffer_load_dword v114, off, s[0:3], 0 offset:476
	buffer_load_dword v104, off, s[0:3], 0 offset:452
	;; [unrolled: 1-line block ×3, first 2 shown]
	v_add_f64 v[105:106], v[105:106], v[116:117]
	v_add_f64 v[13:14], v[13:14], v[9:10]
	ds_read_b128 v[9:12], v72 offset:1152
	s_waitcnt vmcnt(58) lgkmcnt(1)
	v_mul_f64 v[115:116], v[1:2], v[25:26]
	v_mul_f64 v[25:26], v[3:4], v[25:26]
	s_waitcnt vmcnt(56)
	v_fma_f64 v[21:22], v[5:6], v[27:28], -v[21:22]
	v_fma_f64 v[27:28], v[7:8], v[27:28], v[119:120]
	s_waitcnt vmcnt(52) lgkmcnt(0)
	v_mul_f64 v[121:122], v[9:10], v[29:30]
	v_add_f64 v[101:102], v[105:106], v[101:102]
	v_add_f64 v[13:14], v[13:14], v[33:34]
	s_clause 0x4
	buffer_load_dword v34, off, s[0:3], 0 offset:492
	buffer_load_dword v105, off, s[0:3], 0 offset:504
	;; [unrolled: 1-line block ×5, first 2 shown]
	v_mul_f64 v[29:30], v[11:12], v[29:30]
	s_waitcnt vmcnt(56)
	v_fma_f64 v[25:26], v[1:2], v[19:20], -v[25:26]
	ds_read_b128 v[5:8], v72 offset:1168
	v_fma_f64 v[19:20], v[3:4], v[19:20], v[115:116]
	v_add_f64 v[21:22], v[101:102], v[21:22]
	v_add_f64 v[13:14], v[13:14], v[27:28]
	s_clause 0x2
	buffer_load_dword v106, off, s[0:3], 0 offset:508
	buffer_load_dword v28, off, s[0:3], 0 offset:484
	;; [unrolled: 1-line block ×3, first 2 shown]
	s_waitcnt vmcnt(58) lgkmcnt(0)
	v_mul_f64 v[101:102], v[5:6], v[35:36]
	v_mul_f64 v[35:36], v[7:8], v[35:36]
	s_waitcnt vmcnt(56)
	v_fma_f64 v[29:30], v[9:10], v[37:38], -v[29:30]
	ds_read_b128 v[1:4], v72 offset:1184
	v_add_f64 v[21:22], v[21:22], v[25:26]
	v_fma_f64 v[25:26], v[11:12], v[37:38], v[121:122]
	v_add_f64 v[13:14], v[13:14], v[19:20]
	s_clause 0x4
	buffer_load_dword v20, off, s[0:3], 0 offset:524
	buffer_load_dword v37, off, s[0:3], 0 offset:536
	;; [unrolled: 1-line block ×5, first 2 shown]
	s_waitcnt vmcnt(57) lgkmcnt(0)
	v_mul_f64 v[116:117], v[1:2], v[39:40]
	v_mul_f64 v[39:40], v[3:4], v[39:40]
	s_waitcnt vmcnt(56)
	v_fma_f64 v[35:36], v[5:6], v[23:24], -v[35:36]
	ds_read_b128 v[9:12], v72 offset:1200
	v_fma_f64 v[23:24], v[7:8], v[23:24], v[101:102]
	v_add_f64 v[21:22], v[21:22], v[29:30]
	v_add_f64 v[13:14], v[13:14], v[25:26]
	s_clause 0x2
	buffer_load_dword v38, off, s[0:3], 0 offset:540
	buffer_load_dword v26, off, s[0:3], 0 offset:516
	;; [unrolled: 1-line block ×3, first 2 shown]
	ds_read_b128 v[5:8], v72 offset:1216
	s_waitcnt vmcnt(58) lgkmcnt(1)
	v_mul_f64 v[29:30], v[9:10], v[43:44]
	v_mul_f64 v[43:44], v[11:12], v[43:44]
	s_waitcnt vmcnt(56)
	v_fma_f64 v[39:40], v[1:2], v[45:46], -v[39:40]
	v_add_f64 v[21:22], v[21:22], v[35:36]
	v_fma_f64 v[35:36], v[3:4], v[45:46], v[116:117]
	v_add_f64 v[13:14], v[13:14], v[23:24]
	s_clause 0x4
	buffer_load_dword v24, off, s[0:3], 0 offset:556
	buffer_load_dword v45, off, s[0:3], 0 offset:568
	;; [unrolled: 1-line block ×5, first 2 shown]
	s_waitcnt vmcnt(57) lgkmcnt(0)
	v_mul_f64 v[122:123], v[5:6], v[47:48]
	v_mul_f64 v[47:48], v[7:8], v[47:48]
	s_waitcnt vmcnt(56)
	v_fma_f64 v[43:44], v[9:10], v[31:32], -v[43:44]
	ds_read_b128 v[1:4], v72 offset:1232
	v_fma_f64 v[29:30], v[11:12], v[31:32], v[29:30]
	s_clause 0x2
	buffer_load_dword v46, off, s[0:3], 0 offset:572
	buffer_load_dword v32, off, s[0:3], 0 offset:548
	;; [unrolled: 1-line block ×3, first 2 shown]
	ds_read_b128 v[9:12], v72 offset:1248
	v_add_f64 v[21:22], v[21:22], v[39:40]
	v_add_f64 v[13:14], v[13:14], v[35:36]
	s_waitcnt vmcnt(58) lgkmcnt(1)
	v_mul_f64 v[39:40], v[3:4], v[51:52]
	s_waitcnt vmcnt(56)
	v_fma_f64 v[47:48], v[5:6], v[53:54], -v[47:48]
	v_mul_f64 v[35:36], v[1:2], v[51:52]
	v_add_f64 v[21:22], v[21:22], v[43:44]
	v_fma_f64 v[43:44], v[7:8], v[53:54], v[122:123]
	v_add_f64 v[13:14], v[13:14], v[29:30]
	s_clause 0x4
	buffer_load_dword v30, off, s[0:3], 0 offset:588
	buffer_load_dword v51, off, s[0:3], 0 offset:600
	;; [unrolled: 1-line block ×5, first 2 shown]
	s_waitcnt vmcnt(57) lgkmcnt(0)
	v_mul_f64 v[122:123], v[9:10], v[55:56]
	v_mul_f64 v[54:55], v[11:12], v[55:56]
	s_waitcnt vmcnt(56)
	v_fma_f64 v[39:40], v[1:2], v[41:42], -v[39:40]
	ds_read_b128 v[5:8], v72 offset:1264
	v_fma_f64 v[35:36], v[3:4], v[41:42], v[35:36]
	s_clause 0x2
	buffer_load_dword v52, off, s[0:3], 0 offset:604
	buffer_load_dword v42, off, s[0:3], 0 offset:580
	;; [unrolled: 1-line block ×3, first 2 shown]
	ds_read_b128 v[1:4], v72 offset:1280
	v_add_f64 v[21:22], v[21:22], v[47:48]
	v_add_f64 v[13:14], v[13:14], v[43:44]
	s_waitcnt vmcnt(58) lgkmcnt(1)
	v_mul_f64 v[47:48], v[7:8], v[77:78]
	s_waitcnt vmcnt(56)
	v_fma_f64 v[55:56], v[9:10], v[79:80], -v[54:55]
	v_mul_f64 v[43:44], v[5:6], v[77:78]
	v_add_f64 v[21:22], v[21:22], v[39:40]
	v_fma_f64 v[39:40], v[11:12], v[79:80], v[122:123]
	v_add_f64 v[13:14], v[13:14], v[35:36]
	s_clause 0x4
	buffer_load_dword v36, off, s[0:3], 0 offset:620
	buffer_load_dword v77, off, s[0:3], 0 offset:632
	;; [unrolled: 1-line block ×5, first 2 shown]
	s_waitcnt vmcnt(57) lgkmcnt(0)
	v_mul_f64 v[122:123], v[1:2], v[89:90]
	v_mul_f64 v[89:90], v[3:4], v[89:90]
	s_waitcnt vmcnt(56)
	v_fma_f64 v[47:48], v[5:6], v[49:50], -v[47:48]
	ds_read_b128 v[9:12], v72 offset:1296
	v_fma_f64 v[43:44], v[7:8], v[49:50], v[43:44]
	v_add_f64 v[21:22], v[21:22], v[55:56]
	v_add_f64 v[13:14], v[13:14], v[39:40]
	s_clause 0x2
	buffer_load_dword v78, off, s[0:3], 0 offset:636
	buffer_load_dword v40, off, s[0:3], 0 offset:612
	;; [unrolled: 1-line block ×3, first 2 shown]
	ds_read_b128 v[5:8], v72 offset:1312
	s_waitcnt vmcnt(58) lgkmcnt(1)
	v_mul_f64 v[55:56], v[11:12], v[91:92]
	s_waitcnt vmcnt(56)
	v_fma_f64 v[89:90], v[1:2], v[99:100], -v[89:90]
	v_mul_f64 v[49:50], v[9:10], v[91:92]
	v_add_f64 v[21:22], v[21:22], v[47:48]
	v_fma_f64 v[47:48], v[3:4], v[99:100], v[122:123]
	v_add_f64 v[13:14], v[13:14], v[43:44]
	s_clause 0x4
	buffer_load_dword v44, off, s[0:3], 0 offset:652
	buffer_load_dword v91, off, s[0:3], 0 offset:664
	;; [unrolled: 1-line block ×5, first 2 shown]
	s_waitcnt vmcnt(57) lgkmcnt(0)
	v_mul_f64 v[122:123], v[5:6], v[107:108]
	v_mul_f64 v[107:108], v[7:8], v[107:108]
	s_waitcnt vmcnt(56)
	v_fma_f64 v[55:56], v[9:10], v[57:58], -v[55:56]
	ds_read_b128 v[1:4], v72 offset:1328
	v_fma_f64 v[49:50], v[11:12], v[57:58], v[49:50]
	v_add_f64 v[21:22], v[21:22], v[89:90]
	v_add_f64 v[13:14], v[13:14], v[47:48]
	s_clause 0x2
	buffer_load_dword v92, off, s[0:3], 0 offset:668
	buffer_load_dword v48, off, s[0:3], 0 offset:644
	;; [unrolled: 1-line block ×3, first 2 shown]
	ds_read_b128 v[9:12], v72 offset:1344
	s_waitcnt vmcnt(58) lgkmcnt(1)
	v_mul_f64 v[89:90], v[3:4], v[109:110]
	v_mul_f64 v[57:58], v[1:2], v[109:110]
	s_waitcnt vmcnt(56)
	v_fma_f64 v[107:108], v[5:6], v[17:18], -v[107:108]
	v_fma_f64 v[17:18], v[7:8], v[17:18], v[122:123]
	v_add_f64 v[21:22], v[21:22], v[55:56]
	v_add_f64 v[13:14], v[13:14], v[49:50]
	s_clause 0x4
	buffer_load_dword v50, off, s[0:3], 0 offset:684
	buffer_load_dword v55, off, s[0:3], 0 offset:696
	;; [unrolled: 1-line block ×5, first 2 shown]
	ds_read_b128 v[5:8], v72 offset:1360
	s_waitcnt vmcnt(57) lgkmcnt(1)
	v_mul_f64 v[122:123], v[9:10], v[15:16]
	v_mul_f64 v[15:16], v[11:12], v[15:16]
	s_waitcnt vmcnt(56)
	v_fma_f64 v[89:90], v[1:2], v[111:112], -v[89:90]
	v_fma_f64 v[57:58], v[3:4], v[111:112], v[57:58]
	v_add_f64 v[21:22], v[21:22], v[107:108]
	v_add_f64 v[13:14], v[13:14], v[17:18]
	s_clause 0x2
	buffer_load_dword v56, off, s[0:3], 0 offset:700
	buffer_load_dword v18, off, s[0:3], 0 offset:676
	;; [unrolled: 1-line block ×3, first 2 shown]
	s_waitcnt vmcnt(58) lgkmcnt(0)
	v_mul_f64 v[111:112], v[7:8], v[113:114]
	ds_read_b128 v[1:4], v72 offset:1376
	v_mul_f64 v[107:108], v[5:6], v[113:114]
	s_waitcnt vmcnt(56)
	v_fma_f64 v[15:16], v[9:10], v[103:104], -v[15:16]
	v_add_f64 v[21:22], v[21:22], v[89:90]
	v_fma_f64 v[89:90], v[11:12], v[103:104], v[122:123]
	v_add_f64 v[13:14], v[13:14], v[57:58]
	s_clause 0x4
	buffer_load_dword v58, off, s[0:3], 0 offset:716
	buffer_load_dword v103, off, s[0:3], 0 offset:728
	;; [unrolled: 1-line block ×5, first 2 shown]
	ds_read_b128 v[9:12], v72 offset:1392
	s_waitcnt vmcnt(57) lgkmcnt(1)
	v_mul_f64 v[122:123], v[1:2], v[33:34]
	v_mul_f64 v[33:34], v[3:4], v[33:34]
	s_waitcnt vmcnt(56)
	v_fma_f64 v[111:112], v[5:6], v[118:119], -v[111:112]
	v_add_f64 v[15:16], v[21:22], v[15:16]
	v_fma_f64 v[21:22], v[7:8], v[118:119], v[107:108]
	v_add_f64 v[13:14], v[13:14], v[89:90]
	s_clause 0x2
	buffer_load_dword v104, off, s[0:3], 0 offset:732
	buffer_load_dword v90, off, s[0:3], 0 offset:708
	;; [unrolled: 1-line block ×3, first 2 shown]
	ds_read_b128 v[5:8], v72 offset:1408
	s_waitcnt vmcnt(58) lgkmcnt(1)
	v_mul_f64 v[107:108], v[9:10], v[105:106]
	v_mul_f64 v[105:106], v[11:12], v[105:106]
	s_waitcnt vmcnt(56)
	v_fma_f64 v[33:34], v[1:2], v[27:28], -v[33:34]
	v_fma_f64 v[27:28], v[3:4], v[27:28], v[122:123]
	v_add_f64 v[15:16], v[15:16], v[111:112]
	v_add_f64 v[13:14], v[13:14], v[21:22]
	s_clause 0x4
	buffer_load_dword v22, off, s[0:3], 0 offset:748
	buffer_load_dword v111, off, s[0:3], 0 offset:760
	;; [unrolled: 1-line block ×5, first 2 shown]
	ds_read_b128 v[1:4], v72 offset:1424
	s_waitcnt vmcnt(57) lgkmcnt(1)
	v_mul_f64 v[118:119], v[5:6], v[19:20]
	v_mul_f64 v[19:20], v[7:8], v[19:20]
	s_waitcnt vmcnt(56)
	v_fma_f64 v[105:106], v[9:10], v[120:121], -v[105:106]
	v_add_f64 v[15:16], v[15:16], v[33:34]
	v_fma_f64 v[33:34], v[11:12], v[120:121], v[107:108]
	v_add_f64 v[13:14], v[13:14], v[27:28]
	s_clause 0x2
	buffer_load_dword v112, off, s[0:3], 0 offset:764
	buffer_load_dword v28, off, s[0:3], 0 offset:740
	;; [unrolled: 1-line block ×3, first 2 shown]
	ds_read_b128 v[9:12], v72 offset:1440
	s_waitcnt vmcnt(58) lgkmcnt(1)
	v_mul_f64 v[107:108], v[1:2], v[37:38]
	v_mul_f64 v[37:38], v[3:4], v[37:38]
	s_waitcnt vmcnt(56)
	v_fma_f64 v[19:20], v[5:6], v[25:26], -v[19:20]
	v_fma_f64 v[25:26], v[7:8], v[25:26], v[118:119]
	v_add_f64 v[15:16], v[15:16], v[105:106]
	v_add_f64 v[13:14], v[13:14], v[33:34]
	s_clause 0x4
	buffer_load_dword v34, off, s[0:3], 0 offset:780
	buffer_load_dword v105, off, s[0:3], 0 offset:792
	;; [unrolled: 1-line block ×5, first 2 shown]
	ds_read_b128 v[5:8], v72 offset:1456
	s_waitcnt vmcnt(57) lgkmcnt(1)
	v_mul_f64 v[120:121], v[9:10], v[23:24]
	v_mul_f64 v[23:24], v[11:12], v[23:24]
	s_waitcnt vmcnt(56)
	v_fma_f64 v[37:38], v[1:2], v[115:116], -v[37:38]
	v_add_f64 v[15:16], v[15:16], v[19:20]
	v_fma_f64 v[19:20], v[3:4], v[115:116], v[107:108]
	v_add_f64 v[13:14], v[13:14], v[25:26]
	s_clause 0x2
	buffer_load_dword v106, off, s[0:3], 0 offset:796
	buffer_load_dword v26, off, s[0:3], 0 offset:772
	;; [unrolled: 1-line block ×3, first 2 shown]
	s_waitcnt vmcnt(58) lgkmcnt(0)
	v_mul_f64 v[107:108], v[5:6], v[45:46]
	v_mul_f64 v[45:46], v[7:8], v[45:46]
	ds_read_b128 v[1:4], v72 offset:1472
	s_waitcnt vmcnt(56)
	v_fma_f64 v[23:24], v[9:10], v[31:32], -v[23:24]
	v_fma_f64 v[31:32], v[11:12], v[31:32], v[120:121]
	v_add_f64 v[15:16], v[15:16], v[37:38]
	v_add_f64 v[13:14], v[13:14], v[19:20]
	s_clause 0x4
	buffer_load_dword v20, off, s[0:3], 0 offset:812
	buffer_load_dword v37, off, s[0:3], 0 offset:824
	;; [unrolled: 1-line block ×5, first 2 shown]
	ds_read_b128 v[9:12], v72 offset:1488
	s_waitcnt vmcnt(57) lgkmcnt(1)
	v_mul_f64 v[121:122], v[1:2], v[29:30]
	v_mul_f64 v[29:30], v[3:4], v[29:30]
	s_waitcnt vmcnt(56)
	v_fma_f64 v[45:46], v[5:6], v[101:102], -v[45:46]
	v_add_f64 v[15:16], v[15:16], v[23:24]
	v_fma_f64 v[23:24], v[7:8], v[101:102], v[107:108]
	v_add_f64 v[13:14], v[13:14], v[31:32]
	s_clause 0x2
	buffer_load_dword v38, off, s[0:3], 0 offset:828
	buffer_load_dword v32, off, s[0:3], 0 offset:804
	;; [unrolled: 1-line block ×3, first 2 shown]
	s_waitcnt vmcnt(58) lgkmcnt(0)
	v_mul_f64 v[101:102], v[9:10], v[51:52]
	v_mul_f64 v[51:52], v[11:12], v[51:52]
	ds_read_b128 v[5:8], v72 offset:1504
	s_waitcnt vmcnt(56)
	v_fma_f64 v[29:30], v[1:2], v[41:42], -v[29:30]
	v_fma_f64 v[41:42], v[3:4], v[41:42], v[121:122]
	v_add_f64 v[15:16], v[15:16], v[45:46]
	v_add_f64 v[13:14], v[13:14], v[23:24]
	s_clause 0x4
	buffer_load_dword v24, off, s[0:3], 0 offset:844
	buffer_load_dword v45, off, s[0:3], 0 offset:856
	;; [unrolled: 1-line block ×5, first 2 shown]
	ds_read_b128 v[1:4], v72 offset:1520
	s_waitcnt vmcnt(57) lgkmcnt(1)
	v_mul_f64 v[121:122], v[5:6], v[35:36]
	v_mul_f64 v[35:36], v[7:8], v[35:36]
	s_waitcnt vmcnt(56)
	v_fma_f64 v[51:52], v[9:10], v[53:54], -v[51:52]
	v_add_f64 v[15:16], v[15:16], v[29:30]
	v_fma_f64 v[29:30], v[11:12], v[53:54], v[101:102]
	v_add_f64 v[13:14], v[13:14], v[41:42]
	s_clause 0x2
	buffer_load_dword v46, off, s[0:3], 0 offset:860
	buffer_load_dword v42, off, s[0:3], 0 offset:836
	;; [unrolled: 1-line block ×3, first 2 shown]
	ds_read_b128 v[9:12], v72 offset:1536
	s_waitcnt vmcnt(58) lgkmcnt(1)
	v_mul_f64 v[53:54], v[1:2], v[77:78]
	v_mul_f64 v[77:78], v[3:4], v[77:78]
	s_waitcnt vmcnt(56)
	v_fma_f64 v[35:36], v[5:6], v[39:40], -v[35:36]
	v_fma_f64 v[39:40], v[7:8], v[39:40], v[121:122]
	v_add_f64 v[15:16], v[15:16], v[51:52]
	v_add_f64 v[13:14], v[13:14], v[29:30]
	s_clause 0x4
	buffer_load_dword v30, off, s[0:3], 0 offset:876
	buffer_load_dword v51, off, s[0:3], 0 offset:888
	;; [unrolled: 1-line block ×5, first 2 shown]
	ds_read_b128 v[5:8], v72 offset:1552
	s_waitcnt vmcnt(57) lgkmcnt(1)
	v_mul_f64 v[121:122], v[9:10], v[43:44]
	v_mul_f64 v[43:44], v[11:12], v[43:44]
	s_waitcnt vmcnt(56)
	v_fma_f64 v[77:78], v[1:2], v[79:80], -v[77:78]
	v_add_f64 v[15:16], v[15:16], v[35:36]
	v_fma_f64 v[35:36], v[3:4], v[79:80], v[53:54]
	v_add_f64 v[13:14], v[13:14], v[39:40]
	s_clause 0x2
	buffer_load_dword v52, off, s[0:3], 0 offset:892
	buffer_load_dword v40, off, s[0:3], 0 offset:868
	;; [unrolled: 1-line block ×3, first 2 shown]
	ds_read_b128 v[1:4], v72 offset:1568
	s_waitcnt vmcnt(58) lgkmcnt(1)
	v_mul_f64 v[79:80], v[7:8], v[91:92]
	v_mul_f64 v[53:54], v[5:6], v[91:92]
	s_waitcnt vmcnt(56)
	v_fma_f64 v[43:44], v[9:10], v[47:48], -v[43:44]
	v_fma_f64 v[47:48], v[11:12], v[47:48], v[121:122]
	v_add_f64 v[15:16], v[15:16], v[77:78]
	v_add_f64 v[13:14], v[13:14], v[35:36]
	s_clause 0x4
	buffer_load_dword v36, off, s[0:3], 0 offset:908
	buffer_load_dword v77, off, s[0:3], 0 offset:920
	;; [unrolled: 1-line block ×5, first 2 shown]
	ds_read_b128 v[9:12], v72 offset:1584
	s_waitcnt vmcnt(57) lgkmcnt(1)
	v_mul_f64 v[121:122], v[1:2], v[49:50]
	v_mul_f64 v[49:50], v[3:4], v[49:50]
	s_waitcnt vmcnt(56)
	v_fma_f64 v[79:80], v[5:6], v[99:100], -v[79:80]
	v_add_f64 v[15:16], v[15:16], v[43:44]
	v_fma_f64 v[43:44], v[7:8], v[99:100], v[53:54]
	v_add_f64 v[13:14], v[13:14], v[47:48]
	s_clause 0x2
	buffer_load_dword v78, off, s[0:3], 0 offset:924
	buffer_load_dword v48, off, s[0:3], 0 offset:900
	;; [unrolled: 1-line block ×3, first 2 shown]
	ds_read_b128 v[5:8], v72 offset:1600
	buffer_load_dword v92, off, s[0:3], 0 offset:916
	s_waitcnt vmcnt(59) lgkmcnt(1)
	v_mul_f64 v[53:54], v[9:10], v[55:56]
	v_mul_f64 v[55:56], v[11:12], v[55:56]
	s_waitcnt vmcnt(57)
	v_fma_f64 v[49:50], v[1:2], v[17:18], -v[49:50]
	v_fma_f64 v[17:18], v[3:4], v[17:18], v[121:122]
	ds_read_b128 v[1:4], v72 offset:1616
	v_add_f64 v[15:16], v[15:16], v[79:80]
	v_add_f64 v[13:14], v[13:14], v[43:44]
	s_waitcnt vmcnt(53) lgkmcnt(1)
	v_mul_f64 v[43:44], v[5:6], v[57:58]
	v_mul_f64 v[57:58], v[7:8], v[57:58]
	s_waitcnt vmcnt(52)
	v_fma_f64 v[55:56], v[9:10], v[109:110], -v[55:56]
	v_add_f64 v[15:16], v[15:16], v[49:50]
	v_fma_f64 v[49:50], v[11:12], v[109:110], v[53:54]
	v_add_f64 v[13:14], v[13:14], v[17:18]
	ds_read_b128 v[9:12], v72 offset:1632
	s_waitcnt vmcnt(51) lgkmcnt(1)
	v_mul_f64 v[53:54], v[3:4], v[103:104]
	v_mul_f64 v[17:18], v[1:2], v[103:104]
	s_waitcnt vmcnt(49)
	v_fma_f64 v[57:58], v[5:6], v[89:90], -v[57:58]
	v_fma_f64 v[43:44], v[7:8], v[89:90], v[43:44]
	v_add_f64 v[15:16], v[15:16], v[55:56]
	v_add_f64 v[13:14], v[13:14], v[49:50]
	s_clause 0x3
	buffer_load_dword v49, off, s[0:3], 0 offset:160
	buffer_load_dword v50, off, s[0:3], 0 offset:164
	;; [unrolled: 1-line block ×4, first 2 shown]
	ds_read_b128 v[5:8], v72 offset:1648
	s_waitcnt vmcnt(49) lgkmcnt(1)
	v_mul_f64 v[79:80], v[9:10], v[21:22]
	v_mul_f64 v[21:22], v[11:12], v[21:22]
	s_waitcnt vmcnt(48)
	v_fma_f64 v[53:54], v[1:2], v[113:114], -v[53:54]
	v_fma_f64 v[17:18], v[3:4], v[113:114], v[17:18]
	ds_read_b128 v[1:4], v72 offset:1664
	v_add_f64 v[15:16], v[15:16], v[57:58]
	v_add_f64 v[13:14], v[13:14], v[43:44]
	s_waitcnt vmcnt(47) lgkmcnt(1)
	v_mul_f64 v[57:58], v[7:8], v[111:112]
	v_mul_f64 v[43:44], v[5:6], v[111:112]
	s_waitcnt vmcnt(45)
	v_fma_f64 v[21:22], v[9:10], v[27:28], -v[21:22]
	v_fma_f64 v[27:28], v[11:12], v[27:28], v[79:80]
	ds_read_b128 v[9:12], v72 offset:1680
	v_add_f64 v[15:16], v[15:16], v[53:54]
	v_add_f64 v[13:14], v[13:14], v[17:18]
	s_waitcnt vmcnt(41) lgkmcnt(1)
	v_mul_f64 v[17:18], v[1:2], v[33:34]
	v_mul_f64 v[33:34], v[3:4], v[33:34]
	s_waitcnt vmcnt(40)
	v_fma_f64 v[53:54], v[5:6], v[117:118], -v[57:58]
	v_add_f64 v[15:16], v[15:16], v[21:22]
	v_fma_f64 v[21:22], v[7:8], v[117:118], v[43:44]
	v_add_f64 v[13:14], v[13:14], v[27:28]
	ds_read_b128 v[5:8], v72 offset:1696
	s_waitcnt vmcnt(39) lgkmcnt(1)
	v_mul_f64 v[43:44], v[11:12], v[105:106]
	v_mul_f64 v[27:28], v[9:10], v[105:106]
	s_waitcnt vmcnt(37)
	v_fma_f64 v[33:34], v[1:2], v[25:26], -v[33:34]
	v_fma_f64 v[17:18], v[3:4], v[25:26], v[17:18]
	ds_read_b128 v[1:4], v72 offset:1712
	v_add_f64 v[15:16], v[15:16], v[53:54]
	v_add_f64 v[13:14], v[13:14], v[21:22]
	s_waitcnt vmcnt(33) lgkmcnt(1)
	v_mul_f64 v[21:22], v[5:6], v[19:20]
	v_mul_f64 v[19:20], v[7:8], v[19:20]
	s_waitcnt vmcnt(32)
	v_fma_f64 v[25:26], v[9:10], v[119:120], -v[43:44]
	v_fma_f64 v[27:28], v[11:12], v[119:120], v[27:28]
	ds_read_b128 v[9:12], v72 offset:1728
	v_add_f64 v[15:16], v[15:16], v[33:34]
	v_add_f64 v[13:14], v[13:14], v[17:18]
	;; [unrolled: 9-line block ×5, first 2 shown]
	s_waitcnt vmcnt(17) lgkmcnt(1)
	v_mul_f64 v[27:28], v[3:4], v[29:30]
	s_waitcnt vmcnt(16)
	v_fma_f64 v[21:22], v[5:6], v[107:108], -v[21:22]
	v_mul_f64 v[17:18], v[1:2], v[29:30]
	v_fma_f64 v[19:20], v[7:8], v[107:108], v[19:20]
	ds_read_b128 v[5:8], v72 offset:1792
	v_add_f64 v[15:16], v[15:16], v[23:24]
	v_add_f64 v[13:14], v[13:14], v[25:26]
	s_waitcnt vmcnt(15) lgkmcnt(1)
	v_mul_f64 v[25:26], v[11:12], v[51:52]
	v_mul_f64 v[23:24], v[9:10], v[51:52]
	s_waitcnt vmcnt(13)
	v_fma_f64 v[27:28], v[1:2], v[39:40], -v[27:28]
	v_fma_f64 v[17:18], v[3:4], v[39:40], v[17:18]
	ds_read_b128 v[1:4], v72 offset:1808
	v_add_f64 v[15:16], v[15:16], v[21:22]
	v_add_f64 v[13:14], v[13:14], v[19:20]
	s_waitcnt vmcnt(9) lgkmcnt(1)
	v_mul_f64 v[21:22], v[7:8], v[35:36]
	s_waitcnt vmcnt(8)
	v_fma_f64 v[9:10], v[9:10], v[101:102], -v[25:26]
	v_mul_f64 v[19:20], v[5:6], v[35:36]
	v_fma_f64 v[11:12], v[11:12], v[101:102], v[23:24]
	v_add_f64 v[15:16], v[15:16], v[27:28]
	v_add_f64 v[13:14], v[13:14], v[17:18]
	s_waitcnt vmcnt(7) lgkmcnt(0)
	v_mul_f64 v[23:24], v[3:4], v[77:78]
	v_mul_f64 v[17:18], v[1:2], v[77:78]
	s_waitcnt vmcnt(5)
	v_fma_f64 v[5:6], v[5:6], v[47:48], -v[21:22]
	v_fma_f64 v[7:8], v[7:8], v[47:48], v[19:20]
	v_add_f64 v[9:10], v[15:16], v[9:10]
	v_add_f64 v[11:12], v[13:14], v[11:12]
	s_waitcnt vmcnt(4)
	v_fma_f64 v[1:2], v[1:2], v[91:92], -v[23:24]
	v_fma_f64 v[3:4], v[3:4], v[91:92], v[17:18]
	v_add_f64 v[5:6], v[9:10], v[5:6]
	v_add_f64 v[7:8], v[11:12], v[7:8]
	;; [unrolled: 1-line block ×4, first 2 shown]
	s_waitcnt vmcnt(2)
	v_add_f64 v[1:2], v[49:50], -v[1:2]
	s_waitcnt vmcnt(0)
	v_add_f64 v[3:4], v[55:56], -v[3:4]
	buffer_store_dword v2, off, s[0:3], 0 offset:164
	buffer_store_dword v1, off, s[0:3], 0 offset:160
	;; [unrolled: 1-line block ×4, first 2 shown]
	v_cmpx_lt_u32_e32 8, v0
	s_cbranch_execz .LBB56_339
; %bb.338:
	v_mov_b32_e32 v4, s61
	s_clause 0x3
	buffer_load_dword v1, v4, s[0:3], 0 offen
	buffer_load_dword v2, v4, s[0:3], 0 offen offset:4
	buffer_load_dword v3, v4, s[0:3], 0 offen offset:8
	;; [unrolled: 1-line block ×3, first 2 shown]
	buffer_store_dword v72, off, s[0:3], 0 offset:144
	buffer_store_dword v72, off, s[0:3], 0 offset:148
	;; [unrolled: 1-line block ×4, first 2 shown]
	s_waitcnt vmcnt(0)
	ds_write_b128 v59, v[1:4]
.LBB56_339:
	s_or_b32 exec_lo, exec_lo, s4
	s_waitcnt lgkmcnt(0)
	s_waitcnt_vscnt null, 0x0
	s_barrier
	buffer_gl0_inv
	s_clause 0x37
	buffer_load_dword v17, off, s[0:3], 0 offset:168
	buffer_load_dword v18, off, s[0:3], 0 offset:172
	;; [unrolled: 1-line block ×56, first 2 shown]
	ds_read_b128 v[5:8], v72 offset:1056
	s_clause 0x2
	buffer_load_dword v92, off, s[0:3], 0 offset:396
	buffer_load_dword v100, off, s[0:3], 0 offset:372
	;; [unrolled: 1-line block ×3, first 2 shown]
	ds_read_b128 v[1:4], v72 offset:1072
	s_clause 0x4
	buffer_load_dword v108, off, s[0:3], 0 offset:412
	buffer_load_dword v109, off, s[0:3], 0 offset:424
	;; [unrolled: 1-line block ×5, first 2 shown]
	ds_read_b128 v[101:104], v72 offset:1088
	s_mov_b32 s4, exec_lo
	s_waitcnt vmcnt(62) lgkmcnt(2)
	v_mul_f64 v[105:106], v[7:8], v[17:18]
	v_mul_f64 v[17:18], v[5:6], v[17:18]
	s_waitcnt vmcnt(60) lgkmcnt(1)
	v_mul_f64 v[112:113], v[3:4], v[13:14]
	v_mul_f64 v[13:14], v[1:2], v[13:14]
	;; [unrolled: 3-line block ×3, first 2 shown]
	v_fma_f64 v[105:106], v[5:6], v[15:16], -v[105:106]
	v_fma_f64 v[15:16], v[7:8], v[15:16], v[17:18]
	s_clause 0x2
	buffer_load_dword v110, off, s[0:3], 0 offset:428
	buffer_load_dword v18, off, s[0:3], 0 offset:404
	;; [unrolled: 1-line block ×3, first 2 shown]
	s_waitcnt vmcnt(57)
	v_fma_f64 v[116:117], v[1:2], v[9:10], -v[112:113]
	ds_read_b128 v[5:8], v72 offset:1104
	v_fma_f64 v[9:10], v[3:4], v[9:10], v[13:14]
	s_waitcnt vmcnt(51)
	v_fma_f64 v[101:102], v[101:102], v[33:34], -v[11:12]
	v_fma_f64 v[33:34], v[103:104], v[33:34], v[114:115]
	v_add_f64 v[105:106], v[105:106], 0
	v_add_f64 v[13:14], v[15:16], 0
	s_clause 0x4
	buffer_load_dword v16, off, s[0:3], 0 offset:444
	buffer_load_dword v113, off, s[0:3], 0 offset:456
	;; [unrolled: 1-line block ×5, first 2 shown]
	s_waitcnt lgkmcnt(0)
	v_mul_f64 v[119:120], v[5:6], v[21:22]
	v_mul_f64 v[21:22], v[7:8], v[21:22]
	ds_read_b128 v[1:4], v72 offset:1120
	s_clause 0x2
	buffer_load_dword v114, off, s[0:3], 0 offset:460
	buffer_load_dword v104, off, s[0:3], 0 offset:436
	;; [unrolled: 1-line block ×3, first 2 shown]
	v_add_f64 v[105:106], v[105:106], v[116:117]
	v_add_f64 v[13:14], v[13:14], v[9:10]
	ds_read_b128 v[9:12], v72 offset:1136
	s_waitcnt vmcnt(58) lgkmcnt(1)
	v_mul_f64 v[115:116], v[1:2], v[25:26]
	v_mul_f64 v[25:26], v[3:4], v[25:26]
	s_waitcnt vmcnt(56)
	v_fma_f64 v[21:22], v[5:6], v[27:28], -v[21:22]
	v_fma_f64 v[27:28], v[7:8], v[27:28], v[119:120]
	s_waitcnt vmcnt(52) lgkmcnt(0)
	v_mul_f64 v[121:122], v[9:10], v[29:30]
	v_add_f64 v[101:102], v[105:106], v[101:102]
	v_add_f64 v[13:14], v[13:14], v[33:34]
	s_clause 0x4
	buffer_load_dword v34, off, s[0:3], 0 offset:476
	buffer_load_dword v105, off, s[0:3], 0 offset:488
	;; [unrolled: 1-line block ×5, first 2 shown]
	v_mul_f64 v[29:30], v[11:12], v[29:30]
	s_waitcnt vmcnt(56)
	v_fma_f64 v[25:26], v[1:2], v[19:20], -v[25:26]
	ds_read_b128 v[5:8], v72 offset:1152
	v_fma_f64 v[19:20], v[3:4], v[19:20], v[115:116]
	v_add_f64 v[21:22], v[101:102], v[21:22]
	v_add_f64 v[13:14], v[13:14], v[27:28]
	s_clause 0x2
	buffer_load_dword v106, off, s[0:3], 0 offset:492
	buffer_load_dword v28, off, s[0:3], 0 offset:468
	;; [unrolled: 1-line block ×3, first 2 shown]
	s_waitcnt vmcnt(58) lgkmcnt(0)
	v_mul_f64 v[101:102], v[5:6], v[35:36]
	v_mul_f64 v[35:36], v[7:8], v[35:36]
	s_waitcnt vmcnt(56)
	v_fma_f64 v[29:30], v[9:10], v[37:38], -v[29:30]
	ds_read_b128 v[1:4], v72 offset:1168
	v_add_f64 v[21:22], v[21:22], v[25:26]
	v_fma_f64 v[25:26], v[11:12], v[37:38], v[121:122]
	v_add_f64 v[13:14], v[13:14], v[19:20]
	s_clause 0x4
	buffer_load_dword v20, off, s[0:3], 0 offset:508
	buffer_load_dword v37, off, s[0:3], 0 offset:520
	;; [unrolled: 1-line block ×5, first 2 shown]
	s_waitcnt vmcnt(57) lgkmcnt(0)
	v_mul_f64 v[116:117], v[1:2], v[39:40]
	v_mul_f64 v[39:40], v[3:4], v[39:40]
	s_waitcnt vmcnt(56)
	v_fma_f64 v[35:36], v[5:6], v[23:24], -v[35:36]
	ds_read_b128 v[9:12], v72 offset:1184
	v_fma_f64 v[23:24], v[7:8], v[23:24], v[101:102]
	v_add_f64 v[21:22], v[21:22], v[29:30]
	v_add_f64 v[13:14], v[13:14], v[25:26]
	s_clause 0x2
	buffer_load_dword v38, off, s[0:3], 0 offset:524
	buffer_load_dword v26, off, s[0:3], 0 offset:500
	;; [unrolled: 1-line block ×3, first 2 shown]
	ds_read_b128 v[5:8], v72 offset:1200
	s_waitcnt vmcnt(58) lgkmcnt(1)
	v_mul_f64 v[29:30], v[9:10], v[43:44]
	v_mul_f64 v[43:44], v[11:12], v[43:44]
	s_waitcnt vmcnt(56)
	v_fma_f64 v[39:40], v[1:2], v[45:46], -v[39:40]
	v_add_f64 v[21:22], v[21:22], v[35:36]
	v_fma_f64 v[35:36], v[3:4], v[45:46], v[116:117]
	v_add_f64 v[13:14], v[13:14], v[23:24]
	s_clause 0x4
	buffer_load_dword v24, off, s[0:3], 0 offset:540
	buffer_load_dword v45, off, s[0:3], 0 offset:552
	;; [unrolled: 1-line block ×5, first 2 shown]
	s_waitcnt vmcnt(57) lgkmcnt(0)
	v_mul_f64 v[122:123], v[5:6], v[47:48]
	v_mul_f64 v[47:48], v[7:8], v[47:48]
	s_waitcnt vmcnt(56)
	v_fma_f64 v[43:44], v[9:10], v[31:32], -v[43:44]
	ds_read_b128 v[1:4], v72 offset:1216
	v_fma_f64 v[29:30], v[11:12], v[31:32], v[29:30]
	s_clause 0x2
	buffer_load_dword v46, off, s[0:3], 0 offset:556
	buffer_load_dword v32, off, s[0:3], 0 offset:532
	;; [unrolled: 1-line block ×3, first 2 shown]
	ds_read_b128 v[9:12], v72 offset:1232
	v_add_f64 v[21:22], v[21:22], v[39:40]
	v_add_f64 v[13:14], v[13:14], v[35:36]
	s_waitcnt vmcnt(58) lgkmcnt(1)
	v_mul_f64 v[39:40], v[3:4], v[51:52]
	s_waitcnt vmcnt(56)
	v_fma_f64 v[47:48], v[5:6], v[53:54], -v[47:48]
	v_mul_f64 v[35:36], v[1:2], v[51:52]
	v_add_f64 v[21:22], v[21:22], v[43:44]
	v_fma_f64 v[43:44], v[7:8], v[53:54], v[122:123]
	v_add_f64 v[13:14], v[13:14], v[29:30]
	s_clause 0x4
	buffer_load_dword v30, off, s[0:3], 0 offset:572
	buffer_load_dword v51, off, s[0:3], 0 offset:584
	;; [unrolled: 1-line block ×5, first 2 shown]
	s_waitcnt vmcnt(57) lgkmcnt(0)
	v_mul_f64 v[122:123], v[9:10], v[55:56]
	v_mul_f64 v[54:55], v[11:12], v[55:56]
	s_waitcnt vmcnt(56)
	v_fma_f64 v[39:40], v[1:2], v[41:42], -v[39:40]
	ds_read_b128 v[5:8], v72 offset:1248
	v_fma_f64 v[35:36], v[3:4], v[41:42], v[35:36]
	s_clause 0x2
	buffer_load_dword v52, off, s[0:3], 0 offset:588
	buffer_load_dword v42, off, s[0:3], 0 offset:564
	;; [unrolled: 1-line block ×3, first 2 shown]
	ds_read_b128 v[1:4], v72 offset:1264
	v_add_f64 v[21:22], v[21:22], v[47:48]
	v_add_f64 v[13:14], v[13:14], v[43:44]
	s_waitcnt vmcnt(58) lgkmcnt(1)
	v_mul_f64 v[47:48], v[7:8], v[77:78]
	s_waitcnt vmcnt(56)
	v_fma_f64 v[55:56], v[9:10], v[79:80], -v[54:55]
	v_mul_f64 v[43:44], v[5:6], v[77:78]
	v_add_f64 v[21:22], v[21:22], v[39:40]
	v_fma_f64 v[39:40], v[11:12], v[79:80], v[122:123]
	v_add_f64 v[13:14], v[13:14], v[35:36]
	s_clause 0x4
	buffer_load_dword v36, off, s[0:3], 0 offset:604
	buffer_load_dword v77, off, s[0:3], 0 offset:616
	;; [unrolled: 1-line block ×5, first 2 shown]
	s_waitcnt vmcnt(57) lgkmcnt(0)
	v_mul_f64 v[122:123], v[1:2], v[89:90]
	v_mul_f64 v[89:90], v[3:4], v[89:90]
	s_waitcnt vmcnt(56)
	v_fma_f64 v[47:48], v[5:6], v[49:50], -v[47:48]
	ds_read_b128 v[9:12], v72 offset:1280
	v_fma_f64 v[43:44], v[7:8], v[49:50], v[43:44]
	v_add_f64 v[21:22], v[21:22], v[55:56]
	v_add_f64 v[13:14], v[13:14], v[39:40]
	s_clause 0x2
	buffer_load_dword v78, off, s[0:3], 0 offset:620
	buffer_load_dword v40, off, s[0:3], 0 offset:596
	;; [unrolled: 1-line block ×3, first 2 shown]
	ds_read_b128 v[5:8], v72 offset:1296
	s_waitcnt vmcnt(58) lgkmcnt(1)
	v_mul_f64 v[55:56], v[11:12], v[91:92]
	s_waitcnt vmcnt(56)
	v_fma_f64 v[89:90], v[1:2], v[99:100], -v[89:90]
	v_mul_f64 v[49:50], v[9:10], v[91:92]
	v_add_f64 v[21:22], v[21:22], v[47:48]
	v_fma_f64 v[47:48], v[3:4], v[99:100], v[122:123]
	v_add_f64 v[13:14], v[13:14], v[43:44]
	s_clause 0x4
	buffer_load_dword v44, off, s[0:3], 0 offset:636
	buffer_load_dword v91, off, s[0:3], 0 offset:648
	;; [unrolled: 1-line block ×5, first 2 shown]
	s_waitcnt vmcnt(57) lgkmcnt(0)
	v_mul_f64 v[122:123], v[5:6], v[107:108]
	v_mul_f64 v[107:108], v[7:8], v[107:108]
	s_waitcnt vmcnt(56)
	v_fma_f64 v[55:56], v[9:10], v[57:58], -v[55:56]
	ds_read_b128 v[1:4], v72 offset:1312
	v_fma_f64 v[49:50], v[11:12], v[57:58], v[49:50]
	v_add_f64 v[21:22], v[21:22], v[89:90]
	v_add_f64 v[13:14], v[13:14], v[47:48]
	s_clause 0x2
	buffer_load_dword v92, off, s[0:3], 0 offset:652
	buffer_load_dword v48, off, s[0:3], 0 offset:628
	;; [unrolled: 1-line block ×3, first 2 shown]
	ds_read_b128 v[9:12], v72 offset:1328
	s_waitcnt vmcnt(58) lgkmcnt(1)
	v_mul_f64 v[89:90], v[3:4], v[109:110]
	v_mul_f64 v[57:58], v[1:2], v[109:110]
	s_waitcnt vmcnt(56)
	v_fma_f64 v[107:108], v[5:6], v[17:18], -v[107:108]
	v_fma_f64 v[17:18], v[7:8], v[17:18], v[122:123]
	v_add_f64 v[21:22], v[21:22], v[55:56]
	v_add_f64 v[13:14], v[13:14], v[49:50]
	s_clause 0x4
	buffer_load_dword v50, off, s[0:3], 0 offset:668
	buffer_load_dword v55, off, s[0:3], 0 offset:680
	;; [unrolled: 1-line block ×5, first 2 shown]
	ds_read_b128 v[5:8], v72 offset:1344
	s_waitcnt vmcnt(57) lgkmcnt(1)
	v_mul_f64 v[122:123], v[9:10], v[15:16]
	v_mul_f64 v[15:16], v[11:12], v[15:16]
	s_waitcnt vmcnt(56)
	v_fma_f64 v[89:90], v[1:2], v[111:112], -v[89:90]
	v_fma_f64 v[57:58], v[3:4], v[111:112], v[57:58]
	v_add_f64 v[21:22], v[21:22], v[107:108]
	v_add_f64 v[13:14], v[13:14], v[17:18]
	s_clause 0x2
	buffer_load_dword v56, off, s[0:3], 0 offset:684
	buffer_load_dword v18, off, s[0:3], 0 offset:660
	;; [unrolled: 1-line block ×3, first 2 shown]
	s_waitcnt vmcnt(58) lgkmcnt(0)
	v_mul_f64 v[111:112], v[7:8], v[113:114]
	ds_read_b128 v[1:4], v72 offset:1360
	v_mul_f64 v[107:108], v[5:6], v[113:114]
	s_waitcnt vmcnt(56)
	v_fma_f64 v[15:16], v[9:10], v[103:104], -v[15:16]
	v_add_f64 v[21:22], v[21:22], v[89:90]
	v_fma_f64 v[89:90], v[11:12], v[103:104], v[122:123]
	v_add_f64 v[13:14], v[13:14], v[57:58]
	s_clause 0x4
	buffer_load_dword v58, off, s[0:3], 0 offset:700
	buffer_load_dword v103, off, s[0:3], 0 offset:712
	;; [unrolled: 1-line block ×5, first 2 shown]
	ds_read_b128 v[9:12], v72 offset:1376
	s_waitcnt vmcnt(57) lgkmcnt(1)
	v_mul_f64 v[122:123], v[1:2], v[33:34]
	v_mul_f64 v[33:34], v[3:4], v[33:34]
	s_waitcnt vmcnt(56)
	v_fma_f64 v[111:112], v[5:6], v[118:119], -v[111:112]
	v_add_f64 v[15:16], v[21:22], v[15:16]
	v_fma_f64 v[21:22], v[7:8], v[118:119], v[107:108]
	v_add_f64 v[13:14], v[13:14], v[89:90]
	s_clause 0x2
	buffer_load_dword v104, off, s[0:3], 0 offset:716
	buffer_load_dword v90, off, s[0:3], 0 offset:692
	;; [unrolled: 1-line block ×3, first 2 shown]
	ds_read_b128 v[5:8], v72 offset:1392
	s_waitcnt vmcnt(58) lgkmcnt(1)
	v_mul_f64 v[107:108], v[9:10], v[105:106]
	v_mul_f64 v[105:106], v[11:12], v[105:106]
	s_waitcnt vmcnt(56)
	v_fma_f64 v[33:34], v[1:2], v[27:28], -v[33:34]
	v_fma_f64 v[27:28], v[3:4], v[27:28], v[122:123]
	v_add_f64 v[15:16], v[15:16], v[111:112]
	v_add_f64 v[13:14], v[13:14], v[21:22]
	s_clause 0x4
	buffer_load_dword v22, off, s[0:3], 0 offset:732
	buffer_load_dword v111, off, s[0:3], 0 offset:744
	;; [unrolled: 1-line block ×5, first 2 shown]
	ds_read_b128 v[1:4], v72 offset:1408
	s_waitcnt vmcnt(57) lgkmcnt(1)
	v_mul_f64 v[118:119], v[5:6], v[19:20]
	v_mul_f64 v[19:20], v[7:8], v[19:20]
	s_waitcnt vmcnt(56)
	v_fma_f64 v[105:106], v[9:10], v[120:121], -v[105:106]
	v_add_f64 v[15:16], v[15:16], v[33:34]
	v_fma_f64 v[33:34], v[11:12], v[120:121], v[107:108]
	v_add_f64 v[13:14], v[13:14], v[27:28]
	s_clause 0x2
	buffer_load_dword v112, off, s[0:3], 0 offset:748
	buffer_load_dword v28, off, s[0:3], 0 offset:724
	;; [unrolled: 1-line block ×3, first 2 shown]
	ds_read_b128 v[9:12], v72 offset:1424
	s_waitcnt vmcnt(58) lgkmcnt(1)
	v_mul_f64 v[107:108], v[1:2], v[37:38]
	v_mul_f64 v[37:38], v[3:4], v[37:38]
	s_waitcnt vmcnt(56)
	v_fma_f64 v[19:20], v[5:6], v[25:26], -v[19:20]
	v_fma_f64 v[25:26], v[7:8], v[25:26], v[118:119]
	v_add_f64 v[15:16], v[15:16], v[105:106]
	v_add_f64 v[13:14], v[13:14], v[33:34]
	s_clause 0x4
	buffer_load_dword v34, off, s[0:3], 0 offset:764
	buffer_load_dword v105, off, s[0:3], 0 offset:776
	;; [unrolled: 1-line block ×5, first 2 shown]
	ds_read_b128 v[5:8], v72 offset:1440
	s_waitcnt vmcnt(57) lgkmcnt(1)
	v_mul_f64 v[120:121], v[9:10], v[23:24]
	v_mul_f64 v[23:24], v[11:12], v[23:24]
	s_waitcnt vmcnt(56)
	v_fma_f64 v[37:38], v[1:2], v[115:116], -v[37:38]
	v_add_f64 v[15:16], v[15:16], v[19:20]
	v_fma_f64 v[19:20], v[3:4], v[115:116], v[107:108]
	v_add_f64 v[13:14], v[13:14], v[25:26]
	s_clause 0x2
	buffer_load_dword v106, off, s[0:3], 0 offset:780
	buffer_load_dword v26, off, s[0:3], 0 offset:756
	;; [unrolled: 1-line block ×3, first 2 shown]
	s_waitcnt vmcnt(58) lgkmcnt(0)
	v_mul_f64 v[107:108], v[5:6], v[45:46]
	v_mul_f64 v[45:46], v[7:8], v[45:46]
	ds_read_b128 v[1:4], v72 offset:1456
	s_waitcnt vmcnt(56)
	v_fma_f64 v[23:24], v[9:10], v[31:32], -v[23:24]
	v_fma_f64 v[31:32], v[11:12], v[31:32], v[120:121]
	v_add_f64 v[15:16], v[15:16], v[37:38]
	v_add_f64 v[13:14], v[13:14], v[19:20]
	s_clause 0x4
	buffer_load_dword v20, off, s[0:3], 0 offset:796
	buffer_load_dword v37, off, s[0:3], 0 offset:808
	;; [unrolled: 1-line block ×5, first 2 shown]
	ds_read_b128 v[9:12], v72 offset:1472
	s_waitcnt vmcnt(57) lgkmcnt(1)
	v_mul_f64 v[121:122], v[1:2], v[29:30]
	v_mul_f64 v[29:30], v[3:4], v[29:30]
	s_waitcnt vmcnt(56)
	v_fma_f64 v[45:46], v[5:6], v[101:102], -v[45:46]
	v_add_f64 v[15:16], v[15:16], v[23:24]
	v_fma_f64 v[23:24], v[7:8], v[101:102], v[107:108]
	v_add_f64 v[13:14], v[13:14], v[31:32]
	s_clause 0x2
	buffer_load_dword v38, off, s[0:3], 0 offset:812
	buffer_load_dword v32, off, s[0:3], 0 offset:788
	;; [unrolled: 1-line block ×3, first 2 shown]
	s_waitcnt vmcnt(58) lgkmcnt(0)
	v_mul_f64 v[101:102], v[9:10], v[51:52]
	v_mul_f64 v[51:52], v[11:12], v[51:52]
	ds_read_b128 v[5:8], v72 offset:1488
	s_waitcnt vmcnt(56)
	v_fma_f64 v[29:30], v[1:2], v[41:42], -v[29:30]
	v_fma_f64 v[41:42], v[3:4], v[41:42], v[121:122]
	v_add_f64 v[15:16], v[15:16], v[45:46]
	v_add_f64 v[13:14], v[13:14], v[23:24]
	s_clause 0x4
	buffer_load_dword v24, off, s[0:3], 0 offset:828
	buffer_load_dword v45, off, s[0:3], 0 offset:840
	buffer_load_dword v107, off, s[0:3], 0 offset:832
	buffer_load_dword v23, off, s[0:3], 0 offset:824
	buffer_load_dword v116, off, s[0:3], 0 offset:804
	ds_read_b128 v[1:4], v72 offset:1504
	s_waitcnt vmcnt(57) lgkmcnt(1)
	v_mul_f64 v[121:122], v[5:6], v[35:36]
	v_mul_f64 v[35:36], v[7:8], v[35:36]
	s_waitcnt vmcnt(56)
	v_fma_f64 v[51:52], v[9:10], v[53:54], -v[51:52]
	v_add_f64 v[15:16], v[15:16], v[29:30]
	v_fma_f64 v[29:30], v[11:12], v[53:54], v[101:102]
	v_add_f64 v[13:14], v[13:14], v[41:42]
	s_clause 0x2
	buffer_load_dword v46, off, s[0:3], 0 offset:844
	buffer_load_dword v42, off, s[0:3], 0 offset:820
	buffer_load_dword v41, off, s[0:3], 0 offset:816
	ds_read_b128 v[9:12], v72 offset:1520
	s_waitcnt vmcnt(58) lgkmcnt(1)
	v_mul_f64 v[53:54], v[1:2], v[77:78]
	v_mul_f64 v[77:78], v[3:4], v[77:78]
	s_waitcnt vmcnt(56)
	v_fma_f64 v[35:36], v[5:6], v[39:40], -v[35:36]
	v_fma_f64 v[39:40], v[7:8], v[39:40], v[121:122]
	v_add_f64 v[15:16], v[15:16], v[51:52]
	v_add_f64 v[13:14], v[13:14], v[29:30]
	s_clause 0x4
	buffer_load_dword v30, off, s[0:3], 0 offset:860
	buffer_load_dword v51, off, s[0:3], 0 offset:872
	buffer_load_dword v101, off, s[0:3], 0 offset:864
	buffer_load_dword v29, off, s[0:3], 0 offset:856
	buffer_load_dword v108, off, s[0:3], 0 offset:836
	ds_read_b128 v[5:8], v72 offset:1536
	s_waitcnt vmcnt(57) lgkmcnt(1)
	v_mul_f64 v[121:122], v[9:10], v[43:44]
	v_mul_f64 v[43:44], v[11:12], v[43:44]
	s_waitcnt vmcnt(56)
	v_fma_f64 v[77:78], v[1:2], v[79:80], -v[77:78]
	v_add_f64 v[15:16], v[15:16], v[35:36]
	v_fma_f64 v[35:36], v[3:4], v[79:80], v[53:54]
	v_add_f64 v[13:14], v[13:14], v[39:40]
	s_clause 0x2
	buffer_load_dword v52, off, s[0:3], 0 offset:876
	buffer_load_dword v40, off, s[0:3], 0 offset:852
	buffer_load_dword v39, off, s[0:3], 0 offset:848
	ds_read_b128 v[1:4], v72 offset:1552
	s_waitcnt vmcnt(58) lgkmcnt(1)
	v_mul_f64 v[79:80], v[7:8], v[91:92]
	v_mul_f64 v[53:54], v[5:6], v[91:92]
	;; [unrolled: 28-line block ×3, first 2 shown]
	s_waitcnt vmcnt(56)
	v_fma_f64 v[49:50], v[1:2], v[17:18], -v[49:50]
	v_fma_f64 v[17:18], v[3:4], v[17:18], v[121:122]
	v_add_f64 v[15:16], v[15:16], v[79:80]
	v_add_f64 v[13:14], v[13:14], v[43:44]
	s_clause 0x2
	buffer_load_dword v44, off, s[0:3], 0 offset:924
	buffer_load_dword v43, off, s[0:3], 0 offset:920
	;; [unrolled: 1-line block ×3, first 2 shown]
	ds_read_b128 v[1:4], v72 offset:1600
	s_waitcnt vmcnt(55) lgkmcnt(1)
	v_mul_f64 v[79:80], v[5:6], v[57:58]
	v_mul_f64 v[57:58], v[7:8], v[57:58]
	s_waitcnt vmcnt(54)
	v_fma_f64 v[55:56], v[9:10], v[109:110], -v[55:56]
	v_add_f64 v[15:16], v[15:16], v[49:50]
	v_fma_f64 v[49:50], v[11:12], v[109:110], v[53:54]
	v_add_f64 v[13:14], v[13:14], v[17:18]
	s_clause 0x1
	buffer_load_dword v18, off, s[0:3], 0 offset:916
	buffer_load_dword v17, off, s[0:3], 0 offset:912
	ds_read_b128 v[9:12], v72 offset:1616
	s_waitcnt vmcnt(55) lgkmcnt(1)
	v_mul_f64 v[99:100], v[3:4], v[103:104]
	v_mul_f64 v[53:54], v[1:2], v[103:104]
	s_waitcnt vmcnt(53)
	v_fma_f64 v[57:58], v[5:6], v[89:90], -v[57:58]
	v_add_f64 v[15:16], v[15:16], v[55:56]
	v_fma_f64 v[55:56], v[7:8], v[89:90], v[79:80]
	v_add_f64 v[13:14], v[13:14], v[49:50]
	ds_read_b128 v[5:8], v72 offset:1632
	s_waitcnt vmcnt(49) lgkmcnt(1)
	v_mul_f64 v[49:50], v[9:10], v[21:22]
	v_mul_f64 v[21:22], v[11:12], v[21:22]
	s_waitcnt vmcnt(48)
	v_fma_f64 v[79:80], v[1:2], v[113:114], -v[99:100]
	v_fma_f64 v[53:54], v[3:4], v[113:114], v[53:54]
	v_add_f64 v[15:16], v[15:16], v[57:58]
	v_add_f64 v[13:14], v[13:14], v[55:56]
	s_clause 0x3
	buffer_load_dword v55, off, s[0:3], 0 offset:144
	buffer_load_dword v56, off, s[0:3], 0 offset:148
	;; [unrolled: 1-line block ×4, first 2 shown]
	ds_read_b128 v[1:4], v72 offset:1648
	s_waitcnt vmcnt(51) lgkmcnt(1)
	v_mul_f64 v[99:100], v[7:8], v[111:112]
	v_mul_f64 v[89:90], v[5:6], v[111:112]
	s_waitcnt vmcnt(49)
	v_fma_f64 v[21:22], v[9:10], v[27:28], -v[21:22]
	v_fma_f64 v[27:28], v[11:12], v[27:28], v[49:50]
	ds_read_b128 v[9:12], v72 offset:1664
	v_add_f64 v[15:16], v[15:16], v[79:80]
	v_add_f64 v[13:14], v[13:14], v[53:54]
	s_waitcnt vmcnt(45) lgkmcnt(1)
	v_mul_f64 v[49:50], v[1:2], v[33:34]
	v_mul_f64 v[33:34], v[3:4], v[33:34]
	s_waitcnt vmcnt(44)
	v_fma_f64 v[53:54], v[5:6], v[117:118], -v[99:100]
	v_add_f64 v[15:16], v[15:16], v[21:22]
	v_fma_f64 v[21:22], v[7:8], v[117:118], v[89:90]
	v_add_f64 v[13:14], v[13:14], v[27:28]
	ds_read_b128 v[5:8], v72 offset:1680
	s_waitcnt vmcnt(43) lgkmcnt(1)
	v_mul_f64 v[79:80], v[11:12], v[105:106]
	v_mul_f64 v[27:28], v[9:10], v[105:106]
	s_waitcnt vmcnt(41)
	v_fma_f64 v[33:34], v[1:2], v[25:26], -v[33:34]
	v_fma_f64 v[25:26], v[3:4], v[25:26], v[49:50]
	ds_read_b128 v[1:4], v72 offset:1696
	v_add_f64 v[15:16], v[15:16], v[53:54]
	v_add_f64 v[13:14], v[13:14], v[21:22]
	s_waitcnt vmcnt(37) lgkmcnt(1)
	v_mul_f64 v[21:22], v[5:6], v[19:20]
	v_mul_f64 v[19:20], v[7:8], v[19:20]
	s_waitcnt vmcnt(36)
	v_fma_f64 v[49:50], v[9:10], v[119:120], -v[79:80]
	v_fma_f64 v[27:28], v[11:12], v[119:120], v[27:28]
	ds_read_b128 v[9:12], v72 offset:1712
	v_add_f64 v[15:16], v[15:16], v[33:34]
	v_add_f64 v[13:14], v[13:14], v[25:26]
	;; [unrolled: 9-line block ×3, first 2 shown]
	s_waitcnt vmcnt(29) lgkmcnt(1)
	v_mul_f64 v[27:28], v[9:10], v[23:24]
	v_mul_f64 v[23:24], v[11:12], v[23:24]
	s_waitcnt vmcnt(28)
	v_fma_f64 v[31:32], v[1:2], v[115:116], -v[33:34]
	v_add_f64 v[15:16], v[15:16], v[19:20]
	v_fma_f64 v[19:20], v[3:4], v[115:116], v[25:26]
	v_add_f64 v[13:14], v[13:14], v[21:22]
	ds_read_b128 v[1:4], v72 offset:1744
	s_waitcnt vmcnt(27) lgkmcnt(1)
	v_mul_f64 v[25:26], v[7:8], v[45:46]
	v_mul_f64 v[21:22], v[5:6], v[45:46]
	s_waitcnt vmcnt(25)
	v_fma_f64 v[23:24], v[9:10], v[41:42], -v[23:24]
	v_fma_f64 v[27:28], v[11:12], v[41:42], v[27:28]
	ds_read_b128 v[9:12], v72 offset:1760
	v_add_f64 v[15:16], v[15:16], v[31:32]
	v_add_f64 v[13:14], v[13:14], v[19:20]
	s_waitcnt vmcnt(21) lgkmcnt(1)
	v_mul_f64 v[19:20], v[1:2], v[29:30]
	v_mul_f64 v[29:30], v[3:4], v[29:30]
	s_waitcnt vmcnt(20)
	v_fma_f64 v[25:26], v[5:6], v[107:108], -v[25:26]
	v_fma_f64 v[21:22], v[7:8], v[107:108], v[21:22]
	ds_read_b128 v[5:8], v72 offset:1776
	v_add_f64 v[15:16], v[15:16], v[23:24]
	v_add_f64 v[13:14], v[13:14], v[27:28]
	;; [unrolled: 9-line block ×3, first 2 shown]
	s_waitcnt vmcnt(13) lgkmcnt(1)
	v_mul_f64 v[25:26], v[7:8], v[35:36]
	s_waitcnt vmcnt(12)
	v_fma_f64 v[27:28], v[9:10], v[101:102], -v[27:28]
	v_mul_f64 v[21:22], v[5:6], v[35:36]
	v_fma_f64 v[23:24], v[11:12], v[101:102], v[23:24]
	ds_read_b128 v[9:12], v72 offset:1808
	v_add_f64 v[15:16], v[15:16], v[29:30]
	v_add_f64 v[13:14], v[13:14], v[19:20]
	s_waitcnt vmcnt(11) lgkmcnt(1)
	v_mul_f64 v[29:30], v[3:4], v[77:78]
	v_mul_f64 v[19:20], v[1:2], v[77:78]
	s_waitcnt vmcnt(9)
	v_fma_f64 v[5:6], v[5:6], v[47:48], -v[25:26]
	v_fma_f64 v[7:8], v[7:8], v[47:48], v[21:22]
	v_add_f64 v[15:16], v[15:16], v[27:28]
	v_add_f64 v[13:14], v[13:14], v[23:24]
	s_waitcnt vmcnt(7) lgkmcnt(0)
	v_mul_f64 v[23:24], v[11:12], v[43:44]
	s_waitcnt vmcnt(6)
	v_fma_f64 v[1:2], v[1:2], v[91:92], -v[29:30]
	v_mul_f64 v[21:22], v[9:10], v[43:44]
	v_fma_f64 v[3:4], v[3:4], v[91:92], v[19:20]
	v_add_f64 v[5:6], v[15:16], v[5:6]
	v_add_f64 v[7:8], v[13:14], v[7:8]
	s_waitcnt vmcnt(4)
	v_fma_f64 v[9:10], v[9:10], v[17:18], -v[23:24]
	v_add_f64 v[1:2], v[5:6], v[1:2]
	v_fma_f64 v[5:6], v[11:12], v[17:18], v[21:22]
	v_add_f64 v[3:4], v[7:8], v[3:4]
	v_add_f64 v[1:2], v[1:2], v[9:10]
	;; [unrolled: 1-line block ×3, first 2 shown]
	s_waitcnt vmcnt(2)
	v_add_f64 v[1:2], v[55:56], -v[1:2]
	s_waitcnt vmcnt(0)
	v_add_f64 v[3:4], v[57:58], -v[3:4]
	buffer_store_dword v2, off, s[0:3], 0 offset:148
	buffer_store_dword v1, off, s[0:3], 0 offset:144
	;; [unrolled: 1-line block ×4, first 2 shown]
	v_cmpx_lt_u32_e32 7, v0
	s_cbranch_execz .LBB56_341
; %bb.340:
	v_mov_b32_e32 v4, s62
	v_mov_b32_e32 v5, 0
	s_clause 0x3
	buffer_load_dword v1, v4, s[0:3], 0 offen
	buffer_load_dword v2, v4, s[0:3], 0 offen offset:4
	buffer_load_dword v3, v4, s[0:3], 0 offen offset:8
	;; [unrolled: 1-line block ×3, first 2 shown]
	buffer_store_dword v5, off, s[0:3], 0 offset:128
	buffer_store_dword v5, off, s[0:3], 0 offset:132
	;; [unrolled: 1-line block ×4, first 2 shown]
	s_waitcnt vmcnt(0)
	ds_write_b128 v59, v[1:4]
.LBB56_341:
	s_or_b32 exec_lo, exec_lo, s4
	s_waitcnt lgkmcnt(0)
	s_waitcnt_vscnt null, 0x0
	s_barrier
	buffer_gl0_inv
	s_clause 0x37
	buffer_load_dword v17, off, s[0:3], 0 offset:152
	buffer_load_dword v18, off, s[0:3], 0 offset:156
	;; [unrolled: 1-line block ×56, first 2 shown]
	v_mov_b32_e32 v72, 0
	s_mov_b32 s4, exec_lo
	ds_read_b128 v[5:8], v72 offset:1040
	s_clause 0x2
	buffer_load_dword v92, off, s[0:3], 0 offset:380
	buffer_load_dword v100, off, s[0:3], 0 offset:356
	;; [unrolled: 1-line block ×3, first 2 shown]
	ds_read_b128 v[1:4], v72 offset:1056
	s_clause 0x4
	buffer_load_dword v108, off, s[0:3], 0 offset:396
	buffer_load_dword v109, off, s[0:3], 0 offset:408
	;; [unrolled: 1-line block ×5, first 2 shown]
	ds_read_b128 v[101:104], v72 offset:1072
	s_waitcnt vmcnt(62) lgkmcnt(2)
	v_mul_f64 v[105:106], v[7:8], v[17:18]
	v_mul_f64 v[17:18], v[5:6], v[17:18]
	s_waitcnt vmcnt(60) lgkmcnt(1)
	v_mul_f64 v[112:113], v[3:4], v[13:14]
	v_mul_f64 v[13:14], v[1:2], v[13:14]
	;; [unrolled: 3-line block ×3, first 2 shown]
	v_fma_f64 v[105:106], v[5:6], v[15:16], -v[105:106]
	v_fma_f64 v[15:16], v[7:8], v[15:16], v[17:18]
	s_clause 0x2
	buffer_load_dword v110, off, s[0:3], 0 offset:412
	buffer_load_dword v18, off, s[0:3], 0 offset:388
	;; [unrolled: 1-line block ×3, first 2 shown]
	s_waitcnt vmcnt(57)
	v_fma_f64 v[116:117], v[1:2], v[9:10], -v[112:113]
	ds_read_b128 v[5:8], v72 offset:1088
	v_fma_f64 v[9:10], v[3:4], v[9:10], v[13:14]
	s_waitcnt vmcnt(51)
	v_fma_f64 v[101:102], v[101:102], v[33:34], -v[11:12]
	v_fma_f64 v[33:34], v[103:104], v[33:34], v[114:115]
	v_add_f64 v[105:106], v[105:106], 0
	v_add_f64 v[13:14], v[15:16], 0
	s_clause 0x4
	buffer_load_dword v16, off, s[0:3], 0 offset:428
	buffer_load_dword v113, off, s[0:3], 0 offset:440
	;; [unrolled: 1-line block ×5, first 2 shown]
	s_waitcnt lgkmcnt(0)
	v_mul_f64 v[119:120], v[5:6], v[21:22]
	v_mul_f64 v[21:22], v[7:8], v[21:22]
	ds_read_b128 v[1:4], v72 offset:1104
	s_clause 0x2
	buffer_load_dword v114, off, s[0:3], 0 offset:444
	buffer_load_dword v104, off, s[0:3], 0 offset:420
	buffer_load_dword v103, off, s[0:3], 0 offset:416
	v_add_f64 v[105:106], v[105:106], v[116:117]
	v_add_f64 v[13:14], v[13:14], v[9:10]
	ds_read_b128 v[9:12], v72 offset:1120
	s_waitcnt vmcnt(58) lgkmcnt(1)
	v_mul_f64 v[115:116], v[1:2], v[25:26]
	v_mul_f64 v[25:26], v[3:4], v[25:26]
	s_waitcnt vmcnt(56)
	v_fma_f64 v[21:22], v[5:6], v[27:28], -v[21:22]
	v_fma_f64 v[27:28], v[7:8], v[27:28], v[119:120]
	s_waitcnt vmcnt(52) lgkmcnt(0)
	v_mul_f64 v[121:122], v[9:10], v[29:30]
	v_add_f64 v[101:102], v[105:106], v[101:102]
	v_add_f64 v[13:14], v[13:14], v[33:34]
	s_clause 0x4
	buffer_load_dword v34, off, s[0:3], 0 offset:460
	buffer_load_dword v105, off, s[0:3], 0 offset:472
	;; [unrolled: 1-line block ×5, first 2 shown]
	v_mul_f64 v[29:30], v[11:12], v[29:30]
	s_waitcnt vmcnt(56)
	v_fma_f64 v[25:26], v[1:2], v[19:20], -v[25:26]
	ds_read_b128 v[5:8], v72 offset:1136
	v_fma_f64 v[19:20], v[3:4], v[19:20], v[115:116]
	v_add_f64 v[21:22], v[101:102], v[21:22]
	v_add_f64 v[13:14], v[13:14], v[27:28]
	s_clause 0x2
	buffer_load_dword v106, off, s[0:3], 0 offset:476
	buffer_load_dword v28, off, s[0:3], 0 offset:452
	;; [unrolled: 1-line block ×3, first 2 shown]
	s_waitcnt vmcnt(58) lgkmcnt(0)
	v_mul_f64 v[101:102], v[5:6], v[35:36]
	v_mul_f64 v[35:36], v[7:8], v[35:36]
	s_waitcnt vmcnt(56)
	v_fma_f64 v[29:30], v[9:10], v[37:38], -v[29:30]
	ds_read_b128 v[1:4], v72 offset:1152
	v_add_f64 v[21:22], v[21:22], v[25:26]
	v_fma_f64 v[25:26], v[11:12], v[37:38], v[121:122]
	v_add_f64 v[13:14], v[13:14], v[19:20]
	s_clause 0x4
	buffer_load_dword v20, off, s[0:3], 0 offset:492
	buffer_load_dword v37, off, s[0:3], 0 offset:504
	;; [unrolled: 1-line block ×5, first 2 shown]
	s_waitcnt vmcnt(57) lgkmcnt(0)
	v_mul_f64 v[116:117], v[1:2], v[39:40]
	v_mul_f64 v[39:40], v[3:4], v[39:40]
	s_waitcnt vmcnt(56)
	v_fma_f64 v[35:36], v[5:6], v[23:24], -v[35:36]
	ds_read_b128 v[9:12], v72 offset:1168
	v_fma_f64 v[23:24], v[7:8], v[23:24], v[101:102]
	v_add_f64 v[21:22], v[21:22], v[29:30]
	v_add_f64 v[13:14], v[13:14], v[25:26]
	s_clause 0x2
	buffer_load_dword v38, off, s[0:3], 0 offset:508
	buffer_load_dword v26, off, s[0:3], 0 offset:484
	;; [unrolled: 1-line block ×3, first 2 shown]
	ds_read_b128 v[5:8], v72 offset:1184
	s_waitcnt vmcnt(58) lgkmcnt(1)
	v_mul_f64 v[29:30], v[9:10], v[43:44]
	v_mul_f64 v[43:44], v[11:12], v[43:44]
	s_waitcnt vmcnt(56)
	v_fma_f64 v[39:40], v[1:2], v[45:46], -v[39:40]
	v_add_f64 v[21:22], v[21:22], v[35:36]
	v_fma_f64 v[35:36], v[3:4], v[45:46], v[116:117]
	v_add_f64 v[13:14], v[13:14], v[23:24]
	s_clause 0x4
	buffer_load_dword v24, off, s[0:3], 0 offset:524
	buffer_load_dword v45, off, s[0:3], 0 offset:536
	;; [unrolled: 1-line block ×5, first 2 shown]
	s_waitcnt vmcnt(57) lgkmcnt(0)
	v_mul_f64 v[122:123], v[5:6], v[47:48]
	v_mul_f64 v[47:48], v[7:8], v[47:48]
	s_waitcnt vmcnt(56)
	v_fma_f64 v[43:44], v[9:10], v[31:32], -v[43:44]
	ds_read_b128 v[1:4], v72 offset:1200
	v_fma_f64 v[29:30], v[11:12], v[31:32], v[29:30]
	s_clause 0x2
	buffer_load_dword v46, off, s[0:3], 0 offset:540
	buffer_load_dword v32, off, s[0:3], 0 offset:516
	;; [unrolled: 1-line block ×3, first 2 shown]
	ds_read_b128 v[9:12], v72 offset:1216
	v_add_f64 v[21:22], v[21:22], v[39:40]
	v_add_f64 v[13:14], v[13:14], v[35:36]
	s_waitcnt vmcnt(58) lgkmcnt(1)
	v_mul_f64 v[39:40], v[3:4], v[51:52]
	s_waitcnt vmcnt(56)
	v_fma_f64 v[47:48], v[5:6], v[53:54], -v[47:48]
	v_mul_f64 v[35:36], v[1:2], v[51:52]
	v_add_f64 v[21:22], v[21:22], v[43:44]
	v_fma_f64 v[43:44], v[7:8], v[53:54], v[122:123]
	v_add_f64 v[13:14], v[13:14], v[29:30]
	s_clause 0x4
	buffer_load_dword v30, off, s[0:3], 0 offset:556
	buffer_load_dword v51, off, s[0:3], 0 offset:568
	;; [unrolled: 1-line block ×5, first 2 shown]
	s_waitcnt vmcnt(57) lgkmcnt(0)
	v_mul_f64 v[122:123], v[9:10], v[55:56]
	v_mul_f64 v[54:55], v[11:12], v[55:56]
	s_waitcnt vmcnt(56)
	v_fma_f64 v[39:40], v[1:2], v[41:42], -v[39:40]
	ds_read_b128 v[5:8], v72 offset:1232
	v_fma_f64 v[35:36], v[3:4], v[41:42], v[35:36]
	s_clause 0x2
	buffer_load_dword v52, off, s[0:3], 0 offset:572
	buffer_load_dword v42, off, s[0:3], 0 offset:548
	;; [unrolled: 1-line block ×3, first 2 shown]
	ds_read_b128 v[1:4], v72 offset:1248
	v_add_f64 v[21:22], v[21:22], v[47:48]
	v_add_f64 v[13:14], v[13:14], v[43:44]
	s_waitcnt vmcnt(58) lgkmcnt(1)
	v_mul_f64 v[47:48], v[7:8], v[77:78]
	s_waitcnt vmcnt(56)
	v_fma_f64 v[55:56], v[9:10], v[79:80], -v[54:55]
	v_mul_f64 v[43:44], v[5:6], v[77:78]
	v_add_f64 v[21:22], v[21:22], v[39:40]
	v_fma_f64 v[39:40], v[11:12], v[79:80], v[122:123]
	v_add_f64 v[13:14], v[13:14], v[35:36]
	s_clause 0x4
	buffer_load_dword v36, off, s[0:3], 0 offset:588
	buffer_load_dword v77, off, s[0:3], 0 offset:600
	;; [unrolled: 1-line block ×5, first 2 shown]
	s_waitcnt vmcnt(57) lgkmcnt(0)
	v_mul_f64 v[122:123], v[1:2], v[89:90]
	v_mul_f64 v[89:90], v[3:4], v[89:90]
	s_waitcnt vmcnt(56)
	v_fma_f64 v[47:48], v[5:6], v[49:50], -v[47:48]
	ds_read_b128 v[9:12], v72 offset:1264
	v_fma_f64 v[43:44], v[7:8], v[49:50], v[43:44]
	v_add_f64 v[21:22], v[21:22], v[55:56]
	v_add_f64 v[13:14], v[13:14], v[39:40]
	s_clause 0x2
	buffer_load_dword v78, off, s[0:3], 0 offset:604
	buffer_load_dword v40, off, s[0:3], 0 offset:580
	;; [unrolled: 1-line block ×3, first 2 shown]
	ds_read_b128 v[5:8], v72 offset:1280
	s_waitcnt vmcnt(58) lgkmcnt(1)
	v_mul_f64 v[55:56], v[11:12], v[91:92]
	s_waitcnt vmcnt(56)
	v_fma_f64 v[89:90], v[1:2], v[99:100], -v[89:90]
	v_mul_f64 v[49:50], v[9:10], v[91:92]
	v_add_f64 v[21:22], v[21:22], v[47:48]
	v_fma_f64 v[47:48], v[3:4], v[99:100], v[122:123]
	v_add_f64 v[13:14], v[13:14], v[43:44]
	s_clause 0x4
	buffer_load_dword v44, off, s[0:3], 0 offset:620
	buffer_load_dword v91, off, s[0:3], 0 offset:632
	;; [unrolled: 1-line block ×5, first 2 shown]
	s_waitcnt vmcnt(57) lgkmcnt(0)
	v_mul_f64 v[122:123], v[5:6], v[107:108]
	v_mul_f64 v[107:108], v[7:8], v[107:108]
	s_waitcnt vmcnt(56)
	v_fma_f64 v[55:56], v[9:10], v[57:58], -v[55:56]
	ds_read_b128 v[1:4], v72 offset:1296
	v_fma_f64 v[49:50], v[11:12], v[57:58], v[49:50]
	v_add_f64 v[21:22], v[21:22], v[89:90]
	v_add_f64 v[13:14], v[13:14], v[47:48]
	s_clause 0x2
	buffer_load_dword v92, off, s[0:3], 0 offset:636
	buffer_load_dword v48, off, s[0:3], 0 offset:612
	buffer_load_dword v47, off, s[0:3], 0 offset:608
	ds_read_b128 v[9:12], v72 offset:1312
	s_waitcnt vmcnt(58) lgkmcnt(1)
	v_mul_f64 v[89:90], v[3:4], v[109:110]
	v_mul_f64 v[57:58], v[1:2], v[109:110]
	s_waitcnt vmcnt(56)
	v_fma_f64 v[107:108], v[5:6], v[17:18], -v[107:108]
	v_fma_f64 v[17:18], v[7:8], v[17:18], v[122:123]
	v_add_f64 v[21:22], v[21:22], v[55:56]
	v_add_f64 v[13:14], v[13:14], v[49:50]
	s_clause 0x4
	buffer_load_dword v50, off, s[0:3], 0 offset:652
	buffer_load_dword v55, off, s[0:3], 0 offset:664
	;; [unrolled: 1-line block ×5, first 2 shown]
	ds_read_b128 v[5:8], v72 offset:1328
	s_waitcnt vmcnt(57) lgkmcnt(1)
	v_mul_f64 v[122:123], v[9:10], v[15:16]
	v_mul_f64 v[15:16], v[11:12], v[15:16]
	s_waitcnt vmcnt(56)
	v_fma_f64 v[89:90], v[1:2], v[111:112], -v[89:90]
	v_fma_f64 v[57:58], v[3:4], v[111:112], v[57:58]
	v_add_f64 v[21:22], v[21:22], v[107:108]
	v_add_f64 v[13:14], v[13:14], v[17:18]
	s_clause 0x2
	buffer_load_dword v56, off, s[0:3], 0 offset:668
	buffer_load_dword v18, off, s[0:3], 0 offset:644
	;; [unrolled: 1-line block ×3, first 2 shown]
	s_waitcnt vmcnt(58) lgkmcnt(0)
	v_mul_f64 v[111:112], v[7:8], v[113:114]
	ds_read_b128 v[1:4], v72 offset:1344
	v_mul_f64 v[107:108], v[5:6], v[113:114]
	s_waitcnt vmcnt(56)
	v_fma_f64 v[15:16], v[9:10], v[103:104], -v[15:16]
	v_add_f64 v[21:22], v[21:22], v[89:90]
	v_fma_f64 v[89:90], v[11:12], v[103:104], v[122:123]
	v_add_f64 v[13:14], v[13:14], v[57:58]
	s_clause 0x4
	buffer_load_dword v58, off, s[0:3], 0 offset:684
	buffer_load_dword v103, off, s[0:3], 0 offset:696
	;; [unrolled: 1-line block ×5, first 2 shown]
	ds_read_b128 v[9:12], v72 offset:1360
	s_waitcnt vmcnt(57) lgkmcnt(1)
	v_mul_f64 v[122:123], v[1:2], v[33:34]
	v_mul_f64 v[33:34], v[3:4], v[33:34]
	s_waitcnt vmcnt(56)
	v_fma_f64 v[111:112], v[5:6], v[118:119], -v[111:112]
	v_add_f64 v[15:16], v[21:22], v[15:16]
	v_fma_f64 v[21:22], v[7:8], v[118:119], v[107:108]
	v_add_f64 v[13:14], v[13:14], v[89:90]
	s_clause 0x2
	buffer_load_dword v104, off, s[0:3], 0 offset:700
	buffer_load_dword v90, off, s[0:3], 0 offset:676
	;; [unrolled: 1-line block ×3, first 2 shown]
	ds_read_b128 v[5:8], v72 offset:1376
	s_waitcnt vmcnt(58) lgkmcnt(1)
	v_mul_f64 v[107:108], v[9:10], v[105:106]
	v_mul_f64 v[105:106], v[11:12], v[105:106]
	s_waitcnt vmcnt(56)
	v_fma_f64 v[33:34], v[1:2], v[27:28], -v[33:34]
	v_fma_f64 v[27:28], v[3:4], v[27:28], v[122:123]
	v_add_f64 v[15:16], v[15:16], v[111:112]
	v_add_f64 v[13:14], v[13:14], v[21:22]
	s_clause 0x4
	buffer_load_dword v22, off, s[0:3], 0 offset:716
	buffer_load_dword v111, off, s[0:3], 0 offset:728
	;; [unrolled: 1-line block ×5, first 2 shown]
	ds_read_b128 v[1:4], v72 offset:1392
	s_waitcnt vmcnt(57) lgkmcnt(1)
	v_mul_f64 v[118:119], v[5:6], v[19:20]
	v_mul_f64 v[19:20], v[7:8], v[19:20]
	s_waitcnt vmcnt(56)
	v_fma_f64 v[105:106], v[9:10], v[120:121], -v[105:106]
	v_add_f64 v[15:16], v[15:16], v[33:34]
	v_fma_f64 v[33:34], v[11:12], v[120:121], v[107:108]
	v_add_f64 v[13:14], v[13:14], v[27:28]
	s_clause 0x2
	buffer_load_dword v112, off, s[0:3], 0 offset:732
	buffer_load_dword v28, off, s[0:3], 0 offset:708
	buffer_load_dword v27, off, s[0:3], 0 offset:704
	ds_read_b128 v[9:12], v72 offset:1408
	s_waitcnt vmcnt(58) lgkmcnt(1)
	v_mul_f64 v[107:108], v[1:2], v[37:38]
	v_mul_f64 v[37:38], v[3:4], v[37:38]
	s_waitcnt vmcnt(56)
	v_fma_f64 v[19:20], v[5:6], v[25:26], -v[19:20]
	v_fma_f64 v[25:26], v[7:8], v[25:26], v[118:119]
	v_add_f64 v[15:16], v[15:16], v[105:106]
	v_add_f64 v[13:14], v[13:14], v[33:34]
	s_clause 0x4
	buffer_load_dword v34, off, s[0:3], 0 offset:748
	buffer_load_dword v105, off, s[0:3], 0 offset:760
	;; [unrolled: 1-line block ×5, first 2 shown]
	ds_read_b128 v[5:8], v72 offset:1424
	s_waitcnt vmcnt(57) lgkmcnt(1)
	v_mul_f64 v[120:121], v[9:10], v[23:24]
	v_mul_f64 v[23:24], v[11:12], v[23:24]
	s_waitcnt vmcnt(56)
	v_fma_f64 v[37:38], v[1:2], v[115:116], -v[37:38]
	v_add_f64 v[15:16], v[15:16], v[19:20]
	v_fma_f64 v[19:20], v[3:4], v[115:116], v[107:108]
	v_add_f64 v[13:14], v[13:14], v[25:26]
	s_clause 0x2
	buffer_load_dword v106, off, s[0:3], 0 offset:764
	buffer_load_dword v26, off, s[0:3], 0 offset:740
	;; [unrolled: 1-line block ×3, first 2 shown]
	s_waitcnt vmcnt(58) lgkmcnt(0)
	v_mul_f64 v[107:108], v[5:6], v[45:46]
	v_mul_f64 v[45:46], v[7:8], v[45:46]
	ds_read_b128 v[1:4], v72 offset:1440
	s_waitcnt vmcnt(56)
	v_fma_f64 v[23:24], v[9:10], v[31:32], -v[23:24]
	v_fma_f64 v[31:32], v[11:12], v[31:32], v[120:121]
	v_add_f64 v[15:16], v[15:16], v[37:38]
	v_add_f64 v[13:14], v[13:14], v[19:20]
	s_clause 0x4
	buffer_load_dword v20, off, s[0:3], 0 offset:780
	buffer_load_dword v37, off, s[0:3], 0 offset:792
	;; [unrolled: 1-line block ×5, first 2 shown]
	ds_read_b128 v[9:12], v72 offset:1456
	s_waitcnt vmcnt(57) lgkmcnt(1)
	v_mul_f64 v[121:122], v[1:2], v[29:30]
	v_mul_f64 v[29:30], v[3:4], v[29:30]
	s_waitcnt vmcnt(56)
	v_fma_f64 v[45:46], v[5:6], v[101:102], -v[45:46]
	v_add_f64 v[15:16], v[15:16], v[23:24]
	v_fma_f64 v[23:24], v[7:8], v[101:102], v[107:108]
	v_add_f64 v[13:14], v[13:14], v[31:32]
	s_clause 0x2
	buffer_load_dword v38, off, s[0:3], 0 offset:796
	buffer_load_dword v32, off, s[0:3], 0 offset:772
	;; [unrolled: 1-line block ×3, first 2 shown]
	s_waitcnt vmcnt(58) lgkmcnt(0)
	v_mul_f64 v[101:102], v[9:10], v[51:52]
	v_mul_f64 v[51:52], v[11:12], v[51:52]
	ds_read_b128 v[5:8], v72 offset:1472
	s_waitcnt vmcnt(56)
	v_fma_f64 v[29:30], v[1:2], v[41:42], -v[29:30]
	v_fma_f64 v[41:42], v[3:4], v[41:42], v[121:122]
	v_add_f64 v[15:16], v[15:16], v[45:46]
	v_add_f64 v[13:14], v[13:14], v[23:24]
	s_clause 0x4
	buffer_load_dword v24, off, s[0:3], 0 offset:812
	buffer_load_dword v45, off, s[0:3], 0 offset:824
	buffer_load_dword v107, off, s[0:3], 0 offset:816
	buffer_load_dword v23, off, s[0:3], 0 offset:808
	buffer_load_dword v116, off, s[0:3], 0 offset:788
	ds_read_b128 v[1:4], v72 offset:1488
	s_waitcnt vmcnt(57) lgkmcnt(1)
	v_mul_f64 v[121:122], v[5:6], v[35:36]
	v_mul_f64 v[35:36], v[7:8], v[35:36]
	s_waitcnt vmcnt(56)
	v_fma_f64 v[51:52], v[9:10], v[53:54], -v[51:52]
	v_add_f64 v[15:16], v[15:16], v[29:30]
	v_fma_f64 v[29:30], v[11:12], v[53:54], v[101:102]
	v_add_f64 v[13:14], v[13:14], v[41:42]
	s_clause 0x2
	buffer_load_dword v46, off, s[0:3], 0 offset:828
	buffer_load_dword v42, off, s[0:3], 0 offset:804
	buffer_load_dword v41, off, s[0:3], 0 offset:800
	ds_read_b128 v[9:12], v72 offset:1504
	s_waitcnt vmcnt(58) lgkmcnt(1)
	v_mul_f64 v[53:54], v[1:2], v[77:78]
	v_mul_f64 v[77:78], v[3:4], v[77:78]
	s_waitcnt vmcnt(56)
	v_fma_f64 v[35:36], v[5:6], v[39:40], -v[35:36]
	v_fma_f64 v[39:40], v[7:8], v[39:40], v[121:122]
	v_add_f64 v[15:16], v[15:16], v[51:52]
	v_add_f64 v[13:14], v[13:14], v[29:30]
	s_clause 0x4
	buffer_load_dword v30, off, s[0:3], 0 offset:844
	buffer_load_dword v51, off, s[0:3], 0 offset:856
	buffer_load_dword v101, off, s[0:3], 0 offset:848
	buffer_load_dword v29, off, s[0:3], 0 offset:840
	buffer_load_dword v108, off, s[0:3], 0 offset:820
	ds_read_b128 v[5:8], v72 offset:1520
	s_waitcnt vmcnt(57) lgkmcnt(1)
	v_mul_f64 v[121:122], v[9:10], v[43:44]
	v_mul_f64 v[43:44], v[11:12], v[43:44]
	s_waitcnt vmcnt(56)
	v_fma_f64 v[77:78], v[1:2], v[79:80], -v[77:78]
	v_add_f64 v[15:16], v[15:16], v[35:36]
	v_fma_f64 v[35:36], v[3:4], v[79:80], v[53:54]
	v_add_f64 v[13:14], v[13:14], v[39:40]
	s_clause 0x2
	buffer_load_dword v52, off, s[0:3], 0 offset:860
	buffer_load_dword v40, off, s[0:3], 0 offset:836
	buffer_load_dword v39, off, s[0:3], 0 offset:832
	ds_read_b128 v[1:4], v72 offset:1536
	s_waitcnt vmcnt(58) lgkmcnt(1)
	v_mul_f64 v[79:80], v[7:8], v[91:92]
	v_mul_f64 v[53:54], v[5:6], v[91:92]
	;; [unrolled: 28-line block ×3, first 2 shown]
	s_waitcnt vmcnt(56)
	v_fma_f64 v[49:50], v[1:2], v[17:18], -v[49:50]
	v_fma_f64 v[17:18], v[3:4], v[17:18], v[121:122]
	v_add_f64 v[15:16], v[15:16], v[79:80]
	v_add_f64 v[13:14], v[13:14], v[43:44]
	s_clause 0x4
	buffer_load_dword v44, off, s[0:3], 0 offset:908
	buffer_load_dword v79, off, s[0:3], 0 offset:920
	;; [unrolled: 1-line block ×5, first 2 shown]
	ds_read_b128 v[1:4], v72 offset:1584
	s_waitcnt vmcnt(57) lgkmcnt(1)
	v_mul_f64 v[121:122], v[5:6], v[57:58]
	v_mul_f64 v[57:58], v[7:8], v[57:58]
	s_waitcnt vmcnt(56)
	v_fma_f64 v[55:56], v[9:10], v[109:110], -v[55:56]
	v_add_f64 v[15:16], v[15:16], v[49:50]
	v_fma_f64 v[49:50], v[11:12], v[109:110], v[53:54]
	v_add_f64 v[13:14], v[13:14], v[17:18]
	s_clause 0x2
	buffer_load_dword v80, off, s[0:3], 0 offset:924
	buffer_load_dword v18, off, s[0:3], 0 offset:900
	;; [unrolled: 1-line block ×3, first 2 shown]
	ds_read_b128 v[9:12], v72 offset:1600
	buffer_load_dword v100, off, s[0:3], 0 offset:916
	s_waitcnt vmcnt(59) lgkmcnt(1)
	v_mul_f64 v[53:54], v[1:2], v[103:104]
	v_mul_f64 v[103:104], v[3:4], v[103:104]
	s_waitcnt vmcnt(57)
	v_fma_f64 v[57:58], v[5:6], v[89:90], -v[57:58]
	v_add_f64 v[15:16], v[15:16], v[55:56]
	v_fma_f64 v[55:56], v[7:8], v[89:90], v[121:122]
	v_add_f64 v[13:14], v[13:14], v[49:50]
	ds_read_b128 v[5:8], v72 offset:1616
	s_waitcnt vmcnt(53) lgkmcnt(1)
	v_mul_f64 v[49:50], v[9:10], v[21:22]
	v_mul_f64 v[21:22], v[11:12], v[21:22]
	s_waitcnt vmcnt(52)
	v_fma_f64 v[89:90], v[1:2], v[113:114], -v[103:104]
	v_fma_f64 v[53:54], v[3:4], v[113:114], v[53:54]
	ds_read_b128 v[1:4], v72 offset:1632
	v_add_f64 v[15:16], v[15:16], v[57:58]
	v_add_f64 v[13:14], v[13:14], v[55:56]
	s_waitcnt vmcnt(51) lgkmcnt(1)
	v_mul_f64 v[57:58], v[7:8], v[111:112]
	v_mul_f64 v[55:56], v[5:6], v[111:112]
	s_waitcnt vmcnt(49)
	v_fma_f64 v[21:22], v[9:10], v[27:28], -v[21:22]
	v_fma_f64 v[27:28], v[11:12], v[27:28], v[49:50]
	v_add_f64 v[15:16], v[15:16], v[89:90]
	v_add_f64 v[13:14], v[13:14], v[53:54]
	s_clause 0x3
	buffer_load_dword v49, off, s[0:3], 0 offset:128
	buffer_load_dword v50, off, s[0:3], 0 offset:132
	;; [unrolled: 1-line block ×4, first 2 shown]
	ds_read_b128 v[9:12], v72 offset:1648
	s_waitcnt vmcnt(49) lgkmcnt(1)
	v_mul_f64 v[89:90], v[1:2], v[33:34]
	v_mul_f64 v[33:34], v[3:4], v[33:34]
	s_waitcnt vmcnt(48)
	v_fma_f64 v[57:58], v[5:6], v[117:118], -v[57:58]
	v_add_f64 v[15:16], v[15:16], v[21:22]
	v_fma_f64 v[21:22], v[7:8], v[117:118], v[55:56]
	v_add_f64 v[13:14], v[13:14], v[27:28]
	ds_read_b128 v[5:8], v72 offset:1664
	s_waitcnt vmcnt(47) lgkmcnt(1)
	v_mul_f64 v[55:56], v[11:12], v[105:106]
	v_mul_f64 v[27:28], v[9:10], v[105:106]
	s_waitcnt vmcnt(45)
	v_fma_f64 v[33:34], v[1:2], v[25:26], -v[33:34]
	v_fma_f64 v[25:26], v[3:4], v[25:26], v[89:90]
	ds_read_b128 v[1:4], v72 offset:1680
	v_add_f64 v[15:16], v[15:16], v[57:58]
	v_add_f64 v[13:14], v[13:14], v[21:22]
	s_waitcnt vmcnt(41) lgkmcnt(1)
	v_mul_f64 v[21:22], v[5:6], v[19:20]
	v_mul_f64 v[19:20], v[7:8], v[19:20]
	s_waitcnt vmcnt(40)
	v_fma_f64 v[55:56], v[9:10], v[119:120], -v[55:56]
	v_fma_f64 v[27:28], v[11:12], v[119:120], v[27:28]
	ds_read_b128 v[9:12], v72 offset:1696
	v_add_f64 v[15:16], v[15:16], v[33:34]
	v_add_f64 v[13:14], v[13:14], v[25:26]
	;; [unrolled: 9-line block ×3, first 2 shown]
	s_waitcnt vmcnt(33) lgkmcnt(1)
	v_mul_f64 v[27:28], v[9:10], v[23:24]
	v_mul_f64 v[23:24], v[11:12], v[23:24]
	s_waitcnt vmcnt(32)
	v_fma_f64 v[31:32], v[1:2], v[115:116], -v[33:34]
	v_add_f64 v[15:16], v[15:16], v[19:20]
	v_fma_f64 v[19:20], v[3:4], v[115:116], v[25:26]
	v_add_f64 v[13:14], v[13:14], v[21:22]
	ds_read_b128 v[1:4], v72 offset:1728
	s_waitcnt vmcnt(31) lgkmcnt(1)
	v_mul_f64 v[25:26], v[7:8], v[45:46]
	v_mul_f64 v[21:22], v[5:6], v[45:46]
	s_waitcnt vmcnt(29)
	v_fma_f64 v[23:24], v[9:10], v[41:42], -v[23:24]
	v_fma_f64 v[27:28], v[11:12], v[41:42], v[27:28]
	ds_read_b128 v[9:12], v72 offset:1744
	v_add_f64 v[15:16], v[15:16], v[31:32]
	v_add_f64 v[13:14], v[13:14], v[19:20]
	s_waitcnt vmcnt(25) lgkmcnt(1)
	v_mul_f64 v[19:20], v[1:2], v[29:30]
	v_mul_f64 v[29:30], v[3:4], v[29:30]
	s_waitcnt vmcnt(24)
	v_fma_f64 v[25:26], v[5:6], v[107:108], -v[25:26]
	v_fma_f64 v[21:22], v[7:8], v[107:108], v[21:22]
	ds_read_b128 v[5:8], v72 offset:1760
	v_add_f64 v[15:16], v[15:16], v[23:24]
	v_add_f64 v[13:14], v[13:14], v[27:28]
	;; [unrolled: 9-line block ×3, first 2 shown]
	s_waitcnt vmcnt(17) lgkmcnt(1)
	v_mul_f64 v[25:26], v[7:8], v[35:36]
	s_waitcnt vmcnt(16)
	v_fma_f64 v[27:28], v[9:10], v[101:102], -v[27:28]
	v_mul_f64 v[21:22], v[5:6], v[35:36]
	v_fma_f64 v[23:24], v[11:12], v[101:102], v[23:24]
	ds_read_b128 v[9:12], v72 offset:1792
	v_add_f64 v[15:16], v[15:16], v[29:30]
	v_add_f64 v[13:14], v[13:14], v[19:20]
	s_waitcnt vmcnt(15) lgkmcnt(1)
	v_mul_f64 v[29:30], v[3:4], v[77:78]
	v_mul_f64 v[19:20], v[1:2], v[77:78]
	s_waitcnt vmcnt(13)
	v_fma_f64 v[25:26], v[5:6], v[47:48], -v[25:26]
	v_fma_f64 v[21:22], v[7:8], v[47:48], v[21:22]
	ds_read_b128 v[5:8], v72 offset:1808
	v_add_f64 v[15:16], v[15:16], v[27:28]
	v_add_f64 v[13:14], v[13:14], v[23:24]
	s_waitcnt vmcnt(9) lgkmcnt(1)
	v_mul_f64 v[27:28], v[11:12], v[43:44]
	s_waitcnt vmcnt(8)
	v_fma_f64 v[1:2], v[1:2], v[91:92], -v[29:30]
	v_mul_f64 v[23:24], v[9:10], v[43:44]
	v_fma_f64 v[3:4], v[3:4], v[91:92], v[19:20]
	v_add_f64 v[15:16], v[15:16], v[25:26]
	v_add_f64 v[13:14], v[13:14], v[21:22]
	s_waitcnt vmcnt(7) lgkmcnt(0)
	v_mul_f64 v[21:22], v[7:8], v[79:80]
	v_mul_f64 v[19:20], v[5:6], v[79:80]
	s_waitcnt vmcnt(5)
	v_fma_f64 v[9:10], v[9:10], v[17:18], -v[27:28]
	v_fma_f64 v[11:12], v[11:12], v[17:18], v[23:24]
	v_add_f64 v[1:2], v[15:16], v[1:2]
	v_add_f64 v[3:4], v[13:14], v[3:4]
	s_waitcnt vmcnt(4)
	v_fma_f64 v[5:6], v[5:6], v[99:100], -v[21:22]
	v_fma_f64 v[7:8], v[7:8], v[99:100], v[19:20]
	v_add_f64 v[1:2], v[1:2], v[9:10]
	v_add_f64 v[3:4], v[3:4], v[11:12]
	;; [unrolled: 1-line block ×4, first 2 shown]
	s_waitcnt vmcnt(2)
	v_add_f64 v[1:2], v[49:50], -v[1:2]
	s_waitcnt vmcnt(0)
	v_add_f64 v[3:4], v[53:54], -v[3:4]
	buffer_store_dword v2, off, s[0:3], 0 offset:132
	buffer_store_dword v1, off, s[0:3], 0 offset:128
	;; [unrolled: 1-line block ×4, first 2 shown]
	v_cmpx_lt_u32_e32 6, v0
	s_cbranch_execz .LBB56_343
; %bb.342:
	v_mov_b32_e32 v4, s63
	s_clause 0x3
	buffer_load_dword v1, v4, s[0:3], 0 offen
	buffer_load_dword v2, v4, s[0:3], 0 offen offset:4
	buffer_load_dword v3, v4, s[0:3], 0 offen offset:8
	;; [unrolled: 1-line block ×3, first 2 shown]
	buffer_store_dword v72, off, s[0:3], 0 offset:112
	buffer_store_dword v72, off, s[0:3], 0 offset:116
	;; [unrolled: 1-line block ×4, first 2 shown]
	s_waitcnt vmcnt(0)
	ds_write_b128 v59, v[1:4]
.LBB56_343:
	s_or_b32 exec_lo, exec_lo, s4
	s_waitcnt lgkmcnt(0)
	s_waitcnt_vscnt null, 0x0
	s_barrier
	buffer_gl0_inv
	s_clause 0x37
	buffer_load_dword v17, off, s[0:3], 0 offset:136
	buffer_load_dword v18, off, s[0:3], 0 offset:140
	;; [unrolled: 1-line block ×56, first 2 shown]
	ds_read_b128 v[5:8], v72 offset:1024
	s_clause 0x2
	buffer_load_dword v92, off, s[0:3], 0 offset:364
	buffer_load_dword v100, off, s[0:3], 0 offset:340
	;; [unrolled: 1-line block ×3, first 2 shown]
	ds_read_b128 v[1:4], v72 offset:1040
	s_clause 0x4
	buffer_load_dword v108, off, s[0:3], 0 offset:380
	buffer_load_dword v109, off, s[0:3], 0 offset:392
	;; [unrolled: 1-line block ×5, first 2 shown]
	ds_read_b128 v[101:104], v72 offset:1056
	s_mov_b32 s4, exec_lo
	s_waitcnt vmcnt(62) lgkmcnt(2)
	v_mul_f64 v[105:106], v[7:8], v[17:18]
	v_mul_f64 v[17:18], v[5:6], v[17:18]
	s_waitcnt vmcnt(60) lgkmcnt(1)
	v_mul_f64 v[112:113], v[3:4], v[13:14]
	v_mul_f64 v[13:14], v[1:2], v[13:14]
	;; [unrolled: 3-line block ×3, first 2 shown]
	v_fma_f64 v[105:106], v[5:6], v[15:16], -v[105:106]
	v_fma_f64 v[15:16], v[7:8], v[15:16], v[17:18]
	s_clause 0x2
	buffer_load_dword v110, off, s[0:3], 0 offset:396
	buffer_load_dword v18, off, s[0:3], 0 offset:372
	;; [unrolled: 1-line block ×3, first 2 shown]
	s_waitcnt vmcnt(57)
	v_fma_f64 v[116:117], v[1:2], v[9:10], -v[112:113]
	ds_read_b128 v[5:8], v72 offset:1072
	v_fma_f64 v[9:10], v[3:4], v[9:10], v[13:14]
	s_waitcnt vmcnt(51)
	v_fma_f64 v[101:102], v[101:102], v[33:34], -v[11:12]
	v_fma_f64 v[33:34], v[103:104], v[33:34], v[114:115]
	v_add_f64 v[105:106], v[105:106], 0
	v_add_f64 v[13:14], v[15:16], 0
	s_clause 0x4
	buffer_load_dword v16, off, s[0:3], 0 offset:412
	buffer_load_dword v113, off, s[0:3], 0 offset:424
	;; [unrolled: 1-line block ×5, first 2 shown]
	s_waitcnt lgkmcnt(0)
	v_mul_f64 v[119:120], v[5:6], v[21:22]
	v_mul_f64 v[21:22], v[7:8], v[21:22]
	ds_read_b128 v[1:4], v72 offset:1088
	s_clause 0x2
	buffer_load_dword v114, off, s[0:3], 0 offset:428
	buffer_load_dword v104, off, s[0:3], 0 offset:404
	;; [unrolled: 1-line block ×3, first 2 shown]
	v_add_f64 v[105:106], v[105:106], v[116:117]
	v_add_f64 v[13:14], v[13:14], v[9:10]
	ds_read_b128 v[9:12], v72 offset:1104
	s_waitcnt vmcnt(58) lgkmcnt(1)
	v_mul_f64 v[115:116], v[1:2], v[25:26]
	v_mul_f64 v[25:26], v[3:4], v[25:26]
	s_waitcnt vmcnt(56)
	v_fma_f64 v[21:22], v[5:6], v[27:28], -v[21:22]
	v_fma_f64 v[27:28], v[7:8], v[27:28], v[119:120]
	s_waitcnt vmcnt(52) lgkmcnt(0)
	v_mul_f64 v[121:122], v[9:10], v[29:30]
	v_add_f64 v[101:102], v[105:106], v[101:102]
	v_add_f64 v[13:14], v[13:14], v[33:34]
	s_clause 0x4
	buffer_load_dword v34, off, s[0:3], 0 offset:444
	buffer_load_dword v105, off, s[0:3], 0 offset:456
	;; [unrolled: 1-line block ×5, first 2 shown]
	v_mul_f64 v[29:30], v[11:12], v[29:30]
	s_waitcnt vmcnt(56)
	v_fma_f64 v[25:26], v[1:2], v[19:20], -v[25:26]
	ds_read_b128 v[5:8], v72 offset:1120
	v_fma_f64 v[19:20], v[3:4], v[19:20], v[115:116]
	v_add_f64 v[21:22], v[101:102], v[21:22]
	v_add_f64 v[13:14], v[13:14], v[27:28]
	s_clause 0x2
	buffer_load_dword v106, off, s[0:3], 0 offset:460
	buffer_load_dword v28, off, s[0:3], 0 offset:436
	;; [unrolled: 1-line block ×3, first 2 shown]
	s_waitcnt vmcnt(58) lgkmcnt(0)
	v_mul_f64 v[101:102], v[5:6], v[35:36]
	v_mul_f64 v[35:36], v[7:8], v[35:36]
	s_waitcnt vmcnt(56)
	v_fma_f64 v[29:30], v[9:10], v[37:38], -v[29:30]
	ds_read_b128 v[1:4], v72 offset:1136
	v_add_f64 v[21:22], v[21:22], v[25:26]
	v_fma_f64 v[25:26], v[11:12], v[37:38], v[121:122]
	v_add_f64 v[13:14], v[13:14], v[19:20]
	s_clause 0x4
	buffer_load_dword v20, off, s[0:3], 0 offset:476
	buffer_load_dword v37, off, s[0:3], 0 offset:488
	;; [unrolled: 1-line block ×5, first 2 shown]
	s_waitcnt vmcnt(57) lgkmcnt(0)
	v_mul_f64 v[116:117], v[1:2], v[39:40]
	v_mul_f64 v[39:40], v[3:4], v[39:40]
	s_waitcnt vmcnt(56)
	v_fma_f64 v[35:36], v[5:6], v[23:24], -v[35:36]
	ds_read_b128 v[9:12], v72 offset:1152
	v_fma_f64 v[23:24], v[7:8], v[23:24], v[101:102]
	v_add_f64 v[21:22], v[21:22], v[29:30]
	v_add_f64 v[13:14], v[13:14], v[25:26]
	s_clause 0x2
	buffer_load_dword v38, off, s[0:3], 0 offset:492
	buffer_load_dword v26, off, s[0:3], 0 offset:468
	;; [unrolled: 1-line block ×3, first 2 shown]
	ds_read_b128 v[5:8], v72 offset:1168
	s_waitcnt vmcnt(58) lgkmcnt(1)
	v_mul_f64 v[29:30], v[9:10], v[43:44]
	v_mul_f64 v[43:44], v[11:12], v[43:44]
	s_waitcnt vmcnt(56)
	v_fma_f64 v[39:40], v[1:2], v[45:46], -v[39:40]
	v_add_f64 v[21:22], v[21:22], v[35:36]
	v_fma_f64 v[35:36], v[3:4], v[45:46], v[116:117]
	v_add_f64 v[13:14], v[13:14], v[23:24]
	s_clause 0x4
	buffer_load_dword v24, off, s[0:3], 0 offset:508
	buffer_load_dword v45, off, s[0:3], 0 offset:520
	;; [unrolled: 1-line block ×5, first 2 shown]
	s_waitcnt vmcnt(57) lgkmcnt(0)
	v_mul_f64 v[122:123], v[5:6], v[47:48]
	v_mul_f64 v[47:48], v[7:8], v[47:48]
	s_waitcnt vmcnt(56)
	v_fma_f64 v[43:44], v[9:10], v[31:32], -v[43:44]
	ds_read_b128 v[1:4], v72 offset:1184
	v_fma_f64 v[29:30], v[11:12], v[31:32], v[29:30]
	s_clause 0x2
	buffer_load_dword v46, off, s[0:3], 0 offset:524
	buffer_load_dword v32, off, s[0:3], 0 offset:500
	buffer_load_dword v31, off, s[0:3], 0 offset:496
	ds_read_b128 v[9:12], v72 offset:1200
	v_add_f64 v[21:22], v[21:22], v[39:40]
	v_add_f64 v[13:14], v[13:14], v[35:36]
	s_waitcnt vmcnt(58) lgkmcnt(1)
	v_mul_f64 v[39:40], v[3:4], v[51:52]
	s_waitcnt vmcnt(56)
	v_fma_f64 v[47:48], v[5:6], v[53:54], -v[47:48]
	v_mul_f64 v[35:36], v[1:2], v[51:52]
	v_add_f64 v[21:22], v[21:22], v[43:44]
	v_fma_f64 v[43:44], v[7:8], v[53:54], v[122:123]
	v_add_f64 v[13:14], v[13:14], v[29:30]
	s_clause 0x4
	buffer_load_dword v30, off, s[0:3], 0 offset:540
	buffer_load_dword v51, off, s[0:3], 0 offset:552
	;; [unrolled: 1-line block ×5, first 2 shown]
	s_waitcnt vmcnt(57) lgkmcnt(0)
	v_mul_f64 v[122:123], v[9:10], v[55:56]
	v_mul_f64 v[54:55], v[11:12], v[55:56]
	s_waitcnt vmcnt(56)
	v_fma_f64 v[39:40], v[1:2], v[41:42], -v[39:40]
	ds_read_b128 v[5:8], v72 offset:1216
	v_fma_f64 v[35:36], v[3:4], v[41:42], v[35:36]
	s_clause 0x2
	buffer_load_dword v52, off, s[0:3], 0 offset:556
	buffer_load_dword v42, off, s[0:3], 0 offset:532
	;; [unrolled: 1-line block ×3, first 2 shown]
	ds_read_b128 v[1:4], v72 offset:1232
	v_add_f64 v[21:22], v[21:22], v[47:48]
	v_add_f64 v[13:14], v[13:14], v[43:44]
	s_waitcnt vmcnt(58) lgkmcnt(1)
	v_mul_f64 v[47:48], v[7:8], v[77:78]
	s_waitcnt vmcnt(56)
	v_fma_f64 v[55:56], v[9:10], v[79:80], -v[54:55]
	v_mul_f64 v[43:44], v[5:6], v[77:78]
	v_add_f64 v[21:22], v[21:22], v[39:40]
	v_fma_f64 v[39:40], v[11:12], v[79:80], v[122:123]
	v_add_f64 v[13:14], v[13:14], v[35:36]
	s_clause 0x4
	buffer_load_dword v36, off, s[0:3], 0 offset:572
	buffer_load_dword v77, off, s[0:3], 0 offset:584
	;; [unrolled: 1-line block ×5, first 2 shown]
	s_waitcnt vmcnt(57) lgkmcnt(0)
	v_mul_f64 v[122:123], v[1:2], v[89:90]
	v_mul_f64 v[89:90], v[3:4], v[89:90]
	s_waitcnt vmcnt(56)
	v_fma_f64 v[47:48], v[5:6], v[49:50], -v[47:48]
	ds_read_b128 v[9:12], v72 offset:1248
	v_fma_f64 v[43:44], v[7:8], v[49:50], v[43:44]
	v_add_f64 v[21:22], v[21:22], v[55:56]
	v_add_f64 v[13:14], v[13:14], v[39:40]
	s_clause 0x2
	buffer_load_dword v78, off, s[0:3], 0 offset:588
	buffer_load_dword v40, off, s[0:3], 0 offset:564
	;; [unrolled: 1-line block ×3, first 2 shown]
	ds_read_b128 v[5:8], v72 offset:1264
	s_waitcnt vmcnt(58) lgkmcnt(1)
	v_mul_f64 v[55:56], v[11:12], v[91:92]
	s_waitcnt vmcnt(56)
	v_fma_f64 v[89:90], v[1:2], v[99:100], -v[89:90]
	v_mul_f64 v[49:50], v[9:10], v[91:92]
	v_add_f64 v[21:22], v[21:22], v[47:48]
	v_fma_f64 v[47:48], v[3:4], v[99:100], v[122:123]
	v_add_f64 v[13:14], v[13:14], v[43:44]
	s_clause 0x4
	buffer_load_dword v44, off, s[0:3], 0 offset:604
	buffer_load_dword v91, off, s[0:3], 0 offset:616
	;; [unrolled: 1-line block ×5, first 2 shown]
	s_waitcnt vmcnt(57) lgkmcnt(0)
	v_mul_f64 v[122:123], v[5:6], v[107:108]
	v_mul_f64 v[107:108], v[7:8], v[107:108]
	s_waitcnt vmcnt(56)
	v_fma_f64 v[55:56], v[9:10], v[57:58], -v[55:56]
	ds_read_b128 v[1:4], v72 offset:1280
	v_fma_f64 v[49:50], v[11:12], v[57:58], v[49:50]
	v_add_f64 v[21:22], v[21:22], v[89:90]
	v_add_f64 v[13:14], v[13:14], v[47:48]
	s_clause 0x2
	buffer_load_dword v92, off, s[0:3], 0 offset:620
	buffer_load_dword v48, off, s[0:3], 0 offset:596
	;; [unrolled: 1-line block ×3, first 2 shown]
	ds_read_b128 v[9:12], v72 offset:1296
	s_waitcnt vmcnt(58) lgkmcnt(1)
	v_mul_f64 v[89:90], v[3:4], v[109:110]
	v_mul_f64 v[57:58], v[1:2], v[109:110]
	s_waitcnt vmcnt(56)
	v_fma_f64 v[107:108], v[5:6], v[17:18], -v[107:108]
	v_fma_f64 v[17:18], v[7:8], v[17:18], v[122:123]
	v_add_f64 v[21:22], v[21:22], v[55:56]
	v_add_f64 v[13:14], v[13:14], v[49:50]
	s_clause 0x4
	buffer_load_dword v50, off, s[0:3], 0 offset:636
	buffer_load_dword v55, off, s[0:3], 0 offset:648
	;; [unrolled: 1-line block ×5, first 2 shown]
	ds_read_b128 v[5:8], v72 offset:1312
	s_waitcnt vmcnt(57) lgkmcnt(1)
	v_mul_f64 v[122:123], v[9:10], v[15:16]
	v_mul_f64 v[15:16], v[11:12], v[15:16]
	s_waitcnt vmcnt(56)
	v_fma_f64 v[89:90], v[1:2], v[111:112], -v[89:90]
	v_fma_f64 v[57:58], v[3:4], v[111:112], v[57:58]
	v_add_f64 v[21:22], v[21:22], v[107:108]
	v_add_f64 v[13:14], v[13:14], v[17:18]
	s_clause 0x2
	buffer_load_dword v56, off, s[0:3], 0 offset:652
	buffer_load_dword v18, off, s[0:3], 0 offset:628
	;; [unrolled: 1-line block ×3, first 2 shown]
	s_waitcnt vmcnt(58) lgkmcnt(0)
	v_mul_f64 v[111:112], v[7:8], v[113:114]
	ds_read_b128 v[1:4], v72 offset:1328
	v_mul_f64 v[107:108], v[5:6], v[113:114]
	s_waitcnt vmcnt(56)
	v_fma_f64 v[15:16], v[9:10], v[103:104], -v[15:16]
	v_add_f64 v[21:22], v[21:22], v[89:90]
	v_fma_f64 v[89:90], v[11:12], v[103:104], v[122:123]
	v_add_f64 v[13:14], v[13:14], v[57:58]
	s_clause 0x4
	buffer_load_dword v58, off, s[0:3], 0 offset:668
	buffer_load_dword v103, off, s[0:3], 0 offset:680
	;; [unrolled: 1-line block ×5, first 2 shown]
	ds_read_b128 v[9:12], v72 offset:1344
	s_waitcnt vmcnt(57) lgkmcnt(1)
	v_mul_f64 v[122:123], v[1:2], v[33:34]
	v_mul_f64 v[33:34], v[3:4], v[33:34]
	s_waitcnt vmcnt(56)
	v_fma_f64 v[111:112], v[5:6], v[118:119], -v[111:112]
	v_add_f64 v[15:16], v[21:22], v[15:16]
	v_fma_f64 v[21:22], v[7:8], v[118:119], v[107:108]
	v_add_f64 v[13:14], v[13:14], v[89:90]
	s_clause 0x2
	buffer_load_dword v104, off, s[0:3], 0 offset:684
	buffer_load_dword v90, off, s[0:3], 0 offset:660
	;; [unrolled: 1-line block ×3, first 2 shown]
	ds_read_b128 v[5:8], v72 offset:1360
	s_waitcnt vmcnt(58) lgkmcnt(1)
	v_mul_f64 v[107:108], v[9:10], v[105:106]
	v_mul_f64 v[105:106], v[11:12], v[105:106]
	s_waitcnt vmcnt(56)
	v_fma_f64 v[33:34], v[1:2], v[27:28], -v[33:34]
	v_fma_f64 v[27:28], v[3:4], v[27:28], v[122:123]
	v_add_f64 v[15:16], v[15:16], v[111:112]
	v_add_f64 v[13:14], v[13:14], v[21:22]
	s_clause 0x4
	buffer_load_dword v22, off, s[0:3], 0 offset:700
	buffer_load_dword v111, off, s[0:3], 0 offset:712
	;; [unrolled: 1-line block ×5, first 2 shown]
	ds_read_b128 v[1:4], v72 offset:1376
	s_waitcnt vmcnt(57) lgkmcnt(1)
	v_mul_f64 v[118:119], v[5:6], v[19:20]
	v_mul_f64 v[19:20], v[7:8], v[19:20]
	s_waitcnt vmcnt(56)
	v_fma_f64 v[105:106], v[9:10], v[120:121], -v[105:106]
	v_add_f64 v[15:16], v[15:16], v[33:34]
	v_fma_f64 v[33:34], v[11:12], v[120:121], v[107:108]
	v_add_f64 v[13:14], v[13:14], v[27:28]
	s_clause 0x2
	buffer_load_dword v112, off, s[0:3], 0 offset:716
	buffer_load_dword v28, off, s[0:3], 0 offset:692
	;; [unrolled: 1-line block ×3, first 2 shown]
	ds_read_b128 v[9:12], v72 offset:1392
	s_waitcnt vmcnt(58) lgkmcnt(1)
	v_mul_f64 v[107:108], v[1:2], v[37:38]
	v_mul_f64 v[37:38], v[3:4], v[37:38]
	s_waitcnt vmcnt(56)
	v_fma_f64 v[19:20], v[5:6], v[25:26], -v[19:20]
	v_fma_f64 v[25:26], v[7:8], v[25:26], v[118:119]
	v_add_f64 v[15:16], v[15:16], v[105:106]
	v_add_f64 v[13:14], v[13:14], v[33:34]
	s_clause 0x4
	buffer_load_dword v34, off, s[0:3], 0 offset:732
	buffer_load_dword v105, off, s[0:3], 0 offset:744
	;; [unrolled: 1-line block ×5, first 2 shown]
	ds_read_b128 v[5:8], v72 offset:1408
	s_waitcnt vmcnt(57) lgkmcnt(1)
	v_mul_f64 v[120:121], v[9:10], v[23:24]
	v_mul_f64 v[23:24], v[11:12], v[23:24]
	s_waitcnt vmcnt(56)
	v_fma_f64 v[37:38], v[1:2], v[115:116], -v[37:38]
	v_add_f64 v[15:16], v[15:16], v[19:20]
	v_fma_f64 v[19:20], v[3:4], v[115:116], v[107:108]
	v_add_f64 v[13:14], v[13:14], v[25:26]
	s_clause 0x2
	buffer_load_dword v106, off, s[0:3], 0 offset:748
	buffer_load_dword v26, off, s[0:3], 0 offset:724
	;; [unrolled: 1-line block ×3, first 2 shown]
	s_waitcnt vmcnt(58) lgkmcnt(0)
	v_mul_f64 v[107:108], v[5:6], v[45:46]
	v_mul_f64 v[45:46], v[7:8], v[45:46]
	ds_read_b128 v[1:4], v72 offset:1424
	s_waitcnt vmcnt(56)
	v_fma_f64 v[23:24], v[9:10], v[31:32], -v[23:24]
	v_fma_f64 v[31:32], v[11:12], v[31:32], v[120:121]
	v_add_f64 v[15:16], v[15:16], v[37:38]
	v_add_f64 v[13:14], v[13:14], v[19:20]
	s_clause 0x4
	buffer_load_dword v20, off, s[0:3], 0 offset:764
	buffer_load_dword v37, off, s[0:3], 0 offset:776
	;; [unrolled: 1-line block ×5, first 2 shown]
	ds_read_b128 v[9:12], v72 offset:1440
	s_waitcnt vmcnt(57) lgkmcnt(1)
	v_mul_f64 v[121:122], v[1:2], v[29:30]
	v_mul_f64 v[29:30], v[3:4], v[29:30]
	s_waitcnt vmcnt(56)
	v_fma_f64 v[45:46], v[5:6], v[101:102], -v[45:46]
	v_add_f64 v[15:16], v[15:16], v[23:24]
	v_fma_f64 v[23:24], v[7:8], v[101:102], v[107:108]
	v_add_f64 v[13:14], v[13:14], v[31:32]
	s_clause 0x2
	buffer_load_dword v38, off, s[0:3], 0 offset:780
	buffer_load_dword v32, off, s[0:3], 0 offset:756
	buffer_load_dword v31, off, s[0:3], 0 offset:752
	s_waitcnt vmcnt(58) lgkmcnt(0)
	v_mul_f64 v[101:102], v[9:10], v[51:52]
	v_mul_f64 v[51:52], v[11:12], v[51:52]
	ds_read_b128 v[5:8], v72 offset:1456
	s_waitcnt vmcnt(56)
	v_fma_f64 v[29:30], v[1:2], v[41:42], -v[29:30]
	v_fma_f64 v[41:42], v[3:4], v[41:42], v[121:122]
	v_add_f64 v[15:16], v[15:16], v[45:46]
	v_add_f64 v[13:14], v[13:14], v[23:24]
	s_clause 0x4
	buffer_load_dword v24, off, s[0:3], 0 offset:796
	buffer_load_dword v45, off, s[0:3], 0 offset:808
	buffer_load_dword v107, off, s[0:3], 0 offset:800
	buffer_load_dword v23, off, s[0:3], 0 offset:792
	buffer_load_dword v116, off, s[0:3], 0 offset:772
	ds_read_b128 v[1:4], v72 offset:1472
	s_waitcnt vmcnt(57) lgkmcnt(1)
	v_mul_f64 v[121:122], v[5:6], v[35:36]
	v_mul_f64 v[35:36], v[7:8], v[35:36]
	s_waitcnt vmcnt(56)
	v_fma_f64 v[51:52], v[9:10], v[53:54], -v[51:52]
	v_add_f64 v[15:16], v[15:16], v[29:30]
	v_fma_f64 v[29:30], v[11:12], v[53:54], v[101:102]
	v_add_f64 v[13:14], v[13:14], v[41:42]
	s_clause 0x2
	buffer_load_dword v46, off, s[0:3], 0 offset:812
	buffer_load_dword v42, off, s[0:3], 0 offset:788
	buffer_load_dword v41, off, s[0:3], 0 offset:784
	ds_read_b128 v[9:12], v72 offset:1488
	s_waitcnt vmcnt(58) lgkmcnt(1)
	v_mul_f64 v[53:54], v[1:2], v[77:78]
	v_mul_f64 v[77:78], v[3:4], v[77:78]
	s_waitcnt vmcnt(56)
	v_fma_f64 v[35:36], v[5:6], v[39:40], -v[35:36]
	v_fma_f64 v[39:40], v[7:8], v[39:40], v[121:122]
	v_add_f64 v[15:16], v[15:16], v[51:52]
	v_add_f64 v[13:14], v[13:14], v[29:30]
	s_clause 0x4
	buffer_load_dword v30, off, s[0:3], 0 offset:828
	buffer_load_dword v51, off, s[0:3], 0 offset:840
	buffer_load_dword v101, off, s[0:3], 0 offset:832
	buffer_load_dword v29, off, s[0:3], 0 offset:824
	buffer_load_dword v108, off, s[0:3], 0 offset:804
	ds_read_b128 v[5:8], v72 offset:1504
	s_waitcnt vmcnt(57) lgkmcnt(1)
	v_mul_f64 v[121:122], v[9:10], v[43:44]
	v_mul_f64 v[43:44], v[11:12], v[43:44]
	s_waitcnt vmcnt(56)
	v_fma_f64 v[77:78], v[1:2], v[79:80], -v[77:78]
	v_add_f64 v[15:16], v[15:16], v[35:36]
	v_fma_f64 v[35:36], v[3:4], v[79:80], v[53:54]
	v_add_f64 v[13:14], v[13:14], v[39:40]
	s_clause 0x2
	buffer_load_dword v52, off, s[0:3], 0 offset:844
	buffer_load_dword v40, off, s[0:3], 0 offset:820
	buffer_load_dword v39, off, s[0:3], 0 offset:816
	ds_read_b128 v[1:4], v72 offset:1520
	s_waitcnt vmcnt(58) lgkmcnt(1)
	v_mul_f64 v[79:80], v[7:8], v[91:92]
	v_mul_f64 v[53:54], v[5:6], v[91:92]
	;; [unrolled: 28-line block ×4, first 2 shown]
	s_waitcnt vmcnt(56)
	v_fma_f64 v[57:58], v[5:6], v[89:90], -v[57:58]
	v_add_f64 v[15:16], v[15:16], v[55:56]
	v_fma_f64 v[55:56], v[7:8], v[89:90], v[121:122]
	v_add_f64 v[13:14], v[13:14], v[49:50]
	s_clause 0x2
	buffer_load_dword v50, off, s[0:3], 0 offset:924
	buffer_load_dword v49, off, s[0:3], 0 offset:920
	;; [unrolled: 1-line block ×3, first 2 shown]
	ds_read_b128 v[5:8], v72 offset:1600
	s_waitcnt vmcnt(55) lgkmcnt(1)
	v_mul_f64 v[89:90], v[9:10], v[21:22]
	v_mul_f64 v[21:22], v[11:12], v[21:22]
	s_waitcnt vmcnt(54)
	v_fma_f64 v[103:104], v[1:2], v[113:114], -v[103:104]
	v_fma_f64 v[53:54], v[3:4], v[113:114], v[53:54]
	v_add_f64 v[15:16], v[15:16], v[57:58]
	v_add_f64 v[13:14], v[13:14], v[55:56]
	s_clause 0x1
	buffer_load_dword v56, off, s[0:3], 0 offset:916
	buffer_load_dword v55, off, s[0:3], 0 offset:912
	ds_read_b128 v[1:4], v72 offset:1616
	s_waitcnt vmcnt(55) lgkmcnt(1)
	v_mul_f64 v[109:110], v[7:8], v[111:112]
	v_mul_f64 v[57:58], v[5:6], v[111:112]
	s_waitcnt vmcnt(53)
	v_fma_f64 v[21:22], v[9:10], v[27:28], -v[21:22]
	v_fma_f64 v[27:28], v[11:12], v[27:28], v[89:90]
	ds_read_b128 v[9:12], v72 offset:1632
	v_add_f64 v[15:16], v[15:16], v[103:104]
	v_add_f64 v[13:14], v[13:14], v[53:54]
	s_waitcnt vmcnt(49) lgkmcnt(1)
	v_mul_f64 v[53:54], v[1:2], v[33:34]
	v_mul_f64 v[33:34], v[3:4], v[33:34]
	s_waitcnt vmcnt(48)
	v_fma_f64 v[89:90], v[5:6], v[117:118], -v[109:110]
	v_add_f64 v[15:16], v[15:16], v[21:22]
	v_fma_f64 v[21:22], v[7:8], v[117:118], v[57:58]
	v_add_f64 v[13:14], v[13:14], v[27:28]
	s_clause 0x3
	buffer_load_dword v27, off, s[0:3], 0 offset:112
	buffer_load_dword v28, off, s[0:3], 0 offset:116
	;; [unrolled: 1-line block ×4, first 2 shown]
	ds_read_b128 v[5:8], v72 offset:1648
	s_waitcnt vmcnt(51) lgkmcnt(1)
	v_mul_f64 v[103:104], v[9:10], v[105:106]
	v_mul_f64 v[105:106], v[11:12], v[105:106]
	s_waitcnt vmcnt(49)
	v_fma_f64 v[33:34], v[1:2], v[25:26], -v[33:34]
	v_fma_f64 v[25:26], v[3:4], v[25:26], v[53:54]
	ds_read_b128 v[1:4], v72 offset:1664
	v_add_f64 v[15:16], v[15:16], v[89:90]
	v_add_f64 v[13:14], v[13:14], v[21:22]
	s_waitcnt vmcnt(45) lgkmcnt(1)
	v_mul_f64 v[21:22], v[5:6], v[19:20]
	v_mul_f64 v[19:20], v[7:8], v[19:20]
	s_waitcnt vmcnt(44)
	v_fma_f64 v[53:54], v[9:10], v[119:120], -v[105:106]
	v_add_f64 v[15:16], v[15:16], v[33:34]
	v_fma_f64 v[33:34], v[11:12], v[119:120], v[103:104]
	v_add_f64 v[13:14], v[13:14], v[25:26]
	ds_read_b128 v[9:12], v72 offset:1680
	s_waitcnt vmcnt(43) lgkmcnt(1)
	v_mul_f64 v[25:26], v[1:2], v[37:38]
	v_mul_f64 v[37:38], v[3:4], v[37:38]
	s_waitcnt vmcnt(41)
	v_fma_f64 v[19:20], v[5:6], v[31:32], -v[19:20]
	v_fma_f64 v[21:22], v[7:8], v[31:32], v[21:22]
	ds_read_b128 v[5:8], v72 offset:1696
	v_add_f64 v[15:16], v[15:16], v[53:54]
	v_add_f64 v[13:14], v[13:14], v[33:34]
	s_waitcnt vmcnt(37) lgkmcnt(1)
	v_mul_f64 v[31:32], v[9:10], v[23:24]
	v_mul_f64 v[23:24], v[11:12], v[23:24]
	s_waitcnt vmcnt(36)
	v_fma_f64 v[33:34], v[1:2], v[115:116], -v[37:38]
	v_add_f64 v[15:16], v[15:16], v[19:20]
	v_fma_f64 v[19:20], v[3:4], v[115:116], v[25:26]
	v_add_f64 v[13:14], v[13:14], v[21:22]
	ds_read_b128 v[1:4], v72 offset:1712
	s_waitcnt vmcnt(35) lgkmcnt(1)
	v_mul_f64 v[25:26], v[7:8], v[45:46]
	v_mul_f64 v[21:22], v[5:6], v[45:46]
	s_waitcnt vmcnt(33)
	v_fma_f64 v[23:24], v[9:10], v[41:42], -v[23:24]
	v_fma_f64 v[31:32], v[11:12], v[41:42], v[31:32]
	ds_read_b128 v[9:12], v72 offset:1728
	v_add_f64 v[15:16], v[15:16], v[33:34]
	v_add_f64 v[13:14], v[13:14], v[19:20]
	s_waitcnt vmcnt(29) lgkmcnt(1)
	v_mul_f64 v[19:20], v[1:2], v[29:30]
	v_mul_f64 v[29:30], v[3:4], v[29:30]
	s_waitcnt vmcnt(28)
	v_fma_f64 v[25:26], v[5:6], v[107:108], -v[25:26]
	v_fma_f64 v[21:22], v[7:8], v[107:108], v[21:22]
	ds_read_b128 v[5:8], v72 offset:1744
	v_add_f64 v[15:16], v[15:16], v[23:24]
	v_add_f64 v[13:14], v[13:14], v[31:32]
	;; [unrolled: 9-line block ×3, first 2 shown]
	s_waitcnt vmcnt(21) lgkmcnt(1)
	v_mul_f64 v[25:26], v[7:8], v[35:36]
	s_waitcnt vmcnt(20)
	v_fma_f64 v[31:32], v[9:10], v[101:102], -v[31:32]
	v_mul_f64 v[21:22], v[5:6], v[35:36]
	v_fma_f64 v[23:24], v[11:12], v[101:102], v[23:24]
	ds_read_b128 v[9:12], v72 offset:1776
	v_add_f64 v[15:16], v[15:16], v[29:30]
	v_add_f64 v[13:14], v[13:14], v[19:20]
	s_waitcnt vmcnt(19) lgkmcnt(1)
	v_mul_f64 v[29:30], v[3:4], v[77:78]
	v_mul_f64 v[19:20], v[1:2], v[77:78]
	s_waitcnt vmcnt(17)
	v_fma_f64 v[25:26], v[5:6], v[47:48], -v[25:26]
	v_fma_f64 v[21:22], v[7:8], v[47:48], v[21:22]
	ds_read_b128 v[5:8], v72 offset:1792
	v_add_f64 v[15:16], v[15:16], v[31:32]
	v_add_f64 v[13:14], v[13:14], v[23:24]
	s_waitcnt vmcnt(13) lgkmcnt(1)
	v_mul_f64 v[31:32], v[11:12], v[43:44]
	s_waitcnt vmcnt(12)
	v_fma_f64 v[29:30], v[1:2], v[91:92], -v[29:30]
	v_mul_f64 v[23:24], v[9:10], v[43:44]
	v_fma_f64 v[19:20], v[3:4], v[91:92], v[19:20]
	ds_read_b128 v[1:4], v72 offset:1808
	v_add_f64 v[15:16], v[15:16], v[25:26]
	v_add_f64 v[13:14], v[13:14], v[21:22]
	s_waitcnt vmcnt(11) lgkmcnt(1)
	v_mul_f64 v[25:26], v[7:8], v[79:80]
	v_mul_f64 v[21:22], v[5:6], v[79:80]
	s_waitcnt vmcnt(9)
	v_fma_f64 v[9:10], v[9:10], v[17:18], -v[31:32]
	v_fma_f64 v[11:12], v[11:12], v[17:18], v[23:24]
	v_add_f64 v[15:16], v[15:16], v[29:30]
	v_add_f64 v[13:14], v[13:14], v[19:20]
	s_waitcnt vmcnt(7) lgkmcnt(0)
	v_mul_f64 v[19:20], v[3:4], v[49:50]
	s_waitcnt vmcnt(6)
	v_fma_f64 v[5:6], v[5:6], v[99:100], -v[25:26]
	v_mul_f64 v[17:18], v[1:2], v[49:50]
	v_fma_f64 v[7:8], v[7:8], v[99:100], v[21:22]
	v_add_f64 v[9:10], v[15:16], v[9:10]
	v_add_f64 v[11:12], v[13:14], v[11:12]
	s_waitcnt vmcnt(4)
	v_fma_f64 v[1:2], v[1:2], v[55:56], -v[19:20]
	v_fma_f64 v[3:4], v[3:4], v[55:56], v[17:18]
	v_add_f64 v[5:6], v[9:10], v[5:6]
	v_add_f64 v[7:8], v[11:12], v[7:8]
	;; [unrolled: 1-line block ×4, first 2 shown]
	s_waitcnt vmcnt(2)
	v_add_f64 v[1:2], v[27:28], -v[1:2]
	s_waitcnt vmcnt(0)
	v_add_f64 v[3:4], v[57:58], -v[3:4]
	buffer_store_dword v2, off, s[0:3], 0 offset:116
	buffer_store_dword v1, off, s[0:3], 0 offset:112
	;; [unrolled: 1-line block ×4, first 2 shown]
	v_cmpx_lt_u32_e32 5, v0
	s_cbranch_execz .LBB56_345
; %bb.344:
	v_mov_b32_e32 v4, s64
	v_mov_b32_e32 v5, 0
	s_clause 0x3
	buffer_load_dword v1, v4, s[0:3], 0 offen
	buffer_load_dword v2, v4, s[0:3], 0 offen offset:4
	buffer_load_dword v3, v4, s[0:3], 0 offen offset:8
	;; [unrolled: 1-line block ×3, first 2 shown]
	buffer_store_dword v5, off, s[0:3], 0 offset:96
	buffer_store_dword v5, off, s[0:3], 0 offset:100
	;; [unrolled: 1-line block ×4, first 2 shown]
	s_waitcnt vmcnt(0)
	ds_write_b128 v59, v[1:4]
.LBB56_345:
	s_or_b32 exec_lo, exec_lo, s4
	s_waitcnt lgkmcnt(0)
	s_waitcnt_vscnt null, 0x0
	s_barrier
	buffer_gl0_inv
	s_clause 0x37
	buffer_load_dword v17, off, s[0:3], 0 offset:120
	buffer_load_dword v18, off, s[0:3], 0 offset:124
	;; [unrolled: 1-line block ×56, first 2 shown]
	v_mov_b32_e32 v72, 0
	s_mov_b32 s4, exec_lo
	ds_read_b128 v[5:8], v72 offset:1008
	s_clause 0x2
	buffer_load_dword v92, off, s[0:3], 0 offset:348
	buffer_load_dword v100, off, s[0:3], 0 offset:324
	;; [unrolled: 1-line block ×3, first 2 shown]
	ds_read_b128 v[1:4], v72 offset:1024
	s_clause 0x4
	buffer_load_dword v108, off, s[0:3], 0 offset:364
	buffer_load_dword v109, off, s[0:3], 0 offset:376
	;; [unrolled: 1-line block ×5, first 2 shown]
	ds_read_b128 v[101:104], v72 offset:1040
	s_waitcnt vmcnt(62) lgkmcnt(2)
	v_mul_f64 v[105:106], v[7:8], v[17:18]
	v_mul_f64 v[17:18], v[5:6], v[17:18]
	s_waitcnt vmcnt(60) lgkmcnt(1)
	v_mul_f64 v[112:113], v[3:4], v[13:14]
	v_mul_f64 v[13:14], v[1:2], v[13:14]
	;; [unrolled: 3-line block ×3, first 2 shown]
	v_fma_f64 v[105:106], v[5:6], v[15:16], -v[105:106]
	v_fma_f64 v[15:16], v[7:8], v[15:16], v[17:18]
	s_clause 0x2
	buffer_load_dword v110, off, s[0:3], 0 offset:380
	buffer_load_dword v18, off, s[0:3], 0 offset:356
	;; [unrolled: 1-line block ×3, first 2 shown]
	s_waitcnt vmcnt(57)
	v_fma_f64 v[116:117], v[1:2], v[9:10], -v[112:113]
	ds_read_b128 v[5:8], v72 offset:1056
	v_fma_f64 v[9:10], v[3:4], v[9:10], v[13:14]
	s_waitcnt vmcnt(51)
	v_fma_f64 v[101:102], v[101:102], v[33:34], -v[11:12]
	v_fma_f64 v[33:34], v[103:104], v[33:34], v[114:115]
	v_add_f64 v[105:106], v[105:106], 0
	v_add_f64 v[13:14], v[15:16], 0
	s_clause 0x4
	buffer_load_dword v16, off, s[0:3], 0 offset:396
	buffer_load_dword v113, off, s[0:3], 0 offset:408
	;; [unrolled: 1-line block ×5, first 2 shown]
	s_waitcnt lgkmcnt(0)
	v_mul_f64 v[119:120], v[5:6], v[21:22]
	v_mul_f64 v[21:22], v[7:8], v[21:22]
	ds_read_b128 v[1:4], v72 offset:1072
	s_clause 0x2
	buffer_load_dword v114, off, s[0:3], 0 offset:412
	buffer_load_dword v104, off, s[0:3], 0 offset:388
	;; [unrolled: 1-line block ×3, first 2 shown]
	v_add_f64 v[105:106], v[105:106], v[116:117]
	v_add_f64 v[13:14], v[13:14], v[9:10]
	ds_read_b128 v[9:12], v72 offset:1088
	s_waitcnt vmcnt(58) lgkmcnt(1)
	v_mul_f64 v[115:116], v[1:2], v[25:26]
	v_mul_f64 v[25:26], v[3:4], v[25:26]
	s_waitcnt vmcnt(56)
	v_fma_f64 v[21:22], v[5:6], v[27:28], -v[21:22]
	v_fma_f64 v[27:28], v[7:8], v[27:28], v[119:120]
	s_waitcnt vmcnt(52) lgkmcnt(0)
	v_mul_f64 v[121:122], v[9:10], v[29:30]
	v_add_f64 v[101:102], v[105:106], v[101:102]
	v_add_f64 v[13:14], v[13:14], v[33:34]
	s_clause 0x4
	buffer_load_dword v34, off, s[0:3], 0 offset:428
	buffer_load_dword v105, off, s[0:3], 0 offset:440
	;; [unrolled: 1-line block ×5, first 2 shown]
	v_mul_f64 v[29:30], v[11:12], v[29:30]
	s_waitcnt vmcnt(56)
	v_fma_f64 v[25:26], v[1:2], v[19:20], -v[25:26]
	ds_read_b128 v[5:8], v72 offset:1104
	v_fma_f64 v[19:20], v[3:4], v[19:20], v[115:116]
	v_add_f64 v[21:22], v[101:102], v[21:22]
	v_add_f64 v[13:14], v[13:14], v[27:28]
	s_clause 0x2
	buffer_load_dword v106, off, s[0:3], 0 offset:444
	buffer_load_dword v28, off, s[0:3], 0 offset:420
	buffer_load_dword v27, off, s[0:3], 0 offset:416
	s_waitcnt vmcnt(58) lgkmcnt(0)
	v_mul_f64 v[101:102], v[5:6], v[35:36]
	v_mul_f64 v[35:36], v[7:8], v[35:36]
	s_waitcnt vmcnt(56)
	v_fma_f64 v[29:30], v[9:10], v[37:38], -v[29:30]
	ds_read_b128 v[1:4], v72 offset:1120
	v_add_f64 v[21:22], v[21:22], v[25:26]
	v_fma_f64 v[25:26], v[11:12], v[37:38], v[121:122]
	v_add_f64 v[13:14], v[13:14], v[19:20]
	s_clause 0x4
	buffer_load_dword v20, off, s[0:3], 0 offset:460
	buffer_load_dword v37, off, s[0:3], 0 offset:472
	;; [unrolled: 1-line block ×5, first 2 shown]
	s_waitcnt vmcnt(57) lgkmcnt(0)
	v_mul_f64 v[116:117], v[1:2], v[39:40]
	v_mul_f64 v[39:40], v[3:4], v[39:40]
	s_waitcnt vmcnt(56)
	v_fma_f64 v[35:36], v[5:6], v[23:24], -v[35:36]
	ds_read_b128 v[9:12], v72 offset:1136
	v_fma_f64 v[23:24], v[7:8], v[23:24], v[101:102]
	v_add_f64 v[21:22], v[21:22], v[29:30]
	v_add_f64 v[13:14], v[13:14], v[25:26]
	s_clause 0x2
	buffer_load_dword v38, off, s[0:3], 0 offset:476
	buffer_load_dword v26, off, s[0:3], 0 offset:452
	;; [unrolled: 1-line block ×3, first 2 shown]
	ds_read_b128 v[5:8], v72 offset:1152
	s_waitcnt vmcnt(58) lgkmcnt(1)
	v_mul_f64 v[29:30], v[9:10], v[43:44]
	v_mul_f64 v[43:44], v[11:12], v[43:44]
	s_waitcnt vmcnt(56)
	v_fma_f64 v[39:40], v[1:2], v[45:46], -v[39:40]
	v_add_f64 v[21:22], v[21:22], v[35:36]
	v_fma_f64 v[35:36], v[3:4], v[45:46], v[116:117]
	v_add_f64 v[13:14], v[13:14], v[23:24]
	s_clause 0x4
	buffer_load_dword v24, off, s[0:3], 0 offset:492
	buffer_load_dword v45, off, s[0:3], 0 offset:504
	;; [unrolled: 1-line block ×5, first 2 shown]
	s_waitcnt vmcnt(57) lgkmcnt(0)
	v_mul_f64 v[122:123], v[5:6], v[47:48]
	v_mul_f64 v[47:48], v[7:8], v[47:48]
	s_waitcnt vmcnt(56)
	v_fma_f64 v[43:44], v[9:10], v[31:32], -v[43:44]
	ds_read_b128 v[1:4], v72 offset:1168
	v_fma_f64 v[29:30], v[11:12], v[31:32], v[29:30]
	s_clause 0x2
	buffer_load_dword v46, off, s[0:3], 0 offset:508
	buffer_load_dword v32, off, s[0:3], 0 offset:484
	;; [unrolled: 1-line block ×3, first 2 shown]
	ds_read_b128 v[9:12], v72 offset:1184
	v_add_f64 v[21:22], v[21:22], v[39:40]
	v_add_f64 v[13:14], v[13:14], v[35:36]
	s_waitcnt vmcnt(58) lgkmcnt(1)
	v_mul_f64 v[39:40], v[3:4], v[51:52]
	s_waitcnt vmcnt(56)
	v_fma_f64 v[47:48], v[5:6], v[53:54], -v[47:48]
	v_mul_f64 v[35:36], v[1:2], v[51:52]
	v_add_f64 v[21:22], v[21:22], v[43:44]
	v_fma_f64 v[43:44], v[7:8], v[53:54], v[122:123]
	v_add_f64 v[13:14], v[13:14], v[29:30]
	s_clause 0x4
	buffer_load_dword v30, off, s[0:3], 0 offset:524
	buffer_load_dword v51, off, s[0:3], 0 offset:536
	;; [unrolled: 1-line block ×5, first 2 shown]
	s_waitcnt vmcnt(57) lgkmcnt(0)
	v_mul_f64 v[122:123], v[9:10], v[55:56]
	v_mul_f64 v[54:55], v[11:12], v[55:56]
	s_waitcnt vmcnt(56)
	v_fma_f64 v[39:40], v[1:2], v[41:42], -v[39:40]
	ds_read_b128 v[5:8], v72 offset:1200
	v_fma_f64 v[35:36], v[3:4], v[41:42], v[35:36]
	s_clause 0x2
	buffer_load_dword v52, off, s[0:3], 0 offset:540
	buffer_load_dword v42, off, s[0:3], 0 offset:516
	;; [unrolled: 1-line block ×3, first 2 shown]
	ds_read_b128 v[1:4], v72 offset:1216
	v_add_f64 v[21:22], v[21:22], v[47:48]
	v_add_f64 v[13:14], v[13:14], v[43:44]
	s_waitcnt vmcnt(58) lgkmcnt(1)
	v_mul_f64 v[47:48], v[7:8], v[77:78]
	s_waitcnt vmcnt(56)
	v_fma_f64 v[55:56], v[9:10], v[79:80], -v[54:55]
	v_mul_f64 v[43:44], v[5:6], v[77:78]
	v_add_f64 v[21:22], v[21:22], v[39:40]
	v_fma_f64 v[39:40], v[11:12], v[79:80], v[122:123]
	v_add_f64 v[13:14], v[13:14], v[35:36]
	s_clause 0x4
	buffer_load_dword v36, off, s[0:3], 0 offset:556
	buffer_load_dword v77, off, s[0:3], 0 offset:568
	;; [unrolled: 1-line block ×5, first 2 shown]
	s_waitcnt vmcnt(57) lgkmcnt(0)
	v_mul_f64 v[122:123], v[1:2], v[89:90]
	v_mul_f64 v[89:90], v[3:4], v[89:90]
	s_waitcnt vmcnt(56)
	v_fma_f64 v[47:48], v[5:6], v[49:50], -v[47:48]
	ds_read_b128 v[9:12], v72 offset:1232
	v_fma_f64 v[43:44], v[7:8], v[49:50], v[43:44]
	v_add_f64 v[21:22], v[21:22], v[55:56]
	v_add_f64 v[13:14], v[13:14], v[39:40]
	s_clause 0x2
	buffer_load_dword v78, off, s[0:3], 0 offset:572
	buffer_load_dword v40, off, s[0:3], 0 offset:548
	;; [unrolled: 1-line block ×3, first 2 shown]
	ds_read_b128 v[5:8], v72 offset:1248
	s_waitcnt vmcnt(58) lgkmcnt(1)
	v_mul_f64 v[55:56], v[11:12], v[91:92]
	s_waitcnt vmcnt(56)
	v_fma_f64 v[89:90], v[1:2], v[99:100], -v[89:90]
	v_mul_f64 v[49:50], v[9:10], v[91:92]
	v_add_f64 v[21:22], v[21:22], v[47:48]
	v_fma_f64 v[47:48], v[3:4], v[99:100], v[122:123]
	v_add_f64 v[13:14], v[13:14], v[43:44]
	s_clause 0x4
	buffer_load_dword v44, off, s[0:3], 0 offset:588
	buffer_load_dword v91, off, s[0:3], 0 offset:600
	;; [unrolled: 1-line block ×5, first 2 shown]
	s_waitcnt vmcnt(57) lgkmcnt(0)
	v_mul_f64 v[122:123], v[5:6], v[107:108]
	v_mul_f64 v[107:108], v[7:8], v[107:108]
	s_waitcnt vmcnt(56)
	v_fma_f64 v[55:56], v[9:10], v[57:58], -v[55:56]
	ds_read_b128 v[1:4], v72 offset:1264
	v_fma_f64 v[49:50], v[11:12], v[57:58], v[49:50]
	v_add_f64 v[21:22], v[21:22], v[89:90]
	v_add_f64 v[13:14], v[13:14], v[47:48]
	s_clause 0x2
	buffer_load_dword v92, off, s[0:3], 0 offset:604
	buffer_load_dword v48, off, s[0:3], 0 offset:580
	;; [unrolled: 1-line block ×3, first 2 shown]
	ds_read_b128 v[9:12], v72 offset:1280
	s_waitcnt vmcnt(58) lgkmcnt(1)
	v_mul_f64 v[89:90], v[3:4], v[109:110]
	v_mul_f64 v[57:58], v[1:2], v[109:110]
	s_waitcnt vmcnt(56)
	v_fma_f64 v[107:108], v[5:6], v[17:18], -v[107:108]
	v_fma_f64 v[17:18], v[7:8], v[17:18], v[122:123]
	v_add_f64 v[21:22], v[21:22], v[55:56]
	v_add_f64 v[13:14], v[13:14], v[49:50]
	s_clause 0x4
	buffer_load_dword v50, off, s[0:3], 0 offset:620
	buffer_load_dword v55, off, s[0:3], 0 offset:632
	;; [unrolled: 1-line block ×5, first 2 shown]
	ds_read_b128 v[5:8], v72 offset:1296
	s_waitcnt vmcnt(57) lgkmcnt(1)
	v_mul_f64 v[122:123], v[9:10], v[15:16]
	v_mul_f64 v[15:16], v[11:12], v[15:16]
	s_waitcnt vmcnt(56)
	v_fma_f64 v[89:90], v[1:2], v[111:112], -v[89:90]
	v_fma_f64 v[57:58], v[3:4], v[111:112], v[57:58]
	v_add_f64 v[21:22], v[21:22], v[107:108]
	v_add_f64 v[13:14], v[13:14], v[17:18]
	s_clause 0x2
	buffer_load_dword v56, off, s[0:3], 0 offset:636
	buffer_load_dword v18, off, s[0:3], 0 offset:612
	;; [unrolled: 1-line block ×3, first 2 shown]
	s_waitcnt vmcnt(58) lgkmcnt(0)
	v_mul_f64 v[111:112], v[7:8], v[113:114]
	ds_read_b128 v[1:4], v72 offset:1312
	v_mul_f64 v[107:108], v[5:6], v[113:114]
	s_waitcnt vmcnt(56)
	v_fma_f64 v[15:16], v[9:10], v[103:104], -v[15:16]
	v_add_f64 v[21:22], v[21:22], v[89:90]
	v_fma_f64 v[89:90], v[11:12], v[103:104], v[122:123]
	v_add_f64 v[13:14], v[13:14], v[57:58]
	s_clause 0x4
	buffer_load_dword v58, off, s[0:3], 0 offset:652
	buffer_load_dword v103, off, s[0:3], 0 offset:664
	;; [unrolled: 1-line block ×5, first 2 shown]
	ds_read_b128 v[9:12], v72 offset:1328
	s_waitcnt vmcnt(57) lgkmcnt(1)
	v_mul_f64 v[122:123], v[1:2], v[33:34]
	v_mul_f64 v[33:34], v[3:4], v[33:34]
	s_waitcnt vmcnt(56)
	v_fma_f64 v[111:112], v[5:6], v[118:119], -v[111:112]
	v_add_f64 v[15:16], v[21:22], v[15:16]
	v_fma_f64 v[21:22], v[7:8], v[118:119], v[107:108]
	v_add_f64 v[13:14], v[13:14], v[89:90]
	s_clause 0x2
	buffer_load_dword v104, off, s[0:3], 0 offset:668
	buffer_load_dword v90, off, s[0:3], 0 offset:644
	;; [unrolled: 1-line block ×3, first 2 shown]
	ds_read_b128 v[5:8], v72 offset:1344
	s_waitcnt vmcnt(58) lgkmcnt(1)
	v_mul_f64 v[107:108], v[9:10], v[105:106]
	v_mul_f64 v[105:106], v[11:12], v[105:106]
	s_waitcnt vmcnt(56)
	v_fma_f64 v[33:34], v[1:2], v[27:28], -v[33:34]
	v_fma_f64 v[27:28], v[3:4], v[27:28], v[122:123]
	v_add_f64 v[15:16], v[15:16], v[111:112]
	v_add_f64 v[13:14], v[13:14], v[21:22]
	s_clause 0x4
	buffer_load_dword v22, off, s[0:3], 0 offset:684
	buffer_load_dword v111, off, s[0:3], 0 offset:696
	;; [unrolled: 1-line block ×5, first 2 shown]
	ds_read_b128 v[1:4], v72 offset:1360
	s_waitcnt vmcnt(57) lgkmcnt(1)
	v_mul_f64 v[118:119], v[5:6], v[19:20]
	v_mul_f64 v[19:20], v[7:8], v[19:20]
	s_waitcnt vmcnt(56)
	v_fma_f64 v[105:106], v[9:10], v[120:121], -v[105:106]
	v_add_f64 v[15:16], v[15:16], v[33:34]
	v_fma_f64 v[33:34], v[11:12], v[120:121], v[107:108]
	v_add_f64 v[13:14], v[13:14], v[27:28]
	s_clause 0x2
	buffer_load_dword v112, off, s[0:3], 0 offset:700
	buffer_load_dword v28, off, s[0:3], 0 offset:676
	;; [unrolled: 1-line block ×3, first 2 shown]
	ds_read_b128 v[9:12], v72 offset:1376
	s_waitcnt vmcnt(58) lgkmcnt(1)
	v_mul_f64 v[107:108], v[1:2], v[37:38]
	v_mul_f64 v[37:38], v[3:4], v[37:38]
	s_waitcnt vmcnt(56)
	v_fma_f64 v[19:20], v[5:6], v[25:26], -v[19:20]
	v_fma_f64 v[25:26], v[7:8], v[25:26], v[118:119]
	v_add_f64 v[15:16], v[15:16], v[105:106]
	v_add_f64 v[13:14], v[13:14], v[33:34]
	s_clause 0x4
	buffer_load_dword v34, off, s[0:3], 0 offset:716
	buffer_load_dword v105, off, s[0:3], 0 offset:728
	;; [unrolled: 1-line block ×5, first 2 shown]
	ds_read_b128 v[5:8], v72 offset:1392
	s_waitcnt vmcnt(57) lgkmcnt(1)
	v_mul_f64 v[120:121], v[9:10], v[23:24]
	v_mul_f64 v[23:24], v[11:12], v[23:24]
	s_waitcnt vmcnt(56)
	v_fma_f64 v[37:38], v[1:2], v[115:116], -v[37:38]
	v_add_f64 v[15:16], v[15:16], v[19:20]
	v_fma_f64 v[19:20], v[3:4], v[115:116], v[107:108]
	v_add_f64 v[13:14], v[13:14], v[25:26]
	s_clause 0x2
	buffer_load_dword v106, off, s[0:3], 0 offset:732
	buffer_load_dword v26, off, s[0:3], 0 offset:708
	;; [unrolled: 1-line block ×3, first 2 shown]
	s_waitcnt vmcnt(58) lgkmcnt(0)
	v_mul_f64 v[107:108], v[5:6], v[45:46]
	v_mul_f64 v[45:46], v[7:8], v[45:46]
	ds_read_b128 v[1:4], v72 offset:1408
	s_waitcnt vmcnt(56)
	v_fma_f64 v[23:24], v[9:10], v[31:32], -v[23:24]
	v_fma_f64 v[31:32], v[11:12], v[31:32], v[120:121]
	v_add_f64 v[15:16], v[15:16], v[37:38]
	v_add_f64 v[13:14], v[13:14], v[19:20]
	s_clause 0x4
	buffer_load_dword v20, off, s[0:3], 0 offset:748
	buffer_load_dword v37, off, s[0:3], 0 offset:760
	;; [unrolled: 1-line block ×5, first 2 shown]
	ds_read_b128 v[9:12], v72 offset:1424
	s_waitcnt vmcnt(57) lgkmcnt(1)
	v_mul_f64 v[121:122], v[1:2], v[29:30]
	v_mul_f64 v[29:30], v[3:4], v[29:30]
	s_waitcnt vmcnt(56)
	v_fma_f64 v[45:46], v[5:6], v[101:102], -v[45:46]
	v_add_f64 v[15:16], v[15:16], v[23:24]
	v_fma_f64 v[23:24], v[7:8], v[101:102], v[107:108]
	v_add_f64 v[13:14], v[13:14], v[31:32]
	s_clause 0x2
	buffer_load_dword v38, off, s[0:3], 0 offset:764
	buffer_load_dword v32, off, s[0:3], 0 offset:740
	;; [unrolled: 1-line block ×3, first 2 shown]
	s_waitcnt vmcnt(58) lgkmcnt(0)
	v_mul_f64 v[101:102], v[9:10], v[51:52]
	v_mul_f64 v[51:52], v[11:12], v[51:52]
	ds_read_b128 v[5:8], v72 offset:1440
	s_waitcnt vmcnt(56)
	v_fma_f64 v[29:30], v[1:2], v[41:42], -v[29:30]
	v_fma_f64 v[41:42], v[3:4], v[41:42], v[121:122]
	v_add_f64 v[15:16], v[15:16], v[45:46]
	v_add_f64 v[13:14], v[13:14], v[23:24]
	s_clause 0x4
	buffer_load_dword v24, off, s[0:3], 0 offset:780
	buffer_load_dword v45, off, s[0:3], 0 offset:792
	buffer_load_dword v107, off, s[0:3], 0 offset:784
	buffer_load_dword v23, off, s[0:3], 0 offset:776
	buffer_load_dword v116, off, s[0:3], 0 offset:756
	ds_read_b128 v[1:4], v72 offset:1456
	s_waitcnt vmcnt(57) lgkmcnt(1)
	v_mul_f64 v[121:122], v[5:6], v[35:36]
	v_mul_f64 v[35:36], v[7:8], v[35:36]
	s_waitcnt vmcnt(56)
	v_fma_f64 v[51:52], v[9:10], v[53:54], -v[51:52]
	v_add_f64 v[15:16], v[15:16], v[29:30]
	v_fma_f64 v[29:30], v[11:12], v[53:54], v[101:102]
	v_add_f64 v[13:14], v[13:14], v[41:42]
	s_clause 0x2
	buffer_load_dword v46, off, s[0:3], 0 offset:796
	buffer_load_dword v42, off, s[0:3], 0 offset:772
	buffer_load_dword v41, off, s[0:3], 0 offset:768
	ds_read_b128 v[9:12], v72 offset:1472
	s_waitcnt vmcnt(58) lgkmcnt(1)
	v_mul_f64 v[53:54], v[1:2], v[77:78]
	v_mul_f64 v[77:78], v[3:4], v[77:78]
	s_waitcnt vmcnt(56)
	v_fma_f64 v[35:36], v[5:6], v[39:40], -v[35:36]
	v_fma_f64 v[39:40], v[7:8], v[39:40], v[121:122]
	v_add_f64 v[15:16], v[15:16], v[51:52]
	v_add_f64 v[13:14], v[13:14], v[29:30]
	s_clause 0x4
	buffer_load_dword v30, off, s[0:3], 0 offset:812
	buffer_load_dword v51, off, s[0:3], 0 offset:824
	buffer_load_dword v101, off, s[0:3], 0 offset:816
	buffer_load_dword v29, off, s[0:3], 0 offset:808
	buffer_load_dword v108, off, s[0:3], 0 offset:788
	ds_read_b128 v[5:8], v72 offset:1488
	s_waitcnt vmcnt(57) lgkmcnt(1)
	v_mul_f64 v[121:122], v[9:10], v[43:44]
	v_mul_f64 v[43:44], v[11:12], v[43:44]
	s_waitcnt vmcnt(56)
	v_fma_f64 v[77:78], v[1:2], v[79:80], -v[77:78]
	v_add_f64 v[15:16], v[15:16], v[35:36]
	v_fma_f64 v[35:36], v[3:4], v[79:80], v[53:54]
	v_add_f64 v[13:14], v[13:14], v[39:40]
	s_clause 0x2
	buffer_load_dword v52, off, s[0:3], 0 offset:828
	buffer_load_dword v40, off, s[0:3], 0 offset:804
	buffer_load_dword v39, off, s[0:3], 0 offset:800
	ds_read_b128 v[1:4], v72 offset:1504
	s_waitcnt vmcnt(58) lgkmcnt(1)
	v_mul_f64 v[79:80], v[7:8], v[91:92]
	v_mul_f64 v[53:54], v[5:6], v[91:92]
	s_waitcnt vmcnt(56)
	v_fma_f64 v[43:44], v[9:10], v[47:48], -v[43:44]
	v_fma_f64 v[47:48], v[11:12], v[47:48], v[121:122]
	v_add_f64 v[15:16], v[15:16], v[77:78]
	v_add_f64 v[13:14], v[13:14], v[35:36]
	s_clause 0x4
	buffer_load_dword v36, off, s[0:3], 0 offset:844
	buffer_load_dword v77, off, s[0:3], 0 offset:856
	buffer_load_dword v91, off, s[0:3], 0 offset:848
	buffer_load_dword v35, off, s[0:3], 0 offset:840
	buffer_load_dword v102, off, s[0:3], 0 offset:820
	ds_read_b128 v[9:12], v72 offset:1520
	s_waitcnt vmcnt(57) lgkmcnt(1)
	v_mul_f64 v[121:122], v[1:2], v[49:50]
	v_mul_f64 v[49:50], v[3:4], v[49:50]
	s_waitcnt vmcnt(56)
	v_fma_f64 v[79:80], v[5:6], v[99:100], -v[79:80]
	v_add_f64 v[15:16], v[15:16], v[43:44]
	v_fma_f64 v[43:44], v[7:8], v[99:100], v[53:54]
	v_add_f64 v[13:14], v[13:14], v[47:48]
	s_clause 0x2
	buffer_load_dword v78, off, s[0:3], 0 offset:860
	buffer_load_dword v48, off, s[0:3], 0 offset:836
	buffer_load_dword v47, off, s[0:3], 0 offset:832
	ds_read_b128 v[5:8], v72 offset:1536
	s_waitcnt vmcnt(58) lgkmcnt(1)
	v_mul_f64 v[53:54], v[9:10], v[55:56]
	v_mul_f64 v[55:56], v[11:12], v[55:56]
	s_waitcnt vmcnt(56)
	v_fma_f64 v[49:50], v[1:2], v[17:18], -v[49:50]
	v_fma_f64 v[17:18], v[3:4], v[17:18], v[121:122]
	v_add_f64 v[15:16], v[15:16], v[79:80]
	v_add_f64 v[13:14], v[13:14], v[43:44]
	s_clause 0x4
	buffer_load_dword v44, off, s[0:3], 0 offset:876
	buffer_load_dword v79, off, s[0:3], 0 offset:888
	buffer_load_dword v99, off, s[0:3], 0 offset:880
	buffer_load_dword v43, off, s[0:3], 0 offset:872
	buffer_load_dword v92, off, s[0:3], 0 offset:852
	ds_read_b128 v[1:4], v72 offset:1552
	s_waitcnt vmcnt(57) lgkmcnt(1)
	v_mul_f64 v[121:122], v[5:6], v[57:58]
	v_mul_f64 v[57:58], v[7:8], v[57:58]
	s_waitcnt vmcnt(56)
	v_fma_f64 v[55:56], v[9:10], v[109:110], -v[55:56]
	v_add_f64 v[15:16], v[15:16], v[49:50]
	v_fma_f64 v[49:50], v[11:12], v[109:110], v[53:54]
	v_add_f64 v[13:14], v[13:14], v[17:18]
	s_clause 0x2
	buffer_load_dword v80, off, s[0:3], 0 offset:892
	buffer_load_dword v18, off, s[0:3], 0 offset:868
	buffer_load_dword v17, off, s[0:3], 0 offset:864
	ds_read_b128 v[9:12], v72 offset:1568
	s_waitcnt vmcnt(58) lgkmcnt(1)
	v_mul_f64 v[53:54], v[1:2], v[103:104]
	v_mul_f64 v[103:104], v[3:4], v[103:104]
	s_waitcnt vmcnt(56)
	v_fma_f64 v[57:58], v[5:6], v[89:90], -v[57:58]
	v_add_f64 v[15:16], v[15:16], v[55:56]
	v_fma_f64 v[55:56], v[7:8], v[89:90], v[121:122]
	v_add_f64 v[13:14], v[13:14], v[49:50]
	s_clause 0x4
	buffer_load_dword v50, off, s[0:3], 0 offset:908
	buffer_load_dword v89, off, s[0:3], 0 offset:920
	;; [unrolled: 1-line block ×5, first 2 shown]
	ds_read_b128 v[5:8], v72 offset:1584
	s_waitcnt vmcnt(57) lgkmcnt(1)
	v_mul_f64 v[121:122], v[9:10], v[21:22]
	v_mul_f64 v[21:22], v[11:12], v[21:22]
	s_waitcnt vmcnt(56)
	v_fma_f64 v[103:104], v[1:2], v[113:114], -v[103:104]
	v_fma_f64 v[53:54], v[3:4], v[113:114], v[53:54]
	v_add_f64 v[15:16], v[15:16], v[57:58]
	v_add_f64 v[13:14], v[13:14], v[55:56]
	s_clause 0x2
	buffer_load_dword v90, off, s[0:3], 0 offset:924
	buffer_load_dword v56, off, s[0:3], 0 offset:900
	;; [unrolled: 1-line block ×3, first 2 shown]
	ds_read_b128 v[1:4], v72 offset:1600
	buffer_load_dword v110, off, s[0:3], 0 offset:916
	s_waitcnt vmcnt(59) lgkmcnt(1)
	v_mul_f64 v[57:58], v[5:6], v[111:112]
	v_mul_f64 v[111:112], v[7:8], v[111:112]
	s_waitcnt vmcnt(57)
	v_fma_f64 v[21:22], v[9:10], v[27:28], -v[21:22]
	v_fma_f64 v[27:28], v[11:12], v[27:28], v[121:122]
	ds_read_b128 v[9:12], v72 offset:1616
	v_add_f64 v[15:16], v[15:16], v[103:104]
	v_add_f64 v[13:14], v[13:14], v[53:54]
	s_waitcnt vmcnt(53) lgkmcnt(1)
	v_mul_f64 v[53:54], v[1:2], v[33:34]
	v_mul_f64 v[33:34], v[3:4], v[33:34]
	s_waitcnt vmcnt(52)
	v_fma_f64 v[103:104], v[5:6], v[117:118], -v[111:112]
	v_add_f64 v[15:16], v[15:16], v[21:22]
	v_fma_f64 v[21:22], v[7:8], v[117:118], v[57:58]
	v_add_f64 v[13:14], v[13:14], v[27:28]
	ds_read_b128 v[5:8], v72 offset:1632
	s_waitcnt vmcnt(51) lgkmcnt(1)
	v_mul_f64 v[57:58], v[11:12], v[105:106]
	v_mul_f64 v[27:28], v[9:10], v[105:106]
	s_waitcnt vmcnt(49)
	v_fma_f64 v[33:34], v[1:2], v[25:26], -v[33:34]
	v_fma_f64 v[25:26], v[3:4], v[25:26], v[53:54]
	v_add_f64 v[15:16], v[15:16], v[103:104]
	v_add_f64 v[13:14], v[13:14], v[21:22]
	s_clause 0x3
	buffer_load_dword v21, off, s[0:3], 0 offset:96
	buffer_load_dword v22, off, s[0:3], 0 offset:100
	;; [unrolled: 1-line block ×4, first 2 shown]
	ds_read_b128 v[1:4], v72 offset:1648
	s_waitcnt vmcnt(49) lgkmcnt(1)
	v_mul_f64 v[103:104], v[5:6], v[19:20]
	v_mul_f64 v[19:20], v[7:8], v[19:20]
	s_waitcnt vmcnt(48)
	v_fma_f64 v[57:58], v[9:10], v[119:120], -v[57:58]
	v_fma_f64 v[27:28], v[11:12], v[119:120], v[27:28]
	ds_read_b128 v[9:12], v72 offset:1664
	v_add_f64 v[15:16], v[15:16], v[33:34]
	v_add_f64 v[13:14], v[13:14], v[25:26]
	s_waitcnt vmcnt(47) lgkmcnt(1)
	v_mul_f64 v[33:34], v[3:4], v[37:38]
	v_mul_f64 v[25:26], v[1:2], v[37:38]
	s_waitcnt vmcnt(45)
	v_fma_f64 v[19:20], v[5:6], v[31:32], -v[19:20]
	v_fma_f64 v[31:32], v[7:8], v[31:32], v[103:104]
	ds_read_b128 v[5:8], v72 offset:1680
	v_add_f64 v[15:16], v[15:16], v[57:58]
	v_add_f64 v[13:14], v[13:14], v[27:28]
	s_waitcnt vmcnt(41) lgkmcnt(1)
	v_mul_f64 v[27:28], v[9:10], v[23:24]
	v_mul_f64 v[23:24], v[11:12], v[23:24]
	s_waitcnt vmcnt(40)
	v_fma_f64 v[33:34], v[1:2], v[115:116], -v[33:34]
	v_add_f64 v[15:16], v[15:16], v[19:20]
	v_fma_f64 v[19:20], v[3:4], v[115:116], v[25:26]
	v_add_f64 v[13:14], v[13:14], v[31:32]
	ds_read_b128 v[1:4], v72 offset:1696
	s_waitcnt vmcnt(39) lgkmcnt(1)
	v_mul_f64 v[31:32], v[7:8], v[45:46]
	v_mul_f64 v[25:26], v[5:6], v[45:46]
	s_waitcnt vmcnt(37)
	v_fma_f64 v[23:24], v[9:10], v[41:42], -v[23:24]
	v_fma_f64 v[27:28], v[11:12], v[41:42], v[27:28]
	ds_read_b128 v[9:12], v72 offset:1712
	v_add_f64 v[15:16], v[15:16], v[33:34]
	v_add_f64 v[13:14], v[13:14], v[19:20]
	s_waitcnt vmcnt(33) lgkmcnt(1)
	v_mul_f64 v[19:20], v[1:2], v[29:30]
	v_mul_f64 v[29:30], v[3:4], v[29:30]
	s_waitcnt vmcnt(32)
	v_fma_f64 v[31:32], v[5:6], v[107:108], -v[31:32]
	v_add_f64 v[15:16], v[15:16], v[23:24]
	v_fma_f64 v[23:24], v[7:8], v[107:108], v[25:26]
	v_add_f64 v[13:14], v[13:14], v[27:28]
	ds_read_b128 v[5:8], v72 offset:1728
	s_waitcnt vmcnt(31) lgkmcnt(1)
	v_mul_f64 v[27:28], v[11:12], v[51:52]
	v_mul_f64 v[25:26], v[9:10], v[51:52]
	s_waitcnt vmcnt(29)
	v_fma_f64 v[29:30], v[1:2], v[39:40], -v[29:30]
	v_fma_f64 v[19:20], v[3:4], v[39:40], v[19:20]
	ds_read_b128 v[1:4], v72 offset:1744
	v_add_f64 v[15:16], v[15:16], v[31:32]
	v_add_f64 v[13:14], v[13:14], v[23:24]
	s_waitcnt vmcnt(25) lgkmcnt(1)
	v_mul_f64 v[31:32], v[7:8], v[35:36]
	s_waitcnt vmcnt(24)
	v_fma_f64 v[27:28], v[9:10], v[101:102], -v[27:28]
	v_mul_f64 v[23:24], v[5:6], v[35:36]
	v_fma_f64 v[25:26], v[11:12], v[101:102], v[25:26]
	ds_read_b128 v[9:12], v72 offset:1760
	v_add_f64 v[15:16], v[15:16], v[29:30]
	v_add_f64 v[13:14], v[13:14], v[19:20]
	s_waitcnt vmcnt(23) lgkmcnt(1)
	v_mul_f64 v[29:30], v[3:4], v[77:78]
	v_mul_f64 v[19:20], v[1:2], v[77:78]
	s_waitcnt vmcnt(21)
	v_fma_f64 v[31:32], v[5:6], v[47:48], -v[31:32]
	v_fma_f64 v[23:24], v[7:8], v[47:48], v[23:24]
	ds_read_b128 v[5:8], v72 offset:1776
	v_add_f64 v[15:16], v[15:16], v[27:28]
	v_add_f64 v[13:14], v[13:14], v[25:26]
	s_waitcnt vmcnt(17) lgkmcnt(1)
	v_mul_f64 v[27:28], v[11:12], v[43:44]
	s_waitcnt vmcnt(16)
	v_fma_f64 v[29:30], v[1:2], v[91:92], -v[29:30]
	v_mul_f64 v[25:26], v[9:10], v[43:44]
	v_fma_f64 v[19:20], v[3:4], v[91:92], v[19:20]
	ds_read_b128 v[1:4], v72 offset:1792
	v_add_f64 v[15:16], v[15:16], v[31:32]
	v_add_f64 v[13:14], v[13:14], v[23:24]
	s_waitcnt vmcnt(15) lgkmcnt(1)
	v_mul_f64 v[31:32], v[7:8], v[79:80]
	v_mul_f64 v[23:24], v[5:6], v[79:80]
	s_waitcnt vmcnt(13)
	v_fma_f64 v[27:28], v[9:10], v[17:18], -v[27:28]
	v_fma_f64 v[17:18], v[11:12], v[17:18], v[25:26]
	ds_read_b128 v[9:12], v72 offset:1808
	v_add_f64 v[15:16], v[15:16], v[29:30]
	v_add_f64 v[13:14], v[13:14], v[19:20]
	s_waitcnt vmcnt(9) lgkmcnt(1)
	v_mul_f64 v[25:26], v[3:4], v[49:50]
	s_waitcnt vmcnt(8)
	v_fma_f64 v[5:6], v[5:6], v[99:100], -v[31:32]
	v_mul_f64 v[19:20], v[1:2], v[49:50]
	v_fma_f64 v[7:8], v[7:8], v[99:100], v[23:24]
	v_add_f64 v[15:16], v[15:16], v[27:28]
	v_add_f64 v[13:14], v[13:14], v[17:18]
	s_waitcnt vmcnt(7) lgkmcnt(0)
	v_mul_f64 v[23:24], v[11:12], v[89:90]
	v_mul_f64 v[17:18], v[9:10], v[89:90]
	s_waitcnt vmcnt(5)
	v_fma_f64 v[1:2], v[1:2], v[55:56], -v[25:26]
	v_fma_f64 v[3:4], v[3:4], v[55:56], v[19:20]
	v_add_f64 v[5:6], v[15:16], v[5:6]
	v_add_f64 v[7:8], v[13:14], v[7:8]
	s_waitcnt vmcnt(4)
	v_fma_f64 v[9:10], v[9:10], v[109:110], -v[23:24]
	v_add_f64 v[1:2], v[5:6], v[1:2]
	v_fma_f64 v[5:6], v[11:12], v[109:110], v[17:18]
	v_add_f64 v[3:4], v[7:8], v[3:4]
	v_add_f64 v[1:2], v[1:2], v[9:10]
	;; [unrolled: 1-line block ×3, first 2 shown]
	s_waitcnt vmcnt(2)
	v_add_f64 v[1:2], v[21:22], -v[1:2]
	s_waitcnt vmcnt(0)
	v_add_f64 v[3:4], v[53:54], -v[3:4]
	buffer_store_dword v2, off, s[0:3], 0 offset:100
	buffer_store_dword v1, off, s[0:3], 0 offset:96
	;; [unrolled: 1-line block ×4, first 2 shown]
	v_cmpx_lt_u32_e32 4, v0
	s_cbranch_execz .LBB56_347
; %bb.346:
	v_mov_b32_e32 v4, s65
	s_clause 0x3
	buffer_load_dword v1, v4, s[0:3], 0 offen
	buffer_load_dword v2, v4, s[0:3], 0 offen offset:4
	buffer_load_dword v3, v4, s[0:3], 0 offen offset:8
	;; [unrolled: 1-line block ×3, first 2 shown]
	buffer_store_dword v72, off, s[0:3], 0 offset:80
	buffer_store_dword v72, off, s[0:3], 0 offset:84
	;; [unrolled: 1-line block ×4, first 2 shown]
	s_waitcnt vmcnt(0)
	ds_write_b128 v59, v[1:4]
.LBB56_347:
	s_or_b32 exec_lo, exec_lo, s4
	s_waitcnt lgkmcnt(0)
	s_waitcnt_vscnt null, 0x0
	s_barrier
	buffer_gl0_inv
	s_clause 0x37
	buffer_load_dword v17, off, s[0:3], 0 offset:104
	buffer_load_dword v18, off, s[0:3], 0 offset:108
	;; [unrolled: 1-line block ×56, first 2 shown]
	ds_read_b128 v[5:8], v72 offset:992
	s_clause 0x2
	buffer_load_dword v92, off, s[0:3], 0 offset:332
	buffer_load_dword v100, off, s[0:3], 0 offset:308
	;; [unrolled: 1-line block ×3, first 2 shown]
	ds_read_b128 v[1:4], v72 offset:1008
	s_clause 0x4
	buffer_load_dword v108, off, s[0:3], 0 offset:348
	buffer_load_dword v109, off, s[0:3], 0 offset:360
	;; [unrolled: 1-line block ×5, first 2 shown]
	ds_read_b128 v[101:104], v72 offset:1024
	s_mov_b32 s4, exec_lo
	s_waitcnt vmcnt(62) lgkmcnt(2)
	v_mul_f64 v[105:106], v[7:8], v[17:18]
	v_mul_f64 v[17:18], v[5:6], v[17:18]
	s_waitcnt vmcnt(60) lgkmcnt(1)
	v_mul_f64 v[112:113], v[3:4], v[13:14]
	v_mul_f64 v[13:14], v[1:2], v[13:14]
	;; [unrolled: 3-line block ×3, first 2 shown]
	v_fma_f64 v[105:106], v[5:6], v[15:16], -v[105:106]
	v_fma_f64 v[15:16], v[7:8], v[15:16], v[17:18]
	s_clause 0x2
	buffer_load_dword v110, off, s[0:3], 0 offset:364
	buffer_load_dword v18, off, s[0:3], 0 offset:340
	;; [unrolled: 1-line block ×3, first 2 shown]
	s_waitcnt vmcnt(57)
	v_fma_f64 v[116:117], v[1:2], v[9:10], -v[112:113]
	ds_read_b128 v[5:8], v72 offset:1040
	v_fma_f64 v[9:10], v[3:4], v[9:10], v[13:14]
	s_waitcnt vmcnt(51)
	v_fma_f64 v[101:102], v[101:102], v[33:34], -v[11:12]
	v_fma_f64 v[33:34], v[103:104], v[33:34], v[114:115]
	v_add_f64 v[105:106], v[105:106], 0
	v_add_f64 v[13:14], v[15:16], 0
	s_clause 0x4
	buffer_load_dword v16, off, s[0:3], 0 offset:380
	buffer_load_dword v113, off, s[0:3], 0 offset:392
	;; [unrolled: 1-line block ×5, first 2 shown]
	s_waitcnt lgkmcnt(0)
	v_mul_f64 v[119:120], v[5:6], v[21:22]
	v_mul_f64 v[21:22], v[7:8], v[21:22]
	ds_read_b128 v[1:4], v72 offset:1056
	s_clause 0x2
	buffer_load_dword v114, off, s[0:3], 0 offset:396
	buffer_load_dword v104, off, s[0:3], 0 offset:372
	;; [unrolled: 1-line block ×3, first 2 shown]
	v_add_f64 v[105:106], v[105:106], v[116:117]
	v_add_f64 v[13:14], v[13:14], v[9:10]
	ds_read_b128 v[9:12], v72 offset:1072
	s_waitcnt vmcnt(58) lgkmcnt(1)
	v_mul_f64 v[115:116], v[1:2], v[25:26]
	v_mul_f64 v[25:26], v[3:4], v[25:26]
	s_waitcnt vmcnt(56)
	v_fma_f64 v[21:22], v[5:6], v[27:28], -v[21:22]
	v_fma_f64 v[27:28], v[7:8], v[27:28], v[119:120]
	s_waitcnt vmcnt(52) lgkmcnt(0)
	v_mul_f64 v[121:122], v[9:10], v[29:30]
	v_add_f64 v[101:102], v[105:106], v[101:102]
	v_add_f64 v[13:14], v[13:14], v[33:34]
	s_clause 0x4
	buffer_load_dword v34, off, s[0:3], 0 offset:412
	buffer_load_dword v105, off, s[0:3], 0 offset:424
	;; [unrolled: 1-line block ×5, first 2 shown]
	v_mul_f64 v[29:30], v[11:12], v[29:30]
	s_waitcnt vmcnt(56)
	v_fma_f64 v[25:26], v[1:2], v[19:20], -v[25:26]
	ds_read_b128 v[5:8], v72 offset:1088
	v_fma_f64 v[19:20], v[3:4], v[19:20], v[115:116]
	v_add_f64 v[21:22], v[101:102], v[21:22]
	v_add_f64 v[13:14], v[13:14], v[27:28]
	s_clause 0x2
	buffer_load_dword v106, off, s[0:3], 0 offset:428
	buffer_load_dword v28, off, s[0:3], 0 offset:404
	;; [unrolled: 1-line block ×3, first 2 shown]
	s_waitcnt vmcnt(58) lgkmcnt(0)
	v_mul_f64 v[101:102], v[5:6], v[35:36]
	v_mul_f64 v[35:36], v[7:8], v[35:36]
	s_waitcnt vmcnt(56)
	v_fma_f64 v[29:30], v[9:10], v[37:38], -v[29:30]
	ds_read_b128 v[1:4], v72 offset:1104
	v_add_f64 v[21:22], v[21:22], v[25:26]
	v_fma_f64 v[25:26], v[11:12], v[37:38], v[121:122]
	v_add_f64 v[13:14], v[13:14], v[19:20]
	s_clause 0x4
	buffer_load_dword v20, off, s[0:3], 0 offset:444
	buffer_load_dword v37, off, s[0:3], 0 offset:456
	;; [unrolled: 1-line block ×5, first 2 shown]
	s_waitcnt vmcnt(57) lgkmcnt(0)
	v_mul_f64 v[116:117], v[1:2], v[39:40]
	v_mul_f64 v[39:40], v[3:4], v[39:40]
	s_waitcnt vmcnt(56)
	v_fma_f64 v[35:36], v[5:6], v[23:24], -v[35:36]
	ds_read_b128 v[9:12], v72 offset:1120
	v_fma_f64 v[23:24], v[7:8], v[23:24], v[101:102]
	v_add_f64 v[21:22], v[21:22], v[29:30]
	v_add_f64 v[13:14], v[13:14], v[25:26]
	s_clause 0x2
	buffer_load_dword v38, off, s[0:3], 0 offset:460
	buffer_load_dword v26, off, s[0:3], 0 offset:436
	;; [unrolled: 1-line block ×3, first 2 shown]
	ds_read_b128 v[5:8], v72 offset:1136
	s_waitcnt vmcnt(58) lgkmcnt(1)
	v_mul_f64 v[29:30], v[9:10], v[43:44]
	v_mul_f64 v[43:44], v[11:12], v[43:44]
	s_waitcnt vmcnt(56)
	v_fma_f64 v[39:40], v[1:2], v[45:46], -v[39:40]
	v_add_f64 v[21:22], v[21:22], v[35:36]
	v_fma_f64 v[35:36], v[3:4], v[45:46], v[116:117]
	v_add_f64 v[13:14], v[13:14], v[23:24]
	s_clause 0x4
	buffer_load_dword v24, off, s[0:3], 0 offset:476
	buffer_load_dword v45, off, s[0:3], 0 offset:488
	;; [unrolled: 1-line block ×5, first 2 shown]
	s_waitcnt vmcnt(57) lgkmcnt(0)
	v_mul_f64 v[122:123], v[5:6], v[47:48]
	v_mul_f64 v[47:48], v[7:8], v[47:48]
	s_waitcnt vmcnt(56)
	v_fma_f64 v[43:44], v[9:10], v[31:32], -v[43:44]
	ds_read_b128 v[1:4], v72 offset:1152
	v_fma_f64 v[29:30], v[11:12], v[31:32], v[29:30]
	s_clause 0x2
	buffer_load_dword v46, off, s[0:3], 0 offset:492
	buffer_load_dword v32, off, s[0:3], 0 offset:468
	;; [unrolled: 1-line block ×3, first 2 shown]
	ds_read_b128 v[9:12], v72 offset:1168
	v_add_f64 v[21:22], v[21:22], v[39:40]
	v_add_f64 v[13:14], v[13:14], v[35:36]
	s_waitcnt vmcnt(58) lgkmcnt(1)
	v_mul_f64 v[39:40], v[3:4], v[51:52]
	s_waitcnt vmcnt(56)
	v_fma_f64 v[47:48], v[5:6], v[53:54], -v[47:48]
	v_mul_f64 v[35:36], v[1:2], v[51:52]
	v_add_f64 v[21:22], v[21:22], v[43:44]
	v_fma_f64 v[43:44], v[7:8], v[53:54], v[122:123]
	v_add_f64 v[13:14], v[13:14], v[29:30]
	s_clause 0x4
	buffer_load_dword v30, off, s[0:3], 0 offset:508
	buffer_load_dword v51, off, s[0:3], 0 offset:520
	;; [unrolled: 1-line block ×5, first 2 shown]
	s_waitcnt vmcnt(57) lgkmcnt(0)
	v_mul_f64 v[122:123], v[9:10], v[55:56]
	v_mul_f64 v[54:55], v[11:12], v[55:56]
	s_waitcnt vmcnt(56)
	v_fma_f64 v[39:40], v[1:2], v[41:42], -v[39:40]
	ds_read_b128 v[5:8], v72 offset:1184
	v_fma_f64 v[35:36], v[3:4], v[41:42], v[35:36]
	s_clause 0x2
	buffer_load_dword v52, off, s[0:3], 0 offset:524
	buffer_load_dword v42, off, s[0:3], 0 offset:500
	buffer_load_dword v41, off, s[0:3], 0 offset:496
	ds_read_b128 v[1:4], v72 offset:1200
	v_add_f64 v[21:22], v[21:22], v[47:48]
	v_add_f64 v[13:14], v[13:14], v[43:44]
	s_waitcnt vmcnt(58) lgkmcnt(1)
	v_mul_f64 v[47:48], v[7:8], v[77:78]
	s_waitcnt vmcnt(56)
	v_fma_f64 v[55:56], v[9:10], v[79:80], -v[54:55]
	v_mul_f64 v[43:44], v[5:6], v[77:78]
	v_add_f64 v[21:22], v[21:22], v[39:40]
	v_fma_f64 v[39:40], v[11:12], v[79:80], v[122:123]
	v_add_f64 v[13:14], v[13:14], v[35:36]
	s_clause 0x4
	buffer_load_dword v36, off, s[0:3], 0 offset:540
	buffer_load_dword v77, off, s[0:3], 0 offset:552
	;; [unrolled: 1-line block ×5, first 2 shown]
	s_waitcnt vmcnt(57) lgkmcnt(0)
	v_mul_f64 v[122:123], v[1:2], v[89:90]
	v_mul_f64 v[89:90], v[3:4], v[89:90]
	s_waitcnt vmcnt(56)
	v_fma_f64 v[47:48], v[5:6], v[49:50], -v[47:48]
	ds_read_b128 v[9:12], v72 offset:1216
	v_fma_f64 v[43:44], v[7:8], v[49:50], v[43:44]
	v_add_f64 v[21:22], v[21:22], v[55:56]
	v_add_f64 v[13:14], v[13:14], v[39:40]
	s_clause 0x2
	buffer_load_dword v78, off, s[0:3], 0 offset:556
	buffer_load_dword v40, off, s[0:3], 0 offset:532
	;; [unrolled: 1-line block ×3, first 2 shown]
	ds_read_b128 v[5:8], v72 offset:1232
	s_waitcnt vmcnt(58) lgkmcnt(1)
	v_mul_f64 v[55:56], v[11:12], v[91:92]
	s_waitcnt vmcnt(56)
	v_fma_f64 v[89:90], v[1:2], v[99:100], -v[89:90]
	v_mul_f64 v[49:50], v[9:10], v[91:92]
	v_add_f64 v[21:22], v[21:22], v[47:48]
	v_fma_f64 v[47:48], v[3:4], v[99:100], v[122:123]
	v_add_f64 v[13:14], v[13:14], v[43:44]
	s_clause 0x4
	buffer_load_dword v44, off, s[0:3], 0 offset:572
	buffer_load_dword v91, off, s[0:3], 0 offset:584
	;; [unrolled: 1-line block ×5, first 2 shown]
	s_waitcnt vmcnt(57) lgkmcnt(0)
	v_mul_f64 v[122:123], v[5:6], v[107:108]
	v_mul_f64 v[107:108], v[7:8], v[107:108]
	s_waitcnt vmcnt(56)
	v_fma_f64 v[55:56], v[9:10], v[57:58], -v[55:56]
	ds_read_b128 v[1:4], v72 offset:1248
	v_fma_f64 v[49:50], v[11:12], v[57:58], v[49:50]
	v_add_f64 v[21:22], v[21:22], v[89:90]
	v_add_f64 v[13:14], v[13:14], v[47:48]
	s_clause 0x2
	buffer_load_dword v92, off, s[0:3], 0 offset:588
	buffer_load_dword v48, off, s[0:3], 0 offset:564
	;; [unrolled: 1-line block ×3, first 2 shown]
	ds_read_b128 v[9:12], v72 offset:1264
	s_waitcnt vmcnt(58) lgkmcnt(1)
	v_mul_f64 v[89:90], v[3:4], v[109:110]
	v_mul_f64 v[57:58], v[1:2], v[109:110]
	s_waitcnt vmcnt(56)
	v_fma_f64 v[107:108], v[5:6], v[17:18], -v[107:108]
	v_fma_f64 v[17:18], v[7:8], v[17:18], v[122:123]
	v_add_f64 v[21:22], v[21:22], v[55:56]
	v_add_f64 v[13:14], v[13:14], v[49:50]
	s_clause 0x4
	buffer_load_dword v50, off, s[0:3], 0 offset:604
	buffer_load_dword v55, off, s[0:3], 0 offset:616
	;; [unrolled: 1-line block ×5, first 2 shown]
	ds_read_b128 v[5:8], v72 offset:1280
	s_waitcnt vmcnt(57) lgkmcnt(1)
	v_mul_f64 v[122:123], v[9:10], v[15:16]
	v_mul_f64 v[15:16], v[11:12], v[15:16]
	s_waitcnt vmcnt(56)
	v_fma_f64 v[89:90], v[1:2], v[111:112], -v[89:90]
	v_fma_f64 v[57:58], v[3:4], v[111:112], v[57:58]
	v_add_f64 v[21:22], v[21:22], v[107:108]
	v_add_f64 v[13:14], v[13:14], v[17:18]
	s_clause 0x2
	buffer_load_dword v56, off, s[0:3], 0 offset:620
	buffer_load_dword v18, off, s[0:3], 0 offset:596
	;; [unrolled: 1-line block ×3, first 2 shown]
	s_waitcnt vmcnt(58) lgkmcnt(0)
	v_mul_f64 v[111:112], v[7:8], v[113:114]
	ds_read_b128 v[1:4], v72 offset:1296
	v_mul_f64 v[107:108], v[5:6], v[113:114]
	s_waitcnt vmcnt(56)
	v_fma_f64 v[15:16], v[9:10], v[103:104], -v[15:16]
	v_add_f64 v[21:22], v[21:22], v[89:90]
	v_fma_f64 v[89:90], v[11:12], v[103:104], v[122:123]
	v_add_f64 v[13:14], v[13:14], v[57:58]
	s_clause 0x4
	buffer_load_dword v58, off, s[0:3], 0 offset:636
	buffer_load_dword v103, off, s[0:3], 0 offset:648
	;; [unrolled: 1-line block ×5, first 2 shown]
	ds_read_b128 v[9:12], v72 offset:1312
	s_waitcnt vmcnt(57) lgkmcnt(1)
	v_mul_f64 v[122:123], v[1:2], v[33:34]
	v_mul_f64 v[33:34], v[3:4], v[33:34]
	s_waitcnt vmcnt(56)
	v_fma_f64 v[111:112], v[5:6], v[118:119], -v[111:112]
	v_add_f64 v[15:16], v[21:22], v[15:16]
	v_fma_f64 v[21:22], v[7:8], v[118:119], v[107:108]
	v_add_f64 v[13:14], v[13:14], v[89:90]
	s_clause 0x2
	buffer_load_dword v104, off, s[0:3], 0 offset:652
	buffer_load_dword v90, off, s[0:3], 0 offset:628
	;; [unrolled: 1-line block ×3, first 2 shown]
	ds_read_b128 v[5:8], v72 offset:1328
	s_waitcnt vmcnt(58) lgkmcnt(1)
	v_mul_f64 v[107:108], v[9:10], v[105:106]
	v_mul_f64 v[105:106], v[11:12], v[105:106]
	s_waitcnt vmcnt(56)
	v_fma_f64 v[33:34], v[1:2], v[27:28], -v[33:34]
	v_fma_f64 v[27:28], v[3:4], v[27:28], v[122:123]
	v_add_f64 v[15:16], v[15:16], v[111:112]
	v_add_f64 v[13:14], v[13:14], v[21:22]
	s_clause 0x4
	buffer_load_dword v22, off, s[0:3], 0 offset:668
	buffer_load_dword v111, off, s[0:3], 0 offset:680
	;; [unrolled: 1-line block ×5, first 2 shown]
	ds_read_b128 v[1:4], v72 offset:1344
	s_waitcnt vmcnt(57) lgkmcnt(1)
	v_mul_f64 v[118:119], v[5:6], v[19:20]
	v_mul_f64 v[19:20], v[7:8], v[19:20]
	s_waitcnt vmcnt(56)
	v_fma_f64 v[105:106], v[9:10], v[120:121], -v[105:106]
	v_add_f64 v[15:16], v[15:16], v[33:34]
	v_fma_f64 v[33:34], v[11:12], v[120:121], v[107:108]
	v_add_f64 v[13:14], v[13:14], v[27:28]
	s_clause 0x2
	buffer_load_dword v112, off, s[0:3], 0 offset:684
	buffer_load_dword v28, off, s[0:3], 0 offset:660
	;; [unrolled: 1-line block ×3, first 2 shown]
	ds_read_b128 v[9:12], v72 offset:1360
	s_waitcnt vmcnt(58) lgkmcnt(1)
	v_mul_f64 v[107:108], v[1:2], v[37:38]
	v_mul_f64 v[37:38], v[3:4], v[37:38]
	s_waitcnt vmcnt(56)
	v_fma_f64 v[19:20], v[5:6], v[25:26], -v[19:20]
	v_fma_f64 v[25:26], v[7:8], v[25:26], v[118:119]
	v_add_f64 v[15:16], v[15:16], v[105:106]
	v_add_f64 v[13:14], v[13:14], v[33:34]
	s_clause 0x4
	buffer_load_dword v34, off, s[0:3], 0 offset:700
	buffer_load_dword v105, off, s[0:3], 0 offset:712
	;; [unrolled: 1-line block ×5, first 2 shown]
	ds_read_b128 v[5:8], v72 offset:1376
	s_waitcnt vmcnt(57) lgkmcnt(1)
	v_mul_f64 v[120:121], v[9:10], v[23:24]
	v_mul_f64 v[23:24], v[11:12], v[23:24]
	s_waitcnt vmcnt(56)
	v_fma_f64 v[37:38], v[1:2], v[115:116], -v[37:38]
	v_add_f64 v[15:16], v[15:16], v[19:20]
	v_fma_f64 v[19:20], v[3:4], v[115:116], v[107:108]
	v_add_f64 v[13:14], v[13:14], v[25:26]
	s_clause 0x2
	buffer_load_dword v106, off, s[0:3], 0 offset:716
	buffer_load_dword v26, off, s[0:3], 0 offset:692
	;; [unrolled: 1-line block ×3, first 2 shown]
	s_waitcnt vmcnt(58) lgkmcnt(0)
	v_mul_f64 v[107:108], v[5:6], v[45:46]
	v_mul_f64 v[45:46], v[7:8], v[45:46]
	ds_read_b128 v[1:4], v72 offset:1392
	s_waitcnt vmcnt(56)
	v_fma_f64 v[23:24], v[9:10], v[31:32], -v[23:24]
	v_fma_f64 v[31:32], v[11:12], v[31:32], v[120:121]
	v_add_f64 v[15:16], v[15:16], v[37:38]
	v_add_f64 v[13:14], v[13:14], v[19:20]
	s_clause 0x4
	buffer_load_dword v20, off, s[0:3], 0 offset:732
	buffer_load_dword v37, off, s[0:3], 0 offset:744
	;; [unrolled: 1-line block ×5, first 2 shown]
	ds_read_b128 v[9:12], v72 offset:1408
	s_waitcnt vmcnt(57) lgkmcnt(1)
	v_mul_f64 v[121:122], v[1:2], v[29:30]
	v_mul_f64 v[29:30], v[3:4], v[29:30]
	s_waitcnt vmcnt(56)
	v_fma_f64 v[45:46], v[5:6], v[101:102], -v[45:46]
	v_add_f64 v[15:16], v[15:16], v[23:24]
	v_fma_f64 v[23:24], v[7:8], v[101:102], v[107:108]
	v_add_f64 v[13:14], v[13:14], v[31:32]
	s_clause 0x2
	buffer_load_dword v38, off, s[0:3], 0 offset:748
	buffer_load_dword v32, off, s[0:3], 0 offset:724
	;; [unrolled: 1-line block ×3, first 2 shown]
	s_waitcnt vmcnt(58) lgkmcnt(0)
	v_mul_f64 v[101:102], v[9:10], v[51:52]
	v_mul_f64 v[51:52], v[11:12], v[51:52]
	ds_read_b128 v[5:8], v72 offset:1424
	s_waitcnt vmcnt(56)
	v_fma_f64 v[29:30], v[1:2], v[41:42], -v[29:30]
	v_fma_f64 v[41:42], v[3:4], v[41:42], v[121:122]
	v_add_f64 v[15:16], v[15:16], v[45:46]
	v_add_f64 v[13:14], v[13:14], v[23:24]
	s_clause 0x4
	buffer_load_dword v24, off, s[0:3], 0 offset:764
	buffer_load_dword v45, off, s[0:3], 0 offset:776
	buffer_load_dword v107, off, s[0:3], 0 offset:768
	buffer_load_dword v23, off, s[0:3], 0 offset:760
	buffer_load_dword v116, off, s[0:3], 0 offset:740
	ds_read_b128 v[1:4], v72 offset:1440
	s_waitcnt vmcnt(57) lgkmcnt(1)
	v_mul_f64 v[121:122], v[5:6], v[35:36]
	v_mul_f64 v[35:36], v[7:8], v[35:36]
	s_waitcnt vmcnt(56)
	v_fma_f64 v[51:52], v[9:10], v[53:54], -v[51:52]
	v_add_f64 v[15:16], v[15:16], v[29:30]
	v_fma_f64 v[29:30], v[11:12], v[53:54], v[101:102]
	v_add_f64 v[13:14], v[13:14], v[41:42]
	s_clause 0x2
	buffer_load_dword v46, off, s[0:3], 0 offset:780
	buffer_load_dword v42, off, s[0:3], 0 offset:756
	buffer_load_dword v41, off, s[0:3], 0 offset:752
	ds_read_b128 v[9:12], v72 offset:1456
	s_waitcnt vmcnt(58) lgkmcnt(1)
	v_mul_f64 v[53:54], v[1:2], v[77:78]
	v_mul_f64 v[77:78], v[3:4], v[77:78]
	s_waitcnt vmcnt(56)
	v_fma_f64 v[35:36], v[5:6], v[39:40], -v[35:36]
	v_fma_f64 v[39:40], v[7:8], v[39:40], v[121:122]
	v_add_f64 v[15:16], v[15:16], v[51:52]
	v_add_f64 v[13:14], v[13:14], v[29:30]
	s_clause 0x4
	buffer_load_dword v30, off, s[0:3], 0 offset:796
	buffer_load_dword v51, off, s[0:3], 0 offset:808
	buffer_load_dword v101, off, s[0:3], 0 offset:800
	buffer_load_dword v29, off, s[0:3], 0 offset:792
	buffer_load_dword v108, off, s[0:3], 0 offset:772
	ds_read_b128 v[5:8], v72 offset:1472
	s_waitcnt vmcnt(57) lgkmcnt(1)
	v_mul_f64 v[121:122], v[9:10], v[43:44]
	v_mul_f64 v[43:44], v[11:12], v[43:44]
	s_waitcnt vmcnt(56)
	v_fma_f64 v[77:78], v[1:2], v[79:80], -v[77:78]
	v_add_f64 v[15:16], v[15:16], v[35:36]
	v_fma_f64 v[35:36], v[3:4], v[79:80], v[53:54]
	v_add_f64 v[13:14], v[13:14], v[39:40]
	s_clause 0x2
	buffer_load_dword v52, off, s[0:3], 0 offset:812
	buffer_load_dword v40, off, s[0:3], 0 offset:788
	buffer_load_dword v39, off, s[0:3], 0 offset:784
	ds_read_b128 v[1:4], v72 offset:1488
	s_waitcnt vmcnt(58) lgkmcnt(1)
	v_mul_f64 v[79:80], v[7:8], v[91:92]
	v_mul_f64 v[53:54], v[5:6], v[91:92]
	;; [unrolled: 28-line block ×4, first 2 shown]
	s_waitcnt vmcnt(56)
	v_fma_f64 v[57:58], v[5:6], v[89:90], -v[57:58]
	v_add_f64 v[15:16], v[15:16], v[55:56]
	v_fma_f64 v[55:56], v[7:8], v[89:90], v[121:122]
	v_add_f64 v[13:14], v[13:14], v[49:50]
	s_clause 0x4
	buffer_load_dword v50, off, s[0:3], 0 offset:892
	buffer_load_dword v89, off, s[0:3], 0 offset:904
	;; [unrolled: 1-line block ×5, first 2 shown]
	ds_read_b128 v[5:8], v72 offset:1568
	s_waitcnt vmcnt(57) lgkmcnt(1)
	v_mul_f64 v[121:122], v[9:10], v[21:22]
	v_mul_f64 v[21:22], v[11:12], v[21:22]
	s_waitcnt vmcnt(56)
	v_fma_f64 v[103:104], v[1:2], v[113:114], -v[103:104]
	v_fma_f64 v[53:54], v[3:4], v[113:114], v[53:54]
	v_add_f64 v[15:16], v[15:16], v[57:58]
	v_add_f64 v[13:14], v[13:14], v[55:56]
	s_clause 0x2
	buffer_load_dword v90, off, s[0:3], 0 offset:908
	buffer_load_dword v56, off, s[0:3], 0 offset:884
	;; [unrolled: 1-line block ×3, first 2 shown]
	ds_read_b128 v[1:4], v72 offset:1584
	s_waitcnt vmcnt(58) lgkmcnt(1)
	v_mul_f64 v[57:58], v[5:6], v[111:112]
	v_mul_f64 v[111:112], v[7:8], v[111:112]
	s_waitcnt vmcnt(56)
	v_fma_f64 v[21:22], v[9:10], v[27:28], -v[21:22]
	v_fma_f64 v[27:28], v[11:12], v[27:28], v[121:122]
	v_add_f64 v[15:16], v[15:16], v[103:104]
	v_add_f64 v[13:14], v[13:14], v[53:54]
	s_clause 0x2
	buffer_load_dword v54, off, s[0:3], 0 offset:924
	buffer_load_dword v53, off, s[0:3], 0 offset:920
	;; [unrolled: 1-line block ×3, first 2 shown]
	ds_read_b128 v[9:12], v72 offset:1600
	s_waitcnt vmcnt(55) lgkmcnt(1)
	v_mul_f64 v[103:104], v[1:2], v[33:34]
	v_mul_f64 v[33:34], v[3:4], v[33:34]
	s_waitcnt vmcnt(54)
	v_fma_f64 v[111:112], v[5:6], v[117:118], -v[111:112]
	v_add_f64 v[15:16], v[15:16], v[21:22]
	v_fma_f64 v[21:22], v[7:8], v[117:118], v[57:58]
	v_add_f64 v[13:14], v[13:14], v[27:28]
	s_clause 0x1
	buffer_load_dword v28, off, s[0:3], 0 offset:916
	buffer_load_dword v27, off, s[0:3], 0 offset:912
	ds_read_b128 v[5:8], v72 offset:1616
	s_waitcnt vmcnt(55) lgkmcnt(1)
	v_mul_f64 v[57:58], v[9:10], v[105:106]
	v_mul_f64 v[105:106], v[11:12], v[105:106]
	s_waitcnt vmcnt(53)
	v_fma_f64 v[33:34], v[1:2], v[25:26], -v[33:34]
	v_fma_f64 v[25:26], v[3:4], v[25:26], v[103:104]
	ds_read_b128 v[1:4], v72 offset:1632
	v_add_f64 v[15:16], v[15:16], v[111:112]
	v_add_f64 v[13:14], v[13:14], v[21:22]
	s_waitcnt vmcnt(49) lgkmcnt(1)
	v_mul_f64 v[21:22], v[5:6], v[19:20]
	v_mul_f64 v[19:20], v[7:8], v[19:20]
	s_waitcnt vmcnt(48)
	v_fma_f64 v[103:104], v[9:10], v[119:120], -v[105:106]
	v_add_f64 v[15:16], v[15:16], v[33:34]
	v_fma_f64 v[33:34], v[11:12], v[119:120], v[57:58]
	v_add_f64 v[13:14], v[13:14], v[25:26]
	s_clause 0x3
	buffer_load_dword v25, off, s[0:3], 0 offset:80
	buffer_load_dword v26, off, s[0:3], 0 offset:84
	;; [unrolled: 1-line block ×4, first 2 shown]
	ds_read_b128 v[9:12], v72 offset:1648
	s_waitcnt vmcnt(51) lgkmcnt(1)
	v_mul_f64 v[105:106], v[1:2], v[37:38]
	v_mul_f64 v[37:38], v[3:4], v[37:38]
	s_waitcnt vmcnt(49)
	v_fma_f64 v[19:20], v[5:6], v[31:32], -v[19:20]
	v_fma_f64 v[21:22], v[7:8], v[31:32], v[21:22]
	ds_read_b128 v[5:8], v72 offset:1664
	v_add_f64 v[15:16], v[15:16], v[103:104]
	v_add_f64 v[13:14], v[13:14], v[33:34]
	s_waitcnt vmcnt(45) lgkmcnt(1)
	v_mul_f64 v[31:32], v[9:10], v[23:24]
	v_mul_f64 v[23:24], v[11:12], v[23:24]
	s_waitcnt vmcnt(44)
	v_fma_f64 v[33:34], v[1:2], v[115:116], -v[37:38]
	v_add_f64 v[15:16], v[15:16], v[19:20]
	v_fma_f64 v[19:20], v[3:4], v[115:116], v[105:106]
	v_add_f64 v[13:14], v[13:14], v[21:22]
	ds_read_b128 v[1:4], v72 offset:1680
	s_waitcnt vmcnt(43) lgkmcnt(1)
	v_mul_f64 v[37:38], v[7:8], v[45:46]
	v_mul_f64 v[21:22], v[5:6], v[45:46]
	s_waitcnt vmcnt(41)
	v_fma_f64 v[23:24], v[9:10], v[41:42], -v[23:24]
	v_fma_f64 v[31:32], v[11:12], v[41:42], v[31:32]
	ds_read_b128 v[9:12], v72 offset:1696
	v_add_f64 v[15:16], v[15:16], v[33:34]
	v_add_f64 v[13:14], v[13:14], v[19:20]
	s_waitcnt vmcnt(37) lgkmcnt(1)
	v_mul_f64 v[19:20], v[1:2], v[29:30]
	v_mul_f64 v[29:30], v[3:4], v[29:30]
	s_waitcnt vmcnt(36)
	v_fma_f64 v[33:34], v[5:6], v[107:108], -v[37:38]
	v_fma_f64 v[21:22], v[7:8], v[107:108], v[21:22]
	ds_read_b128 v[5:8], v72 offset:1712
	v_add_f64 v[15:16], v[15:16], v[23:24]
	v_add_f64 v[13:14], v[13:14], v[31:32]
	;; [unrolled: 9-line block ×3, first 2 shown]
	s_waitcnt vmcnt(29) lgkmcnt(1)
	v_mul_f64 v[33:34], v[7:8], v[35:36]
	s_waitcnt vmcnt(28)
	v_fma_f64 v[31:32], v[9:10], v[101:102], -v[31:32]
	v_mul_f64 v[21:22], v[5:6], v[35:36]
	v_fma_f64 v[23:24], v[11:12], v[101:102], v[23:24]
	ds_read_b128 v[9:12], v72 offset:1744
	v_add_f64 v[15:16], v[15:16], v[29:30]
	v_add_f64 v[13:14], v[13:14], v[19:20]
	s_waitcnt vmcnt(27) lgkmcnt(1)
	v_mul_f64 v[29:30], v[3:4], v[77:78]
	v_mul_f64 v[19:20], v[1:2], v[77:78]
	s_waitcnt vmcnt(25)
	v_fma_f64 v[33:34], v[5:6], v[47:48], -v[33:34]
	v_fma_f64 v[21:22], v[7:8], v[47:48], v[21:22]
	ds_read_b128 v[5:8], v72 offset:1760
	v_add_f64 v[15:16], v[15:16], v[31:32]
	v_add_f64 v[13:14], v[13:14], v[23:24]
	s_waitcnt vmcnt(21) lgkmcnt(1)
	v_mul_f64 v[31:32], v[11:12], v[43:44]
	s_waitcnt vmcnt(20)
	v_fma_f64 v[29:30], v[1:2], v[91:92], -v[29:30]
	v_mul_f64 v[23:24], v[9:10], v[43:44]
	v_fma_f64 v[19:20], v[3:4], v[91:92], v[19:20]
	ds_read_b128 v[1:4], v72 offset:1776
	v_add_f64 v[15:16], v[15:16], v[33:34]
	v_add_f64 v[13:14], v[13:14], v[21:22]
	s_waitcnt vmcnt(19) lgkmcnt(1)
	v_mul_f64 v[33:34], v[7:8], v[79:80]
	v_mul_f64 v[21:22], v[5:6], v[79:80]
	s_waitcnt vmcnt(17)
	v_fma_f64 v[31:32], v[9:10], v[17:18], -v[31:32]
	v_fma_f64 v[17:18], v[11:12], v[17:18], v[23:24]
	ds_read_b128 v[9:12], v72 offset:1792
	v_add_f64 v[15:16], v[15:16], v[29:30]
	v_add_f64 v[13:14], v[13:14], v[19:20]
	s_waitcnt vmcnt(13) lgkmcnt(1)
	v_mul_f64 v[23:24], v[3:4], v[49:50]
	s_waitcnt vmcnt(12)
	v_fma_f64 v[29:30], v[5:6], v[99:100], -v[33:34]
	v_mul_f64 v[19:20], v[1:2], v[49:50]
	v_fma_f64 v[21:22], v[7:8], v[99:100], v[21:22]
	ds_read_b128 v[5:8], v72 offset:1808
	v_add_f64 v[15:16], v[15:16], v[31:32]
	v_add_f64 v[13:14], v[13:14], v[17:18]
	s_waitcnt vmcnt(11) lgkmcnt(1)
	v_mul_f64 v[31:32], v[11:12], v[89:90]
	v_mul_f64 v[17:18], v[9:10], v[89:90]
	s_waitcnt vmcnt(9)
	v_fma_f64 v[1:2], v[1:2], v[55:56], -v[23:24]
	v_fma_f64 v[3:4], v[3:4], v[55:56], v[19:20]
	v_add_f64 v[15:16], v[15:16], v[29:30]
	v_add_f64 v[13:14], v[13:14], v[21:22]
	s_waitcnt vmcnt(7) lgkmcnt(0)
	v_mul_f64 v[21:22], v[7:8], v[53:54]
	s_waitcnt vmcnt(6)
	v_fma_f64 v[9:10], v[9:10], v[109:110], -v[31:32]
	v_mul_f64 v[19:20], v[5:6], v[53:54]
	v_fma_f64 v[11:12], v[11:12], v[109:110], v[17:18]
	v_add_f64 v[1:2], v[15:16], v[1:2]
	v_add_f64 v[3:4], v[13:14], v[3:4]
	s_waitcnt vmcnt(4)
	v_fma_f64 v[5:6], v[5:6], v[27:28], -v[21:22]
	v_fma_f64 v[7:8], v[7:8], v[27:28], v[19:20]
	v_add_f64 v[1:2], v[1:2], v[9:10]
	v_add_f64 v[3:4], v[3:4], v[11:12]
	;; [unrolled: 1-line block ×4, first 2 shown]
	s_waitcnt vmcnt(2)
	v_add_f64 v[1:2], v[25:26], -v[1:2]
	s_waitcnt vmcnt(0)
	v_add_f64 v[3:4], v[57:58], -v[3:4]
	buffer_store_dword v2, off, s[0:3], 0 offset:84
	buffer_store_dword v1, off, s[0:3], 0 offset:80
	;; [unrolled: 1-line block ×4, first 2 shown]
	v_cmpx_lt_u32_e32 3, v0
	s_cbranch_execz .LBB56_349
; %bb.348:
	v_mov_b32_e32 v4, s66
	v_mov_b32_e32 v5, 0
	s_clause 0x3
	buffer_load_dword v1, v4, s[0:3], 0 offen
	buffer_load_dword v2, v4, s[0:3], 0 offen offset:4
	buffer_load_dword v3, v4, s[0:3], 0 offen offset:8
	;; [unrolled: 1-line block ×3, first 2 shown]
	buffer_store_dword v5, off, s[0:3], 0 offset:64
	buffer_store_dword v5, off, s[0:3], 0 offset:68
	;; [unrolled: 1-line block ×4, first 2 shown]
	s_waitcnt vmcnt(0)
	ds_write_b128 v59, v[1:4]
.LBB56_349:
	s_or_b32 exec_lo, exec_lo, s4
	s_waitcnt lgkmcnt(0)
	s_waitcnt_vscnt null, 0x0
	s_barrier
	buffer_gl0_inv
	s_clause 0x37
	buffer_load_dword v17, off, s[0:3], 0 offset:88
	buffer_load_dword v18, off, s[0:3], 0 offset:92
	;; [unrolled: 1-line block ×56, first 2 shown]
	v_mov_b32_e32 v72, 0
	s_mov_b32 s4, exec_lo
	ds_read_b128 v[5:8], v72 offset:976
	s_clause 0x2
	buffer_load_dword v92, off, s[0:3], 0 offset:316
	buffer_load_dword v100, off, s[0:3], 0 offset:292
	;; [unrolled: 1-line block ×3, first 2 shown]
	ds_read_b128 v[1:4], v72 offset:992
	s_clause 0x4
	buffer_load_dword v108, off, s[0:3], 0 offset:332
	buffer_load_dword v109, off, s[0:3], 0 offset:344
	;; [unrolled: 1-line block ×5, first 2 shown]
	ds_read_b128 v[101:104], v72 offset:1008
	s_waitcnt vmcnt(62) lgkmcnt(2)
	v_mul_f64 v[105:106], v[7:8], v[17:18]
	v_mul_f64 v[17:18], v[5:6], v[17:18]
	s_waitcnt vmcnt(60) lgkmcnt(1)
	v_mul_f64 v[112:113], v[3:4], v[13:14]
	v_mul_f64 v[13:14], v[1:2], v[13:14]
	;; [unrolled: 3-line block ×3, first 2 shown]
	v_fma_f64 v[105:106], v[5:6], v[15:16], -v[105:106]
	v_fma_f64 v[15:16], v[7:8], v[15:16], v[17:18]
	s_clause 0x2
	buffer_load_dword v110, off, s[0:3], 0 offset:348
	buffer_load_dword v18, off, s[0:3], 0 offset:324
	;; [unrolled: 1-line block ×3, first 2 shown]
	s_waitcnt vmcnt(57)
	v_fma_f64 v[116:117], v[1:2], v[9:10], -v[112:113]
	ds_read_b128 v[5:8], v72 offset:1024
	v_fma_f64 v[9:10], v[3:4], v[9:10], v[13:14]
	s_waitcnt vmcnt(51)
	v_fma_f64 v[101:102], v[101:102], v[33:34], -v[11:12]
	v_fma_f64 v[33:34], v[103:104], v[33:34], v[114:115]
	v_add_f64 v[105:106], v[105:106], 0
	v_add_f64 v[13:14], v[15:16], 0
	s_clause 0x4
	buffer_load_dword v16, off, s[0:3], 0 offset:364
	buffer_load_dword v113, off, s[0:3], 0 offset:376
	;; [unrolled: 1-line block ×5, first 2 shown]
	s_waitcnt lgkmcnt(0)
	v_mul_f64 v[119:120], v[5:6], v[21:22]
	v_mul_f64 v[21:22], v[7:8], v[21:22]
	ds_read_b128 v[1:4], v72 offset:1040
	s_clause 0x2
	buffer_load_dword v114, off, s[0:3], 0 offset:380
	buffer_load_dword v104, off, s[0:3], 0 offset:356
	;; [unrolled: 1-line block ×3, first 2 shown]
	v_add_f64 v[105:106], v[105:106], v[116:117]
	v_add_f64 v[13:14], v[13:14], v[9:10]
	ds_read_b128 v[9:12], v72 offset:1056
	s_waitcnt vmcnt(58) lgkmcnt(1)
	v_mul_f64 v[115:116], v[1:2], v[25:26]
	v_mul_f64 v[25:26], v[3:4], v[25:26]
	s_waitcnt vmcnt(56)
	v_fma_f64 v[21:22], v[5:6], v[27:28], -v[21:22]
	v_fma_f64 v[27:28], v[7:8], v[27:28], v[119:120]
	s_waitcnt vmcnt(52) lgkmcnt(0)
	v_mul_f64 v[121:122], v[9:10], v[29:30]
	v_add_f64 v[101:102], v[105:106], v[101:102]
	v_add_f64 v[13:14], v[13:14], v[33:34]
	s_clause 0x4
	buffer_load_dword v34, off, s[0:3], 0 offset:396
	buffer_load_dword v105, off, s[0:3], 0 offset:408
	;; [unrolled: 1-line block ×5, first 2 shown]
	v_mul_f64 v[29:30], v[11:12], v[29:30]
	s_waitcnt vmcnt(56)
	v_fma_f64 v[25:26], v[1:2], v[19:20], -v[25:26]
	ds_read_b128 v[5:8], v72 offset:1072
	v_fma_f64 v[19:20], v[3:4], v[19:20], v[115:116]
	v_add_f64 v[21:22], v[101:102], v[21:22]
	v_add_f64 v[13:14], v[13:14], v[27:28]
	s_clause 0x2
	buffer_load_dword v106, off, s[0:3], 0 offset:412
	buffer_load_dword v28, off, s[0:3], 0 offset:388
	;; [unrolled: 1-line block ×3, first 2 shown]
	s_waitcnt vmcnt(58) lgkmcnt(0)
	v_mul_f64 v[101:102], v[5:6], v[35:36]
	v_mul_f64 v[35:36], v[7:8], v[35:36]
	s_waitcnt vmcnt(56)
	v_fma_f64 v[29:30], v[9:10], v[37:38], -v[29:30]
	ds_read_b128 v[1:4], v72 offset:1088
	v_add_f64 v[21:22], v[21:22], v[25:26]
	v_fma_f64 v[25:26], v[11:12], v[37:38], v[121:122]
	v_add_f64 v[13:14], v[13:14], v[19:20]
	s_clause 0x4
	buffer_load_dword v20, off, s[0:3], 0 offset:428
	buffer_load_dword v37, off, s[0:3], 0 offset:440
	;; [unrolled: 1-line block ×5, first 2 shown]
	s_waitcnt vmcnt(57) lgkmcnt(0)
	v_mul_f64 v[116:117], v[1:2], v[39:40]
	v_mul_f64 v[39:40], v[3:4], v[39:40]
	s_waitcnt vmcnt(56)
	v_fma_f64 v[35:36], v[5:6], v[23:24], -v[35:36]
	ds_read_b128 v[9:12], v72 offset:1104
	v_fma_f64 v[23:24], v[7:8], v[23:24], v[101:102]
	v_add_f64 v[21:22], v[21:22], v[29:30]
	v_add_f64 v[13:14], v[13:14], v[25:26]
	s_clause 0x2
	buffer_load_dword v38, off, s[0:3], 0 offset:444
	buffer_load_dword v26, off, s[0:3], 0 offset:420
	;; [unrolled: 1-line block ×3, first 2 shown]
	ds_read_b128 v[5:8], v72 offset:1120
	s_waitcnt vmcnt(58) lgkmcnt(1)
	v_mul_f64 v[29:30], v[9:10], v[43:44]
	v_mul_f64 v[43:44], v[11:12], v[43:44]
	s_waitcnt vmcnt(56)
	v_fma_f64 v[39:40], v[1:2], v[45:46], -v[39:40]
	v_add_f64 v[21:22], v[21:22], v[35:36]
	v_fma_f64 v[35:36], v[3:4], v[45:46], v[116:117]
	v_add_f64 v[13:14], v[13:14], v[23:24]
	s_clause 0x4
	buffer_load_dword v24, off, s[0:3], 0 offset:460
	buffer_load_dword v45, off, s[0:3], 0 offset:472
	;; [unrolled: 1-line block ×5, first 2 shown]
	s_waitcnt vmcnt(57) lgkmcnt(0)
	v_mul_f64 v[122:123], v[5:6], v[47:48]
	v_mul_f64 v[47:48], v[7:8], v[47:48]
	s_waitcnt vmcnt(56)
	v_fma_f64 v[43:44], v[9:10], v[31:32], -v[43:44]
	ds_read_b128 v[1:4], v72 offset:1136
	v_fma_f64 v[29:30], v[11:12], v[31:32], v[29:30]
	s_clause 0x2
	buffer_load_dword v46, off, s[0:3], 0 offset:476
	buffer_load_dword v32, off, s[0:3], 0 offset:452
	;; [unrolled: 1-line block ×3, first 2 shown]
	ds_read_b128 v[9:12], v72 offset:1152
	v_add_f64 v[21:22], v[21:22], v[39:40]
	v_add_f64 v[13:14], v[13:14], v[35:36]
	s_waitcnt vmcnt(58) lgkmcnt(1)
	v_mul_f64 v[39:40], v[3:4], v[51:52]
	s_waitcnt vmcnt(56)
	v_fma_f64 v[47:48], v[5:6], v[53:54], -v[47:48]
	v_mul_f64 v[35:36], v[1:2], v[51:52]
	v_add_f64 v[21:22], v[21:22], v[43:44]
	v_fma_f64 v[43:44], v[7:8], v[53:54], v[122:123]
	v_add_f64 v[13:14], v[13:14], v[29:30]
	s_clause 0x4
	buffer_load_dword v30, off, s[0:3], 0 offset:492
	buffer_load_dword v51, off, s[0:3], 0 offset:504
	;; [unrolled: 1-line block ×5, first 2 shown]
	s_waitcnt vmcnt(57) lgkmcnt(0)
	v_mul_f64 v[122:123], v[9:10], v[55:56]
	v_mul_f64 v[54:55], v[11:12], v[55:56]
	s_waitcnt vmcnt(56)
	v_fma_f64 v[39:40], v[1:2], v[41:42], -v[39:40]
	ds_read_b128 v[5:8], v72 offset:1168
	v_fma_f64 v[35:36], v[3:4], v[41:42], v[35:36]
	s_clause 0x2
	buffer_load_dword v52, off, s[0:3], 0 offset:508
	buffer_load_dword v42, off, s[0:3], 0 offset:484
	;; [unrolled: 1-line block ×3, first 2 shown]
	ds_read_b128 v[1:4], v72 offset:1184
	v_add_f64 v[21:22], v[21:22], v[47:48]
	v_add_f64 v[13:14], v[13:14], v[43:44]
	s_waitcnt vmcnt(58) lgkmcnt(1)
	v_mul_f64 v[47:48], v[7:8], v[77:78]
	s_waitcnt vmcnt(56)
	v_fma_f64 v[55:56], v[9:10], v[79:80], -v[54:55]
	v_mul_f64 v[43:44], v[5:6], v[77:78]
	v_add_f64 v[21:22], v[21:22], v[39:40]
	v_fma_f64 v[39:40], v[11:12], v[79:80], v[122:123]
	v_add_f64 v[13:14], v[13:14], v[35:36]
	s_clause 0x4
	buffer_load_dword v36, off, s[0:3], 0 offset:524
	buffer_load_dword v77, off, s[0:3], 0 offset:536
	;; [unrolled: 1-line block ×5, first 2 shown]
	s_waitcnt vmcnt(57) lgkmcnt(0)
	v_mul_f64 v[122:123], v[1:2], v[89:90]
	v_mul_f64 v[89:90], v[3:4], v[89:90]
	s_waitcnt vmcnt(56)
	v_fma_f64 v[47:48], v[5:6], v[49:50], -v[47:48]
	ds_read_b128 v[9:12], v72 offset:1200
	v_fma_f64 v[43:44], v[7:8], v[49:50], v[43:44]
	v_add_f64 v[21:22], v[21:22], v[55:56]
	v_add_f64 v[13:14], v[13:14], v[39:40]
	s_clause 0x2
	buffer_load_dword v78, off, s[0:3], 0 offset:540
	buffer_load_dword v40, off, s[0:3], 0 offset:516
	;; [unrolled: 1-line block ×3, first 2 shown]
	ds_read_b128 v[5:8], v72 offset:1216
	s_waitcnt vmcnt(58) lgkmcnt(1)
	v_mul_f64 v[55:56], v[11:12], v[91:92]
	s_waitcnt vmcnt(56)
	v_fma_f64 v[89:90], v[1:2], v[99:100], -v[89:90]
	v_mul_f64 v[49:50], v[9:10], v[91:92]
	v_add_f64 v[21:22], v[21:22], v[47:48]
	v_fma_f64 v[47:48], v[3:4], v[99:100], v[122:123]
	v_add_f64 v[13:14], v[13:14], v[43:44]
	s_clause 0x4
	buffer_load_dword v44, off, s[0:3], 0 offset:556
	buffer_load_dword v91, off, s[0:3], 0 offset:568
	;; [unrolled: 1-line block ×5, first 2 shown]
	s_waitcnt vmcnt(57) lgkmcnt(0)
	v_mul_f64 v[122:123], v[5:6], v[107:108]
	v_mul_f64 v[107:108], v[7:8], v[107:108]
	s_waitcnt vmcnt(56)
	v_fma_f64 v[55:56], v[9:10], v[57:58], -v[55:56]
	ds_read_b128 v[1:4], v72 offset:1232
	v_fma_f64 v[49:50], v[11:12], v[57:58], v[49:50]
	v_add_f64 v[21:22], v[21:22], v[89:90]
	v_add_f64 v[13:14], v[13:14], v[47:48]
	s_clause 0x2
	buffer_load_dword v92, off, s[0:3], 0 offset:572
	buffer_load_dword v48, off, s[0:3], 0 offset:548
	;; [unrolled: 1-line block ×3, first 2 shown]
	ds_read_b128 v[9:12], v72 offset:1248
	s_waitcnt vmcnt(58) lgkmcnt(1)
	v_mul_f64 v[89:90], v[3:4], v[109:110]
	v_mul_f64 v[57:58], v[1:2], v[109:110]
	s_waitcnt vmcnt(56)
	v_fma_f64 v[107:108], v[5:6], v[17:18], -v[107:108]
	v_fma_f64 v[17:18], v[7:8], v[17:18], v[122:123]
	v_add_f64 v[21:22], v[21:22], v[55:56]
	v_add_f64 v[13:14], v[13:14], v[49:50]
	s_clause 0x4
	buffer_load_dword v50, off, s[0:3], 0 offset:588
	buffer_load_dword v55, off, s[0:3], 0 offset:600
	;; [unrolled: 1-line block ×5, first 2 shown]
	ds_read_b128 v[5:8], v72 offset:1264
	s_waitcnt vmcnt(57) lgkmcnt(1)
	v_mul_f64 v[122:123], v[9:10], v[15:16]
	v_mul_f64 v[15:16], v[11:12], v[15:16]
	s_waitcnt vmcnt(56)
	v_fma_f64 v[89:90], v[1:2], v[111:112], -v[89:90]
	v_fma_f64 v[57:58], v[3:4], v[111:112], v[57:58]
	v_add_f64 v[21:22], v[21:22], v[107:108]
	v_add_f64 v[13:14], v[13:14], v[17:18]
	s_clause 0x2
	buffer_load_dword v56, off, s[0:3], 0 offset:604
	buffer_load_dword v18, off, s[0:3], 0 offset:580
	buffer_load_dword v17, off, s[0:3], 0 offset:576
	s_waitcnt vmcnt(58) lgkmcnt(0)
	v_mul_f64 v[111:112], v[7:8], v[113:114]
	ds_read_b128 v[1:4], v72 offset:1280
	v_mul_f64 v[107:108], v[5:6], v[113:114]
	s_waitcnt vmcnt(56)
	v_fma_f64 v[15:16], v[9:10], v[103:104], -v[15:16]
	v_add_f64 v[21:22], v[21:22], v[89:90]
	v_fma_f64 v[89:90], v[11:12], v[103:104], v[122:123]
	v_add_f64 v[13:14], v[13:14], v[57:58]
	s_clause 0x4
	buffer_load_dword v58, off, s[0:3], 0 offset:620
	buffer_load_dword v103, off, s[0:3], 0 offset:632
	buffer_load_dword v113, off, s[0:3], 0 offset:624
	buffer_load_dword v57, off, s[0:3], 0 offset:616
	buffer_load_dword v110, off, s[0:3], 0 offset:596
	ds_read_b128 v[9:12], v72 offset:1296
	s_waitcnt vmcnt(57) lgkmcnt(1)
	v_mul_f64 v[122:123], v[1:2], v[33:34]
	v_mul_f64 v[33:34], v[3:4], v[33:34]
	s_waitcnt vmcnt(56)
	v_fma_f64 v[111:112], v[5:6], v[118:119], -v[111:112]
	v_add_f64 v[15:16], v[21:22], v[15:16]
	v_fma_f64 v[21:22], v[7:8], v[118:119], v[107:108]
	v_add_f64 v[13:14], v[13:14], v[89:90]
	s_clause 0x2
	buffer_load_dword v104, off, s[0:3], 0 offset:636
	buffer_load_dword v90, off, s[0:3], 0 offset:612
	;; [unrolled: 1-line block ×3, first 2 shown]
	ds_read_b128 v[5:8], v72 offset:1312
	s_waitcnt vmcnt(58) lgkmcnt(1)
	v_mul_f64 v[107:108], v[9:10], v[105:106]
	v_mul_f64 v[105:106], v[11:12], v[105:106]
	s_waitcnt vmcnt(56)
	v_fma_f64 v[33:34], v[1:2], v[27:28], -v[33:34]
	v_fma_f64 v[27:28], v[3:4], v[27:28], v[122:123]
	v_add_f64 v[15:16], v[15:16], v[111:112]
	v_add_f64 v[13:14], v[13:14], v[21:22]
	s_clause 0x4
	buffer_load_dword v22, off, s[0:3], 0 offset:652
	buffer_load_dword v111, off, s[0:3], 0 offset:664
	buffer_load_dword v117, off, s[0:3], 0 offset:656
	buffer_load_dword v21, off, s[0:3], 0 offset:648
	buffer_load_dword v114, off, s[0:3], 0 offset:628
	ds_read_b128 v[1:4], v72 offset:1328
	s_waitcnt vmcnt(57) lgkmcnt(1)
	v_mul_f64 v[118:119], v[5:6], v[19:20]
	v_mul_f64 v[19:20], v[7:8], v[19:20]
	s_waitcnt vmcnt(56)
	v_fma_f64 v[105:106], v[9:10], v[120:121], -v[105:106]
	v_add_f64 v[15:16], v[15:16], v[33:34]
	v_fma_f64 v[33:34], v[11:12], v[120:121], v[107:108]
	v_add_f64 v[13:14], v[13:14], v[27:28]
	s_clause 0x2
	buffer_load_dword v112, off, s[0:3], 0 offset:668
	buffer_load_dword v28, off, s[0:3], 0 offset:644
	;; [unrolled: 1-line block ×3, first 2 shown]
	ds_read_b128 v[9:12], v72 offset:1344
	s_waitcnt vmcnt(58) lgkmcnt(1)
	v_mul_f64 v[107:108], v[1:2], v[37:38]
	v_mul_f64 v[37:38], v[3:4], v[37:38]
	s_waitcnt vmcnt(56)
	v_fma_f64 v[19:20], v[5:6], v[25:26], -v[19:20]
	v_fma_f64 v[25:26], v[7:8], v[25:26], v[118:119]
	v_add_f64 v[15:16], v[15:16], v[105:106]
	v_add_f64 v[13:14], v[13:14], v[33:34]
	s_clause 0x4
	buffer_load_dword v34, off, s[0:3], 0 offset:684
	buffer_load_dword v105, off, s[0:3], 0 offset:696
	;; [unrolled: 1-line block ×5, first 2 shown]
	ds_read_b128 v[5:8], v72 offset:1360
	s_waitcnt vmcnt(57) lgkmcnt(1)
	v_mul_f64 v[120:121], v[9:10], v[23:24]
	v_mul_f64 v[23:24], v[11:12], v[23:24]
	s_waitcnt vmcnt(56)
	v_fma_f64 v[37:38], v[1:2], v[115:116], -v[37:38]
	v_add_f64 v[15:16], v[15:16], v[19:20]
	v_fma_f64 v[19:20], v[3:4], v[115:116], v[107:108]
	v_add_f64 v[13:14], v[13:14], v[25:26]
	s_clause 0x2
	buffer_load_dword v106, off, s[0:3], 0 offset:700
	buffer_load_dword v26, off, s[0:3], 0 offset:676
	;; [unrolled: 1-line block ×3, first 2 shown]
	s_waitcnt vmcnt(58) lgkmcnt(0)
	v_mul_f64 v[107:108], v[5:6], v[45:46]
	v_mul_f64 v[45:46], v[7:8], v[45:46]
	ds_read_b128 v[1:4], v72 offset:1376
	s_waitcnt vmcnt(56)
	v_fma_f64 v[23:24], v[9:10], v[31:32], -v[23:24]
	v_fma_f64 v[31:32], v[11:12], v[31:32], v[120:121]
	v_add_f64 v[15:16], v[15:16], v[37:38]
	v_add_f64 v[13:14], v[13:14], v[19:20]
	s_clause 0x4
	buffer_load_dword v20, off, s[0:3], 0 offset:716
	buffer_load_dword v37, off, s[0:3], 0 offset:728
	;; [unrolled: 1-line block ×5, first 2 shown]
	ds_read_b128 v[9:12], v72 offset:1392
	s_waitcnt vmcnt(57) lgkmcnt(1)
	v_mul_f64 v[121:122], v[1:2], v[29:30]
	v_mul_f64 v[29:30], v[3:4], v[29:30]
	s_waitcnt vmcnt(56)
	v_fma_f64 v[45:46], v[5:6], v[101:102], -v[45:46]
	v_add_f64 v[15:16], v[15:16], v[23:24]
	v_fma_f64 v[23:24], v[7:8], v[101:102], v[107:108]
	v_add_f64 v[13:14], v[13:14], v[31:32]
	s_clause 0x2
	buffer_load_dword v38, off, s[0:3], 0 offset:732
	buffer_load_dword v32, off, s[0:3], 0 offset:708
	;; [unrolled: 1-line block ×3, first 2 shown]
	s_waitcnt vmcnt(58) lgkmcnt(0)
	v_mul_f64 v[101:102], v[9:10], v[51:52]
	v_mul_f64 v[51:52], v[11:12], v[51:52]
	ds_read_b128 v[5:8], v72 offset:1408
	s_waitcnt vmcnt(56)
	v_fma_f64 v[29:30], v[1:2], v[41:42], -v[29:30]
	v_fma_f64 v[41:42], v[3:4], v[41:42], v[121:122]
	v_add_f64 v[15:16], v[15:16], v[45:46]
	v_add_f64 v[13:14], v[13:14], v[23:24]
	s_clause 0x4
	buffer_load_dword v24, off, s[0:3], 0 offset:748
	buffer_load_dword v45, off, s[0:3], 0 offset:760
	buffer_load_dword v107, off, s[0:3], 0 offset:752
	buffer_load_dword v23, off, s[0:3], 0 offset:744
	buffer_load_dword v116, off, s[0:3], 0 offset:724
	ds_read_b128 v[1:4], v72 offset:1424
	s_waitcnt vmcnt(57) lgkmcnt(1)
	v_mul_f64 v[121:122], v[5:6], v[35:36]
	v_mul_f64 v[35:36], v[7:8], v[35:36]
	s_waitcnt vmcnt(56)
	v_fma_f64 v[51:52], v[9:10], v[53:54], -v[51:52]
	v_add_f64 v[15:16], v[15:16], v[29:30]
	v_fma_f64 v[29:30], v[11:12], v[53:54], v[101:102]
	v_add_f64 v[13:14], v[13:14], v[41:42]
	s_clause 0x2
	buffer_load_dword v46, off, s[0:3], 0 offset:764
	buffer_load_dword v42, off, s[0:3], 0 offset:740
	buffer_load_dword v41, off, s[0:3], 0 offset:736
	ds_read_b128 v[9:12], v72 offset:1440
	s_waitcnt vmcnt(58) lgkmcnt(1)
	v_mul_f64 v[53:54], v[1:2], v[77:78]
	v_mul_f64 v[77:78], v[3:4], v[77:78]
	s_waitcnt vmcnt(56)
	v_fma_f64 v[35:36], v[5:6], v[39:40], -v[35:36]
	v_fma_f64 v[39:40], v[7:8], v[39:40], v[121:122]
	v_add_f64 v[15:16], v[15:16], v[51:52]
	v_add_f64 v[13:14], v[13:14], v[29:30]
	s_clause 0x4
	buffer_load_dword v30, off, s[0:3], 0 offset:780
	buffer_load_dword v51, off, s[0:3], 0 offset:792
	buffer_load_dword v101, off, s[0:3], 0 offset:784
	buffer_load_dword v29, off, s[0:3], 0 offset:776
	buffer_load_dword v108, off, s[0:3], 0 offset:756
	ds_read_b128 v[5:8], v72 offset:1456
	s_waitcnt vmcnt(57) lgkmcnt(1)
	v_mul_f64 v[121:122], v[9:10], v[43:44]
	v_mul_f64 v[43:44], v[11:12], v[43:44]
	s_waitcnt vmcnt(56)
	v_fma_f64 v[77:78], v[1:2], v[79:80], -v[77:78]
	v_add_f64 v[15:16], v[15:16], v[35:36]
	v_fma_f64 v[35:36], v[3:4], v[79:80], v[53:54]
	v_add_f64 v[13:14], v[13:14], v[39:40]
	s_clause 0x2
	buffer_load_dword v52, off, s[0:3], 0 offset:796
	buffer_load_dword v40, off, s[0:3], 0 offset:772
	buffer_load_dword v39, off, s[0:3], 0 offset:768
	ds_read_b128 v[1:4], v72 offset:1472
	s_waitcnt vmcnt(58) lgkmcnt(1)
	v_mul_f64 v[79:80], v[7:8], v[91:92]
	v_mul_f64 v[53:54], v[5:6], v[91:92]
	;; [unrolled: 28-line block ×4, first 2 shown]
	s_waitcnt vmcnt(56)
	v_fma_f64 v[57:58], v[5:6], v[89:90], -v[57:58]
	v_add_f64 v[15:16], v[15:16], v[55:56]
	v_fma_f64 v[55:56], v[7:8], v[89:90], v[121:122]
	v_add_f64 v[13:14], v[13:14], v[49:50]
	s_clause 0x4
	buffer_load_dword v50, off, s[0:3], 0 offset:876
	buffer_load_dword v89, off, s[0:3], 0 offset:888
	;; [unrolled: 1-line block ×5, first 2 shown]
	ds_read_b128 v[5:8], v72 offset:1552
	s_waitcnt vmcnt(57) lgkmcnt(1)
	v_mul_f64 v[121:122], v[9:10], v[21:22]
	v_mul_f64 v[21:22], v[11:12], v[21:22]
	s_waitcnt vmcnt(56)
	v_fma_f64 v[103:104], v[1:2], v[113:114], -v[103:104]
	v_fma_f64 v[53:54], v[3:4], v[113:114], v[53:54]
	v_add_f64 v[15:16], v[15:16], v[57:58]
	v_add_f64 v[13:14], v[13:14], v[55:56]
	s_clause 0x2
	buffer_load_dword v90, off, s[0:3], 0 offset:892
	buffer_load_dword v56, off, s[0:3], 0 offset:868
	;; [unrolled: 1-line block ×3, first 2 shown]
	ds_read_b128 v[1:4], v72 offset:1568
	s_waitcnt vmcnt(58) lgkmcnt(1)
	v_mul_f64 v[57:58], v[5:6], v[111:112]
	v_mul_f64 v[111:112], v[7:8], v[111:112]
	s_waitcnt vmcnt(56)
	v_fma_f64 v[21:22], v[9:10], v[27:28], -v[21:22]
	v_fma_f64 v[27:28], v[11:12], v[27:28], v[121:122]
	v_add_f64 v[15:16], v[15:16], v[103:104]
	v_add_f64 v[13:14], v[13:14], v[53:54]
	s_clause 0x4
	buffer_load_dword v54, off, s[0:3], 0 offset:908
	buffer_load_dword v103, off, s[0:3], 0 offset:920
	;; [unrolled: 1-line block ×5, first 2 shown]
	ds_read_b128 v[9:12], v72 offset:1584
	s_waitcnt vmcnt(57) lgkmcnt(1)
	v_mul_f64 v[121:122], v[1:2], v[33:34]
	v_mul_f64 v[33:34], v[3:4], v[33:34]
	s_waitcnt vmcnt(56)
	v_fma_f64 v[111:112], v[5:6], v[117:118], -v[111:112]
	v_add_f64 v[15:16], v[15:16], v[21:22]
	v_fma_f64 v[21:22], v[7:8], v[117:118], v[57:58]
	v_add_f64 v[13:14], v[13:14], v[27:28]
	s_clause 0x2
	buffer_load_dword v104, off, s[0:3], 0 offset:924
	buffer_load_dword v28, off, s[0:3], 0 offset:900
	;; [unrolled: 1-line block ×3, first 2 shown]
	ds_read_b128 v[5:8], v72 offset:1600
	buffer_load_dword v114, off, s[0:3], 0 offset:916
	s_waitcnt vmcnt(59) lgkmcnt(1)
	v_mul_f64 v[57:58], v[9:10], v[105:106]
	v_mul_f64 v[105:106], v[11:12], v[105:106]
	s_waitcnt vmcnt(57)
	v_fma_f64 v[33:34], v[1:2], v[25:26], -v[33:34]
	v_fma_f64 v[25:26], v[3:4], v[25:26], v[121:122]
	ds_read_b128 v[1:4], v72 offset:1616
	v_add_f64 v[15:16], v[15:16], v[111:112]
	v_add_f64 v[13:14], v[13:14], v[21:22]
	s_waitcnt vmcnt(53) lgkmcnt(1)
	v_mul_f64 v[21:22], v[5:6], v[19:20]
	v_mul_f64 v[19:20], v[7:8], v[19:20]
	s_waitcnt vmcnt(52)
	v_fma_f64 v[105:106], v[9:10], v[119:120], -v[105:106]
	v_add_f64 v[15:16], v[15:16], v[33:34]
	v_fma_f64 v[33:34], v[11:12], v[119:120], v[57:58]
	v_add_f64 v[13:14], v[13:14], v[25:26]
	ds_read_b128 v[9:12], v72 offset:1632
	s_waitcnt vmcnt(51) lgkmcnt(1)
	v_mul_f64 v[25:26], v[1:2], v[37:38]
	v_mul_f64 v[37:38], v[3:4], v[37:38]
	s_waitcnt vmcnt(49)
	v_fma_f64 v[19:20], v[5:6], v[31:32], -v[19:20]
	v_fma_f64 v[21:22], v[7:8], v[31:32], v[21:22]
	v_add_f64 v[15:16], v[15:16], v[105:106]
	v_add_f64 v[13:14], v[13:14], v[33:34]
	s_clause 0x3
	buffer_load_dword v31, off, s[0:3], 0 offset:64
	buffer_load_dword v32, off, s[0:3], 0 offset:68
	;; [unrolled: 1-line block ×4, first 2 shown]
	ds_read_b128 v[5:8], v72 offset:1648
	s_waitcnt vmcnt(49) lgkmcnt(1)
	v_mul_f64 v[57:58], v[9:10], v[23:24]
	v_mul_f64 v[23:24], v[11:12], v[23:24]
	s_waitcnt vmcnt(48)
	v_fma_f64 v[37:38], v[1:2], v[115:116], -v[37:38]
	v_add_f64 v[15:16], v[15:16], v[19:20]
	v_fma_f64 v[19:20], v[3:4], v[115:116], v[25:26]
	v_add_f64 v[13:14], v[13:14], v[21:22]
	ds_read_b128 v[1:4], v72 offset:1664
	s_waitcnt vmcnt(47) lgkmcnt(1)
	v_mul_f64 v[25:26], v[7:8], v[45:46]
	v_mul_f64 v[21:22], v[5:6], v[45:46]
	s_waitcnt vmcnt(45)
	v_fma_f64 v[23:24], v[9:10], v[41:42], -v[23:24]
	v_add_f64 v[15:16], v[15:16], v[37:38]
	v_fma_f64 v[37:38], v[11:12], v[41:42], v[57:58]
	v_add_f64 v[13:14], v[13:14], v[19:20]
	ds_read_b128 v[9:12], v72 offset:1680
	s_waitcnt vmcnt(41) lgkmcnt(1)
	v_mul_f64 v[19:20], v[1:2], v[29:30]
	v_mul_f64 v[29:30], v[3:4], v[29:30]
	s_waitcnt vmcnt(40)
	v_fma_f64 v[25:26], v[5:6], v[107:108], -v[25:26]
	v_fma_f64 v[21:22], v[7:8], v[107:108], v[21:22]
	ds_read_b128 v[5:8], v72 offset:1696
	v_add_f64 v[15:16], v[15:16], v[23:24]
	v_add_f64 v[13:14], v[13:14], v[37:38]
	s_waitcnt vmcnt(39) lgkmcnt(1)
	v_mul_f64 v[37:38], v[11:12], v[51:52]
	v_mul_f64 v[23:24], v[9:10], v[51:52]
	s_waitcnt vmcnt(37)
	v_fma_f64 v[29:30], v[1:2], v[39:40], -v[29:30]
	v_fma_f64 v[19:20], v[3:4], v[39:40], v[19:20]
	ds_read_b128 v[1:4], v72 offset:1712
	v_add_f64 v[15:16], v[15:16], v[25:26]
	v_add_f64 v[13:14], v[13:14], v[21:22]
	;; [unrolled: 9-line block ×4, first 2 shown]
	s_waitcnt vmcnt(25) lgkmcnt(1)
	v_mul_f64 v[35:36], v[11:12], v[43:44]
	s_waitcnt vmcnt(24)
	v_fma_f64 v[29:30], v[1:2], v[91:92], -v[29:30]
	v_mul_f64 v[23:24], v[9:10], v[43:44]
	v_fma_f64 v[19:20], v[3:4], v[91:92], v[19:20]
	ds_read_b128 v[1:4], v72 offset:1760
	v_add_f64 v[15:16], v[15:16], v[25:26]
	v_add_f64 v[13:14], v[13:14], v[21:22]
	s_waitcnt vmcnt(23) lgkmcnt(1)
	v_mul_f64 v[25:26], v[7:8], v[79:80]
	v_mul_f64 v[21:22], v[5:6], v[79:80]
	s_waitcnt vmcnt(21)
	v_fma_f64 v[35:36], v[9:10], v[17:18], -v[35:36]
	v_fma_f64 v[17:18], v[11:12], v[17:18], v[23:24]
	ds_read_b128 v[9:12], v72 offset:1776
	v_add_f64 v[15:16], v[15:16], v[29:30]
	v_add_f64 v[13:14], v[13:14], v[19:20]
	s_waitcnt vmcnt(17) lgkmcnt(1)
	v_mul_f64 v[23:24], v[3:4], v[49:50]
	s_waitcnt vmcnt(16)
	v_fma_f64 v[25:26], v[5:6], v[99:100], -v[25:26]
	v_mul_f64 v[19:20], v[1:2], v[49:50]
	v_fma_f64 v[21:22], v[7:8], v[99:100], v[21:22]
	ds_read_b128 v[5:8], v72 offset:1792
	v_add_f64 v[15:16], v[15:16], v[35:36]
	v_add_f64 v[13:14], v[13:14], v[17:18]
	s_waitcnt vmcnt(15) lgkmcnt(1)
	v_mul_f64 v[29:30], v[11:12], v[89:90]
	v_mul_f64 v[17:18], v[9:10], v[89:90]
	s_waitcnt vmcnt(13)
	v_fma_f64 v[23:24], v[1:2], v[55:56], -v[23:24]
	v_fma_f64 v[19:20], v[3:4], v[55:56], v[19:20]
	ds_read_b128 v[1:4], v72 offset:1808
	v_add_f64 v[15:16], v[15:16], v[25:26]
	v_add_f64 v[13:14], v[13:14], v[21:22]
	s_waitcnt vmcnt(9) lgkmcnt(1)
	v_mul_f64 v[25:26], v[7:8], v[53:54]
	s_waitcnt vmcnt(8)
	v_fma_f64 v[9:10], v[9:10], v[109:110], -v[29:30]
	v_mul_f64 v[21:22], v[5:6], v[53:54]
	v_fma_f64 v[11:12], v[11:12], v[109:110], v[17:18]
	v_add_f64 v[15:16], v[15:16], v[23:24]
	v_add_f64 v[13:14], v[13:14], v[19:20]
	s_waitcnt vmcnt(7) lgkmcnt(0)
	v_mul_f64 v[19:20], v[3:4], v[103:104]
	v_mul_f64 v[17:18], v[1:2], v[103:104]
	s_waitcnt vmcnt(5)
	v_fma_f64 v[5:6], v[5:6], v[27:28], -v[25:26]
	v_fma_f64 v[7:8], v[7:8], v[27:28], v[21:22]
	v_add_f64 v[9:10], v[15:16], v[9:10]
	v_add_f64 v[11:12], v[13:14], v[11:12]
	s_waitcnt vmcnt(4)
	v_fma_f64 v[1:2], v[1:2], v[113:114], -v[19:20]
	v_fma_f64 v[3:4], v[3:4], v[113:114], v[17:18]
	v_add_f64 v[5:6], v[9:10], v[5:6]
	v_add_f64 v[7:8], v[11:12], v[7:8]
	;; [unrolled: 1-line block ×4, first 2 shown]
	s_waitcnt vmcnt(2)
	v_add_f64 v[1:2], v[31:32], -v[1:2]
	s_waitcnt vmcnt(0)
	v_add_f64 v[3:4], v[33:34], -v[3:4]
	buffer_store_dword v2, off, s[0:3], 0 offset:68
	buffer_store_dword v1, off, s[0:3], 0 offset:64
	;; [unrolled: 1-line block ×4, first 2 shown]
	v_cmpx_lt_u32_e32 2, v0
	s_cbranch_execz .LBB56_351
; %bb.350:
	v_mov_b32_e32 v4, s67
	s_clause 0x3
	buffer_load_dword v1, v4, s[0:3], 0 offen
	buffer_load_dword v2, v4, s[0:3], 0 offen offset:4
	buffer_load_dword v3, v4, s[0:3], 0 offen offset:8
	buffer_load_dword v4, v4, s[0:3], 0 offen offset:12
	buffer_store_dword v72, off, s[0:3], 0 offset:48
	buffer_store_dword v72, off, s[0:3], 0 offset:52
	;; [unrolled: 1-line block ×4, first 2 shown]
	s_waitcnt vmcnt(0)
	ds_write_b128 v59, v[1:4]
.LBB56_351:
	s_or_b32 exec_lo, exec_lo, s4
	s_waitcnt lgkmcnt(0)
	s_waitcnt_vscnt null, 0x0
	s_barrier
	buffer_gl0_inv
	s_clause 0x37
	buffer_load_dword v17, off, s[0:3], 0 offset:72
	buffer_load_dword v18, off, s[0:3], 0 offset:76
	;; [unrolled: 1-line block ×56, first 2 shown]
	ds_read_b128 v[5:8], v72 offset:960
	s_clause 0x2
	buffer_load_dword v92, off, s[0:3], 0 offset:300
	buffer_load_dword v100, off, s[0:3], 0 offset:276
	;; [unrolled: 1-line block ×3, first 2 shown]
	ds_read_b128 v[1:4], v72 offset:976
	s_clause 0x4
	buffer_load_dword v108, off, s[0:3], 0 offset:316
	buffer_load_dword v109, off, s[0:3], 0 offset:328
	buffer_load_dword v111, off, s[0:3], 0 offset:320
	buffer_load_dword v107, off, s[0:3], 0 offset:312
	buffer_load_dword v58, off, s[0:3], 0 offset:292
	ds_read_b128 v[101:104], v72 offset:992
	s_mov_b32 s4, exec_lo
	s_waitcnt vmcnt(62) lgkmcnt(2)
	v_mul_f64 v[105:106], v[7:8], v[17:18]
	v_mul_f64 v[17:18], v[5:6], v[17:18]
	s_waitcnt vmcnt(60) lgkmcnt(1)
	v_mul_f64 v[112:113], v[3:4], v[13:14]
	v_mul_f64 v[13:14], v[1:2], v[13:14]
	;; [unrolled: 3-line block ×3, first 2 shown]
	v_fma_f64 v[105:106], v[5:6], v[15:16], -v[105:106]
	v_fma_f64 v[15:16], v[7:8], v[15:16], v[17:18]
	s_clause 0x2
	buffer_load_dword v110, off, s[0:3], 0 offset:332
	buffer_load_dword v18, off, s[0:3], 0 offset:308
	;; [unrolled: 1-line block ×3, first 2 shown]
	s_waitcnt vmcnt(57)
	v_fma_f64 v[116:117], v[1:2], v[9:10], -v[112:113]
	ds_read_b128 v[5:8], v72 offset:1008
	v_fma_f64 v[9:10], v[3:4], v[9:10], v[13:14]
	s_waitcnt vmcnt(51)
	v_fma_f64 v[101:102], v[101:102], v[33:34], -v[11:12]
	v_fma_f64 v[33:34], v[103:104], v[33:34], v[114:115]
	v_add_f64 v[105:106], v[105:106], 0
	v_add_f64 v[13:14], v[15:16], 0
	s_clause 0x4
	buffer_load_dword v16, off, s[0:3], 0 offset:348
	buffer_load_dword v113, off, s[0:3], 0 offset:360
	;; [unrolled: 1-line block ×5, first 2 shown]
	s_waitcnt lgkmcnt(0)
	v_mul_f64 v[119:120], v[5:6], v[21:22]
	v_mul_f64 v[21:22], v[7:8], v[21:22]
	ds_read_b128 v[1:4], v72 offset:1024
	s_clause 0x2
	buffer_load_dword v114, off, s[0:3], 0 offset:364
	buffer_load_dword v104, off, s[0:3], 0 offset:340
	;; [unrolled: 1-line block ×3, first 2 shown]
	v_add_f64 v[105:106], v[105:106], v[116:117]
	v_add_f64 v[13:14], v[13:14], v[9:10]
	ds_read_b128 v[9:12], v72 offset:1040
	s_waitcnt vmcnt(58) lgkmcnt(1)
	v_mul_f64 v[115:116], v[1:2], v[25:26]
	v_mul_f64 v[25:26], v[3:4], v[25:26]
	s_waitcnt vmcnt(56)
	v_fma_f64 v[21:22], v[5:6], v[27:28], -v[21:22]
	v_fma_f64 v[27:28], v[7:8], v[27:28], v[119:120]
	s_waitcnt vmcnt(52) lgkmcnt(0)
	v_mul_f64 v[121:122], v[9:10], v[29:30]
	v_add_f64 v[101:102], v[105:106], v[101:102]
	v_add_f64 v[13:14], v[13:14], v[33:34]
	s_clause 0x4
	buffer_load_dword v34, off, s[0:3], 0 offset:380
	buffer_load_dword v105, off, s[0:3], 0 offset:392
	;; [unrolled: 1-line block ×5, first 2 shown]
	v_mul_f64 v[29:30], v[11:12], v[29:30]
	s_waitcnt vmcnt(56)
	v_fma_f64 v[25:26], v[1:2], v[19:20], -v[25:26]
	ds_read_b128 v[5:8], v72 offset:1056
	v_fma_f64 v[19:20], v[3:4], v[19:20], v[115:116]
	v_add_f64 v[21:22], v[101:102], v[21:22]
	v_add_f64 v[13:14], v[13:14], v[27:28]
	s_clause 0x2
	buffer_load_dword v106, off, s[0:3], 0 offset:396
	buffer_load_dword v28, off, s[0:3], 0 offset:372
	;; [unrolled: 1-line block ×3, first 2 shown]
	s_waitcnt vmcnt(58) lgkmcnt(0)
	v_mul_f64 v[101:102], v[5:6], v[35:36]
	v_mul_f64 v[35:36], v[7:8], v[35:36]
	s_waitcnt vmcnt(56)
	v_fma_f64 v[29:30], v[9:10], v[37:38], -v[29:30]
	ds_read_b128 v[1:4], v72 offset:1072
	v_add_f64 v[21:22], v[21:22], v[25:26]
	v_fma_f64 v[25:26], v[11:12], v[37:38], v[121:122]
	v_add_f64 v[13:14], v[13:14], v[19:20]
	s_clause 0x4
	buffer_load_dword v20, off, s[0:3], 0 offset:412
	buffer_load_dword v37, off, s[0:3], 0 offset:424
	;; [unrolled: 1-line block ×5, first 2 shown]
	s_waitcnt vmcnt(57) lgkmcnt(0)
	v_mul_f64 v[116:117], v[1:2], v[39:40]
	v_mul_f64 v[39:40], v[3:4], v[39:40]
	s_waitcnt vmcnt(56)
	v_fma_f64 v[35:36], v[5:6], v[23:24], -v[35:36]
	ds_read_b128 v[9:12], v72 offset:1088
	v_fma_f64 v[23:24], v[7:8], v[23:24], v[101:102]
	v_add_f64 v[21:22], v[21:22], v[29:30]
	v_add_f64 v[13:14], v[13:14], v[25:26]
	s_clause 0x2
	buffer_load_dword v38, off, s[0:3], 0 offset:428
	buffer_load_dword v26, off, s[0:3], 0 offset:404
	buffer_load_dword v25, off, s[0:3], 0 offset:400
	ds_read_b128 v[5:8], v72 offset:1104
	s_waitcnt vmcnt(58) lgkmcnt(1)
	v_mul_f64 v[29:30], v[9:10], v[43:44]
	v_mul_f64 v[43:44], v[11:12], v[43:44]
	s_waitcnt vmcnt(56)
	v_fma_f64 v[39:40], v[1:2], v[45:46], -v[39:40]
	v_add_f64 v[21:22], v[21:22], v[35:36]
	v_fma_f64 v[35:36], v[3:4], v[45:46], v[116:117]
	v_add_f64 v[13:14], v[13:14], v[23:24]
	s_clause 0x4
	buffer_load_dword v24, off, s[0:3], 0 offset:444
	buffer_load_dword v45, off, s[0:3], 0 offset:456
	;; [unrolled: 1-line block ×5, first 2 shown]
	s_waitcnt vmcnt(57) lgkmcnt(0)
	v_mul_f64 v[122:123], v[5:6], v[47:48]
	v_mul_f64 v[47:48], v[7:8], v[47:48]
	s_waitcnt vmcnt(56)
	v_fma_f64 v[43:44], v[9:10], v[31:32], -v[43:44]
	ds_read_b128 v[1:4], v72 offset:1120
	v_fma_f64 v[29:30], v[11:12], v[31:32], v[29:30]
	s_clause 0x2
	buffer_load_dword v46, off, s[0:3], 0 offset:460
	buffer_load_dword v32, off, s[0:3], 0 offset:436
	;; [unrolled: 1-line block ×3, first 2 shown]
	ds_read_b128 v[9:12], v72 offset:1136
	v_add_f64 v[21:22], v[21:22], v[39:40]
	v_add_f64 v[13:14], v[13:14], v[35:36]
	s_waitcnt vmcnt(58) lgkmcnt(1)
	v_mul_f64 v[39:40], v[3:4], v[51:52]
	s_waitcnt vmcnt(56)
	v_fma_f64 v[47:48], v[5:6], v[53:54], -v[47:48]
	v_mul_f64 v[35:36], v[1:2], v[51:52]
	v_add_f64 v[21:22], v[21:22], v[43:44]
	v_fma_f64 v[43:44], v[7:8], v[53:54], v[122:123]
	v_add_f64 v[13:14], v[13:14], v[29:30]
	s_clause 0x4
	buffer_load_dword v30, off, s[0:3], 0 offset:476
	buffer_load_dword v51, off, s[0:3], 0 offset:488
	;; [unrolled: 1-line block ×5, first 2 shown]
	s_waitcnt vmcnt(57) lgkmcnt(0)
	v_mul_f64 v[122:123], v[9:10], v[55:56]
	v_mul_f64 v[54:55], v[11:12], v[55:56]
	s_waitcnt vmcnt(56)
	v_fma_f64 v[39:40], v[1:2], v[41:42], -v[39:40]
	ds_read_b128 v[5:8], v72 offset:1152
	v_fma_f64 v[35:36], v[3:4], v[41:42], v[35:36]
	s_clause 0x2
	buffer_load_dword v52, off, s[0:3], 0 offset:492
	buffer_load_dword v42, off, s[0:3], 0 offset:468
	;; [unrolled: 1-line block ×3, first 2 shown]
	ds_read_b128 v[1:4], v72 offset:1168
	v_add_f64 v[21:22], v[21:22], v[47:48]
	v_add_f64 v[13:14], v[13:14], v[43:44]
	s_waitcnt vmcnt(58) lgkmcnt(1)
	v_mul_f64 v[47:48], v[7:8], v[77:78]
	s_waitcnt vmcnt(56)
	v_fma_f64 v[55:56], v[9:10], v[79:80], -v[54:55]
	v_mul_f64 v[43:44], v[5:6], v[77:78]
	v_add_f64 v[21:22], v[21:22], v[39:40]
	v_fma_f64 v[39:40], v[11:12], v[79:80], v[122:123]
	v_add_f64 v[13:14], v[13:14], v[35:36]
	s_clause 0x4
	buffer_load_dword v36, off, s[0:3], 0 offset:508
	buffer_load_dword v77, off, s[0:3], 0 offset:520
	;; [unrolled: 1-line block ×5, first 2 shown]
	s_waitcnt vmcnt(57) lgkmcnt(0)
	v_mul_f64 v[122:123], v[1:2], v[89:90]
	v_mul_f64 v[89:90], v[3:4], v[89:90]
	s_waitcnt vmcnt(56)
	v_fma_f64 v[47:48], v[5:6], v[49:50], -v[47:48]
	ds_read_b128 v[9:12], v72 offset:1184
	v_fma_f64 v[43:44], v[7:8], v[49:50], v[43:44]
	v_add_f64 v[21:22], v[21:22], v[55:56]
	v_add_f64 v[13:14], v[13:14], v[39:40]
	s_clause 0x2
	buffer_load_dword v78, off, s[0:3], 0 offset:524
	buffer_load_dword v40, off, s[0:3], 0 offset:500
	;; [unrolled: 1-line block ×3, first 2 shown]
	ds_read_b128 v[5:8], v72 offset:1200
	s_waitcnt vmcnt(58) lgkmcnt(1)
	v_mul_f64 v[55:56], v[11:12], v[91:92]
	s_waitcnt vmcnt(56)
	v_fma_f64 v[89:90], v[1:2], v[99:100], -v[89:90]
	v_mul_f64 v[49:50], v[9:10], v[91:92]
	v_add_f64 v[21:22], v[21:22], v[47:48]
	v_fma_f64 v[47:48], v[3:4], v[99:100], v[122:123]
	v_add_f64 v[13:14], v[13:14], v[43:44]
	s_clause 0x4
	buffer_load_dword v44, off, s[0:3], 0 offset:540
	buffer_load_dword v91, off, s[0:3], 0 offset:552
	;; [unrolled: 1-line block ×5, first 2 shown]
	s_waitcnt vmcnt(57) lgkmcnt(0)
	v_mul_f64 v[122:123], v[5:6], v[107:108]
	v_mul_f64 v[107:108], v[7:8], v[107:108]
	s_waitcnt vmcnt(56)
	v_fma_f64 v[55:56], v[9:10], v[57:58], -v[55:56]
	ds_read_b128 v[1:4], v72 offset:1216
	v_fma_f64 v[49:50], v[11:12], v[57:58], v[49:50]
	v_add_f64 v[21:22], v[21:22], v[89:90]
	v_add_f64 v[13:14], v[13:14], v[47:48]
	s_clause 0x2
	buffer_load_dword v92, off, s[0:3], 0 offset:556
	buffer_load_dword v48, off, s[0:3], 0 offset:532
	;; [unrolled: 1-line block ×3, first 2 shown]
	ds_read_b128 v[9:12], v72 offset:1232
	s_waitcnt vmcnt(58) lgkmcnt(1)
	v_mul_f64 v[89:90], v[3:4], v[109:110]
	v_mul_f64 v[57:58], v[1:2], v[109:110]
	s_waitcnt vmcnt(56)
	v_fma_f64 v[107:108], v[5:6], v[17:18], -v[107:108]
	v_fma_f64 v[17:18], v[7:8], v[17:18], v[122:123]
	v_add_f64 v[21:22], v[21:22], v[55:56]
	v_add_f64 v[13:14], v[13:14], v[49:50]
	s_clause 0x4
	buffer_load_dword v50, off, s[0:3], 0 offset:572
	buffer_load_dword v55, off, s[0:3], 0 offset:584
	;; [unrolled: 1-line block ×5, first 2 shown]
	ds_read_b128 v[5:8], v72 offset:1248
	s_waitcnt vmcnt(57) lgkmcnt(1)
	v_mul_f64 v[122:123], v[9:10], v[15:16]
	v_mul_f64 v[15:16], v[11:12], v[15:16]
	s_waitcnt vmcnt(56)
	v_fma_f64 v[89:90], v[1:2], v[111:112], -v[89:90]
	v_fma_f64 v[57:58], v[3:4], v[111:112], v[57:58]
	v_add_f64 v[21:22], v[21:22], v[107:108]
	v_add_f64 v[13:14], v[13:14], v[17:18]
	s_clause 0x2
	buffer_load_dword v56, off, s[0:3], 0 offset:588
	buffer_load_dword v18, off, s[0:3], 0 offset:564
	;; [unrolled: 1-line block ×3, first 2 shown]
	s_waitcnt vmcnt(58) lgkmcnt(0)
	v_mul_f64 v[111:112], v[7:8], v[113:114]
	ds_read_b128 v[1:4], v72 offset:1264
	v_mul_f64 v[107:108], v[5:6], v[113:114]
	s_waitcnt vmcnt(56)
	v_fma_f64 v[15:16], v[9:10], v[103:104], -v[15:16]
	v_add_f64 v[21:22], v[21:22], v[89:90]
	v_fma_f64 v[89:90], v[11:12], v[103:104], v[122:123]
	v_add_f64 v[13:14], v[13:14], v[57:58]
	s_clause 0x4
	buffer_load_dword v58, off, s[0:3], 0 offset:604
	buffer_load_dword v103, off, s[0:3], 0 offset:616
	;; [unrolled: 1-line block ×5, first 2 shown]
	ds_read_b128 v[9:12], v72 offset:1280
	s_waitcnt vmcnt(57) lgkmcnt(1)
	v_mul_f64 v[122:123], v[1:2], v[33:34]
	v_mul_f64 v[33:34], v[3:4], v[33:34]
	s_waitcnt vmcnt(56)
	v_fma_f64 v[111:112], v[5:6], v[118:119], -v[111:112]
	v_add_f64 v[15:16], v[21:22], v[15:16]
	v_fma_f64 v[21:22], v[7:8], v[118:119], v[107:108]
	v_add_f64 v[13:14], v[13:14], v[89:90]
	s_clause 0x2
	buffer_load_dword v104, off, s[0:3], 0 offset:620
	buffer_load_dword v90, off, s[0:3], 0 offset:596
	;; [unrolled: 1-line block ×3, first 2 shown]
	ds_read_b128 v[5:8], v72 offset:1296
	s_waitcnt vmcnt(58) lgkmcnt(1)
	v_mul_f64 v[107:108], v[9:10], v[105:106]
	v_mul_f64 v[105:106], v[11:12], v[105:106]
	s_waitcnt vmcnt(56)
	v_fma_f64 v[33:34], v[1:2], v[27:28], -v[33:34]
	v_fma_f64 v[27:28], v[3:4], v[27:28], v[122:123]
	v_add_f64 v[15:16], v[15:16], v[111:112]
	v_add_f64 v[13:14], v[13:14], v[21:22]
	s_clause 0x4
	buffer_load_dword v22, off, s[0:3], 0 offset:636
	buffer_load_dword v111, off, s[0:3], 0 offset:648
	;; [unrolled: 1-line block ×5, first 2 shown]
	ds_read_b128 v[1:4], v72 offset:1312
	s_waitcnt vmcnt(57) lgkmcnt(1)
	v_mul_f64 v[118:119], v[5:6], v[19:20]
	v_mul_f64 v[19:20], v[7:8], v[19:20]
	s_waitcnt vmcnt(56)
	v_fma_f64 v[105:106], v[9:10], v[120:121], -v[105:106]
	v_add_f64 v[15:16], v[15:16], v[33:34]
	v_fma_f64 v[33:34], v[11:12], v[120:121], v[107:108]
	v_add_f64 v[13:14], v[13:14], v[27:28]
	s_clause 0x2
	buffer_load_dword v112, off, s[0:3], 0 offset:652
	buffer_load_dword v28, off, s[0:3], 0 offset:628
	buffer_load_dword v27, off, s[0:3], 0 offset:624
	ds_read_b128 v[9:12], v72 offset:1328
	s_waitcnt vmcnt(58) lgkmcnt(1)
	v_mul_f64 v[107:108], v[1:2], v[37:38]
	v_mul_f64 v[37:38], v[3:4], v[37:38]
	s_waitcnt vmcnt(56)
	v_fma_f64 v[19:20], v[5:6], v[25:26], -v[19:20]
	v_fma_f64 v[25:26], v[7:8], v[25:26], v[118:119]
	v_add_f64 v[15:16], v[15:16], v[105:106]
	v_add_f64 v[13:14], v[13:14], v[33:34]
	s_clause 0x4
	buffer_load_dword v34, off, s[0:3], 0 offset:668
	buffer_load_dword v105, off, s[0:3], 0 offset:680
	;; [unrolled: 1-line block ×5, first 2 shown]
	ds_read_b128 v[5:8], v72 offset:1344
	s_waitcnt vmcnt(57) lgkmcnt(1)
	v_mul_f64 v[120:121], v[9:10], v[23:24]
	v_mul_f64 v[23:24], v[11:12], v[23:24]
	s_waitcnt vmcnt(56)
	v_fma_f64 v[37:38], v[1:2], v[115:116], -v[37:38]
	v_add_f64 v[15:16], v[15:16], v[19:20]
	v_fma_f64 v[19:20], v[3:4], v[115:116], v[107:108]
	v_add_f64 v[13:14], v[13:14], v[25:26]
	s_clause 0x2
	buffer_load_dword v106, off, s[0:3], 0 offset:684
	buffer_load_dword v26, off, s[0:3], 0 offset:660
	;; [unrolled: 1-line block ×3, first 2 shown]
	s_waitcnt vmcnt(58) lgkmcnt(0)
	v_mul_f64 v[107:108], v[5:6], v[45:46]
	v_mul_f64 v[45:46], v[7:8], v[45:46]
	ds_read_b128 v[1:4], v72 offset:1360
	s_waitcnt vmcnt(56)
	v_fma_f64 v[23:24], v[9:10], v[31:32], -v[23:24]
	v_fma_f64 v[31:32], v[11:12], v[31:32], v[120:121]
	v_add_f64 v[15:16], v[15:16], v[37:38]
	v_add_f64 v[13:14], v[13:14], v[19:20]
	s_clause 0x4
	buffer_load_dword v20, off, s[0:3], 0 offset:700
	buffer_load_dword v37, off, s[0:3], 0 offset:712
	;; [unrolled: 1-line block ×5, first 2 shown]
	ds_read_b128 v[9:12], v72 offset:1376
	s_waitcnt vmcnt(57) lgkmcnt(1)
	v_mul_f64 v[121:122], v[1:2], v[29:30]
	v_mul_f64 v[29:30], v[3:4], v[29:30]
	s_waitcnt vmcnt(56)
	v_fma_f64 v[45:46], v[5:6], v[101:102], -v[45:46]
	v_add_f64 v[15:16], v[15:16], v[23:24]
	v_fma_f64 v[23:24], v[7:8], v[101:102], v[107:108]
	v_add_f64 v[13:14], v[13:14], v[31:32]
	s_clause 0x2
	buffer_load_dword v38, off, s[0:3], 0 offset:716
	buffer_load_dword v32, off, s[0:3], 0 offset:692
	;; [unrolled: 1-line block ×3, first 2 shown]
	s_waitcnt vmcnt(58) lgkmcnt(0)
	v_mul_f64 v[101:102], v[9:10], v[51:52]
	v_mul_f64 v[51:52], v[11:12], v[51:52]
	ds_read_b128 v[5:8], v72 offset:1392
	s_waitcnt vmcnt(56)
	v_fma_f64 v[29:30], v[1:2], v[41:42], -v[29:30]
	v_fma_f64 v[41:42], v[3:4], v[41:42], v[121:122]
	v_add_f64 v[15:16], v[15:16], v[45:46]
	v_add_f64 v[13:14], v[13:14], v[23:24]
	s_clause 0x4
	buffer_load_dword v24, off, s[0:3], 0 offset:732
	buffer_load_dword v45, off, s[0:3], 0 offset:744
	buffer_load_dword v107, off, s[0:3], 0 offset:736
	buffer_load_dword v23, off, s[0:3], 0 offset:728
	buffer_load_dword v116, off, s[0:3], 0 offset:708
	ds_read_b128 v[1:4], v72 offset:1408
	s_waitcnt vmcnt(57) lgkmcnt(1)
	v_mul_f64 v[121:122], v[5:6], v[35:36]
	v_mul_f64 v[35:36], v[7:8], v[35:36]
	s_waitcnt vmcnt(56)
	v_fma_f64 v[51:52], v[9:10], v[53:54], -v[51:52]
	v_add_f64 v[15:16], v[15:16], v[29:30]
	v_fma_f64 v[29:30], v[11:12], v[53:54], v[101:102]
	v_add_f64 v[13:14], v[13:14], v[41:42]
	s_clause 0x2
	buffer_load_dword v46, off, s[0:3], 0 offset:748
	buffer_load_dword v42, off, s[0:3], 0 offset:724
	buffer_load_dword v41, off, s[0:3], 0 offset:720
	ds_read_b128 v[9:12], v72 offset:1424
	s_waitcnt vmcnt(58) lgkmcnt(1)
	v_mul_f64 v[53:54], v[1:2], v[77:78]
	v_mul_f64 v[77:78], v[3:4], v[77:78]
	s_waitcnt vmcnt(56)
	v_fma_f64 v[35:36], v[5:6], v[39:40], -v[35:36]
	v_fma_f64 v[39:40], v[7:8], v[39:40], v[121:122]
	v_add_f64 v[15:16], v[15:16], v[51:52]
	v_add_f64 v[13:14], v[13:14], v[29:30]
	s_clause 0x4
	buffer_load_dword v30, off, s[0:3], 0 offset:764
	buffer_load_dword v51, off, s[0:3], 0 offset:776
	buffer_load_dword v101, off, s[0:3], 0 offset:768
	buffer_load_dword v29, off, s[0:3], 0 offset:760
	buffer_load_dword v108, off, s[0:3], 0 offset:740
	ds_read_b128 v[5:8], v72 offset:1440
	s_waitcnt vmcnt(57) lgkmcnt(1)
	v_mul_f64 v[121:122], v[9:10], v[43:44]
	v_mul_f64 v[43:44], v[11:12], v[43:44]
	s_waitcnt vmcnt(56)
	v_fma_f64 v[77:78], v[1:2], v[79:80], -v[77:78]
	v_add_f64 v[15:16], v[15:16], v[35:36]
	v_fma_f64 v[35:36], v[3:4], v[79:80], v[53:54]
	v_add_f64 v[13:14], v[13:14], v[39:40]
	s_clause 0x2
	buffer_load_dword v52, off, s[0:3], 0 offset:780
	buffer_load_dword v40, off, s[0:3], 0 offset:756
	buffer_load_dword v39, off, s[0:3], 0 offset:752
	ds_read_b128 v[1:4], v72 offset:1456
	s_waitcnt vmcnt(58) lgkmcnt(1)
	v_mul_f64 v[79:80], v[7:8], v[91:92]
	v_mul_f64 v[53:54], v[5:6], v[91:92]
	;; [unrolled: 28-line block ×4, first 2 shown]
	s_waitcnt vmcnt(56)
	v_fma_f64 v[57:58], v[5:6], v[89:90], -v[57:58]
	v_add_f64 v[15:16], v[15:16], v[55:56]
	v_fma_f64 v[55:56], v[7:8], v[89:90], v[121:122]
	v_add_f64 v[13:14], v[13:14], v[49:50]
	s_clause 0x4
	buffer_load_dword v50, off, s[0:3], 0 offset:860
	buffer_load_dword v89, off, s[0:3], 0 offset:872
	;; [unrolled: 1-line block ×5, first 2 shown]
	ds_read_b128 v[5:8], v72 offset:1536
	s_waitcnt vmcnt(57) lgkmcnt(1)
	v_mul_f64 v[121:122], v[9:10], v[21:22]
	v_mul_f64 v[21:22], v[11:12], v[21:22]
	s_waitcnt vmcnt(56)
	v_fma_f64 v[103:104], v[1:2], v[113:114], -v[103:104]
	v_fma_f64 v[53:54], v[3:4], v[113:114], v[53:54]
	v_add_f64 v[15:16], v[15:16], v[57:58]
	v_add_f64 v[13:14], v[13:14], v[55:56]
	s_clause 0x2
	buffer_load_dword v90, off, s[0:3], 0 offset:876
	buffer_load_dword v56, off, s[0:3], 0 offset:852
	;; [unrolled: 1-line block ×3, first 2 shown]
	ds_read_b128 v[1:4], v72 offset:1552
	s_waitcnt vmcnt(58) lgkmcnt(1)
	v_mul_f64 v[57:58], v[5:6], v[111:112]
	v_mul_f64 v[111:112], v[7:8], v[111:112]
	s_waitcnt vmcnt(56)
	v_fma_f64 v[21:22], v[9:10], v[27:28], -v[21:22]
	v_fma_f64 v[27:28], v[11:12], v[27:28], v[121:122]
	v_add_f64 v[15:16], v[15:16], v[103:104]
	v_add_f64 v[13:14], v[13:14], v[53:54]
	s_clause 0x4
	buffer_load_dword v54, off, s[0:3], 0 offset:892
	buffer_load_dword v103, off, s[0:3], 0 offset:904
	;; [unrolled: 1-line block ×5, first 2 shown]
	ds_read_b128 v[9:12], v72 offset:1568
	s_waitcnt vmcnt(57) lgkmcnt(1)
	v_mul_f64 v[121:122], v[1:2], v[33:34]
	v_mul_f64 v[33:34], v[3:4], v[33:34]
	s_waitcnt vmcnt(56)
	v_fma_f64 v[111:112], v[5:6], v[117:118], -v[111:112]
	v_add_f64 v[15:16], v[15:16], v[21:22]
	v_fma_f64 v[21:22], v[7:8], v[117:118], v[57:58]
	v_add_f64 v[13:14], v[13:14], v[27:28]
	s_clause 0x2
	buffer_load_dword v104, off, s[0:3], 0 offset:908
	buffer_load_dword v28, off, s[0:3], 0 offset:884
	;; [unrolled: 1-line block ×3, first 2 shown]
	ds_read_b128 v[5:8], v72 offset:1584
	s_waitcnt vmcnt(58) lgkmcnt(1)
	v_mul_f64 v[57:58], v[9:10], v[105:106]
	v_mul_f64 v[105:106], v[11:12], v[105:106]
	s_waitcnt vmcnt(56)
	v_fma_f64 v[33:34], v[1:2], v[25:26], -v[33:34]
	v_fma_f64 v[25:26], v[3:4], v[25:26], v[121:122]
	v_add_f64 v[15:16], v[15:16], v[111:112]
	v_add_f64 v[13:14], v[13:14], v[21:22]
	s_clause 0x2
	buffer_load_dword v22, off, s[0:3], 0 offset:924
	buffer_load_dword v21, off, s[0:3], 0 offset:920
	;; [unrolled: 1-line block ×3, first 2 shown]
	ds_read_b128 v[1:4], v72 offset:1600
	s_waitcnt vmcnt(55) lgkmcnt(1)
	v_mul_f64 v[111:112], v[5:6], v[19:20]
	v_mul_f64 v[19:20], v[7:8], v[19:20]
	s_waitcnt vmcnt(54)
	v_fma_f64 v[105:106], v[9:10], v[119:120], -v[105:106]
	v_add_f64 v[15:16], v[15:16], v[33:34]
	v_fma_f64 v[33:34], v[11:12], v[119:120], v[57:58]
	v_add_f64 v[13:14], v[13:14], v[25:26]
	s_clause 0x1
	buffer_load_dword v26, off, s[0:3], 0 offset:916
	buffer_load_dword v25, off, s[0:3], 0 offset:912
	ds_read_b128 v[9:12], v72 offset:1616
	s_waitcnt vmcnt(55) lgkmcnt(1)
	v_mul_f64 v[57:58], v[1:2], v[37:38]
	v_mul_f64 v[37:38], v[3:4], v[37:38]
	s_waitcnt vmcnt(53)
	v_fma_f64 v[19:20], v[5:6], v[31:32], -v[19:20]
	v_fma_f64 v[31:32], v[7:8], v[31:32], v[111:112]
	ds_read_b128 v[5:8], v72 offset:1632
	v_add_f64 v[15:16], v[15:16], v[105:106]
	v_add_f64 v[13:14], v[13:14], v[33:34]
	s_waitcnt vmcnt(49) lgkmcnt(1)
	v_mul_f64 v[33:34], v[9:10], v[23:24]
	v_mul_f64 v[23:24], v[11:12], v[23:24]
	s_waitcnt vmcnt(48)
	v_fma_f64 v[37:38], v[1:2], v[115:116], -v[37:38]
	v_add_f64 v[15:16], v[15:16], v[19:20]
	v_fma_f64 v[19:20], v[3:4], v[115:116], v[57:58]
	v_add_f64 v[13:14], v[13:14], v[31:32]
	s_clause 0x3
	buffer_load_dword v31, off, s[0:3], 0 offset:48
	buffer_load_dword v32, off, s[0:3], 0 offset:52
	;; [unrolled: 1-line block ×4, first 2 shown]
	ds_read_b128 v[1:4], v72 offset:1648
	s_waitcnt vmcnt(51) lgkmcnt(1)
	v_mul_f64 v[105:106], v[5:6], v[45:46]
	v_mul_f64 v[45:46], v[7:8], v[45:46]
	s_waitcnt vmcnt(49)
	v_fma_f64 v[23:24], v[9:10], v[41:42], -v[23:24]
	v_fma_f64 v[33:34], v[11:12], v[41:42], v[33:34]
	ds_read_b128 v[9:12], v72 offset:1664
	v_add_f64 v[15:16], v[15:16], v[37:38]
	v_add_f64 v[13:14], v[13:14], v[19:20]
	s_waitcnt vmcnt(45) lgkmcnt(1)
	v_mul_f64 v[19:20], v[1:2], v[29:30]
	v_mul_f64 v[29:30], v[3:4], v[29:30]
	s_waitcnt vmcnt(44)
	v_fma_f64 v[37:38], v[5:6], v[107:108], -v[45:46]
	v_add_f64 v[15:16], v[15:16], v[23:24]
	v_fma_f64 v[23:24], v[7:8], v[107:108], v[105:106]
	v_add_f64 v[13:14], v[13:14], v[33:34]
	ds_read_b128 v[5:8], v72 offset:1680
	s_waitcnt vmcnt(43) lgkmcnt(1)
	v_mul_f64 v[41:42], v[11:12], v[51:52]
	v_mul_f64 v[33:34], v[9:10], v[51:52]
	s_waitcnt vmcnt(41)
	v_fma_f64 v[29:30], v[1:2], v[39:40], -v[29:30]
	v_fma_f64 v[19:20], v[3:4], v[39:40], v[19:20]
	ds_read_b128 v[1:4], v72 offset:1696
	v_add_f64 v[15:16], v[15:16], v[37:38]
	v_add_f64 v[13:14], v[13:14], v[23:24]
	s_waitcnt vmcnt(37) lgkmcnt(1)
	v_mul_f64 v[23:24], v[5:6], v[35:36]
	v_mul_f64 v[35:36], v[7:8], v[35:36]
	s_waitcnt vmcnt(36)
	v_fma_f64 v[37:38], v[9:10], v[101:102], -v[41:42]
	v_add_f64 v[15:16], v[15:16], v[29:30]
	v_fma_f64 v[29:30], v[11:12], v[101:102], v[33:34]
	v_add_f64 v[13:14], v[13:14], v[19:20]
	ds_read_b128 v[9:12], v72 offset:1712
	s_waitcnt vmcnt(35) lgkmcnt(1)
	v_mul_f64 v[33:34], v[3:4], v[77:78]
	v_mul_f64 v[19:20], v[1:2], v[77:78]
	s_waitcnt vmcnt(33)
	v_fma_f64 v[35:36], v[5:6], v[47:48], -v[35:36]
	v_fma_f64 v[23:24], v[7:8], v[47:48], v[23:24]
	ds_read_b128 v[5:8], v72 offset:1728
	v_add_f64 v[15:16], v[15:16], v[37:38]
	v_add_f64 v[13:14], v[13:14], v[29:30]
	s_waitcnt vmcnt(29) lgkmcnt(1)
	v_mul_f64 v[37:38], v[11:12], v[43:44]
	s_waitcnt vmcnt(28)
	v_fma_f64 v[33:34], v[1:2], v[91:92], -v[33:34]
	v_mul_f64 v[29:30], v[9:10], v[43:44]
	v_fma_f64 v[19:20], v[3:4], v[91:92], v[19:20]
	ds_read_b128 v[1:4], v72 offset:1744
	v_add_f64 v[15:16], v[15:16], v[35:36]
	v_add_f64 v[13:14], v[13:14], v[23:24]
	s_waitcnt vmcnt(27) lgkmcnt(1)
	v_mul_f64 v[35:36], v[7:8], v[79:80]
	v_mul_f64 v[23:24], v[5:6], v[79:80]
	s_waitcnt vmcnt(25)
	v_fma_f64 v[37:38], v[9:10], v[17:18], -v[37:38]
	v_fma_f64 v[17:18], v[11:12], v[17:18], v[29:30]
	ds_read_b128 v[9:12], v72 offset:1760
	v_add_f64 v[15:16], v[15:16], v[33:34]
	v_add_f64 v[13:14], v[13:14], v[19:20]
	s_waitcnt vmcnt(21) lgkmcnt(1)
	v_mul_f64 v[29:30], v[3:4], v[49:50]
	s_waitcnt vmcnt(20)
	v_fma_f64 v[33:34], v[5:6], v[99:100], -v[35:36]
	v_mul_f64 v[19:20], v[1:2], v[49:50]
	v_fma_f64 v[23:24], v[7:8], v[99:100], v[23:24]
	ds_read_b128 v[5:8], v72 offset:1776
	v_add_f64 v[15:16], v[15:16], v[37:38]
	v_add_f64 v[13:14], v[13:14], v[17:18]
	;; [unrolled: 18-line block ×3, first 2 shown]
	s_waitcnt vmcnt(11) lgkmcnt(1)
	v_mul_f64 v[29:30], v[3:4], v[103:104]
	v_mul_f64 v[19:20], v[1:2], v[103:104]
	s_waitcnt vmcnt(9)
	v_fma_f64 v[5:6], v[5:6], v[27:28], -v[33:34]
	v_fma_f64 v[7:8], v[7:8], v[27:28], v[23:24]
	v_add_f64 v[15:16], v[15:16], v[35:36]
	v_add_f64 v[13:14], v[13:14], v[17:18]
	s_waitcnt vmcnt(7) lgkmcnt(0)
	v_mul_f64 v[17:18], v[9:10], v[21:22]
	v_mul_f64 v[21:22], v[11:12], v[21:22]
	s_waitcnt vmcnt(6)
	v_fma_f64 v[1:2], v[1:2], v[113:114], -v[29:30]
	v_fma_f64 v[3:4], v[3:4], v[113:114], v[19:20]
	v_add_f64 v[5:6], v[15:16], v[5:6]
	v_add_f64 v[7:8], v[13:14], v[7:8]
	s_waitcnt vmcnt(4)
	v_fma_f64 v[9:10], v[9:10], v[25:26], -v[21:22]
	v_add_f64 v[1:2], v[5:6], v[1:2]
	v_fma_f64 v[5:6], v[11:12], v[25:26], v[17:18]
	v_add_f64 v[3:4], v[7:8], v[3:4]
	v_add_f64 v[1:2], v[1:2], v[9:10]
	;; [unrolled: 1-line block ×3, first 2 shown]
	s_waitcnt vmcnt(2)
	v_add_f64 v[1:2], v[31:32], -v[1:2]
	s_waitcnt vmcnt(0)
	v_add_f64 v[3:4], v[57:58], -v[3:4]
	buffer_store_dword v2, off, s[0:3], 0 offset:52
	buffer_store_dword v1, off, s[0:3], 0 offset:48
	buffer_store_dword v4, off, s[0:3], 0 offset:60
	buffer_store_dword v3, off, s[0:3], 0 offset:56
	v_cmpx_lt_u32_e32 1, v0
	s_cbranch_execz .LBB56_353
; %bb.352:
	v_mov_b32_e32 v4, s68
	v_mov_b32_e32 v5, 0
	s_clause 0x3
	buffer_load_dword v1, v4, s[0:3], 0 offen
	buffer_load_dword v2, v4, s[0:3], 0 offen offset:4
	buffer_load_dword v3, v4, s[0:3], 0 offen offset:8
	;; [unrolled: 1-line block ×3, first 2 shown]
	buffer_store_dword v5, off, s[0:3], 0 offset:32
	buffer_store_dword v5, off, s[0:3], 0 offset:36
	;; [unrolled: 1-line block ×4, first 2 shown]
	s_waitcnt vmcnt(0)
	ds_write_b128 v59, v[1:4]
.LBB56_353:
	s_or_b32 exec_lo, exec_lo, s4
	s_waitcnt lgkmcnt(0)
	s_waitcnt_vscnt null, 0x0
	s_barrier
	buffer_gl0_inv
	s_clause 0x37
	buffer_load_dword v17, off, s[0:3], 0 offset:56
	buffer_load_dword v18, off, s[0:3], 0 offset:60
	;; [unrolled: 1-line block ×56, first 2 shown]
	v_mov_b32_e32 v72, 0
	s_mov_b32 s4, exec_lo
	ds_read_b128 v[5:8], v72 offset:944
	s_clause 0x2
	buffer_load_dword v92, off, s[0:3], 0 offset:284
	buffer_load_dword v100, off, s[0:3], 0 offset:260
	;; [unrolled: 1-line block ×3, first 2 shown]
	ds_read_b128 v[1:4], v72 offset:960
	s_clause 0x4
	buffer_load_dword v108, off, s[0:3], 0 offset:300
	buffer_load_dword v109, off, s[0:3], 0 offset:312
	;; [unrolled: 1-line block ×5, first 2 shown]
	ds_read_b128 v[101:104], v72 offset:976
	s_waitcnt vmcnt(62) lgkmcnt(2)
	v_mul_f64 v[105:106], v[7:8], v[17:18]
	v_mul_f64 v[17:18], v[5:6], v[17:18]
	s_waitcnt vmcnt(60) lgkmcnt(1)
	v_mul_f64 v[112:113], v[3:4], v[13:14]
	v_mul_f64 v[13:14], v[1:2], v[13:14]
	s_waitcnt vmcnt(56) lgkmcnt(0)
	v_mul_f64 v[114:115], v[101:102], v[11:12]
	v_mul_f64 v[11:12], v[103:104], v[11:12]
	v_fma_f64 v[105:106], v[5:6], v[15:16], -v[105:106]
	v_fma_f64 v[15:16], v[7:8], v[15:16], v[17:18]
	s_clause 0x2
	buffer_load_dword v110, off, s[0:3], 0 offset:316
	buffer_load_dword v18, off, s[0:3], 0 offset:292
	;; [unrolled: 1-line block ×3, first 2 shown]
	s_waitcnt vmcnt(57)
	v_fma_f64 v[116:117], v[1:2], v[9:10], -v[112:113]
	ds_read_b128 v[5:8], v72 offset:992
	v_fma_f64 v[9:10], v[3:4], v[9:10], v[13:14]
	s_waitcnt vmcnt(51)
	v_fma_f64 v[101:102], v[101:102], v[33:34], -v[11:12]
	v_fma_f64 v[33:34], v[103:104], v[33:34], v[114:115]
	v_add_f64 v[105:106], v[105:106], 0
	v_add_f64 v[13:14], v[15:16], 0
	s_clause 0x4
	buffer_load_dword v16, off, s[0:3], 0 offset:332
	buffer_load_dword v113, off, s[0:3], 0 offset:344
	;; [unrolled: 1-line block ×5, first 2 shown]
	s_waitcnt lgkmcnt(0)
	v_mul_f64 v[119:120], v[5:6], v[21:22]
	v_mul_f64 v[21:22], v[7:8], v[21:22]
	ds_read_b128 v[1:4], v72 offset:1008
	s_clause 0x2
	buffer_load_dword v114, off, s[0:3], 0 offset:348
	buffer_load_dword v104, off, s[0:3], 0 offset:324
	;; [unrolled: 1-line block ×3, first 2 shown]
	v_add_f64 v[105:106], v[105:106], v[116:117]
	v_add_f64 v[13:14], v[13:14], v[9:10]
	ds_read_b128 v[9:12], v72 offset:1024
	s_waitcnt vmcnt(58) lgkmcnt(1)
	v_mul_f64 v[115:116], v[1:2], v[25:26]
	v_mul_f64 v[25:26], v[3:4], v[25:26]
	s_waitcnt vmcnt(56)
	v_fma_f64 v[21:22], v[5:6], v[27:28], -v[21:22]
	v_fma_f64 v[27:28], v[7:8], v[27:28], v[119:120]
	s_waitcnt vmcnt(52) lgkmcnt(0)
	v_mul_f64 v[121:122], v[9:10], v[29:30]
	v_add_f64 v[101:102], v[105:106], v[101:102]
	v_add_f64 v[13:14], v[13:14], v[33:34]
	s_clause 0x4
	buffer_load_dword v34, off, s[0:3], 0 offset:364
	buffer_load_dword v105, off, s[0:3], 0 offset:376
	;; [unrolled: 1-line block ×5, first 2 shown]
	v_mul_f64 v[29:30], v[11:12], v[29:30]
	s_waitcnt vmcnt(56)
	v_fma_f64 v[25:26], v[1:2], v[19:20], -v[25:26]
	ds_read_b128 v[5:8], v72 offset:1040
	v_fma_f64 v[19:20], v[3:4], v[19:20], v[115:116]
	v_add_f64 v[21:22], v[101:102], v[21:22]
	v_add_f64 v[13:14], v[13:14], v[27:28]
	s_clause 0x2
	buffer_load_dword v106, off, s[0:3], 0 offset:380
	buffer_load_dword v28, off, s[0:3], 0 offset:356
	;; [unrolled: 1-line block ×3, first 2 shown]
	s_waitcnt vmcnt(58) lgkmcnt(0)
	v_mul_f64 v[101:102], v[5:6], v[35:36]
	v_mul_f64 v[35:36], v[7:8], v[35:36]
	s_waitcnt vmcnt(56)
	v_fma_f64 v[29:30], v[9:10], v[37:38], -v[29:30]
	ds_read_b128 v[1:4], v72 offset:1056
	v_add_f64 v[21:22], v[21:22], v[25:26]
	v_fma_f64 v[25:26], v[11:12], v[37:38], v[121:122]
	v_add_f64 v[13:14], v[13:14], v[19:20]
	s_clause 0x4
	buffer_load_dword v20, off, s[0:3], 0 offset:396
	buffer_load_dword v37, off, s[0:3], 0 offset:408
	;; [unrolled: 1-line block ×5, first 2 shown]
	s_waitcnt vmcnt(57) lgkmcnt(0)
	v_mul_f64 v[116:117], v[1:2], v[39:40]
	v_mul_f64 v[39:40], v[3:4], v[39:40]
	s_waitcnt vmcnt(56)
	v_fma_f64 v[35:36], v[5:6], v[23:24], -v[35:36]
	ds_read_b128 v[9:12], v72 offset:1072
	v_fma_f64 v[23:24], v[7:8], v[23:24], v[101:102]
	v_add_f64 v[21:22], v[21:22], v[29:30]
	v_add_f64 v[13:14], v[13:14], v[25:26]
	s_clause 0x2
	buffer_load_dword v38, off, s[0:3], 0 offset:412
	buffer_load_dword v26, off, s[0:3], 0 offset:388
	;; [unrolled: 1-line block ×3, first 2 shown]
	ds_read_b128 v[5:8], v72 offset:1088
	s_waitcnt vmcnt(58) lgkmcnt(1)
	v_mul_f64 v[29:30], v[9:10], v[43:44]
	v_mul_f64 v[43:44], v[11:12], v[43:44]
	s_waitcnt vmcnt(56)
	v_fma_f64 v[39:40], v[1:2], v[45:46], -v[39:40]
	v_add_f64 v[21:22], v[21:22], v[35:36]
	v_fma_f64 v[35:36], v[3:4], v[45:46], v[116:117]
	v_add_f64 v[13:14], v[13:14], v[23:24]
	s_clause 0x4
	buffer_load_dword v24, off, s[0:3], 0 offset:428
	buffer_load_dword v45, off, s[0:3], 0 offset:440
	;; [unrolled: 1-line block ×5, first 2 shown]
	s_waitcnt vmcnt(57) lgkmcnt(0)
	v_mul_f64 v[122:123], v[5:6], v[47:48]
	v_mul_f64 v[47:48], v[7:8], v[47:48]
	s_waitcnt vmcnt(56)
	v_fma_f64 v[43:44], v[9:10], v[31:32], -v[43:44]
	ds_read_b128 v[1:4], v72 offset:1104
	v_fma_f64 v[29:30], v[11:12], v[31:32], v[29:30]
	s_clause 0x2
	buffer_load_dword v46, off, s[0:3], 0 offset:444
	buffer_load_dword v32, off, s[0:3], 0 offset:420
	;; [unrolled: 1-line block ×3, first 2 shown]
	ds_read_b128 v[9:12], v72 offset:1120
	v_add_f64 v[21:22], v[21:22], v[39:40]
	v_add_f64 v[13:14], v[13:14], v[35:36]
	s_waitcnt vmcnt(58) lgkmcnt(1)
	v_mul_f64 v[39:40], v[3:4], v[51:52]
	s_waitcnt vmcnt(56)
	v_fma_f64 v[47:48], v[5:6], v[53:54], -v[47:48]
	v_mul_f64 v[35:36], v[1:2], v[51:52]
	v_add_f64 v[21:22], v[21:22], v[43:44]
	v_fma_f64 v[43:44], v[7:8], v[53:54], v[122:123]
	v_add_f64 v[13:14], v[13:14], v[29:30]
	s_clause 0x4
	buffer_load_dword v30, off, s[0:3], 0 offset:460
	buffer_load_dword v51, off, s[0:3], 0 offset:472
	;; [unrolled: 1-line block ×5, first 2 shown]
	s_waitcnt vmcnt(57) lgkmcnt(0)
	v_mul_f64 v[122:123], v[9:10], v[55:56]
	v_mul_f64 v[54:55], v[11:12], v[55:56]
	s_waitcnt vmcnt(56)
	v_fma_f64 v[39:40], v[1:2], v[41:42], -v[39:40]
	ds_read_b128 v[5:8], v72 offset:1136
	v_fma_f64 v[35:36], v[3:4], v[41:42], v[35:36]
	s_clause 0x2
	buffer_load_dword v52, off, s[0:3], 0 offset:476
	buffer_load_dword v42, off, s[0:3], 0 offset:452
	;; [unrolled: 1-line block ×3, first 2 shown]
	ds_read_b128 v[1:4], v72 offset:1152
	v_add_f64 v[21:22], v[21:22], v[47:48]
	v_add_f64 v[13:14], v[13:14], v[43:44]
	s_waitcnt vmcnt(58) lgkmcnt(1)
	v_mul_f64 v[47:48], v[7:8], v[77:78]
	s_waitcnt vmcnt(56)
	v_fma_f64 v[55:56], v[9:10], v[79:80], -v[54:55]
	v_mul_f64 v[43:44], v[5:6], v[77:78]
	v_add_f64 v[21:22], v[21:22], v[39:40]
	v_fma_f64 v[39:40], v[11:12], v[79:80], v[122:123]
	v_add_f64 v[13:14], v[13:14], v[35:36]
	s_clause 0x4
	buffer_load_dword v36, off, s[0:3], 0 offset:492
	buffer_load_dword v77, off, s[0:3], 0 offset:504
	;; [unrolled: 1-line block ×5, first 2 shown]
	s_waitcnt vmcnt(57) lgkmcnt(0)
	v_mul_f64 v[122:123], v[1:2], v[89:90]
	v_mul_f64 v[89:90], v[3:4], v[89:90]
	s_waitcnt vmcnt(56)
	v_fma_f64 v[47:48], v[5:6], v[49:50], -v[47:48]
	ds_read_b128 v[9:12], v72 offset:1168
	v_fma_f64 v[43:44], v[7:8], v[49:50], v[43:44]
	v_add_f64 v[21:22], v[21:22], v[55:56]
	v_add_f64 v[13:14], v[13:14], v[39:40]
	s_clause 0x2
	buffer_load_dword v78, off, s[0:3], 0 offset:508
	buffer_load_dword v40, off, s[0:3], 0 offset:484
	;; [unrolled: 1-line block ×3, first 2 shown]
	ds_read_b128 v[5:8], v72 offset:1184
	s_waitcnt vmcnt(58) lgkmcnt(1)
	v_mul_f64 v[55:56], v[11:12], v[91:92]
	s_waitcnt vmcnt(56)
	v_fma_f64 v[89:90], v[1:2], v[99:100], -v[89:90]
	v_mul_f64 v[49:50], v[9:10], v[91:92]
	v_add_f64 v[21:22], v[21:22], v[47:48]
	v_fma_f64 v[47:48], v[3:4], v[99:100], v[122:123]
	v_add_f64 v[13:14], v[13:14], v[43:44]
	s_clause 0x4
	buffer_load_dword v44, off, s[0:3], 0 offset:524
	buffer_load_dword v91, off, s[0:3], 0 offset:536
	;; [unrolled: 1-line block ×5, first 2 shown]
	s_waitcnt vmcnt(57) lgkmcnt(0)
	v_mul_f64 v[122:123], v[5:6], v[107:108]
	v_mul_f64 v[107:108], v[7:8], v[107:108]
	s_waitcnt vmcnt(56)
	v_fma_f64 v[55:56], v[9:10], v[57:58], -v[55:56]
	ds_read_b128 v[1:4], v72 offset:1200
	v_fma_f64 v[49:50], v[11:12], v[57:58], v[49:50]
	v_add_f64 v[21:22], v[21:22], v[89:90]
	v_add_f64 v[13:14], v[13:14], v[47:48]
	s_clause 0x2
	buffer_load_dword v92, off, s[0:3], 0 offset:540
	buffer_load_dword v48, off, s[0:3], 0 offset:516
	;; [unrolled: 1-line block ×3, first 2 shown]
	ds_read_b128 v[9:12], v72 offset:1216
	s_waitcnt vmcnt(58) lgkmcnt(1)
	v_mul_f64 v[89:90], v[3:4], v[109:110]
	v_mul_f64 v[57:58], v[1:2], v[109:110]
	s_waitcnt vmcnt(56)
	v_fma_f64 v[107:108], v[5:6], v[17:18], -v[107:108]
	v_fma_f64 v[17:18], v[7:8], v[17:18], v[122:123]
	v_add_f64 v[21:22], v[21:22], v[55:56]
	v_add_f64 v[13:14], v[13:14], v[49:50]
	s_clause 0x4
	buffer_load_dword v50, off, s[0:3], 0 offset:556
	buffer_load_dword v55, off, s[0:3], 0 offset:568
	;; [unrolled: 1-line block ×5, first 2 shown]
	ds_read_b128 v[5:8], v72 offset:1232
	s_waitcnt vmcnt(57) lgkmcnt(1)
	v_mul_f64 v[122:123], v[9:10], v[15:16]
	v_mul_f64 v[15:16], v[11:12], v[15:16]
	s_waitcnt vmcnt(56)
	v_fma_f64 v[89:90], v[1:2], v[111:112], -v[89:90]
	v_fma_f64 v[57:58], v[3:4], v[111:112], v[57:58]
	v_add_f64 v[21:22], v[21:22], v[107:108]
	v_add_f64 v[13:14], v[13:14], v[17:18]
	s_clause 0x2
	buffer_load_dword v56, off, s[0:3], 0 offset:572
	buffer_load_dword v18, off, s[0:3], 0 offset:548
	;; [unrolled: 1-line block ×3, first 2 shown]
	s_waitcnt vmcnt(58) lgkmcnt(0)
	v_mul_f64 v[111:112], v[7:8], v[113:114]
	ds_read_b128 v[1:4], v72 offset:1248
	v_mul_f64 v[107:108], v[5:6], v[113:114]
	s_waitcnt vmcnt(56)
	v_fma_f64 v[15:16], v[9:10], v[103:104], -v[15:16]
	v_add_f64 v[21:22], v[21:22], v[89:90]
	v_fma_f64 v[89:90], v[11:12], v[103:104], v[122:123]
	v_add_f64 v[13:14], v[13:14], v[57:58]
	s_clause 0x4
	buffer_load_dword v58, off, s[0:3], 0 offset:588
	buffer_load_dword v103, off, s[0:3], 0 offset:600
	;; [unrolled: 1-line block ×5, first 2 shown]
	ds_read_b128 v[9:12], v72 offset:1264
	s_waitcnt vmcnt(57) lgkmcnt(1)
	v_mul_f64 v[122:123], v[1:2], v[33:34]
	v_mul_f64 v[33:34], v[3:4], v[33:34]
	s_waitcnt vmcnt(56)
	v_fma_f64 v[111:112], v[5:6], v[118:119], -v[111:112]
	v_add_f64 v[15:16], v[21:22], v[15:16]
	v_fma_f64 v[21:22], v[7:8], v[118:119], v[107:108]
	v_add_f64 v[13:14], v[13:14], v[89:90]
	s_clause 0x2
	buffer_load_dword v104, off, s[0:3], 0 offset:604
	buffer_load_dword v90, off, s[0:3], 0 offset:580
	;; [unrolled: 1-line block ×3, first 2 shown]
	ds_read_b128 v[5:8], v72 offset:1280
	s_waitcnt vmcnt(58) lgkmcnt(1)
	v_mul_f64 v[107:108], v[9:10], v[105:106]
	v_mul_f64 v[105:106], v[11:12], v[105:106]
	s_waitcnt vmcnt(56)
	v_fma_f64 v[33:34], v[1:2], v[27:28], -v[33:34]
	v_fma_f64 v[27:28], v[3:4], v[27:28], v[122:123]
	v_add_f64 v[15:16], v[15:16], v[111:112]
	v_add_f64 v[13:14], v[13:14], v[21:22]
	s_clause 0x4
	buffer_load_dword v22, off, s[0:3], 0 offset:620
	buffer_load_dword v111, off, s[0:3], 0 offset:632
	;; [unrolled: 1-line block ×5, first 2 shown]
	ds_read_b128 v[1:4], v72 offset:1296
	s_waitcnt vmcnt(57) lgkmcnt(1)
	v_mul_f64 v[118:119], v[5:6], v[19:20]
	v_mul_f64 v[19:20], v[7:8], v[19:20]
	s_waitcnt vmcnt(56)
	v_fma_f64 v[105:106], v[9:10], v[120:121], -v[105:106]
	v_add_f64 v[15:16], v[15:16], v[33:34]
	v_fma_f64 v[33:34], v[11:12], v[120:121], v[107:108]
	v_add_f64 v[13:14], v[13:14], v[27:28]
	s_clause 0x2
	buffer_load_dword v112, off, s[0:3], 0 offset:636
	buffer_load_dword v28, off, s[0:3], 0 offset:612
	;; [unrolled: 1-line block ×3, first 2 shown]
	ds_read_b128 v[9:12], v72 offset:1312
	s_waitcnt vmcnt(58) lgkmcnt(1)
	v_mul_f64 v[107:108], v[1:2], v[37:38]
	v_mul_f64 v[37:38], v[3:4], v[37:38]
	s_waitcnt vmcnt(56)
	v_fma_f64 v[19:20], v[5:6], v[25:26], -v[19:20]
	v_fma_f64 v[25:26], v[7:8], v[25:26], v[118:119]
	v_add_f64 v[15:16], v[15:16], v[105:106]
	v_add_f64 v[13:14], v[13:14], v[33:34]
	s_clause 0x4
	buffer_load_dword v34, off, s[0:3], 0 offset:652
	buffer_load_dword v105, off, s[0:3], 0 offset:664
	;; [unrolled: 1-line block ×5, first 2 shown]
	ds_read_b128 v[5:8], v72 offset:1328
	s_waitcnt vmcnt(57) lgkmcnt(1)
	v_mul_f64 v[120:121], v[9:10], v[23:24]
	v_mul_f64 v[23:24], v[11:12], v[23:24]
	s_waitcnt vmcnt(56)
	v_fma_f64 v[37:38], v[1:2], v[115:116], -v[37:38]
	v_add_f64 v[15:16], v[15:16], v[19:20]
	v_fma_f64 v[19:20], v[3:4], v[115:116], v[107:108]
	v_add_f64 v[13:14], v[13:14], v[25:26]
	s_clause 0x2
	buffer_load_dword v106, off, s[0:3], 0 offset:668
	buffer_load_dword v26, off, s[0:3], 0 offset:644
	;; [unrolled: 1-line block ×3, first 2 shown]
	s_waitcnt vmcnt(58) lgkmcnt(0)
	v_mul_f64 v[107:108], v[5:6], v[45:46]
	v_mul_f64 v[45:46], v[7:8], v[45:46]
	ds_read_b128 v[1:4], v72 offset:1344
	s_waitcnt vmcnt(56)
	v_fma_f64 v[23:24], v[9:10], v[31:32], -v[23:24]
	v_fma_f64 v[31:32], v[11:12], v[31:32], v[120:121]
	v_add_f64 v[15:16], v[15:16], v[37:38]
	v_add_f64 v[13:14], v[13:14], v[19:20]
	s_clause 0x4
	buffer_load_dword v20, off, s[0:3], 0 offset:684
	buffer_load_dword v37, off, s[0:3], 0 offset:696
	;; [unrolled: 1-line block ×5, first 2 shown]
	ds_read_b128 v[9:12], v72 offset:1360
	s_waitcnt vmcnt(57) lgkmcnt(1)
	v_mul_f64 v[121:122], v[1:2], v[29:30]
	v_mul_f64 v[29:30], v[3:4], v[29:30]
	s_waitcnt vmcnt(56)
	v_fma_f64 v[45:46], v[5:6], v[101:102], -v[45:46]
	v_add_f64 v[15:16], v[15:16], v[23:24]
	v_fma_f64 v[23:24], v[7:8], v[101:102], v[107:108]
	v_add_f64 v[13:14], v[13:14], v[31:32]
	s_clause 0x2
	buffer_load_dword v38, off, s[0:3], 0 offset:700
	buffer_load_dword v32, off, s[0:3], 0 offset:676
	;; [unrolled: 1-line block ×3, first 2 shown]
	s_waitcnt vmcnt(58) lgkmcnt(0)
	v_mul_f64 v[101:102], v[9:10], v[51:52]
	v_mul_f64 v[51:52], v[11:12], v[51:52]
	ds_read_b128 v[5:8], v72 offset:1376
	s_waitcnt vmcnt(56)
	v_fma_f64 v[29:30], v[1:2], v[41:42], -v[29:30]
	v_fma_f64 v[41:42], v[3:4], v[41:42], v[121:122]
	v_add_f64 v[15:16], v[15:16], v[45:46]
	v_add_f64 v[13:14], v[13:14], v[23:24]
	s_clause 0x4
	buffer_load_dword v24, off, s[0:3], 0 offset:716
	buffer_load_dword v45, off, s[0:3], 0 offset:728
	buffer_load_dword v107, off, s[0:3], 0 offset:720
	buffer_load_dword v23, off, s[0:3], 0 offset:712
	buffer_load_dword v116, off, s[0:3], 0 offset:692
	ds_read_b128 v[1:4], v72 offset:1392
	s_waitcnt vmcnt(57) lgkmcnt(1)
	v_mul_f64 v[121:122], v[5:6], v[35:36]
	v_mul_f64 v[35:36], v[7:8], v[35:36]
	s_waitcnt vmcnt(56)
	v_fma_f64 v[51:52], v[9:10], v[53:54], -v[51:52]
	v_add_f64 v[15:16], v[15:16], v[29:30]
	v_fma_f64 v[29:30], v[11:12], v[53:54], v[101:102]
	v_add_f64 v[13:14], v[13:14], v[41:42]
	s_clause 0x2
	buffer_load_dword v46, off, s[0:3], 0 offset:732
	buffer_load_dword v42, off, s[0:3], 0 offset:708
	buffer_load_dword v41, off, s[0:3], 0 offset:704
	ds_read_b128 v[9:12], v72 offset:1408
	s_waitcnt vmcnt(58) lgkmcnt(1)
	v_mul_f64 v[53:54], v[1:2], v[77:78]
	v_mul_f64 v[77:78], v[3:4], v[77:78]
	s_waitcnt vmcnt(56)
	v_fma_f64 v[35:36], v[5:6], v[39:40], -v[35:36]
	v_fma_f64 v[39:40], v[7:8], v[39:40], v[121:122]
	v_add_f64 v[15:16], v[15:16], v[51:52]
	v_add_f64 v[13:14], v[13:14], v[29:30]
	s_clause 0x4
	buffer_load_dword v30, off, s[0:3], 0 offset:748
	buffer_load_dword v51, off, s[0:3], 0 offset:760
	buffer_load_dword v101, off, s[0:3], 0 offset:752
	buffer_load_dword v29, off, s[0:3], 0 offset:744
	buffer_load_dword v108, off, s[0:3], 0 offset:724
	ds_read_b128 v[5:8], v72 offset:1424
	s_waitcnt vmcnt(57) lgkmcnt(1)
	v_mul_f64 v[121:122], v[9:10], v[43:44]
	v_mul_f64 v[43:44], v[11:12], v[43:44]
	s_waitcnt vmcnt(56)
	v_fma_f64 v[77:78], v[1:2], v[79:80], -v[77:78]
	v_add_f64 v[15:16], v[15:16], v[35:36]
	v_fma_f64 v[35:36], v[3:4], v[79:80], v[53:54]
	v_add_f64 v[13:14], v[13:14], v[39:40]
	s_clause 0x2
	buffer_load_dword v52, off, s[0:3], 0 offset:764
	buffer_load_dword v40, off, s[0:3], 0 offset:740
	buffer_load_dword v39, off, s[0:3], 0 offset:736
	ds_read_b128 v[1:4], v72 offset:1440
	s_waitcnt vmcnt(58) lgkmcnt(1)
	v_mul_f64 v[79:80], v[7:8], v[91:92]
	v_mul_f64 v[53:54], v[5:6], v[91:92]
	s_waitcnt vmcnt(56)
	v_fma_f64 v[43:44], v[9:10], v[47:48], -v[43:44]
	v_fma_f64 v[47:48], v[11:12], v[47:48], v[121:122]
	v_add_f64 v[15:16], v[15:16], v[77:78]
	v_add_f64 v[13:14], v[13:14], v[35:36]
	s_clause 0x4
	buffer_load_dword v36, off, s[0:3], 0 offset:780
	buffer_load_dword v77, off, s[0:3], 0 offset:792
	buffer_load_dword v91, off, s[0:3], 0 offset:784
	buffer_load_dword v35, off, s[0:3], 0 offset:776
	buffer_load_dword v102, off, s[0:3], 0 offset:756
	ds_read_b128 v[9:12], v72 offset:1456
	s_waitcnt vmcnt(57) lgkmcnt(1)
	v_mul_f64 v[121:122], v[1:2], v[49:50]
	v_mul_f64 v[49:50], v[3:4], v[49:50]
	s_waitcnt vmcnt(56)
	v_fma_f64 v[79:80], v[5:6], v[99:100], -v[79:80]
	v_add_f64 v[15:16], v[15:16], v[43:44]
	v_fma_f64 v[43:44], v[7:8], v[99:100], v[53:54]
	v_add_f64 v[13:14], v[13:14], v[47:48]
	s_clause 0x2
	buffer_load_dword v78, off, s[0:3], 0 offset:796
	buffer_load_dword v48, off, s[0:3], 0 offset:772
	buffer_load_dword v47, off, s[0:3], 0 offset:768
	ds_read_b128 v[5:8], v72 offset:1472
	s_waitcnt vmcnt(58) lgkmcnt(1)
	v_mul_f64 v[53:54], v[9:10], v[55:56]
	v_mul_f64 v[55:56], v[11:12], v[55:56]
	s_waitcnt vmcnt(56)
	v_fma_f64 v[49:50], v[1:2], v[17:18], -v[49:50]
	v_fma_f64 v[17:18], v[3:4], v[17:18], v[121:122]
	v_add_f64 v[15:16], v[15:16], v[79:80]
	v_add_f64 v[13:14], v[13:14], v[43:44]
	s_clause 0x4
	buffer_load_dword v44, off, s[0:3], 0 offset:812
	buffer_load_dword v79, off, s[0:3], 0 offset:824
	buffer_load_dword v99, off, s[0:3], 0 offset:816
	buffer_load_dword v43, off, s[0:3], 0 offset:808
	buffer_load_dword v92, off, s[0:3], 0 offset:788
	ds_read_b128 v[1:4], v72 offset:1488
	s_waitcnt vmcnt(57) lgkmcnt(1)
	v_mul_f64 v[121:122], v[5:6], v[57:58]
	v_mul_f64 v[57:58], v[7:8], v[57:58]
	s_waitcnt vmcnt(56)
	v_fma_f64 v[55:56], v[9:10], v[109:110], -v[55:56]
	v_add_f64 v[15:16], v[15:16], v[49:50]
	v_fma_f64 v[49:50], v[11:12], v[109:110], v[53:54]
	v_add_f64 v[13:14], v[13:14], v[17:18]
	s_clause 0x2
	buffer_load_dword v80, off, s[0:3], 0 offset:828
	buffer_load_dword v18, off, s[0:3], 0 offset:804
	buffer_load_dword v17, off, s[0:3], 0 offset:800
	ds_read_b128 v[9:12], v72 offset:1504
	s_waitcnt vmcnt(58) lgkmcnt(1)
	v_mul_f64 v[53:54], v[1:2], v[103:104]
	v_mul_f64 v[103:104], v[3:4], v[103:104]
	s_waitcnt vmcnt(56)
	v_fma_f64 v[57:58], v[5:6], v[89:90], -v[57:58]
	v_add_f64 v[15:16], v[15:16], v[55:56]
	v_fma_f64 v[55:56], v[7:8], v[89:90], v[121:122]
	v_add_f64 v[13:14], v[13:14], v[49:50]
	s_clause 0x4
	buffer_load_dword v50, off, s[0:3], 0 offset:844
	buffer_load_dword v89, off, s[0:3], 0 offset:856
	;; [unrolled: 1-line block ×5, first 2 shown]
	ds_read_b128 v[5:8], v72 offset:1520
	s_waitcnt vmcnt(57) lgkmcnt(1)
	v_mul_f64 v[121:122], v[9:10], v[21:22]
	v_mul_f64 v[21:22], v[11:12], v[21:22]
	s_waitcnt vmcnt(56)
	v_fma_f64 v[103:104], v[1:2], v[113:114], -v[103:104]
	v_fma_f64 v[53:54], v[3:4], v[113:114], v[53:54]
	v_add_f64 v[15:16], v[15:16], v[57:58]
	v_add_f64 v[13:14], v[13:14], v[55:56]
	s_clause 0x2
	buffer_load_dword v90, off, s[0:3], 0 offset:860
	buffer_load_dword v56, off, s[0:3], 0 offset:836
	;; [unrolled: 1-line block ×3, first 2 shown]
	ds_read_b128 v[1:4], v72 offset:1536
	s_waitcnt vmcnt(58) lgkmcnt(1)
	v_mul_f64 v[57:58], v[5:6], v[111:112]
	v_mul_f64 v[111:112], v[7:8], v[111:112]
	s_waitcnt vmcnt(56)
	v_fma_f64 v[21:22], v[9:10], v[27:28], -v[21:22]
	v_fma_f64 v[27:28], v[11:12], v[27:28], v[121:122]
	v_add_f64 v[15:16], v[15:16], v[103:104]
	v_add_f64 v[13:14], v[13:14], v[53:54]
	s_clause 0x4
	buffer_load_dword v54, off, s[0:3], 0 offset:876
	buffer_load_dword v103, off, s[0:3], 0 offset:888
	;; [unrolled: 1-line block ×5, first 2 shown]
	ds_read_b128 v[9:12], v72 offset:1552
	s_waitcnt vmcnt(57) lgkmcnt(1)
	v_mul_f64 v[121:122], v[1:2], v[33:34]
	v_mul_f64 v[33:34], v[3:4], v[33:34]
	s_waitcnt vmcnt(56)
	v_fma_f64 v[111:112], v[5:6], v[117:118], -v[111:112]
	v_add_f64 v[15:16], v[15:16], v[21:22]
	v_fma_f64 v[21:22], v[7:8], v[117:118], v[57:58]
	v_add_f64 v[13:14], v[13:14], v[27:28]
	s_clause 0x2
	buffer_load_dword v104, off, s[0:3], 0 offset:892
	buffer_load_dword v28, off, s[0:3], 0 offset:868
	;; [unrolled: 1-line block ×3, first 2 shown]
	ds_read_b128 v[5:8], v72 offset:1568
	s_waitcnt vmcnt(58) lgkmcnt(1)
	v_mul_f64 v[57:58], v[9:10], v[105:106]
	v_mul_f64 v[105:106], v[11:12], v[105:106]
	s_waitcnt vmcnt(56)
	v_fma_f64 v[33:34], v[1:2], v[25:26], -v[33:34]
	v_fma_f64 v[25:26], v[3:4], v[25:26], v[121:122]
	v_add_f64 v[15:16], v[15:16], v[111:112]
	v_add_f64 v[13:14], v[13:14], v[21:22]
	s_clause 0x4
	buffer_load_dword v22, off, s[0:3], 0 offset:908
	buffer_load_dword v111, off, s[0:3], 0 offset:920
	;; [unrolled: 1-line block ×5, first 2 shown]
	ds_read_b128 v[1:4], v72 offset:1584
	s_waitcnt vmcnt(57) lgkmcnt(1)
	v_mul_f64 v[121:122], v[5:6], v[19:20]
	v_mul_f64 v[19:20], v[7:8], v[19:20]
	s_waitcnt vmcnt(56)
	v_fma_f64 v[105:106], v[9:10], v[119:120], -v[105:106]
	v_add_f64 v[15:16], v[15:16], v[33:34]
	v_fma_f64 v[33:34], v[11:12], v[119:120], v[57:58]
	v_add_f64 v[13:14], v[13:14], v[25:26]
	s_clause 0x2
	buffer_load_dword v112, off, s[0:3], 0 offset:924
	buffer_load_dword v26, off, s[0:3], 0 offset:900
	;; [unrolled: 1-line block ×3, first 2 shown]
	ds_read_b128 v[9:12], v72 offset:1600
	buffer_load_dword v118, off, s[0:3], 0 offset:916
	s_waitcnt vmcnt(59) lgkmcnt(1)
	v_mul_f64 v[57:58], v[1:2], v[37:38]
	v_mul_f64 v[37:38], v[3:4], v[37:38]
	s_waitcnt vmcnt(57)
	v_fma_f64 v[19:20], v[5:6], v[31:32], -v[19:20]
	v_fma_f64 v[31:32], v[7:8], v[31:32], v[121:122]
	ds_read_b128 v[5:8], v72 offset:1616
	v_add_f64 v[15:16], v[15:16], v[105:106]
	v_add_f64 v[13:14], v[13:14], v[33:34]
	s_waitcnt vmcnt(53) lgkmcnt(1)
	v_mul_f64 v[33:34], v[9:10], v[23:24]
	v_mul_f64 v[23:24], v[11:12], v[23:24]
	s_waitcnt vmcnt(52)
	v_fma_f64 v[37:38], v[1:2], v[115:116], -v[37:38]
	v_add_f64 v[15:16], v[15:16], v[19:20]
	v_fma_f64 v[19:20], v[3:4], v[115:116], v[57:58]
	v_add_f64 v[13:14], v[13:14], v[31:32]
	ds_read_b128 v[1:4], v72 offset:1632
	s_waitcnt vmcnt(51) lgkmcnt(1)
	v_mul_f64 v[31:32], v[5:6], v[45:46]
	v_mul_f64 v[45:46], v[7:8], v[45:46]
	s_waitcnt vmcnt(49)
	v_fma_f64 v[23:24], v[9:10], v[41:42], -v[23:24]
	v_fma_f64 v[33:34], v[11:12], v[41:42], v[33:34]
	v_add_f64 v[15:16], v[15:16], v[37:38]
	v_add_f64 v[13:14], v[13:14], v[19:20]
	s_clause 0x3
	buffer_load_dword v19, off, s[0:3], 0 offset:32
	buffer_load_dword v20, off, s[0:3], 0 offset:36
	;; [unrolled: 1-line block ×4, first 2 shown]
	ds_read_b128 v[9:12], v72 offset:1648
	s_waitcnt vmcnt(49) lgkmcnt(1)
	v_mul_f64 v[41:42], v[1:2], v[29:30]
	v_mul_f64 v[29:30], v[3:4], v[29:30]
	s_waitcnt vmcnt(48)
	v_fma_f64 v[45:46], v[5:6], v[107:108], -v[45:46]
	v_add_f64 v[15:16], v[15:16], v[23:24]
	v_fma_f64 v[23:24], v[7:8], v[107:108], v[31:32]
	v_add_f64 v[13:14], v[13:14], v[33:34]
	ds_read_b128 v[5:8], v72 offset:1664
	s_waitcnt vmcnt(47) lgkmcnt(1)
	v_mul_f64 v[33:34], v[11:12], v[51:52]
	v_mul_f64 v[31:32], v[9:10], v[51:52]
	s_waitcnt vmcnt(45)
	v_fma_f64 v[29:30], v[1:2], v[39:40], -v[29:30]
	v_fma_f64 v[39:40], v[3:4], v[39:40], v[41:42]
	ds_read_b128 v[1:4], v72 offset:1680
	v_add_f64 v[15:16], v[15:16], v[45:46]
	v_add_f64 v[13:14], v[13:14], v[23:24]
	s_waitcnt vmcnt(41) lgkmcnt(1)
	v_mul_f64 v[23:24], v[5:6], v[35:36]
	v_mul_f64 v[35:36], v[7:8], v[35:36]
	s_waitcnt vmcnt(40)
	v_fma_f64 v[33:34], v[9:10], v[101:102], -v[33:34]
	v_add_f64 v[15:16], v[15:16], v[29:30]
	v_fma_f64 v[29:30], v[11:12], v[101:102], v[31:32]
	v_add_f64 v[13:14], v[13:14], v[39:40]
	ds_read_b128 v[9:12], v72 offset:1696
	s_waitcnt vmcnt(39) lgkmcnt(1)
	v_mul_f64 v[39:40], v[3:4], v[77:78]
	v_mul_f64 v[31:32], v[1:2], v[77:78]
	s_waitcnt vmcnt(37)
	v_fma_f64 v[35:36], v[5:6], v[47:48], -v[35:36]
	v_fma_f64 v[23:24], v[7:8], v[47:48], v[23:24]
	ds_read_b128 v[5:8], v72 offset:1712
	v_add_f64 v[15:16], v[15:16], v[33:34]
	v_add_f64 v[13:14], v[13:14], v[29:30]
	s_waitcnt vmcnt(33) lgkmcnt(1)
	v_mul_f64 v[33:34], v[11:12], v[43:44]
	s_waitcnt vmcnt(32)
	v_fma_f64 v[39:40], v[1:2], v[91:92], -v[39:40]
	v_mul_f64 v[29:30], v[9:10], v[43:44]
	v_fma_f64 v[31:32], v[3:4], v[91:92], v[31:32]
	ds_read_b128 v[1:4], v72 offset:1728
	v_add_f64 v[15:16], v[15:16], v[35:36]
	v_add_f64 v[13:14], v[13:14], v[23:24]
	s_waitcnt vmcnt(31) lgkmcnt(1)
	v_mul_f64 v[35:36], v[7:8], v[79:80]
	v_mul_f64 v[23:24], v[5:6], v[79:80]
	s_waitcnt vmcnt(29)
	v_fma_f64 v[33:34], v[9:10], v[17:18], -v[33:34]
	v_fma_f64 v[17:18], v[11:12], v[17:18], v[29:30]
	ds_read_b128 v[9:12], v72 offset:1744
	v_add_f64 v[15:16], v[15:16], v[39:40]
	v_add_f64 v[13:14], v[13:14], v[31:32]
	s_waitcnt vmcnt(25) lgkmcnt(1)
	v_mul_f64 v[31:32], v[3:4], v[49:50]
	s_waitcnt vmcnt(24)
	v_fma_f64 v[35:36], v[5:6], v[99:100], -v[35:36]
	v_mul_f64 v[29:30], v[1:2], v[49:50]
	v_fma_f64 v[23:24], v[7:8], v[99:100], v[23:24]
	ds_read_b128 v[5:8], v72 offset:1760
	v_add_f64 v[15:16], v[15:16], v[33:34]
	v_add_f64 v[13:14], v[13:14], v[17:18]
	;; [unrolled: 18-line block ×3, first 2 shown]
	s_waitcnt vmcnt(15) lgkmcnt(1)
	v_mul_f64 v[31:32], v[3:4], v[103:104]
	v_mul_f64 v[29:30], v[1:2], v[103:104]
	s_waitcnt vmcnt(13)
	v_fma_f64 v[35:36], v[5:6], v[27:28], -v[35:36]
	v_fma_f64 v[23:24], v[7:8], v[27:28], v[23:24]
	ds_read_b128 v[5:8], v72 offset:1808
	v_add_f64 v[15:16], v[15:16], v[33:34]
	v_add_f64 v[13:14], v[13:14], v[17:18]
	s_waitcnt vmcnt(9) lgkmcnt(1)
	v_mul_f64 v[17:18], v[9:10], v[21:22]
	v_mul_f64 v[21:22], v[11:12], v[21:22]
	s_waitcnt vmcnt(8)
	v_fma_f64 v[1:2], v[1:2], v[113:114], -v[31:32]
	v_fma_f64 v[3:4], v[3:4], v[113:114], v[29:30]
	v_add_f64 v[15:16], v[15:16], v[35:36]
	v_add_f64 v[13:14], v[13:14], v[23:24]
	s_waitcnt vmcnt(7) lgkmcnt(0)
	v_mul_f64 v[27:28], v[7:8], v[111:112]
	v_mul_f64 v[23:24], v[5:6], v[111:112]
	s_waitcnt vmcnt(5)
	v_fma_f64 v[9:10], v[9:10], v[25:26], -v[21:22]
	v_fma_f64 v[11:12], v[11:12], v[25:26], v[17:18]
	v_add_f64 v[1:2], v[15:16], v[1:2]
	v_add_f64 v[3:4], v[13:14], v[3:4]
	s_waitcnt vmcnt(4)
	v_fma_f64 v[5:6], v[5:6], v[117:118], -v[27:28]
	v_fma_f64 v[7:8], v[7:8], v[117:118], v[23:24]
	v_add_f64 v[1:2], v[1:2], v[9:10]
	v_add_f64 v[3:4], v[3:4], v[11:12]
	;; [unrolled: 1-line block ×4, first 2 shown]
	s_waitcnt vmcnt(2)
	v_add_f64 v[1:2], v[19:20], -v[1:2]
	s_waitcnt vmcnt(0)
	v_add_f64 v[3:4], v[37:38], -v[3:4]
	buffer_store_dword v2, off, s[0:3], 0 offset:36
	buffer_store_dword v1, off, s[0:3], 0 offset:32
	;; [unrolled: 1-line block ×4, first 2 shown]
	v_cmpx_ne_u32_e32 0, v0
	s_cbranch_execz .LBB56_355
; %bb.354:
	s_clause 0x3
	buffer_load_dword v0, off, s[0:3], 0 offset:16
	buffer_load_dword v1, off, s[0:3], 0 offset:20
	;; [unrolled: 1-line block ×4, first 2 shown]
	buffer_store_dword v72, off, s[0:3], 0 offset:16
	buffer_store_dword v72, off, s[0:3], 0 offset:20
	;; [unrolled: 1-line block ×4, first 2 shown]
	s_waitcnt vmcnt(0)
	ds_write_b128 v59, v[0:3]
.LBB56_355:
	s_or_b32 exec_lo, exec_lo, s4
	s_waitcnt lgkmcnt(0)
	s_waitcnt_vscnt null, 0x0
	s_barrier
	buffer_gl0_inv
	s_clause 0x37
	buffer_load_dword v16, off, s[0:3], 0 offset:40
	buffer_load_dword v17, off, s[0:3], 0 offset:44
	buffer_load_dword v12, off, s[0:3], 0 offset:56
	buffer_load_dword v13, off, s[0:3], 0 offset:60
	buffer_load_dword v14, off, s[0:3], 0 offset:32
	buffer_load_dword v15, off, s[0:3], 0 offset:36
	buffer_load_dword v10, off, s[0:3], 0 offset:72
	buffer_load_dword v11, off, s[0:3], 0 offset:76
	buffer_load_dword v8, off, s[0:3], 0 offset:48
	buffer_load_dword v9, off, s[0:3], 0 offset:52
	buffer_load_dword v21, off, s[0:3], 0 offset:92
	buffer_load_dword v24, off, s[0:3], 0 offset:104
	buffer_load_dword v18, off, s[0:3], 0 offset:96
	buffer_load_dword v20, off, s[0:3], 0 offset:88
	buffer_load_dword v32, off, s[0:3], 0 offset:64
	buffer_load_dword v33, off, s[0:3], 0 offset:68
	buffer_load_dword v25, off, s[0:3], 0 offset:108
	buffer_load_dword v27, off, s[0:3], 0 offset:84
	buffer_load_dword v26, off, s[0:3], 0 offset:80
	buffer_load_dword v29, off, s[0:3], 0 offset:124
	buffer_load_dword v34, off, s[0:3], 0 offset:136
	buffer_load_dword v22, off, s[0:3], 0 offset:128
	buffer_load_dword v28, off, s[0:3], 0 offset:120
	buffer_load_dword v19, off, s[0:3], 0 offset:100
	buffer_load_dword v35, off, s[0:3], 0 offset:140
	buffer_load_dword v37, off, s[0:3], 0 offset:116
	buffer_load_dword v36, off, s[0:3], 0 offset:112
	buffer_load_dword v39, off, s[0:3], 0 offset:156
	buffer_load_dword v42, off, s[0:3], 0 offset:168
	buffer_load_dword v30, off, s[0:3], 0 offset:160
	buffer_load_dword v38, off, s[0:3], 0 offset:152
	buffer_load_dword v23, off, s[0:3], 0 offset:132
	buffer_load_dword v43, off, s[0:3], 0 offset:172
	buffer_load_dword v45, off, s[0:3], 0 offset:148
	buffer_load_dword v44, off, s[0:3], 0 offset:144
	buffer_load_dword v47, off, s[0:3], 0 offset:188
	buffer_load_dword v50, off, s[0:3], 0 offset:200
	buffer_load_dword v40, off, s[0:3], 0 offset:192
	buffer_load_dword v46, off, s[0:3], 0 offset:184
	buffer_load_dword v31, off, s[0:3], 0 offset:164
	buffer_load_dword v51, off, s[0:3], 0 offset:204
	buffer_load_dword v53, off, s[0:3], 0 offset:180
	buffer_load_dword v52, off, s[0:3], 0 offset:176
	buffer_load_dword v55, off, s[0:3], 0 offset:220
	buffer_load_dword v58, off, s[0:3], 0 offset:232
	buffer_load_dword v48, off, s[0:3], 0 offset:224
	buffer_load_dword v54, off, s[0:3], 0 offset:216
	buffer_load_dword v41, off, s[0:3], 0 offset:196
	buffer_load_dword v59, off, s[0:3], 0 offset:236
	buffer_load_dword v78, off, s[0:3], 0 offset:212
	buffer_load_dword v77, off, s[0:3], 0 offset:208
	buffer_load_dword v80, off, s[0:3], 0 offset:252
	buffer_load_dword v89, off, s[0:3], 0 offset:264
	buffer_load_dword v56, off, s[0:3], 0 offset:256
	buffer_load_dword v79, off, s[0:3], 0 offset:248
	buffer_load_dword v49, off, s[0:3], 0 offset:228
	ds_read_b128 v[4:7], v72 offset:928
	s_clause 0x2
	buffer_load_dword v90, off, s[0:3], 0 offset:268
	buffer_load_dword v92, off, s[0:3], 0 offset:244
	;; [unrolled: 1-line block ×3, first 2 shown]
	ds_read_b128 v[0:3], v72 offset:944
	s_clause 0x4
	buffer_load_dword v106, off, s[0:3], 0 offset:284
	buffer_load_dword v107, off, s[0:3], 0 offset:296
	;; [unrolled: 1-line block ×5, first 2 shown]
	ds_read_b128 v[99:102], v72 offset:960
	s_and_b32 vcc_lo, exec_lo, s69
	s_waitcnt vmcnt(62) lgkmcnt(2)
	v_mul_f64 v[103:104], v[6:7], v[16:17]
	v_mul_f64 v[16:17], v[4:5], v[16:17]
	s_waitcnt vmcnt(60) lgkmcnt(1)
	v_mul_f64 v[110:111], v[2:3], v[12:13]
	v_mul_f64 v[12:13], v[0:1], v[12:13]
	s_waitcnt vmcnt(56) lgkmcnt(0)
	v_mul_f64 v[112:113], v[99:100], v[10:11]
	v_mul_f64 v[10:11], v[101:102], v[10:11]
	v_fma_f64 v[103:104], v[4:5], v[14:15], -v[103:104]
	v_fma_f64 v[14:15], v[6:7], v[14:15], v[16:17]
	s_clause 0x2
	buffer_load_dword v108, off, s[0:3], 0 offset:300
	buffer_load_dword v17, off, s[0:3], 0 offset:276
	;; [unrolled: 1-line block ×3, first 2 shown]
	s_waitcnt vmcnt(57)
	v_fma_f64 v[114:115], v[0:1], v[8:9], -v[110:111]
	ds_read_b128 v[4:7], v72 offset:976
	v_fma_f64 v[8:9], v[2:3], v[8:9], v[12:13]
	s_waitcnt vmcnt(51)
	v_fma_f64 v[99:100], v[99:100], v[32:33], -v[10:11]
	v_fma_f64 v[32:33], v[101:102], v[32:33], v[112:113]
	v_add_f64 v[103:104], v[103:104], 0
	v_add_f64 v[12:13], v[14:15], 0
	s_clause 0x4
	buffer_load_dword v15, off, s[0:3], 0 offset:316
	buffer_load_dword v111, off, s[0:3], 0 offset:328
	;; [unrolled: 1-line block ×5, first 2 shown]
	s_waitcnt lgkmcnt(0)
	v_mul_f64 v[117:118], v[4:5], v[20:21]
	v_mul_f64 v[20:21], v[6:7], v[20:21]
	ds_read_b128 v[0:3], v72 offset:992
	s_clause 0x2
	buffer_load_dword v112, off, s[0:3], 0 offset:332
	buffer_load_dword v102, off, s[0:3], 0 offset:308
	;; [unrolled: 1-line block ×3, first 2 shown]
	v_add_f64 v[103:104], v[103:104], v[114:115]
	v_add_f64 v[12:13], v[12:13], v[8:9]
	ds_read_b128 v[8:11], v72 offset:1008
	s_waitcnt vmcnt(58) lgkmcnt(1)
	v_mul_f64 v[113:114], v[0:1], v[24:25]
	v_mul_f64 v[24:25], v[2:3], v[24:25]
	s_waitcnt vmcnt(56)
	v_fma_f64 v[20:21], v[4:5], v[26:27], -v[20:21]
	v_fma_f64 v[26:27], v[6:7], v[26:27], v[117:118]
	s_waitcnt vmcnt(52) lgkmcnt(0)
	v_mul_f64 v[119:120], v[8:9], v[28:29]
	v_add_f64 v[99:100], v[103:104], v[99:100]
	v_add_f64 v[12:13], v[12:13], v[32:33]
	s_clause 0x4
	buffer_load_dword v33, off, s[0:3], 0 offset:348
	buffer_load_dword v103, off, s[0:3], 0 offset:360
	;; [unrolled: 1-line block ×5, first 2 shown]
	v_mul_f64 v[28:29], v[10:11], v[28:29]
	s_waitcnt vmcnt(56)
	v_fma_f64 v[24:25], v[0:1], v[18:19], -v[24:25]
	ds_read_b128 v[4:7], v72 offset:1024
	v_fma_f64 v[18:19], v[2:3], v[18:19], v[113:114]
	v_add_f64 v[20:21], v[99:100], v[20:21]
	v_add_f64 v[12:13], v[12:13], v[26:27]
	s_clause 0x2
	buffer_load_dword v104, off, s[0:3], 0 offset:364
	buffer_load_dword v27, off, s[0:3], 0 offset:340
	;; [unrolled: 1-line block ×3, first 2 shown]
	s_waitcnt vmcnt(58) lgkmcnt(0)
	v_mul_f64 v[99:100], v[4:5], v[34:35]
	v_mul_f64 v[34:35], v[6:7], v[34:35]
	s_waitcnt vmcnt(56)
	v_fma_f64 v[28:29], v[8:9], v[36:37], -v[28:29]
	ds_read_b128 v[0:3], v72 offset:1040
	v_add_f64 v[20:21], v[20:21], v[24:25]
	v_fma_f64 v[24:25], v[10:11], v[36:37], v[119:120]
	v_add_f64 v[12:13], v[12:13], v[18:19]
	s_clause 0x4
	buffer_load_dword v19, off, s[0:3], 0 offset:380
	buffer_load_dword v36, off, s[0:3], 0 offset:392
	;; [unrolled: 1-line block ×5, first 2 shown]
	s_waitcnt vmcnt(57) lgkmcnt(0)
	v_mul_f64 v[114:115], v[0:1], v[38:39]
	v_mul_f64 v[38:39], v[2:3], v[38:39]
	s_waitcnt vmcnt(56)
	v_fma_f64 v[34:35], v[4:5], v[22:23], -v[34:35]
	ds_read_b128 v[8:11], v72 offset:1056
	v_fma_f64 v[22:23], v[6:7], v[22:23], v[99:100]
	v_add_f64 v[20:21], v[20:21], v[28:29]
	v_add_f64 v[12:13], v[12:13], v[24:25]
	s_clause 0x2
	buffer_load_dword v37, off, s[0:3], 0 offset:396
	buffer_load_dword v25, off, s[0:3], 0 offset:372
	;; [unrolled: 1-line block ×3, first 2 shown]
	ds_read_b128 v[4:7], v72 offset:1072
	s_waitcnt vmcnt(58) lgkmcnt(1)
	v_mul_f64 v[28:29], v[8:9], v[42:43]
	v_mul_f64 v[42:43], v[10:11], v[42:43]
	s_waitcnt vmcnt(56)
	v_fma_f64 v[38:39], v[0:1], v[44:45], -v[38:39]
	v_add_f64 v[20:21], v[20:21], v[34:35]
	v_fma_f64 v[34:35], v[2:3], v[44:45], v[114:115]
	v_add_f64 v[12:13], v[12:13], v[22:23]
	s_clause 0x4
	buffer_load_dword v23, off, s[0:3], 0 offset:412
	buffer_load_dword v44, off, s[0:3], 0 offset:424
	;; [unrolled: 1-line block ×5, first 2 shown]
	s_waitcnt vmcnt(57) lgkmcnt(0)
	v_mul_f64 v[120:121], v[4:5], v[46:47]
	v_mul_f64 v[46:47], v[6:7], v[46:47]
	s_waitcnt vmcnt(56)
	v_fma_f64 v[42:43], v[8:9], v[30:31], -v[42:43]
	ds_read_b128 v[0:3], v72 offset:1088
	v_fma_f64 v[28:29], v[10:11], v[30:31], v[28:29]
	s_clause 0x2
	buffer_load_dword v45, off, s[0:3], 0 offset:428
	buffer_load_dword v31, off, s[0:3], 0 offset:404
	;; [unrolled: 1-line block ×3, first 2 shown]
	ds_read_b128 v[8:11], v72 offset:1104
	v_add_f64 v[20:21], v[20:21], v[38:39]
	v_add_f64 v[12:13], v[12:13], v[34:35]
	s_waitcnt vmcnt(58) lgkmcnt(1)
	v_mul_f64 v[38:39], v[2:3], v[50:51]
	s_waitcnt vmcnt(56)
	v_fma_f64 v[46:47], v[4:5], v[52:53], -v[46:47]
	v_mul_f64 v[34:35], v[0:1], v[50:51]
	v_add_f64 v[20:21], v[20:21], v[42:43]
	v_fma_f64 v[42:43], v[6:7], v[52:53], v[120:121]
	v_add_f64 v[12:13], v[12:13], v[28:29]
	s_clause 0x4
	buffer_load_dword v29, off, s[0:3], 0 offset:444
	buffer_load_dword v50, off, s[0:3], 0 offset:456
	;; [unrolled: 1-line block ×5, first 2 shown]
	s_waitcnt vmcnt(57) lgkmcnt(0)
	v_mul_f64 v[120:121], v[8:9], v[54:55]
	v_mul_f64 v[53:54], v[10:11], v[54:55]
	s_waitcnt vmcnt(56)
	v_fma_f64 v[38:39], v[0:1], v[40:41], -v[38:39]
	ds_read_b128 v[4:7], v72 offset:1120
	v_fma_f64 v[34:35], v[2:3], v[40:41], v[34:35]
	s_clause 0x2
	buffer_load_dword v51, off, s[0:3], 0 offset:460
	buffer_load_dword v41, off, s[0:3], 0 offset:436
	;; [unrolled: 1-line block ×3, first 2 shown]
	ds_read_b128 v[0:3], v72 offset:1136
	v_add_f64 v[20:21], v[20:21], v[46:47]
	v_add_f64 v[12:13], v[12:13], v[42:43]
	s_waitcnt vmcnt(58) lgkmcnt(1)
	v_mul_f64 v[46:47], v[6:7], v[58:59]
	s_waitcnt vmcnt(56)
	v_fma_f64 v[54:55], v[8:9], v[77:78], -v[53:54]
	v_mul_f64 v[42:43], v[4:5], v[58:59]
	v_add_f64 v[20:21], v[20:21], v[38:39]
	v_fma_f64 v[38:39], v[10:11], v[77:78], v[120:121]
	v_add_f64 v[12:13], v[12:13], v[34:35]
	s_clause 0x4
	buffer_load_dword v35, off, s[0:3], 0 offset:476
	buffer_load_dword v58, off, s[0:3], 0 offset:488
	;; [unrolled: 1-line block ×5, first 2 shown]
	s_waitcnt vmcnt(57) lgkmcnt(0)
	v_mul_f64 v[120:121], v[0:1], v[79:80]
	v_mul_f64 v[78:79], v[2:3], v[79:80]
	s_waitcnt vmcnt(56)
	v_fma_f64 v[46:47], v[4:5], v[48:49], -v[46:47]
	ds_read_b128 v[8:11], v72 offset:1152
	v_fma_f64 v[42:43], v[6:7], v[48:49], v[42:43]
	v_add_f64 v[20:21], v[20:21], v[54:55]
	v_add_f64 v[12:13], v[12:13], v[38:39]
	s_clause 0x2
	buffer_load_dword v59, off, s[0:3], 0 offset:492
	buffer_load_dword v39, off, s[0:3], 0 offset:468
	;; [unrolled: 1-line block ×3, first 2 shown]
	ds_read_b128 v[4:7], v72 offset:1168
	s_waitcnt vmcnt(58) lgkmcnt(1)
	v_mul_f64 v[54:55], v[10:11], v[89:90]
	s_waitcnt vmcnt(56)
	v_fma_f64 v[79:80], v[0:1], v[91:92], -v[78:79]
	v_mul_f64 v[48:49], v[8:9], v[89:90]
	v_add_f64 v[20:21], v[20:21], v[46:47]
	v_fma_f64 v[46:47], v[2:3], v[91:92], v[120:121]
	v_add_f64 v[12:13], v[12:13], v[42:43]
	s_clause 0x4
	buffer_load_dword v43, off, s[0:3], 0 offset:508
	buffer_load_dword v89, off, s[0:3], 0 offset:520
	;; [unrolled: 1-line block ×5, first 2 shown]
	s_waitcnt vmcnt(57) lgkmcnt(0)
	v_mul_f64 v[120:121], v[4:5], v[105:106]
	v_mul_f64 v[105:106], v[6:7], v[105:106]
	s_waitcnt vmcnt(56)
	v_fma_f64 v[54:55], v[8:9], v[56:57], -v[54:55]
	ds_read_b128 v[0:3], v72 offset:1184
	v_fma_f64 v[48:49], v[10:11], v[56:57], v[48:49]
	v_add_f64 v[20:21], v[20:21], v[79:80]
	v_add_f64 v[12:13], v[12:13], v[46:47]
	s_clause 0x2
	buffer_load_dword v90, off, s[0:3], 0 offset:524
	buffer_load_dword v47, off, s[0:3], 0 offset:500
	;; [unrolled: 1-line block ×3, first 2 shown]
	ds_read_b128 v[8:11], v72 offset:1200
	s_waitcnt vmcnt(58) lgkmcnt(1)
	v_mul_f64 v[79:80], v[2:3], v[107:108]
	v_mul_f64 v[56:57], v[0:1], v[107:108]
	s_waitcnt vmcnt(56)
	v_fma_f64 v[105:106], v[4:5], v[16:17], -v[105:106]
	v_fma_f64 v[16:17], v[6:7], v[16:17], v[120:121]
	v_add_f64 v[20:21], v[20:21], v[54:55]
	v_add_f64 v[12:13], v[12:13], v[48:49]
	s_clause 0x4
	buffer_load_dword v49, off, s[0:3], 0 offset:540
	buffer_load_dword v54, off, s[0:3], 0 offset:552
	;; [unrolled: 1-line block ×5, first 2 shown]
	ds_read_b128 v[4:7], v72 offset:1216
	s_waitcnt vmcnt(57) lgkmcnt(1)
	v_mul_f64 v[120:121], v[8:9], v[14:15]
	v_mul_f64 v[14:15], v[10:11], v[14:15]
	s_waitcnt vmcnt(56)
	v_fma_f64 v[79:80], v[0:1], v[109:110], -v[79:80]
	v_fma_f64 v[56:57], v[2:3], v[109:110], v[56:57]
	v_add_f64 v[20:21], v[20:21], v[105:106]
	v_add_f64 v[12:13], v[12:13], v[16:17]
	s_clause 0x2
	buffer_load_dword v55, off, s[0:3], 0 offset:556
	buffer_load_dword v17, off, s[0:3], 0 offset:532
	;; [unrolled: 1-line block ×3, first 2 shown]
	s_waitcnt vmcnt(58) lgkmcnt(0)
	v_mul_f64 v[109:110], v[6:7], v[111:112]
	ds_read_b128 v[0:3], v72 offset:1232
	v_mul_f64 v[105:106], v[4:5], v[111:112]
	s_waitcnt vmcnt(56)
	v_fma_f64 v[14:15], v[8:9], v[101:102], -v[14:15]
	v_add_f64 v[20:21], v[20:21], v[79:80]
	v_fma_f64 v[79:80], v[10:11], v[101:102], v[120:121]
	v_add_f64 v[12:13], v[12:13], v[56:57]
	s_clause 0x4
	buffer_load_dword v57, off, s[0:3], 0 offset:572
	buffer_load_dword v101, off, s[0:3], 0 offset:584
	;; [unrolled: 1-line block ×5, first 2 shown]
	ds_read_b128 v[8:11], v72 offset:1248
	s_waitcnt vmcnt(57) lgkmcnt(1)
	v_mul_f64 v[120:121], v[0:1], v[32:33]
	v_mul_f64 v[32:33], v[2:3], v[32:33]
	s_waitcnt vmcnt(56)
	v_fma_f64 v[109:110], v[4:5], v[116:117], -v[109:110]
	v_add_f64 v[14:15], v[20:21], v[14:15]
	v_fma_f64 v[20:21], v[6:7], v[116:117], v[105:106]
	v_add_f64 v[12:13], v[12:13], v[79:80]
	s_clause 0x2
	buffer_load_dword v102, off, s[0:3], 0 offset:588
	buffer_load_dword v80, off, s[0:3], 0 offset:564
	;; [unrolled: 1-line block ×3, first 2 shown]
	ds_read_b128 v[4:7], v72 offset:1264
	s_waitcnt vmcnt(58) lgkmcnt(1)
	v_mul_f64 v[105:106], v[8:9], v[103:104]
	v_mul_f64 v[103:104], v[10:11], v[103:104]
	s_waitcnt vmcnt(56)
	v_fma_f64 v[32:33], v[0:1], v[26:27], -v[32:33]
	v_fma_f64 v[26:27], v[2:3], v[26:27], v[120:121]
	v_add_f64 v[14:15], v[14:15], v[109:110]
	v_add_f64 v[12:13], v[12:13], v[20:21]
	s_clause 0x4
	buffer_load_dword v21, off, s[0:3], 0 offset:604
	buffer_load_dword v109, off, s[0:3], 0 offset:616
	;; [unrolled: 1-line block ×5, first 2 shown]
	ds_read_b128 v[0:3], v72 offset:1280
	s_waitcnt vmcnt(57) lgkmcnt(1)
	v_mul_f64 v[116:117], v[4:5], v[18:19]
	v_mul_f64 v[18:19], v[6:7], v[18:19]
	s_waitcnt vmcnt(56)
	v_fma_f64 v[103:104], v[8:9], v[118:119], -v[103:104]
	v_add_f64 v[14:15], v[14:15], v[32:33]
	v_fma_f64 v[32:33], v[10:11], v[118:119], v[105:106]
	v_add_f64 v[12:13], v[12:13], v[26:27]
	s_clause 0x2
	buffer_load_dword v110, off, s[0:3], 0 offset:620
	buffer_load_dword v27, off, s[0:3], 0 offset:596
	;; [unrolled: 1-line block ×3, first 2 shown]
	ds_read_b128 v[8:11], v72 offset:1296
	s_waitcnt vmcnt(58) lgkmcnt(1)
	v_mul_f64 v[105:106], v[0:1], v[36:37]
	v_mul_f64 v[36:37], v[2:3], v[36:37]
	s_waitcnt vmcnt(56)
	v_fma_f64 v[18:19], v[4:5], v[24:25], -v[18:19]
	v_fma_f64 v[24:25], v[6:7], v[24:25], v[116:117]
	v_add_f64 v[14:15], v[14:15], v[103:104]
	v_add_f64 v[12:13], v[12:13], v[32:33]
	s_clause 0x4
	buffer_load_dword v33, off, s[0:3], 0 offset:636
	buffer_load_dword v103, off, s[0:3], 0 offset:648
	;; [unrolled: 1-line block ×5, first 2 shown]
	ds_read_b128 v[4:7], v72 offset:1312
	s_waitcnt vmcnt(57) lgkmcnt(1)
	v_mul_f64 v[118:119], v[8:9], v[22:23]
	v_mul_f64 v[22:23], v[10:11], v[22:23]
	s_waitcnt vmcnt(56)
	v_fma_f64 v[36:37], v[0:1], v[113:114], -v[36:37]
	v_add_f64 v[14:15], v[14:15], v[18:19]
	v_fma_f64 v[18:19], v[2:3], v[113:114], v[105:106]
	v_add_f64 v[12:13], v[12:13], v[24:25]
	s_clause 0x2
	buffer_load_dword v104, off, s[0:3], 0 offset:652
	buffer_load_dword v25, off, s[0:3], 0 offset:628
	;; [unrolled: 1-line block ×3, first 2 shown]
	s_waitcnt vmcnt(58) lgkmcnt(0)
	v_mul_f64 v[105:106], v[4:5], v[44:45]
	v_mul_f64 v[44:45], v[6:7], v[44:45]
	ds_read_b128 v[0:3], v72 offset:1328
	s_waitcnt vmcnt(56)
	v_fma_f64 v[22:23], v[8:9], v[30:31], -v[22:23]
	v_fma_f64 v[30:31], v[10:11], v[30:31], v[118:119]
	v_add_f64 v[14:15], v[14:15], v[36:37]
	v_add_f64 v[12:13], v[12:13], v[18:19]
	s_clause 0x4
	buffer_load_dword v19, off, s[0:3], 0 offset:668
	buffer_load_dword v36, off, s[0:3], 0 offset:680
	;; [unrolled: 1-line block ×5, first 2 shown]
	ds_read_b128 v[8:11], v72 offset:1344
	s_waitcnt vmcnt(57) lgkmcnt(1)
	v_mul_f64 v[119:120], v[0:1], v[28:29]
	v_mul_f64 v[28:29], v[2:3], v[28:29]
	s_waitcnt vmcnt(56)
	v_fma_f64 v[44:45], v[4:5], v[99:100], -v[44:45]
	v_add_f64 v[14:15], v[14:15], v[22:23]
	v_fma_f64 v[22:23], v[6:7], v[99:100], v[105:106]
	v_add_f64 v[12:13], v[12:13], v[30:31]
	s_clause 0x2
	buffer_load_dword v37, off, s[0:3], 0 offset:684
	buffer_load_dword v31, off, s[0:3], 0 offset:660
	;; [unrolled: 1-line block ×3, first 2 shown]
	s_waitcnt vmcnt(58) lgkmcnt(0)
	v_mul_f64 v[99:100], v[8:9], v[50:51]
	v_mul_f64 v[50:51], v[10:11], v[50:51]
	ds_read_b128 v[4:7], v72 offset:1360
	s_waitcnt vmcnt(56)
	v_fma_f64 v[28:29], v[0:1], v[40:41], -v[28:29]
	v_fma_f64 v[40:41], v[2:3], v[40:41], v[119:120]
	v_add_f64 v[14:15], v[14:15], v[44:45]
	v_add_f64 v[12:13], v[12:13], v[22:23]
	s_clause 0x4
	buffer_load_dword v23, off, s[0:3], 0 offset:700
	buffer_load_dword v44, off, s[0:3], 0 offset:712
	buffer_load_dword v105, off, s[0:3], 0 offset:704
	buffer_load_dword v22, off, s[0:3], 0 offset:696
	buffer_load_dword v114, off, s[0:3], 0 offset:676
	ds_read_b128 v[0:3], v72 offset:1376
	s_waitcnt vmcnt(57) lgkmcnt(1)
	v_mul_f64 v[119:120], v[4:5], v[34:35]
	v_mul_f64 v[34:35], v[6:7], v[34:35]
	s_waitcnt vmcnt(56)
	v_fma_f64 v[50:51], v[8:9], v[52:53], -v[50:51]
	v_add_f64 v[14:15], v[14:15], v[28:29]
	v_fma_f64 v[28:29], v[10:11], v[52:53], v[99:100]
	v_add_f64 v[12:13], v[12:13], v[40:41]
	s_clause 0x2
	buffer_load_dword v45, off, s[0:3], 0 offset:716
	buffer_load_dword v41, off, s[0:3], 0 offset:692
	buffer_load_dword v40, off, s[0:3], 0 offset:688
	ds_read_b128 v[8:11], v72 offset:1392
	s_waitcnt vmcnt(58) lgkmcnt(1)
	v_mul_f64 v[52:53], v[0:1], v[58:59]
	v_mul_f64 v[58:59], v[2:3], v[58:59]
	s_waitcnt vmcnt(56)
	v_fma_f64 v[34:35], v[4:5], v[38:39], -v[34:35]
	v_fma_f64 v[38:39], v[6:7], v[38:39], v[119:120]
	v_add_f64 v[14:15], v[14:15], v[50:51]
	v_add_f64 v[12:13], v[12:13], v[28:29]
	s_clause 0x4
	buffer_load_dword v29, off, s[0:3], 0 offset:732
	buffer_load_dword v50, off, s[0:3], 0 offset:744
	buffer_load_dword v99, off, s[0:3], 0 offset:736
	buffer_load_dword v28, off, s[0:3], 0 offset:728
	buffer_load_dword v106, off, s[0:3], 0 offset:708
	ds_read_b128 v[4:7], v72 offset:1408
	s_waitcnt vmcnt(57) lgkmcnt(1)
	v_mul_f64 v[119:120], v[8:9], v[42:43]
	v_mul_f64 v[42:43], v[10:11], v[42:43]
	s_waitcnt vmcnt(56)
	v_fma_f64 v[58:59], v[0:1], v[77:78], -v[58:59]
	v_add_f64 v[14:15], v[14:15], v[34:35]
	v_fma_f64 v[34:35], v[2:3], v[77:78], v[52:53]
	v_add_f64 v[12:13], v[12:13], v[38:39]
	s_clause 0x2
	buffer_load_dword v51, off, s[0:3], 0 offset:748
	buffer_load_dword v39, off, s[0:3], 0 offset:724
	buffer_load_dword v38, off, s[0:3], 0 offset:720
	ds_read_b128 v[0:3], v72 offset:1424
	s_waitcnt vmcnt(58) lgkmcnt(1)
	v_mul_f64 v[77:78], v[6:7], v[89:90]
	v_mul_f64 v[52:53], v[4:5], v[89:90]
	;; [unrolled: 28-line block ×4, first 2 shown]
	s_waitcnt vmcnt(56)
	v_fma_f64 v[56:57], v[4:5], v[79:80], -v[56:57]
	v_add_f64 v[14:15], v[14:15], v[54:55]
	v_fma_f64 v[54:55], v[6:7], v[79:80], v[119:120]
	v_add_f64 v[12:13], v[12:13], v[48:49]
	s_clause 0x4
	buffer_load_dword v49, off, s[0:3], 0 offset:828
	buffer_load_dword v79, off, s[0:3], 0 offset:840
	;; [unrolled: 1-line block ×5, first 2 shown]
	ds_read_b128 v[4:7], v72 offset:1504
	s_waitcnt vmcnt(57) lgkmcnt(1)
	v_mul_f64 v[119:120], v[8:9], v[20:21]
	v_mul_f64 v[20:21], v[10:11], v[20:21]
	s_waitcnt vmcnt(56)
	v_fma_f64 v[101:102], v[0:1], v[111:112], -v[101:102]
	v_fma_f64 v[52:53], v[2:3], v[111:112], v[52:53]
	v_add_f64 v[14:15], v[14:15], v[56:57]
	v_add_f64 v[12:13], v[12:13], v[54:55]
	s_clause 0x2
	buffer_load_dword v80, off, s[0:3], 0 offset:844
	buffer_load_dword v55, off, s[0:3], 0 offset:820
	;; [unrolled: 1-line block ×3, first 2 shown]
	ds_read_b128 v[0:3], v72 offset:1520
	s_waitcnt vmcnt(58) lgkmcnt(1)
	v_mul_f64 v[56:57], v[4:5], v[109:110]
	v_mul_f64 v[109:110], v[6:7], v[109:110]
	s_waitcnt vmcnt(56)
	v_fma_f64 v[20:21], v[8:9], v[26:27], -v[20:21]
	v_fma_f64 v[26:27], v[10:11], v[26:27], v[119:120]
	v_add_f64 v[14:15], v[14:15], v[101:102]
	v_add_f64 v[12:13], v[12:13], v[52:53]
	s_clause 0x4
	buffer_load_dword v53, off, s[0:3], 0 offset:860
	buffer_load_dword v101, off, s[0:3], 0 offset:872
	;; [unrolled: 1-line block ×5, first 2 shown]
	ds_read_b128 v[8:11], v72 offset:1536
	s_waitcnt vmcnt(57) lgkmcnt(1)
	v_mul_f64 v[119:120], v[0:1], v[32:33]
	v_mul_f64 v[32:33], v[2:3], v[32:33]
	s_waitcnt vmcnt(56)
	v_fma_f64 v[109:110], v[4:5], v[115:116], -v[109:110]
	v_add_f64 v[14:15], v[14:15], v[20:21]
	v_fma_f64 v[20:21], v[6:7], v[115:116], v[56:57]
	v_add_f64 v[12:13], v[12:13], v[26:27]
	s_clause 0x2
	buffer_load_dword v102, off, s[0:3], 0 offset:876
	buffer_load_dword v27, off, s[0:3], 0 offset:852
	;; [unrolled: 1-line block ×3, first 2 shown]
	ds_read_b128 v[4:7], v72 offset:1552
	s_waitcnt vmcnt(58) lgkmcnt(1)
	v_mul_f64 v[56:57], v[8:9], v[103:104]
	v_mul_f64 v[103:104], v[10:11], v[103:104]
	s_waitcnt vmcnt(56)
	v_fma_f64 v[32:33], v[0:1], v[24:25], -v[32:33]
	v_fma_f64 v[24:25], v[2:3], v[24:25], v[119:120]
	v_add_f64 v[14:15], v[14:15], v[109:110]
	v_add_f64 v[12:13], v[12:13], v[20:21]
	s_clause 0x4
	buffer_load_dword v21, off, s[0:3], 0 offset:892
	buffer_load_dword v109, off, s[0:3], 0 offset:904
	;; [unrolled: 1-line block ×5, first 2 shown]
	ds_read_b128 v[0:3], v72 offset:1568
	s_waitcnt vmcnt(57) lgkmcnt(1)
	v_mul_f64 v[119:120], v[4:5], v[18:19]
	v_mul_f64 v[18:19], v[6:7], v[18:19]
	s_waitcnt vmcnt(56)
	v_fma_f64 v[103:104], v[8:9], v[117:118], -v[103:104]
	v_add_f64 v[14:15], v[14:15], v[32:33]
	v_fma_f64 v[32:33], v[10:11], v[117:118], v[56:57]
	v_add_f64 v[12:13], v[12:13], v[24:25]
	s_clause 0x2
	buffer_load_dword v110, off, s[0:3], 0 offset:908
	buffer_load_dword v25, off, s[0:3], 0 offset:884
	;; [unrolled: 1-line block ×3, first 2 shown]
	ds_read_b128 v[8:11], v72 offset:1584
	s_waitcnt vmcnt(58) lgkmcnt(1)
	v_mul_f64 v[56:57], v[0:1], v[36:37]
	v_mul_f64 v[36:37], v[2:3], v[36:37]
	s_waitcnt vmcnt(56)
	v_fma_f64 v[18:19], v[4:5], v[30:31], -v[18:19]
	v_fma_f64 v[30:31], v[6:7], v[30:31], v[119:120]
	v_add_f64 v[14:15], v[14:15], v[103:104]
	v_add_f64 v[12:13], v[12:13], v[32:33]
	s_clause 0x2
	buffer_load_dword v33, off, s[0:3], 0 offset:924
	buffer_load_dword v32, off, s[0:3], 0 offset:920
	;; [unrolled: 1-line block ×3, first 2 shown]
	ds_read_b128 v[4:7], v72 offset:1600
	s_waitcnt vmcnt(55) lgkmcnt(1)
	v_mul_f64 v[103:104], v[8:9], v[22:23]
	v_mul_f64 v[22:23], v[10:11], v[22:23]
	s_waitcnt vmcnt(54)
	v_fma_f64 v[36:37], v[0:1], v[113:114], -v[36:37]
	v_add_f64 v[14:15], v[14:15], v[18:19]
	v_fma_f64 v[18:19], v[2:3], v[113:114], v[56:57]
	v_add_f64 v[12:13], v[12:13], v[30:31]
	s_clause 0x1
	buffer_load_dword v31, off, s[0:3], 0 offset:916
	buffer_load_dword v30, off, s[0:3], 0 offset:912
	ds_read_b128 v[0:3], v72 offset:1616
	s_waitcnt vmcnt(55) lgkmcnt(1)
	v_mul_f64 v[56:57], v[4:5], v[44:45]
	v_mul_f64 v[44:45], v[6:7], v[44:45]
	s_waitcnt vmcnt(53)
	v_fma_f64 v[22:23], v[8:9], v[40:41], -v[22:23]
	v_add_f64 v[14:15], v[14:15], v[36:37]
	v_fma_f64 v[36:37], v[10:11], v[40:41], v[103:104]
	v_add_f64 v[12:13], v[12:13], v[18:19]
	ds_read_b128 v[8:11], v72 offset:1632
	s_waitcnt vmcnt(49) lgkmcnt(1)
	v_mul_f64 v[18:19], v[0:1], v[28:29]
	v_mul_f64 v[28:29], v[2:3], v[28:29]
	s_waitcnt vmcnt(48)
	v_fma_f64 v[40:41], v[4:5], v[105:106], -v[44:45]
	v_add_f64 v[14:15], v[14:15], v[22:23]
	v_fma_f64 v[22:23], v[6:7], v[105:106], v[56:57]
	v_add_f64 v[12:13], v[12:13], v[36:37]
	s_clause 0x3
	buffer_load_dword v36, off, s[0:3], 0 offset:16
	buffer_load_dword v37, off, s[0:3], 0 offset:20
	;; [unrolled: 1-line block ×4, first 2 shown]
	ds_read_b128 v[4:7], v72 offset:1648
	s_waitcnt vmcnt(51) lgkmcnt(1)
	v_mul_f64 v[56:57], v[8:9], v[50:51]
	v_mul_f64 v[50:51], v[10:11], v[50:51]
	s_waitcnt vmcnt(49)
	v_fma_f64 v[28:29], v[0:1], v[38:39], -v[28:29]
	v_fma_f64 v[18:19], v[2:3], v[38:39], v[18:19]
	ds_read_b128 v[0:3], v72 offset:1664
	v_add_f64 v[14:15], v[14:15], v[40:41]
	v_add_f64 v[12:13], v[12:13], v[22:23]
	s_waitcnt vmcnt(45) lgkmcnt(1)
	v_mul_f64 v[22:23], v[4:5], v[34:35]
	v_mul_f64 v[34:35], v[6:7], v[34:35]
	s_waitcnt vmcnt(44)
	v_fma_f64 v[38:39], v[8:9], v[99:100], -v[50:51]
	v_add_f64 v[14:15], v[14:15], v[28:29]
	v_fma_f64 v[28:29], v[10:11], v[99:100], v[56:57]
	v_add_f64 v[12:13], v[12:13], v[18:19]
	ds_read_b128 v[8:11], v72 offset:1680
	s_waitcnt vmcnt(43) lgkmcnt(1)
	v_mul_f64 v[40:41], v[2:3], v[58:59]
	v_mul_f64 v[18:19], v[0:1], v[58:59]
	s_waitcnt vmcnt(41)
	v_fma_f64 v[34:35], v[4:5], v[46:47], -v[34:35]
	v_fma_f64 v[22:23], v[6:7], v[46:47], v[22:23]
	ds_read_b128 v[4:7], v72 offset:1696
	v_add_f64 v[14:15], v[14:15], v[38:39]
	v_add_f64 v[12:13], v[12:13], v[28:29]
	s_waitcnt vmcnt(37) lgkmcnt(1)
	v_mul_f64 v[38:39], v[10:11], v[42:43]
	s_waitcnt vmcnt(36)
	v_fma_f64 v[40:41], v[0:1], v[89:90], -v[40:41]
	v_mul_f64 v[28:29], v[8:9], v[42:43]
	v_fma_f64 v[18:19], v[2:3], v[89:90], v[18:19]
	ds_read_b128 v[0:3], v72 offset:1712
	v_add_f64 v[14:15], v[14:15], v[34:35]
	v_add_f64 v[12:13], v[12:13], v[22:23]
	s_waitcnt vmcnt(35) lgkmcnt(1)
	v_mul_f64 v[34:35], v[6:7], v[77:78]
	v_mul_f64 v[22:23], v[4:5], v[77:78]
	s_waitcnt vmcnt(33)
	v_fma_f64 v[38:39], v[8:9], v[16:17], -v[38:39]
	v_fma_f64 v[16:17], v[10:11], v[16:17], v[28:29]
	ds_read_b128 v[8:11], v72 offset:1728
	v_add_f64 v[14:15], v[14:15], v[40:41]
	v_add_f64 v[12:13], v[12:13], v[18:19]
	s_waitcnt vmcnt(29) lgkmcnt(1)
	v_mul_f64 v[28:29], v[2:3], v[48:49]
	s_waitcnt vmcnt(28)
	v_fma_f64 v[34:35], v[4:5], v[91:92], -v[34:35]
	v_mul_f64 v[18:19], v[0:1], v[48:49]
	v_fma_f64 v[22:23], v[6:7], v[91:92], v[22:23]
	ds_read_b128 v[4:7], v72 offset:1744
	v_add_f64 v[14:15], v[14:15], v[38:39]
	v_add_f64 v[12:13], v[12:13], v[16:17]
	s_waitcnt vmcnt(27) lgkmcnt(1)
	v_mul_f64 v[38:39], v[10:11], v[79:80]
	v_mul_f64 v[16:17], v[8:9], v[79:80]
	s_waitcnt vmcnt(25)
	v_fma_f64 v[28:29], v[0:1], v[54:55], -v[28:29]
	v_fma_f64 v[18:19], v[2:3], v[54:55], v[18:19]
	ds_read_b128 v[0:3], v72 offset:1760
	v_add_f64 v[14:15], v[14:15], v[34:35]
	v_add_f64 v[12:13], v[12:13], v[22:23]
	s_waitcnt vmcnt(21) lgkmcnt(1)
	v_mul_f64 v[34:35], v[6:7], v[52:53]
	s_waitcnt vmcnt(20)
	v_fma_f64 v[38:39], v[8:9], v[107:108], -v[38:39]
	v_mul_f64 v[22:23], v[4:5], v[52:53]
	v_fma_f64 v[16:17], v[10:11], v[107:108], v[16:17]
	ds_read_b128 v[8:11], v72 offset:1776
	v_add_f64 v[14:15], v[14:15], v[28:29]
	v_add_f64 v[12:13], v[12:13], v[18:19]
	s_waitcnt vmcnt(19) lgkmcnt(1)
	v_mul_f64 v[28:29], v[2:3], v[101:102]
	v_mul_f64 v[18:19], v[0:1], v[101:102]
	s_waitcnt vmcnt(17)
	v_fma_f64 v[34:35], v[4:5], v[26:27], -v[34:35]
	v_fma_f64 v[22:23], v[6:7], v[26:27], v[22:23]
	ds_read_b128 v[4:7], v72 offset:1792
	v_add_f64 v[14:15], v[14:15], v[38:39]
	v_add_f64 v[12:13], v[12:13], v[16:17]
	s_waitcnt vmcnt(13) lgkmcnt(1)
	v_mul_f64 v[16:17], v[8:9], v[20:21]
	v_mul_f64 v[20:21], v[10:11], v[20:21]
	s_waitcnt vmcnt(12)
	v_fma_f64 v[26:27], v[0:1], v[111:112], -v[28:29]
	v_fma_f64 v[18:19], v[2:3], v[111:112], v[18:19]
	ds_read_b128 v[0:3], v72 offset:1808
	v_add_f64 v[14:15], v[14:15], v[34:35]
	v_add_f64 v[12:13], v[12:13], v[22:23]
	s_waitcnt vmcnt(11) lgkmcnt(1)
	v_mul_f64 v[28:29], v[6:7], v[109:110]
	v_mul_f64 v[22:23], v[4:5], v[109:110]
	s_waitcnt vmcnt(9)
	v_fma_f64 v[8:9], v[8:9], v[24:25], -v[20:21]
	v_fma_f64 v[10:11], v[10:11], v[24:25], v[16:17]
	v_add_f64 v[14:15], v[14:15], v[26:27]
	v_add_f64 v[12:13], v[12:13], v[18:19]
	s_waitcnt vmcnt(7) lgkmcnt(0)
	v_mul_f64 v[18:19], v[2:3], v[32:33]
	s_waitcnt vmcnt(6)
	v_fma_f64 v[4:5], v[4:5], v[115:116], -v[28:29]
	v_mul_f64 v[16:17], v[0:1], v[32:33]
	v_fma_f64 v[6:7], v[6:7], v[115:116], v[22:23]
	v_add_f64 v[8:9], v[14:15], v[8:9]
	v_add_f64 v[10:11], v[12:13], v[10:11]
	s_waitcnt vmcnt(4)
	v_fma_f64 v[0:1], v[0:1], v[30:31], -v[18:19]
	v_fma_f64 v[2:3], v[2:3], v[30:31], v[16:17]
	v_add_f64 v[4:5], v[8:9], v[4:5]
	v_add_f64 v[6:7], v[10:11], v[6:7]
	;; [unrolled: 1-line block ×4, first 2 shown]
	s_waitcnt vmcnt(2)
	v_add_f64 v[0:1], v[36:37], -v[0:1]
	s_waitcnt vmcnt(0)
	v_add_f64 v[2:3], v[44:45], -v[2:3]
	buffer_store_dword v1, off, s[0:3], 0 offset:20
	buffer_store_dword v0, off, s[0:3], 0 offset:16
	;; [unrolled: 1-line block ×4, first 2 shown]
	s_cbranch_vccz .LBB56_468
; %bb.356:
	v_mov_b32_e32 v0, 0
	global_load_dword v1, v0, s[20:21] offset:220
	s_waitcnt vmcnt(0)
	v_add_nc_u32_e32 v1, -1, v1
	v_cmp_ne_u32_e32 vcc_lo, 55, v1
	s_cbranch_vccz .LBB56_358
; %bb.357:
	v_lshlrev_b32_e32 v1, 4, v1
	v_mov_b32_e32 v2, s9
	v_add_nc_u32_e32 v1, 16, v1
	s_clause 0x7
	buffer_load_dword v3, v1, s[0:3], 0 offen
	buffer_load_dword v4, v1, s[0:3], 0 offen offset:4
	buffer_load_dword v5, v1, s[0:3], 0 offen offset:8
	;; [unrolled: 1-line block ×6, first 2 shown]
	buffer_load_dword v10, v2, s[0:3], 0 offen
	s_waitcnt vmcnt(7)
	buffer_store_dword v3, v2, s[0:3], 0 offen
	s_waitcnt vmcnt(6)
	buffer_store_dword v4, v2, s[0:3], 0 offen offset:4
	s_waitcnt vmcnt(5)
	buffer_store_dword v5, v2, s[0:3], 0 offen offset:8
	;; [unrolled: 2-line block ×6, first 2 shown]
	s_waitcnt vmcnt(0)
	buffer_store_dword v10, v1, s[0:3], 0 offen
.LBB56_358:
	global_load_dword v0, v0, s[20:21] offset:216
	s_waitcnt vmcnt(0)
	v_add_nc_u32_e32 v0, -1, v0
	v_cmp_eq_u32_e32 vcc_lo, 54, v0
	s_cbranch_vccnz .LBB56_360
; %bb.359:
	v_lshlrev_b32_e32 v0, 4, v0
	v_mov_b32_e32 v1, s12
	v_add_nc_u32_e32 v0, 16, v0
	s_clause 0x7
	buffer_load_dword v2, v0, s[0:3], 0 offen
	buffer_load_dword v3, v0, s[0:3], 0 offen offset:4
	buffer_load_dword v4, v0, s[0:3], 0 offen offset:8
	;; [unrolled: 1-line block ×6, first 2 shown]
	buffer_load_dword v9, v1, s[0:3], 0 offen
	s_waitcnt vmcnt(7)
	buffer_store_dword v2, v1, s[0:3], 0 offen
	s_waitcnt vmcnt(6)
	buffer_store_dword v3, v1, s[0:3], 0 offen offset:4
	s_waitcnt vmcnt(5)
	buffer_store_dword v4, v1, s[0:3], 0 offen offset:8
	;; [unrolled: 2-line block ×6, first 2 shown]
	s_waitcnt vmcnt(0)
	buffer_store_dword v9, v0, s[0:3], 0 offen
.LBB56_360:
	v_mov_b32_e32 v0, 0
	global_load_dword v1, v0, s[20:21] offset:212
	s_waitcnt vmcnt(0)
	v_add_nc_u32_e32 v1, -1, v1
	v_cmp_eq_u32_e32 vcc_lo, 53, v1
	s_cbranch_vccnz .LBB56_362
; %bb.361:
	v_lshlrev_b32_e32 v1, 4, v1
	v_mov_b32_e32 v2, s13
	v_add_nc_u32_e32 v1, 16, v1
	s_clause 0x7
	buffer_load_dword v3, v1, s[0:3], 0 offen
	buffer_load_dword v4, v1, s[0:3], 0 offen offset:4
	buffer_load_dword v5, v1, s[0:3], 0 offen offset:8
	;; [unrolled: 1-line block ×6, first 2 shown]
	buffer_load_dword v10, v2, s[0:3], 0 offen
	s_waitcnt vmcnt(7)
	buffer_store_dword v3, v2, s[0:3], 0 offen
	s_waitcnt vmcnt(6)
	buffer_store_dword v4, v2, s[0:3], 0 offen offset:4
	s_waitcnt vmcnt(5)
	buffer_store_dword v5, v2, s[0:3], 0 offen offset:8
	;; [unrolled: 2-line block ×6, first 2 shown]
	s_waitcnt vmcnt(0)
	buffer_store_dword v10, v1, s[0:3], 0 offen
.LBB56_362:
	global_load_dword v0, v0, s[20:21] offset:208
	s_waitcnt vmcnt(0)
	v_add_nc_u32_e32 v0, -1, v0
	v_cmp_eq_u32_e32 vcc_lo, 52, v0
	s_cbranch_vccnz .LBB56_364
; %bb.363:
	v_lshlrev_b32_e32 v0, 4, v0
	v_mov_b32_e32 v1, s14
	v_add_nc_u32_e32 v0, 16, v0
	s_clause 0x7
	buffer_load_dword v2, v0, s[0:3], 0 offen
	buffer_load_dword v3, v0, s[0:3], 0 offen offset:4
	buffer_load_dword v4, v0, s[0:3], 0 offen offset:8
	;; [unrolled: 1-line block ×6, first 2 shown]
	buffer_load_dword v9, v1, s[0:3], 0 offen
	s_waitcnt vmcnt(7)
	buffer_store_dword v2, v1, s[0:3], 0 offen
	s_waitcnt vmcnt(6)
	buffer_store_dword v3, v1, s[0:3], 0 offen offset:4
	s_waitcnt vmcnt(5)
	buffer_store_dword v4, v1, s[0:3], 0 offen offset:8
	s_waitcnt vmcnt(4)
	buffer_store_dword v5, v1, s[0:3], 0 offen offset:12
	s_waitcnt vmcnt(3)
	buffer_store_dword v6, v0, s[0:3], 0 offen offset:12
	s_waitcnt vmcnt(2)
	buffer_store_dword v7, v0, s[0:3], 0 offen offset:8
	s_waitcnt vmcnt(1)
	buffer_store_dword v8, v0, s[0:3], 0 offen offset:4
	s_waitcnt vmcnt(0)
	buffer_store_dword v9, v0, s[0:3], 0 offen
.LBB56_364:
	v_mov_b32_e32 v0, 0
	global_load_dword v1, v0, s[20:21] offset:204
	s_waitcnt vmcnt(0)
	v_add_nc_u32_e32 v1, -1, v1
	v_cmp_eq_u32_e32 vcc_lo, 51, v1
	s_cbranch_vccnz .LBB56_366
; %bb.365:
	v_lshlrev_b32_e32 v1, 4, v1
	v_mov_b32_e32 v2, s15
	v_add_nc_u32_e32 v1, 16, v1
	s_clause 0x7
	buffer_load_dword v3, v1, s[0:3], 0 offen
	buffer_load_dword v4, v1, s[0:3], 0 offen offset:4
	buffer_load_dword v5, v1, s[0:3], 0 offen offset:8
	;; [unrolled: 1-line block ×6, first 2 shown]
	buffer_load_dword v10, v2, s[0:3], 0 offen
	s_waitcnt vmcnt(7)
	buffer_store_dword v3, v2, s[0:3], 0 offen
	s_waitcnt vmcnt(6)
	buffer_store_dword v4, v2, s[0:3], 0 offen offset:4
	s_waitcnt vmcnt(5)
	buffer_store_dword v5, v2, s[0:3], 0 offen offset:8
	;; [unrolled: 2-line block ×6, first 2 shown]
	s_waitcnt vmcnt(0)
	buffer_store_dword v10, v1, s[0:3], 0 offen
.LBB56_366:
	global_load_dword v0, v0, s[20:21] offset:200
	s_waitcnt vmcnt(0)
	v_add_nc_u32_e32 v0, -1, v0
	v_cmp_eq_u32_e32 vcc_lo, 50, v0
	s_cbranch_vccnz .LBB56_368
; %bb.367:
	v_lshlrev_b32_e32 v0, 4, v0
	v_mov_b32_e32 v1, s16
	v_add_nc_u32_e32 v0, 16, v0
	s_clause 0x7
	buffer_load_dword v2, v0, s[0:3], 0 offen
	buffer_load_dword v3, v0, s[0:3], 0 offen offset:4
	buffer_load_dword v4, v0, s[0:3], 0 offen offset:8
	;; [unrolled: 1-line block ×6, first 2 shown]
	buffer_load_dword v9, v1, s[0:3], 0 offen
	s_waitcnt vmcnt(7)
	buffer_store_dword v2, v1, s[0:3], 0 offen
	s_waitcnt vmcnt(6)
	buffer_store_dword v3, v1, s[0:3], 0 offen offset:4
	s_waitcnt vmcnt(5)
	buffer_store_dword v4, v1, s[0:3], 0 offen offset:8
	;; [unrolled: 2-line block ×6, first 2 shown]
	s_waitcnt vmcnt(0)
	buffer_store_dword v9, v0, s[0:3], 0 offen
.LBB56_368:
	v_mov_b32_e32 v0, 0
	global_load_dword v1, v0, s[20:21] offset:196
	s_waitcnt vmcnt(0)
	v_add_nc_u32_e32 v1, -1, v1
	v_cmp_eq_u32_e32 vcc_lo, 49, v1
	s_cbranch_vccnz .LBB56_370
; %bb.369:
	v_lshlrev_b32_e32 v1, 4, v1
	v_mov_b32_e32 v2, s17
	v_add_nc_u32_e32 v1, 16, v1
	s_clause 0x7
	buffer_load_dword v3, v1, s[0:3], 0 offen
	buffer_load_dword v4, v1, s[0:3], 0 offen offset:4
	buffer_load_dword v5, v1, s[0:3], 0 offen offset:8
	;; [unrolled: 1-line block ×6, first 2 shown]
	buffer_load_dword v10, v2, s[0:3], 0 offen
	s_waitcnt vmcnt(7)
	buffer_store_dword v3, v2, s[0:3], 0 offen
	s_waitcnt vmcnt(6)
	buffer_store_dword v4, v2, s[0:3], 0 offen offset:4
	s_waitcnt vmcnt(5)
	buffer_store_dword v5, v2, s[0:3], 0 offen offset:8
	;; [unrolled: 2-line block ×6, first 2 shown]
	s_waitcnt vmcnt(0)
	buffer_store_dword v10, v1, s[0:3], 0 offen
.LBB56_370:
	global_load_dword v0, v0, s[20:21] offset:192
	s_waitcnt vmcnt(0)
	v_add_nc_u32_e32 v0, -1, v0
	v_cmp_eq_u32_e32 vcc_lo, 48, v0
	s_cbranch_vccnz .LBB56_372
; %bb.371:
	v_lshlrev_b32_e32 v0, 4, v0
	v_mov_b32_e32 v1, s18
	v_add_nc_u32_e32 v0, 16, v0
	s_clause 0x7
	buffer_load_dword v2, v0, s[0:3], 0 offen
	buffer_load_dword v3, v0, s[0:3], 0 offen offset:4
	buffer_load_dword v4, v0, s[0:3], 0 offen offset:8
	;; [unrolled: 1-line block ×6, first 2 shown]
	buffer_load_dword v9, v1, s[0:3], 0 offen
	s_waitcnt vmcnt(7)
	buffer_store_dword v2, v1, s[0:3], 0 offen
	s_waitcnt vmcnt(6)
	buffer_store_dword v3, v1, s[0:3], 0 offen offset:4
	s_waitcnt vmcnt(5)
	buffer_store_dword v4, v1, s[0:3], 0 offen offset:8
	;; [unrolled: 2-line block ×6, first 2 shown]
	s_waitcnt vmcnt(0)
	buffer_store_dword v9, v0, s[0:3], 0 offen
.LBB56_372:
	v_mov_b32_e32 v0, 0
	global_load_dword v1, v0, s[20:21] offset:188
	s_waitcnt vmcnt(0)
	v_add_nc_u32_e32 v1, -1, v1
	v_cmp_eq_u32_e32 vcc_lo, 47, v1
	s_cbranch_vccnz .LBB56_374
; %bb.373:
	v_lshlrev_b32_e32 v1, 4, v1
	v_mov_b32_e32 v2, s19
	v_add_nc_u32_e32 v1, 16, v1
	s_clause 0x7
	buffer_load_dword v3, v1, s[0:3], 0 offen
	buffer_load_dword v4, v1, s[0:3], 0 offen offset:4
	buffer_load_dword v5, v1, s[0:3], 0 offen offset:8
	;; [unrolled: 1-line block ×6, first 2 shown]
	buffer_load_dword v10, v2, s[0:3], 0 offen
	s_waitcnt vmcnt(7)
	buffer_store_dword v3, v2, s[0:3], 0 offen
	s_waitcnt vmcnt(6)
	buffer_store_dword v4, v2, s[0:3], 0 offen offset:4
	s_waitcnt vmcnt(5)
	buffer_store_dword v5, v2, s[0:3], 0 offen offset:8
	;; [unrolled: 2-line block ×6, first 2 shown]
	s_waitcnt vmcnt(0)
	buffer_store_dword v10, v1, s[0:3], 0 offen
.LBB56_374:
	global_load_dword v0, v0, s[20:21] offset:184
	s_waitcnt vmcnt(0)
	v_add_nc_u32_e32 v0, -1, v0
	v_cmp_eq_u32_e32 vcc_lo, 46, v0
	s_cbranch_vccnz .LBB56_376
; %bb.375:
	v_lshlrev_b32_e32 v0, 4, v0
	v_mov_b32_e32 v1, s22
	v_add_nc_u32_e32 v0, 16, v0
	s_clause 0x7
	buffer_load_dword v2, v0, s[0:3], 0 offen
	buffer_load_dword v3, v0, s[0:3], 0 offen offset:4
	buffer_load_dword v4, v0, s[0:3], 0 offen offset:8
	;; [unrolled: 1-line block ×6, first 2 shown]
	buffer_load_dword v9, v1, s[0:3], 0 offen
	s_waitcnt vmcnt(7)
	buffer_store_dword v2, v1, s[0:3], 0 offen
	s_waitcnt vmcnt(6)
	buffer_store_dword v3, v1, s[0:3], 0 offen offset:4
	s_waitcnt vmcnt(5)
	buffer_store_dword v4, v1, s[0:3], 0 offen offset:8
	;; [unrolled: 2-line block ×6, first 2 shown]
	s_waitcnt vmcnt(0)
	buffer_store_dword v9, v0, s[0:3], 0 offen
.LBB56_376:
	v_mov_b32_e32 v0, 0
	global_load_dword v1, v0, s[20:21] offset:180
	s_waitcnt vmcnt(0)
	v_add_nc_u32_e32 v1, -1, v1
	v_cmp_eq_u32_e32 vcc_lo, 45, v1
	s_cbranch_vccnz .LBB56_378
; %bb.377:
	v_lshlrev_b32_e32 v1, 4, v1
	v_mov_b32_e32 v2, s23
	v_add_nc_u32_e32 v1, 16, v1
	s_clause 0x7
	buffer_load_dword v3, v1, s[0:3], 0 offen
	buffer_load_dword v4, v1, s[0:3], 0 offen offset:4
	buffer_load_dword v5, v1, s[0:3], 0 offen offset:8
	buffer_load_dword v6, v1, s[0:3], 0 offen offset:12
	buffer_load_dword v7, v2, s[0:3], 0 offen offset:12
	buffer_load_dword v8, v2, s[0:3], 0 offen offset:8
	buffer_load_dword v9, v2, s[0:3], 0 offen offset:4
	buffer_load_dword v10, v2, s[0:3], 0 offen
	s_waitcnt vmcnt(7)
	buffer_store_dword v3, v2, s[0:3], 0 offen
	s_waitcnt vmcnt(6)
	buffer_store_dword v4, v2, s[0:3], 0 offen offset:4
	s_waitcnt vmcnt(5)
	buffer_store_dword v5, v2, s[0:3], 0 offen offset:8
	;; [unrolled: 2-line block ×6, first 2 shown]
	s_waitcnt vmcnt(0)
	buffer_store_dword v10, v1, s[0:3], 0 offen
.LBB56_378:
	global_load_dword v0, v0, s[20:21] offset:176
	s_waitcnt vmcnt(0)
	v_add_nc_u32_e32 v0, -1, v0
	v_cmp_eq_u32_e32 vcc_lo, 44, v0
	s_cbranch_vccnz .LBB56_380
; %bb.379:
	v_lshlrev_b32_e32 v0, 4, v0
	v_mov_b32_e32 v1, s24
	v_add_nc_u32_e32 v0, 16, v0
	s_clause 0x7
	buffer_load_dword v2, v0, s[0:3], 0 offen
	buffer_load_dword v3, v0, s[0:3], 0 offen offset:4
	buffer_load_dword v4, v0, s[0:3], 0 offen offset:8
	;; [unrolled: 1-line block ×6, first 2 shown]
	buffer_load_dword v9, v1, s[0:3], 0 offen
	s_waitcnt vmcnt(7)
	buffer_store_dword v2, v1, s[0:3], 0 offen
	s_waitcnt vmcnt(6)
	buffer_store_dword v3, v1, s[0:3], 0 offen offset:4
	s_waitcnt vmcnt(5)
	buffer_store_dword v4, v1, s[0:3], 0 offen offset:8
	;; [unrolled: 2-line block ×6, first 2 shown]
	s_waitcnt vmcnt(0)
	buffer_store_dword v9, v0, s[0:3], 0 offen
.LBB56_380:
	v_mov_b32_e32 v0, 0
	global_load_dword v1, v0, s[20:21] offset:172
	s_waitcnt vmcnt(0)
	v_add_nc_u32_e32 v1, -1, v1
	v_cmp_eq_u32_e32 vcc_lo, 43, v1
	s_cbranch_vccnz .LBB56_382
; %bb.381:
	v_lshlrev_b32_e32 v1, 4, v1
	v_mov_b32_e32 v2, s25
	v_add_nc_u32_e32 v1, 16, v1
	s_clause 0x7
	buffer_load_dword v3, v1, s[0:3], 0 offen
	buffer_load_dword v4, v1, s[0:3], 0 offen offset:4
	buffer_load_dword v5, v1, s[0:3], 0 offen offset:8
	;; [unrolled: 1-line block ×6, first 2 shown]
	buffer_load_dword v10, v2, s[0:3], 0 offen
	s_waitcnt vmcnt(7)
	buffer_store_dword v3, v2, s[0:3], 0 offen
	s_waitcnt vmcnt(6)
	buffer_store_dword v4, v2, s[0:3], 0 offen offset:4
	s_waitcnt vmcnt(5)
	buffer_store_dword v5, v2, s[0:3], 0 offen offset:8
	;; [unrolled: 2-line block ×6, first 2 shown]
	s_waitcnt vmcnt(0)
	buffer_store_dword v10, v1, s[0:3], 0 offen
.LBB56_382:
	global_load_dword v0, v0, s[20:21] offset:168
	s_waitcnt vmcnt(0)
	v_add_nc_u32_e32 v0, -1, v0
	v_cmp_eq_u32_e32 vcc_lo, 42, v0
	s_cbranch_vccnz .LBB56_384
; %bb.383:
	v_lshlrev_b32_e32 v0, 4, v0
	v_mov_b32_e32 v1, s26
	v_add_nc_u32_e32 v0, 16, v0
	s_clause 0x7
	buffer_load_dword v2, v0, s[0:3], 0 offen
	buffer_load_dword v3, v0, s[0:3], 0 offen offset:4
	buffer_load_dword v4, v0, s[0:3], 0 offen offset:8
	;; [unrolled: 1-line block ×6, first 2 shown]
	buffer_load_dword v9, v1, s[0:3], 0 offen
	s_waitcnt vmcnt(7)
	buffer_store_dword v2, v1, s[0:3], 0 offen
	s_waitcnt vmcnt(6)
	buffer_store_dword v3, v1, s[0:3], 0 offen offset:4
	s_waitcnt vmcnt(5)
	buffer_store_dword v4, v1, s[0:3], 0 offen offset:8
	;; [unrolled: 2-line block ×6, first 2 shown]
	s_waitcnt vmcnt(0)
	buffer_store_dword v9, v0, s[0:3], 0 offen
.LBB56_384:
	v_mov_b32_e32 v0, 0
	global_load_dword v1, v0, s[20:21] offset:164
	s_waitcnt vmcnt(0)
	v_add_nc_u32_e32 v1, -1, v1
	v_cmp_eq_u32_e32 vcc_lo, 41, v1
	s_cbranch_vccnz .LBB56_386
; %bb.385:
	v_lshlrev_b32_e32 v1, 4, v1
	v_mov_b32_e32 v2, s27
	v_add_nc_u32_e32 v1, 16, v1
	s_clause 0x7
	buffer_load_dword v3, v1, s[0:3], 0 offen
	buffer_load_dword v4, v1, s[0:3], 0 offen offset:4
	buffer_load_dword v5, v1, s[0:3], 0 offen offset:8
	;; [unrolled: 1-line block ×6, first 2 shown]
	buffer_load_dword v10, v2, s[0:3], 0 offen
	s_waitcnt vmcnt(7)
	buffer_store_dword v3, v2, s[0:3], 0 offen
	s_waitcnt vmcnt(6)
	buffer_store_dword v4, v2, s[0:3], 0 offen offset:4
	s_waitcnt vmcnt(5)
	buffer_store_dword v5, v2, s[0:3], 0 offen offset:8
	;; [unrolled: 2-line block ×6, first 2 shown]
	s_waitcnt vmcnt(0)
	buffer_store_dword v10, v1, s[0:3], 0 offen
.LBB56_386:
	global_load_dword v0, v0, s[20:21] offset:160
	s_waitcnt vmcnt(0)
	v_add_nc_u32_e32 v0, -1, v0
	v_cmp_eq_u32_e32 vcc_lo, 40, v0
	s_cbranch_vccnz .LBB56_388
; %bb.387:
	v_lshlrev_b32_e32 v0, 4, v0
	v_mov_b32_e32 v1, s28
	v_add_nc_u32_e32 v0, 16, v0
	s_clause 0x7
	buffer_load_dword v2, v0, s[0:3], 0 offen
	buffer_load_dword v3, v0, s[0:3], 0 offen offset:4
	buffer_load_dword v4, v0, s[0:3], 0 offen offset:8
	;; [unrolled: 1-line block ×6, first 2 shown]
	buffer_load_dword v9, v1, s[0:3], 0 offen
	s_waitcnt vmcnt(7)
	buffer_store_dword v2, v1, s[0:3], 0 offen
	s_waitcnt vmcnt(6)
	buffer_store_dword v3, v1, s[0:3], 0 offen offset:4
	s_waitcnt vmcnt(5)
	buffer_store_dword v4, v1, s[0:3], 0 offen offset:8
	;; [unrolled: 2-line block ×6, first 2 shown]
	s_waitcnt vmcnt(0)
	buffer_store_dword v9, v0, s[0:3], 0 offen
.LBB56_388:
	v_mov_b32_e32 v0, 0
	global_load_dword v1, v0, s[20:21] offset:156
	s_waitcnt vmcnt(0)
	v_add_nc_u32_e32 v1, -1, v1
	v_cmp_eq_u32_e32 vcc_lo, 39, v1
	s_cbranch_vccnz .LBB56_390
; %bb.389:
	v_lshlrev_b32_e32 v1, 4, v1
	v_mov_b32_e32 v2, s29
	v_add_nc_u32_e32 v1, 16, v1
	s_clause 0x7
	buffer_load_dword v3, v1, s[0:3], 0 offen
	buffer_load_dword v4, v1, s[0:3], 0 offen offset:4
	buffer_load_dword v5, v1, s[0:3], 0 offen offset:8
	;; [unrolled: 1-line block ×6, first 2 shown]
	buffer_load_dword v10, v2, s[0:3], 0 offen
	s_waitcnt vmcnt(7)
	buffer_store_dword v3, v2, s[0:3], 0 offen
	s_waitcnt vmcnt(6)
	buffer_store_dword v4, v2, s[0:3], 0 offen offset:4
	s_waitcnt vmcnt(5)
	buffer_store_dword v5, v2, s[0:3], 0 offen offset:8
	;; [unrolled: 2-line block ×6, first 2 shown]
	s_waitcnt vmcnt(0)
	buffer_store_dword v10, v1, s[0:3], 0 offen
.LBB56_390:
	global_load_dword v0, v0, s[20:21] offset:152
	s_waitcnt vmcnt(0)
	v_add_nc_u32_e32 v0, -1, v0
	v_cmp_eq_u32_e32 vcc_lo, 38, v0
	s_cbranch_vccnz .LBB56_392
; %bb.391:
	v_lshlrev_b32_e32 v0, 4, v0
	v_mov_b32_e32 v1, s30
	v_add_nc_u32_e32 v0, 16, v0
	s_clause 0x7
	buffer_load_dword v2, v0, s[0:3], 0 offen
	buffer_load_dword v3, v0, s[0:3], 0 offen offset:4
	buffer_load_dword v4, v0, s[0:3], 0 offen offset:8
	;; [unrolled: 1-line block ×6, first 2 shown]
	buffer_load_dword v9, v1, s[0:3], 0 offen
	s_waitcnt vmcnt(7)
	buffer_store_dword v2, v1, s[0:3], 0 offen
	s_waitcnt vmcnt(6)
	buffer_store_dword v3, v1, s[0:3], 0 offen offset:4
	s_waitcnt vmcnt(5)
	buffer_store_dword v4, v1, s[0:3], 0 offen offset:8
	;; [unrolled: 2-line block ×6, first 2 shown]
	s_waitcnt vmcnt(0)
	buffer_store_dword v9, v0, s[0:3], 0 offen
.LBB56_392:
	v_mov_b32_e32 v0, 0
	global_load_dword v1, v0, s[20:21] offset:148
	s_waitcnt vmcnt(0)
	v_add_nc_u32_e32 v1, -1, v1
	v_cmp_eq_u32_e32 vcc_lo, 37, v1
	s_cbranch_vccnz .LBB56_394
; %bb.393:
	v_lshlrev_b32_e32 v1, 4, v1
	v_mov_b32_e32 v2, s31
	v_add_nc_u32_e32 v1, 16, v1
	s_clause 0x7
	buffer_load_dword v3, v1, s[0:3], 0 offen
	buffer_load_dword v4, v1, s[0:3], 0 offen offset:4
	buffer_load_dword v5, v1, s[0:3], 0 offen offset:8
	buffer_load_dword v6, v1, s[0:3], 0 offen offset:12
	buffer_load_dword v7, v2, s[0:3], 0 offen offset:12
	buffer_load_dword v8, v2, s[0:3], 0 offen offset:8
	buffer_load_dword v9, v2, s[0:3], 0 offen offset:4
	buffer_load_dword v10, v2, s[0:3], 0 offen
	s_waitcnt vmcnt(7)
	buffer_store_dword v3, v2, s[0:3], 0 offen
	s_waitcnt vmcnt(6)
	buffer_store_dword v4, v2, s[0:3], 0 offen offset:4
	s_waitcnt vmcnt(5)
	buffer_store_dword v5, v2, s[0:3], 0 offen offset:8
	;; [unrolled: 2-line block ×6, first 2 shown]
	s_waitcnt vmcnt(0)
	buffer_store_dword v10, v1, s[0:3], 0 offen
.LBB56_394:
	global_load_dword v0, v0, s[20:21] offset:144
	s_waitcnt vmcnt(0)
	v_add_nc_u32_e32 v0, -1, v0
	v_cmp_eq_u32_e32 vcc_lo, 36, v0
	s_cbranch_vccnz .LBB56_396
; %bb.395:
	v_lshlrev_b32_e32 v0, 4, v0
	v_mov_b32_e32 v1, s33
	v_add_nc_u32_e32 v0, 16, v0
	s_clause 0x7
	buffer_load_dword v2, v0, s[0:3], 0 offen
	buffer_load_dword v3, v0, s[0:3], 0 offen offset:4
	buffer_load_dword v4, v0, s[0:3], 0 offen offset:8
	;; [unrolled: 1-line block ×6, first 2 shown]
	buffer_load_dword v9, v1, s[0:3], 0 offen
	s_waitcnt vmcnt(7)
	buffer_store_dword v2, v1, s[0:3], 0 offen
	s_waitcnt vmcnt(6)
	buffer_store_dword v3, v1, s[0:3], 0 offen offset:4
	s_waitcnt vmcnt(5)
	buffer_store_dword v4, v1, s[0:3], 0 offen offset:8
	;; [unrolled: 2-line block ×6, first 2 shown]
	s_waitcnt vmcnt(0)
	buffer_store_dword v9, v0, s[0:3], 0 offen
.LBB56_396:
	v_mov_b32_e32 v0, 0
	global_load_dword v1, v0, s[20:21] offset:140
	s_waitcnt vmcnt(0)
	v_add_nc_u32_e32 v1, -1, v1
	v_cmp_eq_u32_e32 vcc_lo, 35, v1
	s_cbranch_vccnz .LBB56_398
; %bb.397:
	v_lshlrev_b32_e32 v1, 4, v1
	v_mov_b32_e32 v2, s34
	v_add_nc_u32_e32 v1, 16, v1
	s_clause 0x7
	buffer_load_dword v3, v1, s[0:3], 0 offen
	buffer_load_dword v4, v1, s[0:3], 0 offen offset:4
	buffer_load_dword v5, v1, s[0:3], 0 offen offset:8
	buffer_load_dword v6, v1, s[0:3], 0 offen offset:12
	buffer_load_dword v7, v2, s[0:3], 0 offen offset:12
	buffer_load_dword v8, v2, s[0:3], 0 offen offset:8
	buffer_load_dword v9, v2, s[0:3], 0 offen offset:4
	buffer_load_dword v10, v2, s[0:3], 0 offen
	s_waitcnt vmcnt(7)
	buffer_store_dword v3, v2, s[0:3], 0 offen
	s_waitcnt vmcnt(6)
	buffer_store_dword v4, v2, s[0:3], 0 offen offset:4
	s_waitcnt vmcnt(5)
	buffer_store_dword v5, v2, s[0:3], 0 offen offset:8
	;; [unrolled: 2-line block ×6, first 2 shown]
	s_waitcnt vmcnt(0)
	buffer_store_dword v10, v1, s[0:3], 0 offen
.LBB56_398:
	global_load_dword v0, v0, s[20:21] offset:136
	s_waitcnt vmcnt(0)
	v_add_nc_u32_e32 v0, -1, v0
	v_cmp_eq_u32_e32 vcc_lo, 34, v0
	s_cbranch_vccnz .LBB56_400
; %bb.399:
	v_lshlrev_b32_e32 v0, 4, v0
	v_mov_b32_e32 v1, s35
	v_add_nc_u32_e32 v0, 16, v0
	s_clause 0x7
	buffer_load_dword v2, v0, s[0:3], 0 offen
	buffer_load_dword v3, v0, s[0:3], 0 offen offset:4
	buffer_load_dword v4, v0, s[0:3], 0 offen offset:8
	;; [unrolled: 1-line block ×6, first 2 shown]
	buffer_load_dword v9, v1, s[0:3], 0 offen
	s_waitcnt vmcnt(7)
	buffer_store_dword v2, v1, s[0:3], 0 offen
	s_waitcnt vmcnt(6)
	buffer_store_dword v3, v1, s[0:3], 0 offen offset:4
	s_waitcnt vmcnt(5)
	buffer_store_dword v4, v1, s[0:3], 0 offen offset:8
	;; [unrolled: 2-line block ×6, first 2 shown]
	s_waitcnt vmcnt(0)
	buffer_store_dword v9, v0, s[0:3], 0 offen
.LBB56_400:
	v_mov_b32_e32 v0, 0
	global_load_dword v1, v0, s[20:21] offset:132
	s_waitcnt vmcnt(0)
	v_add_nc_u32_e32 v1, -1, v1
	v_cmp_eq_u32_e32 vcc_lo, 33, v1
	s_cbranch_vccnz .LBB56_402
; %bb.401:
	v_lshlrev_b32_e32 v1, 4, v1
	v_mov_b32_e32 v2, s36
	v_add_nc_u32_e32 v1, 16, v1
	s_clause 0x7
	buffer_load_dword v3, v1, s[0:3], 0 offen
	buffer_load_dword v4, v1, s[0:3], 0 offen offset:4
	buffer_load_dword v5, v1, s[0:3], 0 offen offset:8
	;; [unrolled: 1-line block ×6, first 2 shown]
	buffer_load_dword v10, v2, s[0:3], 0 offen
	s_waitcnt vmcnt(7)
	buffer_store_dword v3, v2, s[0:3], 0 offen
	s_waitcnt vmcnt(6)
	buffer_store_dword v4, v2, s[0:3], 0 offen offset:4
	s_waitcnt vmcnt(5)
	buffer_store_dword v5, v2, s[0:3], 0 offen offset:8
	s_waitcnt vmcnt(4)
	buffer_store_dword v6, v2, s[0:3], 0 offen offset:12
	s_waitcnt vmcnt(3)
	buffer_store_dword v7, v1, s[0:3], 0 offen offset:12
	s_waitcnt vmcnt(2)
	buffer_store_dword v8, v1, s[0:3], 0 offen offset:8
	s_waitcnt vmcnt(1)
	buffer_store_dword v9, v1, s[0:3], 0 offen offset:4
	s_waitcnt vmcnt(0)
	buffer_store_dword v10, v1, s[0:3], 0 offen
.LBB56_402:
	global_load_dword v0, v0, s[20:21] offset:128
	s_waitcnt vmcnt(0)
	v_add_nc_u32_e32 v0, -1, v0
	v_cmp_eq_u32_e32 vcc_lo, 32, v0
	s_cbranch_vccnz .LBB56_404
; %bb.403:
	v_lshlrev_b32_e32 v0, 4, v0
	v_mov_b32_e32 v1, s37
	v_add_nc_u32_e32 v0, 16, v0
	s_clause 0x7
	buffer_load_dword v2, v0, s[0:3], 0 offen
	buffer_load_dword v3, v0, s[0:3], 0 offen offset:4
	buffer_load_dword v4, v0, s[0:3], 0 offen offset:8
	;; [unrolled: 1-line block ×6, first 2 shown]
	buffer_load_dword v9, v1, s[0:3], 0 offen
	s_waitcnt vmcnt(7)
	buffer_store_dword v2, v1, s[0:3], 0 offen
	s_waitcnt vmcnt(6)
	buffer_store_dword v3, v1, s[0:3], 0 offen offset:4
	s_waitcnt vmcnt(5)
	buffer_store_dword v4, v1, s[0:3], 0 offen offset:8
	s_waitcnt vmcnt(4)
	buffer_store_dword v5, v1, s[0:3], 0 offen offset:12
	s_waitcnt vmcnt(3)
	buffer_store_dword v6, v0, s[0:3], 0 offen offset:12
	s_waitcnt vmcnt(2)
	buffer_store_dword v7, v0, s[0:3], 0 offen offset:8
	s_waitcnt vmcnt(1)
	buffer_store_dword v8, v0, s[0:3], 0 offen offset:4
	s_waitcnt vmcnt(0)
	buffer_store_dword v9, v0, s[0:3], 0 offen
.LBB56_404:
	v_mov_b32_e32 v0, 0
	global_load_dword v1, v0, s[20:21] offset:124
	s_waitcnt vmcnt(0)
	v_add_nc_u32_e32 v1, -1, v1
	v_cmp_eq_u32_e32 vcc_lo, 31, v1
	s_cbranch_vccnz .LBB56_406
; %bb.405:
	v_lshlrev_b32_e32 v1, 4, v1
	v_mov_b32_e32 v2, s38
	v_add_nc_u32_e32 v1, 16, v1
	s_clause 0x7
	buffer_load_dword v3, v1, s[0:3], 0 offen
	buffer_load_dword v4, v1, s[0:3], 0 offen offset:4
	buffer_load_dword v5, v1, s[0:3], 0 offen offset:8
	;; [unrolled: 1-line block ×6, first 2 shown]
	buffer_load_dword v10, v2, s[0:3], 0 offen
	s_waitcnt vmcnt(7)
	buffer_store_dword v3, v2, s[0:3], 0 offen
	s_waitcnt vmcnt(6)
	buffer_store_dword v4, v2, s[0:3], 0 offen offset:4
	s_waitcnt vmcnt(5)
	buffer_store_dword v5, v2, s[0:3], 0 offen offset:8
	;; [unrolled: 2-line block ×6, first 2 shown]
	s_waitcnt vmcnt(0)
	buffer_store_dword v10, v1, s[0:3], 0 offen
.LBB56_406:
	global_load_dword v0, v0, s[20:21] offset:120
	s_waitcnt vmcnt(0)
	v_add_nc_u32_e32 v0, -1, v0
	v_cmp_eq_u32_e32 vcc_lo, 30, v0
	s_cbranch_vccnz .LBB56_408
; %bb.407:
	v_lshlrev_b32_e32 v0, 4, v0
	v_mov_b32_e32 v1, s39
	v_add_nc_u32_e32 v0, 16, v0
	s_clause 0x7
	buffer_load_dword v2, v0, s[0:3], 0 offen
	buffer_load_dword v3, v0, s[0:3], 0 offen offset:4
	buffer_load_dword v4, v0, s[0:3], 0 offen offset:8
	;; [unrolled: 1-line block ×6, first 2 shown]
	buffer_load_dword v9, v1, s[0:3], 0 offen
	s_waitcnt vmcnt(7)
	buffer_store_dword v2, v1, s[0:3], 0 offen
	s_waitcnt vmcnt(6)
	buffer_store_dword v3, v1, s[0:3], 0 offen offset:4
	s_waitcnt vmcnt(5)
	buffer_store_dword v4, v1, s[0:3], 0 offen offset:8
	;; [unrolled: 2-line block ×6, first 2 shown]
	s_waitcnt vmcnt(0)
	buffer_store_dword v9, v0, s[0:3], 0 offen
.LBB56_408:
	v_mov_b32_e32 v0, 0
	global_load_dword v1, v0, s[20:21] offset:116
	s_waitcnt vmcnt(0)
	v_add_nc_u32_e32 v1, -1, v1
	v_cmp_eq_u32_e32 vcc_lo, 29, v1
	s_cbranch_vccnz .LBB56_410
; %bb.409:
	v_lshlrev_b32_e32 v1, 4, v1
	v_mov_b32_e32 v2, s40
	v_add_nc_u32_e32 v1, 16, v1
	s_clause 0x7
	buffer_load_dword v3, v1, s[0:3], 0 offen
	buffer_load_dword v4, v1, s[0:3], 0 offen offset:4
	buffer_load_dword v5, v1, s[0:3], 0 offen offset:8
	;; [unrolled: 1-line block ×6, first 2 shown]
	buffer_load_dword v10, v2, s[0:3], 0 offen
	s_waitcnt vmcnt(7)
	buffer_store_dword v3, v2, s[0:3], 0 offen
	s_waitcnt vmcnt(6)
	buffer_store_dword v4, v2, s[0:3], 0 offen offset:4
	s_waitcnt vmcnt(5)
	buffer_store_dword v5, v2, s[0:3], 0 offen offset:8
	;; [unrolled: 2-line block ×6, first 2 shown]
	s_waitcnt vmcnt(0)
	buffer_store_dword v10, v1, s[0:3], 0 offen
.LBB56_410:
	global_load_dword v0, v0, s[20:21] offset:112
	s_waitcnt vmcnt(0)
	v_add_nc_u32_e32 v0, -1, v0
	v_cmp_eq_u32_e32 vcc_lo, 28, v0
	s_cbranch_vccnz .LBB56_412
; %bb.411:
	v_lshlrev_b32_e32 v0, 4, v0
	v_mov_b32_e32 v1, s41
	v_add_nc_u32_e32 v0, 16, v0
	s_clause 0x7
	buffer_load_dword v2, v0, s[0:3], 0 offen
	buffer_load_dword v3, v0, s[0:3], 0 offen offset:4
	buffer_load_dword v4, v0, s[0:3], 0 offen offset:8
	;; [unrolled: 1-line block ×6, first 2 shown]
	buffer_load_dword v9, v1, s[0:3], 0 offen
	s_waitcnt vmcnt(7)
	buffer_store_dword v2, v1, s[0:3], 0 offen
	s_waitcnt vmcnt(6)
	buffer_store_dword v3, v1, s[0:3], 0 offen offset:4
	s_waitcnt vmcnt(5)
	buffer_store_dword v4, v1, s[0:3], 0 offen offset:8
	;; [unrolled: 2-line block ×6, first 2 shown]
	s_waitcnt vmcnt(0)
	buffer_store_dword v9, v0, s[0:3], 0 offen
.LBB56_412:
	v_mov_b32_e32 v0, 0
	global_load_dword v1, v0, s[20:21] offset:108
	s_waitcnt vmcnt(0)
	v_add_nc_u32_e32 v1, -1, v1
	v_cmp_eq_u32_e32 vcc_lo, 27, v1
	s_cbranch_vccnz .LBB56_414
; %bb.413:
	v_lshlrev_b32_e32 v1, 4, v1
	v_mov_b32_e32 v2, s42
	v_add_nc_u32_e32 v1, 16, v1
	s_clause 0x7
	buffer_load_dword v3, v1, s[0:3], 0 offen
	buffer_load_dword v4, v1, s[0:3], 0 offen offset:4
	buffer_load_dword v5, v1, s[0:3], 0 offen offset:8
	;; [unrolled: 1-line block ×6, first 2 shown]
	buffer_load_dword v10, v2, s[0:3], 0 offen
	s_waitcnt vmcnt(7)
	buffer_store_dword v3, v2, s[0:3], 0 offen
	s_waitcnt vmcnt(6)
	buffer_store_dword v4, v2, s[0:3], 0 offen offset:4
	s_waitcnt vmcnt(5)
	buffer_store_dword v5, v2, s[0:3], 0 offen offset:8
	;; [unrolled: 2-line block ×6, first 2 shown]
	s_waitcnt vmcnt(0)
	buffer_store_dword v10, v1, s[0:3], 0 offen
.LBB56_414:
	global_load_dword v0, v0, s[20:21] offset:104
	s_waitcnt vmcnt(0)
	v_add_nc_u32_e32 v0, -1, v0
	v_cmp_eq_u32_e32 vcc_lo, 26, v0
	s_cbranch_vccnz .LBB56_416
; %bb.415:
	v_lshlrev_b32_e32 v0, 4, v0
	v_mov_b32_e32 v1, s43
	v_add_nc_u32_e32 v0, 16, v0
	s_clause 0x7
	buffer_load_dword v2, v0, s[0:3], 0 offen
	buffer_load_dword v3, v0, s[0:3], 0 offen offset:4
	buffer_load_dword v4, v0, s[0:3], 0 offen offset:8
	;; [unrolled: 1-line block ×6, first 2 shown]
	buffer_load_dword v9, v1, s[0:3], 0 offen
	s_waitcnt vmcnt(7)
	buffer_store_dword v2, v1, s[0:3], 0 offen
	s_waitcnt vmcnt(6)
	buffer_store_dword v3, v1, s[0:3], 0 offen offset:4
	s_waitcnt vmcnt(5)
	buffer_store_dword v4, v1, s[0:3], 0 offen offset:8
	;; [unrolled: 2-line block ×6, first 2 shown]
	s_waitcnt vmcnt(0)
	buffer_store_dword v9, v0, s[0:3], 0 offen
.LBB56_416:
	v_mov_b32_e32 v0, 0
	global_load_dword v1, v0, s[20:21] offset:100
	s_waitcnt vmcnt(0)
	v_add_nc_u32_e32 v1, -1, v1
	v_cmp_eq_u32_e32 vcc_lo, 25, v1
	s_cbranch_vccnz .LBB56_418
; %bb.417:
	v_lshlrev_b32_e32 v1, 4, v1
	v_mov_b32_e32 v2, s44
	v_add_nc_u32_e32 v1, 16, v1
	s_clause 0x7
	buffer_load_dword v3, v1, s[0:3], 0 offen
	buffer_load_dword v4, v1, s[0:3], 0 offen offset:4
	buffer_load_dword v5, v1, s[0:3], 0 offen offset:8
	;; [unrolled: 1-line block ×6, first 2 shown]
	buffer_load_dword v10, v2, s[0:3], 0 offen
	s_waitcnt vmcnt(7)
	buffer_store_dword v3, v2, s[0:3], 0 offen
	s_waitcnt vmcnt(6)
	buffer_store_dword v4, v2, s[0:3], 0 offen offset:4
	s_waitcnt vmcnt(5)
	buffer_store_dword v5, v2, s[0:3], 0 offen offset:8
	;; [unrolled: 2-line block ×6, first 2 shown]
	s_waitcnt vmcnt(0)
	buffer_store_dword v10, v1, s[0:3], 0 offen
.LBB56_418:
	global_load_dword v0, v0, s[20:21] offset:96
	s_waitcnt vmcnt(0)
	v_add_nc_u32_e32 v0, -1, v0
	v_cmp_eq_u32_e32 vcc_lo, 24, v0
	s_cbranch_vccnz .LBB56_420
; %bb.419:
	v_lshlrev_b32_e32 v0, 4, v0
	v_mov_b32_e32 v1, s45
	v_add_nc_u32_e32 v0, 16, v0
	s_clause 0x7
	buffer_load_dword v2, v0, s[0:3], 0 offen
	buffer_load_dword v3, v0, s[0:3], 0 offen offset:4
	buffer_load_dword v4, v0, s[0:3], 0 offen offset:8
	;; [unrolled: 1-line block ×6, first 2 shown]
	buffer_load_dword v9, v1, s[0:3], 0 offen
	s_waitcnt vmcnt(7)
	buffer_store_dword v2, v1, s[0:3], 0 offen
	s_waitcnt vmcnt(6)
	buffer_store_dword v3, v1, s[0:3], 0 offen offset:4
	s_waitcnt vmcnt(5)
	buffer_store_dword v4, v1, s[0:3], 0 offen offset:8
	;; [unrolled: 2-line block ×6, first 2 shown]
	s_waitcnt vmcnt(0)
	buffer_store_dword v9, v0, s[0:3], 0 offen
.LBB56_420:
	v_mov_b32_e32 v0, 0
	global_load_dword v1, v0, s[20:21] offset:92
	s_waitcnt vmcnt(0)
	v_add_nc_u32_e32 v1, -1, v1
	v_cmp_eq_u32_e32 vcc_lo, 23, v1
	s_cbranch_vccnz .LBB56_422
; %bb.421:
	v_lshlrev_b32_e32 v1, 4, v1
	v_mov_b32_e32 v2, s46
	v_add_nc_u32_e32 v1, 16, v1
	s_clause 0x7
	buffer_load_dword v3, v1, s[0:3], 0 offen
	buffer_load_dword v4, v1, s[0:3], 0 offen offset:4
	buffer_load_dword v5, v1, s[0:3], 0 offen offset:8
	;; [unrolled: 1-line block ×6, first 2 shown]
	buffer_load_dword v10, v2, s[0:3], 0 offen
	s_waitcnt vmcnt(7)
	buffer_store_dword v3, v2, s[0:3], 0 offen
	s_waitcnt vmcnt(6)
	buffer_store_dword v4, v2, s[0:3], 0 offen offset:4
	s_waitcnt vmcnt(5)
	buffer_store_dword v5, v2, s[0:3], 0 offen offset:8
	;; [unrolled: 2-line block ×6, first 2 shown]
	s_waitcnt vmcnt(0)
	buffer_store_dword v10, v1, s[0:3], 0 offen
.LBB56_422:
	global_load_dword v0, v0, s[20:21] offset:88
	s_waitcnt vmcnt(0)
	v_add_nc_u32_e32 v0, -1, v0
	v_cmp_eq_u32_e32 vcc_lo, 22, v0
	s_cbranch_vccnz .LBB56_424
; %bb.423:
	v_lshlrev_b32_e32 v0, 4, v0
	v_mov_b32_e32 v1, s47
	v_add_nc_u32_e32 v0, 16, v0
	s_clause 0x7
	buffer_load_dword v2, v0, s[0:3], 0 offen
	buffer_load_dword v3, v0, s[0:3], 0 offen offset:4
	buffer_load_dword v4, v0, s[0:3], 0 offen offset:8
	;; [unrolled: 1-line block ×6, first 2 shown]
	buffer_load_dword v9, v1, s[0:3], 0 offen
	s_waitcnt vmcnt(7)
	buffer_store_dword v2, v1, s[0:3], 0 offen
	s_waitcnt vmcnt(6)
	buffer_store_dword v3, v1, s[0:3], 0 offen offset:4
	s_waitcnt vmcnt(5)
	buffer_store_dword v4, v1, s[0:3], 0 offen offset:8
	;; [unrolled: 2-line block ×6, first 2 shown]
	s_waitcnt vmcnt(0)
	buffer_store_dword v9, v0, s[0:3], 0 offen
.LBB56_424:
	v_mov_b32_e32 v0, 0
	global_load_dword v1, v0, s[20:21] offset:84
	s_waitcnt vmcnt(0)
	v_add_nc_u32_e32 v1, -1, v1
	v_cmp_eq_u32_e32 vcc_lo, 21, v1
	s_cbranch_vccnz .LBB56_426
; %bb.425:
	v_lshlrev_b32_e32 v1, 4, v1
	v_mov_b32_e32 v2, s48
	v_add_nc_u32_e32 v1, 16, v1
	s_clause 0x7
	buffer_load_dword v3, v1, s[0:3], 0 offen
	buffer_load_dword v4, v1, s[0:3], 0 offen offset:4
	buffer_load_dword v5, v1, s[0:3], 0 offen offset:8
	;; [unrolled: 1-line block ×6, first 2 shown]
	buffer_load_dword v10, v2, s[0:3], 0 offen
	s_waitcnt vmcnt(7)
	buffer_store_dword v3, v2, s[0:3], 0 offen
	s_waitcnt vmcnt(6)
	buffer_store_dword v4, v2, s[0:3], 0 offen offset:4
	s_waitcnt vmcnt(5)
	buffer_store_dword v5, v2, s[0:3], 0 offen offset:8
	;; [unrolled: 2-line block ×6, first 2 shown]
	s_waitcnt vmcnt(0)
	buffer_store_dword v10, v1, s[0:3], 0 offen
.LBB56_426:
	global_load_dword v0, v0, s[20:21] offset:80
	s_waitcnt vmcnt(0)
	v_add_nc_u32_e32 v0, -1, v0
	v_cmp_eq_u32_e32 vcc_lo, 20, v0
	s_cbranch_vccnz .LBB56_428
; %bb.427:
	v_lshlrev_b32_e32 v0, 4, v0
	v_mov_b32_e32 v1, s49
	v_add_nc_u32_e32 v0, 16, v0
	s_clause 0x7
	buffer_load_dword v2, v0, s[0:3], 0 offen
	buffer_load_dword v3, v0, s[0:3], 0 offen offset:4
	buffer_load_dword v4, v0, s[0:3], 0 offen offset:8
	;; [unrolled: 1-line block ×6, first 2 shown]
	buffer_load_dword v9, v1, s[0:3], 0 offen
	s_waitcnt vmcnt(7)
	buffer_store_dword v2, v1, s[0:3], 0 offen
	s_waitcnt vmcnt(6)
	buffer_store_dword v3, v1, s[0:3], 0 offen offset:4
	s_waitcnt vmcnt(5)
	buffer_store_dword v4, v1, s[0:3], 0 offen offset:8
	;; [unrolled: 2-line block ×6, first 2 shown]
	s_waitcnt vmcnt(0)
	buffer_store_dword v9, v0, s[0:3], 0 offen
.LBB56_428:
	v_mov_b32_e32 v0, 0
	global_load_dword v1, v0, s[20:21] offset:76
	s_waitcnt vmcnt(0)
	v_add_nc_u32_e32 v1, -1, v1
	v_cmp_eq_u32_e32 vcc_lo, 19, v1
	s_cbranch_vccnz .LBB56_430
; %bb.429:
	v_lshlrev_b32_e32 v1, 4, v1
	v_mov_b32_e32 v2, s50
	v_add_nc_u32_e32 v1, 16, v1
	s_clause 0x7
	buffer_load_dword v3, v1, s[0:3], 0 offen
	buffer_load_dword v4, v1, s[0:3], 0 offen offset:4
	buffer_load_dword v5, v1, s[0:3], 0 offen offset:8
	;; [unrolled: 1-line block ×6, first 2 shown]
	buffer_load_dword v10, v2, s[0:3], 0 offen
	s_waitcnt vmcnt(7)
	buffer_store_dword v3, v2, s[0:3], 0 offen
	s_waitcnt vmcnt(6)
	buffer_store_dword v4, v2, s[0:3], 0 offen offset:4
	s_waitcnt vmcnt(5)
	buffer_store_dword v5, v2, s[0:3], 0 offen offset:8
	;; [unrolled: 2-line block ×6, first 2 shown]
	s_waitcnt vmcnt(0)
	buffer_store_dword v10, v1, s[0:3], 0 offen
.LBB56_430:
	global_load_dword v0, v0, s[20:21] offset:72
	s_waitcnt vmcnt(0)
	v_add_nc_u32_e32 v0, -1, v0
	v_cmp_eq_u32_e32 vcc_lo, 18, v0
	s_cbranch_vccnz .LBB56_432
; %bb.431:
	v_lshlrev_b32_e32 v0, 4, v0
	v_mov_b32_e32 v1, s51
	v_add_nc_u32_e32 v0, 16, v0
	s_clause 0x7
	buffer_load_dword v2, v0, s[0:3], 0 offen
	buffer_load_dword v3, v0, s[0:3], 0 offen offset:4
	buffer_load_dword v4, v0, s[0:3], 0 offen offset:8
	;; [unrolled: 1-line block ×6, first 2 shown]
	buffer_load_dword v9, v1, s[0:3], 0 offen
	s_waitcnt vmcnt(7)
	buffer_store_dword v2, v1, s[0:3], 0 offen
	s_waitcnt vmcnt(6)
	buffer_store_dword v3, v1, s[0:3], 0 offen offset:4
	s_waitcnt vmcnt(5)
	buffer_store_dword v4, v1, s[0:3], 0 offen offset:8
	;; [unrolled: 2-line block ×6, first 2 shown]
	s_waitcnt vmcnt(0)
	buffer_store_dword v9, v0, s[0:3], 0 offen
.LBB56_432:
	v_mov_b32_e32 v0, 0
	global_load_dword v1, v0, s[20:21] offset:68
	s_waitcnt vmcnt(0)
	v_add_nc_u32_e32 v1, -1, v1
	v_cmp_eq_u32_e32 vcc_lo, 17, v1
	s_cbranch_vccnz .LBB56_434
; %bb.433:
	v_lshlrev_b32_e32 v1, 4, v1
	v_mov_b32_e32 v2, s52
	v_add_nc_u32_e32 v1, 16, v1
	s_clause 0x7
	buffer_load_dword v3, v1, s[0:3], 0 offen
	buffer_load_dword v4, v1, s[0:3], 0 offen offset:4
	buffer_load_dword v5, v1, s[0:3], 0 offen offset:8
	buffer_load_dword v6, v1, s[0:3], 0 offen offset:12
	buffer_load_dword v7, v2, s[0:3], 0 offen offset:12
	buffer_load_dword v8, v2, s[0:3], 0 offen offset:8
	buffer_load_dword v9, v2, s[0:3], 0 offen offset:4
	buffer_load_dword v10, v2, s[0:3], 0 offen
	s_waitcnt vmcnt(7)
	buffer_store_dword v3, v2, s[0:3], 0 offen
	s_waitcnt vmcnt(6)
	buffer_store_dword v4, v2, s[0:3], 0 offen offset:4
	s_waitcnt vmcnt(5)
	buffer_store_dword v5, v2, s[0:3], 0 offen offset:8
	;; [unrolled: 2-line block ×6, first 2 shown]
	s_waitcnt vmcnt(0)
	buffer_store_dword v10, v1, s[0:3], 0 offen
.LBB56_434:
	global_load_dword v0, v0, s[20:21] offset:64
	s_waitcnt vmcnt(0)
	v_add_nc_u32_e32 v0, -1, v0
	v_cmp_eq_u32_e32 vcc_lo, 16, v0
	s_cbranch_vccnz .LBB56_436
; %bb.435:
	v_lshlrev_b32_e32 v0, 4, v0
	v_mov_b32_e32 v1, s53
	v_add_nc_u32_e32 v0, 16, v0
	s_clause 0x7
	buffer_load_dword v2, v0, s[0:3], 0 offen
	buffer_load_dword v3, v0, s[0:3], 0 offen offset:4
	buffer_load_dword v4, v0, s[0:3], 0 offen offset:8
	;; [unrolled: 1-line block ×6, first 2 shown]
	buffer_load_dword v9, v1, s[0:3], 0 offen
	s_waitcnt vmcnt(7)
	buffer_store_dword v2, v1, s[0:3], 0 offen
	s_waitcnt vmcnt(6)
	buffer_store_dword v3, v1, s[0:3], 0 offen offset:4
	s_waitcnt vmcnt(5)
	buffer_store_dword v4, v1, s[0:3], 0 offen offset:8
	;; [unrolled: 2-line block ×6, first 2 shown]
	s_waitcnt vmcnt(0)
	buffer_store_dword v9, v0, s[0:3], 0 offen
.LBB56_436:
	v_mov_b32_e32 v0, 0
	global_load_dword v1, v0, s[20:21] offset:60
	s_waitcnt vmcnt(0)
	v_add_nc_u32_e32 v1, -1, v1
	v_cmp_eq_u32_e32 vcc_lo, 15, v1
	s_cbranch_vccnz .LBB56_438
; %bb.437:
	v_lshlrev_b32_e32 v1, 4, v1
	v_mov_b32_e32 v2, s54
	v_add_nc_u32_e32 v1, 16, v1
	s_clause 0x7
	buffer_load_dword v3, v1, s[0:3], 0 offen
	buffer_load_dword v4, v1, s[0:3], 0 offen offset:4
	buffer_load_dword v5, v1, s[0:3], 0 offen offset:8
	;; [unrolled: 1-line block ×6, first 2 shown]
	buffer_load_dword v10, v2, s[0:3], 0 offen
	s_waitcnt vmcnt(7)
	buffer_store_dword v3, v2, s[0:3], 0 offen
	s_waitcnt vmcnt(6)
	buffer_store_dword v4, v2, s[0:3], 0 offen offset:4
	s_waitcnt vmcnt(5)
	buffer_store_dword v5, v2, s[0:3], 0 offen offset:8
	;; [unrolled: 2-line block ×6, first 2 shown]
	s_waitcnt vmcnt(0)
	buffer_store_dword v10, v1, s[0:3], 0 offen
.LBB56_438:
	global_load_dword v0, v0, s[20:21] offset:56
	s_waitcnt vmcnt(0)
	v_add_nc_u32_e32 v0, -1, v0
	v_cmp_eq_u32_e32 vcc_lo, 14, v0
	s_cbranch_vccnz .LBB56_440
; %bb.439:
	v_lshlrev_b32_e32 v0, 4, v0
	v_mov_b32_e32 v1, s55
	v_add_nc_u32_e32 v0, 16, v0
	s_clause 0x7
	buffer_load_dword v2, v0, s[0:3], 0 offen
	buffer_load_dword v3, v0, s[0:3], 0 offen offset:4
	buffer_load_dword v4, v0, s[0:3], 0 offen offset:8
	;; [unrolled: 1-line block ×6, first 2 shown]
	buffer_load_dword v9, v1, s[0:3], 0 offen
	s_waitcnt vmcnt(7)
	buffer_store_dword v2, v1, s[0:3], 0 offen
	s_waitcnt vmcnt(6)
	buffer_store_dword v3, v1, s[0:3], 0 offen offset:4
	s_waitcnt vmcnt(5)
	buffer_store_dword v4, v1, s[0:3], 0 offen offset:8
	s_waitcnt vmcnt(4)
	buffer_store_dword v5, v1, s[0:3], 0 offen offset:12
	s_waitcnt vmcnt(3)
	buffer_store_dword v6, v0, s[0:3], 0 offen offset:12
	s_waitcnt vmcnt(2)
	buffer_store_dword v7, v0, s[0:3], 0 offen offset:8
	s_waitcnt vmcnt(1)
	buffer_store_dword v8, v0, s[0:3], 0 offen offset:4
	s_waitcnt vmcnt(0)
	buffer_store_dword v9, v0, s[0:3], 0 offen
.LBB56_440:
	v_mov_b32_e32 v0, 0
	global_load_dword v1, v0, s[20:21] offset:52
	s_waitcnt vmcnt(0)
	v_add_nc_u32_e32 v1, -1, v1
	v_cmp_eq_u32_e32 vcc_lo, 13, v1
	s_cbranch_vccnz .LBB56_442
; %bb.441:
	v_lshlrev_b32_e32 v1, 4, v1
	v_mov_b32_e32 v2, s56
	v_add_nc_u32_e32 v1, 16, v1
	s_clause 0x7
	buffer_load_dword v3, v1, s[0:3], 0 offen
	buffer_load_dword v4, v1, s[0:3], 0 offen offset:4
	buffer_load_dword v5, v1, s[0:3], 0 offen offset:8
	;; [unrolled: 1-line block ×6, first 2 shown]
	buffer_load_dword v10, v2, s[0:3], 0 offen
	s_waitcnt vmcnt(7)
	buffer_store_dword v3, v2, s[0:3], 0 offen
	s_waitcnt vmcnt(6)
	buffer_store_dword v4, v2, s[0:3], 0 offen offset:4
	s_waitcnt vmcnt(5)
	buffer_store_dword v5, v2, s[0:3], 0 offen offset:8
	;; [unrolled: 2-line block ×6, first 2 shown]
	s_waitcnt vmcnt(0)
	buffer_store_dword v10, v1, s[0:3], 0 offen
.LBB56_442:
	global_load_dword v0, v0, s[20:21] offset:48
	s_waitcnt vmcnt(0)
	v_add_nc_u32_e32 v0, -1, v0
	v_cmp_eq_u32_e32 vcc_lo, 12, v0
	s_cbranch_vccnz .LBB56_444
; %bb.443:
	v_lshlrev_b32_e32 v0, 4, v0
	v_mov_b32_e32 v1, s57
	v_add_nc_u32_e32 v0, 16, v0
	s_clause 0x7
	buffer_load_dword v2, v0, s[0:3], 0 offen
	buffer_load_dword v3, v0, s[0:3], 0 offen offset:4
	buffer_load_dword v4, v0, s[0:3], 0 offen offset:8
	;; [unrolled: 1-line block ×6, first 2 shown]
	buffer_load_dword v9, v1, s[0:3], 0 offen
	s_waitcnt vmcnt(7)
	buffer_store_dword v2, v1, s[0:3], 0 offen
	s_waitcnt vmcnt(6)
	buffer_store_dword v3, v1, s[0:3], 0 offen offset:4
	s_waitcnt vmcnt(5)
	buffer_store_dword v4, v1, s[0:3], 0 offen offset:8
	s_waitcnt vmcnt(4)
	buffer_store_dword v5, v1, s[0:3], 0 offen offset:12
	s_waitcnt vmcnt(3)
	buffer_store_dword v6, v0, s[0:3], 0 offen offset:12
	s_waitcnt vmcnt(2)
	buffer_store_dword v7, v0, s[0:3], 0 offen offset:8
	s_waitcnt vmcnt(1)
	buffer_store_dword v8, v0, s[0:3], 0 offen offset:4
	s_waitcnt vmcnt(0)
	buffer_store_dword v9, v0, s[0:3], 0 offen
.LBB56_444:
	v_mov_b32_e32 v0, 0
	global_load_dword v1, v0, s[20:21] offset:44
	s_waitcnt vmcnt(0)
	v_add_nc_u32_e32 v1, -1, v1
	v_cmp_eq_u32_e32 vcc_lo, 11, v1
	s_cbranch_vccnz .LBB56_446
; %bb.445:
	v_lshlrev_b32_e32 v1, 4, v1
	v_mov_b32_e32 v2, s58
	v_add_nc_u32_e32 v1, 16, v1
	s_clause 0x7
	buffer_load_dword v3, v1, s[0:3], 0 offen
	buffer_load_dword v4, v1, s[0:3], 0 offen offset:4
	buffer_load_dword v5, v1, s[0:3], 0 offen offset:8
	;; [unrolled: 1-line block ×6, first 2 shown]
	buffer_load_dword v10, v2, s[0:3], 0 offen
	s_waitcnt vmcnt(7)
	buffer_store_dword v3, v2, s[0:3], 0 offen
	s_waitcnt vmcnt(6)
	buffer_store_dword v4, v2, s[0:3], 0 offen offset:4
	s_waitcnt vmcnt(5)
	buffer_store_dword v5, v2, s[0:3], 0 offen offset:8
	s_waitcnt vmcnt(4)
	buffer_store_dword v6, v2, s[0:3], 0 offen offset:12
	s_waitcnt vmcnt(3)
	buffer_store_dword v7, v1, s[0:3], 0 offen offset:12
	s_waitcnt vmcnt(2)
	buffer_store_dword v8, v1, s[0:3], 0 offen offset:8
	s_waitcnt vmcnt(1)
	buffer_store_dword v9, v1, s[0:3], 0 offen offset:4
	s_waitcnt vmcnt(0)
	buffer_store_dword v10, v1, s[0:3], 0 offen
.LBB56_446:
	global_load_dword v0, v0, s[20:21] offset:40
	s_waitcnt vmcnt(0)
	v_add_nc_u32_e32 v0, -1, v0
	v_cmp_eq_u32_e32 vcc_lo, 10, v0
	s_cbranch_vccnz .LBB56_448
; %bb.447:
	v_lshlrev_b32_e32 v0, 4, v0
	v_mov_b32_e32 v1, s59
	v_add_nc_u32_e32 v0, 16, v0
	s_clause 0x7
	buffer_load_dword v2, v0, s[0:3], 0 offen
	buffer_load_dword v3, v0, s[0:3], 0 offen offset:4
	buffer_load_dword v4, v0, s[0:3], 0 offen offset:8
	;; [unrolled: 1-line block ×6, first 2 shown]
	buffer_load_dword v9, v1, s[0:3], 0 offen
	s_waitcnt vmcnt(7)
	buffer_store_dword v2, v1, s[0:3], 0 offen
	s_waitcnt vmcnt(6)
	buffer_store_dword v3, v1, s[0:3], 0 offen offset:4
	s_waitcnt vmcnt(5)
	buffer_store_dword v4, v1, s[0:3], 0 offen offset:8
	;; [unrolled: 2-line block ×6, first 2 shown]
	s_waitcnt vmcnt(0)
	buffer_store_dword v9, v0, s[0:3], 0 offen
.LBB56_448:
	v_mov_b32_e32 v0, 0
	global_load_dword v1, v0, s[20:21] offset:36
	s_waitcnt vmcnt(0)
	v_add_nc_u32_e32 v1, -1, v1
	v_cmp_eq_u32_e32 vcc_lo, 9, v1
	s_cbranch_vccnz .LBB56_450
; %bb.449:
	v_lshlrev_b32_e32 v1, 4, v1
	v_mov_b32_e32 v2, s60
	v_add_nc_u32_e32 v1, 16, v1
	s_clause 0x7
	buffer_load_dword v3, v1, s[0:3], 0 offen
	buffer_load_dword v4, v1, s[0:3], 0 offen offset:4
	buffer_load_dword v5, v1, s[0:3], 0 offen offset:8
	;; [unrolled: 1-line block ×6, first 2 shown]
	buffer_load_dword v10, v2, s[0:3], 0 offen
	s_waitcnt vmcnt(7)
	buffer_store_dword v3, v2, s[0:3], 0 offen
	s_waitcnt vmcnt(6)
	buffer_store_dword v4, v2, s[0:3], 0 offen offset:4
	s_waitcnt vmcnt(5)
	buffer_store_dword v5, v2, s[0:3], 0 offen offset:8
	;; [unrolled: 2-line block ×6, first 2 shown]
	s_waitcnt vmcnt(0)
	buffer_store_dword v10, v1, s[0:3], 0 offen
.LBB56_450:
	global_load_dword v0, v0, s[20:21] offset:32
	s_waitcnt vmcnt(0)
	v_add_nc_u32_e32 v0, -1, v0
	v_cmp_eq_u32_e32 vcc_lo, 8, v0
	s_cbranch_vccnz .LBB56_452
; %bb.451:
	v_lshlrev_b32_e32 v0, 4, v0
	v_mov_b32_e32 v1, s61
	v_add_nc_u32_e32 v0, 16, v0
	s_clause 0x7
	buffer_load_dword v2, v0, s[0:3], 0 offen
	buffer_load_dword v3, v0, s[0:3], 0 offen offset:4
	buffer_load_dword v4, v0, s[0:3], 0 offen offset:8
	;; [unrolled: 1-line block ×6, first 2 shown]
	buffer_load_dword v9, v1, s[0:3], 0 offen
	s_waitcnt vmcnt(7)
	buffer_store_dword v2, v1, s[0:3], 0 offen
	s_waitcnt vmcnt(6)
	buffer_store_dword v3, v1, s[0:3], 0 offen offset:4
	s_waitcnt vmcnt(5)
	buffer_store_dword v4, v1, s[0:3], 0 offen offset:8
	;; [unrolled: 2-line block ×6, first 2 shown]
	s_waitcnt vmcnt(0)
	buffer_store_dword v9, v0, s[0:3], 0 offen
.LBB56_452:
	v_mov_b32_e32 v0, 0
	global_load_dword v1, v0, s[20:21] offset:28
	s_waitcnt vmcnt(0)
	v_add_nc_u32_e32 v1, -1, v1
	v_cmp_eq_u32_e32 vcc_lo, 7, v1
	s_cbranch_vccnz .LBB56_454
; %bb.453:
	v_lshlrev_b32_e32 v1, 4, v1
	v_mov_b32_e32 v2, s62
	v_add_nc_u32_e32 v1, 16, v1
	s_clause 0x7
	buffer_load_dword v3, v1, s[0:3], 0 offen
	buffer_load_dword v4, v1, s[0:3], 0 offen offset:4
	buffer_load_dword v5, v1, s[0:3], 0 offen offset:8
	;; [unrolled: 1-line block ×6, first 2 shown]
	buffer_load_dword v10, v2, s[0:3], 0 offen
	s_waitcnt vmcnt(7)
	buffer_store_dword v3, v2, s[0:3], 0 offen
	s_waitcnt vmcnt(6)
	buffer_store_dword v4, v2, s[0:3], 0 offen offset:4
	s_waitcnt vmcnt(5)
	buffer_store_dword v5, v2, s[0:3], 0 offen offset:8
	;; [unrolled: 2-line block ×6, first 2 shown]
	s_waitcnt vmcnt(0)
	buffer_store_dword v10, v1, s[0:3], 0 offen
.LBB56_454:
	global_load_dword v0, v0, s[20:21] offset:24
	s_waitcnt vmcnt(0)
	v_add_nc_u32_e32 v0, -1, v0
	v_cmp_eq_u32_e32 vcc_lo, 6, v0
	s_cbranch_vccnz .LBB56_456
; %bb.455:
	v_lshlrev_b32_e32 v0, 4, v0
	v_mov_b32_e32 v1, s63
	v_add_nc_u32_e32 v0, 16, v0
	s_clause 0x7
	buffer_load_dword v2, v0, s[0:3], 0 offen
	buffer_load_dword v3, v0, s[0:3], 0 offen offset:4
	buffer_load_dword v4, v0, s[0:3], 0 offen offset:8
	;; [unrolled: 1-line block ×6, first 2 shown]
	buffer_load_dword v9, v1, s[0:3], 0 offen
	s_waitcnt vmcnt(7)
	buffer_store_dword v2, v1, s[0:3], 0 offen
	s_waitcnt vmcnt(6)
	buffer_store_dword v3, v1, s[0:3], 0 offen offset:4
	s_waitcnt vmcnt(5)
	buffer_store_dword v4, v1, s[0:3], 0 offen offset:8
	;; [unrolled: 2-line block ×6, first 2 shown]
	s_waitcnt vmcnt(0)
	buffer_store_dword v9, v0, s[0:3], 0 offen
.LBB56_456:
	v_mov_b32_e32 v0, 0
	global_load_dword v1, v0, s[20:21] offset:20
	s_waitcnt vmcnt(0)
	v_add_nc_u32_e32 v1, -1, v1
	v_cmp_eq_u32_e32 vcc_lo, 5, v1
	s_cbranch_vccnz .LBB56_458
; %bb.457:
	v_lshlrev_b32_e32 v1, 4, v1
	v_mov_b32_e32 v2, s64
	v_add_nc_u32_e32 v1, 16, v1
	s_clause 0x7
	buffer_load_dword v3, v1, s[0:3], 0 offen
	buffer_load_dword v4, v1, s[0:3], 0 offen offset:4
	buffer_load_dword v5, v1, s[0:3], 0 offen offset:8
	;; [unrolled: 1-line block ×6, first 2 shown]
	buffer_load_dword v10, v2, s[0:3], 0 offen
	s_waitcnt vmcnt(7)
	buffer_store_dword v3, v2, s[0:3], 0 offen
	s_waitcnt vmcnt(6)
	buffer_store_dword v4, v2, s[0:3], 0 offen offset:4
	s_waitcnt vmcnt(5)
	buffer_store_dword v5, v2, s[0:3], 0 offen offset:8
	s_waitcnt vmcnt(4)
	buffer_store_dword v6, v2, s[0:3], 0 offen offset:12
	s_waitcnt vmcnt(3)
	buffer_store_dword v7, v1, s[0:3], 0 offen offset:12
	s_waitcnt vmcnt(2)
	buffer_store_dword v8, v1, s[0:3], 0 offen offset:8
	s_waitcnt vmcnt(1)
	buffer_store_dword v9, v1, s[0:3], 0 offen offset:4
	s_waitcnt vmcnt(0)
	buffer_store_dword v10, v1, s[0:3], 0 offen
.LBB56_458:
	global_load_dword v0, v0, s[20:21] offset:16
	s_waitcnt vmcnt(0)
	v_add_nc_u32_e32 v0, -1, v0
	v_cmp_eq_u32_e32 vcc_lo, 4, v0
	s_cbranch_vccnz .LBB56_460
; %bb.459:
	v_lshlrev_b32_e32 v0, 4, v0
	v_mov_b32_e32 v1, s65
	v_add_nc_u32_e32 v0, 16, v0
	s_clause 0x7
	buffer_load_dword v2, v0, s[0:3], 0 offen
	buffer_load_dword v3, v0, s[0:3], 0 offen offset:4
	buffer_load_dword v4, v0, s[0:3], 0 offen offset:8
	;; [unrolled: 1-line block ×6, first 2 shown]
	buffer_load_dword v9, v1, s[0:3], 0 offen
	s_waitcnt vmcnt(7)
	buffer_store_dword v2, v1, s[0:3], 0 offen
	s_waitcnt vmcnt(6)
	buffer_store_dword v3, v1, s[0:3], 0 offen offset:4
	s_waitcnt vmcnt(5)
	buffer_store_dword v4, v1, s[0:3], 0 offen offset:8
	;; [unrolled: 2-line block ×6, first 2 shown]
	s_waitcnt vmcnt(0)
	buffer_store_dword v9, v0, s[0:3], 0 offen
.LBB56_460:
	v_mov_b32_e32 v0, 0
	global_load_dword v1, v0, s[20:21] offset:12
	s_waitcnt vmcnt(0)
	v_add_nc_u32_e32 v1, -1, v1
	v_cmp_eq_u32_e32 vcc_lo, 3, v1
	s_cbranch_vccnz .LBB56_462
; %bb.461:
	v_lshlrev_b32_e32 v1, 4, v1
	v_mov_b32_e32 v2, s66
	v_add_nc_u32_e32 v1, 16, v1
	s_clause 0x7
	buffer_load_dword v3, v1, s[0:3], 0 offen
	buffer_load_dword v4, v1, s[0:3], 0 offen offset:4
	buffer_load_dword v5, v1, s[0:3], 0 offen offset:8
	buffer_load_dword v6, v1, s[0:3], 0 offen offset:12
	buffer_load_dword v7, v2, s[0:3], 0 offen offset:12
	buffer_load_dword v8, v2, s[0:3], 0 offen offset:8
	buffer_load_dword v9, v2, s[0:3], 0 offen offset:4
	buffer_load_dword v10, v2, s[0:3], 0 offen
	s_waitcnt vmcnt(7)
	buffer_store_dword v3, v2, s[0:3], 0 offen
	s_waitcnt vmcnt(6)
	buffer_store_dword v4, v2, s[0:3], 0 offen offset:4
	s_waitcnt vmcnt(5)
	buffer_store_dword v5, v2, s[0:3], 0 offen offset:8
	;; [unrolled: 2-line block ×6, first 2 shown]
	s_waitcnt vmcnt(0)
	buffer_store_dword v10, v1, s[0:3], 0 offen
.LBB56_462:
	global_load_dword v0, v0, s[20:21] offset:8
	s_waitcnt vmcnt(0)
	v_add_nc_u32_e32 v0, -1, v0
	v_cmp_eq_u32_e32 vcc_lo, 2, v0
	s_cbranch_vccnz .LBB56_464
; %bb.463:
	v_lshlrev_b32_e32 v0, 4, v0
	v_mov_b32_e32 v1, s67
	v_add_nc_u32_e32 v0, 16, v0
	s_clause 0x7
	buffer_load_dword v2, v0, s[0:3], 0 offen
	buffer_load_dword v3, v0, s[0:3], 0 offen offset:4
	buffer_load_dword v4, v0, s[0:3], 0 offen offset:8
	;; [unrolled: 1-line block ×6, first 2 shown]
	buffer_load_dword v9, v1, s[0:3], 0 offen
	s_waitcnt vmcnt(7)
	buffer_store_dword v2, v1, s[0:3], 0 offen
	s_waitcnt vmcnt(6)
	buffer_store_dword v3, v1, s[0:3], 0 offen offset:4
	s_waitcnt vmcnt(5)
	buffer_store_dword v4, v1, s[0:3], 0 offen offset:8
	;; [unrolled: 2-line block ×6, first 2 shown]
	s_waitcnt vmcnt(0)
	buffer_store_dword v9, v0, s[0:3], 0 offen
.LBB56_464:
	v_mov_b32_e32 v0, 0
	global_load_dword v1, v0, s[20:21] offset:4
	s_waitcnt vmcnt(0)
	v_add_nc_u32_e32 v1, -1, v1
	v_cmp_eq_u32_e32 vcc_lo, 1, v1
	s_cbranch_vccnz .LBB56_466
; %bb.465:
	v_lshlrev_b32_e32 v1, 4, v1
	v_mov_b32_e32 v2, s68
	v_add_nc_u32_e32 v1, 16, v1
	s_clause 0x7
	buffer_load_dword v3, v1, s[0:3], 0 offen
	buffer_load_dword v4, v1, s[0:3], 0 offen offset:4
	buffer_load_dword v5, v1, s[0:3], 0 offen offset:8
	;; [unrolled: 1-line block ×6, first 2 shown]
	buffer_load_dword v10, v2, s[0:3], 0 offen
	s_waitcnt vmcnt(7)
	buffer_store_dword v3, v2, s[0:3], 0 offen
	s_waitcnt vmcnt(6)
	buffer_store_dword v4, v2, s[0:3], 0 offen offset:4
	s_waitcnt vmcnt(5)
	buffer_store_dword v5, v2, s[0:3], 0 offen offset:8
	;; [unrolled: 2-line block ×6, first 2 shown]
	s_waitcnt vmcnt(0)
	buffer_store_dword v10, v1, s[0:3], 0 offen
.LBB56_466:
	global_load_dword v0, v0, s[20:21]
	s_waitcnt vmcnt(0)
	v_add_nc_u32_e32 v0, -1, v0
	v_cmp_eq_u32_e32 vcc_lo, 0, v0
	s_cbranch_vccnz .LBB56_468
; %bb.467:
	v_lshlrev_b32_e32 v0, 4, v0
	v_add_nc_u32_e32 v0, 16, v0
	s_clause 0x7
	buffer_load_dword v1, v0, s[0:3], 0 offen
	buffer_load_dword v2, v0, s[0:3], 0 offen offset:4
	buffer_load_dword v3, v0, s[0:3], 0 offen offset:8
	;; [unrolled: 1-line block ×3, first 2 shown]
	buffer_load_dword v5, off, s[0:3], 0 offset:28
	buffer_load_dword v6, off, s[0:3], 0 offset:24
	;; [unrolled: 1-line block ×4, first 2 shown]
	s_waitcnt vmcnt(7)
	buffer_store_dword v1, off, s[0:3], 0 offset:16
	s_waitcnt vmcnt(6)
	buffer_store_dword v2, off, s[0:3], 0 offset:20
	;; [unrolled: 2-line block ×4, first 2 shown]
	s_waitcnt vmcnt(3)
	buffer_store_dword v5, v0, s[0:3], 0 offen offset:12
	s_waitcnt vmcnt(2)
	buffer_store_dword v6, v0, s[0:3], 0 offen offset:8
	;; [unrolled: 2-line block ×3, first 2 shown]
	s_waitcnt vmcnt(0)
	buffer_store_dword v8, v0, s[0:3], 0 offen
.LBB56_468:
	v_mov_b32_e32 v7, s68
	s_clause 0x3
	buffer_load_dword v0, off, s[0:3], 0 offset:16
	buffer_load_dword v1, off, s[0:3], 0 offset:20
	;; [unrolled: 1-line block ×4, first 2 shown]
	v_mov_b32_e32 v11, s67
	v_mov_b32_e32 v15, s66
	;; [unrolled: 1-line block ×3, first 2 shown]
	s_clause 0x3
	buffer_load_dword v4, v7, s[0:3], 0 offen
	buffer_load_dword v5, v7, s[0:3], 0 offen offset:4
	buffer_load_dword v6, v7, s[0:3], 0 offen offset:8
	;; [unrolled: 1-line block ×3, first 2 shown]
	v_mov_b32_e32 v23, s64
	v_mov_b32_e32 v27, s63
	;; [unrolled: 1-line block ×23, first 2 shown]
	s_clause 0x33
	buffer_load_dword v8, v11, s[0:3], 0 offen
	buffer_load_dword v9, v11, s[0:3], 0 offen offset:4
	buffer_load_dword v10, v11, s[0:3], 0 offen offset:8
	buffer_load_dword v11, v11, s[0:3], 0 offen offset:12
	buffer_load_dword v12, v15, s[0:3], 0 offen
	buffer_load_dword v13, v15, s[0:3], 0 offen offset:4
	buffer_load_dword v14, v15, s[0:3], 0 offen offset:8
	buffer_load_dword v15, v15, s[0:3], 0 offen offset:12
	;; [unrolled: 4-line block ×13, first 2 shown]
	v_mov_b32_e32 v138, s42
	s_clause 0x2b
	buffer_load_dword v77, v72, s[0:3], 0 offen
	buffer_load_dword v78, v72, s[0:3], 0 offen offset:4
	buffer_load_dword v79, v72, s[0:3], 0 offen offset:8
	buffer_load_dword v80, v72, s[0:3], 0 offen offset:12
	buffer_load_dword v89, v92, s[0:3], 0 offen
	buffer_load_dword v90, v92, s[0:3], 0 offen offset:4
	buffer_load_dword v91, v92, s[0:3], 0 offen offset:8
	buffer_load_dword v92, v92, s[0:3], 0 offen offset:12
	;; [unrolled: 4-line block ×11, first 2 shown]
	v_mov_b32_e32 v142, s40
	v_mov_b32_e32 v143, s39
	;; [unrolled: 1-line block ×28, first 2 shown]
	s_waitcnt vmcnt(62)
	global_store_dwordx4 v[149:150], v[0:3], off
	s_clause 0x7
	buffer_load_dword v0, v135, s[0:3], 0 offen
	buffer_load_dword v1, v135, s[0:3], 0 offen offset:4
	buffer_load_dword v2, v135, s[0:3], 0 offen offset:8
	;; [unrolled: 1-line block ×3, first 2 shown]
	buffer_load_dword v135, v138, s[0:3], 0 offen
	buffer_load_dword v136, v138, s[0:3], 0 offen offset:4
	buffer_load_dword v137, v138, s[0:3], 0 offen offset:8
	buffer_load_dword v138, v138, s[0:3], 0 offen offset:12
	global_store_dwordx4 v[254:255], v[4:7], off
	s_clause 0x9
	buffer_load_dword v4, v139, s[0:3], 0 offen
	buffer_load_dword v5, v139, s[0:3], 0 offen offset:4
	buffer_load_dword v6, v139, s[0:3], 0 offen offset:8
	;; [unrolled: 1-line block ×3, first 2 shown]
	buffer_load_dword v139, v142, s[0:3], 0 offen
	buffer_load_dword v140, v142, s[0:3], 0 offen offset:4
	buffer_load_dword v141, v142, s[0:3], 0 offen offset:8
	;; [unrolled: 1-line block ×3, first 2 shown]
	buffer_load_dword v144, off, s[0:3], 0 offset:928
	buffer_load_dword v145, off, s[0:3], 0 offset:932
	s_waitcnt vmcnt(0)
	global_store_dwordx4 v[144:145], v[8:11], off
	s_clause 0x7
	buffer_load_dword v8, v143, s[0:3], 0 offen
	buffer_load_dword v9, v143, s[0:3], 0 offen offset:4
	buffer_load_dword v10, v143, s[0:3], 0 offen offset:8
	buffer_load_dword v11, v143, s[0:3], 0 offen offset:12
	buffer_load_dword v143, v146, s[0:3], 0 offen
	buffer_load_dword v144, v146, s[0:3], 0 offen offset:4
	buffer_load_dword v145, v146, s[0:3], 0 offen offset:8
	buffer_load_dword v146, v146, s[0:3], 0 offen offset:12
	global_store_dwordx4 v[155:156], v[12:15], off
	s_clause 0x7
	buffer_load_dword v12, v147, s[0:3], 0 offen
	buffer_load_dword v13, v147, s[0:3], 0 offen offset:4
	buffer_load_dword v14, v147, s[0:3], 0 offen offset:8
	buffer_load_dword v15, v147, s[0:3], 0 offen offset:12
	buffer_load_dword v147, v151, s[0:3], 0 offen
	buffer_load_dword v148, v151, s[0:3], 0 offen offset:4
	buffer_load_dword v149, v151, s[0:3], 0 offen offset:8
	buffer_load_dword v150, v151, s[0:3], 0 offen offset:12
	;; [unrolled: 10-line block ×13, first 2 shown]
	buffer_load_dword v249, v253, s[0:3], 0 offen
	buffer_load_dword v250, v253, s[0:3], 0 offen offset:4
	buffer_load_dword v251, v253, s[0:3], 0 offen offset:8
	;; [unrolled: 1-line block ×3, first 2 shown]
	global_store_dwordx4 v[179:180], v[77:80], off
	global_store_dwordx4 v[181:182], v[89:92], off
	;; [unrolled: 1-line block ×15, first 2 shown]
	s_waitcnt vmcnt(62)
	global_store_dwordx4 v[209:210], v[8:11], off
	global_store_dwordx4 v[211:212], v[143:146], off
	global_store_dwordx4 v[213:214], v[12:15], off
	global_store_dwordx4 v[215:216], v[147:150], off
	global_store_dwordx4 v[217:218], v[16:19], off
	global_store_dwordx4 v[219:220], v[151:154], off
	global_store_dwordx4 v[221:222], v[20:23], off
	global_store_dwordx4 v[223:224], v[155:158], off
	global_store_dwordx4 v[225:226], v[24:27], off
	global_store_dwordx4 v[227:228], v[159:162], off
	global_store_dwordx4 v[229:230], v[28:31], off
	s_waitcnt vmcnt(60)
	global_store_dwordx4 v[231:232], v[233:236], off
	s_waitcnt vmcnt(56)
	global_store_dwordx4 v[73:74], v[32:35], off
	s_waitcnt vmcnt(52)
	global_store_dwordx4 v[75:76], v[163:166], off
	s_waitcnt vmcnt(48)
	global_store_dwordx4 v[60:61], v[36:39], off
	s_waitcnt vmcnt(44)
	global_store_dwordx4 v[62:63], v[237:240], off
	s_waitcnt vmcnt(40)
	global_store_dwordx4 v[64:65], v[40:43], off
	s_waitcnt vmcnt(36)
	global_store_dwordx4 v[66:67], v[167:170], off
	s_waitcnt vmcnt(32)
	global_store_dwordx4 v[68:69], v[44:47], off
	s_waitcnt vmcnt(28)
	global_store_dwordx4 v[70:71], v[241:244], off
	s_waitcnt vmcnt(24)
	global_store_dwordx4 v[81:82], v[48:51], off
	s_waitcnt vmcnt(20)
	global_store_dwordx4 v[83:84], v[245:248], off
	s_waitcnt vmcnt(16)
	global_store_dwordx4 v[85:86], v[52:55], off
	s_waitcnt vmcnt(12)
	global_store_dwordx4 v[87:88], v[171:174], off
	s_waitcnt vmcnt(8)
	global_store_dwordx4 v[93:94], v[56:59], off
	s_waitcnt vmcnt(4)
	global_store_dwordx4 v[97:98], v[175:178], off
	s_waitcnt vmcnt(0)
	global_store_dwordx4 v[95:96], v[249:252], off
	s_endpgm
	.section	.rodata,"a",@progbits
	.p2align	6, 0x0
	.amdhsa_kernel _ZN9rocsolver6v33100L18getri_kernel_smallILi57E19rocblas_complex_numIdEPS3_EEvT1_iilPiilS6_bb
		.amdhsa_group_segment_fixed_size 1832
		.amdhsa_private_segment_fixed_size 944
		.amdhsa_kernarg_size 60
		.amdhsa_user_sgpr_count 6
		.amdhsa_user_sgpr_private_segment_buffer 1
		.amdhsa_user_sgpr_dispatch_ptr 0
		.amdhsa_user_sgpr_queue_ptr 0
		.amdhsa_user_sgpr_kernarg_segment_ptr 1
		.amdhsa_user_sgpr_dispatch_id 0
		.amdhsa_user_sgpr_flat_scratch_init 0
		.amdhsa_user_sgpr_private_segment_size 0
		.amdhsa_wavefront_size32 1
		.amdhsa_uses_dynamic_stack 0
		.amdhsa_system_sgpr_private_segment_wavefront_offset 1
		.amdhsa_system_sgpr_workgroup_id_x 1
		.amdhsa_system_sgpr_workgroup_id_y 0
		.amdhsa_system_sgpr_workgroup_id_z 0
		.amdhsa_system_sgpr_workgroup_info 0
		.amdhsa_system_vgpr_workitem_id 0
		.amdhsa_next_free_vgpr 256
		.amdhsa_next_free_sgpr 73
		.amdhsa_reserve_vcc 1
		.amdhsa_reserve_flat_scratch 0
		.amdhsa_float_round_mode_32 0
		.amdhsa_float_round_mode_16_64 0
		.amdhsa_float_denorm_mode_32 3
		.amdhsa_float_denorm_mode_16_64 3
		.amdhsa_dx10_clamp 1
		.amdhsa_ieee_mode 1
		.amdhsa_fp16_overflow 0
		.amdhsa_workgroup_processor_mode 1
		.amdhsa_memory_ordered 1
		.amdhsa_forward_progress 1
		.amdhsa_shared_vgpr_count 0
		.amdhsa_exception_fp_ieee_invalid_op 0
		.amdhsa_exception_fp_denorm_src 0
		.amdhsa_exception_fp_ieee_div_zero 0
		.amdhsa_exception_fp_ieee_overflow 0
		.amdhsa_exception_fp_ieee_underflow 0
		.amdhsa_exception_fp_ieee_inexact 0
		.amdhsa_exception_int_div_zero 0
	.end_amdhsa_kernel
	.section	.text._ZN9rocsolver6v33100L18getri_kernel_smallILi57E19rocblas_complex_numIdEPS3_EEvT1_iilPiilS6_bb,"axG",@progbits,_ZN9rocsolver6v33100L18getri_kernel_smallILi57E19rocblas_complex_numIdEPS3_EEvT1_iilPiilS6_bb,comdat
.Lfunc_end56:
	.size	_ZN9rocsolver6v33100L18getri_kernel_smallILi57E19rocblas_complex_numIdEPS3_EEvT1_iilPiilS6_bb, .Lfunc_end56-_ZN9rocsolver6v33100L18getri_kernel_smallILi57E19rocblas_complex_numIdEPS3_EEvT1_iilPiilS6_bb
                                        ; -- End function
	.set _ZN9rocsolver6v33100L18getri_kernel_smallILi57E19rocblas_complex_numIdEPS3_EEvT1_iilPiilS6_bb.num_vgpr, 256
	.set _ZN9rocsolver6v33100L18getri_kernel_smallILi57E19rocblas_complex_numIdEPS3_EEvT1_iilPiilS6_bb.num_agpr, 0
	.set _ZN9rocsolver6v33100L18getri_kernel_smallILi57E19rocblas_complex_numIdEPS3_EEvT1_iilPiilS6_bb.numbered_sgpr, 73
	.set _ZN9rocsolver6v33100L18getri_kernel_smallILi57E19rocblas_complex_numIdEPS3_EEvT1_iilPiilS6_bb.num_named_barrier, 0
	.set _ZN9rocsolver6v33100L18getri_kernel_smallILi57E19rocblas_complex_numIdEPS3_EEvT1_iilPiilS6_bb.private_seg_size, 944
	.set _ZN9rocsolver6v33100L18getri_kernel_smallILi57E19rocblas_complex_numIdEPS3_EEvT1_iilPiilS6_bb.uses_vcc, 1
	.set _ZN9rocsolver6v33100L18getri_kernel_smallILi57E19rocblas_complex_numIdEPS3_EEvT1_iilPiilS6_bb.uses_flat_scratch, 0
	.set _ZN9rocsolver6v33100L18getri_kernel_smallILi57E19rocblas_complex_numIdEPS3_EEvT1_iilPiilS6_bb.has_dyn_sized_stack, 0
	.set _ZN9rocsolver6v33100L18getri_kernel_smallILi57E19rocblas_complex_numIdEPS3_EEvT1_iilPiilS6_bb.has_recursion, 0
	.set _ZN9rocsolver6v33100L18getri_kernel_smallILi57E19rocblas_complex_numIdEPS3_EEvT1_iilPiilS6_bb.has_indirect_call, 0
	.section	.AMDGPU.csdata,"",@progbits
; Kernel info:
; codeLenInByte = 210368
; TotalNumSgprs: 75
; NumVgprs: 256
; ScratchSize: 944
; MemoryBound: 0
; FloatMode: 240
; IeeeMode: 1
; LDSByteSize: 1832 bytes/workgroup (compile time only)
; SGPRBlocks: 0
; VGPRBlocks: 31
; NumSGPRsForWavesPerEU: 75
; NumVGPRsForWavesPerEU: 256
; Occupancy: 4
; WaveLimiterHint : 1
; COMPUTE_PGM_RSRC2:SCRATCH_EN: 1
; COMPUTE_PGM_RSRC2:USER_SGPR: 6
; COMPUTE_PGM_RSRC2:TRAP_HANDLER: 0
; COMPUTE_PGM_RSRC2:TGID_X_EN: 1
; COMPUTE_PGM_RSRC2:TGID_Y_EN: 0
; COMPUTE_PGM_RSRC2:TGID_Z_EN: 0
; COMPUTE_PGM_RSRC2:TIDIG_COMP_CNT: 0
	.section	.text._ZN9rocsolver6v33100L18getri_kernel_smallILi58E19rocblas_complex_numIdEPS3_EEvT1_iilPiilS6_bb,"axG",@progbits,_ZN9rocsolver6v33100L18getri_kernel_smallILi58E19rocblas_complex_numIdEPS3_EEvT1_iilPiilS6_bb,comdat
	.globl	_ZN9rocsolver6v33100L18getri_kernel_smallILi58E19rocblas_complex_numIdEPS3_EEvT1_iilPiilS6_bb ; -- Begin function _ZN9rocsolver6v33100L18getri_kernel_smallILi58E19rocblas_complex_numIdEPS3_EEvT1_iilPiilS6_bb
	.p2align	8
	.type	_ZN9rocsolver6v33100L18getri_kernel_smallILi58E19rocblas_complex_numIdEPS3_EEvT1_iilPiilS6_bb,@function
_ZN9rocsolver6v33100L18getri_kernel_smallILi58E19rocblas_complex_numIdEPS3_EEvT1_iilPiilS6_bb: ; @_ZN9rocsolver6v33100L18getri_kernel_smallILi58E19rocblas_complex_numIdEPS3_EEvT1_iilPiilS6_bb
; %bb.0:
	s_add_u32 s0, s0, s7
	s_addc_u32 s1, s1, 0
	s_mov_b32 s7, exec_lo
	v_cmpx_gt_u32_e32 58, v0
	s_cbranch_execz .LBB57_246
; %bb.1:
	s_clause 0x2
	s_load_dword s7, s[4:5], 0x38
	s_load_dwordx4 s[16:19], s[4:5], 0x10
	s_load_dwordx4 s[8:11], s[4:5], 0x28
                                        ; implicit-def: $sgpr20_sgpr21
	s_waitcnt lgkmcnt(0)
	s_bitcmp1_b32 s7, 8
	s_cselect_b32 s70, -1, 0
	s_bfe_u32 s12, s7, 0x10008
	s_ashr_i32 s7, s6, 31
	s_cmp_eq_u32 s12, 0
	s_cbranch_scc1 .LBB57_3
; %bb.2:
	s_load_dword s12, s[4:5], 0x20
	s_mul_i32 s13, s8, s7
	s_mul_hi_u32 s14, s8, s6
	s_mul_i32 s9, s9, s6
	s_add_i32 s13, s14, s13
	s_mul_i32 s8, s8, s6
	s_add_i32 s9, s13, s9
	s_lshl_b64 s[8:9], s[8:9], 2
	s_waitcnt lgkmcnt(0)
	s_ashr_i32 s13, s12, 31
	s_add_u32 s14, s18, s8
	s_addc_u32 s15, s19, s9
	s_lshl_b64 s[8:9], s[12:13], 2
	s_add_u32 s20, s14, s8
	s_addc_u32 s21, s15, s9
.LBB57_3:
	s_clause 0x1
	s_load_dwordx4 s[12:15], s[4:5], 0x0
	s_load_dword s71, s[4:5], 0x38
	s_mul_i32 s4, s16, s7
	s_mul_hi_u32 s5, s16, s6
	s_mul_i32 s8, s17, s6
	s_add_i32 s5, s5, s4
	s_mul_i32 s4, s16, s6
	s_add_i32 s5, s5, s8
	v_lshlrev_b32_e32 v241, 4, v0
	s_lshl_b64 s[4:5], s[4:5], 4
	s_mov_b32 s69, 32
	s_mov_b32 s68, 48
	;; [unrolled: 1-line block ×3, first 2 shown]
	s_movk_i32 s66, 0x50
	s_waitcnt lgkmcnt(0)
	s_ashr_i32 s9, s14, 31
	s_mov_b32 s8, s14
	s_add_u32 s12, s12, s4
	s_addc_u32 s13, s13, s5
	s_lshl_b64 s[4:5], s[8:9], 4
	v_add3_u32 v5, s15, s15, v0
	s_add_u32 s4, s12, s4
	s_addc_u32 s5, s13, s5
	v_add_co_u32 v157, s12, s4, v241
	global_load_dwordx4 v[1:4], v241, s[4:5]
	v_add_nc_u32_e32 v7, s15, v5
	v_ashrrev_i32_e32 v6, 31, v5
	s_mov_b32 s8, s15
	s_ashr_i32 s9, s15, 31
	v_add_co_ci_u32_e64 v158, null, s5, 0, s12
	v_add_nc_u32_e32 v9, s15, v7
	v_lshlrev_b64 v[5:6], 4, v[5:6]
	v_ashrrev_i32_e32 v8, 31, v7
	s_lshl_b64 s[8:9], s[8:9], 4
	v_ashrrev_i32_e32 v10, 31, v9
	v_add_nc_u32_e32 v11, s15, v9
	v_add_co_u32 v159, vcc_lo, v157, s8
	v_lshlrev_b64 v[7:8], 4, v[7:8]
	v_add_co_ci_u32_e64 v160, null, s9, v158, vcc_lo
	v_add_co_u32 v161, vcc_lo, s4, v5
	v_add_co_ci_u32_e64 v162, null, s5, v6, vcc_lo
	v_lshlrev_b64 v[5:6], 4, v[9:10]
	v_ashrrev_i32_e32 v12, 31, v11
	v_add_nc_u32_e32 v9, s15, v11
	v_add_co_u32 v163, vcc_lo, s4, v7
	v_add_co_ci_u32_e64 v164, null, s5, v8, vcc_lo
	v_lshlrev_b64 v[7:8], 4, v[11:12]
	v_ashrrev_i32_e32 v10, 31, v9
	v_add_nc_u32_e32 v11, s15, v9
	;; [unrolled: 5-line block ×18, first 2 shown]
	v_add_co_u32 v199, vcc_lo, s4, v5
	v_add_co_ci_u32_e64 v200, null, s5, v6, vcc_lo
	v_lshlrev_b64 v[5:6], 4, v[9:10]
	v_add_nc_u32_e32 v9, s15, v11
	v_add_co_u32 v201, vcc_lo, s4, v7
	v_add_co_ci_u32_e64 v202, null, s5, v8, vcc_lo
	v_ashrrev_i32_e32 v10, 31, v9
	v_add_co_u32 v203, vcc_lo, s4, v5
	v_ashrrev_i32_e32 v12, 31, v11
	v_add_co_ci_u32_e64 v204, null, s5, v6, vcc_lo
	v_lshlrev_b64 v[5:6], 4, v[9:10]
	v_add_nc_u32_e32 v9, s15, v9
	v_lshlrev_b64 v[7:8], 4, v[11:12]
	s_clause 0x2
	global_load_dwordx4 v[73:76], v[159:160], off
	global_load_dwordx4 v[25:28], v[161:162], off
	;; [unrolled: 1-line block ×3, first 2 shown]
	v_add_nc_u32_e32 v11, s15, v9
	v_ashrrev_i32_e32 v10, 31, v9
	v_add_co_u32 v205, vcc_lo, s4, v7
	v_add_co_ci_u32_e64 v206, null, s5, v8, vcc_lo
	v_add_nc_u32_e32 v13, s15, v11
	v_ashrrev_i32_e32 v12, 31, v11
	v_lshlrev_b64 v[9:10], 4, v[9:10]
	v_add_co_u32 v207, vcc_lo, s4, v5
	v_add_nc_u32_e32 v15, s15, v13
	v_ashrrev_i32_e32 v14, 31, v13
	v_lshlrev_b64 v[11:12], 4, v[11:12]
	v_add_co_ci_u32_e64 v208, null, s5, v6, vcc_lo
	v_add_nc_u32_e32 v19, s15, v15
	v_ashrrev_i32_e32 v16, 31, v15
	v_lshlrev_b64 v[17:18], 4, v[13:14]
	v_add_co_u32 v209, vcc_lo, s4, v9
	v_add_nc_u32_e32 v23, s15, v19
	v_ashrrev_i32_e32 v20, 31, v19
	v_lshlrev_b64 v[21:22], 4, v[15:16]
	v_add_co_ci_u32_e64 v210, null, s5, v10, vcc_lo
	v_add_nc_u32_e32 v39, s15, v23
	v_ashrrev_i32_e32 v24, 31, v23
	v_add_co_u32 v211, vcc_lo, s4, v11
	v_lshlrev_b64 v[37:38], 4, v[19:20]
	v_add_nc_u32_e32 v43, s15, v39
	v_ashrrev_i32_e32 v40, 31, v39
	v_add_co_ci_u32_e64 v212, null, s5, v12, vcc_lo
	v_add_co_u32 v213, vcc_lo, s4, v17
	v_add_nc_u32_e32 v95, s15, v43
	v_ashrrev_i32_e32 v44, 31, v43
	v_lshlrev_b64 v[41:42], 4, v[23:24]
	v_add_co_ci_u32_e64 v214, null, s5, v18, vcc_lo
	v_add_nc_u32_e32 v107, s15, v95
	v_ashrrev_i32_e32 v96, 31, v95
	v_add_co_u32 v215, vcc_lo, s4, v21
	v_lshlrev_b64 v[93:94], 4, v[39:40]
	v_add_nc_u32_e32 v127, s15, v107
	v_ashrrev_i32_e32 v108, 31, v107
	v_add_co_ci_u32_e64 v216, null, s5, v22, vcc_lo
	v_add_co_u32 v217, vcc_lo, s4, v37
	v_add_nc_u32_e32 v131, s15, v127
	v_lshlrev_b64 v[105:106], 4, v[43:44]
	v_ashrrev_i32_e32 v128, 31, v127
	v_add_co_ci_u32_e64 v218, null, s5, v38, vcc_lo
	v_add_nc_u32_e32 v143, s15, v131
	v_add_co_u32 v219, vcc_lo, s4, v41
	v_lshlrev_b64 v[125:126], 4, v[95:96]
	v_ashrrev_i32_e32 v132, 31, v131
	v_add_nc_u32_e32 v147, s15, v143
	v_add_co_ci_u32_e64 v220, null, s5, v42, vcc_lo
	v_add_co_u32 v221, vcc_lo, s4, v93
	v_add_nc_u32_e32 v151, s15, v147
	v_lshlrev_b64 v[129:130], 4, v[107:108]
	v_ashrrev_i32_e32 v144, 31, v143
	v_add_co_ci_u32_e64 v222, null, s5, v94, vcc_lo
	v_add_co_u32 v223, vcc_lo, s4, v105
	v_lshlrev_b64 v[141:142], 4, v[127:128]
	v_add_nc_u32_e32 v155, s15, v151
	v_ashrrev_i32_e32 v148, 31, v147
	v_add_co_ci_u32_e64 v224, null, s5, v106, vcc_lo
	v_add_co_u32 v225, vcc_lo, s4, v125
	v_lshlrev_b64 v[145:146], 4, v[131:132]
	v_ashrrev_i32_e32 v152, 31, v151
	v_add_co_ci_u32_e64 v226, null, s5, v126, vcc_lo
	v_add_co_u32 v227, vcc_lo, s4, v129
	v_lshlrev_b64 v[149:150], 4, v[143:144]
	;; [unrolled: 4-line block ×3, first 2 shown]
	v_add_nc_u32_e32 v237, s15, v155
	v_add_co_ci_u32_e64 v230, null, s5, v142, vcc_lo
	v_add_co_u32 v231, vcc_lo, s4, v145
	v_lshlrev_b64 v[187:188], 4, v[151:152]
	v_add_co_ci_u32_e64 v232, null, s5, v146, vcc_lo
	v_add_co_u32 v233, vcc_lo, s4, v149
	v_lshlrev_b64 v[239:240], 4, v[155:156]
	v_ashrrev_i32_e32 v238, 31, v237
	v_add_co_ci_u32_e64 v234, null, s5, v150, vcc_lo
	v_add_co_u32 v235, vcc_lo, s4, v153
	v_add_co_ci_u32_e64 v236, null, s5, v154, vcc_lo
	v_add_co_u32 v254, vcc_lo, s4, v187
	v_add_nc_u32_e32 v242, s15, v237
	v_add_co_ci_u32_e64 v255, null, s5, v188, vcc_lo
	v_lshlrev_b64 v[187:188], 4, v[237:238]
	v_add_co_u32 v237, vcc_lo, s4, v239
	v_add_co_ci_u32_e64 v238, null, s5, v240, vcc_lo
	s_clause 0x22
	global_load_dwordx4 v[33:36], v[165:166], off
	global_load_dwordx4 v[45:48], v[167:168], off
	;; [unrolled: 1-line block ×35, first 2 shown]
	v_ashrrev_i32_e32 v243, 31, v242
	v_add_co_u32 v239, vcc_lo, s4, v187
	s_waitcnt vmcnt(38)
	buffer_store_dword v4, off, s[0:3], 0 offset:28
	buffer_store_dword v3, off, s[0:3], 0 offset:24
	;; [unrolled: 1-line block ×4, first 2 shown]
	global_load_dwordx4 v[1:4], v[254:255], off
	buffer_store_dword v237, off, s[0:3], 0 offset:944 ; 4-byte Folded Spill
	buffer_store_dword v238, off, s[0:3], 0 offset:948 ; 4-byte Folded Spill
	v_add_co_ci_u32_e64 v240, null, s5, v188, vcc_lo
	v_add_nc_u32_e32 v246, s15, v242
	v_lshlrev_b64 v[248:249], 4, v[242:243]
	s_movk_i32 s8, 0x190
	s_add_i32 s45, s8, 16
	v_ashrrev_i32_e32 v247, 31, v246
	v_add_nc_u32_e32 v250, s15, v246
	s_movk_i32 s8, 0x1b0
	s_add_i32 s43, s8, 16
	v_lshlrev_b64 v[187:188], 4, v[246:247]
	v_add_nc_u32_e32 v246, s15, v250
	v_ashrrev_i32_e32 v251, 31, v250
	s_movk_i32 s8, 0x1f0
	s_add_i32 s39, s8, 16
	v_ashrrev_i32_e32 v247, 31, v246
	global_load_dwordx4 v[242:245], v[237:238], off
	s_waitcnt vmcnt(39)
	buffer_store_dword v76, off, s[0:3], 0 offset:44
	buffer_store_dword v75, off, s[0:3], 0 offset:40
	buffer_store_dword v74, off, s[0:3], 0 offset:36
	buffer_store_dword v73, off, s[0:3], 0 offset:32
	s_waitcnt vmcnt(38)
	buffer_store_dword v28, off, s[0:3], 0 offset:60
	buffer_store_dword v27, off, s[0:3], 0 offset:56
	buffer_store_dword v26, off, s[0:3], 0 offset:52
	buffer_store_dword v25, off, s[0:3], 0 offset:48
	;; [unrolled: 5-line block ×3, first 2 shown]
	buffer_store_dword v239, off, s[0:3], 0 offset:952 ; 4-byte Folded Spill
	buffer_store_dword v240, off, s[0:3], 0 offset:956 ; 4-byte Folded Spill
	v_add_co_u32 v73, vcc_lo, s4, v248
	v_add_co_ci_u32_e64 v74, null, s5, v249, vcc_lo
	v_add_co_u32 v75, vcc_lo, s4, v187
	v_add_co_ci_u32_e64 v76, null, s5, v188, vcc_lo
	v_add_nc_u32_e32 v187, s15, v246
	v_lshlrev_b64 v[248:249], 4, v[250:251]
	v_lshlrev_b64 v[246:247], 4, v[246:247]
	v_ashrrev_i32_e32 v188, 31, v187
	global_load_dwordx4 v[25:28], v[239:240], off
	buffer_store_dword v73, off, s[0:3], 0 offset:960 ; 4-byte Folded Spill
	buffer_store_dword v74, off, s[0:3], 0 offset:964 ; 4-byte Folded Spill
	global_load_dwordx4 v[29:32], v[73:74], off
	s_waitcnt vmcnt(38)
	buffer_store_dword v36, off, s[0:3], 0 offset:92
	buffer_store_dword v35, off, s[0:3], 0 offset:88
	buffer_store_dword v34, off, s[0:3], 0 offset:84
	buffer_store_dword v33, off, s[0:3], 0 offset:80
	s_waitcnt vmcnt(37)
	buffer_store_dword v48, off, s[0:3], 0 offset:108
	buffer_store_dword v47, off, s[0:3], 0 offset:104
	buffer_store_dword v46, off, s[0:3], 0 offset:100
	buffer_store_dword v45, off, s[0:3], 0 offset:96
	;; [unrolled: 5-line block ×20, first 2 shown]
	s_waitcnt vmcnt(18)
	buffer_store_dword v8, off, s[0:3], 0 offset:412
	buffer_store_dword v75, off, s[0:3], 0 offset:968 ; 4-byte Folded Spill
	buffer_store_dword v76, off, s[0:3], 0 offset:972 ; 4-byte Folded Spill
	v_add_nc_u32_e32 v49, s15, v187
	v_lshlrev_b64 v[33:34], 4, v[187:188]
	v_add_co_u32 v64, vcc_lo, s4, v248
	v_add_co_ci_u32_e64 v65, null, s5, v249, vcc_lo
	v_add_nc_u32_e32 v57, s15, v49
	v_ashrrev_i32_e32 v50, 31, v49
	v_add_co_u32 v66, vcc_lo, s4, v246
	v_add_co_ci_u32_e64 v67, null, s5, v247, vcc_lo
	v_ashrrev_i32_e32 v58, 31, v57
	v_lshlrev_b64 v[59:60], 4, v[49:50]
	v_add_co_u32 v68, vcc_lo, s4, v33
	v_add_co_ci_u32_e64 v69, null, s5, v34, vcc_lo
	v_lshlrev_b64 v[61:62], 4, v[57:58]
	v_add_nc_u32_e32 v57, s15, v57
	v_add_co_u32 v70, vcc_lo, s4, v59
	v_add_co_ci_u32_e64 v71, null, s5, v60, vcc_lo
	v_add_nc_u32_e32 v79, s15, v57
	v_add_co_u32 v77, vcc_lo, s4, v61
	v_ashrrev_i32_e32 v58, 31, v57
	v_add_co_ci_u32_e64 v78, null, s5, v62, vcc_lo
	v_add_nc_u32_e32 v61, s15, v79
	v_ashrrev_i32_e32 v80, 31, v79
	v_lshlrev_b64 v[81:82], 4, v[57:58]
	s_clause 0x1
	global_load_dwordx4 v[33:36], v[75:76], off
	global_load_dwordx4 v[45:48], v[64:65], off
	v_ashrrev_i32_e32 v62, 31, v61
	v_add_nc_u32_e32 v85, s15, v61
	v_lshlrev_b64 v[83:84], 4, v[79:80]
	v_add_co_u32 v79, vcc_lo, s4, v81
	v_lshlrev_b64 v[61:62], 4, v[61:62]
	v_add_nc_u32_e32 v88, s15, v85
	v_ashrrev_i32_e32 v86, 31, v85
	v_add_co_ci_u32_e64 v80, null, s5, v82, vcc_lo
	v_add_co_u32 v81, vcc_lo, s4, v83
	v_add_co_ci_u32_e64 v82, null, s5, v84, vcc_lo
	v_add_co_u32 v83, vcc_lo, s4, v61
	v_add_nc_u32_e32 v61, s15, v88
	v_lshlrev_b64 v[86:87], 4, v[85:86]
	v_add_co_ci_u32_e64 v84, null, s5, v62, vcc_lo
	v_ashrrev_i32_e32 v89, 31, v88
	v_ashrrev_i32_e32 v62, 31, v61
	v_add_nc_u32_e32 v91, s15, v61
	v_add_co_u32 v85, vcc_lo, s4, v86
	v_add_co_ci_u32_e64 v86, null, s5, v87, vcc_lo
	v_lshlrev_b64 v[87:88], 4, v[88:89]
	v_lshlrev_b64 v[62:63], 4, v[61:62]
	v_add_nc_u32_e32 v61, s15, v91
	v_ashrrev_i32_e32 v92, 31, v91
	s_clause 0x3
	global_load_dwordx4 v[49:52], v[66:67], off
	global_load_dwordx4 v[53:56], v[68:69], off
	;; [unrolled: 1-line block ×4, first 2 shown]
	v_add_co_u32 v87, vcc_lo, s4, v87
	v_add_nc_u32_e32 v97, s15, v61
	v_add_co_ci_u32_e64 v88, null, s5, v88, vcc_lo
	v_add_co_u32 v89, vcc_lo, s4, v62
	v_ashrrev_i32_e32 v62, 31, v61
	v_ashrrev_i32_e32 v98, 31, v97
	v_lshlrev_b64 v[91:92], 4, v[91:92]
	v_add_co_ci_u32_e64 v90, null, s5, v63, vcc_lo
	v_lshlrev_b64 v[61:62], 4, v[61:62]
	v_lshlrev_b64 v[97:98], 4, v[97:98]
	s_clause 0x1
	global_load_dwordx4 v[109:112], v[79:80], off
	global_load_dwordx4 v[113:116], v[81:82], off
	v_add_co_u32 v91, vcc_lo, s4, v91
	v_add_co_ci_u32_e64 v92, null, s5, v92, vcc_lo
	v_add_co_u32 v99, vcc_lo, s4, v61
	v_add_co_ci_u32_e64 v100, null, s5, v62, vcc_lo
	;; [unrolled: 2-line block ×3, first 2 shown]
	s_clause 0x5
	global_load_dwordx4 v[117:120], v[83:84], off
	global_load_dwordx4 v[121:124], v[85:86], off
	;; [unrolled: 1-line block ×6, first 2 shown]
	buffer_store_dword v7, off, s[0:3], 0 offset:408
	buffer_store_dword v6, off, s[0:3], 0 offset:404
	;; [unrolled: 1-line block ×3, first 2 shown]
	global_load_dwordx4 v[5:8], v[97:98], off
	s_movk_i32 s5, 0x60
	s_movk_i32 s4, 0x50
	s_add_i32 s64, s5, 16
	s_movk_i32 s5, 0x80
	s_add_i32 s65, s4, 16
	s_add_i32 s62, s5, 16
	s_movk_i32 s5, 0xa0
	s_movk_i32 s4, 0x70
	s_add_i32 s60, s5, 16
	s_movk_i32 s5, 0xc0
	s_add_i32 s63, s4, 16
	;; [unrolled: 2-line block ×18, first 2 shown]
	s_add_i32 s42, s5, 16
	s_movk_i32 s5, 0x1d0
	s_movk_i32 s4, 0x1e0
	s_add_i32 s41, s5, 16
	s_add_i32 s40, s4, 16
	s_movk_i32 s4, 0x170
	s_movk_i32 s5, 0x210
	s_add_i32 s51, s4, 16
	;; [unrolled: 4-line block ×14, first 2 shown]
	s_add_i32 s8, s5, 16
	s_bitcmp0_b32 s71, 0
	s_mov_b32 s5, -1
	s_waitcnt vmcnt(32)
	buffer_store_dword v16, off, s[0:3], 0 offset:428
	buffer_store_dword v15, off, s[0:3], 0 offset:424
	buffer_store_dword v14, off, s[0:3], 0 offset:420
	buffer_store_dword v13, off, s[0:3], 0 offset:416
	s_waitcnt vmcnt(31)
	buffer_store_dword v12, off, s[0:3], 0 offset:444
	buffer_store_dword v11, off, s[0:3], 0 offset:440
	buffer_store_dword v10, off, s[0:3], 0 offset:436
	buffer_store_dword v9, off, s[0:3], 0 offset:432
	;; [unrolled: 5-line block ×33, first 2 shown]
	s_cbranch_scc1 .LBB57_244
; %bb.4:
	v_cmp_eq_u32_e64 s4, 0, v0
	s_and_saveexec_b32 s5, s4
; %bb.5:
	v_mov_b32_e32 v1, 0
	ds_write_b32 v1, v1 offset:1856
; %bb.6:
	s_or_b32 exec_lo, exec_lo, s5
	v_lshl_add_u32 v11, v0, 4, 16
	s_waitcnt lgkmcnt(0)
	s_waitcnt_vscnt null, 0x0
	s_barrier
	buffer_gl0_inv
	s_clause 0x3
	buffer_load_dword v1, v11, s[0:3], 0 offen
	buffer_load_dword v2, v11, s[0:3], 0 offen offset:4
	buffer_load_dword v3, v11, s[0:3], 0 offen offset:8
	;; [unrolled: 1-line block ×3, first 2 shown]
	s_waitcnt vmcnt(2)
	v_cmp_eq_f64_e32 vcc_lo, 0, v[1:2]
	s_waitcnt vmcnt(0)
	v_cmp_eq_f64_e64 s5, 0, v[3:4]
	s_and_b32 s5, vcc_lo, s5
	s_and_saveexec_b32 s71, s5
	s_cbranch_execz .LBB57_10
; %bb.7:
	v_mov_b32_e32 v1, 0
	s_mov_b32 s72, 0
	ds_read_b32 v2, v1 offset:1856
	s_waitcnt lgkmcnt(0)
	v_readfirstlane_b32 s5, v2
	v_add_nc_u32_e32 v2, 1, v0
	s_cmp_eq_u32 s5, 0
	v_cmp_gt_i32_e32 vcc_lo, s5, v2
	s_cselect_b32 s73, -1, 0
	s_or_b32 s73, s73, vcc_lo
	s_and_b32 exec_lo, exec_lo, s73
	s_cbranch_execz .LBB57_10
; %bb.8:
	v_mov_b32_e32 v3, s5
.LBB57_9:                               ; =>This Inner Loop Header: Depth=1
	ds_cmpst_rtn_b32 v3, v1, v3, v2 offset:1856
	s_waitcnt lgkmcnt(0)
	v_cmp_ne_u32_e32 vcc_lo, 0, v3
	v_cmp_le_i32_e64 s5, v3, v2
	s_and_b32 s5, vcc_lo, s5
	s_and_b32 s5, exec_lo, s5
	s_or_b32 s72, s5, s72
	s_andn2_b32 exec_lo, exec_lo, s72
	s_cbranch_execnz .LBB57_9
.LBB57_10:
	s_or_b32 exec_lo, exec_lo, s71
	v_mov_b32_e32 v1, 0
	s_barrier
	buffer_gl0_inv
	ds_read_b32 v2, v1 offset:1856
	s_and_saveexec_b32 s5, s4
	s_cbranch_execz .LBB57_12
; %bb.11:
	s_lshl_b64 s[72:73], s[6:7], 2
	s_add_u32 s72, s10, s72
	s_addc_u32 s73, s11, s73
	s_waitcnt lgkmcnt(0)
	global_store_dword v1, v2, s[72:73]
.LBB57_12:
	s_or_b32 exec_lo, exec_lo, s5
	s_waitcnt lgkmcnt(0)
	v_cmp_ne_u32_e32 vcc_lo, 0, v2
	s_mov_b32 s5, 0
	s_cbranch_vccnz .LBB57_244
; %bb.13:
	s_clause 0x3
	buffer_load_dword v7, v11, s[0:3], 0 offen
	buffer_load_dword v8, v11, s[0:3], 0 offen offset:4
	buffer_load_dword v9, v11, s[0:3], 0 offen offset:8
	buffer_load_dword v10, v11, s[0:3], 0 offen offset:12
                                        ; implicit-def: $vgpr5_vgpr6
                                        ; implicit-def: $vgpr3_vgpr4
	s_waitcnt vmcnt(0)
	v_cmp_ngt_f64_e64 s5, |v[7:8]|, |v[9:10]|
	s_and_saveexec_b32 s71, s5
	s_xor_b32 s5, exec_lo, s71
	s_cbranch_execz .LBB57_15
; %bb.14:
	v_div_scale_f64 v[1:2], null, v[9:10], v[9:10], v[7:8]
	v_div_scale_f64 v[12:13], vcc_lo, v[7:8], v[9:10], v[7:8]
	v_rcp_f64_e32 v[3:4], v[1:2]
	v_fma_f64 v[5:6], -v[1:2], v[3:4], 1.0
	v_fma_f64 v[3:4], v[3:4], v[5:6], v[3:4]
	v_fma_f64 v[5:6], -v[1:2], v[3:4], 1.0
	v_fma_f64 v[3:4], v[3:4], v[5:6], v[3:4]
	v_mul_f64 v[5:6], v[12:13], v[3:4]
	v_fma_f64 v[1:2], -v[1:2], v[5:6], v[12:13]
	v_div_fmas_f64 v[1:2], v[1:2], v[3:4], v[5:6]
	v_div_fixup_f64 v[1:2], v[1:2], v[9:10], v[7:8]
	v_fma_f64 v[3:4], v[7:8], v[1:2], v[9:10]
	v_div_scale_f64 v[5:6], null, v[3:4], v[3:4], 1.0
	v_div_scale_f64 v[12:13], vcc_lo, 1.0, v[3:4], 1.0
	v_rcp_f64_e32 v[7:8], v[5:6]
	v_fma_f64 v[9:10], -v[5:6], v[7:8], 1.0
	v_fma_f64 v[7:8], v[7:8], v[9:10], v[7:8]
	v_fma_f64 v[9:10], -v[5:6], v[7:8], 1.0
	v_fma_f64 v[7:8], v[7:8], v[9:10], v[7:8]
	v_mul_f64 v[9:10], v[12:13], v[7:8]
	v_fma_f64 v[5:6], -v[5:6], v[9:10], v[12:13]
	v_div_fmas_f64 v[5:6], v[5:6], v[7:8], v[9:10]
                                        ; implicit-def: $vgpr7_vgpr8
                                        ; implicit-def: $vgpr9_vgpr10
	v_div_fixup_f64 v[3:4], v[5:6], v[3:4], 1.0
	v_mul_f64 v[5:6], v[1:2], v[3:4]
	v_xor_b32_e32 v4, 0x80000000, v4
	v_xor_b32_e32 v2, 0x80000000, v6
	v_mov_b32_e32 v1, v5
.LBB57_15:
	s_andn2_saveexec_b32 s5, s5
	s_cbranch_execz .LBB57_17
; %bb.16:
	v_div_scale_f64 v[1:2], null, v[7:8], v[7:8], v[9:10]
	v_div_scale_f64 v[12:13], vcc_lo, v[9:10], v[7:8], v[9:10]
	v_rcp_f64_e32 v[3:4], v[1:2]
	v_fma_f64 v[5:6], -v[1:2], v[3:4], 1.0
	v_fma_f64 v[3:4], v[3:4], v[5:6], v[3:4]
	v_fma_f64 v[5:6], -v[1:2], v[3:4], 1.0
	v_fma_f64 v[3:4], v[3:4], v[5:6], v[3:4]
	v_mul_f64 v[5:6], v[12:13], v[3:4]
	v_fma_f64 v[1:2], -v[1:2], v[5:6], v[12:13]
	v_div_fmas_f64 v[1:2], v[1:2], v[3:4], v[5:6]
	v_div_fixup_f64 v[1:2], v[1:2], v[7:8], v[9:10]
	v_fma_f64 v[3:4], v[9:10], v[1:2], v[7:8]
	v_div_scale_f64 v[5:6], null, v[3:4], v[3:4], 1.0
	v_rcp_f64_e32 v[7:8], v[5:6]
	v_fma_f64 v[9:10], -v[5:6], v[7:8], 1.0
	v_fma_f64 v[7:8], v[7:8], v[9:10], v[7:8]
	v_fma_f64 v[9:10], -v[5:6], v[7:8], 1.0
	v_fma_f64 v[7:8], v[7:8], v[9:10], v[7:8]
	v_div_scale_f64 v[9:10], vcc_lo, 1.0, v[3:4], 1.0
	v_mul_f64 v[12:13], v[9:10], v[7:8]
	v_fma_f64 v[5:6], -v[5:6], v[12:13], v[9:10]
	v_div_fmas_f64 v[5:6], v[5:6], v[7:8], v[12:13]
	v_div_fixup_f64 v[5:6], v[5:6], v[3:4], 1.0
	v_mul_f64 v[3:4], v[1:2], -v[5:6]
	v_xor_b32_e32 v2, 0x80000000, v6
	v_mov_b32_e32 v1, v5
.LBB57_17:
	s_or_b32 exec_lo, exec_lo, s5
	v_mov_b32_e32 v10, s69
	buffer_store_dword v6, v11, s[0:3], 0 offen offset:4
	buffer_store_dword v5, v11, s[0:3], 0 offen
	buffer_store_dword v4, v11, s[0:3], 0 offen offset:12
	buffer_store_dword v3, v11, s[0:3], 0 offen offset:8
	v_xor_b32_e32 v4, 0x80000000, v4
	v_add_nc_u32_e32 v5, 0x3a0, v241
	s_clause 0x3
	buffer_load_dword v9, v10, s[0:3], 0 offen offset:12
	buffer_load_dword v8, v10, s[0:3], 0 offen offset:8
	buffer_load_dword v7, v10, s[0:3], 0 offen offset:4
	buffer_load_dword v6, v10, s[0:3], 0 offen
	ds_write_b128 v241, v[1:4]
	s_waitcnt vmcnt(0)
	ds_write_b128 v241, v[6:9] offset:928
	s_waitcnt lgkmcnt(0)
	s_waitcnt_vscnt null, 0x0
	s_barrier
	buffer_gl0_inv
	s_and_saveexec_b32 s5, s4
	s_cbranch_execz .LBB57_19
; %bb.18:
	s_clause 0x3
	buffer_load_dword v12, v11, s[0:3], 0 offen offset:8
	buffer_load_dword v13, v11, s[0:3], 0 offen offset:12
	buffer_load_dword v14, v11, s[0:3], 0 offen
	buffer_load_dword v15, v11, s[0:3], 0 offen offset:4
	ds_read_b128 v[1:4], v5
	v_mov_b32_e32 v6, 0
	ds_read_b128 v[6:9], v6 offset:16
	s_waitcnt vmcnt(2) lgkmcnt(1)
	v_mul_f64 v[16:17], v[1:2], v[12:13]
	v_mul_f64 v[12:13], v[3:4], v[12:13]
	s_waitcnt vmcnt(0)
	v_fma_f64 v[3:4], v[3:4], v[14:15], v[16:17]
	v_fma_f64 v[1:2], v[1:2], v[14:15], -v[12:13]
	v_add_f64 v[3:4], v[3:4], 0
	v_add_f64 v[1:2], v[1:2], 0
	s_waitcnt lgkmcnt(0)
	v_mul_f64 v[12:13], v[3:4], v[8:9]
	v_mul_f64 v[8:9], v[1:2], v[8:9]
	v_fma_f64 v[1:2], v[1:2], v[6:7], -v[12:13]
	v_fma_f64 v[3:4], v[3:4], v[6:7], v[8:9]
	buffer_store_dword v1, off, s[0:3], 0 offset:32
	buffer_store_dword v2, off, s[0:3], 0 offset:36
	;; [unrolled: 1-line block ×4, first 2 shown]
.LBB57_19:
	s_or_b32 exec_lo, exec_lo, s5
	v_mov_b32_e32 v4, s68
	s_waitcnt_vscnt null, 0x0
	s_barrier
	buffer_gl0_inv
	s_mov_b32 s5, exec_lo
	s_clause 0x3
	buffer_load_dword v1, v4, s[0:3], 0 offen
	buffer_load_dword v2, v4, s[0:3], 0 offen offset:4
	buffer_load_dword v3, v4, s[0:3], 0 offen offset:8
	buffer_load_dword v4, v4, s[0:3], 0 offen offset:12
	s_waitcnt vmcnt(0)
	ds_write_b128 v5, v[1:4]
	s_waitcnt lgkmcnt(0)
	s_barrier
	buffer_gl0_inv
	v_cmpx_gt_u32_e32 2, v0
	s_cbranch_execz .LBB57_23
; %bb.20:
	s_clause 0x3
	buffer_load_dword v6, v11, s[0:3], 0 offen offset:8
	buffer_load_dword v7, v11, s[0:3], 0 offen offset:12
	buffer_load_dword v8, v11, s[0:3], 0 offen
	buffer_load_dword v9, v11, s[0:3], 0 offen offset:4
	ds_read_b128 v[1:4], v5
	s_waitcnt vmcnt(2) lgkmcnt(0)
	v_mul_f64 v[10:11], v[3:4], v[6:7]
	v_mul_f64 v[6:7], v[1:2], v[6:7]
	s_waitcnt vmcnt(0)
	v_fma_f64 v[1:2], v[1:2], v[8:9], -v[10:11]
	v_fma_f64 v[3:4], v[3:4], v[8:9], v[6:7]
	v_add_f64 v[1:2], v[1:2], 0
	v_add_f64 v[3:4], v[3:4], 0
	s_and_saveexec_b32 s71, s4
	s_cbranch_execz .LBB57_22
; %bb.21:
	s_clause 0x3
	buffer_load_dword v10, off, s[0:3], 0 offset:40
	buffer_load_dword v11, off, s[0:3], 0 offset:44
	;; [unrolled: 1-line block ×4, first 2 shown]
	v_mov_b32_e32 v6, 0
	ds_read_b128 v[6:9], v6 offset:944
	s_waitcnt vmcnt(2) lgkmcnt(0)
	v_mul_f64 v[14:15], v[6:7], v[10:11]
	v_mul_f64 v[10:11], v[8:9], v[10:11]
	s_waitcnt vmcnt(0)
	v_fma_f64 v[8:9], v[8:9], v[12:13], v[14:15]
	v_fma_f64 v[6:7], v[6:7], v[12:13], -v[10:11]
	v_add_f64 v[3:4], v[3:4], v[8:9]
	v_add_f64 v[1:2], v[1:2], v[6:7]
.LBB57_22:
	s_or_b32 exec_lo, exec_lo, s71
	v_mov_b32_e32 v6, 0
	ds_read_b128 v[6:9], v6 offset:32
	s_waitcnt lgkmcnt(0)
	v_mul_f64 v[10:11], v[3:4], v[8:9]
	v_mul_f64 v[8:9], v[1:2], v[8:9]
	v_fma_f64 v[1:2], v[1:2], v[6:7], -v[10:11]
	v_fma_f64 v[3:4], v[3:4], v[6:7], v[8:9]
	buffer_store_dword v2, off, s[0:3], 0 offset:52
	buffer_store_dword v1, off, s[0:3], 0 offset:48
	;; [unrolled: 1-line block ×4, first 2 shown]
.LBB57_23:
	s_or_b32 exec_lo, exec_lo, s5
	v_mov_b32_e32 v4, s67
	s_waitcnt_vscnt null, 0x0
	s_barrier
	buffer_gl0_inv
	v_add_nc_u32_e32 v6, -1, v0
	s_clause 0x3
	buffer_load_dword v1, v4, s[0:3], 0 offen
	buffer_load_dword v2, v4, s[0:3], 0 offen offset:4
	buffer_load_dword v3, v4, s[0:3], 0 offen offset:8
	;; [unrolled: 1-line block ×3, first 2 shown]
	s_mov_b32 s4, exec_lo
	s_waitcnt vmcnt(0)
	ds_write_b128 v5, v[1:4]
	s_waitcnt lgkmcnt(0)
	s_barrier
	buffer_gl0_inv
	v_cmpx_gt_u32_e32 3, v0
	s_cbranch_execz .LBB57_27
; %bb.24:
	v_mov_b32_e32 v1, 0
	v_mov_b32_e32 v3, 0
	v_add_nc_u32_e32 v7, -1, v0
	v_add_nc_u32_e32 v8, 0x3a0, v241
	v_mov_b32_e32 v2, 0
	v_mov_b32_e32 v4, 0
	v_add_nc_u32_e32 v9, 16, v241
	s_mov_b32 s5, 0
	.p2align	6
.LBB57_25:                              ; =>This Inner Loop Header: Depth=1
	s_clause 0x3
	buffer_load_dword v14, v9, s[0:3], 0 offen offset:8
	buffer_load_dword v15, v9, s[0:3], 0 offen offset:12
	buffer_load_dword v16, v9, s[0:3], 0 offen
	buffer_load_dword v17, v9, s[0:3], 0 offen offset:4
	ds_read_b128 v[10:13], v8
	v_add_nc_u32_e32 v7, 1, v7
	v_add_nc_u32_e32 v8, 16, v8
	;; [unrolled: 1-line block ×3, first 2 shown]
	v_cmp_lt_u32_e32 vcc_lo, 1, v7
	s_or_b32 s5, vcc_lo, s5
	s_waitcnt vmcnt(2) lgkmcnt(0)
	v_mul_f64 v[18:19], v[12:13], v[14:15]
	v_mul_f64 v[14:15], v[10:11], v[14:15]
	s_waitcnt vmcnt(0)
	v_fma_f64 v[10:11], v[10:11], v[16:17], -v[18:19]
	v_fma_f64 v[12:13], v[12:13], v[16:17], v[14:15]
	v_add_f64 v[3:4], v[3:4], v[10:11]
	v_add_f64 v[1:2], v[1:2], v[12:13]
	s_andn2_b32 exec_lo, exec_lo, s5
	s_cbranch_execnz .LBB57_25
; %bb.26:
	s_or_b32 exec_lo, exec_lo, s5
	v_mov_b32_e32 v7, 0
	ds_read_b128 v[7:10], v7 offset:48
	s_waitcnt lgkmcnt(0)
	v_mul_f64 v[11:12], v[1:2], v[9:10]
	v_mul_f64 v[9:10], v[3:4], v[9:10]
	v_fma_f64 v[3:4], v[3:4], v[7:8], -v[11:12]
	v_fma_f64 v[1:2], v[1:2], v[7:8], v[9:10]
	buffer_store_dword v4, off, s[0:3], 0 offset:68
	buffer_store_dword v3, off, s[0:3], 0 offset:64
	;; [unrolled: 1-line block ×4, first 2 shown]
.LBB57_27:
	s_or_b32 exec_lo, exec_lo, s4
	v_mov_b32_e32 v4, s66
	s_waitcnt_vscnt null, 0x0
	s_barrier
	buffer_gl0_inv
	s_mov_b32 s4, exec_lo
	s_clause 0x3
	buffer_load_dword v1, v4, s[0:3], 0 offen
	buffer_load_dword v2, v4, s[0:3], 0 offen offset:4
	buffer_load_dword v3, v4, s[0:3], 0 offen offset:8
	;; [unrolled: 1-line block ×3, first 2 shown]
	s_waitcnt vmcnt(0)
	ds_write_b128 v5, v[1:4]
	s_waitcnt lgkmcnt(0)
	s_barrier
	buffer_gl0_inv
	v_cmpx_gt_u32_e32 4, v0
	s_cbranch_execz .LBB57_31
; %bb.28:
	v_mov_b32_e32 v1, 0
	v_mov_b32_e32 v3, 0
	v_add_nc_u32_e32 v7, -1, v0
	v_add_nc_u32_e32 v8, 0x3a0, v241
	v_mov_b32_e32 v2, 0
	v_mov_b32_e32 v4, 0
	v_add_nc_u32_e32 v9, 16, v241
	s_mov_b32 s5, 0
	.p2align	6
.LBB57_29:                              ; =>This Inner Loop Header: Depth=1
	s_clause 0x3
	buffer_load_dword v14, v9, s[0:3], 0 offen offset:8
	buffer_load_dword v15, v9, s[0:3], 0 offen offset:12
	buffer_load_dword v16, v9, s[0:3], 0 offen
	buffer_load_dword v17, v9, s[0:3], 0 offen offset:4
	ds_read_b128 v[10:13], v8
	v_add_nc_u32_e32 v7, 1, v7
	v_add_nc_u32_e32 v8, 16, v8
	v_add_nc_u32_e32 v9, 16, v9
	v_cmp_lt_u32_e32 vcc_lo, 2, v7
	s_or_b32 s5, vcc_lo, s5
	s_waitcnt vmcnt(2) lgkmcnt(0)
	v_mul_f64 v[18:19], v[12:13], v[14:15]
	v_mul_f64 v[14:15], v[10:11], v[14:15]
	s_waitcnt vmcnt(0)
	v_fma_f64 v[10:11], v[10:11], v[16:17], -v[18:19]
	v_fma_f64 v[12:13], v[12:13], v[16:17], v[14:15]
	v_add_f64 v[3:4], v[3:4], v[10:11]
	v_add_f64 v[1:2], v[1:2], v[12:13]
	s_andn2_b32 exec_lo, exec_lo, s5
	s_cbranch_execnz .LBB57_29
; %bb.30:
	s_or_b32 exec_lo, exec_lo, s5
	v_mov_b32_e32 v7, 0
	ds_read_b128 v[7:10], v7 offset:64
	s_waitcnt lgkmcnt(0)
	v_mul_f64 v[11:12], v[1:2], v[9:10]
	v_mul_f64 v[9:10], v[3:4], v[9:10]
	v_fma_f64 v[3:4], v[3:4], v[7:8], -v[11:12]
	v_fma_f64 v[1:2], v[1:2], v[7:8], v[9:10]
	buffer_store_dword v4, off, s[0:3], 0 offset:84
	buffer_store_dword v3, off, s[0:3], 0 offset:80
	;; [unrolled: 1-line block ×4, first 2 shown]
.LBB57_31:
	s_or_b32 exec_lo, exec_lo, s4
	v_mov_b32_e32 v4, s65
	s_waitcnt_vscnt null, 0x0
	s_barrier
	buffer_gl0_inv
	s_mov_b32 s4, exec_lo
	s_clause 0x3
	buffer_load_dword v1, v4, s[0:3], 0 offen
	buffer_load_dword v2, v4, s[0:3], 0 offen offset:4
	buffer_load_dword v3, v4, s[0:3], 0 offen offset:8
	buffer_load_dword v4, v4, s[0:3], 0 offen offset:12
	s_waitcnt vmcnt(0)
	ds_write_b128 v5, v[1:4]
	s_waitcnt lgkmcnt(0)
	s_barrier
	buffer_gl0_inv
	v_cmpx_gt_u32_e32 5, v0
	s_cbranch_execz .LBB57_35
; %bb.32:
	v_mov_b32_e32 v1, 0
	v_mov_b32_e32 v3, 0
	v_add_nc_u32_e32 v7, -1, v0
	v_add_nc_u32_e32 v8, 0x3a0, v241
	v_mov_b32_e32 v2, 0
	v_mov_b32_e32 v4, 0
	v_add_nc_u32_e32 v9, 16, v241
	s_mov_b32 s5, 0
	.p2align	6
.LBB57_33:                              ; =>This Inner Loop Header: Depth=1
	s_clause 0x3
	buffer_load_dword v14, v9, s[0:3], 0 offen offset:8
	buffer_load_dword v15, v9, s[0:3], 0 offen offset:12
	buffer_load_dword v16, v9, s[0:3], 0 offen
	buffer_load_dword v17, v9, s[0:3], 0 offen offset:4
	ds_read_b128 v[10:13], v8
	v_add_nc_u32_e32 v7, 1, v7
	v_add_nc_u32_e32 v8, 16, v8
	;; [unrolled: 1-line block ×3, first 2 shown]
	v_cmp_lt_u32_e32 vcc_lo, 3, v7
	s_or_b32 s5, vcc_lo, s5
	s_waitcnt vmcnt(2) lgkmcnt(0)
	v_mul_f64 v[18:19], v[12:13], v[14:15]
	v_mul_f64 v[14:15], v[10:11], v[14:15]
	s_waitcnt vmcnt(0)
	v_fma_f64 v[10:11], v[10:11], v[16:17], -v[18:19]
	v_fma_f64 v[12:13], v[12:13], v[16:17], v[14:15]
	v_add_f64 v[3:4], v[3:4], v[10:11]
	v_add_f64 v[1:2], v[1:2], v[12:13]
	s_andn2_b32 exec_lo, exec_lo, s5
	s_cbranch_execnz .LBB57_33
; %bb.34:
	s_or_b32 exec_lo, exec_lo, s5
	v_mov_b32_e32 v7, 0
	ds_read_b128 v[7:10], v7 offset:80
	s_waitcnt lgkmcnt(0)
	v_mul_f64 v[11:12], v[1:2], v[9:10]
	v_mul_f64 v[9:10], v[3:4], v[9:10]
	v_fma_f64 v[3:4], v[3:4], v[7:8], -v[11:12]
	v_fma_f64 v[1:2], v[1:2], v[7:8], v[9:10]
	buffer_store_dword v4, off, s[0:3], 0 offset:100
	buffer_store_dword v3, off, s[0:3], 0 offset:96
	;; [unrolled: 1-line block ×4, first 2 shown]
.LBB57_35:
	s_or_b32 exec_lo, exec_lo, s4
	v_mov_b32_e32 v4, s64
	s_waitcnt_vscnt null, 0x0
	s_barrier
	buffer_gl0_inv
	s_mov_b32 s4, exec_lo
	s_clause 0x3
	buffer_load_dword v1, v4, s[0:3], 0 offen
	buffer_load_dword v2, v4, s[0:3], 0 offen offset:4
	buffer_load_dword v3, v4, s[0:3], 0 offen offset:8
	;; [unrolled: 1-line block ×3, first 2 shown]
	s_waitcnt vmcnt(0)
	ds_write_b128 v5, v[1:4]
	s_waitcnt lgkmcnt(0)
	s_barrier
	buffer_gl0_inv
	v_cmpx_gt_u32_e32 6, v0
	s_cbranch_execz .LBB57_39
; %bb.36:
	v_mov_b32_e32 v1, 0
	v_mov_b32_e32 v3, 0
	v_add_nc_u32_e32 v7, -1, v0
	v_add_nc_u32_e32 v8, 0x3a0, v241
	v_mov_b32_e32 v2, 0
	v_mov_b32_e32 v4, 0
	v_add_nc_u32_e32 v9, 16, v241
	s_mov_b32 s5, 0
	.p2align	6
.LBB57_37:                              ; =>This Inner Loop Header: Depth=1
	s_clause 0x3
	buffer_load_dword v14, v9, s[0:3], 0 offen offset:8
	buffer_load_dword v15, v9, s[0:3], 0 offen offset:12
	buffer_load_dword v16, v9, s[0:3], 0 offen
	buffer_load_dword v17, v9, s[0:3], 0 offen offset:4
	ds_read_b128 v[10:13], v8
	v_add_nc_u32_e32 v7, 1, v7
	v_add_nc_u32_e32 v8, 16, v8
	;; [unrolled: 1-line block ×3, first 2 shown]
	v_cmp_lt_u32_e32 vcc_lo, 4, v7
	s_or_b32 s5, vcc_lo, s5
	s_waitcnt vmcnt(2) lgkmcnt(0)
	v_mul_f64 v[18:19], v[12:13], v[14:15]
	v_mul_f64 v[14:15], v[10:11], v[14:15]
	s_waitcnt vmcnt(0)
	v_fma_f64 v[10:11], v[10:11], v[16:17], -v[18:19]
	v_fma_f64 v[12:13], v[12:13], v[16:17], v[14:15]
	v_add_f64 v[3:4], v[3:4], v[10:11]
	v_add_f64 v[1:2], v[1:2], v[12:13]
	s_andn2_b32 exec_lo, exec_lo, s5
	s_cbranch_execnz .LBB57_37
; %bb.38:
	s_or_b32 exec_lo, exec_lo, s5
	v_mov_b32_e32 v7, 0
	ds_read_b128 v[7:10], v7 offset:96
	s_waitcnt lgkmcnt(0)
	v_mul_f64 v[11:12], v[1:2], v[9:10]
	v_mul_f64 v[9:10], v[3:4], v[9:10]
	v_fma_f64 v[3:4], v[3:4], v[7:8], -v[11:12]
	v_fma_f64 v[1:2], v[1:2], v[7:8], v[9:10]
	buffer_store_dword v4, off, s[0:3], 0 offset:116
	buffer_store_dword v3, off, s[0:3], 0 offset:112
	buffer_store_dword v2, off, s[0:3], 0 offset:124
	buffer_store_dword v1, off, s[0:3], 0 offset:120
.LBB57_39:
	s_or_b32 exec_lo, exec_lo, s4
	v_mov_b32_e32 v4, s63
	s_waitcnt_vscnt null, 0x0
	s_barrier
	buffer_gl0_inv
	s_mov_b32 s4, exec_lo
	s_clause 0x3
	buffer_load_dword v1, v4, s[0:3], 0 offen
	buffer_load_dword v2, v4, s[0:3], 0 offen offset:4
	buffer_load_dword v3, v4, s[0:3], 0 offen offset:8
	;; [unrolled: 1-line block ×3, first 2 shown]
	s_waitcnt vmcnt(0)
	ds_write_b128 v5, v[1:4]
	s_waitcnt lgkmcnt(0)
	s_barrier
	buffer_gl0_inv
	v_cmpx_gt_u32_e32 7, v0
	s_cbranch_execz .LBB57_43
; %bb.40:
	v_mov_b32_e32 v1, 0
	v_mov_b32_e32 v3, 0
	v_add_nc_u32_e32 v7, -1, v0
	v_add_nc_u32_e32 v8, 0x3a0, v241
	v_mov_b32_e32 v2, 0
	v_mov_b32_e32 v4, 0
	v_add_nc_u32_e32 v9, 16, v241
	s_mov_b32 s5, 0
	.p2align	6
.LBB57_41:                              ; =>This Inner Loop Header: Depth=1
	s_clause 0x3
	buffer_load_dword v14, v9, s[0:3], 0 offen offset:8
	buffer_load_dword v15, v9, s[0:3], 0 offen offset:12
	buffer_load_dword v16, v9, s[0:3], 0 offen
	buffer_load_dword v17, v9, s[0:3], 0 offen offset:4
	ds_read_b128 v[10:13], v8
	v_add_nc_u32_e32 v7, 1, v7
	v_add_nc_u32_e32 v8, 16, v8
	;; [unrolled: 1-line block ×3, first 2 shown]
	v_cmp_lt_u32_e32 vcc_lo, 5, v7
	s_or_b32 s5, vcc_lo, s5
	s_waitcnt vmcnt(2) lgkmcnt(0)
	v_mul_f64 v[18:19], v[12:13], v[14:15]
	v_mul_f64 v[14:15], v[10:11], v[14:15]
	s_waitcnt vmcnt(0)
	v_fma_f64 v[10:11], v[10:11], v[16:17], -v[18:19]
	v_fma_f64 v[12:13], v[12:13], v[16:17], v[14:15]
	v_add_f64 v[3:4], v[3:4], v[10:11]
	v_add_f64 v[1:2], v[1:2], v[12:13]
	s_andn2_b32 exec_lo, exec_lo, s5
	s_cbranch_execnz .LBB57_41
; %bb.42:
	s_or_b32 exec_lo, exec_lo, s5
	v_mov_b32_e32 v7, 0
	ds_read_b128 v[7:10], v7 offset:112
	s_waitcnt lgkmcnt(0)
	v_mul_f64 v[11:12], v[1:2], v[9:10]
	v_mul_f64 v[9:10], v[3:4], v[9:10]
	v_fma_f64 v[3:4], v[3:4], v[7:8], -v[11:12]
	v_fma_f64 v[1:2], v[1:2], v[7:8], v[9:10]
	buffer_store_dword v4, off, s[0:3], 0 offset:132
	buffer_store_dword v3, off, s[0:3], 0 offset:128
	;; [unrolled: 1-line block ×4, first 2 shown]
.LBB57_43:
	s_or_b32 exec_lo, exec_lo, s4
	v_mov_b32_e32 v4, s62
	s_waitcnt_vscnt null, 0x0
	s_barrier
	buffer_gl0_inv
	s_mov_b32 s4, exec_lo
	s_clause 0x3
	buffer_load_dword v1, v4, s[0:3], 0 offen
	buffer_load_dword v2, v4, s[0:3], 0 offen offset:4
	buffer_load_dword v3, v4, s[0:3], 0 offen offset:8
	;; [unrolled: 1-line block ×3, first 2 shown]
	s_waitcnt vmcnt(0)
	ds_write_b128 v5, v[1:4]
	s_waitcnt lgkmcnt(0)
	s_barrier
	buffer_gl0_inv
	v_cmpx_gt_u32_e32 8, v0
	s_cbranch_execz .LBB57_47
; %bb.44:
	v_mov_b32_e32 v1, 0
	v_mov_b32_e32 v3, 0
	v_add_nc_u32_e32 v7, -1, v0
	v_add_nc_u32_e32 v8, 0x3a0, v241
	v_mov_b32_e32 v2, 0
	v_mov_b32_e32 v4, 0
	v_add_nc_u32_e32 v9, 16, v241
	s_mov_b32 s5, 0
	.p2align	6
.LBB57_45:                              ; =>This Inner Loop Header: Depth=1
	s_clause 0x3
	buffer_load_dword v14, v9, s[0:3], 0 offen offset:8
	buffer_load_dword v15, v9, s[0:3], 0 offen offset:12
	buffer_load_dword v16, v9, s[0:3], 0 offen
	buffer_load_dword v17, v9, s[0:3], 0 offen offset:4
	ds_read_b128 v[10:13], v8
	v_add_nc_u32_e32 v7, 1, v7
	v_add_nc_u32_e32 v8, 16, v8
	;; [unrolled: 1-line block ×3, first 2 shown]
	v_cmp_lt_u32_e32 vcc_lo, 6, v7
	s_or_b32 s5, vcc_lo, s5
	s_waitcnt vmcnt(2) lgkmcnt(0)
	v_mul_f64 v[18:19], v[12:13], v[14:15]
	v_mul_f64 v[14:15], v[10:11], v[14:15]
	s_waitcnt vmcnt(0)
	v_fma_f64 v[10:11], v[10:11], v[16:17], -v[18:19]
	v_fma_f64 v[12:13], v[12:13], v[16:17], v[14:15]
	v_add_f64 v[3:4], v[3:4], v[10:11]
	v_add_f64 v[1:2], v[1:2], v[12:13]
	s_andn2_b32 exec_lo, exec_lo, s5
	s_cbranch_execnz .LBB57_45
; %bb.46:
	s_or_b32 exec_lo, exec_lo, s5
	v_mov_b32_e32 v7, 0
	ds_read_b128 v[7:10], v7 offset:128
	s_waitcnt lgkmcnt(0)
	v_mul_f64 v[11:12], v[1:2], v[9:10]
	v_mul_f64 v[9:10], v[3:4], v[9:10]
	v_fma_f64 v[3:4], v[3:4], v[7:8], -v[11:12]
	v_fma_f64 v[1:2], v[1:2], v[7:8], v[9:10]
	buffer_store_dword v4, off, s[0:3], 0 offset:148
	buffer_store_dword v3, off, s[0:3], 0 offset:144
	;; [unrolled: 1-line block ×4, first 2 shown]
.LBB57_47:
	s_or_b32 exec_lo, exec_lo, s4
	v_mov_b32_e32 v4, s61
	s_waitcnt_vscnt null, 0x0
	s_barrier
	buffer_gl0_inv
	s_mov_b32 s4, exec_lo
	s_clause 0x3
	buffer_load_dword v1, v4, s[0:3], 0 offen
	buffer_load_dword v2, v4, s[0:3], 0 offen offset:4
	buffer_load_dword v3, v4, s[0:3], 0 offen offset:8
	;; [unrolled: 1-line block ×3, first 2 shown]
	s_waitcnt vmcnt(0)
	ds_write_b128 v5, v[1:4]
	s_waitcnt lgkmcnt(0)
	s_barrier
	buffer_gl0_inv
	v_cmpx_gt_u32_e32 9, v0
	s_cbranch_execz .LBB57_51
; %bb.48:
	v_mov_b32_e32 v1, 0
	v_mov_b32_e32 v3, 0
	v_add_nc_u32_e32 v7, -1, v0
	v_add_nc_u32_e32 v8, 0x3a0, v241
	v_mov_b32_e32 v2, 0
	v_mov_b32_e32 v4, 0
	v_add_nc_u32_e32 v9, 16, v241
	s_mov_b32 s5, 0
	.p2align	6
.LBB57_49:                              ; =>This Inner Loop Header: Depth=1
	s_clause 0x3
	buffer_load_dword v14, v9, s[0:3], 0 offen offset:8
	buffer_load_dword v15, v9, s[0:3], 0 offen offset:12
	buffer_load_dword v16, v9, s[0:3], 0 offen
	buffer_load_dword v17, v9, s[0:3], 0 offen offset:4
	ds_read_b128 v[10:13], v8
	v_add_nc_u32_e32 v7, 1, v7
	v_add_nc_u32_e32 v8, 16, v8
	;; [unrolled: 1-line block ×3, first 2 shown]
	v_cmp_lt_u32_e32 vcc_lo, 7, v7
	s_or_b32 s5, vcc_lo, s5
	s_waitcnt vmcnt(2) lgkmcnt(0)
	v_mul_f64 v[18:19], v[12:13], v[14:15]
	v_mul_f64 v[14:15], v[10:11], v[14:15]
	s_waitcnt vmcnt(0)
	v_fma_f64 v[10:11], v[10:11], v[16:17], -v[18:19]
	v_fma_f64 v[12:13], v[12:13], v[16:17], v[14:15]
	v_add_f64 v[3:4], v[3:4], v[10:11]
	v_add_f64 v[1:2], v[1:2], v[12:13]
	s_andn2_b32 exec_lo, exec_lo, s5
	s_cbranch_execnz .LBB57_49
; %bb.50:
	s_or_b32 exec_lo, exec_lo, s5
	v_mov_b32_e32 v7, 0
	ds_read_b128 v[7:10], v7 offset:144
	s_waitcnt lgkmcnt(0)
	v_mul_f64 v[11:12], v[1:2], v[9:10]
	v_mul_f64 v[9:10], v[3:4], v[9:10]
	v_fma_f64 v[3:4], v[3:4], v[7:8], -v[11:12]
	v_fma_f64 v[1:2], v[1:2], v[7:8], v[9:10]
	buffer_store_dword v4, off, s[0:3], 0 offset:164
	buffer_store_dword v3, off, s[0:3], 0 offset:160
	;; [unrolled: 1-line block ×4, first 2 shown]
.LBB57_51:
	s_or_b32 exec_lo, exec_lo, s4
	v_mov_b32_e32 v4, s60
	s_waitcnt_vscnt null, 0x0
	s_barrier
	buffer_gl0_inv
	s_mov_b32 s4, exec_lo
	s_clause 0x3
	buffer_load_dword v1, v4, s[0:3], 0 offen
	buffer_load_dword v2, v4, s[0:3], 0 offen offset:4
	buffer_load_dword v3, v4, s[0:3], 0 offen offset:8
	;; [unrolled: 1-line block ×3, first 2 shown]
	s_waitcnt vmcnt(0)
	ds_write_b128 v5, v[1:4]
	s_waitcnt lgkmcnt(0)
	s_barrier
	buffer_gl0_inv
	v_cmpx_gt_u32_e32 10, v0
	s_cbranch_execz .LBB57_55
; %bb.52:
	v_mov_b32_e32 v1, 0
	v_mov_b32_e32 v3, 0
	v_add_nc_u32_e32 v7, -1, v0
	v_add_nc_u32_e32 v8, 0x3a0, v241
	v_mov_b32_e32 v2, 0
	v_mov_b32_e32 v4, 0
	v_add_nc_u32_e32 v9, 16, v241
	s_mov_b32 s5, 0
	.p2align	6
.LBB57_53:                              ; =>This Inner Loop Header: Depth=1
	s_clause 0x3
	buffer_load_dword v14, v9, s[0:3], 0 offen offset:8
	buffer_load_dword v15, v9, s[0:3], 0 offen offset:12
	buffer_load_dword v16, v9, s[0:3], 0 offen
	buffer_load_dword v17, v9, s[0:3], 0 offen offset:4
	ds_read_b128 v[10:13], v8
	v_add_nc_u32_e32 v7, 1, v7
	v_add_nc_u32_e32 v8, 16, v8
	;; [unrolled: 1-line block ×3, first 2 shown]
	v_cmp_lt_u32_e32 vcc_lo, 8, v7
	s_or_b32 s5, vcc_lo, s5
	s_waitcnt vmcnt(2) lgkmcnt(0)
	v_mul_f64 v[18:19], v[12:13], v[14:15]
	v_mul_f64 v[14:15], v[10:11], v[14:15]
	s_waitcnt vmcnt(0)
	v_fma_f64 v[10:11], v[10:11], v[16:17], -v[18:19]
	v_fma_f64 v[12:13], v[12:13], v[16:17], v[14:15]
	v_add_f64 v[3:4], v[3:4], v[10:11]
	v_add_f64 v[1:2], v[1:2], v[12:13]
	s_andn2_b32 exec_lo, exec_lo, s5
	s_cbranch_execnz .LBB57_53
; %bb.54:
	s_or_b32 exec_lo, exec_lo, s5
	v_mov_b32_e32 v7, 0
	ds_read_b128 v[7:10], v7 offset:160
	s_waitcnt lgkmcnt(0)
	v_mul_f64 v[11:12], v[1:2], v[9:10]
	v_mul_f64 v[9:10], v[3:4], v[9:10]
	v_fma_f64 v[3:4], v[3:4], v[7:8], -v[11:12]
	v_fma_f64 v[1:2], v[1:2], v[7:8], v[9:10]
	buffer_store_dword v4, off, s[0:3], 0 offset:180
	buffer_store_dword v3, off, s[0:3], 0 offset:176
	;; [unrolled: 1-line block ×4, first 2 shown]
.LBB57_55:
	s_or_b32 exec_lo, exec_lo, s4
	v_mov_b32_e32 v4, s59
	s_waitcnt_vscnt null, 0x0
	s_barrier
	buffer_gl0_inv
	s_mov_b32 s4, exec_lo
	s_clause 0x3
	buffer_load_dword v1, v4, s[0:3], 0 offen
	buffer_load_dword v2, v4, s[0:3], 0 offen offset:4
	buffer_load_dword v3, v4, s[0:3], 0 offen offset:8
	;; [unrolled: 1-line block ×3, first 2 shown]
	s_waitcnt vmcnt(0)
	ds_write_b128 v5, v[1:4]
	s_waitcnt lgkmcnt(0)
	s_barrier
	buffer_gl0_inv
	v_cmpx_gt_u32_e32 11, v0
	s_cbranch_execz .LBB57_59
; %bb.56:
	v_mov_b32_e32 v1, 0
	v_mov_b32_e32 v3, 0
	v_add_nc_u32_e32 v7, -1, v0
	v_add_nc_u32_e32 v8, 0x3a0, v241
	v_mov_b32_e32 v2, 0
	v_mov_b32_e32 v4, 0
	v_add_nc_u32_e32 v9, 16, v241
	s_mov_b32 s5, 0
	.p2align	6
.LBB57_57:                              ; =>This Inner Loop Header: Depth=1
	s_clause 0x3
	buffer_load_dword v14, v9, s[0:3], 0 offen offset:8
	buffer_load_dword v15, v9, s[0:3], 0 offen offset:12
	buffer_load_dword v16, v9, s[0:3], 0 offen
	buffer_load_dword v17, v9, s[0:3], 0 offen offset:4
	ds_read_b128 v[10:13], v8
	v_add_nc_u32_e32 v7, 1, v7
	v_add_nc_u32_e32 v8, 16, v8
	;; [unrolled: 1-line block ×3, first 2 shown]
	v_cmp_lt_u32_e32 vcc_lo, 9, v7
	s_or_b32 s5, vcc_lo, s5
	s_waitcnt vmcnt(2) lgkmcnt(0)
	v_mul_f64 v[18:19], v[12:13], v[14:15]
	v_mul_f64 v[14:15], v[10:11], v[14:15]
	s_waitcnt vmcnt(0)
	v_fma_f64 v[10:11], v[10:11], v[16:17], -v[18:19]
	v_fma_f64 v[12:13], v[12:13], v[16:17], v[14:15]
	v_add_f64 v[3:4], v[3:4], v[10:11]
	v_add_f64 v[1:2], v[1:2], v[12:13]
	s_andn2_b32 exec_lo, exec_lo, s5
	s_cbranch_execnz .LBB57_57
; %bb.58:
	s_or_b32 exec_lo, exec_lo, s5
	v_mov_b32_e32 v7, 0
	ds_read_b128 v[7:10], v7 offset:176
	s_waitcnt lgkmcnt(0)
	v_mul_f64 v[11:12], v[1:2], v[9:10]
	v_mul_f64 v[9:10], v[3:4], v[9:10]
	v_fma_f64 v[3:4], v[3:4], v[7:8], -v[11:12]
	v_fma_f64 v[1:2], v[1:2], v[7:8], v[9:10]
	buffer_store_dword v4, off, s[0:3], 0 offset:196
	buffer_store_dword v3, off, s[0:3], 0 offset:192
	buffer_store_dword v2, off, s[0:3], 0 offset:204
	buffer_store_dword v1, off, s[0:3], 0 offset:200
.LBB57_59:
	s_or_b32 exec_lo, exec_lo, s4
	v_mov_b32_e32 v4, s58
	s_waitcnt_vscnt null, 0x0
	s_barrier
	buffer_gl0_inv
	s_mov_b32 s4, exec_lo
	s_clause 0x3
	buffer_load_dword v1, v4, s[0:3], 0 offen
	buffer_load_dword v2, v4, s[0:3], 0 offen offset:4
	buffer_load_dword v3, v4, s[0:3], 0 offen offset:8
	;; [unrolled: 1-line block ×3, first 2 shown]
	s_waitcnt vmcnt(0)
	ds_write_b128 v5, v[1:4]
	s_waitcnt lgkmcnt(0)
	s_barrier
	buffer_gl0_inv
	v_cmpx_gt_u32_e32 12, v0
	s_cbranch_execz .LBB57_63
; %bb.60:
	v_mov_b32_e32 v1, 0
	v_mov_b32_e32 v3, 0
	v_add_nc_u32_e32 v7, -1, v0
	v_add_nc_u32_e32 v8, 0x3a0, v241
	v_mov_b32_e32 v2, 0
	v_mov_b32_e32 v4, 0
	v_add_nc_u32_e32 v9, 16, v241
	s_mov_b32 s5, 0
	.p2align	6
.LBB57_61:                              ; =>This Inner Loop Header: Depth=1
	s_clause 0x3
	buffer_load_dword v14, v9, s[0:3], 0 offen offset:8
	buffer_load_dword v15, v9, s[0:3], 0 offen offset:12
	buffer_load_dword v16, v9, s[0:3], 0 offen
	buffer_load_dword v17, v9, s[0:3], 0 offen offset:4
	ds_read_b128 v[10:13], v8
	v_add_nc_u32_e32 v7, 1, v7
	v_add_nc_u32_e32 v8, 16, v8
	;; [unrolled: 1-line block ×3, first 2 shown]
	v_cmp_lt_u32_e32 vcc_lo, 10, v7
	s_or_b32 s5, vcc_lo, s5
	s_waitcnt vmcnt(2) lgkmcnt(0)
	v_mul_f64 v[18:19], v[12:13], v[14:15]
	v_mul_f64 v[14:15], v[10:11], v[14:15]
	s_waitcnt vmcnt(0)
	v_fma_f64 v[10:11], v[10:11], v[16:17], -v[18:19]
	v_fma_f64 v[12:13], v[12:13], v[16:17], v[14:15]
	v_add_f64 v[3:4], v[3:4], v[10:11]
	v_add_f64 v[1:2], v[1:2], v[12:13]
	s_andn2_b32 exec_lo, exec_lo, s5
	s_cbranch_execnz .LBB57_61
; %bb.62:
	s_or_b32 exec_lo, exec_lo, s5
	v_mov_b32_e32 v7, 0
	ds_read_b128 v[7:10], v7 offset:192
	s_waitcnt lgkmcnt(0)
	v_mul_f64 v[11:12], v[1:2], v[9:10]
	v_mul_f64 v[9:10], v[3:4], v[9:10]
	v_fma_f64 v[3:4], v[3:4], v[7:8], -v[11:12]
	v_fma_f64 v[1:2], v[1:2], v[7:8], v[9:10]
	buffer_store_dword v4, off, s[0:3], 0 offset:212
	buffer_store_dword v3, off, s[0:3], 0 offset:208
	;; [unrolled: 1-line block ×4, first 2 shown]
.LBB57_63:
	s_or_b32 exec_lo, exec_lo, s4
	v_mov_b32_e32 v4, s57
	s_waitcnt_vscnt null, 0x0
	s_barrier
	buffer_gl0_inv
	s_mov_b32 s4, exec_lo
	s_clause 0x3
	buffer_load_dword v1, v4, s[0:3], 0 offen
	buffer_load_dword v2, v4, s[0:3], 0 offen offset:4
	buffer_load_dword v3, v4, s[0:3], 0 offen offset:8
	;; [unrolled: 1-line block ×3, first 2 shown]
	s_waitcnt vmcnt(0)
	ds_write_b128 v5, v[1:4]
	s_waitcnt lgkmcnt(0)
	s_barrier
	buffer_gl0_inv
	v_cmpx_gt_u32_e32 13, v0
	s_cbranch_execz .LBB57_67
; %bb.64:
	v_mov_b32_e32 v1, 0
	v_mov_b32_e32 v3, 0
	v_add_nc_u32_e32 v7, -1, v0
	v_add_nc_u32_e32 v8, 0x3a0, v241
	v_mov_b32_e32 v2, 0
	v_mov_b32_e32 v4, 0
	v_add_nc_u32_e32 v9, 16, v241
	s_mov_b32 s5, 0
	.p2align	6
.LBB57_65:                              ; =>This Inner Loop Header: Depth=1
	s_clause 0x3
	buffer_load_dword v14, v9, s[0:3], 0 offen offset:8
	buffer_load_dword v15, v9, s[0:3], 0 offen offset:12
	buffer_load_dword v16, v9, s[0:3], 0 offen
	buffer_load_dword v17, v9, s[0:3], 0 offen offset:4
	ds_read_b128 v[10:13], v8
	v_add_nc_u32_e32 v7, 1, v7
	v_add_nc_u32_e32 v8, 16, v8
	;; [unrolled: 1-line block ×3, first 2 shown]
	v_cmp_lt_u32_e32 vcc_lo, 11, v7
	s_or_b32 s5, vcc_lo, s5
	s_waitcnt vmcnt(2) lgkmcnt(0)
	v_mul_f64 v[18:19], v[12:13], v[14:15]
	v_mul_f64 v[14:15], v[10:11], v[14:15]
	s_waitcnt vmcnt(0)
	v_fma_f64 v[10:11], v[10:11], v[16:17], -v[18:19]
	v_fma_f64 v[12:13], v[12:13], v[16:17], v[14:15]
	v_add_f64 v[3:4], v[3:4], v[10:11]
	v_add_f64 v[1:2], v[1:2], v[12:13]
	s_andn2_b32 exec_lo, exec_lo, s5
	s_cbranch_execnz .LBB57_65
; %bb.66:
	s_or_b32 exec_lo, exec_lo, s5
	v_mov_b32_e32 v7, 0
	ds_read_b128 v[7:10], v7 offset:208
	s_waitcnt lgkmcnt(0)
	v_mul_f64 v[11:12], v[1:2], v[9:10]
	v_mul_f64 v[9:10], v[3:4], v[9:10]
	v_fma_f64 v[3:4], v[3:4], v[7:8], -v[11:12]
	v_fma_f64 v[1:2], v[1:2], v[7:8], v[9:10]
	buffer_store_dword v4, off, s[0:3], 0 offset:228
	buffer_store_dword v3, off, s[0:3], 0 offset:224
	;; [unrolled: 1-line block ×4, first 2 shown]
.LBB57_67:
	s_or_b32 exec_lo, exec_lo, s4
	v_mov_b32_e32 v4, s56
	s_waitcnt_vscnt null, 0x0
	s_barrier
	buffer_gl0_inv
	s_mov_b32 s4, exec_lo
	s_clause 0x3
	buffer_load_dword v1, v4, s[0:3], 0 offen
	buffer_load_dword v2, v4, s[0:3], 0 offen offset:4
	buffer_load_dword v3, v4, s[0:3], 0 offen offset:8
	;; [unrolled: 1-line block ×3, first 2 shown]
	s_waitcnt vmcnt(0)
	ds_write_b128 v5, v[1:4]
	s_waitcnt lgkmcnt(0)
	s_barrier
	buffer_gl0_inv
	v_cmpx_gt_u32_e32 14, v0
	s_cbranch_execz .LBB57_71
; %bb.68:
	v_mov_b32_e32 v1, 0
	v_mov_b32_e32 v3, 0
	v_add_nc_u32_e32 v7, -1, v0
	v_add_nc_u32_e32 v8, 0x3a0, v241
	v_mov_b32_e32 v2, 0
	v_mov_b32_e32 v4, 0
	v_add_nc_u32_e32 v9, 16, v241
	s_mov_b32 s5, 0
	.p2align	6
.LBB57_69:                              ; =>This Inner Loop Header: Depth=1
	s_clause 0x3
	buffer_load_dword v14, v9, s[0:3], 0 offen offset:8
	buffer_load_dword v15, v9, s[0:3], 0 offen offset:12
	buffer_load_dword v16, v9, s[0:3], 0 offen
	buffer_load_dword v17, v9, s[0:3], 0 offen offset:4
	ds_read_b128 v[10:13], v8
	v_add_nc_u32_e32 v7, 1, v7
	v_add_nc_u32_e32 v8, 16, v8
	v_add_nc_u32_e32 v9, 16, v9
	v_cmp_lt_u32_e32 vcc_lo, 12, v7
	s_or_b32 s5, vcc_lo, s5
	s_waitcnt vmcnt(2) lgkmcnt(0)
	v_mul_f64 v[18:19], v[12:13], v[14:15]
	v_mul_f64 v[14:15], v[10:11], v[14:15]
	s_waitcnt vmcnt(0)
	v_fma_f64 v[10:11], v[10:11], v[16:17], -v[18:19]
	v_fma_f64 v[12:13], v[12:13], v[16:17], v[14:15]
	v_add_f64 v[3:4], v[3:4], v[10:11]
	v_add_f64 v[1:2], v[1:2], v[12:13]
	s_andn2_b32 exec_lo, exec_lo, s5
	s_cbranch_execnz .LBB57_69
; %bb.70:
	s_or_b32 exec_lo, exec_lo, s5
	v_mov_b32_e32 v7, 0
	ds_read_b128 v[7:10], v7 offset:224
	s_waitcnt lgkmcnt(0)
	v_mul_f64 v[11:12], v[1:2], v[9:10]
	v_mul_f64 v[9:10], v[3:4], v[9:10]
	v_fma_f64 v[3:4], v[3:4], v[7:8], -v[11:12]
	v_fma_f64 v[1:2], v[1:2], v[7:8], v[9:10]
	buffer_store_dword v4, off, s[0:3], 0 offset:244
	buffer_store_dword v3, off, s[0:3], 0 offset:240
	;; [unrolled: 1-line block ×4, first 2 shown]
.LBB57_71:
	s_or_b32 exec_lo, exec_lo, s4
	v_mov_b32_e32 v4, s55
	s_waitcnt_vscnt null, 0x0
	s_barrier
	buffer_gl0_inv
	s_mov_b32 s4, exec_lo
	s_clause 0x3
	buffer_load_dword v1, v4, s[0:3], 0 offen
	buffer_load_dword v2, v4, s[0:3], 0 offen offset:4
	buffer_load_dword v3, v4, s[0:3], 0 offen offset:8
	;; [unrolled: 1-line block ×3, first 2 shown]
	s_waitcnt vmcnt(0)
	ds_write_b128 v5, v[1:4]
	s_waitcnt lgkmcnt(0)
	s_barrier
	buffer_gl0_inv
	v_cmpx_gt_u32_e32 15, v0
	s_cbranch_execz .LBB57_75
; %bb.72:
	v_mov_b32_e32 v1, 0
	v_mov_b32_e32 v3, 0
	v_add_nc_u32_e32 v7, -1, v0
	v_add_nc_u32_e32 v8, 0x3a0, v241
	v_mov_b32_e32 v2, 0
	v_mov_b32_e32 v4, 0
	v_add_nc_u32_e32 v9, 16, v241
	s_mov_b32 s5, 0
	.p2align	6
.LBB57_73:                              ; =>This Inner Loop Header: Depth=1
	s_clause 0x3
	buffer_load_dword v14, v9, s[0:3], 0 offen offset:8
	buffer_load_dword v15, v9, s[0:3], 0 offen offset:12
	buffer_load_dword v16, v9, s[0:3], 0 offen
	buffer_load_dword v17, v9, s[0:3], 0 offen offset:4
	ds_read_b128 v[10:13], v8
	v_add_nc_u32_e32 v7, 1, v7
	v_add_nc_u32_e32 v8, 16, v8
	;; [unrolled: 1-line block ×3, first 2 shown]
	v_cmp_lt_u32_e32 vcc_lo, 13, v7
	s_or_b32 s5, vcc_lo, s5
	s_waitcnt vmcnt(2) lgkmcnt(0)
	v_mul_f64 v[18:19], v[12:13], v[14:15]
	v_mul_f64 v[14:15], v[10:11], v[14:15]
	s_waitcnt vmcnt(0)
	v_fma_f64 v[10:11], v[10:11], v[16:17], -v[18:19]
	v_fma_f64 v[12:13], v[12:13], v[16:17], v[14:15]
	v_add_f64 v[3:4], v[3:4], v[10:11]
	v_add_f64 v[1:2], v[1:2], v[12:13]
	s_andn2_b32 exec_lo, exec_lo, s5
	s_cbranch_execnz .LBB57_73
; %bb.74:
	s_or_b32 exec_lo, exec_lo, s5
	v_mov_b32_e32 v7, 0
	ds_read_b128 v[7:10], v7 offset:240
	s_waitcnt lgkmcnt(0)
	v_mul_f64 v[11:12], v[1:2], v[9:10]
	v_mul_f64 v[9:10], v[3:4], v[9:10]
	v_fma_f64 v[3:4], v[3:4], v[7:8], -v[11:12]
	v_fma_f64 v[1:2], v[1:2], v[7:8], v[9:10]
	buffer_store_dword v4, off, s[0:3], 0 offset:260
	buffer_store_dword v3, off, s[0:3], 0 offset:256
	;; [unrolled: 1-line block ×4, first 2 shown]
.LBB57_75:
	s_or_b32 exec_lo, exec_lo, s4
	v_mov_b32_e32 v4, s54
	s_waitcnt_vscnt null, 0x0
	s_barrier
	buffer_gl0_inv
	s_mov_b32 s4, exec_lo
	s_clause 0x3
	buffer_load_dword v1, v4, s[0:3], 0 offen
	buffer_load_dword v2, v4, s[0:3], 0 offen offset:4
	buffer_load_dword v3, v4, s[0:3], 0 offen offset:8
	;; [unrolled: 1-line block ×3, first 2 shown]
	s_waitcnt vmcnt(0)
	ds_write_b128 v5, v[1:4]
	s_waitcnt lgkmcnt(0)
	s_barrier
	buffer_gl0_inv
	v_cmpx_gt_u32_e32 16, v0
	s_cbranch_execz .LBB57_79
; %bb.76:
	v_mov_b32_e32 v1, 0
	v_mov_b32_e32 v3, 0
	v_add_nc_u32_e32 v7, -1, v0
	v_add_nc_u32_e32 v8, 0x3a0, v241
	v_mov_b32_e32 v2, 0
	v_mov_b32_e32 v4, 0
	v_add_nc_u32_e32 v9, 16, v241
	s_mov_b32 s5, 0
	.p2align	6
.LBB57_77:                              ; =>This Inner Loop Header: Depth=1
	s_clause 0x3
	buffer_load_dword v14, v9, s[0:3], 0 offen offset:8
	buffer_load_dword v15, v9, s[0:3], 0 offen offset:12
	buffer_load_dword v16, v9, s[0:3], 0 offen
	buffer_load_dword v17, v9, s[0:3], 0 offen offset:4
	ds_read_b128 v[10:13], v8
	v_add_nc_u32_e32 v7, 1, v7
	v_add_nc_u32_e32 v8, 16, v8
	;; [unrolled: 1-line block ×3, first 2 shown]
	v_cmp_lt_u32_e32 vcc_lo, 14, v7
	s_or_b32 s5, vcc_lo, s5
	s_waitcnt vmcnt(2) lgkmcnt(0)
	v_mul_f64 v[18:19], v[12:13], v[14:15]
	v_mul_f64 v[14:15], v[10:11], v[14:15]
	s_waitcnt vmcnt(0)
	v_fma_f64 v[10:11], v[10:11], v[16:17], -v[18:19]
	v_fma_f64 v[12:13], v[12:13], v[16:17], v[14:15]
	v_add_f64 v[3:4], v[3:4], v[10:11]
	v_add_f64 v[1:2], v[1:2], v[12:13]
	s_andn2_b32 exec_lo, exec_lo, s5
	s_cbranch_execnz .LBB57_77
; %bb.78:
	s_or_b32 exec_lo, exec_lo, s5
	v_mov_b32_e32 v7, 0
	ds_read_b128 v[7:10], v7 offset:256
	s_waitcnt lgkmcnt(0)
	v_mul_f64 v[11:12], v[1:2], v[9:10]
	v_mul_f64 v[9:10], v[3:4], v[9:10]
	v_fma_f64 v[3:4], v[3:4], v[7:8], -v[11:12]
	v_fma_f64 v[1:2], v[1:2], v[7:8], v[9:10]
	buffer_store_dword v4, off, s[0:3], 0 offset:276
	buffer_store_dword v3, off, s[0:3], 0 offset:272
	;; [unrolled: 1-line block ×4, first 2 shown]
.LBB57_79:
	s_or_b32 exec_lo, exec_lo, s4
	v_mov_b32_e32 v4, s53
	s_waitcnt_vscnt null, 0x0
	s_barrier
	buffer_gl0_inv
	s_mov_b32 s4, exec_lo
	s_clause 0x3
	buffer_load_dword v1, v4, s[0:3], 0 offen
	buffer_load_dword v2, v4, s[0:3], 0 offen offset:4
	buffer_load_dword v3, v4, s[0:3], 0 offen offset:8
	;; [unrolled: 1-line block ×3, first 2 shown]
	s_waitcnt vmcnt(0)
	ds_write_b128 v5, v[1:4]
	s_waitcnt lgkmcnt(0)
	s_barrier
	buffer_gl0_inv
	v_cmpx_gt_u32_e32 17, v0
	s_cbranch_execz .LBB57_83
; %bb.80:
	v_mov_b32_e32 v1, 0
	v_mov_b32_e32 v3, 0
	v_add_nc_u32_e32 v7, -1, v0
	v_add_nc_u32_e32 v8, 0x3a0, v241
	v_mov_b32_e32 v2, 0
	v_mov_b32_e32 v4, 0
	v_add_nc_u32_e32 v9, 16, v241
	s_mov_b32 s5, 0
	.p2align	6
.LBB57_81:                              ; =>This Inner Loop Header: Depth=1
	s_clause 0x3
	buffer_load_dword v14, v9, s[0:3], 0 offen offset:8
	buffer_load_dword v15, v9, s[0:3], 0 offen offset:12
	buffer_load_dword v16, v9, s[0:3], 0 offen
	buffer_load_dword v17, v9, s[0:3], 0 offen offset:4
	ds_read_b128 v[10:13], v8
	v_add_nc_u32_e32 v7, 1, v7
	v_add_nc_u32_e32 v8, 16, v8
	;; [unrolled: 1-line block ×3, first 2 shown]
	v_cmp_lt_u32_e32 vcc_lo, 15, v7
	s_or_b32 s5, vcc_lo, s5
	s_waitcnt vmcnt(2) lgkmcnt(0)
	v_mul_f64 v[18:19], v[12:13], v[14:15]
	v_mul_f64 v[14:15], v[10:11], v[14:15]
	s_waitcnt vmcnt(0)
	v_fma_f64 v[10:11], v[10:11], v[16:17], -v[18:19]
	v_fma_f64 v[12:13], v[12:13], v[16:17], v[14:15]
	v_add_f64 v[3:4], v[3:4], v[10:11]
	v_add_f64 v[1:2], v[1:2], v[12:13]
	s_andn2_b32 exec_lo, exec_lo, s5
	s_cbranch_execnz .LBB57_81
; %bb.82:
	s_or_b32 exec_lo, exec_lo, s5
	v_mov_b32_e32 v7, 0
	ds_read_b128 v[7:10], v7 offset:272
	s_waitcnt lgkmcnt(0)
	v_mul_f64 v[11:12], v[1:2], v[9:10]
	v_mul_f64 v[9:10], v[3:4], v[9:10]
	v_fma_f64 v[3:4], v[3:4], v[7:8], -v[11:12]
	v_fma_f64 v[1:2], v[1:2], v[7:8], v[9:10]
	buffer_store_dword v4, off, s[0:3], 0 offset:292
	buffer_store_dword v3, off, s[0:3], 0 offset:288
	;; [unrolled: 1-line block ×4, first 2 shown]
.LBB57_83:
	s_or_b32 exec_lo, exec_lo, s4
	v_mov_b32_e32 v4, s52
	s_waitcnt_vscnt null, 0x0
	s_barrier
	buffer_gl0_inv
	s_mov_b32 s4, exec_lo
	s_clause 0x3
	buffer_load_dword v1, v4, s[0:3], 0 offen
	buffer_load_dword v2, v4, s[0:3], 0 offen offset:4
	buffer_load_dword v3, v4, s[0:3], 0 offen offset:8
	buffer_load_dword v4, v4, s[0:3], 0 offen offset:12
	s_waitcnt vmcnt(0)
	ds_write_b128 v5, v[1:4]
	s_waitcnt lgkmcnt(0)
	s_barrier
	buffer_gl0_inv
	v_cmpx_gt_u32_e32 18, v0
	s_cbranch_execz .LBB57_87
; %bb.84:
	v_mov_b32_e32 v1, 0
	v_mov_b32_e32 v3, 0
	v_add_nc_u32_e32 v7, -1, v0
	v_add_nc_u32_e32 v8, 0x3a0, v241
	v_mov_b32_e32 v2, 0
	v_mov_b32_e32 v4, 0
	v_add_nc_u32_e32 v9, 16, v241
	s_mov_b32 s5, 0
	.p2align	6
.LBB57_85:                              ; =>This Inner Loop Header: Depth=1
	s_clause 0x3
	buffer_load_dword v14, v9, s[0:3], 0 offen offset:8
	buffer_load_dword v15, v9, s[0:3], 0 offen offset:12
	buffer_load_dword v16, v9, s[0:3], 0 offen
	buffer_load_dword v17, v9, s[0:3], 0 offen offset:4
	ds_read_b128 v[10:13], v8
	v_add_nc_u32_e32 v7, 1, v7
	v_add_nc_u32_e32 v8, 16, v8
	;; [unrolled: 1-line block ×3, first 2 shown]
	v_cmp_lt_u32_e32 vcc_lo, 16, v7
	s_or_b32 s5, vcc_lo, s5
	s_waitcnt vmcnt(2) lgkmcnt(0)
	v_mul_f64 v[18:19], v[12:13], v[14:15]
	v_mul_f64 v[14:15], v[10:11], v[14:15]
	s_waitcnt vmcnt(0)
	v_fma_f64 v[10:11], v[10:11], v[16:17], -v[18:19]
	v_fma_f64 v[12:13], v[12:13], v[16:17], v[14:15]
	v_add_f64 v[3:4], v[3:4], v[10:11]
	v_add_f64 v[1:2], v[1:2], v[12:13]
	s_andn2_b32 exec_lo, exec_lo, s5
	s_cbranch_execnz .LBB57_85
; %bb.86:
	s_or_b32 exec_lo, exec_lo, s5
	v_mov_b32_e32 v7, 0
	ds_read_b128 v[7:10], v7 offset:288
	s_waitcnt lgkmcnt(0)
	v_mul_f64 v[11:12], v[1:2], v[9:10]
	v_mul_f64 v[9:10], v[3:4], v[9:10]
	v_fma_f64 v[3:4], v[3:4], v[7:8], -v[11:12]
	v_fma_f64 v[1:2], v[1:2], v[7:8], v[9:10]
	buffer_store_dword v4, off, s[0:3], 0 offset:308
	buffer_store_dword v3, off, s[0:3], 0 offset:304
	;; [unrolled: 1-line block ×4, first 2 shown]
.LBB57_87:
	s_or_b32 exec_lo, exec_lo, s4
	v_mov_b32_e32 v4, s50
	s_waitcnt_vscnt null, 0x0
	s_barrier
	buffer_gl0_inv
	s_mov_b32 s4, exec_lo
	s_clause 0x3
	buffer_load_dword v1, v4, s[0:3], 0 offen
	buffer_load_dword v2, v4, s[0:3], 0 offen offset:4
	buffer_load_dword v3, v4, s[0:3], 0 offen offset:8
	;; [unrolled: 1-line block ×3, first 2 shown]
	s_waitcnt vmcnt(0)
	ds_write_b128 v5, v[1:4]
	s_waitcnt lgkmcnt(0)
	s_barrier
	buffer_gl0_inv
	v_cmpx_gt_u32_e32 19, v0
	s_cbranch_execz .LBB57_91
; %bb.88:
	v_mov_b32_e32 v1, 0
	v_mov_b32_e32 v3, 0
	v_add_nc_u32_e32 v7, -1, v0
	v_add_nc_u32_e32 v8, 0x3a0, v241
	v_mov_b32_e32 v2, 0
	v_mov_b32_e32 v4, 0
	v_add_nc_u32_e32 v9, 16, v241
	s_mov_b32 s5, 0
	.p2align	6
.LBB57_89:                              ; =>This Inner Loop Header: Depth=1
	s_clause 0x3
	buffer_load_dword v14, v9, s[0:3], 0 offen offset:8
	buffer_load_dword v15, v9, s[0:3], 0 offen offset:12
	buffer_load_dword v16, v9, s[0:3], 0 offen
	buffer_load_dword v17, v9, s[0:3], 0 offen offset:4
	ds_read_b128 v[10:13], v8
	v_add_nc_u32_e32 v7, 1, v7
	v_add_nc_u32_e32 v8, 16, v8
	;; [unrolled: 1-line block ×3, first 2 shown]
	v_cmp_lt_u32_e32 vcc_lo, 17, v7
	s_or_b32 s5, vcc_lo, s5
	s_waitcnt vmcnt(2) lgkmcnt(0)
	v_mul_f64 v[18:19], v[12:13], v[14:15]
	v_mul_f64 v[14:15], v[10:11], v[14:15]
	s_waitcnt vmcnt(0)
	v_fma_f64 v[10:11], v[10:11], v[16:17], -v[18:19]
	v_fma_f64 v[12:13], v[12:13], v[16:17], v[14:15]
	v_add_f64 v[3:4], v[3:4], v[10:11]
	v_add_f64 v[1:2], v[1:2], v[12:13]
	s_andn2_b32 exec_lo, exec_lo, s5
	s_cbranch_execnz .LBB57_89
; %bb.90:
	s_or_b32 exec_lo, exec_lo, s5
	v_mov_b32_e32 v7, 0
	ds_read_b128 v[7:10], v7 offset:304
	s_waitcnt lgkmcnt(0)
	v_mul_f64 v[11:12], v[1:2], v[9:10]
	v_mul_f64 v[9:10], v[3:4], v[9:10]
	v_fma_f64 v[3:4], v[3:4], v[7:8], -v[11:12]
	v_fma_f64 v[1:2], v[1:2], v[7:8], v[9:10]
	buffer_store_dword v4, off, s[0:3], 0 offset:324
	buffer_store_dword v3, off, s[0:3], 0 offset:320
	;; [unrolled: 1-line block ×4, first 2 shown]
.LBB57_91:
	s_or_b32 exec_lo, exec_lo, s4
	v_mov_b32_e32 v4, s49
	s_waitcnt_vscnt null, 0x0
	s_barrier
	buffer_gl0_inv
	s_mov_b32 s4, exec_lo
	s_clause 0x3
	buffer_load_dword v1, v4, s[0:3], 0 offen
	buffer_load_dword v2, v4, s[0:3], 0 offen offset:4
	buffer_load_dword v3, v4, s[0:3], 0 offen offset:8
	;; [unrolled: 1-line block ×3, first 2 shown]
	s_waitcnt vmcnt(0)
	ds_write_b128 v5, v[1:4]
	s_waitcnt lgkmcnt(0)
	s_barrier
	buffer_gl0_inv
	v_cmpx_gt_u32_e32 20, v0
	s_cbranch_execz .LBB57_95
; %bb.92:
	v_mov_b32_e32 v1, 0
	v_mov_b32_e32 v3, 0
	v_add_nc_u32_e32 v7, -1, v0
	v_add_nc_u32_e32 v8, 0x3a0, v241
	v_mov_b32_e32 v2, 0
	v_mov_b32_e32 v4, 0
	v_add_nc_u32_e32 v9, 16, v241
	s_mov_b32 s5, 0
	.p2align	6
.LBB57_93:                              ; =>This Inner Loop Header: Depth=1
	s_clause 0x3
	buffer_load_dword v14, v9, s[0:3], 0 offen offset:8
	buffer_load_dword v15, v9, s[0:3], 0 offen offset:12
	buffer_load_dword v16, v9, s[0:3], 0 offen
	buffer_load_dword v17, v9, s[0:3], 0 offen offset:4
	ds_read_b128 v[10:13], v8
	v_add_nc_u32_e32 v7, 1, v7
	v_add_nc_u32_e32 v8, 16, v8
	;; [unrolled: 1-line block ×3, first 2 shown]
	v_cmp_lt_u32_e32 vcc_lo, 18, v7
	s_or_b32 s5, vcc_lo, s5
	s_waitcnt vmcnt(2) lgkmcnt(0)
	v_mul_f64 v[18:19], v[12:13], v[14:15]
	v_mul_f64 v[14:15], v[10:11], v[14:15]
	s_waitcnt vmcnt(0)
	v_fma_f64 v[10:11], v[10:11], v[16:17], -v[18:19]
	v_fma_f64 v[12:13], v[12:13], v[16:17], v[14:15]
	v_add_f64 v[3:4], v[3:4], v[10:11]
	v_add_f64 v[1:2], v[1:2], v[12:13]
	s_andn2_b32 exec_lo, exec_lo, s5
	s_cbranch_execnz .LBB57_93
; %bb.94:
	s_or_b32 exec_lo, exec_lo, s5
	v_mov_b32_e32 v7, 0
	ds_read_b128 v[7:10], v7 offset:320
	s_waitcnt lgkmcnt(0)
	v_mul_f64 v[11:12], v[1:2], v[9:10]
	v_mul_f64 v[9:10], v[3:4], v[9:10]
	v_fma_f64 v[3:4], v[3:4], v[7:8], -v[11:12]
	v_fma_f64 v[1:2], v[1:2], v[7:8], v[9:10]
	buffer_store_dword v4, off, s[0:3], 0 offset:340
	buffer_store_dword v3, off, s[0:3], 0 offset:336
	buffer_store_dword v2, off, s[0:3], 0 offset:348
	buffer_store_dword v1, off, s[0:3], 0 offset:344
.LBB57_95:
	s_or_b32 exec_lo, exec_lo, s4
	v_mov_b32_e32 v4, s48
	s_waitcnt_vscnt null, 0x0
	s_barrier
	buffer_gl0_inv
	s_mov_b32 s4, exec_lo
	s_clause 0x3
	buffer_load_dword v1, v4, s[0:3], 0 offen
	buffer_load_dword v2, v4, s[0:3], 0 offen offset:4
	buffer_load_dword v3, v4, s[0:3], 0 offen offset:8
	;; [unrolled: 1-line block ×3, first 2 shown]
	s_waitcnt vmcnt(0)
	ds_write_b128 v5, v[1:4]
	s_waitcnt lgkmcnt(0)
	s_barrier
	buffer_gl0_inv
	v_cmpx_gt_u32_e32 21, v0
	s_cbranch_execz .LBB57_99
; %bb.96:
	v_mov_b32_e32 v1, 0
	v_mov_b32_e32 v3, 0
	v_add_nc_u32_e32 v7, -1, v0
	v_add_nc_u32_e32 v8, 0x3a0, v241
	v_mov_b32_e32 v2, 0
	v_mov_b32_e32 v4, 0
	v_add_nc_u32_e32 v9, 16, v241
	s_mov_b32 s5, 0
	.p2align	6
.LBB57_97:                              ; =>This Inner Loop Header: Depth=1
	s_clause 0x3
	buffer_load_dword v14, v9, s[0:3], 0 offen offset:8
	buffer_load_dword v15, v9, s[0:3], 0 offen offset:12
	buffer_load_dword v16, v9, s[0:3], 0 offen
	buffer_load_dword v17, v9, s[0:3], 0 offen offset:4
	ds_read_b128 v[10:13], v8
	v_add_nc_u32_e32 v7, 1, v7
	v_add_nc_u32_e32 v8, 16, v8
	;; [unrolled: 1-line block ×3, first 2 shown]
	v_cmp_lt_u32_e32 vcc_lo, 19, v7
	s_or_b32 s5, vcc_lo, s5
	s_waitcnt vmcnt(2) lgkmcnt(0)
	v_mul_f64 v[18:19], v[12:13], v[14:15]
	v_mul_f64 v[14:15], v[10:11], v[14:15]
	s_waitcnt vmcnt(0)
	v_fma_f64 v[10:11], v[10:11], v[16:17], -v[18:19]
	v_fma_f64 v[12:13], v[12:13], v[16:17], v[14:15]
	v_add_f64 v[3:4], v[3:4], v[10:11]
	v_add_f64 v[1:2], v[1:2], v[12:13]
	s_andn2_b32 exec_lo, exec_lo, s5
	s_cbranch_execnz .LBB57_97
; %bb.98:
	s_or_b32 exec_lo, exec_lo, s5
	v_mov_b32_e32 v7, 0
	ds_read_b128 v[7:10], v7 offset:336
	s_waitcnt lgkmcnt(0)
	v_mul_f64 v[11:12], v[1:2], v[9:10]
	v_mul_f64 v[9:10], v[3:4], v[9:10]
	v_fma_f64 v[3:4], v[3:4], v[7:8], -v[11:12]
	v_fma_f64 v[1:2], v[1:2], v[7:8], v[9:10]
	buffer_store_dword v4, off, s[0:3], 0 offset:356
	buffer_store_dword v3, off, s[0:3], 0 offset:352
	;; [unrolled: 1-line block ×4, first 2 shown]
.LBB57_99:
	s_or_b32 exec_lo, exec_lo, s4
	v_mov_b32_e32 v4, s46
	s_waitcnt_vscnt null, 0x0
	s_barrier
	buffer_gl0_inv
	s_mov_b32 s4, exec_lo
	s_clause 0x3
	buffer_load_dword v1, v4, s[0:3], 0 offen
	buffer_load_dword v2, v4, s[0:3], 0 offen offset:4
	buffer_load_dword v3, v4, s[0:3], 0 offen offset:8
	;; [unrolled: 1-line block ×3, first 2 shown]
	s_waitcnt vmcnt(0)
	ds_write_b128 v5, v[1:4]
	s_waitcnt lgkmcnt(0)
	s_barrier
	buffer_gl0_inv
	v_cmpx_gt_u32_e32 22, v0
	s_cbranch_execz .LBB57_103
; %bb.100:
	v_mov_b32_e32 v1, 0
	v_mov_b32_e32 v3, 0
	v_add_nc_u32_e32 v7, -1, v0
	v_add_nc_u32_e32 v8, 0x3a0, v241
	v_mov_b32_e32 v2, 0
	v_mov_b32_e32 v4, 0
	v_add_nc_u32_e32 v9, 16, v241
	s_mov_b32 s5, 0
	.p2align	6
.LBB57_101:                             ; =>This Inner Loop Header: Depth=1
	s_clause 0x3
	buffer_load_dword v14, v9, s[0:3], 0 offen offset:8
	buffer_load_dword v15, v9, s[0:3], 0 offen offset:12
	buffer_load_dword v16, v9, s[0:3], 0 offen
	buffer_load_dword v17, v9, s[0:3], 0 offen offset:4
	ds_read_b128 v[10:13], v8
	v_add_nc_u32_e32 v7, 1, v7
	v_add_nc_u32_e32 v8, 16, v8
	;; [unrolled: 1-line block ×3, first 2 shown]
	v_cmp_lt_u32_e32 vcc_lo, 20, v7
	s_or_b32 s5, vcc_lo, s5
	s_waitcnt vmcnt(2) lgkmcnt(0)
	v_mul_f64 v[18:19], v[12:13], v[14:15]
	v_mul_f64 v[14:15], v[10:11], v[14:15]
	s_waitcnt vmcnt(0)
	v_fma_f64 v[10:11], v[10:11], v[16:17], -v[18:19]
	v_fma_f64 v[12:13], v[12:13], v[16:17], v[14:15]
	v_add_f64 v[3:4], v[3:4], v[10:11]
	v_add_f64 v[1:2], v[1:2], v[12:13]
	s_andn2_b32 exec_lo, exec_lo, s5
	s_cbranch_execnz .LBB57_101
; %bb.102:
	s_or_b32 exec_lo, exec_lo, s5
	v_mov_b32_e32 v7, 0
	ds_read_b128 v[7:10], v7 offset:352
	s_waitcnt lgkmcnt(0)
	v_mul_f64 v[11:12], v[1:2], v[9:10]
	v_mul_f64 v[9:10], v[3:4], v[9:10]
	v_fma_f64 v[3:4], v[3:4], v[7:8], -v[11:12]
	v_fma_f64 v[1:2], v[1:2], v[7:8], v[9:10]
	buffer_store_dword v4, off, s[0:3], 0 offset:372
	buffer_store_dword v3, off, s[0:3], 0 offset:368
	;; [unrolled: 1-line block ×4, first 2 shown]
.LBB57_103:
	s_or_b32 exec_lo, exec_lo, s4
	v_mov_b32_e32 v4, s51
	s_waitcnt_vscnt null, 0x0
	s_barrier
	buffer_gl0_inv
	s_mov_b32 s4, exec_lo
	s_clause 0x3
	buffer_load_dword v1, v4, s[0:3], 0 offen
	buffer_load_dword v2, v4, s[0:3], 0 offen offset:4
	buffer_load_dword v3, v4, s[0:3], 0 offen offset:8
	;; [unrolled: 1-line block ×3, first 2 shown]
	s_waitcnt vmcnt(0)
	ds_write_b128 v5, v[1:4]
	s_waitcnt lgkmcnt(0)
	s_barrier
	buffer_gl0_inv
	v_cmpx_gt_u32_e32 23, v0
	s_cbranch_execz .LBB57_107
; %bb.104:
	v_mov_b32_e32 v1, 0
	v_mov_b32_e32 v3, 0
	v_add_nc_u32_e32 v7, -1, v0
	v_add_nc_u32_e32 v8, 0x3a0, v241
	v_mov_b32_e32 v2, 0
	v_mov_b32_e32 v4, 0
	v_add_nc_u32_e32 v9, 16, v241
	s_mov_b32 s5, 0
	.p2align	6
.LBB57_105:                             ; =>This Inner Loop Header: Depth=1
	s_clause 0x3
	buffer_load_dword v14, v9, s[0:3], 0 offen offset:8
	buffer_load_dword v15, v9, s[0:3], 0 offen offset:12
	buffer_load_dword v16, v9, s[0:3], 0 offen
	buffer_load_dword v17, v9, s[0:3], 0 offen offset:4
	ds_read_b128 v[10:13], v8
	v_add_nc_u32_e32 v7, 1, v7
	v_add_nc_u32_e32 v8, 16, v8
	;; [unrolled: 1-line block ×3, first 2 shown]
	v_cmp_lt_u32_e32 vcc_lo, 21, v7
	s_or_b32 s5, vcc_lo, s5
	s_waitcnt vmcnt(2) lgkmcnt(0)
	v_mul_f64 v[18:19], v[12:13], v[14:15]
	v_mul_f64 v[14:15], v[10:11], v[14:15]
	s_waitcnt vmcnt(0)
	v_fma_f64 v[10:11], v[10:11], v[16:17], -v[18:19]
	v_fma_f64 v[12:13], v[12:13], v[16:17], v[14:15]
	v_add_f64 v[3:4], v[3:4], v[10:11]
	v_add_f64 v[1:2], v[1:2], v[12:13]
	s_andn2_b32 exec_lo, exec_lo, s5
	s_cbranch_execnz .LBB57_105
; %bb.106:
	s_or_b32 exec_lo, exec_lo, s5
	v_mov_b32_e32 v7, 0
	ds_read_b128 v[7:10], v7 offset:368
	s_waitcnt lgkmcnt(0)
	v_mul_f64 v[11:12], v[1:2], v[9:10]
	v_mul_f64 v[9:10], v[3:4], v[9:10]
	v_fma_f64 v[3:4], v[3:4], v[7:8], -v[11:12]
	v_fma_f64 v[1:2], v[1:2], v[7:8], v[9:10]
	buffer_store_dword v4, off, s[0:3], 0 offset:388
	buffer_store_dword v3, off, s[0:3], 0 offset:384
	;; [unrolled: 1-line block ×4, first 2 shown]
.LBB57_107:
	s_or_b32 exec_lo, exec_lo, s4
	v_mov_b32_e32 v4, s47
	s_waitcnt_vscnt null, 0x0
	s_barrier
	buffer_gl0_inv
	s_mov_b32 s4, exec_lo
	s_clause 0x3
	buffer_load_dword v1, v4, s[0:3], 0 offen
	buffer_load_dword v2, v4, s[0:3], 0 offen offset:4
	buffer_load_dword v3, v4, s[0:3], 0 offen offset:8
	;; [unrolled: 1-line block ×3, first 2 shown]
	s_waitcnt vmcnt(0)
	ds_write_b128 v5, v[1:4]
	s_waitcnt lgkmcnt(0)
	s_barrier
	buffer_gl0_inv
	v_cmpx_gt_u32_e32 24, v0
	s_cbranch_execz .LBB57_111
; %bb.108:
	v_mov_b32_e32 v1, 0
	v_mov_b32_e32 v3, 0
	v_add_nc_u32_e32 v7, -1, v0
	v_add_nc_u32_e32 v8, 0x3a0, v241
	v_mov_b32_e32 v2, 0
	v_mov_b32_e32 v4, 0
	v_add_nc_u32_e32 v9, 16, v241
	s_mov_b32 s5, 0
	.p2align	6
.LBB57_109:                             ; =>This Inner Loop Header: Depth=1
	s_clause 0x3
	buffer_load_dword v14, v9, s[0:3], 0 offen offset:8
	buffer_load_dword v15, v9, s[0:3], 0 offen offset:12
	buffer_load_dword v16, v9, s[0:3], 0 offen
	buffer_load_dword v17, v9, s[0:3], 0 offen offset:4
	ds_read_b128 v[10:13], v8
	v_add_nc_u32_e32 v7, 1, v7
	v_add_nc_u32_e32 v8, 16, v8
	;; [unrolled: 1-line block ×3, first 2 shown]
	v_cmp_lt_u32_e32 vcc_lo, 22, v7
	s_or_b32 s5, vcc_lo, s5
	s_waitcnt vmcnt(2) lgkmcnt(0)
	v_mul_f64 v[18:19], v[12:13], v[14:15]
	v_mul_f64 v[14:15], v[10:11], v[14:15]
	s_waitcnt vmcnt(0)
	v_fma_f64 v[10:11], v[10:11], v[16:17], -v[18:19]
	v_fma_f64 v[12:13], v[12:13], v[16:17], v[14:15]
	v_add_f64 v[3:4], v[3:4], v[10:11]
	v_add_f64 v[1:2], v[1:2], v[12:13]
	s_andn2_b32 exec_lo, exec_lo, s5
	s_cbranch_execnz .LBB57_109
; %bb.110:
	s_or_b32 exec_lo, exec_lo, s5
	v_mov_b32_e32 v7, 0
	ds_read_b128 v[7:10], v7 offset:384
	s_waitcnt lgkmcnt(0)
	v_mul_f64 v[11:12], v[1:2], v[9:10]
	v_mul_f64 v[9:10], v[3:4], v[9:10]
	v_fma_f64 v[3:4], v[3:4], v[7:8], -v[11:12]
	v_fma_f64 v[1:2], v[1:2], v[7:8], v[9:10]
	buffer_store_dword v4, off, s[0:3], 0 offset:404
	buffer_store_dword v3, off, s[0:3], 0 offset:400
	;; [unrolled: 1-line block ×4, first 2 shown]
.LBB57_111:
	s_or_b32 exec_lo, exec_lo, s4
	v_mov_b32_e32 v4, s45
	s_waitcnt_vscnt null, 0x0
	s_barrier
	buffer_gl0_inv
	s_mov_b32 s4, exec_lo
	s_clause 0x3
	buffer_load_dword v1, v4, s[0:3], 0 offen
	buffer_load_dword v2, v4, s[0:3], 0 offen offset:4
	buffer_load_dword v3, v4, s[0:3], 0 offen offset:8
	buffer_load_dword v4, v4, s[0:3], 0 offen offset:12
	s_waitcnt vmcnt(0)
	ds_write_b128 v5, v[1:4]
	s_waitcnt lgkmcnt(0)
	s_barrier
	buffer_gl0_inv
	v_cmpx_gt_u32_e32 25, v0
	s_cbranch_execz .LBB57_115
; %bb.112:
	v_mov_b32_e32 v1, 0
	v_mov_b32_e32 v3, 0
	v_add_nc_u32_e32 v7, -1, v0
	v_add_nc_u32_e32 v8, 0x3a0, v241
	v_mov_b32_e32 v2, 0
	v_mov_b32_e32 v4, 0
	v_add_nc_u32_e32 v9, 16, v241
	s_mov_b32 s5, 0
	.p2align	6
.LBB57_113:                             ; =>This Inner Loop Header: Depth=1
	s_clause 0x3
	buffer_load_dword v14, v9, s[0:3], 0 offen offset:8
	buffer_load_dword v15, v9, s[0:3], 0 offen offset:12
	buffer_load_dword v16, v9, s[0:3], 0 offen
	buffer_load_dword v17, v9, s[0:3], 0 offen offset:4
	ds_read_b128 v[10:13], v8
	v_add_nc_u32_e32 v7, 1, v7
	v_add_nc_u32_e32 v8, 16, v8
	;; [unrolled: 1-line block ×3, first 2 shown]
	v_cmp_lt_u32_e32 vcc_lo, 23, v7
	s_or_b32 s5, vcc_lo, s5
	s_waitcnt vmcnt(2) lgkmcnt(0)
	v_mul_f64 v[18:19], v[12:13], v[14:15]
	v_mul_f64 v[14:15], v[10:11], v[14:15]
	s_waitcnt vmcnt(0)
	v_fma_f64 v[10:11], v[10:11], v[16:17], -v[18:19]
	v_fma_f64 v[12:13], v[12:13], v[16:17], v[14:15]
	v_add_f64 v[3:4], v[3:4], v[10:11]
	v_add_f64 v[1:2], v[1:2], v[12:13]
	s_andn2_b32 exec_lo, exec_lo, s5
	s_cbranch_execnz .LBB57_113
; %bb.114:
	s_or_b32 exec_lo, exec_lo, s5
	v_mov_b32_e32 v7, 0
	ds_read_b128 v[7:10], v7 offset:400
	s_waitcnt lgkmcnt(0)
	v_mul_f64 v[11:12], v[1:2], v[9:10]
	v_mul_f64 v[9:10], v[3:4], v[9:10]
	v_fma_f64 v[3:4], v[3:4], v[7:8], -v[11:12]
	v_fma_f64 v[1:2], v[1:2], v[7:8], v[9:10]
	buffer_store_dword v4, off, s[0:3], 0 offset:420
	buffer_store_dword v3, off, s[0:3], 0 offset:416
	;; [unrolled: 1-line block ×4, first 2 shown]
.LBB57_115:
	s_or_b32 exec_lo, exec_lo, s4
	v_mov_b32_e32 v4, s44
	s_waitcnt_vscnt null, 0x0
	s_barrier
	buffer_gl0_inv
	s_mov_b32 s4, exec_lo
	s_clause 0x3
	buffer_load_dword v1, v4, s[0:3], 0 offen
	buffer_load_dword v2, v4, s[0:3], 0 offen offset:4
	buffer_load_dword v3, v4, s[0:3], 0 offen offset:8
	;; [unrolled: 1-line block ×3, first 2 shown]
	s_waitcnt vmcnt(0)
	ds_write_b128 v5, v[1:4]
	s_waitcnt lgkmcnt(0)
	s_barrier
	buffer_gl0_inv
	v_cmpx_gt_u32_e32 26, v0
	s_cbranch_execz .LBB57_119
; %bb.116:
	v_mov_b32_e32 v1, 0
	v_mov_b32_e32 v3, 0
	v_add_nc_u32_e32 v7, -1, v0
	v_add_nc_u32_e32 v8, 0x3a0, v241
	v_mov_b32_e32 v2, 0
	v_mov_b32_e32 v4, 0
	v_add_nc_u32_e32 v9, 16, v241
	s_mov_b32 s5, 0
	.p2align	6
.LBB57_117:                             ; =>This Inner Loop Header: Depth=1
	s_clause 0x3
	buffer_load_dword v14, v9, s[0:3], 0 offen offset:8
	buffer_load_dword v15, v9, s[0:3], 0 offen offset:12
	buffer_load_dword v16, v9, s[0:3], 0 offen
	buffer_load_dword v17, v9, s[0:3], 0 offen offset:4
	ds_read_b128 v[10:13], v8
	v_add_nc_u32_e32 v7, 1, v7
	v_add_nc_u32_e32 v8, 16, v8
	;; [unrolled: 1-line block ×3, first 2 shown]
	v_cmp_lt_u32_e32 vcc_lo, 24, v7
	s_or_b32 s5, vcc_lo, s5
	s_waitcnt vmcnt(2) lgkmcnt(0)
	v_mul_f64 v[18:19], v[12:13], v[14:15]
	v_mul_f64 v[14:15], v[10:11], v[14:15]
	s_waitcnt vmcnt(0)
	v_fma_f64 v[10:11], v[10:11], v[16:17], -v[18:19]
	v_fma_f64 v[12:13], v[12:13], v[16:17], v[14:15]
	v_add_f64 v[3:4], v[3:4], v[10:11]
	v_add_f64 v[1:2], v[1:2], v[12:13]
	s_andn2_b32 exec_lo, exec_lo, s5
	s_cbranch_execnz .LBB57_117
; %bb.118:
	s_or_b32 exec_lo, exec_lo, s5
	v_mov_b32_e32 v7, 0
	ds_read_b128 v[7:10], v7 offset:416
	s_waitcnt lgkmcnt(0)
	v_mul_f64 v[11:12], v[1:2], v[9:10]
	v_mul_f64 v[9:10], v[3:4], v[9:10]
	v_fma_f64 v[3:4], v[3:4], v[7:8], -v[11:12]
	v_fma_f64 v[1:2], v[1:2], v[7:8], v[9:10]
	buffer_store_dword v4, off, s[0:3], 0 offset:436
	buffer_store_dword v3, off, s[0:3], 0 offset:432
	;; [unrolled: 1-line block ×4, first 2 shown]
.LBB57_119:
	s_or_b32 exec_lo, exec_lo, s4
	v_mov_b32_e32 v4, s43
	s_waitcnt_vscnt null, 0x0
	s_barrier
	buffer_gl0_inv
	s_mov_b32 s4, exec_lo
	s_clause 0x3
	buffer_load_dword v1, v4, s[0:3], 0 offen
	buffer_load_dword v2, v4, s[0:3], 0 offen offset:4
	buffer_load_dword v3, v4, s[0:3], 0 offen offset:8
	buffer_load_dword v4, v4, s[0:3], 0 offen offset:12
	s_waitcnt vmcnt(0)
	ds_write_b128 v5, v[1:4]
	s_waitcnt lgkmcnt(0)
	s_barrier
	buffer_gl0_inv
	v_cmpx_gt_u32_e32 27, v0
	s_cbranch_execz .LBB57_123
; %bb.120:
	v_mov_b32_e32 v1, 0
	v_mov_b32_e32 v3, 0
	v_add_nc_u32_e32 v7, -1, v0
	v_add_nc_u32_e32 v8, 0x3a0, v241
	v_mov_b32_e32 v2, 0
	v_mov_b32_e32 v4, 0
	v_add_nc_u32_e32 v9, 16, v241
	s_mov_b32 s5, 0
	.p2align	6
.LBB57_121:                             ; =>This Inner Loop Header: Depth=1
	s_clause 0x3
	buffer_load_dword v14, v9, s[0:3], 0 offen offset:8
	buffer_load_dword v15, v9, s[0:3], 0 offen offset:12
	buffer_load_dword v16, v9, s[0:3], 0 offen
	buffer_load_dword v17, v9, s[0:3], 0 offen offset:4
	ds_read_b128 v[10:13], v8
	v_add_nc_u32_e32 v7, 1, v7
	v_add_nc_u32_e32 v8, 16, v8
	;; [unrolled: 1-line block ×3, first 2 shown]
	v_cmp_lt_u32_e32 vcc_lo, 25, v7
	s_or_b32 s5, vcc_lo, s5
	s_waitcnt vmcnt(2) lgkmcnt(0)
	v_mul_f64 v[18:19], v[12:13], v[14:15]
	v_mul_f64 v[14:15], v[10:11], v[14:15]
	s_waitcnt vmcnt(0)
	v_fma_f64 v[10:11], v[10:11], v[16:17], -v[18:19]
	v_fma_f64 v[12:13], v[12:13], v[16:17], v[14:15]
	v_add_f64 v[3:4], v[3:4], v[10:11]
	v_add_f64 v[1:2], v[1:2], v[12:13]
	s_andn2_b32 exec_lo, exec_lo, s5
	s_cbranch_execnz .LBB57_121
; %bb.122:
	s_or_b32 exec_lo, exec_lo, s5
	v_mov_b32_e32 v7, 0
	ds_read_b128 v[7:10], v7 offset:432
	s_waitcnt lgkmcnt(0)
	v_mul_f64 v[11:12], v[1:2], v[9:10]
	v_mul_f64 v[9:10], v[3:4], v[9:10]
	v_fma_f64 v[3:4], v[3:4], v[7:8], -v[11:12]
	v_fma_f64 v[1:2], v[1:2], v[7:8], v[9:10]
	buffer_store_dword v4, off, s[0:3], 0 offset:452
	buffer_store_dword v3, off, s[0:3], 0 offset:448
	;; [unrolled: 1-line block ×4, first 2 shown]
.LBB57_123:
	s_or_b32 exec_lo, exec_lo, s4
	v_mov_b32_e32 v4, s42
	s_waitcnt_vscnt null, 0x0
	s_barrier
	buffer_gl0_inv
	s_mov_b32 s4, exec_lo
	s_clause 0x3
	buffer_load_dword v1, v4, s[0:3], 0 offen
	buffer_load_dword v2, v4, s[0:3], 0 offen offset:4
	buffer_load_dword v3, v4, s[0:3], 0 offen offset:8
	;; [unrolled: 1-line block ×3, first 2 shown]
	s_waitcnt vmcnt(0)
	ds_write_b128 v5, v[1:4]
	s_waitcnt lgkmcnt(0)
	s_barrier
	buffer_gl0_inv
	v_cmpx_gt_u32_e32 28, v0
	s_cbranch_execz .LBB57_127
; %bb.124:
	v_mov_b32_e32 v1, 0
	v_mov_b32_e32 v3, 0
	v_add_nc_u32_e32 v7, -1, v0
	v_add_nc_u32_e32 v8, 0x3a0, v241
	v_mov_b32_e32 v2, 0
	v_mov_b32_e32 v4, 0
	v_add_nc_u32_e32 v9, 16, v241
	s_mov_b32 s5, 0
	.p2align	6
.LBB57_125:                             ; =>This Inner Loop Header: Depth=1
	s_clause 0x3
	buffer_load_dword v14, v9, s[0:3], 0 offen offset:8
	buffer_load_dword v15, v9, s[0:3], 0 offen offset:12
	buffer_load_dword v16, v9, s[0:3], 0 offen
	buffer_load_dword v17, v9, s[0:3], 0 offen offset:4
	ds_read_b128 v[10:13], v8
	v_add_nc_u32_e32 v7, 1, v7
	v_add_nc_u32_e32 v8, 16, v8
	;; [unrolled: 1-line block ×3, first 2 shown]
	v_cmp_lt_u32_e32 vcc_lo, 26, v7
	s_or_b32 s5, vcc_lo, s5
	s_waitcnt vmcnt(2) lgkmcnt(0)
	v_mul_f64 v[18:19], v[12:13], v[14:15]
	v_mul_f64 v[14:15], v[10:11], v[14:15]
	s_waitcnt vmcnt(0)
	v_fma_f64 v[10:11], v[10:11], v[16:17], -v[18:19]
	v_fma_f64 v[12:13], v[12:13], v[16:17], v[14:15]
	v_add_f64 v[3:4], v[3:4], v[10:11]
	v_add_f64 v[1:2], v[1:2], v[12:13]
	s_andn2_b32 exec_lo, exec_lo, s5
	s_cbranch_execnz .LBB57_125
; %bb.126:
	s_or_b32 exec_lo, exec_lo, s5
	v_mov_b32_e32 v7, 0
	ds_read_b128 v[7:10], v7 offset:448
	s_waitcnt lgkmcnt(0)
	v_mul_f64 v[11:12], v[1:2], v[9:10]
	v_mul_f64 v[9:10], v[3:4], v[9:10]
	v_fma_f64 v[3:4], v[3:4], v[7:8], -v[11:12]
	v_fma_f64 v[1:2], v[1:2], v[7:8], v[9:10]
	buffer_store_dword v4, off, s[0:3], 0 offset:468
	buffer_store_dword v3, off, s[0:3], 0 offset:464
	buffer_store_dword v2, off, s[0:3], 0 offset:476
	buffer_store_dword v1, off, s[0:3], 0 offset:472
.LBB57_127:
	s_or_b32 exec_lo, exec_lo, s4
	v_mov_b32_e32 v4, s41
	s_waitcnt_vscnt null, 0x0
	s_barrier
	buffer_gl0_inv
	s_mov_b32 s4, exec_lo
	s_clause 0x3
	buffer_load_dword v1, v4, s[0:3], 0 offen
	buffer_load_dword v2, v4, s[0:3], 0 offen offset:4
	buffer_load_dword v3, v4, s[0:3], 0 offen offset:8
	;; [unrolled: 1-line block ×3, first 2 shown]
	s_waitcnt vmcnt(0)
	ds_write_b128 v5, v[1:4]
	s_waitcnt lgkmcnt(0)
	s_barrier
	buffer_gl0_inv
	v_cmpx_gt_u32_e32 29, v0
	s_cbranch_execz .LBB57_131
; %bb.128:
	v_mov_b32_e32 v1, 0
	v_mov_b32_e32 v3, 0
	v_add_nc_u32_e32 v7, -1, v0
	v_add_nc_u32_e32 v8, 0x3a0, v241
	v_mov_b32_e32 v2, 0
	v_mov_b32_e32 v4, 0
	v_add_nc_u32_e32 v9, 16, v241
	s_mov_b32 s5, 0
	.p2align	6
.LBB57_129:                             ; =>This Inner Loop Header: Depth=1
	s_clause 0x3
	buffer_load_dword v14, v9, s[0:3], 0 offen offset:8
	buffer_load_dword v15, v9, s[0:3], 0 offen offset:12
	buffer_load_dword v16, v9, s[0:3], 0 offen
	buffer_load_dword v17, v9, s[0:3], 0 offen offset:4
	ds_read_b128 v[10:13], v8
	v_add_nc_u32_e32 v7, 1, v7
	v_add_nc_u32_e32 v8, 16, v8
	;; [unrolled: 1-line block ×3, first 2 shown]
	v_cmp_lt_u32_e32 vcc_lo, 27, v7
	s_or_b32 s5, vcc_lo, s5
	s_waitcnt vmcnt(2) lgkmcnt(0)
	v_mul_f64 v[18:19], v[12:13], v[14:15]
	v_mul_f64 v[14:15], v[10:11], v[14:15]
	s_waitcnt vmcnt(0)
	v_fma_f64 v[10:11], v[10:11], v[16:17], -v[18:19]
	v_fma_f64 v[12:13], v[12:13], v[16:17], v[14:15]
	v_add_f64 v[3:4], v[3:4], v[10:11]
	v_add_f64 v[1:2], v[1:2], v[12:13]
	s_andn2_b32 exec_lo, exec_lo, s5
	s_cbranch_execnz .LBB57_129
; %bb.130:
	s_or_b32 exec_lo, exec_lo, s5
	v_mov_b32_e32 v7, 0
	ds_read_b128 v[7:10], v7 offset:464
	s_waitcnt lgkmcnt(0)
	v_mul_f64 v[11:12], v[1:2], v[9:10]
	v_mul_f64 v[9:10], v[3:4], v[9:10]
	v_fma_f64 v[3:4], v[3:4], v[7:8], -v[11:12]
	v_fma_f64 v[1:2], v[1:2], v[7:8], v[9:10]
	buffer_store_dword v4, off, s[0:3], 0 offset:484
	buffer_store_dword v3, off, s[0:3], 0 offset:480
	;; [unrolled: 1-line block ×4, first 2 shown]
.LBB57_131:
	s_or_b32 exec_lo, exec_lo, s4
	v_mov_b32_e32 v4, s40
	s_waitcnt_vscnt null, 0x0
	s_barrier
	buffer_gl0_inv
	s_mov_b32 s4, exec_lo
	s_clause 0x3
	buffer_load_dword v1, v4, s[0:3], 0 offen
	buffer_load_dword v2, v4, s[0:3], 0 offen offset:4
	buffer_load_dword v3, v4, s[0:3], 0 offen offset:8
	;; [unrolled: 1-line block ×3, first 2 shown]
	s_waitcnt vmcnt(0)
	ds_write_b128 v5, v[1:4]
	s_waitcnt lgkmcnt(0)
	s_barrier
	buffer_gl0_inv
	v_cmpx_gt_u32_e32 30, v0
	s_cbranch_execz .LBB57_135
; %bb.132:
	v_mov_b32_e32 v1, 0
	v_mov_b32_e32 v3, 0
	v_add_nc_u32_e32 v7, -1, v0
	v_add_nc_u32_e32 v8, 0x3a0, v241
	v_mov_b32_e32 v2, 0
	v_mov_b32_e32 v4, 0
	v_add_nc_u32_e32 v9, 16, v241
	s_mov_b32 s5, 0
	.p2align	6
.LBB57_133:                             ; =>This Inner Loop Header: Depth=1
	s_clause 0x3
	buffer_load_dword v14, v9, s[0:3], 0 offen offset:8
	buffer_load_dword v15, v9, s[0:3], 0 offen offset:12
	buffer_load_dword v16, v9, s[0:3], 0 offen
	buffer_load_dword v17, v9, s[0:3], 0 offen offset:4
	ds_read_b128 v[10:13], v8
	v_add_nc_u32_e32 v7, 1, v7
	v_add_nc_u32_e32 v8, 16, v8
	;; [unrolled: 1-line block ×3, first 2 shown]
	v_cmp_lt_u32_e32 vcc_lo, 28, v7
	s_or_b32 s5, vcc_lo, s5
	s_waitcnt vmcnt(2) lgkmcnt(0)
	v_mul_f64 v[18:19], v[12:13], v[14:15]
	v_mul_f64 v[14:15], v[10:11], v[14:15]
	s_waitcnt vmcnt(0)
	v_fma_f64 v[10:11], v[10:11], v[16:17], -v[18:19]
	v_fma_f64 v[12:13], v[12:13], v[16:17], v[14:15]
	v_add_f64 v[3:4], v[3:4], v[10:11]
	v_add_f64 v[1:2], v[1:2], v[12:13]
	s_andn2_b32 exec_lo, exec_lo, s5
	s_cbranch_execnz .LBB57_133
; %bb.134:
	s_or_b32 exec_lo, exec_lo, s5
	v_mov_b32_e32 v7, 0
	ds_read_b128 v[7:10], v7 offset:480
	s_waitcnt lgkmcnt(0)
	v_mul_f64 v[11:12], v[1:2], v[9:10]
	v_mul_f64 v[9:10], v[3:4], v[9:10]
	v_fma_f64 v[3:4], v[3:4], v[7:8], -v[11:12]
	v_fma_f64 v[1:2], v[1:2], v[7:8], v[9:10]
	buffer_store_dword v4, off, s[0:3], 0 offset:500
	buffer_store_dword v3, off, s[0:3], 0 offset:496
	;; [unrolled: 1-line block ×4, first 2 shown]
.LBB57_135:
	s_or_b32 exec_lo, exec_lo, s4
	v_mov_b32_e32 v4, s39
	s_waitcnt_vscnt null, 0x0
	s_barrier
	buffer_gl0_inv
	s_mov_b32 s4, exec_lo
	s_clause 0x3
	buffer_load_dword v1, v4, s[0:3], 0 offen
	buffer_load_dword v2, v4, s[0:3], 0 offen offset:4
	buffer_load_dword v3, v4, s[0:3], 0 offen offset:8
	;; [unrolled: 1-line block ×3, first 2 shown]
	s_waitcnt vmcnt(0)
	ds_write_b128 v5, v[1:4]
	s_waitcnt lgkmcnt(0)
	s_barrier
	buffer_gl0_inv
	v_cmpx_gt_u32_e32 31, v0
	s_cbranch_execz .LBB57_139
; %bb.136:
	v_mov_b32_e32 v1, 0
	v_mov_b32_e32 v3, 0
	v_add_nc_u32_e32 v7, -1, v0
	v_add_nc_u32_e32 v8, 0x3a0, v241
	v_mov_b32_e32 v2, 0
	v_mov_b32_e32 v4, 0
	v_add_nc_u32_e32 v9, 16, v241
	s_mov_b32 s5, 0
	.p2align	6
.LBB57_137:                             ; =>This Inner Loop Header: Depth=1
	s_clause 0x3
	buffer_load_dword v14, v9, s[0:3], 0 offen offset:8
	buffer_load_dword v15, v9, s[0:3], 0 offen offset:12
	buffer_load_dword v16, v9, s[0:3], 0 offen
	buffer_load_dword v17, v9, s[0:3], 0 offen offset:4
	ds_read_b128 v[10:13], v8
	v_add_nc_u32_e32 v7, 1, v7
	v_add_nc_u32_e32 v8, 16, v8
	;; [unrolled: 1-line block ×3, first 2 shown]
	v_cmp_lt_u32_e32 vcc_lo, 29, v7
	s_or_b32 s5, vcc_lo, s5
	s_waitcnt vmcnt(2) lgkmcnt(0)
	v_mul_f64 v[18:19], v[12:13], v[14:15]
	v_mul_f64 v[14:15], v[10:11], v[14:15]
	s_waitcnt vmcnt(0)
	v_fma_f64 v[10:11], v[10:11], v[16:17], -v[18:19]
	v_fma_f64 v[12:13], v[12:13], v[16:17], v[14:15]
	v_add_f64 v[3:4], v[3:4], v[10:11]
	v_add_f64 v[1:2], v[1:2], v[12:13]
	s_andn2_b32 exec_lo, exec_lo, s5
	s_cbranch_execnz .LBB57_137
; %bb.138:
	s_or_b32 exec_lo, exec_lo, s5
	v_mov_b32_e32 v7, 0
	ds_read_b128 v[7:10], v7 offset:496
	s_waitcnt lgkmcnt(0)
	v_mul_f64 v[11:12], v[1:2], v[9:10]
	v_mul_f64 v[9:10], v[3:4], v[9:10]
	v_fma_f64 v[3:4], v[3:4], v[7:8], -v[11:12]
	v_fma_f64 v[1:2], v[1:2], v[7:8], v[9:10]
	buffer_store_dword v4, off, s[0:3], 0 offset:516
	buffer_store_dword v3, off, s[0:3], 0 offset:512
	;; [unrolled: 1-line block ×4, first 2 shown]
.LBB57_139:
	s_or_b32 exec_lo, exec_lo, s4
	v_mov_b32_e32 v4, s38
	s_waitcnt_vscnt null, 0x0
	s_barrier
	buffer_gl0_inv
	s_mov_b32 s4, exec_lo
	s_clause 0x3
	buffer_load_dword v1, v4, s[0:3], 0 offen
	buffer_load_dword v2, v4, s[0:3], 0 offen offset:4
	buffer_load_dword v3, v4, s[0:3], 0 offen offset:8
	;; [unrolled: 1-line block ×3, first 2 shown]
	s_waitcnt vmcnt(0)
	ds_write_b128 v5, v[1:4]
	s_waitcnt lgkmcnt(0)
	s_barrier
	buffer_gl0_inv
	v_cmpx_gt_u32_e32 32, v0
	s_cbranch_execz .LBB57_143
; %bb.140:
	v_mov_b32_e32 v1, 0
	v_mov_b32_e32 v3, 0
	v_add_nc_u32_e32 v7, -1, v0
	v_add_nc_u32_e32 v8, 0x3a0, v241
	v_mov_b32_e32 v2, 0
	v_mov_b32_e32 v4, 0
	v_add_nc_u32_e32 v9, 16, v241
	s_mov_b32 s5, 0
	.p2align	6
.LBB57_141:                             ; =>This Inner Loop Header: Depth=1
	s_clause 0x3
	buffer_load_dword v14, v9, s[0:3], 0 offen offset:8
	buffer_load_dword v15, v9, s[0:3], 0 offen offset:12
	buffer_load_dword v16, v9, s[0:3], 0 offen
	buffer_load_dword v17, v9, s[0:3], 0 offen offset:4
	ds_read_b128 v[10:13], v8
	v_add_nc_u32_e32 v7, 1, v7
	v_add_nc_u32_e32 v8, 16, v8
	v_add_nc_u32_e32 v9, 16, v9
	v_cmp_lt_u32_e32 vcc_lo, 30, v7
	s_or_b32 s5, vcc_lo, s5
	s_waitcnt vmcnt(2) lgkmcnt(0)
	v_mul_f64 v[18:19], v[12:13], v[14:15]
	v_mul_f64 v[14:15], v[10:11], v[14:15]
	s_waitcnt vmcnt(0)
	v_fma_f64 v[10:11], v[10:11], v[16:17], -v[18:19]
	v_fma_f64 v[12:13], v[12:13], v[16:17], v[14:15]
	v_add_f64 v[3:4], v[3:4], v[10:11]
	v_add_f64 v[1:2], v[1:2], v[12:13]
	s_andn2_b32 exec_lo, exec_lo, s5
	s_cbranch_execnz .LBB57_141
; %bb.142:
	s_or_b32 exec_lo, exec_lo, s5
	v_mov_b32_e32 v7, 0
	ds_read_b128 v[7:10], v7 offset:512
	s_waitcnt lgkmcnt(0)
	v_mul_f64 v[11:12], v[1:2], v[9:10]
	v_mul_f64 v[9:10], v[3:4], v[9:10]
	v_fma_f64 v[3:4], v[3:4], v[7:8], -v[11:12]
	v_fma_f64 v[1:2], v[1:2], v[7:8], v[9:10]
	buffer_store_dword v4, off, s[0:3], 0 offset:532
	buffer_store_dword v3, off, s[0:3], 0 offset:528
	;; [unrolled: 1-line block ×4, first 2 shown]
.LBB57_143:
	s_or_b32 exec_lo, exec_lo, s4
	v_mov_b32_e32 v4, s37
	s_waitcnt_vscnt null, 0x0
	s_barrier
	buffer_gl0_inv
	s_mov_b32 s4, exec_lo
	s_clause 0x3
	buffer_load_dword v1, v4, s[0:3], 0 offen
	buffer_load_dword v2, v4, s[0:3], 0 offen offset:4
	buffer_load_dword v3, v4, s[0:3], 0 offen offset:8
	buffer_load_dword v4, v4, s[0:3], 0 offen offset:12
	s_waitcnt vmcnt(0)
	ds_write_b128 v5, v[1:4]
	s_waitcnt lgkmcnt(0)
	s_barrier
	buffer_gl0_inv
	v_cmpx_gt_u32_e32 33, v0
	s_cbranch_execz .LBB57_147
; %bb.144:
	v_mov_b32_e32 v1, 0
	v_mov_b32_e32 v3, 0
	v_add_nc_u32_e32 v7, -1, v0
	v_add_nc_u32_e32 v8, 0x3a0, v241
	v_mov_b32_e32 v2, 0
	v_mov_b32_e32 v4, 0
	v_add_nc_u32_e32 v9, 16, v241
	s_mov_b32 s5, 0
	.p2align	6
.LBB57_145:                             ; =>This Inner Loop Header: Depth=1
	s_clause 0x3
	buffer_load_dword v14, v9, s[0:3], 0 offen offset:8
	buffer_load_dword v15, v9, s[0:3], 0 offen offset:12
	buffer_load_dword v16, v9, s[0:3], 0 offen
	buffer_load_dword v17, v9, s[0:3], 0 offen offset:4
	ds_read_b128 v[10:13], v8
	v_add_nc_u32_e32 v7, 1, v7
	v_add_nc_u32_e32 v8, 16, v8
	;; [unrolled: 1-line block ×3, first 2 shown]
	v_cmp_lt_u32_e32 vcc_lo, 31, v7
	s_or_b32 s5, vcc_lo, s5
	s_waitcnt vmcnt(2) lgkmcnt(0)
	v_mul_f64 v[18:19], v[12:13], v[14:15]
	v_mul_f64 v[14:15], v[10:11], v[14:15]
	s_waitcnt vmcnt(0)
	v_fma_f64 v[10:11], v[10:11], v[16:17], -v[18:19]
	v_fma_f64 v[12:13], v[12:13], v[16:17], v[14:15]
	v_add_f64 v[3:4], v[3:4], v[10:11]
	v_add_f64 v[1:2], v[1:2], v[12:13]
	s_andn2_b32 exec_lo, exec_lo, s5
	s_cbranch_execnz .LBB57_145
; %bb.146:
	s_or_b32 exec_lo, exec_lo, s5
	v_mov_b32_e32 v7, 0
	ds_read_b128 v[7:10], v7 offset:528
	s_waitcnt lgkmcnt(0)
	v_mul_f64 v[11:12], v[1:2], v[9:10]
	v_mul_f64 v[9:10], v[3:4], v[9:10]
	v_fma_f64 v[3:4], v[3:4], v[7:8], -v[11:12]
	v_fma_f64 v[1:2], v[1:2], v[7:8], v[9:10]
	buffer_store_dword v4, off, s[0:3], 0 offset:548
	buffer_store_dword v3, off, s[0:3], 0 offset:544
	;; [unrolled: 1-line block ×4, first 2 shown]
.LBB57_147:
	s_or_b32 exec_lo, exec_lo, s4
	v_mov_b32_e32 v4, s36
	s_waitcnt_vscnt null, 0x0
	s_barrier
	buffer_gl0_inv
	s_mov_b32 s4, exec_lo
	s_clause 0x3
	buffer_load_dword v1, v4, s[0:3], 0 offen
	buffer_load_dword v2, v4, s[0:3], 0 offen offset:4
	buffer_load_dword v3, v4, s[0:3], 0 offen offset:8
	;; [unrolled: 1-line block ×3, first 2 shown]
	s_waitcnt vmcnt(0)
	ds_write_b128 v5, v[1:4]
	s_waitcnt lgkmcnt(0)
	s_barrier
	buffer_gl0_inv
	v_cmpx_gt_u32_e32 34, v0
	s_cbranch_execz .LBB57_151
; %bb.148:
	v_mov_b32_e32 v1, 0
	v_mov_b32_e32 v3, 0
	v_add_nc_u32_e32 v7, -1, v0
	v_add_nc_u32_e32 v8, 0x3a0, v241
	v_mov_b32_e32 v2, 0
	v_mov_b32_e32 v4, 0
	v_add_nc_u32_e32 v9, 16, v241
	s_mov_b32 s5, 0
	.p2align	6
.LBB57_149:                             ; =>This Inner Loop Header: Depth=1
	s_clause 0x3
	buffer_load_dword v14, v9, s[0:3], 0 offen offset:8
	buffer_load_dword v15, v9, s[0:3], 0 offen offset:12
	buffer_load_dword v16, v9, s[0:3], 0 offen
	buffer_load_dword v17, v9, s[0:3], 0 offen offset:4
	ds_read_b128 v[10:13], v8
	v_add_nc_u32_e32 v7, 1, v7
	v_add_nc_u32_e32 v8, 16, v8
	;; [unrolled: 1-line block ×3, first 2 shown]
	v_cmp_lt_u32_e32 vcc_lo, 32, v7
	s_or_b32 s5, vcc_lo, s5
	s_waitcnt vmcnt(2) lgkmcnt(0)
	v_mul_f64 v[18:19], v[12:13], v[14:15]
	v_mul_f64 v[14:15], v[10:11], v[14:15]
	s_waitcnt vmcnt(0)
	v_fma_f64 v[10:11], v[10:11], v[16:17], -v[18:19]
	v_fma_f64 v[12:13], v[12:13], v[16:17], v[14:15]
	v_add_f64 v[3:4], v[3:4], v[10:11]
	v_add_f64 v[1:2], v[1:2], v[12:13]
	s_andn2_b32 exec_lo, exec_lo, s5
	s_cbranch_execnz .LBB57_149
; %bb.150:
	s_or_b32 exec_lo, exec_lo, s5
	v_mov_b32_e32 v7, 0
	ds_read_b128 v[7:10], v7 offset:544
	s_waitcnt lgkmcnt(0)
	v_mul_f64 v[11:12], v[1:2], v[9:10]
	v_mul_f64 v[9:10], v[3:4], v[9:10]
	v_fma_f64 v[3:4], v[3:4], v[7:8], -v[11:12]
	v_fma_f64 v[1:2], v[1:2], v[7:8], v[9:10]
	buffer_store_dword v4, off, s[0:3], 0 offset:564
	buffer_store_dword v3, off, s[0:3], 0 offset:560
	;; [unrolled: 1-line block ×4, first 2 shown]
.LBB57_151:
	s_or_b32 exec_lo, exec_lo, s4
	v_mov_b32_e32 v4, s35
	s_waitcnt_vscnt null, 0x0
	s_barrier
	buffer_gl0_inv
	s_mov_b32 s4, exec_lo
	s_clause 0x3
	buffer_load_dword v1, v4, s[0:3], 0 offen
	buffer_load_dword v2, v4, s[0:3], 0 offen offset:4
	buffer_load_dword v3, v4, s[0:3], 0 offen offset:8
	;; [unrolled: 1-line block ×3, first 2 shown]
	s_waitcnt vmcnt(0)
	ds_write_b128 v5, v[1:4]
	s_waitcnt lgkmcnt(0)
	s_barrier
	buffer_gl0_inv
	v_cmpx_gt_u32_e32 35, v0
	s_cbranch_execz .LBB57_155
; %bb.152:
	v_mov_b32_e32 v1, 0
	v_mov_b32_e32 v3, 0
	v_add_nc_u32_e32 v7, -1, v0
	v_add_nc_u32_e32 v8, 0x3a0, v241
	v_mov_b32_e32 v2, 0
	v_mov_b32_e32 v4, 0
	v_add_nc_u32_e32 v9, 16, v241
	s_mov_b32 s5, 0
	.p2align	6
.LBB57_153:                             ; =>This Inner Loop Header: Depth=1
	s_clause 0x3
	buffer_load_dword v14, v9, s[0:3], 0 offen offset:8
	buffer_load_dword v15, v9, s[0:3], 0 offen offset:12
	buffer_load_dword v16, v9, s[0:3], 0 offen
	buffer_load_dword v17, v9, s[0:3], 0 offen offset:4
	ds_read_b128 v[10:13], v8
	v_add_nc_u32_e32 v7, 1, v7
	v_add_nc_u32_e32 v8, 16, v8
	;; [unrolled: 1-line block ×3, first 2 shown]
	v_cmp_lt_u32_e32 vcc_lo, 33, v7
	s_or_b32 s5, vcc_lo, s5
	s_waitcnt vmcnt(2) lgkmcnt(0)
	v_mul_f64 v[18:19], v[12:13], v[14:15]
	v_mul_f64 v[14:15], v[10:11], v[14:15]
	s_waitcnt vmcnt(0)
	v_fma_f64 v[10:11], v[10:11], v[16:17], -v[18:19]
	v_fma_f64 v[12:13], v[12:13], v[16:17], v[14:15]
	v_add_f64 v[3:4], v[3:4], v[10:11]
	v_add_f64 v[1:2], v[1:2], v[12:13]
	s_andn2_b32 exec_lo, exec_lo, s5
	s_cbranch_execnz .LBB57_153
; %bb.154:
	s_or_b32 exec_lo, exec_lo, s5
	v_mov_b32_e32 v7, 0
	ds_read_b128 v[7:10], v7 offset:560
	s_waitcnt lgkmcnt(0)
	v_mul_f64 v[11:12], v[1:2], v[9:10]
	v_mul_f64 v[9:10], v[3:4], v[9:10]
	v_fma_f64 v[3:4], v[3:4], v[7:8], -v[11:12]
	v_fma_f64 v[1:2], v[1:2], v[7:8], v[9:10]
	buffer_store_dword v4, off, s[0:3], 0 offset:580
	buffer_store_dword v3, off, s[0:3], 0 offset:576
	;; [unrolled: 1-line block ×4, first 2 shown]
.LBB57_155:
	s_or_b32 exec_lo, exec_lo, s4
	v_mov_b32_e32 v4, s34
	s_waitcnt_vscnt null, 0x0
	s_barrier
	buffer_gl0_inv
	s_mov_b32 s4, exec_lo
	s_clause 0x3
	buffer_load_dword v1, v4, s[0:3], 0 offen
	buffer_load_dword v2, v4, s[0:3], 0 offen offset:4
	buffer_load_dword v3, v4, s[0:3], 0 offen offset:8
	;; [unrolled: 1-line block ×3, first 2 shown]
	s_waitcnt vmcnt(0)
	ds_write_b128 v5, v[1:4]
	s_waitcnt lgkmcnt(0)
	s_barrier
	buffer_gl0_inv
	v_cmpx_gt_u32_e32 36, v0
	s_cbranch_execz .LBB57_159
; %bb.156:
	v_mov_b32_e32 v1, 0
	v_mov_b32_e32 v3, 0
	v_add_nc_u32_e32 v7, -1, v0
	v_add_nc_u32_e32 v8, 0x3a0, v241
	v_mov_b32_e32 v2, 0
	v_mov_b32_e32 v4, 0
	v_add_nc_u32_e32 v9, 16, v241
	s_mov_b32 s5, 0
	.p2align	6
.LBB57_157:                             ; =>This Inner Loop Header: Depth=1
	s_clause 0x3
	buffer_load_dword v14, v9, s[0:3], 0 offen offset:8
	buffer_load_dword v15, v9, s[0:3], 0 offen offset:12
	buffer_load_dword v16, v9, s[0:3], 0 offen
	buffer_load_dword v17, v9, s[0:3], 0 offen offset:4
	ds_read_b128 v[10:13], v8
	v_add_nc_u32_e32 v7, 1, v7
	v_add_nc_u32_e32 v8, 16, v8
	;; [unrolled: 1-line block ×3, first 2 shown]
	v_cmp_lt_u32_e32 vcc_lo, 34, v7
	s_or_b32 s5, vcc_lo, s5
	s_waitcnt vmcnt(2) lgkmcnt(0)
	v_mul_f64 v[18:19], v[12:13], v[14:15]
	v_mul_f64 v[14:15], v[10:11], v[14:15]
	s_waitcnt vmcnt(0)
	v_fma_f64 v[10:11], v[10:11], v[16:17], -v[18:19]
	v_fma_f64 v[12:13], v[12:13], v[16:17], v[14:15]
	v_add_f64 v[3:4], v[3:4], v[10:11]
	v_add_f64 v[1:2], v[1:2], v[12:13]
	s_andn2_b32 exec_lo, exec_lo, s5
	s_cbranch_execnz .LBB57_157
; %bb.158:
	s_or_b32 exec_lo, exec_lo, s5
	v_mov_b32_e32 v7, 0
	ds_read_b128 v[7:10], v7 offset:576
	s_waitcnt lgkmcnt(0)
	v_mul_f64 v[11:12], v[1:2], v[9:10]
	v_mul_f64 v[9:10], v[3:4], v[9:10]
	v_fma_f64 v[3:4], v[3:4], v[7:8], -v[11:12]
	v_fma_f64 v[1:2], v[1:2], v[7:8], v[9:10]
	buffer_store_dword v4, off, s[0:3], 0 offset:596
	buffer_store_dword v3, off, s[0:3], 0 offset:592
	;; [unrolled: 1-line block ×4, first 2 shown]
.LBB57_159:
	s_or_b32 exec_lo, exec_lo, s4
	v_mov_b32_e32 v4, s33
	s_waitcnt_vscnt null, 0x0
	s_barrier
	buffer_gl0_inv
	s_mov_b32 s4, exec_lo
	s_clause 0x3
	buffer_load_dword v1, v4, s[0:3], 0 offen
	buffer_load_dword v2, v4, s[0:3], 0 offen offset:4
	buffer_load_dword v3, v4, s[0:3], 0 offen offset:8
	;; [unrolled: 1-line block ×3, first 2 shown]
	s_waitcnt vmcnt(0)
	ds_write_b128 v5, v[1:4]
	s_waitcnt lgkmcnt(0)
	s_barrier
	buffer_gl0_inv
	v_cmpx_gt_u32_e32 37, v0
	s_cbranch_execz .LBB57_163
; %bb.160:
	v_mov_b32_e32 v1, 0
	v_mov_b32_e32 v3, 0
	v_add_nc_u32_e32 v7, -1, v0
	v_add_nc_u32_e32 v8, 0x3a0, v241
	v_mov_b32_e32 v2, 0
	v_mov_b32_e32 v4, 0
	v_add_nc_u32_e32 v9, 16, v241
	s_mov_b32 s5, 0
	.p2align	6
.LBB57_161:                             ; =>This Inner Loop Header: Depth=1
	s_clause 0x3
	buffer_load_dword v14, v9, s[0:3], 0 offen offset:8
	buffer_load_dword v15, v9, s[0:3], 0 offen offset:12
	buffer_load_dword v16, v9, s[0:3], 0 offen
	buffer_load_dword v17, v9, s[0:3], 0 offen offset:4
	ds_read_b128 v[10:13], v8
	v_add_nc_u32_e32 v7, 1, v7
	v_add_nc_u32_e32 v8, 16, v8
	;; [unrolled: 1-line block ×3, first 2 shown]
	v_cmp_lt_u32_e32 vcc_lo, 35, v7
	s_or_b32 s5, vcc_lo, s5
	s_waitcnt vmcnt(2) lgkmcnt(0)
	v_mul_f64 v[18:19], v[12:13], v[14:15]
	v_mul_f64 v[14:15], v[10:11], v[14:15]
	s_waitcnt vmcnt(0)
	v_fma_f64 v[10:11], v[10:11], v[16:17], -v[18:19]
	v_fma_f64 v[12:13], v[12:13], v[16:17], v[14:15]
	v_add_f64 v[3:4], v[3:4], v[10:11]
	v_add_f64 v[1:2], v[1:2], v[12:13]
	s_andn2_b32 exec_lo, exec_lo, s5
	s_cbranch_execnz .LBB57_161
; %bb.162:
	s_or_b32 exec_lo, exec_lo, s5
	v_mov_b32_e32 v7, 0
	ds_read_b128 v[7:10], v7 offset:592
	s_waitcnt lgkmcnt(0)
	v_mul_f64 v[11:12], v[1:2], v[9:10]
	v_mul_f64 v[9:10], v[3:4], v[9:10]
	v_fma_f64 v[3:4], v[3:4], v[7:8], -v[11:12]
	v_fma_f64 v[1:2], v[1:2], v[7:8], v[9:10]
	buffer_store_dword v4, off, s[0:3], 0 offset:612
	buffer_store_dword v3, off, s[0:3], 0 offset:608
	;; [unrolled: 1-line block ×4, first 2 shown]
.LBB57_163:
	s_or_b32 exec_lo, exec_lo, s4
	v_mov_b32_e32 v4, s31
	s_waitcnt_vscnt null, 0x0
	s_barrier
	buffer_gl0_inv
	s_mov_b32 s4, exec_lo
	s_clause 0x3
	buffer_load_dword v1, v4, s[0:3], 0 offen
	buffer_load_dword v2, v4, s[0:3], 0 offen offset:4
	buffer_load_dword v3, v4, s[0:3], 0 offen offset:8
	;; [unrolled: 1-line block ×3, first 2 shown]
	s_waitcnt vmcnt(0)
	ds_write_b128 v5, v[1:4]
	s_waitcnt lgkmcnt(0)
	s_barrier
	buffer_gl0_inv
	v_cmpx_gt_u32_e32 38, v0
	s_cbranch_execz .LBB57_167
; %bb.164:
	v_mov_b32_e32 v1, 0
	v_mov_b32_e32 v3, 0
	v_add_nc_u32_e32 v7, -1, v0
	v_add_nc_u32_e32 v8, 0x3a0, v241
	v_mov_b32_e32 v2, 0
	v_mov_b32_e32 v4, 0
	v_add_nc_u32_e32 v9, 16, v241
	s_mov_b32 s5, 0
	.p2align	6
.LBB57_165:                             ; =>This Inner Loop Header: Depth=1
	s_clause 0x3
	buffer_load_dword v14, v9, s[0:3], 0 offen offset:8
	buffer_load_dword v15, v9, s[0:3], 0 offen offset:12
	buffer_load_dword v16, v9, s[0:3], 0 offen
	buffer_load_dword v17, v9, s[0:3], 0 offen offset:4
	ds_read_b128 v[10:13], v8
	v_add_nc_u32_e32 v7, 1, v7
	v_add_nc_u32_e32 v8, 16, v8
	;; [unrolled: 1-line block ×3, first 2 shown]
	v_cmp_lt_u32_e32 vcc_lo, 36, v7
	s_or_b32 s5, vcc_lo, s5
	s_waitcnt vmcnt(2) lgkmcnt(0)
	v_mul_f64 v[18:19], v[12:13], v[14:15]
	v_mul_f64 v[14:15], v[10:11], v[14:15]
	s_waitcnt vmcnt(0)
	v_fma_f64 v[10:11], v[10:11], v[16:17], -v[18:19]
	v_fma_f64 v[12:13], v[12:13], v[16:17], v[14:15]
	v_add_f64 v[3:4], v[3:4], v[10:11]
	v_add_f64 v[1:2], v[1:2], v[12:13]
	s_andn2_b32 exec_lo, exec_lo, s5
	s_cbranch_execnz .LBB57_165
; %bb.166:
	s_or_b32 exec_lo, exec_lo, s5
	v_mov_b32_e32 v7, 0
	ds_read_b128 v[7:10], v7 offset:608
	s_waitcnt lgkmcnt(0)
	v_mul_f64 v[11:12], v[1:2], v[9:10]
	v_mul_f64 v[9:10], v[3:4], v[9:10]
	v_fma_f64 v[3:4], v[3:4], v[7:8], -v[11:12]
	v_fma_f64 v[1:2], v[1:2], v[7:8], v[9:10]
	buffer_store_dword v4, off, s[0:3], 0 offset:628
	buffer_store_dword v3, off, s[0:3], 0 offset:624
	;; [unrolled: 1-line block ×4, first 2 shown]
.LBB57_167:
	s_or_b32 exec_lo, exec_lo, s4
	v_mov_b32_e32 v4, s30
	s_waitcnt_vscnt null, 0x0
	s_barrier
	buffer_gl0_inv
	s_mov_b32 s4, exec_lo
	s_clause 0x3
	buffer_load_dword v1, v4, s[0:3], 0 offen
	buffer_load_dword v2, v4, s[0:3], 0 offen offset:4
	buffer_load_dword v3, v4, s[0:3], 0 offen offset:8
	;; [unrolled: 1-line block ×3, first 2 shown]
	s_waitcnt vmcnt(0)
	ds_write_b128 v5, v[1:4]
	s_waitcnt lgkmcnt(0)
	s_barrier
	buffer_gl0_inv
	v_cmpx_gt_u32_e32 39, v0
	s_cbranch_execz .LBB57_171
; %bb.168:
	v_mov_b32_e32 v1, 0
	v_mov_b32_e32 v3, 0
	v_add_nc_u32_e32 v7, -1, v0
	v_add_nc_u32_e32 v8, 0x3a0, v241
	v_mov_b32_e32 v2, 0
	v_mov_b32_e32 v4, 0
	v_add_nc_u32_e32 v9, 16, v241
	s_mov_b32 s5, 0
	.p2align	6
.LBB57_169:                             ; =>This Inner Loop Header: Depth=1
	s_clause 0x3
	buffer_load_dword v14, v9, s[0:3], 0 offen offset:8
	buffer_load_dword v15, v9, s[0:3], 0 offen offset:12
	buffer_load_dword v16, v9, s[0:3], 0 offen
	buffer_load_dword v17, v9, s[0:3], 0 offen offset:4
	ds_read_b128 v[10:13], v8
	v_add_nc_u32_e32 v7, 1, v7
	v_add_nc_u32_e32 v8, 16, v8
	;; [unrolled: 1-line block ×3, first 2 shown]
	v_cmp_lt_u32_e32 vcc_lo, 37, v7
	s_or_b32 s5, vcc_lo, s5
	s_waitcnt vmcnt(2) lgkmcnt(0)
	v_mul_f64 v[18:19], v[12:13], v[14:15]
	v_mul_f64 v[14:15], v[10:11], v[14:15]
	s_waitcnt vmcnt(0)
	v_fma_f64 v[10:11], v[10:11], v[16:17], -v[18:19]
	v_fma_f64 v[12:13], v[12:13], v[16:17], v[14:15]
	v_add_f64 v[3:4], v[3:4], v[10:11]
	v_add_f64 v[1:2], v[1:2], v[12:13]
	s_andn2_b32 exec_lo, exec_lo, s5
	s_cbranch_execnz .LBB57_169
; %bb.170:
	s_or_b32 exec_lo, exec_lo, s5
	v_mov_b32_e32 v7, 0
	ds_read_b128 v[7:10], v7 offset:624
	s_waitcnt lgkmcnt(0)
	v_mul_f64 v[11:12], v[1:2], v[9:10]
	v_mul_f64 v[9:10], v[3:4], v[9:10]
	v_fma_f64 v[3:4], v[3:4], v[7:8], -v[11:12]
	v_fma_f64 v[1:2], v[1:2], v[7:8], v[9:10]
	buffer_store_dword v4, off, s[0:3], 0 offset:644
	buffer_store_dword v3, off, s[0:3], 0 offset:640
	;; [unrolled: 1-line block ×4, first 2 shown]
.LBB57_171:
	s_or_b32 exec_lo, exec_lo, s4
	v_mov_b32_e32 v4, s29
	s_waitcnt_vscnt null, 0x0
	s_barrier
	buffer_gl0_inv
	s_mov_b32 s4, exec_lo
	s_clause 0x3
	buffer_load_dword v1, v4, s[0:3], 0 offen
	buffer_load_dword v2, v4, s[0:3], 0 offen offset:4
	buffer_load_dword v3, v4, s[0:3], 0 offen offset:8
	;; [unrolled: 1-line block ×3, first 2 shown]
	s_waitcnt vmcnt(0)
	ds_write_b128 v5, v[1:4]
	s_waitcnt lgkmcnt(0)
	s_barrier
	buffer_gl0_inv
	v_cmpx_gt_u32_e32 40, v0
	s_cbranch_execz .LBB57_175
; %bb.172:
	v_mov_b32_e32 v1, 0
	v_mov_b32_e32 v3, 0
	v_add_nc_u32_e32 v7, -1, v0
	v_add_nc_u32_e32 v8, 0x3a0, v241
	v_mov_b32_e32 v2, 0
	v_mov_b32_e32 v4, 0
	v_add_nc_u32_e32 v9, 16, v241
	s_mov_b32 s5, 0
	.p2align	6
.LBB57_173:                             ; =>This Inner Loop Header: Depth=1
	s_clause 0x3
	buffer_load_dword v14, v9, s[0:3], 0 offen offset:8
	buffer_load_dword v15, v9, s[0:3], 0 offen offset:12
	buffer_load_dword v16, v9, s[0:3], 0 offen
	buffer_load_dword v17, v9, s[0:3], 0 offen offset:4
	ds_read_b128 v[10:13], v8
	v_add_nc_u32_e32 v7, 1, v7
	v_add_nc_u32_e32 v8, 16, v8
	;; [unrolled: 1-line block ×3, first 2 shown]
	v_cmp_lt_u32_e32 vcc_lo, 38, v7
	s_or_b32 s5, vcc_lo, s5
	s_waitcnt vmcnt(2) lgkmcnt(0)
	v_mul_f64 v[18:19], v[12:13], v[14:15]
	v_mul_f64 v[14:15], v[10:11], v[14:15]
	s_waitcnt vmcnt(0)
	v_fma_f64 v[10:11], v[10:11], v[16:17], -v[18:19]
	v_fma_f64 v[12:13], v[12:13], v[16:17], v[14:15]
	v_add_f64 v[3:4], v[3:4], v[10:11]
	v_add_f64 v[1:2], v[1:2], v[12:13]
	s_andn2_b32 exec_lo, exec_lo, s5
	s_cbranch_execnz .LBB57_173
; %bb.174:
	s_or_b32 exec_lo, exec_lo, s5
	v_mov_b32_e32 v7, 0
	ds_read_b128 v[7:10], v7 offset:640
	s_waitcnt lgkmcnt(0)
	v_mul_f64 v[11:12], v[1:2], v[9:10]
	v_mul_f64 v[9:10], v[3:4], v[9:10]
	v_fma_f64 v[3:4], v[3:4], v[7:8], -v[11:12]
	v_fma_f64 v[1:2], v[1:2], v[7:8], v[9:10]
	buffer_store_dword v4, off, s[0:3], 0 offset:660
	buffer_store_dword v3, off, s[0:3], 0 offset:656
	;; [unrolled: 1-line block ×4, first 2 shown]
.LBB57_175:
	s_or_b32 exec_lo, exec_lo, s4
	v_mov_b32_e32 v4, s28
	s_waitcnt_vscnt null, 0x0
	s_barrier
	buffer_gl0_inv
	s_mov_b32 s4, exec_lo
	s_clause 0x3
	buffer_load_dword v1, v4, s[0:3], 0 offen
	buffer_load_dword v2, v4, s[0:3], 0 offen offset:4
	buffer_load_dword v3, v4, s[0:3], 0 offen offset:8
	;; [unrolled: 1-line block ×3, first 2 shown]
	s_waitcnt vmcnt(0)
	ds_write_b128 v5, v[1:4]
	s_waitcnt lgkmcnt(0)
	s_barrier
	buffer_gl0_inv
	v_cmpx_gt_u32_e32 41, v0
	s_cbranch_execz .LBB57_179
; %bb.176:
	v_mov_b32_e32 v1, 0
	v_mov_b32_e32 v3, 0
	v_add_nc_u32_e32 v7, -1, v0
	v_add_nc_u32_e32 v8, 0x3a0, v241
	v_mov_b32_e32 v2, 0
	v_mov_b32_e32 v4, 0
	v_add_nc_u32_e32 v9, 16, v241
	s_mov_b32 s5, 0
	.p2align	6
.LBB57_177:                             ; =>This Inner Loop Header: Depth=1
	s_clause 0x3
	buffer_load_dword v14, v9, s[0:3], 0 offen offset:8
	buffer_load_dword v15, v9, s[0:3], 0 offen offset:12
	buffer_load_dword v16, v9, s[0:3], 0 offen
	buffer_load_dword v17, v9, s[0:3], 0 offen offset:4
	ds_read_b128 v[10:13], v8
	v_add_nc_u32_e32 v7, 1, v7
	v_add_nc_u32_e32 v8, 16, v8
	v_add_nc_u32_e32 v9, 16, v9
	v_cmp_lt_u32_e32 vcc_lo, 39, v7
	s_or_b32 s5, vcc_lo, s5
	s_waitcnt vmcnt(2) lgkmcnt(0)
	v_mul_f64 v[18:19], v[12:13], v[14:15]
	v_mul_f64 v[14:15], v[10:11], v[14:15]
	s_waitcnt vmcnt(0)
	v_fma_f64 v[10:11], v[10:11], v[16:17], -v[18:19]
	v_fma_f64 v[12:13], v[12:13], v[16:17], v[14:15]
	v_add_f64 v[3:4], v[3:4], v[10:11]
	v_add_f64 v[1:2], v[1:2], v[12:13]
	s_andn2_b32 exec_lo, exec_lo, s5
	s_cbranch_execnz .LBB57_177
; %bb.178:
	s_or_b32 exec_lo, exec_lo, s5
	v_mov_b32_e32 v7, 0
	ds_read_b128 v[7:10], v7 offset:656
	s_waitcnt lgkmcnt(0)
	v_mul_f64 v[11:12], v[1:2], v[9:10]
	v_mul_f64 v[9:10], v[3:4], v[9:10]
	v_fma_f64 v[3:4], v[3:4], v[7:8], -v[11:12]
	v_fma_f64 v[1:2], v[1:2], v[7:8], v[9:10]
	buffer_store_dword v4, off, s[0:3], 0 offset:676
	buffer_store_dword v3, off, s[0:3], 0 offset:672
	;; [unrolled: 1-line block ×4, first 2 shown]
.LBB57_179:
	s_or_b32 exec_lo, exec_lo, s4
	v_mov_b32_e32 v4, s27
	s_waitcnt_vscnt null, 0x0
	s_barrier
	buffer_gl0_inv
	s_mov_b32 s4, exec_lo
	s_clause 0x3
	buffer_load_dword v1, v4, s[0:3], 0 offen
	buffer_load_dword v2, v4, s[0:3], 0 offen offset:4
	buffer_load_dword v3, v4, s[0:3], 0 offen offset:8
	buffer_load_dword v4, v4, s[0:3], 0 offen offset:12
	s_waitcnt vmcnt(0)
	ds_write_b128 v5, v[1:4]
	s_waitcnt lgkmcnt(0)
	s_barrier
	buffer_gl0_inv
	v_cmpx_gt_u32_e32 42, v0
	s_cbranch_execz .LBB57_183
; %bb.180:
	v_mov_b32_e32 v1, 0
	v_mov_b32_e32 v3, 0
	v_add_nc_u32_e32 v7, -1, v0
	v_add_nc_u32_e32 v8, 0x3a0, v241
	v_mov_b32_e32 v2, 0
	v_mov_b32_e32 v4, 0
	v_add_nc_u32_e32 v9, 16, v241
	s_mov_b32 s5, 0
	.p2align	6
.LBB57_181:                             ; =>This Inner Loop Header: Depth=1
	s_clause 0x3
	buffer_load_dword v14, v9, s[0:3], 0 offen offset:8
	buffer_load_dword v15, v9, s[0:3], 0 offen offset:12
	buffer_load_dword v16, v9, s[0:3], 0 offen
	buffer_load_dword v17, v9, s[0:3], 0 offen offset:4
	ds_read_b128 v[10:13], v8
	v_add_nc_u32_e32 v7, 1, v7
	v_add_nc_u32_e32 v8, 16, v8
	;; [unrolled: 1-line block ×3, first 2 shown]
	v_cmp_lt_u32_e32 vcc_lo, 40, v7
	s_or_b32 s5, vcc_lo, s5
	s_waitcnt vmcnt(2) lgkmcnt(0)
	v_mul_f64 v[18:19], v[12:13], v[14:15]
	v_mul_f64 v[14:15], v[10:11], v[14:15]
	s_waitcnt vmcnt(0)
	v_fma_f64 v[10:11], v[10:11], v[16:17], -v[18:19]
	v_fma_f64 v[12:13], v[12:13], v[16:17], v[14:15]
	v_add_f64 v[3:4], v[3:4], v[10:11]
	v_add_f64 v[1:2], v[1:2], v[12:13]
	s_andn2_b32 exec_lo, exec_lo, s5
	s_cbranch_execnz .LBB57_181
; %bb.182:
	s_or_b32 exec_lo, exec_lo, s5
	v_mov_b32_e32 v7, 0
	ds_read_b128 v[7:10], v7 offset:672
	s_waitcnt lgkmcnt(0)
	v_mul_f64 v[11:12], v[1:2], v[9:10]
	v_mul_f64 v[9:10], v[3:4], v[9:10]
	v_fma_f64 v[3:4], v[3:4], v[7:8], -v[11:12]
	v_fma_f64 v[1:2], v[1:2], v[7:8], v[9:10]
	buffer_store_dword v4, off, s[0:3], 0 offset:692
	buffer_store_dword v3, off, s[0:3], 0 offset:688
	;; [unrolled: 1-line block ×4, first 2 shown]
.LBB57_183:
	s_or_b32 exec_lo, exec_lo, s4
	v_mov_b32_e32 v4, s26
	s_waitcnt_vscnt null, 0x0
	s_barrier
	buffer_gl0_inv
	s_mov_b32 s4, exec_lo
	s_clause 0x3
	buffer_load_dword v1, v4, s[0:3], 0 offen
	buffer_load_dword v2, v4, s[0:3], 0 offen offset:4
	buffer_load_dword v3, v4, s[0:3], 0 offen offset:8
	;; [unrolled: 1-line block ×3, first 2 shown]
	s_waitcnt vmcnt(0)
	ds_write_b128 v5, v[1:4]
	s_waitcnt lgkmcnt(0)
	s_barrier
	buffer_gl0_inv
	v_cmpx_gt_u32_e32 43, v0
	s_cbranch_execz .LBB57_187
; %bb.184:
	v_mov_b32_e32 v1, 0
	v_mov_b32_e32 v3, 0
	v_add_nc_u32_e32 v7, -1, v0
	v_add_nc_u32_e32 v8, 0x3a0, v241
	v_mov_b32_e32 v2, 0
	v_mov_b32_e32 v4, 0
	v_add_nc_u32_e32 v9, 16, v241
	s_mov_b32 s5, 0
	.p2align	6
.LBB57_185:                             ; =>This Inner Loop Header: Depth=1
	s_clause 0x3
	buffer_load_dword v14, v9, s[0:3], 0 offen offset:8
	buffer_load_dword v15, v9, s[0:3], 0 offen offset:12
	buffer_load_dword v16, v9, s[0:3], 0 offen
	buffer_load_dword v17, v9, s[0:3], 0 offen offset:4
	ds_read_b128 v[10:13], v8
	v_add_nc_u32_e32 v7, 1, v7
	v_add_nc_u32_e32 v8, 16, v8
	;; [unrolled: 1-line block ×3, first 2 shown]
	v_cmp_lt_u32_e32 vcc_lo, 41, v7
	s_or_b32 s5, vcc_lo, s5
	s_waitcnt vmcnt(2) lgkmcnt(0)
	v_mul_f64 v[18:19], v[12:13], v[14:15]
	v_mul_f64 v[14:15], v[10:11], v[14:15]
	s_waitcnt vmcnt(0)
	v_fma_f64 v[10:11], v[10:11], v[16:17], -v[18:19]
	v_fma_f64 v[12:13], v[12:13], v[16:17], v[14:15]
	v_add_f64 v[3:4], v[3:4], v[10:11]
	v_add_f64 v[1:2], v[1:2], v[12:13]
	s_andn2_b32 exec_lo, exec_lo, s5
	s_cbranch_execnz .LBB57_185
; %bb.186:
	s_or_b32 exec_lo, exec_lo, s5
	v_mov_b32_e32 v7, 0
	ds_read_b128 v[7:10], v7 offset:688
	s_waitcnt lgkmcnt(0)
	v_mul_f64 v[11:12], v[1:2], v[9:10]
	v_mul_f64 v[9:10], v[3:4], v[9:10]
	v_fma_f64 v[3:4], v[3:4], v[7:8], -v[11:12]
	v_fma_f64 v[1:2], v[1:2], v[7:8], v[9:10]
	buffer_store_dword v4, off, s[0:3], 0 offset:708
	buffer_store_dword v3, off, s[0:3], 0 offset:704
	;; [unrolled: 1-line block ×4, first 2 shown]
.LBB57_187:
	s_or_b32 exec_lo, exec_lo, s4
	v_mov_b32_e32 v4, s25
	s_waitcnt_vscnt null, 0x0
	s_barrier
	buffer_gl0_inv
	s_mov_b32 s4, exec_lo
	s_clause 0x3
	buffer_load_dword v1, v4, s[0:3], 0 offen
	buffer_load_dword v2, v4, s[0:3], 0 offen offset:4
	buffer_load_dword v3, v4, s[0:3], 0 offen offset:8
	;; [unrolled: 1-line block ×3, first 2 shown]
	s_waitcnt vmcnt(0)
	ds_write_b128 v5, v[1:4]
	s_waitcnt lgkmcnt(0)
	s_barrier
	buffer_gl0_inv
	v_cmpx_gt_u32_e32 44, v0
	s_cbranch_execz .LBB57_191
; %bb.188:
	v_mov_b32_e32 v1, 0
	v_mov_b32_e32 v3, 0
	v_add_nc_u32_e32 v7, -1, v0
	v_add_nc_u32_e32 v8, 0x3a0, v241
	v_mov_b32_e32 v2, 0
	v_mov_b32_e32 v4, 0
	v_add_nc_u32_e32 v9, 16, v241
	s_mov_b32 s5, 0
	.p2align	6
.LBB57_189:                             ; =>This Inner Loop Header: Depth=1
	s_clause 0x3
	buffer_load_dword v14, v9, s[0:3], 0 offen offset:8
	buffer_load_dword v15, v9, s[0:3], 0 offen offset:12
	buffer_load_dword v16, v9, s[0:3], 0 offen
	buffer_load_dword v17, v9, s[0:3], 0 offen offset:4
	ds_read_b128 v[10:13], v8
	v_add_nc_u32_e32 v7, 1, v7
	v_add_nc_u32_e32 v8, 16, v8
	;; [unrolled: 1-line block ×3, first 2 shown]
	v_cmp_lt_u32_e32 vcc_lo, 42, v7
	s_or_b32 s5, vcc_lo, s5
	s_waitcnt vmcnt(2) lgkmcnt(0)
	v_mul_f64 v[18:19], v[12:13], v[14:15]
	v_mul_f64 v[14:15], v[10:11], v[14:15]
	s_waitcnt vmcnt(0)
	v_fma_f64 v[10:11], v[10:11], v[16:17], -v[18:19]
	v_fma_f64 v[12:13], v[12:13], v[16:17], v[14:15]
	v_add_f64 v[3:4], v[3:4], v[10:11]
	v_add_f64 v[1:2], v[1:2], v[12:13]
	s_andn2_b32 exec_lo, exec_lo, s5
	s_cbranch_execnz .LBB57_189
; %bb.190:
	s_or_b32 exec_lo, exec_lo, s5
	v_mov_b32_e32 v7, 0
	ds_read_b128 v[7:10], v7 offset:704
	s_waitcnt lgkmcnt(0)
	v_mul_f64 v[11:12], v[1:2], v[9:10]
	v_mul_f64 v[9:10], v[3:4], v[9:10]
	v_fma_f64 v[3:4], v[3:4], v[7:8], -v[11:12]
	v_fma_f64 v[1:2], v[1:2], v[7:8], v[9:10]
	buffer_store_dword v4, off, s[0:3], 0 offset:724
	buffer_store_dword v3, off, s[0:3], 0 offset:720
	;; [unrolled: 1-line block ×4, first 2 shown]
.LBB57_191:
	s_or_b32 exec_lo, exec_lo, s4
	v_mov_b32_e32 v4, s24
	s_waitcnt_vscnt null, 0x0
	s_barrier
	buffer_gl0_inv
	s_mov_b32 s4, exec_lo
	s_clause 0x3
	buffer_load_dword v1, v4, s[0:3], 0 offen
	buffer_load_dword v2, v4, s[0:3], 0 offen offset:4
	buffer_load_dword v3, v4, s[0:3], 0 offen offset:8
	;; [unrolled: 1-line block ×3, first 2 shown]
	s_waitcnt vmcnt(0)
	ds_write_b128 v5, v[1:4]
	s_waitcnt lgkmcnt(0)
	s_barrier
	buffer_gl0_inv
	v_cmpx_gt_u32_e32 45, v0
	s_cbranch_execz .LBB57_195
; %bb.192:
	v_mov_b32_e32 v1, 0
	v_mov_b32_e32 v3, 0
	v_add_nc_u32_e32 v7, -1, v0
	v_add_nc_u32_e32 v8, 0x3a0, v241
	v_mov_b32_e32 v2, 0
	v_mov_b32_e32 v4, 0
	v_add_nc_u32_e32 v9, 16, v241
	s_mov_b32 s5, 0
	.p2align	6
.LBB57_193:                             ; =>This Inner Loop Header: Depth=1
	s_clause 0x3
	buffer_load_dword v14, v9, s[0:3], 0 offen offset:8
	buffer_load_dword v15, v9, s[0:3], 0 offen offset:12
	buffer_load_dword v16, v9, s[0:3], 0 offen
	buffer_load_dword v17, v9, s[0:3], 0 offen offset:4
	ds_read_b128 v[10:13], v8
	v_add_nc_u32_e32 v7, 1, v7
	v_add_nc_u32_e32 v8, 16, v8
	;; [unrolled: 1-line block ×3, first 2 shown]
	v_cmp_lt_u32_e32 vcc_lo, 43, v7
	s_or_b32 s5, vcc_lo, s5
	s_waitcnt vmcnt(2) lgkmcnt(0)
	v_mul_f64 v[18:19], v[12:13], v[14:15]
	v_mul_f64 v[14:15], v[10:11], v[14:15]
	s_waitcnt vmcnt(0)
	v_fma_f64 v[10:11], v[10:11], v[16:17], -v[18:19]
	v_fma_f64 v[12:13], v[12:13], v[16:17], v[14:15]
	v_add_f64 v[3:4], v[3:4], v[10:11]
	v_add_f64 v[1:2], v[1:2], v[12:13]
	s_andn2_b32 exec_lo, exec_lo, s5
	s_cbranch_execnz .LBB57_193
; %bb.194:
	s_or_b32 exec_lo, exec_lo, s5
	v_mov_b32_e32 v7, 0
	ds_read_b128 v[7:10], v7 offset:720
	s_waitcnt lgkmcnt(0)
	v_mul_f64 v[11:12], v[1:2], v[9:10]
	v_mul_f64 v[9:10], v[3:4], v[9:10]
	v_fma_f64 v[3:4], v[3:4], v[7:8], -v[11:12]
	v_fma_f64 v[1:2], v[1:2], v[7:8], v[9:10]
	buffer_store_dword v4, off, s[0:3], 0 offset:740
	buffer_store_dword v3, off, s[0:3], 0 offset:736
	;; [unrolled: 1-line block ×4, first 2 shown]
.LBB57_195:
	s_or_b32 exec_lo, exec_lo, s4
	v_mov_b32_e32 v4, s23
	s_waitcnt_vscnt null, 0x0
	s_barrier
	buffer_gl0_inv
	s_mov_b32 s4, exec_lo
	s_clause 0x3
	buffer_load_dword v1, v4, s[0:3], 0 offen
	buffer_load_dword v2, v4, s[0:3], 0 offen offset:4
	buffer_load_dword v3, v4, s[0:3], 0 offen offset:8
	;; [unrolled: 1-line block ×3, first 2 shown]
	s_waitcnt vmcnt(0)
	ds_write_b128 v5, v[1:4]
	s_waitcnt lgkmcnt(0)
	s_barrier
	buffer_gl0_inv
	v_cmpx_gt_u32_e32 46, v0
	s_cbranch_execz .LBB57_199
; %bb.196:
	v_mov_b32_e32 v1, 0
	v_mov_b32_e32 v3, 0
	v_add_nc_u32_e32 v7, -1, v0
	v_add_nc_u32_e32 v8, 0x3a0, v241
	v_mov_b32_e32 v2, 0
	v_mov_b32_e32 v4, 0
	v_add_nc_u32_e32 v9, 16, v241
	s_mov_b32 s5, 0
	.p2align	6
.LBB57_197:                             ; =>This Inner Loop Header: Depth=1
	s_clause 0x3
	buffer_load_dword v14, v9, s[0:3], 0 offen offset:8
	buffer_load_dword v15, v9, s[0:3], 0 offen offset:12
	buffer_load_dword v16, v9, s[0:3], 0 offen
	buffer_load_dword v17, v9, s[0:3], 0 offen offset:4
	ds_read_b128 v[10:13], v8
	v_add_nc_u32_e32 v7, 1, v7
	v_add_nc_u32_e32 v8, 16, v8
	v_add_nc_u32_e32 v9, 16, v9
	v_cmp_lt_u32_e32 vcc_lo, 44, v7
	s_or_b32 s5, vcc_lo, s5
	s_waitcnt vmcnt(2) lgkmcnt(0)
	v_mul_f64 v[18:19], v[12:13], v[14:15]
	v_mul_f64 v[14:15], v[10:11], v[14:15]
	s_waitcnt vmcnt(0)
	v_fma_f64 v[10:11], v[10:11], v[16:17], -v[18:19]
	v_fma_f64 v[12:13], v[12:13], v[16:17], v[14:15]
	v_add_f64 v[3:4], v[3:4], v[10:11]
	v_add_f64 v[1:2], v[1:2], v[12:13]
	s_andn2_b32 exec_lo, exec_lo, s5
	s_cbranch_execnz .LBB57_197
; %bb.198:
	s_or_b32 exec_lo, exec_lo, s5
	v_mov_b32_e32 v7, 0
	ds_read_b128 v[7:10], v7 offset:736
	s_waitcnt lgkmcnt(0)
	v_mul_f64 v[11:12], v[1:2], v[9:10]
	v_mul_f64 v[9:10], v[3:4], v[9:10]
	v_fma_f64 v[3:4], v[3:4], v[7:8], -v[11:12]
	v_fma_f64 v[1:2], v[1:2], v[7:8], v[9:10]
	buffer_store_dword v4, off, s[0:3], 0 offset:756
	buffer_store_dword v3, off, s[0:3], 0 offset:752
	;; [unrolled: 1-line block ×4, first 2 shown]
.LBB57_199:
	s_or_b32 exec_lo, exec_lo, s4
	v_mov_b32_e32 v4, s22
	s_waitcnt_vscnt null, 0x0
	s_barrier
	buffer_gl0_inv
	s_mov_b32 s4, exec_lo
	s_clause 0x3
	buffer_load_dword v1, v4, s[0:3], 0 offen
	buffer_load_dword v2, v4, s[0:3], 0 offen offset:4
	buffer_load_dword v3, v4, s[0:3], 0 offen offset:8
	;; [unrolled: 1-line block ×3, first 2 shown]
	s_waitcnt vmcnt(0)
	ds_write_b128 v5, v[1:4]
	s_waitcnt lgkmcnt(0)
	s_barrier
	buffer_gl0_inv
	v_cmpx_gt_u32_e32 47, v0
	s_cbranch_execz .LBB57_203
; %bb.200:
	v_mov_b32_e32 v1, 0
	v_mov_b32_e32 v3, 0
	v_add_nc_u32_e32 v7, -1, v0
	v_add_nc_u32_e32 v8, 0x3a0, v241
	v_mov_b32_e32 v2, 0
	v_mov_b32_e32 v4, 0
	v_add_nc_u32_e32 v9, 16, v241
	s_mov_b32 s5, 0
	.p2align	6
.LBB57_201:                             ; =>This Inner Loop Header: Depth=1
	s_clause 0x3
	buffer_load_dword v14, v9, s[0:3], 0 offen offset:8
	buffer_load_dword v15, v9, s[0:3], 0 offen offset:12
	buffer_load_dword v16, v9, s[0:3], 0 offen
	buffer_load_dword v17, v9, s[0:3], 0 offen offset:4
	ds_read_b128 v[10:13], v8
	v_add_nc_u32_e32 v7, 1, v7
	v_add_nc_u32_e32 v8, 16, v8
	v_add_nc_u32_e32 v9, 16, v9
	v_cmp_lt_u32_e32 vcc_lo, 45, v7
	s_or_b32 s5, vcc_lo, s5
	s_waitcnt vmcnt(2) lgkmcnt(0)
	v_mul_f64 v[18:19], v[12:13], v[14:15]
	v_mul_f64 v[14:15], v[10:11], v[14:15]
	s_waitcnt vmcnt(0)
	v_fma_f64 v[10:11], v[10:11], v[16:17], -v[18:19]
	v_fma_f64 v[12:13], v[12:13], v[16:17], v[14:15]
	v_add_f64 v[3:4], v[3:4], v[10:11]
	v_add_f64 v[1:2], v[1:2], v[12:13]
	s_andn2_b32 exec_lo, exec_lo, s5
	s_cbranch_execnz .LBB57_201
; %bb.202:
	s_or_b32 exec_lo, exec_lo, s5
	v_mov_b32_e32 v7, 0
	ds_read_b128 v[7:10], v7 offset:752
	s_waitcnt lgkmcnt(0)
	v_mul_f64 v[11:12], v[1:2], v[9:10]
	v_mul_f64 v[9:10], v[3:4], v[9:10]
	v_fma_f64 v[3:4], v[3:4], v[7:8], -v[11:12]
	v_fma_f64 v[1:2], v[1:2], v[7:8], v[9:10]
	buffer_store_dword v4, off, s[0:3], 0 offset:772
	buffer_store_dword v3, off, s[0:3], 0 offset:768
	;; [unrolled: 1-line block ×4, first 2 shown]
.LBB57_203:
	s_or_b32 exec_lo, exec_lo, s4
	v_mov_b32_e32 v4, s19
	s_waitcnt_vscnt null, 0x0
	s_barrier
	buffer_gl0_inv
	s_mov_b32 s4, exec_lo
	s_clause 0x3
	buffer_load_dword v1, v4, s[0:3], 0 offen
	buffer_load_dword v2, v4, s[0:3], 0 offen offset:4
	buffer_load_dword v3, v4, s[0:3], 0 offen offset:8
	;; [unrolled: 1-line block ×3, first 2 shown]
	s_waitcnt vmcnt(0)
	ds_write_b128 v5, v[1:4]
	s_waitcnt lgkmcnt(0)
	s_barrier
	buffer_gl0_inv
	v_cmpx_gt_u32_e32 48, v0
	s_cbranch_execz .LBB57_207
; %bb.204:
	v_mov_b32_e32 v1, 0
	v_mov_b32_e32 v3, 0
	v_add_nc_u32_e32 v7, -1, v0
	v_add_nc_u32_e32 v8, 0x3a0, v241
	v_mov_b32_e32 v2, 0
	v_mov_b32_e32 v4, 0
	v_add_nc_u32_e32 v9, 16, v241
	s_mov_b32 s5, 0
	.p2align	6
.LBB57_205:                             ; =>This Inner Loop Header: Depth=1
	s_clause 0x3
	buffer_load_dword v14, v9, s[0:3], 0 offen offset:8
	buffer_load_dword v15, v9, s[0:3], 0 offen offset:12
	buffer_load_dword v16, v9, s[0:3], 0 offen
	buffer_load_dword v17, v9, s[0:3], 0 offen offset:4
	ds_read_b128 v[10:13], v8
	v_add_nc_u32_e32 v7, 1, v7
	v_add_nc_u32_e32 v8, 16, v8
	;; [unrolled: 1-line block ×3, first 2 shown]
	v_cmp_lt_u32_e32 vcc_lo, 46, v7
	s_or_b32 s5, vcc_lo, s5
	s_waitcnt vmcnt(2) lgkmcnt(0)
	v_mul_f64 v[18:19], v[12:13], v[14:15]
	v_mul_f64 v[14:15], v[10:11], v[14:15]
	s_waitcnt vmcnt(0)
	v_fma_f64 v[10:11], v[10:11], v[16:17], -v[18:19]
	v_fma_f64 v[12:13], v[12:13], v[16:17], v[14:15]
	v_add_f64 v[3:4], v[3:4], v[10:11]
	v_add_f64 v[1:2], v[1:2], v[12:13]
	s_andn2_b32 exec_lo, exec_lo, s5
	s_cbranch_execnz .LBB57_205
; %bb.206:
	s_or_b32 exec_lo, exec_lo, s5
	v_mov_b32_e32 v7, 0
	ds_read_b128 v[7:10], v7 offset:768
	s_waitcnt lgkmcnt(0)
	v_mul_f64 v[11:12], v[1:2], v[9:10]
	v_mul_f64 v[9:10], v[3:4], v[9:10]
	v_fma_f64 v[3:4], v[3:4], v[7:8], -v[11:12]
	v_fma_f64 v[1:2], v[1:2], v[7:8], v[9:10]
	buffer_store_dword v4, off, s[0:3], 0 offset:788
	buffer_store_dword v3, off, s[0:3], 0 offset:784
	;; [unrolled: 1-line block ×4, first 2 shown]
.LBB57_207:
	s_or_b32 exec_lo, exec_lo, s4
	v_mov_b32_e32 v4, s18
	s_waitcnt_vscnt null, 0x0
	s_barrier
	buffer_gl0_inv
	s_mov_b32 s4, exec_lo
	s_clause 0x3
	buffer_load_dword v1, v4, s[0:3], 0 offen
	buffer_load_dword v2, v4, s[0:3], 0 offen offset:4
	buffer_load_dword v3, v4, s[0:3], 0 offen offset:8
	;; [unrolled: 1-line block ×3, first 2 shown]
	s_waitcnt vmcnt(0)
	ds_write_b128 v5, v[1:4]
	s_waitcnt lgkmcnt(0)
	s_barrier
	buffer_gl0_inv
	v_cmpx_gt_u32_e32 49, v0
	s_cbranch_execz .LBB57_211
; %bb.208:
	v_mov_b32_e32 v1, 0
	v_mov_b32_e32 v3, 0
	v_add_nc_u32_e32 v7, -1, v0
	v_add_nc_u32_e32 v8, 0x3a0, v241
	v_mov_b32_e32 v2, 0
	v_mov_b32_e32 v4, 0
	v_add_nc_u32_e32 v9, 16, v241
	s_mov_b32 s5, 0
	.p2align	6
.LBB57_209:                             ; =>This Inner Loop Header: Depth=1
	s_clause 0x3
	buffer_load_dword v14, v9, s[0:3], 0 offen offset:8
	buffer_load_dword v15, v9, s[0:3], 0 offen offset:12
	buffer_load_dword v16, v9, s[0:3], 0 offen
	buffer_load_dword v17, v9, s[0:3], 0 offen offset:4
	ds_read_b128 v[10:13], v8
	v_add_nc_u32_e32 v7, 1, v7
	v_add_nc_u32_e32 v8, 16, v8
	;; [unrolled: 1-line block ×3, first 2 shown]
	v_cmp_lt_u32_e32 vcc_lo, 47, v7
	s_or_b32 s5, vcc_lo, s5
	s_waitcnt vmcnt(2) lgkmcnt(0)
	v_mul_f64 v[18:19], v[12:13], v[14:15]
	v_mul_f64 v[14:15], v[10:11], v[14:15]
	s_waitcnt vmcnt(0)
	v_fma_f64 v[10:11], v[10:11], v[16:17], -v[18:19]
	v_fma_f64 v[12:13], v[12:13], v[16:17], v[14:15]
	v_add_f64 v[3:4], v[3:4], v[10:11]
	v_add_f64 v[1:2], v[1:2], v[12:13]
	s_andn2_b32 exec_lo, exec_lo, s5
	s_cbranch_execnz .LBB57_209
; %bb.210:
	s_or_b32 exec_lo, exec_lo, s5
	v_mov_b32_e32 v7, 0
	ds_read_b128 v[7:10], v7 offset:784
	s_waitcnt lgkmcnt(0)
	v_mul_f64 v[11:12], v[1:2], v[9:10]
	v_mul_f64 v[9:10], v[3:4], v[9:10]
	v_fma_f64 v[3:4], v[3:4], v[7:8], -v[11:12]
	v_fma_f64 v[1:2], v[1:2], v[7:8], v[9:10]
	buffer_store_dword v4, off, s[0:3], 0 offset:804
	buffer_store_dword v3, off, s[0:3], 0 offset:800
	;; [unrolled: 1-line block ×4, first 2 shown]
.LBB57_211:
	s_or_b32 exec_lo, exec_lo, s4
	v_mov_b32_e32 v4, s17
	s_waitcnt_vscnt null, 0x0
	s_barrier
	buffer_gl0_inv
	s_mov_b32 s4, exec_lo
	s_clause 0x3
	buffer_load_dword v1, v4, s[0:3], 0 offen
	buffer_load_dword v2, v4, s[0:3], 0 offen offset:4
	buffer_load_dword v3, v4, s[0:3], 0 offen offset:8
	;; [unrolled: 1-line block ×3, first 2 shown]
	s_waitcnt vmcnt(0)
	ds_write_b128 v5, v[1:4]
	s_waitcnt lgkmcnt(0)
	s_barrier
	buffer_gl0_inv
	v_cmpx_gt_u32_e32 50, v0
	s_cbranch_execz .LBB57_215
; %bb.212:
	v_mov_b32_e32 v1, 0
	v_mov_b32_e32 v3, 0
	v_add_nc_u32_e32 v7, -1, v0
	v_add_nc_u32_e32 v8, 0x3a0, v241
	v_mov_b32_e32 v2, 0
	v_mov_b32_e32 v4, 0
	v_add_nc_u32_e32 v9, 16, v241
	s_mov_b32 s5, 0
	.p2align	6
.LBB57_213:                             ; =>This Inner Loop Header: Depth=1
	s_clause 0x3
	buffer_load_dword v14, v9, s[0:3], 0 offen offset:8
	buffer_load_dword v15, v9, s[0:3], 0 offen offset:12
	buffer_load_dword v16, v9, s[0:3], 0 offen
	buffer_load_dword v17, v9, s[0:3], 0 offen offset:4
	ds_read_b128 v[10:13], v8
	v_add_nc_u32_e32 v7, 1, v7
	v_add_nc_u32_e32 v8, 16, v8
	;; [unrolled: 1-line block ×3, first 2 shown]
	v_cmp_lt_u32_e32 vcc_lo, 48, v7
	s_or_b32 s5, vcc_lo, s5
	s_waitcnt vmcnt(2) lgkmcnt(0)
	v_mul_f64 v[18:19], v[12:13], v[14:15]
	v_mul_f64 v[14:15], v[10:11], v[14:15]
	s_waitcnt vmcnt(0)
	v_fma_f64 v[10:11], v[10:11], v[16:17], -v[18:19]
	v_fma_f64 v[12:13], v[12:13], v[16:17], v[14:15]
	v_add_f64 v[3:4], v[3:4], v[10:11]
	v_add_f64 v[1:2], v[1:2], v[12:13]
	s_andn2_b32 exec_lo, exec_lo, s5
	s_cbranch_execnz .LBB57_213
; %bb.214:
	s_or_b32 exec_lo, exec_lo, s5
	v_mov_b32_e32 v7, 0
	ds_read_b128 v[7:10], v7 offset:800
	s_waitcnt lgkmcnt(0)
	v_mul_f64 v[11:12], v[1:2], v[9:10]
	v_mul_f64 v[9:10], v[3:4], v[9:10]
	v_fma_f64 v[3:4], v[3:4], v[7:8], -v[11:12]
	v_fma_f64 v[1:2], v[1:2], v[7:8], v[9:10]
	buffer_store_dword v4, off, s[0:3], 0 offset:820
	buffer_store_dword v3, off, s[0:3], 0 offset:816
	;; [unrolled: 1-line block ×4, first 2 shown]
.LBB57_215:
	s_or_b32 exec_lo, exec_lo, s4
	v_mov_b32_e32 v4, s16
	s_waitcnt_vscnt null, 0x0
	s_barrier
	buffer_gl0_inv
	s_mov_b32 s4, exec_lo
	s_clause 0x3
	buffer_load_dword v1, v4, s[0:3], 0 offen
	buffer_load_dword v2, v4, s[0:3], 0 offen offset:4
	buffer_load_dword v3, v4, s[0:3], 0 offen offset:8
	;; [unrolled: 1-line block ×3, first 2 shown]
	s_waitcnt vmcnt(0)
	ds_write_b128 v5, v[1:4]
	s_waitcnt lgkmcnt(0)
	s_barrier
	buffer_gl0_inv
	v_cmpx_gt_u32_e32 51, v0
	s_cbranch_execz .LBB57_219
; %bb.216:
	v_mov_b32_e32 v1, 0
	v_mov_b32_e32 v3, 0
	v_add_nc_u32_e32 v7, -1, v0
	v_add_nc_u32_e32 v8, 0x3a0, v241
	v_mov_b32_e32 v2, 0
	v_mov_b32_e32 v4, 0
	v_add_nc_u32_e32 v9, 16, v241
	s_mov_b32 s5, 0
	.p2align	6
.LBB57_217:                             ; =>This Inner Loop Header: Depth=1
	s_clause 0x3
	buffer_load_dword v14, v9, s[0:3], 0 offen offset:8
	buffer_load_dword v15, v9, s[0:3], 0 offen offset:12
	buffer_load_dword v16, v9, s[0:3], 0 offen
	buffer_load_dword v17, v9, s[0:3], 0 offen offset:4
	ds_read_b128 v[10:13], v8
	v_add_nc_u32_e32 v7, 1, v7
	v_add_nc_u32_e32 v8, 16, v8
	;; [unrolled: 1-line block ×3, first 2 shown]
	v_cmp_lt_u32_e32 vcc_lo, 49, v7
	s_or_b32 s5, vcc_lo, s5
	s_waitcnt vmcnt(2) lgkmcnt(0)
	v_mul_f64 v[18:19], v[12:13], v[14:15]
	v_mul_f64 v[14:15], v[10:11], v[14:15]
	s_waitcnt vmcnt(0)
	v_fma_f64 v[10:11], v[10:11], v[16:17], -v[18:19]
	v_fma_f64 v[12:13], v[12:13], v[16:17], v[14:15]
	v_add_f64 v[3:4], v[3:4], v[10:11]
	v_add_f64 v[1:2], v[1:2], v[12:13]
	s_andn2_b32 exec_lo, exec_lo, s5
	s_cbranch_execnz .LBB57_217
; %bb.218:
	s_or_b32 exec_lo, exec_lo, s5
	v_mov_b32_e32 v7, 0
	ds_read_b128 v[7:10], v7 offset:816
	s_waitcnt lgkmcnt(0)
	v_mul_f64 v[11:12], v[1:2], v[9:10]
	v_mul_f64 v[9:10], v[3:4], v[9:10]
	v_fma_f64 v[3:4], v[3:4], v[7:8], -v[11:12]
	v_fma_f64 v[1:2], v[1:2], v[7:8], v[9:10]
	buffer_store_dword v4, off, s[0:3], 0 offset:836
	buffer_store_dword v3, off, s[0:3], 0 offset:832
	;; [unrolled: 1-line block ×4, first 2 shown]
.LBB57_219:
	s_or_b32 exec_lo, exec_lo, s4
	v_mov_b32_e32 v4, s15
	s_waitcnt_vscnt null, 0x0
	s_barrier
	buffer_gl0_inv
	s_mov_b32 s4, exec_lo
	s_clause 0x3
	buffer_load_dword v1, v4, s[0:3], 0 offen
	buffer_load_dword v2, v4, s[0:3], 0 offen offset:4
	buffer_load_dword v3, v4, s[0:3], 0 offen offset:8
	;; [unrolled: 1-line block ×3, first 2 shown]
	s_waitcnt vmcnt(0)
	ds_write_b128 v5, v[1:4]
	s_waitcnt lgkmcnt(0)
	s_barrier
	buffer_gl0_inv
	v_cmpx_gt_u32_e32 52, v0
	s_cbranch_execz .LBB57_223
; %bb.220:
	v_mov_b32_e32 v1, 0
	v_mov_b32_e32 v3, 0
	v_add_nc_u32_e32 v7, -1, v0
	v_add_nc_u32_e32 v8, 0x3a0, v241
	v_mov_b32_e32 v2, 0
	v_mov_b32_e32 v4, 0
	v_add_nc_u32_e32 v9, 16, v241
	s_mov_b32 s5, 0
	.p2align	6
.LBB57_221:                             ; =>This Inner Loop Header: Depth=1
	s_clause 0x3
	buffer_load_dword v14, v9, s[0:3], 0 offen offset:8
	buffer_load_dword v15, v9, s[0:3], 0 offen offset:12
	buffer_load_dword v16, v9, s[0:3], 0 offen
	buffer_load_dword v17, v9, s[0:3], 0 offen offset:4
	ds_read_b128 v[10:13], v8
	v_add_nc_u32_e32 v7, 1, v7
	v_add_nc_u32_e32 v8, 16, v8
	;; [unrolled: 1-line block ×3, first 2 shown]
	v_cmp_lt_u32_e32 vcc_lo, 50, v7
	s_or_b32 s5, vcc_lo, s5
	s_waitcnt vmcnt(2) lgkmcnt(0)
	v_mul_f64 v[18:19], v[12:13], v[14:15]
	v_mul_f64 v[14:15], v[10:11], v[14:15]
	s_waitcnt vmcnt(0)
	v_fma_f64 v[10:11], v[10:11], v[16:17], -v[18:19]
	v_fma_f64 v[12:13], v[12:13], v[16:17], v[14:15]
	v_add_f64 v[3:4], v[3:4], v[10:11]
	v_add_f64 v[1:2], v[1:2], v[12:13]
	s_andn2_b32 exec_lo, exec_lo, s5
	s_cbranch_execnz .LBB57_221
; %bb.222:
	s_or_b32 exec_lo, exec_lo, s5
	v_mov_b32_e32 v7, 0
	ds_read_b128 v[7:10], v7 offset:832
	s_waitcnt lgkmcnt(0)
	v_mul_f64 v[11:12], v[1:2], v[9:10]
	v_mul_f64 v[9:10], v[3:4], v[9:10]
	v_fma_f64 v[3:4], v[3:4], v[7:8], -v[11:12]
	v_fma_f64 v[1:2], v[1:2], v[7:8], v[9:10]
	buffer_store_dword v4, off, s[0:3], 0 offset:852
	buffer_store_dword v3, off, s[0:3], 0 offset:848
	;; [unrolled: 1-line block ×4, first 2 shown]
.LBB57_223:
	s_or_b32 exec_lo, exec_lo, s4
	v_mov_b32_e32 v4, s14
	s_waitcnt_vscnt null, 0x0
	s_barrier
	buffer_gl0_inv
	s_mov_b32 s4, exec_lo
	s_clause 0x3
	buffer_load_dword v1, v4, s[0:3], 0 offen
	buffer_load_dword v2, v4, s[0:3], 0 offen offset:4
	buffer_load_dword v3, v4, s[0:3], 0 offen offset:8
	;; [unrolled: 1-line block ×3, first 2 shown]
	s_waitcnt vmcnt(0)
	ds_write_b128 v5, v[1:4]
	s_waitcnt lgkmcnt(0)
	s_barrier
	buffer_gl0_inv
	v_cmpx_gt_u32_e32 53, v0
	s_cbranch_execz .LBB57_227
; %bb.224:
	v_mov_b32_e32 v1, 0
	v_mov_b32_e32 v3, 0
	v_add_nc_u32_e32 v7, -1, v0
	v_add_nc_u32_e32 v8, 0x3a0, v241
	v_mov_b32_e32 v2, 0
	v_mov_b32_e32 v4, 0
	v_add_nc_u32_e32 v9, 16, v241
	s_mov_b32 s5, 0
	.p2align	6
.LBB57_225:                             ; =>This Inner Loop Header: Depth=1
	s_clause 0x3
	buffer_load_dword v14, v9, s[0:3], 0 offen offset:8
	buffer_load_dword v15, v9, s[0:3], 0 offen offset:12
	buffer_load_dword v16, v9, s[0:3], 0 offen
	buffer_load_dword v17, v9, s[0:3], 0 offen offset:4
	ds_read_b128 v[10:13], v8
	v_add_nc_u32_e32 v7, 1, v7
	v_add_nc_u32_e32 v8, 16, v8
	;; [unrolled: 1-line block ×3, first 2 shown]
	v_cmp_lt_u32_e32 vcc_lo, 51, v7
	s_or_b32 s5, vcc_lo, s5
	s_waitcnt vmcnt(2) lgkmcnt(0)
	v_mul_f64 v[18:19], v[12:13], v[14:15]
	v_mul_f64 v[14:15], v[10:11], v[14:15]
	s_waitcnt vmcnt(0)
	v_fma_f64 v[10:11], v[10:11], v[16:17], -v[18:19]
	v_fma_f64 v[12:13], v[12:13], v[16:17], v[14:15]
	v_add_f64 v[3:4], v[3:4], v[10:11]
	v_add_f64 v[1:2], v[1:2], v[12:13]
	s_andn2_b32 exec_lo, exec_lo, s5
	s_cbranch_execnz .LBB57_225
; %bb.226:
	s_or_b32 exec_lo, exec_lo, s5
	v_mov_b32_e32 v7, 0
	ds_read_b128 v[7:10], v7 offset:848
	s_waitcnt lgkmcnt(0)
	v_mul_f64 v[11:12], v[1:2], v[9:10]
	v_mul_f64 v[9:10], v[3:4], v[9:10]
	v_fma_f64 v[3:4], v[3:4], v[7:8], -v[11:12]
	v_fma_f64 v[1:2], v[1:2], v[7:8], v[9:10]
	buffer_store_dword v4, off, s[0:3], 0 offset:868
	buffer_store_dword v3, off, s[0:3], 0 offset:864
	buffer_store_dword v2, off, s[0:3], 0 offset:876
	buffer_store_dword v1, off, s[0:3], 0 offset:872
.LBB57_227:
	s_or_b32 exec_lo, exec_lo, s4
	v_mov_b32_e32 v4, s13
	s_waitcnt_vscnt null, 0x0
	s_barrier
	buffer_gl0_inv
	s_mov_b32 s4, exec_lo
	s_clause 0x3
	buffer_load_dword v1, v4, s[0:3], 0 offen
	buffer_load_dword v2, v4, s[0:3], 0 offen offset:4
	buffer_load_dword v3, v4, s[0:3], 0 offen offset:8
	;; [unrolled: 1-line block ×3, first 2 shown]
	s_waitcnt vmcnt(0)
	ds_write_b128 v5, v[1:4]
	s_waitcnt lgkmcnt(0)
	s_barrier
	buffer_gl0_inv
	v_cmpx_gt_u32_e32 54, v0
	s_cbranch_execz .LBB57_231
; %bb.228:
	v_mov_b32_e32 v1, 0
	v_mov_b32_e32 v3, 0
	v_add_nc_u32_e32 v7, -1, v0
	v_add_nc_u32_e32 v8, 0x3a0, v241
	v_mov_b32_e32 v2, 0
	v_mov_b32_e32 v4, 0
	v_add_nc_u32_e32 v9, 16, v241
	s_mov_b32 s5, 0
	.p2align	6
.LBB57_229:                             ; =>This Inner Loop Header: Depth=1
	s_clause 0x3
	buffer_load_dword v14, v9, s[0:3], 0 offen offset:8
	buffer_load_dword v15, v9, s[0:3], 0 offen offset:12
	buffer_load_dword v16, v9, s[0:3], 0 offen
	buffer_load_dword v17, v9, s[0:3], 0 offen offset:4
	ds_read_b128 v[10:13], v8
	v_add_nc_u32_e32 v7, 1, v7
	v_add_nc_u32_e32 v8, 16, v8
	;; [unrolled: 1-line block ×3, first 2 shown]
	v_cmp_lt_u32_e32 vcc_lo, 52, v7
	s_or_b32 s5, vcc_lo, s5
	s_waitcnt vmcnt(2) lgkmcnt(0)
	v_mul_f64 v[18:19], v[12:13], v[14:15]
	v_mul_f64 v[14:15], v[10:11], v[14:15]
	s_waitcnt vmcnt(0)
	v_fma_f64 v[10:11], v[10:11], v[16:17], -v[18:19]
	v_fma_f64 v[12:13], v[12:13], v[16:17], v[14:15]
	v_add_f64 v[3:4], v[3:4], v[10:11]
	v_add_f64 v[1:2], v[1:2], v[12:13]
	s_andn2_b32 exec_lo, exec_lo, s5
	s_cbranch_execnz .LBB57_229
; %bb.230:
	s_or_b32 exec_lo, exec_lo, s5
	v_mov_b32_e32 v7, 0
	ds_read_b128 v[7:10], v7 offset:864
	s_waitcnt lgkmcnt(0)
	v_mul_f64 v[11:12], v[1:2], v[9:10]
	v_mul_f64 v[9:10], v[3:4], v[9:10]
	v_fma_f64 v[3:4], v[3:4], v[7:8], -v[11:12]
	v_fma_f64 v[1:2], v[1:2], v[7:8], v[9:10]
	buffer_store_dword v4, off, s[0:3], 0 offset:884
	buffer_store_dword v3, off, s[0:3], 0 offset:880
	;; [unrolled: 1-line block ×4, first 2 shown]
.LBB57_231:
	s_or_b32 exec_lo, exec_lo, s4
	v_mov_b32_e32 v4, s12
	s_waitcnt_vscnt null, 0x0
	s_barrier
	buffer_gl0_inv
	s_mov_b32 s4, exec_lo
	s_clause 0x3
	buffer_load_dword v1, v4, s[0:3], 0 offen
	buffer_load_dword v2, v4, s[0:3], 0 offen offset:4
	buffer_load_dword v3, v4, s[0:3], 0 offen offset:8
	;; [unrolled: 1-line block ×3, first 2 shown]
	s_waitcnt vmcnt(0)
	ds_write_b128 v5, v[1:4]
	s_waitcnt lgkmcnt(0)
	s_barrier
	buffer_gl0_inv
	v_cmpx_gt_u32_e32 55, v0
	s_cbranch_execz .LBB57_235
; %bb.232:
	v_mov_b32_e32 v1, 0
	v_mov_b32_e32 v3, 0
	v_add_nc_u32_e32 v7, -1, v0
	v_add_nc_u32_e32 v8, 0x3a0, v241
	v_mov_b32_e32 v2, 0
	v_mov_b32_e32 v4, 0
	v_add_nc_u32_e32 v9, 16, v241
	s_mov_b32 s5, 0
	.p2align	6
.LBB57_233:                             ; =>This Inner Loop Header: Depth=1
	s_clause 0x3
	buffer_load_dword v14, v9, s[0:3], 0 offen offset:8
	buffer_load_dword v15, v9, s[0:3], 0 offen offset:12
	buffer_load_dword v16, v9, s[0:3], 0 offen
	buffer_load_dword v17, v9, s[0:3], 0 offen offset:4
	ds_read_b128 v[10:13], v8
	v_add_nc_u32_e32 v7, 1, v7
	v_add_nc_u32_e32 v8, 16, v8
	;; [unrolled: 1-line block ×3, first 2 shown]
	v_cmp_lt_u32_e32 vcc_lo, 53, v7
	s_or_b32 s5, vcc_lo, s5
	s_waitcnt vmcnt(2) lgkmcnt(0)
	v_mul_f64 v[18:19], v[12:13], v[14:15]
	v_mul_f64 v[14:15], v[10:11], v[14:15]
	s_waitcnt vmcnt(0)
	v_fma_f64 v[10:11], v[10:11], v[16:17], -v[18:19]
	v_fma_f64 v[12:13], v[12:13], v[16:17], v[14:15]
	v_add_f64 v[3:4], v[3:4], v[10:11]
	v_add_f64 v[1:2], v[1:2], v[12:13]
	s_andn2_b32 exec_lo, exec_lo, s5
	s_cbranch_execnz .LBB57_233
; %bb.234:
	s_or_b32 exec_lo, exec_lo, s5
	v_mov_b32_e32 v7, 0
	ds_read_b128 v[7:10], v7 offset:880
	s_waitcnt lgkmcnt(0)
	v_mul_f64 v[11:12], v[1:2], v[9:10]
	v_mul_f64 v[9:10], v[3:4], v[9:10]
	v_fma_f64 v[3:4], v[3:4], v[7:8], -v[11:12]
	v_fma_f64 v[1:2], v[1:2], v[7:8], v[9:10]
	buffer_store_dword v4, off, s[0:3], 0 offset:900
	buffer_store_dword v3, off, s[0:3], 0 offset:896
	;; [unrolled: 1-line block ×4, first 2 shown]
.LBB57_235:
	s_or_b32 exec_lo, exec_lo, s4
	v_mov_b32_e32 v4, s9
	s_waitcnt_vscnt null, 0x0
	s_barrier
	buffer_gl0_inv
	s_mov_b32 s4, exec_lo
	s_clause 0x3
	buffer_load_dword v1, v4, s[0:3], 0 offen
	buffer_load_dword v2, v4, s[0:3], 0 offen offset:4
	buffer_load_dword v3, v4, s[0:3], 0 offen offset:8
	;; [unrolled: 1-line block ×3, first 2 shown]
	s_waitcnt vmcnt(0)
	ds_write_b128 v5, v[1:4]
	s_waitcnt lgkmcnt(0)
	s_barrier
	buffer_gl0_inv
	v_cmpx_gt_u32_e32 56, v0
	s_cbranch_execz .LBB57_239
; %bb.236:
	v_mov_b32_e32 v1, 0
	v_mov_b32_e32 v3, 0
	v_add_nc_u32_e32 v7, -1, v0
	v_add_nc_u32_e32 v8, 0x3a0, v241
	v_mov_b32_e32 v2, 0
	v_mov_b32_e32 v4, 0
	v_add_nc_u32_e32 v9, 16, v241
	s_mov_b32 s5, 0
	.p2align	6
.LBB57_237:                             ; =>This Inner Loop Header: Depth=1
	s_clause 0x3
	buffer_load_dword v14, v9, s[0:3], 0 offen offset:8
	buffer_load_dword v15, v9, s[0:3], 0 offen offset:12
	buffer_load_dword v16, v9, s[0:3], 0 offen
	buffer_load_dword v17, v9, s[0:3], 0 offen offset:4
	ds_read_b128 v[10:13], v8
	v_add_nc_u32_e32 v7, 1, v7
	v_add_nc_u32_e32 v8, 16, v8
	v_add_nc_u32_e32 v9, 16, v9
	v_cmp_lt_u32_e32 vcc_lo, 54, v7
	s_or_b32 s5, vcc_lo, s5
	s_waitcnt vmcnt(2) lgkmcnt(0)
	v_mul_f64 v[18:19], v[12:13], v[14:15]
	v_mul_f64 v[14:15], v[10:11], v[14:15]
	s_waitcnt vmcnt(0)
	v_fma_f64 v[10:11], v[10:11], v[16:17], -v[18:19]
	v_fma_f64 v[12:13], v[12:13], v[16:17], v[14:15]
	v_add_f64 v[3:4], v[3:4], v[10:11]
	v_add_f64 v[1:2], v[1:2], v[12:13]
	s_andn2_b32 exec_lo, exec_lo, s5
	s_cbranch_execnz .LBB57_237
; %bb.238:
	s_or_b32 exec_lo, exec_lo, s5
	v_mov_b32_e32 v7, 0
	ds_read_b128 v[7:10], v7 offset:896
	s_waitcnt lgkmcnt(0)
	v_mul_f64 v[11:12], v[1:2], v[9:10]
	v_mul_f64 v[9:10], v[3:4], v[9:10]
	v_fma_f64 v[3:4], v[3:4], v[7:8], -v[11:12]
	v_fma_f64 v[1:2], v[1:2], v[7:8], v[9:10]
	buffer_store_dword v4, off, s[0:3], 0 offset:916
	buffer_store_dword v3, off, s[0:3], 0 offset:912
	;; [unrolled: 1-line block ×4, first 2 shown]
.LBB57_239:
	s_or_b32 exec_lo, exec_lo, s4
	v_mov_b32_e32 v4, s8
	s_waitcnt_vscnt null, 0x0
	s_barrier
	buffer_gl0_inv
	s_mov_b32 s4, exec_lo
	s_clause 0x3
	buffer_load_dword v1, v4, s[0:3], 0 offen
	buffer_load_dword v2, v4, s[0:3], 0 offen offset:4
	buffer_load_dword v3, v4, s[0:3], 0 offen offset:8
	;; [unrolled: 1-line block ×3, first 2 shown]
	s_waitcnt vmcnt(0)
	ds_write_b128 v5, v[1:4]
	s_waitcnt lgkmcnt(0)
	s_barrier
	buffer_gl0_inv
	v_cmpx_ne_u32_e32 57, v0
	s_cbranch_execz .LBB57_243
; %bb.240:
	v_mov_b32_e32 v1, 0
	v_mov_b32_e32 v3, 0
	;; [unrolled: 1-line block ×4, first 2 shown]
	v_add_nc_u32_e32 v7, 16, v241
	s_mov_b32 s5, 0
	.p2align	6
.LBB57_241:                             ; =>This Inner Loop Header: Depth=1
	s_clause 0x3
	buffer_load_dword v12, v7, s[0:3], 0 offen offset:8
	buffer_load_dword v13, v7, s[0:3], 0 offen offset:12
	buffer_load_dword v14, v7, s[0:3], 0 offen
	buffer_load_dword v15, v7, s[0:3], 0 offen offset:4
	ds_read_b128 v[8:11], v5
	v_add_nc_u32_e32 v6, 1, v6
	v_add_nc_u32_e32 v5, 16, v5
	;; [unrolled: 1-line block ×3, first 2 shown]
	v_cmp_lt_u32_e32 vcc_lo, 55, v6
	s_or_b32 s5, vcc_lo, s5
	s_waitcnt vmcnt(2) lgkmcnt(0)
	v_mul_f64 v[16:17], v[10:11], v[12:13]
	v_mul_f64 v[12:13], v[8:9], v[12:13]
	s_waitcnt vmcnt(0)
	v_fma_f64 v[8:9], v[8:9], v[14:15], -v[16:17]
	v_fma_f64 v[10:11], v[10:11], v[14:15], v[12:13]
	v_add_f64 v[3:4], v[3:4], v[8:9]
	v_add_f64 v[1:2], v[1:2], v[10:11]
	s_andn2_b32 exec_lo, exec_lo, s5
	s_cbranch_execnz .LBB57_241
; %bb.242:
	s_or_b32 exec_lo, exec_lo, s5
	v_mov_b32_e32 v5, 0
	ds_read_b128 v[5:8], v5 offset:912
	s_waitcnt lgkmcnt(0)
	v_mul_f64 v[9:10], v[1:2], v[7:8]
	v_mul_f64 v[7:8], v[3:4], v[7:8]
	v_fma_f64 v[3:4], v[3:4], v[5:6], -v[9:10]
	v_fma_f64 v[1:2], v[1:2], v[5:6], v[7:8]
	buffer_store_dword v4, off, s[0:3], 0 offset:932
	buffer_store_dword v3, off, s[0:3], 0 offset:928
	;; [unrolled: 1-line block ×4, first 2 shown]
.LBB57_243:
	s_or_b32 exec_lo, exec_lo, s4
	s_mov_b32 s5, -1
	s_waitcnt_vscnt null, 0x0
	s_barrier
	buffer_gl0_inv
.LBB57_244:
	s_and_b32 vcc_lo, exec_lo, s5
	s_cbranch_vccz .LBB57_246
; %bb.245:
	s_lshl_b64 s[4:5], s[6:7], 2
	v_mov_b32_e32 v1, 0
	s_add_u32 s4, s10, s4
	s_addc_u32 s5, s11, s5
	global_load_dword v1, v1, s[4:5]
	s_waitcnt vmcnt(0)
	v_cmp_ne_u32_e32 vcc_lo, 0, v1
	s_cbranch_vccz .LBB57_247
.LBB57_246:
	s_endpgm
.LBB57_247:
	v_lshl_add_u32 v63, v0, 4, 0x3a0
	s_mov_b32 s4, exec_lo
	v_cmpx_eq_u32_e32 57, v0
	s_cbranch_execz .LBB57_249
; %bb.248:
	v_mov_b32_e32 v4, s9
	v_mov_b32_e32 v5, 0
	s_clause 0x3
	buffer_load_dword v1, v4, s[0:3], 0 offen
	buffer_load_dword v2, v4, s[0:3], 0 offen offset:4
	buffer_load_dword v3, v4, s[0:3], 0 offen offset:8
	;; [unrolled: 1-line block ×3, first 2 shown]
	buffer_store_dword v5, off, s[0:3], 0 offset:912
	buffer_store_dword v5, off, s[0:3], 0 offset:916
	;; [unrolled: 1-line block ×4, first 2 shown]
	s_waitcnt vmcnt(0)
	ds_write_b128 v63, v[1:4]
.LBB57_249:
	s_or_b32 exec_lo, exec_lo, s4
	s_waitcnt lgkmcnt(0)
	s_waitcnt_vscnt null, 0x0
	s_barrier
	buffer_gl0_inv
	s_clause 0x7
	buffer_load_dword v6, off, s[0:3], 0 offset:936
	buffer_load_dword v7, off, s[0:3], 0 offset:940
	;; [unrolled: 1-line block ×8, first 2 shown]
	v_mov_b32_e32 v1, 0
	s_mov_b32 s4, exec_lo
	ds_read_b128 v[2:5], v1 offset:1840
	s_waitcnt vmcnt(6) lgkmcnt(0)
	v_mul_f64 v[14:15], v[4:5], v[6:7]
	v_mul_f64 v[6:7], v[2:3], v[6:7]
	s_waitcnt vmcnt(4)
	v_fma_f64 v[2:3], v[2:3], v[8:9], -v[14:15]
	v_fma_f64 v[4:5], v[4:5], v[8:9], v[6:7]
	v_add_f64 v[2:3], v[2:3], 0
	v_add_f64 v[4:5], v[4:5], 0
	s_waitcnt vmcnt(2)
	v_add_f64 v[2:3], v[10:11], -v[2:3]
	s_waitcnt vmcnt(0)
	v_add_f64 v[4:5], v[12:13], -v[4:5]
	buffer_store_dword v2, off, s[0:3], 0 offset:912
	buffer_store_dword v3, off, s[0:3], 0 offset:916
	;; [unrolled: 1-line block ×4, first 2 shown]
	v_cmpx_lt_u32_e32 55, v0
	s_cbranch_execz .LBB57_251
; %bb.250:
	v_mov_b32_e32 v5, s12
	s_clause 0x3
	buffer_load_dword v2, v5, s[0:3], 0 offen
	buffer_load_dword v3, v5, s[0:3], 0 offen offset:4
	buffer_load_dword v4, v5, s[0:3], 0 offen offset:8
	;; [unrolled: 1-line block ×3, first 2 shown]
	buffer_store_dword v1, off, s[0:3], 0 offset:896
	buffer_store_dword v1, off, s[0:3], 0 offset:900
	buffer_store_dword v1, off, s[0:3], 0 offset:904
	buffer_store_dword v1, off, s[0:3], 0 offset:908
	s_waitcnt vmcnt(0)
	ds_write_b128 v63, v[2:5]
.LBB57_251:
	s_or_b32 exec_lo, exec_lo, s4
	s_waitcnt lgkmcnt(0)
	s_waitcnt_vscnt null, 0x0
	s_barrier
	buffer_gl0_inv
	s_clause 0xb
	buffer_load_dword v10, off, s[0:3], 0 offset:920
	buffer_load_dword v11, off, s[0:3], 0 offset:924
	;; [unrolled: 1-line block ×12, first 2 shown]
	ds_read_b128 v[2:5], v1 offset:1824
	ds_read_b128 v[6:9], v1 offset:1840
	s_mov_b32 s4, exec_lo
	s_waitcnt vmcnt(10) lgkmcnt(1)
	v_mul_f64 v[22:23], v[4:5], v[10:11]
	v_mul_f64 v[10:11], v[2:3], v[10:11]
	s_waitcnt vmcnt(8) lgkmcnt(0)
	v_mul_f64 v[24:25], v[8:9], v[12:13]
	v_mul_f64 v[12:13], v[6:7], v[12:13]
	s_waitcnt vmcnt(6)
	v_fma_f64 v[1:2], v[2:3], v[14:15], -v[22:23]
	v_fma_f64 v[3:4], v[4:5], v[14:15], v[10:11]
	s_waitcnt vmcnt(4)
	v_fma_f64 v[5:6], v[6:7], v[16:17], -v[24:25]
	v_fma_f64 v[7:8], v[8:9], v[16:17], v[12:13]
	v_add_f64 v[1:2], v[1:2], 0
	v_add_f64 v[3:4], v[3:4], 0
	v_add_f64 v[1:2], v[1:2], v[5:6]
	v_add_f64 v[3:4], v[3:4], v[7:8]
	s_waitcnt vmcnt(2)
	v_add_f64 v[1:2], v[18:19], -v[1:2]
	s_waitcnt vmcnt(0)
	v_add_f64 v[3:4], v[20:21], -v[3:4]
	buffer_store_dword v1, off, s[0:3], 0 offset:896
	buffer_store_dword v2, off, s[0:3], 0 offset:900
	;; [unrolled: 1-line block ×4, first 2 shown]
	v_cmpx_lt_u32_e32 54, v0
	s_cbranch_execz .LBB57_253
; %bb.252:
	v_mov_b32_e32 v4, s13
	v_mov_b32_e32 v5, 0
	s_clause 0x3
	buffer_load_dword v1, v4, s[0:3], 0 offen
	buffer_load_dword v2, v4, s[0:3], 0 offen offset:4
	buffer_load_dword v3, v4, s[0:3], 0 offen offset:8
	;; [unrolled: 1-line block ×3, first 2 shown]
	buffer_store_dword v5, off, s[0:3], 0 offset:880
	buffer_store_dword v5, off, s[0:3], 0 offset:884
	;; [unrolled: 1-line block ×4, first 2 shown]
	s_waitcnt vmcnt(0)
	ds_write_b128 v63, v[1:4]
.LBB57_253:
	s_or_b32 exec_lo, exec_lo, s4
	s_waitcnt lgkmcnt(0)
	s_waitcnt_vscnt null, 0x0
	s_barrier
	buffer_gl0_inv
	s_clause 0xf
	buffer_load_dword v10, off, s[0:3], 0 offset:904
	buffer_load_dword v11, off, s[0:3], 0 offset:908
	;; [unrolled: 1-line block ×16, first 2 shown]
	v_mov_b32_e32 v1, 0
	ds_read_b128 v[2:5], v1 offset:1808
	ds_read_b128 v[6:9], v1 offset:1824
	s_mov_b32 s4, exec_lo
	s_waitcnt vmcnt(14) lgkmcnt(1)
	v_mul_f64 v[28:29], v[4:5], v[10:11]
	v_mul_f64 v[30:31], v[2:3], v[10:11]
	s_waitcnt vmcnt(12) lgkmcnt(0)
	v_mul_f64 v[32:33], v[8:9], v[14:15]
	ds_read_b128 v[10:13], v1 offset:1840
	v_mul_f64 v[14:15], v[6:7], v[14:15]
	s_waitcnt vmcnt(10)
	v_fma_f64 v[2:3], v[2:3], v[16:17], -v[28:29]
	v_fma_f64 v[4:5], v[4:5], v[16:17], v[30:31]
	s_waitcnt vmcnt(8) lgkmcnt(0)
	v_mul_f64 v[16:17], v[10:11], v[18:19]
	v_mul_f64 v[18:19], v[12:13], v[18:19]
	s_waitcnt vmcnt(6)
	v_fma_f64 v[6:7], v[6:7], v[20:21], -v[32:33]
	v_fma_f64 v[8:9], v[8:9], v[20:21], v[14:15]
	v_add_f64 v[2:3], v[2:3], 0
	v_add_f64 v[4:5], v[4:5], 0
	s_waitcnt vmcnt(4)
	v_fma_f64 v[10:11], v[10:11], v[22:23], -v[18:19]
	v_add_f64 v[2:3], v[2:3], v[6:7]
	v_fma_f64 v[6:7], v[12:13], v[22:23], v[16:17]
	v_add_f64 v[4:5], v[4:5], v[8:9]
	v_add_f64 v[2:3], v[2:3], v[10:11]
	;; [unrolled: 1-line block ×3, first 2 shown]
	s_waitcnt vmcnt(2)
	v_add_f64 v[2:3], v[24:25], -v[2:3]
	s_waitcnt vmcnt(0)
	v_add_f64 v[4:5], v[26:27], -v[4:5]
	buffer_store_dword v2, off, s[0:3], 0 offset:880
	buffer_store_dword v3, off, s[0:3], 0 offset:884
	;; [unrolled: 1-line block ×4, first 2 shown]
	v_cmpx_lt_u32_e32 53, v0
	s_cbranch_execz .LBB57_255
; %bb.254:
	v_mov_b32_e32 v5, s14
	s_clause 0x3
	buffer_load_dword v2, v5, s[0:3], 0 offen
	buffer_load_dword v3, v5, s[0:3], 0 offen offset:4
	buffer_load_dword v4, v5, s[0:3], 0 offen offset:8
	;; [unrolled: 1-line block ×3, first 2 shown]
	buffer_store_dword v1, off, s[0:3], 0 offset:864
	buffer_store_dword v1, off, s[0:3], 0 offset:868
	;; [unrolled: 1-line block ×4, first 2 shown]
	s_waitcnt vmcnt(0)
	ds_write_b128 v63, v[2:5]
.LBB57_255:
	s_or_b32 exec_lo, exec_lo, s4
	s_waitcnt lgkmcnt(0)
	s_waitcnt_vscnt null, 0x0
	s_barrier
	buffer_gl0_inv
	s_clause 0x13
	buffer_load_dword v10, off, s[0:3], 0 offset:888
	buffer_load_dword v11, off, s[0:3], 0 offset:892
	;; [unrolled: 1-line block ×20, first 2 shown]
	ds_read_b128 v[2:5], v1 offset:1792
	ds_read_b128 v[6:9], v1 offset:1808
	s_mov_b32 s4, exec_lo
	s_waitcnt vmcnt(18) lgkmcnt(1)
	v_mul_f64 v[32:33], v[4:5], v[10:11]
	v_mul_f64 v[34:35], v[2:3], v[10:11]
	s_waitcnt vmcnt(16) lgkmcnt(0)
	v_mul_f64 v[36:37], v[8:9], v[14:15]
	ds_read_b128 v[10:13], v1 offset:1824
	v_mul_f64 v[14:15], v[6:7], v[14:15]
	s_waitcnt vmcnt(14)
	v_fma_f64 v[32:33], v[2:3], v[16:17], -v[32:33]
	v_fma_f64 v[16:17], v[4:5], v[16:17], v[34:35]
	s_waitcnt vmcnt(12) lgkmcnt(0)
	v_mul_f64 v[34:35], v[10:11], v[18:19]
	v_mul_f64 v[18:19], v[12:13], v[18:19]
	s_waitcnt vmcnt(10)
	v_fma_f64 v[5:6], v[6:7], v[20:21], -v[36:37]
	ds_read_b128 v[1:4], v1 offset:1840
	v_fma_f64 v[7:8], v[8:9], v[20:21], v[14:15]
	v_add_f64 v[32:33], v[32:33], 0
	v_add_f64 v[14:15], v[16:17], 0
	s_waitcnt vmcnt(8) lgkmcnt(0)
	v_mul_f64 v[20:21], v[3:4], v[22:23]
	s_waitcnt vmcnt(6)
	v_fma_f64 v[9:10], v[10:11], v[24:25], -v[18:19]
	v_mul_f64 v[16:17], v[1:2], v[22:23]
	v_fma_f64 v[11:12], v[12:13], v[24:25], v[34:35]
	v_add_f64 v[5:6], v[32:33], v[5:6]
	v_add_f64 v[7:8], v[14:15], v[7:8]
	s_waitcnt vmcnt(4)
	v_fma_f64 v[1:2], v[1:2], v[26:27], -v[20:21]
	v_fma_f64 v[3:4], v[3:4], v[26:27], v[16:17]
	v_add_f64 v[5:6], v[5:6], v[9:10]
	v_add_f64 v[7:8], v[7:8], v[11:12]
	;; [unrolled: 1-line block ×4, first 2 shown]
	s_waitcnt vmcnt(2)
	v_add_f64 v[1:2], v[28:29], -v[1:2]
	s_waitcnt vmcnt(0)
	v_add_f64 v[3:4], v[30:31], -v[3:4]
	buffer_store_dword v1, off, s[0:3], 0 offset:864
	buffer_store_dword v2, off, s[0:3], 0 offset:868
	buffer_store_dword v3, off, s[0:3], 0 offset:872
	buffer_store_dword v4, off, s[0:3], 0 offset:876
	v_cmpx_lt_u32_e32 52, v0
	s_cbranch_execz .LBB57_257
; %bb.256:
	v_mov_b32_e32 v4, s15
	v_mov_b32_e32 v5, 0
	s_clause 0x3
	buffer_load_dword v1, v4, s[0:3], 0 offen
	buffer_load_dword v2, v4, s[0:3], 0 offen offset:4
	buffer_load_dword v3, v4, s[0:3], 0 offen offset:8
	;; [unrolled: 1-line block ×3, first 2 shown]
	buffer_store_dword v5, off, s[0:3], 0 offset:848
	buffer_store_dword v5, off, s[0:3], 0 offset:852
	;; [unrolled: 1-line block ×4, first 2 shown]
	s_waitcnt vmcnt(0)
	ds_write_b128 v63, v[1:4]
.LBB57_257:
	s_or_b32 exec_lo, exec_lo, s4
	s_waitcnt lgkmcnt(0)
	s_waitcnt_vscnt null, 0x0
	s_barrier
	buffer_gl0_inv
	s_clause 0x17
	buffer_load_dword v10, off, s[0:3], 0 offset:872
	buffer_load_dword v11, off, s[0:3], 0 offset:876
	;; [unrolled: 1-line block ×24, first 2 shown]
	v_mov_b32_e32 v1, 0
	ds_read_b128 v[2:5], v1 offset:1776
	ds_read_b128 v[6:9], v1 offset:1792
	s_mov_b32 s4, exec_lo
	s_waitcnt vmcnt(22) lgkmcnt(1)
	v_mul_f64 v[36:37], v[4:5], v[10:11]
	v_mul_f64 v[38:39], v[2:3], v[10:11]
	s_waitcnt vmcnt(20) lgkmcnt(0)
	v_mul_f64 v[40:41], v[8:9], v[14:15]
	ds_read_b128 v[10:13], v1 offset:1808
	v_mul_f64 v[14:15], v[6:7], v[14:15]
	s_waitcnt vmcnt(18)
	v_fma_f64 v[36:37], v[2:3], v[16:17], -v[36:37]
	v_fma_f64 v[16:17], v[4:5], v[16:17], v[38:39]
	ds_read_b128 v[2:5], v1 offset:1824
	s_waitcnt vmcnt(16) lgkmcnt(1)
	v_mul_f64 v[38:39], v[10:11], v[18:19]
	v_mul_f64 v[18:19], v[12:13], v[18:19]
	s_waitcnt vmcnt(14)
	v_fma_f64 v[40:41], v[6:7], v[20:21], -v[40:41]
	v_fma_f64 v[14:15], v[8:9], v[20:21], v[14:15]
	ds_read_b128 v[6:9], v1 offset:1840
	s_waitcnt vmcnt(10) lgkmcnt(1)
	v_mul_f64 v[20:21], v[2:3], v[22:23]
	v_add_f64 v[36:37], v[36:37], 0
	v_add_f64 v[16:17], v[16:17], 0
	v_mul_f64 v[22:23], v[4:5], v[22:23]
	s_waitcnt vmcnt(8)
	v_fma_f64 v[10:11], v[10:11], v[28:29], -v[18:19]
	v_fma_f64 v[12:13], v[12:13], v[28:29], v[38:39]
	s_waitcnt vmcnt(5)
	v_fma_f64 v[4:5], v[4:5], v[30:31], v[20:21]
	v_add_f64 v[18:19], v[36:37], v[40:41]
	v_add_f64 v[14:15], v[16:17], v[14:15]
	s_waitcnt lgkmcnt(0)
	v_mul_f64 v[16:17], v[6:7], v[24:25]
	v_mul_f64 v[24:25], v[8:9], v[24:25]
	v_fma_f64 v[2:3], v[2:3], v[30:31], -v[22:23]
	v_add_f64 v[10:11], v[18:19], v[10:11]
	v_add_f64 v[12:13], v[14:15], v[12:13]
	s_waitcnt vmcnt(4)
	v_fma_f64 v[8:9], v[8:9], v[26:27], v[16:17]
	v_fma_f64 v[6:7], v[6:7], v[26:27], -v[24:25]
	v_add_f64 v[2:3], v[10:11], v[2:3]
	v_add_f64 v[4:5], v[12:13], v[4:5]
	;; [unrolled: 1-line block ×4, first 2 shown]
	s_waitcnt vmcnt(2)
	v_add_f64 v[2:3], v[32:33], -v[2:3]
	s_waitcnt vmcnt(0)
	v_add_f64 v[4:5], v[34:35], -v[4:5]
	buffer_store_dword v3, off, s[0:3], 0 offset:852
	buffer_store_dword v2, off, s[0:3], 0 offset:848
	;; [unrolled: 1-line block ×4, first 2 shown]
	v_cmpx_lt_u32_e32 51, v0
	s_cbranch_execz .LBB57_259
; %bb.258:
	v_mov_b32_e32 v5, s16
	s_clause 0x3
	buffer_load_dword v2, v5, s[0:3], 0 offen
	buffer_load_dword v3, v5, s[0:3], 0 offen offset:4
	buffer_load_dword v4, v5, s[0:3], 0 offen offset:8
	;; [unrolled: 1-line block ×3, first 2 shown]
	buffer_store_dword v1, off, s[0:3], 0 offset:832
	buffer_store_dword v1, off, s[0:3], 0 offset:836
	;; [unrolled: 1-line block ×4, first 2 shown]
	s_waitcnt vmcnt(0)
	ds_write_b128 v63, v[2:5]
.LBB57_259:
	s_or_b32 exec_lo, exec_lo, s4
	s_waitcnt lgkmcnt(0)
	s_waitcnt_vscnt null, 0x0
	s_barrier
	buffer_gl0_inv
	s_clause 0x1b
	buffer_load_dword v10, off, s[0:3], 0 offset:856
	buffer_load_dword v11, off, s[0:3], 0 offset:860
	;; [unrolled: 1-line block ×28, first 2 shown]
	ds_read_b128 v[2:5], v1 offset:1760
	ds_read_b128 v[6:9], v1 offset:1776
	s_mov_b32 s4, exec_lo
	s_waitcnt vmcnt(26) lgkmcnt(1)
	v_mul_f64 v[40:41], v[4:5], v[10:11]
	v_mul_f64 v[42:43], v[2:3], v[10:11]
	s_waitcnt vmcnt(24) lgkmcnt(0)
	v_mul_f64 v[44:45], v[8:9], v[14:15]
	ds_read_b128 v[10:13], v1 offset:1792
	v_mul_f64 v[14:15], v[6:7], v[14:15]
	s_waitcnt vmcnt(22)
	v_fma_f64 v[40:41], v[2:3], v[16:17], -v[40:41]
	v_fma_f64 v[16:17], v[4:5], v[16:17], v[42:43]
	ds_read_b128 v[2:5], v1 offset:1808
	s_waitcnt vmcnt(20) lgkmcnt(1)
	v_mul_f64 v[42:43], v[10:11], v[18:19]
	v_mul_f64 v[18:19], v[12:13], v[18:19]
	s_waitcnt vmcnt(18)
	v_fma_f64 v[44:45], v[6:7], v[20:21], -v[44:45]
	v_fma_f64 v[14:15], v[8:9], v[20:21], v[14:15]
	ds_read_b128 v[6:9], v1 offset:1824
	s_waitcnt vmcnt(14) lgkmcnt(1)
	v_mul_f64 v[20:21], v[2:3], v[22:23]
	v_add_f64 v[40:41], v[40:41], 0
	v_add_f64 v[16:17], v[16:17], 0
	v_mul_f64 v[22:23], v[4:5], v[22:23]
	s_waitcnt vmcnt(12)
	v_fma_f64 v[18:19], v[10:11], v[28:29], -v[18:19]
	v_fma_f64 v[28:29], v[12:13], v[28:29], v[42:43]
	ds_read_b128 v[10:13], v1 offset:1840
	v_add_f64 v[40:41], v[40:41], v[44:45]
	v_add_f64 v[14:15], v[16:17], v[14:15]
	s_waitcnt vmcnt(11) lgkmcnt(1)
	v_mul_f64 v[16:17], v[6:7], v[24:25]
	v_mul_f64 v[24:25], v[8:9], v[24:25]
	s_waitcnt vmcnt(9)
	v_fma_f64 v[1:2], v[2:3], v[30:31], -v[22:23]
	v_fma_f64 v[3:4], v[4:5], v[30:31], v[20:21]
	s_waitcnt vmcnt(7) lgkmcnt(0)
	v_mul_f64 v[22:23], v[12:13], v[32:33]
	v_mul_f64 v[20:21], v[10:11], v[32:33]
	v_add_f64 v[18:19], v[40:41], v[18:19]
	v_add_f64 v[14:15], v[14:15], v[28:29]
	s_waitcnt vmcnt(6)
	v_fma_f64 v[5:6], v[6:7], v[26:27], -v[24:25]
	v_fma_f64 v[7:8], v[8:9], v[26:27], v[16:17]
	s_waitcnt vmcnt(4)
	v_fma_f64 v[9:10], v[10:11], v[34:35], -v[22:23]
	v_add_f64 v[1:2], v[18:19], v[1:2]
	v_add_f64 v[3:4], v[14:15], v[3:4]
	;; [unrolled: 1-line block ×3, first 2 shown]
	v_fma_f64 v[5:6], v[12:13], v[34:35], v[20:21]
	v_add_f64 v[3:4], v[3:4], v[7:8]
	v_add_f64 v[1:2], v[1:2], v[9:10]
	;; [unrolled: 1-line block ×3, first 2 shown]
	s_waitcnt vmcnt(2)
	v_add_f64 v[1:2], v[36:37], -v[1:2]
	s_waitcnt vmcnt(0)
	v_add_f64 v[3:4], v[38:39], -v[3:4]
	buffer_store_dword v2, off, s[0:3], 0 offset:836
	buffer_store_dword v1, off, s[0:3], 0 offset:832
	buffer_store_dword v4, off, s[0:3], 0 offset:844
	buffer_store_dword v3, off, s[0:3], 0 offset:840
	v_cmpx_lt_u32_e32 50, v0
	s_cbranch_execz .LBB57_261
; %bb.260:
	v_mov_b32_e32 v4, s17
	v_mov_b32_e32 v5, 0
	s_clause 0x3
	buffer_load_dword v1, v4, s[0:3], 0 offen
	buffer_load_dword v2, v4, s[0:3], 0 offen offset:4
	buffer_load_dword v3, v4, s[0:3], 0 offen offset:8
	;; [unrolled: 1-line block ×3, first 2 shown]
	buffer_store_dword v5, off, s[0:3], 0 offset:816
	buffer_store_dword v5, off, s[0:3], 0 offset:820
	;; [unrolled: 1-line block ×4, first 2 shown]
	s_waitcnt vmcnt(0)
	ds_write_b128 v63, v[1:4]
.LBB57_261:
	s_or_b32 exec_lo, exec_lo, s4
	s_waitcnt lgkmcnt(0)
	s_waitcnt_vscnt null, 0x0
	s_barrier
	buffer_gl0_inv
	s_clause 0x1f
	buffer_load_dword v10, off, s[0:3], 0 offset:840
	buffer_load_dword v11, off, s[0:3], 0 offset:844
	;; [unrolled: 1-line block ×32, first 2 shown]
	v_mov_b32_e32 v1, 0
	ds_read_b128 v[2:5], v1 offset:1744
	ds_read_b128 v[6:9], v1 offset:1760
	s_mov_b32 s4, exec_lo
	s_waitcnt vmcnt(30) lgkmcnt(1)
	v_mul_f64 v[44:45], v[4:5], v[10:11]
	v_mul_f64 v[46:47], v[2:3], v[10:11]
	s_waitcnt vmcnt(28) lgkmcnt(0)
	v_mul_f64 v[48:49], v[8:9], v[14:15]
	ds_read_b128 v[10:13], v1 offset:1776
	v_mul_f64 v[14:15], v[6:7], v[14:15]
	s_waitcnt vmcnt(26)
	v_fma_f64 v[44:45], v[2:3], v[16:17], -v[44:45]
	v_fma_f64 v[16:17], v[4:5], v[16:17], v[46:47]
	ds_read_b128 v[2:5], v1 offset:1792
	s_waitcnt vmcnt(24) lgkmcnt(1)
	v_mul_f64 v[46:47], v[10:11], v[18:19]
	v_mul_f64 v[18:19], v[12:13], v[18:19]
	s_waitcnt vmcnt(22)
	v_fma_f64 v[48:49], v[6:7], v[20:21], -v[48:49]
	v_fma_f64 v[14:15], v[8:9], v[20:21], v[14:15]
	ds_read_b128 v[6:9], v1 offset:1808
	s_waitcnt vmcnt(18) lgkmcnt(1)
	v_mul_f64 v[20:21], v[2:3], v[22:23]
	v_add_f64 v[44:45], v[44:45], 0
	v_add_f64 v[16:17], v[16:17], 0
	v_mul_f64 v[22:23], v[4:5], v[22:23]
	s_waitcnt vmcnt(16)
	v_fma_f64 v[18:19], v[10:11], v[28:29], -v[18:19]
	v_fma_f64 v[28:29], v[12:13], v[28:29], v[46:47]
	ds_read_b128 v[10:13], v1 offset:1824
	s_waitcnt vmcnt(13)
	v_fma_f64 v[20:21], v[4:5], v[30:31], v[20:21]
	v_add_f64 v[44:45], v[44:45], v[48:49]
	v_add_f64 v[14:15], v[16:17], v[14:15]
	s_waitcnt lgkmcnt(1)
	v_mul_f64 v[16:17], v[6:7], v[24:25]
	v_mul_f64 v[24:25], v[8:9], v[24:25]
	v_fma_f64 v[22:23], v[2:3], v[30:31], -v[22:23]
	s_waitcnt vmcnt(9) lgkmcnt(0)
	v_mul_f64 v[30:31], v[12:13], v[32:33]
	ds_read_b128 v[2:5], v1 offset:1840
	v_add_f64 v[18:19], v[44:45], v[18:19]
	v_add_f64 v[14:15], v[14:15], v[28:29]
	v_mul_f64 v[28:29], v[10:11], v[32:33]
	s_waitcnt vmcnt(8)
	v_fma_f64 v[6:7], v[6:7], v[26:27], -v[24:25]
	v_fma_f64 v[8:9], v[8:9], v[26:27], v[16:17]
	s_waitcnt vmcnt(5)
	v_fma_f64 v[10:11], v[10:11], v[38:39], -v[30:31]
	s_waitcnt lgkmcnt(0)
	v_mul_f64 v[16:17], v[2:3], v[34:35]
	v_add_f64 v[18:19], v[18:19], v[22:23]
	v_add_f64 v[14:15], v[14:15], v[20:21]
	v_mul_f64 v[20:21], v[4:5], v[34:35]
	v_fma_f64 v[12:13], v[12:13], v[38:39], v[28:29]
	s_waitcnt vmcnt(4)
	v_fma_f64 v[4:5], v[4:5], v[36:37], v[16:17]
	v_add_f64 v[6:7], v[18:19], v[6:7]
	v_add_f64 v[8:9], v[14:15], v[8:9]
	v_fma_f64 v[2:3], v[2:3], v[36:37], -v[20:21]
	v_add_f64 v[6:7], v[6:7], v[10:11]
	v_add_f64 v[8:9], v[8:9], v[12:13]
	;; [unrolled: 1-line block ×4, first 2 shown]
	s_waitcnt vmcnt(2)
	v_add_f64 v[2:3], v[40:41], -v[2:3]
	s_waitcnt vmcnt(0)
	v_add_f64 v[4:5], v[42:43], -v[4:5]
	buffer_store_dword v3, off, s[0:3], 0 offset:820
	buffer_store_dword v2, off, s[0:3], 0 offset:816
	;; [unrolled: 1-line block ×4, first 2 shown]
	v_cmpx_lt_u32_e32 49, v0
	s_cbranch_execz .LBB57_263
; %bb.262:
	v_mov_b32_e32 v5, s18
	s_clause 0x3
	buffer_load_dword v2, v5, s[0:3], 0 offen
	buffer_load_dword v3, v5, s[0:3], 0 offen offset:4
	buffer_load_dword v4, v5, s[0:3], 0 offen offset:8
	;; [unrolled: 1-line block ×3, first 2 shown]
	buffer_store_dword v1, off, s[0:3], 0 offset:800
	buffer_store_dword v1, off, s[0:3], 0 offset:804
	;; [unrolled: 1-line block ×4, first 2 shown]
	s_waitcnt vmcnt(0)
	ds_write_b128 v63, v[2:5]
.LBB57_263:
	s_or_b32 exec_lo, exec_lo, s4
	s_waitcnt lgkmcnt(0)
	s_waitcnt_vscnt null, 0x0
	s_barrier
	buffer_gl0_inv
	s_clause 0x23
	buffer_load_dword v10, off, s[0:3], 0 offset:824
	buffer_load_dword v11, off, s[0:3], 0 offset:828
	;; [unrolled: 1-line block ×36, first 2 shown]
	ds_read_b128 v[2:5], v1 offset:1728
	ds_read_b128 v[6:9], v1 offset:1744
	s_mov_b32 s4, exec_lo
	s_waitcnt vmcnt(34) lgkmcnt(1)
	v_mul_f64 v[48:49], v[4:5], v[10:11]
	v_mul_f64 v[50:51], v[2:3], v[10:11]
	s_waitcnt vmcnt(32) lgkmcnt(0)
	v_mul_f64 v[52:53], v[8:9], v[14:15]
	ds_read_b128 v[10:13], v1 offset:1760
	v_mul_f64 v[14:15], v[6:7], v[14:15]
	s_waitcnt vmcnt(30)
	v_fma_f64 v[48:49], v[2:3], v[16:17], -v[48:49]
	v_fma_f64 v[16:17], v[4:5], v[16:17], v[50:51]
	ds_read_b128 v[2:5], v1 offset:1776
	s_waitcnt vmcnt(28) lgkmcnt(1)
	v_mul_f64 v[50:51], v[10:11], v[18:19]
	v_mul_f64 v[18:19], v[12:13], v[18:19]
	s_waitcnt vmcnt(26)
	v_fma_f64 v[52:53], v[6:7], v[20:21], -v[52:53]
	v_fma_f64 v[14:15], v[8:9], v[20:21], v[14:15]
	ds_read_b128 v[6:9], v1 offset:1792
	s_waitcnt vmcnt(22) lgkmcnt(1)
	v_mul_f64 v[20:21], v[2:3], v[22:23]
	v_add_f64 v[48:49], v[48:49], 0
	v_add_f64 v[16:17], v[16:17], 0
	v_mul_f64 v[22:23], v[4:5], v[22:23]
	s_waitcnt vmcnt(20)
	v_fma_f64 v[18:19], v[10:11], v[28:29], -v[18:19]
	v_fma_f64 v[28:29], v[12:13], v[28:29], v[50:51]
	ds_read_b128 v[10:13], v1 offset:1808
	s_waitcnt vmcnt(17)
	v_fma_f64 v[20:21], v[4:5], v[30:31], v[20:21]
	v_add_f64 v[48:49], v[48:49], v[52:53]
	v_add_f64 v[14:15], v[16:17], v[14:15]
	s_waitcnt lgkmcnt(1)
	v_mul_f64 v[16:17], v[6:7], v[24:25]
	v_mul_f64 v[24:25], v[8:9], v[24:25]
	v_fma_f64 v[22:23], v[2:3], v[30:31], -v[22:23]
	s_waitcnt vmcnt(13) lgkmcnt(0)
	v_mul_f64 v[30:31], v[12:13], v[32:33]
	ds_read_b128 v[2:5], v1 offset:1824
	v_add_f64 v[18:19], v[48:49], v[18:19]
	v_add_f64 v[14:15], v[14:15], v[28:29]
	v_mul_f64 v[28:29], v[10:11], v[32:33]
	s_waitcnt vmcnt(12)
	v_fma_f64 v[24:25], v[6:7], v[26:27], -v[24:25]
	v_fma_f64 v[16:17], v[8:9], v[26:27], v[16:17]
	ds_read_b128 v[6:9], v1 offset:1840
	s_waitcnt vmcnt(9)
	v_fma_f64 v[10:11], v[10:11], v[38:39], -v[30:31]
	v_add_f64 v[18:19], v[18:19], v[22:23]
	v_add_f64 v[14:15], v[14:15], v[20:21]
	s_waitcnt lgkmcnt(1)
	v_mul_f64 v[22:23], v[4:5], v[34:35]
	v_mul_f64 v[20:21], v[2:3], v[34:35]
	v_fma_f64 v[12:13], v[12:13], v[38:39], v[28:29]
	v_add_f64 v[18:19], v[18:19], v[24:25]
	v_add_f64 v[14:15], v[14:15], v[16:17]
	s_waitcnt vmcnt(7) lgkmcnt(0)
	v_mul_f64 v[24:25], v[8:9], v[40:41]
	s_waitcnt vmcnt(6)
	v_fma_f64 v[1:2], v[2:3], v[36:37], -v[22:23]
	v_mul_f64 v[16:17], v[6:7], v[40:41]
	v_fma_f64 v[3:4], v[4:5], v[36:37], v[20:21]
	v_add_f64 v[10:11], v[18:19], v[10:11]
	v_add_f64 v[12:13], v[14:15], v[12:13]
	s_waitcnt vmcnt(4)
	v_fma_f64 v[5:6], v[6:7], v[42:43], -v[24:25]
	v_fma_f64 v[7:8], v[8:9], v[42:43], v[16:17]
	v_add_f64 v[1:2], v[10:11], v[1:2]
	v_add_f64 v[3:4], v[12:13], v[3:4]
	;; [unrolled: 1-line block ×4, first 2 shown]
	s_waitcnt vmcnt(2)
	v_add_f64 v[1:2], v[44:45], -v[1:2]
	s_waitcnt vmcnt(0)
	v_add_f64 v[3:4], v[46:47], -v[3:4]
	buffer_store_dword v2, off, s[0:3], 0 offset:804
	buffer_store_dword v1, off, s[0:3], 0 offset:800
	;; [unrolled: 1-line block ×4, first 2 shown]
	v_cmpx_lt_u32_e32 48, v0
	s_cbranch_execz .LBB57_265
; %bb.264:
	v_mov_b32_e32 v4, s19
	v_mov_b32_e32 v5, 0
	s_clause 0x3
	buffer_load_dword v1, v4, s[0:3], 0 offen
	buffer_load_dword v2, v4, s[0:3], 0 offen offset:4
	buffer_load_dword v3, v4, s[0:3], 0 offen offset:8
	;; [unrolled: 1-line block ×3, first 2 shown]
	buffer_store_dword v5, off, s[0:3], 0 offset:784
	buffer_store_dword v5, off, s[0:3], 0 offset:788
	buffer_store_dword v5, off, s[0:3], 0 offset:792
	buffer_store_dword v5, off, s[0:3], 0 offset:796
	s_waitcnt vmcnt(0)
	ds_write_b128 v63, v[1:4]
.LBB57_265:
	s_or_b32 exec_lo, exec_lo, s4
	s_waitcnt lgkmcnt(0)
	s_waitcnt_vscnt null, 0x0
	s_barrier
	buffer_gl0_inv
	s_clause 0x27
	buffer_load_dword v10, off, s[0:3], 0 offset:808
	buffer_load_dword v11, off, s[0:3], 0 offset:812
	;; [unrolled: 1-line block ×40, first 2 shown]
	v_mov_b32_e32 v1, 0
	ds_read_b128 v[2:5], v1 offset:1712
	ds_read_b128 v[6:9], v1 offset:1728
	s_mov_b32 s4, exec_lo
	s_waitcnt vmcnt(38) lgkmcnt(1)
	v_mul_f64 v[52:53], v[4:5], v[10:11]
	v_mul_f64 v[54:55], v[2:3], v[10:11]
	s_waitcnt vmcnt(36) lgkmcnt(0)
	v_mul_f64 v[56:57], v[8:9], v[14:15]
	ds_read_b128 v[10:13], v1 offset:1744
	v_mul_f64 v[14:15], v[6:7], v[14:15]
	s_waitcnt vmcnt(34)
	v_fma_f64 v[52:53], v[2:3], v[16:17], -v[52:53]
	v_fma_f64 v[16:17], v[4:5], v[16:17], v[54:55]
	ds_read_b128 v[2:5], v1 offset:1760
	s_waitcnt vmcnt(32) lgkmcnt(1)
	v_mul_f64 v[54:55], v[10:11], v[18:19]
	v_mul_f64 v[18:19], v[12:13], v[18:19]
	s_waitcnt vmcnt(30)
	v_fma_f64 v[56:57], v[6:7], v[20:21], -v[56:57]
	v_fma_f64 v[14:15], v[8:9], v[20:21], v[14:15]
	ds_read_b128 v[6:9], v1 offset:1776
	s_waitcnt vmcnt(26) lgkmcnt(1)
	v_mul_f64 v[20:21], v[2:3], v[22:23]
	v_add_f64 v[52:53], v[52:53], 0
	v_add_f64 v[16:17], v[16:17], 0
	v_mul_f64 v[22:23], v[4:5], v[22:23]
	s_waitcnt vmcnt(24)
	v_fma_f64 v[18:19], v[10:11], v[28:29], -v[18:19]
	v_fma_f64 v[28:29], v[12:13], v[28:29], v[54:55]
	ds_read_b128 v[10:13], v1 offset:1792
	s_waitcnt vmcnt(21)
	v_fma_f64 v[20:21], v[4:5], v[30:31], v[20:21]
	v_add_f64 v[52:53], v[52:53], v[56:57]
	v_add_f64 v[14:15], v[16:17], v[14:15]
	s_waitcnt lgkmcnt(1)
	v_mul_f64 v[16:17], v[6:7], v[24:25]
	v_mul_f64 v[24:25], v[8:9], v[24:25]
	v_fma_f64 v[22:23], v[2:3], v[30:31], -v[22:23]
	s_waitcnt vmcnt(17) lgkmcnt(0)
	v_mul_f64 v[30:31], v[12:13], v[32:33]
	ds_read_b128 v[2:5], v1 offset:1808
	v_add_f64 v[18:19], v[52:53], v[18:19]
	v_add_f64 v[14:15], v[14:15], v[28:29]
	v_mul_f64 v[28:29], v[10:11], v[32:33]
	s_waitcnt vmcnt(16)
	v_fma_f64 v[24:25], v[6:7], v[26:27], -v[24:25]
	v_fma_f64 v[16:17], v[8:9], v[26:27], v[16:17]
	ds_read_b128 v[6:9], v1 offset:1824
	s_waitcnt vmcnt(13)
	v_fma_f64 v[26:27], v[10:11], v[38:39], -v[30:31]
	v_add_f64 v[18:19], v[18:19], v[22:23]
	v_add_f64 v[14:15], v[14:15], v[20:21]
	s_waitcnt lgkmcnt(1)
	v_mul_f64 v[22:23], v[4:5], v[34:35]
	v_mul_f64 v[20:21], v[2:3], v[34:35]
	v_add_f64 v[18:19], v[18:19], v[24:25]
	v_fma_f64 v[24:25], v[12:13], v[38:39], v[28:29]
	v_add_f64 v[14:15], v[14:15], v[16:17]
	s_waitcnt vmcnt(9) lgkmcnt(0)
	v_mul_f64 v[28:29], v[8:9], v[40:41]
	s_waitcnt vmcnt(8)
	v_fma_f64 v[2:3], v[2:3], v[36:37], -v[22:23]
	ds_read_b128 v[10:13], v1 offset:1840
	v_mul_f64 v[16:17], v[6:7], v[40:41]
	v_fma_f64 v[4:5], v[4:5], v[36:37], v[20:21]
	v_add_f64 v[18:19], v[18:19], v[26:27]
	v_add_f64 v[14:15], v[14:15], v[24:25]
	s_waitcnt vmcnt(7) lgkmcnt(0)
	v_mul_f64 v[22:23], v[12:13], v[42:43]
	s_waitcnt vmcnt(5)
	v_fma_f64 v[6:7], v[6:7], v[46:47], -v[28:29]
	v_mul_f64 v[20:21], v[10:11], v[42:43]
	v_fma_f64 v[8:9], v[8:9], v[46:47], v[16:17]
	v_add_f64 v[2:3], v[18:19], v[2:3]
	v_add_f64 v[4:5], v[14:15], v[4:5]
	s_waitcnt vmcnt(4)
	v_fma_f64 v[10:11], v[10:11], v[44:45], -v[22:23]
	v_add_f64 v[2:3], v[2:3], v[6:7]
	v_fma_f64 v[6:7], v[12:13], v[44:45], v[20:21]
	v_add_f64 v[4:5], v[4:5], v[8:9]
	v_add_f64 v[2:3], v[2:3], v[10:11]
	;; [unrolled: 1-line block ×3, first 2 shown]
	s_waitcnt vmcnt(2)
	v_add_f64 v[2:3], v[48:49], -v[2:3]
	s_waitcnt vmcnt(0)
	v_add_f64 v[4:5], v[50:51], -v[4:5]
	buffer_store_dword v3, off, s[0:3], 0 offset:788
	buffer_store_dword v2, off, s[0:3], 0 offset:784
	;; [unrolled: 1-line block ×4, first 2 shown]
	v_cmpx_lt_u32_e32 47, v0
	s_cbranch_execz .LBB57_267
; %bb.266:
	v_mov_b32_e32 v5, s22
	s_clause 0x3
	buffer_load_dword v2, v5, s[0:3], 0 offen
	buffer_load_dword v3, v5, s[0:3], 0 offen offset:4
	buffer_load_dword v4, v5, s[0:3], 0 offen offset:8
	buffer_load_dword v5, v5, s[0:3], 0 offen offset:12
	buffer_store_dword v1, off, s[0:3], 0 offset:768
	buffer_store_dword v1, off, s[0:3], 0 offset:772
	;; [unrolled: 1-line block ×4, first 2 shown]
	s_waitcnt vmcnt(0)
	ds_write_b128 v63, v[2:5]
.LBB57_267:
	s_or_b32 exec_lo, exec_lo, s4
	s_waitcnt lgkmcnt(0)
	s_waitcnt_vscnt null, 0x0
	s_barrier
	buffer_gl0_inv
	s_clause 0x2b
	buffer_load_dword v10, off, s[0:3], 0 offset:792
	buffer_load_dword v11, off, s[0:3], 0 offset:796
	;; [unrolled: 1-line block ×44, first 2 shown]
	ds_read_b128 v[2:5], v1 offset:1696
	ds_read_b128 v[6:9], v1 offset:1712
	s_mov_b32 s4, exec_lo
	s_waitcnt vmcnt(42) lgkmcnt(1)
	v_mul_f64 v[56:57], v[4:5], v[10:11]
	v_mul_f64 v[58:59], v[2:3], v[10:11]
	s_waitcnt vmcnt(40) lgkmcnt(0)
	v_mul_f64 v[60:61], v[8:9], v[14:15]
	ds_read_b128 v[10:13], v1 offset:1728
	v_mul_f64 v[14:15], v[6:7], v[14:15]
	s_waitcnt vmcnt(38)
	v_fma_f64 v[56:57], v[2:3], v[16:17], -v[56:57]
	v_fma_f64 v[16:17], v[4:5], v[16:17], v[58:59]
	ds_read_b128 v[2:5], v1 offset:1744
	s_waitcnt vmcnt(36) lgkmcnt(1)
	v_mul_f64 v[58:59], v[10:11], v[18:19]
	v_mul_f64 v[18:19], v[12:13], v[18:19]
	s_waitcnt vmcnt(34)
	v_fma_f64 v[60:61], v[6:7], v[20:21], -v[60:61]
	v_fma_f64 v[14:15], v[8:9], v[20:21], v[14:15]
	ds_read_b128 v[6:9], v1 offset:1760
	s_waitcnt vmcnt(30) lgkmcnt(1)
	v_mul_f64 v[20:21], v[2:3], v[22:23]
	v_add_f64 v[56:57], v[56:57], 0
	v_add_f64 v[16:17], v[16:17], 0
	v_mul_f64 v[22:23], v[4:5], v[22:23]
	s_waitcnt vmcnt(28)
	v_fma_f64 v[18:19], v[10:11], v[28:29], -v[18:19]
	v_fma_f64 v[28:29], v[12:13], v[28:29], v[58:59]
	ds_read_b128 v[10:13], v1 offset:1776
	s_waitcnt vmcnt(25)
	v_fma_f64 v[20:21], v[4:5], v[30:31], v[20:21]
	v_add_f64 v[56:57], v[56:57], v[60:61]
	v_add_f64 v[14:15], v[16:17], v[14:15]
	s_waitcnt lgkmcnt(1)
	v_mul_f64 v[16:17], v[6:7], v[24:25]
	v_mul_f64 v[24:25], v[8:9], v[24:25]
	v_fma_f64 v[22:23], v[2:3], v[30:31], -v[22:23]
	s_waitcnt vmcnt(21) lgkmcnt(0)
	v_mul_f64 v[30:31], v[12:13], v[32:33]
	ds_read_b128 v[2:5], v1 offset:1792
	v_add_f64 v[18:19], v[56:57], v[18:19]
	v_add_f64 v[14:15], v[14:15], v[28:29]
	v_mul_f64 v[28:29], v[10:11], v[32:33]
	s_waitcnt vmcnt(20)
	v_fma_f64 v[24:25], v[6:7], v[26:27], -v[24:25]
	v_fma_f64 v[16:17], v[8:9], v[26:27], v[16:17]
	ds_read_b128 v[6:9], v1 offset:1808
	s_waitcnt vmcnt(17)
	v_fma_f64 v[26:27], v[10:11], v[38:39], -v[30:31]
	v_add_f64 v[18:19], v[18:19], v[22:23]
	v_add_f64 v[14:15], v[14:15], v[20:21]
	s_waitcnt lgkmcnt(1)
	v_mul_f64 v[22:23], v[4:5], v[34:35]
	v_mul_f64 v[20:21], v[2:3], v[34:35]
	v_add_f64 v[18:19], v[18:19], v[24:25]
	v_fma_f64 v[24:25], v[12:13], v[38:39], v[28:29]
	v_add_f64 v[14:15], v[14:15], v[16:17]
	s_waitcnt vmcnt(13) lgkmcnt(0)
	v_mul_f64 v[28:29], v[8:9], v[40:41]
	s_waitcnt vmcnt(12)
	v_fma_f64 v[22:23], v[2:3], v[36:37], -v[22:23]
	ds_read_b128 v[10:13], v1 offset:1824
	v_mul_f64 v[16:17], v[6:7], v[40:41]
	v_fma_f64 v[20:21], v[4:5], v[36:37], v[20:21]
	ds_read_b128 v[1:4], v1 offset:1840
	v_add_f64 v[18:19], v[18:19], v[26:27]
	v_add_f64 v[14:15], v[14:15], v[24:25]
	s_waitcnt vmcnt(11) lgkmcnt(1)
	v_mul_f64 v[26:27], v[12:13], v[42:43]
	s_waitcnt vmcnt(9)
	v_fma_f64 v[5:6], v[6:7], v[46:47], -v[28:29]
	v_mul_f64 v[24:25], v[10:11], v[42:43]
	v_fma_f64 v[7:8], v[8:9], v[46:47], v[16:17]
	s_waitcnt vmcnt(7) lgkmcnt(0)
	v_mul_f64 v[16:17], v[1:2], v[48:49]
	v_add_f64 v[18:19], v[18:19], v[22:23]
	v_add_f64 v[14:15], v[14:15], v[20:21]
	v_mul_f64 v[20:21], v[3:4], v[48:49]
	s_waitcnt vmcnt(6)
	v_fma_f64 v[9:10], v[10:11], v[44:45], -v[26:27]
	v_fma_f64 v[11:12], v[12:13], v[44:45], v[24:25]
	s_waitcnt vmcnt(4)
	v_fma_f64 v[3:4], v[3:4], v[50:51], v[16:17]
	v_add_f64 v[5:6], v[18:19], v[5:6]
	v_add_f64 v[7:8], v[14:15], v[7:8]
	v_fma_f64 v[1:2], v[1:2], v[50:51], -v[20:21]
	v_add_f64 v[5:6], v[5:6], v[9:10]
	v_add_f64 v[7:8], v[7:8], v[11:12]
	;; [unrolled: 1-line block ×4, first 2 shown]
	s_waitcnt vmcnt(2)
	v_add_f64 v[1:2], v[52:53], -v[1:2]
	s_waitcnt vmcnt(0)
	v_add_f64 v[3:4], v[54:55], -v[3:4]
	buffer_store_dword v2, off, s[0:3], 0 offset:772
	buffer_store_dword v1, off, s[0:3], 0 offset:768
	buffer_store_dword v4, off, s[0:3], 0 offset:780
	buffer_store_dword v3, off, s[0:3], 0 offset:776
	v_cmpx_lt_u32_e32 46, v0
	s_cbranch_execz .LBB57_269
; %bb.268:
	v_mov_b32_e32 v4, s23
	v_mov_b32_e32 v5, 0
	s_clause 0x3
	buffer_load_dword v1, v4, s[0:3], 0 offen
	buffer_load_dword v2, v4, s[0:3], 0 offen offset:4
	buffer_load_dword v3, v4, s[0:3], 0 offen offset:8
	;; [unrolled: 1-line block ×3, first 2 shown]
	buffer_store_dword v5, off, s[0:3], 0 offset:752
	buffer_store_dword v5, off, s[0:3], 0 offset:756
	;; [unrolled: 1-line block ×4, first 2 shown]
	s_waitcnt vmcnt(0)
	ds_write_b128 v63, v[1:4]
.LBB57_269:
	s_or_b32 exec_lo, exec_lo, s4
	s_waitcnt lgkmcnt(0)
	s_waitcnt_vscnt null, 0x0
	s_barrier
	buffer_gl0_inv
	s_clause 0x2f
	buffer_load_dword v10, off, s[0:3], 0 offset:776
	buffer_load_dword v11, off, s[0:3], 0 offset:780
	;; [unrolled: 1-line block ×48, first 2 shown]
	v_mov_b32_e32 v1, 0
	ds_read_b128 v[2:5], v1 offset:1680
	ds_read_b128 v[6:9], v1 offset:1696
	s_mov_b32 s4, exec_lo
	s_waitcnt vmcnt(46) lgkmcnt(1)
	v_mul_f64 v[60:61], v[4:5], v[10:11]
	v_mul_f64 v[93:94], v[2:3], v[10:11]
	s_waitcnt vmcnt(44) lgkmcnt(0)
	v_mul_f64 v[95:96], v[8:9], v[14:15]
	ds_read_b128 v[10:13], v1 offset:1712
	v_mul_f64 v[14:15], v[6:7], v[14:15]
	s_waitcnt vmcnt(42)
	v_fma_f64 v[60:61], v[2:3], v[16:17], -v[60:61]
	v_fma_f64 v[16:17], v[4:5], v[16:17], v[93:94]
	ds_read_b128 v[2:5], v1 offset:1728
	s_waitcnt vmcnt(40) lgkmcnt(1)
	v_mul_f64 v[93:94], v[10:11], v[18:19]
	v_mul_f64 v[18:19], v[12:13], v[18:19]
	s_waitcnt vmcnt(38)
	v_fma_f64 v[95:96], v[6:7], v[20:21], -v[95:96]
	v_fma_f64 v[14:15], v[8:9], v[20:21], v[14:15]
	ds_read_b128 v[6:9], v1 offset:1744
	s_waitcnt vmcnt(34) lgkmcnt(1)
	v_mul_f64 v[20:21], v[2:3], v[22:23]
	v_add_f64 v[60:61], v[60:61], 0
	v_add_f64 v[16:17], v[16:17], 0
	v_mul_f64 v[22:23], v[4:5], v[22:23]
	s_waitcnt vmcnt(32)
	v_fma_f64 v[18:19], v[10:11], v[28:29], -v[18:19]
	v_fma_f64 v[28:29], v[12:13], v[28:29], v[93:94]
	ds_read_b128 v[10:13], v1 offset:1760
	s_waitcnt vmcnt(29)
	v_fma_f64 v[20:21], v[4:5], v[30:31], v[20:21]
	v_add_f64 v[60:61], v[60:61], v[95:96]
	v_add_f64 v[14:15], v[16:17], v[14:15]
	s_waitcnt lgkmcnt(1)
	v_mul_f64 v[16:17], v[6:7], v[24:25]
	v_mul_f64 v[24:25], v[8:9], v[24:25]
	v_fma_f64 v[22:23], v[2:3], v[30:31], -v[22:23]
	s_waitcnt vmcnt(25) lgkmcnt(0)
	v_mul_f64 v[30:31], v[12:13], v[32:33]
	ds_read_b128 v[2:5], v1 offset:1776
	v_add_f64 v[18:19], v[60:61], v[18:19]
	v_add_f64 v[14:15], v[14:15], v[28:29]
	v_mul_f64 v[28:29], v[10:11], v[32:33]
	s_waitcnt vmcnt(24)
	v_fma_f64 v[24:25], v[6:7], v[26:27], -v[24:25]
	v_fma_f64 v[16:17], v[8:9], v[26:27], v[16:17]
	ds_read_b128 v[6:9], v1 offset:1792
	s_waitcnt vmcnt(21)
	v_fma_f64 v[26:27], v[10:11], v[38:39], -v[30:31]
	v_add_f64 v[18:19], v[18:19], v[22:23]
	v_add_f64 v[14:15], v[14:15], v[20:21]
	s_waitcnt lgkmcnt(1)
	v_mul_f64 v[22:23], v[4:5], v[34:35]
	v_mul_f64 v[20:21], v[2:3], v[34:35]
	v_add_f64 v[18:19], v[18:19], v[24:25]
	v_fma_f64 v[24:25], v[12:13], v[38:39], v[28:29]
	v_add_f64 v[14:15], v[14:15], v[16:17]
	s_waitcnt vmcnt(17) lgkmcnt(0)
	v_mul_f64 v[28:29], v[8:9], v[40:41]
	s_waitcnt vmcnt(16)
	v_fma_f64 v[22:23], v[2:3], v[36:37], -v[22:23]
	ds_read_b128 v[10:13], v1 offset:1808
	v_mul_f64 v[16:17], v[6:7], v[40:41]
	v_fma_f64 v[20:21], v[4:5], v[36:37], v[20:21]
	ds_read_b128 v[2:5], v1 offset:1824
	v_add_f64 v[18:19], v[18:19], v[26:27]
	v_add_f64 v[14:15], v[14:15], v[24:25]
	s_waitcnt vmcnt(15) lgkmcnt(1)
	v_mul_f64 v[26:27], v[12:13], v[42:43]
	s_waitcnt vmcnt(13)
	v_fma_f64 v[28:29], v[6:7], v[46:47], -v[28:29]
	v_mul_f64 v[24:25], v[10:11], v[42:43]
	v_fma_f64 v[16:17], v[8:9], v[46:47], v[16:17]
	ds_read_b128 v[6:9], v1 offset:1840
	v_add_f64 v[18:19], v[18:19], v[22:23]
	s_waitcnt vmcnt(9) lgkmcnt(1)
	v_mul_f64 v[22:23], v[4:5], v[48:49]
	v_add_f64 v[14:15], v[14:15], v[20:21]
	s_waitcnt vmcnt(8)
	v_fma_f64 v[10:11], v[10:11], v[44:45], -v[26:27]
	v_mul_f64 v[20:21], v[2:3], v[48:49]
	v_fma_f64 v[12:13], v[12:13], v[44:45], v[24:25]
	s_waitcnt vmcnt(7) lgkmcnt(0)
	v_mul_f64 v[24:25], v[8:9], v[50:51]
	v_add_f64 v[18:19], v[18:19], v[28:29]
	s_waitcnt vmcnt(5)
	v_fma_f64 v[2:3], v[2:3], v[54:55], -v[22:23]
	v_add_f64 v[14:15], v[14:15], v[16:17]
	v_mul_f64 v[16:17], v[6:7], v[50:51]
	v_fma_f64 v[4:5], v[4:5], v[54:55], v[20:21]
	s_waitcnt vmcnt(4)
	v_fma_f64 v[6:7], v[6:7], v[52:53], -v[24:25]
	v_add_f64 v[10:11], v[18:19], v[10:11]
	v_add_f64 v[12:13], v[14:15], v[12:13]
	v_fma_f64 v[8:9], v[8:9], v[52:53], v[16:17]
	v_add_f64 v[2:3], v[10:11], v[2:3]
	v_add_f64 v[4:5], v[12:13], v[4:5]
	;; [unrolled: 1-line block ×4, first 2 shown]
	s_waitcnt vmcnt(2)
	v_add_f64 v[2:3], v[56:57], -v[2:3]
	s_waitcnt vmcnt(0)
	v_add_f64 v[4:5], v[58:59], -v[4:5]
	buffer_store_dword v3, off, s[0:3], 0 offset:756
	buffer_store_dword v2, off, s[0:3], 0 offset:752
	;; [unrolled: 1-line block ×4, first 2 shown]
	v_cmpx_lt_u32_e32 45, v0
	s_cbranch_execz .LBB57_271
; %bb.270:
	v_mov_b32_e32 v5, s24
	s_clause 0x3
	buffer_load_dword v2, v5, s[0:3], 0 offen
	buffer_load_dword v3, v5, s[0:3], 0 offen offset:4
	buffer_load_dword v4, v5, s[0:3], 0 offen offset:8
	;; [unrolled: 1-line block ×3, first 2 shown]
	buffer_store_dword v1, off, s[0:3], 0 offset:736
	buffer_store_dword v1, off, s[0:3], 0 offset:740
	;; [unrolled: 1-line block ×4, first 2 shown]
	s_waitcnt vmcnt(0)
	ds_write_b128 v63, v[2:5]
.LBB57_271:
	s_or_b32 exec_lo, exec_lo, s4
	s_waitcnt lgkmcnt(0)
	s_waitcnt_vscnt null, 0x0
	s_barrier
	buffer_gl0_inv
	s_clause 0x2f
	buffer_load_dword v10, off, s[0:3], 0 offset:760
	buffer_load_dword v11, off, s[0:3], 0 offset:764
	;; [unrolled: 1-line block ×48, first 2 shown]
	ds_read_b128 v[2:5], v1 offset:1664
	s_clause 0x3
	buffer_load_dword v60, off, s[0:3], 0 offset:736
	buffer_load_dword v61, off, s[0:3], 0 offset:740
	;; [unrolled: 1-line block ×4, first 2 shown]
	ds_read_b128 v[6:9], v1 offset:1680
	s_mov_b32 s4, exec_lo
	s_waitcnt vmcnt(50) lgkmcnt(1)
	v_mul_f64 v[95:96], v[4:5], v[10:11]
	v_mul_f64 v[101:102], v[2:3], v[10:11]
	ds_read_b128 v[10:13], v1 offset:1696
	s_waitcnt vmcnt(48) lgkmcnt(1)
	v_mul_f64 v[103:104], v[8:9], v[14:15]
	v_mul_f64 v[14:15], v[6:7], v[14:15]
	s_waitcnt vmcnt(46)
	v_fma_f64 v[95:96], v[2:3], v[16:17], -v[95:96]
	v_fma_f64 v[16:17], v[4:5], v[16:17], v[101:102]
	s_waitcnt vmcnt(44) lgkmcnt(0)
	v_mul_f64 v[101:102], v[10:11], v[18:19]
	v_mul_f64 v[18:19], v[12:13], v[18:19]
	s_waitcnt vmcnt(42)
	v_fma_f64 v[103:104], v[6:7], v[20:21], -v[103:104]
	ds_read_b128 v[2:5], v1 offset:1712
	v_fma_f64 v[14:15], v[8:9], v[20:21], v[14:15]
	ds_read_b128 v[6:9], v1 offset:1728
	v_add_f64 v[95:96], v[95:96], 0
	v_add_f64 v[16:17], v[16:17], 0
	s_waitcnt vmcnt(38) lgkmcnt(1)
	v_mul_f64 v[20:21], v[2:3], v[22:23]
	v_mul_f64 v[22:23], v[4:5], v[22:23]
	s_waitcnt vmcnt(36)
	v_fma_f64 v[18:19], v[10:11], v[28:29], -v[18:19]
	v_fma_f64 v[28:29], v[12:13], v[28:29], v[101:102]
	ds_read_b128 v[10:13], v1 offset:1744
	v_add_f64 v[95:96], v[95:96], v[103:104]
	v_add_f64 v[14:15], v[16:17], v[14:15]
	s_waitcnt vmcnt(35) lgkmcnt(1)
	v_mul_f64 v[16:17], v[6:7], v[24:25]
	v_mul_f64 v[24:25], v[8:9], v[24:25]
	s_waitcnt vmcnt(33)
	v_fma_f64 v[22:23], v[2:3], v[30:31], -v[22:23]
	v_fma_f64 v[20:21], v[4:5], v[30:31], v[20:21]
	ds_read_b128 v[2:5], v1 offset:1760
	s_waitcnt vmcnt(29) lgkmcnt(1)
	v_mul_f64 v[30:31], v[12:13], v[32:33]
	v_add_f64 v[18:19], v[95:96], v[18:19]
	v_add_f64 v[14:15], v[14:15], v[28:29]
	v_mul_f64 v[28:29], v[10:11], v[32:33]
	s_waitcnt vmcnt(28)
	v_fma_f64 v[24:25], v[6:7], v[26:27], -v[24:25]
	v_fma_f64 v[16:17], v[8:9], v[26:27], v[16:17]
	ds_read_b128 v[6:9], v1 offset:1776
	s_waitcnt vmcnt(25)
	v_fma_f64 v[26:27], v[10:11], v[38:39], -v[30:31]
	v_add_f64 v[18:19], v[18:19], v[22:23]
	v_add_f64 v[14:15], v[14:15], v[20:21]
	s_waitcnt lgkmcnt(1)
	v_mul_f64 v[22:23], v[4:5], v[34:35]
	v_mul_f64 v[20:21], v[2:3], v[34:35]
	v_add_f64 v[18:19], v[18:19], v[24:25]
	v_fma_f64 v[24:25], v[12:13], v[38:39], v[28:29]
	v_add_f64 v[14:15], v[14:15], v[16:17]
	ds_read_b128 v[10:13], v1 offset:1792
	s_waitcnt vmcnt(21) lgkmcnt(1)
	v_mul_f64 v[28:29], v[8:9], v[40:41]
	s_waitcnt vmcnt(20)
	v_fma_f64 v[22:23], v[2:3], v[36:37], -v[22:23]
	v_mul_f64 v[16:17], v[6:7], v[40:41]
	v_fma_f64 v[20:21], v[4:5], v[36:37], v[20:21]
	ds_read_b128 v[2:5], v1 offset:1808
	v_add_f64 v[18:19], v[18:19], v[26:27]
	s_waitcnt vmcnt(19) lgkmcnt(1)
	v_mul_f64 v[26:27], v[12:13], v[42:43]
	v_add_f64 v[14:15], v[14:15], v[24:25]
	v_mul_f64 v[24:25], v[10:11], v[42:43]
	s_waitcnt vmcnt(17)
	v_fma_f64 v[28:29], v[6:7], v[46:47], -v[28:29]
	v_fma_f64 v[16:17], v[8:9], v[46:47], v[16:17]
	ds_read_b128 v[6:9], v1 offset:1824
	v_add_f64 v[18:19], v[18:19], v[22:23]
	s_waitcnt vmcnt(13) lgkmcnt(1)
	v_mul_f64 v[22:23], v[4:5], v[48:49]
	v_add_f64 v[14:15], v[14:15], v[20:21]
	s_waitcnt vmcnt(12)
	v_fma_f64 v[26:27], v[10:11], v[44:45], -v[26:27]
	v_mul_f64 v[20:21], v[2:3], v[48:49]
	v_fma_f64 v[24:25], v[12:13], v[44:45], v[24:25]
	ds_read_b128 v[10:13], v1 offset:1840
	v_add_f64 v[18:19], v[18:19], v[28:29]
	s_waitcnt vmcnt(11) lgkmcnt(1)
	v_mul_f64 v[28:29], v[8:9], v[50:51]
	v_add_f64 v[14:15], v[14:15], v[16:17]
	s_waitcnt vmcnt(9)
	v_fma_f64 v[1:2], v[2:3], v[54:55], -v[22:23]
	v_mul_f64 v[16:17], v[6:7], v[50:51]
	v_fma_f64 v[3:4], v[4:5], v[54:55], v[20:21]
	s_waitcnt vmcnt(7) lgkmcnt(0)
	v_mul_f64 v[22:23], v[12:13], v[56:57]
	v_mul_f64 v[20:21], v[10:11], v[56:57]
	v_add_f64 v[18:19], v[18:19], v[26:27]
	s_waitcnt vmcnt(6)
	v_fma_f64 v[5:6], v[6:7], v[52:53], -v[28:29]
	v_add_f64 v[14:15], v[14:15], v[24:25]
	v_fma_f64 v[7:8], v[8:9], v[52:53], v[16:17]
	s_waitcnt vmcnt(4)
	v_fma_f64 v[9:10], v[10:11], v[58:59], -v[22:23]
	v_add_f64 v[1:2], v[18:19], v[1:2]
	v_add_f64 v[3:4], v[14:15], v[3:4]
	;; [unrolled: 1-line block ×3, first 2 shown]
	v_fma_f64 v[5:6], v[12:13], v[58:59], v[20:21]
	v_add_f64 v[3:4], v[3:4], v[7:8]
	v_add_f64 v[1:2], v[1:2], v[9:10]
	;; [unrolled: 1-line block ×3, first 2 shown]
	s_waitcnt vmcnt(2)
	v_add_f64 v[1:2], v[60:61], -v[1:2]
	s_waitcnt vmcnt(0)
	v_add_f64 v[3:4], v[93:94], -v[3:4]
	buffer_store_dword v2, off, s[0:3], 0 offset:740
	buffer_store_dword v1, off, s[0:3], 0 offset:736
	;; [unrolled: 1-line block ×4, first 2 shown]
	v_cmpx_lt_u32_e32 44, v0
	s_cbranch_execz .LBB57_273
; %bb.272:
	v_mov_b32_e32 v4, s25
	v_mov_b32_e32 v5, 0
	s_clause 0x3
	buffer_load_dword v1, v4, s[0:3], 0 offen
	buffer_load_dword v2, v4, s[0:3], 0 offen offset:4
	buffer_load_dword v3, v4, s[0:3], 0 offen offset:8
	;; [unrolled: 1-line block ×3, first 2 shown]
	buffer_store_dword v5, off, s[0:3], 0 offset:720
	buffer_store_dword v5, off, s[0:3], 0 offset:724
	;; [unrolled: 1-line block ×4, first 2 shown]
	s_waitcnt vmcnt(0)
	ds_write_b128 v63, v[1:4]
.LBB57_273:
	s_or_b32 exec_lo, exec_lo, s4
	s_waitcnt lgkmcnt(0)
	s_waitcnt_vscnt null, 0x0
	s_barrier
	buffer_gl0_inv
	s_clause 0x33
	buffer_load_dword v10, off, s[0:3], 0 offset:744
	buffer_load_dword v11, off, s[0:3], 0 offset:748
	buffer_load_dword v14, off, s[0:3], 0 offset:760
	buffer_load_dword v15, off, s[0:3], 0 offset:764
	buffer_load_dword v16, off, s[0:3], 0 offset:736
	buffer_load_dword v17, off, s[0:3], 0 offset:740
	buffer_load_dword v18, off, s[0:3], 0 offset:776
	buffer_load_dword v19, off, s[0:3], 0 offset:780
	buffer_load_dword v20, off, s[0:3], 0 offset:752
	buffer_load_dword v21, off, s[0:3], 0 offset:756
	buffer_load_dword v23, off, s[0:3], 0 offset:796
	buffer_load_dword v22, off, s[0:3], 0 offset:792
	buffer_load_dword v24, off, s[0:3], 0 offset:768
	buffer_load_dword v25, off, s[0:3], 0 offset:772
	buffer_load_dword v26, off, s[0:3], 0 offset:808
	buffer_load_dword v27, off, s[0:3], 0 offset:812
	buffer_load_dword v29, off, s[0:3], 0 offset:788
	buffer_load_dword v28, off, s[0:3], 0 offset:784
	buffer_load_dword v31, off, s[0:3], 0 offset:828
	buffer_load_dword v30, off, s[0:3], 0 offset:824
	buffer_load_dword v32, off, s[0:3], 0 offset:800
	buffer_load_dword v33, off, s[0:3], 0 offset:804
	buffer_load_dword v34, off, s[0:3], 0 offset:840
	buffer_load_dword v35, off, s[0:3], 0 offset:844
	buffer_load_dword v37, off, s[0:3], 0 offset:820
	buffer_load_dword v36, off, s[0:3], 0 offset:816
	buffer_load_dword v39, off, s[0:3], 0 offset:860
	buffer_load_dword v38, off, s[0:3], 0 offset:856
	buffer_load_dword v40, off, s[0:3], 0 offset:832
	buffer_load_dword v41, off, s[0:3], 0 offset:836
	buffer_load_dword v42, off, s[0:3], 0 offset:872
	buffer_load_dword v43, off, s[0:3], 0 offset:876
	buffer_load_dword v45, off, s[0:3], 0 offset:852
	buffer_load_dword v44, off, s[0:3], 0 offset:848
	buffer_load_dword v47, off, s[0:3], 0 offset:892
	buffer_load_dword v46, off, s[0:3], 0 offset:888
	buffer_load_dword v48, off, s[0:3], 0 offset:864
	buffer_load_dword v49, off, s[0:3], 0 offset:868
	buffer_load_dword v50, off, s[0:3], 0 offset:904
	buffer_load_dword v51, off, s[0:3], 0 offset:908
	buffer_load_dword v53, off, s[0:3], 0 offset:884
	buffer_load_dword v52, off, s[0:3], 0 offset:880
	buffer_load_dword v55, off, s[0:3], 0 offset:924
	buffer_load_dword v54, off, s[0:3], 0 offset:920
	buffer_load_dword v56, off, s[0:3], 0 offset:896
	buffer_load_dword v57, off, s[0:3], 0 offset:900
	buffer_load_dword v58, off, s[0:3], 0 offset:936
	buffer_load_dword v59, off, s[0:3], 0 offset:940
	buffer_load_dword v61, off, s[0:3], 0 offset:916
	buffer_load_dword v60, off, s[0:3], 0 offset:912
	buffer_load_dword v93, off, s[0:3], 0 offset:928
	buffer_load_dword v94, off, s[0:3], 0 offset:932
	v_mov_b32_e32 v1, 0
	s_mov_b32 s4, exec_lo
	ds_read_b128 v[2:5], v1 offset:1648
	ds_read_b128 v[6:9], v1 offset:1664
	s_clause 0x3
	buffer_load_dword v103, off, s[0:3], 0 offset:720
	buffer_load_dword v104, off, s[0:3], 0 offset:724
	;; [unrolled: 1-line block ×4, first 2 shown]
	s_waitcnt vmcnt(54) lgkmcnt(1)
	v_mul_f64 v[95:96], v[4:5], v[10:11]
	v_mul_f64 v[101:102], v[2:3], v[10:11]
	s_waitcnt vmcnt(52) lgkmcnt(0)
	v_mul_f64 v[107:108], v[8:9], v[14:15]
	ds_read_b128 v[10:13], v1 offset:1680
	v_mul_f64 v[14:15], v[6:7], v[14:15]
	s_waitcnt vmcnt(50)
	v_fma_f64 v[95:96], v[2:3], v[16:17], -v[95:96]
	v_fma_f64 v[16:17], v[4:5], v[16:17], v[101:102]
	ds_read_b128 v[2:5], v1 offset:1696
	s_waitcnt vmcnt(48) lgkmcnt(1)
	v_mul_f64 v[101:102], v[10:11], v[18:19]
	v_mul_f64 v[18:19], v[12:13], v[18:19]
	s_waitcnt vmcnt(46)
	v_fma_f64 v[107:108], v[6:7], v[20:21], -v[107:108]
	v_fma_f64 v[14:15], v[8:9], v[20:21], v[14:15]
	ds_read_b128 v[6:9], v1 offset:1712
	s_waitcnt vmcnt(44) lgkmcnt(1)
	v_mul_f64 v[20:21], v[2:3], v[22:23]
	v_add_f64 v[95:96], v[95:96], 0
	v_add_f64 v[16:17], v[16:17], 0
	v_mul_f64 v[22:23], v[4:5], v[22:23]
	s_waitcnt vmcnt(42)
	v_fma_f64 v[18:19], v[10:11], v[24:25], -v[18:19]
	v_fma_f64 v[24:25], v[12:13], v[24:25], v[101:102]
	ds_read_b128 v[10:13], v1 offset:1728
	s_waitcnt vmcnt(38)
	v_fma_f64 v[20:21], v[4:5], v[28:29], v[20:21]
	v_add_f64 v[95:96], v[95:96], v[107:108]
	v_add_f64 v[14:15], v[16:17], v[14:15]
	s_waitcnt lgkmcnt(1)
	v_mul_f64 v[16:17], v[6:7], v[26:27]
	v_mul_f64 v[26:27], v[8:9], v[26:27]
	v_fma_f64 v[22:23], v[2:3], v[28:29], -v[22:23]
	s_waitcnt vmcnt(36) lgkmcnt(0)
	v_mul_f64 v[28:29], v[12:13], v[30:31]
	ds_read_b128 v[2:5], v1 offset:1744
	v_add_f64 v[18:19], v[95:96], v[18:19]
	v_add_f64 v[14:15], v[14:15], v[24:25]
	v_mul_f64 v[24:25], v[10:11], v[30:31]
	s_waitcnt vmcnt(34)
	v_fma_f64 v[26:27], v[6:7], v[32:33], -v[26:27]
	v_fma_f64 v[16:17], v[8:9], v[32:33], v[16:17]
	ds_read_b128 v[6:9], v1 offset:1760
	s_waitcnt vmcnt(30)
	v_fma_f64 v[28:29], v[10:11], v[36:37], -v[28:29]
	v_add_f64 v[18:19], v[18:19], v[22:23]
	v_add_f64 v[14:15], v[14:15], v[20:21]
	s_waitcnt lgkmcnt(1)
	v_mul_f64 v[22:23], v[4:5], v[34:35]
	v_mul_f64 v[20:21], v[2:3], v[34:35]
	v_fma_f64 v[24:25], v[12:13], v[36:37], v[24:25]
	ds_read_b128 v[10:13], v1 offset:1776
	v_add_f64 v[18:19], v[18:19], v[26:27]
	v_add_f64 v[14:15], v[14:15], v[16:17]
	s_waitcnt vmcnt(28) lgkmcnt(1)
	v_mul_f64 v[26:27], v[8:9], v[38:39]
	s_waitcnt vmcnt(26)
	v_fma_f64 v[22:23], v[2:3], v[40:41], -v[22:23]
	v_mul_f64 v[16:17], v[6:7], v[38:39]
	v_fma_f64 v[20:21], v[4:5], v[40:41], v[20:21]
	ds_read_b128 v[2:5], v1 offset:1792
	v_add_f64 v[18:19], v[18:19], v[28:29]
	v_add_f64 v[14:15], v[14:15], v[24:25]
	s_waitcnt vmcnt(24) lgkmcnt(1)
	v_mul_f64 v[28:29], v[12:13], v[42:43]
	s_waitcnt vmcnt(22)
	v_fma_f64 v[26:27], v[6:7], v[44:45], -v[26:27]
	;; [unrolled: 9-line block ×5, first 2 shown]
	v_mul_f64 v[24:25], v[10:11], v[54:55]
	v_fma_f64 v[8:9], v[8:9], v[56:57], v[16:17]
	s_waitcnt vmcnt(8) lgkmcnt(0)
	v_mul_f64 v[16:17], v[2:3], v[58:59]
	v_add_f64 v[18:19], v[18:19], v[22:23]
	v_add_f64 v[14:15], v[14:15], v[20:21]
	v_mul_f64 v[20:21], v[4:5], v[58:59]
	s_waitcnt vmcnt(6)
	v_fma_f64 v[10:11], v[10:11], v[60:61], -v[28:29]
	v_fma_f64 v[12:13], v[12:13], v[60:61], v[24:25]
	s_waitcnt vmcnt(4)
	v_fma_f64 v[4:5], v[4:5], v[93:94], v[16:17]
	v_add_f64 v[6:7], v[18:19], v[6:7]
	v_add_f64 v[8:9], v[14:15], v[8:9]
	v_fma_f64 v[2:3], v[2:3], v[93:94], -v[20:21]
	v_add_f64 v[6:7], v[6:7], v[10:11]
	v_add_f64 v[8:9], v[8:9], v[12:13]
	;; [unrolled: 1-line block ×4, first 2 shown]
	s_waitcnt vmcnt(2)
	v_add_f64 v[2:3], v[103:104], -v[2:3]
	s_waitcnt vmcnt(0)
	v_add_f64 v[4:5], v[105:106], -v[4:5]
	buffer_store_dword v3, off, s[0:3], 0 offset:724
	buffer_store_dword v2, off, s[0:3], 0 offset:720
	;; [unrolled: 1-line block ×4, first 2 shown]
	v_cmpx_lt_u32_e32 43, v0
	s_cbranch_execz .LBB57_275
; %bb.274:
	v_mov_b32_e32 v5, s26
	s_clause 0x3
	buffer_load_dword v2, v5, s[0:3], 0 offen
	buffer_load_dword v3, v5, s[0:3], 0 offen offset:4
	buffer_load_dword v4, v5, s[0:3], 0 offen offset:8
	;; [unrolled: 1-line block ×3, first 2 shown]
	buffer_store_dword v1, off, s[0:3], 0 offset:704
	buffer_store_dword v1, off, s[0:3], 0 offset:708
	;; [unrolled: 1-line block ×4, first 2 shown]
	s_waitcnt vmcnt(0)
	ds_write_b128 v63, v[2:5]
.LBB57_275:
	s_or_b32 exec_lo, exec_lo, s4
	s_waitcnt lgkmcnt(0)
	s_waitcnt_vscnt null, 0x0
	s_barrier
	buffer_gl0_inv
	s_clause 0x35
	buffer_load_dword v10, off, s[0:3], 0 offset:728
	buffer_load_dword v11, off, s[0:3], 0 offset:732
	;; [unrolled: 1-line block ×54, first 2 shown]
	ds_read_b128 v[2:5], v1 offset:1632
	s_clause 0x1
	buffer_load_dword v102, off, s[0:3], 0 offset:932
	buffer_load_dword v101, off, s[0:3], 0 offset:928
	ds_read_b128 v[6:9], v1 offset:1648
	s_mov_b32 s4, exec_lo
	s_waitcnt vmcnt(54) lgkmcnt(1)
	v_mul_f64 v[103:104], v[4:5], v[10:11]
	v_mul_f64 v[105:106], v[2:3], v[10:11]
	ds_read_b128 v[10:13], v1 offset:1664
	s_waitcnt vmcnt(52) lgkmcnt(1)
	v_mul_f64 v[107:108], v[8:9], v[14:15]
	v_mul_f64 v[14:15], v[6:7], v[14:15]
	s_waitcnt vmcnt(48) lgkmcnt(0)
	v_mul_f64 v[111:112], v[10:11], v[18:19]
	v_fma_f64 v[103:104], v[2:3], v[16:17], -v[103:104]
	v_fma_f64 v[16:17], v[4:5], v[16:17], v[105:106]
	s_clause 0x3
	buffer_load_dword v105, off, s[0:3], 0 offset:704
	buffer_load_dword v106, off, s[0:3], 0 offset:708
	buffer_load_dword v109, off, s[0:3], 0 offset:712
	buffer_load_dword v110, off, s[0:3], 0 offset:716
	v_mul_f64 v[18:19], v[12:13], v[18:19]
	s_waitcnt vmcnt(50)
	v_fma_f64 v[107:108], v[6:7], v[20:21], -v[107:108]
	ds_read_b128 v[2:5], v1 offset:1680
	v_fma_f64 v[14:15], v[8:9], v[20:21], v[14:15]
	ds_read_b128 v[6:9], v1 offset:1696
	v_add_f64 v[103:104], v[103:104], 0
	v_add_f64 v[16:17], v[16:17], 0
	s_waitcnt vmcnt(46) lgkmcnt(1)
	v_mul_f64 v[20:21], v[2:3], v[22:23]
	v_mul_f64 v[22:23], v[4:5], v[22:23]
	s_waitcnt vmcnt(44)
	v_fma_f64 v[18:19], v[10:11], v[28:29], -v[18:19]
	v_fma_f64 v[28:29], v[12:13], v[28:29], v[111:112]
	ds_read_b128 v[10:13], v1 offset:1712
	v_add_f64 v[103:104], v[103:104], v[107:108]
	v_add_f64 v[14:15], v[16:17], v[14:15]
	s_waitcnt vmcnt(43) lgkmcnt(1)
	v_mul_f64 v[16:17], v[6:7], v[24:25]
	v_mul_f64 v[24:25], v[8:9], v[24:25]
	s_waitcnt vmcnt(41)
	v_fma_f64 v[22:23], v[2:3], v[30:31], -v[22:23]
	v_fma_f64 v[20:21], v[4:5], v[30:31], v[20:21]
	ds_read_b128 v[2:5], v1 offset:1728
	s_waitcnt vmcnt(37) lgkmcnt(1)
	v_mul_f64 v[30:31], v[12:13], v[32:33]
	v_add_f64 v[18:19], v[103:104], v[18:19]
	v_add_f64 v[14:15], v[14:15], v[28:29]
	v_mul_f64 v[28:29], v[10:11], v[32:33]
	s_waitcnt vmcnt(36)
	v_fma_f64 v[24:25], v[6:7], v[26:27], -v[24:25]
	v_fma_f64 v[16:17], v[8:9], v[26:27], v[16:17]
	ds_read_b128 v[6:9], v1 offset:1744
	s_waitcnt vmcnt(33)
	v_fma_f64 v[26:27], v[10:11], v[38:39], -v[30:31]
	v_add_f64 v[18:19], v[18:19], v[22:23]
	v_add_f64 v[14:15], v[14:15], v[20:21]
	s_waitcnt lgkmcnt(1)
	v_mul_f64 v[22:23], v[4:5], v[34:35]
	v_mul_f64 v[20:21], v[2:3], v[34:35]
	v_add_f64 v[18:19], v[18:19], v[24:25]
	v_fma_f64 v[24:25], v[12:13], v[38:39], v[28:29]
	v_add_f64 v[14:15], v[14:15], v[16:17]
	ds_read_b128 v[10:13], v1 offset:1760
	s_waitcnt vmcnt(29) lgkmcnt(1)
	v_mul_f64 v[28:29], v[8:9], v[40:41]
	s_waitcnt vmcnt(28)
	v_fma_f64 v[22:23], v[2:3], v[36:37], -v[22:23]
	v_mul_f64 v[16:17], v[6:7], v[40:41]
	v_fma_f64 v[20:21], v[4:5], v[36:37], v[20:21]
	ds_read_b128 v[2:5], v1 offset:1776
	v_add_f64 v[18:19], v[18:19], v[26:27]
	s_waitcnt vmcnt(27) lgkmcnt(1)
	v_mul_f64 v[26:27], v[12:13], v[42:43]
	v_add_f64 v[14:15], v[14:15], v[24:25]
	v_mul_f64 v[24:25], v[10:11], v[42:43]
	s_waitcnt vmcnt(25)
	v_fma_f64 v[28:29], v[6:7], v[46:47], -v[28:29]
	v_fma_f64 v[16:17], v[8:9], v[46:47], v[16:17]
	ds_read_b128 v[6:9], v1 offset:1792
	v_add_f64 v[18:19], v[18:19], v[22:23]
	s_waitcnt vmcnt(21) lgkmcnt(1)
	v_mul_f64 v[22:23], v[4:5], v[48:49]
	v_add_f64 v[14:15], v[14:15], v[20:21]
	s_waitcnt vmcnt(20)
	v_fma_f64 v[26:27], v[10:11], v[44:45], -v[26:27]
	v_mul_f64 v[20:21], v[2:3], v[48:49]
	v_fma_f64 v[24:25], v[12:13], v[44:45], v[24:25]
	ds_read_b128 v[10:13], v1 offset:1808
	v_add_f64 v[18:19], v[18:19], v[28:29]
	s_waitcnt vmcnt(19) lgkmcnt(1)
	v_mul_f64 v[28:29], v[8:9], v[50:51]
	v_add_f64 v[14:15], v[14:15], v[16:17]
	s_waitcnt vmcnt(17)
	v_fma_f64 v[22:23], v[2:3], v[54:55], -v[22:23]
	v_mul_f64 v[16:17], v[6:7], v[50:51]
	;; [unrolled: 9-line block ×4, first 2 shown]
	v_fma_f64 v[12:13], v[12:13], v[93:94], v[24:25]
	s_waitcnt vmcnt(7) lgkmcnt(0)
	v_mul_f64 v[24:25], v[8:9], v[95:96]
	v_add_f64 v[18:19], v[18:19], v[28:29]
	s_waitcnt vmcnt(6)
	v_fma_f64 v[1:2], v[2:3], v[60:61], -v[22:23]
	v_add_f64 v[14:15], v[14:15], v[16:17]
	v_mul_f64 v[16:17], v[6:7], v[95:96]
	v_fma_f64 v[3:4], v[4:5], v[60:61], v[20:21]
	s_waitcnt vmcnt(4)
	v_fma_f64 v[5:6], v[6:7], v[101:102], -v[24:25]
	v_add_f64 v[10:11], v[18:19], v[10:11]
	v_add_f64 v[12:13], v[14:15], v[12:13]
	v_fma_f64 v[7:8], v[8:9], v[101:102], v[16:17]
	v_add_f64 v[1:2], v[10:11], v[1:2]
	v_add_f64 v[3:4], v[12:13], v[3:4]
	v_add_f64 v[1:2], v[1:2], v[5:6]
	v_add_f64 v[3:4], v[3:4], v[7:8]
	s_waitcnt vmcnt(2)
	v_add_f64 v[1:2], v[105:106], -v[1:2]
	s_waitcnt vmcnt(0)
	v_add_f64 v[3:4], v[109:110], -v[3:4]
	buffer_store_dword v2, off, s[0:3], 0 offset:708
	buffer_store_dword v1, off, s[0:3], 0 offset:704
	;; [unrolled: 1-line block ×4, first 2 shown]
	v_cmpx_lt_u32_e32 42, v0
	s_cbranch_execz .LBB57_277
; %bb.276:
	v_mov_b32_e32 v4, s27
	v_mov_b32_e32 v5, 0
	s_clause 0x3
	buffer_load_dword v1, v4, s[0:3], 0 offen
	buffer_load_dword v2, v4, s[0:3], 0 offen offset:4
	buffer_load_dword v3, v4, s[0:3], 0 offen offset:8
	;; [unrolled: 1-line block ×3, first 2 shown]
	buffer_store_dword v5, off, s[0:3], 0 offset:688
	buffer_store_dword v5, off, s[0:3], 0 offset:692
	;; [unrolled: 1-line block ×4, first 2 shown]
	s_waitcnt vmcnt(0)
	ds_write_b128 v63, v[1:4]
.LBB57_277:
	s_or_b32 exec_lo, exec_lo, s4
	s_waitcnt lgkmcnt(0)
	s_waitcnt_vscnt null, 0x0
	s_barrier
	buffer_gl0_inv
	s_clause 0x37
	buffer_load_dword v10, off, s[0:3], 0 offset:712
	buffer_load_dword v11, off, s[0:3], 0 offset:716
	;; [unrolled: 1-line block ×56, first 2 shown]
	v_mov_b32_e32 v1, 0
	s_mov_b32 s4, exec_lo
	ds_read_b128 v[2:5], v1 offset:1616
	s_clause 0x2
	buffer_load_dword v102, off, s[0:3], 0 offset:940
	buffer_load_dword v106, off, s[0:3], 0 offset:916
	;; [unrolled: 1-line block ×3, first 2 shown]
	ds_read_b128 v[6:9], v1 offset:1632
	buffer_load_dword v104, off, s[0:3], 0 offset:932
	s_waitcnt vmcnt(58) lgkmcnt(1)
	v_mul_f64 v[107:108], v[4:5], v[10:11]
	v_mul_f64 v[109:110], v[2:3], v[10:11]
	ds_read_b128 v[10:13], v1 offset:1648
	s_waitcnt vmcnt(56) lgkmcnt(1)
	v_mul_f64 v[111:112], v[8:9], v[14:15]
	v_mul_f64 v[14:15], v[6:7], v[14:15]
	s_waitcnt vmcnt(54)
	v_fma_f64 v[107:108], v[2:3], v[16:17], -v[107:108]
	v_fma_f64 v[16:17], v[4:5], v[16:17], v[109:110]
	s_waitcnt vmcnt(52) lgkmcnt(0)
	v_mul_f64 v[109:110], v[10:11], v[18:19]
	v_mul_f64 v[18:19], v[12:13], v[18:19]
	s_waitcnt vmcnt(50)
	v_fma_f64 v[111:112], v[6:7], v[20:21], -v[111:112]
	ds_read_b128 v[2:5], v1 offset:1664
	v_fma_f64 v[14:15], v[8:9], v[20:21], v[14:15]
	s_clause 0x3
	buffer_load_dword v20, off, s[0:3], 0 offset:688
	buffer_load_dword v21, off, s[0:3], 0 offset:692
	;; [unrolled: 1-line block ×4, first 2 shown]
	ds_read_b128 v[6:9], v1 offset:1680
	v_add_f64 v[107:108], v[107:108], 0
	v_add_f64 v[16:17], v[16:17], 0
	s_waitcnt vmcnt(50) lgkmcnt(1)
	v_mul_f64 v[115:116], v[2:3], v[22:23]
	v_mul_f64 v[22:23], v[4:5], v[22:23]
	s_waitcnt vmcnt(48)
	v_fma_f64 v[18:19], v[10:11], v[28:29], -v[18:19]
	v_fma_f64 v[28:29], v[12:13], v[28:29], v[109:110]
	ds_read_b128 v[10:13], v1 offset:1696
	v_add_f64 v[107:108], v[107:108], v[111:112]
	v_add_f64 v[14:15], v[16:17], v[14:15]
	s_waitcnt vmcnt(47) lgkmcnt(1)
	v_mul_f64 v[16:17], v[6:7], v[24:25]
	v_mul_f64 v[24:25], v[8:9], v[24:25]
	s_waitcnt vmcnt(45)
	v_fma_f64 v[22:23], v[2:3], v[30:31], -v[22:23]
	v_fma_f64 v[30:31], v[4:5], v[30:31], v[115:116]
	;; [unrolled: 9-line block ×3, first 2 shown]
	ds_read_b128 v[6:9], v1 offset:1728
	s_waitcnt vmcnt(39) lgkmcnt(1)
	v_mul_f64 v[26:27], v[4:5], v[34:35]
	v_add_f64 v[18:19], v[18:19], v[22:23]
	v_add_f64 v[14:15], v[14:15], v[30:31]
	v_mul_f64 v[22:23], v[2:3], v[34:35]
	s_waitcnt vmcnt(37)
	v_fma_f64 v[30:31], v[10:11], v[38:39], -v[32:33]
	s_waitcnt vmcnt(32)
	v_fma_f64 v[26:27], v[2:3], v[36:37], -v[26:27]
	v_add_f64 v[18:19], v[18:19], v[24:25]
	v_fma_f64 v[24:25], v[12:13], v[38:39], v[28:29]
	v_add_f64 v[14:15], v[14:15], v[16:17]
	s_waitcnt lgkmcnt(0)
	v_mul_f64 v[28:29], v[8:9], v[40:41]
	ds_read_b128 v[10:13], v1 offset:1744
	v_mul_f64 v[16:17], v[6:7], v[40:41]
	v_fma_f64 v[22:23], v[4:5], v[36:37], v[22:23]
	ds_read_b128 v[2:5], v1 offset:1760
	v_add_f64 v[18:19], v[18:19], v[30:31]
	v_add_f64 v[14:15], v[14:15], v[24:25]
	s_waitcnt vmcnt(31) lgkmcnt(1)
	v_mul_f64 v[30:31], v[12:13], v[42:43]
	s_waitcnt vmcnt(29)
	v_fma_f64 v[28:29], v[6:7], v[46:47], -v[28:29]
	v_mul_f64 v[24:25], v[10:11], v[42:43]
	v_fma_f64 v[16:17], v[8:9], v[46:47], v[16:17]
	ds_read_b128 v[6:9], v1 offset:1776
	v_add_f64 v[18:19], v[18:19], v[26:27]
	s_waitcnt vmcnt(25) lgkmcnt(1)
	v_mul_f64 v[26:27], v[4:5], v[48:49]
	v_add_f64 v[14:15], v[14:15], v[22:23]
	s_waitcnt vmcnt(24)
	v_fma_f64 v[30:31], v[10:11], v[44:45], -v[30:31]
	v_mul_f64 v[22:23], v[2:3], v[48:49]
	v_fma_f64 v[24:25], v[12:13], v[44:45], v[24:25]
	ds_read_b128 v[10:13], v1 offset:1792
	v_add_f64 v[18:19], v[18:19], v[28:29]
	s_waitcnt vmcnt(23) lgkmcnt(1)
	v_mul_f64 v[28:29], v[8:9], v[50:51]
	v_add_f64 v[14:15], v[14:15], v[16:17]
	s_waitcnt vmcnt(21)
	v_fma_f64 v[26:27], v[2:3], v[54:55], -v[26:27]
	v_mul_f64 v[16:17], v[6:7], v[50:51]
	v_fma_f64 v[22:23], v[4:5], v[54:55], v[22:23]
	ds_read_b128 v[2:5], v1 offset:1808
	v_add_f64 v[18:19], v[18:19], v[30:31]
	s_waitcnt vmcnt(17) lgkmcnt(1)
	v_mul_f64 v[30:31], v[12:13], v[56:57]
	v_add_f64 v[14:15], v[14:15], v[24:25]
	s_waitcnt vmcnt(16)
	v_fma_f64 v[28:29], v[6:7], v[52:53], -v[28:29]
	v_mul_f64 v[24:25], v[10:11], v[56:57]
	v_fma_f64 v[16:17], v[8:9], v[52:53], v[16:17]
	ds_read_b128 v[6:9], v1 offset:1824
	v_add_f64 v[18:19], v[18:19], v[26:27]
	s_waitcnt vmcnt(15) lgkmcnt(1)
	v_mul_f64 v[26:27], v[4:5], v[58:59]
	v_add_f64 v[14:15], v[14:15], v[22:23]
	s_waitcnt vmcnt(13)
	v_fma_f64 v[30:31], v[10:11], v[93:94], -v[30:31]
	v_mul_f64 v[22:23], v[2:3], v[58:59]
	v_fma_f64 v[24:25], v[12:13], v[93:94], v[24:25]
	ds_read_b128 v[10:13], v1 offset:1840
	v_add_f64 v[18:19], v[18:19], v[28:29]
	s_waitcnt vmcnt(9) lgkmcnt(1)
	v_mul_f64 v[28:29], v[8:9], v[95:96]
	v_add_f64 v[14:15], v[14:15], v[16:17]
	s_waitcnt vmcnt(8)
	v_fma_f64 v[2:3], v[2:3], v[60:61], -v[26:27]
	v_mul_f64 v[16:17], v[6:7], v[95:96]
	v_fma_f64 v[4:5], v[4:5], v[60:61], v[22:23]
	s_waitcnt vmcnt(7) lgkmcnt(0)
	v_mul_f64 v[22:23], v[10:11], v[101:102]
	v_add_f64 v[18:19], v[18:19], v[30:31]
	s_waitcnt vmcnt(5)
	v_fma_f64 v[6:7], v[6:7], v[105:106], -v[28:29]
	v_add_f64 v[14:15], v[14:15], v[24:25]
	v_mul_f64 v[24:25], v[12:13], v[101:102]
	v_fma_f64 v[8:9], v[8:9], v[105:106], v[16:17]
	v_add_f64 v[2:3], v[18:19], v[2:3]
	v_add_f64 v[4:5], v[14:15], v[4:5]
	s_waitcnt vmcnt(4)
	v_fma_f64 v[10:11], v[10:11], v[103:104], -v[24:25]
	v_add_f64 v[2:3], v[2:3], v[6:7]
	v_fma_f64 v[6:7], v[12:13], v[103:104], v[22:23]
	v_add_f64 v[4:5], v[4:5], v[8:9]
	v_add_f64 v[2:3], v[2:3], v[10:11]
	;; [unrolled: 1-line block ×3, first 2 shown]
	s_waitcnt vmcnt(2)
	v_add_f64 v[2:3], v[20:21], -v[2:3]
	s_waitcnt vmcnt(0)
	v_add_f64 v[4:5], v[113:114], -v[4:5]
	buffer_store_dword v3, off, s[0:3], 0 offset:692
	buffer_store_dword v2, off, s[0:3], 0 offset:688
	;; [unrolled: 1-line block ×4, first 2 shown]
	v_cmpx_lt_u32_e32 41, v0
	s_cbranch_execz .LBB57_279
; %bb.278:
	v_mov_b32_e32 v5, s28
	s_clause 0x3
	buffer_load_dword v2, v5, s[0:3], 0 offen
	buffer_load_dword v3, v5, s[0:3], 0 offen offset:4
	buffer_load_dword v4, v5, s[0:3], 0 offen offset:8
	;; [unrolled: 1-line block ×3, first 2 shown]
	buffer_store_dword v1, off, s[0:3], 0 offset:672
	buffer_store_dword v1, off, s[0:3], 0 offset:676
	;; [unrolled: 1-line block ×4, first 2 shown]
	s_waitcnt vmcnt(0)
	ds_write_b128 v63, v[2:5]
.LBB57_279:
	s_or_b32 exec_lo, exec_lo, s4
	s_waitcnt lgkmcnt(0)
	s_waitcnt_vscnt null, 0x0
	s_barrier
	buffer_gl0_inv
	s_clause 0x37
	buffer_load_dword v10, off, s[0:3], 0 offset:696
	buffer_load_dword v11, off, s[0:3], 0 offset:700
	buffer_load_dword v14, off, s[0:3], 0 offset:712
	buffer_load_dword v15, off, s[0:3], 0 offset:716
	buffer_load_dword v16, off, s[0:3], 0 offset:688
	buffer_load_dword v17, off, s[0:3], 0 offset:692
	buffer_load_dword v18, off, s[0:3], 0 offset:728
	buffer_load_dword v19, off, s[0:3], 0 offset:732
	buffer_load_dword v20, off, s[0:3], 0 offset:704
	buffer_load_dword v21, off, s[0:3], 0 offset:708
	buffer_load_dword v23, off, s[0:3], 0 offset:748
	buffer_load_dword v24, off, s[0:3], 0 offset:760
	buffer_load_dword v26, off, s[0:3], 0 offset:752
	buffer_load_dword v22, off, s[0:3], 0 offset:744
	buffer_load_dword v28, off, s[0:3], 0 offset:720
	buffer_load_dword v29, off, s[0:3], 0 offset:724
	buffer_load_dword v25, off, s[0:3], 0 offset:764
	buffer_load_dword v31, off, s[0:3], 0 offset:740
	buffer_load_dword v30, off, s[0:3], 0 offset:736
	buffer_load_dword v33, off, s[0:3], 0 offset:780
	buffer_load_dword v34, off, s[0:3], 0 offset:792
	buffer_load_dword v36, off, s[0:3], 0 offset:784
	buffer_load_dword v32, off, s[0:3], 0 offset:776
	buffer_load_dword v27, off, s[0:3], 0 offset:756
	buffer_load_dword v35, off, s[0:3], 0 offset:796
	buffer_load_dword v39, off, s[0:3], 0 offset:772
	buffer_load_dword v38, off, s[0:3], 0 offset:768
	buffer_load_dword v41, off, s[0:3], 0 offset:812
	buffer_load_dword v42, off, s[0:3], 0 offset:824
	buffer_load_dword v44, off, s[0:3], 0 offset:816
	buffer_load_dword v40, off, s[0:3], 0 offset:808
	buffer_load_dword v37, off, s[0:3], 0 offset:788
	buffer_load_dword v43, off, s[0:3], 0 offset:828
	buffer_load_dword v47, off, s[0:3], 0 offset:804
	buffer_load_dword v46, off, s[0:3], 0 offset:800
	buffer_load_dword v49, off, s[0:3], 0 offset:844
	buffer_load_dword v50, off, s[0:3], 0 offset:856
	buffer_load_dword v52, off, s[0:3], 0 offset:848
	buffer_load_dword v48, off, s[0:3], 0 offset:840
	buffer_load_dword v45, off, s[0:3], 0 offset:820
	buffer_load_dword v51, off, s[0:3], 0 offset:860
	buffer_load_dword v55, off, s[0:3], 0 offset:836
	buffer_load_dword v54, off, s[0:3], 0 offset:832
	buffer_load_dword v57, off, s[0:3], 0 offset:876
	buffer_load_dword v58, off, s[0:3], 0 offset:888
	buffer_load_dword v60, off, s[0:3], 0 offset:880
	buffer_load_dword v56, off, s[0:3], 0 offset:872
	buffer_load_dword v53, off, s[0:3], 0 offset:852
	buffer_load_dword v59, off, s[0:3], 0 offset:892
	buffer_load_dword v94, off, s[0:3], 0 offset:868
	buffer_load_dword v93, off, s[0:3], 0 offset:864
	buffer_load_dword v96, off, s[0:3], 0 offset:908
	buffer_load_dword v101, off, s[0:3], 0 offset:920
	buffer_load_dword v103, off, s[0:3], 0 offset:912
	buffer_load_dword v95, off, s[0:3], 0 offset:904
	buffer_load_dword v61, off, s[0:3], 0 offset:884
	ds_read_b128 v[2:5], v1 offset:1600
	s_clause 0x2
	buffer_load_dword v102, off, s[0:3], 0 offset:924
	buffer_load_dword v106, off, s[0:3], 0 offset:900
	;; [unrolled: 1-line block ×3, first 2 shown]
	ds_read_b128 v[6:9], v1 offset:1616
	s_clause 0x2
	buffer_load_dword v112, off, s[0:3], 0 offset:940
	buffer_load_dword v111, off, s[0:3], 0 offset:936
	;; [unrolled: 1-line block ×3, first 2 shown]
	s_mov_b32 s4, exec_lo
	s_waitcnt vmcnt(60) lgkmcnt(1)
	v_mul_f64 v[107:108], v[4:5], v[10:11]
	v_mul_f64 v[109:110], v[2:3], v[10:11]
	s_waitcnt vmcnt(58) lgkmcnt(0)
	v_mul_f64 v[113:114], v[8:9], v[14:15]
	ds_read_b128 v[10:13], v1 offset:1632
	v_mul_f64 v[14:15], v[6:7], v[14:15]
	s_waitcnt vmcnt(56)
	v_fma_f64 v[107:108], v[2:3], v[16:17], -v[107:108]
	v_fma_f64 v[16:17], v[4:5], v[16:17], v[109:110]
	s_clause 0x1
	buffer_load_dword v110, off, s[0:3], 0 offset:932
	buffer_load_dword v109, off, s[0:3], 0 offset:928
	s_waitcnt vmcnt(56) lgkmcnt(0)
	v_mul_f64 v[115:116], v[10:11], v[18:19]
	v_mul_f64 v[18:19], v[12:13], v[18:19]
	s_waitcnt vmcnt(54)
	v_fma_f64 v[113:114], v[6:7], v[20:21], -v[113:114]
	ds_read_b128 v[2:5], v1 offset:1648
	v_fma_f64 v[14:15], v[8:9], v[20:21], v[14:15]
	ds_read_b128 v[6:9], v1 offset:1664
	v_add_f64 v[107:108], v[107:108], 0
	v_add_f64 v[16:17], v[16:17], 0
	s_waitcnt vmcnt(50) lgkmcnt(1)
	v_mul_f64 v[20:21], v[2:3], v[22:23]
	v_mul_f64 v[22:23], v[4:5], v[22:23]
	s_waitcnt vmcnt(48)
	v_fma_f64 v[18:19], v[10:11], v[28:29], -v[18:19]
	v_fma_f64 v[28:29], v[12:13], v[28:29], v[115:116]
	s_waitcnt vmcnt(47) lgkmcnt(0)
	v_mul_f64 v[115:116], v[6:7], v[24:25]
	v_mul_f64 v[24:25], v[8:9], v[24:25]
	v_add_f64 v[107:108], v[107:108], v[113:114]
	v_add_f64 v[14:15], v[16:17], v[14:15]
	s_clause 0x3
	buffer_load_dword v16, off, s[0:3], 0 offset:672
	buffer_load_dword v17, off, s[0:3], 0 offset:676
	;; [unrolled: 1-line block ×4, first 2 shown]
	ds_read_b128 v[10:13], v1 offset:1680
	s_waitcnt vmcnt(49)
	v_fma_f64 v[20:21], v[4:5], v[30:31], v[20:21]
	v_fma_f64 v[22:23], v[2:3], v[30:31], -v[22:23]
	ds_read_b128 v[2:5], v1 offset:1696
	s_waitcnt vmcnt(44)
	v_fma_f64 v[24:25], v[6:7], v[26:27], -v[24:25]
	v_add_f64 v[18:19], v[107:108], v[18:19]
	v_add_f64 v[14:15], v[14:15], v[28:29]
	s_waitcnt lgkmcnt(1)
	v_mul_f64 v[30:31], v[12:13], v[32:33]
	v_mul_f64 v[28:29], v[10:11], v[32:33]
	v_add_f64 v[18:19], v[18:19], v[22:23]
	v_fma_f64 v[22:23], v[8:9], v[26:27], v[115:116]
	v_add_f64 v[14:15], v[14:15], v[20:21]
	s_waitcnt vmcnt(43) lgkmcnt(0)
	v_mul_f64 v[26:27], v[4:5], v[34:35]
	s_waitcnt vmcnt(41)
	v_fma_f64 v[30:31], v[10:11], v[38:39], -v[30:31]
	ds_read_b128 v[6:9], v1 offset:1712
	v_mul_f64 v[20:21], v[2:3], v[34:35]
	v_add_f64 v[18:19], v[18:19], v[24:25]
	v_fma_f64 v[24:25], v[12:13], v[38:39], v[28:29]
	v_add_f64 v[14:15], v[14:15], v[22:23]
	ds_read_b128 v[10:13], v1 offset:1728
	s_waitcnt vmcnt(37) lgkmcnt(1)
	v_mul_f64 v[28:29], v[8:9], v[40:41]
	s_waitcnt vmcnt(36)
	v_fma_f64 v[26:27], v[2:3], v[36:37], -v[26:27]
	v_mul_f64 v[22:23], v[6:7], v[40:41]
	v_fma_f64 v[20:21], v[4:5], v[36:37], v[20:21]
	ds_read_b128 v[2:5], v1 offset:1744
	v_add_f64 v[18:19], v[18:19], v[30:31]
	s_waitcnt vmcnt(35) lgkmcnt(1)
	v_mul_f64 v[30:31], v[12:13], v[42:43]
	v_add_f64 v[14:15], v[14:15], v[24:25]
	v_mul_f64 v[24:25], v[10:11], v[42:43]
	s_waitcnt vmcnt(33)
	v_fma_f64 v[28:29], v[6:7], v[46:47], -v[28:29]
	v_fma_f64 v[22:23], v[8:9], v[46:47], v[22:23]
	ds_read_b128 v[6:9], v1 offset:1760
	v_add_f64 v[18:19], v[18:19], v[26:27]
	s_waitcnt vmcnt(29) lgkmcnt(1)
	v_mul_f64 v[26:27], v[4:5], v[48:49]
	v_add_f64 v[14:15], v[14:15], v[20:21]
	s_waitcnt vmcnt(28)
	v_fma_f64 v[30:31], v[10:11], v[44:45], -v[30:31]
	v_mul_f64 v[20:21], v[2:3], v[48:49]
	v_fma_f64 v[24:25], v[12:13], v[44:45], v[24:25]
	ds_read_b128 v[10:13], v1 offset:1776
	v_add_f64 v[18:19], v[18:19], v[28:29]
	s_waitcnt vmcnt(27) lgkmcnt(1)
	v_mul_f64 v[28:29], v[8:9], v[50:51]
	v_add_f64 v[14:15], v[14:15], v[22:23]
	s_waitcnt vmcnt(25)
	v_fma_f64 v[26:27], v[2:3], v[54:55], -v[26:27]
	v_mul_f64 v[22:23], v[6:7], v[50:51]
	;; [unrolled: 9-line block ×6, first 2 shown]
	v_fma_f64 v[7:8], v[8:9], v[105:106], v[22:23]
	s_waitcnt vmcnt(7) lgkmcnt(0)
	v_mul_f64 v[22:23], v[3:4], v[111:112]
	v_add_f64 v[18:19], v[18:19], v[26:27]
	s_waitcnt vmcnt(6)
	v_fma_f64 v[9:10], v[10:11], v[103:104], -v[30:31]
	v_add_f64 v[14:15], v[14:15], v[20:21]
	v_mul_f64 v[20:21], v[1:2], v[111:112]
	v_fma_f64 v[11:12], v[12:13], v[103:104], v[24:25]
	v_add_f64 v[5:6], v[18:19], v[5:6]
	v_add_f64 v[7:8], v[14:15], v[7:8]
	s_waitcnt vmcnt(4)
	v_fma_f64 v[1:2], v[1:2], v[109:110], -v[22:23]
	v_fma_f64 v[3:4], v[3:4], v[109:110], v[20:21]
	v_add_f64 v[5:6], v[5:6], v[9:10]
	v_add_f64 v[7:8], v[7:8], v[11:12]
	;; [unrolled: 1-line block ×4, first 2 shown]
	s_waitcnt vmcnt(2)
	v_add_f64 v[1:2], v[16:17], -v[1:2]
	s_waitcnt vmcnt(0)
	v_add_f64 v[3:4], v[113:114], -v[3:4]
	buffer_store_dword v2, off, s[0:3], 0 offset:676
	buffer_store_dword v1, off, s[0:3], 0 offset:672
	;; [unrolled: 1-line block ×4, first 2 shown]
	v_cmpx_lt_u32_e32 40, v0
	s_cbranch_execz .LBB57_281
; %bb.280:
	v_mov_b32_e32 v4, s29
	v_mov_b32_e32 v5, 0
	s_clause 0x3
	buffer_load_dword v1, v4, s[0:3], 0 offen
	buffer_load_dword v2, v4, s[0:3], 0 offen offset:4
	buffer_load_dword v3, v4, s[0:3], 0 offen offset:8
	;; [unrolled: 1-line block ×3, first 2 shown]
	buffer_store_dword v5, off, s[0:3], 0 offset:656
	buffer_store_dword v5, off, s[0:3], 0 offset:660
	;; [unrolled: 1-line block ×4, first 2 shown]
	s_waitcnt vmcnt(0)
	ds_write_b128 v63, v[1:4]
.LBB57_281:
	s_or_b32 exec_lo, exec_lo, s4
	s_waitcnt lgkmcnt(0)
	s_waitcnt_vscnt null, 0x0
	s_barrier
	buffer_gl0_inv
	s_clause 0x37
	buffer_load_dword v10, off, s[0:3], 0 offset:680
	buffer_load_dword v11, off, s[0:3], 0 offset:684
	;; [unrolled: 1-line block ×56, first 2 shown]
	v_mov_b32_e32 v1, 0
	s_mov_b32 s4, exec_lo
	ds_read_b128 v[2:5], v1 offset:1584
	s_clause 0x2
	buffer_load_dword v102, off, s[0:3], 0 offset:908
	buffer_load_dword v106, off, s[0:3], 0 offset:884
	;; [unrolled: 1-line block ×3, first 2 shown]
	ds_read_b128 v[6:9], v1 offset:1600
	s_clause 0x4
	buffer_load_dword v112, off, s[0:3], 0 offset:924
	buffer_load_dword v113, off, s[0:3], 0 offset:936
	buffer_load_dword v115, off, s[0:3], 0 offset:928
	buffer_load_dword v111, off, s[0:3], 0 offset:920
	buffer_load_dword v104, off, s[0:3], 0 offset:900
	s_waitcnt vmcnt(62) lgkmcnt(1)
	v_mul_f64 v[107:108], v[4:5], v[10:11]
	v_mul_f64 v[109:110], v[2:3], v[10:11]
	s_waitcnt vmcnt(60) lgkmcnt(0)
	v_mul_f64 v[116:117], v[8:9], v[14:15]
	ds_read_b128 v[10:13], v1 offset:1616
	v_mul_f64 v[14:15], v[6:7], v[14:15]
	s_waitcnt vmcnt(58)
	v_fma_f64 v[107:108], v[2:3], v[16:17], -v[107:108]
	v_fma_f64 v[16:17], v[4:5], v[16:17], v[109:110]
	s_clause 0x2
	buffer_load_dword v114, off, s[0:3], 0 offset:940
	buffer_load_dword v110, off, s[0:3], 0 offset:916
	;; [unrolled: 1-line block ×3, first 2 shown]
	s_waitcnt vmcnt(59) lgkmcnt(0)
	v_mul_f64 v[118:119], v[10:11], v[18:19]
	v_mul_f64 v[18:19], v[12:13], v[18:19]
	s_waitcnt vmcnt(57)
	v_fma_f64 v[120:121], v[6:7], v[20:21], -v[116:117]
	ds_read_b128 v[2:5], v1 offset:1632
	v_fma_f64 v[14:15], v[8:9], v[20:21], v[14:15]
	buffer_load_dword v116, off, s[0:3], 0 offset:932
	ds_read_b128 v[6:9], v1 offset:1648
	v_add_f64 v[107:108], v[107:108], 0
	v_add_f64 v[16:17], v[16:17], 0
	s_waitcnt vmcnt(54) lgkmcnt(1)
	v_mul_f64 v[20:21], v[2:3], v[22:23]
	v_mul_f64 v[22:23], v[4:5], v[22:23]
	s_waitcnt vmcnt(52)
	v_fma_f64 v[18:19], v[10:11], v[28:29], -v[18:19]
	v_fma_f64 v[28:29], v[12:13], v[28:29], v[118:119]
	ds_read_b128 v[10:13], v1 offset:1664
	v_add_f64 v[107:108], v[107:108], v[120:121]
	v_add_f64 v[14:15], v[16:17], v[14:15]
	s_waitcnt vmcnt(51) lgkmcnt(1)
	v_mul_f64 v[16:17], v[6:7], v[24:25]
	v_mul_f64 v[24:25], v[8:9], v[24:25]
	s_waitcnt vmcnt(49)
	v_fma_f64 v[20:21], v[4:5], v[30:31], v[20:21]
	v_fma_f64 v[22:23], v[2:3], v[30:31], -v[22:23]
	v_add_f64 v[18:19], v[107:108], v[18:19]
	v_add_f64 v[14:15], v[14:15], v[28:29]
	s_clause 0x3
	buffer_load_dword v28, off, s[0:3], 0 offset:656
	buffer_load_dword v29, off, s[0:3], 0 offset:660
	;; [unrolled: 1-line block ×4, first 2 shown]
	s_waitcnt vmcnt(49) lgkmcnt(0)
	v_mul_f64 v[107:108], v[10:11], v[32:33]
	v_mul_f64 v[32:33], v[12:13], v[32:33]
	s_waitcnt vmcnt(48)
	v_fma_f64 v[24:25], v[6:7], v[26:27], -v[24:25]
	ds_read_b128 v[2:5], v1 offset:1680
	v_fma_f64 v[16:17], v[8:9], v[26:27], v[16:17]
	ds_read_b128 v[6:9], v1 offset:1696
	v_add_f64 v[18:19], v[18:19], v[22:23]
	v_add_f64 v[14:15], v[14:15], v[20:21]
	s_waitcnt vmcnt(47) lgkmcnt(1)
	v_mul_f64 v[22:23], v[4:5], v[34:35]
	s_waitcnt vmcnt(45)
	v_fma_f64 v[26:27], v[10:11], v[38:39], -v[32:33]
	v_mul_f64 v[20:21], v[2:3], v[34:35]
	s_waitcnt vmcnt(41) lgkmcnt(0)
	v_mul_f64 v[32:33], v[8:9], v[40:41]
	v_add_f64 v[18:19], v[18:19], v[24:25]
	v_fma_f64 v[24:25], v[12:13], v[38:39], v[107:108]
	v_add_f64 v[14:15], v[14:15], v[16:17]
	ds_read_b128 v[10:13], v1 offset:1712
	s_waitcnt vmcnt(40)
	v_fma_f64 v[22:23], v[2:3], v[36:37], -v[22:23]
	v_mul_f64 v[16:17], v[6:7], v[40:41]
	v_fma_f64 v[20:21], v[4:5], v[36:37], v[20:21]
	ds_read_b128 v[2:5], v1 offset:1728
	s_waitcnt vmcnt(37)
	v_fma_f64 v[32:33], v[6:7], v[46:47], -v[32:33]
	v_add_f64 v[18:19], v[18:19], v[26:27]
	s_waitcnt lgkmcnt(1)
	v_mul_f64 v[26:27], v[12:13], v[42:43]
	v_add_f64 v[14:15], v[14:15], v[24:25]
	v_mul_f64 v[24:25], v[10:11], v[42:43]
	v_fma_f64 v[16:17], v[8:9], v[46:47], v[16:17]
	ds_read_b128 v[6:9], v1 offset:1744
	v_add_f64 v[18:19], v[18:19], v[22:23]
	s_waitcnt vmcnt(33) lgkmcnt(1)
	v_mul_f64 v[22:23], v[4:5], v[48:49]
	v_add_f64 v[14:15], v[14:15], v[20:21]
	s_waitcnt vmcnt(32)
	v_fma_f64 v[26:27], v[10:11], v[44:45], -v[26:27]
	v_mul_f64 v[20:21], v[2:3], v[48:49]
	v_fma_f64 v[24:25], v[12:13], v[44:45], v[24:25]
	ds_read_b128 v[10:13], v1 offset:1760
	v_add_f64 v[18:19], v[18:19], v[32:33]
	s_waitcnt vmcnt(31) lgkmcnt(1)
	v_mul_f64 v[32:33], v[8:9], v[50:51]
	v_add_f64 v[14:15], v[14:15], v[16:17]
	s_waitcnt vmcnt(29)
	v_fma_f64 v[22:23], v[2:3], v[54:55], -v[22:23]
	v_mul_f64 v[16:17], v[6:7], v[50:51]
	v_fma_f64 v[20:21], v[4:5], v[54:55], v[20:21]
	ds_read_b128 v[2:5], v1 offset:1776
	v_add_f64 v[18:19], v[18:19], v[26:27]
	s_waitcnt vmcnt(25) lgkmcnt(1)
	v_mul_f64 v[26:27], v[12:13], v[56:57]
	v_add_f64 v[14:15], v[14:15], v[24:25]
	s_waitcnt vmcnt(24)
	v_fma_f64 v[32:33], v[6:7], v[52:53], -v[32:33]
	v_mul_f64 v[24:25], v[10:11], v[56:57]
	v_fma_f64 v[16:17], v[8:9], v[52:53], v[16:17]
	ds_read_b128 v[6:9], v1 offset:1792
	v_add_f64 v[18:19], v[18:19], v[22:23]
	s_waitcnt vmcnt(23) lgkmcnt(1)
	v_mul_f64 v[22:23], v[4:5], v[58:59]
	v_add_f64 v[14:15], v[14:15], v[20:21]
	s_waitcnt vmcnt(21)
	v_fma_f64 v[26:27], v[10:11], v[93:94], -v[26:27]
	v_mul_f64 v[20:21], v[2:3], v[58:59]
	v_fma_f64 v[24:25], v[12:13], v[93:94], v[24:25]
	ds_read_b128 v[10:13], v1 offset:1808
	v_add_f64 v[18:19], v[18:19], v[32:33]
	s_waitcnt vmcnt(17) lgkmcnt(1)
	v_mul_f64 v[32:33], v[8:9], v[95:96]
	v_add_f64 v[14:15], v[14:15], v[16:17]
	s_waitcnt vmcnt(16)
	v_fma_f64 v[22:23], v[2:3], v[60:61], -v[22:23]
	v_mul_f64 v[16:17], v[6:7], v[95:96]
	v_fma_f64 v[20:21], v[4:5], v[60:61], v[20:21]
	ds_read_b128 v[2:5], v1 offset:1824
	v_add_f64 v[18:19], v[18:19], v[26:27]
	s_waitcnt vmcnt(15) lgkmcnt(1)
	v_mul_f64 v[26:27], v[12:13], v[101:102]
	v_add_f64 v[14:15], v[14:15], v[24:25]
	s_waitcnt vmcnt(13)
	v_fma_f64 v[32:33], v[6:7], v[105:106], -v[32:33]
	v_mul_f64 v[24:25], v[10:11], v[101:102]
	v_fma_f64 v[16:17], v[8:9], v[105:106], v[16:17]
	ds_read_b128 v[6:9], v1 offset:1840
	v_add_f64 v[18:19], v[18:19], v[22:23]
	s_waitcnt vmcnt(9) lgkmcnt(1)
	v_mul_f64 v[22:23], v[4:5], v[111:112]
	v_add_f64 v[14:15], v[14:15], v[20:21]
	s_waitcnt vmcnt(8)
	v_fma_f64 v[10:11], v[10:11], v[103:104], -v[26:27]
	v_mul_f64 v[20:21], v[2:3], v[111:112]
	v_fma_f64 v[12:13], v[12:13], v[103:104], v[24:25]
	v_add_f64 v[18:19], v[18:19], v[32:33]
	v_add_f64 v[14:15], v[14:15], v[16:17]
	s_waitcnt vmcnt(7) lgkmcnt(0)
	v_mul_f64 v[24:25], v[8:9], v[113:114]
	v_mul_f64 v[16:17], v[6:7], v[113:114]
	s_waitcnt vmcnt(5)
	v_fma_f64 v[2:3], v[2:3], v[109:110], -v[22:23]
	v_fma_f64 v[4:5], v[4:5], v[109:110], v[20:21]
	v_add_f64 v[10:11], v[18:19], v[10:11]
	v_add_f64 v[12:13], v[14:15], v[12:13]
	s_waitcnt vmcnt(4)
	v_fma_f64 v[6:7], v[6:7], v[115:116], -v[24:25]
	v_fma_f64 v[8:9], v[8:9], v[115:116], v[16:17]
	v_add_f64 v[2:3], v[10:11], v[2:3]
	v_add_f64 v[4:5], v[12:13], v[4:5]
	;; [unrolled: 1-line block ×4, first 2 shown]
	s_waitcnt vmcnt(2)
	v_add_f64 v[2:3], v[28:29], -v[2:3]
	s_waitcnt vmcnt(0)
	v_add_f64 v[4:5], v[30:31], -v[4:5]
	buffer_store_dword v3, off, s[0:3], 0 offset:660
	buffer_store_dword v2, off, s[0:3], 0 offset:656
	;; [unrolled: 1-line block ×4, first 2 shown]
	v_cmpx_lt_u32_e32 39, v0
	s_cbranch_execz .LBB57_283
; %bb.282:
	v_mov_b32_e32 v5, s30
	s_clause 0x3
	buffer_load_dword v2, v5, s[0:3], 0 offen
	buffer_load_dword v3, v5, s[0:3], 0 offen offset:4
	buffer_load_dword v4, v5, s[0:3], 0 offen offset:8
	;; [unrolled: 1-line block ×3, first 2 shown]
	buffer_store_dword v1, off, s[0:3], 0 offset:640
	buffer_store_dword v1, off, s[0:3], 0 offset:644
	buffer_store_dword v1, off, s[0:3], 0 offset:648
	buffer_store_dword v1, off, s[0:3], 0 offset:652
	s_waitcnt vmcnt(0)
	ds_write_b128 v63, v[2:5]
.LBB57_283:
	s_or_b32 exec_lo, exec_lo, s4
	s_waitcnt lgkmcnt(0)
	s_waitcnt_vscnt null, 0x0
	s_barrier
	buffer_gl0_inv
	s_clause 0x37
	buffer_load_dword v10, off, s[0:3], 0 offset:664
	buffer_load_dword v11, off, s[0:3], 0 offset:668
	;; [unrolled: 1-line block ×56, first 2 shown]
	ds_read_b128 v[2:5], v1 offset:1568
	s_clause 0x2
	buffer_load_dword v102, off, s[0:3], 0 offset:892
	buffer_load_dword v106, off, s[0:3], 0 offset:868
	;; [unrolled: 1-line block ×3, first 2 shown]
	ds_read_b128 v[6:9], v1 offset:1584
	s_clause 0x4
	buffer_load_dword v112, off, s[0:3], 0 offset:908
	buffer_load_dword v113, off, s[0:3], 0 offset:920
	;; [unrolled: 1-line block ×5, first 2 shown]
	s_mov_b32 s4, exec_lo
	s_waitcnt vmcnt(62) lgkmcnt(1)
	v_mul_f64 v[107:108], v[4:5], v[10:11]
	v_mul_f64 v[109:110], v[2:3], v[10:11]
	s_waitcnt vmcnt(60) lgkmcnt(0)
	v_mul_f64 v[116:117], v[8:9], v[14:15]
	ds_read_b128 v[10:13], v1 offset:1600
	v_mul_f64 v[14:15], v[6:7], v[14:15]
	s_waitcnt vmcnt(58)
	v_fma_f64 v[107:108], v[2:3], v[16:17], -v[107:108]
	v_fma_f64 v[16:17], v[4:5], v[16:17], v[109:110]
	s_clause 0x2
	buffer_load_dword v114, off, s[0:3], 0 offset:924
	buffer_load_dword v110, off, s[0:3], 0 offset:900
	;; [unrolled: 1-line block ×3, first 2 shown]
	s_waitcnt vmcnt(59) lgkmcnt(0)
	v_mul_f64 v[118:119], v[10:11], v[18:19]
	v_mul_f64 v[18:19], v[12:13], v[18:19]
	s_waitcnt vmcnt(57)
	v_fma_f64 v[120:121], v[6:7], v[20:21], -v[116:117]
	ds_read_b128 v[2:5], v1 offset:1616
	v_fma_f64 v[14:15], v[8:9], v[20:21], v[14:15]
	s_clause 0x2
	buffer_load_dword v21, off, s[0:3], 0 offset:940
	buffer_load_dword v20, off, s[0:3], 0 offset:936
	;; [unrolled: 1-line block ×3, first 2 shown]
	ds_read_b128 v[6:9], v1 offset:1632
	v_add_f64 v[107:108], v[107:108], 0
	v_add_f64 v[16:17], v[16:17], 0
	s_waitcnt vmcnt(56) lgkmcnt(1)
	v_mul_f64 v[122:123], v[2:3], v[22:23]
	v_mul_f64 v[22:23], v[4:5], v[22:23]
	s_waitcnt vmcnt(54)
	v_fma_f64 v[18:19], v[10:11], v[28:29], -v[18:19]
	v_fma_f64 v[28:29], v[12:13], v[28:29], v[118:119]
	s_waitcnt vmcnt(53) lgkmcnt(0)
	v_mul_f64 v[117:118], v[6:7], v[24:25]
	v_mul_f64 v[24:25], v[8:9], v[24:25]
	v_add_f64 v[107:108], v[107:108], v[120:121]
	v_add_f64 v[14:15], v[16:17], v[14:15]
	s_clause 0x1
	buffer_load_dword v17, off, s[0:3], 0 offset:932
	buffer_load_dword v16, off, s[0:3], 0 offset:928
	ds_read_b128 v[10:13], v1 offset:1648
	s_waitcnt vmcnt(53)
	v_fma_f64 v[22:23], v[2:3], v[30:31], -v[22:23]
	v_fma_f64 v[30:31], v[4:5], v[30:31], v[122:123]
	ds_read_b128 v[2:5], v1 offset:1664
	s_waitcnt vmcnt(48)
	v_fma_f64 v[24:25], v[6:7], v[26:27], -v[24:25]
	v_add_f64 v[18:19], v[107:108], v[18:19]
	v_add_f64 v[14:15], v[14:15], v[28:29]
	s_waitcnt lgkmcnt(1)
	v_mul_f64 v[28:29], v[10:11], v[32:33]
	v_mul_f64 v[32:33], v[12:13], v[32:33]
	s_waitcnt vmcnt(47) lgkmcnt(0)
	v_mul_f64 v[107:108], v[2:3], v[34:35]
	v_mul_f64 v[34:35], v[4:5], v[34:35]
	v_add_f64 v[18:19], v[18:19], v[22:23]
	v_fma_f64 v[22:23], v[8:9], v[26:27], v[117:118]
	v_add_f64 v[14:15], v[14:15], v[30:31]
	s_clause 0x3
	buffer_load_dword v26, off, s[0:3], 0 offset:640
	buffer_load_dword v27, off, s[0:3], 0 offset:644
	;; [unrolled: 1-line block ×4, first 2 shown]
	s_waitcnt vmcnt(49)
	v_fma_f64 v[32:33], v[10:11], v[38:39], -v[32:33]
	ds_read_b128 v[6:9], v1 offset:1680
	s_waitcnt vmcnt(44)
	v_fma_f64 v[34:35], v[2:3], v[36:37], -v[34:35]
	v_add_f64 v[18:19], v[18:19], v[24:25]
	v_fma_f64 v[24:25], v[12:13], v[38:39], v[28:29]
	v_add_f64 v[14:15], v[14:15], v[22:23]
	ds_read_b128 v[10:13], v1 offset:1696
	s_waitcnt lgkmcnt(1)
	v_mul_f64 v[28:29], v[8:9], v[40:41]
	v_mul_f64 v[22:23], v[6:7], v[40:41]
	v_add_f64 v[18:19], v[18:19], v[32:33]
	v_fma_f64 v[32:33], v[4:5], v[36:37], v[107:108]
	v_add_f64 v[14:15], v[14:15], v[24:25]
	s_waitcnt vmcnt(43) lgkmcnt(0)
	v_mul_f64 v[36:37], v[12:13], v[42:43]
	s_waitcnt vmcnt(41)
	v_fma_f64 v[28:29], v[6:7], v[46:47], -v[28:29]
	ds_read_b128 v[2:5], v1 offset:1712
	v_mul_f64 v[24:25], v[10:11], v[42:43]
	v_fma_f64 v[22:23], v[8:9], v[46:47], v[22:23]
	ds_read_b128 v[6:9], v1 offset:1728
	v_add_f64 v[18:19], v[18:19], v[34:35]
	v_add_f64 v[14:15], v[14:15], v[32:33]
	s_waitcnt vmcnt(37) lgkmcnt(1)
	v_mul_f64 v[34:35], v[4:5], v[48:49]
	s_waitcnt vmcnt(36)
	v_fma_f64 v[36:37], v[10:11], v[44:45], -v[36:37]
	v_mul_f64 v[32:33], v[2:3], v[48:49]
	v_fma_f64 v[24:25], v[12:13], v[44:45], v[24:25]
	ds_read_b128 v[10:13], v1 offset:1744
	v_add_f64 v[18:19], v[18:19], v[28:29]
	s_waitcnt vmcnt(35) lgkmcnt(1)
	v_mul_f64 v[28:29], v[8:9], v[50:51]
	v_add_f64 v[14:15], v[14:15], v[22:23]
	s_waitcnt vmcnt(33)
	v_fma_f64 v[34:35], v[2:3], v[54:55], -v[34:35]
	v_mul_f64 v[22:23], v[6:7], v[50:51]
	v_fma_f64 v[32:33], v[4:5], v[54:55], v[32:33]
	ds_read_b128 v[2:5], v1 offset:1760
	v_add_f64 v[18:19], v[18:19], v[36:37]
	s_waitcnt vmcnt(29) lgkmcnt(1)
	v_mul_f64 v[36:37], v[12:13], v[56:57]
	v_add_f64 v[14:15], v[14:15], v[24:25]
	;; [unrolled: 9-line block ×6, first 2 shown]
	s_waitcnt vmcnt(12)
	v_fma_f64 v[36:37], v[10:11], v[103:104], -v[36:37]
	v_mul_f64 v[32:33], v[2:3], v[111:112]
	v_fma_f64 v[24:25], v[12:13], v[103:104], v[24:25]
	ds_read_b128 v[10:13], v1 offset:1840
	v_add_f64 v[18:19], v[18:19], v[28:29]
	v_add_f64 v[14:15], v[14:15], v[22:23]
	s_waitcnt vmcnt(11) lgkmcnt(1)
	v_mul_f64 v[28:29], v[8:9], v[113:114]
	v_mul_f64 v[22:23], v[6:7], v[113:114]
	s_waitcnt vmcnt(9)
	v_fma_f64 v[1:2], v[2:3], v[109:110], -v[34:35]
	v_fma_f64 v[3:4], v[4:5], v[109:110], v[32:33]
	v_add_f64 v[18:19], v[18:19], v[36:37]
	v_add_f64 v[14:15], v[14:15], v[24:25]
	s_waitcnt vmcnt(7) lgkmcnt(0)
	v_mul_f64 v[24:25], v[10:11], v[20:21]
	v_mul_f64 v[20:21], v[12:13], v[20:21]
	s_waitcnt vmcnt(6)
	v_fma_f64 v[5:6], v[6:7], v[115:116], -v[28:29]
	v_fma_f64 v[7:8], v[8:9], v[115:116], v[22:23]
	v_add_f64 v[1:2], v[18:19], v[1:2]
	v_add_f64 v[3:4], v[14:15], v[3:4]
	s_waitcnt vmcnt(4)
	v_fma_f64 v[9:10], v[10:11], v[16:17], -v[20:21]
	v_add_f64 v[1:2], v[1:2], v[5:6]
	v_fma_f64 v[5:6], v[12:13], v[16:17], v[24:25]
	v_add_f64 v[3:4], v[3:4], v[7:8]
	v_add_f64 v[1:2], v[1:2], v[9:10]
	;; [unrolled: 1-line block ×3, first 2 shown]
	s_waitcnt vmcnt(2)
	v_add_f64 v[1:2], v[26:27], -v[1:2]
	s_waitcnt vmcnt(0)
	v_add_f64 v[3:4], v[30:31], -v[3:4]
	buffer_store_dword v2, off, s[0:3], 0 offset:644
	buffer_store_dword v1, off, s[0:3], 0 offset:640
	buffer_store_dword v4, off, s[0:3], 0 offset:652
	buffer_store_dword v3, off, s[0:3], 0 offset:648
	v_cmpx_lt_u32_e32 38, v0
	s_cbranch_execz .LBB57_285
; %bb.284:
	v_mov_b32_e32 v4, s31
	v_mov_b32_e32 v5, 0
	s_clause 0x3
	buffer_load_dword v1, v4, s[0:3], 0 offen
	buffer_load_dword v2, v4, s[0:3], 0 offen offset:4
	buffer_load_dword v3, v4, s[0:3], 0 offen offset:8
	;; [unrolled: 1-line block ×3, first 2 shown]
	buffer_store_dword v5, off, s[0:3], 0 offset:624
	buffer_store_dword v5, off, s[0:3], 0 offset:628
	;; [unrolled: 1-line block ×4, first 2 shown]
	s_waitcnt vmcnt(0)
	ds_write_b128 v63, v[1:4]
.LBB57_285:
	s_or_b32 exec_lo, exec_lo, s4
	s_waitcnt lgkmcnt(0)
	s_waitcnt_vscnt null, 0x0
	s_barrier
	buffer_gl0_inv
	s_clause 0x37
	buffer_load_dword v10, off, s[0:3], 0 offset:648
	buffer_load_dword v11, off, s[0:3], 0 offset:652
	;; [unrolled: 1-line block ×56, first 2 shown]
	v_mov_b32_e32 v1, 0
	s_mov_b32 s4, exec_lo
	ds_read_b128 v[2:5], v1 offset:1552
	s_clause 0x2
	buffer_load_dword v102, off, s[0:3], 0 offset:876
	buffer_load_dword v106, off, s[0:3], 0 offset:852
	;; [unrolled: 1-line block ×3, first 2 shown]
	ds_read_b128 v[6:9], v1 offset:1568
	s_clause 0x4
	buffer_load_dword v112, off, s[0:3], 0 offset:892
	buffer_load_dword v113, off, s[0:3], 0 offset:904
	;; [unrolled: 1-line block ×5, first 2 shown]
	s_waitcnt vmcnt(62) lgkmcnt(1)
	v_mul_f64 v[107:108], v[4:5], v[10:11]
	v_mul_f64 v[109:110], v[2:3], v[10:11]
	s_waitcnt vmcnt(60) lgkmcnt(0)
	v_mul_f64 v[116:117], v[8:9], v[14:15]
	ds_read_b128 v[10:13], v1 offset:1584
	v_mul_f64 v[14:15], v[6:7], v[14:15]
	s_waitcnt vmcnt(58)
	v_fma_f64 v[107:108], v[2:3], v[16:17], -v[107:108]
	v_fma_f64 v[16:17], v[4:5], v[16:17], v[109:110]
	s_clause 0x2
	buffer_load_dword v114, off, s[0:3], 0 offset:908
	buffer_load_dword v110, off, s[0:3], 0 offset:884
	;; [unrolled: 1-line block ×3, first 2 shown]
	s_waitcnt vmcnt(59) lgkmcnt(0)
	v_mul_f64 v[118:119], v[10:11], v[18:19]
	v_mul_f64 v[18:19], v[12:13], v[18:19]
	s_waitcnt vmcnt(57)
	v_fma_f64 v[120:121], v[6:7], v[20:21], -v[116:117]
	ds_read_b128 v[2:5], v1 offset:1600
	v_fma_f64 v[14:15], v[8:9], v[20:21], v[14:15]
	s_clause 0x4
	buffer_load_dword v21, off, s[0:3], 0 offset:924
	buffer_load_dword v117, off, s[0:3], 0 offset:936
	;; [unrolled: 1-line block ×5, first 2 shown]
	ds_read_b128 v[6:9], v1 offset:1616
	v_add_f64 v[107:108], v[107:108], 0
	v_add_f64 v[16:17], v[16:17], 0
	s_waitcnt vmcnt(58) lgkmcnt(1)
	v_mul_f64 v[123:124], v[2:3], v[22:23]
	v_mul_f64 v[22:23], v[4:5], v[22:23]
	s_waitcnt vmcnt(56)
	v_fma_f64 v[18:19], v[10:11], v[28:29], -v[18:19]
	v_fma_f64 v[28:29], v[12:13], v[28:29], v[118:119]
	v_add_f64 v[107:108], v[107:108], v[120:121]
	v_add_f64 v[14:15], v[16:17], v[14:15]
	s_clause 0x2
	buffer_load_dword v118, off, s[0:3], 0 offset:940
	buffer_load_dword v17, off, s[0:3], 0 offset:916
	;; [unrolled: 1-line block ×3, first 2 shown]
	s_waitcnt vmcnt(58) lgkmcnt(0)
	v_mul_f64 v[119:120], v[6:7], v[24:25]
	v_mul_f64 v[24:25], v[8:9], v[24:25]
	s_waitcnt vmcnt(56)
	v_fma_f64 v[22:23], v[2:3], v[30:31], -v[22:23]
	ds_read_b128 v[10:13], v1 offset:1632
	v_fma_f64 v[30:31], v[4:5], v[30:31], v[123:124]
	buffer_load_dword v123, off, s[0:3], 0 offset:932
	ds_read_b128 v[2:5], v1 offset:1648
	v_add_f64 v[18:19], v[107:108], v[18:19]
	v_add_f64 v[14:15], v[14:15], v[28:29]
	s_waitcnt vmcnt(53) lgkmcnt(1)
	v_mul_f64 v[28:29], v[10:11], v[32:33]
	v_mul_f64 v[32:33], v[12:13], v[32:33]
	s_waitcnt vmcnt(52)
	v_fma_f64 v[24:25], v[6:7], v[26:27], -v[24:25]
	v_add_f64 v[18:19], v[18:19], v[22:23]
	v_fma_f64 v[22:23], v[8:9], v[26:27], v[119:120]
	v_add_f64 v[14:15], v[14:15], v[30:31]
	s_waitcnt vmcnt(51) lgkmcnt(0)
	v_mul_f64 v[30:31], v[4:5], v[34:35]
	ds_read_b128 v[6:9], v1 offset:1664
	s_waitcnt vmcnt(49)
	v_fma_f64 v[32:33], v[10:11], v[38:39], -v[32:33]
	v_mul_f64 v[26:27], v[2:3], v[34:35]
	v_add_f64 v[18:19], v[18:19], v[24:25]
	v_fma_f64 v[24:25], v[12:13], v[38:39], v[28:29]
	v_add_f64 v[14:15], v[14:15], v[22:23]
	s_clause 0x3
	buffer_load_dword v22, off, s[0:3], 0 offset:624
	buffer_load_dword v23, off, s[0:3], 0 offset:628
	;; [unrolled: 1-line block ×4, first 2 shown]
	s_waitcnt vmcnt(49) lgkmcnt(0)
	v_mul_f64 v[38:39], v[8:9], v[40:41]
	s_waitcnt vmcnt(48)
	v_fma_f64 v[30:31], v[2:3], v[36:37], -v[30:31]
	ds_read_b128 v[10:13], v1 offset:1680
	v_mul_f64 v[34:35], v[6:7], v[40:41]
	v_fma_f64 v[26:27], v[4:5], v[36:37], v[26:27]
	ds_read_b128 v[2:5], v1 offset:1696
	v_add_f64 v[18:19], v[18:19], v[32:33]
	v_add_f64 v[14:15], v[14:15], v[24:25]
	s_waitcnt vmcnt(47) lgkmcnt(1)
	v_mul_f64 v[32:33], v[12:13], v[42:43]
	s_waitcnt vmcnt(45)
	v_fma_f64 v[36:37], v[6:7], v[46:47], -v[38:39]
	v_mul_f64 v[24:25], v[10:11], v[42:43]
	v_add_f64 v[18:19], v[18:19], v[30:31]
	v_fma_f64 v[30:31], v[8:9], v[46:47], v[34:35]
	v_add_f64 v[14:15], v[14:15], v[26:27]
	s_waitcnt vmcnt(41) lgkmcnt(0)
	v_mul_f64 v[34:35], v[4:5], v[48:49]
	s_waitcnt vmcnt(40)
	v_fma_f64 v[32:33], v[10:11], v[44:45], -v[32:33]
	ds_read_b128 v[6:9], v1 offset:1712
	v_mul_f64 v[26:27], v[2:3], v[48:49]
	v_fma_f64 v[24:25], v[12:13], v[44:45], v[24:25]
	ds_read_b128 v[10:13], v1 offset:1728
	v_add_f64 v[18:19], v[18:19], v[36:37]
	v_add_f64 v[14:15], v[14:15], v[30:31]
	s_waitcnt vmcnt(39) lgkmcnt(1)
	v_mul_f64 v[36:37], v[8:9], v[50:51]
	s_waitcnt vmcnt(37)
	v_fma_f64 v[34:35], v[2:3], v[54:55], -v[34:35]
	v_mul_f64 v[30:31], v[6:7], v[50:51]
	v_fma_f64 v[26:27], v[4:5], v[54:55], v[26:27]
	ds_read_b128 v[2:5], v1 offset:1744
	v_add_f64 v[18:19], v[18:19], v[32:33]
	s_waitcnt vmcnt(33) lgkmcnt(1)
	v_mul_f64 v[32:33], v[12:13], v[56:57]
	v_add_f64 v[14:15], v[14:15], v[24:25]
	s_waitcnt vmcnt(32)
	v_fma_f64 v[36:37], v[6:7], v[52:53], -v[36:37]
	v_mul_f64 v[24:25], v[10:11], v[56:57]
	v_fma_f64 v[30:31], v[8:9], v[52:53], v[30:31]
	ds_read_b128 v[6:9], v1 offset:1760
	v_add_f64 v[18:19], v[18:19], v[34:35]
	s_waitcnt vmcnt(31) lgkmcnt(1)
	v_mul_f64 v[34:35], v[4:5], v[58:59]
	v_add_f64 v[14:15], v[14:15], v[26:27]
	;; [unrolled: 9-line block ×5, first 2 shown]
	s_waitcnt vmcnt(16)
	v_fma_f64 v[32:33], v[10:11], v[103:104], -v[32:33]
	v_mul_f64 v[26:27], v[2:3], v[111:112]
	v_fma_f64 v[24:25], v[12:13], v[103:104], v[24:25]
	ds_read_b128 v[10:13], v1 offset:1824
	v_add_f64 v[18:19], v[18:19], v[36:37]
	v_add_f64 v[14:15], v[14:15], v[30:31]
	s_waitcnt vmcnt(15) lgkmcnt(1)
	v_mul_f64 v[36:37], v[8:9], v[113:114]
	v_mul_f64 v[30:31], v[6:7], v[113:114]
	s_waitcnt vmcnt(13)
	v_fma_f64 v[34:35], v[2:3], v[109:110], -v[34:35]
	v_fma_f64 v[26:27], v[4:5], v[109:110], v[26:27]
	ds_read_b128 v[2:5], v1 offset:1840
	v_add_f64 v[18:19], v[18:19], v[32:33]
	v_add_f64 v[14:15], v[14:15], v[24:25]
	s_waitcnt vmcnt(9) lgkmcnt(1)
	v_mul_f64 v[24:25], v[10:11], v[20:21]
	v_mul_f64 v[20:21], v[12:13], v[20:21]
	s_waitcnt vmcnt(8)
	v_fma_f64 v[6:7], v[6:7], v[115:116], -v[36:37]
	v_fma_f64 v[8:9], v[8:9], v[115:116], v[30:31]
	v_add_f64 v[18:19], v[18:19], v[34:35]
	v_add_f64 v[14:15], v[14:15], v[26:27]
	s_waitcnt vmcnt(7) lgkmcnt(0)
	v_mul_f64 v[30:31], v[4:5], v[117:118]
	v_mul_f64 v[26:27], v[2:3], v[117:118]
	s_waitcnt vmcnt(5)
	v_fma_f64 v[10:11], v[10:11], v[16:17], -v[20:21]
	v_fma_f64 v[12:13], v[12:13], v[16:17], v[24:25]
	v_add_f64 v[6:7], v[18:19], v[6:7]
	v_add_f64 v[8:9], v[14:15], v[8:9]
	s_waitcnt vmcnt(4)
	v_fma_f64 v[2:3], v[2:3], v[122:123], -v[30:31]
	v_fma_f64 v[4:5], v[4:5], v[122:123], v[26:27]
	v_add_f64 v[6:7], v[6:7], v[10:11]
	v_add_f64 v[8:9], v[8:9], v[12:13]
	;; [unrolled: 1-line block ×4, first 2 shown]
	s_waitcnt vmcnt(2)
	v_add_f64 v[2:3], v[22:23], -v[2:3]
	s_waitcnt vmcnt(0)
	v_add_f64 v[4:5], v[28:29], -v[4:5]
	buffer_store_dword v3, off, s[0:3], 0 offset:628
	buffer_store_dword v2, off, s[0:3], 0 offset:624
	;; [unrolled: 1-line block ×4, first 2 shown]
	v_cmpx_lt_u32_e32 37, v0
	s_cbranch_execz .LBB57_287
; %bb.286:
	v_mov_b32_e32 v5, s33
	s_clause 0x3
	buffer_load_dword v2, v5, s[0:3], 0 offen
	buffer_load_dword v3, v5, s[0:3], 0 offen offset:4
	buffer_load_dword v4, v5, s[0:3], 0 offen offset:8
	;; [unrolled: 1-line block ×3, first 2 shown]
	buffer_store_dword v1, off, s[0:3], 0 offset:608
	buffer_store_dword v1, off, s[0:3], 0 offset:612
	buffer_store_dword v1, off, s[0:3], 0 offset:616
	buffer_store_dword v1, off, s[0:3], 0 offset:620
	s_waitcnt vmcnt(0)
	ds_write_b128 v63, v[2:5]
.LBB57_287:
	s_or_b32 exec_lo, exec_lo, s4
	s_waitcnt lgkmcnt(0)
	s_waitcnt_vscnt null, 0x0
	s_barrier
	buffer_gl0_inv
	s_clause 0x37
	buffer_load_dword v10, off, s[0:3], 0 offset:632
	buffer_load_dword v11, off, s[0:3], 0 offset:636
	;; [unrolled: 1-line block ×56, first 2 shown]
	ds_read_b128 v[2:5], v1 offset:1536
	s_clause 0x2
	buffer_load_dword v102, off, s[0:3], 0 offset:860
	buffer_load_dword v106, off, s[0:3], 0 offset:836
	buffer_load_dword v105, off, s[0:3], 0 offset:832
	ds_read_b128 v[6:9], v1 offset:1552
	s_clause 0x4
	buffer_load_dword v112, off, s[0:3], 0 offset:876
	buffer_load_dword v113, off, s[0:3], 0 offset:888
	;; [unrolled: 1-line block ×5, first 2 shown]
	s_mov_b32 s4, exec_lo
	s_waitcnt vmcnt(62) lgkmcnt(1)
	v_mul_f64 v[107:108], v[4:5], v[10:11]
	v_mul_f64 v[109:110], v[2:3], v[10:11]
	s_waitcnt vmcnt(60) lgkmcnt(0)
	v_mul_f64 v[116:117], v[8:9], v[14:15]
	ds_read_b128 v[10:13], v1 offset:1568
	v_mul_f64 v[14:15], v[6:7], v[14:15]
	s_waitcnt vmcnt(58)
	v_fma_f64 v[107:108], v[2:3], v[16:17], -v[107:108]
	v_fma_f64 v[16:17], v[4:5], v[16:17], v[109:110]
	s_clause 0x2
	buffer_load_dword v114, off, s[0:3], 0 offset:892
	buffer_load_dword v110, off, s[0:3], 0 offset:868
	buffer_load_dword v109, off, s[0:3], 0 offset:864
	s_waitcnt vmcnt(59) lgkmcnt(0)
	v_mul_f64 v[118:119], v[10:11], v[18:19]
	v_mul_f64 v[18:19], v[12:13], v[18:19]
	s_waitcnt vmcnt(57)
	v_fma_f64 v[120:121], v[6:7], v[20:21], -v[116:117]
	ds_read_b128 v[2:5], v1 offset:1584
	v_fma_f64 v[14:15], v[8:9], v[20:21], v[14:15]
	s_clause 0x4
	buffer_load_dword v21, off, s[0:3], 0 offset:908
	buffer_load_dword v117, off, s[0:3], 0 offset:920
	;; [unrolled: 1-line block ×5, first 2 shown]
	ds_read_b128 v[6:9], v1 offset:1600
	v_add_f64 v[107:108], v[107:108], 0
	v_add_f64 v[16:17], v[16:17], 0
	s_waitcnt vmcnt(58) lgkmcnt(1)
	v_mul_f64 v[123:124], v[2:3], v[22:23]
	v_mul_f64 v[22:23], v[4:5], v[22:23]
	s_waitcnt vmcnt(56)
	v_fma_f64 v[18:19], v[10:11], v[28:29], -v[18:19]
	v_fma_f64 v[28:29], v[12:13], v[28:29], v[118:119]
	v_add_f64 v[107:108], v[107:108], v[120:121]
	v_add_f64 v[14:15], v[16:17], v[14:15]
	s_clause 0x2
	buffer_load_dword v118, off, s[0:3], 0 offset:924
	buffer_load_dword v17, off, s[0:3], 0 offset:900
	buffer_load_dword v16, off, s[0:3], 0 offset:896
	s_waitcnt vmcnt(58) lgkmcnt(0)
	v_mul_f64 v[119:120], v[6:7], v[24:25]
	v_mul_f64 v[24:25], v[8:9], v[24:25]
	s_waitcnt vmcnt(56)
	v_fma_f64 v[22:23], v[2:3], v[30:31], -v[22:23]
	ds_read_b128 v[10:13], v1 offset:1616
	v_fma_f64 v[30:31], v[4:5], v[30:31], v[123:124]
	v_add_f64 v[18:19], v[107:108], v[18:19]
	v_add_f64 v[14:15], v[14:15], v[28:29]
	s_clause 0x2
	buffer_load_dword v29, off, s[0:3], 0 offset:940
	buffer_load_dword v28, off, s[0:3], 0 offset:936
	;; [unrolled: 1-line block ×3, first 2 shown]
	ds_read_b128 v[2:5], v1 offset:1632
	s_waitcnt vmcnt(55) lgkmcnt(1)
	v_mul_f64 v[107:108], v[10:11], v[32:33]
	v_mul_f64 v[32:33], v[12:13], v[32:33]
	s_waitcnt vmcnt(54)
	v_fma_f64 v[24:25], v[6:7], v[26:27], -v[24:25]
	v_add_f64 v[18:19], v[18:19], v[22:23]
	v_fma_f64 v[22:23], v[8:9], v[26:27], v[119:120]
	v_add_f64 v[14:15], v[14:15], v[30:31]
	s_clause 0x1
	buffer_load_dword v27, off, s[0:3], 0 offset:932
	buffer_load_dword v26, off, s[0:3], 0 offset:928
	s_waitcnt vmcnt(55) lgkmcnt(0)
	v_mul_f64 v[30:31], v[2:3], v[34:35]
	v_mul_f64 v[34:35], v[4:5], v[34:35]
	s_waitcnt vmcnt(53)
	v_fma_f64 v[32:33], v[10:11], v[38:39], -v[32:33]
	ds_read_b128 v[6:9], v1 offset:1648
	v_add_f64 v[18:19], v[18:19], v[24:25]
	v_fma_f64 v[24:25], v[12:13], v[38:39], v[107:108]
	v_add_f64 v[14:15], v[14:15], v[22:23]
	ds_read_b128 v[10:13], v1 offset:1664
	s_waitcnt vmcnt(48)
	v_fma_f64 v[30:31], v[4:5], v[36:37], v[30:31]
	s_waitcnt lgkmcnt(1)
	v_mul_f64 v[38:39], v[8:9], v[40:41]
	v_fma_f64 v[34:35], v[2:3], v[36:37], -v[34:35]
	v_mul_f64 v[22:23], v[6:7], v[40:41]
	v_add_f64 v[18:19], v[18:19], v[32:33]
	s_waitcnt vmcnt(47) lgkmcnt(0)
	v_mul_f64 v[40:41], v[12:13], v[42:43]
	v_add_f64 v[14:15], v[14:15], v[24:25]
	s_clause 0x3
	buffer_load_dword v24, off, s[0:3], 0 offset:608
	buffer_load_dword v25, off, s[0:3], 0 offset:612
	buffer_load_dword v32, off, s[0:3], 0 offset:616
	buffer_load_dword v33, off, s[0:3], 0 offset:620
	ds_read_b128 v[2:5], v1 offset:1680
	s_waitcnt vmcnt(49)
	v_fma_f64 v[38:39], v[6:7], v[46:47], -v[38:39]
	v_mul_f64 v[36:37], v[10:11], v[42:43]
	v_fma_f64 v[22:23], v[8:9], v[46:47], v[22:23]
	ds_read_b128 v[6:9], v1 offset:1696
	v_add_f64 v[18:19], v[18:19], v[34:35]
	s_waitcnt vmcnt(44)
	v_fma_f64 v[40:41], v[10:11], v[44:45], -v[40:41]
	v_add_f64 v[14:15], v[14:15], v[30:31]
	s_waitcnt lgkmcnt(1)
	v_mul_f64 v[34:35], v[4:5], v[48:49]
	v_mul_f64 v[30:31], v[2:3], v[48:49]
	v_fma_f64 v[36:37], v[12:13], v[44:45], v[36:37]
	ds_read_b128 v[10:13], v1 offset:1712
	v_add_f64 v[18:19], v[18:19], v[38:39]
	s_waitcnt vmcnt(43) lgkmcnt(1)
	v_mul_f64 v[38:39], v[8:9], v[50:51]
	v_add_f64 v[14:15], v[14:15], v[22:23]
	s_waitcnt vmcnt(41)
	v_fma_f64 v[34:35], v[2:3], v[54:55], -v[34:35]
	v_mul_f64 v[22:23], v[6:7], v[50:51]
	v_fma_f64 v[30:31], v[4:5], v[54:55], v[30:31]
	ds_read_b128 v[2:5], v1 offset:1728
	v_add_f64 v[18:19], v[18:19], v[40:41]
	s_waitcnt vmcnt(37) lgkmcnt(1)
	v_mul_f64 v[40:41], v[12:13], v[56:57]
	v_add_f64 v[14:15], v[14:15], v[36:37]
	s_waitcnt vmcnt(36)
	v_fma_f64 v[38:39], v[6:7], v[52:53], -v[38:39]
	;; [unrolled: 9-line block ×6, first 2 shown]
	v_mul_f64 v[30:31], v[2:3], v[111:112]
	v_fma_f64 v[36:37], v[12:13], v[103:104], v[36:37]
	ds_read_b128 v[10:13], v1 offset:1808
	v_add_f64 v[18:19], v[18:19], v[38:39]
	v_add_f64 v[14:15], v[14:15], v[22:23]
	s_waitcnt vmcnt(19) lgkmcnt(1)
	v_mul_f64 v[38:39], v[8:9], v[113:114]
	v_mul_f64 v[22:23], v[6:7], v[113:114]
	s_waitcnt vmcnt(17)
	v_fma_f64 v[34:35], v[2:3], v[109:110], -v[34:35]
	v_fma_f64 v[30:31], v[4:5], v[109:110], v[30:31]
	ds_read_b128 v[2:5], v1 offset:1824
	v_add_f64 v[18:19], v[18:19], v[40:41]
	v_add_f64 v[14:15], v[14:15], v[36:37]
	s_waitcnt vmcnt(13) lgkmcnt(1)
	v_mul_f64 v[36:37], v[10:11], v[20:21]
	v_mul_f64 v[20:21], v[12:13], v[20:21]
	s_waitcnt vmcnt(12)
	v_fma_f64 v[38:39], v[6:7], v[115:116], -v[38:39]
	v_fma_f64 v[22:23], v[8:9], v[115:116], v[22:23]
	ds_read_b128 v[6:9], v1 offset:1840
	v_add_f64 v[18:19], v[18:19], v[34:35]
	v_add_f64 v[14:15], v[14:15], v[30:31]
	s_waitcnt vmcnt(11) lgkmcnt(1)
	v_mul_f64 v[34:35], v[4:5], v[117:118]
	v_mul_f64 v[30:31], v[2:3], v[117:118]
	s_waitcnt vmcnt(9)
	v_fma_f64 v[10:11], v[10:11], v[16:17], -v[20:21]
	v_fma_f64 v[12:13], v[12:13], v[16:17], v[36:37]
	v_add_f64 v[18:19], v[18:19], v[38:39]
	v_add_f64 v[14:15], v[14:15], v[22:23]
	s_waitcnt vmcnt(7) lgkmcnt(0)
	v_mul_f64 v[20:21], v[8:9], v[28:29]
	s_waitcnt vmcnt(6)
	v_fma_f64 v[1:2], v[2:3], v[122:123], -v[34:35]
	v_mul_f64 v[16:17], v[6:7], v[28:29]
	v_fma_f64 v[3:4], v[4:5], v[122:123], v[30:31]
	v_add_f64 v[10:11], v[18:19], v[10:11]
	v_add_f64 v[12:13], v[14:15], v[12:13]
	s_waitcnt vmcnt(4)
	v_fma_f64 v[5:6], v[6:7], v[26:27], -v[20:21]
	v_fma_f64 v[7:8], v[8:9], v[26:27], v[16:17]
	v_add_f64 v[1:2], v[10:11], v[1:2]
	v_add_f64 v[3:4], v[12:13], v[3:4]
	v_add_f64 v[1:2], v[1:2], v[5:6]
	v_add_f64 v[3:4], v[3:4], v[7:8]
	s_waitcnt vmcnt(2)
	v_add_f64 v[1:2], v[24:25], -v[1:2]
	s_waitcnt vmcnt(0)
	v_add_f64 v[3:4], v[32:33], -v[3:4]
	buffer_store_dword v2, off, s[0:3], 0 offset:612
	buffer_store_dword v1, off, s[0:3], 0 offset:608
	;; [unrolled: 1-line block ×4, first 2 shown]
	v_cmpx_lt_u32_e32 36, v0
	s_cbranch_execz .LBB57_289
; %bb.288:
	v_mov_b32_e32 v4, s34
	v_mov_b32_e32 v5, 0
	s_clause 0x3
	buffer_load_dword v1, v4, s[0:3], 0 offen
	buffer_load_dword v2, v4, s[0:3], 0 offen offset:4
	buffer_load_dword v3, v4, s[0:3], 0 offen offset:8
	;; [unrolled: 1-line block ×3, first 2 shown]
	buffer_store_dword v5, off, s[0:3], 0 offset:592
	buffer_store_dword v5, off, s[0:3], 0 offset:596
	buffer_store_dword v5, off, s[0:3], 0 offset:600
	buffer_store_dword v5, off, s[0:3], 0 offset:604
	s_waitcnt vmcnt(0)
	ds_write_b128 v63, v[1:4]
.LBB57_289:
	s_or_b32 exec_lo, exec_lo, s4
	s_waitcnt lgkmcnt(0)
	s_waitcnt_vscnt null, 0x0
	s_barrier
	buffer_gl0_inv
	s_clause 0x37
	buffer_load_dword v10, off, s[0:3], 0 offset:616
	buffer_load_dword v11, off, s[0:3], 0 offset:620
	;; [unrolled: 1-line block ×56, first 2 shown]
	v_mov_b32_e32 v1, 0
	s_mov_b32 s4, exec_lo
	ds_read_b128 v[2:5], v1 offset:1520
	s_clause 0x2
	buffer_load_dword v102, off, s[0:3], 0 offset:844
	buffer_load_dword v106, off, s[0:3], 0 offset:820
	;; [unrolled: 1-line block ×3, first 2 shown]
	ds_read_b128 v[6:9], v1 offset:1536
	s_clause 0x4
	buffer_load_dword v112, off, s[0:3], 0 offset:860
	buffer_load_dword v113, off, s[0:3], 0 offset:872
	;; [unrolled: 1-line block ×5, first 2 shown]
	s_waitcnt vmcnt(62) lgkmcnt(1)
	v_mul_f64 v[107:108], v[4:5], v[10:11]
	v_mul_f64 v[109:110], v[2:3], v[10:11]
	s_waitcnt vmcnt(60) lgkmcnt(0)
	v_mul_f64 v[116:117], v[8:9], v[14:15]
	ds_read_b128 v[10:13], v1 offset:1552
	v_mul_f64 v[14:15], v[6:7], v[14:15]
	s_waitcnt vmcnt(58)
	v_fma_f64 v[107:108], v[2:3], v[16:17], -v[107:108]
	v_fma_f64 v[16:17], v[4:5], v[16:17], v[109:110]
	s_clause 0x2
	buffer_load_dword v114, off, s[0:3], 0 offset:876
	buffer_load_dword v110, off, s[0:3], 0 offset:852
	;; [unrolled: 1-line block ×3, first 2 shown]
	s_waitcnt vmcnt(59) lgkmcnt(0)
	v_mul_f64 v[118:119], v[10:11], v[18:19]
	v_mul_f64 v[18:19], v[12:13], v[18:19]
	s_waitcnt vmcnt(57)
	v_fma_f64 v[120:121], v[6:7], v[20:21], -v[116:117]
	ds_read_b128 v[2:5], v1 offset:1568
	v_fma_f64 v[14:15], v[8:9], v[20:21], v[14:15]
	s_clause 0x4
	buffer_load_dword v21, off, s[0:3], 0 offset:892
	buffer_load_dword v117, off, s[0:3], 0 offset:904
	;; [unrolled: 1-line block ×5, first 2 shown]
	ds_read_b128 v[6:9], v1 offset:1584
	v_add_f64 v[107:108], v[107:108], 0
	v_add_f64 v[16:17], v[16:17], 0
	s_waitcnt vmcnt(58) lgkmcnt(1)
	v_mul_f64 v[123:124], v[2:3], v[22:23]
	v_mul_f64 v[22:23], v[4:5], v[22:23]
	s_waitcnt vmcnt(56)
	v_fma_f64 v[18:19], v[10:11], v[28:29], -v[18:19]
	v_fma_f64 v[28:29], v[12:13], v[28:29], v[118:119]
	v_add_f64 v[107:108], v[107:108], v[120:121]
	v_add_f64 v[14:15], v[16:17], v[14:15]
	s_clause 0x2
	buffer_load_dword v118, off, s[0:3], 0 offset:908
	buffer_load_dword v17, off, s[0:3], 0 offset:884
	;; [unrolled: 1-line block ×3, first 2 shown]
	s_waitcnt vmcnt(58) lgkmcnt(0)
	v_mul_f64 v[119:120], v[6:7], v[24:25]
	v_mul_f64 v[24:25], v[8:9], v[24:25]
	s_waitcnt vmcnt(56)
	v_fma_f64 v[22:23], v[2:3], v[30:31], -v[22:23]
	ds_read_b128 v[10:13], v1 offset:1600
	v_fma_f64 v[30:31], v[4:5], v[30:31], v[123:124]
	v_add_f64 v[18:19], v[107:108], v[18:19]
	v_add_f64 v[14:15], v[14:15], v[28:29]
	s_clause 0x4
	buffer_load_dword v29, off, s[0:3], 0 offset:924
	buffer_load_dword v107, off, s[0:3], 0 offset:936
	buffer_load_dword v124, off, s[0:3], 0 offset:928
	buffer_load_dword v28, off, s[0:3], 0 offset:920
	buffer_load_dword v123, off, s[0:3], 0 offset:900
	ds_read_b128 v[2:5], v1 offset:1616
	s_waitcnt vmcnt(57) lgkmcnt(1)
	v_mul_f64 v[125:126], v[10:11], v[32:33]
	v_mul_f64 v[32:33], v[12:13], v[32:33]
	s_waitcnt vmcnt(56)
	v_fma_f64 v[24:25], v[6:7], v[26:27], -v[24:25]
	v_add_f64 v[18:19], v[18:19], v[22:23]
	v_fma_f64 v[22:23], v[8:9], v[26:27], v[119:120]
	v_add_f64 v[14:15], v[14:15], v[30:31]
	s_clause 0x2
	buffer_load_dword v108, off, s[0:3], 0 offset:940
	buffer_load_dword v27, off, s[0:3], 0 offset:916
	;; [unrolled: 1-line block ×3, first 2 shown]
	s_waitcnt vmcnt(58) lgkmcnt(0)
	v_mul_f64 v[30:31], v[2:3], v[34:35]
	v_mul_f64 v[34:35], v[4:5], v[34:35]
	s_waitcnt vmcnt(56)
	v_fma_f64 v[32:33], v[10:11], v[38:39], -v[32:33]
	ds_read_b128 v[6:9], v1 offset:1632
	v_add_f64 v[18:19], v[18:19], v[24:25]
	v_fma_f64 v[24:25], v[12:13], v[38:39], v[125:126]
	v_add_f64 v[14:15], v[14:15], v[22:23]
	buffer_load_dword v125, off, s[0:3], 0 offset:932
	ds_read_b128 v[10:13], v1 offset:1648
	s_waitcnt vmcnt(53) lgkmcnt(1)
	v_mul_f64 v[38:39], v[8:9], v[40:41]
	s_waitcnt vmcnt(52)
	v_fma_f64 v[34:35], v[2:3], v[36:37], -v[34:35]
	v_mul_f64 v[22:23], v[6:7], v[40:41]
	v_fma_f64 v[30:31], v[4:5], v[36:37], v[30:31]
	ds_read_b128 v[2:5], v1 offset:1664
	v_add_f64 v[18:19], v[18:19], v[32:33]
	v_add_f64 v[14:15], v[14:15], v[24:25]
	s_waitcnt vmcnt(51) lgkmcnt(1)
	v_mul_f64 v[32:33], v[12:13], v[42:43]
	v_mul_f64 v[24:25], v[10:11], v[42:43]
	s_waitcnt vmcnt(49)
	v_fma_f64 v[36:37], v[6:7], v[46:47], -v[38:39]
	v_fma_f64 v[22:23], v[8:9], v[46:47], v[22:23]
	s_waitcnt vmcnt(45) lgkmcnt(0)
	v_mul_f64 v[40:41], v[4:5], v[48:49]
	v_mul_f64 v[38:39], v[2:3], v[48:49]
	v_add_f64 v[18:19], v[18:19], v[34:35]
	v_add_f64 v[14:15], v[14:15], v[30:31]
	s_clause 0x3
	buffer_load_dword v30, off, s[0:3], 0 offset:592
	buffer_load_dword v31, off, s[0:3], 0 offset:596
	;; [unrolled: 1-line block ×4, first 2 shown]
	s_waitcnt vmcnt(48)
	v_fma_f64 v[32:33], v[10:11], v[44:45], -v[32:33]
	ds_read_b128 v[6:9], v1 offset:1680
	v_fma_f64 v[24:25], v[12:13], v[44:45], v[24:25]
	ds_read_b128 v[10:13], v1 offset:1696
	s_waitcnt vmcnt(45)
	v_fma_f64 v[40:41], v[2:3], v[54:55], -v[40:41]
	v_add_f64 v[18:19], v[18:19], v[36:37]
	v_add_f64 v[14:15], v[14:15], v[22:23]
	s_waitcnt lgkmcnt(1)
	v_mul_f64 v[36:37], v[8:9], v[50:51]
	v_mul_f64 v[22:23], v[6:7], v[50:51]
	v_add_f64 v[18:19], v[18:19], v[32:33]
	v_fma_f64 v[32:33], v[4:5], v[54:55], v[38:39]
	v_add_f64 v[14:15], v[14:15], v[24:25]
	s_waitcnt vmcnt(41) lgkmcnt(0)
	v_mul_f64 v[38:39], v[12:13], v[56:57]
	s_waitcnt vmcnt(40)
	v_fma_f64 v[36:37], v[6:7], v[52:53], -v[36:37]
	ds_read_b128 v[2:5], v1 offset:1712
	v_mul_f64 v[24:25], v[10:11], v[56:57]
	v_fma_f64 v[22:23], v[8:9], v[52:53], v[22:23]
	ds_read_b128 v[6:9], v1 offset:1728
	v_add_f64 v[18:19], v[18:19], v[40:41]
	v_add_f64 v[14:15], v[14:15], v[32:33]
	s_waitcnt vmcnt(39) lgkmcnt(1)
	v_mul_f64 v[40:41], v[4:5], v[58:59]
	s_waitcnt vmcnt(37)
	v_fma_f64 v[38:39], v[10:11], v[93:94], -v[38:39]
	v_mul_f64 v[32:33], v[2:3], v[58:59]
	v_fma_f64 v[24:25], v[12:13], v[93:94], v[24:25]
	ds_read_b128 v[10:13], v1 offset:1744
	v_add_f64 v[18:19], v[18:19], v[36:37]
	s_waitcnt vmcnt(33) lgkmcnt(1)
	v_mul_f64 v[36:37], v[8:9], v[95:96]
	v_add_f64 v[14:15], v[14:15], v[22:23]
	s_waitcnt vmcnt(32)
	v_fma_f64 v[40:41], v[2:3], v[60:61], -v[40:41]
	v_mul_f64 v[22:23], v[6:7], v[95:96]
	v_fma_f64 v[32:33], v[4:5], v[60:61], v[32:33]
	ds_read_b128 v[2:5], v1 offset:1760
	v_add_f64 v[18:19], v[18:19], v[38:39]
	s_waitcnt vmcnt(31) lgkmcnt(1)
	v_mul_f64 v[38:39], v[12:13], v[101:102]
	v_add_f64 v[14:15], v[14:15], v[24:25]
	;; [unrolled: 9-line block ×3, first 2 shown]
	s_waitcnt vmcnt(24)
	v_fma_f64 v[38:39], v[10:11], v[103:104], -v[38:39]
	v_mul_f64 v[32:33], v[2:3], v[111:112]
	v_fma_f64 v[24:25], v[12:13], v[103:104], v[24:25]
	ds_read_b128 v[10:13], v1 offset:1792
	v_add_f64 v[18:19], v[18:19], v[36:37]
	v_add_f64 v[14:15], v[14:15], v[22:23]
	s_waitcnt vmcnt(23) lgkmcnt(1)
	v_mul_f64 v[36:37], v[8:9], v[113:114]
	v_mul_f64 v[22:23], v[6:7], v[113:114]
	s_waitcnt vmcnt(21)
	v_fma_f64 v[40:41], v[2:3], v[109:110], -v[40:41]
	v_fma_f64 v[32:33], v[4:5], v[109:110], v[32:33]
	ds_read_b128 v[2:5], v1 offset:1808
	v_add_f64 v[18:19], v[18:19], v[38:39]
	v_add_f64 v[14:15], v[14:15], v[24:25]
	s_waitcnt vmcnt(17) lgkmcnt(1)
	v_mul_f64 v[24:25], v[10:11], v[20:21]
	v_mul_f64 v[20:21], v[12:13], v[20:21]
	s_waitcnt vmcnt(16)
	v_fma_f64 v[36:37], v[6:7], v[115:116], -v[36:37]
	;; [unrolled: 9-line block ×3, first 2 shown]
	v_fma_f64 v[16:17], v[12:13], v[16:17], v[24:25]
	ds_read_b128 v[10:13], v1 offset:1840
	v_add_f64 v[18:19], v[18:19], v[36:37]
	v_add_f64 v[14:15], v[14:15], v[22:23]
	s_waitcnt vmcnt(9) lgkmcnt(1)
	v_mul_f64 v[24:25], v[8:9], v[28:29]
	s_waitcnt vmcnt(8)
	v_fma_f64 v[2:3], v[2:3], v[122:123], -v[38:39]
	v_mul_f64 v[22:23], v[6:7], v[28:29]
	v_fma_f64 v[4:5], v[4:5], v[122:123], v[32:33]
	v_add_f64 v[18:19], v[18:19], v[20:21]
	v_add_f64 v[14:15], v[14:15], v[16:17]
	s_waitcnt vmcnt(7) lgkmcnt(0)
	v_mul_f64 v[20:21], v[12:13], v[107:108]
	v_mul_f64 v[16:17], v[10:11], v[107:108]
	s_waitcnt vmcnt(5)
	v_fma_f64 v[6:7], v[6:7], v[26:27], -v[24:25]
	v_fma_f64 v[8:9], v[8:9], v[26:27], v[22:23]
	v_add_f64 v[2:3], v[18:19], v[2:3]
	v_add_f64 v[4:5], v[14:15], v[4:5]
	s_waitcnt vmcnt(4)
	v_fma_f64 v[10:11], v[10:11], v[124:125], -v[20:21]
	v_add_f64 v[2:3], v[2:3], v[6:7]
	v_fma_f64 v[6:7], v[12:13], v[124:125], v[16:17]
	v_add_f64 v[4:5], v[4:5], v[8:9]
	v_add_f64 v[2:3], v[2:3], v[10:11]
	;; [unrolled: 1-line block ×3, first 2 shown]
	s_waitcnt vmcnt(2)
	v_add_f64 v[2:3], v[30:31], -v[2:3]
	s_waitcnt vmcnt(0)
	v_add_f64 v[4:5], v[34:35], -v[4:5]
	buffer_store_dword v3, off, s[0:3], 0 offset:596
	buffer_store_dword v2, off, s[0:3], 0 offset:592
	;; [unrolled: 1-line block ×4, first 2 shown]
	v_cmpx_lt_u32_e32 35, v0
	s_cbranch_execz .LBB57_291
; %bb.290:
	v_mov_b32_e32 v5, s35
	s_clause 0x3
	buffer_load_dword v2, v5, s[0:3], 0 offen
	buffer_load_dword v3, v5, s[0:3], 0 offen offset:4
	buffer_load_dword v4, v5, s[0:3], 0 offen offset:8
	;; [unrolled: 1-line block ×3, first 2 shown]
	buffer_store_dword v1, off, s[0:3], 0 offset:576
	buffer_store_dword v1, off, s[0:3], 0 offset:580
	;; [unrolled: 1-line block ×4, first 2 shown]
	s_waitcnt vmcnt(0)
	ds_write_b128 v63, v[2:5]
.LBB57_291:
	s_or_b32 exec_lo, exec_lo, s4
	s_waitcnt lgkmcnt(0)
	s_waitcnt_vscnt null, 0x0
	s_barrier
	buffer_gl0_inv
	s_clause 0x37
	buffer_load_dword v10, off, s[0:3], 0 offset:600
	buffer_load_dword v11, off, s[0:3], 0 offset:604
	;; [unrolled: 1-line block ×56, first 2 shown]
	ds_read_b128 v[2:5], v1 offset:1504
	s_clause 0x2
	buffer_load_dword v102, off, s[0:3], 0 offset:828
	buffer_load_dword v106, off, s[0:3], 0 offset:804
	;; [unrolled: 1-line block ×3, first 2 shown]
	ds_read_b128 v[6:9], v1 offset:1520
	s_clause 0x4
	buffer_load_dword v112, off, s[0:3], 0 offset:844
	buffer_load_dword v113, off, s[0:3], 0 offset:856
	;; [unrolled: 1-line block ×5, first 2 shown]
	s_mov_b32 s4, exec_lo
	s_waitcnt vmcnt(62) lgkmcnt(1)
	v_mul_f64 v[107:108], v[4:5], v[10:11]
	v_mul_f64 v[109:110], v[2:3], v[10:11]
	s_waitcnt vmcnt(60) lgkmcnt(0)
	v_mul_f64 v[116:117], v[8:9], v[14:15]
	ds_read_b128 v[10:13], v1 offset:1536
	v_mul_f64 v[14:15], v[6:7], v[14:15]
	s_waitcnt vmcnt(58)
	v_fma_f64 v[107:108], v[2:3], v[16:17], -v[107:108]
	v_fma_f64 v[16:17], v[4:5], v[16:17], v[109:110]
	s_clause 0x2
	buffer_load_dword v114, off, s[0:3], 0 offset:860
	buffer_load_dword v110, off, s[0:3], 0 offset:836
	buffer_load_dword v109, off, s[0:3], 0 offset:832
	s_waitcnt vmcnt(59) lgkmcnt(0)
	v_mul_f64 v[118:119], v[10:11], v[18:19]
	v_mul_f64 v[18:19], v[12:13], v[18:19]
	s_waitcnt vmcnt(57)
	v_fma_f64 v[120:121], v[6:7], v[20:21], -v[116:117]
	ds_read_b128 v[2:5], v1 offset:1552
	v_fma_f64 v[14:15], v[8:9], v[20:21], v[14:15]
	s_clause 0x4
	buffer_load_dword v21, off, s[0:3], 0 offset:876
	buffer_load_dword v117, off, s[0:3], 0 offset:888
	;; [unrolled: 1-line block ×5, first 2 shown]
	ds_read_b128 v[6:9], v1 offset:1568
	v_add_f64 v[107:108], v[107:108], 0
	v_add_f64 v[16:17], v[16:17], 0
	s_waitcnt vmcnt(58) lgkmcnt(1)
	v_mul_f64 v[123:124], v[2:3], v[22:23]
	v_mul_f64 v[22:23], v[4:5], v[22:23]
	s_waitcnt vmcnt(56)
	v_fma_f64 v[18:19], v[10:11], v[28:29], -v[18:19]
	v_fma_f64 v[28:29], v[12:13], v[28:29], v[118:119]
	v_add_f64 v[107:108], v[107:108], v[120:121]
	v_add_f64 v[14:15], v[16:17], v[14:15]
	s_clause 0x2
	buffer_load_dword v118, off, s[0:3], 0 offset:892
	buffer_load_dword v17, off, s[0:3], 0 offset:868
	;; [unrolled: 1-line block ×3, first 2 shown]
	s_waitcnt vmcnt(58) lgkmcnt(0)
	v_mul_f64 v[119:120], v[6:7], v[24:25]
	v_mul_f64 v[24:25], v[8:9], v[24:25]
	s_waitcnt vmcnt(56)
	v_fma_f64 v[22:23], v[2:3], v[30:31], -v[22:23]
	ds_read_b128 v[10:13], v1 offset:1584
	v_fma_f64 v[30:31], v[4:5], v[30:31], v[123:124]
	v_add_f64 v[18:19], v[107:108], v[18:19]
	v_add_f64 v[14:15], v[14:15], v[28:29]
	s_clause 0x4
	buffer_load_dword v29, off, s[0:3], 0 offset:908
	buffer_load_dword v107, off, s[0:3], 0 offset:920
	;; [unrolled: 1-line block ×5, first 2 shown]
	ds_read_b128 v[2:5], v1 offset:1600
	s_waitcnt vmcnt(57) lgkmcnt(1)
	v_mul_f64 v[125:126], v[10:11], v[32:33]
	v_mul_f64 v[32:33], v[12:13], v[32:33]
	s_waitcnt vmcnt(56)
	v_fma_f64 v[24:25], v[6:7], v[26:27], -v[24:25]
	v_add_f64 v[18:19], v[18:19], v[22:23]
	v_fma_f64 v[22:23], v[8:9], v[26:27], v[119:120]
	v_add_f64 v[14:15], v[14:15], v[30:31]
	s_clause 0x2
	buffer_load_dword v108, off, s[0:3], 0 offset:924
	buffer_load_dword v27, off, s[0:3], 0 offset:900
	;; [unrolled: 1-line block ×3, first 2 shown]
	s_waitcnt vmcnt(58) lgkmcnt(0)
	v_mul_f64 v[30:31], v[2:3], v[34:35]
	v_mul_f64 v[34:35], v[4:5], v[34:35]
	s_waitcnt vmcnt(56)
	v_fma_f64 v[32:33], v[10:11], v[38:39], -v[32:33]
	ds_read_b128 v[6:9], v1 offset:1616
	v_add_f64 v[18:19], v[18:19], v[24:25]
	v_fma_f64 v[24:25], v[12:13], v[38:39], v[125:126]
	v_add_f64 v[14:15], v[14:15], v[22:23]
	s_clause 0x2
	buffer_load_dword v23, off, s[0:3], 0 offset:940
	buffer_load_dword v22, off, s[0:3], 0 offset:936
	;; [unrolled: 1-line block ×3, first 2 shown]
	ds_read_b128 v[10:13], v1 offset:1632
	s_waitcnt vmcnt(55) lgkmcnt(1)
	v_mul_f64 v[38:39], v[6:7], v[40:41]
	v_mul_f64 v[40:41], v[8:9], v[40:41]
	s_waitcnt vmcnt(54)
	v_fma_f64 v[34:35], v[2:3], v[36:37], -v[34:35]
	v_fma_f64 v[30:31], v[4:5], v[36:37], v[30:31]
	v_add_f64 v[18:19], v[18:19], v[32:33]
	v_add_f64 v[14:15], v[14:15], v[24:25]
	s_clause 0x1
	buffer_load_dword v25, off, s[0:3], 0 offset:932
	buffer_load_dword v24, off, s[0:3], 0 offset:928
	s_waitcnt vmcnt(55) lgkmcnt(0)
	v_mul_f64 v[36:37], v[12:13], v[42:43]
	ds_read_b128 v[2:5], v1 offset:1648
	s_waitcnt vmcnt(53)
	v_fma_f64 v[40:41], v[6:7], v[46:47], -v[40:41]
	v_mul_f64 v[32:33], v[10:11], v[42:43]
	v_add_f64 v[18:19], v[18:19], v[34:35]
	v_fma_f64 v[34:35], v[8:9], v[46:47], v[38:39]
	v_add_f64 v[14:15], v[14:15], v[30:31]
	ds_read_b128 v[6:9], v1 offset:1664
	s_waitcnt vmcnt(49) lgkmcnt(1)
	v_mul_f64 v[38:39], v[4:5], v[48:49]
	s_waitcnt vmcnt(48)
	v_fma_f64 v[36:37], v[10:11], v[44:45], -v[36:37]
	v_mul_f64 v[30:31], v[2:3], v[48:49]
	v_fma_f64 v[32:33], v[12:13], v[44:45], v[32:33]
	v_add_f64 v[18:19], v[18:19], v[40:41]
	s_waitcnt vmcnt(47) lgkmcnt(0)
	v_mul_f64 v[44:45], v[8:9], v[50:51]
	v_add_f64 v[14:15], v[14:15], v[34:35]
	s_clause 0x3
	buffer_load_dword v34, off, s[0:3], 0 offset:576
	buffer_load_dword v35, off, s[0:3], 0 offset:580
	;; [unrolled: 1-line block ×4, first 2 shown]
	s_waitcnt vmcnt(49)
	v_fma_f64 v[38:39], v[2:3], v[54:55], -v[38:39]
	ds_read_b128 v[10:13], v1 offset:1680
	v_mul_f64 v[42:43], v[6:7], v[50:51]
	v_fma_f64 v[30:31], v[4:5], v[54:55], v[30:31]
	ds_read_b128 v[2:5], v1 offset:1696
	v_add_f64 v[18:19], v[18:19], v[36:37]
	s_waitcnt vmcnt(44)
	v_fma_f64 v[44:45], v[6:7], v[52:53], -v[44:45]
	v_add_f64 v[14:15], v[14:15], v[32:33]
	s_waitcnt lgkmcnt(1)
	v_mul_f64 v[36:37], v[12:13], v[56:57]
	v_mul_f64 v[32:33], v[10:11], v[56:57]
	v_add_f64 v[18:19], v[18:19], v[38:39]
	v_fma_f64 v[38:39], v[8:9], v[52:53], v[42:43]
	v_add_f64 v[14:15], v[14:15], v[30:31]
	s_waitcnt vmcnt(43) lgkmcnt(0)
	v_mul_f64 v[42:43], v[4:5], v[58:59]
	s_waitcnt vmcnt(41)
	v_fma_f64 v[36:37], v[10:11], v[93:94], -v[36:37]
	ds_read_b128 v[6:9], v1 offset:1712
	v_mul_f64 v[30:31], v[2:3], v[58:59]
	v_fma_f64 v[32:33], v[12:13], v[93:94], v[32:33]
	ds_read_b128 v[10:13], v1 offset:1728
	v_add_f64 v[18:19], v[18:19], v[44:45]
	v_add_f64 v[14:15], v[14:15], v[38:39]
	s_waitcnt vmcnt(37) lgkmcnt(1)
	v_mul_f64 v[44:45], v[8:9], v[95:96]
	s_waitcnt vmcnt(36)
	v_fma_f64 v[42:43], v[2:3], v[60:61], -v[42:43]
	v_mul_f64 v[38:39], v[6:7], v[95:96]
	v_fma_f64 v[30:31], v[4:5], v[60:61], v[30:31]
	ds_read_b128 v[2:5], v1 offset:1744
	v_add_f64 v[18:19], v[18:19], v[36:37]
	s_waitcnt vmcnt(35) lgkmcnt(1)
	v_mul_f64 v[36:37], v[12:13], v[101:102]
	v_add_f64 v[14:15], v[14:15], v[32:33]
	s_waitcnt vmcnt(33)
	v_fma_f64 v[44:45], v[6:7], v[105:106], -v[44:45]
	v_mul_f64 v[32:33], v[10:11], v[101:102]
	v_fma_f64 v[38:39], v[8:9], v[105:106], v[38:39]
	ds_read_b128 v[6:9], v1 offset:1760
	v_add_f64 v[18:19], v[18:19], v[42:43]
	s_waitcnt vmcnt(29) lgkmcnt(1)
	v_mul_f64 v[42:43], v[4:5], v[111:112]
	v_add_f64 v[14:15], v[14:15], v[30:31]
	s_waitcnt vmcnt(28)
	v_fma_f64 v[36:37], v[10:11], v[103:104], -v[36:37]
	v_mul_f64 v[30:31], v[2:3], v[111:112]
	v_fma_f64 v[32:33], v[12:13], v[103:104], v[32:33]
	ds_read_b128 v[10:13], v1 offset:1776
	v_add_f64 v[18:19], v[18:19], v[44:45]
	v_add_f64 v[14:15], v[14:15], v[38:39]
	s_waitcnt vmcnt(27) lgkmcnt(1)
	v_mul_f64 v[44:45], v[8:9], v[113:114]
	v_mul_f64 v[38:39], v[6:7], v[113:114]
	s_waitcnt vmcnt(25)
	v_fma_f64 v[42:43], v[2:3], v[109:110], -v[42:43]
	v_fma_f64 v[30:31], v[4:5], v[109:110], v[30:31]
	ds_read_b128 v[2:5], v1 offset:1792
	v_add_f64 v[18:19], v[18:19], v[36:37]
	v_add_f64 v[14:15], v[14:15], v[32:33]
	s_waitcnt vmcnt(21) lgkmcnt(1)
	v_mul_f64 v[32:33], v[10:11], v[20:21]
	v_mul_f64 v[20:21], v[12:13], v[20:21]
	s_waitcnt vmcnt(20)
	v_fma_f64 v[36:37], v[6:7], v[115:116], -v[44:45]
	;; [unrolled: 9-line block ×4, first 2 shown]
	v_add_f64 v[18:19], v[18:19], v[20:21]
	v_fma_f64 v[20:21], v[4:5], v[122:123], v[30:31]
	v_add_f64 v[14:15], v[14:15], v[16:17]
	ds_read_b128 v[1:4], v1 offset:1840
	s_waitcnt vmcnt(11) lgkmcnt(1)
	v_mul_f64 v[30:31], v[12:13], v[107:108]
	v_mul_f64 v[16:17], v[10:11], v[107:108]
	s_waitcnt vmcnt(9)
	v_fma_f64 v[5:6], v[6:7], v[26:27], -v[28:29]
	v_fma_f64 v[7:8], v[8:9], v[26:27], v[32:33]
	v_add_f64 v[18:19], v[18:19], v[36:37]
	v_add_f64 v[14:15], v[14:15], v[20:21]
	s_waitcnt vmcnt(7) lgkmcnt(0)
	v_mul_f64 v[20:21], v[1:2], v[22:23]
	v_mul_f64 v[22:23], v[3:4], v[22:23]
	s_waitcnt vmcnt(6)
	v_fma_f64 v[9:10], v[10:11], v[124:125], -v[30:31]
	v_fma_f64 v[11:12], v[12:13], v[124:125], v[16:17]
	v_add_f64 v[5:6], v[18:19], v[5:6]
	v_add_f64 v[7:8], v[14:15], v[7:8]
	s_waitcnt vmcnt(4)
	v_fma_f64 v[1:2], v[1:2], v[24:25], -v[22:23]
	v_fma_f64 v[3:4], v[3:4], v[24:25], v[20:21]
	v_add_f64 v[5:6], v[5:6], v[9:10]
	v_add_f64 v[7:8], v[7:8], v[11:12]
	;; [unrolled: 1-line block ×4, first 2 shown]
	s_waitcnt vmcnt(2)
	v_add_f64 v[1:2], v[34:35], -v[1:2]
	s_waitcnt vmcnt(0)
	v_add_f64 v[3:4], v[40:41], -v[3:4]
	buffer_store_dword v2, off, s[0:3], 0 offset:580
	buffer_store_dword v1, off, s[0:3], 0 offset:576
	;; [unrolled: 1-line block ×4, first 2 shown]
	v_cmpx_lt_u32_e32 34, v0
	s_cbranch_execz .LBB57_293
; %bb.292:
	v_mov_b32_e32 v4, s36
	v_mov_b32_e32 v5, 0
	s_clause 0x3
	buffer_load_dword v1, v4, s[0:3], 0 offen
	buffer_load_dword v2, v4, s[0:3], 0 offen offset:4
	buffer_load_dword v3, v4, s[0:3], 0 offen offset:8
	;; [unrolled: 1-line block ×3, first 2 shown]
	buffer_store_dword v5, off, s[0:3], 0 offset:560
	buffer_store_dword v5, off, s[0:3], 0 offset:564
	;; [unrolled: 1-line block ×4, first 2 shown]
	s_waitcnt vmcnt(0)
	ds_write_b128 v63, v[1:4]
.LBB57_293:
	s_or_b32 exec_lo, exec_lo, s4
	s_waitcnt lgkmcnt(0)
	s_waitcnt_vscnt null, 0x0
	s_barrier
	buffer_gl0_inv
	s_clause 0x37
	buffer_load_dword v10, off, s[0:3], 0 offset:584
	buffer_load_dword v11, off, s[0:3], 0 offset:588
	buffer_load_dword v14, off, s[0:3], 0 offset:600
	buffer_load_dword v15, off, s[0:3], 0 offset:604
	buffer_load_dword v16, off, s[0:3], 0 offset:576
	buffer_load_dword v17, off, s[0:3], 0 offset:580
	buffer_load_dword v18, off, s[0:3], 0 offset:616
	buffer_load_dword v19, off, s[0:3], 0 offset:620
	buffer_load_dword v20, off, s[0:3], 0 offset:592
	buffer_load_dword v21, off, s[0:3], 0 offset:596
	buffer_load_dword v23, off, s[0:3], 0 offset:636
	buffer_load_dword v24, off, s[0:3], 0 offset:648
	buffer_load_dword v26, off, s[0:3], 0 offset:640
	buffer_load_dword v22, off, s[0:3], 0 offset:632
	buffer_load_dword v28, off, s[0:3], 0 offset:608
	buffer_load_dword v29, off, s[0:3], 0 offset:612
	buffer_load_dword v25, off, s[0:3], 0 offset:652
	buffer_load_dword v31, off, s[0:3], 0 offset:628
	buffer_load_dword v30, off, s[0:3], 0 offset:624
	buffer_load_dword v33, off, s[0:3], 0 offset:668
	buffer_load_dword v34, off, s[0:3], 0 offset:680
	buffer_load_dword v36, off, s[0:3], 0 offset:672
	buffer_load_dword v32, off, s[0:3], 0 offset:664
	buffer_load_dword v27, off, s[0:3], 0 offset:644
	buffer_load_dword v35, off, s[0:3], 0 offset:684
	buffer_load_dword v39, off, s[0:3], 0 offset:660
	buffer_load_dword v38, off, s[0:3], 0 offset:656
	buffer_load_dword v41, off, s[0:3], 0 offset:700
	buffer_load_dword v42, off, s[0:3], 0 offset:712
	buffer_load_dword v44, off, s[0:3], 0 offset:704
	buffer_load_dword v40, off, s[0:3], 0 offset:696
	buffer_load_dword v37, off, s[0:3], 0 offset:676
	buffer_load_dword v43, off, s[0:3], 0 offset:716
	buffer_load_dword v47, off, s[0:3], 0 offset:692
	buffer_load_dword v46, off, s[0:3], 0 offset:688
	buffer_load_dword v49, off, s[0:3], 0 offset:732
	buffer_load_dword v50, off, s[0:3], 0 offset:744
	buffer_load_dword v52, off, s[0:3], 0 offset:736
	buffer_load_dword v48, off, s[0:3], 0 offset:728
	buffer_load_dword v45, off, s[0:3], 0 offset:708
	buffer_load_dword v51, off, s[0:3], 0 offset:748
	buffer_load_dword v55, off, s[0:3], 0 offset:724
	buffer_load_dword v54, off, s[0:3], 0 offset:720
	buffer_load_dword v57, off, s[0:3], 0 offset:764
	buffer_load_dword v58, off, s[0:3], 0 offset:776
	buffer_load_dword v60, off, s[0:3], 0 offset:768
	buffer_load_dword v56, off, s[0:3], 0 offset:760
	buffer_load_dword v53, off, s[0:3], 0 offset:740
	buffer_load_dword v59, off, s[0:3], 0 offset:780
	buffer_load_dword v94, off, s[0:3], 0 offset:756
	buffer_load_dword v93, off, s[0:3], 0 offset:752
	buffer_load_dword v96, off, s[0:3], 0 offset:796
	buffer_load_dword v101, off, s[0:3], 0 offset:808
	buffer_load_dword v103, off, s[0:3], 0 offset:800
	buffer_load_dword v95, off, s[0:3], 0 offset:792
	buffer_load_dword v61, off, s[0:3], 0 offset:772
	v_mov_b32_e32 v1, 0
	s_mov_b32 s4, exec_lo
	ds_read_b128 v[2:5], v1 offset:1488
	s_clause 0x2
	buffer_load_dword v102, off, s[0:3], 0 offset:812
	buffer_load_dword v106, off, s[0:3], 0 offset:788
	;; [unrolled: 1-line block ×3, first 2 shown]
	ds_read_b128 v[6:9], v1 offset:1504
	s_clause 0x4
	buffer_load_dword v112, off, s[0:3], 0 offset:828
	buffer_load_dword v113, off, s[0:3], 0 offset:840
	;; [unrolled: 1-line block ×5, first 2 shown]
	s_waitcnt vmcnt(62) lgkmcnt(1)
	v_mul_f64 v[107:108], v[4:5], v[10:11]
	v_mul_f64 v[109:110], v[2:3], v[10:11]
	s_waitcnt vmcnt(60) lgkmcnt(0)
	v_mul_f64 v[116:117], v[8:9], v[14:15]
	ds_read_b128 v[10:13], v1 offset:1520
	v_mul_f64 v[14:15], v[6:7], v[14:15]
	s_waitcnt vmcnt(58)
	v_fma_f64 v[107:108], v[2:3], v[16:17], -v[107:108]
	v_fma_f64 v[16:17], v[4:5], v[16:17], v[109:110]
	s_clause 0x2
	buffer_load_dword v114, off, s[0:3], 0 offset:844
	buffer_load_dword v110, off, s[0:3], 0 offset:820
	;; [unrolled: 1-line block ×3, first 2 shown]
	s_waitcnt vmcnt(59) lgkmcnt(0)
	v_mul_f64 v[118:119], v[10:11], v[18:19]
	v_mul_f64 v[18:19], v[12:13], v[18:19]
	s_waitcnt vmcnt(57)
	v_fma_f64 v[120:121], v[6:7], v[20:21], -v[116:117]
	ds_read_b128 v[2:5], v1 offset:1536
	v_fma_f64 v[14:15], v[8:9], v[20:21], v[14:15]
	s_clause 0x4
	buffer_load_dword v21, off, s[0:3], 0 offset:860
	buffer_load_dword v117, off, s[0:3], 0 offset:872
	;; [unrolled: 1-line block ×5, first 2 shown]
	ds_read_b128 v[6:9], v1 offset:1552
	v_add_f64 v[107:108], v[107:108], 0
	v_add_f64 v[16:17], v[16:17], 0
	s_waitcnt vmcnt(58) lgkmcnt(1)
	v_mul_f64 v[123:124], v[2:3], v[22:23]
	v_mul_f64 v[22:23], v[4:5], v[22:23]
	s_waitcnt vmcnt(56)
	v_fma_f64 v[18:19], v[10:11], v[28:29], -v[18:19]
	v_fma_f64 v[28:29], v[12:13], v[28:29], v[118:119]
	v_add_f64 v[107:108], v[107:108], v[120:121]
	v_add_f64 v[14:15], v[16:17], v[14:15]
	s_clause 0x2
	buffer_load_dword v118, off, s[0:3], 0 offset:876
	buffer_load_dword v17, off, s[0:3], 0 offset:852
	;; [unrolled: 1-line block ×3, first 2 shown]
	s_waitcnt vmcnt(58) lgkmcnt(0)
	v_mul_f64 v[119:120], v[6:7], v[24:25]
	v_mul_f64 v[24:25], v[8:9], v[24:25]
	s_waitcnt vmcnt(56)
	v_fma_f64 v[22:23], v[2:3], v[30:31], -v[22:23]
	ds_read_b128 v[10:13], v1 offset:1568
	v_fma_f64 v[30:31], v[4:5], v[30:31], v[123:124]
	v_add_f64 v[18:19], v[107:108], v[18:19]
	v_add_f64 v[14:15], v[14:15], v[28:29]
	s_clause 0x4
	buffer_load_dword v29, off, s[0:3], 0 offset:892
	buffer_load_dword v107, off, s[0:3], 0 offset:904
	;; [unrolled: 1-line block ×5, first 2 shown]
	ds_read_b128 v[2:5], v1 offset:1584
	s_waitcnt vmcnt(57) lgkmcnt(1)
	v_mul_f64 v[125:126], v[10:11], v[32:33]
	v_mul_f64 v[32:33], v[12:13], v[32:33]
	s_waitcnt vmcnt(56)
	v_fma_f64 v[24:25], v[6:7], v[26:27], -v[24:25]
	v_add_f64 v[18:19], v[18:19], v[22:23]
	v_fma_f64 v[22:23], v[8:9], v[26:27], v[119:120]
	v_add_f64 v[14:15], v[14:15], v[30:31]
	s_clause 0x2
	buffer_load_dword v108, off, s[0:3], 0 offset:908
	buffer_load_dword v27, off, s[0:3], 0 offset:884
	;; [unrolled: 1-line block ×3, first 2 shown]
	s_waitcnt vmcnt(58) lgkmcnt(0)
	v_mul_f64 v[30:31], v[2:3], v[34:35]
	v_mul_f64 v[34:35], v[4:5], v[34:35]
	s_waitcnt vmcnt(56)
	v_fma_f64 v[32:33], v[10:11], v[38:39], -v[32:33]
	ds_read_b128 v[6:9], v1 offset:1600
	v_add_f64 v[18:19], v[18:19], v[24:25]
	v_fma_f64 v[24:25], v[12:13], v[38:39], v[125:126]
	v_add_f64 v[14:15], v[14:15], v[22:23]
	s_clause 0x4
	buffer_load_dword v23, off, s[0:3], 0 offset:924
	buffer_load_dword v38, off, s[0:3], 0 offset:936
	;; [unrolled: 1-line block ×5, first 2 shown]
	ds_read_b128 v[10:13], v1 offset:1616
	s_waitcnt vmcnt(57) lgkmcnt(1)
	v_mul_f64 v[120:121], v[6:7], v[40:41]
	v_mul_f64 v[40:41], v[8:9], v[40:41]
	s_waitcnt vmcnt(56)
	v_fma_f64 v[34:35], v[2:3], v[36:37], -v[34:35]
	v_fma_f64 v[30:31], v[4:5], v[36:37], v[30:31]
	v_add_f64 v[18:19], v[18:19], v[32:33]
	v_add_f64 v[14:15], v[14:15], v[24:25]
	s_clause 0x2
	buffer_load_dword v39, off, s[0:3], 0 offset:940
	buffer_load_dword v25, off, s[0:3], 0 offset:916
	;; [unrolled: 1-line block ×3, first 2 shown]
	s_waitcnt vmcnt(58) lgkmcnt(0)
	v_mul_f64 v[36:37], v[12:13], v[42:43]
	ds_read_b128 v[2:5], v1 offset:1632
	s_waitcnt vmcnt(56)
	v_fma_f64 v[40:41], v[6:7], v[46:47], -v[40:41]
	v_mul_f64 v[32:33], v[10:11], v[42:43]
	v_add_f64 v[18:19], v[18:19], v[34:35]
	v_fma_f64 v[34:35], v[8:9], v[46:47], v[120:121]
	v_add_f64 v[14:15], v[14:15], v[30:31]
	buffer_load_dword v120, off, s[0:3], 0 offset:932
	ds_read_b128 v[6:9], v1 offset:1648
	s_waitcnt vmcnt(53) lgkmcnt(1)
	v_mul_f64 v[42:43], v[4:5], v[48:49]
	s_waitcnt vmcnt(52)
	v_fma_f64 v[36:37], v[10:11], v[44:45], -v[36:37]
	v_mul_f64 v[30:31], v[2:3], v[48:49]
	v_fma_f64 v[32:33], v[12:13], v[44:45], v[32:33]
	ds_read_b128 v[10:13], v1 offset:1664
	v_add_f64 v[18:19], v[18:19], v[40:41]
	v_add_f64 v[14:15], v[14:15], v[34:35]
	s_waitcnt vmcnt(51) lgkmcnt(1)
	v_mul_f64 v[40:41], v[8:9], v[50:51]
	v_mul_f64 v[34:35], v[6:7], v[50:51]
	s_waitcnt vmcnt(49)
	v_fma_f64 v[42:43], v[2:3], v[54:55], -v[42:43]
	v_fma_f64 v[30:31], v[4:5], v[54:55], v[30:31]
	s_waitcnt vmcnt(45) lgkmcnt(0)
	v_mul_f64 v[46:47], v[12:13], v[56:57]
	v_mul_f64 v[44:45], v[10:11], v[56:57]
	v_add_f64 v[18:19], v[18:19], v[36:37]
	v_add_f64 v[14:15], v[14:15], v[32:33]
	s_clause 0x3
	buffer_load_dword v32, off, s[0:3], 0 offset:560
	buffer_load_dword v33, off, s[0:3], 0 offset:564
	;; [unrolled: 1-line block ×4, first 2 shown]
	s_waitcnt vmcnt(48)
	v_fma_f64 v[40:41], v[6:7], v[52:53], -v[40:41]
	ds_read_b128 v[2:5], v1 offset:1680
	v_fma_f64 v[34:35], v[8:9], v[52:53], v[34:35]
	ds_read_b128 v[6:9], v1 offset:1696
	s_waitcnt vmcnt(45)
	v_fma_f64 v[46:47], v[10:11], v[93:94], -v[46:47]
	v_add_f64 v[18:19], v[18:19], v[42:43]
	v_add_f64 v[14:15], v[14:15], v[30:31]
	s_waitcnt lgkmcnt(1)
	v_mul_f64 v[42:43], v[4:5], v[58:59]
	v_mul_f64 v[30:31], v[2:3], v[58:59]
	v_add_f64 v[18:19], v[18:19], v[40:41]
	v_fma_f64 v[40:41], v[12:13], v[93:94], v[44:45]
	v_add_f64 v[14:15], v[14:15], v[34:35]
	s_waitcnt vmcnt(41) lgkmcnt(0)
	v_mul_f64 v[44:45], v[8:9], v[95:96]
	s_waitcnt vmcnt(40)
	v_fma_f64 v[42:43], v[2:3], v[60:61], -v[42:43]
	ds_read_b128 v[10:13], v1 offset:1712
	v_mul_f64 v[34:35], v[6:7], v[95:96]
	v_fma_f64 v[30:31], v[4:5], v[60:61], v[30:31]
	ds_read_b128 v[2:5], v1 offset:1728
	v_add_f64 v[18:19], v[18:19], v[46:47]
	v_add_f64 v[14:15], v[14:15], v[40:41]
	s_waitcnt vmcnt(39) lgkmcnt(1)
	v_mul_f64 v[46:47], v[12:13], v[101:102]
	s_waitcnt vmcnt(37)
	v_fma_f64 v[44:45], v[6:7], v[105:106], -v[44:45]
	v_mul_f64 v[40:41], v[10:11], v[101:102]
	v_fma_f64 v[34:35], v[8:9], v[105:106], v[34:35]
	ds_read_b128 v[6:9], v1 offset:1744
	v_add_f64 v[18:19], v[18:19], v[42:43]
	s_waitcnt vmcnt(33) lgkmcnt(1)
	v_mul_f64 v[42:43], v[4:5], v[111:112]
	v_add_f64 v[14:15], v[14:15], v[30:31]
	s_waitcnt vmcnt(32)
	v_fma_f64 v[46:47], v[10:11], v[103:104], -v[46:47]
	v_mul_f64 v[30:31], v[2:3], v[111:112]
	v_fma_f64 v[40:41], v[12:13], v[103:104], v[40:41]
	ds_read_b128 v[10:13], v1 offset:1760
	v_add_f64 v[18:19], v[18:19], v[44:45]
	v_add_f64 v[14:15], v[14:15], v[34:35]
	s_waitcnt vmcnt(31) lgkmcnt(1)
	v_mul_f64 v[44:45], v[8:9], v[113:114]
	v_mul_f64 v[34:35], v[6:7], v[113:114]
	s_waitcnt vmcnt(29)
	v_fma_f64 v[42:43], v[2:3], v[109:110], -v[42:43]
	v_fma_f64 v[30:31], v[4:5], v[109:110], v[30:31]
	ds_read_b128 v[2:5], v1 offset:1776
	v_add_f64 v[18:19], v[18:19], v[46:47]
	v_add_f64 v[14:15], v[14:15], v[40:41]
	s_waitcnt vmcnt(25) lgkmcnt(1)
	v_mul_f64 v[40:41], v[10:11], v[20:21]
	v_mul_f64 v[20:21], v[12:13], v[20:21]
	s_waitcnt vmcnt(24)
	v_fma_f64 v[44:45], v[6:7], v[115:116], -v[44:45]
	;; [unrolled: 9-line block ×4, first 2 shown]
	v_add_f64 v[18:19], v[18:19], v[20:21]
	v_fma_f64 v[20:21], v[4:5], v[122:123], v[30:31]
	v_add_f64 v[14:15], v[14:15], v[16:17]
	ds_read_b128 v[2:5], v1 offset:1824
	s_waitcnt vmcnt(15) lgkmcnt(1)
	v_mul_f64 v[30:31], v[12:13], v[107:108]
	v_mul_f64 v[16:17], v[10:11], v[107:108]
	s_waitcnt vmcnt(13)
	v_fma_f64 v[28:29], v[6:7], v[26:27], -v[28:29]
	v_fma_f64 v[26:27], v[8:9], v[26:27], v[34:35]
	ds_read_b128 v[6:9], v1 offset:1840
	v_add_f64 v[18:19], v[18:19], v[40:41]
	v_add_f64 v[14:15], v[14:15], v[20:21]
	s_waitcnt vmcnt(9) lgkmcnt(1)
	v_mul_f64 v[20:21], v[2:3], v[22:23]
	v_mul_f64 v[22:23], v[4:5], v[22:23]
	s_waitcnt vmcnt(8)
	v_fma_f64 v[10:11], v[10:11], v[124:125], -v[30:31]
	v_fma_f64 v[12:13], v[12:13], v[124:125], v[16:17]
	v_add_f64 v[18:19], v[18:19], v[28:29]
	v_add_f64 v[14:15], v[14:15], v[26:27]
	s_waitcnt vmcnt(7) lgkmcnt(0)
	v_mul_f64 v[26:27], v[8:9], v[38:39]
	v_mul_f64 v[16:17], v[6:7], v[38:39]
	s_waitcnt vmcnt(5)
	v_fma_f64 v[2:3], v[2:3], v[24:25], -v[22:23]
	v_fma_f64 v[4:5], v[4:5], v[24:25], v[20:21]
	v_add_f64 v[10:11], v[18:19], v[10:11]
	v_add_f64 v[12:13], v[14:15], v[12:13]
	s_waitcnt vmcnt(4)
	v_fma_f64 v[6:7], v[6:7], v[119:120], -v[26:27]
	v_fma_f64 v[8:9], v[8:9], v[119:120], v[16:17]
	v_add_f64 v[2:3], v[10:11], v[2:3]
	v_add_f64 v[4:5], v[12:13], v[4:5]
	;; [unrolled: 1-line block ×4, first 2 shown]
	s_waitcnt vmcnt(2)
	v_add_f64 v[2:3], v[32:33], -v[2:3]
	s_waitcnt vmcnt(0)
	v_add_f64 v[4:5], v[36:37], -v[4:5]
	buffer_store_dword v3, off, s[0:3], 0 offset:564
	buffer_store_dword v2, off, s[0:3], 0 offset:560
	;; [unrolled: 1-line block ×4, first 2 shown]
	v_cmpx_lt_u32_e32 33, v0
	s_cbranch_execz .LBB57_295
; %bb.294:
	v_mov_b32_e32 v5, s37
	s_clause 0x3
	buffer_load_dword v2, v5, s[0:3], 0 offen
	buffer_load_dword v3, v5, s[0:3], 0 offen offset:4
	buffer_load_dword v4, v5, s[0:3], 0 offen offset:8
	;; [unrolled: 1-line block ×3, first 2 shown]
	buffer_store_dword v1, off, s[0:3], 0 offset:544
	buffer_store_dword v1, off, s[0:3], 0 offset:548
	buffer_store_dword v1, off, s[0:3], 0 offset:552
	buffer_store_dword v1, off, s[0:3], 0 offset:556
	s_waitcnt vmcnt(0)
	ds_write_b128 v63, v[2:5]
.LBB57_295:
	s_or_b32 exec_lo, exec_lo, s4
	s_waitcnt lgkmcnt(0)
	s_waitcnt_vscnt null, 0x0
	s_barrier
	buffer_gl0_inv
	s_clause 0x37
	buffer_load_dword v10, off, s[0:3], 0 offset:568
	buffer_load_dword v11, off, s[0:3], 0 offset:572
	;; [unrolled: 1-line block ×56, first 2 shown]
	ds_read_b128 v[2:5], v1 offset:1472
	s_clause 0x2
	buffer_load_dword v102, off, s[0:3], 0 offset:796
	buffer_load_dword v106, off, s[0:3], 0 offset:772
	;; [unrolled: 1-line block ×3, first 2 shown]
	ds_read_b128 v[6:9], v1 offset:1488
	s_clause 0x4
	buffer_load_dword v112, off, s[0:3], 0 offset:812
	buffer_load_dword v113, off, s[0:3], 0 offset:824
	;; [unrolled: 1-line block ×5, first 2 shown]
	s_mov_b32 s4, exec_lo
	s_waitcnt vmcnt(62) lgkmcnt(1)
	v_mul_f64 v[107:108], v[4:5], v[10:11]
	v_mul_f64 v[109:110], v[2:3], v[10:11]
	s_waitcnt vmcnt(60) lgkmcnt(0)
	v_mul_f64 v[116:117], v[8:9], v[14:15]
	ds_read_b128 v[10:13], v1 offset:1504
	v_mul_f64 v[14:15], v[6:7], v[14:15]
	s_waitcnt vmcnt(58)
	v_fma_f64 v[107:108], v[2:3], v[16:17], -v[107:108]
	v_fma_f64 v[16:17], v[4:5], v[16:17], v[109:110]
	s_clause 0x2
	buffer_load_dword v114, off, s[0:3], 0 offset:828
	buffer_load_dword v110, off, s[0:3], 0 offset:804
	;; [unrolled: 1-line block ×3, first 2 shown]
	s_waitcnt vmcnt(59) lgkmcnt(0)
	v_mul_f64 v[118:119], v[10:11], v[18:19]
	v_mul_f64 v[18:19], v[12:13], v[18:19]
	s_waitcnt vmcnt(57)
	v_fma_f64 v[120:121], v[6:7], v[20:21], -v[116:117]
	ds_read_b128 v[2:5], v1 offset:1520
	v_fma_f64 v[14:15], v[8:9], v[20:21], v[14:15]
	s_clause 0x4
	buffer_load_dword v21, off, s[0:3], 0 offset:844
	buffer_load_dword v117, off, s[0:3], 0 offset:856
	;; [unrolled: 1-line block ×5, first 2 shown]
	ds_read_b128 v[6:9], v1 offset:1536
	v_add_f64 v[107:108], v[107:108], 0
	v_add_f64 v[16:17], v[16:17], 0
	s_waitcnt vmcnt(58) lgkmcnt(1)
	v_mul_f64 v[123:124], v[2:3], v[22:23]
	v_mul_f64 v[22:23], v[4:5], v[22:23]
	s_waitcnt vmcnt(56)
	v_fma_f64 v[18:19], v[10:11], v[28:29], -v[18:19]
	v_fma_f64 v[28:29], v[12:13], v[28:29], v[118:119]
	v_add_f64 v[107:108], v[107:108], v[120:121]
	v_add_f64 v[14:15], v[16:17], v[14:15]
	s_clause 0x2
	buffer_load_dword v118, off, s[0:3], 0 offset:860
	buffer_load_dword v17, off, s[0:3], 0 offset:836
	;; [unrolled: 1-line block ×3, first 2 shown]
	s_waitcnt vmcnt(58) lgkmcnt(0)
	v_mul_f64 v[119:120], v[6:7], v[24:25]
	v_mul_f64 v[24:25], v[8:9], v[24:25]
	s_waitcnt vmcnt(56)
	v_fma_f64 v[22:23], v[2:3], v[30:31], -v[22:23]
	ds_read_b128 v[10:13], v1 offset:1552
	v_fma_f64 v[30:31], v[4:5], v[30:31], v[123:124]
	v_add_f64 v[18:19], v[107:108], v[18:19]
	v_add_f64 v[14:15], v[14:15], v[28:29]
	s_clause 0x4
	buffer_load_dword v29, off, s[0:3], 0 offset:876
	buffer_load_dword v107, off, s[0:3], 0 offset:888
	;; [unrolled: 1-line block ×5, first 2 shown]
	ds_read_b128 v[2:5], v1 offset:1568
	s_waitcnt vmcnt(57) lgkmcnt(1)
	v_mul_f64 v[125:126], v[10:11], v[32:33]
	v_mul_f64 v[32:33], v[12:13], v[32:33]
	s_waitcnt vmcnt(56)
	v_fma_f64 v[24:25], v[6:7], v[26:27], -v[24:25]
	v_add_f64 v[18:19], v[18:19], v[22:23]
	v_fma_f64 v[22:23], v[8:9], v[26:27], v[119:120]
	v_add_f64 v[14:15], v[14:15], v[30:31]
	s_clause 0x2
	buffer_load_dword v108, off, s[0:3], 0 offset:892
	buffer_load_dword v27, off, s[0:3], 0 offset:868
	;; [unrolled: 1-line block ×3, first 2 shown]
	s_waitcnt vmcnt(58) lgkmcnt(0)
	v_mul_f64 v[30:31], v[2:3], v[34:35]
	v_mul_f64 v[34:35], v[4:5], v[34:35]
	s_waitcnt vmcnt(56)
	v_fma_f64 v[32:33], v[10:11], v[38:39], -v[32:33]
	ds_read_b128 v[6:9], v1 offset:1584
	v_add_f64 v[18:19], v[18:19], v[24:25]
	v_fma_f64 v[24:25], v[12:13], v[38:39], v[125:126]
	v_add_f64 v[14:15], v[14:15], v[22:23]
	s_clause 0x4
	buffer_load_dword v23, off, s[0:3], 0 offset:908
	buffer_load_dword v38, off, s[0:3], 0 offset:920
	;; [unrolled: 1-line block ×5, first 2 shown]
	ds_read_b128 v[10:13], v1 offset:1600
	s_waitcnt vmcnt(57) lgkmcnt(1)
	v_mul_f64 v[120:121], v[6:7], v[40:41]
	v_mul_f64 v[40:41], v[8:9], v[40:41]
	s_waitcnt vmcnt(56)
	v_fma_f64 v[34:35], v[2:3], v[36:37], -v[34:35]
	v_fma_f64 v[30:31], v[4:5], v[36:37], v[30:31]
	v_add_f64 v[18:19], v[18:19], v[32:33]
	v_add_f64 v[14:15], v[14:15], v[24:25]
	s_clause 0x2
	buffer_load_dword v39, off, s[0:3], 0 offset:924
	buffer_load_dword v25, off, s[0:3], 0 offset:900
	;; [unrolled: 1-line block ×3, first 2 shown]
	s_waitcnt vmcnt(58) lgkmcnt(0)
	v_mul_f64 v[36:37], v[12:13], v[42:43]
	ds_read_b128 v[2:5], v1 offset:1616
	s_waitcnt vmcnt(56)
	v_fma_f64 v[40:41], v[6:7], v[46:47], -v[40:41]
	v_mul_f64 v[32:33], v[10:11], v[42:43]
	v_add_f64 v[18:19], v[18:19], v[34:35]
	v_fma_f64 v[34:35], v[8:9], v[46:47], v[120:121]
	v_add_f64 v[14:15], v[14:15], v[30:31]
	s_clause 0x2
	buffer_load_dword v31, off, s[0:3], 0 offset:940
	buffer_load_dword v30, off, s[0:3], 0 offset:936
	;; [unrolled: 1-line block ×3, first 2 shown]
	s_waitcnt vmcnt(55) lgkmcnt(0)
	v_mul_f64 v[46:47], v[4:5], v[48:49]
	s_waitcnt vmcnt(54)
	v_fma_f64 v[36:37], v[10:11], v[44:45], -v[36:37]
	ds_read_b128 v[6:9], v1 offset:1632
	v_mul_f64 v[42:43], v[2:3], v[48:49]
	v_fma_f64 v[32:33], v[12:13], v[44:45], v[32:33]
	v_add_f64 v[18:19], v[18:19], v[40:41]
	v_add_f64 v[14:15], v[14:15], v[34:35]
	s_clause 0x1
	buffer_load_dword v35, off, s[0:3], 0 offset:932
	buffer_load_dword v34, off, s[0:3], 0 offset:928
	s_waitcnt vmcnt(55) lgkmcnt(0)
	v_mul_f64 v[44:45], v[8:9], v[50:51]
	s_waitcnt vmcnt(53)
	v_fma_f64 v[46:47], v[2:3], v[54:55], -v[46:47]
	ds_read_b128 v[10:13], v1 offset:1648
	v_mul_f64 v[40:41], v[6:7], v[50:51]
	v_add_f64 v[18:19], v[18:19], v[36:37]
	v_fma_f64 v[36:37], v[4:5], v[54:55], v[42:43]
	v_add_f64 v[14:15], v[14:15], v[32:33]
	ds_read_b128 v[2:5], v1 offset:1664
	s_waitcnt vmcnt(49) lgkmcnt(1)
	v_mul_f64 v[42:43], v[12:13], v[56:57]
	s_waitcnt vmcnt(48)
	v_fma_f64 v[44:45], v[6:7], v[52:53], -v[44:45]
	v_mul_f64 v[32:33], v[10:11], v[56:57]
	v_fma_f64 v[40:41], v[8:9], v[52:53], v[40:41]
	v_add_f64 v[18:19], v[18:19], v[46:47]
	s_waitcnt vmcnt(47) lgkmcnt(0)
	v_mul_f64 v[50:51], v[4:5], v[58:59]
	v_add_f64 v[14:15], v[14:15], v[36:37]
	s_clause 0x3
	buffer_load_dword v36, off, s[0:3], 0 offset:544
	buffer_load_dword v37, off, s[0:3], 0 offset:548
	;; [unrolled: 1-line block ×4, first 2 shown]
	s_waitcnt vmcnt(49)
	v_fma_f64 v[42:43], v[10:11], v[93:94], -v[42:43]
	ds_read_b128 v[6:9], v1 offset:1680
	v_mul_f64 v[48:49], v[2:3], v[58:59]
	v_fma_f64 v[32:33], v[12:13], v[93:94], v[32:33]
	ds_read_b128 v[10:13], v1 offset:1696
	v_add_f64 v[18:19], v[18:19], v[44:45]
	s_waitcnt vmcnt(44)
	v_fma_f64 v[50:51], v[2:3], v[60:61], -v[50:51]
	v_add_f64 v[14:15], v[14:15], v[40:41]
	s_waitcnt lgkmcnt(1)
	v_mul_f64 v[44:45], v[8:9], v[95:96]
	v_mul_f64 v[40:41], v[6:7], v[95:96]
	v_add_f64 v[18:19], v[18:19], v[42:43]
	v_fma_f64 v[42:43], v[4:5], v[60:61], v[48:49]
	v_add_f64 v[14:15], v[14:15], v[32:33]
	s_waitcnt vmcnt(43) lgkmcnt(0)
	v_mul_f64 v[48:49], v[12:13], v[101:102]
	s_waitcnt vmcnt(41)
	v_fma_f64 v[44:45], v[6:7], v[105:106], -v[44:45]
	ds_read_b128 v[2:5], v1 offset:1712
	v_mul_f64 v[32:33], v[10:11], v[101:102]
	v_fma_f64 v[40:41], v[8:9], v[105:106], v[40:41]
	ds_read_b128 v[6:9], v1 offset:1728
	v_add_f64 v[18:19], v[18:19], v[50:51]
	v_add_f64 v[14:15], v[14:15], v[42:43]
	s_waitcnt vmcnt(37) lgkmcnt(1)
	v_mul_f64 v[50:51], v[4:5], v[111:112]
	s_waitcnt vmcnt(36)
	v_fma_f64 v[48:49], v[10:11], v[103:104], -v[48:49]
	v_mul_f64 v[42:43], v[2:3], v[111:112]
	v_fma_f64 v[32:33], v[12:13], v[103:104], v[32:33]
	ds_read_b128 v[10:13], v1 offset:1744
	v_add_f64 v[18:19], v[18:19], v[44:45]
	v_add_f64 v[14:15], v[14:15], v[40:41]
	s_waitcnt vmcnt(35) lgkmcnt(1)
	v_mul_f64 v[44:45], v[8:9], v[113:114]
	v_mul_f64 v[40:41], v[6:7], v[113:114]
	s_waitcnt vmcnt(33)
	v_fma_f64 v[50:51], v[2:3], v[109:110], -v[50:51]
	v_fma_f64 v[42:43], v[4:5], v[109:110], v[42:43]
	ds_read_b128 v[2:5], v1 offset:1760
	v_add_f64 v[18:19], v[18:19], v[48:49]
	v_add_f64 v[14:15], v[14:15], v[32:33]
	s_waitcnt vmcnt(29) lgkmcnt(1)
	v_mul_f64 v[32:33], v[10:11], v[20:21]
	v_mul_f64 v[20:21], v[12:13], v[20:21]
	s_waitcnt vmcnt(28)
	v_fma_f64 v[44:45], v[6:7], v[115:116], -v[44:45]
	;; [unrolled: 9-line block ×4, first 2 shown]
	v_add_f64 v[18:19], v[18:19], v[20:21]
	v_fma_f64 v[20:21], v[4:5], v[122:123], v[42:43]
	v_add_f64 v[14:15], v[14:15], v[16:17]
	ds_read_b128 v[2:5], v1 offset:1808
	s_waitcnt vmcnt(19) lgkmcnt(1)
	v_mul_f64 v[42:43], v[12:13], v[107:108]
	v_mul_f64 v[16:17], v[10:11], v[107:108]
	s_waitcnt vmcnt(17)
	v_fma_f64 v[28:29], v[6:7], v[26:27], -v[28:29]
	v_fma_f64 v[26:27], v[8:9], v[26:27], v[32:33]
	ds_read_b128 v[6:9], v1 offset:1824
	v_add_f64 v[18:19], v[18:19], v[40:41]
	v_add_f64 v[14:15], v[14:15], v[20:21]
	s_waitcnt vmcnt(13) lgkmcnt(1)
	v_mul_f64 v[20:21], v[2:3], v[22:23]
	v_mul_f64 v[22:23], v[4:5], v[22:23]
	s_waitcnt vmcnt(12)
	v_fma_f64 v[32:33], v[10:11], v[124:125], -v[42:43]
	v_fma_f64 v[16:17], v[12:13], v[124:125], v[16:17]
	ds_read_b128 v[10:13], v1 offset:1840
	v_add_f64 v[18:19], v[18:19], v[28:29]
	v_add_f64 v[14:15], v[14:15], v[26:27]
	s_waitcnt vmcnt(11) lgkmcnt(1)
	v_mul_f64 v[28:29], v[8:9], v[38:39]
	v_mul_f64 v[26:27], v[6:7], v[38:39]
	s_waitcnt vmcnt(9)
	v_fma_f64 v[1:2], v[2:3], v[24:25], -v[22:23]
	v_fma_f64 v[3:4], v[4:5], v[24:25], v[20:21]
	v_add_f64 v[18:19], v[18:19], v[32:33]
	v_add_f64 v[14:15], v[14:15], v[16:17]
	s_waitcnt vmcnt(7) lgkmcnt(0)
	v_mul_f64 v[20:21], v[12:13], v[30:31]
	s_waitcnt vmcnt(6)
	v_fma_f64 v[5:6], v[6:7], v[119:120], -v[28:29]
	v_mul_f64 v[16:17], v[10:11], v[30:31]
	v_fma_f64 v[7:8], v[8:9], v[119:120], v[26:27]
	v_add_f64 v[1:2], v[18:19], v[1:2]
	v_add_f64 v[3:4], v[14:15], v[3:4]
	s_waitcnt vmcnt(4)
	v_fma_f64 v[9:10], v[10:11], v[34:35], -v[20:21]
	v_add_f64 v[1:2], v[1:2], v[5:6]
	v_fma_f64 v[5:6], v[12:13], v[34:35], v[16:17]
	v_add_f64 v[3:4], v[3:4], v[7:8]
	v_add_f64 v[1:2], v[1:2], v[9:10]
	;; [unrolled: 1-line block ×3, first 2 shown]
	s_waitcnt vmcnt(2)
	v_add_f64 v[1:2], v[36:37], -v[1:2]
	s_waitcnt vmcnt(0)
	v_add_f64 v[3:4], v[46:47], -v[3:4]
	buffer_store_dword v2, off, s[0:3], 0 offset:548
	buffer_store_dword v1, off, s[0:3], 0 offset:544
	;; [unrolled: 1-line block ×4, first 2 shown]
	v_cmpx_lt_u32_e32 32, v0
	s_cbranch_execz .LBB57_297
; %bb.296:
	v_mov_b32_e32 v4, s38
	v_mov_b32_e32 v5, 0
	s_clause 0x3
	buffer_load_dword v1, v4, s[0:3], 0 offen
	buffer_load_dword v2, v4, s[0:3], 0 offen offset:4
	buffer_load_dword v3, v4, s[0:3], 0 offen offset:8
	;; [unrolled: 1-line block ×3, first 2 shown]
	buffer_store_dword v5, off, s[0:3], 0 offset:528
	buffer_store_dword v5, off, s[0:3], 0 offset:532
	;; [unrolled: 1-line block ×4, first 2 shown]
	s_waitcnt vmcnt(0)
	ds_write_b128 v63, v[1:4]
.LBB57_297:
	s_or_b32 exec_lo, exec_lo, s4
	s_waitcnt lgkmcnt(0)
	s_waitcnt_vscnt null, 0x0
	s_barrier
	buffer_gl0_inv
	s_clause 0x37
	buffer_load_dword v10, off, s[0:3], 0 offset:552
	buffer_load_dword v11, off, s[0:3], 0 offset:556
	;; [unrolled: 1-line block ×56, first 2 shown]
	v_mov_b32_e32 v1, 0
	s_mov_b32 s4, exec_lo
	ds_read_b128 v[2:5], v1 offset:1456
	s_clause 0x2
	buffer_load_dword v102, off, s[0:3], 0 offset:780
	buffer_load_dword v106, off, s[0:3], 0 offset:756
	;; [unrolled: 1-line block ×3, first 2 shown]
	ds_read_b128 v[6:9], v1 offset:1472
	s_clause 0x4
	buffer_load_dword v112, off, s[0:3], 0 offset:796
	buffer_load_dword v113, off, s[0:3], 0 offset:808
	;; [unrolled: 1-line block ×5, first 2 shown]
	s_waitcnt vmcnt(62) lgkmcnt(1)
	v_mul_f64 v[107:108], v[4:5], v[10:11]
	v_mul_f64 v[109:110], v[2:3], v[10:11]
	s_waitcnt vmcnt(60) lgkmcnt(0)
	v_mul_f64 v[116:117], v[8:9], v[14:15]
	ds_read_b128 v[10:13], v1 offset:1488
	v_mul_f64 v[14:15], v[6:7], v[14:15]
	s_waitcnt vmcnt(58)
	v_fma_f64 v[107:108], v[2:3], v[16:17], -v[107:108]
	v_fma_f64 v[16:17], v[4:5], v[16:17], v[109:110]
	s_clause 0x2
	buffer_load_dword v114, off, s[0:3], 0 offset:812
	buffer_load_dword v110, off, s[0:3], 0 offset:788
	;; [unrolled: 1-line block ×3, first 2 shown]
	s_waitcnt vmcnt(59) lgkmcnt(0)
	v_mul_f64 v[118:119], v[10:11], v[18:19]
	v_mul_f64 v[18:19], v[12:13], v[18:19]
	s_waitcnt vmcnt(57)
	v_fma_f64 v[120:121], v[6:7], v[20:21], -v[116:117]
	ds_read_b128 v[2:5], v1 offset:1504
	v_fma_f64 v[14:15], v[8:9], v[20:21], v[14:15]
	s_clause 0x4
	buffer_load_dword v21, off, s[0:3], 0 offset:828
	buffer_load_dword v117, off, s[0:3], 0 offset:840
	;; [unrolled: 1-line block ×5, first 2 shown]
	ds_read_b128 v[6:9], v1 offset:1520
	v_add_f64 v[107:108], v[107:108], 0
	v_add_f64 v[16:17], v[16:17], 0
	s_waitcnt vmcnt(58) lgkmcnt(1)
	v_mul_f64 v[123:124], v[2:3], v[22:23]
	v_mul_f64 v[22:23], v[4:5], v[22:23]
	s_waitcnt vmcnt(56)
	v_fma_f64 v[18:19], v[10:11], v[28:29], -v[18:19]
	v_fma_f64 v[28:29], v[12:13], v[28:29], v[118:119]
	v_add_f64 v[107:108], v[107:108], v[120:121]
	v_add_f64 v[14:15], v[16:17], v[14:15]
	s_clause 0x2
	buffer_load_dword v118, off, s[0:3], 0 offset:844
	buffer_load_dword v17, off, s[0:3], 0 offset:820
	;; [unrolled: 1-line block ×3, first 2 shown]
	s_waitcnt vmcnt(58) lgkmcnt(0)
	v_mul_f64 v[119:120], v[6:7], v[24:25]
	v_mul_f64 v[24:25], v[8:9], v[24:25]
	s_waitcnt vmcnt(56)
	v_fma_f64 v[22:23], v[2:3], v[30:31], -v[22:23]
	ds_read_b128 v[10:13], v1 offset:1536
	v_fma_f64 v[30:31], v[4:5], v[30:31], v[123:124]
	v_add_f64 v[18:19], v[107:108], v[18:19]
	v_add_f64 v[14:15], v[14:15], v[28:29]
	s_clause 0x4
	buffer_load_dword v29, off, s[0:3], 0 offset:860
	buffer_load_dword v107, off, s[0:3], 0 offset:872
	;; [unrolled: 1-line block ×5, first 2 shown]
	ds_read_b128 v[2:5], v1 offset:1552
	s_waitcnt vmcnt(57) lgkmcnt(1)
	v_mul_f64 v[125:126], v[10:11], v[32:33]
	v_mul_f64 v[32:33], v[12:13], v[32:33]
	s_waitcnt vmcnt(56)
	v_fma_f64 v[24:25], v[6:7], v[26:27], -v[24:25]
	v_add_f64 v[18:19], v[18:19], v[22:23]
	v_fma_f64 v[22:23], v[8:9], v[26:27], v[119:120]
	v_add_f64 v[14:15], v[14:15], v[30:31]
	s_clause 0x2
	buffer_load_dword v108, off, s[0:3], 0 offset:876
	buffer_load_dword v27, off, s[0:3], 0 offset:852
	;; [unrolled: 1-line block ×3, first 2 shown]
	s_waitcnt vmcnt(58) lgkmcnt(0)
	v_mul_f64 v[30:31], v[2:3], v[34:35]
	v_mul_f64 v[34:35], v[4:5], v[34:35]
	s_waitcnt vmcnt(56)
	v_fma_f64 v[32:33], v[10:11], v[38:39], -v[32:33]
	ds_read_b128 v[6:9], v1 offset:1568
	v_add_f64 v[18:19], v[18:19], v[24:25]
	v_fma_f64 v[24:25], v[12:13], v[38:39], v[125:126]
	v_add_f64 v[14:15], v[14:15], v[22:23]
	s_clause 0x4
	buffer_load_dword v23, off, s[0:3], 0 offset:892
	buffer_load_dword v38, off, s[0:3], 0 offset:904
	;; [unrolled: 1-line block ×5, first 2 shown]
	ds_read_b128 v[10:13], v1 offset:1584
	s_waitcnt vmcnt(57) lgkmcnt(1)
	v_mul_f64 v[120:121], v[6:7], v[40:41]
	v_mul_f64 v[40:41], v[8:9], v[40:41]
	s_waitcnt vmcnt(56)
	v_fma_f64 v[34:35], v[2:3], v[36:37], -v[34:35]
	v_fma_f64 v[30:31], v[4:5], v[36:37], v[30:31]
	v_add_f64 v[18:19], v[18:19], v[32:33]
	v_add_f64 v[14:15], v[14:15], v[24:25]
	s_clause 0x2
	buffer_load_dword v39, off, s[0:3], 0 offset:908
	buffer_load_dword v25, off, s[0:3], 0 offset:884
	;; [unrolled: 1-line block ×3, first 2 shown]
	s_waitcnt vmcnt(58) lgkmcnt(0)
	v_mul_f64 v[36:37], v[12:13], v[42:43]
	ds_read_b128 v[2:5], v1 offset:1600
	s_waitcnt vmcnt(56)
	v_fma_f64 v[40:41], v[6:7], v[46:47], -v[40:41]
	v_mul_f64 v[32:33], v[10:11], v[42:43]
	v_add_f64 v[18:19], v[18:19], v[34:35]
	v_fma_f64 v[34:35], v[8:9], v[46:47], v[120:121]
	v_add_f64 v[14:15], v[14:15], v[30:31]
	s_clause 0x4
	buffer_load_dword v31, off, s[0:3], 0 offset:924
	buffer_load_dword v42, off, s[0:3], 0 offset:936
	;; [unrolled: 1-line block ×5, first 2 shown]
	s_waitcnt vmcnt(57) lgkmcnt(0)
	v_mul_f64 v[126:127], v[2:3], v[48:49]
	v_mul_f64 v[47:48], v[4:5], v[48:49]
	s_waitcnt vmcnt(56)
	v_fma_f64 v[36:37], v[10:11], v[44:45], -v[36:37]
	ds_read_b128 v[6:9], v1 offset:1616
	v_fma_f64 v[32:33], v[12:13], v[44:45], v[32:33]
	v_add_f64 v[18:19], v[18:19], v[40:41]
	v_add_f64 v[14:15], v[14:15], v[34:35]
	s_clause 0x2
	buffer_load_dword v43, off, s[0:3], 0 offset:940
	buffer_load_dword v35, off, s[0:3], 0 offset:916
	buffer_load_dword v34, off, s[0:3], 0 offset:912
	ds_read_b128 v[10:13], v1 offset:1632
	s_waitcnt vmcnt(58) lgkmcnt(1)
	v_mul_f64 v[44:45], v[8:9], v[50:51]
	s_waitcnt vmcnt(56)
	v_fma_f64 v[48:49], v[2:3], v[54:55], -v[47:48]
	v_mul_f64 v[40:41], v[6:7], v[50:51]
	buffer_load_dword v47, off, s[0:3], 0 offset:932
	v_add_f64 v[18:19], v[18:19], v[36:37]
	v_fma_f64 v[36:37], v[4:5], v[54:55], v[126:127]
	v_add_f64 v[14:15], v[14:15], v[32:33]
	ds_read_b128 v[2:5], v1 offset:1648
	s_waitcnt vmcnt(53) lgkmcnt(1)
	v_mul_f64 v[50:51], v[12:13], v[56:57]
	s_waitcnt vmcnt(52)
	v_fma_f64 v[44:45], v[6:7], v[52:53], -v[44:45]
	v_mul_f64 v[32:33], v[10:11], v[56:57]
	v_fma_f64 v[40:41], v[8:9], v[52:53], v[40:41]
	ds_read_b128 v[6:9], v1 offset:1664
	v_add_f64 v[18:19], v[18:19], v[48:49]
	s_waitcnt vmcnt(51) lgkmcnt(1)
	v_mul_f64 v[48:49], v[4:5], v[58:59]
	v_add_f64 v[14:15], v[14:15], v[36:37]
	v_mul_f64 v[36:37], v[2:3], v[58:59]
	s_waitcnt vmcnt(49)
	v_fma_f64 v[50:51], v[10:11], v[93:94], -v[50:51]
	v_fma_f64 v[32:33], v[12:13], v[93:94], v[32:33]
	s_waitcnt vmcnt(45) lgkmcnt(0)
	v_mul_f64 v[54:55], v[8:9], v[95:96]
	v_mul_f64 v[52:53], v[6:7], v[95:96]
	v_add_f64 v[18:19], v[18:19], v[44:45]
	s_waitcnt vmcnt(44)
	v_fma_f64 v[48:49], v[2:3], v[60:61], -v[48:49]
	v_add_f64 v[14:15], v[14:15], v[40:41]
	s_clause 0x3
	buffer_load_dword v40, off, s[0:3], 0 offset:528
	buffer_load_dword v41, off, s[0:3], 0 offset:532
	;; [unrolled: 1-line block ×4, first 2 shown]
	ds_read_b128 v[10:13], v1 offset:1680
	v_fma_f64 v[36:37], v[4:5], v[60:61], v[36:37]
	ds_read_b128 v[2:5], v1 offset:1696
	s_waitcnt vmcnt(45)
	v_fma_f64 v[54:55], v[6:7], v[105:106], -v[54:55]
	v_add_f64 v[18:19], v[18:19], v[50:51]
	v_add_f64 v[14:15], v[14:15], v[32:33]
	s_waitcnt lgkmcnt(1)
	v_mul_f64 v[50:51], v[12:13], v[101:102]
	v_mul_f64 v[32:33], v[10:11], v[101:102]
	v_add_f64 v[18:19], v[18:19], v[48:49]
	v_fma_f64 v[48:49], v[8:9], v[105:106], v[52:53]
	v_add_f64 v[14:15], v[14:15], v[36:37]
	s_waitcnt vmcnt(41) lgkmcnt(0)
	v_mul_f64 v[52:53], v[4:5], v[111:112]
	s_waitcnt vmcnt(40)
	v_fma_f64 v[50:51], v[10:11], v[103:104], -v[50:51]
	ds_read_b128 v[6:9], v1 offset:1712
	v_mul_f64 v[36:37], v[2:3], v[111:112]
	v_fma_f64 v[32:33], v[12:13], v[103:104], v[32:33]
	ds_read_b128 v[10:13], v1 offset:1728
	v_add_f64 v[18:19], v[18:19], v[54:55]
	v_add_f64 v[14:15], v[14:15], v[48:49]
	s_waitcnt vmcnt(39) lgkmcnt(1)
	v_mul_f64 v[54:55], v[8:9], v[113:114]
	v_mul_f64 v[48:49], v[6:7], v[113:114]
	s_waitcnt vmcnt(37)
	v_fma_f64 v[52:53], v[2:3], v[109:110], -v[52:53]
	v_fma_f64 v[36:37], v[4:5], v[109:110], v[36:37]
	ds_read_b128 v[2:5], v1 offset:1744
	v_add_f64 v[18:19], v[18:19], v[50:51]
	v_add_f64 v[14:15], v[14:15], v[32:33]
	s_waitcnt vmcnt(33) lgkmcnt(1)
	v_mul_f64 v[32:33], v[10:11], v[20:21]
	v_mul_f64 v[20:21], v[12:13], v[20:21]
	s_waitcnt vmcnt(32)
	v_fma_f64 v[50:51], v[6:7], v[115:116], -v[54:55]
	;; [unrolled: 9-line block ×4, first 2 shown]
	v_add_f64 v[18:19], v[18:19], v[20:21]
	v_fma_f64 v[20:21], v[4:5], v[122:123], v[36:37]
	v_add_f64 v[14:15], v[14:15], v[16:17]
	ds_read_b128 v[2:5], v1 offset:1792
	s_waitcnt vmcnt(23) lgkmcnt(1)
	v_mul_f64 v[36:37], v[12:13], v[107:108]
	v_mul_f64 v[16:17], v[10:11], v[107:108]
	s_waitcnt vmcnt(21)
	v_fma_f64 v[28:29], v[6:7], v[26:27], -v[28:29]
	v_fma_f64 v[26:27], v[8:9], v[26:27], v[32:33]
	ds_read_b128 v[6:9], v1 offset:1808
	v_add_f64 v[18:19], v[18:19], v[48:49]
	v_add_f64 v[14:15], v[14:15], v[20:21]
	s_waitcnt vmcnt(17) lgkmcnt(1)
	v_mul_f64 v[20:21], v[2:3], v[22:23]
	v_mul_f64 v[22:23], v[4:5], v[22:23]
	s_waitcnt vmcnt(16)
	v_fma_f64 v[32:33], v[10:11], v[124:125], -v[36:37]
	v_fma_f64 v[16:17], v[12:13], v[124:125], v[16:17]
	ds_read_b128 v[10:13], v1 offset:1824
	v_add_f64 v[18:19], v[18:19], v[28:29]
	v_add_f64 v[14:15], v[14:15], v[26:27]
	;; [unrolled: 9-line block ×3, first 2 shown]
	s_waitcnt vmcnt(9) lgkmcnt(1)
	v_mul_f64 v[24:25], v[12:13], v[30:31]
	s_waitcnt vmcnt(8)
	v_fma_f64 v[6:7], v[6:7], v[119:120], -v[28:29]
	v_mul_f64 v[16:17], v[10:11], v[30:31]
	v_fma_f64 v[8:9], v[8:9], v[119:120], v[26:27]
	v_add_f64 v[18:19], v[18:19], v[22:23]
	v_add_f64 v[14:15], v[14:15], v[20:21]
	s_waitcnt vmcnt(7) lgkmcnt(0)
	v_mul_f64 v[22:23], v[4:5], v[42:43]
	v_mul_f64 v[20:21], v[2:3], v[42:43]
	s_waitcnt vmcnt(5)
	v_fma_f64 v[10:11], v[10:11], v[34:35], -v[24:25]
	v_fma_f64 v[12:13], v[12:13], v[34:35], v[16:17]
	v_add_f64 v[6:7], v[18:19], v[6:7]
	v_add_f64 v[8:9], v[14:15], v[8:9]
	s_waitcnt vmcnt(4)
	v_fma_f64 v[2:3], v[2:3], v[46:47], -v[22:23]
	v_fma_f64 v[4:5], v[4:5], v[46:47], v[20:21]
	v_add_f64 v[6:7], v[6:7], v[10:11]
	v_add_f64 v[8:9], v[8:9], v[12:13]
	;; [unrolled: 1-line block ×4, first 2 shown]
	s_waitcnt vmcnt(2)
	v_add_f64 v[2:3], v[40:41], -v[2:3]
	s_waitcnt vmcnt(0)
	v_add_f64 v[4:5], v[44:45], -v[4:5]
	buffer_store_dword v3, off, s[0:3], 0 offset:532
	buffer_store_dword v2, off, s[0:3], 0 offset:528
	;; [unrolled: 1-line block ×4, first 2 shown]
	v_cmpx_lt_u32_e32 31, v0
	s_cbranch_execz .LBB57_299
; %bb.298:
	v_mov_b32_e32 v5, s39
	s_clause 0x3
	buffer_load_dword v2, v5, s[0:3], 0 offen
	buffer_load_dword v3, v5, s[0:3], 0 offen offset:4
	buffer_load_dword v4, v5, s[0:3], 0 offen offset:8
	;; [unrolled: 1-line block ×3, first 2 shown]
	buffer_store_dword v1, off, s[0:3], 0 offset:512
	buffer_store_dword v1, off, s[0:3], 0 offset:516
	;; [unrolled: 1-line block ×4, first 2 shown]
	s_waitcnt vmcnt(0)
	ds_write_b128 v63, v[2:5]
.LBB57_299:
	s_or_b32 exec_lo, exec_lo, s4
	s_waitcnt lgkmcnt(0)
	s_waitcnt_vscnt null, 0x0
	s_barrier
	buffer_gl0_inv
	s_clause 0x37
	buffer_load_dword v10, off, s[0:3], 0 offset:536
	buffer_load_dword v11, off, s[0:3], 0 offset:540
	;; [unrolled: 1-line block ×56, first 2 shown]
	ds_read_b128 v[2:5], v1 offset:1440
	s_clause 0x2
	buffer_load_dword v102, off, s[0:3], 0 offset:764
	buffer_load_dword v106, off, s[0:3], 0 offset:740
	;; [unrolled: 1-line block ×3, first 2 shown]
	ds_read_b128 v[6:9], v1 offset:1456
	s_clause 0x4
	buffer_load_dword v112, off, s[0:3], 0 offset:780
	buffer_load_dword v113, off, s[0:3], 0 offset:792
	;; [unrolled: 1-line block ×5, first 2 shown]
	s_mov_b32 s4, exec_lo
	s_waitcnt vmcnt(62) lgkmcnt(1)
	v_mul_f64 v[107:108], v[4:5], v[10:11]
	v_mul_f64 v[109:110], v[2:3], v[10:11]
	s_waitcnt vmcnt(60) lgkmcnt(0)
	v_mul_f64 v[116:117], v[8:9], v[14:15]
	ds_read_b128 v[10:13], v1 offset:1472
	v_mul_f64 v[14:15], v[6:7], v[14:15]
	s_waitcnt vmcnt(58)
	v_fma_f64 v[107:108], v[2:3], v[16:17], -v[107:108]
	v_fma_f64 v[16:17], v[4:5], v[16:17], v[109:110]
	s_clause 0x2
	buffer_load_dword v114, off, s[0:3], 0 offset:796
	buffer_load_dword v110, off, s[0:3], 0 offset:772
	;; [unrolled: 1-line block ×3, first 2 shown]
	s_waitcnt vmcnt(59) lgkmcnt(0)
	v_mul_f64 v[118:119], v[10:11], v[18:19]
	v_mul_f64 v[18:19], v[12:13], v[18:19]
	s_waitcnt vmcnt(57)
	v_fma_f64 v[120:121], v[6:7], v[20:21], -v[116:117]
	ds_read_b128 v[2:5], v1 offset:1488
	v_fma_f64 v[14:15], v[8:9], v[20:21], v[14:15]
	s_clause 0x4
	buffer_load_dword v21, off, s[0:3], 0 offset:812
	buffer_load_dword v117, off, s[0:3], 0 offset:824
	;; [unrolled: 1-line block ×5, first 2 shown]
	ds_read_b128 v[6:9], v1 offset:1504
	v_add_f64 v[107:108], v[107:108], 0
	v_add_f64 v[16:17], v[16:17], 0
	s_waitcnt vmcnt(58) lgkmcnt(1)
	v_mul_f64 v[123:124], v[2:3], v[22:23]
	v_mul_f64 v[22:23], v[4:5], v[22:23]
	s_waitcnt vmcnt(56)
	v_fma_f64 v[18:19], v[10:11], v[28:29], -v[18:19]
	v_fma_f64 v[28:29], v[12:13], v[28:29], v[118:119]
	v_add_f64 v[107:108], v[107:108], v[120:121]
	v_add_f64 v[14:15], v[16:17], v[14:15]
	s_clause 0x2
	buffer_load_dword v118, off, s[0:3], 0 offset:828
	buffer_load_dword v17, off, s[0:3], 0 offset:804
	;; [unrolled: 1-line block ×3, first 2 shown]
	s_waitcnt vmcnt(58) lgkmcnt(0)
	v_mul_f64 v[119:120], v[6:7], v[24:25]
	v_mul_f64 v[24:25], v[8:9], v[24:25]
	s_waitcnt vmcnt(56)
	v_fma_f64 v[22:23], v[2:3], v[30:31], -v[22:23]
	ds_read_b128 v[10:13], v1 offset:1520
	v_fma_f64 v[30:31], v[4:5], v[30:31], v[123:124]
	v_add_f64 v[18:19], v[107:108], v[18:19]
	v_add_f64 v[14:15], v[14:15], v[28:29]
	s_clause 0x4
	buffer_load_dword v29, off, s[0:3], 0 offset:844
	buffer_load_dword v107, off, s[0:3], 0 offset:856
	;; [unrolled: 1-line block ×5, first 2 shown]
	ds_read_b128 v[2:5], v1 offset:1536
	s_waitcnt vmcnt(57) lgkmcnt(1)
	v_mul_f64 v[125:126], v[10:11], v[32:33]
	v_mul_f64 v[32:33], v[12:13], v[32:33]
	s_waitcnt vmcnt(56)
	v_fma_f64 v[24:25], v[6:7], v[26:27], -v[24:25]
	v_add_f64 v[18:19], v[18:19], v[22:23]
	v_fma_f64 v[22:23], v[8:9], v[26:27], v[119:120]
	v_add_f64 v[14:15], v[14:15], v[30:31]
	s_clause 0x2
	buffer_load_dword v108, off, s[0:3], 0 offset:860
	buffer_load_dword v27, off, s[0:3], 0 offset:836
	;; [unrolled: 1-line block ×3, first 2 shown]
	s_waitcnt vmcnt(58) lgkmcnt(0)
	v_mul_f64 v[30:31], v[2:3], v[34:35]
	v_mul_f64 v[34:35], v[4:5], v[34:35]
	s_waitcnt vmcnt(56)
	v_fma_f64 v[32:33], v[10:11], v[38:39], -v[32:33]
	ds_read_b128 v[6:9], v1 offset:1552
	v_add_f64 v[18:19], v[18:19], v[24:25]
	v_fma_f64 v[24:25], v[12:13], v[38:39], v[125:126]
	v_add_f64 v[14:15], v[14:15], v[22:23]
	s_clause 0x4
	buffer_load_dword v23, off, s[0:3], 0 offset:876
	buffer_load_dword v38, off, s[0:3], 0 offset:888
	;; [unrolled: 1-line block ×5, first 2 shown]
	ds_read_b128 v[10:13], v1 offset:1568
	s_waitcnt vmcnt(57) lgkmcnt(1)
	v_mul_f64 v[120:121], v[6:7], v[40:41]
	v_mul_f64 v[40:41], v[8:9], v[40:41]
	s_waitcnt vmcnt(56)
	v_fma_f64 v[34:35], v[2:3], v[36:37], -v[34:35]
	v_fma_f64 v[30:31], v[4:5], v[36:37], v[30:31]
	v_add_f64 v[18:19], v[18:19], v[32:33]
	v_add_f64 v[14:15], v[14:15], v[24:25]
	s_clause 0x2
	buffer_load_dword v39, off, s[0:3], 0 offset:892
	buffer_load_dword v25, off, s[0:3], 0 offset:868
	;; [unrolled: 1-line block ×3, first 2 shown]
	s_waitcnt vmcnt(58) lgkmcnt(0)
	v_mul_f64 v[36:37], v[12:13], v[42:43]
	ds_read_b128 v[2:5], v1 offset:1584
	s_waitcnt vmcnt(56)
	v_fma_f64 v[40:41], v[6:7], v[46:47], -v[40:41]
	v_mul_f64 v[32:33], v[10:11], v[42:43]
	v_add_f64 v[18:19], v[18:19], v[34:35]
	v_fma_f64 v[34:35], v[8:9], v[46:47], v[120:121]
	v_add_f64 v[14:15], v[14:15], v[30:31]
	s_clause 0x4
	buffer_load_dword v31, off, s[0:3], 0 offset:908
	buffer_load_dword v42, off, s[0:3], 0 offset:920
	;; [unrolled: 1-line block ×5, first 2 shown]
	s_waitcnt vmcnt(57) lgkmcnt(0)
	v_mul_f64 v[126:127], v[2:3], v[48:49]
	v_mul_f64 v[47:48], v[4:5], v[48:49]
	s_waitcnt vmcnt(56)
	v_fma_f64 v[36:37], v[10:11], v[44:45], -v[36:37]
	ds_read_b128 v[6:9], v1 offset:1600
	v_fma_f64 v[32:33], v[12:13], v[44:45], v[32:33]
	v_add_f64 v[18:19], v[18:19], v[40:41]
	v_add_f64 v[14:15], v[14:15], v[34:35]
	s_clause 0x2
	buffer_load_dword v43, off, s[0:3], 0 offset:924
	buffer_load_dword v35, off, s[0:3], 0 offset:900
	;; [unrolled: 1-line block ×3, first 2 shown]
	ds_read_b128 v[10:13], v1 offset:1616
	s_waitcnt vmcnt(58) lgkmcnt(1)
	v_mul_f64 v[44:45], v[8:9], v[50:51]
	s_waitcnt vmcnt(56)
	v_fma_f64 v[48:49], v[2:3], v[54:55], -v[47:48]
	v_mul_f64 v[40:41], v[6:7], v[50:51]
	v_add_f64 v[18:19], v[18:19], v[36:37]
	v_fma_f64 v[36:37], v[4:5], v[54:55], v[126:127]
	v_add_f64 v[14:15], v[14:15], v[32:33]
	s_clause 0x2
	buffer_load_dword v33, off, s[0:3], 0 offset:940
	buffer_load_dword v32, off, s[0:3], 0 offset:936
	;; [unrolled: 1-line block ×3, first 2 shown]
	s_waitcnt vmcnt(55) lgkmcnt(0)
	v_mul_f64 v[54:55], v[12:13], v[56:57]
	s_waitcnt vmcnt(54)
	v_fma_f64 v[44:45], v[6:7], v[52:53], -v[44:45]
	ds_read_b128 v[2:5], v1 offset:1632
	v_mul_f64 v[50:51], v[10:11], v[56:57]
	v_fma_f64 v[40:41], v[8:9], v[52:53], v[40:41]
	v_add_f64 v[18:19], v[18:19], v[48:49]
	v_add_f64 v[14:15], v[14:15], v[36:37]
	s_clause 0x1
	buffer_load_dword v37, off, s[0:3], 0 offset:932
	buffer_load_dword v36, off, s[0:3], 0 offset:928
	s_waitcnt vmcnt(55) lgkmcnt(0)
	v_mul_f64 v[52:53], v[4:5], v[58:59]
	s_waitcnt vmcnt(53)
	v_fma_f64 v[54:55], v[10:11], v[93:94], -v[54:55]
	ds_read_b128 v[6:9], v1 offset:1648
	v_mul_f64 v[48:49], v[2:3], v[58:59]
	v_add_f64 v[18:19], v[18:19], v[44:45]
	v_fma_f64 v[44:45], v[12:13], v[93:94], v[50:51]
	v_add_f64 v[14:15], v[14:15], v[40:41]
	ds_read_b128 v[10:13], v1 offset:1664
	s_waitcnt vmcnt(49) lgkmcnt(1)
	v_mul_f64 v[50:51], v[8:9], v[95:96]
	s_waitcnt vmcnt(48)
	v_fma_f64 v[52:53], v[2:3], v[60:61], -v[52:53]
	v_mul_f64 v[40:41], v[6:7], v[95:96]
	v_fma_f64 v[48:49], v[4:5], v[60:61], v[48:49]
	v_add_f64 v[18:19], v[18:19], v[54:55]
	s_waitcnt vmcnt(47) lgkmcnt(0)
	v_mul_f64 v[58:59], v[12:13], v[101:102]
	v_add_f64 v[14:15], v[14:15], v[44:45]
	s_clause 0x3
	buffer_load_dword v44, off, s[0:3], 0 offset:512
	buffer_load_dword v45, off, s[0:3], 0 offset:516
	;; [unrolled: 1-line block ×4, first 2 shown]
	s_waitcnt vmcnt(49)
	v_fma_f64 v[50:51], v[6:7], v[105:106], -v[50:51]
	ds_read_b128 v[2:5], v1 offset:1680
	v_mul_f64 v[56:57], v[10:11], v[101:102]
	v_fma_f64 v[40:41], v[8:9], v[105:106], v[40:41]
	ds_read_b128 v[6:9], v1 offset:1696
	v_add_f64 v[18:19], v[18:19], v[52:53]
	s_waitcnt vmcnt(44)
	v_fma_f64 v[58:59], v[10:11], v[103:104], -v[58:59]
	v_add_f64 v[14:15], v[14:15], v[48:49]
	s_waitcnt lgkmcnt(1)
	v_mul_f64 v[52:53], v[4:5], v[111:112]
	v_mul_f64 v[48:49], v[2:3], v[111:112]
	v_add_f64 v[18:19], v[18:19], v[50:51]
	v_fma_f64 v[50:51], v[12:13], v[103:104], v[56:57]
	v_add_f64 v[14:15], v[14:15], v[40:41]
	ds_read_b128 v[10:13], v1 offset:1712
	s_waitcnt vmcnt(43) lgkmcnt(1)
	v_mul_f64 v[56:57], v[8:9], v[113:114]
	v_mul_f64 v[40:41], v[6:7], v[113:114]
	s_waitcnt vmcnt(41)
	v_fma_f64 v[52:53], v[2:3], v[109:110], -v[52:53]
	v_fma_f64 v[48:49], v[4:5], v[109:110], v[48:49]
	ds_read_b128 v[2:5], v1 offset:1728
	v_add_f64 v[18:19], v[18:19], v[58:59]
	v_add_f64 v[14:15], v[14:15], v[50:51]
	s_waitcnt vmcnt(37) lgkmcnt(1)
	v_mul_f64 v[50:51], v[10:11], v[20:21]
	v_mul_f64 v[20:21], v[12:13], v[20:21]
	s_waitcnt vmcnt(36)
	v_fma_f64 v[56:57], v[6:7], v[115:116], -v[56:57]
	v_fma_f64 v[40:41], v[8:9], v[115:116], v[40:41]
	ds_read_b128 v[6:9], v1 offset:1744
	v_add_f64 v[18:19], v[18:19], v[52:53]
	v_add_f64 v[14:15], v[14:15], v[48:49]
	;; [unrolled: 9-line block ×3, first 2 shown]
	s_waitcnt vmcnt(29) lgkmcnt(1)
	v_mul_f64 v[40:41], v[6:7], v[28:29]
	v_mul_f64 v[28:29], v[8:9], v[28:29]
	s_waitcnt vmcnt(28)
	v_fma_f64 v[50:51], v[2:3], v[122:123], -v[52:53]
	v_add_f64 v[18:19], v[18:19], v[20:21]
	v_fma_f64 v[20:21], v[4:5], v[122:123], v[48:49]
	v_add_f64 v[14:15], v[14:15], v[16:17]
	ds_read_b128 v[2:5], v1 offset:1776
	s_waitcnt vmcnt(27) lgkmcnt(1)
	v_mul_f64 v[48:49], v[12:13], v[107:108]
	v_mul_f64 v[16:17], v[10:11], v[107:108]
	s_waitcnt vmcnt(25)
	v_fma_f64 v[28:29], v[6:7], v[26:27], -v[28:29]
	v_fma_f64 v[26:27], v[8:9], v[26:27], v[40:41]
	ds_read_b128 v[6:9], v1 offset:1792
	v_add_f64 v[18:19], v[18:19], v[50:51]
	v_add_f64 v[14:15], v[14:15], v[20:21]
	s_waitcnt vmcnt(21) lgkmcnt(1)
	v_mul_f64 v[20:21], v[2:3], v[22:23]
	v_mul_f64 v[22:23], v[4:5], v[22:23]
	s_waitcnt vmcnt(20)
	v_fma_f64 v[40:41], v[10:11], v[124:125], -v[48:49]
	v_fma_f64 v[16:17], v[12:13], v[124:125], v[16:17]
	ds_read_b128 v[10:13], v1 offset:1808
	v_add_f64 v[18:19], v[18:19], v[28:29]
	v_add_f64 v[14:15], v[14:15], v[26:27]
	;; [unrolled: 9-line block ×3, first 2 shown]
	s_waitcnt vmcnt(13) lgkmcnt(1)
	v_mul_f64 v[24:25], v[12:13], v[30:31]
	s_waitcnt vmcnt(12)
	v_fma_f64 v[28:29], v[6:7], v[119:120], -v[28:29]
	v_mul_f64 v[16:17], v[10:11], v[30:31]
	v_add_f64 v[18:19], v[18:19], v[22:23]
	v_fma_f64 v[22:23], v[8:9], v[119:120], v[26:27]
	v_add_f64 v[14:15], v[14:15], v[20:21]
	ds_read_b128 v[6:9], v1 offset:1840
	s_waitcnt vmcnt(11) lgkmcnt(1)
	v_mul_f64 v[26:27], v[4:5], v[42:43]
	v_mul_f64 v[20:21], v[2:3], v[42:43]
	s_waitcnt vmcnt(9)
	v_fma_f64 v[10:11], v[10:11], v[34:35], -v[24:25]
	v_fma_f64 v[12:13], v[12:13], v[34:35], v[16:17]
	v_add_f64 v[18:19], v[18:19], v[28:29]
	v_add_f64 v[14:15], v[14:15], v[22:23]
	s_waitcnt vmcnt(7) lgkmcnt(0)
	v_mul_f64 v[22:23], v[8:9], v[32:33]
	s_waitcnt vmcnt(6)
	v_fma_f64 v[1:2], v[2:3], v[46:47], -v[26:27]
	v_mul_f64 v[16:17], v[6:7], v[32:33]
	v_fma_f64 v[3:4], v[4:5], v[46:47], v[20:21]
	v_add_f64 v[10:11], v[18:19], v[10:11]
	v_add_f64 v[12:13], v[14:15], v[12:13]
	s_waitcnt vmcnt(4)
	v_fma_f64 v[5:6], v[6:7], v[36:37], -v[22:23]
	v_fma_f64 v[7:8], v[8:9], v[36:37], v[16:17]
	v_add_f64 v[1:2], v[10:11], v[1:2]
	v_add_f64 v[3:4], v[12:13], v[3:4]
	v_add_f64 v[1:2], v[1:2], v[5:6]
	v_add_f64 v[3:4], v[3:4], v[7:8]
	s_waitcnt vmcnt(2)
	v_add_f64 v[1:2], v[44:45], -v[1:2]
	s_waitcnt vmcnt(0)
	v_add_f64 v[3:4], v[54:55], -v[3:4]
	buffer_store_dword v2, off, s[0:3], 0 offset:516
	buffer_store_dword v1, off, s[0:3], 0 offset:512
	;; [unrolled: 1-line block ×4, first 2 shown]
	v_cmpx_lt_u32_e32 30, v0
	s_cbranch_execz .LBB57_301
; %bb.300:
	v_mov_b32_e32 v4, s40
	v_mov_b32_e32 v5, 0
	s_clause 0x3
	buffer_load_dword v1, v4, s[0:3], 0 offen
	buffer_load_dword v2, v4, s[0:3], 0 offen offset:4
	buffer_load_dword v3, v4, s[0:3], 0 offen offset:8
	;; [unrolled: 1-line block ×3, first 2 shown]
	buffer_store_dword v5, off, s[0:3], 0 offset:496
	buffer_store_dword v5, off, s[0:3], 0 offset:500
	;; [unrolled: 1-line block ×4, first 2 shown]
	s_waitcnt vmcnt(0)
	ds_write_b128 v63, v[1:4]
.LBB57_301:
	s_or_b32 exec_lo, exec_lo, s4
	s_waitcnt lgkmcnt(0)
	s_waitcnt_vscnt null, 0x0
	s_barrier
	buffer_gl0_inv
	s_clause 0x37
	buffer_load_dword v10, off, s[0:3], 0 offset:520
	buffer_load_dword v11, off, s[0:3], 0 offset:524
	;; [unrolled: 1-line block ×56, first 2 shown]
	v_mov_b32_e32 v1, 0
	s_mov_b32 s4, exec_lo
	ds_read_b128 v[2:5], v1 offset:1424
	s_clause 0x2
	buffer_load_dword v102, off, s[0:3], 0 offset:748
	buffer_load_dword v106, off, s[0:3], 0 offset:724
	;; [unrolled: 1-line block ×3, first 2 shown]
	ds_read_b128 v[6:9], v1 offset:1440
	s_clause 0x4
	buffer_load_dword v112, off, s[0:3], 0 offset:764
	buffer_load_dword v113, off, s[0:3], 0 offset:776
	;; [unrolled: 1-line block ×5, first 2 shown]
	s_waitcnt vmcnt(62) lgkmcnt(1)
	v_mul_f64 v[107:108], v[4:5], v[10:11]
	v_mul_f64 v[109:110], v[2:3], v[10:11]
	s_waitcnt vmcnt(60) lgkmcnt(0)
	v_mul_f64 v[116:117], v[8:9], v[14:15]
	ds_read_b128 v[10:13], v1 offset:1456
	v_mul_f64 v[14:15], v[6:7], v[14:15]
	s_waitcnt vmcnt(58)
	v_fma_f64 v[107:108], v[2:3], v[16:17], -v[107:108]
	v_fma_f64 v[16:17], v[4:5], v[16:17], v[109:110]
	s_clause 0x2
	buffer_load_dword v114, off, s[0:3], 0 offset:780
	buffer_load_dword v110, off, s[0:3], 0 offset:756
	;; [unrolled: 1-line block ×3, first 2 shown]
	s_waitcnt vmcnt(59) lgkmcnt(0)
	v_mul_f64 v[118:119], v[10:11], v[18:19]
	v_mul_f64 v[18:19], v[12:13], v[18:19]
	s_waitcnt vmcnt(57)
	v_fma_f64 v[120:121], v[6:7], v[20:21], -v[116:117]
	ds_read_b128 v[2:5], v1 offset:1472
	v_fma_f64 v[14:15], v[8:9], v[20:21], v[14:15]
	s_clause 0x4
	buffer_load_dword v21, off, s[0:3], 0 offset:796
	buffer_load_dword v117, off, s[0:3], 0 offset:808
	;; [unrolled: 1-line block ×5, first 2 shown]
	ds_read_b128 v[6:9], v1 offset:1488
	v_add_f64 v[107:108], v[107:108], 0
	v_add_f64 v[16:17], v[16:17], 0
	s_waitcnt vmcnt(58) lgkmcnt(1)
	v_mul_f64 v[123:124], v[2:3], v[22:23]
	v_mul_f64 v[22:23], v[4:5], v[22:23]
	s_waitcnt vmcnt(56)
	v_fma_f64 v[18:19], v[10:11], v[28:29], -v[18:19]
	v_fma_f64 v[28:29], v[12:13], v[28:29], v[118:119]
	v_add_f64 v[107:108], v[107:108], v[120:121]
	v_add_f64 v[14:15], v[16:17], v[14:15]
	s_clause 0x2
	buffer_load_dword v118, off, s[0:3], 0 offset:812
	buffer_load_dword v17, off, s[0:3], 0 offset:788
	;; [unrolled: 1-line block ×3, first 2 shown]
	s_waitcnt vmcnt(58) lgkmcnt(0)
	v_mul_f64 v[119:120], v[6:7], v[24:25]
	v_mul_f64 v[24:25], v[8:9], v[24:25]
	s_waitcnt vmcnt(56)
	v_fma_f64 v[22:23], v[2:3], v[30:31], -v[22:23]
	ds_read_b128 v[10:13], v1 offset:1504
	v_fma_f64 v[30:31], v[4:5], v[30:31], v[123:124]
	v_add_f64 v[18:19], v[107:108], v[18:19]
	v_add_f64 v[14:15], v[14:15], v[28:29]
	s_clause 0x4
	buffer_load_dword v29, off, s[0:3], 0 offset:828
	buffer_load_dword v107, off, s[0:3], 0 offset:840
	;; [unrolled: 1-line block ×5, first 2 shown]
	ds_read_b128 v[2:5], v1 offset:1520
	s_waitcnt vmcnt(57) lgkmcnt(1)
	v_mul_f64 v[125:126], v[10:11], v[32:33]
	v_mul_f64 v[32:33], v[12:13], v[32:33]
	s_waitcnt vmcnt(56)
	v_fma_f64 v[24:25], v[6:7], v[26:27], -v[24:25]
	v_add_f64 v[18:19], v[18:19], v[22:23]
	v_fma_f64 v[22:23], v[8:9], v[26:27], v[119:120]
	v_add_f64 v[14:15], v[14:15], v[30:31]
	s_clause 0x2
	buffer_load_dword v108, off, s[0:3], 0 offset:844
	buffer_load_dword v27, off, s[0:3], 0 offset:820
	;; [unrolled: 1-line block ×3, first 2 shown]
	s_waitcnt vmcnt(58) lgkmcnt(0)
	v_mul_f64 v[30:31], v[2:3], v[34:35]
	v_mul_f64 v[34:35], v[4:5], v[34:35]
	s_waitcnt vmcnt(56)
	v_fma_f64 v[32:33], v[10:11], v[38:39], -v[32:33]
	ds_read_b128 v[6:9], v1 offset:1536
	v_add_f64 v[18:19], v[18:19], v[24:25]
	v_fma_f64 v[24:25], v[12:13], v[38:39], v[125:126]
	v_add_f64 v[14:15], v[14:15], v[22:23]
	s_clause 0x4
	buffer_load_dword v23, off, s[0:3], 0 offset:860
	buffer_load_dword v38, off, s[0:3], 0 offset:872
	;; [unrolled: 1-line block ×5, first 2 shown]
	ds_read_b128 v[10:13], v1 offset:1552
	s_waitcnt vmcnt(57) lgkmcnt(1)
	v_mul_f64 v[120:121], v[6:7], v[40:41]
	v_mul_f64 v[40:41], v[8:9], v[40:41]
	s_waitcnt vmcnt(56)
	v_fma_f64 v[34:35], v[2:3], v[36:37], -v[34:35]
	v_fma_f64 v[30:31], v[4:5], v[36:37], v[30:31]
	v_add_f64 v[18:19], v[18:19], v[32:33]
	v_add_f64 v[14:15], v[14:15], v[24:25]
	s_clause 0x2
	buffer_load_dword v39, off, s[0:3], 0 offset:876
	buffer_load_dword v25, off, s[0:3], 0 offset:852
	buffer_load_dword v24, off, s[0:3], 0 offset:848
	s_waitcnt vmcnt(58) lgkmcnt(0)
	v_mul_f64 v[36:37], v[12:13], v[42:43]
	ds_read_b128 v[2:5], v1 offset:1568
	s_waitcnt vmcnt(56)
	v_fma_f64 v[40:41], v[6:7], v[46:47], -v[40:41]
	v_mul_f64 v[32:33], v[10:11], v[42:43]
	v_add_f64 v[18:19], v[18:19], v[34:35]
	v_fma_f64 v[34:35], v[8:9], v[46:47], v[120:121]
	v_add_f64 v[14:15], v[14:15], v[30:31]
	s_clause 0x4
	buffer_load_dword v31, off, s[0:3], 0 offset:892
	buffer_load_dword v42, off, s[0:3], 0 offset:904
	;; [unrolled: 1-line block ×5, first 2 shown]
	s_waitcnt vmcnt(57) lgkmcnt(0)
	v_mul_f64 v[126:127], v[2:3], v[48:49]
	v_mul_f64 v[47:48], v[4:5], v[48:49]
	s_waitcnt vmcnt(56)
	v_fma_f64 v[36:37], v[10:11], v[44:45], -v[36:37]
	ds_read_b128 v[6:9], v1 offset:1584
	v_fma_f64 v[32:33], v[12:13], v[44:45], v[32:33]
	v_add_f64 v[18:19], v[18:19], v[40:41]
	v_add_f64 v[14:15], v[14:15], v[34:35]
	s_clause 0x2
	buffer_load_dword v43, off, s[0:3], 0 offset:908
	buffer_load_dword v35, off, s[0:3], 0 offset:884
	;; [unrolled: 1-line block ×3, first 2 shown]
	ds_read_b128 v[10:13], v1 offset:1600
	s_waitcnt vmcnt(58) lgkmcnt(1)
	v_mul_f64 v[44:45], v[8:9], v[50:51]
	s_waitcnt vmcnt(56)
	v_fma_f64 v[48:49], v[2:3], v[54:55], -v[47:48]
	v_mul_f64 v[40:41], v[6:7], v[50:51]
	v_add_f64 v[18:19], v[18:19], v[36:37]
	v_fma_f64 v[36:37], v[4:5], v[54:55], v[126:127]
	v_add_f64 v[14:15], v[14:15], v[32:33]
	s_clause 0x4
	buffer_load_dword v33, off, s[0:3], 0 offset:924
	buffer_load_dword v50, off, s[0:3], 0 offset:936
	;; [unrolled: 1-line block ×5, first 2 shown]
	s_waitcnt vmcnt(57) lgkmcnt(0)
	v_mul_f64 v[126:127], v[10:11], v[56:57]
	v_mul_f64 v[55:56], v[12:13], v[56:57]
	s_waitcnt vmcnt(56)
	v_fma_f64 v[44:45], v[6:7], v[52:53], -v[44:45]
	ds_read_b128 v[2:5], v1 offset:1616
	v_fma_f64 v[40:41], v[8:9], v[52:53], v[40:41]
	v_add_f64 v[18:19], v[18:19], v[48:49]
	v_add_f64 v[14:15], v[14:15], v[36:37]
	s_clause 0x2
	buffer_load_dword v51, off, s[0:3], 0 offset:940
	buffer_load_dword v37, off, s[0:3], 0 offset:916
	;; [unrolled: 1-line block ×3, first 2 shown]
	ds_read_b128 v[6:9], v1 offset:1632
	s_waitcnt vmcnt(58) lgkmcnt(1)
	v_mul_f64 v[52:53], v[4:5], v[58:59]
	s_waitcnt vmcnt(56)
	v_fma_f64 v[56:57], v[10:11], v[93:94], -v[55:56]
	v_mul_f64 v[48:49], v[2:3], v[58:59]
	buffer_load_dword v55, off, s[0:3], 0 offset:932
	v_add_f64 v[18:19], v[18:19], v[44:45]
	v_fma_f64 v[44:45], v[12:13], v[93:94], v[126:127]
	v_add_f64 v[14:15], v[14:15], v[40:41]
	ds_read_b128 v[10:13], v1 offset:1648
	s_waitcnt vmcnt(53) lgkmcnt(1)
	v_mul_f64 v[58:59], v[8:9], v[95:96]
	s_waitcnt vmcnt(52)
	v_fma_f64 v[52:53], v[2:3], v[60:61], -v[52:53]
	v_mul_f64 v[40:41], v[6:7], v[95:96]
	v_fma_f64 v[48:49], v[4:5], v[60:61], v[48:49]
	ds_read_b128 v[2:5], v1 offset:1664
	v_add_f64 v[18:19], v[18:19], v[56:57]
	s_waitcnt vmcnt(51) lgkmcnt(1)
	v_mul_f64 v[56:57], v[12:13], v[101:102]
	v_add_f64 v[14:15], v[14:15], v[44:45]
	v_mul_f64 v[44:45], v[10:11], v[101:102]
	s_waitcnt vmcnt(49)
	v_fma_f64 v[58:59], v[6:7], v[105:106], -v[58:59]
	v_fma_f64 v[40:41], v[8:9], v[105:106], v[40:41]
	s_waitcnt vmcnt(45) lgkmcnt(0)
	v_mul_f64 v[93:94], v[4:5], v[111:112]
	v_mul_f64 v[60:61], v[2:3], v[111:112]
	v_add_f64 v[18:19], v[18:19], v[52:53]
	s_waitcnt vmcnt(44)
	v_fma_f64 v[56:57], v[10:11], v[103:104], -v[56:57]
	v_add_f64 v[14:15], v[14:15], v[48:49]
	s_clause 0x3
	buffer_load_dword v48, off, s[0:3], 0 offset:496
	buffer_load_dword v49, off, s[0:3], 0 offset:500
	;; [unrolled: 1-line block ×4, first 2 shown]
	ds_read_b128 v[6:9], v1 offset:1680
	v_fma_f64 v[44:45], v[12:13], v[103:104], v[44:45]
	ds_read_b128 v[10:13], v1 offset:1696
	v_add_f64 v[18:19], v[18:19], v[58:59]
	v_add_f64 v[14:15], v[14:15], v[40:41]
	s_waitcnt vmcnt(47) lgkmcnt(1)
	v_mul_f64 v[58:59], v[8:9], v[113:114]
	v_mul_f64 v[40:41], v[6:7], v[113:114]
	s_waitcnt vmcnt(45)
	v_fma_f64 v[93:94], v[2:3], v[109:110], -v[93:94]
	v_add_f64 v[18:19], v[18:19], v[56:57]
	v_fma_f64 v[56:57], v[4:5], v[109:110], v[60:61]
	v_add_f64 v[14:15], v[14:15], v[44:45]
	s_waitcnt vmcnt(41) lgkmcnt(0)
	v_mul_f64 v[44:45], v[10:11], v[20:21]
	v_mul_f64 v[20:21], v[12:13], v[20:21]
	ds_read_b128 v[2:5], v1 offset:1712
	s_waitcnt vmcnt(40)
	v_fma_f64 v[58:59], v[6:7], v[115:116], -v[58:59]
	v_fma_f64 v[40:41], v[8:9], v[115:116], v[40:41]
	ds_read_b128 v[6:9], v1 offset:1728
	v_add_f64 v[18:19], v[18:19], v[93:94]
	v_add_f64 v[14:15], v[14:15], v[56:57]
	s_waitcnt vmcnt(39) lgkmcnt(1)
	v_mul_f64 v[60:61], v[4:5], v[117:118]
	v_mul_f64 v[56:57], v[2:3], v[117:118]
	s_waitcnt vmcnt(37)
	v_fma_f64 v[20:21], v[10:11], v[16:17], -v[20:21]
	v_fma_f64 v[16:17], v[12:13], v[16:17], v[44:45]
	ds_read_b128 v[10:13], v1 offset:1744
	v_add_f64 v[18:19], v[18:19], v[58:59]
	v_add_f64 v[14:15], v[14:15], v[40:41]
	s_waitcnt vmcnt(33) lgkmcnt(1)
	v_mul_f64 v[40:41], v[6:7], v[28:29]
	v_mul_f64 v[28:29], v[8:9], v[28:29]
	s_waitcnt vmcnt(32)
	v_fma_f64 v[44:45], v[2:3], v[122:123], -v[60:61]
	v_add_f64 v[18:19], v[18:19], v[20:21]
	v_fma_f64 v[20:21], v[4:5], v[122:123], v[56:57]
	v_add_f64 v[14:15], v[14:15], v[16:17]
	ds_read_b128 v[2:5], v1 offset:1760
	s_waitcnt vmcnt(31) lgkmcnt(1)
	v_mul_f64 v[56:57], v[12:13], v[107:108]
	v_mul_f64 v[16:17], v[10:11], v[107:108]
	s_waitcnt vmcnt(29)
	v_fma_f64 v[28:29], v[6:7], v[26:27], -v[28:29]
	v_fma_f64 v[26:27], v[8:9], v[26:27], v[40:41]
	ds_read_b128 v[6:9], v1 offset:1776
	v_add_f64 v[18:19], v[18:19], v[44:45]
	v_add_f64 v[14:15], v[14:15], v[20:21]
	s_waitcnt vmcnt(25) lgkmcnt(1)
	v_mul_f64 v[20:21], v[2:3], v[22:23]
	v_mul_f64 v[22:23], v[4:5], v[22:23]
	s_waitcnt vmcnt(24)
	v_fma_f64 v[40:41], v[10:11], v[124:125], -v[56:57]
	v_fma_f64 v[16:17], v[12:13], v[124:125], v[16:17]
	ds_read_b128 v[10:13], v1 offset:1792
	v_add_f64 v[18:19], v[18:19], v[28:29]
	v_add_f64 v[14:15], v[14:15], v[26:27]
	;; [unrolled: 9-line block ×3, first 2 shown]
	s_waitcnt vmcnt(17) lgkmcnt(1)
	v_mul_f64 v[24:25], v[12:13], v[30:31]
	s_waitcnt vmcnt(16)
	v_fma_f64 v[28:29], v[6:7], v[119:120], -v[28:29]
	v_mul_f64 v[16:17], v[10:11], v[30:31]
	v_add_f64 v[18:19], v[18:19], v[22:23]
	v_fma_f64 v[22:23], v[8:9], v[119:120], v[26:27]
	v_add_f64 v[14:15], v[14:15], v[20:21]
	ds_read_b128 v[6:9], v1 offset:1824
	s_waitcnt vmcnt(15) lgkmcnt(1)
	v_mul_f64 v[26:27], v[4:5], v[42:43]
	v_mul_f64 v[20:21], v[2:3], v[42:43]
	s_waitcnt vmcnt(13)
	v_fma_f64 v[24:25], v[10:11], v[34:35], -v[24:25]
	v_fma_f64 v[16:17], v[12:13], v[34:35], v[16:17]
	ds_read_b128 v[10:13], v1 offset:1840
	v_add_f64 v[18:19], v[18:19], v[28:29]
	v_add_f64 v[14:15], v[14:15], v[22:23]
	s_waitcnt vmcnt(9) lgkmcnt(1)
	v_mul_f64 v[28:29], v[8:9], v[32:33]
	s_waitcnt vmcnt(8)
	v_fma_f64 v[2:3], v[2:3], v[46:47], -v[26:27]
	v_mul_f64 v[22:23], v[6:7], v[32:33]
	v_fma_f64 v[4:5], v[4:5], v[46:47], v[20:21]
	v_add_f64 v[18:19], v[18:19], v[24:25]
	v_add_f64 v[14:15], v[14:15], v[16:17]
	s_waitcnt vmcnt(7) lgkmcnt(0)
	v_mul_f64 v[20:21], v[12:13], v[50:51]
	v_mul_f64 v[16:17], v[10:11], v[50:51]
	s_waitcnt vmcnt(5)
	v_fma_f64 v[6:7], v[6:7], v[36:37], -v[28:29]
	v_fma_f64 v[8:9], v[8:9], v[36:37], v[22:23]
	v_add_f64 v[2:3], v[18:19], v[2:3]
	v_add_f64 v[4:5], v[14:15], v[4:5]
	s_waitcnt vmcnt(4)
	v_fma_f64 v[10:11], v[10:11], v[54:55], -v[20:21]
	v_add_f64 v[2:3], v[2:3], v[6:7]
	v_fma_f64 v[6:7], v[12:13], v[54:55], v[16:17]
	v_add_f64 v[4:5], v[4:5], v[8:9]
	v_add_f64 v[2:3], v[2:3], v[10:11]
	;; [unrolled: 1-line block ×3, first 2 shown]
	s_waitcnt vmcnt(2)
	v_add_f64 v[2:3], v[48:49], -v[2:3]
	s_waitcnt vmcnt(0)
	v_add_f64 v[4:5], v[52:53], -v[4:5]
	buffer_store_dword v3, off, s[0:3], 0 offset:500
	buffer_store_dword v2, off, s[0:3], 0 offset:496
	;; [unrolled: 1-line block ×4, first 2 shown]
	v_cmpx_lt_u32_e32 29, v0
	s_cbranch_execz .LBB57_303
; %bb.302:
	v_mov_b32_e32 v5, s41
	s_clause 0x3
	buffer_load_dword v2, v5, s[0:3], 0 offen
	buffer_load_dword v3, v5, s[0:3], 0 offen offset:4
	buffer_load_dword v4, v5, s[0:3], 0 offen offset:8
	;; [unrolled: 1-line block ×3, first 2 shown]
	buffer_store_dword v1, off, s[0:3], 0 offset:480
	buffer_store_dword v1, off, s[0:3], 0 offset:484
	;; [unrolled: 1-line block ×4, first 2 shown]
	s_waitcnt vmcnt(0)
	ds_write_b128 v63, v[2:5]
.LBB57_303:
	s_or_b32 exec_lo, exec_lo, s4
	s_waitcnt lgkmcnt(0)
	s_waitcnt_vscnt null, 0x0
	s_barrier
	buffer_gl0_inv
	s_clause 0x37
	buffer_load_dword v10, off, s[0:3], 0 offset:504
	buffer_load_dword v11, off, s[0:3], 0 offset:508
	;; [unrolled: 1-line block ×56, first 2 shown]
	ds_read_b128 v[2:5], v1 offset:1408
	s_clause 0x2
	buffer_load_dword v102, off, s[0:3], 0 offset:732
	buffer_load_dword v106, off, s[0:3], 0 offset:708
	;; [unrolled: 1-line block ×3, first 2 shown]
	ds_read_b128 v[6:9], v1 offset:1424
	s_clause 0x4
	buffer_load_dword v112, off, s[0:3], 0 offset:748
	buffer_load_dword v113, off, s[0:3], 0 offset:760
	buffer_load_dword v115, off, s[0:3], 0 offset:752
	buffer_load_dword v111, off, s[0:3], 0 offset:744
	buffer_load_dword v104, off, s[0:3], 0 offset:724
	s_mov_b32 s4, exec_lo
	s_waitcnt vmcnt(62) lgkmcnt(1)
	v_mul_f64 v[107:108], v[4:5], v[10:11]
	v_mul_f64 v[109:110], v[2:3], v[10:11]
	s_waitcnt vmcnt(60) lgkmcnt(0)
	v_mul_f64 v[116:117], v[8:9], v[14:15]
	ds_read_b128 v[10:13], v1 offset:1440
	v_mul_f64 v[14:15], v[6:7], v[14:15]
	s_waitcnt vmcnt(58)
	v_fma_f64 v[107:108], v[2:3], v[16:17], -v[107:108]
	v_fma_f64 v[16:17], v[4:5], v[16:17], v[109:110]
	s_clause 0x2
	buffer_load_dword v114, off, s[0:3], 0 offset:764
	buffer_load_dword v110, off, s[0:3], 0 offset:740
	;; [unrolled: 1-line block ×3, first 2 shown]
	s_waitcnt vmcnt(59) lgkmcnt(0)
	v_mul_f64 v[118:119], v[10:11], v[18:19]
	v_mul_f64 v[18:19], v[12:13], v[18:19]
	s_waitcnt vmcnt(57)
	v_fma_f64 v[120:121], v[6:7], v[20:21], -v[116:117]
	ds_read_b128 v[2:5], v1 offset:1456
	v_fma_f64 v[14:15], v[8:9], v[20:21], v[14:15]
	s_clause 0x4
	buffer_load_dword v21, off, s[0:3], 0 offset:780
	buffer_load_dword v117, off, s[0:3], 0 offset:792
	;; [unrolled: 1-line block ×5, first 2 shown]
	ds_read_b128 v[6:9], v1 offset:1472
	v_add_f64 v[107:108], v[107:108], 0
	v_add_f64 v[16:17], v[16:17], 0
	s_waitcnt vmcnt(58) lgkmcnt(1)
	v_mul_f64 v[123:124], v[2:3], v[22:23]
	v_mul_f64 v[22:23], v[4:5], v[22:23]
	s_waitcnt vmcnt(56)
	v_fma_f64 v[18:19], v[10:11], v[28:29], -v[18:19]
	v_fma_f64 v[28:29], v[12:13], v[28:29], v[118:119]
	v_add_f64 v[107:108], v[107:108], v[120:121]
	v_add_f64 v[14:15], v[16:17], v[14:15]
	s_clause 0x2
	buffer_load_dword v118, off, s[0:3], 0 offset:796
	buffer_load_dword v17, off, s[0:3], 0 offset:772
	;; [unrolled: 1-line block ×3, first 2 shown]
	s_waitcnt vmcnt(58) lgkmcnt(0)
	v_mul_f64 v[119:120], v[6:7], v[24:25]
	v_mul_f64 v[24:25], v[8:9], v[24:25]
	s_waitcnt vmcnt(56)
	v_fma_f64 v[22:23], v[2:3], v[30:31], -v[22:23]
	ds_read_b128 v[10:13], v1 offset:1488
	v_fma_f64 v[30:31], v[4:5], v[30:31], v[123:124]
	v_add_f64 v[18:19], v[107:108], v[18:19]
	v_add_f64 v[14:15], v[14:15], v[28:29]
	s_clause 0x4
	buffer_load_dword v29, off, s[0:3], 0 offset:812
	buffer_load_dword v107, off, s[0:3], 0 offset:824
	;; [unrolled: 1-line block ×5, first 2 shown]
	ds_read_b128 v[2:5], v1 offset:1504
	s_waitcnt vmcnt(57) lgkmcnt(1)
	v_mul_f64 v[125:126], v[10:11], v[32:33]
	v_mul_f64 v[32:33], v[12:13], v[32:33]
	s_waitcnt vmcnt(56)
	v_fma_f64 v[24:25], v[6:7], v[26:27], -v[24:25]
	v_add_f64 v[18:19], v[18:19], v[22:23]
	v_fma_f64 v[22:23], v[8:9], v[26:27], v[119:120]
	v_add_f64 v[14:15], v[14:15], v[30:31]
	s_clause 0x2
	buffer_load_dword v108, off, s[0:3], 0 offset:828
	buffer_load_dword v27, off, s[0:3], 0 offset:804
	;; [unrolled: 1-line block ×3, first 2 shown]
	s_waitcnt vmcnt(58) lgkmcnt(0)
	v_mul_f64 v[30:31], v[2:3], v[34:35]
	v_mul_f64 v[34:35], v[4:5], v[34:35]
	s_waitcnt vmcnt(56)
	v_fma_f64 v[32:33], v[10:11], v[38:39], -v[32:33]
	ds_read_b128 v[6:9], v1 offset:1520
	v_add_f64 v[18:19], v[18:19], v[24:25]
	v_fma_f64 v[24:25], v[12:13], v[38:39], v[125:126]
	v_add_f64 v[14:15], v[14:15], v[22:23]
	s_clause 0x4
	buffer_load_dword v23, off, s[0:3], 0 offset:844
	buffer_load_dword v38, off, s[0:3], 0 offset:856
	;; [unrolled: 1-line block ×5, first 2 shown]
	ds_read_b128 v[10:13], v1 offset:1536
	s_waitcnt vmcnt(57) lgkmcnt(1)
	v_mul_f64 v[120:121], v[6:7], v[40:41]
	v_mul_f64 v[40:41], v[8:9], v[40:41]
	s_waitcnt vmcnt(56)
	v_fma_f64 v[34:35], v[2:3], v[36:37], -v[34:35]
	v_fma_f64 v[30:31], v[4:5], v[36:37], v[30:31]
	v_add_f64 v[18:19], v[18:19], v[32:33]
	v_add_f64 v[14:15], v[14:15], v[24:25]
	s_clause 0x2
	buffer_load_dword v39, off, s[0:3], 0 offset:860
	buffer_load_dword v25, off, s[0:3], 0 offset:836
	;; [unrolled: 1-line block ×3, first 2 shown]
	s_waitcnt vmcnt(58) lgkmcnt(0)
	v_mul_f64 v[36:37], v[12:13], v[42:43]
	ds_read_b128 v[2:5], v1 offset:1552
	s_waitcnt vmcnt(56)
	v_fma_f64 v[40:41], v[6:7], v[46:47], -v[40:41]
	v_mul_f64 v[32:33], v[10:11], v[42:43]
	v_add_f64 v[18:19], v[18:19], v[34:35]
	v_fma_f64 v[34:35], v[8:9], v[46:47], v[120:121]
	v_add_f64 v[14:15], v[14:15], v[30:31]
	s_clause 0x4
	buffer_load_dword v31, off, s[0:3], 0 offset:876
	buffer_load_dword v42, off, s[0:3], 0 offset:888
	;; [unrolled: 1-line block ×5, first 2 shown]
	s_waitcnt vmcnt(57) lgkmcnt(0)
	v_mul_f64 v[126:127], v[2:3], v[48:49]
	v_mul_f64 v[47:48], v[4:5], v[48:49]
	s_waitcnt vmcnt(56)
	v_fma_f64 v[36:37], v[10:11], v[44:45], -v[36:37]
	ds_read_b128 v[6:9], v1 offset:1568
	v_fma_f64 v[32:33], v[12:13], v[44:45], v[32:33]
	v_add_f64 v[18:19], v[18:19], v[40:41]
	v_add_f64 v[14:15], v[14:15], v[34:35]
	s_clause 0x2
	buffer_load_dword v43, off, s[0:3], 0 offset:892
	buffer_load_dword v35, off, s[0:3], 0 offset:868
	;; [unrolled: 1-line block ×3, first 2 shown]
	ds_read_b128 v[10:13], v1 offset:1584
	s_waitcnt vmcnt(58) lgkmcnt(1)
	v_mul_f64 v[44:45], v[8:9], v[50:51]
	s_waitcnt vmcnt(56)
	v_fma_f64 v[48:49], v[2:3], v[54:55], -v[47:48]
	v_mul_f64 v[40:41], v[6:7], v[50:51]
	v_add_f64 v[18:19], v[18:19], v[36:37]
	v_fma_f64 v[36:37], v[4:5], v[54:55], v[126:127]
	v_add_f64 v[14:15], v[14:15], v[32:33]
	s_clause 0x4
	buffer_load_dword v33, off, s[0:3], 0 offset:908
	buffer_load_dword v50, off, s[0:3], 0 offset:920
	;; [unrolled: 1-line block ×5, first 2 shown]
	s_waitcnt vmcnt(57) lgkmcnt(0)
	v_mul_f64 v[126:127], v[10:11], v[56:57]
	v_mul_f64 v[55:56], v[12:13], v[56:57]
	s_waitcnt vmcnt(56)
	v_fma_f64 v[44:45], v[6:7], v[52:53], -v[44:45]
	ds_read_b128 v[2:5], v1 offset:1600
	v_fma_f64 v[40:41], v[8:9], v[52:53], v[40:41]
	v_add_f64 v[18:19], v[18:19], v[48:49]
	v_add_f64 v[14:15], v[14:15], v[36:37]
	s_clause 0x2
	buffer_load_dword v51, off, s[0:3], 0 offset:924
	buffer_load_dword v37, off, s[0:3], 0 offset:900
	;; [unrolled: 1-line block ×3, first 2 shown]
	ds_read_b128 v[6:9], v1 offset:1616
	s_waitcnt vmcnt(58) lgkmcnt(1)
	v_mul_f64 v[52:53], v[4:5], v[58:59]
	s_waitcnt vmcnt(56)
	v_fma_f64 v[56:57], v[10:11], v[93:94], -v[55:56]
	v_mul_f64 v[48:49], v[2:3], v[58:59]
	v_add_f64 v[18:19], v[18:19], v[44:45]
	v_fma_f64 v[44:45], v[12:13], v[93:94], v[126:127]
	v_add_f64 v[14:15], v[14:15], v[40:41]
	s_clause 0x2
	buffer_load_dword v41, off, s[0:3], 0 offset:940
	buffer_load_dword v40, off, s[0:3], 0 offset:936
	;; [unrolled: 1-line block ×3, first 2 shown]
	s_waitcnt vmcnt(55) lgkmcnt(0)
	v_mul_f64 v[93:94], v[8:9], v[95:96]
	s_waitcnt vmcnt(54)
	v_fma_f64 v[52:53], v[2:3], v[60:61], -v[52:53]
	ds_read_b128 v[10:13], v1 offset:1632
	v_mul_f64 v[58:59], v[6:7], v[95:96]
	v_fma_f64 v[48:49], v[4:5], v[60:61], v[48:49]
	v_add_f64 v[18:19], v[18:19], v[56:57]
	v_add_f64 v[14:15], v[14:15], v[44:45]
	s_clause 0x1
	buffer_load_dword v45, off, s[0:3], 0 offset:932
	buffer_load_dword v44, off, s[0:3], 0 offset:928
	s_waitcnt vmcnt(55) lgkmcnt(0)
	v_mul_f64 v[60:61], v[12:13], v[101:102]
	s_waitcnt vmcnt(53)
	v_fma_f64 v[93:94], v[6:7], v[105:106], -v[93:94]
	ds_read_b128 v[2:5], v1 offset:1648
	v_mul_f64 v[56:57], v[10:11], v[101:102]
	v_add_f64 v[18:19], v[18:19], v[52:53]
	v_fma_f64 v[52:53], v[8:9], v[105:106], v[58:59]
	v_add_f64 v[14:15], v[14:15], v[48:49]
	ds_read_b128 v[6:9], v1 offset:1664
	s_waitcnt vmcnt(49) lgkmcnt(1)
	v_mul_f64 v[58:59], v[4:5], v[111:112]
	s_waitcnt vmcnt(48)
	v_fma_f64 v[60:61], v[10:11], v[103:104], -v[60:61]
	v_mul_f64 v[48:49], v[2:3], v[111:112]
	v_fma_f64 v[56:57], v[12:13], v[103:104], v[56:57]
	v_add_f64 v[18:19], v[18:19], v[93:94]
	v_add_f64 v[14:15], v[14:15], v[52:53]
	s_clause 0x3
	buffer_load_dword v52, off, s[0:3], 0 offset:480
	buffer_load_dword v53, off, s[0:3], 0 offset:484
	;; [unrolled: 1-line block ×4, first 2 shown]
	ds_read_b128 v[10:13], v1 offset:1680
	s_waitcnt vmcnt(51) lgkmcnt(1)
	v_mul_f64 v[101:102], v[8:9], v[113:114]
	v_mul_f64 v[95:96], v[6:7], v[113:114]
	s_waitcnt vmcnt(49)
	v_fma_f64 v[58:59], v[2:3], v[109:110], -v[58:59]
	v_fma_f64 v[48:49], v[4:5], v[109:110], v[48:49]
	ds_read_b128 v[2:5], v1 offset:1696
	v_add_f64 v[18:19], v[18:19], v[60:61]
	v_add_f64 v[14:15], v[14:15], v[56:57]
	s_waitcnt vmcnt(45) lgkmcnt(1)
	v_mul_f64 v[56:57], v[10:11], v[20:21]
	v_mul_f64 v[20:21], v[12:13], v[20:21]
	s_waitcnt vmcnt(44)
	v_fma_f64 v[60:61], v[6:7], v[115:116], -v[101:102]
	v_add_f64 v[18:19], v[18:19], v[58:59]
	v_fma_f64 v[58:59], v[8:9], v[115:116], v[95:96]
	v_add_f64 v[14:15], v[14:15], v[48:49]
	ds_read_b128 v[6:9], v1 offset:1712
	s_waitcnt vmcnt(43) lgkmcnt(1)
	v_mul_f64 v[95:96], v[4:5], v[117:118]
	v_mul_f64 v[48:49], v[2:3], v[117:118]
	s_waitcnt vmcnt(41)
	v_fma_f64 v[20:21], v[10:11], v[16:17], -v[20:21]
	v_fma_f64 v[16:17], v[12:13], v[16:17], v[56:57]
	ds_read_b128 v[10:13], v1 offset:1728
	v_add_f64 v[18:19], v[18:19], v[60:61]
	v_add_f64 v[14:15], v[14:15], v[58:59]
	s_waitcnt vmcnt(37) lgkmcnt(1)
	v_mul_f64 v[56:57], v[6:7], v[28:29]
	v_mul_f64 v[28:29], v[8:9], v[28:29]
	s_waitcnt vmcnt(36)
	v_fma_f64 v[58:59], v[2:3], v[122:123], -v[95:96]
	v_add_f64 v[18:19], v[18:19], v[20:21]
	v_fma_f64 v[20:21], v[4:5], v[122:123], v[48:49]
	v_add_f64 v[14:15], v[14:15], v[16:17]
	ds_read_b128 v[2:5], v1 offset:1744
	s_waitcnt vmcnt(35) lgkmcnt(1)
	v_mul_f64 v[48:49], v[12:13], v[107:108]
	v_mul_f64 v[16:17], v[10:11], v[107:108]
	s_waitcnt vmcnt(33)
	v_fma_f64 v[28:29], v[6:7], v[26:27], -v[28:29]
	v_fma_f64 v[26:27], v[8:9], v[26:27], v[56:57]
	ds_read_b128 v[6:9], v1 offset:1760
	v_add_f64 v[18:19], v[18:19], v[58:59]
	v_add_f64 v[14:15], v[14:15], v[20:21]
	s_waitcnt vmcnt(29) lgkmcnt(1)
	v_mul_f64 v[20:21], v[2:3], v[22:23]
	v_mul_f64 v[22:23], v[4:5], v[22:23]
	s_waitcnt vmcnt(28)
	v_fma_f64 v[48:49], v[10:11], v[124:125], -v[48:49]
	v_fma_f64 v[16:17], v[12:13], v[124:125], v[16:17]
	ds_read_b128 v[10:13], v1 offset:1776
	v_add_f64 v[18:19], v[18:19], v[28:29]
	v_add_f64 v[14:15], v[14:15], v[26:27]
	;; [unrolled: 9-line block ×3, first 2 shown]
	s_waitcnt vmcnt(21) lgkmcnt(1)
	v_mul_f64 v[24:25], v[12:13], v[30:31]
	s_waitcnt vmcnt(20)
	v_fma_f64 v[28:29], v[6:7], v[119:120], -v[28:29]
	v_mul_f64 v[16:17], v[10:11], v[30:31]
	v_add_f64 v[18:19], v[18:19], v[22:23]
	v_fma_f64 v[22:23], v[8:9], v[119:120], v[26:27]
	v_add_f64 v[14:15], v[14:15], v[20:21]
	ds_read_b128 v[6:9], v1 offset:1808
	s_waitcnt vmcnt(19) lgkmcnt(1)
	v_mul_f64 v[26:27], v[4:5], v[42:43]
	v_mul_f64 v[20:21], v[2:3], v[42:43]
	s_waitcnt vmcnt(17)
	v_fma_f64 v[24:25], v[10:11], v[34:35], -v[24:25]
	v_fma_f64 v[16:17], v[12:13], v[34:35], v[16:17]
	ds_read_b128 v[10:13], v1 offset:1824
	v_add_f64 v[18:19], v[18:19], v[28:29]
	v_add_f64 v[14:15], v[14:15], v[22:23]
	s_waitcnt vmcnt(13) lgkmcnt(1)
	v_mul_f64 v[28:29], v[8:9], v[32:33]
	s_waitcnt vmcnt(12)
	v_fma_f64 v[26:27], v[2:3], v[46:47], -v[26:27]
	v_mul_f64 v[22:23], v[6:7], v[32:33]
	v_fma_f64 v[20:21], v[4:5], v[46:47], v[20:21]
	ds_read_b128 v[1:4], v1 offset:1840
	v_add_f64 v[18:19], v[18:19], v[24:25]
	v_add_f64 v[14:15], v[14:15], v[16:17]
	s_waitcnt vmcnt(11) lgkmcnt(1)
	v_mul_f64 v[24:25], v[12:13], v[50:51]
	v_mul_f64 v[16:17], v[10:11], v[50:51]
	s_waitcnt vmcnt(9)
	v_fma_f64 v[5:6], v[6:7], v[36:37], -v[28:29]
	v_fma_f64 v[7:8], v[8:9], v[36:37], v[22:23]
	v_add_f64 v[18:19], v[18:19], v[26:27]
	v_add_f64 v[14:15], v[14:15], v[20:21]
	s_waitcnt vmcnt(7) lgkmcnt(0)
	v_mul_f64 v[22:23], v[3:4], v[40:41]
	s_waitcnt vmcnt(6)
	v_fma_f64 v[9:10], v[10:11], v[54:55], -v[24:25]
	v_mul_f64 v[20:21], v[1:2], v[40:41]
	v_fma_f64 v[11:12], v[12:13], v[54:55], v[16:17]
	v_add_f64 v[5:6], v[18:19], v[5:6]
	v_add_f64 v[7:8], v[14:15], v[7:8]
	s_waitcnt vmcnt(4)
	v_fma_f64 v[1:2], v[1:2], v[44:45], -v[22:23]
	v_fma_f64 v[3:4], v[3:4], v[44:45], v[20:21]
	v_add_f64 v[5:6], v[5:6], v[9:10]
	v_add_f64 v[7:8], v[7:8], v[11:12]
	v_add_f64 v[1:2], v[5:6], v[1:2]
	v_add_f64 v[3:4], v[7:8], v[3:4]
	s_waitcnt vmcnt(2)
	v_add_f64 v[1:2], v[52:53], -v[1:2]
	s_waitcnt vmcnt(0)
	v_add_f64 v[3:4], v[93:94], -v[3:4]
	buffer_store_dword v2, off, s[0:3], 0 offset:484
	buffer_store_dword v1, off, s[0:3], 0 offset:480
	;; [unrolled: 1-line block ×4, first 2 shown]
	v_cmpx_lt_u32_e32 28, v0
	s_cbranch_execz .LBB57_305
; %bb.304:
	v_mov_b32_e32 v4, s42
	v_mov_b32_e32 v5, 0
	s_clause 0x3
	buffer_load_dword v1, v4, s[0:3], 0 offen
	buffer_load_dword v2, v4, s[0:3], 0 offen offset:4
	buffer_load_dword v3, v4, s[0:3], 0 offen offset:8
	buffer_load_dword v4, v4, s[0:3], 0 offen offset:12
	buffer_store_dword v5, off, s[0:3], 0 offset:464
	buffer_store_dword v5, off, s[0:3], 0 offset:468
	;; [unrolled: 1-line block ×4, first 2 shown]
	s_waitcnt vmcnt(0)
	ds_write_b128 v63, v[1:4]
.LBB57_305:
	s_or_b32 exec_lo, exec_lo, s4
	s_waitcnt lgkmcnt(0)
	s_waitcnt_vscnt null, 0x0
	s_barrier
	buffer_gl0_inv
	s_clause 0x37
	buffer_load_dword v9, off, s[0:3], 0 offset:488
	buffer_load_dword v10, off, s[0:3], 0 offset:492
	;; [unrolled: 1-line block ×56, first 2 shown]
	v_mov_b32_e32 v11, 0
	s_mov_b32 s4, exec_lo
	ds_read_b128 v[5:8], v11 offset:1392
	s_clause 0x2
	buffer_load_dword v104, off, s[0:3], 0 offset:716
	buffer_load_dword v108, off, s[0:3], 0 offset:692
	;; [unrolled: 1-line block ×3, first 2 shown]
	ds_read_b128 v[12:15], v11 offset:1408
	s_clause 0x4
	buffer_load_dword v112, off, s[0:3], 0 offset:732
	buffer_load_dword v113, off, s[0:3], 0 offset:744
	buffer_load_dword v115, off, s[0:3], 0 offset:736
	buffer_load_dword v111, off, s[0:3], 0 offset:728
	buffer_load_dword v106, off, s[0:3], 0 offset:708
	ds_read_b128 v[16:19], v11 offset:1424
	s_waitcnt vmcnt(62) lgkmcnt(2)
	v_mul_f64 v[109:110], v[7:8], v[9:10]
	v_mul_f64 v[9:10], v[5:6], v[9:10]
	s_waitcnt vmcnt(60) lgkmcnt(1)
	v_mul_f64 v[116:117], v[14:15], v[20:21]
	v_mul_f64 v[20:21], v[12:13], v[20:21]
	;; [unrolled: 3-line block ×3, first 2 shown]
	v_fma_f64 v[109:110], v[5:6], v[22:23], -v[109:110]
	v_fma_f64 v[9:10], v[7:8], v[22:23], v[9:10]
	s_clause 0x2
	buffer_load_dword v114, off, s[0:3], 0 offset:748
	buffer_load_dword v23, off, s[0:3], 0 offset:724
	;; [unrolled: 1-line block ×3, first 2 shown]
	s_waitcnt vmcnt(57)
	v_fma_f64 v[12:13], v[12:13], v[1:2], -v[116:117]
	ds_read_b128 v[5:8], v11 offset:1440
	v_fma_f64 v[14:15], v[14:15], v[1:2], v[20:21]
	s_clause 0x4
	buffer_load_dword v21, off, s[0:3], 0 offset:764
	buffer_load_dword v117, off, s[0:3], 0 offset:776
	;; [unrolled: 1-line block ×5, first 2 shown]
	s_waitcnt vmcnt(56)
	v_fma_f64 v[16:17], v[16:17], v[30:31], -v[120:121]
	ds_read_b128 v[1:4], v11 offset:1456
	v_fma_f64 v[18:19], v[18:19], v[30:31], v[118:119]
	s_clause 0x2
	buffer_load_dword v118, off, s[0:3], 0 offset:780
	buffer_load_dword v31, off, s[0:3], 0 offset:756
	;; [unrolled: 1-line block ×3, first 2 shown]
	v_add_f64 v[109:110], v[109:110], 0
	v_add_f64 v[9:10], v[9:10], 0
	s_waitcnt lgkmcnt(1)
	v_mul_f64 v[123:124], v[5:6], v[24:25]
	v_mul_f64 v[24:25], v[7:8], v[24:25]
	s_waitcnt vmcnt(58) lgkmcnt(0)
	v_mul_f64 v[119:120], v[1:2], v[26:27]
	v_mul_f64 v[26:27], v[3:4], v[26:27]
	v_add_f64 v[109:110], v[109:110], v[12:13]
	v_add_f64 v[9:10], v[9:10], v[14:15]
	ds_read_b128 v[12:15], v11 offset:1472
	s_waitcnt vmcnt(56)
	v_fma_f64 v[24:25], v[5:6], v[32:33], -v[24:25]
	v_fma_f64 v[32:33], v[7:8], v[32:33], v[123:124]
	s_waitcnt vmcnt(51)
	v_fma_f64 v[26:27], v[1:2], v[28:29], -v[26:27]
	s_waitcnt lgkmcnt(0)
	v_mul_f64 v[125:126], v[12:13], v[34:35]
	v_add_f64 v[16:17], v[109:110], v[16:17]
	v_add_f64 v[9:10], v[9:10], v[18:19]
	s_clause 0x4
	buffer_load_dword v19, off, s[0:3], 0 offset:796
	buffer_load_dword v109, off, s[0:3], 0 offset:808
	;; [unrolled: 1-line block ×5, first 2 shown]
	v_mul_f64 v[34:35], v[14:15], v[34:35]
	ds_read_b128 v[5:8], v11 offset:1488
	v_add_f64 v[16:17], v[16:17], v[24:25]
	v_fma_f64 v[24:25], v[3:4], v[28:29], v[119:120]
	v_add_f64 v[9:10], v[9:10], v[32:33]
	s_clause 0x2
	buffer_load_dword v110, off, s[0:3], 0 offset:812
	buffer_load_dword v29, off, s[0:3], 0 offset:788
	;; [unrolled: 1-line block ×3, first 2 shown]
	s_waitcnt vmcnt(58) lgkmcnt(0)
	v_mul_f64 v[32:33], v[5:6], v[36:37]
	v_mul_f64 v[36:37], v[7:8], v[36:37]
	s_waitcnt vmcnt(56)
	v_fma_f64 v[34:35], v[12:13], v[40:41], -v[34:35]
	ds_read_b128 v[1:4], v11 offset:1504
	v_add_f64 v[16:17], v[16:17], v[26:27]
	v_fma_f64 v[26:27], v[14:15], v[40:41], v[125:126]
	v_add_f64 v[9:10], v[9:10], v[24:25]
	s_clause 0x4
	buffer_load_dword v25, off, s[0:3], 0 offset:828
	buffer_load_dword v40, off, s[0:3], 0 offset:840
	buffer_load_dword v119, off, s[0:3], 0 offset:832
	buffer_load_dword v24, off, s[0:3], 0 offset:824
	buffer_load_dword v125, off, s[0:3], 0 offset:804
	ds_read_b128 v[12:15], v11 offset:1520
	s_waitcnt vmcnt(57) lgkmcnt(1)
	v_mul_f64 v[120:121], v[1:2], v[42:43]
	v_mul_f64 v[42:43], v[3:4], v[42:43]
	s_waitcnt vmcnt(56)
	v_fma_f64 v[36:37], v[5:6], v[38:39], -v[36:37]
	v_fma_f64 v[32:33], v[7:8], v[38:39], v[32:33]
	v_add_f64 v[16:17], v[16:17], v[34:35]
	v_add_f64 v[9:10], v[9:10], v[26:27]
	s_clause 0x2
	buffer_load_dword v41, off, s[0:3], 0 offset:844
	buffer_load_dword v27, off, s[0:3], 0 offset:820
	;; [unrolled: 1-line block ×3, first 2 shown]
	s_waitcnt vmcnt(58) lgkmcnt(0)
	v_mul_f64 v[38:39], v[14:15], v[44:45]
	ds_read_b128 v[5:8], v11 offset:1536
	s_waitcnt vmcnt(56)
	v_fma_f64 v[42:43], v[1:2], v[48:49], -v[42:43]
	v_mul_f64 v[34:35], v[12:13], v[44:45]
	v_add_f64 v[16:17], v[16:17], v[36:37]
	v_fma_f64 v[36:37], v[3:4], v[48:49], v[120:121]
	v_add_f64 v[9:10], v[9:10], v[32:33]
	s_clause 0x4
	buffer_load_dword v33, off, s[0:3], 0 offset:860
	buffer_load_dword v44, off, s[0:3], 0 offset:872
	buffer_load_dword v48, off, s[0:3], 0 offset:864
	buffer_load_dword v32, off, s[0:3], 0 offset:856
	buffer_load_dword v120, off, s[0:3], 0 offset:836
	s_waitcnt vmcnt(57) lgkmcnt(0)
	v_mul_f64 v[126:127], v[5:6], v[50:51]
	v_mul_f64 v[49:50], v[7:8], v[50:51]
	s_waitcnt vmcnt(56)
	v_fma_f64 v[38:39], v[12:13], v[46:47], -v[38:39]
	ds_read_b128 v[1:4], v11 offset:1552
	v_fma_f64 v[34:35], v[14:15], v[46:47], v[34:35]
	v_add_f64 v[16:17], v[16:17], v[42:43]
	v_add_f64 v[9:10], v[9:10], v[36:37]
	s_clause 0x2
	buffer_load_dword v45, off, s[0:3], 0 offset:876
	buffer_load_dword v37, off, s[0:3], 0 offset:852
	buffer_load_dword v36, off, s[0:3], 0 offset:848
	ds_read_b128 v[12:15], v11 offset:1568
	s_waitcnt vmcnt(58) lgkmcnt(1)
	v_mul_f64 v[46:47], v[3:4], v[52:53]
	s_waitcnt vmcnt(56)
	v_fma_f64 v[50:51], v[5:6], v[56:57], -v[49:50]
	v_mul_f64 v[42:43], v[1:2], v[52:53]
	v_add_f64 v[16:17], v[16:17], v[38:39]
	v_fma_f64 v[38:39], v[7:8], v[56:57], v[126:127]
	v_add_f64 v[9:10], v[9:10], v[34:35]
	s_clause 0x4
	buffer_load_dword v35, off, s[0:3], 0 offset:892
	buffer_load_dword v52, off, s[0:3], 0 offset:904
	buffer_load_dword v56, off, s[0:3], 0 offset:896
	buffer_load_dword v34, off, s[0:3], 0 offset:888
	buffer_load_dword v49, off, s[0:3], 0 offset:868
	s_waitcnt vmcnt(57) lgkmcnt(0)
	v_mul_f64 v[126:127], v[12:13], v[58:59]
	v_mul_f64 v[57:58], v[14:15], v[58:59]
	s_waitcnt vmcnt(56)
	v_fma_f64 v[46:47], v[1:2], v[54:55], -v[46:47]
	ds_read_b128 v[5:8], v11 offset:1584
	v_fma_f64 v[42:43], v[3:4], v[54:55], v[42:43]
	v_add_f64 v[16:17], v[16:17], v[50:51]
	v_add_f64 v[9:10], v[9:10], v[38:39]
	s_clause 0x2
	buffer_load_dword v53, off, s[0:3], 0 offset:908
	buffer_load_dword v39, off, s[0:3], 0 offset:884
	buffer_load_dword v38, off, s[0:3], 0 offset:880
	ds_read_b128 v[1:4], v11 offset:1600
	s_waitcnt vmcnt(58) lgkmcnt(1)
	v_mul_f64 v[54:55], v[7:8], v[60:61]
	;; [unrolled: 28-line block ×3, first 2 shown]
	s_waitcnt vmcnt(56)
	v_fma_f64 v[101:102], v[1:2], v[107:108], -v[101:102]
	v_mul_f64 v[58:59], v[12:13], v[103:104]
	buffer_load_dword v96, off, s[0:3], 0 offset:932
	v_add_f64 v[16:17], v[16:17], v[54:55]
	v_fma_f64 v[54:55], v[3:4], v[107:108], v[126:127]
	v_add_f64 v[9:10], v[9:10], v[50:51]
	ds_read_b128 v[1:4], v11 offset:1648
	s_waitcnt vmcnt(53) lgkmcnt(1)
	v_mul_f64 v[103:104], v[7:8], v[111:112]
	s_waitcnt vmcnt(52)
	v_fma_f64 v[93:94], v[12:13], v[105:106], -v[93:94]
	v_mul_f64 v[50:51], v[5:6], v[111:112]
	v_fma_f64 v[58:59], v[14:15], v[105:106], v[58:59]
	ds_read_b128 v[12:15], v11 offset:1664
	v_add_f64 v[16:17], v[16:17], v[101:102]
	v_add_f64 v[9:10], v[9:10], v[54:55]
	s_waitcnt vmcnt(51) lgkmcnt(1)
	v_mul_f64 v[101:102], v[3:4], v[113:114]
	v_mul_f64 v[54:55], v[1:2], v[113:114]
	s_waitcnt vmcnt(49)
	v_fma_f64 v[103:104], v[5:6], v[22:23], -v[103:104]
	v_fma_f64 v[22:23], v[7:8], v[22:23], v[50:51]
	v_add_f64 v[16:17], v[16:17], v[93:94]
	s_waitcnt vmcnt(45) lgkmcnt(0)
	v_mul_f64 v[93:94], v[12:13], v[20:21]
	v_add_f64 v[9:10], v[9:10], v[58:59]
	s_clause 0x3
	buffer_load_dword v50, off, s[0:3], 0 offset:464
	buffer_load_dword v51, off, s[0:3], 0 offset:468
	;; [unrolled: 1-line block ×4, first 2 shown]
	v_mul_f64 v[20:21], v[14:15], v[20:21]
	ds_read_b128 v[5:8], v11 offset:1680
	s_waitcnt vmcnt(48)
	v_fma_f64 v[101:102], v[1:2], v[115:116], -v[101:102]
	v_fma_f64 v[54:55], v[3:4], v[115:116], v[54:55]
	ds_read_b128 v[1:4], v11 offset:1696
	v_add_f64 v[16:17], v[16:17], v[103:104]
	v_add_f64 v[9:10], v[9:10], v[22:23]
	s_waitcnt vmcnt(47) lgkmcnt(1)
	v_mul_f64 v[103:104], v[7:8], v[117:118]
	s_waitcnt vmcnt(45)
	v_fma_f64 v[20:21], v[12:13], v[30:31], -v[20:21]
	v_mul_f64 v[22:23], v[5:6], v[117:118]
	v_fma_f64 v[30:31], v[14:15], v[30:31], v[93:94]
	ds_read_b128 v[12:15], v11 offset:1712
	v_add_f64 v[16:17], v[16:17], v[101:102]
	v_add_f64 v[9:10], v[9:10], v[54:55]
	s_waitcnt vmcnt(41) lgkmcnt(1)
	v_mul_f64 v[54:55], v[1:2], v[18:19]
	v_mul_f64 v[18:19], v[3:4], v[18:19]
	s_waitcnt vmcnt(40)
	v_fma_f64 v[93:94], v[5:6], v[122:123], -v[103:104]
	v_add_f64 v[16:17], v[16:17], v[20:21]
	v_fma_f64 v[20:21], v[7:8], v[122:123], v[22:23]
	v_add_f64 v[9:10], v[9:10], v[30:31]
	ds_read_b128 v[5:8], v11 offset:1728
	s_waitcnt vmcnt(39) lgkmcnt(1)
	v_mul_f64 v[30:31], v[14:15], v[109:110]
	v_mul_f64 v[22:23], v[12:13], v[109:110]
	s_waitcnt vmcnt(37)
	v_fma_f64 v[18:19], v[1:2], v[28:29], -v[18:19]
	v_fma_f64 v[28:29], v[3:4], v[28:29], v[54:55]
	ds_read_b128 v[1:4], v11 offset:1744
	v_add_f64 v[16:17], v[16:17], v[93:94]
	v_add_f64 v[9:10], v[9:10], v[20:21]
	s_waitcnt vmcnt(33) lgkmcnt(1)
	v_mul_f64 v[20:21], v[5:6], v[24:25]
	v_mul_f64 v[24:25], v[7:8], v[24:25]
	s_waitcnt vmcnt(32)
	v_fma_f64 v[30:31], v[12:13], v[124:125], -v[30:31]
	v_add_f64 v[16:17], v[16:17], v[18:19]
	v_fma_f64 v[18:19], v[14:15], v[124:125], v[22:23]
	v_add_f64 v[9:10], v[9:10], v[28:29]
	ds_read_b128 v[12:15], v11 offset:1760
	s_waitcnt vmcnt(31) lgkmcnt(1)
	v_mul_f64 v[28:29], v[3:4], v[40:41]
	v_mul_f64 v[22:23], v[1:2], v[40:41]
	s_waitcnt vmcnt(29)
	v_fma_f64 v[24:25], v[5:6], v[26:27], -v[24:25]
	v_fma_f64 v[20:21], v[7:8], v[26:27], v[20:21]
	ds_read_b128 v[5:8], v11 offset:1776
	v_add_f64 v[16:17], v[16:17], v[30:31]
	v_add_f64 v[9:10], v[9:10], v[18:19]
	s_waitcnt vmcnt(25) lgkmcnt(1)
	v_mul_f64 v[26:27], v[14:15], v[32:33]
	s_waitcnt vmcnt(24)
	v_fma_f64 v[28:29], v[1:2], v[119:120], -v[28:29]
	v_mul_f64 v[18:19], v[12:13], v[32:33]
	v_fma_f64 v[22:23], v[3:4], v[119:120], v[22:23]
	ds_read_b128 v[1:4], v11 offset:1792
	v_add_f64 v[16:17], v[16:17], v[24:25]
	v_add_f64 v[9:10], v[9:10], v[20:21]
	s_waitcnt vmcnt(23) lgkmcnt(1)
	v_mul_f64 v[24:25], v[7:8], v[44:45]
	v_mul_f64 v[20:21], v[5:6], v[44:45]
	s_waitcnt vmcnt(21)
	v_fma_f64 v[26:27], v[12:13], v[36:37], -v[26:27]
	v_fma_f64 v[18:19], v[14:15], v[36:37], v[18:19]
	ds_read_b128 v[12:15], v11 offset:1808
	v_add_f64 v[16:17], v[16:17], v[28:29]
	v_add_f64 v[9:10], v[9:10], v[22:23]
	s_waitcnt vmcnt(17) lgkmcnt(1)
	v_mul_f64 v[28:29], v[3:4], v[34:35]
	s_waitcnt vmcnt(16)
	v_fma_f64 v[24:25], v[5:6], v[48:49], -v[24:25]
	v_mul_f64 v[22:23], v[1:2], v[34:35]
	v_fma_f64 v[20:21], v[7:8], v[48:49], v[20:21]
	ds_read_b128 v[5:8], v11 offset:1824
	v_add_f64 v[16:17], v[16:17], v[26:27]
	v_add_f64 v[9:10], v[9:10], v[18:19]
	s_waitcnt vmcnt(15) lgkmcnt(1)
	v_mul_f64 v[26:27], v[14:15], v[52:53]
	v_mul_f64 v[18:19], v[12:13], v[52:53]
	s_waitcnt vmcnt(13)
	v_fma_f64 v[28:29], v[1:2], v[38:39], -v[28:29]
	v_fma_f64 v[22:23], v[3:4], v[38:39], v[22:23]
	ds_read_b128 v[1:4], v11 offset:1840
	v_add_f64 v[16:17], v[16:17], v[24:25]
	v_add_f64 v[9:10], v[9:10], v[20:21]
	s_waitcnt vmcnt(9) lgkmcnt(1)
	v_mul_f64 v[24:25], v[7:8], v[42:43]
	s_waitcnt vmcnt(8)
	v_fma_f64 v[12:13], v[12:13], v[56:57], -v[26:27]
	v_mul_f64 v[20:21], v[5:6], v[42:43]
	v_fma_f64 v[14:15], v[14:15], v[56:57], v[18:19]
	v_add_f64 v[16:17], v[16:17], v[28:29]
	v_add_f64 v[9:10], v[9:10], v[22:23]
	s_waitcnt vmcnt(7) lgkmcnt(0)
	v_mul_f64 v[22:23], v[3:4], v[60:61]
	v_mul_f64 v[18:19], v[1:2], v[60:61]
	s_waitcnt vmcnt(5)
	v_fma_f64 v[5:6], v[5:6], v[46:47], -v[24:25]
	v_fma_f64 v[7:8], v[7:8], v[46:47], v[20:21]
	v_add_f64 v[12:13], v[16:17], v[12:13]
	v_add_f64 v[9:10], v[9:10], v[14:15]
	s_waitcnt vmcnt(4)
	v_fma_f64 v[1:2], v[1:2], v[95:96], -v[22:23]
	v_fma_f64 v[3:4], v[3:4], v[95:96], v[18:19]
	v_add_f64 v[5:6], v[12:13], v[5:6]
	v_add_f64 v[7:8], v[9:10], v[7:8]
	;; [unrolled: 1-line block ×4, first 2 shown]
	s_waitcnt vmcnt(2)
	v_add_f64 v[1:2], v[50:51], -v[1:2]
	s_waitcnt vmcnt(0)
	v_add_f64 v[3:4], v[58:59], -v[3:4]
	buffer_store_dword v2, off, s[0:3], 0 offset:468
	buffer_store_dword v1, off, s[0:3], 0 offset:464
	;; [unrolled: 1-line block ×4, first 2 shown]
	v_cmpx_lt_u32_e32 27, v0
	s_cbranch_execz .LBB57_307
; %bb.306:
	v_mov_b32_e32 v4, s43
	s_clause 0x3
	buffer_load_dword v1, v4, s[0:3], 0 offen
	buffer_load_dword v2, v4, s[0:3], 0 offen offset:4
	buffer_load_dword v3, v4, s[0:3], 0 offen offset:8
	;; [unrolled: 1-line block ×3, first 2 shown]
	buffer_store_dword v11, off, s[0:3], 0 offset:448
	buffer_store_dword v11, off, s[0:3], 0 offset:452
	;; [unrolled: 1-line block ×4, first 2 shown]
	s_waitcnt vmcnt(0)
	ds_write_b128 v63, v[1:4]
.LBB57_307:
	s_or_b32 exec_lo, exec_lo, s4
	s_waitcnt lgkmcnt(0)
	s_waitcnt_vscnt null, 0x0
	s_barrier
	buffer_gl0_inv
	s_clause 0x37
	buffer_load_dword v9, off, s[0:3], 0 offset:472
	buffer_load_dword v10, off, s[0:3], 0 offset:476
	;; [unrolled: 1-line block ×56, first 2 shown]
	ds_read_b128 v[12:15], v11 offset:1376
	s_clause 0x2
	buffer_load_dword v104, off, s[0:3], 0 offset:700
	buffer_load_dword v108, off, s[0:3], 0 offset:676
	;; [unrolled: 1-line block ×3, first 2 shown]
	ds_read_b128 v[16:19], v11 offset:1392
	s_clause 0x4
	buffer_load_dword v112, off, s[0:3], 0 offset:716
	buffer_load_dword v113, off, s[0:3], 0 offset:728
	;; [unrolled: 1-line block ×5, first 2 shown]
	ds_read_b128 v[20:23], v11 offset:1408
	s_clause 0x2
	buffer_load_dword v114, off, s[0:3], 0 offset:732
	buffer_load_dword v119, off, s[0:3], 0 offset:708
	;; [unrolled: 1-line block ×3, first 2 shown]
	s_mov_b32 s4, exec_lo
	s_waitcnt vmcnt(62) lgkmcnt(2)
	v_mul_f64 v[109:110], v[14:15], v[9:10]
	v_mul_f64 v[9:10], v[12:13], v[9:10]
	s_waitcnt lgkmcnt(1)
	v_mul_f64 v[116:117], v[18:19], v[5:6]
	s_waitcnt vmcnt(59) lgkmcnt(0)
	v_mul_f64 v[120:121], v[22:23], v[3:4]
	v_fma_f64 v[12:13], v[12:13], v[7:8], -v[109:110]
	v_mul_f64 v[109:110], v[16:17], v[5:6]
	v_fma_f64 v[9:10], v[14:15], v[7:8], v[9:10]
	s_waitcnt vmcnt(57)
	v_fma_f64 v[16:17], v[16:17], v[1:2], -v[116:117]
	ds_read_b128 v[5:8], v11 offset:1424
	v_mul_f64 v[14:15], v[20:21], v[3:4]
	s_waitcnt vmcnt(51)
	v_fma_f64 v[20:21], v[20:21], v[30:31], -v[120:121]
	v_add_f64 v[12:13], v[12:13], 0
	v_fma_f64 v[18:19], v[18:19], v[1:2], v[109:110]
	v_add_f64 v[9:10], v[9:10], 0
	s_clause 0x4
	buffer_load_dword v110, off, s[0:3], 0 offset:748
	buffer_load_dword v122, off, s[0:3], 0 offset:760
	;; [unrolled: 1-line block ×5, first 2 shown]
	s_waitcnt lgkmcnt(0)
	v_mul_f64 v[125:126], v[5:6], v[24:25]
	v_mul_f64 v[24:25], v[7:8], v[24:25]
	ds_read_b128 v[1:4], v11 offset:1440
	v_fma_f64 v[22:23], v[22:23], v[30:31], v[14:15]
	v_add_f64 v[16:17], v[12:13], v[16:17]
	v_add_f64 v[9:10], v[9:10], v[18:19]
	s_clause 0x2
	buffer_load_dword v123, off, s[0:3], 0 offset:764
	buffer_load_dword v19, off, s[0:3], 0 offset:740
	;; [unrolled: 1-line block ×3, first 2 shown]
	s_waitcnt vmcnt(58) lgkmcnt(0)
	v_mul_f64 v[30:31], v[1:2], v[26:27]
	v_mul_f64 v[26:27], v[3:4], v[26:27]
	s_waitcnt vmcnt(56)
	v_fma_f64 v[24:25], v[5:6], v[32:33], -v[24:25]
	ds_read_b128 v[12:15], v11 offset:1456
	v_add_f64 v[16:17], v[16:17], v[20:21]
	v_fma_f64 v[20:21], v[7:8], v[32:33], v[125:126]
	v_add_f64 v[9:10], v[9:10], v[22:23]
	s_clause 0x4
	buffer_load_dword v23, off, s[0:3], 0 offset:780
	buffer_load_dword v32, off, s[0:3], 0 offset:792
	;; [unrolled: 1-line block ×5, first 2 shown]
	ds_read_b128 v[5:8], v11 offset:1472
	s_waitcnt vmcnt(57) lgkmcnt(1)
	v_mul_f64 v[126:127], v[12:13], v[34:35]
	v_mul_f64 v[34:35], v[14:15], v[34:35]
	s_waitcnt vmcnt(56)
	v_fma_f64 v[26:27], v[1:2], v[28:29], -v[26:27]
	v_add_f64 v[16:17], v[16:17], v[24:25]
	v_fma_f64 v[24:25], v[3:4], v[28:29], v[30:31]
	v_add_f64 v[9:10], v[9:10], v[20:21]
	s_clause 0x2
	buffer_load_dword v33, off, s[0:3], 0 offset:796
	buffer_load_dword v21, off, s[0:3], 0 offset:772
	;; [unrolled: 1-line block ×3, first 2 shown]
	s_waitcnt vmcnt(58) lgkmcnt(0)
	v_mul_f64 v[30:31], v[7:8], v[36:37]
	ds_read_b128 v[1:4], v11 offset:1488
	s_waitcnt vmcnt(56)
	v_fma_f64 v[34:35], v[12:13], v[40:41], -v[34:35]
	v_mul_f64 v[28:29], v[5:6], v[36:37]
	v_add_f64 v[16:17], v[16:17], v[26:27]
	v_fma_f64 v[26:27], v[14:15], v[40:41], v[126:127]
	v_add_f64 v[9:10], v[9:10], v[24:25]
	s_clause 0x4
	buffer_load_dword v25, off, s[0:3], 0 offset:812
	buffer_load_dword v36, off, s[0:3], 0 offset:824
	buffer_load_dword v40, off, s[0:3], 0 offset:816
	buffer_load_dword v24, off, s[0:3], 0 offset:808
	buffer_load_dword v121, off, s[0:3], 0 offset:788
	s_waitcnt vmcnt(57) lgkmcnt(0)
	v_mul_f64 v[126:127], v[1:2], v[42:43]
	v_mul_f64 v[41:42], v[3:4], v[42:43]
	s_waitcnt vmcnt(56)
	v_fma_f64 v[30:31], v[5:6], v[38:39], -v[30:31]
	ds_read_b128 v[12:15], v11 offset:1504
	v_fma_f64 v[28:29], v[7:8], v[38:39], v[28:29]
	v_add_f64 v[16:17], v[16:17], v[34:35]
	v_add_f64 v[9:10], v[9:10], v[26:27]
	s_clause 0x2
	buffer_load_dword v37, off, s[0:3], 0 offset:828
	buffer_load_dword v27, off, s[0:3], 0 offset:804
	buffer_load_dword v26, off, s[0:3], 0 offset:800
	ds_read_b128 v[5:8], v11 offset:1520
	s_waitcnt vmcnt(58) lgkmcnt(1)
	v_mul_f64 v[38:39], v[14:15], v[44:45]
	s_waitcnt vmcnt(56)
	v_fma_f64 v[42:43], v[1:2], v[48:49], -v[41:42]
	v_mul_f64 v[34:35], v[12:13], v[44:45]
	v_add_f64 v[16:17], v[16:17], v[30:31]
	v_fma_f64 v[30:31], v[3:4], v[48:49], v[126:127]
	v_add_f64 v[9:10], v[9:10], v[28:29]
	s_clause 0x4
	buffer_load_dword v29, off, s[0:3], 0 offset:844
	buffer_load_dword v44, off, s[0:3], 0 offset:856
	buffer_load_dword v48, off, s[0:3], 0 offset:848
	buffer_load_dword v28, off, s[0:3], 0 offset:840
	buffer_load_dword v41, off, s[0:3], 0 offset:820
	s_waitcnt vmcnt(57) lgkmcnt(0)
	v_mul_f64 v[126:127], v[5:6], v[50:51]
	v_mul_f64 v[49:50], v[7:8], v[50:51]
	s_waitcnt vmcnt(56)
	v_fma_f64 v[38:39], v[12:13], v[46:47], -v[38:39]
	ds_read_b128 v[1:4], v11 offset:1536
	v_fma_f64 v[34:35], v[14:15], v[46:47], v[34:35]
	v_add_f64 v[16:17], v[16:17], v[42:43]
	v_add_f64 v[9:10], v[9:10], v[30:31]
	s_clause 0x2
	buffer_load_dword v45, off, s[0:3], 0 offset:860
	buffer_load_dword v31, off, s[0:3], 0 offset:836
	buffer_load_dword v30, off, s[0:3], 0 offset:832
	ds_read_b128 v[12:15], v11 offset:1552
	s_waitcnt vmcnt(58) lgkmcnt(1)
	v_mul_f64 v[46:47], v[3:4], v[52:53]
	;; [unrolled: 28-line block ×4, first 2 shown]
	s_waitcnt vmcnt(56)
	v_fma_f64 v[101:102], v[1:2], v[107:108], -v[101:102]
	v_mul_f64 v[58:59], v[12:13], v[103:104]
	v_add_f64 v[16:17], v[16:17], v[54:55]
	v_fma_f64 v[54:55], v[3:4], v[107:108], v[126:127]
	v_add_f64 v[9:10], v[9:10], v[50:51]
	s_clause 0x2
	buffer_load_dword v51, off, s[0:3], 0 offset:940
	buffer_load_dword v50, off, s[0:3], 0 offset:936
	;; [unrolled: 1-line block ×3, first 2 shown]
	s_waitcnt vmcnt(55) lgkmcnt(0)
	v_mul_f64 v[107:108], v[7:8], v[111:112]
	s_waitcnt vmcnt(54)
	v_fma_f64 v[93:94], v[12:13], v[105:106], -v[93:94]
	ds_read_b128 v[1:4], v11 offset:1632
	v_mul_f64 v[103:104], v[5:6], v[111:112]
	v_fma_f64 v[58:59], v[14:15], v[105:106], v[58:59]
	v_add_f64 v[16:17], v[16:17], v[101:102]
	v_add_f64 v[9:10], v[9:10], v[54:55]
	s_clause 0x1
	buffer_load_dword v55, off, s[0:3], 0 offset:932
	buffer_load_dword v54, off, s[0:3], 0 offset:928
	s_waitcnt vmcnt(55) lgkmcnt(0)
	v_mul_f64 v[105:106], v[3:4], v[113:114]
	s_waitcnt vmcnt(53)
	v_fma_f64 v[107:108], v[5:6], v[118:119], -v[107:108]
	ds_read_b128 v[12:15], v11 offset:1648
	v_mul_f64 v[101:102], v[1:2], v[113:114]
	v_add_f64 v[16:17], v[16:17], v[93:94]
	v_fma_f64 v[93:94], v[7:8], v[118:119], v[103:104]
	v_add_f64 v[9:10], v[9:10], v[58:59]
	ds_read_b128 v[5:8], v11 offset:1664
	s_waitcnt vmcnt(49) lgkmcnt(1)
	v_mul_f64 v[103:104], v[14:15], v[109:110]
	s_waitcnt vmcnt(48)
	v_fma_f64 v[105:106], v[1:2], v[115:116], -v[105:106]
	v_mul_f64 v[58:59], v[12:13], v[109:110]
	v_fma_f64 v[101:102], v[3:4], v[115:116], v[101:102]
	v_add_f64 v[16:17], v[16:17], v[107:108]
	v_add_f64 v[9:10], v[9:10], v[93:94]
	s_clause 0x3
	buffer_load_dword v93, off, s[0:3], 0 offset:448
	buffer_load_dword v94, off, s[0:3], 0 offset:452
	;; [unrolled: 1-line block ×4, first 2 shown]
	ds_read_b128 v[1:4], v11 offset:1680
	s_waitcnt vmcnt(51) lgkmcnt(1)
	v_mul_f64 v[111:112], v[7:8], v[122:123]
	v_mul_f64 v[109:110], v[5:6], v[122:123]
	s_waitcnt vmcnt(49)
	v_fma_f64 v[103:104], v[12:13], v[18:19], -v[103:104]
	v_fma_f64 v[18:19], v[14:15], v[18:19], v[58:59]
	ds_read_b128 v[12:15], v11 offset:1696
	v_add_f64 v[16:17], v[16:17], v[105:106]
	v_add_f64 v[9:10], v[9:10], v[101:102]
	s_waitcnt vmcnt(45) lgkmcnt(1)
	v_mul_f64 v[58:59], v[1:2], v[22:23]
	v_mul_f64 v[22:23], v[3:4], v[22:23]
	s_waitcnt vmcnt(44)
	v_fma_f64 v[101:102], v[5:6], v[124:125], -v[111:112]
	v_add_f64 v[16:17], v[16:17], v[103:104]
	v_fma_f64 v[103:104], v[7:8], v[124:125], v[109:110]
	v_add_f64 v[9:10], v[9:10], v[18:19]
	ds_read_b128 v[5:8], v11 offset:1712
	s_waitcnt vmcnt(43) lgkmcnt(1)
	v_mul_f64 v[18:19], v[12:13], v[32:33]
	v_mul_f64 v[32:33], v[14:15], v[32:33]
	s_waitcnt vmcnt(41)
	v_fma_f64 v[22:23], v[1:2], v[20:21], -v[22:23]
	v_fma_f64 v[20:21], v[3:4], v[20:21], v[58:59]
	ds_read_b128 v[1:4], v11 offset:1728
	v_add_f64 v[16:17], v[16:17], v[101:102]
	v_add_f64 v[9:10], v[9:10], v[103:104]
	s_waitcnt vmcnt(37) lgkmcnt(1)
	v_mul_f64 v[58:59], v[5:6], v[24:25]
	v_mul_f64 v[24:25], v[7:8], v[24:25]
	s_waitcnt vmcnt(36)
	v_fma_f64 v[32:33], v[12:13], v[120:121], -v[32:33]
	v_fma_f64 v[18:19], v[14:15], v[120:121], v[18:19]
	ds_read_b128 v[12:15], v11 offset:1744
	v_add_f64 v[16:17], v[16:17], v[22:23]
	v_add_f64 v[9:10], v[9:10], v[20:21]
	;; [unrolled: 9-line block ×5, first 2 shown]
	s_waitcnt vmcnt(21) lgkmcnt(1)
	v_mul_f64 v[22:23], v[3:4], v[34:35]
	s_waitcnt vmcnt(20)
	v_fma_f64 v[26:27], v[5:6], v[48:49], -v[26:27]
	v_mul_f64 v[20:21], v[1:2], v[34:35]
	v_fma_f64 v[24:25], v[7:8], v[48:49], v[24:25]
	ds_read_b128 v[5:8], v11 offset:1808
	v_add_f64 v[16:17], v[16:17], v[28:29]
	v_add_f64 v[9:10], v[9:10], v[18:19]
	s_waitcnt vmcnt(19) lgkmcnt(1)
	v_mul_f64 v[28:29], v[14:15], v[52:53]
	v_mul_f64 v[18:19], v[12:13], v[52:53]
	s_waitcnt vmcnt(17)
	v_fma_f64 v[22:23], v[1:2], v[38:39], -v[22:23]
	v_fma_f64 v[20:21], v[3:4], v[38:39], v[20:21]
	ds_read_b128 v[1:4], v11 offset:1824
	v_add_f64 v[16:17], v[16:17], v[26:27]
	v_add_f64 v[9:10], v[9:10], v[24:25]
	s_waitcnt vmcnt(13) lgkmcnt(1)
	v_mul_f64 v[26:27], v[7:8], v[42:43]
	s_waitcnt vmcnt(12)
	v_fma_f64 v[28:29], v[12:13], v[56:57], -v[28:29]
	v_mul_f64 v[24:25], v[5:6], v[42:43]
	v_fma_f64 v[13:14], v[14:15], v[56:57], v[18:19]
	v_add_f64 v[16:17], v[16:17], v[22:23]
	v_add_f64 v[18:19], v[9:10], v[20:21]
	ds_read_b128 v[9:12], v11 offset:1840
	s_waitcnt vmcnt(11) lgkmcnt(1)
	v_mul_f64 v[22:23], v[3:4], v[60:61]
	v_mul_f64 v[20:21], v[1:2], v[60:61]
	s_waitcnt vmcnt(9)
	v_fma_f64 v[5:6], v[5:6], v[46:47], -v[26:27]
	v_fma_f64 v[7:8], v[7:8], v[46:47], v[24:25]
	v_add_f64 v[15:16], v[16:17], v[28:29]
	v_add_f64 v[13:14], v[18:19], v[13:14]
	s_waitcnt vmcnt(7) lgkmcnt(0)
	v_mul_f64 v[24:25], v[11:12], v[50:51]
	s_waitcnt vmcnt(6)
	v_fma_f64 v[1:2], v[1:2], v[95:96], -v[22:23]
	v_mul_f64 v[17:18], v[9:10], v[50:51]
	v_fma_f64 v[3:4], v[3:4], v[95:96], v[20:21]
	v_add_f64 v[5:6], v[15:16], v[5:6]
	v_add_f64 v[7:8], v[13:14], v[7:8]
	s_waitcnt vmcnt(4)
	v_fma_f64 v[9:10], v[9:10], v[54:55], -v[24:25]
	v_add_f64 v[1:2], v[5:6], v[1:2]
	v_fma_f64 v[5:6], v[11:12], v[54:55], v[17:18]
	v_add_f64 v[3:4], v[7:8], v[3:4]
	v_add_f64 v[1:2], v[1:2], v[9:10]
	;; [unrolled: 1-line block ×3, first 2 shown]
	s_waitcnt vmcnt(2)
	v_add_f64 v[1:2], v[93:94], -v[1:2]
	s_waitcnt vmcnt(0)
	v_add_f64 v[3:4], v[107:108], -v[3:4]
	buffer_store_dword v2, off, s[0:3], 0 offset:452
	buffer_store_dword v1, off, s[0:3], 0 offset:448
	buffer_store_dword v4, off, s[0:3], 0 offset:460
	buffer_store_dword v3, off, s[0:3], 0 offset:456
	v_cmpx_lt_u32_e32 26, v0
	s_cbranch_execz .LBB57_309
; %bb.308:
	v_mov_b32_e32 v4, s44
	v_mov_b32_e32 v5, 0
	s_clause 0x3
	buffer_load_dword v1, v4, s[0:3], 0 offen
	buffer_load_dword v2, v4, s[0:3], 0 offen offset:4
	buffer_load_dword v3, v4, s[0:3], 0 offen offset:8
	;; [unrolled: 1-line block ×3, first 2 shown]
	buffer_store_dword v5, off, s[0:3], 0 offset:432
	buffer_store_dword v5, off, s[0:3], 0 offset:436
	;; [unrolled: 1-line block ×4, first 2 shown]
	s_waitcnt vmcnt(0)
	ds_write_b128 v63, v[1:4]
.LBB57_309:
	s_or_b32 exec_lo, exec_lo, s4
	s_waitcnt lgkmcnt(0)
	s_waitcnt_vscnt null, 0x0
	s_barrier
	buffer_gl0_inv
	s_clause 0x37
	buffer_load_dword v9, off, s[0:3], 0 offset:456
	buffer_load_dword v10, off, s[0:3], 0 offset:460
	;; [unrolled: 1-line block ×56, first 2 shown]
	v_mov_b32_e32 v29, 0
	s_mov_b32 s4, exec_lo
	ds_read_b128 v[17:20], v29 offset:1360
	s_clause 0x2
	buffer_load_dword v104, off, s[0:3], 0 offset:684
	buffer_load_dword v108, off, s[0:3], 0 offset:660
	buffer_load_dword v107, off, s[0:3], 0 offset:656
	ds_read_b128 v[21:24], v29 offset:1376
	s_clause 0x4
	buffer_load_dword v112, off, s[0:3], 0 offset:700
	buffer_load_dword v113, off, s[0:3], 0 offset:712
	;; [unrolled: 1-line block ×5, first 2 shown]
	ds_read_b128 v[25:28], v29 offset:1392
	s_clause 0x2
	buffer_load_dword v114, off, s[0:3], 0 offset:716
	buffer_load_dword v119, off, s[0:3], 0 offset:692
	;; [unrolled: 1-line block ×3, first 2 shown]
	s_waitcnt vmcnt(62) lgkmcnt(2)
	v_mul_f64 v[109:110], v[19:20], v[9:10]
	v_mul_f64 v[9:10], v[17:18], v[9:10]
	s_waitcnt lgkmcnt(1)
	v_mul_f64 v[116:117], v[23:24], v[5:6]
	s_waitcnt vmcnt(59) lgkmcnt(0)
	v_mul_f64 v[120:121], v[27:28], v[3:4]
	v_fma_f64 v[17:18], v[17:18], v[7:8], -v[109:110]
	v_mul_f64 v[109:110], v[21:22], v[5:6]
	v_fma_f64 v[9:10], v[19:20], v[7:8], v[9:10]
	s_waitcnt vmcnt(57)
	v_fma_f64 v[21:22], v[21:22], v[1:2], -v[116:117]
	ds_read_b128 v[5:8], v29 offset:1408
	v_mul_f64 v[19:20], v[25:26], v[3:4]
	s_waitcnt vmcnt(51)
	v_fma_f64 v[25:26], v[25:26], v[32:33], -v[120:121]
	v_add_f64 v[17:18], v[17:18], 0
	v_fma_f64 v[23:24], v[23:24], v[1:2], v[109:110]
	v_add_f64 v[9:10], v[9:10], 0
	s_clause 0x4
	buffer_load_dword v110, off, s[0:3], 0 offset:732
	buffer_load_dword v122, off, s[0:3], 0 offset:744
	;; [unrolled: 1-line block ×5, first 2 shown]
	s_waitcnt lgkmcnt(0)
	v_mul_f64 v[125:126], v[5:6], v[13:14]
	v_mul_f64 v[13:14], v[7:8], v[13:14]
	ds_read_b128 v[1:4], v29 offset:1424
	v_fma_f64 v[27:28], v[27:28], v[32:33], v[19:20]
	v_add_f64 v[21:22], v[17:18], v[21:22]
	v_add_f64 v[9:10], v[9:10], v[23:24]
	s_clause 0x2
	buffer_load_dword v123, off, s[0:3], 0 offset:748
	buffer_load_dword v24, off, s[0:3], 0 offset:724
	;; [unrolled: 1-line block ×3, first 2 shown]
	s_waitcnt vmcnt(58) lgkmcnt(0)
	v_mul_f64 v[32:33], v[1:2], v[30:31]
	v_mul_f64 v[30:31], v[3:4], v[30:31]
	s_waitcnt vmcnt(56)
	v_fma_f64 v[13:14], v[5:6], v[34:35], -v[13:14]
	ds_read_b128 v[17:20], v29 offset:1440
	v_add_f64 v[21:22], v[21:22], v[25:26]
	v_fma_f64 v[25:26], v[7:8], v[34:35], v[125:126]
	v_add_f64 v[9:10], v[9:10], v[27:28]
	s_clause 0x4
	buffer_load_dword v28, off, s[0:3], 0 offset:764
	buffer_load_dword v34, off, s[0:3], 0 offset:776
	;; [unrolled: 1-line block ×5, first 2 shown]
	ds_read_b128 v[5:8], v29 offset:1456
	s_waitcnt vmcnt(57) lgkmcnt(1)
	v_mul_f64 v[126:127], v[17:18], v[36:37]
	v_mul_f64 v[36:37], v[19:20], v[36:37]
	s_waitcnt vmcnt(56)
	v_fma_f64 v[30:31], v[1:2], v[11:12], -v[30:31]
	v_fma_f64 v[11:12], v[3:4], v[11:12], v[32:33]
	v_add_f64 v[13:14], v[21:22], v[13:14]
	s_clause 0x2
	buffer_load_dword v35, off, s[0:3], 0 offset:780
	buffer_load_dword v22, off, s[0:3], 0 offset:756
	;; [unrolled: 1-line block ×3, first 2 shown]
	v_add_f64 v[9:10], v[9:10], v[25:26]
	s_waitcnt vmcnt(58) lgkmcnt(0)
	v_mul_f64 v[32:33], v[7:8], v[38:39]
	ds_read_b128 v[1:4], v29 offset:1472
	v_mul_f64 v[25:26], v[5:6], v[38:39]
	s_waitcnt vmcnt(56)
	v_fma_f64 v[17:18], v[17:18], v[40:41], -v[36:37]
	v_fma_f64 v[19:20], v[19:20], v[40:41], v[126:127]
	s_clause 0x4
	buffer_load_dword v37, off, s[0:3], 0 offset:796
	buffer_load_dword v38, off, s[0:3], 0 offset:808
	;; [unrolled: 1-line block ×5, first 2 shown]
	v_add_f64 v[13:14], v[13:14], v[30:31]
	v_add_f64 v[30:31], v[9:10], v[11:12]
	s_waitcnt vmcnt(57) lgkmcnt(0)
	v_mul_f64 v[126:127], v[1:2], v[42:43]
	v_mul_f64 v[41:42], v[3:4], v[42:43]
	s_waitcnt vmcnt(56)
	v_fma_f64 v[32:33], v[5:6], v[15:16], -v[32:33]
	ds_read_b128 v[9:12], v29 offset:1488
	v_fma_f64 v[15:16], v[7:8], v[15:16], v[25:26]
	v_add_f64 v[13:14], v[13:14], v[17:18]
	v_add_f64 v[17:18], v[30:31], v[19:20]
	s_clause 0x2
	buffer_load_dword v39, off, s[0:3], 0 offset:812
	buffer_load_dword v20, off, s[0:3], 0 offset:788
	;; [unrolled: 1-line block ×3, first 2 shown]
	s_waitcnt vmcnt(58) lgkmcnt(0)
	v_mul_f64 v[30:31], v[11:12], v[44:45]
	s_waitcnt vmcnt(56)
	v_fma_f64 v[42:43], v[1:2], v[48:49], -v[41:42]
	ds_read_b128 v[5:8], v29 offset:1504
	v_mul_f64 v[25:26], v[9:10], v[44:45]
	v_add_f64 v[13:14], v[13:14], v[32:33]
	v_fma_f64 v[32:33], v[3:4], v[48:49], v[126:127]
	v_add_f64 v[15:16], v[17:18], v[15:16]
	s_clause 0x4
	buffer_load_dword v18, off, s[0:3], 0 offset:828
	buffer_load_dword v44, off, s[0:3], 0 offset:840
	buffer_load_dword v48, off, s[0:3], 0 offset:832
	buffer_load_dword v17, off, s[0:3], 0 offset:824
	buffer_load_dword v41, off, s[0:3], 0 offset:804
	s_waitcnt vmcnt(57) lgkmcnt(0)
	v_mul_f64 v[126:127], v[5:6], v[50:51]
	v_mul_f64 v[49:50], v[7:8], v[50:51]
	s_waitcnt vmcnt(56)
	v_fma_f64 v[30:31], v[9:10], v[46:47], -v[30:31]
	ds_read_b128 v[1:4], v29 offset:1520
	v_fma_f64 v[25:26], v[11:12], v[46:47], v[25:26]
	v_add_f64 v[13:14], v[13:14], v[42:43]
	v_add_f64 v[15:16], v[15:16], v[32:33]
	s_clause 0x2
	buffer_load_dword v45, off, s[0:3], 0 offset:844
	buffer_load_dword v33, off, s[0:3], 0 offset:820
	buffer_load_dword v32, off, s[0:3], 0 offset:816
	ds_read_b128 v[9:12], v29 offset:1536
	s_waitcnt vmcnt(58) lgkmcnt(1)
	v_mul_f64 v[46:47], v[3:4], v[52:53]
	s_waitcnt vmcnt(56)
	v_fma_f64 v[50:51], v[5:6], v[56:57], -v[49:50]
	v_mul_f64 v[42:43], v[1:2], v[52:53]
	v_add_f64 v[13:14], v[13:14], v[30:31]
	v_fma_f64 v[30:31], v[7:8], v[56:57], v[126:127]
	v_add_f64 v[15:16], v[15:16], v[25:26]
	s_clause 0x4
	buffer_load_dword v26, off, s[0:3], 0 offset:860
	buffer_load_dword v52, off, s[0:3], 0 offset:872
	buffer_load_dword v56, off, s[0:3], 0 offset:864
	buffer_load_dword v25, off, s[0:3], 0 offset:856
	buffer_load_dword v49, off, s[0:3], 0 offset:836
	s_waitcnt vmcnt(57) lgkmcnt(0)
	v_mul_f64 v[126:127], v[9:10], v[58:59]
	v_mul_f64 v[57:58], v[11:12], v[58:59]
	s_waitcnt vmcnt(56)
	v_fma_f64 v[46:47], v[1:2], v[54:55], -v[46:47]
	ds_read_b128 v[5:8], v29 offset:1552
	v_fma_f64 v[42:43], v[3:4], v[54:55], v[42:43]
	v_add_f64 v[13:14], v[13:14], v[50:51]
	v_add_f64 v[15:16], v[15:16], v[30:31]
	s_clause 0x2
	buffer_load_dword v53, off, s[0:3], 0 offset:876
	buffer_load_dword v31, off, s[0:3], 0 offset:852
	buffer_load_dword v30, off, s[0:3], 0 offset:848
	ds_read_b128 v[1:4], v29 offset:1568
	s_waitcnt vmcnt(58) lgkmcnt(1)
	v_mul_f64 v[54:55], v[7:8], v[60:61]
	s_waitcnt vmcnt(56)
	v_fma_f64 v[58:59], v[9:10], v[95:96], -v[57:58]
	;; [unrolled: 28-line block ×4, first 2 shown]
	v_mul_f64 v[101:102], v[1:2], v[113:114]
	buffer_load_dword v108, off, s[0:3], 0 offset:932
	v_add_f64 v[13:14], v[13:14], v[93:94]
	v_fma_f64 v[93:94], v[7:8], v[118:119], v[126:127]
	v_add_f64 v[15:16], v[15:16], v[58:59]
	ds_read_b128 v[5:8], v29 offset:1648
	s_waitcnt vmcnt(53) lgkmcnt(1)
	v_mul_f64 v[58:59], v[9:10], v[109:110]
	v_mul_f64 v[109:110], v[11:12], v[109:110]
	s_waitcnt vmcnt(52)
	v_fma_f64 v[105:106], v[1:2], v[115:116], -v[105:106]
	v_fma_f64 v[101:102], v[3:4], v[115:116], v[101:102]
	ds_read_b128 v[1:4], v29 offset:1664
	v_add_f64 v[13:14], v[13:14], v[111:112]
	v_add_f64 v[15:16], v[15:16], v[93:94]
	s_waitcnt vmcnt(51) lgkmcnt(1)
	v_mul_f64 v[111:112], v[7:8], v[122:123]
	v_mul_f64 v[93:94], v[5:6], v[122:123]
	s_waitcnt vmcnt(49)
	v_fma_f64 v[109:110], v[9:10], v[23:24], -v[109:110]
	v_fma_f64 v[23:24], v[11:12], v[23:24], v[58:59]
	v_add_f64 v[13:14], v[13:14], v[105:106]
	v_add_f64 v[15:16], v[15:16], v[101:102]
	s_clause 0x3
	buffer_load_dword v58, off, s[0:3], 0 offset:432
	buffer_load_dword v59, off, s[0:3], 0 offset:436
	;; [unrolled: 1-line block ×4, first 2 shown]
	ds_read_b128 v[9:12], v29 offset:1680
	s_waitcnt vmcnt(49) lgkmcnt(1)
	v_mul_f64 v[105:106], v[1:2], v[27:28]
	v_mul_f64 v[27:28], v[3:4], v[27:28]
	s_waitcnt vmcnt(48)
	v_fma_f64 v[111:112], v[5:6], v[124:125], -v[111:112]
	v_fma_f64 v[93:94], v[7:8], v[124:125], v[93:94]
	ds_read_b128 v[5:8], v29 offset:1696
	v_add_f64 v[13:14], v[13:14], v[109:110]
	v_add_f64 v[15:16], v[15:16], v[23:24]
	s_waitcnt vmcnt(47) lgkmcnt(1)
	v_mul_f64 v[23:24], v[9:10], v[34:35]
	v_mul_f64 v[34:35], v[11:12], v[34:35]
	s_waitcnt vmcnt(45)
	v_fma_f64 v[27:28], v[1:2], v[21:22], -v[27:28]
	v_fma_f64 v[21:22], v[3:4], v[21:22], v[105:106]
	ds_read_b128 v[1:4], v29 offset:1712
	v_add_f64 v[13:14], v[13:14], v[111:112]
	v_add_f64 v[15:16], v[15:16], v[93:94]
	s_waitcnt vmcnt(41) lgkmcnt(1)
	v_mul_f64 v[93:94], v[5:6], v[36:37]
	v_mul_f64 v[36:37], v[7:8], v[36:37]
	s_waitcnt vmcnt(40)
	v_fma_f64 v[23:24], v[11:12], v[120:121], v[23:24]
	v_fma_f64 v[34:35], v[9:10], v[120:121], -v[34:35]
	ds_read_b128 v[9:12], v29 offset:1728
	v_add_f64 v[13:14], v[13:14], v[27:28]
	v_add_f64 v[15:16], v[15:16], v[21:22]
	s_waitcnt vmcnt(39) lgkmcnt(1)
	v_mul_f64 v[27:28], v[3:4], v[38:39]
	v_mul_f64 v[21:22], v[1:2], v[38:39]
	s_waitcnt vmcnt(37)
	v_fma_f64 v[36:37], v[5:6], v[19:20], -v[36:37]
	v_fma_f64 v[19:20], v[7:8], v[19:20], v[93:94]
	ds_read_b128 v[5:8], v29 offset:1744
	v_add_f64 v[13:14], v[13:14], v[34:35]
	v_add_f64 v[15:16], v[15:16], v[23:24]
	s_waitcnt vmcnt(33) lgkmcnt(1)
	v_mul_f64 v[23:24], v[9:10], v[17:18]
	v_mul_f64 v[17:18], v[11:12], v[17:18]
	s_waitcnt vmcnt(32)
	v_fma_f64 v[27:28], v[1:2], v[40:41], -v[27:28]
	v_fma_f64 v[21:22], v[3:4], v[40:41], v[21:22]
	ds_read_b128 v[1:4], v29 offset:1760
	v_add_f64 v[13:14], v[13:14], v[36:37]
	v_add_f64 v[15:16], v[15:16], v[19:20]
	s_waitcnt vmcnt(31) lgkmcnt(1)
	v_mul_f64 v[34:35], v[7:8], v[44:45]
	v_mul_f64 v[19:20], v[5:6], v[44:45]
	s_waitcnt vmcnt(29)
	v_fma_f64 v[17:18], v[9:10], v[32:33], -v[17:18]
	v_fma_f64 v[23:24], v[11:12], v[32:33], v[23:24]
	ds_read_b128 v[9:12], v29 offset:1776
	v_add_f64 v[13:14], v[13:14], v[27:28]
	v_add_f64 v[15:16], v[15:16], v[21:22]
	s_waitcnt vmcnt(25) lgkmcnt(1)
	v_mul_f64 v[21:22], v[1:2], v[25:26]
	v_mul_f64 v[25:26], v[3:4], v[25:26]
	s_waitcnt vmcnt(24)
	v_fma_f64 v[27:28], v[5:6], v[48:49], -v[34:35]
	v_add_f64 v[13:14], v[13:14], v[17:18]
	v_fma_f64 v[17:18], v[7:8], v[48:49], v[19:20]
	v_add_f64 v[15:16], v[15:16], v[23:24]
	ds_read_b128 v[5:8], v29 offset:1792
	s_waitcnt vmcnt(23) lgkmcnt(1)
	v_mul_f64 v[23:24], v[11:12], v[52:53]
	v_mul_f64 v[19:20], v[9:10], v[52:53]
	s_waitcnt vmcnt(21)
	v_fma_f64 v[25:26], v[1:2], v[30:31], -v[25:26]
	v_fma_f64 v[21:22], v[3:4], v[30:31], v[21:22]
	ds_read_b128 v[1:4], v29 offset:1808
	v_add_f64 v[13:14], v[13:14], v[27:28]
	v_add_f64 v[15:16], v[15:16], v[17:18]
	s_waitcnt vmcnt(17) lgkmcnt(1)
	v_mul_f64 v[27:28], v[7:8], v[42:43]
	s_waitcnt vmcnt(16)
	v_fma_f64 v[23:24], v[9:10], v[56:57], -v[23:24]
	v_mul_f64 v[17:18], v[5:6], v[42:43]
	v_fma_f64 v[19:20], v[11:12], v[56:57], v[19:20]
	ds_read_b128 v[9:12], v29 offset:1824
	v_add_f64 v[13:14], v[13:14], v[25:26]
	v_add_f64 v[15:16], v[15:16], v[21:22]
	s_waitcnt vmcnt(15) lgkmcnt(1)
	v_mul_f64 v[25:26], v[3:4], v[60:61]
	v_mul_f64 v[21:22], v[1:2], v[60:61]
	s_waitcnt vmcnt(13)
	v_fma_f64 v[27:28], v[5:6], v[46:47], -v[27:28]
	v_fma_f64 v[17:18], v[7:8], v[46:47], v[17:18]
	ds_read_b128 v[5:8], v29 offset:1840
	v_add_f64 v[13:14], v[13:14], v[23:24]
	v_add_f64 v[15:16], v[15:16], v[19:20]
	s_waitcnt vmcnt(9) lgkmcnt(1)
	v_mul_f64 v[23:24], v[11:12], v[50:51]
	s_waitcnt vmcnt(8)
	v_fma_f64 v[1:2], v[1:2], v[95:96], -v[25:26]
	v_mul_f64 v[19:20], v[9:10], v[50:51]
	v_fma_f64 v[3:4], v[3:4], v[95:96], v[21:22]
	v_add_f64 v[13:14], v[13:14], v[27:28]
	v_add_f64 v[15:16], v[15:16], v[17:18]
	s_waitcnt vmcnt(7) lgkmcnt(0)
	v_mul_f64 v[21:22], v[7:8], v[103:104]
	v_mul_f64 v[17:18], v[5:6], v[103:104]
	s_waitcnt vmcnt(5)
	v_fma_f64 v[9:10], v[9:10], v[54:55], -v[23:24]
	v_fma_f64 v[11:12], v[11:12], v[54:55], v[19:20]
	v_add_f64 v[1:2], v[13:14], v[1:2]
	v_add_f64 v[3:4], v[15:16], v[3:4]
	s_waitcnt vmcnt(4)
	v_fma_f64 v[5:6], v[5:6], v[107:108], -v[21:22]
	v_fma_f64 v[7:8], v[7:8], v[107:108], v[17:18]
	v_add_f64 v[1:2], v[1:2], v[9:10]
	v_add_f64 v[3:4], v[3:4], v[11:12]
	;; [unrolled: 1-line block ×4, first 2 shown]
	s_waitcnt vmcnt(2)
	v_add_f64 v[1:2], v[58:59], -v[1:2]
	s_waitcnt vmcnt(0)
	v_add_f64 v[3:4], v[101:102], -v[3:4]
	buffer_store_dword v2, off, s[0:3], 0 offset:436
	buffer_store_dword v1, off, s[0:3], 0 offset:432
	;; [unrolled: 1-line block ×4, first 2 shown]
	v_cmpx_lt_u32_e32 25, v0
	s_cbranch_execz .LBB57_311
; %bb.310:
	v_mov_b32_e32 v4, s45
	s_clause 0x3
	buffer_load_dword v1, v4, s[0:3], 0 offen
	buffer_load_dword v2, v4, s[0:3], 0 offen offset:4
	buffer_load_dword v3, v4, s[0:3], 0 offen offset:8
	;; [unrolled: 1-line block ×3, first 2 shown]
	buffer_store_dword v29, off, s[0:3], 0 offset:416
	buffer_store_dword v29, off, s[0:3], 0 offset:420
	;; [unrolled: 1-line block ×4, first 2 shown]
	s_waitcnt vmcnt(0)
	ds_write_b128 v63, v[1:4]
.LBB57_311:
	s_or_b32 exec_lo, exec_lo, s4
	s_waitcnt lgkmcnt(0)
	s_waitcnt_vscnt null, 0x0
	s_barrier
	buffer_gl0_inv
	s_clause 0x37
	buffer_load_dword v9, off, s[0:3], 0 offset:440
	buffer_load_dword v10, off, s[0:3], 0 offset:444
	;; [unrolled: 1-line block ×56, first 2 shown]
	ds_read_b128 v[30:33], v29 offset:1344
	s_clause 0x2
	buffer_load_dword v104, off, s[0:3], 0 offset:668
	buffer_load_dword v108, off, s[0:3], 0 offset:644
	;; [unrolled: 1-line block ×3, first 2 shown]
	ds_read_b128 v[34:37], v29 offset:1360
	s_clause 0x4
	buffer_load_dword v112, off, s[0:3], 0 offset:684
	buffer_load_dword v113, off, s[0:3], 0 offset:696
	;; [unrolled: 1-line block ×5, first 2 shown]
	ds_read_b128 v[38:41], v29 offset:1376
	s_clause 0x2
	buffer_load_dword v114, off, s[0:3], 0 offset:700
	buffer_load_dword v119, off, s[0:3], 0 offset:676
	;; [unrolled: 1-line block ×3, first 2 shown]
	s_mov_b32 s4, exec_lo
	s_waitcnt vmcnt(62) lgkmcnt(2)
	v_mul_f64 v[109:110], v[32:33], v[9:10]
	v_mul_f64 v[9:10], v[30:31], v[9:10]
	s_waitcnt lgkmcnt(1)
	v_mul_f64 v[116:117], v[36:37], v[5:6]
	s_waitcnt vmcnt(59) lgkmcnt(0)
	v_mul_f64 v[120:121], v[40:41], v[3:4]
	v_fma_f64 v[30:31], v[30:31], v[7:8], -v[109:110]
	v_mul_f64 v[109:110], v[34:35], v[5:6]
	v_fma_f64 v[9:10], v[32:33], v[7:8], v[9:10]
	s_waitcnt vmcnt(57)
	v_fma_f64 v[34:35], v[34:35], v[1:2], -v[116:117]
	ds_read_b128 v[5:8], v29 offset:1392
	v_mul_f64 v[32:33], v[38:39], v[3:4]
	s_waitcnt vmcnt(51)
	v_fma_f64 v[38:39], v[38:39], v[25:26], -v[120:121]
	v_add_f64 v[30:31], v[30:31], 0
	v_fma_f64 v[36:37], v[36:37], v[1:2], v[109:110]
	v_add_f64 v[9:10], v[9:10], 0
	s_clause 0x4
	buffer_load_dword v110, off, s[0:3], 0 offset:716
	buffer_load_dword v122, off, s[0:3], 0 offset:728
	;; [unrolled: 1-line block ×5, first 2 shown]
	s_waitcnt lgkmcnt(0)
	v_mul_f64 v[125:126], v[5:6], v[13:14]
	v_mul_f64 v[13:14], v[7:8], v[13:14]
	ds_read_b128 v[1:4], v29 offset:1408
	v_fma_f64 v[25:26], v[40:41], v[25:26], v[32:33]
	v_add_f64 v[34:35], v[30:31], v[34:35]
	v_add_f64 v[9:10], v[9:10], v[36:37]
	s_clause 0x2
	buffer_load_dword v123, off, s[0:3], 0 offset:732
	buffer_load_dword v37, off, s[0:3], 0 offset:708
	;; [unrolled: 1-line block ×3, first 2 shown]
	s_waitcnt vmcnt(58) lgkmcnt(0)
	v_mul_f64 v[40:41], v[1:2], v[17:18]
	v_mul_f64 v[17:18], v[3:4], v[17:18]
	s_waitcnt vmcnt(56)
	v_fma_f64 v[13:14], v[5:6], v[19:20], -v[13:14]
	ds_read_b128 v[30:33], v29 offset:1424
	v_fma_f64 v[19:20], v[7:8], v[19:20], v[125:126]
	v_add_f64 v[34:35], v[34:35], v[38:39]
	v_add_f64 v[9:10], v[9:10], v[25:26]
	s_clause 0x4
	buffer_load_dword v26, off, s[0:3], 0 offset:748
	buffer_load_dword v38, off, s[0:3], 0 offset:760
	;; [unrolled: 1-line block ×5, first 2 shown]
	ds_read_b128 v[5:8], v29 offset:1440
	s_waitcnt vmcnt(57) lgkmcnt(1)
	v_mul_f64 v[126:127], v[30:31], v[21:22]
	v_mul_f64 v[21:22], v[32:33], v[21:22]
	s_waitcnt vmcnt(56)
	v_fma_f64 v[17:18], v[1:2], v[11:12], -v[17:18]
	v_fma_f64 v[11:12], v[3:4], v[11:12], v[40:41]
	v_add_f64 v[13:14], v[34:35], v[13:14]
	v_add_f64 v[9:10], v[9:10], v[19:20]
	s_clause 0x2
	buffer_load_dword v39, off, s[0:3], 0 offset:764
	buffer_load_dword v20, off, s[0:3], 0 offset:740
	;; [unrolled: 1-line block ×3, first 2 shown]
	s_waitcnt vmcnt(58) lgkmcnt(0)
	v_mul_f64 v[34:35], v[5:6], v[27:28]
	v_mul_f64 v[27:28], v[7:8], v[27:28]
	s_waitcnt vmcnt(56)
	v_fma_f64 v[21:22], v[30:31], v[42:43], -v[21:22]
	ds_read_b128 v[1:4], v29 offset:1456
	v_add_f64 v[13:14], v[13:14], v[17:18]
	v_fma_f64 v[17:18], v[32:33], v[42:43], v[126:127]
	v_add_f64 v[30:31], v[9:10], v[11:12]
	s_clause 0x4
	buffer_load_dword v33, off, s[0:3], 0 offset:780
	buffer_load_dword v40, off, s[0:3], 0 offset:792
	;; [unrolled: 1-line block ×5, first 2 shown]
	ds_read_b128 v[9:12], v29 offset:1472
	s_waitcnt vmcnt(57) lgkmcnt(1)
	v_mul_f64 v[126:127], v[1:2], v[44:45]
	v_mul_f64 v[43:44], v[3:4], v[44:45]
	s_waitcnt vmcnt(56)
	v_fma_f64 v[27:28], v[5:6], v[15:16], -v[27:28]
	v_fma_f64 v[15:16], v[7:8], v[15:16], v[34:35]
	v_add_f64 v[13:14], v[13:14], v[21:22]
	s_clause 0x2
	buffer_load_dword v41, off, s[0:3], 0 offset:796
	buffer_load_dword v22, off, s[0:3], 0 offset:772
	;; [unrolled: 1-line block ×3, first 2 shown]
	v_add_f64 v[17:18], v[30:31], v[17:18]
	s_waitcnt vmcnt(58) lgkmcnt(0)
	v_mul_f64 v[34:35], v[11:12], v[46:47]
	ds_read_b128 v[5:8], v29 offset:1488
	v_mul_f64 v[30:31], v[9:10], v[46:47]
	s_waitcnt vmcnt(56)
	v_fma_f64 v[44:45], v[1:2], v[48:49], -v[43:44]
	v_add_f64 v[13:14], v[13:14], v[27:28]
	v_fma_f64 v[27:28], v[3:4], v[48:49], v[126:127]
	v_add_f64 v[15:16], v[17:18], v[15:16]
	s_clause 0x4
	buffer_load_dword v18, off, s[0:3], 0 offset:812
	buffer_load_dword v46, off, s[0:3], 0 offset:824
	buffer_load_dword v48, off, s[0:3], 0 offset:816
	buffer_load_dword v17, off, s[0:3], 0 offset:808
	buffer_load_dword v43, off, s[0:3], 0 offset:788
	s_waitcnt vmcnt(57) lgkmcnt(0)
	v_mul_f64 v[126:127], v[5:6], v[50:51]
	v_mul_f64 v[49:50], v[7:8], v[50:51]
	s_waitcnt vmcnt(56)
	v_fma_f64 v[34:35], v[9:10], v[23:24], -v[34:35]
	ds_read_b128 v[1:4], v29 offset:1504
	v_fma_f64 v[23:24], v[11:12], v[23:24], v[30:31]
	v_add_f64 v[13:14], v[13:14], v[44:45]
	v_add_f64 v[15:16], v[15:16], v[27:28]
	s_clause 0x2
	buffer_load_dword v47, off, s[0:3], 0 offset:828
	buffer_load_dword v28, off, s[0:3], 0 offset:804
	buffer_load_dword v27, off, s[0:3], 0 offset:800
	ds_read_b128 v[9:12], v29 offset:1520
	s_waitcnt vmcnt(58) lgkmcnt(1)
	v_mul_f64 v[44:45], v[3:4], v[52:53]
	s_waitcnt vmcnt(56)
	v_fma_f64 v[50:51], v[5:6], v[56:57], -v[49:50]
	v_mul_f64 v[30:31], v[1:2], v[52:53]
	v_add_f64 v[13:14], v[13:14], v[34:35]
	v_fma_f64 v[34:35], v[7:8], v[56:57], v[126:127]
	v_add_f64 v[15:16], v[15:16], v[23:24]
	s_clause 0x4
	buffer_load_dword v24, off, s[0:3], 0 offset:844
	buffer_load_dword v52, off, s[0:3], 0 offset:856
	buffer_load_dword v56, off, s[0:3], 0 offset:848
	buffer_load_dword v23, off, s[0:3], 0 offset:840
	buffer_load_dword v49, off, s[0:3], 0 offset:820
	s_waitcnt vmcnt(57) lgkmcnt(0)
	v_mul_f64 v[126:127], v[9:10], v[58:59]
	v_mul_f64 v[57:58], v[11:12], v[58:59]
	s_waitcnt vmcnt(56)
	v_fma_f64 v[44:45], v[1:2], v[54:55], -v[44:45]
	ds_read_b128 v[5:8], v29 offset:1536
	v_fma_f64 v[30:31], v[3:4], v[54:55], v[30:31]
	v_add_f64 v[13:14], v[13:14], v[50:51]
	v_add_f64 v[15:16], v[15:16], v[34:35]
	s_clause 0x2
	buffer_load_dword v53, off, s[0:3], 0 offset:860
	buffer_load_dword v35, off, s[0:3], 0 offset:836
	buffer_load_dword v34, off, s[0:3], 0 offset:832
	ds_read_b128 v[1:4], v29 offset:1552
	s_waitcnt vmcnt(58) lgkmcnt(1)
	v_mul_f64 v[54:55], v[7:8], v[60:61]
	s_waitcnt vmcnt(56)
	v_fma_f64 v[58:59], v[9:10], v[95:96], -v[57:58]
	v_mul_f64 v[50:51], v[5:6], v[60:61]
	;; [unrolled: 28-line block ×4, first 2 shown]
	v_add_f64 v[13:14], v[13:14], v[93:94]
	v_fma_f64 v[93:94], v[7:8], v[118:119], v[126:127]
	v_add_f64 v[15:16], v[15:16], v[58:59]
	s_clause 0x2
	buffer_load_dword v59, off, s[0:3], 0 offset:940
	buffer_load_dword v58, off, s[0:3], 0 offset:936
	;; [unrolled: 1-line block ×3, first 2 shown]
	ds_read_b128 v[5:8], v29 offset:1632
	s_waitcnt vmcnt(55) lgkmcnt(1)
	v_mul_f64 v[113:114], v[9:10], v[109:110]
	v_mul_f64 v[109:110], v[11:12], v[109:110]
	s_waitcnt vmcnt(54)
	v_fma_f64 v[105:106], v[1:2], v[115:116], -v[105:106]
	v_fma_f64 v[101:102], v[3:4], v[115:116], v[101:102]
	v_add_f64 v[13:14], v[13:14], v[111:112]
	v_add_f64 v[15:16], v[15:16], v[93:94]
	s_clause 0x1
	buffer_load_dword v94, off, s[0:3], 0 offset:932
	buffer_load_dword v93, off, s[0:3], 0 offset:928
	ds_read_b128 v[1:4], v29 offset:1648
	s_waitcnt vmcnt(55) lgkmcnt(1)
	v_mul_f64 v[115:116], v[7:8], v[122:123]
	v_mul_f64 v[111:112], v[5:6], v[122:123]
	s_waitcnt vmcnt(53)
	v_fma_f64 v[109:110], v[9:10], v[36:37], -v[109:110]
	v_fma_f64 v[36:37], v[11:12], v[36:37], v[113:114]
	ds_read_b128 v[9:12], v29 offset:1664
	v_add_f64 v[13:14], v[13:14], v[105:106]
	v_add_f64 v[15:16], v[15:16], v[101:102]
	s_waitcnt vmcnt(49) lgkmcnt(1)
	v_mul_f64 v[101:102], v[1:2], v[25:26]
	v_mul_f64 v[25:26], v[3:4], v[25:26]
	s_waitcnt vmcnt(48)
	v_fma_f64 v[105:106], v[5:6], v[124:125], -v[115:116]
	v_add_f64 v[13:14], v[13:14], v[109:110]
	v_fma_f64 v[109:110], v[7:8], v[124:125], v[111:112]
	v_add_f64 v[15:16], v[15:16], v[36:37]
	s_clause 0x3
	buffer_load_dword v36, off, s[0:3], 0 offset:416
	buffer_load_dword v37, off, s[0:3], 0 offset:420
	;; [unrolled: 1-line block ×4, first 2 shown]
	ds_read_b128 v[5:8], v29 offset:1680
	s_waitcnt vmcnt(51) lgkmcnt(1)
	v_mul_f64 v[113:114], v[9:10], v[38:39]
	v_mul_f64 v[38:39], v[11:12], v[38:39]
	s_waitcnt vmcnt(49)
	v_fma_f64 v[25:26], v[1:2], v[19:20], -v[25:26]
	v_fma_f64 v[19:20], v[3:4], v[19:20], v[101:102]
	ds_read_b128 v[1:4], v29 offset:1696
	v_add_f64 v[13:14], v[13:14], v[105:106]
	v_add_f64 v[15:16], v[15:16], v[109:110]
	s_waitcnt vmcnt(45) lgkmcnt(1)
	v_mul_f64 v[101:102], v[5:6], v[32:33]
	v_mul_f64 v[32:33], v[7:8], v[32:33]
	s_waitcnt vmcnt(44)
	v_fma_f64 v[38:39], v[9:10], v[120:121], -v[38:39]
	v_add_f64 v[13:14], v[13:14], v[25:26]
	v_fma_f64 v[25:26], v[11:12], v[120:121], v[113:114]
	v_add_f64 v[15:16], v[15:16], v[19:20]
	ds_read_b128 v[9:12], v29 offset:1712
	s_waitcnt vmcnt(43) lgkmcnt(1)
	v_mul_f64 v[19:20], v[1:2], v[40:41]
	v_mul_f64 v[40:41], v[3:4], v[40:41]
	s_waitcnt vmcnt(41)
	v_fma_f64 v[32:33], v[5:6], v[21:22], -v[32:33]
	v_fma_f64 v[21:22], v[7:8], v[21:22], v[101:102]
	ds_read_b128 v[5:8], v29 offset:1728
	v_add_f64 v[13:14], v[13:14], v[38:39]
	v_add_f64 v[15:16], v[15:16], v[25:26]
	s_waitcnt vmcnt(37) lgkmcnt(1)
	v_mul_f64 v[25:26], v[9:10], v[17:18]
	v_mul_f64 v[17:18], v[11:12], v[17:18]
	s_waitcnt vmcnt(36)
	v_fma_f64 v[38:39], v[1:2], v[42:43], -v[40:41]
	v_fma_f64 v[19:20], v[3:4], v[42:43], v[19:20]
	ds_read_b128 v[1:4], v29 offset:1744
	v_add_f64 v[13:14], v[13:14], v[32:33]
	v_add_f64 v[15:16], v[15:16], v[21:22]
	;; [unrolled: 9-line block ×3, first 2 shown]
	s_waitcnt vmcnt(29) lgkmcnt(1)
	v_mul_f64 v[19:20], v[1:2], v[23:24]
	v_mul_f64 v[23:24], v[3:4], v[23:24]
	s_waitcnt vmcnt(28)
	v_fma_f64 v[27:28], v[5:6], v[48:49], -v[32:33]
	v_add_f64 v[13:14], v[13:14], v[17:18]
	v_fma_f64 v[17:18], v[7:8], v[48:49], v[21:22]
	v_add_f64 v[15:16], v[15:16], v[25:26]
	ds_read_b128 v[5:8], v29 offset:1776
	s_waitcnt vmcnt(27) lgkmcnt(1)
	v_mul_f64 v[25:26], v[11:12], v[52:53]
	v_mul_f64 v[21:22], v[9:10], v[52:53]
	s_waitcnt vmcnt(25)
	v_fma_f64 v[23:24], v[1:2], v[34:35], -v[23:24]
	v_fma_f64 v[19:20], v[3:4], v[34:35], v[19:20]
	ds_read_b128 v[1:4], v29 offset:1792
	v_add_f64 v[13:14], v[13:14], v[27:28]
	v_add_f64 v[15:16], v[15:16], v[17:18]
	s_waitcnt vmcnt(21) lgkmcnt(1)
	v_mul_f64 v[27:28], v[7:8], v[30:31]
	s_waitcnt vmcnt(20)
	v_fma_f64 v[25:26], v[9:10], v[56:57], -v[25:26]
	v_mul_f64 v[17:18], v[5:6], v[30:31]
	v_fma_f64 v[21:22], v[11:12], v[56:57], v[21:22]
	ds_read_b128 v[9:12], v29 offset:1808
	v_add_f64 v[13:14], v[13:14], v[23:24]
	v_add_f64 v[15:16], v[15:16], v[19:20]
	s_waitcnt vmcnt(19) lgkmcnt(1)
	v_mul_f64 v[23:24], v[3:4], v[60:61]
	v_mul_f64 v[19:20], v[1:2], v[60:61]
	s_waitcnt vmcnt(17)
	v_fma_f64 v[27:28], v[5:6], v[44:45], -v[27:28]
	v_fma_f64 v[17:18], v[7:8], v[44:45], v[17:18]
	ds_read_b128 v[5:8], v29 offset:1824
	v_add_f64 v[13:14], v[13:14], v[25:26]
	v_add_f64 v[15:16], v[15:16], v[21:22]
	s_waitcnt vmcnt(13) lgkmcnt(1)
	v_mul_f64 v[25:26], v[11:12], v[50:51]
	s_waitcnt vmcnt(12)
	v_fma_f64 v[23:24], v[1:2], v[95:96], -v[23:24]
	v_mul_f64 v[21:22], v[9:10], v[50:51]
	v_fma_f64 v[19:20], v[3:4], v[95:96], v[19:20]
	ds_read_b128 v[1:4], v29 offset:1840
	v_add_f64 v[13:14], v[13:14], v[27:28]
	v_add_f64 v[15:16], v[15:16], v[17:18]
	s_waitcnt vmcnt(11) lgkmcnt(1)
	v_mul_f64 v[27:28], v[7:8], v[103:104]
	v_mul_f64 v[17:18], v[5:6], v[103:104]
	s_waitcnt vmcnt(9)
	v_fma_f64 v[9:10], v[9:10], v[54:55], -v[25:26]
	v_fma_f64 v[11:12], v[11:12], v[54:55], v[21:22]
	v_add_f64 v[13:14], v[13:14], v[23:24]
	v_add_f64 v[15:16], v[15:16], v[19:20]
	s_waitcnt vmcnt(7) lgkmcnt(0)
	v_mul_f64 v[21:22], v[3:4], v[58:59]
	s_waitcnt vmcnt(6)
	v_fma_f64 v[5:6], v[5:6], v[107:108], -v[27:28]
	v_mul_f64 v[19:20], v[1:2], v[58:59]
	v_fma_f64 v[7:8], v[7:8], v[107:108], v[17:18]
	v_add_f64 v[9:10], v[13:14], v[9:10]
	v_add_f64 v[11:12], v[15:16], v[11:12]
	s_waitcnt vmcnt(4)
	v_fma_f64 v[1:2], v[1:2], v[93:94], -v[21:22]
	v_fma_f64 v[3:4], v[3:4], v[93:94], v[19:20]
	v_add_f64 v[5:6], v[9:10], v[5:6]
	v_add_f64 v[7:8], v[11:12], v[7:8]
	;; [unrolled: 1-line block ×4, first 2 shown]
	s_waitcnt vmcnt(2)
	v_add_f64 v[1:2], v[36:37], -v[1:2]
	s_waitcnt vmcnt(0)
	v_add_f64 v[3:4], v[111:112], -v[3:4]
	buffer_store_dword v2, off, s[0:3], 0 offset:420
	buffer_store_dword v1, off, s[0:3], 0 offset:416
	;; [unrolled: 1-line block ×4, first 2 shown]
	v_cmpx_lt_u32_e32 24, v0
	s_cbranch_execz .LBB57_313
; %bb.312:
	v_mov_b32_e32 v4, s47
	v_mov_b32_e32 v5, 0
	s_clause 0x3
	buffer_load_dword v1, v4, s[0:3], 0 offen
	buffer_load_dword v2, v4, s[0:3], 0 offen offset:4
	buffer_load_dword v3, v4, s[0:3], 0 offen offset:8
	;; [unrolled: 1-line block ×3, first 2 shown]
	buffer_store_dword v5, off, s[0:3], 0 offset:400
	buffer_store_dword v5, off, s[0:3], 0 offset:404
	;; [unrolled: 1-line block ×4, first 2 shown]
	s_waitcnt vmcnt(0)
	ds_write_b128 v63, v[1:4]
.LBB57_313:
	s_or_b32 exec_lo, exec_lo, s4
	s_waitcnt lgkmcnt(0)
	s_waitcnt_vscnt null, 0x0
	s_barrier
	buffer_gl0_inv
	s_clause 0x37
	buffer_load_dword v9, off, s[0:3], 0 offset:424
	buffer_load_dword v10, off, s[0:3], 0 offset:428
	;; [unrolled: 1-line block ×56, first 2 shown]
	v_mov_b32_e32 v51, 0
	s_mov_b32 s4, exec_lo
	ds_read_b128 v[39:42], v51 offset:1328
	s_clause 0x2
	buffer_load_dword v104, off, s[0:3], 0 offset:652
	buffer_load_dword v108, off, s[0:3], 0 offset:628
	;; [unrolled: 1-line block ×3, first 2 shown]
	ds_read_b128 v[43:46], v51 offset:1344
	s_clause 0x4
	buffer_load_dword v112, off, s[0:3], 0 offset:668
	buffer_load_dword v113, off, s[0:3], 0 offset:680
	;; [unrolled: 1-line block ×5, first 2 shown]
	ds_read_b128 v[47:50], v51 offset:1360
	s_clause 0x2
	buffer_load_dword v114, off, s[0:3], 0 offset:684
	buffer_load_dword v119, off, s[0:3], 0 offset:660
	;; [unrolled: 1-line block ×3, first 2 shown]
	s_waitcnt vmcnt(62) lgkmcnt(2)
	v_mul_f64 v[109:110], v[41:42], v[9:10]
	v_mul_f64 v[9:10], v[39:40], v[9:10]
	s_waitcnt lgkmcnt(1)
	v_mul_f64 v[116:117], v[45:46], v[5:6]
	s_waitcnt vmcnt(59) lgkmcnt(0)
	v_mul_f64 v[120:121], v[49:50], v[3:4]
	v_fma_f64 v[39:40], v[39:40], v[7:8], -v[109:110]
	v_mul_f64 v[109:110], v[43:44], v[5:6]
	v_fma_f64 v[9:10], v[41:42], v[7:8], v[9:10]
	s_waitcnt vmcnt(57)
	v_fma_f64 v[43:44], v[43:44], v[1:2], -v[116:117]
	ds_read_b128 v[5:8], v51 offset:1376
	v_mul_f64 v[41:42], v[47:48], v[3:4]
	s_waitcnt vmcnt(51)
	v_fma_f64 v[47:48], v[47:48], v[25:26], -v[120:121]
	v_add_f64 v[39:40], v[39:40], 0
	v_fma_f64 v[45:46], v[45:46], v[1:2], v[109:110]
	v_add_f64 v[9:10], v[9:10], 0
	s_clause 0x4
	buffer_load_dword v110, off, s[0:3], 0 offset:700
	buffer_load_dword v122, off, s[0:3], 0 offset:712
	;; [unrolled: 1-line block ×5, first 2 shown]
	s_waitcnt lgkmcnt(0)
	v_mul_f64 v[125:126], v[5:6], v[13:14]
	v_mul_f64 v[13:14], v[7:8], v[13:14]
	ds_read_b128 v[1:4], v51 offset:1392
	v_fma_f64 v[25:26], v[49:50], v[25:26], v[41:42]
	v_add_f64 v[43:44], v[39:40], v[43:44]
	v_add_f64 v[9:10], v[9:10], v[45:46]
	s_clause 0x2
	buffer_load_dword v123, off, s[0:3], 0 offset:716
	buffer_load_dword v46, off, s[0:3], 0 offset:692
	;; [unrolled: 1-line block ×3, first 2 shown]
	s_waitcnt vmcnt(58) lgkmcnt(0)
	v_mul_f64 v[49:50], v[1:2], v[17:18]
	v_mul_f64 v[17:18], v[3:4], v[17:18]
	s_waitcnt vmcnt(56)
	v_fma_f64 v[13:14], v[5:6], v[19:20], -v[13:14]
	ds_read_b128 v[39:42], v51 offset:1408
	v_fma_f64 v[19:20], v[7:8], v[19:20], v[125:126]
	v_add_f64 v[43:44], v[43:44], v[47:48]
	v_add_f64 v[9:10], v[9:10], v[25:26]
	s_clause 0x4
	buffer_load_dword v26, off, s[0:3], 0 offset:732
	buffer_load_dword v47, off, s[0:3], 0 offset:744
	;; [unrolled: 1-line block ×5, first 2 shown]
	ds_read_b128 v[5:8], v51 offset:1424
	s_waitcnt vmcnt(57) lgkmcnt(1)
	v_mul_f64 v[126:127], v[39:40], v[21:22]
	v_mul_f64 v[21:22], v[41:42], v[21:22]
	s_waitcnt vmcnt(56)
	v_fma_f64 v[17:18], v[1:2], v[11:12], -v[17:18]
	v_fma_f64 v[11:12], v[3:4], v[11:12], v[49:50]
	v_add_f64 v[13:14], v[43:44], v[13:14]
	v_add_f64 v[9:10], v[9:10], v[19:20]
	s_clause 0x2
	buffer_load_dword v48, off, s[0:3], 0 offset:748
	buffer_load_dword v20, off, s[0:3], 0 offset:724
	;; [unrolled: 1-line block ×3, first 2 shown]
	s_waitcnt vmcnt(58) lgkmcnt(0)
	v_mul_f64 v[43:44], v[5:6], v[27:28]
	v_mul_f64 v[27:28], v[7:8], v[27:28]
	s_waitcnt vmcnt(56)
	v_fma_f64 v[21:22], v[39:40], v[29:30], -v[21:22]
	ds_read_b128 v[1:4], v51 offset:1440
	v_add_f64 v[13:14], v[13:14], v[17:18]
	v_fma_f64 v[17:18], v[41:42], v[29:30], v[126:127]
	v_add_f64 v[29:30], v[9:10], v[11:12]
	s_clause 0x4
	buffer_load_dword v40, off, s[0:3], 0 offset:764
	buffer_load_dword v41, off, s[0:3], 0 offset:776
	;; [unrolled: 1-line block ×5, first 2 shown]
	ds_read_b128 v[9:12], v51 offset:1456
	s_waitcnt vmcnt(57) lgkmcnt(1)
	v_mul_f64 v[126:127], v[1:2], v[31:32]
	v_mul_f64 v[31:32], v[3:4], v[31:32]
	s_waitcnt vmcnt(56)
	v_fma_f64 v[27:28], v[5:6], v[15:16], -v[27:28]
	v_fma_f64 v[15:16], v[7:8], v[15:16], v[43:44]
	v_add_f64 v[13:14], v[13:14], v[21:22]
	s_clause 0x2
	buffer_load_dword v42, off, s[0:3], 0 offset:780
	buffer_load_dword v22, off, s[0:3], 0 offset:756
	;; [unrolled: 1-line block ×3, first 2 shown]
	v_add_f64 v[17:18], v[29:30], v[17:18]
	s_waitcnt vmcnt(58) lgkmcnt(0)
	v_mul_f64 v[29:30], v[9:10], v[35:36]
	v_mul_f64 v[35:36], v[11:12], v[35:36]
	ds_read_b128 v[5:8], v51 offset:1472
	s_waitcnt vmcnt(56)
	v_fma_f64 v[31:32], v[1:2], v[37:38], -v[31:32]
	v_add_f64 v[13:14], v[13:14], v[27:28]
	v_fma_f64 v[27:28], v[3:4], v[37:38], v[126:127]
	v_add_f64 v[15:16], v[17:18], v[15:16]
	s_clause 0x4
	buffer_load_dword v18, off, s[0:3], 0 offset:796
	buffer_load_dword v37, off, s[0:3], 0 offset:808
	;; [unrolled: 1-line block ×5, first 2 shown]
	s_waitcnt vmcnt(57) lgkmcnt(0)
	v_mul_f64 v[126:127], v[5:6], v[52:53]
	v_mul_f64 v[52:53], v[7:8], v[52:53]
	s_waitcnt vmcnt(56)
	v_fma_f64 v[35:36], v[9:10], v[23:24], -v[35:36]
	ds_read_b128 v[1:4], v51 offset:1488
	v_fma_f64 v[23:24], v[11:12], v[23:24], v[29:30]
	v_add_f64 v[13:14], v[13:14], v[31:32]
	v_add_f64 v[15:16], v[15:16], v[27:28]
	s_clause 0x2
	buffer_load_dword v38, off, s[0:3], 0 offset:812
	buffer_load_dword v28, off, s[0:3], 0 offset:788
	;; [unrolled: 1-line block ×3, first 2 shown]
	ds_read_b128 v[9:12], v51 offset:1504
	s_waitcnt vmcnt(58) lgkmcnt(1)
	v_mul_f64 v[31:32], v[3:4], v[54:55]
	s_waitcnt vmcnt(56)
	v_fma_f64 v[52:53], v[5:6], v[56:57], -v[52:53]
	v_mul_f64 v[29:30], v[1:2], v[54:55]
	v_add_f64 v[13:14], v[13:14], v[35:36]
	v_fma_f64 v[35:36], v[7:8], v[56:57], v[126:127]
	v_add_f64 v[15:16], v[15:16], v[23:24]
	s_clause 0x4
	buffer_load_dword v24, off, s[0:3], 0 offset:828
	buffer_load_dword v54, off, s[0:3], 0 offset:840
	;; [unrolled: 1-line block ×5, first 2 shown]
	s_waitcnt vmcnt(57) lgkmcnt(0)
	v_mul_f64 v[126:127], v[9:10], v[58:59]
	v_mul_f64 v[57:58], v[11:12], v[58:59]
	s_waitcnt vmcnt(56)
	v_fma_f64 v[31:32], v[1:2], v[33:34], -v[31:32]
	ds_read_b128 v[5:8], v51 offset:1520
	v_fma_f64 v[29:30], v[3:4], v[33:34], v[29:30]
	s_clause 0x2
	buffer_load_dword v55, off, s[0:3], 0 offset:844
	buffer_load_dword v34, off, s[0:3], 0 offset:820
	;; [unrolled: 1-line block ×3, first 2 shown]
	ds_read_b128 v[1:4], v51 offset:1536
	v_add_f64 v[13:14], v[13:14], v[52:53]
	v_add_f64 v[15:16], v[15:16], v[35:36]
	s_waitcnt vmcnt(58) lgkmcnt(1)
	v_mul_f64 v[52:53], v[7:8], v[60:61]
	s_waitcnt vmcnt(56)
	v_fma_f64 v[58:59], v[9:10], v[95:96], -v[57:58]
	v_mul_f64 v[35:36], v[5:6], v[60:61]
	v_add_f64 v[13:14], v[13:14], v[31:32]
	v_fma_f64 v[31:32], v[11:12], v[95:96], v[126:127]
	v_add_f64 v[15:16], v[15:16], v[29:30]
	s_clause 0x4
	buffer_load_dword v30, off, s[0:3], 0 offset:860
	buffer_load_dword v60, off, s[0:3], 0 offset:872
	;; [unrolled: 1-line block ×5, first 2 shown]
	s_waitcnt vmcnt(57) lgkmcnt(0)
	v_mul_f64 v[126:127], v[1:2], v[101:102]
	v_mul_f64 v[101:102], v[3:4], v[101:102]
	s_waitcnt vmcnt(56)
	v_fma_f64 v[52:53], v[5:6], v[93:94], -v[52:53]
	ds_read_b128 v[9:12], v51 offset:1552
	v_fma_f64 v[35:36], v[7:8], v[93:94], v[35:36]
	v_add_f64 v[13:14], v[13:14], v[58:59]
	v_add_f64 v[15:16], v[15:16], v[31:32]
	s_clause 0x2
	buffer_load_dword v61, off, s[0:3], 0 offset:876
	buffer_load_dword v32, off, s[0:3], 0 offset:852
	;; [unrolled: 1-line block ×3, first 2 shown]
	ds_read_b128 v[5:8], v51 offset:1568
	s_waitcnt vmcnt(58) lgkmcnt(1)
	v_mul_f64 v[93:94], v[11:12], v[103:104]
	s_waitcnt vmcnt(56)
	v_fma_f64 v[101:102], v[1:2], v[107:108], -v[101:102]
	v_mul_f64 v[58:59], v[9:10], v[103:104]
	v_add_f64 v[13:14], v[13:14], v[52:53]
	v_fma_f64 v[52:53], v[3:4], v[107:108], v[126:127]
	v_add_f64 v[15:16], v[15:16], v[35:36]
	s_clause 0x4
	buffer_load_dword v36, off, s[0:3], 0 offset:892
	buffer_load_dword v103, off, s[0:3], 0 offset:904
	;; [unrolled: 1-line block ×5, first 2 shown]
	s_waitcnt vmcnt(57) lgkmcnt(0)
	v_mul_f64 v[126:127], v[5:6], v[111:112]
	v_mul_f64 v[111:112], v[7:8], v[111:112]
	s_waitcnt vmcnt(56)
	v_fma_f64 v[93:94], v[9:10], v[105:106], -v[93:94]
	ds_read_b128 v[1:4], v51 offset:1584
	v_fma_f64 v[58:59], v[11:12], v[105:106], v[58:59]
	v_add_f64 v[13:14], v[13:14], v[101:102]
	v_add_f64 v[15:16], v[15:16], v[52:53]
	s_clause 0x2
	buffer_load_dword v104, off, s[0:3], 0 offset:908
	buffer_load_dword v53, off, s[0:3], 0 offset:884
	;; [unrolled: 1-line block ×3, first 2 shown]
	ds_read_b128 v[9:12], v51 offset:1600
	s_waitcnt vmcnt(58) lgkmcnt(1)
	v_mul_f64 v[105:106], v[3:4], v[113:114]
	s_waitcnt vmcnt(56)
	v_fma_f64 v[111:112], v[5:6], v[118:119], -v[111:112]
	v_mul_f64 v[101:102], v[1:2], v[113:114]
	v_add_f64 v[13:14], v[13:14], v[93:94]
	v_fma_f64 v[93:94], v[7:8], v[118:119], v[126:127]
	v_add_f64 v[15:16], v[15:16], v[58:59]
	s_clause 0x4
	buffer_load_dword v59, off, s[0:3], 0 offset:924
	buffer_load_dword v113, off, s[0:3], 0 offset:936
	;; [unrolled: 1-line block ×5, first 2 shown]
	ds_read_b128 v[5:8], v51 offset:1616
	s_waitcnt vmcnt(57) lgkmcnt(1)
	v_mul_f64 v[118:119], v[9:10], v[109:110]
	v_mul_f64 v[109:110], v[11:12], v[109:110]
	s_waitcnt vmcnt(56)
	v_fma_f64 v[105:106], v[1:2], v[115:116], -v[105:106]
	v_fma_f64 v[101:102], v[3:4], v[115:116], v[101:102]
	v_add_f64 v[13:14], v[13:14], v[111:112]
	v_add_f64 v[15:16], v[15:16], v[93:94]
	s_clause 0x2
	buffer_load_dword v114, off, s[0:3], 0 offset:940
	buffer_load_dword v94, off, s[0:3], 0 offset:916
	;; [unrolled: 1-line block ×3, first 2 shown]
	ds_read_b128 v[1:4], v51 offset:1632
	s_waitcnt vmcnt(58) lgkmcnt(1)
	v_mul_f64 v[115:116], v[7:8], v[122:123]
	v_mul_f64 v[111:112], v[5:6], v[122:123]
	s_waitcnt vmcnt(56)
	v_fma_f64 v[109:110], v[9:10], v[45:46], -v[109:110]
	v_fma_f64 v[45:46], v[11:12], v[45:46], v[118:119]
	buffer_load_dword v118, off, s[0:3], 0 offset:932
	ds_read_b128 v[9:12], v51 offset:1648
	v_add_f64 v[13:14], v[13:14], v[105:106]
	v_add_f64 v[15:16], v[15:16], v[101:102]
	s_waitcnt vmcnt(53) lgkmcnt(1)
	v_mul_f64 v[101:102], v[1:2], v[25:26]
	v_mul_f64 v[25:26], v[3:4], v[25:26]
	s_waitcnt vmcnt(52)
	v_fma_f64 v[105:106], v[5:6], v[124:125], -v[115:116]
	v_add_f64 v[13:14], v[13:14], v[109:110]
	v_fma_f64 v[109:110], v[7:8], v[124:125], v[111:112]
	v_add_f64 v[15:16], v[15:16], v[45:46]
	ds_read_b128 v[5:8], v51 offset:1664
	s_waitcnt vmcnt(51) lgkmcnt(1)
	v_mul_f64 v[45:46], v[9:10], v[47:48]
	v_mul_f64 v[47:48], v[11:12], v[47:48]
	s_waitcnt vmcnt(49)
	v_fma_f64 v[25:26], v[1:2], v[19:20], -v[25:26]
	v_fma_f64 v[19:20], v[3:4], v[19:20], v[101:102]
	v_add_f64 v[13:14], v[13:14], v[105:106]
	s_clause 0x3
	buffer_load_dword v101, off, s[0:3], 0 offset:400
	buffer_load_dword v102, off, s[0:3], 0 offset:404
	buffer_load_dword v105, off, s[0:3], 0 offset:408
	buffer_load_dword v106, off, s[0:3], 0 offset:412
	v_add_f64 v[15:16], v[15:16], v[109:110]
	ds_read_b128 v[1:4], v51 offset:1680
	s_waitcnt vmcnt(49) lgkmcnt(1)
	v_mul_f64 v[109:110], v[5:6], v[39:40]
	v_mul_f64 v[39:40], v[7:8], v[39:40]
	s_waitcnt vmcnt(48)
	v_fma_f64 v[47:48], v[9:10], v[120:121], -v[47:48]
	v_add_f64 v[13:14], v[13:14], v[25:26]
	v_fma_f64 v[25:26], v[11:12], v[120:121], v[45:46]
	v_add_f64 v[15:16], v[15:16], v[19:20]
	ds_read_b128 v[9:12], v51 offset:1696
	s_waitcnt vmcnt(47) lgkmcnt(1)
	v_mul_f64 v[19:20], v[1:2], v[41:42]
	v_mul_f64 v[41:42], v[3:4], v[41:42]
	s_waitcnt vmcnt(45)
	v_fma_f64 v[39:40], v[5:6], v[21:22], -v[39:40]
	v_fma_f64 v[21:22], v[7:8], v[21:22], v[109:110]
	ds_read_b128 v[5:8], v51 offset:1712
	v_add_f64 v[13:14], v[13:14], v[47:48]
	v_add_f64 v[15:16], v[15:16], v[25:26]
	s_waitcnt vmcnt(41) lgkmcnt(1)
	v_mul_f64 v[25:26], v[9:10], v[17:18]
	v_mul_f64 v[17:18], v[11:12], v[17:18]
	s_waitcnt vmcnt(40)
	v_fma_f64 v[41:42], v[1:2], v[49:50], -v[41:42]
	v_fma_f64 v[19:20], v[3:4], v[49:50], v[19:20]
	ds_read_b128 v[1:4], v51 offset:1728
	v_add_f64 v[13:14], v[13:14], v[39:40]
	v_add_f64 v[15:16], v[15:16], v[21:22]
	;; [unrolled: 9-line block ×3, first 2 shown]
	s_waitcnt vmcnt(33) lgkmcnt(1)
	v_mul_f64 v[19:20], v[1:2], v[23:24]
	v_mul_f64 v[23:24], v[3:4], v[23:24]
	s_waitcnt vmcnt(32)
	v_fma_f64 v[27:28], v[5:6], v[43:44], -v[37:38]
	v_add_f64 v[13:14], v[13:14], v[17:18]
	v_fma_f64 v[17:18], v[7:8], v[43:44], v[21:22]
	v_add_f64 v[15:16], v[15:16], v[25:26]
	ds_read_b128 v[5:8], v51 offset:1760
	s_waitcnt vmcnt(31) lgkmcnt(1)
	v_mul_f64 v[25:26], v[11:12], v[54:55]
	v_mul_f64 v[21:22], v[9:10], v[54:55]
	s_waitcnt vmcnt(29)
	v_fma_f64 v[19:20], v[3:4], v[33:34], v[19:20]
	v_fma_f64 v[23:24], v[1:2], v[33:34], -v[23:24]
	ds_read_b128 v[1:4], v51 offset:1776
	v_add_f64 v[13:14], v[13:14], v[27:28]
	v_add_f64 v[15:16], v[15:16], v[17:18]
	s_waitcnt vmcnt(25) lgkmcnt(1)
	v_mul_f64 v[27:28], v[7:8], v[29:30]
	s_waitcnt vmcnt(24)
	v_fma_f64 v[25:26], v[9:10], v[56:57], -v[25:26]
	v_mul_f64 v[17:18], v[5:6], v[29:30]
	v_fma_f64 v[21:22], v[11:12], v[56:57], v[21:22]
	ds_read_b128 v[9:12], v51 offset:1792
	v_add_f64 v[13:14], v[13:14], v[23:24]
	v_add_f64 v[15:16], v[15:16], v[19:20]
	s_waitcnt vmcnt(23) lgkmcnt(1)
	v_mul_f64 v[23:24], v[3:4], v[60:61]
	v_mul_f64 v[19:20], v[1:2], v[60:61]
	s_waitcnt vmcnt(21)
	v_fma_f64 v[27:28], v[5:6], v[31:32], -v[27:28]
	v_fma_f64 v[17:18], v[7:8], v[31:32], v[17:18]
	ds_read_b128 v[5:8], v51 offset:1808
	v_add_f64 v[13:14], v[13:14], v[25:26]
	v_add_f64 v[15:16], v[15:16], v[21:22]
	s_waitcnt vmcnt(17) lgkmcnt(1)
	v_mul_f64 v[25:26], v[11:12], v[35:36]
	s_waitcnt vmcnt(16)
	v_fma_f64 v[23:24], v[1:2], v[95:96], -v[23:24]
	v_mul_f64 v[21:22], v[9:10], v[35:36]
	v_fma_f64 v[19:20], v[3:4], v[95:96], v[19:20]
	ds_read_b128 v[1:4], v51 offset:1824
	v_add_f64 v[13:14], v[13:14], v[27:28]
	v_add_f64 v[15:16], v[15:16], v[17:18]
	s_waitcnt vmcnt(15) lgkmcnt(1)
	v_mul_f64 v[27:28], v[7:8], v[103:104]
	v_mul_f64 v[17:18], v[5:6], v[103:104]
	s_waitcnt vmcnt(13)
	v_fma_f64 v[25:26], v[9:10], v[52:53], -v[25:26]
	v_fma_f64 v[21:22], v[11:12], v[52:53], v[21:22]
	ds_read_b128 v[9:12], v51 offset:1840
	v_add_f64 v[13:14], v[13:14], v[23:24]
	v_add_f64 v[15:16], v[15:16], v[19:20]
	s_waitcnt vmcnt(9) lgkmcnt(1)
	v_mul_f64 v[23:24], v[3:4], v[58:59]
	s_waitcnt vmcnt(8)
	v_fma_f64 v[5:6], v[5:6], v[107:108], -v[27:28]
	v_mul_f64 v[19:20], v[1:2], v[58:59]
	v_fma_f64 v[7:8], v[7:8], v[107:108], v[17:18]
	v_add_f64 v[13:14], v[13:14], v[25:26]
	v_add_f64 v[15:16], v[15:16], v[21:22]
	s_waitcnt vmcnt(7) lgkmcnt(0)
	v_mul_f64 v[21:22], v[11:12], v[113:114]
	v_mul_f64 v[17:18], v[9:10], v[113:114]
	s_waitcnt vmcnt(5)
	v_fma_f64 v[1:2], v[1:2], v[93:94], -v[23:24]
	v_fma_f64 v[3:4], v[3:4], v[93:94], v[19:20]
	v_add_f64 v[5:6], v[13:14], v[5:6]
	v_add_f64 v[7:8], v[15:16], v[7:8]
	s_waitcnt vmcnt(4)
	v_fma_f64 v[9:10], v[9:10], v[117:118], -v[21:22]
	v_add_f64 v[1:2], v[5:6], v[1:2]
	v_fma_f64 v[5:6], v[11:12], v[117:118], v[17:18]
	v_add_f64 v[3:4], v[7:8], v[3:4]
	v_add_f64 v[1:2], v[1:2], v[9:10]
	;; [unrolled: 1-line block ×3, first 2 shown]
	s_waitcnt vmcnt(2)
	v_add_f64 v[1:2], v[101:102], -v[1:2]
	s_waitcnt vmcnt(0)
	v_add_f64 v[3:4], v[105:106], -v[3:4]
	buffer_store_dword v2, off, s[0:3], 0 offset:404
	buffer_store_dword v1, off, s[0:3], 0 offset:400
	;; [unrolled: 1-line block ×4, first 2 shown]
	v_cmpx_lt_u32_e32 23, v0
	s_cbranch_execz .LBB57_315
; %bb.314:
	v_mov_b32_e32 v4, s51
	s_clause 0x3
	buffer_load_dword v1, v4, s[0:3], 0 offen
	buffer_load_dword v2, v4, s[0:3], 0 offen offset:4
	buffer_load_dword v3, v4, s[0:3], 0 offen offset:8
	;; [unrolled: 1-line block ×3, first 2 shown]
	buffer_store_dword v51, off, s[0:3], 0 offset:384
	buffer_store_dword v51, off, s[0:3], 0 offset:388
	;; [unrolled: 1-line block ×4, first 2 shown]
	s_waitcnt vmcnt(0)
	ds_write_b128 v63, v[1:4]
.LBB57_315:
	s_or_b32 exec_lo, exec_lo, s4
	s_waitcnt lgkmcnt(0)
	s_waitcnt_vscnt null, 0x0
	s_barrier
	buffer_gl0_inv
	s_clause 0x37
	buffer_load_dword v9, off, s[0:3], 0 offset:408
	buffer_load_dword v10, off, s[0:3], 0 offset:412
	;; [unrolled: 1-line block ×56, first 2 shown]
	ds_read_b128 v[52:55], v51 offset:1312
	s_clause 0x2
	buffer_load_dword v106, off, s[0:3], 0 offset:636
	buffer_load_dword v108, off, s[0:3], 0 offset:612
	;; [unrolled: 1-line block ×3, first 2 shown]
	ds_read_b128 v[56:59], v51 offset:1328
	s_clause 0x4
	buffer_load_dword v112, off, s[0:3], 0 offset:652
	buffer_load_dword v113, off, s[0:3], 0 offset:664
	;; [unrolled: 1-line block ×5, first 2 shown]
	ds_read_b128 v[93:96], v51 offset:1344
	s_clause 0x2
	buffer_load_dword v114, off, s[0:3], 0 offset:668
	buffer_load_dword v119, off, s[0:3], 0 offset:644
	;; [unrolled: 1-line block ×3, first 2 shown]
	s_mov_b32 s4, exec_lo
	s_waitcnt vmcnt(62) lgkmcnt(2)
	v_mul_f64 v[109:110], v[54:55], v[9:10]
	v_mul_f64 v[9:10], v[52:53], v[9:10]
	s_waitcnt lgkmcnt(1)
	v_mul_f64 v[116:117], v[58:59], v[5:6]
	s_waitcnt vmcnt(59) lgkmcnt(0)
	v_mul_f64 v[120:121], v[95:96], v[3:4]
	v_fma_f64 v[52:53], v[52:53], v[7:8], -v[109:110]
	v_mul_f64 v[109:110], v[56:57], v[5:6]
	v_fma_f64 v[9:10], v[54:55], v[7:8], v[9:10]
	s_waitcnt vmcnt(57)
	v_fma_f64 v[56:57], v[56:57], v[1:2], -v[116:117]
	ds_read_b128 v[5:8], v51 offset:1360
	v_mul_f64 v[54:55], v[93:94], v[3:4]
	s_waitcnt vmcnt(51)
	v_fma_f64 v[93:94], v[93:94], v[25:26], -v[120:121]
	v_add_f64 v[52:53], v[52:53], 0
	v_fma_f64 v[58:59], v[58:59], v[1:2], v[109:110]
	v_add_f64 v[9:10], v[9:10], 0
	s_clause 0x4
	buffer_load_dword v110, off, s[0:3], 0 offset:684
	buffer_load_dword v122, off, s[0:3], 0 offset:696
	buffer_load_dword v124, off, s[0:3], 0 offset:688
	buffer_load_dword v109, off, s[0:3], 0 offset:680
	buffer_load_dword v116, off, s[0:3], 0 offset:660
	s_waitcnt lgkmcnt(0)
	v_mul_f64 v[125:126], v[5:6], v[13:14]
	v_mul_f64 v[13:14], v[7:8], v[13:14]
	ds_read_b128 v[1:4], v51 offset:1376
	v_fma_f64 v[25:26], v[95:96], v[25:26], v[54:55]
	v_add_f64 v[56:57], v[52:53], v[56:57]
	v_add_f64 v[9:10], v[9:10], v[58:59]
	s_clause 0x2
	buffer_load_dword v123, off, s[0:3], 0 offset:700
	buffer_load_dword v59, off, s[0:3], 0 offset:676
	;; [unrolled: 1-line block ×3, first 2 shown]
	s_waitcnt vmcnt(58) lgkmcnt(0)
	v_mul_f64 v[95:96], v[1:2], v[17:18]
	v_mul_f64 v[17:18], v[3:4], v[17:18]
	s_waitcnt vmcnt(56)
	v_fma_f64 v[13:14], v[5:6], v[19:20], -v[13:14]
	ds_read_b128 v[52:55], v51 offset:1392
	v_fma_f64 v[19:20], v[7:8], v[19:20], v[125:126]
	v_add_f64 v[56:57], v[56:57], v[93:94]
	v_add_f64 v[9:10], v[9:10], v[25:26]
	s_clause 0x4
	buffer_load_dword v26, off, s[0:3], 0 offset:716
	buffer_load_dword v93, off, s[0:3], 0 offset:728
	;; [unrolled: 1-line block ×5, first 2 shown]
	ds_read_b128 v[5:8], v51 offset:1408
	s_waitcnt vmcnt(57) lgkmcnt(1)
	v_mul_f64 v[126:127], v[52:53], v[21:22]
	v_mul_f64 v[21:22], v[54:55], v[21:22]
	s_waitcnt vmcnt(56)
	v_fma_f64 v[17:18], v[1:2], v[11:12], -v[17:18]
	v_fma_f64 v[11:12], v[3:4], v[11:12], v[95:96]
	v_add_f64 v[13:14], v[56:57], v[13:14]
	v_add_f64 v[9:10], v[9:10], v[19:20]
	s_clause 0x2
	buffer_load_dword v94, off, s[0:3], 0 offset:732
	buffer_load_dword v20, off, s[0:3], 0 offset:708
	;; [unrolled: 1-line block ×3, first 2 shown]
	s_waitcnt vmcnt(58) lgkmcnt(0)
	v_mul_f64 v[56:57], v[5:6], v[27:28]
	v_mul_f64 v[27:28], v[7:8], v[27:28]
	s_waitcnt vmcnt(56)
	v_fma_f64 v[21:22], v[52:53], v[29:30], -v[21:22]
	ds_read_b128 v[1:4], v51 offset:1424
	v_add_f64 v[13:14], v[13:14], v[17:18]
	v_fma_f64 v[17:18], v[54:55], v[29:30], v[126:127]
	v_add_f64 v[29:30], v[9:10], v[11:12]
	s_clause 0x4
	buffer_load_dword v53, off, s[0:3], 0 offset:748
	buffer_load_dword v54, off, s[0:3], 0 offset:760
	;; [unrolled: 1-line block ×5, first 2 shown]
	ds_read_b128 v[9:12], v51 offset:1440
	s_waitcnt vmcnt(57) lgkmcnt(1)
	v_mul_f64 v[126:127], v[1:2], v[31:32]
	v_mul_f64 v[31:32], v[3:4], v[31:32]
	s_waitcnt vmcnt(56)
	v_fma_f64 v[27:28], v[5:6], v[15:16], -v[27:28]
	v_fma_f64 v[15:16], v[7:8], v[15:16], v[56:57]
	v_add_f64 v[13:14], v[13:14], v[21:22]
	s_clause 0x2
	buffer_load_dword v55, off, s[0:3], 0 offset:764
	buffer_load_dword v22, off, s[0:3], 0 offset:740
	;; [unrolled: 1-line block ×3, first 2 shown]
	v_add_f64 v[17:18], v[29:30], v[17:18]
	s_waitcnt vmcnt(58) lgkmcnt(0)
	v_mul_f64 v[29:30], v[9:10], v[35:36]
	v_mul_f64 v[35:36], v[11:12], v[35:36]
	ds_read_b128 v[5:8], v51 offset:1456
	s_waitcnt vmcnt(56)
	v_fma_f64 v[31:32], v[1:2], v[37:38], -v[31:32]
	v_add_f64 v[13:14], v[13:14], v[27:28]
	v_fma_f64 v[27:28], v[3:4], v[37:38], v[126:127]
	v_add_f64 v[15:16], v[17:18], v[15:16]
	s_clause 0x4
	buffer_load_dword v18, off, s[0:3], 0 offset:780
	buffer_load_dword v37, off, s[0:3], 0 offset:792
	buffer_load_dword v56, off, s[0:3], 0 offset:784
	buffer_load_dword v17, off, s[0:3], 0 offset:776
	buffer_load_dword v96, off, s[0:3], 0 offset:756
	s_waitcnt vmcnt(57) lgkmcnt(0)
	v_mul_f64 v[126:127], v[5:6], v[39:40]
	v_mul_f64 v[39:40], v[7:8], v[39:40]
	s_waitcnt vmcnt(56)
	v_fma_f64 v[35:36], v[9:10], v[23:24], -v[35:36]
	ds_read_b128 v[1:4], v51 offset:1472
	v_fma_f64 v[23:24], v[11:12], v[23:24], v[29:30]
	v_add_f64 v[13:14], v[13:14], v[31:32]
	v_add_f64 v[15:16], v[15:16], v[27:28]
	s_clause 0x2
	buffer_load_dword v38, off, s[0:3], 0 offset:796
	buffer_load_dword v28, off, s[0:3], 0 offset:772
	;; [unrolled: 1-line block ×3, first 2 shown]
	ds_read_b128 v[9:12], v51 offset:1488
	s_waitcnt vmcnt(58) lgkmcnt(1)
	v_mul_f64 v[31:32], v[3:4], v[43:44]
	s_waitcnt vmcnt(56)
	v_fma_f64 v[39:40], v[5:6], v[45:46], -v[39:40]
	v_mul_f64 v[29:30], v[1:2], v[43:44]
	v_add_f64 v[13:14], v[13:14], v[35:36]
	v_fma_f64 v[35:36], v[7:8], v[45:46], v[126:127]
	v_add_f64 v[15:16], v[15:16], v[23:24]
	s_clause 0x4
	buffer_load_dword v24, off, s[0:3], 0 offset:812
	buffer_load_dword v43, off, s[0:3], 0 offset:824
	;; [unrolled: 1-line block ×5, first 2 shown]
	s_waitcnt vmcnt(57) lgkmcnt(0)
	v_mul_f64 v[126:127], v[9:10], v[47:48]
	v_mul_f64 v[46:47], v[11:12], v[47:48]
	s_waitcnt vmcnt(56)
	v_fma_f64 v[31:32], v[1:2], v[33:34], -v[31:32]
	ds_read_b128 v[5:8], v51 offset:1504
	v_fma_f64 v[29:30], v[3:4], v[33:34], v[29:30]
	s_clause 0x2
	buffer_load_dword v44, off, s[0:3], 0 offset:828
	buffer_load_dword v34, off, s[0:3], 0 offset:804
	;; [unrolled: 1-line block ×3, first 2 shown]
	ds_read_b128 v[1:4], v51 offset:1520
	v_add_f64 v[13:14], v[13:14], v[39:40]
	v_add_f64 v[15:16], v[15:16], v[35:36]
	s_waitcnt vmcnt(58) lgkmcnt(1)
	v_mul_f64 v[39:40], v[7:8], v[60:61]
	s_waitcnt vmcnt(56)
	v_fma_f64 v[47:48], v[9:10], v[101:102], -v[46:47]
	v_mul_f64 v[35:36], v[5:6], v[60:61]
	v_add_f64 v[13:14], v[13:14], v[31:32]
	v_fma_f64 v[31:32], v[11:12], v[101:102], v[126:127]
	v_add_f64 v[15:16], v[15:16], v[29:30]
	s_clause 0x4
	buffer_load_dword v30, off, s[0:3], 0 offset:844
	buffer_load_dword v60, off, s[0:3], 0 offset:856
	;; [unrolled: 1-line block ×5, first 2 shown]
	s_waitcnt vmcnt(57) lgkmcnt(0)
	v_mul_f64 v[126:127], v[1:2], v[103:104]
	v_mul_f64 v[102:103], v[3:4], v[103:104]
	s_waitcnt vmcnt(56)
	v_fma_f64 v[39:40], v[5:6], v[41:42], -v[39:40]
	ds_read_b128 v[9:12], v51 offset:1536
	v_fma_f64 v[35:36], v[7:8], v[41:42], v[35:36]
	v_add_f64 v[13:14], v[13:14], v[47:48]
	v_add_f64 v[15:16], v[15:16], v[31:32]
	s_clause 0x2
	buffer_load_dword v61, off, s[0:3], 0 offset:860
	buffer_load_dword v32, off, s[0:3], 0 offset:836
	;; [unrolled: 1-line block ×3, first 2 shown]
	ds_read_b128 v[5:8], v51 offset:1552
	s_waitcnt vmcnt(58) lgkmcnt(1)
	v_mul_f64 v[47:48], v[11:12], v[105:106]
	s_waitcnt vmcnt(56)
	v_fma_f64 v[103:104], v[1:2], v[107:108], -v[102:103]
	v_mul_f64 v[41:42], v[9:10], v[105:106]
	v_add_f64 v[13:14], v[13:14], v[39:40]
	v_fma_f64 v[39:40], v[3:4], v[107:108], v[126:127]
	v_add_f64 v[15:16], v[15:16], v[35:36]
	s_clause 0x4
	buffer_load_dword v36, off, s[0:3], 0 offset:876
	buffer_load_dword v105, off, s[0:3], 0 offset:888
	;; [unrolled: 1-line block ×5, first 2 shown]
	s_waitcnt vmcnt(57) lgkmcnt(0)
	v_mul_f64 v[126:127], v[5:6], v[111:112]
	v_mul_f64 v[111:112], v[7:8], v[111:112]
	s_waitcnt vmcnt(56)
	v_fma_f64 v[47:48], v[9:10], v[49:50], -v[47:48]
	ds_read_b128 v[1:4], v51 offset:1568
	v_fma_f64 v[41:42], v[11:12], v[49:50], v[41:42]
	v_add_f64 v[13:14], v[13:14], v[103:104]
	v_add_f64 v[15:16], v[15:16], v[39:40]
	s_clause 0x2
	buffer_load_dword v106, off, s[0:3], 0 offset:892
	buffer_load_dword v40, off, s[0:3], 0 offset:868
	buffer_load_dword v39, off, s[0:3], 0 offset:864
	ds_read_b128 v[9:12], v51 offset:1584
	s_waitcnt vmcnt(58) lgkmcnt(1)
	v_mul_f64 v[103:104], v[3:4], v[113:114]
	s_waitcnt vmcnt(56)
	v_fma_f64 v[111:112], v[5:6], v[118:119], -v[111:112]
	v_mul_f64 v[49:50], v[1:2], v[113:114]
	v_add_f64 v[13:14], v[13:14], v[47:48]
	v_fma_f64 v[47:48], v[7:8], v[118:119], v[126:127]
	v_add_f64 v[15:16], v[15:16], v[41:42]
	s_clause 0x4
	buffer_load_dword v42, off, s[0:3], 0 offset:908
	buffer_load_dword v113, off, s[0:3], 0 offset:920
	;; [unrolled: 1-line block ×5, first 2 shown]
	ds_read_b128 v[5:8], v51 offset:1600
	s_waitcnt vmcnt(57) lgkmcnt(1)
	v_mul_f64 v[118:119], v[9:10], v[109:110]
	v_mul_f64 v[109:110], v[11:12], v[109:110]
	s_waitcnt vmcnt(56)
	v_fma_f64 v[103:104], v[1:2], v[115:116], -v[103:104]
	v_fma_f64 v[49:50], v[3:4], v[115:116], v[49:50]
	v_add_f64 v[13:14], v[13:14], v[111:112]
	v_add_f64 v[15:16], v[15:16], v[47:48]
	s_clause 0x2
	buffer_load_dword v114, off, s[0:3], 0 offset:924
	buffer_load_dword v48, off, s[0:3], 0 offset:900
	;; [unrolled: 1-line block ×3, first 2 shown]
	ds_read_b128 v[1:4], v51 offset:1616
	s_waitcnt vmcnt(58) lgkmcnt(1)
	v_mul_f64 v[115:116], v[7:8], v[122:123]
	v_mul_f64 v[111:112], v[5:6], v[122:123]
	s_waitcnt vmcnt(56)
	v_fma_f64 v[109:110], v[9:10], v[58:59], -v[109:110]
	v_fma_f64 v[58:59], v[11:12], v[58:59], v[118:119]
	v_add_f64 v[13:14], v[13:14], v[103:104]
	v_add_f64 v[15:16], v[15:16], v[49:50]
	s_clause 0x2
	buffer_load_dword v50, off, s[0:3], 0 offset:940
	buffer_load_dword v49, off, s[0:3], 0 offset:936
	;; [unrolled: 1-line block ×3, first 2 shown]
	ds_read_b128 v[9:12], v51 offset:1632
	s_waitcnt vmcnt(55) lgkmcnt(1)
	v_mul_f64 v[103:104], v[1:2], v[25:26]
	v_mul_f64 v[25:26], v[3:4], v[25:26]
	s_waitcnt vmcnt(54)
	v_fma_f64 v[115:116], v[5:6], v[124:125], -v[115:116]
	v_add_f64 v[13:14], v[13:14], v[109:110]
	v_fma_f64 v[109:110], v[7:8], v[124:125], v[111:112]
	v_add_f64 v[15:16], v[15:16], v[58:59]
	s_clause 0x1
	buffer_load_dword v59, off, s[0:3], 0 offset:932
	buffer_load_dword v58, off, s[0:3], 0 offset:928
	ds_read_b128 v[5:8], v51 offset:1648
	s_waitcnt vmcnt(55) lgkmcnt(1)
	v_mul_f64 v[111:112], v[9:10], v[93:94]
	v_mul_f64 v[93:94], v[11:12], v[93:94]
	s_waitcnt vmcnt(53)
	v_fma_f64 v[25:26], v[1:2], v[19:20], -v[25:26]
	v_fma_f64 v[19:20], v[3:4], v[19:20], v[103:104]
	ds_read_b128 v[1:4], v51 offset:1664
	v_add_f64 v[13:14], v[13:14], v[115:116]
	v_add_f64 v[15:16], v[15:16], v[109:110]
	s_waitcnt vmcnt(49) lgkmcnt(1)
	v_mul_f64 v[103:104], v[5:6], v[52:53]
	v_mul_f64 v[52:53], v[7:8], v[52:53]
	s_waitcnt vmcnt(48)
	v_fma_f64 v[93:94], v[9:10], v[120:121], -v[93:94]
	v_add_f64 v[13:14], v[13:14], v[25:26]
	v_fma_f64 v[25:26], v[11:12], v[120:121], v[111:112]
	v_add_f64 v[15:16], v[15:16], v[19:20]
	s_clause 0x3
	buffer_load_dword v19, off, s[0:3], 0 offset:384
	buffer_load_dword v20, off, s[0:3], 0 offset:388
	;; [unrolled: 1-line block ×4, first 2 shown]
	ds_read_b128 v[9:12], v51 offset:1680
	s_waitcnt vmcnt(51) lgkmcnt(1)
	v_mul_f64 v[111:112], v[1:2], v[54:55]
	v_mul_f64 v[54:55], v[3:4], v[54:55]
	s_waitcnt vmcnt(49)
	v_fma_f64 v[52:53], v[5:6], v[21:22], -v[52:53]
	v_fma_f64 v[21:22], v[7:8], v[21:22], v[103:104]
	ds_read_b128 v[5:8], v51 offset:1696
	v_add_f64 v[13:14], v[13:14], v[93:94]
	v_add_f64 v[15:16], v[15:16], v[25:26]
	s_waitcnt vmcnt(45) lgkmcnt(1)
	v_mul_f64 v[25:26], v[9:10], v[17:18]
	v_mul_f64 v[17:18], v[11:12], v[17:18]
	s_waitcnt vmcnt(44)
	v_fma_f64 v[54:55], v[1:2], v[95:96], -v[54:55]
	v_add_f64 v[13:14], v[13:14], v[52:53]
	v_fma_f64 v[52:53], v[3:4], v[95:96], v[111:112]
	v_add_f64 v[15:16], v[15:16], v[21:22]
	ds_read_b128 v[1:4], v51 offset:1712
	s_waitcnt vmcnt(43) lgkmcnt(1)
	v_mul_f64 v[21:22], v[5:6], v[37:38]
	v_mul_f64 v[37:38], v[7:8], v[37:38]
	s_waitcnt vmcnt(41)
	v_fma_f64 v[17:18], v[9:10], v[27:28], -v[17:18]
	v_fma_f64 v[25:26], v[11:12], v[27:28], v[25:26]
	ds_read_b128 v[9:12], v51 offset:1728
	v_add_f64 v[13:14], v[13:14], v[54:55]
	v_add_f64 v[15:16], v[15:16], v[52:53]
	s_waitcnt vmcnt(37) lgkmcnt(1)
	v_mul_f64 v[27:28], v[1:2], v[23:24]
	v_mul_f64 v[23:24], v[3:4], v[23:24]
	s_waitcnt vmcnt(36)
	v_fma_f64 v[37:38], v[5:6], v[56:57], -v[37:38]
	v_add_f64 v[13:14], v[13:14], v[17:18]
	v_fma_f64 v[17:18], v[7:8], v[56:57], v[21:22]
	v_add_f64 v[15:16], v[15:16], v[25:26]
	s_waitcnt vmcnt(35) lgkmcnt(0)
	v_mul_f64 v[25:26], v[11:12], v[43:44]
	ds_read_b128 v[5:8], v51 offset:1744
	v_mul_f64 v[21:22], v[9:10], v[43:44]
	s_waitcnt vmcnt(33)
	v_fma_f64 v[27:28], v[3:4], v[33:34], v[27:28]
	v_fma_f64 v[23:24], v[1:2], v[33:34], -v[23:24]
	ds_read_b128 v[1:4], v51 offset:1760
	v_add_f64 v[13:14], v[13:14], v[37:38]
	v_add_f64 v[15:16], v[15:16], v[17:18]
	s_waitcnt vmcnt(29) lgkmcnt(1)
	v_mul_f64 v[17:18], v[5:6], v[29:30]
	v_mul_f64 v[29:30], v[7:8], v[29:30]
	s_waitcnt vmcnt(28)
	v_fma_f64 v[25:26], v[9:10], v[45:46], -v[25:26]
	v_fma_f64 v[21:22], v[11:12], v[45:46], v[21:22]
	ds_read_b128 v[9:12], v51 offset:1776
	v_add_f64 v[13:14], v[13:14], v[23:24]
	v_add_f64 v[15:16], v[15:16], v[27:28]
	s_waitcnt vmcnt(27) lgkmcnt(1)
	v_mul_f64 v[27:28], v[3:4], v[60:61]
	v_mul_f64 v[23:24], v[1:2], v[60:61]
	s_waitcnt vmcnt(25)
	v_fma_f64 v[29:30], v[5:6], v[31:32], -v[29:30]
	v_fma_f64 v[17:18], v[7:8], v[31:32], v[17:18]
	ds_read_b128 v[5:8], v51 offset:1792
	v_add_f64 v[13:14], v[13:14], v[25:26]
	v_add_f64 v[15:16], v[15:16], v[21:22]
	s_waitcnt vmcnt(21) lgkmcnt(1)
	v_mul_f64 v[25:26], v[11:12], v[35:36]
	s_waitcnt vmcnt(20)
	v_fma_f64 v[27:28], v[1:2], v[101:102], -v[27:28]
	v_mul_f64 v[21:22], v[9:10], v[35:36]
	v_fma_f64 v[23:24], v[3:4], v[101:102], v[23:24]
	ds_read_b128 v[1:4], v51 offset:1808
	v_add_f64 v[13:14], v[13:14], v[29:30]
	v_add_f64 v[15:16], v[15:16], v[17:18]
	s_waitcnt vmcnt(19) lgkmcnt(1)
	v_mul_f64 v[29:30], v[7:8], v[105:106]
	v_mul_f64 v[17:18], v[5:6], v[105:106]
	s_waitcnt vmcnt(17)
	v_fma_f64 v[25:26], v[9:10], v[39:40], -v[25:26]
	v_fma_f64 v[21:22], v[11:12], v[39:40], v[21:22]
	ds_read_b128 v[9:12], v51 offset:1824
	v_add_f64 v[13:14], v[13:14], v[27:28]
	v_add_f64 v[15:16], v[15:16], v[23:24]
	s_waitcnt vmcnt(13) lgkmcnt(1)
	v_mul_f64 v[27:28], v[3:4], v[41:42]
	s_waitcnt vmcnt(12)
	v_fma_f64 v[29:30], v[5:6], v[107:108], -v[29:30]
	v_mul_f64 v[23:24], v[1:2], v[41:42]
	v_fma_f64 v[17:18], v[7:8], v[107:108], v[17:18]
	ds_read_b128 v[5:8], v51 offset:1840
	v_add_f64 v[13:14], v[13:14], v[25:26]
	v_add_f64 v[15:16], v[15:16], v[21:22]
	s_waitcnt vmcnt(11) lgkmcnt(1)
	v_mul_f64 v[25:26], v[11:12], v[113:114]
	v_mul_f64 v[21:22], v[9:10], v[113:114]
	s_waitcnt vmcnt(9)
	v_fma_f64 v[1:2], v[1:2], v[47:48], -v[27:28]
	v_fma_f64 v[3:4], v[3:4], v[47:48], v[23:24]
	v_add_f64 v[13:14], v[13:14], v[29:30]
	v_add_f64 v[15:16], v[15:16], v[17:18]
	s_waitcnt vmcnt(7) lgkmcnt(0)
	v_mul_f64 v[23:24], v[7:8], v[49:50]
	s_waitcnt vmcnt(6)
	v_fma_f64 v[9:10], v[9:10], v[117:118], -v[25:26]
	v_mul_f64 v[17:18], v[5:6], v[49:50]
	v_fma_f64 v[11:12], v[11:12], v[117:118], v[21:22]
	v_add_f64 v[1:2], v[13:14], v[1:2]
	v_add_f64 v[3:4], v[15:16], v[3:4]
	s_waitcnt vmcnt(4)
	v_fma_f64 v[5:6], v[5:6], v[58:59], -v[23:24]
	v_fma_f64 v[7:8], v[7:8], v[58:59], v[17:18]
	v_add_f64 v[1:2], v[1:2], v[9:10]
	v_add_f64 v[3:4], v[3:4], v[11:12]
	;; [unrolled: 1-line block ×4, first 2 shown]
	s_waitcnt vmcnt(2)
	v_add_f64 v[1:2], v[19:20], -v[1:2]
	s_waitcnt vmcnt(0)
	v_add_f64 v[3:4], v[109:110], -v[3:4]
	buffer_store_dword v2, off, s[0:3], 0 offset:388
	buffer_store_dword v1, off, s[0:3], 0 offset:384
	;; [unrolled: 1-line block ×4, first 2 shown]
	v_cmpx_lt_u32_e32 22, v0
	s_cbranch_execz .LBB57_317
; %bb.316:
	v_mov_b32_e32 v4, s46
	v_mov_b32_e32 v5, 0
	s_clause 0x3
	buffer_load_dword v1, v4, s[0:3], 0 offen
	buffer_load_dword v2, v4, s[0:3], 0 offen offset:4
	buffer_load_dword v3, v4, s[0:3], 0 offen offset:8
	;; [unrolled: 1-line block ×3, first 2 shown]
	buffer_store_dword v5, off, s[0:3], 0 offset:368
	buffer_store_dword v5, off, s[0:3], 0 offset:372
	;; [unrolled: 1-line block ×4, first 2 shown]
	s_waitcnt vmcnt(0)
	ds_write_b128 v63, v[1:4]
.LBB57_317:
	s_or_b32 exec_lo, exec_lo, s4
	s_waitcnt lgkmcnt(0)
	s_waitcnt_vscnt null, 0x0
	s_barrier
	buffer_gl0_inv
	s_clause 0x37
	buffer_load_dword v9, off, s[0:3], 0 offset:392
	buffer_load_dword v10, off, s[0:3], 0 offset:396
	;; [unrolled: 1-line block ×56, first 2 shown]
	v_mov_b32_e32 v61, 0
	s_mov_b32 s4, exec_lo
	ds_read_b128 v[93:96], v61 offset:1296
	s_clause 0x2
	buffer_load_dword v58, off, s[0:3], 0 offset:620
	buffer_load_dword v60, off, s[0:3], 0 offset:596
	;; [unrolled: 1-line block ×3, first 2 shown]
	ds_read_b128 v[101:104], v61 offset:1312
	s_clause 0x4
	buffer_load_dword v112, off, s[0:3], 0 offset:636
	buffer_load_dword v113, off, s[0:3], 0 offset:648
	;; [unrolled: 1-line block ×5, first 2 shown]
	ds_read_b128 v[105:108], v61 offset:1328
	s_clause 0x2
	buffer_load_dword v114, off, s[0:3], 0 offset:652
	buffer_load_dword v119, off, s[0:3], 0 offset:628
	;; [unrolled: 1-line block ×3, first 2 shown]
	s_waitcnt vmcnt(62) lgkmcnt(2)
	v_mul_f64 v[109:110], v[95:96], v[9:10]
	v_mul_f64 v[9:10], v[93:94], v[9:10]
	s_waitcnt lgkmcnt(1)
	v_mul_f64 v[116:117], v[103:104], v[5:6]
	s_waitcnt vmcnt(59) lgkmcnt(0)
	v_mul_f64 v[120:121], v[107:108], v[3:4]
	v_fma_f64 v[93:94], v[93:94], v[7:8], -v[109:110]
	v_mul_f64 v[109:110], v[101:102], v[5:6]
	v_fma_f64 v[9:10], v[95:96], v[7:8], v[9:10]
	s_waitcnt vmcnt(57)
	v_fma_f64 v[101:102], v[101:102], v[1:2], -v[116:117]
	ds_read_b128 v[5:8], v61 offset:1344
	v_mul_f64 v[95:96], v[105:106], v[3:4]
	s_waitcnt vmcnt(51)
	v_fma_f64 v[105:106], v[105:106], v[25:26], -v[120:121]
	v_add_f64 v[93:94], v[93:94], 0
	v_fma_f64 v[103:104], v[103:104], v[1:2], v[109:110]
	v_add_f64 v[9:10], v[9:10], 0
	s_clause 0x4
	buffer_load_dword v110, off, s[0:3], 0 offset:668
	buffer_load_dword v122, off, s[0:3], 0 offset:680
	;; [unrolled: 1-line block ×5, first 2 shown]
	s_waitcnt lgkmcnt(0)
	v_mul_f64 v[125:126], v[5:6], v[13:14]
	v_mul_f64 v[13:14], v[7:8], v[13:14]
	ds_read_b128 v[1:4], v61 offset:1360
	v_fma_f64 v[25:26], v[107:108], v[25:26], v[95:96]
	v_add_f64 v[101:102], v[93:94], v[101:102]
	v_add_f64 v[9:10], v[9:10], v[103:104]
	s_clause 0x2
	buffer_load_dword v123, off, s[0:3], 0 offset:684
	buffer_load_dword v104, off, s[0:3], 0 offset:660
	;; [unrolled: 1-line block ×3, first 2 shown]
	s_waitcnt vmcnt(58) lgkmcnt(0)
	v_mul_f64 v[107:108], v[1:2], v[17:18]
	v_mul_f64 v[17:18], v[3:4], v[17:18]
	s_waitcnt vmcnt(56)
	v_fma_f64 v[13:14], v[5:6], v[19:20], -v[13:14]
	ds_read_b128 v[93:96], v61 offset:1376
	v_fma_f64 v[19:20], v[7:8], v[19:20], v[125:126]
	v_add_f64 v[101:102], v[101:102], v[105:106]
	v_add_f64 v[9:10], v[9:10], v[25:26]
	s_clause 0x4
	buffer_load_dword v26, off, s[0:3], 0 offset:700
	buffer_load_dword v105, off, s[0:3], 0 offset:712
	buffer_load_dword v120, off, s[0:3], 0 offset:704
	buffer_load_dword v25, off, s[0:3], 0 offset:696
	buffer_load_dword v125, off, s[0:3], 0 offset:676
	ds_read_b128 v[5:8], v61 offset:1392
	s_waitcnt vmcnt(57) lgkmcnt(1)
	v_mul_f64 v[126:127], v[93:94], v[21:22]
	v_mul_f64 v[21:22], v[95:96], v[21:22]
	s_waitcnt vmcnt(56)
	v_fma_f64 v[17:18], v[1:2], v[11:12], -v[17:18]
	v_fma_f64 v[11:12], v[3:4], v[11:12], v[107:108]
	v_add_f64 v[13:14], v[101:102], v[13:14]
	v_add_f64 v[9:10], v[9:10], v[19:20]
	s_clause 0x2
	buffer_load_dword v106, off, s[0:3], 0 offset:716
	buffer_load_dword v20, off, s[0:3], 0 offset:692
	;; [unrolled: 1-line block ×3, first 2 shown]
	s_waitcnt vmcnt(58) lgkmcnt(0)
	v_mul_f64 v[101:102], v[5:6], v[27:28]
	v_mul_f64 v[27:28], v[7:8], v[27:28]
	s_waitcnt vmcnt(56)
	v_fma_f64 v[21:22], v[93:94], v[29:30], -v[21:22]
	ds_read_b128 v[1:4], v61 offset:1408
	v_add_f64 v[13:14], v[13:14], v[17:18]
	v_fma_f64 v[17:18], v[95:96], v[29:30], v[126:127]
	v_add_f64 v[29:30], v[9:10], v[11:12]
	s_clause 0x4
	buffer_load_dword v94, off, s[0:3], 0 offset:732
	buffer_load_dword v95, off, s[0:3], 0 offset:744
	;; [unrolled: 1-line block ×5, first 2 shown]
	ds_read_b128 v[9:12], v61 offset:1424
	s_waitcnt vmcnt(57) lgkmcnt(1)
	v_mul_f64 v[126:127], v[1:2], v[31:32]
	v_mul_f64 v[31:32], v[3:4], v[31:32]
	s_waitcnt vmcnt(56)
	v_fma_f64 v[27:28], v[5:6], v[15:16], -v[27:28]
	v_fma_f64 v[15:16], v[7:8], v[15:16], v[101:102]
	v_add_f64 v[13:14], v[13:14], v[21:22]
	s_clause 0x2
	buffer_load_dword v96, off, s[0:3], 0 offset:748
	buffer_load_dword v22, off, s[0:3], 0 offset:724
	;; [unrolled: 1-line block ×3, first 2 shown]
	v_add_f64 v[17:18], v[29:30], v[17:18]
	s_waitcnt vmcnt(58) lgkmcnt(0)
	v_mul_f64 v[29:30], v[9:10], v[35:36]
	v_mul_f64 v[35:36], v[11:12], v[35:36]
	ds_read_b128 v[5:8], v61 offset:1440
	s_waitcnt vmcnt(56)
	v_fma_f64 v[31:32], v[1:2], v[37:38], -v[31:32]
	v_add_f64 v[13:14], v[13:14], v[27:28]
	v_fma_f64 v[27:28], v[3:4], v[37:38], v[126:127]
	v_add_f64 v[15:16], v[17:18], v[15:16]
	s_clause 0x4
	buffer_load_dword v18, off, s[0:3], 0 offset:764
	buffer_load_dword v37, off, s[0:3], 0 offset:776
	;; [unrolled: 1-line block ×5, first 2 shown]
	s_waitcnt vmcnt(57) lgkmcnt(0)
	v_mul_f64 v[126:127], v[5:6], v[39:40]
	v_mul_f64 v[39:40], v[7:8], v[39:40]
	s_waitcnt vmcnt(56)
	v_fma_f64 v[35:36], v[9:10], v[23:24], -v[35:36]
	ds_read_b128 v[1:4], v61 offset:1456
	v_fma_f64 v[23:24], v[11:12], v[23:24], v[29:30]
	v_add_f64 v[13:14], v[13:14], v[31:32]
	v_add_f64 v[15:16], v[15:16], v[27:28]
	s_clause 0x2
	buffer_load_dword v38, off, s[0:3], 0 offset:780
	buffer_load_dword v28, off, s[0:3], 0 offset:756
	;; [unrolled: 1-line block ×3, first 2 shown]
	ds_read_b128 v[9:12], v61 offset:1472
	s_waitcnt vmcnt(58) lgkmcnt(1)
	v_mul_f64 v[31:32], v[3:4], v[43:44]
	s_waitcnt vmcnt(56)
	v_fma_f64 v[39:40], v[5:6], v[45:46], -v[39:40]
	v_mul_f64 v[29:30], v[1:2], v[43:44]
	v_add_f64 v[13:14], v[13:14], v[35:36]
	v_fma_f64 v[35:36], v[7:8], v[45:46], v[126:127]
	v_add_f64 v[15:16], v[15:16], v[23:24]
	s_clause 0x4
	buffer_load_dword v24, off, s[0:3], 0 offset:796
	buffer_load_dword v43, off, s[0:3], 0 offset:808
	;; [unrolled: 1-line block ×5, first 2 shown]
	s_waitcnt vmcnt(57) lgkmcnt(0)
	v_mul_f64 v[126:127], v[9:10], v[47:48]
	v_mul_f64 v[46:47], v[11:12], v[47:48]
	s_waitcnt vmcnt(56)
	v_fma_f64 v[31:32], v[1:2], v[33:34], -v[31:32]
	ds_read_b128 v[5:8], v61 offset:1488
	v_fma_f64 v[29:30], v[3:4], v[33:34], v[29:30]
	s_clause 0x2
	buffer_load_dword v44, off, s[0:3], 0 offset:812
	buffer_load_dword v34, off, s[0:3], 0 offset:788
	;; [unrolled: 1-line block ×3, first 2 shown]
	ds_read_b128 v[1:4], v61 offset:1504
	v_add_f64 v[13:14], v[13:14], v[39:40]
	v_add_f64 v[15:16], v[15:16], v[35:36]
	s_waitcnt vmcnt(58) lgkmcnt(1)
	v_mul_f64 v[39:40], v[7:8], v[51:52]
	s_waitcnt vmcnt(56)
	v_fma_f64 v[47:48], v[9:10], v[53:54], -v[46:47]
	v_mul_f64 v[35:36], v[5:6], v[51:52]
	v_add_f64 v[13:14], v[13:14], v[31:32]
	v_fma_f64 v[31:32], v[11:12], v[53:54], v[126:127]
	v_add_f64 v[15:16], v[15:16], v[29:30]
	s_clause 0x4
	buffer_load_dword v30, off, s[0:3], 0 offset:828
	buffer_load_dword v51, off, s[0:3], 0 offset:840
	;; [unrolled: 1-line block ×5, first 2 shown]
	s_waitcnt vmcnt(57) lgkmcnt(0)
	v_mul_f64 v[126:127], v[1:2], v[55:56]
	v_mul_f64 v[54:55], v[3:4], v[55:56]
	s_waitcnt vmcnt(56)
	v_fma_f64 v[39:40], v[5:6], v[41:42], -v[39:40]
	ds_read_b128 v[9:12], v61 offset:1520
	v_fma_f64 v[35:36], v[7:8], v[41:42], v[35:36]
	v_add_f64 v[13:14], v[13:14], v[47:48]
	v_add_f64 v[15:16], v[15:16], v[31:32]
	s_clause 0x2
	buffer_load_dword v52, off, s[0:3], 0 offset:844
	buffer_load_dword v32, off, s[0:3], 0 offset:820
	;; [unrolled: 1-line block ×3, first 2 shown]
	ds_read_b128 v[5:8], v61 offset:1536
	s_waitcnt vmcnt(58) lgkmcnt(1)
	v_mul_f64 v[47:48], v[11:12], v[57:58]
	s_waitcnt vmcnt(56)
	v_fma_f64 v[55:56], v[1:2], v[59:60], -v[54:55]
	v_mul_f64 v[41:42], v[9:10], v[57:58]
	v_add_f64 v[13:14], v[13:14], v[39:40]
	v_fma_f64 v[39:40], v[3:4], v[59:60], v[126:127]
	v_add_f64 v[15:16], v[15:16], v[35:36]
	s_clause 0x4
	buffer_load_dword v36, off, s[0:3], 0 offset:860
	buffer_load_dword v57, off, s[0:3], 0 offset:872
	;; [unrolled: 1-line block ×5, first 2 shown]
	s_waitcnt vmcnt(57) lgkmcnt(0)
	v_mul_f64 v[126:127], v[5:6], v[111:112]
	v_mul_f64 v[111:112], v[7:8], v[111:112]
	s_waitcnt vmcnt(56)
	v_fma_f64 v[47:48], v[9:10], v[49:50], -v[47:48]
	ds_read_b128 v[1:4], v61 offset:1552
	v_fma_f64 v[41:42], v[11:12], v[49:50], v[41:42]
	v_add_f64 v[13:14], v[13:14], v[55:56]
	v_add_f64 v[15:16], v[15:16], v[39:40]
	s_clause 0x2
	buffer_load_dword v58, off, s[0:3], 0 offset:876
	buffer_load_dword v40, off, s[0:3], 0 offset:852
	;; [unrolled: 1-line block ×3, first 2 shown]
	ds_read_b128 v[9:12], v61 offset:1568
	s_waitcnt vmcnt(58) lgkmcnt(1)
	v_mul_f64 v[55:56], v[3:4], v[113:114]
	s_waitcnt vmcnt(56)
	v_fma_f64 v[111:112], v[5:6], v[118:119], -v[111:112]
	v_mul_f64 v[49:50], v[1:2], v[113:114]
	v_add_f64 v[13:14], v[13:14], v[47:48]
	v_fma_f64 v[47:48], v[7:8], v[118:119], v[126:127]
	v_add_f64 v[15:16], v[15:16], v[41:42]
	s_clause 0x4
	buffer_load_dword v42, off, s[0:3], 0 offset:892
	buffer_load_dword v113, off, s[0:3], 0 offset:904
	;; [unrolled: 1-line block ×5, first 2 shown]
	ds_read_b128 v[5:8], v61 offset:1584
	s_waitcnt vmcnt(57) lgkmcnt(1)
	v_mul_f64 v[118:119], v[9:10], v[109:110]
	v_mul_f64 v[109:110], v[11:12], v[109:110]
	s_waitcnt vmcnt(56)
	v_fma_f64 v[55:56], v[1:2], v[115:116], -v[55:56]
	v_fma_f64 v[49:50], v[3:4], v[115:116], v[49:50]
	v_add_f64 v[13:14], v[13:14], v[111:112]
	v_add_f64 v[15:16], v[15:16], v[47:48]
	s_clause 0x2
	buffer_load_dword v114, off, s[0:3], 0 offset:908
	buffer_load_dword v48, off, s[0:3], 0 offset:884
	;; [unrolled: 1-line block ×3, first 2 shown]
	ds_read_b128 v[1:4], v61 offset:1600
	s_waitcnt vmcnt(58) lgkmcnt(1)
	v_mul_f64 v[115:116], v[7:8], v[122:123]
	v_mul_f64 v[111:112], v[5:6], v[122:123]
	s_waitcnt vmcnt(56)
	v_fma_f64 v[109:110], v[9:10], v[103:104], -v[109:110]
	v_add_f64 v[13:14], v[13:14], v[55:56]
	v_fma_f64 v[55:56], v[11:12], v[103:104], v[118:119]
	v_add_f64 v[15:16], v[15:16], v[49:50]
	s_clause 0x4
	buffer_load_dword v50, off, s[0:3], 0 offset:924
	buffer_load_dword v103, off, s[0:3], 0 offset:936
	;; [unrolled: 1-line block ×5, first 2 shown]
	ds_read_b128 v[9:12], v61 offset:1616
	s_waitcnt vmcnt(57) lgkmcnt(1)
	v_mul_f64 v[126:127], v[1:2], v[25:26]
	v_mul_f64 v[25:26], v[3:4], v[25:26]
	s_waitcnt vmcnt(56)
	v_fma_f64 v[115:116], v[5:6], v[124:125], -v[115:116]
	v_add_f64 v[13:14], v[13:14], v[109:110]
	v_fma_f64 v[109:110], v[7:8], v[124:125], v[111:112]
	v_add_f64 v[15:16], v[15:16], v[55:56]
	s_clause 0x2
	buffer_load_dword v104, off, s[0:3], 0 offset:940
	buffer_load_dword v56, off, s[0:3], 0 offset:916
	;; [unrolled: 1-line block ×3, first 2 shown]
	ds_read_b128 v[5:8], v61 offset:1632
	buffer_load_dword v123, off, s[0:3], 0 offset:932
	s_waitcnt vmcnt(59) lgkmcnt(1)
	v_mul_f64 v[111:112], v[9:10], v[105:106]
	v_mul_f64 v[105:106], v[11:12], v[105:106]
	s_waitcnt vmcnt(57)
	v_fma_f64 v[25:26], v[1:2], v[19:20], -v[25:26]
	v_fma_f64 v[19:20], v[3:4], v[19:20], v[126:127]
	ds_read_b128 v[1:4], v61 offset:1648
	v_add_f64 v[13:14], v[13:14], v[115:116]
	v_add_f64 v[15:16], v[15:16], v[109:110]
	s_waitcnt vmcnt(53) lgkmcnt(1)
	v_mul_f64 v[109:110], v[5:6], v[93:94]
	v_mul_f64 v[93:94], v[7:8], v[93:94]
	s_waitcnt vmcnt(52)
	v_fma_f64 v[105:106], v[9:10], v[120:121], -v[105:106]
	v_add_f64 v[13:14], v[13:14], v[25:26]
	v_fma_f64 v[25:26], v[11:12], v[120:121], v[111:112]
	v_add_f64 v[15:16], v[15:16], v[19:20]
	ds_read_b128 v[9:12], v61 offset:1664
	s_waitcnt vmcnt(51) lgkmcnt(1)
	v_mul_f64 v[19:20], v[1:2], v[95:96]
	v_mul_f64 v[95:96], v[3:4], v[95:96]
	s_waitcnt vmcnt(49)
	v_fma_f64 v[93:94], v[5:6], v[21:22], -v[93:94]
	v_fma_f64 v[21:22], v[7:8], v[21:22], v[109:110]
	v_add_f64 v[13:14], v[13:14], v[105:106]
	v_add_f64 v[15:16], v[15:16], v[25:26]
	s_clause 0x3
	buffer_load_dword v25, off, s[0:3], 0 offset:368
	buffer_load_dword v26, off, s[0:3], 0 offset:372
	;; [unrolled: 1-line block ×4, first 2 shown]
	ds_read_b128 v[5:8], v61 offset:1680
	s_waitcnt vmcnt(49) lgkmcnt(1)
	v_mul_f64 v[109:110], v[9:10], v[17:18]
	v_mul_f64 v[17:18], v[11:12], v[17:18]
	s_waitcnt vmcnt(48)
	v_fma_f64 v[95:96], v[1:2], v[107:108], -v[95:96]
	v_fma_f64 v[19:20], v[3:4], v[107:108], v[19:20]
	ds_read_b128 v[1:4], v61 offset:1696
	v_add_f64 v[13:14], v[13:14], v[93:94]
	v_add_f64 v[15:16], v[15:16], v[21:22]
	s_waitcnt vmcnt(47) lgkmcnt(1)
	v_mul_f64 v[21:22], v[5:6], v[37:38]
	v_mul_f64 v[37:38], v[7:8], v[37:38]
	s_waitcnt vmcnt(45)
	v_fma_f64 v[17:18], v[9:10], v[27:28], -v[17:18]
	v_fma_f64 v[27:28], v[11:12], v[27:28], v[109:110]
	ds_read_b128 v[9:12], v61 offset:1712
	v_add_f64 v[13:14], v[13:14], v[95:96]
	v_add_f64 v[15:16], v[15:16], v[19:20]
	s_waitcnt vmcnt(41) lgkmcnt(1)
	v_mul_f64 v[19:20], v[1:2], v[23:24]
	v_mul_f64 v[23:24], v[3:4], v[23:24]
	s_waitcnt vmcnt(40)
	v_fma_f64 v[37:38], v[5:6], v[101:102], -v[37:38]
	v_add_f64 v[13:14], v[13:14], v[17:18]
	v_fma_f64 v[17:18], v[7:8], v[101:102], v[21:22]
	v_add_f64 v[15:16], v[15:16], v[27:28]
	ds_read_b128 v[5:8], v61 offset:1728
	s_waitcnt vmcnt(39) lgkmcnt(1)
	v_mul_f64 v[27:28], v[11:12], v[43:44]
	v_mul_f64 v[21:22], v[9:10], v[43:44]
	s_waitcnt vmcnt(37)
	v_fma_f64 v[19:20], v[3:4], v[33:34], v[19:20]
	v_fma_f64 v[23:24], v[1:2], v[33:34], -v[23:24]
	ds_read_b128 v[1:4], v61 offset:1744
	v_add_f64 v[13:14], v[13:14], v[37:38]
	v_add_f64 v[15:16], v[15:16], v[17:18]
	s_waitcnt vmcnt(33) lgkmcnt(1)
	v_mul_f64 v[17:18], v[5:6], v[29:30]
	v_mul_f64 v[29:30], v[7:8], v[29:30]
	s_waitcnt vmcnt(32)
	v_fma_f64 v[27:28], v[9:10], v[45:46], -v[27:28]
	v_fma_f64 v[21:22], v[11:12], v[45:46], v[21:22]
	ds_read_b128 v[9:12], v61 offset:1760
	v_add_f64 v[13:14], v[13:14], v[23:24]
	v_add_f64 v[15:16], v[15:16], v[19:20]
	s_waitcnt vmcnt(31) lgkmcnt(1)
	v_mul_f64 v[23:24], v[3:4], v[51:52]
	v_mul_f64 v[19:20], v[1:2], v[51:52]
	s_waitcnt vmcnt(29)
	v_fma_f64 v[29:30], v[5:6], v[31:32], -v[29:30]
	v_fma_f64 v[17:18], v[7:8], v[31:32], v[17:18]
	ds_read_b128 v[5:8], v61 offset:1776
	v_add_f64 v[13:14], v[13:14], v[27:28]
	v_add_f64 v[15:16], v[15:16], v[21:22]
	s_waitcnt vmcnt(25) lgkmcnt(1)
	v_mul_f64 v[27:28], v[11:12], v[35:36]
	s_waitcnt vmcnt(24)
	v_fma_f64 v[23:24], v[1:2], v[53:54], -v[23:24]
	v_mul_f64 v[21:22], v[9:10], v[35:36]
	v_fma_f64 v[19:20], v[3:4], v[53:54], v[19:20]
	ds_read_b128 v[1:4], v61 offset:1792
	v_add_f64 v[13:14], v[13:14], v[29:30]
	v_add_f64 v[15:16], v[15:16], v[17:18]
	s_waitcnt vmcnt(23) lgkmcnt(1)
	v_mul_f64 v[29:30], v[7:8], v[57:58]
	v_mul_f64 v[17:18], v[5:6], v[57:58]
	s_waitcnt vmcnt(21)
	v_fma_f64 v[27:28], v[9:10], v[39:40], -v[27:28]
	v_fma_f64 v[21:22], v[11:12], v[39:40], v[21:22]
	ds_read_b128 v[9:12], v61 offset:1808
	v_add_f64 v[13:14], v[13:14], v[23:24]
	v_add_f64 v[15:16], v[15:16], v[19:20]
	s_waitcnt vmcnt(17) lgkmcnt(1)
	v_mul_f64 v[23:24], v[3:4], v[41:42]
	s_waitcnt vmcnt(16)
	v_fma_f64 v[29:30], v[5:6], v[59:60], -v[29:30]
	v_mul_f64 v[19:20], v[1:2], v[41:42]
	;; [unrolled: 18-line block ×3, first 2 shown]
	v_fma_f64 v[11:12], v[11:12], v[117:118], v[21:22]
	v_add_f64 v[13:14], v[13:14], v[23:24]
	v_add_f64 v[15:16], v[15:16], v[19:20]
	s_waitcnt vmcnt(7) lgkmcnt(0)
	v_mul_f64 v[21:22], v[3:4], v[103:104]
	v_mul_f64 v[19:20], v[1:2], v[103:104]
	s_waitcnt vmcnt(5)
	v_fma_f64 v[5:6], v[5:6], v[55:56], -v[29:30]
	v_fma_f64 v[7:8], v[7:8], v[55:56], v[17:18]
	v_add_f64 v[9:10], v[13:14], v[9:10]
	v_add_f64 v[11:12], v[15:16], v[11:12]
	s_waitcnt vmcnt(4)
	v_fma_f64 v[1:2], v[1:2], v[122:123], -v[21:22]
	v_fma_f64 v[3:4], v[3:4], v[122:123], v[19:20]
	v_add_f64 v[5:6], v[9:10], v[5:6]
	v_add_f64 v[7:8], v[11:12], v[7:8]
	;; [unrolled: 1-line block ×4, first 2 shown]
	s_waitcnt vmcnt(2)
	v_add_f64 v[1:2], v[25:26], -v[1:2]
	s_waitcnt vmcnt(0)
	v_add_f64 v[3:4], v[105:106], -v[3:4]
	buffer_store_dword v2, off, s[0:3], 0 offset:372
	buffer_store_dword v1, off, s[0:3], 0 offset:368
	;; [unrolled: 1-line block ×4, first 2 shown]
	v_cmpx_lt_u32_e32 21, v0
	s_cbranch_execz .LBB57_319
; %bb.318:
	v_mov_b32_e32 v4, s48
	s_clause 0x3
	buffer_load_dword v1, v4, s[0:3], 0 offen
	buffer_load_dword v2, v4, s[0:3], 0 offen offset:4
	buffer_load_dword v3, v4, s[0:3], 0 offen offset:8
	;; [unrolled: 1-line block ×3, first 2 shown]
	buffer_store_dword v61, off, s[0:3], 0 offset:352
	buffer_store_dword v61, off, s[0:3], 0 offset:356
	;; [unrolled: 1-line block ×4, first 2 shown]
	s_waitcnt vmcnt(0)
	ds_write_b128 v63, v[1:4]
.LBB57_319:
	s_or_b32 exec_lo, exec_lo, s4
	s_waitcnt lgkmcnt(0)
	s_waitcnt_vscnt null, 0x0
	s_barrier
	buffer_gl0_inv
	s_clause 0x37
	buffer_load_dword v9, off, s[0:3], 0 offset:376
	buffer_load_dword v10, off, s[0:3], 0 offset:380
	;; [unrolled: 1-line block ×56, first 2 shown]
	ds_read_b128 v[93:96], v61 offset:1280
	s_clause 0x2
	buffer_load_dword v58, off, s[0:3], 0 offset:604
	buffer_load_dword v60, off, s[0:3], 0 offset:580
	;; [unrolled: 1-line block ×3, first 2 shown]
	ds_read_b128 v[101:104], v61 offset:1296
	s_clause 0x4
	buffer_load_dword v112, off, s[0:3], 0 offset:620
	buffer_load_dword v113, off, s[0:3], 0 offset:632
	;; [unrolled: 1-line block ×5, first 2 shown]
	ds_read_b128 v[105:108], v61 offset:1312
	s_clause 0x2
	buffer_load_dword v114, off, s[0:3], 0 offset:636
	buffer_load_dword v119, off, s[0:3], 0 offset:612
	;; [unrolled: 1-line block ×3, first 2 shown]
	s_mov_b32 s4, exec_lo
	s_waitcnt vmcnt(62) lgkmcnt(2)
	v_mul_f64 v[109:110], v[95:96], v[9:10]
	v_mul_f64 v[9:10], v[93:94], v[9:10]
	s_waitcnt lgkmcnt(1)
	v_mul_f64 v[116:117], v[103:104], v[5:6]
	s_waitcnt vmcnt(59) lgkmcnt(0)
	v_mul_f64 v[120:121], v[107:108], v[3:4]
	v_fma_f64 v[93:94], v[93:94], v[7:8], -v[109:110]
	v_mul_f64 v[109:110], v[101:102], v[5:6]
	v_fma_f64 v[9:10], v[95:96], v[7:8], v[9:10]
	s_waitcnt vmcnt(57)
	v_fma_f64 v[101:102], v[101:102], v[1:2], -v[116:117]
	ds_read_b128 v[5:8], v61 offset:1328
	v_mul_f64 v[95:96], v[105:106], v[3:4]
	s_waitcnt vmcnt(51)
	v_fma_f64 v[105:106], v[105:106], v[25:26], -v[120:121]
	v_add_f64 v[93:94], v[93:94], 0
	v_fma_f64 v[103:104], v[103:104], v[1:2], v[109:110]
	v_add_f64 v[9:10], v[9:10], 0
	s_clause 0x4
	buffer_load_dword v110, off, s[0:3], 0 offset:652
	buffer_load_dword v122, off, s[0:3], 0 offset:664
	;; [unrolled: 1-line block ×5, first 2 shown]
	s_waitcnt lgkmcnt(0)
	v_mul_f64 v[125:126], v[5:6], v[13:14]
	v_mul_f64 v[13:14], v[7:8], v[13:14]
	ds_read_b128 v[1:4], v61 offset:1344
	v_fma_f64 v[25:26], v[107:108], v[25:26], v[95:96]
	v_add_f64 v[101:102], v[93:94], v[101:102]
	v_add_f64 v[9:10], v[9:10], v[103:104]
	s_clause 0x2
	buffer_load_dword v123, off, s[0:3], 0 offset:668
	buffer_load_dword v104, off, s[0:3], 0 offset:644
	;; [unrolled: 1-line block ×3, first 2 shown]
	s_waitcnt vmcnt(58) lgkmcnt(0)
	v_mul_f64 v[107:108], v[1:2], v[17:18]
	v_mul_f64 v[17:18], v[3:4], v[17:18]
	s_waitcnt vmcnt(56)
	v_fma_f64 v[13:14], v[5:6], v[19:20], -v[13:14]
	ds_read_b128 v[93:96], v61 offset:1360
	v_fma_f64 v[19:20], v[7:8], v[19:20], v[125:126]
	v_add_f64 v[101:102], v[101:102], v[105:106]
	v_add_f64 v[9:10], v[9:10], v[25:26]
	s_clause 0x4
	buffer_load_dword v26, off, s[0:3], 0 offset:684
	buffer_load_dword v105, off, s[0:3], 0 offset:696
	buffer_load_dword v120, off, s[0:3], 0 offset:688
	buffer_load_dword v25, off, s[0:3], 0 offset:680
	buffer_load_dword v125, off, s[0:3], 0 offset:660
	ds_read_b128 v[5:8], v61 offset:1376
	s_waitcnt vmcnt(57) lgkmcnt(1)
	v_mul_f64 v[126:127], v[93:94], v[21:22]
	v_mul_f64 v[21:22], v[95:96], v[21:22]
	s_waitcnt vmcnt(56)
	v_fma_f64 v[17:18], v[1:2], v[11:12], -v[17:18]
	v_fma_f64 v[11:12], v[3:4], v[11:12], v[107:108]
	v_add_f64 v[13:14], v[101:102], v[13:14]
	v_add_f64 v[9:10], v[9:10], v[19:20]
	s_clause 0x2
	buffer_load_dword v106, off, s[0:3], 0 offset:700
	buffer_load_dword v20, off, s[0:3], 0 offset:676
	;; [unrolled: 1-line block ×3, first 2 shown]
	s_waitcnt vmcnt(58) lgkmcnt(0)
	v_mul_f64 v[101:102], v[5:6], v[27:28]
	v_mul_f64 v[27:28], v[7:8], v[27:28]
	s_waitcnt vmcnt(56)
	v_fma_f64 v[21:22], v[93:94], v[29:30], -v[21:22]
	ds_read_b128 v[1:4], v61 offset:1392
	v_add_f64 v[13:14], v[13:14], v[17:18]
	v_fma_f64 v[17:18], v[95:96], v[29:30], v[126:127]
	v_add_f64 v[29:30], v[9:10], v[11:12]
	s_clause 0x4
	buffer_load_dword v94, off, s[0:3], 0 offset:716
	buffer_load_dword v95, off, s[0:3], 0 offset:728
	;; [unrolled: 1-line block ×5, first 2 shown]
	ds_read_b128 v[9:12], v61 offset:1408
	s_waitcnt vmcnt(57) lgkmcnt(1)
	v_mul_f64 v[126:127], v[1:2], v[31:32]
	v_mul_f64 v[31:32], v[3:4], v[31:32]
	s_waitcnt vmcnt(56)
	v_fma_f64 v[27:28], v[5:6], v[15:16], -v[27:28]
	v_fma_f64 v[15:16], v[7:8], v[15:16], v[101:102]
	v_add_f64 v[13:14], v[13:14], v[21:22]
	s_clause 0x2
	buffer_load_dword v96, off, s[0:3], 0 offset:732
	buffer_load_dword v22, off, s[0:3], 0 offset:708
	;; [unrolled: 1-line block ×3, first 2 shown]
	v_add_f64 v[17:18], v[29:30], v[17:18]
	s_waitcnt vmcnt(58) lgkmcnt(0)
	v_mul_f64 v[29:30], v[9:10], v[35:36]
	v_mul_f64 v[35:36], v[11:12], v[35:36]
	ds_read_b128 v[5:8], v61 offset:1424
	s_waitcnt vmcnt(56)
	v_fma_f64 v[31:32], v[1:2], v[37:38], -v[31:32]
	v_add_f64 v[13:14], v[13:14], v[27:28]
	v_fma_f64 v[27:28], v[3:4], v[37:38], v[126:127]
	v_add_f64 v[15:16], v[17:18], v[15:16]
	s_clause 0x4
	buffer_load_dword v18, off, s[0:3], 0 offset:748
	buffer_load_dword v37, off, s[0:3], 0 offset:760
	;; [unrolled: 1-line block ×5, first 2 shown]
	s_waitcnt vmcnt(57) lgkmcnt(0)
	v_mul_f64 v[126:127], v[5:6], v[39:40]
	v_mul_f64 v[39:40], v[7:8], v[39:40]
	s_waitcnt vmcnt(56)
	v_fma_f64 v[35:36], v[9:10], v[23:24], -v[35:36]
	ds_read_b128 v[1:4], v61 offset:1440
	v_fma_f64 v[23:24], v[11:12], v[23:24], v[29:30]
	v_add_f64 v[13:14], v[13:14], v[31:32]
	v_add_f64 v[15:16], v[15:16], v[27:28]
	s_clause 0x2
	buffer_load_dword v38, off, s[0:3], 0 offset:764
	buffer_load_dword v28, off, s[0:3], 0 offset:740
	;; [unrolled: 1-line block ×3, first 2 shown]
	ds_read_b128 v[9:12], v61 offset:1456
	s_waitcnt vmcnt(58) lgkmcnt(1)
	v_mul_f64 v[31:32], v[3:4], v[43:44]
	s_waitcnt vmcnt(56)
	v_fma_f64 v[39:40], v[5:6], v[45:46], -v[39:40]
	v_mul_f64 v[29:30], v[1:2], v[43:44]
	v_add_f64 v[13:14], v[13:14], v[35:36]
	v_fma_f64 v[35:36], v[7:8], v[45:46], v[126:127]
	v_add_f64 v[15:16], v[15:16], v[23:24]
	s_clause 0x4
	buffer_load_dword v24, off, s[0:3], 0 offset:780
	buffer_load_dword v43, off, s[0:3], 0 offset:792
	;; [unrolled: 1-line block ×5, first 2 shown]
	s_waitcnt vmcnt(57) lgkmcnt(0)
	v_mul_f64 v[126:127], v[9:10], v[47:48]
	v_mul_f64 v[46:47], v[11:12], v[47:48]
	s_waitcnt vmcnt(56)
	v_fma_f64 v[31:32], v[1:2], v[33:34], -v[31:32]
	ds_read_b128 v[5:8], v61 offset:1472
	v_fma_f64 v[29:30], v[3:4], v[33:34], v[29:30]
	s_clause 0x2
	buffer_load_dword v44, off, s[0:3], 0 offset:796
	buffer_load_dword v34, off, s[0:3], 0 offset:772
	;; [unrolled: 1-line block ×3, first 2 shown]
	ds_read_b128 v[1:4], v61 offset:1488
	v_add_f64 v[13:14], v[13:14], v[39:40]
	v_add_f64 v[15:16], v[15:16], v[35:36]
	s_waitcnt vmcnt(58) lgkmcnt(1)
	v_mul_f64 v[39:40], v[7:8], v[51:52]
	s_waitcnt vmcnt(56)
	v_fma_f64 v[47:48], v[9:10], v[53:54], -v[46:47]
	v_mul_f64 v[35:36], v[5:6], v[51:52]
	v_add_f64 v[13:14], v[13:14], v[31:32]
	v_fma_f64 v[31:32], v[11:12], v[53:54], v[126:127]
	v_add_f64 v[15:16], v[15:16], v[29:30]
	s_clause 0x4
	buffer_load_dword v30, off, s[0:3], 0 offset:812
	buffer_load_dword v51, off, s[0:3], 0 offset:824
	;; [unrolled: 1-line block ×5, first 2 shown]
	s_waitcnt vmcnt(57) lgkmcnt(0)
	v_mul_f64 v[126:127], v[1:2], v[55:56]
	v_mul_f64 v[54:55], v[3:4], v[55:56]
	s_waitcnt vmcnt(56)
	v_fma_f64 v[39:40], v[5:6], v[41:42], -v[39:40]
	ds_read_b128 v[9:12], v61 offset:1504
	v_fma_f64 v[35:36], v[7:8], v[41:42], v[35:36]
	v_add_f64 v[13:14], v[13:14], v[47:48]
	v_add_f64 v[15:16], v[15:16], v[31:32]
	s_clause 0x2
	buffer_load_dword v52, off, s[0:3], 0 offset:828
	buffer_load_dword v32, off, s[0:3], 0 offset:804
	;; [unrolled: 1-line block ×3, first 2 shown]
	ds_read_b128 v[5:8], v61 offset:1520
	s_waitcnt vmcnt(58) lgkmcnt(1)
	v_mul_f64 v[47:48], v[11:12], v[57:58]
	s_waitcnt vmcnt(56)
	v_fma_f64 v[55:56], v[1:2], v[59:60], -v[54:55]
	v_mul_f64 v[41:42], v[9:10], v[57:58]
	v_add_f64 v[13:14], v[13:14], v[39:40]
	v_fma_f64 v[39:40], v[3:4], v[59:60], v[126:127]
	v_add_f64 v[15:16], v[15:16], v[35:36]
	s_clause 0x4
	buffer_load_dword v36, off, s[0:3], 0 offset:844
	buffer_load_dword v57, off, s[0:3], 0 offset:856
	;; [unrolled: 1-line block ×5, first 2 shown]
	s_waitcnt vmcnt(57) lgkmcnt(0)
	v_mul_f64 v[126:127], v[5:6], v[111:112]
	v_mul_f64 v[111:112], v[7:8], v[111:112]
	s_waitcnt vmcnt(56)
	v_fma_f64 v[47:48], v[9:10], v[49:50], -v[47:48]
	ds_read_b128 v[1:4], v61 offset:1536
	v_fma_f64 v[41:42], v[11:12], v[49:50], v[41:42]
	v_add_f64 v[13:14], v[13:14], v[55:56]
	v_add_f64 v[15:16], v[15:16], v[39:40]
	s_clause 0x2
	buffer_load_dword v58, off, s[0:3], 0 offset:860
	buffer_load_dword v40, off, s[0:3], 0 offset:836
	;; [unrolled: 1-line block ×3, first 2 shown]
	ds_read_b128 v[9:12], v61 offset:1552
	s_waitcnt vmcnt(58) lgkmcnt(1)
	v_mul_f64 v[55:56], v[3:4], v[113:114]
	s_waitcnt vmcnt(56)
	v_fma_f64 v[111:112], v[5:6], v[118:119], -v[111:112]
	v_mul_f64 v[49:50], v[1:2], v[113:114]
	v_add_f64 v[13:14], v[13:14], v[47:48]
	v_fma_f64 v[47:48], v[7:8], v[118:119], v[126:127]
	v_add_f64 v[15:16], v[15:16], v[41:42]
	s_clause 0x4
	buffer_load_dword v42, off, s[0:3], 0 offset:876
	buffer_load_dword v113, off, s[0:3], 0 offset:888
	;; [unrolled: 1-line block ×5, first 2 shown]
	ds_read_b128 v[5:8], v61 offset:1568
	s_waitcnt vmcnt(57) lgkmcnt(1)
	v_mul_f64 v[118:119], v[9:10], v[109:110]
	v_mul_f64 v[109:110], v[11:12], v[109:110]
	s_waitcnt vmcnt(56)
	v_fma_f64 v[55:56], v[1:2], v[115:116], -v[55:56]
	v_fma_f64 v[49:50], v[3:4], v[115:116], v[49:50]
	v_add_f64 v[13:14], v[13:14], v[111:112]
	v_add_f64 v[15:16], v[15:16], v[47:48]
	s_clause 0x2
	buffer_load_dword v114, off, s[0:3], 0 offset:892
	buffer_load_dword v48, off, s[0:3], 0 offset:868
	;; [unrolled: 1-line block ×3, first 2 shown]
	ds_read_b128 v[1:4], v61 offset:1584
	s_waitcnt vmcnt(58) lgkmcnt(1)
	v_mul_f64 v[115:116], v[7:8], v[122:123]
	v_mul_f64 v[111:112], v[5:6], v[122:123]
	s_waitcnt vmcnt(56)
	v_fma_f64 v[109:110], v[9:10], v[103:104], -v[109:110]
	v_add_f64 v[13:14], v[13:14], v[55:56]
	v_fma_f64 v[55:56], v[11:12], v[103:104], v[118:119]
	v_add_f64 v[15:16], v[15:16], v[49:50]
	s_clause 0x4
	buffer_load_dword v50, off, s[0:3], 0 offset:908
	buffer_load_dword v103, off, s[0:3], 0 offset:920
	;; [unrolled: 1-line block ×5, first 2 shown]
	ds_read_b128 v[9:12], v61 offset:1600
	s_waitcnt vmcnt(57) lgkmcnt(1)
	v_mul_f64 v[126:127], v[1:2], v[25:26]
	v_mul_f64 v[25:26], v[3:4], v[25:26]
	s_waitcnt vmcnt(56)
	v_fma_f64 v[115:116], v[5:6], v[124:125], -v[115:116]
	v_add_f64 v[13:14], v[13:14], v[109:110]
	v_fma_f64 v[109:110], v[7:8], v[124:125], v[111:112]
	v_add_f64 v[15:16], v[15:16], v[55:56]
	s_clause 0x2
	buffer_load_dword v104, off, s[0:3], 0 offset:924
	buffer_load_dword v56, off, s[0:3], 0 offset:900
	;; [unrolled: 1-line block ×3, first 2 shown]
	ds_read_b128 v[5:8], v61 offset:1616
	s_waitcnt vmcnt(58) lgkmcnt(1)
	v_mul_f64 v[111:112], v[9:10], v[105:106]
	v_mul_f64 v[105:106], v[11:12], v[105:106]
	s_waitcnt vmcnt(56)
	v_fma_f64 v[25:26], v[1:2], v[19:20], -v[25:26]
	v_fma_f64 v[19:20], v[3:4], v[19:20], v[126:127]
	v_add_f64 v[13:14], v[13:14], v[115:116]
	v_add_f64 v[15:16], v[15:16], v[109:110]
	s_clause 0x2
	buffer_load_dword v110, off, s[0:3], 0 offset:940
	buffer_load_dword v109, off, s[0:3], 0 offset:936
	;; [unrolled: 1-line block ×3, first 2 shown]
	ds_read_b128 v[1:4], v61 offset:1632
	s_waitcnt vmcnt(55) lgkmcnt(1)
	v_mul_f64 v[115:116], v[5:6], v[93:94]
	v_mul_f64 v[93:94], v[7:8], v[93:94]
	s_waitcnt vmcnt(54)
	v_fma_f64 v[105:106], v[9:10], v[120:121], -v[105:106]
	v_add_f64 v[13:14], v[13:14], v[25:26]
	v_fma_f64 v[25:26], v[11:12], v[120:121], v[111:112]
	v_add_f64 v[15:16], v[15:16], v[19:20]
	s_clause 0x1
	buffer_load_dword v20, off, s[0:3], 0 offset:932
	buffer_load_dword v19, off, s[0:3], 0 offset:928
	ds_read_b128 v[9:12], v61 offset:1648
	s_waitcnt vmcnt(55) lgkmcnt(1)
	v_mul_f64 v[111:112], v[1:2], v[95:96]
	v_mul_f64 v[95:96], v[3:4], v[95:96]
	s_waitcnt vmcnt(53)
	v_fma_f64 v[93:94], v[5:6], v[21:22], -v[93:94]
	v_fma_f64 v[21:22], v[7:8], v[21:22], v[115:116]
	ds_read_b128 v[5:8], v61 offset:1664
	v_add_f64 v[13:14], v[13:14], v[105:106]
	v_add_f64 v[15:16], v[15:16], v[25:26]
	s_waitcnt vmcnt(49) lgkmcnt(1)
	v_mul_f64 v[25:26], v[9:10], v[17:18]
	v_mul_f64 v[17:18], v[11:12], v[17:18]
	s_waitcnt vmcnt(48)
	v_fma_f64 v[95:96], v[1:2], v[107:108], -v[95:96]
	v_add_f64 v[13:14], v[13:14], v[93:94]
	v_fma_f64 v[93:94], v[3:4], v[107:108], v[111:112]
	v_add_f64 v[15:16], v[15:16], v[21:22]
	s_clause 0x3
	buffer_load_dword v21, off, s[0:3], 0 offset:352
	buffer_load_dword v22, off, s[0:3], 0 offset:356
	buffer_load_dword v105, off, s[0:3], 0 offset:360
	buffer_load_dword v106, off, s[0:3], 0 offset:364
	ds_read_b128 v[1:4], v61 offset:1680
	s_waitcnt vmcnt(51) lgkmcnt(1)
	v_mul_f64 v[107:108], v[5:6], v[37:38]
	v_mul_f64 v[37:38], v[7:8], v[37:38]
	s_waitcnt vmcnt(49)
	v_fma_f64 v[17:18], v[9:10], v[27:28], -v[17:18]
	v_fma_f64 v[25:26], v[11:12], v[27:28], v[25:26]
	ds_read_b128 v[9:12], v61 offset:1696
	v_add_f64 v[13:14], v[13:14], v[95:96]
	v_add_f64 v[15:16], v[15:16], v[93:94]
	s_waitcnt vmcnt(45) lgkmcnt(1)
	v_mul_f64 v[27:28], v[1:2], v[23:24]
	v_mul_f64 v[23:24], v[3:4], v[23:24]
	s_waitcnt vmcnt(44)
	v_fma_f64 v[37:38], v[5:6], v[101:102], -v[37:38]
	v_add_f64 v[13:14], v[13:14], v[17:18]
	v_fma_f64 v[17:18], v[7:8], v[101:102], v[107:108]
	v_add_f64 v[15:16], v[15:16], v[25:26]
	s_waitcnt vmcnt(43) lgkmcnt(0)
	v_mul_f64 v[25:26], v[9:10], v[43:44]
	v_mul_f64 v[43:44], v[11:12], v[43:44]
	ds_read_b128 v[5:8], v61 offset:1712
	s_waitcnt vmcnt(41)
	v_fma_f64 v[27:28], v[3:4], v[33:34], v[27:28]
	v_fma_f64 v[23:24], v[1:2], v[33:34], -v[23:24]
	ds_read_b128 v[1:4], v61 offset:1728
	v_add_f64 v[13:14], v[13:14], v[37:38]
	v_add_f64 v[15:16], v[15:16], v[17:18]
	s_waitcnt vmcnt(37) lgkmcnt(1)
	v_mul_f64 v[17:18], v[5:6], v[29:30]
	v_mul_f64 v[29:30], v[7:8], v[29:30]
	s_waitcnt vmcnt(36)
	v_fma_f64 v[33:34], v[9:10], v[45:46], -v[43:44]
	v_add_f64 v[13:14], v[13:14], v[23:24]
	v_fma_f64 v[23:24], v[11:12], v[45:46], v[25:26]
	v_add_f64 v[15:16], v[15:16], v[27:28]
	ds_read_b128 v[9:12], v61 offset:1744
	s_waitcnt vmcnt(35) lgkmcnt(1)
	v_mul_f64 v[27:28], v[3:4], v[51:52]
	v_mul_f64 v[25:26], v[1:2], v[51:52]
	s_waitcnt vmcnt(33)
	v_fma_f64 v[29:30], v[5:6], v[31:32], -v[29:30]
	v_fma_f64 v[17:18], v[7:8], v[31:32], v[17:18]
	ds_read_b128 v[5:8], v61 offset:1760
	v_add_f64 v[13:14], v[13:14], v[33:34]
	v_add_f64 v[15:16], v[15:16], v[23:24]
	s_waitcnt vmcnt(29) lgkmcnt(1)
	v_mul_f64 v[31:32], v[11:12], v[35:36]
	s_waitcnt vmcnt(28)
	v_fma_f64 v[27:28], v[1:2], v[53:54], -v[27:28]
	v_mul_f64 v[23:24], v[9:10], v[35:36]
	v_fma_f64 v[25:26], v[3:4], v[53:54], v[25:26]
	ds_read_b128 v[1:4], v61 offset:1776
	v_add_f64 v[13:14], v[13:14], v[29:30]
	v_add_f64 v[15:16], v[15:16], v[17:18]
	s_waitcnt vmcnt(27) lgkmcnt(1)
	v_mul_f64 v[29:30], v[7:8], v[57:58]
	v_mul_f64 v[17:18], v[5:6], v[57:58]
	s_waitcnt vmcnt(25)
	v_fma_f64 v[31:32], v[9:10], v[39:40], -v[31:32]
	v_fma_f64 v[23:24], v[11:12], v[39:40], v[23:24]
	ds_read_b128 v[9:12], v61 offset:1792
	v_add_f64 v[13:14], v[13:14], v[27:28]
	v_add_f64 v[15:16], v[15:16], v[25:26]
	s_waitcnt vmcnt(21) lgkmcnt(1)
	v_mul_f64 v[27:28], v[3:4], v[41:42]
	s_waitcnt vmcnt(20)
	v_fma_f64 v[29:30], v[5:6], v[59:60], -v[29:30]
	v_mul_f64 v[25:26], v[1:2], v[41:42]
	v_fma_f64 v[17:18], v[7:8], v[59:60], v[17:18]
	ds_read_b128 v[5:8], v61 offset:1808
	v_add_f64 v[13:14], v[13:14], v[31:32]
	v_add_f64 v[15:16], v[15:16], v[23:24]
	;; [unrolled: 18-line block ×3, first 2 shown]
	s_waitcnt vmcnt(11) lgkmcnt(1)
	v_mul_f64 v[27:28], v[3:4], v[103:104]
	v_mul_f64 v[25:26], v[1:2], v[103:104]
	s_waitcnt vmcnt(9)
	v_fma_f64 v[5:6], v[5:6], v[55:56], -v[29:30]
	v_fma_f64 v[7:8], v[7:8], v[55:56], v[17:18]
	v_add_f64 v[13:14], v[13:14], v[31:32]
	v_add_f64 v[15:16], v[15:16], v[23:24]
	s_waitcnt vmcnt(7) lgkmcnt(0)
	v_mul_f64 v[23:24], v[11:12], v[109:110]
	s_waitcnt vmcnt(6)
	v_fma_f64 v[1:2], v[1:2], v[122:123], -v[27:28]
	v_mul_f64 v[17:18], v[9:10], v[109:110]
	v_fma_f64 v[3:4], v[3:4], v[122:123], v[25:26]
	v_add_f64 v[5:6], v[13:14], v[5:6]
	v_add_f64 v[7:8], v[15:16], v[7:8]
	s_waitcnt vmcnt(4)
	v_fma_f64 v[9:10], v[9:10], v[19:20], -v[23:24]
	v_add_f64 v[1:2], v[5:6], v[1:2]
	v_fma_f64 v[5:6], v[11:12], v[19:20], v[17:18]
	v_add_f64 v[3:4], v[7:8], v[3:4]
	v_add_f64 v[1:2], v[1:2], v[9:10]
	v_add_f64 v[3:4], v[3:4], v[5:6]
	s_waitcnt vmcnt(2)
	v_add_f64 v[1:2], v[21:22], -v[1:2]
	s_waitcnt vmcnt(0)
	v_add_f64 v[3:4], v[105:106], -v[3:4]
	buffer_store_dword v2, off, s[0:3], 0 offset:356
	buffer_store_dword v1, off, s[0:3], 0 offset:352
	buffer_store_dword v4, off, s[0:3], 0 offset:364
	buffer_store_dword v3, off, s[0:3], 0 offset:360
	v_cmpx_lt_u32_e32 20, v0
	s_cbranch_execz .LBB57_321
; %bb.320:
	v_mov_b32_e32 v4, s49
	v_mov_b32_e32 v5, 0
	s_clause 0x3
	buffer_load_dword v1, v4, s[0:3], 0 offen
	buffer_load_dword v2, v4, s[0:3], 0 offen offset:4
	buffer_load_dword v3, v4, s[0:3], 0 offen offset:8
	;; [unrolled: 1-line block ×3, first 2 shown]
	buffer_store_dword v5, off, s[0:3], 0 offset:336
	buffer_store_dword v5, off, s[0:3], 0 offset:340
	;; [unrolled: 1-line block ×4, first 2 shown]
	s_waitcnt vmcnt(0)
	ds_write_b128 v63, v[1:4]
.LBB57_321:
	s_or_b32 exec_lo, exec_lo, s4
	s_waitcnt lgkmcnt(0)
	s_waitcnt_vscnt null, 0x0
	s_barrier
	buffer_gl0_inv
	s_clause 0x37
	buffer_load_dword v9, off, s[0:3], 0 offset:360
	buffer_load_dword v10, off, s[0:3], 0 offset:364
	;; [unrolled: 1-line block ×56, first 2 shown]
	v_mov_b32_e32 v61, 0
	s_mov_b32 s4, exec_lo
	ds_read_b128 v[93:96], v61 offset:1264
	s_clause 0x2
	buffer_load_dword v58, off, s[0:3], 0 offset:588
	buffer_load_dword v60, off, s[0:3], 0 offset:564
	;; [unrolled: 1-line block ×3, first 2 shown]
	ds_read_b128 v[101:104], v61 offset:1280
	s_clause 0x4
	buffer_load_dword v112, off, s[0:3], 0 offset:604
	buffer_load_dword v113, off, s[0:3], 0 offset:616
	;; [unrolled: 1-line block ×5, first 2 shown]
	ds_read_b128 v[105:108], v61 offset:1296
	s_clause 0x2
	buffer_load_dword v114, off, s[0:3], 0 offset:620
	buffer_load_dword v119, off, s[0:3], 0 offset:596
	;; [unrolled: 1-line block ×3, first 2 shown]
	s_waitcnt vmcnt(62) lgkmcnt(2)
	v_mul_f64 v[109:110], v[95:96], v[9:10]
	v_mul_f64 v[9:10], v[93:94], v[9:10]
	s_waitcnt lgkmcnt(1)
	v_mul_f64 v[116:117], v[103:104], v[5:6]
	s_waitcnt vmcnt(59) lgkmcnt(0)
	v_mul_f64 v[120:121], v[107:108], v[3:4]
	v_fma_f64 v[93:94], v[93:94], v[7:8], -v[109:110]
	v_mul_f64 v[109:110], v[101:102], v[5:6]
	v_fma_f64 v[9:10], v[95:96], v[7:8], v[9:10]
	s_waitcnt vmcnt(57)
	v_fma_f64 v[101:102], v[101:102], v[1:2], -v[116:117]
	ds_read_b128 v[5:8], v61 offset:1312
	v_mul_f64 v[95:96], v[105:106], v[3:4]
	s_waitcnt vmcnt(51)
	v_fma_f64 v[105:106], v[105:106], v[25:26], -v[120:121]
	v_add_f64 v[93:94], v[93:94], 0
	v_fma_f64 v[103:104], v[103:104], v[1:2], v[109:110]
	v_add_f64 v[9:10], v[9:10], 0
	s_clause 0x4
	buffer_load_dword v110, off, s[0:3], 0 offset:636
	buffer_load_dword v122, off, s[0:3], 0 offset:648
	;; [unrolled: 1-line block ×5, first 2 shown]
	s_waitcnt lgkmcnt(0)
	v_mul_f64 v[125:126], v[5:6], v[13:14]
	v_mul_f64 v[13:14], v[7:8], v[13:14]
	ds_read_b128 v[1:4], v61 offset:1328
	v_fma_f64 v[25:26], v[107:108], v[25:26], v[95:96]
	v_add_f64 v[101:102], v[93:94], v[101:102]
	v_add_f64 v[9:10], v[9:10], v[103:104]
	s_clause 0x2
	buffer_load_dword v123, off, s[0:3], 0 offset:652
	buffer_load_dword v104, off, s[0:3], 0 offset:628
	;; [unrolled: 1-line block ×3, first 2 shown]
	s_waitcnt vmcnt(58) lgkmcnt(0)
	v_mul_f64 v[107:108], v[1:2], v[17:18]
	v_mul_f64 v[17:18], v[3:4], v[17:18]
	s_waitcnt vmcnt(56)
	v_fma_f64 v[13:14], v[5:6], v[19:20], -v[13:14]
	ds_read_b128 v[93:96], v61 offset:1344
	v_fma_f64 v[19:20], v[7:8], v[19:20], v[125:126]
	v_add_f64 v[101:102], v[101:102], v[105:106]
	v_add_f64 v[9:10], v[9:10], v[25:26]
	s_clause 0x4
	buffer_load_dword v26, off, s[0:3], 0 offset:668
	buffer_load_dword v105, off, s[0:3], 0 offset:680
	;; [unrolled: 1-line block ×5, first 2 shown]
	ds_read_b128 v[5:8], v61 offset:1360
	s_waitcnt vmcnt(57) lgkmcnt(1)
	v_mul_f64 v[126:127], v[93:94], v[21:22]
	v_mul_f64 v[21:22], v[95:96], v[21:22]
	s_waitcnt vmcnt(56)
	v_fma_f64 v[17:18], v[1:2], v[11:12], -v[17:18]
	v_fma_f64 v[11:12], v[3:4], v[11:12], v[107:108]
	v_add_f64 v[13:14], v[101:102], v[13:14]
	v_add_f64 v[9:10], v[9:10], v[19:20]
	s_clause 0x2
	buffer_load_dword v106, off, s[0:3], 0 offset:684
	buffer_load_dword v20, off, s[0:3], 0 offset:660
	;; [unrolled: 1-line block ×3, first 2 shown]
	s_waitcnt vmcnt(58) lgkmcnt(0)
	v_mul_f64 v[101:102], v[5:6], v[27:28]
	v_mul_f64 v[27:28], v[7:8], v[27:28]
	s_waitcnt vmcnt(56)
	v_fma_f64 v[21:22], v[93:94], v[29:30], -v[21:22]
	ds_read_b128 v[1:4], v61 offset:1376
	v_add_f64 v[13:14], v[13:14], v[17:18]
	v_fma_f64 v[17:18], v[95:96], v[29:30], v[126:127]
	v_add_f64 v[29:30], v[9:10], v[11:12]
	s_clause 0x4
	buffer_load_dword v94, off, s[0:3], 0 offset:700
	buffer_load_dword v95, off, s[0:3], 0 offset:712
	;; [unrolled: 1-line block ×5, first 2 shown]
	ds_read_b128 v[9:12], v61 offset:1392
	s_waitcnt vmcnt(57) lgkmcnt(1)
	v_mul_f64 v[126:127], v[1:2], v[31:32]
	v_mul_f64 v[31:32], v[3:4], v[31:32]
	s_waitcnt vmcnt(56)
	v_fma_f64 v[27:28], v[5:6], v[15:16], -v[27:28]
	v_fma_f64 v[15:16], v[7:8], v[15:16], v[101:102]
	v_add_f64 v[13:14], v[13:14], v[21:22]
	s_clause 0x2
	buffer_load_dword v96, off, s[0:3], 0 offset:716
	buffer_load_dword v22, off, s[0:3], 0 offset:692
	;; [unrolled: 1-line block ×3, first 2 shown]
	v_add_f64 v[17:18], v[29:30], v[17:18]
	s_waitcnt vmcnt(58) lgkmcnt(0)
	v_mul_f64 v[29:30], v[9:10], v[35:36]
	v_mul_f64 v[35:36], v[11:12], v[35:36]
	ds_read_b128 v[5:8], v61 offset:1408
	s_waitcnt vmcnt(56)
	v_fma_f64 v[31:32], v[1:2], v[37:38], -v[31:32]
	v_add_f64 v[13:14], v[13:14], v[27:28]
	v_fma_f64 v[27:28], v[3:4], v[37:38], v[126:127]
	v_add_f64 v[15:16], v[17:18], v[15:16]
	s_clause 0x4
	buffer_load_dword v18, off, s[0:3], 0 offset:732
	buffer_load_dword v37, off, s[0:3], 0 offset:744
	;; [unrolled: 1-line block ×5, first 2 shown]
	s_waitcnt vmcnt(57) lgkmcnt(0)
	v_mul_f64 v[126:127], v[5:6], v[39:40]
	v_mul_f64 v[39:40], v[7:8], v[39:40]
	s_waitcnt vmcnt(56)
	v_fma_f64 v[35:36], v[9:10], v[23:24], -v[35:36]
	ds_read_b128 v[1:4], v61 offset:1424
	v_fma_f64 v[23:24], v[11:12], v[23:24], v[29:30]
	v_add_f64 v[13:14], v[13:14], v[31:32]
	v_add_f64 v[15:16], v[15:16], v[27:28]
	s_clause 0x2
	buffer_load_dword v38, off, s[0:3], 0 offset:748
	buffer_load_dword v28, off, s[0:3], 0 offset:724
	;; [unrolled: 1-line block ×3, first 2 shown]
	ds_read_b128 v[9:12], v61 offset:1440
	s_waitcnt vmcnt(58) lgkmcnt(1)
	v_mul_f64 v[31:32], v[3:4], v[43:44]
	s_waitcnt vmcnt(56)
	v_fma_f64 v[39:40], v[5:6], v[45:46], -v[39:40]
	v_mul_f64 v[29:30], v[1:2], v[43:44]
	v_add_f64 v[13:14], v[13:14], v[35:36]
	v_fma_f64 v[35:36], v[7:8], v[45:46], v[126:127]
	v_add_f64 v[15:16], v[15:16], v[23:24]
	s_clause 0x4
	buffer_load_dword v24, off, s[0:3], 0 offset:764
	buffer_load_dword v43, off, s[0:3], 0 offset:776
	;; [unrolled: 1-line block ×5, first 2 shown]
	s_waitcnt vmcnt(57) lgkmcnt(0)
	v_mul_f64 v[126:127], v[9:10], v[47:48]
	v_mul_f64 v[46:47], v[11:12], v[47:48]
	s_waitcnt vmcnt(56)
	v_fma_f64 v[31:32], v[1:2], v[33:34], -v[31:32]
	ds_read_b128 v[5:8], v61 offset:1456
	v_fma_f64 v[29:30], v[3:4], v[33:34], v[29:30]
	s_clause 0x2
	buffer_load_dword v44, off, s[0:3], 0 offset:780
	buffer_load_dword v34, off, s[0:3], 0 offset:756
	buffer_load_dword v33, off, s[0:3], 0 offset:752
	ds_read_b128 v[1:4], v61 offset:1472
	v_add_f64 v[13:14], v[13:14], v[39:40]
	v_add_f64 v[15:16], v[15:16], v[35:36]
	s_waitcnt vmcnt(58) lgkmcnt(1)
	v_mul_f64 v[39:40], v[7:8], v[51:52]
	s_waitcnt vmcnt(56)
	v_fma_f64 v[47:48], v[9:10], v[53:54], -v[46:47]
	v_mul_f64 v[35:36], v[5:6], v[51:52]
	v_add_f64 v[13:14], v[13:14], v[31:32]
	v_fma_f64 v[31:32], v[11:12], v[53:54], v[126:127]
	v_add_f64 v[15:16], v[15:16], v[29:30]
	s_clause 0x4
	buffer_load_dword v30, off, s[0:3], 0 offset:796
	buffer_load_dword v51, off, s[0:3], 0 offset:808
	;; [unrolled: 1-line block ×5, first 2 shown]
	s_waitcnt vmcnt(57) lgkmcnt(0)
	v_mul_f64 v[126:127], v[1:2], v[55:56]
	v_mul_f64 v[54:55], v[3:4], v[55:56]
	s_waitcnt vmcnt(56)
	v_fma_f64 v[39:40], v[5:6], v[41:42], -v[39:40]
	ds_read_b128 v[9:12], v61 offset:1488
	v_fma_f64 v[35:36], v[7:8], v[41:42], v[35:36]
	v_add_f64 v[13:14], v[13:14], v[47:48]
	v_add_f64 v[15:16], v[15:16], v[31:32]
	s_clause 0x2
	buffer_load_dword v52, off, s[0:3], 0 offset:812
	buffer_load_dword v32, off, s[0:3], 0 offset:788
	;; [unrolled: 1-line block ×3, first 2 shown]
	ds_read_b128 v[5:8], v61 offset:1504
	s_waitcnt vmcnt(58) lgkmcnt(1)
	v_mul_f64 v[47:48], v[11:12], v[57:58]
	s_waitcnt vmcnt(56)
	v_fma_f64 v[55:56], v[1:2], v[59:60], -v[54:55]
	v_mul_f64 v[41:42], v[9:10], v[57:58]
	v_add_f64 v[13:14], v[13:14], v[39:40]
	v_fma_f64 v[39:40], v[3:4], v[59:60], v[126:127]
	v_add_f64 v[15:16], v[15:16], v[35:36]
	s_clause 0x4
	buffer_load_dword v36, off, s[0:3], 0 offset:828
	buffer_load_dword v57, off, s[0:3], 0 offset:840
	buffer_load_dword v59, off, s[0:3], 0 offset:832
	buffer_load_dword v35, off, s[0:3], 0 offset:824
	buffer_load_dword v54, off, s[0:3], 0 offset:804
	s_waitcnt vmcnt(57) lgkmcnt(0)
	v_mul_f64 v[126:127], v[5:6], v[111:112]
	v_mul_f64 v[111:112], v[7:8], v[111:112]
	s_waitcnt vmcnt(56)
	v_fma_f64 v[47:48], v[9:10], v[49:50], -v[47:48]
	ds_read_b128 v[1:4], v61 offset:1520
	v_fma_f64 v[41:42], v[11:12], v[49:50], v[41:42]
	v_add_f64 v[13:14], v[13:14], v[55:56]
	v_add_f64 v[15:16], v[15:16], v[39:40]
	s_clause 0x2
	buffer_load_dword v58, off, s[0:3], 0 offset:844
	buffer_load_dword v40, off, s[0:3], 0 offset:820
	;; [unrolled: 1-line block ×3, first 2 shown]
	ds_read_b128 v[9:12], v61 offset:1536
	s_waitcnt vmcnt(58) lgkmcnt(1)
	v_mul_f64 v[55:56], v[3:4], v[113:114]
	s_waitcnt vmcnt(56)
	v_fma_f64 v[111:112], v[5:6], v[118:119], -v[111:112]
	v_mul_f64 v[49:50], v[1:2], v[113:114]
	v_add_f64 v[13:14], v[13:14], v[47:48]
	v_fma_f64 v[47:48], v[7:8], v[118:119], v[126:127]
	v_add_f64 v[15:16], v[15:16], v[41:42]
	s_clause 0x4
	buffer_load_dword v42, off, s[0:3], 0 offset:860
	buffer_load_dword v113, off, s[0:3], 0 offset:872
	;; [unrolled: 1-line block ×5, first 2 shown]
	ds_read_b128 v[5:8], v61 offset:1552
	s_waitcnt vmcnt(57) lgkmcnt(1)
	v_mul_f64 v[118:119], v[9:10], v[109:110]
	v_mul_f64 v[109:110], v[11:12], v[109:110]
	s_waitcnt vmcnt(56)
	v_fma_f64 v[55:56], v[1:2], v[115:116], -v[55:56]
	v_fma_f64 v[49:50], v[3:4], v[115:116], v[49:50]
	v_add_f64 v[13:14], v[13:14], v[111:112]
	v_add_f64 v[15:16], v[15:16], v[47:48]
	s_clause 0x2
	buffer_load_dword v114, off, s[0:3], 0 offset:876
	buffer_load_dword v48, off, s[0:3], 0 offset:852
	;; [unrolled: 1-line block ×3, first 2 shown]
	ds_read_b128 v[1:4], v61 offset:1568
	s_waitcnt vmcnt(58) lgkmcnt(1)
	v_mul_f64 v[115:116], v[7:8], v[122:123]
	v_mul_f64 v[111:112], v[5:6], v[122:123]
	s_waitcnt vmcnt(56)
	v_fma_f64 v[109:110], v[9:10], v[103:104], -v[109:110]
	v_add_f64 v[13:14], v[13:14], v[55:56]
	v_fma_f64 v[55:56], v[11:12], v[103:104], v[118:119]
	v_add_f64 v[15:16], v[15:16], v[49:50]
	s_clause 0x4
	buffer_load_dword v50, off, s[0:3], 0 offset:892
	buffer_load_dword v103, off, s[0:3], 0 offset:904
	;; [unrolled: 1-line block ×5, first 2 shown]
	ds_read_b128 v[9:12], v61 offset:1584
	s_waitcnt vmcnt(57) lgkmcnt(1)
	v_mul_f64 v[126:127], v[1:2], v[25:26]
	v_mul_f64 v[25:26], v[3:4], v[25:26]
	s_waitcnt vmcnt(56)
	v_fma_f64 v[115:116], v[5:6], v[124:125], -v[115:116]
	v_add_f64 v[13:14], v[13:14], v[109:110]
	v_fma_f64 v[109:110], v[7:8], v[124:125], v[111:112]
	v_add_f64 v[15:16], v[15:16], v[55:56]
	s_clause 0x2
	buffer_load_dword v104, off, s[0:3], 0 offset:908
	buffer_load_dword v56, off, s[0:3], 0 offset:884
	;; [unrolled: 1-line block ×3, first 2 shown]
	ds_read_b128 v[5:8], v61 offset:1600
	s_waitcnt vmcnt(58) lgkmcnt(1)
	v_mul_f64 v[111:112], v[9:10], v[105:106]
	v_mul_f64 v[105:106], v[11:12], v[105:106]
	s_waitcnt vmcnt(56)
	v_fma_f64 v[25:26], v[1:2], v[19:20], -v[25:26]
	v_fma_f64 v[19:20], v[3:4], v[19:20], v[126:127]
	v_add_f64 v[13:14], v[13:14], v[115:116]
	v_add_f64 v[15:16], v[15:16], v[109:110]
	s_clause 0x4
	buffer_load_dword v110, off, s[0:3], 0 offset:924
	buffer_load_dword v115, off, s[0:3], 0 offset:936
	;; [unrolled: 1-line block ×5, first 2 shown]
	ds_read_b128 v[1:4], v61 offset:1616
	s_waitcnt vmcnt(57) lgkmcnt(1)
	v_mul_f64 v[124:125], v[5:6], v[93:94]
	v_mul_f64 v[93:94], v[7:8], v[93:94]
	s_waitcnt vmcnt(56)
	v_fma_f64 v[105:106], v[9:10], v[120:121], -v[105:106]
	v_add_f64 v[13:14], v[13:14], v[25:26]
	v_fma_f64 v[25:26], v[11:12], v[120:121], v[111:112]
	v_add_f64 v[15:16], v[15:16], v[19:20]
	s_clause 0x2
	buffer_load_dword v116, off, s[0:3], 0 offset:940
	buffer_load_dword v20, off, s[0:3], 0 offset:916
	;; [unrolled: 1-line block ×3, first 2 shown]
	ds_read_b128 v[9:12], v61 offset:1632
	buffer_load_dword v120, off, s[0:3], 0 offset:932
	s_waitcnt vmcnt(59) lgkmcnt(1)
	v_mul_f64 v[111:112], v[1:2], v[95:96]
	v_mul_f64 v[95:96], v[3:4], v[95:96]
	s_waitcnt vmcnt(57)
	v_fma_f64 v[93:94], v[5:6], v[21:22], -v[93:94]
	v_fma_f64 v[21:22], v[7:8], v[21:22], v[124:125]
	ds_read_b128 v[5:8], v61 offset:1648
	v_add_f64 v[13:14], v[13:14], v[105:106]
	v_add_f64 v[15:16], v[15:16], v[25:26]
	s_waitcnt vmcnt(53) lgkmcnt(1)
	v_mul_f64 v[25:26], v[9:10], v[17:18]
	v_mul_f64 v[17:18], v[11:12], v[17:18]
	s_waitcnt vmcnt(52)
	v_fma_f64 v[95:96], v[1:2], v[107:108], -v[95:96]
	v_add_f64 v[13:14], v[13:14], v[93:94]
	v_fma_f64 v[93:94], v[3:4], v[107:108], v[111:112]
	v_add_f64 v[15:16], v[15:16], v[21:22]
	ds_read_b128 v[1:4], v61 offset:1664
	s_waitcnt vmcnt(51) lgkmcnt(1)
	v_mul_f64 v[21:22], v[5:6], v[37:38]
	v_mul_f64 v[37:38], v[7:8], v[37:38]
	s_waitcnt vmcnt(49)
	v_fma_f64 v[17:18], v[9:10], v[27:28], -v[17:18]
	v_fma_f64 v[25:26], v[11:12], v[27:28], v[25:26]
	v_add_f64 v[13:14], v[13:14], v[95:96]
	v_add_f64 v[15:16], v[15:16], v[93:94]
	s_clause 0x3
	buffer_load_dword v27, off, s[0:3], 0 offset:336
	buffer_load_dword v28, off, s[0:3], 0 offset:340
	;; [unrolled: 1-line block ×4, first 2 shown]
	ds_read_b128 v[9:12], v61 offset:1680
	s_waitcnt vmcnt(49) lgkmcnt(1)
	v_mul_f64 v[95:96], v[1:2], v[23:24]
	v_mul_f64 v[23:24], v[3:4], v[23:24]
	s_waitcnt vmcnt(48)
	v_fma_f64 v[37:38], v[5:6], v[101:102], -v[37:38]
	v_add_f64 v[13:14], v[13:14], v[17:18]
	v_fma_f64 v[17:18], v[7:8], v[101:102], v[21:22]
	v_add_f64 v[15:16], v[15:16], v[25:26]
	ds_read_b128 v[5:8], v61 offset:1696
	s_waitcnt vmcnt(47) lgkmcnt(1)
	v_mul_f64 v[25:26], v[11:12], v[43:44]
	v_mul_f64 v[21:22], v[9:10], v[43:44]
	s_waitcnt vmcnt(45)
	v_fma_f64 v[23:24], v[1:2], v[33:34], -v[23:24]
	v_fma_f64 v[33:34], v[3:4], v[33:34], v[95:96]
	ds_read_b128 v[1:4], v61 offset:1712
	v_add_f64 v[13:14], v[13:14], v[37:38]
	v_add_f64 v[15:16], v[15:16], v[17:18]
	s_waitcnt vmcnt(41) lgkmcnt(1)
	v_mul_f64 v[17:18], v[5:6], v[29:30]
	v_mul_f64 v[29:30], v[7:8], v[29:30]
	s_waitcnt vmcnt(40)
	v_fma_f64 v[25:26], v[9:10], v[45:46], -v[25:26]
	v_fma_f64 v[21:22], v[11:12], v[45:46], v[21:22]
	ds_read_b128 v[9:12], v61 offset:1728
	v_add_f64 v[13:14], v[13:14], v[23:24]
	v_add_f64 v[15:16], v[15:16], v[33:34]
	;; [unrolled: 9-line block ×3, first 2 shown]
	s_waitcnt vmcnt(33) lgkmcnt(1)
	v_mul_f64 v[25:26], v[11:12], v[35:36]
	s_waitcnt vmcnt(32)
	v_fma_f64 v[31:32], v[1:2], v[53:54], -v[33:34]
	v_mul_f64 v[21:22], v[9:10], v[35:36]
	v_fma_f64 v[23:24], v[3:4], v[53:54], v[23:24]
	ds_read_b128 v[1:4], v61 offset:1760
	v_add_f64 v[13:14], v[13:14], v[29:30]
	v_add_f64 v[15:16], v[15:16], v[17:18]
	s_waitcnt vmcnt(31) lgkmcnt(1)
	v_mul_f64 v[29:30], v[7:8], v[57:58]
	v_mul_f64 v[17:18], v[5:6], v[57:58]
	s_waitcnt vmcnt(29)
	v_fma_f64 v[25:26], v[9:10], v[39:40], -v[25:26]
	v_fma_f64 v[21:22], v[11:12], v[39:40], v[21:22]
	ds_read_b128 v[9:12], v61 offset:1776
	v_add_f64 v[13:14], v[13:14], v[31:32]
	v_add_f64 v[15:16], v[15:16], v[23:24]
	s_waitcnt vmcnt(25) lgkmcnt(1)
	v_mul_f64 v[31:32], v[3:4], v[41:42]
	s_waitcnt vmcnt(24)
	v_fma_f64 v[29:30], v[5:6], v[59:60], -v[29:30]
	v_mul_f64 v[23:24], v[1:2], v[41:42]
	v_fma_f64 v[17:18], v[7:8], v[59:60], v[17:18]
	ds_read_b128 v[5:8], v61 offset:1792
	v_add_f64 v[13:14], v[13:14], v[25:26]
	v_add_f64 v[15:16], v[15:16], v[21:22]
	s_waitcnt vmcnt(23) lgkmcnt(1)
	v_mul_f64 v[25:26], v[11:12], v[113:114]
	v_mul_f64 v[21:22], v[9:10], v[113:114]
	s_waitcnt vmcnt(21)
	v_fma_f64 v[31:32], v[1:2], v[47:48], -v[31:32]
	v_fma_f64 v[23:24], v[3:4], v[47:48], v[23:24]
	ds_read_b128 v[1:4], v61 offset:1808
	v_add_f64 v[13:14], v[13:14], v[29:30]
	v_add_f64 v[15:16], v[15:16], v[17:18]
	s_waitcnt vmcnt(17) lgkmcnt(1)
	v_mul_f64 v[29:30], v[7:8], v[49:50]
	s_waitcnt vmcnt(16)
	v_fma_f64 v[25:26], v[9:10], v[117:118], -v[25:26]
	v_mul_f64 v[17:18], v[5:6], v[49:50]
	v_fma_f64 v[21:22], v[11:12], v[117:118], v[21:22]
	ds_read_b128 v[9:12], v61 offset:1824
	v_add_f64 v[13:14], v[13:14], v[31:32]
	v_add_f64 v[15:16], v[15:16], v[23:24]
	s_waitcnt vmcnt(15) lgkmcnt(1)
	v_mul_f64 v[31:32], v[3:4], v[103:104]
	v_mul_f64 v[23:24], v[1:2], v[103:104]
	s_waitcnt vmcnt(13)
	v_fma_f64 v[29:30], v[5:6], v[55:56], -v[29:30]
	v_fma_f64 v[17:18], v[7:8], v[55:56], v[17:18]
	ds_read_b128 v[5:8], v61 offset:1840
	v_add_f64 v[13:14], v[13:14], v[25:26]
	v_add_f64 v[15:16], v[15:16], v[21:22]
	s_waitcnt vmcnt(9) lgkmcnt(1)
	v_mul_f64 v[25:26], v[11:12], v[109:110]
	s_waitcnt vmcnt(8)
	v_fma_f64 v[1:2], v[1:2], v[122:123], -v[31:32]
	v_mul_f64 v[21:22], v[9:10], v[109:110]
	v_fma_f64 v[3:4], v[3:4], v[122:123], v[23:24]
	v_add_f64 v[13:14], v[13:14], v[29:30]
	v_add_f64 v[15:16], v[15:16], v[17:18]
	s_waitcnt vmcnt(7) lgkmcnt(0)
	v_mul_f64 v[23:24], v[7:8], v[115:116]
	v_mul_f64 v[17:18], v[5:6], v[115:116]
	s_waitcnt vmcnt(5)
	v_fma_f64 v[9:10], v[9:10], v[19:20], -v[25:26]
	v_fma_f64 v[11:12], v[11:12], v[19:20], v[21:22]
	v_add_f64 v[1:2], v[13:14], v[1:2]
	v_add_f64 v[3:4], v[15:16], v[3:4]
	s_waitcnt vmcnt(4)
	v_fma_f64 v[5:6], v[5:6], v[119:120], -v[23:24]
	v_fma_f64 v[7:8], v[7:8], v[119:120], v[17:18]
	v_add_f64 v[1:2], v[1:2], v[9:10]
	v_add_f64 v[3:4], v[3:4], v[11:12]
	;; [unrolled: 1-line block ×4, first 2 shown]
	s_waitcnt vmcnt(2)
	v_add_f64 v[1:2], v[27:28], -v[1:2]
	s_waitcnt vmcnt(0)
	v_add_f64 v[3:4], v[93:94], -v[3:4]
	buffer_store_dword v2, off, s[0:3], 0 offset:340
	buffer_store_dword v1, off, s[0:3], 0 offset:336
	;; [unrolled: 1-line block ×4, first 2 shown]
	v_cmpx_lt_u32_e32 19, v0
	s_cbranch_execz .LBB57_323
; %bb.322:
	v_mov_b32_e32 v4, s50
	s_clause 0x3
	buffer_load_dword v1, v4, s[0:3], 0 offen
	buffer_load_dword v2, v4, s[0:3], 0 offen offset:4
	buffer_load_dword v3, v4, s[0:3], 0 offen offset:8
	;; [unrolled: 1-line block ×3, first 2 shown]
	buffer_store_dword v61, off, s[0:3], 0 offset:320
	buffer_store_dword v61, off, s[0:3], 0 offset:324
	;; [unrolled: 1-line block ×4, first 2 shown]
	s_waitcnt vmcnt(0)
	ds_write_b128 v63, v[1:4]
.LBB57_323:
	s_or_b32 exec_lo, exec_lo, s4
	s_waitcnt lgkmcnt(0)
	s_waitcnt_vscnt null, 0x0
	s_barrier
	buffer_gl0_inv
	s_clause 0x37
	buffer_load_dword v9, off, s[0:3], 0 offset:344
	buffer_load_dword v10, off, s[0:3], 0 offset:348
	;; [unrolled: 1-line block ×56, first 2 shown]
	ds_read_b128 v[93:96], v61 offset:1248
	s_clause 0x2
	buffer_load_dword v58, off, s[0:3], 0 offset:572
	buffer_load_dword v60, off, s[0:3], 0 offset:548
	;; [unrolled: 1-line block ×3, first 2 shown]
	ds_read_b128 v[101:104], v61 offset:1264
	s_clause 0x4
	buffer_load_dword v112, off, s[0:3], 0 offset:588
	buffer_load_dword v113, off, s[0:3], 0 offset:600
	;; [unrolled: 1-line block ×5, first 2 shown]
	ds_read_b128 v[105:108], v61 offset:1280
	s_clause 0x2
	buffer_load_dword v114, off, s[0:3], 0 offset:604
	buffer_load_dword v119, off, s[0:3], 0 offset:580
	;; [unrolled: 1-line block ×3, first 2 shown]
	s_mov_b32 s4, exec_lo
	s_waitcnt vmcnt(62) lgkmcnt(2)
	v_mul_f64 v[109:110], v[95:96], v[9:10]
	v_mul_f64 v[9:10], v[93:94], v[9:10]
	s_waitcnt lgkmcnt(1)
	v_mul_f64 v[116:117], v[103:104], v[5:6]
	s_waitcnt vmcnt(59) lgkmcnt(0)
	v_mul_f64 v[120:121], v[107:108], v[3:4]
	v_fma_f64 v[93:94], v[93:94], v[7:8], -v[109:110]
	v_mul_f64 v[109:110], v[101:102], v[5:6]
	v_fma_f64 v[9:10], v[95:96], v[7:8], v[9:10]
	s_waitcnt vmcnt(57)
	v_fma_f64 v[101:102], v[101:102], v[1:2], -v[116:117]
	ds_read_b128 v[5:8], v61 offset:1296
	v_mul_f64 v[95:96], v[105:106], v[3:4]
	s_waitcnt vmcnt(51)
	v_fma_f64 v[105:106], v[105:106], v[25:26], -v[120:121]
	v_add_f64 v[93:94], v[93:94], 0
	v_fma_f64 v[103:104], v[103:104], v[1:2], v[109:110]
	v_add_f64 v[9:10], v[9:10], 0
	s_clause 0x4
	buffer_load_dword v110, off, s[0:3], 0 offset:620
	buffer_load_dword v122, off, s[0:3], 0 offset:632
	;; [unrolled: 1-line block ×5, first 2 shown]
	s_waitcnt lgkmcnt(0)
	v_mul_f64 v[125:126], v[5:6], v[13:14]
	v_mul_f64 v[13:14], v[7:8], v[13:14]
	ds_read_b128 v[1:4], v61 offset:1312
	v_fma_f64 v[25:26], v[107:108], v[25:26], v[95:96]
	v_add_f64 v[101:102], v[93:94], v[101:102]
	v_add_f64 v[9:10], v[9:10], v[103:104]
	s_clause 0x2
	buffer_load_dword v123, off, s[0:3], 0 offset:636
	buffer_load_dword v104, off, s[0:3], 0 offset:612
	;; [unrolled: 1-line block ×3, first 2 shown]
	s_waitcnt vmcnt(58) lgkmcnt(0)
	v_mul_f64 v[107:108], v[1:2], v[17:18]
	v_mul_f64 v[17:18], v[3:4], v[17:18]
	s_waitcnt vmcnt(56)
	v_fma_f64 v[13:14], v[5:6], v[19:20], -v[13:14]
	ds_read_b128 v[93:96], v61 offset:1328
	v_fma_f64 v[19:20], v[7:8], v[19:20], v[125:126]
	v_add_f64 v[101:102], v[101:102], v[105:106]
	v_add_f64 v[9:10], v[9:10], v[25:26]
	s_clause 0x4
	buffer_load_dword v26, off, s[0:3], 0 offset:652
	buffer_load_dword v105, off, s[0:3], 0 offset:664
	;; [unrolled: 1-line block ×5, first 2 shown]
	ds_read_b128 v[5:8], v61 offset:1344
	s_waitcnt vmcnt(57) lgkmcnt(1)
	v_mul_f64 v[126:127], v[93:94], v[21:22]
	v_mul_f64 v[21:22], v[95:96], v[21:22]
	s_waitcnt vmcnt(56)
	v_fma_f64 v[17:18], v[1:2], v[11:12], -v[17:18]
	v_fma_f64 v[11:12], v[3:4], v[11:12], v[107:108]
	v_add_f64 v[13:14], v[101:102], v[13:14]
	v_add_f64 v[9:10], v[9:10], v[19:20]
	s_clause 0x2
	buffer_load_dword v106, off, s[0:3], 0 offset:668
	buffer_load_dword v20, off, s[0:3], 0 offset:644
	;; [unrolled: 1-line block ×3, first 2 shown]
	s_waitcnt vmcnt(58) lgkmcnt(0)
	v_mul_f64 v[101:102], v[5:6], v[27:28]
	v_mul_f64 v[27:28], v[7:8], v[27:28]
	s_waitcnt vmcnt(56)
	v_fma_f64 v[21:22], v[93:94], v[29:30], -v[21:22]
	ds_read_b128 v[1:4], v61 offset:1360
	v_add_f64 v[13:14], v[13:14], v[17:18]
	v_fma_f64 v[17:18], v[95:96], v[29:30], v[126:127]
	v_add_f64 v[29:30], v[9:10], v[11:12]
	s_clause 0x4
	buffer_load_dword v94, off, s[0:3], 0 offset:684
	buffer_load_dword v95, off, s[0:3], 0 offset:696
	;; [unrolled: 1-line block ×5, first 2 shown]
	ds_read_b128 v[9:12], v61 offset:1376
	s_waitcnt vmcnt(57) lgkmcnt(1)
	v_mul_f64 v[126:127], v[1:2], v[31:32]
	v_mul_f64 v[31:32], v[3:4], v[31:32]
	s_waitcnt vmcnt(56)
	v_fma_f64 v[27:28], v[5:6], v[15:16], -v[27:28]
	v_fma_f64 v[15:16], v[7:8], v[15:16], v[101:102]
	v_add_f64 v[13:14], v[13:14], v[21:22]
	s_clause 0x2
	buffer_load_dword v96, off, s[0:3], 0 offset:700
	buffer_load_dword v22, off, s[0:3], 0 offset:676
	;; [unrolled: 1-line block ×3, first 2 shown]
	v_add_f64 v[17:18], v[29:30], v[17:18]
	s_waitcnt vmcnt(58) lgkmcnt(0)
	v_mul_f64 v[29:30], v[9:10], v[35:36]
	v_mul_f64 v[35:36], v[11:12], v[35:36]
	ds_read_b128 v[5:8], v61 offset:1392
	s_waitcnt vmcnt(56)
	v_fma_f64 v[31:32], v[1:2], v[37:38], -v[31:32]
	v_add_f64 v[13:14], v[13:14], v[27:28]
	v_fma_f64 v[27:28], v[3:4], v[37:38], v[126:127]
	v_add_f64 v[15:16], v[17:18], v[15:16]
	s_clause 0x4
	buffer_load_dword v18, off, s[0:3], 0 offset:716
	buffer_load_dword v37, off, s[0:3], 0 offset:728
	;; [unrolled: 1-line block ×5, first 2 shown]
	s_waitcnt vmcnt(57) lgkmcnt(0)
	v_mul_f64 v[126:127], v[5:6], v[39:40]
	v_mul_f64 v[39:40], v[7:8], v[39:40]
	s_waitcnt vmcnt(56)
	v_fma_f64 v[35:36], v[9:10], v[23:24], -v[35:36]
	ds_read_b128 v[1:4], v61 offset:1408
	v_fma_f64 v[23:24], v[11:12], v[23:24], v[29:30]
	v_add_f64 v[13:14], v[13:14], v[31:32]
	v_add_f64 v[15:16], v[15:16], v[27:28]
	s_clause 0x2
	buffer_load_dword v38, off, s[0:3], 0 offset:732
	buffer_load_dword v28, off, s[0:3], 0 offset:708
	;; [unrolled: 1-line block ×3, first 2 shown]
	ds_read_b128 v[9:12], v61 offset:1424
	s_waitcnt vmcnt(58) lgkmcnt(1)
	v_mul_f64 v[31:32], v[3:4], v[43:44]
	s_waitcnt vmcnt(56)
	v_fma_f64 v[39:40], v[5:6], v[45:46], -v[39:40]
	v_mul_f64 v[29:30], v[1:2], v[43:44]
	v_add_f64 v[13:14], v[13:14], v[35:36]
	v_fma_f64 v[35:36], v[7:8], v[45:46], v[126:127]
	v_add_f64 v[15:16], v[15:16], v[23:24]
	s_clause 0x4
	buffer_load_dword v24, off, s[0:3], 0 offset:748
	buffer_load_dword v43, off, s[0:3], 0 offset:760
	;; [unrolled: 1-line block ×5, first 2 shown]
	s_waitcnt vmcnt(57) lgkmcnt(0)
	v_mul_f64 v[126:127], v[9:10], v[47:48]
	v_mul_f64 v[46:47], v[11:12], v[47:48]
	s_waitcnt vmcnt(56)
	v_fma_f64 v[31:32], v[1:2], v[33:34], -v[31:32]
	ds_read_b128 v[5:8], v61 offset:1440
	v_fma_f64 v[29:30], v[3:4], v[33:34], v[29:30]
	s_clause 0x2
	buffer_load_dword v44, off, s[0:3], 0 offset:764
	buffer_load_dword v34, off, s[0:3], 0 offset:740
	;; [unrolled: 1-line block ×3, first 2 shown]
	ds_read_b128 v[1:4], v61 offset:1456
	v_add_f64 v[13:14], v[13:14], v[39:40]
	v_add_f64 v[15:16], v[15:16], v[35:36]
	s_waitcnt vmcnt(58) lgkmcnt(1)
	v_mul_f64 v[39:40], v[7:8], v[51:52]
	s_waitcnt vmcnt(56)
	v_fma_f64 v[47:48], v[9:10], v[53:54], -v[46:47]
	v_mul_f64 v[35:36], v[5:6], v[51:52]
	v_add_f64 v[13:14], v[13:14], v[31:32]
	v_fma_f64 v[31:32], v[11:12], v[53:54], v[126:127]
	v_add_f64 v[15:16], v[15:16], v[29:30]
	s_clause 0x4
	buffer_load_dword v30, off, s[0:3], 0 offset:780
	buffer_load_dword v51, off, s[0:3], 0 offset:792
	;; [unrolled: 1-line block ×5, first 2 shown]
	s_waitcnt vmcnt(57) lgkmcnt(0)
	v_mul_f64 v[126:127], v[1:2], v[55:56]
	v_mul_f64 v[54:55], v[3:4], v[55:56]
	s_waitcnt vmcnt(56)
	v_fma_f64 v[39:40], v[5:6], v[41:42], -v[39:40]
	ds_read_b128 v[9:12], v61 offset:1472
	v_fma_f64 v[35:36], v[7:8], v[41:42], v[35:36]
	v_add_f64 v[13:14], v[13:14], v[47:48]
	v_add_f64 v[15:16], v[15:16], v[31:32]
	s_clause 0x2
	buffer_load_dword v52, off, s[0:3], 0 offset:796
	buffer_load_dword v32, off, s[0:3], 0 offset:772
	;; [unrolled: 1-line block ×3, first 2 shown]
	ds_read_b128 v[5:8], v61 offset:1488
	s_waitcnt vmcnt(58) lgkmcnt(1)
	v_mul_f64 v[47:48], v[11:12], v[57:58]
	s_waitcnt vmcnt(56)
	v_fma_f64 v[55:56], v[1:2], v[59:60], -v[54:55]
	v_mul_f64 v[41:42], v[9:10], v[57:58]
	v_add_f64 v[13:14], v[13:14], v[39:40]
	v_fma_f64 v[39:40], v[3:4], v[59:60], v[126:127]
	v_add_f64 v[15:16], v[15:16], v[35:36]
	s_clause 0x4
	buffer_load_dword v36, off, s[0:3], 0 offset:812
	buffer_load_dword v57, off, s[0:3], 0 offset:824
	;; [unrolled: 1-line block ×5, first 2 shown]
	s_waitcnt vmcnt(57) lgkmcnt(0)
	v_mul_f64 v[126:127], v[5:6], v[111:112]
	v_mul_f64 v[111:112], v[7:8], v[111:112]
	s_waitcnt vmcnt(56)
	v_fma_f64 v[47:48], v[9:10], v[49:50], -v[47:48]
	ds_read_b128 v[1:4], v61 offset:1504
	v_fma_f64 v[41:42], v[11:12], v[49:50], v[41:42]
	v_add_f64 v[13:14], v[13:14], v[55:56]
	v_add_f64 v[15:16], v[15:16], v[39:40]
	s_clause 0x2
	buffer_load_dword v58, off, s[0:3], 0 offset:828
	buffer_load_dword v40, off, s[0:3], 0 offset:804
	;; [unrolled: 1-line block ×3, first 2 shown]
	ds_read_b128 v[9:12], v61 offset:1520
	s_waitcnt vmcnt(58) lgkmcnt(1)
	v_mul_f64 v[55:56], v[3:4], v[113:114]
	s_waitcnt vmcnt(56)
	v_fma_f64 v[111:112], v[5:6], v[118:119], -v[111:112]
	v_mul_f64 v[49:50], v[1:2], v[113:114]
	v_add_f64 v[13:14], v[13:14], v[47:48]
	v_fma_f64 v[47:48], v[7:8], v[118:119], v[126:127]
	v_add_f64 v[15:16], v[15:16], v[41:42]
	s_clause 0x4
	buffer_load_dword v42, off, s[0:3], 0 offset:844
	buffer_load_dword v113, off, s[0:3], 0 offset:856
	;; [unrolled: 1-line block ×5, first 2 shown]
	ds_read_b128 v[5:8], v61 offset:1536
	s_waitcnt vmcnt(57) lgkmcnt(1)
	v_mul_f64 v[118:119], v[9:10], v[109:110]
	v_mul_f64 v[109:110], v[11:12], v[109:110]
	s_waitcnt vmcnt(56)
	v_fma_f64 v[55:56], v[1:2], v[115:116], -v[55:56]
	v_fma_f64 v[49:50], v[3:4], v[115:116], v[49:50]
	v_add_f64 v[13:14], v[13:14], v[111:112]
	v_add_f64 v[15:16], v[15:16], v[47:48]
	s_clause 0x2
	buffer_load_dword v114, off, s[0:3], 0 offset:860
	buffer_load_dword v48, off, s[0:3], 0 offset:836
	;; [unrolled: 1-line block ×3, first 2 shown]
	ds_read_b128 v[1:4], v61 offset:1552
	s_waitcnt vmcnt(58) lgkmcnt(1)
	v_mul_f64 v[115:116], v[7:8], v[122:123]
	v_mul_f64 v[111:112], v[5:6], v[122:123]
	s_waitcnt vmcnt(56)
	v_fma_f64 v[109:110], v[9:10], v[103:104], -v[109:110]
	v_add_f64 v[13:14], v[13:14], v[55:56]
	v_fma_f64 v[55:56], v[11:12], v[103:104], v[118:119]
	v_add_f64 v[15:16], v[15:16], v[49:50]
	s_clause 0x4
	buffer_load_dword v50, off, s[0:3], 0 offset:876
	buffer_load_dword v103, off, s[0:3], 0 offset:888
	;; [unrolled: 1-line block ×5, first 2 shown]
	ds_read_b128 v[9:12], v61 offset:1568
	s_waitcnt vmcnt(57) lgkmcnt(1)
	v_mul_f64 v[126:127], v[1:2], v[25:26]
	v_mul_f64 v[25:26], v[3:4], v[25:26]
	s_waitcnt vmcnt(56)
	v_fma_f64 v[115:116], v[5:6], v[124:125], -v[115:116]
	v_add_f64 v[13:14], v[13:14], v[109:110]
	v_fma_f64 v[109:110], v[7:8], v[124:125], v[111:112]
	v_add_f64 v[15:16], v[15:16], v[55:56]
	s_clause 0x2
	buffer_load_dword v104, off, s[0:3], 0 offset:892
	buffer_load_dword v56, off, s[0:3], 0 offset:868
	;; [unrolled: 1-line block ×3, first 2 shown]
	ds_read_b128 v[5:8], v61 offset:1584
	s_waitcnt vmcnt(58) lgkmcnt(1)
	v_mul_f64 v[111:112], v[9:10], v[105:106]
	v_mul_f64 v[105:106], v[11:12], v[105:106]
	s_waitcnt vmcnt(56)
	v_fma_f64 v[25:26], v[1:2], v[19:20], -v[25:26]
	v_fma_f64 v[19:20], v[3:4], v[19:20], v[126:127]
	v_add_f64 v[13:14], v[13:14], v[115:116]
	v_add_f64 v[15:16], v[15:16], v[109:110]
	s_clause 0x4
	buffer_load_dword v110, off, s[0:3], 0 offset:908
	buffer_load_dword v115, off, s[0:3], 0 offset:920
	;; [unrolled: 1-line block ×5, first 2 shown]
	ds_read_b128 v[1:4], v61 offset:1600
	s_waitcnt vmcnt(57) lgkmcnt(1)
	v_mul_f64 v[124:125], v[5:6], v[93:94]
	v_mul_f64 v[93:94], v[7:8], v[93:94]
	s_waitcnt vmcnt(56)
	v_fma_f64 v[105:106], v[9:10], v[120:121], -v[105:106]
	v_add_f64 v[13:14], v[13:14], v[25:26]
	v_fma_f64 v[25:26], v[11:12], v[120:121], v[111:112]
	v_add_f64 v[15:16], v[15:16], v[19:20]
	s_clause 0x2
	buffer_load_dword v116, off, s[0:3], 0 offset:924
	buffer_load_dword v20, off, s[0:3], 0 offset:900
	;; [unrolled: 1-line block ×3, first 2 shown]
	ds_read_b128 v[9:12], v61 offset:1616
	s_waitcnt vmcnt(58) lgkmcnt(1)
	v_mul_f64 v[111:112], v[1:2], v[95:96]
	v_mul_f64 v[95:96], v[3:4], v[95:96]
	s_waitcnt vmcnt(56)
	v_fma_f64 v[93:94], v[5:6], v[21:22], -v[93:94]
	v_fma_f64 v[21:22], v[7:8], v[21:22], v[124:125]
	v_add_f64 v[13:14], v[13:14], v[105:106]
	v_add_f64 v[15:16], v[15:16], v[25:26]
	s_clause 0x2
	buffer_load_dword v26, off, s[0:3], 0 offset:940
	buffer_load_dword v25, off, s[0:3], 0 offset:936
	;; [unrolled: 1-line block ×3, first 2 shown]
	ds_read_b128 v[5:8], v61 offset:1632
	s_waitcnt vmcnt(55) lgkmcnt(1)
	v_mul_f64 v[105:106], v[9:10], v[17:18]
	v_mul_f64 v[17:18], v[11:12], v[17:18]
	s_waitcnt vmcnt(54)
	v_fma_f64 v[95:96], v[1:2], v[107:108], -v[95:96]
	v_add_f64 v[13:14], v[13:14], v[93:94]
	v_fma_f64 v[93:94], v[3:4], v[107:108], v[111:112]
	v_add_f64 v[15:16], v[15:16], v[21:22]
	s_clause 0x1
	buffer_load_dword v22, off, s[0:3], 0 offset:932
	buffer_load_dword v21, off, s[0:3], 0 offset:928
	ds_read_b128 v[1:4], v61 offset:1648
	s_waitcnt vmcnt(55) lgkmcnt(1)
	v_mul_f64 v[107:108], v[5:6], v[37:38]
	v_mul_f64 v[37:38], v[7:8], v[37:38]
	s_waitcnt vmcnt(53)
	v_fma_f64 v[17:18], v[9:10], v[27:28], -v[17:18]
	v_fma_f64 v[27:28], v[11:12], v[27:28], v[105:106]
	ds_read_b128 v[9:12], v61 offset:1664
	v_add_f64 v[13:14], v[13:14], v[95:96]
	v_add_f64 v[15:16], v[15:16], v[93:94]
	s_waitcnt vmcnt(49) lgkmcnt(1)
	v_mul_f64 v[93:94], v[1:2], v[23:24]
	v_mul_f64 v[23:24], v[3:4], v[23:24]
	s_waitcnt vmcnt(48)
	v_fma_f64 v[37:38], v[5:6], v[101:102], -v[37:38]
	v_add_f64 v[13:14], v[13:14], v[17:18]
	v_fma_f64 v[17:18], v[7:8], v[101:102], v[107:108]
	v_add_f64 v[15:16], v[15:16], v[27:28]
	s_clause 0x3
	buffer_load_dword v27, off, s[0:3], 0 offset:320
	buffer_load_dword v28, off, s[0:3], 0 offset:324
	;; [unrolled: 1-line block ×4, first 2 shown]
	s_waitcnt vmcnt(51) lgkmcnt(0)
	v_mul_f64 v[101:102], v[9:10], v[43:44]
	v_mul_f64 v[43:44], v[11:12], v[43:44]
	ds_read_b128 v[5:8], v61 offset:1680
	s_waitcnt vmcnt(49)
	v_fma_f64 v[23:24], v[1:2], v[33:34], -v[23:24]
	v_fma_f64 v[33:34], v[3:4], v[33:34], v[93:94]
	ds_read_b128 v[1:4], v61 offset:1696
	v_add_f64 v[13:14], v[13:14], v[37:38]
	v_add_f64 v[15:16], v[15:16], v[17:18]
	s_waitcnt vmcnt(45) lgkmcnt(1)
	v_mul_f64 v[17:18], v[5:6], v[29:30]
	v_mul_f64 v[29:30], v[7:8], v[29:30]
	s_waitcnt vmcnt(44)
	v_fma_f64 v[37:38], v[9:10], v[45:46], -v[43:44]
	v_add_f64 v[13:14], v[13:14], v[23:24]
	v_fma_f64 v[23:24], v[11:12], v[45:46], v[101:102]
	v_add_f64 v[15:16], v[15:16], v[33:34]
	ds_read_b128 v[9:12], v61 offset:1712
	s_waitcnt vmcnt(43) lgkmcnt(1)
	v_mul_f64 v[43:44], v[3:4], v[51:52]
	v_mul_f64 v[33:34], v[1:2], v[51:52]
	s_waitcnt vmcnt(41)
	v_fma_f64 v[29:30], v[5:6], v[31:32], -v[29:30]
	v_fma_f64 v[17:18], v[7:8], v[31:32], v[17:18]
	ds_read_b128 v[5:8], v61 offset:1728
	v_add_f64 v[13:14], v[13:14], v[37:38]
	v_add_f64 v[15:16], v[15:16], v[23:24]
	s_waitcnt vmcnt(37) lgkmcnt(1)
	v_mul_f64 v[23:24], v[9:10], v[35:36]
	v_mul_f64 v[31:32], v[11:12], v[35:36]
	s_waitcnt vmcnt(36)
	v_fma_f64 v[35:36], v[1:2], v[53:54], -v[43:44]
	v_add_f64 v[13:14], v[13:14], v[29:30]
	v_fma_f64 v[29:30], v[3:4], v[53:54], v[33:34]
	v_add_f64 v[15:16], v[15:16], v[17:18]
	ds_read_b128 v[1:4], v61 offset:1744
	s_waitcnt vmcnt(35) lgkmcnt(1)
	v_mul_f64 v[33:34], v[7:8], v[57:58]
	v_mul_f64 v[17:18], v[5:6], v[57:58]
	s_waitcnt vmcnt(33)
	v_fma_f64 v[31:32], v[9:10], v[39:40], -v[31:32]
	v_fma_f64 v[23:24], v[11:12], v[39:40], v[23:24]
	ds_read_b128 v[9:12], v61 offset:1760
	v_add_f64 v[13:14], v[13:14], v[35:36]
	v_add_f64 v[15:16], v[15:16], v[29:30]
	s_waitcnt vmcnt(29) lgkmcnt(1)
	v_mul_f64 v[35:36], v[3:4], v[41:42]
	s_waitcnt vmcnt(28)
	v_fma_f64 v[33:34], v[5:6], v[59:60], -v[33:34]
	v_mul_f64 v[29:30], v[1:2], v[41:42]
	v_fma_f64 v[17:18], v[7:8], v[59:60], v[17:18]
	ds_read_b128 v[5:8], v61 offset:1776
	v_add_f64 v[13:14], v[13:14], v[31:32]
	v_add_f64 v[15:16], v[15:16], v[23:24]
	s_waitcnt vmcnt(27) lgkmcnt(1)
	v_mul_f64 v[31:32], v[11:12], v[113:114]
	v_mul_f64 v[23:24], v[9:10], v[113:114]
	s_waitcnt vmcnt(25)
	v_fma_f64 v[35:36], v[1:2], v[47:48], -v[35:36]
	v_fma_f64 v[29:30], v[3:4], v[47:48], v[29:30]
	ds_read_b128 v[1:4], v61 offset:1792
	v_add_f64 v[13:14], v[13:14], v[33:34]
	v_add_f64 v[15:16], v[15:16], v[17:18]
	s_waitcnt vmcnt(21) lgkmcnt(1)
	v_mul_f64 v[33:34], v[7:8], v[49:50]
	s_waitcnt vmcnt(20)
	v_fma_f64 v[31:32], v[9:10], v[117:118], -v[31:32]
	v_mul_f64 v[17:18], v[5:6], v[49:50]
	v_fma_f64 v[23:24], v[11:12], v[117:118], v[23:24]
	ds_read_b128 v[9:12], v61 offset:1808
	v_add_f64 v[13:14], v[13:14], v[35:36]
	v_add_f64 v[15:16], v[15:16], v[29:30]
	;; [unrolled: 18-line block ×3, first 2 shown]
	s_waitcnt vmcnt(11) lgkmcnt(1)
	v_mul_f64 v[33:34], v[7:8], v[115:116]
	v_mul_f64 v[17:18], v[5:6], v[115:116]
	s_waitcnt vmcnt(9)
	v_fma_f64 v[9:10], v[9:10], v[19:20], -v[31:32]
	v_fma_f64 v[11:12], v[11:12], v[19:20], v[23:24]
	v_add_f64 v[13:14], v[13:14], v[35:36]
	v_add_f64 v[15:16], v[15:16], v[29:30]
	s_waitcnt vmcnt(7) lgkmcnt(0)
	v_mul_f64 v[23:24], v[3:4], v[25:26]
	s_waitcnt vmcnt(6)
	v_fma_f64 v[5:6], v[5:6], v[119:120], -v[33:34]
	v_mul_f64 v[19:20], v[1:2], v[25:26]
	v_fma_f64 v[7:8], v[7:8], v[119:120], v[17:18]
	v_add_f64 v[9:10], v[13:14], v[9:10]
	v_add_f64 v[11:12], v[15:16], v[11:12]
	s_waitcnt vmcnt(4)
	v_fma_f64 v[1:2], v[1:2], v[21:22], -v[23:24]
	v_fma_f64 v[3:4], v[3:4], v[21:22], v[19:20]
	v_add_f64 v[5:6], v[9:10], v[5:6]
	v_add_f64 v[7:8], v[11:12], v[7:8]
	;; [unrolled: 1-line block ×4, first 2 shown]
	s_waitcnt vmcnt(2)
	v_add_f64 v[1:2], v[27:28], -v[1:2]
	s_waitcnt vmcnt(0)
	v_add_f64 v[3:4], v[95:96], -v[3:4]
	buffer_store_dword v2, off, s[0:3], 0 offset:324
	buffer_store_dword v1, off, s[0:3], 0 offset:320
	;; [unrolled: 1-line block ×4, first 2 shown]
	v_cmpx_lt_u32_e32 18, v0
	s_cbranch_execz .LBB57_325
; %bb.324:
	v_mov_b32_e32 v4, s52
	v_mov_b32_e32 v5, 0
	s_clause 0x3
	buffer_load_dword v1, v4, s[0:3], 0 offen
	buffer_load_dword v2, v4, s[0:3], 0 offen offset:4
	buffer_load_dword v3, v4, s[0:3], 0 offen offset:8
	;; [unrolled: 1-line block ×3, first 2 shown]
	buffer_store_dword v5, off, s[0:3], 0 offset:304
	buffer_store_dword v5, off, s[0:3], 0 offset:308
	;; [unrolled: 1-line block ×4, first 2 shown]
	s_waitcnt vmcnt(0)
	ds_write_b128 v63, v[1:4]
.LBB57_325:
	s_or_b32 exec_lo, exec_lo, s4
	s_waitcnt lgkmcnt(0)
	s_waitcnt_vscnt null, 0x0
	s_barrier
	buffer_gl0_inv
	s_clause 0x37
	buffer_load_dword v9, off, s[0:3], 0 offset:328
	buffer_load_dword v10, off, s[0:3], 0 offset:332
	;; [unrolled: 1-line block ×56, first 2 shown]
	v_mov_b32_e32 v61, 0
	s_mov_b32 s4, exec_lo
	ds_read_b128 v[93:96], v61 offset:1232
	s_clause 0x2
	buffer_load_dword v58, off, s[0:3], 0 offset:556
	buffer_load_dword v60, off, s[0:3], 0 offset:532
	;; [unrolled: 1-line block ×3, first 2 shown]
	ds_read_b128 v[101:104], v61 offset:1248
	s_clause 0x4
	buffer_load_dword v112, off, s[0:3], 0 offset:572
	buffer_load_dword v113, off, s[0:3], 0 offset:584
	;; [unrolled: 1-line block ×5, first 2 shown]
	ds_read_b128 v[105:108], v61 offset:1264
	s_clause 0x2
	buffer_load_dword v114, off, s[0:3], 0 offset:588
	buffer_load_dword v119, off, s[0:3], 0 offset:564
	;; [unrolled: 1-line block ×3, first 2 shown]
	s_waitcnt vmcnt(62) lgkmcnt(2)
	v_mul_f64 v[109:110], v[95:96], v[9:10]
	v_mul_f64 v[9:10], v[93:94], v[9:10]
	s_waitcnt lgkmcnt(1)
	v_mul_f64 v[116:117], v[103:104], v[5:6]
	s_waitcnt vmcnt(59) lgkmcnt(0)
	v_mul_f64 v[120:121], v[107:108], v[3:4]
	v_fma_f64 v[93:94], v[93:94], v[7:8], -v[109:110]
	v_mul_f64 v[109:110], v[101:102], v[5:6]
	v_fma_f64 v[9:10], v[95:96], v[7:8], v[9:10]
	s_waitcnt vmcnt(57)
	v_fma_f64 v[101:102], v[101:102], v[1:2], -v[116:117]
	ds_read_b128 v[5:8], v61 offset:1280
	v_mul_f64 v[95:96], v[105:106], v[3:4]
	s_waitcnt vmcnt(51)
	v_fma_f64 v[105:106], v[105:106], v[25:26], -v[120:121]
	v_add_f64 v[93:94], v[93:94], 0
	v_fma_f64 v[103:104], v[103:104], v[1:2], v[109:110]
	v_add_f64 v[9:10], v[9:10], 0
	s_clause 0x4
	buffer_load_dword v110, off, s[0:3], 0 offset:604
	buffer_load_dword v122, off, s[0:3], 0 offset:616
	;; [unrolled: 1-line block ×5, first 2 shown]
	s_waitcnt lgkmcnt(0)
	v_mul_f64 v[125:126], v[5:6], v[13:14]
	v_mul_f64 v[13:14], v[7:8], v[13:14]
	ds_read_b128 v[1:4], v61 offset:1296
	v_fma_f64 v[25:26], v[107:108], v[25:26], v[95:96]
	v_add_f64 v[101:102], v[93:94], v[101:102]
	v_add_f64 v[9:10], v[9:10], v[103:104]
	s_clause 0x2
	buffer_load_dword v123, off, s[0:3], 0 offset:620
	buffer_load_dword v104, off, s[0:3], 0 offset:596
	;; [unrolled: 1-line block ×3, first 2 shown]
	s_waitcnt vmcnt(58) lgkmcnt(0)
	v_mul_f64 v[107:108], v[1:2], v[17:18]
	v_mul_f64 v[17:18], v[3:4], v[17:18]
	s_waitcnt vmcnt(56)
	v_fma_f64 v[13:14], v[5:6], v[19:20], -v[13:14]
	ds_read_b128 v[93:96], v61 offset:1312
	v_fma_f64 v[19:20], v[7:8], v[19:20], v[125:126]
	v_add_f64 v[101:102], v[101:102], v[105:106]
	v_add_f64 v[9:10], v[9:10], v[25:26]
	s_clause 0x4
	buffer_load_dword v26, off, s[0:3], 0 offset:636
	buffer_load_dword v105, off, s[0:3], 0 offset:648
	;; [unrolled: 1-line block ×5, first 2 shown]
	ds_read_b128 v[5:8], v61 offset:1328
	s_waitcnt vmcnt(57) lgkmcnt(1)
	v_mul_f64 v[126:127], v[93:94], v[21:22]
	v_mul_f64 v[21:22], v[95:96], v[21:22]
	s_waitcnt vmcnt(56)
	v_fma_f64 v[17:18], v[1:2], v[11:12], -v[17:18]
	v_fma_f64 v[11:12], v[3:4], v[11:12], v[107:108]
	v_add_f64 v[13:14], v[101:102], v[13:14]
	v_add_f64 v[9:10], v[9:10], v[19:20]
	s_clause 0x2
	buffer_load_dword v106, off, s[0:3], 0 offset:652
	buffer_load_dword v20, off, s[0:3], 0 offset:628
	;; [unrolled: 1-line block ×3, first 2 shown]
	s_waitcnt vmcnt(58) lgkmcnt(0)
	v_mul_f64 v[101:102], v[5:6], v[27:28]
	v_mul_f64 v[27:28], v[7:8], v[27:28]
	s_waitcnt vmcnt(56)
	v_fma_f64 v[21:22], v[93:94], v[29:30], -v[21:22]
	ds_read_b128 v[1:4], v61 offset:1344
	v_add_f64 v[13:14], v[13:14], v[17:18]
	v_fma_f64 v[17:18], v[95:96], v[29:30], v[126:127]
	v_add_f64 v[29:30], v[9:10], v[11:12]
	s_clause 0x4
	buffer_load_dword v94, off, s[0:3], 0 offset:668
	buffer_load_dword v95, off, s[0:3], 0 offset:680
	;; [unrolled: 1-line block ×5, first 2 shown]
	ds_read_b128 v[9:12], v61 offset:1360
	s_waitcnt vmcnt(57) lgkmcnt(1)
	v_mul_f64 v[126:127], v[1:2], v[31:32]
	v_mul_f64 v[31:32], v[3:4], v[31:32]
	s_waitcnt vmcnt(56)
	v_fma_f64 v[27:28], v[5:6], v[15:16], -v[27:28]
	v_fma_f64 v[15:16], v[7:8], v[15:16], v[101:102]
	v_add_f64 v[13:14], v[13:14], v[21:22]
	s_clause 0x2
	buffer_load_dword v96, off, s[0:3], 0 offset:684
	buffer_load_dword v22, off, s[0:3], 0 offset:660
	;; [unrolled: 1-line block ×3, first 2 shown]
	v_add_f64 v[17:18], v[29:30], v[17:18]
	s_waitcnt vmcnt(58) lgkmcnt(0)
	v_mul_f64 v[29:30], v[9:10], v[35:36]
	v_mul_f64 v[35:36], v[11:12], v[35:36]
	ds_read_b128 v[5:8], v61 offset:1376
	s_waitcnt vmcnt(56)
	v_fma_f64 v[31:32], v[1:2], v[37:38], -v[31:32]
	v_add_f64 v[13:14], v[13:14], v[27:28]
	v_fma_f64 v[27:28], v[3:4], v[37:38], v[126:127]
	v_add_f64 v[15:16], v[17:18], v[15:16]
	s_clause 0x4
	buffer_load_dword v18, off, s[0:3], 0 offset:700
	buffer_load_dword v37, off, s[0:3], 0 offset:712
	;; [unrolled: 1-line block ×5, first 2 shown]
	s_waitcnt vmcnt(57) lgkmcnt(0)
	v_mul_f64 v[126:127], v[5:6], v[39:40]
	v_mul_f64 v[39:40], v[7:8], v[39:40]
	s_waitcnt vmcnt(56)
	v_fma_f64 v[35:36], v[9:10], v[23:24], -v[35:36]
	ds_read_b128 v[1:4], v61 offset:1392
	v_fma_f64 v[23:24], v[11:12], v[23:24], v[29:30]
	v_add_f64 v[13:14], v[13:14], v[31:32]
	v_add_f64 v[15:16], v[15:16], v[27:28]
	s_clause 0x2
	buffer_load_dword v38, off, s[0:3], 0 offset:716
	buffer_load_dword v28, off, s[0:3], 0 offset:692
	buffer_load_dword v27, off, s[0:3], 0 offset:688
	ds_read_b128 v[9:12], v61 offset:1408
	s_waitcnt vmcnt(58) lgkmcnt(1)
	v_mul_f64 v[31:32], v[3:4], v[43:44]
	s_waitcnt vmcnt(56)
	v_fma_f64 v[39:40], v[5:6], v[45:46], -v[39:40]
	v_mul_f64 v[29:30], v[1:2], v[43:44]
	v_add_f64 v[13:14], v[13:14], v[35:36]
	v_fma_f64 v[35:36], v[7:8], v[45:46], v[126:127]
	v_add_f64 v[15:16], v[15:16], v[23:24]
	s_clause 0x4
	buffer_load_dword v24, off, s[0:3], 0 offset:732
	buffer_load_dword v43, off, s[0:3], 0 offset:744
	;; [unrolled: 1-line block ×5, first 2 shown]
	s_waitcnt vmcnt(57) lgkmcnt(0)
	v_mul_f64 v[126:127], v[9:10], v[47:48]
	v_mul_f64 v[46:47], v[11:12], v[47:48]
	s_waitcnt vmcnt(56)
	v_fma_f64 v[31:32], v[1:2], v[33:34], -v[31:32]
	ds_read_b128 v[5:8], v61 offset:1424
	v_fma_f64 v[29:30], v[3:4], v[33:34], v[29:30]
	s_clause 0x2
	buffer_load_dword v44, off, s[0:3], 0 offset:748
	buffer_load_dword v34, off, s[0:3], 0 offset:724
	;; [unrolled: 1-line block ×3, first 2 shown]
	ds_read_b128 v[1:4], v61 offset:1440
	v_add_f64 v[13:14], v[13:14], v[39:40]
	v_add_f64 v[15:16], v[15:16], v[35:36]
	s_waitcnt vmcnt(58) lgkmcnt(1)
	v_mul_f64 v[39:40], v[7:8], v[51:52]
	s_waitcnt vmcnt(56)
	v_fma_f64 v[47:48], v[9:10], v[53:54], -v[46:47]
	v_mul_f64 v[35:36], v[5:6], v[51:52]
	v_add_f64 v[13:14], v[13:14], v[31:32]
	v_fma_f64 v[31:32], v[11:12], v[53:54], v[126:127]
	v_add_f64 v[15:16], v[15:16], v[29:30]
	s_clause 0x4
	buffer_load_dword v30, off, s[0:3], 0 offset:764
	buffer_load_dword v51, off, s[0:3], 0 offset:776
	;; [unrolled: 1-line block ×5, first 2 shown]
	s_waitcnt vmcnt(57) lgkmcnt(0)
	v_mul_f64 v[126:127], v[1:2], v[55:56]
	v_mul_f64 v[54:55], v[3:4], v[55:56]
	s_waitcnt vmcnt(56)
	v_fma_f64 v[39:40], v[5:6], v[41:42], -v[39:40]
	ds_read_b128 v[9:12], v61 offset:1456
	v_fma_f64 v[35:36], v[7:8], v[41:42], v[35:36]
	v_add_f64 v[13:14], v[13:14], v[47:48]
	v_add_f64 v[15:16], v[15:16], v[31:32]
	s_clause 0x2
	buffer_load_dword v52, off, s[0:3], 0 offset:780
	buffer_load_dword v32, off, s[0:3], 0 offset:756
	;; [unrolled: 1-line block ×3, first 2 shown]
	ds_read_b128 v[5:8], v61 offset:1472
	s_waitcnt vmcnt(58) lgkmcnt(1)
	v_mul_f64 v[47:48], v[11:12], v[57:58]
	s_waitcnt vmcnt(56)
	v_fma_f64 v[55:56], v[1:2], v[59:60], -v[54:55]
	v_mul_f64 v[41:42], v[9:10], v[57:58]
	v_add_f64 v[13:14], v[13:14], v[39:40]
	v_fma_f64 v[39:40], v[3:4], v[59:60], v[126:127]
	v_add_f64 v[15:16], v[15:16], v[35:36]
	s_clause 0x4
	buffer_load_dword v36, off, s[0:3], 0 offset:796
	buffer_load_dword v57, off, s[0:3], 0 offset:808
	;; [unrolled: 1-line block ×5, first 2 shown]
	s_waitcnt vmcnt(57) lgkmcnt(0)
	v_mul_f64 v[126:127], v[5:6], v[111:112]
	v_mul_f64 v[111:112], v[7:8], v[111:112]
	s_waitcnt vmcnt(56)
	v_fma_f64 v[47:48], v[9:10], v[49:50], -v[47:48]
	ds_read_b128 v[1:4], v61 offset:1488
	v_fma_f64 v[41:42], v[11:12], v[49:50], v[41:42]
	v_add_f64 v[13:14], v[13:14], v[55:56]
	v_add_f64 v[15:16], v[15:16], v[39:40]
	s_clause 0x2
	buffer_load_dword v58, off, s[0:3], 0 offset:812
	buffer_load_dword v40, off, s[0:3], 0 offset:788
	;; [unrolled: 1-line block ×3, first 2 shown]
	ds_read_b128 v[9:12], v61 offset:1504
	s_waitcnt vmcnt(58) lgkmcnt(1)
	v_mul_f64 v[55:56], v[3:4], v[113:114]
	s_waitcnt vmcnt(56)
	v_fma_f64 v[111:112], v[5:6], v[118:119], -v[111:112]
	v_mul_f64 v[49:50], v[1:2], v[113:114]
	v_add_f64 v[13:14], v[13:14], v[47:48]
	v_fma_f64 v[47:48], v[7:8], v[118:119], v[126:127]
	v_add_f64 v[15:16], v[15:16], v[41:42]
	s_clause 0x4
	buffer_load_dword v42, off, s[0:3], 0 offset:828
	buffer_load_dword v113, off, s[0:3], 0 offset:840
	;; [unrolled: 1-line block ×5, first 2 shown]
	ds_read_b128 v[5:8], v61 offset:1520
	s_waitcnt vmcnt(57) lgkmcnt(1)
	v_mul_f64 v[118:119], v[9:10], v[109:110]
	v_mul_f64 v[109:110], v[11:12], v[109:110]
	s_waitcnt vmcnt(56)
	v_fma_f64 v[55:56], v[1:2], v[115:116], -v[55:56]
	v_fma_f64 v[49:50], v[3:4], v[115:116], v[49:50]
	v_add_f64 v[13:14], v[13:14], v[111:112]
	v_add_f64 v[15:16], v[15:16], v[47:48]
	s_clause 0x2
	buffer_load_dword v114, off, s[0:3], 0 offset:844
	buffer_load_dword v48, off, s[0:3], 0 offset:820
	;; [unrolled: 1-line block ×3, first 2 shown]
	ds_read_b128 v[1:4], v61 offset:1536
	s_waitcnt vmcnt(58) lgkmcnt(1)
	v_mul_f64 v[115:116], v[7:8], v[122:123]
	v_mul_f64 v[111:112], v[5:6], v[122:123]
	s_waitcnt vmcnt(56)
	v_fma_f64 v[109:110], v[9:10], v[103:104], -v[109:110]
	v_add_f64 v[13:14], v[13:14], v[55:56]
	v_fma_f64 v[55:56], v[11:12], v[103:104], v[118:119]
	v_add_f64 v[15:16], v[15:16], v[49:50]
	s_clause 0x4
	buffer_load_dword v50, off, s[0:3], 0 offset:860
	buffer_load_dword v103, off, s[0:3], 0 offset:872
	;; [unrolled: 1-line block ×5, first 2 shown]
	ds_read_b128 v[9:12], v61 offset:1552
	s_waitcnt vmcnt(57) lgkmcnt(1)
	v_mul_f64 v[126:127], v[1:2], v[25:26]
	v_mul_f64 v[25:26], v[3:4], v[25:26]
	s_waitcnt vmcnt(56)
	v_fma_f64 v[115:116], v[5:6], v[124:125], -v[115:116]
	v_add_f64 v[13:14], v[13:14], v[109:110]
	v_fma_f64 v[109:110], v[7:8], v[124:125], v[111:112]
	v_add_f64 v[15:16], v[15:16], v[55:56]
	s_clause 0x2
	buffer_load_dword v104, off, s[0:3], 0 offset:876
	buffer_load_dword v56, off, s[0:3], 0 offset:852
	;; [unrolled: 1-line block ×3, first 2 shown]
	ds_read_b128 v[5:8], v61 offset:1568
	s_waitcnt vmcnt(58) lgkmcnt(1)
	v_mul_f64 v[111:112], v[9:10], v[105:106]
	v_mul_f64 v[105:106], v[11:12], v[105:106]
	s_waitcnt vmcnt(56)
	v_fma_f64 v[25:26], v[1:2], v[19:20], -v[25:26]
	v_fma_f64 v[19:20], v[3:4], v[19:20], v[126:127]
	v_add_f64 v[13:14], v[13:14], v[115:116]
	v_add_f64 v[15:16], v[15:16], v[109:110]
	s_clause 0x4
	buffer_load_dword v110, off, s[0:3], 0 offset:892
	buffer_load_dword v115, off, s[0:3], 0 offset:904
	;; [unrolled: 1-line block ×5, first 2 shown]
	ds_read_b128 v[1:4], v61 offset:1584
	s_waitcnt vmcnt(57) lgkmcnt(1)
	v_mul_f64 v[124:125], v[5:6], v[93:94]
	v_mul_f64 v[93:94], v[7:8], v[93:94]
	s_waitcnt vmcnt(56)
	v_fma_f64 v[105:106], v[9:10], v[120:121], -v[105:106]
	v_add_f64 v[13:14], v[13:14], v[25:26]
	v_fma_f64 v[25:26], v[11:12], v[120:121], v[111:112]
	v_add_f64 v[15:16], v[15:16], v[19:20]
	s_clause 0x2
	buffer_load_dword v116, off, s[0:3], 0 offset:908
	buffer_load_dword v20, off, s[0:3], 0 offset:884
	;; [unrolled: 1-line block ×3, first 2 shown]
	ds_read_b128 v[9:12], v61 offset:1600
	s_waitcnt vmcnt(58) lgkmcnt(1)
	v_mul_f64 v[111:112], v[1:2], v[95:96]
	v_mul_f64 v[95:96], v[3:4], v[95:96]
	s_waitcnt vmcnt(56)
	v_fma_f64 v[93:94], v[5:6], v[21:22], -v[93:94]
	v_fma_f64 v[21:22], v[7:8], v[21:22], v[124:125]
	v_add_f64 v[13:14], v[13:14], v[105:106]
	v_add_f64 v[15:16], v[15:16], v[25:26]
	s_clause 0x4
	buffer_load_dword v26, off, s[0:3], 0 offset:924
	buffer_load_dword v105, off, s[0:3], 0 offset:936
	;; [unrolled: 1-line block ×5, first 2 shown]
	ds_read_b128 v[5:8], v61 offset:1616
	s_waitcnt vmcnt(57) lgkmcnt(1)
	v_mul_f64 v[125:126], v[9:10], v[17:18]
	v_mul_f64 v[17:18], v[11:12], v[17:18]
	s_waitcnt vmcnt(56)
	v_fma_f64 v[95:96], v[1:2], v[107:108], -v[95:96]
	v_add_f64 v[13:14], v[13:14], v[93:94]
	v_fma_f64 v[93:94], v[3:4], v[107:108], v[111:112]
	v_add_f64 v[15:16], v[15:16], v[21:22]
	s_clause 0x2
	buffer_load_dword v106, off, s[0:3], 0 offset:940
	buffer_load_dword v22, off, s[0:3], 0 offset:916
	;; [unrolled: 1-line block ×3, first 2 shown]
	ds_read_b128 v[1:4], v61 offset:1632
	s_waitcnt vmcnt(58) lgkmcnt(1)
	v_mul_f64 v[107:108], v[5:6], v[37:38]
	v_mul_f64 v[37:38], v[7:8], v[37:38]
	s_waitcnt vmcnt(56)
	v_fma_f64 v[17:18], v[9:10], v[27:28], -v[17:18]
	v_fma_f64 v[27:28], v[11:12], v[27:28], v[125:126]
	buffer_load_dword v125, off, s[0:3], 0 offset:932
	ds_read_b128 v[9:12], v61 offset:1648
	v_add_f64 v[13:14], v[13:14], v[95:96]
	v_add_f64 v[15:16], v[15:16], v[93:94]
	s_waitcnt vmcnt(53) lgkmcnt(1)
	v_mul_f64 v[93:94], v[1:2], v[23:24]
	v_mul_f64 v[23:24], v[3:4], v[23:24]
	s_waitcnt vmcnt(52)
	v_fma_f64 v[37:38], v[5:6], v[101:102], -v[37:38]
	v_add_f64 v[13:14], v[13:14], v[17:18]
	v_fma_f64 v[17:18], v[7:8], v[101:102], v[107:108]
	v_add_f64 v[15:16], v[15:16], v[27:28]
	s_waitcnt vmcnt(51) lgkmcnt(0)
	v_mul_f64 v[27:28], v[9:10], v[43:44]
	v_mul_f64 v[43:44], v[11:12], v[43:44]
	ds_read_b128 v[5:8], v61 offset:1664
	s_waitcnt vmcnt(49)
	v_fma_f64 v[23:24], v[1:2], v[33:34], -v[23:24]
	v_fma_f64 v[33:34], v[3:4], v[33:34], v[93:94]
	v_add_f64 v[13:14], v[13:14], v[37:38]
	v_add_f64 v[15:16], v[15:16], v[17:18]
	s_clause 0x3
	buffer_load_dword v17, off, s[0:3], 0 offset:304
	buffer_load_dword v18, off, s[0:3], 0 offset:308
	;; [unrolled: 1-line block ×4, first 2 shown]
	ds_read_b128 v[1:4], v61 offset:1680
	s_waitcnt vmcnt(49) lgkmcnt(1)
	v_mul_f64 v[93:94], v[5:6], v[29:30]
	v_mul_f64 v[29:30], v[7:8], v[29:30]
	s_waitcnt vmcnt(48)
	v_fma_f64 v[43:44], v[9:10], v[45:46], -v[43:44]
	v_add_f64 v[13:14], v[13:14], v[23:24]
	v_fma_f64 v[23:24], v[11:12], v[45:46], v[27:28]
	v_add_f64 v[15:16], v[15:16], v[33:34]
	ds_read_b128 v[9:12], v61 offset:1696
	s_waitcnt vmcnt(47) lgkmcnt(1)
	v_mul_f64 v[33:34], v[3:4], v[51:52]
	v_mul_f64 v[27:28], v[1:2], v[51:52]
	s_waitcnt vmcnt(45)
	v_fma_f64 v[29:30], v[5:6], v[31:32], -v[29:30]
	v_fma_f64 v[31:32], v[7:8], v[31:32], v[93:94]
	ds_read_b128 v[5:8], v61 offset:1712
	v_add_f64 v[13:14], v[13:14], v[43:44]
	v_add_f64 v[15:16], v[15:16], v[23:24]
	s_waitcnt vmcnt(41) lgkmcnt(1)
	v_mul_f64 v[23:24], v[9:10], v[35:36]
	v_mul_f64 v[35:36], v[11:12], v[35:36]
	s_waitcnt vmcnt(40)
	v_fma_f64 v[33:34], v[1:2], v[53:54], -v[33:34]
	v_fma_f64 v[27:28], v[3:4], v[53:54], v[27:28]
	ds_read_b128 v[1:4], v61 offset:1728
	v_add_f64 v[13:14], v[13:14], v[29:30]
	v_add_f64 v[15:16], v[15:16], v[31:32]
	s_waitcnt vmcnt(39) lgkmcnt(1)
	v_mul_f64 v[31:32], v[7:8], v[57:58]
	v_mul_f64 v[29:30], v[5:6], v[57:58]
	s_waitcnt vmcnt(37)
	v_fma_f64 v[35:36], v[9:10], v[39:40], -v[35:36]
	v_fma_f64 v[23:24], v[11:12], v[39:40], v[23:24]
	ds_read_b128 v[9:12], v61 offset:1744
	v_add_f64 v[13:14], v[13:14], v[33:34]
	v_add_f64 v[15:16], v[15:16], v[27:28]
	s_waitcnt vmcnt(33) lgkmcnt(1)
	v_mul_f64 v[33:34], v[3:4], v[41:42]
	s_waitcnt vmcnt(32)
	v_fma_f64 v[31:32], v[5:6], v[59:60], -v[31:32]
	v_mul_f64 v[27:28], v[1:2], v[41:42]
	v_fma_f64 v[29:30], v[7:8], v[59:60], v[29:30]
	ds_read_b128 v[5:8], v61 offset:1760
	v_add_f64 v[13:14], v[13:14], v[35:36]
	v_add_f64 v[15:16], v[15:16], v[23:24]
	s_waitcnt vmcnt(31) lgkmcnt(1)
	v_mul_f64 v[35:36], v[11:12], v[113:114]
	v_mul_f64 v[23:24], v[9:10], v[113:114]
	s_waitcnt vmcnt(29)
	v_fma_f64 v[33:34], v[1:2], v[47:48], -v[33:34]
	v_fma_f64 v[27:28], v[3:4], v[47:48], v[27:28]
	ds_read_b128 v[1:4], v61 offset:1776
	v_add_f64 v[13:14], v[13:14], v[31:32]
	v_add_f64 v[15:16], v[15:16], v[29:30]
	s_waitcnt vmcnt(25) lgkmcnt(1)
	v_mul_f64 v[31:32], v[7:8], v[49:50]
	s_waitcnt vmcnt(24)
	v_fma_f64 v[35:36], v[9:10], v[117:118], -v[35:36]
	v_mul_f64 v[29:30], v[5:6], v[49:50]
	v_fma_f64 v[23:24], v[11:12], v[117:118], v[23:24]
	ds_read_b128 v[9:12], v61 offset:1792
	v_add_f64 v[13:14], v[13:14], v[33:34]
	v_add_f64 v[15:16], v[15:16], v[27:28]
	s_waitcnt vmcnt(23) lgkmcnt(1)
	v_mul_f64 v[33:34], v[3:4], v[103:104]
	v_mul_f64 v[27:28], v[1:2], v[103:104]
	s_waitcnt vmcnt(21)
	v_fma_f64 v[31:32], v[5:6], v[55:56], -v[31:32]
	v_fma_f64 v[29:30], v[7:8], v[55:56], v[29:30]
	ds_read_b128 v[5:8], v61 offset:1808
	v_add_f64 v[13:14], v[13:14], v[35:36]
	v_add_f64 v[15:16], v[15:16], v[23:24]
	;; [unrolled: 18-line block ×3, first 2 shown]
	s_waitcnt vmcnt(9) lgkmcnt(1)
	v_mul_f64 v[23:24], v[1:2], v[25:26]
	v_mul_f64 v[25:26], v[3:4], v[25:26]
	s_waitcnt vmcnt(8)
	v_fma_f64 v[5:6], v[5:6], v[119:120], -v[31:32]
	v_fma_f64 v[7:8], v[7:8], v[119:120], v[29:30]
	v_add_f64 v[13:14], v[13:14], v[35:36]
	v_add_f64 v[15:16], v[15:16], v[19:20]
	s_waitcnt vmcnt(7) lgkmcnt(0)
	v_mul_f64 v[27:28], v[11:12], v[105:106]
	v_mul_f64 v[19:20], v[9:10], v[105:106]
	s_waitcnt vmcnt(5)
	v_fma_f64 v[1:2], v[1:2], v[21:22], -v[25:26]
	v_fma_f64 v[3:4], v[3:4], v[21:22], v[23:24]
	v_add_f64 v[5:6], v[13:14], v[5:6]
	v_add_f64 v[7:8], v[15:16], v[7:8]
	s_waitcnt vmcnt(4)
	v_fma_f64 v[9:10], v[9:10], v[124:125], -v[27:28]
	v_add_f64 v[1:2], v[5:6], v[1:2]
	v_fma_f64 v[5:6], v[11:12], v[124:125], v[19:20]
	v_add_f64 v[3:4], v[7:8], v[3:4]
	v_add_f64 v[1:2], v[1:2], v[9:10]
	;; [unrolled: 1-line block ×3, first 2 shown]
	s_waitcnt vmcnt(2)
	v_add_f64 v[1:2], v[17:18], -v[1:2]
	s_waitcnt vmcnt(0)
	v_add_f64 v[3:4], v[37:38], -v[3:4]
	buffer_store_dword v2, off, s[0:3], 0 offset:308
	buffer_store_dword v1, off, s[0:3], 0 offset:304
	;; [unrolled: 1-line block ×4, first 2 shown]
	v_cmpx_lt_u32_e32 17, v0
	s_cbranch_execz .LBB57_327
; %bb.326:
	v_mov_b32_e32 v4, s53
	s_clause 0x3
	buffer_load_dword v1, v4, s[0:3], 0 offen
	buffer_load_dword v2, v4, s[0:3], 0 offen offset:4
	buffer_load_dword v3, v4, s[0:3], 0 offen offset:8
	;; [unrolled: 1-line block ×3, first 2 shown]
	buffer_store_dword v61, off, s[0:3], 0 offset:288
	buffer_store_dword v61, off, s[0:3], 0 offset:292
	;; [unrolled: 1-line block ×4, first 2 shown]
	s_waitcnt vmcnt(0)
	ds_write_b128 v63, v[1:4]
.LBB57_327:
	s_or_b32 exec_lo, exec_lo, s4
	s_waitcnt lgkmcnt(0)
	s_waitcnt_vscnt null, 0x0
	s_barrier
	buffer_gl0_inv
	s_clause 0x37
	buffer_load_dword v9, off, s[0:3], 0 offset:312
	buffer_load_dword v10, off, s[0:3], 0 offset:316
	;; [unrolled: 1-line block ×56, first 2 shown]
	ds_read_b128 v[93:96], v61 offset:1216
	s_clause 0x2
	buffer_load_dword v58, off, s[0:3], 0 offset:540
	buffer_load_dword v60, off, s[0:3], 0 offset:516
	;; [unrolled: 1-line block ×3, first 2 shown]
	ds_read_b128 v[101:104], v61 offset:1232
	s_clause 0x4
	buffer_load_dword v112, off, s[0:3], 0 offset:556
	buffer_load_dword v113, off, s[0:3], 0 offset:568
	;; [unrolled: 1-line block ×5, first 2 shown]
	ds_read_b128 v[105:108], v61 offset:1248
	s_clause 0x2
	buffer_load_dword v114, off, s[0:3], 0 offset:572
	buffer_load_dword v119, off, s[0:3], 0 offset:548
	;; [unrolled: 1-line block ×3, first 2 shown]
	s_mov_b32 s4, exec_lo
	s_waitcnt vmcnt(62) lgkmcnt(2)
	v_mul_f64 v[109:110], v[95:96], v[9:10]
	v_mul_f64 v[9:10], v[93:94], v[9:10]
	s_waitcnt lgkmcnt(1)
	v_mul_f64 v[116:117], v[103:104], v[5:6]
	s_waitcnt vmcnt(59) lgkmcnt(0)
	v_mul_f64 v[120:121], v[107:108], v[3:4]
	v_fma_f64 v[93:94], v[93:94], v[7:8], -v[109:110]
	v_mul_f64 v[109:110], v[101:102], v[5:6]
	v_fma_f64 v[9:10], v[95:96], v[7:8], v[9:10]
	s_waitcnt vmcnt(57)
	v_fma_f64 v[101:102], v[101:102], v[1:2], -v[116:117]
	ds_read_b128 v[5:8], v61 offset:1264
	v_mul_f64 v[95:96], v[105:106], v[3:4]
	s_waitcnt vmcnt(51)
	v_fma_f64 v[105:106], v[105:106], v[25:26], -v[120:121]
	v_add_f64 v[93:94], v[93:94], 0
	v_fma_f64 v[103:104], v[103:104], v[1:2], v[109:110]
	v_add_f64 v[9:10], v[9:10], 0
	s_clause 0x4
	buffer_load_dword v110, off, s[0:3], 0 offset:588
	buffer_load_dword v122, off, s[0:3], 0 offset:600
	;; [unrolled: 1-line block ×5, first 2 shown]
	s_waitcnt lgkmcnt(0)
	v_mul_f64 v[125:126], v[5:6], v[13:14]
	v_mul_f64 v[13:14], v[7:8], v[13:14]
	ds_read_b128 v[1:4], v61 offset:1280
	v_fma_f64 v[25:26], v[107:108], v[25:26], v[95:96]
	v_add_f64 v[101:102], v[93:94], v[101:102]
	v_add_f64 v[9:10], v[9:10], v[103:104]
	s_clause 0x2
	buffer_load_dword v123, off, s[0:3], 0 offset:604
	buffer_load_dword v104, off, s[0:3], 0 offset:580
	;; [unrolled: 1-line block ×3, first 2 shown]
	s_waitcnt vmcnt(58) lgkmcnt(0)
	v_mul_f64 v[107:108], v[1:2], v[17:18]
	v_mul_f64 v[17:18], v[3:4], v[17:18]
	s_waitcnt vmcnt(56)
	v_fma_f64 v[13:14], v[5:6], v[19:20], -v[13:14]
	ds_read_b128 v[93:96], v61 offset:1296
	v_fma_f64 v[19:20], v[7:8], v[19:20], v[125:126]
	v_add_f64 v[101:102], v[101:102], v[105:106]
	v_add_f64 v[9:10], v[9:10], v[25:26]
	s_clause 0x4
	buffer_load_dword v26, off, s[0:3], 0 offset:620
	buffer_load_dword v105, off, s[0:3], 0 offset:632
	;; [unrolled: 1-line block ×5, first 2 shown]
	ds_read_b128 v[5:8], v61 offset:1312
	s_waitcnt vmcnt(57) lgkmcnt(1)
	v_mul_f64 v[126:127], v[93:94], v[21:22]
	v_mul_f64 v[21:22], v[95:96], v[21:22]
	s_waitcnt vmcnt(56)
	v_fma_f64 v[17:18], v[1:2], v[11:12], -v[17:18]
	v_fma_f64 v[11:12], v[3:4], v[11:12], v[107:108]
	v_add_f64 v[13:14], v[101:102], v[13:14]
	v_add_f64 v[9:10], v[9:10], v[19:20]
	s_clause 0x2
	buffer_load_dword v106, off, s[0:3], 0 offset:636
	buffer_load_dword v20, off, s[0:3], 0 offset:612
	;; [unrolled: 1-line block ×3, first 2 shown]
	s_waitcnt vmcnt(58) lgkmcnt(0)
	v_mul_f64 v[101:102], v[5:6], v[27:28]
	v_mul_f64 v[27:28], v[7:8], v[27:28]
	s_waitcnt vmcnt(56)
	v_fma_f64 v[21:22], v[93:94], v[29:30], -v[21:22]
	ds_read_b128 v[1:4], v61 offset:1328
	v_add_f64 v[13:14], v[13:14], v[17:18]
	v_fma_f64 v[17:18], v[95:96], v[29:30], v[126:127]
	v_add_f64 v[29:30], v[9:10], v[11:12]
	s_clause 0x4
	buffer_load_dword v94, off, s[0:3], 0 offset:652
	buffer_load_dword v95, off, s[0:3], 0 offset:664
	;; [unrolled: 1-line block ×5, first 2 shown]
	ds_read_b128 v[9:12], v61 offset:1344
	s_waitcnt vmcnt(57) lgkmcnt(1)
	v_mul_f64 v[126:127], v[1:2], v[31:32]
	v_mul_f64 v[31:32], v[3:4], v[31:32]
	s_waitcnt vmcnt(56)
	v_fma_f64 v[27:28], v[5:6], v[15:16], -v[27:28]
	v_fma_f64 v[15:16], v[7:8], v[15:16], v[101:102]
	v_add_f64 v[13:14], v[13:14], v[21:22]
	s_clause 0x2
	buffer_load_dword v96, off, s[0:3], 0 offset:668
	buffer_load_dword v22, off, s[0:3], 0 offset:644
	;; [unrolled: 1-line block ×3, first 2 shown]
	v_add_f64 v[17:18], v[29:30], v[17:18]
	s_waitcnt vmcnt(58) lgkmcnt(0)
	v_mul_f64 v[29:30], v[9:10], v[35:36]
	v_mul_f64 v[35:36], v[11:12], v[35:36]
	ds_read_b128 v[5:8], v61 offset:1360
	s_waitcnt vmcnt(56)
	v_fma_f64 v[31:32], v[1:2], v[37:38], -v[31:32]
	v_add_f64 v[13:14], v[13:14], v[27:28]
	v_fma_f64 v[27:28], v[3:4], v[37:38], v[126:127]
	v_add_f64 v[15:16], v[17:18], v[15:16]
	s_clause 0x4
	buffer_load_dword v18, off, s[0:3], 0 offset:684
	buffer_load_dword v37, off, s[0:3], 0 offset:696
	;; [unrolled: 1-line block ×5, first 2 shown]
	s_waitcnt vmcnt(57) lgkmcnt(0)
	v_mul_f64 v[126:127], v[5:6], v[39:40]
	v_mul_f64 v[39:40], v[7:8], v[39:40]
	s_waitcnt vmcnt(56)
	v_fma_f64 v[35:36], v[9:10], v[23:24], -v[35:36]
	ds_read_b128 v[1:4], v61 offset:1376
	v_fma_f64 v[23:24], v[11:12], v[23:24], v[29:30]
	v_add_f64 v[13:14], v[13:14], v[31:32]
	v_add_f64 v[15:16], v[15:16], v[27:28]
	s_clause 0x2
	buffer_load_dword v38, off, s[0:3], 0 offset:700
	buffer_load_dword v28, off, s[0:3], 0 offset:676
	;; [unrolled: 1-line block ×3, first 2 shown]
	ds_read_b128 v[9:12], v61 offset:1392
	s_waitcnt vmcnt(58) lgkmcnt(1)
	v_mul_f64 v[31:32], v[3:4], v[43:44]
	s_waitcnt vmcnt(56)
	v_fma_f64 v[39:40], v[5:6], v[45:46], -v[39:40]
	v_mul_f64 v[29:30], v[1:2], v[43:44]
	v_add_f64 v[13:14], v[13:14], v[35:36]
	v_fma_f64 v[35:36], v[7:8], v[45:46], v[126:127]
	v_add_f64 v[15:16], v[15:16], v[23:24]
	s_clause 0x4
	buffer_load_dword v24, off, s[0:3], 0 offset:716
	buffer_load_dword v43, off, s[0:3], 0 offset:728
	;; [unrolled: 1-line block ×5, first 2 shown]
	s_waitcnt vmcnt(57) lgkmcnt(0)
	v_mul_f64 v[126:127], v[9:10], v[47:48]
	v_mul_f64 v[46:47], v[11:12], v[47:48]
	s_waitcnt vmcnt(56)
	v_fma_f64 v[31:32], v[1:2], v[33:34], -v[31:32]
	ds_read_b128 v[5:8], v61 offset:1408
	v_fma_f64 v[29:30], v[3:4], v[33:34], v[29:30]
	s_clause 0x2
	buffer_load_dword v44, off, s[0:3], 0 offset:732
	buffer_load_dword v34, off, s[0:3], 0 offset:708
	;; [unrolled: 1-line block ×3, first 2 shown]
	ds_read_b128 v[1:4], v61 offset:1424
	v_add_f64 v[13:14], v[13:14], v[39:40]
	v_add_f64 v[15:16], v[15:16], v[35:36]
	s_waitcnt vmcnt(58) lgkmcnt(1)
	v_mul_f64 v[39:40], v[7:8], v[51:52]
	s_waitcnt vmcnt(56)
	v_fma_f64 v[47:48], v[9:10], v[53:54], -v[46:47]
	v_mul_f64 v[35:36], v[5:6], v[51:52]
	v_add_f64 v[13:14], v[13:14], v[31:32]
	v_fma_f64 v[31:32], v[11:12], v[53:54], v[126:127]
	v_add_f64 v[15:16], v[15:16], v[29:30]
	s_clause 0x4
	buffer_load_dword v30, off, s[0:3], 0 offset:748
	buffer_load_dword v51, off, s[0:3], 0 offset:760
	;; [unrolled: 1-line block ×5, first 2 shown]
	s_waitcnt vmcnt(57) lgkmcnt(0)
	v_mul_f64 v[126:127], v[1:2], v[55:56]
	v_mul_f64 v[54:55], v[3:4], v[55:56]
	s_waitcnt vmcnt(56)
	v_fma_f64 v[39:40], v[5:6], v[41:42], -v[39:40]
	ds_read_b128 v[9:12], v61 offset:1440
	v_fma_f64 v[35:36], v[7:8], v[41:42], v[35:36]
	v_add_f64 v[13:14], v[13:14], v[47:48]
	v_add_f64 v[15:16], v[15:16], v[31:32]
	s_clause 0x2
	buffer_load_dword v52, off, s[0:3], 0 offset:764
	buffer_load_dword v32, off, s[0:3], 0 offset:740
	buffer_load_dword v31, off, s[0:3], 0 offset:736
	ds_read_b128 v[5:8], v61 offset:1456
	s_waitcnt vmcnt(58) lgkmcnt(1)
	v_mul_f64 v[47:48], v[11:12], v[57:58]
	s_waitcnt vmcnt(56)
	v_fma_f64 v[55:56], v[1:2], v[59:60], -v[54:55]
	v_mul_f64 v[41:42], v[9:10], v[57:58]
	v_add_f64 v[13:14], v[13:14], v[39:40]
	v_fma_f64 v[39:40], v[3:4], v[59:60], v[126:127]
	v_add_f64 v[15:16], v[15:16], v[35:36]
	s_clause 0x4
	buffer_load_dword v36, off, s[0:3], 0 offset:780
	buffer_load_dword v57, off, s[0:3], 0 offset:792
	;; [unrolled: 1-line block ×5, first 2 shown]
	s_waitcnt vmcnt(57) lgkmcnt(0)
	v_mul_f64 v[126:127], v[5:6], v[111:112]
	v_mul_f64 v[111:112], v[7:8], v[111:112]
	s_waitcnt vmcnt(56)
	v_fma_f64 v[47:48], v[9:10], v[49:50], -v[47:48]
	ds_read_b128 v[1:4], v61 offset:1472
	v_fma_f64 v[41:42], v[11:12], v[49:50], v[41:42]
	v_add_f64 v[13:14], v[13:14], v[55:56]
	v_add_f64 v[15:16], v[15:16], v[39:40]
	s_clause 0x2
	buffer_load_dword v58, off, s[0:3], 0 offset:796
	buffer_load_dword v40, off, s[0:3], 0 offset:772
	;; [unrolled: 1-line block ×3, first 2 shown]
	ds_read_b128 v[9:12], v61 offset:1488
	s_waitcnt vmcnt(58) lgkmcnt(1)
	v_mul_f64 v[55:56], v[3:4], v[113:114]
	s_waitcnt vmcnt(56)
	v_fma_f64 v[111:112], v[5:6], v[118:119], -v[111:112]
	v_mul_f64 v[49:50], v[1:2], v[113:114]
	v_add_f64 v[13:14], v[13:14], v[47:48]
	v_fma_f64 v[47:48], v[7:8], v[118:119], v[126:127]
	v_add_f64 v[15:16], v[15:16], v[41:42]
	s_clause 0x4
	buffer_load_dword v42, off, s[0:3], 0 offset:812
	buffer_load_dword v113, off, s[0:3], 0 offset:824
	;; [unrolled: 1-line block ×5, first 2 shown]
	ds_read_b128 v[5:8], v61 offset:1504
	s_waitcnt vmcnt(57) lgkmcnt(1)
	v_mul_f64 v[118:119], v[9:10], v[109:110]
	v_mul_f64 v[109:110], v[11:12], v[109:110]
	s_waitcnt vmcnt(56)
	v_fma_f64 v[55:56], v[1:2], v[115:116], -v[55:56]
	v_fma_f64 v[49:50], v[3:4], v[115:116], v[49:50]
	v_add_f64 v[13:14], v[13:14], v[111:112]
	v_add_f64 v[15:16], v[15:16], v[47:48]
	s_clause 0x2
	buffer_load_dword v114, off, s[0:3], 0 offset:828
	buffer_load_dword v48, off, s[0:3], 0 offset:804
	;; [unrolled: 1-line block ×3, first 2 shown]
	ds_read_b128 v[1:4], v61 offset:1520
	s_waitcnt vmcnt(58) lgkmcnt(1)
	v_mul_f64 v[115:116], v[7:8], v[122:123]
	v_mul_f64 v[111:112], v[5:6], v[122:123]
	s_waitcnt vmcnt(56)
	v_fma_f64 v[109:110], v[9:10], v[103:104], -v[109:110]
	v_add_f64 v[13:14], v[13:14], v[55:56]
	v_fma_f64 v[55:56], v[11:12], v[103:104], v[118:119]
	v_add_f64 v[15:16], v[15:16], v[49:50]
	s_clause 0x4
	buffer_load_dword v50, off, s[0:3], 0 offset:844
	buffer_load_dword v103, off, s[0:3], 0 offset:856
	buffer_load_dword v122, off, s[0:3], 0 offset:848
	buffer_load_dword v49, off, s[0:3], 0 offset:840
	buffer_load_dword v118, off, s[0:3], 0 offset:820
	ds_read_b128 v[9:12], v61 offset:1536
	s_waitcnt vmcnt(57) lgkmcnt(1)
	v_mul_f64 v[126:127], v[1:2], v[25:26]
	v_mul_f64 v[25:26], v[3:4], v[25:26]
	s_waitcnt vmcnt(56)
	v_fma_f64 v[115:116], v[5:6], v[124:125], -v[115:116]
	v_add_f64 v[13:14], v[13:14], v[109:110]
	v_fma_f64 v[109:110], v[7:8], v[124:125], v[111:112]
	v_add_f64 v[15:16], v[15:16], v[55:56]
	s_clause 0x2
	buffer_load_dword v104, off, s[0:3], 0 offset:860
	buffer_load_dword v56, off, s[0:3], 0 offset:836
	buffer_load_dword v55, off, s[0:3], 0 offset:832
	ds_read_b128 v[5:8], v61 offset:1552
	s_waitcnt vmcnt(58) lgkmcnt(1)
	v_mul_f64 v[111:112], v[9:10], v[105:106]
	v_mul_f64 v[105:106], v[11:12], v[105:106]
	s_waitcnt vmcnt(56)
	v_fma_f64 v[25:26], v[1:2], v[19:20], -v[25:26]
	v_fma_f64 v[19:20], v[3:4], v[19:20], v[126:127]
	v_add_f64 v[13:14], v[13:14], v[115:116]
	v_add_f64 v[15:16], v[15:16], v[109:110]
	s_clause 0x4
	buffer_load_dword v110, off, s[0:3], 0 offset:876
	buffer_load_dword v115, off, s[0:3], 0 offset:888
	buffer_load_dword v119, off, s[0:3], 0 offset:880
	buffer_load_dword v109, off, s[0:3], 0 offset:872
	buffer_load_dword v123, off, s[0:3], 0 offset:852
	ds_read_b128 v[1:4], v61 offset:1568
	s_waitcnt vmcnt(57) lgkmcnt(1)
	v_mul_f64 v[124:125], v[5:6], v[93:94]
	v_mul_f64 v[93:94], v[7:8], v[93:94]
	s_waitcnt vmcnt(56)
	v_fma_f64 v[105:106], v[9:10], v[120:121], -v[105:106]
	v_add_f64 v[13:14], v[13:14], v[25:26]
	v_fma_f64 v[25:26], v[11:12], v[120:121], v[111:112]
	v_add_f64 v[15:16], v[15:16], v[19:20]
	s_clause 0x2
	buffer_load_dword v116, off, s[0:3], 0 offset:892
	buffer_load_dword v20, off, s[0:3], 0 offset:868
	buffer_load_dword v19, off, s[0:3], 0 offset:864
	ds_read_b128 v[9:12], v61 offset:1584
	s_waitcnt vmcnt(58) lgkmcnt(1)
	v_mul_f64 v[111:112], v[1:2], v[95:96]
	v_mul_f64 v[95:96], v[3:4], v[95:96]
	s_waitcnt vmcnt(56)
	v_fma_f64 v[93:94], v[5:6], v[21:22], -v[93:94]
	v_fma_f64 v[21:22], v[7:8], v[21:22], v[124:125]
	v_add_f64 v[13:14], v[13:14], v[105:106]
	;; [unrolled: 28-line block ×3, first 2 shown]
	v_add_f64 v[15:16], v[15:16], v[93:94]
	s_clause 0x2
	buffer_load_dword v94, off, s[0:3], 0 offset:940
	buffer_load_dword v93, off, s[0:3], 0 offset:936
	buffer_load_dword v125, off, s[0:3], 0 offset:916
	ds_read_b128 v[9:12], v61 offset:1632
	s_waitcnt vmcnt(55) lgkmcnt(1)
	v_mul_f64 v[95:96], v[1:2], v[23:24]
	v_mul_f64 v[23:24], v[3:4], v[23:24]
	s_waitcnt vmcnt(54)
	v_fma_f64 v[37:38], v[5:6], v[101:102], -v[37:38]
	v_add_f64 v[13:14], v[13:14], v[17:18]
	v_fma_f64 v[17:18], v[7:8], v[101:102], v[107:108]
	v_add_f64 v[15:16], v[15:16], v[27:28]
	s_clause 0x1
	buffer_load_dword v28, off, s[0:3], 0 offset:932
	buffer_load_dword v27, off, s[0:3], 0 offset:928
	s_waitcnt vmcnt(55) lgkmcnt(0)
	v_mul_f64 v[101:102], v[9:10], v[43:44]
	v_mul_f64 v[43:44], v[11:12], v[43:44]
	ds_read_b128 v[5:8], v61 offset:1648
	s_waitcnt vmcnt(53)
	v_fma_f64 v[23:24], v[1:2], v[33:34], -v[23:24]
	v_fma_f64 v[33:34], v[3:4], v[33:34], v[95:96]
	ds_read_b128 v[1:4], v61 offset:1664
	v_add_f64 v[13:14], v[13:14], v[37:38]
	v_add_f64 v[15:16], v[15:16], v[17:18]
	s_waitcnt vmcnt(49) lgkmcnt(1)
	v_mul_f64 v[17:18], v[5:6], v[29:30]
	v_mul_f64 v[29:30], v[7:8], v[29:30]
	s_waitcnt vmcnt(48)
	v_fma_f64 v[37:38], v[9:10], v[45:46], -v[43:44]
	v_add_f64 v[13:14], v[13:14], v[23:24]
	v_fma_f64 v[23:24], v[11:12], v[45:46], v[101:102]
	v_add_f64 v[15:16], v[15:16], v[33:34]
	s_clause 0x3
	buffer_load_dword v33, off, s[0:3], 0 offset:288
	buffer_load_dword v34, off, s[0:3], 0 offset:292
	;; [unrolled: 1-line block ×4, first 2 shown]
	ds_read_b128 v[9:12], v61 offset:1680
	s_waitcnt vmcnt(51) lgkmcnt(1)
	v_mul_f64 v[45:46], v[1:2], v[51:52]
	v_mul_f64 v[51:52], v[3:4], v[51:52]
	s_waitcnt vmcnt(49)
	v_fma_f64 v[29:30], v[5:6], v[31:32], -v[29:30]
	v_fma_f64 v[17:18], v[7:8], v[31:32], v[17:18]
	ds_read_b128 v[5:8], v61 offset:1696
	v_add_f64 v[13:14], v[13:14], v[37:38]
	v_add_f64 v[15:16], v[15:16], v[23:24]
	s_waitcnt vmcnt(45) lgkmcnt(1)
	v_mul_f64 v[23:24], v[9:10], v[35:36]
	v_mul_f64 v[31:32], v[11:12], v[35:36]
	s_waitcnt vmcnt(44)
	v_fma_f64 v[35:36], v[1:2], v[53:54], -v[51:52]
	v_add_f64 v[13:14], v[13:14], v[29:30]
	v_fma_f64 v[29:30], v[3:4], v[53:54], v[45:46]
	v_add_f64 v[15:16], v[15:16], v[17:18]
	ds_read_b128 v[1:4], v61 offset:1712
	s_waitcnt vmcnt(43) lgkmcnt(1)
	v_mul_f64 v[37:38], v[7:8], v[57:58]
	v_mul_f64 v[17:18], v[5:6], v[57:58]
	s_waitcnt vmcnt(41)
	v_fma_f64 v[31:32], v[9:10], v[39:40], -v[31:32]
	v_fma_f64 v[23:24], v[11:12], v[39:40], v[23:24]
	ds_read_b128 v[9:12], v61 offset:1728
	v_add_f64 v[13:14], v[13:14], v[35:36]
	v_add_f64 v[15:16], v[15:16], v[29:30]
	s_waitcnt vmcnt(37) lgkmcnt(1)
	v_mul_f64 v[35:36], v[3:4], v[41:42]
	s_waitcnt vmcnt(36)
	v_fma_f64 v[37:38], v[5:6], v[59:60], -v[37:38]
	v_mul_f64 v[29:30], v[1:2], v[41:42]
	v_fma_f64 v[17:18], v[7:8], v[59:60], v[17:18]
	ds_read_b128 v[5:8], v61 offset:1744
	v_add_f64 v[13:14], v[13:14], v[31:32]
	v_add_f64 v[15:16], v[15:16], v[23:24]
	s_waitcnt vmcnt(35) lgkmcnt(1)
	v_mul_f64 v[31:32], v[11:12], v[113:114]
	v_mul_f64 v[23:24], v[9:10], v[113:114]
	s_waitcnt vmcnt(33)
	v_fma_f64 v[35:36], v[1:2], v[47:48], -v[35:36]
	v_fma_f64 v[29:30], v[3:4], v[47:48], v[29:30]
	ds_read_b128 v[1:4], v61 offset:1760
	v_add_f64 v[13:14], v[13:14], v[37:38]
	v_add_f64 v[15:16], v[15:16], v[17:18]
	s_waitcnt vmcnt(29) lgkmcnt(1)
	v_mul_f64 v[37:38], v[7:8], v[49:50]
	s_waitcnt vmcnt(28)
	v_fma_f64 v[31:32], v[9:10], v[117:118], -v[31:32]
	v_mul_f64 v[17:18], v[5:6], v[49:50]
	v_fma_f64 v[23:24], v[11:12], v[117:118], v[23:24]
	ds_read_b128 v[9:12], v61 offset:1776
	v_add_f64 v[13:14], v[13:14], v[35:36]
	v_add_f64 v[15:16], v[15:16], v[29:30]
	;; [unrolled: 18-line block ×3, first 2 shown]
	s_waitcnt vmcnt(19) lgkmcnt(1)
	v_mul_f64 v[37:38], v[7:8], v[115:116]
	v_mul_f64 v[17:18], v[5:6], v[115:116]
	s_waitcnt vmcnt(17)
	v_fma_f64 v[31:32], v[9:10], v[19:20], -v[31:32]
	v_fma_f64 v[19:20], v[11:12], v[19:20], v[23:24]
	ds_read_b128 v[9:12], v61 offset:1824
	v_add_f64 v[13:14], v[13:14], v[35:36]
	v_add_f64 v[15:16], v[15:16], v[29:30]
	s_waitcnt vmcnt(13) lgkmcnt(1)
	v_mul_f64 v[23:24], v[1:2], v[25:26]
	v_mul_f64 v[25:26], v[3:4], v[25:26]
	s_waitcnt vmcnt(12)
	v_fma_f64 v[29:30], v[5:6], v[119:120], -v[37:38]
	v_fma_f64 v[17:18], v[7:8], v[119:120], v[17:18]
	ds_read_b128 v[5:8], v61 offset:1840
	v_add_f64 v[13:14], v[13:14], v[31:32]
	v_add_f64 v[15:16], v[15:16], v[19:20]
	s_waitcnt vmcnt(11) lgkmcnt(1)
	v_mul_f64 v[31:32], v[11:12], v[105:106]
	v_mul_f64 v[19:20], v[9:10], v[105:106]
	s_waitcnt vmcnt(9)
	v_fma_f64 v[1:2], v[1:2], v[21:22], -v[25:26]
	v_fma_f64 v[3:4], v[3:4], v[21:22], v[23:24]
	v_add_f64 v[13:14], v[13:14], v[29:30]
	v_add_f64 v[15:16], v[15:16], v[17:18]
	s_waitcnt vmcnt(7) lgkmcnt(0)
	v_mul_f64 v[21:22], v[7:8], v[93:94]
	s_waitcnt vmcnt(6)
	v_fma_f64 v[9:10], v[9:10], v[124:125], -v[31:32]
	v_mul_f64 v[17:18], v[5:6], v[93:94]
	v_fma_f64 v[11:12], v[11:12], v[124:125], v[19:20]
	v_add_f64 v[1:2], v[13:14], v[1:2]
	v_add_f64 v[3:4], v[15:16], v[3:4]
	s_waitcnt vmcnt(4)
	v_fma_f64 v[5:6], v[5:6], v[27:28], -v[21:22]
	v_fma_f64 v[7:8], v[7:8], v[27:28], v[17:18]
	v_add_f64 v[1:2], v[1:2], v[9:10]
	v_add_f64 v[3:4], v[3:4], v[11:12]
	;; [unrolled: 1-line block ×4, first 2 shown]
	s_waitcnt vmcnt(2)
	v_add_f64 v[1:2], v[33:34], -v[1:2]
	s_waitcnt vmcnt(0)
	v_add_f64 v[3:4], v[43:44], -v[3:4]
	buffer_store_dword v2, off, s[0:3], 0 offset:292
	buffer_store_dword v1, off, s[0:3], 0 offset:288
	;; [unrolled: 1-line block ×4, first 2 shown]
	v_cmpx_lt_u32_e32 16, v0
	s_cbranch_execz .LBB57_329
; %bb.328:
	v_mov_b32_e32 v4, s54
	v_mov_b32_e32 v5, 0
	s_clause 0x3
	buffer_load_dword v1, v4, s[0:3], 0 offen
	buffer_load_dword v2, v4, s[0:3], 0 offen offset:4
	buffer_load_dword v3, v4, s[0:3], 0 offen offset:8
	;; [unrolled: 1-line block ×3, first 2 shown]
	buffer_store_dword v5, off, s[0:3], 0 offset:272
	buffer_store_dword v5, off, s[0:3], 0 offset:276
	;; [unrolled: 1-line block ×4, first 2 shown]
	s_waitcnt vmcnt(0)
	ds_write_b128 v63, v[1:4]
.LBB57_329:
	s_or_b32 exec_lo, exec_lo, s4
	s_waitcnt lgkmcnt(0)
	s_waitcnt_vscnt null, 0x0
	s_barrier
	buffer_gl0_inv
	s_clause 0x37
	buffer_load_dword v9, off, s[0:3], 0 offset:296
	buffer_load_dword v10, off, s[0:3], 0 offset:300
	;; [unrolled: 1-line block ×56, first 2 shown]
	v_mov_b32_e32 v61, 0
	s_mov_b32 s4, exec_lo
	ds_read_b128 v[93:96], v61 offset:1200
	s_clause 0x2
	buffer_load_dword v58, off, s[0:3], 0 offset:524
	buffer_load_dword v60, off, s[0:3], 0 offset:500
	;; [unrolled: 1-line block ×3, first 2 shown]
	ds_read_b128 v[101:104], v61 offset:1216
	s_clause 0x4
	buffer_load_dword v112, off, s[0:3], 0 offset:540
	buffer_load_dword v113, off, s[0:3], 0 offset:552
	;; [unrolled: 1-line block ×5, first 2 shown]
	ds_read_b128 v[105:108], v61 offset:1232
	s_clause 0x2
	buffer_load_dword v114, off, s[0:3], 0 offset:556
	buffer_load_dword v119, off, s[0:3], 0 offset:532
	;; [unrolled: 1-line block ×3, first 2 shown]
	s_waitcnt vmcnt(62) lgkmcnt(2)
	v_mul_f64 v[109:110], v[95:96], v[9:10]
	v_mul_f64 v[9:10], v[93:94], v[9:10]
	s_waitcnt lgkmcnt(1)
	v_mul_f64 v[116:117], v[103:104], v[5:6]
	s_waitcnt vmcnt(59) lgkmcnt(0)
	v_mul_f64 v[120:121], v[107:108], v[3:4]
	v_fma_f64 v[93:94], v[93:94], v[7:8], -v[109:110]
	v_mul_f64 v[109:110], v[101:102], v[5:6]
	v_fma_f64 v[9:10], v[95:96], v[7:8], v[9:10]
	s_waitcnt vmcnt(57)
	v_fma_f64 v[101:102], v[101:102], v[1:2], -v[116:117]
	ds_read_b128 v[5:8], v61 offset:1248
	v_mul_f64 v[95:96], v[105:106], v[3:4]
	s_waitcnt vmcnt(51)
	v_fma_f64 v[105:106], v[105:106], v[25:26], -v[120:121]
	v_add_f64 v[93:94], v[93:94], 0
	v_fma_f64 v[103:104], v[103:104], v[1:2], v[109:110]
	v_add_f64 v[9:10], v[9:10], 0
	s_clause 0x4
	buffer_load_dword v110, off, s[0:3], 0 offset:572
	buffer_load_dword v122, off, s[0:3], 0 offset:584
	buffer_load_dword v124, off, s[0:3], 0 offset:576
	buffer_load_dword v109, off, s[0:3], 0 offset:568
	buffer_load_dword v116, off, s[0:3], 0 offset:548
	s_waitcnt lgkmcnt(0)
	v_mul_f64 v[125:126], v[5:6], v[13:14]
	v_mul_f64 v[13:14], v[7:8], v[13:14]
	ds_read_b128 v[1:4], v61 offset:1264
	v_fma_f64 v[25:26], v[107:108], v[25:26], v[95:96]
	v_add_f64 v[101:102], v[93:94], v[101:102]
	v_add_f64 v[9:10], v[9:10], v[103:104]
	s_clause 0x2
	buffer_load_dword v123, off, s[0:3], 0 offset:588
	buffer_load_dword v104, off, s[0:3], 0 offset:564
	buffer_load_dword v103, off, s[0:3], 0 offset:560
	s_waitcnt vmcnt(58) lgkmcnt(0)
	v_mul_f64 v[107:108], v[1:2], v[17:18]
	v_mul_f64 v[17:18], v[3:4], v[17:18]
	s_waitcnt vmcnt(56)
	v_fma_f64 v[13:14], v[5:6], v[19:20], -v[13:14]
	ds_read_b128 v[93:96], v61 offset:1280
	v_fma_f64 v[19:20], v[7:8], v[19:20], v[125:126]
	v_add_f64 v[101:102], v[101:102], v[105:106]
	v_add_f64 v[9:10], v[9:10], v[25:26]
	s_clause 0x4
	buffer_load_dword v26, off, s[0:3], 0 offset:604
	buffer_load_dword v105, off, s[0:3], 0 offset:616
	;; [unrolled: 1-line block ×5, first 2 shown]
	ds_read_b128 v[5:8], v61 offset:1296
	s_waitcnt vmcnt(57) lgkmcnt(1)
	v_mul_f64 v[126:127], v[93:94], v[21:22]
	v_mul_f64 v[21:22], v[95:96], v[21:22]
	s_waitcnt vmcnt(56)
	v_fma_f64 v[17:18], v[1:2], v[11:12], -v[17:18]
	v_fma_f64 v[11:12], v[3:4], v[11:12], v[107:108]
	v_add_f64 v[13:14], v[101:102], v[13:14]
	v_add_f64 v[9:10], v[9:10], v[19:20]
	s_clause 0x2
	buffer_load_dword v106, off, s[0:3], 0 offset:620
	buffer_load_dword v20, off, s[0:3], 0 offset:596
	;; [unrolled: 1-line block ×3, first 2 shown]
	s_waitcnt vmcnt(58) lgkmcnt(0)
	v_mul_f64 v[101:102], v[5:6], v[27:28]
	v_mul_f64 v[27:28], v[7:8], v[27:28]
	s_waitcnt vmcnt(56)
	v_fma_f64 v[21:22], v[93:94], v[29:30], -v[21:22]
	ds_read_b128 v[1:4], v61 offset:1312
	v_add_f64 v[13:14], v[13:14], v[17:18]
	v_fma_f64 v[17:18], v[95:96], v[29:30], v[126:127]
	v_add_f64 v[29:30], v[9:10], v[11:12]
	s_clause 0x4
	buffer_load_dword v94, off, s[0:3], 0 offset:636
	buffer_load_dword v95, off, s[0:3], 0 offset:648
	buffer_load_dword v107, off, s[0:3], 0 offset:640
	buffer_load_dword v93, off, s[0:3], 0 offset:632
	buffer_load_dword v121, off, s[0:3], 0 offset:612
	ds_read_b128 v[9:12], v61 offset:1328
	s_waitcnt vmcnt(57) lgkmcnt(1)
	v_mul_f64 v[126:127], v[1:2], v[31:32]
	v_mul_f64 v[31:32], v[3:4], v[31:32]
	s_waitcnt vmcnt(56)
	v_fma_f64 v[27:28], v[5:6], v[15:16], -v[27:28]
	v_fma_f64 v[15:16], v[7:8], v[15:16], v[101:102]
	v_add_f64 v[13:14], v[13:14], v[21:22]
	s_clause 0x2
	buffer_load_dword v96, off, s[0:3], 0 offset:652
	buffer_load_dword v22, off, s[0:3], 0 offset:628
	;; [unrolled: 1-line block ×3, first 2 shown]
	v_add_f64 v[17:18], v[29:30], v[17:18]
	s_waitcnt vmcnt(58) lgkmcnt(0)
	v_mul_f64 v[29:30], v[9:10], v[35:36]
	v_mul_f64 v[35:36], v[11:12], v[35:36]
	ds_read_b128 v[5:8], v61 offset:1344
	s_waitcnt vmcnt(56)
	v_fma_f64 v[31:32], v[1:2], v[37:38], -v[31:32]
	v_add_f64 v[13:14], v[13:14], v[27:28]
	v_fma_f64 v[27:28], v[3:4], v[37:38], v[126:127]
	v_add_f64 v[15:16], v[17:18], v[15:16]
	s_clause 0x4
	buffer_load_dword v18, off, s[0:3], 0 offset:668
	buffer_load_dword v37, off, s[0:3], 0 offset:680
	;; [unrolled: 1-line block ×5, first 2 shown]
	s_waitcnt vmcnt(57) lgkmcnt(0)
	v_mul_f64 v[126:127], v[5:6], v[39:40]
	v_mul_f64 v[39:40], v[7:8], v[39:40]
	s_waitcnt vmcnt(56)
	v_fma_f64 v[35:36], v[9:10], v[23:24], -v[35:36]
	ds_read_b128 v[1:4], v61 offset:1360
	v_fma_f64 v[23:24], v[11:12], v[23:24], v[29:30]
	v_add_f64 v[13:14], v[13:14], v[31:32]
	v_add_f64 v[15:16], v[15:16], v[27:28]
	s_clause 0x2
	buffer_load_dword v38, off, s[0:3], 0 offset:684
	buffer_load_dword v28, off, s[0:3], 0 offset:660
	buffer_load_dword v27, off, s[0:3], 0 offset:656
	ds_read_b128 v[9:12], v61 offset:1376
	s_waitcnt vmcnt(58) lgkmcnt(1)
	v_mul_f64 v[31:32], v[3:4], v[43:44]
	s_waitcnt vmcnt(56)
	v_fma_f64 v[39:40], v[5:6], v[45:46], -v[39:40]
	v_mul_f64 v[29:30], v[1:2], v[43:44]
	v_add_f64 v[13:14], v[13:14], v[35:36]
	v_fma_f64 v[35:36], v[7:8], v[45:46], v[126:127]
	v_add_f64 v[15:16], v[15:16], v[23:24]
	s_clause 0x4
	buffer_load_dword v24, off, s[0:3], 0 offset:700
	buffer_load_dword v43, off, s[0:3], 0 offset:712
	;; [unrolled: 1-line block ×5, first 2 shown]
	s_waitcnt vmcnt(57) lgkmcnt(0)
	v_mul_f64 v[126:127], v[9:10], v[47:48]
	v_mul_f64 v[46:47], v[11:12], v[47:48]
	s_waitcnt vmcnt(56)
	v_fma_f64 v[31:32], v[1:2], v[33:34], -v[31:32]
	ds_read_b128 v[5:8], v61 offset:1392
	v_fma_f64 v[29:30], v[3:4], v[33:34], v[29:30]
	s_clause 0x2
	buffer_load_dword v44, off, s[0:3], 0 offset:716
	buffer_load_dword v34, off, s[0:3], 0 offset:692
	;; [unrolled: 1-line block ×3, first 2 shown]
	ds_read_b128 v[1:4], v61 offset:1408
	v_add_f64 v[13:14], v[13:14], v[39:40]
	v_add_f64 v[15:16], v[15:16], v[35:36]
	s_waitcnt vmcnt(58) lgkmcnt(1)
	v_mul_f64 v[39:40], v[7:8], v[51:52]
	s_waitcnt vmcnt(56)
	v_fma_f64 v[47:48], v[9:10], v[53:54], -v[46:47]
	v_mul_f64 v[35:36], v[5:6], v[51:52]
	v_add_f64 v[13:14], v[13:14], v[31:32]
	v_fma_f64 v[31:32], v[11:12], v[53:54], v[126:127]
	v_add_f64 v[15:16], v[15:16], v[29:30]
	s_clause 0x4
	buffer_load_dword v30, off, s[0:3], 0 offset:732
	buffer_load_dword v51, off, s[0:3], 0 offset:744
	;; [unrolled: 1-line block ×5, first 2 shown]
	s_waitcnt vmcnt(57) lgkmcnt(0)
	v_mul_f64 v[126:127], v[1:2], v[55:56]
	v_mul_f64 v[54:55], v[3:4], v[55:56]
	s_waitcnt vmcnt(56)
	v_fma_f64 v[39:40], v[5:6], v[41:42], -v[39:40]
	ds_read_b128 v[9:12], v61 offset:1424
	v_fma_f64 v[35:36], v[7:8], v[41:42], v[35:36]
	v_add_f64 v[13:14], v[13:14], v[47:48]
	v_add_f64 v[15:16], v[15:16], v[31:32]
	s_clause 0x2
	buffer_load_dword v52, off, s[0:3], 0 offset:748
	buffer_load_dword v32, off, s[0:3], 0 offset:724
	;; [unrolled: 1-line block ×3, first 2 shown]
	ds_read_b128 v[5:8], v61 offset:1440
	s_waitcnt vmcnt(58) lgkmcnt(1)
	v_mul_f64 v[47:48], v[11:12], v[57:58]
	s_waitcnt vmcnt(56)
	v_fma_f64 v[55:56], v[1:2], v[59:60], -v[54:55]
	v_mul_f64 v[41:42], v[9:10], v[57:58]
	v_add_f64 v[13:14], v[13:14], v[39:40]
	v_fma_f64 v[39:40], v[3:4], v[59:60], v[126:127]
	v_add_f64 v[15:16], v[15:16], v[35:36]
	s_clause 0x4
	buffer_load_dword v36, off, s[0:3], 0 offset:764
	buffer_load_dword v57, off, s[0:3], 0 offset:776
	buffer_load_dword v59, off, s[0:3], 0 offset:768
	buffer_load_dword v35, off, s[0:3], 0 offset:760
	buffer_load_dword v54, off, s[0:3], 0 offset:740
	s_waitcnt vmcnt(57) lgkmcnt(0)
	v_mul_f64 v[126:127], v[5:6], v[111:112]
	v_mul_f64 v[111:112], v[7:8], v[111:112]
	s_waitcnt vmcnt(56)
	v_fma_f64 v[47:48], v[9:10], v[49:50], -v[47:48]
	ds_read_b128 v[1:4], v61 offset:1456
	v_fma_f64 v[41:42], v[11:12], v[49:50], v[41:42]
	v_add_f64 v[13:14], v[13:14], v[55:56]
	v_add_f64 v[15:16], v[15:16], v[39:40]
	s_clause 0x2
	buffer_load_dword v58, off, s[0:3], 0 offset:780
	buffer_load_dword v40, off, s[0:3], 0 offset:756
	;; [unrolled: 1-line block ×3, first 2 shown]
	ds_read_b128 v[9:12], v61 offset:1472
	s_waitcnt vmcnt(58) lgkmcnt(1)
	v_mul_f64 v[55:56], v[3:4], v[113:114]
	s_waitcnt vmcnt(56)
	v_fma_f64 v[111:112], v[5:6], v[118:119], -v[111:112]
	v_mul_f64 v[49:50], v[1:2], v[113:114]
	v_add_f64 v[13:14], v[13:14], v[47:48]
	v_fma_f64 v[47:48], v[7:8], v[118:119], v[126:127]
	v_add_f64 v[15:16], v[15:16], v[41:42]
	s_clause 0x4
	buffer_load_dword v42, off, s[0:3], 0 offset:796
	buffer_load_dword v113, off, s[0:3], 0 offset:808
	;; [unrolled: 1-line block ×5, first 2 shown]
	ds_read_b128 v[5:8], v61 offset:1488
	s_waitcnt vmcnt(57) lgkmcnt(1)
	v_mul_f64 v[118:119], v[9:10], v[109:110]
	v_mul_f64 v[109:110], v[11:12], v[109:110]
	s_waitcnt vmcnt(56)
	v_fma_f64 v[55:56], v[1:2], v[115:116], -v[55:56]
	v_fma_f64 v[49:50], v[3:4], v[115:116], v[49:50]
	v_add_f64 v[13:14], v[13:14], v[111:112]
	v_add_f64 v[15:16], v[15:16], v[47:48]
	s_clause 0x2
	buffer_load_dword v114, off, s[0:3], 0 offset:812
	buffer_load_dword v48, off, s[0:3], 0 offset:788
	;; [unrolled: 1-line block ×3, first 2 shown]
	ds_read_b128 v[1:4], v61 offset:1504
	s_waitcnt vmcnt(58) lgkmcnt(1)
	v_mul_f64 v[115:116], v[7:8], v[122:123]
	v_mul_f64 v[111:112], v[5:6], v[122:123]
	s_waitcnt vmcnt(56)
	v_fma_f64 v[109:110], v[9:10], v[103:104], -v[109:110]
	v_add_f64 v[13:14], v[13:14], v[55:56]
	v_fma_f64 v[55:56], v[11:12], v[103:104], v[118:119]
	v_add_f64 v[15:16], v[15:16], v[49:50]
	s_clause 0x4
	buffer_load_dword v50, off, s[0:3], 0 offset:828
	buffer_load_dword v103, off, s[0:3], 0 offset:840
	buffer_load_dword v122, off, s[0:3], 0 offset:832
	buffer_load_dword v49, off, s[0:3], 0 offset:824
	buffer_load_dword v118, off, s[0:3], 0 offset:804
	ds_read_b128 v[9:12], v61 offset:1520
	s_waitcnt vmcnt(57) lgkmcnt(1)
	v_mul_f64 v[126:127], v[1:2], v[25:26]
	v_mul_f64 v[25:26], v[3:4], v[25:26]
	s_waitcnt vmcnt(56)
	v_fma_f64 v[115:116], v[5:6], v[124:125], -v[115:116]
	v_add_f64 v[13:14], v[13:14], v[109:110]
	v_fma_f64 v[109:110], v[7:8], v[124:125], v[111:112]
	v_add_f64 v[15:16], v[15:16], v[55:56]
	s_clause 0x2
	buffer_load_dword v104, off, s[0:3], 0 offset:844
	buffer_load_dword v56, off, s[0:3], 0 offset:820
	buffer_load_dword v55, off, s[0:3], 0 offset:816
	ds_read_b128 v[5:8], v61 offset:1536
	s_waitcnt vmcnt(58) lgkmcnt(1)
	v_mul_f64 v[111:112], v[9:10], v[105:106]
	v_mul_f64 v[105:106], v[11:12], v[105:106]
	s_waitcnt vmcnt(56)
	v_fma_f64 v[25:26], v[1:2], v[19:20], -v[25:26]
	v_fma_f64 v[19:20], v[3:4], v[19:20], v[126:127]
	v_add_f64 v[13:14], v[13:14], v[115:116]
	v_add_f64 v[15:16], v[15:16], v[109:110]
	s_clause 0x4
	buffer_load_dword v110, off, s[0:3], 0 offset:860
	buffer_load_dword v115, off, s[0:3], 0 offset:872
	buffer_load_dword v119, off, s[0:3], 0 offset:864
	buffer_load_dword v109, off, s[0:3], 0 offset:856
	buffer_load_dword v123, off, s[0:3], 0 offset:836
	ds_read_b128 v[1:4], v61 offset:1552
	s_waitcnt vmcnt(57) lgkmcnt(1)
	v_mul_f64 v[124:125], v[5:6], v[93:94]
	v_mul_f64 v[93:94], v[7:8], v[93:94]
	s_waitcnt vmcnt(56)
	v_fma_f64 v[105:106], v[9:10], v[120:121], -v[105:106]
	v_add_f64 v[13:14], v[13:14], v[25:26]
	v_fma_f64 v[25:26], v[11:12], v[120:121], v[111:112]
	v_add_f64 v[15:16], v[15:16], v[19:20]
	s_clause 0x2
	buffer_load_dword v116, off, s[0:3], 0 offset:876
	buffer_load_dword v20, off, s[0:3], 0 offset:852
	buffer_load_dword v19, off, s[0:3], 0 offset:848
	ds_read_b128 v[9:12], v61 offset:1568
	s_waitcnt vmcnt(58) lgkmcnt(1)
	v_mul_f64 v[111:112], v[1:2], v[95:96]
	v_mul_f64 v[95:96], v[3:4], v[95:96]
	s_waitcnt vmcnt(56)
	v_fma_f64 v[93:94], v[5:6], v[21:22], -v[93:94]
	v_fma_f64 v[21:22], v[7:8], v[21:22], v[124:125]
	v_add_f64 v[13:14], v[13:14], v[105:106]
	;; [unrolled: 28-line block ×3, first 2 shown]
	v_add_f64 v[15:16], v[15:16], v[93:94]
	s_clause 0x4
	buffer_load_dword v94, off, s[0:3], 0 offset:924
	buffer_load_dword v95, off, s[0:3], 0 offset:936
	;; [unrolled: 1-line block ×5, first 2 shown]
	ds_read_b128 v[9:12], v61 offset:1616
	s_waitcnt vmcnt(57) lgkmcnt(1)
	v_mul_f64 v[126:127], v[1:2], v[23:24]
	v_mul_f64 v[23:24], v[3:4], v[23:24]
	s_waitcnt vmcnt(56)
	v_fma_f64 v[37:38], v[5:6], v[101:102], -v[37:38]
	v_add_f64 v[13:14], v[13:14], v[17:18]
	v_fma_f64 v[17:18], v[7:8], v[101:102], v[107:108]
	v_add_f64 v[15:16], v[15:16], v[27:28]
	s_clause 0x2
	buffer_load_dword v96, off, s[0:3], 0 offset:940
	buffer_load_dword v28, off, s[0:3], 0 offset:916
	;; [unrolled: 1-line block ×3, first 2 shown]
	s_waitcnt vmcnt(58) lgkmcnt(0)
	v_mul_f64 v[101:102], v[9:10], v[43:44]
	v_mul_f64 v[43:44], v[11:12], v[43:44]
	ds_read_b128 v[5:8], v61 offset:1632
	buffer_load_dword v112, off, s[0:3], 0 offset:932
	s_waitcnt vmcnt(57)
	v_fma_f64 v[23:24], v[1:2], v[33:34], -v[23:24]
	v_fma_f64 v[33:34], v[3:4], v[33:34], v[126:127]
	ds_read_b128 v[1:4], v61 offset:1648
	v_add_f64 v[13:14], v[13:14], v[37:38]
	v_add_f64 v[15:16], v[15:16], v[17:18]
	s_waitcnt vmcnt(53) lgkmcnt(1)
	v_mul_f64 v[17:18], v[5:6], v[29:30]
	v_mul_f64 v[29:30], v[7:8], v[29:30]
	s_waitcnt vmcnt(52)
	v_fma_f64 v[37:38], v[9:10], v[45:46], -v[43:44]
	v_add_f64 v[13:14], v[13:14], v[23:24]
	v_fma_f64 v[23:24], v[11:12], v[45:46], v[101:102]
	v_add_f64 v[15:16], v[15:16], v[33:34]
	ds_read_b128 v[9:12], v61 offset:1664
	s_waitcnt vmcnt(51) lgkmcnt(1)
	v_mul_f64 v[43:44], v[3:4], v[51:52]
	v_mul_f64 v[33:34], v[1:2], v[51:52]
	s_waitcnt vmcnt(49)
	v_fma_f64 v[29:30], v[5:6], v[31:32], -v[29:30]
	v_fma_f64 v[17:18], v[7:8], v[31:32], v[17:18]
	v_add_f64 v[13:14], v[13:14], v[37:38]
	v_add_f64 v[15:16], v[15:16], v[23:24]
	s_clause 0x3
	buffer_load_dword v23, off, s[0:3], 0 offset:272
	buffer_load_dword v24, off, s[0:3], 0 offset:276
	;; [unrolled: 1-line block ×4, first 2 shown]
	ds_read_b128 v[5:8], v61 offset:1680
	s_waitcnt vmcnt(49) lgkmcnt(1)
	v_mul_f64 v[37:38], v[9:10], v[35:36]
	v_mul_f64 v[35:36], v[11:12], v[35:36]
	s_waitcnt vmcnt(48)
	v_fma_f64 v[43:44], v[1:2], v[53:54], -v[43:44]
	v_add_f64 v[13:14], v[13:14], v[29:30]
	v_fma_f64 v[29:30], v[3:4], v[53:54], v[33:34]
	v_add_f64 v[15:16], v[15:16], v[17:18]
	ds_read_b128 v[1:4], v61 offset:1696
	s_waitcnt vmcnt(47) lgkmcnt(1)
	v_mul_f64 v[33:34], v[7:8], v[57:58]
	v_mul_f64 v[17:18], v[5:6], v[57:58]
	s_waitcnt vmcnt(45)
	v_fma_f64 v[35:36], v[9:10], v[39:40], -v[35:36]
	v_fma_f64 v[37:38], v[11:12], v[39:40], v[37:38]
	ds_read_b128 v[9:12], v61 offset:1712
	v_add_f64 v[13:14], v[13:14], v[43:44]
	v_add_f64 v[15:16], v[15:16], v[29:30]
	s_waitcnt vmcnt(41) lgkmcnt(1)
	v_mul_f64 v[39:40], v[3:4], v[41:42]
	s_waitcnt vmcnt(40)
	v_fma_f64 v[33:34], v[5:6], v[59:60], -v[33:34]
	v_mul_f64 v[29:30], v[1:2], v[41:42]
	v_fma_f64 v[17:18], v[7:8], v[59:60], v[17:18]
	ds_read_b128 v[5:8], v61 offset:1728
	v_add_f64 v[13:14], v[13:14], v[35:36]
	v_add_f64 v[15:16], v[15:16], v[37:38]
	s_waitcnt vmcnt(39) lgkmcnt(1)
	v_mul_f64 v[37:38], v[11:12], v[113:114]
	v_mul_f64 v[35:36], v[9:10], v[113:114]
	s_waitcnt vmcnt(37)
	v_fma_f64 v[39:40], v[1:2], v[47:48], -v[39:40]
	v_fma_f64 v[29:30], v[3:4], v[47:48], v[29:30]
	ds_read_b128 v[1:4], v61 offset:1744
	v_add_f64 v[13:14], v[13:14], v[33:34]
	v_add_f64 v[15:16], v[15:16], v[17:18]
	s_waitcnt vmcnt(33) lgkmcnt(1)
	v_mul_f64 v[33:34], v[7:8], v[49:50]
	s_waitcnt vmcnt(32)
	v_fma_f64 v[37:38], v[9:10], v[117:118], -v[37:38]
	v_mul_f64 v[17:18], v[5:6], v[49:50]
	v_fma_f64 v[35:36], v[11:12], v[117:118], v[35:36]
	ds_read_b128 v[9:12], v61 offset:1760
	v_add_f64 v[13:14], v[13:14], v[39:40]
	v_add_f64 v[15:16], v[15:16], v[29:30]
	;; [unrolled: 18-line block ×3, first 2 shown]
	s_waitcnt vmcnt(23) lgkmcnt(1)
	v_mul_f64 v[33:34], v[7:8], v[115:116]
	v_mul_f64 v[17:18], v[5:6], v[115:116]
	s_waitcnt vmcnt(21)
	v_fma_f64 v[37:38], v[9:10], v[19:20], -v[37:38]
	v_fma_f64 v[19:20], v[11:12], v[19:20], v[35:36]
	ds_read_b128 v[9:12], v61 offset:1808
	v_add_f64 v[13:14], v[13:14], v[39:40]
	v_add_f64 v[15:16], v[15:16], v[29:30]
	s_waitcnt vmcnt(17) lgkmcnt(1)
	v_mul_f64 v[29:30], v[1:2], v[25:26]
	v_mul_f64 v[25:26], v[3:4], v[25:26]
	s_waitcnt vmcnt(16)
	v_fma_f64 v[33:34], v[5:6], v[119:120], -v[33:34]
	v_fma_f64 v[17:18], v[7:8], v[119:120], v[17:18]
	ds_read_b128 v[5:8], v61 offset:1824
	v_add_f64 v[13:14], v[13:14], v[37:38]
	v_add_f64 v[15:16], v[15:16], v[19:20]
	;; [unrolled: 9-line block ×3, first 2 shown]
	s_waitcnt vmcnt(9) lgkmcnt(1)
	v_mul_f64 v[29:30], v[7:8], v[93:94]
	s_waitcnt vmcnt(8)
	v_fma_f64 v[9:10], v[9:10], v[124:125], -v[35:36]
	v_mul_f64 v[17:18], v[5:6], v[93:94]
	v_fma_f64 v[11:12], v[11:12], v[124:125], v[19:20]
	v_add_f64 v[13:14], v[13:14], v[25:26]
	v_add_f64 v[15:16], v[15:16], v[21:22]
	s_waitcnt vmcnt(7) lgkmcnt(0)
	v_mul_f64 v[21:22], v[3:4], v[95:96]
	v_mul_f64 v[19:20], v[1:2], v[95:96]
	s_waitcnt vmcnt(5)
	v_fma_f64 v[5:6], v[5:6], v[27:28], -v[29:30]
	v_fma_f64 v[7:8], v[7:8], v[27:28], v[17:18]
	v_add_f64 v[9:10], v[13:14], v[9:10]
	v_add_f64 v[11:12], v[15:16], v[11:12]
	s_waitcnt vmcnt(4)
	v_fma_f64 v[1:2], v[1:2], v[111:112], -v[21:22]
	v_fma_f64 v[3:4], v[3:4], v[111:112], v[19:20]
	v_add_f64 v[5:6], v[9:10], v[5:6]
	v_add_f64 v[7:8], v[11:12], v[7:8]
	;; [unrolled: 1-line block ×4, first 2 shown]
	s_waitcnt vmcnt(2)
	v_add_f64 v[1:2], v[23:24], -v[1:2]
	s_waitcnt vmcnt(0)
	v_add_f64 v[3:4], v[31:32], -v[3:4]
	buffer_store_dword v2, off, s[0:3], 0 offset:276
	buffer_store_dword v1, off, s[0:3], 0 offset:272
	;; [unrolled: 1-line block ×4, first 2 shown]
	v_cmpx_lt_u32_e32 15, v0
	s_cbranch_execz .LBB57_331
; %bb.330:
	v_mov_b32_e32 v4, s55
	s_clause 0x3
	buffer_load_dword v1, v4, s[0:3], 0 offen
	buffer_load_dword v2, v4, s[0:3], 0 offen offset:4
	buffer_load_dword v3, v4, s[0:3], 0 offen offset:8
	;; [unrolled: 1-line block ×3, first 2 shown]
	buffer_store_dword v61, off, s[0:3], 0 offset:256
	buffer_store_dword v61, off, s[0:3], 0 offset:260
	;; [unrolled: 1-line block ×4, first 2 shown]
	s_waitcnt vmcnt(0)
	ds_write_b128 v63, v[1:4]
.LBB57_331:
	s_or_b32 exec_lo, exec_lo, s4
	s_waitcnt lgkmcnt(0)
	s_waitcnt_vscnt null, 0x0
	s_barrier
	buffer_gl0_inv
	s_clause 0x37
	buffer_load_dword v9, off, s[0:3], 0 offset:280
	buffer_load_dword v10, off, s[0:3], 0 offset:284
	;; [unrolled: 1-line block ×56, first 2 shown]
	ds_read_b128 v[93:96], v61 offset:1184
	s_clause 0x2
	buffer_load_dword v58, off, s[0:3], 0 offset:508
	buffer_load_dword v60, off, s[0:3], 0 offset:484
	;; [unrolled: 1-line block ×3, first 2 shown]
	ds_read_b128 v[101:104], v61 offset:1200
	s_clause 0x4
	buffer_load_dword v112, off, s[0:3], 0 offset:524
	buffer_load_dword v113, off, s[0:3], 0 offset:536
	;; [unrolled: 1-line block ×5, first 2 shown]
	ds_read_b128 v[105:108], v61 offset:1216
	s_clause 0x2
	buffer_load_dword v114, off, s[0:3], 0 offset:540
	buffer_load_dword v119, off, s[0:3], 0 offset:516
	;; [unrolled: 1-line block ×3, first 2 shown]
	s_mov_b32 s4, exec_lo
	s_waitcnt vmcnt(62) lgkmcnt(2)
	v_mul_f64 v[109:110], v[95:96], v[9:10]
	v_mul_f64 v[9:10], v[93:94], v[9:10]
	s_waitcnt lgkmcnt(1)
	v_mul_f64 v[116:117], v[103:104], v[5:6]
	s_waitcnt vmcnt(59) lgkmcnt(0)
	v_mul_f64 v[120:121], v[107:108], v[3:4]
	v_fma_f64 v[93:94], v[93:94], v[7:8], -v[109:110]
	v_mul_f64 v[109:110], v[101:102], v[5:6]
	v_fma_f64 v[9:10], v[95:96], v[7:8], v[9:10]
	s_waitcnt vmcnt(57)
	v_fma_f64 v[101:102], v[101:102], v[1:2], -v[116:117]
	ds_read_b128 v[5:8], v61 offset:1232
	v_mul_f64 v[95:96], v[105:106], v[3:4]
	s_waitcnt vmcnt(51)
	v_fma_f64 v[105:106], v[105:106], v[25:26], -v[120:121]
	v_add_f64 v[93:94], v[93:94], 0
	v_fma_f64 v[103:104], v[103:104], v[1:2], v[109:110]
	v_add_f64 v[9:10], v[9:10], 0
	s_clause 0x4
	buffer_load_dword v110, off, s[0:3], 0 offset:556
	buffer_load_dword v122, off, s[0:3], 0 offset:568
	;; [unrolled: 1-line block ×5, first 2 shown]
	s_waitcnt lgkmcnt(0)
	v_mul_f64 v[125:126], v[5:6], v[13:14]
	v_mul_f64 v[13:14], v[7:8], v[13:14]
	ds_read_b128 v[1:4], v61 offset:1248
	v_fma_f64 v[25:26], v[107:108], v[25:26], v[95:96]
	v_add_f64 v[101:102], v[93:94], v[101:102]
	v_add_f64 v[9:10], v[9:10], v[103:104]
	s_clause 0x2
	buffer_load_dword v123, off, s[0:3], 0 offset:572
	buffer_load_dword v104, off, s[0:3], 0 offset:548
	;; [unrolled: 1-line block ×3, first 2 shown]
	s_waitcnt vmcnt(58) lgkmcnt(0)
	v_mul_f64 v[107:108], v[1:2], v[17:18]
	v_mul_f64 v[17:18], v[3:4], v[17:18]
	s_waitcnt vmcnt(56)
	v_fma_f64 v[13:14], v[5:6], v[19:20], -v[13:14]
	ds_read_b128 v[93:96], v61 offset:1264
	v_fma_f64 v[19:20], v[7:8], v[19:20], v[125:126]
	v_add_f64 v[101:102], v[101:102], v[105:106]
	v_add_f64 v[9:10], v[9:10], v[25:26]
	s_clause 0x4
	buffer_load_dword v26, off, s[0:3], 0 offset:588
	buffer_load_dword v105, off, s[0:3], 0 offset:600
	;; [unrolled: 1-line block ×5, first 2 shown]
	ds_read_b128 v[5:8], v61 offset:1280
	s_waitcnt vmcnt(57) lgkmcnt(1)
	v_mul_f64 v[126:127], v[93:94], v[21:22]
	v_mul_f64 v[21:22], v[95:96], v[21:22]
	s_waitcnt vmcnt(56)
	v_fma_f64 v[17:18], v[1:2], v[11:12], -v[17:18]
	v_fma_f64 v[11:12], v[3:4], v[11:12], v[107:108]
	v_add_f64 v[13:14], v[101:102], v[13:14]
	v_add_f64 v[9:10], v[9:10], v[19:20]
	s_clause 0x2
	buffer_load_dword v106, off, s[0:3], 0 offset:604
	buffer_load_dword v20, off, s[0:3], 0 offset:580
	;; [unrolled: 1-line block ×3, first 2 shown]
	s_waitcnt vmcnt(58) lgkmcnt(0)
	v_mul_f64 v[101:102], v[5:6], v[27:28]
	v_mul_f64 v[27:28], v[7:8], v[27:28]
	s_waitcnt vmcnt(56)
	v_fma_f64 v[21:22], v[93:94], v[29:30], -v[21:22]
	ds_read_b128 v[1:4], v61 offset:1296
	v_add_f64 v[13:14], v[13:14], v[17:18]
	v_fma_f64 v[17:18], v[95:96], v[29:30], v[126:127]
	v_add_f64 v[29:30], v[9:10], v[11:12]
	s_clause 0x4
	buffer_load_dword v94, off, s[0:3], 0 offset:620
	buffer_load_dword v95, off, s[0:3], 0 offset:632
	;; [unrolled: 1-line block ×5, first 2 shown]
	ds_read_b128 v[9:12], v61 offset:1312
	s_waitcnt vmcnt(57) lgkmcnt(1)
	v_mul_f64 v[126:127], v[1:2], v[31:32]
	v_mul_f64 v[31:32], v[3:4], v[31:32]
	s_waitcnt vmcnt(56)
	v_fma_f64 v[27:28], v[5:6], v[15:16], -v[27:28]
	v_fma_f64 v[15:16], v[7:8], v[15:16], v[101:102]
	v_add_f64 v[13:14], v[13:14], v[21:22]
	s_clause 0x2
	buffer_load_dword v96, off, s[0:3], 0 offset:636
	buffer_load_dword v22, off, s[0:3], 0 offset:612
	;; [unrolled: 1-line block ×3, first 2 shown]
	v_add_f64 v[17:18], v[29:30], v[17:18]
	s_waitcnt vmcnt(58) lgkmcnt(0)
	v_mul_f64 v[29:30], v[9:10], v[35:36]
	v_mul_f64 v[35:36], v[11:12], v[35:36]
	ds_read_b128 v[5:8], v61 offset:1328
	s_waitcnt vmcnt(56)
	v_fma_f64 v[31:32], v[1:2], v[37:38], -v[31:32]
	v_add_f64 v[13:14], v[13:14], v[27:28]
	v_fma_f64 v[27:28], v[3:4], v[37:38], v[126:127]
	v_add_f64 v[15:16], v[17:18], v[15:16]
	s_clause 0x4
	buffer_load_dword v18, off, s[0:3], 0 offset:652
	buffer_load_dword v37, off, s[0:3], 0 offset:664
	buffer_load_dword v101, off, s[0:3], 0 offset:656
	buffer_load_dword v17, off, s[0:3], 0 offset:648
	buffer_load_dword v108, off, s[0:3], 0 offset:628
	s_waitcnt vmcnt(57) lgkmcnt(0)
	v_mul_f64 v[126:127], v[5:6], v[39:40]
	v_mul_f64 v[39:40], v[7:8], v[39:40]
	s_waitcnt vmcnt(56)
	v_fma_f64 v[35:36], v[9:10], v[23:24], -v[35:36]
	ds_read_b128 v[1:4], v61 offset:1344
	v_fma_f64 v[23:24], v[11:12], v[23:24], v[29:30]
	v_add_f64 v[13:14], v[13:14], v[31:32]
	v_add_f64 v[15:16], v[15:16], v[27:28]
	s_clause 0x2
	buffer_load_dword v38, off, s[0:3], 0 offset:668
	buffer_load_dword v28, off, s[0:3], 0 offset:644
	;; [unrolled: 1-line block ×3, first 2 shown]
	ds_read_b128 v[9:12], v61 offset:1360
	s_waitcnt vmcnt(58) lgkmcnt(1)
	v_mul_f64 v[31:32], v[3:4], v[43:44]
	s_waitcnt vmcnt(56)
	v_fma_f64 v[39:40], v[5:6], v[45:46], -v[39:40]
	v_mul_f64 v[29:30], v[1:2], v[43:44]
	v_add_f64 v[13:14], v[13:14], v[35:36]
	v_fma_f64 v[35:36], v[7:8], v[45:46], v[126:127]
	v_add_f64 v[15:16], v[15:16], v[23:24]
	s_clause 0x4
	buffer_load_dword v24, off, s[0:3], 0 offset:684
	buffer_load_dword v43, off, s[0:3], 0 offset:696
	;; [unrolled: 1-line block ×5, first 2 shown]
	s_waitcnt vmcnt(57) lgkmcnt(0)
	v_mul_f64 v[126:127], v[9:10], v[47:48]
	v_mul_f64 v[46:47], v[11:12], v[47:48]
	s_waitcnt vmcnt(56)
	v_fma_f64 v[31:32], v[1:2], v[33:34], -v[31:32]
	ds_read_b128 v[5:8], v61 offset:1376
	v_fma_f64 v[29:30], v[3:4], v[33:34], v[29:30]
	s_clause 0x2
	buffer_load_dword v44, off, s[0:3], 0 offset:700
	buffer_load_dword v34, off, s[0:3], 0 offset:676
	;; [unrolled: 1-line block ×3, first 2 shown]
	ds_read_b128 v[1:4], v61 offset:1392
	v_add_f64 v[13:14], v[13:14], v[39:40]
	v_add_f64 v[15:16], v[15:16], v[35:36]
	s_waitcnt vmcnt(58) lgkmcnt(1)
	v_mul_f64 v[39:40], v[7:8], v[51:52]
	s_waitcnt vmcnt(56)
	v_fma_f64 v[47:48], v[9:10], v[53:54], -v[46:47]
	v_mul_f64 v[35:36], v[5:6], v[51:52]
	v_add_f64 v[13:14], v[13:14], v[31:32]
	v_fma_f64 v[31:32], v[11:12], v[53:54], v[126:127]
	v_add_f64 v[15:16], v[15:16], v[29:30]
	s_clause 0x4
	buffer_load_dword v30, off, s[0:3], 0 offset:716
	buffer_load_dword v51, off, s[0:3], 0 offset:728
	;; [unrolled: 1-line block ×5, first 2 shown]
	s_waitcnt vmcnt(57) lgkmcnt(0)
	v_mul_f64 v[126:127], v[1:2], v[55:56]
	v_mul_f64 v[54:55], v[3:4], v[55:56]
	s_waitcnt vmcnt(56)
	v_fma_f64 v[39:40], v[5:6], v[41:42], -v[39:40]
	ds_read_b128 v[9:12], v61 offset:1408
	v_fma_f64 v[35:36], v[7:8], v[41:42], v[35:36]
	v_add_f64 v[13:14], v[13:14], v[47:48]
	v_add_f64 v[15:16], v[15:16], v[31:32]
	s_clause 0x2
	buffer_load_dword v52, off, s[0:3], 0 offset:732
	buffer_load_dword v32, off, s[0:3], 0 offset:708
	;; [unrolled: 1-line block ×3, first 2 shown]
	ds_read_b128 v[5:8], v61 offset:1424
	s_waitcnt vmcnt(58) lgkmcnt(1)
	v_mul_f64 v[47:48], v[11:12], v[57:58]
	s_waitcnt vmcnt(56)
	v_fma_f64 v[55:56], v[1:2], v[59:60], -v[54:55]
	v_mul_f64 v[41:42], v[9:10], v[57:58]
	v_add_f64 v[13:14], v[13:14], v[39:40]
	v_fma_f64 v[39:40], v[3:4], v[59:60], v[126:127]
	v_add_f64 v[15:16], v[15:16], v[35:36]
	s_clause 0x4
	buffer_load_dword v36, off, s[0:3], 0 offset:748
	buffer_load_dword v57, off, s[0:3], 0 offset:760
	;; [unrolled: 1-line block ×5, first 2 shown]
	s_waitcnt vmcnt(57) lgkmcnt(0)
	v_mul_f64 v[126:127], v[5:6], v[111:112]
	v_mul_f64 v[111:112], v[7:8], v[111:112]
	s_waitcnt vmcnt(56)
	v_fma_f64 v[47:48], v[9:10], v[49:50], -v[47:48]
	ds_read_b128 v[1:4], v61 offset:1440
	v_fma_f64 v[41:42], v[11:12], v[49:50], v[41:42]
	v_add_f64 v[13:14], v[13:14], v[55:56]
	v_add_f64 v[15:16], v[15:16], v[39:40]
	s_clause 0x2
	buffer_load_dword v58, off, s[0:3], 0 offset:764
	buffer_load_dword v40, off, s[0:3], 0 offset:740
	;; [unrolled: 1-line block ×3, first 2 shown]
	ds_read_b128 v[9:12], v61 offset:1456
	s_waitcnt vmcnt(58) lgkmcnt(1)
	v_mul_f64 v[55:56], v[3:4], v[113:114]
	s_waitcnt vmcnt(56)
	v_fma_f64 v[111:112], v[5:6], v[118:119], -v[111:112]
	v_mul_f64 v[49:50], v[1:2], v[113:114]
	v_add_f64 v[13:14], v[13:14], v[47:48]
	v_fma_f64 v[47:48], v[7:8], v[118:119], v[126:127]
	v_add_f64 v[15:16], v[15:16], v[41:42]
	s_clause 0x4
	buffer_load_dword v42, off, s[0:3], 0 offset:780
	buffer_load_dword v113, off, s[0:3], 0 offset:792
	buffer_load_dword v117, off, s[0:3], 0 offset:784
	buffer_load_dword v41, off, s[0:3], 0 offset:776
	buffer_load_dword v60, off, s[0:3], 0 offset:756
	ds_read_b128 v[5:8], v61 offset:1472
	s_waitcnt vmcnt(57) lgkmcnt(1)
	v_mul_f64 v[118:119], v[9:10], v[109:110]
	v_mul_f64 v[109:110], v[11:12], v[109:110]
	s_waitcnt vmcnt(56)
	v_fma_f64 v[55:56], v[1:2], v[115:116], -v[55:56]
	v_fma_f64 v[49:50], v[3:4], v[115:116], v[49:50]
	v_add_f64 v[13:14], v[13:14], v[111:112]
	v_add_f64 v[15:16], v[15:16], v[47:48]
	s_clause 0x2
	buffer_load_dword v114, off, s[0:3], 0 offset:796
	buffer_load_dword v48, off, s[0:3], 0 offset:772
	buffer_load_dword v47, off, s[0:3], 0 offset:768
	ds_read_b128 v[1:4], v61 offset:1488
	s_waitcnt vmcnt(58) lgkmcnt(1)
	v_mul_f64 v[115:116], v[7:8], v[122:123]
	v_mul_f64 v[111:112], v[5:6], v[122:123]
	s_waitcnt vmcnt(56)
	v_fma_f64 v[109:110], v[9:10], v[103:104], -v[109:110]
	v_add_f64 v[13:14], v[13:14], v[55:56]
	v_fma_f64 v[55:56], v[11:12], v[103:104], v[118:119]
	v_add_f64 v[15:16], v[15:16], v[49:50]
	s_clause 0x4
	buffer_load_dword v50, off, s[0:3], 0 offset:812
	buffer_load_dword v103, off, s[0:3], 0 offset:824
	buffer_load_dword v122, off, s[0:3], 0 offset:816
	buffer_load_dword v49, off, s[0:3], 0 offset:808
	buffer_load_dword v118, off, s[0:3], 0 offset:788
	ds_read_b128 v[9:12], v61 offset:1504
	s_waitcnt vmcnt(57) lgkmcnt(1)
	v_mul_f64 v[126:127], v[1:2], v[25:26]
	v_mul_f64 v[25:26], v[3:4], v[25:26]
	s_waitcnt vmcnt(56)
	v_fma_f64 v[115:116], v[5:6], v[124:125], -v[115:116]
	v_add_f64 v[13:14], v[13:14], v[109:110]
	v_fma_f64 v[109:110], v[7:8], v[124:125], v[111:112]
	v_add_f64 v[15:16], v[15:16], v[55:56]
	s_clause 0x2
	buffer_load_dword v104, off, s[0:3], 0 offset:828
	buffer_load_dword v56, off, s[0:3], 0 offset:804
	buffer_load_dword v55, off, s[0:3], 0 offset:800
	ds_read_b128 v[5:8], v61 offset:1520
	s_waitcnt vmcnt(58) lgkmcnt(1)
	v_mul_f64 v[111:112], v[9:10], v[105:106]
	v_mul_f64 v[105:106], v[11:12], v[105:106]
	s_waitcnt vmcnt(56)
	v_fma_f64 v[25:26], v[1:2], v[19:20], -v[25:26]
	v_fma_f64 v[19:20], v[3:4], v[19:20], v[126:127]
	v_add_f64 v[13:14], v[13:14], v[115:116]
	v_add_f64 v[15:16], v[15:16], v[109:110]
	s_clause 0x4
	buffer_load_dword v110, off, s[0:3], 0 offset:844
	buffer_load_dword v115, off, s[0:3], 0 offset:856
	buffer_load_dword v119, off, s[0:3], 0 offset:848
	buffer_load_dword v109, off, s[0:3], 0 offset:840
	buffer_load_dword v123, off, s[0:3], 0 offset:820
	ds_read_b128 v[1:4], v61 offset:1536
	s_waitcnt vmcnt(57) lgkmcnt(1)
	v_mul_f64 v[124:125], v[5:6], v[93:94]
	v_mul_f64 v[93:94], v[7:8], v[93:94]
	s_waitcnt vmcnt(56)
	v_fma_f64 v[105:106], v[9:10], v[120:121], -v[105:106]
	v_add_f64 v[13:14], v[13:14], v[25:26]
	v_fma_f64 v[25:26], v[11:12], v[120:121], v[111:112]
	v_add_f64 v[15:16], v[15:16], v[19:20]
	s_clause 0x2
	buffer_load_dword v116, off, s[0:3], 0 offset:860
	buffer_load_dword v20, off, s[0:3], 0 offset:836
	buffer_load_dword v19, off, s[0:3], 0 offset:832
	ds_read_b128 v[9:12], v61 offset:1552
	s_waitcnt vmcnt(58) lgkmcnt(1)
	v_mul_f64 v[111:112], v[1:2], v[95:96]
	v_mul_f64 v[95:96], v[3:4], v[95:96]
	s_waitcnt vmcnt(56)
	v_fma_f64 v[93:94], v[5:6], v[21:22], -v[93:94]
	v_fma_f64 v[21:22], v[7:8], v[21:22], v[124:125]
	v_add_f64 v[13:14], v[13:14], v[105:106]
	;; [unrolled: 28-line block ×3, first 2 shown]
	v_add_f64 v[15:16], v[15:16], v[93:94]
	s_clause 0x4
	buffer_load_dword v94, off, s[0:3], 0 offset:908
	buffer_load_dword v95, off, s[0:3], 0 offset:920
	;; [unrolled: 1-line block ×5, first 2 shown]
	ds_read_b128 v[9:12], v61 offset:1600
	s_waitcnt vmcnt(57) lgkmcnt(1)
	v_mul_f64 v[126:127], v[1:2], v[23:24]
	v_mul_f64 v[23:24], v[3:4], v[23:24]
	s_waitcnt vmcnt(56)
	v_fma_f64 v[37:38], v[5:6], v[101:102], -v[37:38]
	v_add_f64 v[13:14], v[13:14], v[17:18]
	v_fma_f64 v[17:18], v[7:8], v[101:102], v[107:108]
	v_add_f64 v[15:16], v[15:16], v[27:28]
	s_clause 0x2
	buffer_load_dword v96, off, s[0:3], 0 offset:924
	buffer_load_dword v28, off, s[0:3], 0 offset:900
	;; [unrolled: 1-line block ×3, first 2 shown]
	s_waitcnt vmcnt(58) lgkmcnt(0)
	v_mul_f64 v[101:102], v[9:10], v[43:44]
	v_mul_f64 v[43:44], v[11:12], v[43:44]
	ds_read_b128 v[5:8], v61 offset:1616
	s_waitcnt vmcnt(56)
	v_fma_f64 v[23:24], v[1:2], v[33:34], -v[23:24]
	v_fma_f64 v[33:34], v[3:4], v[33:34], v[126:127]
	v_add_f64 v[13:14], v[13:14], v[37:38]
	v_add_f64 v[15:16], v[15:16], v[17:18]
	s_clause 0x2
	buffer_load_dword v18, off, s[0:3], 0 offset:940
	buffer_load_dword v17, off, s[0:3], 0 offset:936
	;; [unrolled: 1-line block ×3, first 2 shown]
	ds_read_b128 v[1:4], v61 offset:1632
	s_waitcnt vmcnt(55) lgkmcnt(1)
	v_mul_f64 v[37:38], v[5:6], v[29:30]
	v_mul_f64 v[29:30], v[7:8], v[29:30]
	s_waitcnt vmcnt(54)
	v_fma_f64 v[43:44], v[9:10], v[45:46], -v[43:44]
	v_add_f64 v[13:14], v[13:14], v[23:24]
	v_fma_f64 v[23:24], v[11:12], v[45:46], v[101:102]
	v_add_f64 v[15:16], v[15:16], v[33:34]
	s_clause 0x1
	buffer_load_dword v34, off, s[0:3], 0 offset:932
	buffer_load_dword v33, off, s[0:3], 0 offset:928
	ds_read_b128 v[9:12], v61 offset:1648
	s_waitcnt vmcnt(55) lgkmcnt(1)
	v_mul_f64 v[45:46], v[1:2], v[51:52]
	v_mul_f64 v[51:52], v[3:4], v[51:52]
	s_waitcnt vmcnt(53)
	v_fma_f64 v[29:30], v[5:6], v[31:32], -v[29:30]
	v_fma_f64 v[31:32], v[7:8], v[31:32], v[37:38]
	ds_read_b128 v[5:8], v61 offset:1664
	v_add_f64 v[13:14], v[13:14], v[43:44]
	v_add_f64 v[15:16], v[15:16], v[23:24]
	s_waitcnt vmcnt(49) lgkmcnt(1)
	v_mul_f64 v[23:24], v[9:10], v[35:36]
	v_mul_f64 v[35:36], v[11:12], v[35:36]
	s_waitcnt vmcnt(48)
	v_fma_f64 v[37:38], v[1:2], v[53:54], -v[51:52]
	v_add_f64 v[13:14], v[13:14], v[29:30]
	v_fma_f64 v[29:30], v[3:4], v[53:54], v[45:46]
	v_add_f64 v[15:16], v[15:16], v[31:32]
	s_clause 0x3
	buffer_load_dword v31, off, s[0:3], 0 offset:256
	buffer_load_dword v32, off, s[0:3], 0 offset:260
	;; [unrolled: 1-line block ×4, first 2 shown]
	ds_read_b128 v[1:4], v61 offset:1680
	s_waitcnt vmcnt(51) lgkmcnt(1)
	v_mul_f64 v[51:52], v[7:8], v[57:58]
	v_mul_f64 v[45:46], v[5:6], v[57:58]
	s_waitcnt vmcnt(49)
	v_fma_f64 v[35:36], v[9:10], v[39:40], -v[35:36]
	v_fma_f64 v[23:24], v[11:12], v[39:40], v[23:24]
	ds_read_b128 v[9:12], v61 offset:1696
	v_add_f64 v[13:14], v[13:14], v[37:38]
	v_add_f64 v[15:16], v[15:16], v[29:30]
	s_waitcnt vmcnt(45) lgkmcnt(1)
	v_mul_f64 v[37:38], v[3:4], v[41:42]
	s_waitcnt vmcnt(44)
	v_fma_f64 v[39:40], v[5:6], v[59:60], -v[51:52]
	v_mul_f64 v[29:30], v[1:2], v[41:42]
	v_add_f64 v[13:14], v[13:14], v[35:36]
	v_fma_f64 v[35:36], v[7:8], v[59:60], v[45:46]
	v_add_f64 v[15:16], v[15:16], v[23:24]
	ds_read_b128 v[5:8], v61 offset:1712
	s_waitcnt vmcnt(43) lgkmcnt(1)
	v_mul_f64 v[41:42], v[11:12], v[113:114]
	v_mul_f64 v[23:24], v[9:10], v[113:114]
	s_waitcnt vmcnt(41)
	v_fma_f64 v[37:38], v[1:2], v[47:48], -v[37:38]
	v_fma_f64 v[29:30], v[3:4], v[47:48], v[29:30]
	ds_read_b128 v[1:4], v61 offset:1728
	v_add_f64 v[13:14], v[13:14], v[39:40]
	v_add_f64 v[15:16], v[15:16], v[35:36]
	s_waitcnt vmcnt(37) lgkmcnt(1)
	v_mul_f64 v[39:40], v[7:8], v[49:50]
	s_waitcnt vmcnt(36)
	v_fma_f64 v[41:42], v[9:10], v[117:118], -v[41:42]
	v_mul_f64 v[35:36], v[5:6], v[49:50]
	v_fma_f64 v[23:24], v[11:12], v[117:118], v[23:24]
	ds_read_b128 v[9:12], v61 offset:1744
	v_add_f64 v[13:14], v[13:14], v[37:38]
	v_add_f64 v[15:16], v[15:16], v[29:30]
	s_waitcnt vmcnt(35) lgkmcnt(1)
	v_mul_f64 v[37:38], v[3:4], v[103:104]
	v_mul_f64 v[29:30], v[1:2], v[103:104]
	s_waitcnt vmcnt(33)
	v_fma_f64 v[39:40], v[5:6], v[55:56], -v[39:40]
	v_fma_f64 v[35:36], v[7:8], v[55:56], v[35:36]
	ds_read_b128 v[5:8], v61 offset:1760
	v_add_f64 v[13:14], v[13:14], v[41:42]
	v_add_f64 v[15:16], v[15:16], v[23:24]
	s_waitcnt vmcnt(29) lgkmcnt(1)
	v_mul_f64 v[41:42], v[11:12], v[109:110]
	s_waitcnt vmcnt(28)
	v_fma_f64 v[37:38], v[1:2], v[122:123], -v[37:38]
	v_mul_f64 v[23:24], v[9:10], v[109:110]
	v_fma_f64 v[29:30], v[3:4], v[122:123], v[29:30]
	ds_read_b128 v[1:4], v61 offset:1776
	v_add_f64 v[13:14], v[13:14], v[39:40]
	v_add_f64 v[15:16], v[15:16], v[35:36]
	s_waitcnt vmcnt(27) lgkmcnt(1)
	v_mul_f64 v[39:40], v[7:8], v[115:116]
	v_mul_f64 v[35:36], v[5:6], v[115:116]
	s_waitcnt vmcnt(25)
	v_fma_f64 v[41:42], v[9:10], v[19:20], -v[41:42]
	v_fma_f64 v[19:20], v[11:12], v[19:20], v[23:24]
	ds_read_b128 v[9:12], v61 offset:1792
	v_add_f64 v[13:14], v[13:14], v[37:38]
	v_add_f64 v[15:16], v[15:16], v[29:30]
	s_waitcnt vmcnt(21) lgkmcnt(1)
	v_mul_f64 v[23:24], v[1:2], v[25:26]
	v_mul_f64 v[25:26], v[3:4], v[25:26]
	s_waitcnt vmcnt(20)
	v_fma_f64 v[29:30], v[5:6], v[119:120], -v[39:40]
	;; [unrolled: 9-line block ×3, first 2 shown]
	v_fma_f64 v[21:22], v[3:4], v[21:22], v[23:24]
	ds_read_b128 v[1:4], v61 offset:1824
	v_add_f64 v[13:14], v[13:14], v[29:30]
	v_add_f64 v[15:16], v[15:16], v[35:36]
	s_waitcnt vmcnt(13) lgkmcnt(1)
	v_mul_f64 v[29:30], v[7:8], v[93:94]
	s_waitcnt vmcnt(12)
	v_fma_f64 v[35:36], v[9:10], v[124:125], -v[37:38]
	v_mul_f64 v[23:24], v[5:6], v[93:94]
	v_fma_f64 v[19:20], v[11:12], v[124:125], v[19:20]
	ds_read_b128 v[9:12], v61 offset:1840
	v_add_f64 v[13:14], v[13:14], v[25:26]
	v_add_f64 v[15:16], v[15:16], v[21:22]
	s_waitcnt vmcnt(11) lgkmcnt(1)
	v_mul_f64 v[25:26], v[3:4], v[95:96]
	v_mul_f64 v[21:22], v[1:2], v[95:96]
	s_waitcnt vmcnt(9)
	v_fma_f64 v[5:6], v[5:6], v[27:28], -v[29:30]
	v_fma_f64 v[7:8], v[7:8], v[27:28], v[23:24]
	v_add_f64 v[13:14], v[13:14], v[35:36]
	v_add_f64 v[15:16], v[15:16], v[19:20]
	s_waitcnt vmcnt(7) lgkmcnt(0)
	v_mul_f64 v[19:20], v[9:10], v[17:18]
	v_mul_f64 v[17:18], v[11:12], v[17:18]
	s_waitcnt vmcnt(6)
	v_fma_f64 v[1:2], v[1:2], v[111:112], -v[25:26]
	v_fma_f64 v[3:4], v[3:4], v[111:112], v[21:22]
	v_add_f64 v[5:6], v[13:14], v[5:6]
	v_add_f64 v[7:8], v[15:16], v[7:8]
	s_waitcnt vmcnt(4)
	v_fma_f64 v[9:10], v[9:10], v[33:34], -v[17:18]
	v_add_f64 v[1:2], v[5:6], v[1:2]
	v_fma_f64 v[5:6], v[11:12], v[33:34], v[19:20]
	v_add_f64 v[3:4], v[7:8], v[3:4]
	v_add_f64 v[1:2], v[1:2], v[9:10]
	;; [unrolled: 1-line block ×3, first 2 shown]
	s_waitcnt vmcnt(2)
	v_add_f64 v[1:2], v[31:32], -v[1:2]
	s_waitcnt vmcnt(0)
	v_add_f64 v[3:4], v[43:44], -v[3:4]
	buffer_store_dword v2, off, s[0:3], 0 offset:260
	buffer_store_dword v1, off, s[0:3], 0 offset:256
	;; [unrolled: 1-line block ×4, first 2 shown]
	v_cmpx_lt_u32_e32 14, v0
	s_cbranch_execz .LBB57_333
; %bb.332:
	v_mov_b32_e32 v4, s56
	v_mov_b32_e32 v5, 0
	s_clause 0x3
	buffer_load_dword v1, v4, s[0:3], 0 offen
	buffer_load_dword v2, v4, s[0:3], 0 offen offset:4
	buffer_load_dword v3, v4, s[0:3], 0 offen offset:8
	;; [unrolled: 1-line block ×3, first 2 shown]
	buffer_store_dword v5, off, s[0:3], 0 offset:240
	buffer_store_dword v5, off, s[0:3], 0 offset:244
	;; [unrolled: 1-line block ×4, first 2 shown]
	s_waitcnt vmcnt(0)
	ds_write_b128 v63, v[1:4]
.LBB57_333:
	s_or_b32 exec_lo, exec_lo, s4
	s_waitcnt lgkmcnt(0)
	s_waitcnt_vscnt null, 0x0
	s_barrier
	buffer_gl0_inv
	s_clause 0x37
	buffer_load_dword v9, off, s[0:3], 0 offset:264
	buffer_load_dword v10, off, s[0:3], 0 offset:268
	;; [unrolled: 1-line block ×56, first 2 shown]
	v_mov_b32_e32 v61, 0
	s_mov_b32 s4, exec_lo
	ds_read_b128 v[93:96], v61 offset:1168
	s_clause 0x2
	buffer_load_dword v58, off, s[0:3], 0 offset:492
	buffer_load_dword v60, off, s[0:3], 0 offset:468
	;; [unrolled: 1-line block ×3, first 2 shown]
	ds_read_b128 v[101:104], v61 offset:1184
	s_clause 0x4
	buffer_load_dword v112, off, s[0:3], 0 offset:508
	buffer_load_dword v113, off, s[0:3], 0 offset:520
	;; [unrolled: 1-line block ×5, first 2 shown]
	ds_read_b128 v[105:108], v61 offset:1200
	s_clause 0x2
	buffer_load_dword v114, off, s[0:3], 0 offset:524
	buffer_load_dword v119, off, s[0:3], 0 offset:500
	;; [unrolled: 1-line block ×3, first 2 shown]
	s_waitcnt vmcnt(62) lgkmcnt(2)
	v_mul_f64 v[109:110], v[95:96], v[9:10]
	v_mul_f64 v[9:10], v[93:94], v[9:10]
	s_waitcnt lgkmcnt(1)
	v_mul_f64 v[116:117], v[103:104], v[5:6]
	s_waitcnt vmcnt(59) lgkmcnt(0)
	v_mul_f64 v[120:121], v[107:108], v[3:4]
	v_fma_f64 v[93:94], v[93:94], v[7:8], -v[109:110]
	v_mul_f64 v[109:110], v[101:102], v[5:6]
	v_fma_f64 v[9:10], v[95:96], v[7:8], v[9:10]
	s_waitcnt vmcnt(57)
	v_fma_f64 v[101:102], v[101:102], v[1:2], -v[116:117]
	ds_read_b128 v[5:8], v61 offset:1216
	v_mul_f64 v[95:96], v[105:106], v[3:4]
	s_waitcnt vmcnt(51)
	v_fma_f64 v[105:106], v[105:106], v[25:26], -v[120:121]
	v_add_f64 v[93:94], v[93:94], 0
	v_fma_f64 v[103:104], v[103:104], v[1:2], v[109:110]
	v_add_f64 v[9:10], v[9:10], 0
	s_clause 0x4
	buffer_load_dword v110, off, s[0:3], 0 offset:540
	buffer_load_dword v122, off, s[0:3], 0 offset:552
	buffer_load_dword v124, off, s[0:3], 0 offset:544
	buffer_load_dword v109, off, s[0:3], 0 offset:536
	buffer_load_dword v116, off, s[0:3], 0 offset:516
	s_waitcnt lgkmcnt(0)
	v_mul_f64 v[125:126], v[5:6], v[13:14]
	v_mul_f64 v[13:14], v[7:8], v[13:14]
	ds_read_b128 v[1:4], v61 offset:1232
	v_fma_f64 v[25:26], v[107:108], v[25:26], v[95:96]
	v_add_f64 v[101:102], v[93:94], v[101:102]
	v_add_f64 v[9:10], v[9:10], v[103:104]
	s_clause 0x2
	buffer_load_dword v123, off, s[0:3], 0 offset:556
	buffer_load_dword v104, off, s[0:3], 0 offset:532
	;; [unrolled: 1-line block ×3, first 2 shown]
	s_waitcnt vmcnt(58) lgkmcnt(0)
	v_mul_f64 v[107:108], v[1:2], v[17:18]
	v_mul_f64 v[17:18], v[3:4], v[17:18]
	s_waitcnt vmcnt(56)
	v_fma_f64 v[13:14], v[5:6], v[19:20], -v[13:14]
	ds_read_b128 v[93:96], v61 offset:1248
	v_fma_f64 v[19:20], v[7:8], v[19:20], v[125:126]
	v_add_f64 v[101:102], v[101:102], v[105:106]
	v_add_f64 v[9:10], v[9:10], v[25:26]
	s_clause 0x4
	buffer_load_dword v26, off, s[0:3], 0 offset:572
	buffer_load_dword v105, off, s[0:3], 0 offset:584
	buffer_load_dword v120, off, s[0:3], 0 offset:576
	buffer_load_dword v25, off, s[0:3], 0 offset:568
	buffer_load_dword v125, off, s[0:3], 0 offset:548
	ds_read_b128 v[5:8], v61 offset:1264
	s_waitcnt vmcnt(57) lgkmcnt(1)
	v_mul_f64 v[126:127], v[93:94], v[21:22]
	v_mul_f64 v[21:22], v[95:96], v[21:22]
	s_waitcnt vmcnt(56)
	v_fma_f64 v[17:18], v[1:2], v[11:12], -v[17:18]
	v_fma_f64 v[11:12], v[3:4], v[11:12], v[107:108]
	v_add_f64 v[13:14], v[101:102], v[13:14]
	v_add_f64 v[9:10], v[9:10], v[19:20]
	s_clause 0x2
	buffer_load_dword v106, off, s[0:3], 0 offset:588
	buffer_load_dword v20, off, s[0:3], 0 offset:564
	;; [unrolled: 1-line block ×3, first 2 shown]
	s_waitcnt vmcnt(58) lgkmcnt(0)
	v_mul_f64 v[101:102], v[5:6], v[27:28]
	v_mul_f64 v[27:28], v[7:8], v[27:28]
	s_waitcnt vmcnt(56)
	v_fma_f64 v[21:22], v[93:94], v[29:30], -v[21:22]
	ds_read_b128 v[1:4], v61 offset:1280
	v_add_f64 v[13:14], v[13:14], v[17:18]
	v_fma_f64 v[17:18], v[95:96], v[29:30], v[126:127]
	v_add_f64 v[29:30], v[9:10], v[11:12]
	s_clause 0x4
	buffer_load_dword v94, off, s[0:3], 0 offset:604
	buffer_load_dword v95, off, s[0:3], 0 offset:616
	;; [unrolled: 1-line block ×5, first 2 shown]
	ds_read_b128 v[9:12], v61 offset:1296
	s_waitcnt vmcnt(57) lgkmcnt(1)
	v_mul_f64 v[126:127], v[1:2], v[31:32]
	v_mul_f64 v[31:32], v[3:4], v[31:32]
	s_waitcnt vmcnt(56)
	v_fma_f64 v[27:28], v[5:6], v[15:16], -v[27:28]
	v_fma_f64 v[15:16], v[7:8], v[15:16], v[101:102]
	v_add_f64 v[13:14], v[13:14], v[21:22]
	s_clause 0x2
	buffer_load_dword v96, off, s[0:3], 0 offset:620
	buffer_load_dword v22, off, s[0:3], 0 offset:596
	;; [unrolled: 1-line block ×3, first 2 shown]
	v_add_f64 v[17:18], v[29:30], v[17:18]
	s_waitcnt vmcnt(58) lgkmcnt(0)
	v_mul_f64 v[29:30], v[9:10], v[35:36]
	v_mul_f64 v[35:36], v[11:12], v[35:36]
	ds_read_b128 v[5:8], v61 offset:1312
	s_waitcnt vmcnt(56)
	v_fma_f64 v[31:32], v[1:2], v[37:38], -v[31:32]
	v_add_f64 v[13:14], v[13:14], v[27:28]
	v_fma_f64 v[27:28], v[3:4], v[37:38], v[126:127]
	v_add_f64 v[15:16], v[17:18], v[15:16]
	s_clause 0x4
	buffer_load_dword v18, off, s[0:3], 0 offset:636
	buffer_load_dword v37, off, s[0:3], 0 offset:648
	;; [unrolled: 1-line block ×5, first 2 shown]
	s_waitcnt vmcnt(57) lgkmcnt(0)
	v_mul_f64 v[126:127], v[5:6], v[39:40]
	v_mul_f64 v[39:40], v[7:8], v[39:40]
	s_waitcnt vmcnt(56)
	v_fma_f64 v[35:36], v[9:10], v[23:24], -v[35:36]
	ds_read_b128 v[1:4], v61 offset:1328
	v_fma_f64 v[23:24], v[11:12], v[23:24], v[29:30]
	v_add_f64 v[13:14], v[13:14], v[31:32]
	v_add_f64 v[15:16], v[15:16], v[27:28]
	s_clause 0x2
	buffer_load_dword v38, off, s[0:3], 0 offset:652
	buffer_load_dword v28, off, s[0:3], 0 offset:628
	;; [unrolled: 1-line block ×3, first 2 shown]
	ds_read_b128 v[9:12], v61 offset:1344
	s_waitcnt vmcnt(58) lgkmcnt(1)
	v_mul_f64 v[31:32], v[3:4], v[43:44]
	s_waitcnt vmcnt(56)
	v_fma_f64 v[39:40], v[5:6], v[45:46], -v[39:40]
	v_mul_f64 v[29:30], v[1:2], v[43:44]
	v_add_f64 v[13:14], v[13:14], v[35:36]
	v_fma_f64 v[35:36], v[7:8], v[45:46], v[126:127]
	v_add_f64 v[15:16], v[15:16], v[23:24]
	s_clause 0x4
	buffer_load_dword v24, off, s[0:3], 0 offset:668
	buffer_load_dword v43, off, s[0:3], 0 offset:680
	;; [unrolled: 1-line block ×5, first 2 shown]
	s_waitcnt vmcnt(57) lgkmcnt(0)
	v_mul_f64 v[126:127], v[9:10], v[47:48]
	v_mul_f64 v[46:47], v[11:12], v[47:48]
	s_waitcnt vmcnt(56)
	v_fma_f64 v[31:32], v[1:2], v[33:34], -v[31:32]
	ds_read_b128 v[5:8], v61 offset:1360
	v_fma_f64 v[29:30], v[3:4], v[33:34], v[29:30]
	s_clause 0x2
	buffer_load_dword v44, off, s[0:3], 0 offset:684
	buffer_load_dword v34, off, s[0:3], 0 offset:660
	;; [unrolled: 1-line block ×3, first 2 shown]
	ds_read_b128 v[1:4], v61 offset:1376
	v_add_f64 v[13:14], v[13:14], v[39:40]
	v_add_f64 v[15:16], v[15:16], v[35:36]
	s_waitcnt vmcnt(58) lgkmcnt(1)
	v_mul_f64 v[39:40], v[7:8], v[51:52]
	s_waitcnt vmcnt(56)
	v_fma_f64 v[47:48], v[9:10], v[53:54], -v[46:47]
	v_mul_f64 v[35:36], v[5:6], v[51:52]
	v_add_f64 v[13:14], v[13:14], v[31:32]
	v_fma_f64 v[31:32], v[11:12], v[53:54], v[126:127]
	v_add_f64 v[15:16], v[15:16], v[29:30]
	s_clause 0x4
	buffer_load_dword v30, off, s[0:3], 0 offset:700
	buffer_load_dword v51, off, s[0:3], 0 offset:712
	;; [unrolled: 1-line block ×5, first 2 shown]
	s_waitcnt vmcnt(57) lgkmcnt(0)
	v_mul_f64 v[126:127], v[1:2], v[55:56]
	v_mul_f64 v[54:55], v[3:4], v[55:56]
	s_waitcnt vmcnt(56)
	v_fma_f64 v[39:40], v[5:6], v[41:42], -v[39:40]
	ds_read_b128 v[9:12], v61 offset:1392
	v_fma_f64 v[35:36], v[7:8], v[41:42], v[35:36]
	v_add_f64 v[13:14], v[13:14], v[47:48]
	v_add_f64 v[15:16], v[15:16], v[31:32]
	s_clause 0x2
	buffer_load_dword v52, off, s[0:3], 0 offset:716
	buffer_load_dword v32, off, s[0:3], 0 offset:692
	;; [unrolled: 1-line block ×3, first 2 shown]
	ds_read_b128 v[5:8], v61 offset:1408
	s_waitcnt vmcnt(58) lgkmcnt(1)
	v_mul_f64 v[47:48], v[11:12], v[57:58]
	s_waitcnt vmcnt(56)
	v_fma_f64 v[55:56], v[1:2], v[59:60], -v[54:55]
	v_mul_f64 v[41:42], v[9:10], v[57:58]
	v_add_f64 v[13:14], v[13:14], v[39:40]
	v_fma_f64 v[39:40], v[3:4], v[59:60], v[126:127]
	v_add_f64 v[15:16], v[15:16], v[35:36]
	s_clause 0x4
	buffer_load_dword v36, off, s[0:3], 0 offset:732
	buffer_load_dword v57, off, s[0:3], 0 offset:744
	;; [unrolled: 1-line block ×5, first 2 shown]
	s_waitcnt vmcnt(57) lgkmcnt(0)
	v_mul_f64 v[126:127], v[5:6], v[111:112]
	v_mul_f64 v[111:112], v[7:8], v[111:112]
	s_waitcnt vmcnt(56)
	v_fma_f64 v[47:48], v[9:10], v[49:50], -v[47:48]
	ds_read_b128 v[1:4], v61 offset:1424
	v_fma_f64 v[41:42], v[11:12], v[49:50], v[41:42]
	v_add_f64 v[13:14], v[13:14], v[55:56]
	v_add_f64 v[15:16], v[15:16], v[39:40]
	s_clause 0x2
	buffer_load_dword v58, off, s[0:3], 0 offset:748
	buffer_load_dword v40, off, s[0:3], 0 offset:724
	;; [unrolled: 1-line block ×3, first 2 shown]
	ds_read_b128 v[9:12], v61 offset:1440
	s_waitcnt vmcnt(58) lgkmcnt(1)
	v_mul_f64 v[55:56], v[3:4], v[113:114]
	s_waitcnt vmcnt(56)
	v_fma_f64 v[111:112], v[5:6], v[118:119], -v[111:112]
	v_mul_f64 v[49:50], v[1:2], v[113:114]
	v_add_f64 v[13:14], v[13:14], v[47:48]
	v_fma_f64 v[47:48], v[7:8], v[118:119], v[126:127]
	v_add_f64 v[15:16], v[15:16], v[41:42]
	s_clause 0x4
	buffer_load_dword v42, off, s[0:3], 0 offset:764
	buffer_load_dword v113, off, s[0:3], 0 offset:776
	buffer_load_dword v117, off, s[0:3], 0 offset:768
	buffer_load_dword v41, off, s[0:3], 0 offset:760
	buffer_load_dword v60, off, s[0:3], 0 offset:740
	ds_read_b128 v[5:8], v61 offset:1456
	s_waitcnt vmcnt(57) lgkmcnt(1)
	v_mul_f64 v[118:119], v[9:10], v[109:110]
	v_mul_f64 v[109:110], v[11:12], v[109:110]
	s_waitcnt vmcnt(56)
	v_fma_f64 v[55:56], v[1:2], v[115:116], -v[55:56]
	v_fma_f64 v[49:50], v[3:4], v[115:116], v[49:50]
	v_add_f64 v[13:14], v[13:14], v[111:112]
	v_add_f64 v[15:16], v[15:16], v[47:48]
	s_clause 0x2
	buffer_load_dword v114, off, s[0:3], 0 offset:780
	buffer_load_dword v48, off, s[0:3], 0 offset:756
	;; [unrolled: 1-line block ×3, first 2 shown]
	ds_read_b128 v[1:4], v61 offset:1472
	s_waitcnt vmcnt(58) lgkmcnt(1)
	v_mul_f64 v[115:116], v[7:8], v[122:123]
	v_mul_f64 v[111:112], v[5:6], v[122:123]
	s_waitcnt vmcnt(56)
	v_fma_f64 v[109:110], v[9:10], v[103:104], -v[109:110]
	v_add_f64 v[13:14], v[13:14], v[55:56]
	v_fma_f64 v[55:56], v[11:12], v[103:104], v[118:119]
	v_add_f64 v[15:16], v[15:16], v[49:50]
	s_clause 0x4
	buffer_load_dword v50, off, s[0:3], 0 offset:796
	buffer_load_dword v103, off, s[0:3], 0 offset:808
	buffer_load_dword v122, off, s[0:3], 0 offset:800
	buffer_load_dword v49, off, s[0:3], 0 offset:792
	buffer_load_dword v118, off, s[0:3], 0 offset:772
	ds_read_b128 v[9:12], v61 offset:1488
	s_waitcnt vmcnt(57) lgkmcnt(1)
	v_mul_f64 v[126:127], v[1:2], v[25:26]
	v_mul_f64 v[25:26], v[3:4], v[25:26]
	s_waitcnt vmcnt(56)
	v_fma_f64 v[115:116], v[5:6], v[124:125], -v[115:116]
	v_add_f64 v[13:14], v[13:14], v[109:110]
	v_fma_f64 v[109:110], v[7:8], v[124:125], v[111:112]
	v_add_f64 v[15:16], v[15:16], v[55:56]
	s_clause 0x2
	buffer_load_dword v104, off, s[0:3], 0 offset:812
	buffer_load_dword v56, off, s[0:3], 0 offset:788
	buffer_load_dword v55, off, s[0:3], 0 offset:784
	ds_read_b128 v[5:8], v61 offset:1504
	s_waitcnt vmcnt(58) lgkmcnt(1)
	v_mul_f64 v[111:112], v[9:10], v[105:106]
	v_mul_f64 v[105:106], v[11:12], v[105:106]
	s_waitcnt vmcnt(56)
	v_fma_f64 v[25:26], v[1:2], v[19:20], -v[25:26]
	v_fma_f64 v[19:20], v[3:4], v[19:20], v[126:127]
	v_add_f64 v[13:14], v[13:14], v[115:116]
	v_add_f64 v[15:16], v[15:16], v[109:110]
	s_clause 0x4
	buffer_load_dword v110, off, s[0:3], 0 offset:828
	buffer_load_dword v115, off, s[0:3], 0 offset:840
	buffer_load_dword v119, off, s[0:3], 0 offset:832
	buffer_load_dword v109, off, s[0:3], 0 offset:824
	buffer_load_dword v123, off, s[0:3], 0 offset:804
	ds_read_b128 v[1:4], v61 offset:1520
	s_waitcnt vmcnt(57) lgkmcnt(1)
	v_mul_f64 v[124:125], v[5:6], v[93:94]
	v_mul_f64 v[93:94], v[7:8], v[93:94]
	s_waitcnt vmcnt(56)
	v_fma_f64 v[105:106], v[9:10], v[120:121], -v[105:106]
	v_add_f64 v[13:14], v[13:14], v[25:26]
	v_fma_f64 v[25:26], v[11:12], v[120:121], v[111:112]
	v_add_f64 v[15:16], v[15:16], v[19:20]
	s_clause 0x2
	buffer_load_dword v116, off, s[0:3], 0 offset:844
	buffer_load_dword v20, off, s[0:3], 0 offset:820
	buffer_load_dword v19, off, s[0:3], 0 offset:816
	ds_read_b128 v[9:12], v61 offset:1536
	s_waitcnt vmcnt(58) lgkmcnt(1)
	v_mul_f64 v[111:112], v[1:2], v[95:96]
	v_mul_f64 v[95:96], v[3:4], v[95:96]
	s_waitcnt vmcnt(56)
	v_fma_f64 v[93:94], v[5:6], v[21:22], -v[93:94]
	v_fma_f64 v[21:22], v[7:8], v[21:22], v[124:125]
	v_add_f64 v[13:14], v[13:14], v[105:106]
	;; [unrolled: 28-line block ×3, first 2 shown]
	v_add_f64 v[15:16], v[15:16], v[93:94]
	s_clause 0x4
	buffer_load_dword v94, off, s[0:3], 0 offset:892
	buffer_load_dword v95, off, s[0:3], 0 offset:904
	;; [unrolled: 1-line block ×5, first 2 shown]
	ds_read_b128 v[9:12], v61 offset:1584
	s_waitcnt vmcnt(57) lgkmcnt(1)
	v_mul_f64 v[126:127], v[1:2], v[23:24]
	v_mul_f64 v[23:24], v[3:4], v[23:24]
	s_waitcnt vmcnt(56)
	v_fma_f64 v[37:38], v[5:6], v[101:102], -v[37:38]
	v_add_f64 v[13:14], v[13:14], v[17:18]
	v_fma_f64 v[17:18], v[7:8], v[101:102], v[107:108]
	v_add_f64 v[15:16], v[15:16], v[27:28]
	s_clause 0x2
	buffer_load_dword v96, off, s[0:3], 0 offset:908
	buffer_load_dword v28, off, s[0:3], 0 offset:884
	;; [unrolled: 1-line block ×3, first 2 shown]
	s_waitcnt vmcnt(58) lgkmcnt(0)
	v_mul_f64 v[101:102], v[9:10], v[43:44]
	v_mul_f64 v[43:44], v[11:12], v[43:44]
	ds_read_b128 v[5:8], v61 offset:1600
	s_waitcnt vmcnt(56)
	v_fma_f64 v[23:24], v[1:2], v[33:34], -v[23:24]
	v_fma_f64 v[33:34], v[3:4], v[33:34], v[126:127]
	v_add_f64 v[13:14], v[13:14], v[37:38]
	v_add_f64 v[15:16], v[15:16], v[17:18]
	s_clause 0x4
	buffer_load_dword v18, off, s[0:3], 0 offset:924
	buffer_load_dword v37, off, s[0:3], 0 offset:936
	;; [unrolled: 1-line block ×5, first 2 shown]
	ds_read_b128 v[1:4], v61 offset:1616
	s_waitcnt vmcnt(57) lgkmcnt(1)
	v_mul_f64 v[126:127], v[5:6], v[29:30]
	v_mul_f64 v[29:30], v[7:8], v[29:30]
	s_waitcnt vmcnt(56)
	v_fma_f64 v[43:44], v[9:10], v[45:46], -v[43:44]
	v_add_f64 v[13:14], v[13:14], v[23:24]
	v_fma_f64 v[23:24], v[11:12], v[45:46], v[101:102]
	v_add_f64 v[15:16], v[15:16], v[33:34]
	s_clause 0x2
	buffer_load_dword v38, off, s[0:3], 0 offset:940
	buffer_load_dword v34, off, s[0:3], 0 offset:916
	;; [unrolled: 1-line block ×3, first 2 shown]
	ds_read_b128 v[9:12], v61 offset:1632
	buffer_load_dword v108, off, s[0:3], 0 offset:932
	s_waitcnt vmcnt(59) lgkmcnt(1)
	v_mul_f64 v[45:46], v[1:2], v[51:52]
	v_mul_f64 v[51:52], v[3:4], v[51:52]
	s_waitcnt vmcnt(57)
	v_fma_f64 v[29:30], v[5:6], v[31:32], -v[29:30]
	v_fma_f64 v[31:32], v[7:8], v[31:32], v[126:127]
	ds_read_b128 v[5:8], v61 offset:1648
	v_add_f64 v[13:14], v[13:14], v[43:44]
	v_add_f64 v[15:16], v[15:16], v[23:24]
	s_waitcnt vmcnt(53) lgkmcnt(1)
	v_mul_f64 v[23:24], v[9:10], v[35:36]
	v_mul_f64 v[35:36], v[11:12], v[35:36]
	s_waitcnt vmcnt(52)
	v_fma_f64 v[43:44], v[1:2], v[53:54], -v[51:52]
	v_add_f64 v[13:14], v[13:14], v[29:30]
	v_fma_f64 v[29:30], v[3:4], v[53:54], v[45:46]
	v_add_f64 v[15:16], v[15:16], v[31:32]
	ds_read_b128 v[1:4], v61 offset:1664
	s_waitcnt vmcnt(51) lgkmcnt(1)
	v_mul_f64 v[45:46], v[7:8], v[57:58]
	v_mul_f64 v[31:32], v[5:6], v[57:58]
	s_waitcnt vmcnt(49)
	v_fma_f64 v[35:36], v[9:10], v[39:40], -v[35:36]
	v_fma_f64 v[23:24], v[11:12], v[39:40], v[23:24]
	v_add_f64 v[13:14], v[13:14], v[43:44]
	v_add_f64 v[15:16], v[15:16], v[29:30]
	s_clause 0x3
	buffer_load_dword v29, off, s[0:3], 0 offset:240
	buffer_load_dword v30, off, s[0:3], 0 offset:244
	;; [unrolled: 1-line block ×4, first 2 shown]
	ds_read_b128 v[9:12], v61 offset:1680
	s_waitcnt vmcnt(49) lgkmcnt(1)
	v_mul_f64 v[43:44], v[1:2], v[41:42]
	v_mul_f64 v[41:42], v[3:4], v[41:42]
	s_waitcnt vmcnt(48)
	v_fma_f64 v[45:46], v[5:6], v[59:60], -v[45:46]
	v_fma_f64 v[31:32], v[7:8], v[59:60], v[31:32]
	ds_read_b128 v[5:8], v61 offset:1696
	v_add_f64 v[13:14], v[13:14], v[35:36]
	v_add_f64 v[15:16], v[15:16], v[23:24]
	s_waitcnt vmcnt(47) lgkmcnt(1)
	v_mul_f64 v[35:36], v[11:12], v[113:114]
	v_mul_f64 v[23:24], v[9:10], v[113:114]
	s_waitcnt vmcnt(45)
	v_fma_f64 v[41:42], v[1:2], v[47:48], -v[41:42]
	v_fma_f64 v[43:44], v[3:4], v[47:48], v[43:44]
	ds_read_b128 v[1:4], v61 offset:1712
	v_add_f64 v[13:14], v[13:14], v[45:46]
	v_add_f64 v[15:16], v[15:16], v[31:32]
	s_waitcnt vmcnt(41) lgkmcnt(1)
	v_mul_f64 v[45:46], v[7:8], v[49:50]
	s_waitcnt vmcnt(40)
	v_fma_f64 v[35:36], v[9:10], v[117:118], -v[35:36]
	v_mul_f64 v[31:32], v[5:6], v[49:50]
	v_fma_f64 v[23:24], v[11:12], v[117:118], v[23:24]
	ds_read_b128 v[9:12], v61 offset:1728
	v_add_f64 v[13:14], v[13:14], v[41:42]
	v_add_f64 v[15:16], v[15:16], v[43:44]
	s_waitcnt vmcnt(39) lgkmcnt(1)
	v_mul_f64 v[43:44], v[3:4], v[103:104]
	v_mul_f64 v[41:42], v[1:2], v[103:104]
	s_waitcnt vmcnt(37)
	v_fma_f64 v[45:46], v[5:6], v[55:56], -v[45:46]
	v_fma_f64 v[31:32], v[7:8], v[55:56], v[31:32]
	ds_read_b128 v[5:8], v61 offset:1744
	v_add_f64 v[13:14], v[13:14], v[35:36]
	v_add_f64 v[15:16], v[15:16], v[23:24]
	s_waitcnt vmcnt(33) lgkmcnt(1)
	v_mul_f64 v[35:36], v[11:12], v[109:110]
	s_waitcnt vmcnt(32)
	v_fma_f64 v[43:44], v[1:2], v[122:123], -v[43:44]
	v_mul_f64 v[23:24], v[9:10], v[109:110]
	v_fma_f64 v[41:42], v[3:4], v[122:123], v[41:42]
	ds_read_b128 v[1:4], v61 offset:1760
	v_add_f64 v[13:14], v[13:14], v[45:46]
	v_add_f64 v[15:16], v[15:16], v[31:32]
	s_waitcnt vmcnt(31) lgkmcnt(1)
	v_mul_f64 v[45:46], v[7:8], v[115:116]
	v_mul_f64 v[31:32], v[5:6], v[115:116]
	s_waitcnt vmcnt(29)
	v_fma_f64 v[35:36], v[9:10], v[19:20], -v[35:36]
	v_fma_f64 v[19:20], v[11:12], v[19:20], v[23:24]
	ds_read_b128 v[9:12], v61 offset:1776
	v_add_f64 v[13:14], v[13:14], v[43:44]
	v_add_f64 v[15:16], v[15:16], v[41:42]
	s_waitcnt vmcnt(25) lgkmcnt(1)
	v_mul_f64 v[23:24], v[1:2], v[25:26]
	v_mul_f64 v[25:26], v[3:4], v[25:26]
	s_waitcnt vmcnt(24)
	v_fma_f64 v[41:42], v[5:6], v[119:120], -v[45:46]
	;; [unrolled: 9-line block ×3, first 2 shown]
	v_fma_f64 v[21:22], v[3:4], v[21:22], v[23:24]
	ds_read_b128 v[1:4], v61 offset:1808
	v_add_f64 v[13:14], v[13:14], v[41:42]
	v_add_f64 v[15:16], v[15:16], v[31:32]
	s_waitcnt vmcnt(17) lgkmcnt(1)
	v_mul_f64 v[31:32], v[7:8], v[93:94]
	s_waitcnt vmcnt(16)
	v_fma_f64 v[35:36], v[9:10], v[124:125], -v[35:36]
	v_mul_f64 v[23:24], v[5:6], v[93:94]
	v_fma_f64 v[19:20], v[11:12], v[124:125], v[19:20]
	ds_read_b128 v[9:12], v61 offset:1824
	v_add_f64 v[13:14], v[13:14], v[25:26]
	v_add_f64 v[15:16], v[15:16], v[21:22]
	s_waitcnt vmcnt(15) lgkmcnt(1)
	v_mul_f64 v[25:26], v[3:4], v[95:96]
	v_mul_f64 v[21:22], v[1:2], v[95:96]
	s_waitcnt vmcnt(13)
	v_fma_f64 v[31:32], v[5:6], v[27:28], -v[31:32]
	v_fma_f64 v[23:24], v[7:8], v[27:28], v[23:24]
	ds_read_b128 v[5:8], v61 offset:1840
	v_add_f64 v[13:14], v[13:14], v[35:36]
	v_add_f64 v[15:16], v[15:16], v[19:20]
	s_waitcnt vmcnt(9) lgkmcnt(1)
	v_mul_f64 v[19:20], v[9:10], v[17:18]
	v_mul_f64 v[17:18], v[11:12], v[17:18]
	s_waitcnt vmcnt(8)
	v_fma_f64 v[1:2], v[1:2], v[111:112], -v[25:26]
	v_fma_f64 v[3:4], v[3:4], v[111:112], v[21:22]
	v_add_f64 v[13:14], v[13:14], v[31:32]
	v_add_f64 v[15:16], v[15:16], v[23:24]
	s_waitcnt vmcnt(7) lgkmcnt(0)
	v_mul_f64 v[23:24], v[7:8], v[37:38]
	v_mul_f64 v[21:22], v[5:6], v[37:38]
	s_waitcnt vmcnt(5)
	v_fma_f64 v[9:10], v[9:10], v[33:34], -v[17:18]
	v_fma_f64 v[11:12], v[11:12], v[33:34], v[19:20]
	v_add_f64 v[1:2], v[13:14], v[1:2]
	v_add_f64 v[3:4], v[15:16], v[3:4]
	s_waitcnt vmcnt(4)
	v_fma_f64 v[5:6], v[5:6], v[107:108], -v[23:24]
	v_fma_f64 v[7:8], v[7:8], v[107:108], v[21:22]
	v_add_f64 v[1:2], v[1:2], v[9:10]
	v_add_f64 v[3:4], v[3:4], v[11:12]
	;; [unrolled: 1-line block ×4, first 2 shown]
	s_waitcnt vmcnt(2)
	v_add_f64 v[1:2], v[29:30], -v[1:2]
	s_waitcnt vmcnt(0)
	v_add_f64 v[3:4], v[39:40], -v[3:4]
	buffer_store_dword v2, off, s[0:3], 0 offset:244
	buffer_store_dword v1, off, s[0:3], 0 offset:240
	;; [unrolled: 1-line block ×4, first 2 shown]
	v_cmpx_lt_u32_e32 13, v0
	s_cbranch_execz .LBB57_335
; %bb.334:
	v_mov_b32_e32 v4, s57
	s_clause 0x3
	buffer_load_dword v1, v4, s[0:3], 0 offen
	buffer_load_dword v2, v4, s[0:3], 0 offen offset:4
	buffer_load_dword v3, v4, s[0:3], 0 offen offset:8
	;; [unrolled: 1-line block ×3, first 2 shown]
	buffer_store_dword v61, off, s[0:3], 0 offset:224
	buffer_store_dword v61, off, s[0:3], 0 offset:228
	;; [unrolled: 1-line block ×4, first 2 shown]
	s_waitcnt vmcnt(0)
	ds_write_b128 v63, v[1:4]
.LBB57_335:
	s_or_b32 exec_lo, exec_lo, s4
	s_waitcnt lgkmcnt(0)
	s_waitcnt_vscnt null, 0x0
	s_barrier
	buffer_gl0_inv
	s_clause 0x37
	buffer_load_dword v9, off, s[0:3], 0 offset:248
	buffer_load_dword v10, off, s[0:3], 0 offset:252
	;; [unrolled: 1-line block ×56, first 2 shown]
	ds_read_b128 v[93:96], v61 offset:1152
	s_clause 0x2
	buffer_load_dword v58, off, s[0:3], 0 offset:476
	buffer_load_dword v60, off, s[0:3], 0 offset:452
	;; [unrolled: 1-line block ×3, first 2 shown]
	ds_read_b128 v[101:104], v61 offset:1168
	s_clause 0x4
	buffer_load_dword v112, off, s[0:3], 0 offset:492
	buffer_load_dword v113, off, s[0:3], 0 offset:504
	;; [unrolled: 1-line block ×5, first 2 shown]
	ds_read_b128 v[105:108], v61 offset:1184
	s_clause 0x2
	buffer_load_dword v114, off, s[0:3], 0 offset:508
	buffer_load_dword v119, off, s[0:3], 0 offset:484
	;; [unrolled: 1-line block ×3, first 2 shown]
	s_mov_b32 s4, exec_lo
	s_waitcnt vmcnt(62) lgkmcnt(2)
	v_mul_f64 v[109:110], v[95:96], v[9:10]
	v_mul_f64 v[9:10], v[93:94], v[9:10]
	s_waitcnt lgkmcnt(1)
	v_mul_f64 v[116:117], v[103:104], v[5:6]
	s_waitcnt vmcnt(59) lgkmcnt(0)
	v_mul_f64 v[120:121], v[107:108], v[3:4]
	v_fma_f64 v[93:94], v[93:94], v[7:8], -v[109:110]
	v_mul_f64 v[109:110], v[101:102], v[5:6]
	v_fma_f64 v[9:10], v[95:96], v[7:8], v[9:10]
	s_waitcnt vmcnt(57)
	v_fma_f64 v[101:102], v[101:102], v[1:2], -v[116:117]
	ds_read_b128 v[5:8], v61 offset:1200
	v_mul_f64 v[95:96], v[105:106], v[3:4]
	s_waitcnt vmcnt(51)
	v_fma_f64 v[105:106], v[105:106], v[25:26], -v[120:121]
	v_add_f64 v[93:94], v[93:94], 0
	v_fma_f64 v[103:104], v[103:104], v[1:2], v[109:110]
	v_add_f64 v[9:10], v[9:10], 0
	s_clause 0x4
	buffer_load_dword v110, off, s[0:3], 0 offset:524
	buffer_load_dword v122, off, s[0:3], 0 offset:536
	;; [unrolled: 1-line block ×5, first 2 shown]
	s_waitcnt lgkmcnt(0)
	v_mul_f64 v[125:126], v[5:6], v[13:14]
	v_mul_f64 v[13:14], v[7:8], v[13:14]
	ds_read_b128 v[1:4], v61 offset:1216
	v_fma_f64 v[25:26], v[107:108], v[25:26], v[95:96]
	v_add_f64 v[101:102], v[93:94], v[101:102]
	v_add_f64 v[9:10], v[9:10], v[103:104]
	s_clause 0x2
	buffer_load_dword v123, off, s[0:3], 0 offset:540
	buffer_load_dword v104, off, s[0:3], 0 offset:516
	buffer_load_dword v103, off, s[0:3], 0 offset:512
	s_waitcnt vmcnt(58) lgkmcnt(0)
	v_mul_f64 v[107:108], v[1:2], v[17:18]
	v_mul_f64 v[17:18], v[3:4], v[17:18]
	s_waitcnt vmcnt(56)
	v_fma_f64 v[13:14], v[5:6], v[19:20], -v[13:14]
	ds_read_b128 v[93:96], v61 offset:1232
	v_fma_f64 v[19:20], v[7:8], v[19:20], v[125:126]
	v_add_f64 v[101:102], v[101:102], v[105:106]
	v_add_f64 v[9:10], v[9:10], v[25:26]
	s_clause 0x4
	buffer_load_dword v26, off, s[0:3], 0 offset:556
	buffer_load_dword v105, off, s[0:3], 0 offset:568
	;; [unrolled: 1-line block ×5, first 2 shown]
	ds_read_b128 v[5:8], v61 offset:1248
	s_waitcnt vmcnt(57) lgkmcnt(1)
	v_mul_f64 v[126:127], v[93:94], v[21:22]
	v_mul_f64 v[21:22], v[95:96], v[21:22]
	s_waitcnt vmcnt(56)
	v_fma_f64 v[17:18], v[1:2], v[11:12], -v[17:18]
	v_fma_f64 v[11:12], v[3:4], v[11:12], v[107:108]
	v_add_f64 v[13:14], v[101:102], v[13:14]
	v_add_f64 v[9:10], v[9:10], v[19:20]
	s_clause 0x2
	buffer_load_dword v106, off, s[0:3], 0 offset:572
	buffer_load_dword v20, off, s[0:3], 0 offset:548
	;; [unrolled: 1-line block ×3, first 2 shown]
	s_waitcnt vmcnt(58) lgkmcnt(0)
	v_mul_f64 v[101:102], v[5:6], v[27:28]
	v_mul_f64 v[27:28], v[7:8], v[27:28]
	s_waitcnt vmcnt(56)
	v_fma_f64 v[21:22], v[93:94], v[29:30], -v[21:22]
	ds_read_b128 v[1:4], v61 offset:1264
	v_add_f64 v[13:14], v[13:14], v[17:18]
	v_fma_f64 v[17:18], v[95:96], v[29:30], v[126:127]
	v_add_f64 v[29:30], v[9:10], v[11:12]
	s_clause 0x4
	buffer_load_dword v94, off, s[0:3], 0 offset:588
	buffer_load_dword v95, off, s[0:3], 0 offset:600
	buffer_load_dword v107, off, s[0:3], 0 offset:592
	buffer_load_dword v93, off, s[0:3], 0 offset:584
	buffer_load_dword v121, off, s[0:3], 0 offset:564
	ds_read_b128 v[9:12], v61 offset:1280
	s_waitcnt vmcnt(57) lgkmcnt(1)
	v_mul_f64 v[126:127], v[1:2], v[31:32]
	v_mul_f64 v[31:32], v[3:4], v[31:32]
	s_waitcnt vmcnt(56)
	v_fma_f64 v[27:28], v[5:6], v[15:16], -v[27:28]
	v_fma_f64 v[15:16], v[7:8], v[15:16], v[101:102]
	v_add_f64 v[13:14], v[13:14], v[21:22]
	s_clause 0x2
	buffer_load_dword v96, off, s[0:3], 0 offset:604
	buffer_load_dword v22, off, s[0:3], 0 offset:580
	;; [unrolled: 1-line block ×3, first 2 shown]
	v_add_f64 v[17:18], v[29:30], v[17:18]
	s_waitcnt vmcnt(58) lgkmcnt(0)
	v_mul_f64 v[29:30], v[9:10], v[35:36]
	v_mul_f64 v[35:36], v[11:12], v[35:36]
	ds_read_b128 v[5:8], v61 offset:1296
	s_waitcnt vmcnt(56)
	v_fma_f64 v[31:32], v[1:2], v[37:38], -v[31:32]
	v_add_f64 v[13:14], v[13:14], v[27:28]
	v_fma_f64 v[27:28], v[3:4], v[37:38], v[126:127]
	v_add_f64 v[15:16], v[17:18], v[15:16]
	s_clause 0x4
	buffer_load_dword v18, off, s[0:3], 0 offset:620
	buffer_load_dword v37, off, s[0:3], 0 offset:632
	;; [unrolled: 1-line block ×5, first 2 shown]
	s_waitcnt vmcnt(57) lgkmcnt(0)
	v_mul_f64 v[126:127], v[5:6], v[39:40]
	v_mul_f64 v[39:40], v[7:8], v[39:40]
	s_waitcnt vmcnt(56)
	v_fma_f64 v[35:36], v[9:10], v[23:24], -v[35:36]
	ds_read_b128 v[1:4], v61 offset:1312
	v_fma_f64 v[23:24], v[11:12], v[23:24], v[29:30]
	v_add_f64 v[13:14], v[13:14], v[31:32]
	v_add_f64 v[15:16], v[15:16], v[27:28]
	s_clause 0x2
	buffer_load_dword v38, off, s[0:3], 0 offset:636
	buffer_load_dword v28, off, s[0:3], 0 offset:612
	;; [unrolled: 1-line block ×3, first 2 shown]
	ds_read_b128 v[9:12], v61 offset:1328
	s_waitcnt vmcnt(58) lgkmcnt(1)
	v_mul_f64 v[31:32], v[3:4], v[43:44]
	s_waitcnt vmcnt(56)
	v_fma_f64 v[39:40], v[5:6], v[45:46], -v[39:40]
	v_mul_f64 v[29:30], v[1:2], v[43:44]
	v_add_f64 v[13:14], v[13:14], v[35:36]
	v_fma_f64 v[35:36], v[7:8], v[45:46], v[126:127]
	v_add_f64 v[15:16], v[15:16], v[23:24]
	s_clause 0x4
	buffer_load_dword v24, off, s[0:3], 0 offset:652
	buffer_load_dword v43, off, s[0:3], 0 offset:664
	;; [unrolled: 1-line block ×5, first 2 shown]
	s_waitcnt vmcnt(57) lgkmcnt(0)
	v_mul_f64 v[126:127], v[9:10], v[47:48]
	v_mul_f64 v[46:47], v[11:12], v[47:48]
	s_waitcnt vmcnt(56)
	v_fma_f64 v[31:32], v[1:2], v[33:34], -v[31:32]
	ds_read_b128 v[5:8], v61 offset:1344
	v_fma_f64 v[29:30], v[3:4], v[33:34], v[29:30]
	s_clause 0x2
	buffer_load_dword v44, off, s[0:3], 0 offset:668
	buffer_load_dword v34, off, s[0:3], 0 offset:644
	;; [unrolled: 1-line block ×3, first 2 shown]
	ds_read_b128 v[1:4], v61 offset:1360
	v_add_f64 v[13:14], v[13:14], v[39:40]
	v_add_f64 v[15:16], v[15:16], v[35:36]
	s_waitcnt vmcnt(58) lgkmcnt(1)
	v_mul_f64 v[39:40], v[7:8], v[51:52]
	s_waitcnt vmcnt(56)
	v_fma_f64 v[47:48], v[9:10], v[53:54], -v[46:47]
	v_mul_f64 v[35:36], v[5:6], v[51:52]
	v_add_f64 v[13:14], v[13:14], v[31:32]
	v_fma_f64 v[31:32], v[11:12], v[53:54], v[126:127]
	v_add_f64 v[15:16], v[15:16], v[29:30]
	s_clause 0x4
	buffer_load_dword v30, off, s[0:3], 0 offset:684
	buffer_load_dword v51, off, s[0:3], 0 offset:696
	;; [unrolled: 1-line block ×5, first 2 shown]
	s_waitcnt vmcnt(57) lgkmcnt(0)
	v_mul_f64 v[126:127], v[1:2], v[55:56]
	v_mul_f64 v[54:55], v[3:4], v[55:56]
	s_waitcnt vmcnt(56)
	v_fma_f64 v[39:40], v[5:6], v[41:42], -v[39:40]
	ds_read_b128 v[9:12], v61 offset:1376
	v_fma_f64 v[35:36], v[7:8], v[41:42], v[35:36]
	v_add_f64 v[13:14], v[13:14], v[47:48]
	v_add_f64 v[15:16], v[15:16], v[31:32]
	s_clause 0x2
	buffer_load_dword v52, off, s[0:3], 0 offset:700
	buffer_load_dword v32, off, s[0:3], 0 offset:676
	;; [unrolled: 1-line block ×3, first 2 shown]
	ds_read_b128 v[5:8], v61 offset:1392
	s_waitcnt vmcnt(58) lgkmcnt(1)
	v_mul_f64 v[47:48], v[11:12], v[57:58]
	s_waitcnt vmcnt(56)
	v_fma_f64 v[55:56], v[1:2], v[59:60], -v[54:55]
	v_mul_f64 v[41:42], v[9:10], v[57:58]
	v_add_f64 v[13:14], v[13:14], v[39:40]
	v_fma_f64 v[39:40], v[3:4], v[59:60], v[126:127]
	v_add_f64 v[15:16], v[15:16], v[35:36]
	s_clause 0x4
	buffer_load_dword v36, off, s[0:3], 0 offset:716
	buffer_load_dword v57, off, s[0:3], 0 offset:728
	;; [unrolled: 1-line block ×5, first 2 shown]
	s_waitcnt vmcnt(57) lgkmcnt(0)
	v_mul_f64 v[126:127], v[5:6], v[111:112]
	v_mul_f64 v[111:112], v[7:8], v[111:112]
	s_waitcnt vmcnt(56)
	v_fma_f64 v[47:48], v[9:10], v[49:50], -v[47:48]
	ds_read_b128 v[1:4], v61 offset:1408
	v_fma_f64 v[41:42], v[11:12], v[49:50], v[41:42]
	v_add_f64 v[13:14], v[13:14], v[55:56]
	v_add_f64 v[15:16], v[15:16], v[39:40]
	s_clause 0x2
	buffer_load_dword v58, off, s[0:3], 0 offset:732
	buffer_load_dword v40, off, s[0:3], 0 offset:708
	;; [unrolled: 1-line block ×3, first 2 shown]
	ds_read_b128 v[9:12], v61 offset:1424
	s_waitcnt vmcnt(58) lgkmcnt(1)
	v_mul_f64 v[55:56], v[3:4], v[113:114]
	s_waitcnt vmcnt(56)
	v_fma_f64 v[111:112], v[5:6], v[118:119], -v[111:112]
	v_mul_f64 v[49:50], v[1:2], v[113:114]
	v_add_f64 v[13:14], v[13:14], v[47:48]
	v_fma_f64 v[47:48], v[7:8], v[118:119], v[126:127]
	v_add_f64 v[15:16], v[15:16], v[41:42]
	s_clause 0x4
	buffer_load_dword v42, off, s[0:3], 0 offset:748
	buffer_load_dword v113, off, s[0:3], 0 offset:760
	;; [unrolled: 1-line block ×5, first 2 shown]
	ds_read_b128 v[5:8], v61 offset:1440
	s_waitcnt vmcnt(57) lgkmcnt(1)
	v_mul_f64 v[118:119], v[9:10], v[109:110]
	v_mul_f64 v[109:110], v[11:12], v[109:110]
	s_waitcnt vmcnt(56)
	v_fma_f64 v[55:56], v[1:2], v[115:116], -v[55:56]
	v_fma_f64 v[49:50], v[3:4], v[115:116], v[49:50]
	v_add_f64 v[13:14], v[13:14], v[111:112]
	v_add_f64 v[15:16], v[15:16], v[47:48]
	s_clause 0x2
	buffer_load_dword v114, off, s[0:3], 0 offset:764
	buffer_load_dword v48, off, s[0:3], 0 offset:740
	;; [unrolled: 1-line block ×3, first 2 shown]
	ds_read_b128 v[1:4], v61 offset:1456
	s_waitcnt vmcnt(58) lgkmcnt(1)
	v_mul_f64 v[115:116], v[7:8], v[122:123]
	v_mul_f64 v[111:112], v[5:6], v[122:123]
	s_waitcnt vmcnt(56)
	v_fma_f64 v[109:110], v[9:10], v[103:104], -v[109:110]
	v_add_f64 v[13:14], v[13:14], v[55:56]
	v_fma_f64 v[55:56], v[11:12], v[103:104], v[118:119]
	v_add_f64 v[15:16], v[15:16], v[49:50]
	s_clause 0x4
	buffer_load_dword v50, off, s[0:3], 0 offset:780
	buffer_load_dword v103, off, s[0:3], 0 offset:792
	buffer_load_dword v122, off, s[0:3], 0 offset:784
	buffer_load_dword v49, off, s[0:3], 0 offset:776
	buffer_load_dword v118, off, s[0:3], 0 offset:756
	ds_read_b128 v[9:12], v61 offset:1472
	s_waitcnt vmcnt(57) lgkmcnt(1)
	v_mul_f64 v[126:127], v[1:2], v[25:26]
	v_mul_f64 v[25:26], v[3:4], v[25:26]
	s_waitcnt vmcnt(56)
	v_fma_f64 v[115:116], v[5:6], v[124:125], -v[115:116]
	v_add_f64 v[13:14], v[13:14], v[109:110]
	v_fma_f64 v[109:110], v[7:8], v[124:125], v[111:112]
	v_add_f64 v[15:16], v[15:16], v[55:56]
	s_clause 0x2
	buffer_load_dword v104, off, s[0:3], 0 offset:796
	buffer_load_dword v56, off, s[0:3], 0 offset:772
	buffer_load_dword v55, off, s[0:3], 0 offset:768
	ds_read_b128 v[5:8], v61 offset:1488
	s_waitcnt vmcnt(58) lgkmcnt(1)
	v_mul_f64 v[111:112], v[9:10], v[105:106]
	v_mul_f64 v[105:106], v[11:12], v[105:106]
	s_waitcnt vmcnt(56)
	v_fma_f64 v[25:26], v[1:2], v[19:20], -v[25:26]
	v_fma_f64 v[19:20], v[3:4], v[19:20], v[126:127]
	v_add_f64 v[13:14], v[13:14], v[115:116]
	v_add_f64 v[15:16], v[15:16], v[109:110]
	s_clause 0x4
	buffer_load_dword v110, off, s[0:3], 0 offset:812
	buffer_load_dword v115, off, s[0:3], 0 offset:824
	buffer_load_dword v119, off, s[0:3], 0 offset:816
	buffer_load_dword v109, off, s[0:3], 0 offset:808
	buffer_load_dword v123, off, s[0:3], 0 offset:788
	ds_read_b128 v[1:4], v61 offset:1504
	s_waitcnt vmcnt(57) lgkmcnt(1)
	v_mul_f64 v[124:125], v[5:6], v[93:94]
	v_mul_f64 v[93:94], v[7:8], v[93:94]
	s_waitcnt vmcnt(56)
	v_fma_f64 v[105:106], v[9:10], v[120:121], -v[105:106]
	v_add_f64 v[13:14], v[13:14], v[25:26]
	v_fma_f64 v[25:26], v[11:12], v[120:121], v[111:112]
	v_add_f64 v[15:16], v[15:16], v[19:20]
	s_clause 0x2
	buffer_load_dword v116, off, s[0:3], 0 offset:828
	buffer_load_dword v20, off, s[0:3], 0 offset:804
	buffer_load_dword v19, off, s[0:3], 0 offset:800
	ds_read_b128 v[9:12], v61 offset:1520
	s_waitcnt vmcnt(58) lgkmcnt(1)
	v_mul_f64 v[111:112], v[1:2], v[95:96]
	v_mul_f64 v[95:96], v[3:4], v[95:96]
	s_waitcnt vmcnt(56)
	v_fma_f64 v[93:94], v[5:6], v[21:22], -v[93:94]
	v_fma_f64 v[21:22], v[7:8], v[21:22], v[124:125]
	v_add_f64 v[13:14], v[13:14], v[105:106]
	;; [unrolled: 28-line block ×3, first 2 shown]
	v_add_f64 v[15:16], v[15:16], v[93:94]
	s_clause 0x4
	buffer_load_dword v94, off, s[0:3], 0 offset:876
	buffer_load_dword v95, off, s[0:3], 0 offset:888
	;; [unrolled: 1-line block ×5, first 2 shown]
	ds_read_b128 v[9:12], v61 offset:1568
	s_waitcnt vmcnt(57) lgkmcnt(1)
	v_mul_f64 v[126:127], v[1:2], v[23:24]
	v_mul_f64 v[23:24], v[3:4], v[23:24]
	s_waitcnt vmcnt(56)
	v_fma_f64 v[37:38], v[5:6], v[101:102], -v[37:38]
	v_add_f64 v[13:14], v[13:14], v[17:18]
	v_fma_f64 v[17:18], v[7:8], v[101:102], v[107:108]
	v_add_f64 v[15:16], v[15:16], v[27:28]
	s_clause 0x2
	buffer_load_dword v96, off, s[0:3], 0 offset:892
	buffer_load_dword v28, off, s[0:3], 0 offset:868
	;; [unrolled: 1-line block ×3, first 2 shown]
	s_waitcnt vmcnt(58) lgkmcnt(0)
	v_mul_f64 v[101:102], v[9:10], v[43:44]
	v_mul_f64 v[43:44], v[11:12], v[43:44]
	ds_read_b128 v[5:8], v61 offset:1584
	s_waitcnt vmcnt(56)
	v_fma_f64 v[23:24], v[1:2], v[33:34], -v[23:24]
	v_fma_f64 v[33:34], v[3:4], v[33:34], v[126:127]
	v_add_f64 v[13:14], v[13:14], v[37:38]
	v_add_f64 v[15:16], v[15:16], v[17:18]
	s_clause 0x4
	buffer_load_dword v18, off, s[0:3], 0 offset:908
	buffer_load_dword v37, off, s[0:3], 0 offset:920
	;; [unrolled: 1-line block ×5, first 2 shown]
	ds_read_b128 v[1:4], v61 offset:1600
	s_waitcnt vmcnt(57) lgkmcnt(1)
	v_mul_f64 v[126:127], v[5:6], v[29:30]
	v_mul_f64 v[29:30], v[7:8], v[29:30]
	s_waitcnt vmcnt(56)
	v_fma_f64 v[43:44], v[9:10], v[45:46], -v[43:44]
	v_add_f64 v[13:14], v[13:14], v[23:24]
	v_fma_f64 v[23:24], v[11:12], v[45:46], v[101:102]
	v_add_f64 v[15:16], v[15:16], v[33:34]
	s_clause 0x2
	buffer_load_dword v38, off, s[0:3], 0 offset:924
	buffer_load_dword v34, off, s[0:3], 0 offset:900
	;; [unrolled: 1-line block ×3, first 2 shown]
	ds_read_b128 v[9:12], v61 offset:1616
	s_waitcnt vmcnt(58) lgkmcnt(1)
	v_mul_f64 v[45:46], v[1:2], v[51:52]
	v_mul_f64 v[51:52], v[3:4], v[51:52]
	s_waitcnt vmcnt(56)
	v_fma_f64 v[29:30], v[5:6], v[31:32], -v[29:30]
	v_fma_f64 v[31:32], v[7:8], v[31:32], v[126:127]
	v_add_f64 v[13:14], v[13:14], v[43:44]
	v_add_f64 v[15:16], v[15:16], v[23:24]
	s_clause 0x2
	buffer_load_dword v24, off, s[0:3], 0 offset:940
	buffer_load_dword v23, off, s[0:3], 0 offset:936
	;; [unrolled: 1-line block ×3, first 2 shown]
	ds_read_b128 v[5:8], v61 offset:1632
	s_waitcnt vmcnt(55) lgkmcnt(1)
	v_mul_f64 v[43:44], v[9:10], v[35:36]
	v_mul_f64 v[35:36], v[11:12], v[35:36]
	s_waitcnt vmcnt(54)
	v_fma_f64 v[51:52], v[1:2], v[53:54], -v[51:52]
	v_add_f64 v[13:14], v[13:14], v[29:30]
	v_fma_f64 v[29:30], v[3:4], v[53:54], v[45:46]
	v_add_f64 v[15:16], v[15:16], v[31:32]
	s_clause 0x1
	buffer_load_dword v32, off, s[0:3], 0 offset:932
	buffer_load_dword v31, off, s[0:3], 0 offset:928
	ds_read_b128 v[1:4], v61 offset:1648
	s_waitcnt vmcnt(55) lgkmcnt(1)
	v_mul_f64 v[53:54], v[7:8], v[57:58]
	v_mul_f64 v[45:46], v[5:6], v[57:58]
	s_waitcnt vmcnt(53)
	v_fma_f64 v[35:36], v[9:10], v[39:40], -v[35:36]
	v_fma_f64 v[39:40], v[11:12], v[39:40], v[43:44]
	ds_read_b128 v[9:12], v61 offset:1664
	v_add_f64 v[13:14], v[13:14], v[51:52]
	v_add_f64 v[15:16], v[15:16], v[29:30]
	s_waitcnt vmcnt(49) lgkmcnt(1)
	v_mul_f64 v[29:30], v[1:2], v[41:42]
	v_mul_f64 v[41:42], v[3:4], v[41:42]
	s_waitcnt vmcnt(48)
	v_fma_f64 v[43:44], v[5:6], v[59:60], -v[53:54]
	v_add_f64 v[13:14], v[13:14], v[35:36]
	v_fma_f64 v[35:36], v[7:8], v[59:60], v[45:46]
	v_add_f64 v[15:16], v[15:16], v[39:40]
	s_clause 0x3
	buffer_load_dword v39, off, s[0:3], 0 offset:224
	buffer_load_dword v40, off, s[0:3], 0 offset:228
	;; [unrolled: 1-line block ×4, first 2 shown]
	ds_read_b128 v[5:8], v61 offset:1680
	s_waitcnt vmcnt(51) lgkmcnt(1)
	v_mul_f64 v[53:54], v[11:12], v[113:114]
	v_mul_f64 v[51:52], v[9:10], v[113:114]
	s_waitcnt vmcnt(49)
	v_fma_f64 v[41:42], v[1:2], v[47:48], -v[41:42]
	v_fma_f64 v[29:30], v[3:4], v[47:48], v[29:30]
	ds_read_b128 v[1:4], v61 offset:1696
	v_add_f64 v[13:14], v[13:14], v[43:44]
	v_add_f64 v[15:16], v[15:16], v[35:36]
	s_waitcnt vmcnt(45) lgkmcnt(1)
	v_mul_f64 v[43:44], v[7:8], v[49:50]
	s_waitcnt vmcnt(44)
	v_fma_f64 v[47:48], v[9:10], v[117:118], -v[53:54]
	v_mul_f64 v[35:36], v[5:6], v[49:50]
	v_add_f64 v[13:14], v[13:14], v[41:42]
	v_fma_f64 v[41:42], v[11:12], v[117:118], v[51:52]
	v_add_f64 v[15:16], v[15:16], v[29:30]
	ds_read_b128 v[9:12], v61 offset:1712
	s_waitcnt vmcnt(43) lgkmcnt(1)
	v_mul_f64 v[49:50], v[3:4], v[103:104]
	v_mul_f64 v[29:30], v[1:2], v[103:104]
	s_waitcnt vmcnt(41)
	v_fma_f64 v[43:44], v[5:6], v[55:56], -v[43:44]
	v_fma_f64 v[35:36], v[7:8], v[55:56], v[35:36]
	ds_read_b128 v[5:8], v61 offset:1728
	v_add_f64 v[13:14], v[13:14], v[47:48]
	v_add_f64 v[15:16], v[15:16], v[41:42]
	s_waitcnt vmcnt(37) lgkmcnt(1)
	v_mul_f64 v[47:48], v[11:12], v[109:110]
	s_waitcnt vmcnt(36)
	v_fma_f64 v[49:50], v[1:2], v[122:123], -v[49:50]
	v_mul_f64 v[41:42], v[9:10], v[109:110]
	v_fma_f64 v[29:30], v[3:4], v[122:123], v[29:30]
	ds_read_b128 v[1:4], v61 offset:1744
	v_add_f64 v[13:14], v[13:14], v[43:44]
	v_add_f64 v[15:16], v[15:16], v[35:36]
	s_waitcnt vmcnt(35) lgkmcnt(1)
	v_mul_f64 v[43:44], v[7:8], v[115:116]
	v_mul_f64 v[35:36], v[5:6], v[115:116]
	s_waitcnt vmcnt(33)
	v_fma_f64 v[47:48], v[9:10], v[19:20], -v[47:48]
	v_fma_f64 v[19:20], v[11:12], v[19:20], v[41:42]
	ds_read_b128 v[9:12], v61 offset:1760
	v_add_f64 v[13:14], v[13:14], v[49:50]
	v_add_f64 v[15:16], v[15:16], v[29:30]
	s_waitcnt vmcnt(29) lgkmcnt(1)
	v_mul_f64 v[29:30], v[1:2], v[25:26]
	v_mul_f64 v[25:26], v[3:4], v[25:26]
	s_waitcnt vmcnt(28)
	v_fma_f64 v[41:42], v[5:6], v[119:120], -v[43:44]
	;; [unrolled: 9-line block ×3, first 2 shown]
	v_fma_f64 v[21:22], v[3:4], v[21:22], v[29:30]
	ds_read_b128 v[1:4], v61 offset:1792
	v_add_f64 v[13:14], v[13:14], v[41:42]
	v_add_f64 v[15:16], v[15:16], v[35:36]
	s_waitcnt vmcnt(21) lgkmcnt(1)
	v_mul_f64 v[35:36], v[7:8], v[93:94]
	s_waitcnt vmcnt(20)
	v_fma_f64 v[41:42], v[9:10], v[124:125], -v[43:44]
	v_mul_f64 v[29:30], v[5:6], v[93:94]
	v_fma_f64 v[19:20], v[11:12], v[124:125], v[19:20]
	ds_read_b128 v[9:12], v61 offset:1808
	v_add_f64 v[13:14], v[13:14], v[25:26]
	v_add_f64 v[15:16], v[15:16], v[21:22]
	s_waitcnt vmcnt(19) lgkmcnt(1)
	v_mul_f64 v[25:26], v[3:4], v[95:96]
	v_mul_f64 v[21:22], v[1:2], v[95:96]
	s_waitcnt vmcnt(17)
	v_fma_f64 v[35:36], v[5:6], v[27:28], -v[35:36]
	v_fma_f64 v[27:28], v[7:8], v[27:28], v[29:30]
	ds_read_b128 v[5:8], v61 offset:1824
	v_add_f64 v[13:14], v[13:14], v[41:42]
	v_add_f64 v[15:16], v[15:16], v[19:20]
	s_waitcnt vmcnt(13) lgkmcnt(1)
	v_mul_f64 v[19:20], v[9:10], v[17:18]
	v_mul_f64 v[17:18], v[11:12], v[17:18]
	s_waitcnt vmcnt(12)
	v_fma_f64 v[25:26], v[1:2], v[111:112], -v[25:26]
	;; [unrolled: 9-line block ×3, first 2 shown]
	v_fma_f64 v[11:12], v[11:12], v[33:34], v[19:20]
	v_add_f64 v[13:14], v[13:14], v[25:26]
	v_add_f64 v[15:16], v[15:16], v[21:22]
	s_waitcnt vmcnt(7) lgkmcnt(0)
	v_mul_f64 v[19:20], v[3:4], v[23:24]
	s_waitcnt vmcnt(6)
	v_fma_f64 v[5:6], v[5:6], v[107:108], -v[29:30]
	v_mul_f64 v[17:18], v[1:2], v[23:24]
	v_fma_f64 v[7:8], v[7:8], v[107:108], v[27:28]
	v_add_f64 v[9:10], v[13:14], v[9:10]
	v_add_f64 v[11:12], v[15:16], v[11:12]
	s_waitcnt vmcnt(4)
	v_fma_f64 v[1:2], v[1:2], v[31:32], -v[19:20]
	v_fma_f64 v[3:4], v[3:4], v[31:32], v[17:18]
	v_add_f64 v[5:6], v[9:10], v[5:6]
	v_add_f64 v[7:8], v[11:12], v[7:8]
	;; [unrolled: 1-line block ×4, first 2 shown]
	s_waitcnt vmcnt(2)
	v_add_f64 v[1:2], v[39:40], -v[1:2]
	s_waitcnt vmcnt(0)
	v_add_f64 v[3:4], v[45:46], -v[3:4]
	buffer_store_dword v2, off, s[0:3], 0 offset:228
	buffer_store_dword v1, off, s[0:3], 0 offset:224
	;; [unrolled: 1-line block ×4, first 2 shown]
	v_cmpx_lt_u32_e32 12, v0
	s_cbranch_execz .LBB57_337
; %bb.336:
	v_mov_b32_e32 v4, s58
	v_mov_b32_e32 v5, 0
	s_clause 0x3
	buffer_load_dword v1, v4, s[0:3], 0 offen
	buffer_load_dword v2, v4, s[0:3], 0 offen offset:4
	buffer_load_dword v3, v4, s[0:3], 0 offen offset:8
	;; [unrolled: 1-line block ×3, first 2 shown]
	buffer_store_dword v5, off, s[0:3], 0 offset:208
	buffer_store_dword v5, off, s[0:3], 0 offset:212
	;; [unrolled: 1-line block ×4, first 2 shown]
	s_waitcnt vmcnt(0)
	ds_write_b128 v63, v[1:4]
.LBB57_337:
	s_or_b32 exec_lo, exec_lo, s4
	s_waitcnt lgkmcnt(0)
	s_waitcnt_vscnt null, 0x0
	s_barrier
	buffer_gl0_inv
	s_clause 0x37
	buffer_load_dword v13, off, s[0:3], 0 offset:232
	buffer_load_dword v14, off, s[0:3], 0 offset:236
	;; [unrolled: 1-line block ×56, first 2 shown]
	v_mov_b32_e32 v72, 0
	s_mov_b32 s4, exec_lo
	ds_read_b128 v[101:104], v72 offset:1136
	s_clause 0x2
	buffer_load_dword v62, off, s[0:3], 0 offset:460
	buffer_load_dword v94, off, s[0:3], 0 offset:436
	;; [unrolled: 1-line block ×3, first 2 shown]
	ds_read_b128 v[1:4], v72 offset:1152
	s_clause 0x4
	buffer_load_dword v110, off, s[0:3], 0 offset:476
	buffer_load_dword v111, off, s[0:3], 0 offset:488
	;; [unrolled: 1-line block ×5, first 2 shown]
	ds_read_b128 v[105:108], v72 offset:1168
	s_waitcnt vmcnt(62) lgkmcnt(2)
	v_mul_f64 v[95:96], v[103:104], v[13:14]
	v_mul_f64 v[13:14], v[101:102], v[13:14]
	s_waitcnt vmcnt(60) lgkmcnt(1)
	v_mul_f64 v[114:115], v[3:4], v[9:10]
	s_waitcnt vmcnt(56) lgkmcnt(0)
	v_mul_f64 v[116:117], v[105:106], v[7:8]
	v_mul_f64 v[7:8], v[107:108], v[7:8]
	v_fma_f64 v[95:96], v[101:102], v[11:12], -v[95:96]
	v_mul_f64 v[101:102], v[1:2], v[9:10]
	v_fma_f64 v[13:14], v[103:104], v[11:12], v[13:14]
	s_clause 0x2
	buffer_load_dword v112, off, s[0:3], 0 offset:492
	buffer_load_dword v104, off, s[0:3], 0 offset:468
	;; [unrolled: 1-line block ×3, first 2 shown]
	s_waitcnt vmcnt(57)
	v_fma_f64 v[118:119], v[1:2], v[5:6], -v[114:115]
	ds_read_b128 v[9:12], v72 offset:1184
	s_waitcnt vmcnt(51)
	v_fma_f64 v[105:106], v[105:106], v[29:30], -v[7:8]
	v_fma_f64 v[29:30], v[107:108], v[29:30], v[116:117]
	v_add_f64 v[95:96], v[95:96], 0
	v_fma_f64 v[5:6], v[3:4], v[5:6], v[101:102]
	v_add_f64 v[13:14], v[13:14], 0
	s_clause 0x4
	buffer_load_dword v102, off, s[0:3], 0 offset:508
	buffer_load_dword v115, off, s[0:3], 0 offset:520
	;; [unrolled: 1-line block ×5, first 2 shown]
	s_waitcnt lgkmcnt(0)
	v_mul_f64 v[121:122], v[9:10], v[17:18]
	v_mul_f64 v[17:18], v[11:12], v[17:18]
	ds_read_b128 v[1:4], v72 offset:1200
	s_clause 0x2
	buffer_load_dword v116, off, s[0:3], 0 offset:524
	buffer_load_dword v108, off, s[0:3], 0 offset:500
	;; [unrolled: 1-line block ×3, first 2 shown]
	v_add_f64 v[95:96], v[95:96], v[118:119]
	v_add_f64 v[13:14], v[13:14], v[5:6]
	ds_read_b128 v[5:8], v72 offset:1216
	s_waitcnt vmcnt(58) lgkmcnt(1)
	v_mul_f64 v[117:118], v[1:2], v[21:22]
	v_mul_f64 v[21:22], v[3:4], v[21:22]
	s_waitcnt vmcnt(56)
	v_fma_f64 v[17:18], v[9:10], v[23:24], -v[17:18]
	v_fma_f64 v[23:24], v[11:12], v[23:24], v[121:122]
	v_add_f64 v[95:96], v[95:96], v[105:106]
	s_waitcnt vmcnt(52) lgkmcnt(0)
	v_mul_f64 v[123:124], v[5:6], v[25:26]
	v_add_f64 v[13:14], v[13:14], v[29:30]
	s_clause 0x4
	buffer_load_dword v30, off, s[0:3], 0 offset:540
	buffer_load_dword v105, off, s[0:3], 0 offset:552
	;; [unrolled: 1-line block ×5, first 2 shown]
	v_mul_f64 v[25:26], v[7:8], v[25:26]
	s_waitcnt vmcnt(56)
	v_fma_f64 v[21:22], v[1:2], v[15:16], -v[21:22]
	ds_read_b128 v[9:12], v72 offset:1232
	v_fma_f64 v[15:16], v[3:4], v[15:16], v[117:118]
	v_add_f64 v[17:18], v[95:96], v[17:18]
	v_add_f64 v[13:14], v[13:14], v[23:24]
	s_clause 0x2
	buffer_load_dword v106, off, s[0:3], 0 offset:556
	buffer_load_dword v24, off, s[0:3], 0 offset:532
	;; [unrolled: 1-line block ×3, first 2 shown]
	s_waitcnt vmcnt(58) lgkmcnt(0)
	v_mul_f64 v[95:96], v[9:10], v[31:32]
	v_mul_f64 v[31:32], v[11:12], v[31:32]
	s_waitcnt vmcnt(56)
	v_fma_f64 v[25:26], v[5:6], v[33:34], -v[25:26]
	ds_read_b128 v[1:4], v72 offset:1248
	v_add_f64 v[17:18], v[17:18], v[21:22]
	v_fma_f64 v[21:22], v[7:8], v[33:34], v[123:124]
	v_add_f64 v[13:14], v[13:14], v[15:16]
	s_clause 0x4
	buffer_load_dword v16, off, s[0:3], 0 offset:572
	buffer_load_dword v33, off, s[0:3], 0 offset:584
	;; [unrolled: 1-line block ×5, first 2 shown]
	ds_read_b128 v[5:8], v72 offset:1264
	s_waitcnt vmcnt(57) lgkmcnt(1)
	v_mul_f64 v[118:119], v[1:2], v[35:36]
	v_mul_f64 v[35:36], v[3:4], v[35:36]
	s_waitcnt vmcnt(56)
	v_fma_f64 v[31:32], v[9:10], v[19:20], -v[31:32]
	v_fma_f64 v[19:20], v[11:12], v[19:20], v[95:96]
	v_add_f64 v[17:18], v[17:18], v[25:26]
	v_add_f64 v[13:14], v[13:14], v[21:22]
	s_clause 0x2
	buffer_load_dword v34, off, s[0:3], 0 offset:588
	buffer_load_dword v22, off, s[0:3], 0 offset:564
	;; [unrolled: 1-line block ×3, first 2 shown]
	s_waitcnt vmcnt(58) lgkmcnt(0)
	v_mul_f64 v[25:26], v[5:6], v[39:40]
	v_mul_f64 v[39:40], v[7:8], v[39:40]
	s_waitcnt vmcnt(56)
	v_fma_f64 v[35:36], v[1:2], v[41:42], -v[35:36]
	ds_read_b128 v[9:12], v72 offset:1280
	v_add_f64 v[17:18], v[17:18], v[31:32]
	v_fma_f64 v[31:32], v[3:4], v[41:42], v[118:119]
	v_add_f64 v[13:14], v[13:14], v[19:20]
	s_clause 0x4
	buffer_load_dword v20, off, s[0:3], 0 offset:604
	buffer_load_dword v41, off, s[0:3], 0 offset:616
	;; [unrolled: 1-line block ×5, first 2 shown]
	ds_read_b128 v[1:4], v72 offset:1296
	s_waitcnt vmcnt(57) lgkmcnt(1)
	v_mul_f64 v[124:125], v[9:10], v[43:44]
	v_mul_f64 v[43:44], v[11:12], v[43:44]
	s_waitcnt vmcnt(56)
	v_fma_f64 v[39:40], v[5:6], v[27:28], -v[39:40]
	v_fma_f64 v[25:26], v[7:8], v[27:28], v[25:26]
	s_clause 0x2
	buffer_load_dword v42, off, s[0:3], 0 offset:620
	buffer_load_dword v28, off, s[0:3], 0 offset:596
	;; [unrolled: 1-line block ×3, first 2 shown]
	ds_read_b128 v[5:8], v72 offset:1312
	v_add_f64 v[17:18], v[17:18], v[35:36]
	v_add_f64 v[13:14], v[13:14], v[31:32]
	s_waitcnt vmcnt(58) lgkmcnt(1)
	v_mul_f64 v[35:36], v[3:4], v[47:48]
	v_mul_f64 v[31:32], v[1:2], v[47:48]
	s_waitcnt vmcnt(56)
	v_fma_f64 v[43:44], v[9:10], v[49:50], -v[43:44]
	v_add_f64 v[17:18], v[17:18], v[39:40]
	v_fma_f64 v[39:40], v[11:12], v[49:50], v[124:125]
	v_add_f64 v[13:14], v[13:14], v[25:26]
	s_clause 0x4
	buffer_load_dword v26, off, s[0:3], 0 offset:636
	buffer_load_dword v47, off, s[0:3], 0 offset:648
	buffer_load_dword v49, off, s[0:3], 0 offset:640
	buffer_load_dword v25, off, s[0:3], 0 offset:632
	buffer_load_dword v96, off, s[0:3], 0 offset:612
	s_waitcnt vmcnt(57) lgkmcnt(0)
	v_mul_f64 v[124:125], v[5:6], v[51:52]
	v_mul_f64 v[50:51], v[7:8], v[51:52]
	s_waitcnt vmcnt(56)
	v_fma_f64 v[35:36], v[1:2], v[37:38], -v[35:36]
	ds_read_b128 v[9:12], v72 offset:1328
	v_fma_f64 v[31:32], v[3:4], v[37:38], v[31:32]
	s_clause 0x2
	buffer_load_dword v48, off, s[0:3], 0 offset:652
	buffer_load_dword v38, off, s[0:3], 0 offset:628
	;; [unrolled: 1-line block ×3, first 2 shown]
	ds_read_b128 v[1:4], v72 offset:1344
	v_add_f64 v[17:18], v[17:18], v[43:44]
	v_add_f64 v[13:14], v[13:14], v[39:40]
	s_waitcnt vmcnt(58) lgkmcnt(1)
	v_mul_f64 v[43:44], v[11:12], v[55:56]
	s_waitcnt vmcnt(56)
	v_fma_f64 v[51:52], v[5:6], v[57:58], -v[50:51]
	v_mul_f64 v[39:40], v[9:10], v[55:56]
	v_add_f64 v[17:18], v[17:18], v[35:36]
	v_fma_f64 v[35:36], v[7:8], v[57:58], v[124:125]
	v_add_f64 v[13:14], v[13:14], v[31:32]
	s_clause 0x4
	buffer_load_dword v32, off, s[0:3], 0 offset:668
	buffer_load_dword v55, off, s[0:3], 0 offset:680
	;; [unrolled: 1-line block ×5, first 2 shown]
	s_waitcnt vmcnt(57) lgkmcnt(0)
	v_mul_f64 v[124:125], v[1:2], v[59:60]
	v_mul_f64 v[58:59], v[3:4], v[59:60]
	s_waitcnt vmcnt(56)
	v_fma_f64 v[43:44], v[9:10], v[45:46], -v[43:44]
	ds_read_b128 v[5:8], v72 offset:1360
	v_fma_f64 v[39:40], v[11:12], v[45:46], v[39:40]
	v_add_f64 v[17:18], v[17:18], v[51:52]
	v_add_f64 v[13:14], v[13:14], v[35:36]
	s_clause 0x2
	buffer_load_dword v56, off, s[0:3], 0 offset:684
	buffer_load_dword v36, off, s[0:3], 0 offset:660
	;; [unrolled: 1-line block ×3, first 2 shown]
	ds_read_b128 v[9:12], v72 offset:1376
	s_waitcnt vmcnt(58) lgkmcnt(1)
	v_mul_f64 v[51:52], v[7:8], v[61:62]
	s_waitcnt vmcnt(56)
	v_fma_f64 v[59:60], v[1:2], v[93:94], -v[58:59]
	v_mul_f64 v[45:46], v[5:6], v[61:62]
	v_add_f64 v[17:18], v[17:18], v[43:44]
	v_fma_f64 v[43:44], v[3:4], v[93:94], v[124:125]
	v_add_f64 v[13:14], v[13:14], v[39:40]
	s_clause 0x4
	buffer_load_dword v40, off, s[0:3], 0 offset:700
	buffer_load_dword v61, off, s[0:3], 0 offset:712
	;; [unrolled: 1-line block ×5, first 2 shown]
	s_waitcnt vmcnt(57) lgkmcnt(0)
	v_mul_f64 v[124:125], v[9:10], v[109:110]
	v_mul_f64 v[109:110], v[11:12], v[109:110]
	s_waitcnt vmcnt(56)
	v_fma_f64 v[51:52], v[5:6], v[53:54], -v[51:52]
	ds_read_b128 v[1:4], v72 offset:1392
	v_fma_f64 v[45:46], v[7:8], v[53:54], v[45:46]
	v_add_f64 v[17:18], v[17:18], v[59:60]
	v_add_f64 v[13:14], v[13:14], v[43:44]
	s_clause 0x2
	buffer_load_dword v62, off, s[0:3], 0 offset:716
	buffer_load_dword v44, off, s[0:3], 0 offset:692
	;; [unrolled: 1-line block ×3, first 2 shown]
	ds_read_b128 v[5:8], v72 offset:1408
	s_waitcnt vmcnt(58) lgkmcnt(1)
	v_mul_f64 v[59:60], v[3:4], v[111:112]
	v_mul_f64 v[53:54], v[1:2], v[111:112]
	s_waitcnt vmcnt(56)
	v_fma_f64 v[109:110], v[9:10], v[103:104], -v[109:110]
	v_add_f64 v[17:18], v[17:18], v[51:52]
	v_fma_f64 v[51:52], v[11:12], v[103:104], v[124:125]
	v_add_f64 v[13:14], v[13:14], v[45:46]
	s_clause 0x4
	buffer_load_dword v46, off, s[0:3], 0 offset:732
	buffer_load_dword v103, off, s[0:3], 0 offset:744
	;; [unrolled: 1-line block ×5, first 2 shown]
	ds_read_b128 v[9:12], v72 offset:1424
	s_waitcnt vmcnt(57) lgkmcnt(1)
	v_mul_f64 v[124:125], v[5:6], v[101:102]
	v_mul_f64 v[101:102], v[7:8], v[101:102]
	s_waitcnt vmcnt(56)
	v_fma_f64 v[59:60], v[1:2], v[113:114], -v[59:60]
	v_fma_f64 v[53:54], v[3:4], v[113:114], v[53:54]
	v_add_f64 v[17:18], v[17:18], v[109:110]
	v_add_f64 v[13:14], v[13:14], v[51:52]
	s_clause 0x2
	buffer_load_dword v104, off, s[0:3], 0 offset:748
	buffer_load_dword v52, off, s[0:3], 0 offset:724
	;; [unrolled: 1-line block ×3, first 2 shown]
	s_waitcnt vmcnt(58) lgkmcnt(0)
	v_mul_f64 v[113:114], v[11:12], v[115:116]
	ds_read_b128 v[1:4], v72 offset:1440
	v_mul_f64 v[109:110], v[9:10], v[115:116]
	s_waitcnt vmcnt(56)
	v_fma_f64 v[101:102], v[5:6], v[107:108], -v[101:102]
	v_add_f64 v[17:18], v[17:18], v[59:60]
	v_fma_f64 v[59:60], v[7:8], v[107:108], v[124:125]
	v_add_f64 v[13:14], v[13:14], v[53:54]
	s_clause 0x4
	buffer_load_dword v54, off, s[0:3], 0 offset:764
	buffer_load_dword v107, off, s[0:3], 0 offset:776
	;; [unrolled: 1-line block ×5, first 2 shown]
	ds_read_b128 v[5:8], v72 offset:1456
	s_waitcnt vmcnt(57) lgkmcnt(1)
	v_mul_f64 v[124:125], v[1:2], v[29:30]
	v_mul_f64 v[29:30], v[3:4], v[29:30]
	s_waitcnt vmcnt(56)
	v_fma_f64 v[113:114], v[9:10], v[120:121], -v[113:114]
	v_add_f64 v[17:18], v[17:18], v[101:102]
	v_fma_f64 v[101:102], v[11:12], v[120:121], v[109:110]
	v_add_f64 v[13:14], v[13:14], v[59:60]
	s_clause 0x2
	buffer_load_dword v108, off, s[0:3], 0 offset:780
	buffer_load_dword v60, off, s[0:3], 0 offset:756
	;; [unrolled: 1-line block ×3, first 2 shown]
	ds_read_b128 v[9:12], v72 offset:1472
	s_waitcnt vmcnt(58) lgkmcnt(1)
	v_mul_f64 v[109:110], v[5:6], v[105:106]
	v_mul_f64 v[105:106], v[7:8], v[105:106]
	s_waitcnt vmcnt(56)
	v_fma_f64 v[29:30], v[1:2], v[23:24], -v[29:30]
	v_fma_f64 v[23:24], v[3:4], v[23:24], v[124:125]
	v_add_f64 v[17:18], v[17:18], v[113:114]
	v_add_f64 v[13:14], v[13:14], v[101:102]
	s_clause 0x4
	buffer_load_dword v102, off, s[0:3], 0 offset:796
	buffer_load_dword v113, off, s[0:3], 0 offset:808
	;; [unrolled: 1-line block ×5, first 2 shown]
	ds_read_b128 v[1:4], v72 offset:1488
	s_waitcnt vmcnt(57) lgkmcnt(1)
	v_mul_f64 v[120:121], v[9:10], v[15:16]
	v_mul_f64 v[15:16], v[11:12], v[15:16]
	s_waitcnt vmcnt(56)
	v_fma_f64 v[105:106], v[5:6], v[122:123], -v[105:106]
	v_add_f64 v[17:18], v[17:18], v[29:30]
	v_fma_f64 v[29:30], v[7:8], v[122:123], v[109:110]
	v_add_f64 v[13:14], v[13:14], v[23:24]
	s_clause 0x2
	buffer_load_dword v114, off, s[0:3], 0 offset:812
	buffer_load_dword v24, off, s[0:3], 0 offset:788
	;; [unrolled: 1-line block ×3, first 2 shown]
	ds_read_b128 v[5:8], v72 offset:1504
	s_waitcnt vmcnt(58) lgkmcnt(1)
	v_mul_f64 v[109:110], v[1:2], v[33:34]
	v_mul_f64 v[33:34], v[3:4], v[33:34]
	s_waitcnt vmcnt(56)
	v_fma_f64 v[15:16], v[9:10], v[21:22], -v[15:16]
	v_fma_f64 v[21:22], v[11:12], v[21:22], v[120:121]
	v_add_f64 v[17:18], v[17:18], v[105:106]
	v_add_f64 v[13:14], v[13:14], v[29:30]
	s_clause 0x4
	buffer_load_dword v30, off, s[0:3], 0 offset:828
	buffer_load_dword v105, off, s[0:3], 0 offset:840
	buffer_load_dword v121, off, s[0:3], 0 offset:832
	buffer_load_dword v29, off, s[0:3], 0 offset:824
	buffer_load_dword v120, off, s[0:3], 0 offset:804
	ds_read_b128 v[9:12], v72 offset:1520
	s_waitcnt vmcnt(57) lgkmcnt(1)
	v_mul_f64 v[122:123], v[5:6], v[19:20]
	v_mul_f64 v[19:20], v[7:8], v[19:20]
	s_waitcnt vmcnt(56)
	v_fma_f64 v[33:34], v[1:2], v[117:118], -v[33:34]
	v_add_f64 v[15:16], v[17:18], v[15:16]
	v_fma_f64 v[17:18], v[3:4], v[117:118], v[109:110]
	v_add_f64 v[13:14], v[13:14], v[21:22]
	s_clause 0x2
	buffer_load_dword v106, off, s[0:3], 0 offset:844
	buffer_load_dword v22, off, s[0:3], 0 offset:820
	;; [unrolled: 1-line block ×3, first 2 shown]
	s_waitcnt vmcnt(58) lgkmcnt(0)
	v_mul_f64 v[109:110], v[9:10], v[41:42]
	v_mul_f64 v[41:42], v[11:12], v[41:42]
	ds_read_b128 v[1:4], v72 offset:1536
	s_waitcnt vmcnt(56)
	v_fma_f64 v[19:20], v[5:6], v[27:28], -v[19:20]
	v_fma_f64 v[27:28], v[7:8], v[27:28], v[122:123]
	v_add_f64 v[15:16], v[15:16], v[33:34]
	v_add_f64 v[13:14], v[13:14], v[17:18]
	s_clause 0x4
	buffer_load_dword v18, off, s[0:3], 0 offset:860
	buffer_load_dword v33, off, s[0:3], 0 offset:872
	;; [unrolled: 1-line block ×5, first 2 shown]
	ds_read_b128 v[5:8], v72 offset:1552
	s_waitcnt vmcnt(57) lgkmcnt(1)
	v_mul_f64 v[123:124], v[1:2], v[25:26]
	v_mul_f64 v[25:26], v[3:4], v[25:26]
	s_waitcnt vmcnt(56)
	v_fma_f64 v[41:42], v[9:10], v[95:96], -v[41:42]
	v_add_f64 v[15:16], v[15:16], v[19:20]
	v_fma_f64 v[19:20], v[11:12], v[95:96], v[109:110]
	v_add_f64 v[13:14], v[13:14], v[27:28]
	s_clause 0x2
	buffer_load_dword v34, off, s[0:3], 0 offset:876
	buffer_load_dword v28, off, s[0:3], 0 offset:852
	;; [unrolled: 1-line block ×3, first 2 shown]
	s_waitcnt vmcnt(58) lgkmcnt(0)
	v_mul_f64 v[95:96], v[5:6], v[47:48]
	v_mul_f64 v[47:48], v[7:8], v[47:48]
	ds_read_b128 v[9:12], v72 offset:1568
	s_waitcnt vmcnt(56)
	v_fma_f64 v[25:26], v[1:2], v[37:38], -v[25:26]
	v_fma_f64 v[37:38], v[3:4], v[37:38], v[123:124]
	v_add_f64 v[15:16], v[15:16], v[41:42]
	v_add_f64 v[13:14], v[13:14], v[19:20]
	s_clause 0x4
	buffer_load_dword v20, off, s[0:3], 0 offset:892
	buffer_load_dword v41, off, s[0:3], 0 offset:904
	;; [unrolled: 1-line block ×5, first 2 shown]
	ds_read_b128 v[1:4], v72 offset:1584
	s_waitcnt vmcnt(57) lgkmcnt(1)
	v_mul_f64 v[123:124], v[9:10], v[31:32]
	v_mul_f64 v[31:32], v[11:12], v[31:32]
	s_waitcnt vmcnt(56)
	v_fma_f64 v[47:48], v[5:6], v[49:50], -v[47:48]
	v_add_f64 v[15:16], v[15:16], v[25:26]
	v_fma_f64 v[25:26], v[7:8], v[49:50], v[95:96]
	v_add_f64 v[13:14], v[13:14], v[37:38]
	s_clause 0x2
	buffer_load_dword v42, off, s[0:3], 0 offset:908
	buffer_load_dword v38, off, s[0:3], 0 offset:884
	buffer_load_dword v37, off, s[0:3], 0 offset:880
	ds_read_b128 v[5:8], v72 offset:1600
	s_waitcnt vmcnt(58) lgkmcnt(1)
	v_mul_f64 v[49:50], v[1:2], v[55:56]
	v_mul_f64 v[55:56], v[3:4], v[55:56]
	s_waitcnt vmcnt(56)
	v_fma_f64 v[31:32], v[9:10], v[35:36], -v[31:32]
	v_fma_f64 v[35:36], v[11:12], v[35:36], v[123:124]
	v_add_f64 v[15:16], v[15:16], v[47:48]
	v_add_f64 v[13:14], v[13:14], v[25:26]
	s_clause 0x4
	buffer_load_dword v26, off, s[0:3], 0 offset:924
	buffer_load_dword v47, off, s[0:3], 0 offset:936
	;; [unrolled: 1-line block ×5, first 2 shown]
	ds_read_b128 v[9:12], v72 offset:1616
	s_waitcnt vmcnt(57) lgkmcnt(1)
	v_mul_f64 v[123:124], v[5:6], v[39:40]
	v_mul_f64 v[39:40], v[7:8], v[39:40]
	s_waitcnt vmcnt(56)
	v_fma_f64 v[55:56], v[1:2], v[57:58], -v[55:56]
	v_add_f64 v[15:16], v[15:16], v[31:32]
	v_fma_f64 v[31:32], v[3:4], v[57:58], v[49:50]
	v_add_f64 v[13:14], v[13:14], v[35:36]
	s_clause 0x2
	buffer_load_dword v48, off, s[0:3], 0 offset:940
	buffer_load_dword v36, off, s[0:3], 0 offset:916
	;; [unrolled: 1-line block ×3, first 2 shown]
	ds_read_b128 v[1:4], v72 offset:1632
	buffer_load_dword v96, off, s[0:3], 0 offset:932
	s_waitcnt vmcnt(59) lgkmcnt(1)
	v_mul_f64 v[57:58], v[11:12], v[61:62]
	v_mul_f64 v[49:50], v[9:10], v[61:62]
	s_waitcnt vmcnt(57)
	v_fma_f64 v[39:40], v[5:6], v[43:44], -v[39:40]
	v_fma_f64 v[43:44], v[7:8], v[43:44], v[123:124]
	ds_read_b128 v[5:8], v72 offset:1648
	v_add_f64 v[15:16], v[15:16], v[55:56]
	v_add_f64 v[13:14], v[13:14], v[31:32]
	s_waitcnt vmcnt(53) lgkmcnt(1)
	v_mul_f64 v[31:32], v[1:2], v[45:46]
	v_mul_f64 v[45:46], v[3:4], v[45:46]
	s_waitcnt vmcnt(52)
	v_fma_f64 v[55:56], v[9:10], v[93:94], -v[57:58]
	v_add_f64 v[15:16], v[15:16], v[39:40]
	v_fma_f64 v[39:40], v[11:12], v[93:94], v[49:50]
	v_add_f64 v[13:14], v[13:14], v[43:44]
	ds_read_b128 v[9:12], v72 offset:1664
	s_waitcnt vmcnt(51) lgkmcnt(1)
	v_mul_f64 v[49:50], v[7:8], v[103:104]
	v_mul_f64 v[43:44], v[5:6], v[103:104]
	s_waitcnt vmcnt(49)
	v_fma_f64 v[45:46], v[1:2], v[51:52], -v[45:46]
	v_fma_f64 v[31:32], v[3:4], v[51:52], v[31:32]
	v_add_f64 v[15:16], v[15:16], v[55:56]
	v_add_f64 v[13:14], v[13:14], v[39:40]
	s_clause 0x3
	buffer_load_dword v39, off, s[0:3], 0 offset:208
	buffer_load_dword v40, off, s[0:3], 0 offset:212
	;; [unrolled: 1-line block ×4, first 2 shown]
	ds_read_b128 v[1:4], v72 offset:1680
	s_waitcnt vmcnt(49) lgkmcnt(1)
	v_mul_f64 v[55:56], v[9:10], v[53:54]
	v_mul_f64 v[53:54], v[11:12], v[53:54]
	s_waitcnt vmcnt(48)
	v_fma_f64 v[49:50], v[5:6], v[111:112], -v[49:50]
	v_fma_f64 v[43:44], v[7:8], v[111:112], v[43:44]
	ds_read_b128 v[5:8], v72 offset:1696
	v_add_f64 v[15:16], v[15:16], v[45:46]
	v_add_f64 v[13:14], v[13:14], v[31:32]
	s_waitcnt vmcnt(47) lgkmcnt(1)
	v_mul_f64 v[45:46], v[3:4], v[107:108]
	v_mul_f64 v[31:32], v[1:2], v[107:108]
	s_waitcnt vmcnt(45)
	v_fma_f64 v[53:54], v[9:10], v[59:60], -v[53:54]
	v_add_f64 v[15:16], v[15:16], v[49:50]
	v_fma_f64 v[49:50], v[11:12], v[59:60], v[55:56]
	v_add_f64 v[13:14], v[13:14], v[43:44]
	ds_read_b128 v[9:12], v72 offset:1712
	s_waitcnt vmcnt(41) lgkmcnt(1)
	v_mul_f64 v[55:56], v[7:8], v[101:102]
	s_waitcnt vmcnt(40)
	v_fma_f64 v[45:46], v[1:2], v[115:116], -v[45:46]
	v_mul_f64 v[43:44], v[5:6], v[101:102]
	v_fma_f64 v[31:32], v[3:4], v[115:116], v[31:32]
	ds_read_b128 v[1:4], v72 offset:1728
	v_add_f64 v[15:16], v[15:16], v[53:54]
	v_add_f64 v[13:14], v[13:14], v[49:50]
	s_waitcnt vmcnt(39) lgkmcnt(1)
	v_mul_f64 v[53:54], v[11:12], v[113:114]
	v_mul_f64 v[49:50], v[9:10], v[113:114]
	s_waitcnt vmcnt(37)
	v_fma_f64 v[55:56], v[5:6], v[23:24], -v[55:56]
	v_fma_f64 v[23:24], v[7:8], v[23:24], v[43:44]
	ds_read_b128 v[5:8], v72 offset:1744
	v_add_f64 v[15:16], v[15:16], v[45:46]
	v_add_f64 v[13:14], v[13:14], v[31:32]
	s_waitcnt vmcnt(33) lgkmcnt(1)
	v_mul_f64 v[31:32], v[1:2], v[29:30]
	v_mul_f64 v[29:30], v[3:4], v[29:30]
	s_waitcnt vmcnt(32)
	v_fma_f64 v[43:44], v[9:10], v[119:120], -v[53:54]
	;; [unrolled: 9-line block ×6, first 2 shown]
	v_add_f64 v[15:16], v[15:16], v[17:18]
	v_fma_f64 v[17:18], v[3:4], v[117:118], v[21:22]
	v_add_f64 v[13:14], v[13:14], v[27:28]
	ds_read_b128 v[1:4], v72 offset:1824
	s_waitcnt vmcnt(15) lgkmcnt(1)
	v_mul_f64 v[27:28], v[11:12], v[41:42]
	v_mul_f64 v[21:22], v[9:10], v[41:42]
	s_waitcnt vmcnt(13)
	v_fma_f64 v[19:20], v[5:6], v[37:38], -v[19:20]
	v_fma_f64 v[23:24], v[7:8], v[37:38], v[23:24]
	ds_read_b128 v[5:8], v72 offset:1840
	v_add_f64 v[15:16], v[15:16], v[29:30]
	v_add_f64 v[13:14], v[13:14], v[17:18]
	s_waitcnt vmcnt(9) lgkmcnt(1)
	v_mul_f64 v[17:18], v[1:2], v[25:26]
	v_mul_f64 v[25:26], v[3:4], v[25:26]
	s_waitcnt vmcnt(8)
	v_fma_f64 v[9:10], v[9:10], v[109:110], -v[27:28]
	v_fma_f64 v[11:12], v[11:12], v[109:110], v[21:22]
	v_add_f64 v[15:16], v[15:16], v[19:20]
	v_add_f64 v[13:14], v[13:14], v[23:24]
	s_waitcnt vmcnt(7) lgkmcnt(0)
	v_mul_f64 v[21:22], v[7:8], v[47:48]
	v_mul_f64 v[19:20], v[5:6], v[47:48]
	s_waitcnt vmcnt(5)
	v_fma_f64 v[1:2], v[1:2], v[35:36], -v[25:26]
	v_fma_f64 v[3:4], v[3:4], v[35:36], v[17:18]
	v_add_f64 v[9:10], v[15:16], v[9:10]
	v_add_f64 v[11:12], v[13:14], v[11:12]
	s_waitcnt vmcnt(4)
	v_fma_f64 v[5:6], v[5:6], v[95:96], -v[21:22]
	v_fma_f64 v[7:8], v[7:8], v[95:96], v[19:20]
	v_add_f64 v[1:2], v[9:10], v[1:2]
	v_add_f64 v[3:4], v[11:12], v[3:4]
	;; [unrolled: 1-line block ×4, first 2 shown]
	s_waitcnt vmcnt(2)
	v_add_f64 v[1:2], v[39:40], -v[1:2]
	s_waitcnt vmcnt(0)
	v_add_f64 v[3:4], v[51:52], -v[3:4]
	buffer_store_dword v2, off, s[0:3], 0 offset:212
	buffer_store_dword v1, off, s[0:3], 0 offset:208
	;; [unrolled: 1-line block ×4, first 2 shown]
	v_cmpx_lt_u32_e32 11, v0
	s_cbranch_execz .LBB57_339
; %bb.338:
	v_mov_b32_e32 v4, s59
	s_clause 0x3
	buffer_load_dword v1, v4, s[0:3], 0 offen
	buffer_load_dword v2, v4, s[0:3], 0 offen offset:4
	buffer_load_dword v3, v4, s[0:3], 0 offen offset:8
	;; [unrolled: 1-line block ×3, first 2 shown]
	buffer_store_dword v72, off, s[0:3], 0 offset:192
	buffer_store_dword v72, off, s[0:3], 0 offset:196
	;; [unrolled: 1-line block ×4, first 2 shown]
	s_waitcnt vmcnt(0)
	ds_write_b128 v63, v[1:4]
.LBB57_339:
	s_or_b32 exec_lo, exec_lo, s4
	s_waitcnt lgkmcnt(0)
	s_waitcnt_vscnt null, 0x0
	s_barrier
	buffer_gl0_inv
	s_clause 0x37
	buffer_load_dword v17, off, s[0:3], 0 offset:216
	buffer_load_dword v18, off, s[0:3], 0 offset:220
	;; [unrolled: 1-line block ×56, first 2 shown]
	ds_read_b128 v[5:8], v72 offset:1120
	s_clause 0x2
	buffer_load_dword v96, off, s[0:3], 0 offset:444
	buffer_load_dword v102, off, s[0:3], 0 offset:420
	;; [unrolled: 1-line block ×3, first 2 shown]
	ds_read_b128 v[1:4], v72 offset:1136
	s_clause 0x4
	buffer_load_dword v110, off, s[0:3], 0 offset:460
	buffer_load_dword v111, off, s[0:3], 0 offset:472
	;; [unrolled: 1-line block ×5, first 2 shown]
	ds_read_b128 v[103:106], v72 offset:1152
	s_mov_b32 s4, exec_lo
	s_waitcnt vmcnt(62) lgkmcnt(2)
	v_mul_f64 v[107:108], v[7:8], v[17:18]
	v_mul_f64 v[17:18], v[5:6], v[17:18]
	s_waitcnt vmcnt(60) lgkmcnt(1)
	v_mul_f64 v[114:115], v[3:4], v[13:14]
	v_mul_f64 v[13:14], v[1:2], v[13:14]
	;; [unrolled: 3-line block ×3, first 2 shown]
	v_fma_f64 v[107:108], v[5:6], v[15:16], -v[107:108]
	v_fma_f64 v[15:16], v[7:8], v[15:16], v[17:18]
	s_clause 0x2
	buffer_load_dword v112, off, s[0:3], 0 offset:476
	buffer_load_dword v18, off, s[0:3], 0 offset:452
	;; [unrolled: 1-line block ×3, first 2 shown]
	s_waitcnt vmcnt(57)
	v_fma_f64 v[118:119], v[1:2], v[9:10], -v[114:115]
	ds_read_b128 v[5:8], v72 offset:1168
	v_fma_f64 v[9:10], v[3:4], v[9:10], v[13:14]
	s_waitcnt vmcnt(51)
	v_fma_f64 v[103:104], v[103:104], v[33:34], -v[11:12]
	v_fma_f64 v[33:34], v[105:106], v[33:34], v[116:117]
	v_add_f64 v[107:108], v[107:108], 0
	v_add_f64 v[13:14], v[15:16], 0
	s_clause 0x4
	buffer_load_dword v16, off, s[0:3], 0 offset:492
	buffer_load_dword v115, off, s[0:3], 0 offset:504
	;; [unrolled: 1-line block ×5, first 2 shown]
	s_waitcnt lgkmcnt(0)
	v_mul_f64 v[121:122], v[5:6], v[21:22]
	v_mul_f64 v[21:22], v[7:8], v[21:22]
	ds_read_b128 v[1:4], v72 offset:1184
	s_clause 0x2
	buffer_load_dword v116, off, s[0:3], 0 offset:508
	buffer_load_dword v106, off, s[0:3], 0 offset:484
	;; [unrolled: 1-line block ×3, first 2 shown]
	v_add_f64 v[107:108], v[107:108], v[118:119]
	v_add_f64 v[13:14], v[13:14], v[9:10]
	ds_read_b128 v[9:12], v72 offset:1200
	s_waitcnt vmcnt(58) lgkmcnt(1)
	v_mul_f64 v[117:118], v[1:2], v[25:26]
	v_mul_f64 v[25:26], v[3:4], v[25:26]
	s_waitcnt vmcnt(56)
	v_fma_f64 v[21:22], v[5:6], v[27:28], -v[21:22]
	v_fma_f64 v[27:28], v[7:8], v[27:28], v[121:122]
	s_waitcnt vmcnt(52) lgkmcnt(0)
	v_mul_f64 v[123:124], v[9:10], v[29:30]
	v_add_f64 v[103:104], v[107:108], v[103:104]
	v_add_f64 v[13:14], v[13:14], v[33:34]
	s_clause 0x4
	buffer_load_dword v34, off, s[0:3], 0 offset:524
	buffer_load_dword v107, off, s[0:3], 0 offset:536
	buffer_load_dword v122, off, s[0:3], 0 offset:528
	buffer_load_dword v33, off, s[0:3], 0 offset:520
	buffer_load_dword v121, off, s[0:3], 0 offset:500
	v_mul_f64 v[29:30], v[11:12], v[29:30]
	s_waitcnt vmcnt(56)
	v_fma_f64 v[25:26], v[1:2], v[19:20], -v[25:26]
	ds_read_b128 v[5:8], v72 offset:1216
	v_fma_f64 v[19:20], v[3:4], v[19:20], v[117:118]
	v_add_f64 v[21:22], v[103:104], v[21:22]
	v_add_f64 v[13:14], v[13:14], v[27:28]
	s_clause 0x2
	buffer_load_dword v108, off, s[0:3], 0 offset:540
	buffer_load_dword v28, off, s[0:3], 0 offset:516
	;; [unrolled: 1-line block ×3, first 2 shown]
	s_waitcnt vmcnt(58) lgkmcnt(0)
	v_mul_f64 v[103:104], v[5:6], v[35:36]
	v_mul_f64 v[35:36], v[7:8], v[35:36]
	s_waitcnt vmcnt(56)
	v_fma_f64 v[29:30], v[9:10], v[37:38], -v[29:30]
	ds_read_b128 v[1:4], v72 offset:1232
	v_add_f64 v[21:22], v[21:22], v[25:26]
	v_fma_f64 v[25:26], v[11:12], v[37:38], v[123:124]
	v_add_f64 v[13:14], v[13:14], v[19:20]
	s_clause 0x4
	buffer_load_dword v20, off, s[0:3], 0 offset:556
	buffer_load_dword v37, off, s[0:3], 0 offset:568
	;; [unrolled: 1-line block ×5, first 2 shown]
	s_waitcnt vmcnt(57) lgkmcnt(0)
	v_mul_f64 v[118:119], v[1:2], v[39:40]
	v_mul_f64 v[39:40], v[3:4], v[39:40]
	s_waitcnt vmcnt(56)
	v_fma_f64 v[35:36], v[5:6], v[23:24], -v[35:36]
	ds_read_b128 v[9:12], v72 offset:1248
	v_fma_f64 v[23:24], v[7:8], v[23:24], v[103:104]
	v_add_f64 v[21:22], v[21:22], v[29:30]
	v_add_f64 v[13:14], v[13:14], v[25:26]
	s_clause 0x2
	buffer_load_dword v38, off, s[0:3], 0 offset:572
	buffer_load_dword v26, off, s[0:3], 0 offset:548
	;; [unrolled: 1-line block ×3, first 2 shown]
	ds_read_b128 v[5:8], v72 offset:1264
	s_waitcnt vmcnt(58) lgkmcnt(1)
	v_mul_f64 v[29:30], v[9:10], v[43:44]
	v_mul_f64 v[43:44], v[11:12], v[43:44]
	s_waitcnt vmcnt(56)
	v_fma_f64 v[39:40], v[1:2], v[45:46], -v[39:40]
	v_add_f64 v[21:22], v[21:22], v[35:36]
	v_fma_f64 v[35:36], v[3:4], v[45:46], v[118:119]
	v_add_f64 v[13:14], v[13:14], v[23:24]
	s_clause 0x4
	buffer_load_dword v24, off, s[0:3], 0 offset:588
	buffer_load_dword v45, off, s[0:3], 0 offset:600
	;; [unrolled: 1-line block ×5, first 2 shown]
	s_waitcnt vmcnt(57) lgkmcnt(0)
	v_mul_f64 v[124:125], v[5:6], v[47:48]
	v_mul_f64 v[47:48], v[7:8], v[47:48]
	s_waitcnt vmcnt(56)
	v_fma_f64 v[43:44], v[9:10], v[31:32], -v[43:44]
	ds_read_b128 v[1:4], v72 offset:1280
	v_fma_f64 v[29:30], v[11:12], v[31:32], v[29:30]
	s_clause 0x2
	buffer_load_dword v46, off, s[0:3], 0 offset:604
	buffer_load_dword v32, off, s[0:3], 0 offset:580
	;; [unrolled: 1-line block ×3, first 2 shown]
	ds_read_b128 v[9:12], v72 offset:1296
	v_add_f64 v[21:22], v[21:22], v[39:40]
	v_add_f64 v[13:14], v[13:14], v[35:36]
	s_waitcnt vmcnt(58) lgkmcnt(1)
	v_mul_f64 v[39:40], v[3:4], v[51:52]
	s_waitcnt vmcnt(56)
	v_fma_f64 v[47:48], v[5:6], v[53:54], -v[47:48]
	v_mul_f64 v[35:36], v[1:2], v[51:52]
	v_add_f64 v[21:22], v[21:22], v[43:44]
	v_fma_f64 v[43:44], v[7:8], v[53:54], v[124:125]
	v_add_f64 v[13:14], v[13:14], v[29:30]
	s_clause 0x4
	buffer_load_dword v30, off, s[0:3], 0 offset:620
	buffer_load_dword v51, off, s[0:3], 0 offset:632
	;; [unrolled: 1-line block ×5, first 2 shown]
	s_waitcnt vmcnt(57) lgkmcnt(0)
	v_mul_f64 v[124:125], v[9:10], v[55:56]
	v_mul_f64 v[54:55], v[11:12], v[55:56]
	s_waitcnt vmcnt(56)
	v_fma_f64 v[39:40], v[1:2], v[41:42], -v[39:40]
	ds_read_b128 v[5:8], v72 offset:1312
	v_fma_f64 v[35:36], v[3:4], v[41:42], v[35:36]
	s_clause 0x2
	buffer_load_dword v52, off, s[0:3], 0 offset:636
	buffer_load_dword v42, off, s[0:3], 0 offset:612
	;; [unrolled: 1-line block ×3, first 2 shown]
	ds_read_b128 v[1:4], v72 offset:1328
	v_add_f64 v[21:22], v[21:22], v[47:48]
	v_add_f64 v[13:14], v[13:14], v[43:44]
	s_waitcnt vmcnt(58) lgkmcnt(1)
	v_mul_f64 v[47:48], v[7:8], v[59:60]
	s_waitcnt vmcnt(56)
	v_fma_f64 v[55:56], v[9:10], v[61:62], -v[54:55]
	v_mul_f64 v[43:44], v[5:6], v[59:60]
	v_add_f64 v[21:22], v[21:22], v[39:40]
	v_fma_f64 v[39:40], v[11:12], v[61:62], v[124:125]
	v_add_f64 v[13:14], v[13:14], v[35:36]
	s_clause 0x4
	buffer_load_dword v36, off, s[0:3], 0 offset:652
	buffer_load_dword v59, off, s[0:3], 0 offset:664
	;; [unrolled: 1-line block ×5, first 2 shown]
	s_waitcnt vmcnt(57) lgkmcnt(0)
	v_mul_f64 v[124:125], v[1:2], v[93:94]
	v_mul_f64 v[93:94], v[3:4], v[93:94]
	s_waitcnt vmcnt(56)
	v_fma_f64 v[47:48], v[5:6], v[49:50], -v[47:48]
	ds_read_b128 v[9:12], v72 offset:1344
	v_fma_f64 v[43:44], v[7:8], v[49:50], v[43:44]
	v_add_f64 v[21:22], v[21:22], v[55:56]
	v_add_f64 v[13:14], v[13:14], v[39:40]
	s_clause 0x2
	buffer_load_dword v60, off, s[0:3], 0 offset:668
	buffer_load_dword v40, off, s[0:3], 0 offset:644
	;; [unrolled: 1-line block ×3, first 2 shown]
	ds_read_b128 v[5:8], v72 offset:1360
	s_waitcnt vmcnt(58) lgkmcnt(1)
	v_mul_f64 v[55:56], v[11:12], v[95:96]
	s_waitcnt vmcnt(56)
	v_fma_f64 v[93:94], v[1:2], v[101:102], -v[93:94]
	v_mul_f64 v[49:50], v[9:10], v[95:96]
	v_add_f64 v[21:22], v[21:22], v[47:48]
	v_fma_f64 v[47:48], v[3:4], v[101:102], v[124:125]
	v_add_f64 v[13:14], v[13:14], v[43:44]
	s_clause 0x4
	buffer_load_dword v44, off, s[0:3], 0 offset:684
	buffer_load_dword v95, off, s[0:3], 0 offset:696
	buffer_load_dword v101, off, s[0:3], 0 offset:688
	buffer_load_dword v43, off, s[0:3], 0 offset:680
	buffer_load_dword v62, off, s[0:3], 0 offset:660
	s_waitcnt vmcnt(57) lgkmcnt(0)
	v_mul_f64 v[124:125], v[5:6], v[109:110]
	v_mul_f64 v[109:110], v[7:8], v[109:110]
	s_waitcnt vmcnt(56)
	v_fma_f64 v[55:56], v[9:10], v[57:58], -v[55:56]
	ds_read_b128 v[1:4], v72 offset:1376
	v_fma_f64 v[49:50], v[11:12], v[57:58], v[49:50]
	v_add_f64 v[21:22], v[21:22], v[93:94]
	v_add_f64 v[13:14], v[13:14], v[47:48]
	s_clause 0x2
	buffer_load_dword v96, off, s[0:3], 0 offset:700
	buffer_load_dword v48, off, s[0:3], 0 offset:676
	buffer_load_dword v47, off, s[0:3], 0 offset:672
	ds_read_b128 v[9:12], v72 offset:1392
	s_waitcnt vmcnt(58) lgkmcnt(1)
	v_mul_f64 v[93:94], v[3:4], v[111:112]
	v_mul_f64 v[57:58], v[1:2], v[111:112]
	s_waitcnt vmcnt(56)
	v_fma_f64 v[109:110], v[5:6], v[17:18], -v[109:110]
	v_fma_f64 v[17:18], v[7:8], v[17:18], v[124:125]
	v_add_f64 v[21:22], v[21:22], v[55:56]
	v_add_f64 v[13:14], v[13:14], v[49:50]
	s_clause 0x4
	buffer_load_dword v50, off, s[0:3], 0 offset:716
	buffer_load_dword v55, off, s[0:3], 0 offset:728
	buffer_load_dword v111, off, s[0:3], 0 offset:720
	buffer_load_dword v49, off, s[0:3], 0 offset:712
	buffer_load_dword v102, off, s[0:3], 0 offset:692
	ds_read_b128 v[5:8], v72 offset:1408
	s_waitcnt vmcnt(57) lgkmcnt(1)
	v_mul_f64 v[124:125], v[9:10], v[15:16]
	v_mul_f64 v[15:16], v[11:12], v[15:16]
	s_waitcnt vmcnt(56)
	v_fma_f64 v[93:94], v[1:2], v[113:114], -v[93:94]
	v_fma_f64 v[57:58], v[3:4], v[113:114], v[57:58]
	v_add_f64 v[21:22], v[21:22], v[109:110]
	v_add_f64 v[13:14], v[13:14], v[17:18]
	s_clause 0x2
	buffer_load_dword v56, off, s[0:3], 0 offset:732
	buffer_load_dword v18, off, s[0:3], 0 offset:708
	;; [unrolled: 1-line block ×3, first 2 shown]
	s_waitcnt vmcnt(58) lgkmcnt(0)
	v_mul_f64 v[113:114], v[7:8], v[115:116]
	ds_read_b128 v[1:4], v72 offset:1424
	v_mul_f64 v[109:110], v[5:6], v[115:116]
	s_waitcnt vmcnt(56)
	v_fma_f64 v[15:16], v[9:10], v[105:106], -v[15:16]
	v_add_f64 v[21:22], v[21:22], v[93:94]
	v_fma_f64 v[93:94], v[11:12], v[105:106], v[124:125]
	v_add_f64 v[13:14], v[13:14], v[57:58]
	s_clause 0x4
	buffer_load_dword v58, off, s[0:3], 0 offset:748
	buffer_load_dword v105, off, s[0:3], 0 offset:760
	;; [unrolled: 1-line block ×5, first 2 shown]
	ds_read_b128 v[9:12], v72 offset:1440
	s_waitcnt vmcnt(57) lgkmcnt(1)
	v_mul_f64 v[124:125], v[1:2], v[33:34]
	v_mul_f64 v[33:34], v[3:4], v[33:34]
	s_waitcnt vmcnt(56)
	v_fma_f64 v[113:114], v[5:6], v[120:121], -v[113:114]
	v_add_f64 v[15:16], v[21:22], v[15:16]
	v_fma_f64 v[21:22], v[7:8], v[120:121], v[109:110]
	v_add_f64 v[13:14], v[13:14], v[93:94]
	s_clause 0x2
	buffer_load_dword v106, off, s[0:3], 0 offset:764
	buffer_load_dword v94, off, s[0:3], 0 offset:740
	;; [unrolled: 1-line block ×3, first 2 shown]
	ds_read_b128 v[5:8], v72 offset:1456
	s_waitcnt vmcnt(58) lgkmcnt(1)
	v_mul_f64 v[109:110], v[9:10], v[107:108]
	v_mul_f64 v[107:108], v[11:12], v[107:108]
	s_waitcnt vmcnt(56)
	v_fma_f64 v[33:34], v[1:2], v[27:28], -v[33:34]
	v_fma_f64 v[27:28], v[3:4], v[27:28], v[124:125]
	v_add_f64 v[15:16], v[15:16], v[113:114]
	v_add_f64 v[13:14], v[13:14], v[21:22]
	s_clause 0x4
	buffer_load_dword v22, off, s[0:3], 0 offset:780
	buffer_load_dword v113, off, s[0:3], 0 offset:792
	;; [unrolled: 1-line block ×5, first 2 shown]
	ds_read_b128 v[1:4], v72 offset:1472
	s_waitcnt vmcnt(57) lgkmcnt(1)
	v_mul_f64 v[120:121], v[5:6], v[19:20]
	v_mul_f64 v[19:20], v[7:8], v[19:20]
	s_waitcnt vmcnt(56)
	v_fma_f64 v[107:108], v[9:10], v[122:123], -v[107:108]
	v_add_f64 v[15:16], v[15:16], v[33:34]
	v_fma_f64 v[33:34], v[11:12], v[122:123], v[109:110]
	v_add_f64 v[13:14], v[13:14], v[27:28]
	s_clause 0x2
	buffer_load_dword v114, off, s[0:3], 0 offset:796
	buffer_load_dword v28, off, s[0:3], 0 offset:772
	;; [unrolled: 1-line block ×3, first 2 shown]
	ds_read_b128 v[9:12], v72 offset:1488
	s_waitcnt vmcnt(58) lgkmcnt(1)
	v_mul_f64 v[109:110], v[1:2], v[37:38]
	v_mul_f64 v[37:38], v[3:4], v[37:38]
	s_waitcnt vmcnt(56)
	v_fma_f64 v[19:20], v[5:6], v[25:26], -v[19:20]
	v_fma_f64 v[25:26], v[7:8], v[25:26], v[120:121]
	v_add_f64 v[15:16], v[15:16], v[107:108]
	v_add_f64 v[13:14], v[13:14], v[33:34]
	s_clause 0x4
	buffer_load_dword v34, off, s[0:3], 0 offset:812
	buffer_load_dword v107, off, s[0:3], 0 offset:824
	;; [unrolled: 1-line block ×5, first 2 shown]
	ds_read_b128 v[5:8], v72 offset:1504
	s_waitcnt vmcnt(57) lgkmcnt(1)
	v_mul_f64 v[122:123], v[9:10], v[23:24]
	v_mul_f64 v[23:24], v[11:12], v[23:24]
	s_waitcnt vmcnt(56)
	v_fma_f64 v[37:38], v[1:2], v[117:118], -v[37:38]
	v_add_f64 v[15:16], v[15:16], v[19:20]
	v_fma_f64 v[19:20], v[3:4], v[117:118], v[109:110]
	v_add_f64 v[13:14], v[13:14], v[25:26]
	s_clause 0x2
	buffer_load_dword v108, off, s[0:3], 0 offset:828
	buffer_load_dword v26, off, s[0:3], 0 offset:804
	;; [unrolled: 1-line block ×3, first 2 shown]
	s_waitcnt vmcnt(58) lgkmcnt(0)
	v_mul_f64 v[109:110], v[5:6], v[45:46]
	v_mul_f64 v[45:46], v[7:8], v[45:46]
	ds_read_b128 v[1:4], v72 offset:1520
	s_waitcnt vmcnt(56)
	v_fma_f64 v[23:24], v[9:10], v[31:32], -v[23:24]
	v_fma_f64 v[31:32], v[11:12], v[31:32], v[122:123]
	v_add_f64 v[15:16], v[15:16], v[37:38]
	v_add_f64 v[13:14], v[13:14], v[19:20]
	s_clause 0x4
	buffer_load_dword v20, off, s[0:3], 0 offset:844
	buffer_load_dword v37, off, s[0:3], 0 offset:856
	;; [unrolled: 1-line block ×5, first 2 shown]
	ds_read_b128 v[9:12], v72 offset:1536
	s_waitcnt vmcnt(57) lgkmcnt(1)
	v_mul_f64 v[123:124], v[1:2], v[29:30]
	v_mul_f64 v[29:30], v[3:4], v[29:30]
	s_waitcnt vmcnt(56)
	v_fma_f64 v[45:46], v[5:6], v[103:104], -v[45:46]
	v_add_f64 v[15:16], v[15:16], v[23:24]
	v_fma_f64 v[23:24], v[7:8], v[103:104], v[109:110]
	v_add_f64 v[13:14], v[13:14], v[31:32]
	s_clause 0x2
	buffer_load_dword v38, off, s[0:3], 0 offset:860
	buffer_load_dword v32, off, s[0:3], 0 offset:836
	;; [unrolled: 1-line block ×3, first 2 shown]
	s_waitcnt vmcnt(58) lgkmcnt(0)
	v_mul_f64 v[103:104], v[9:10], v[51:52]
	v_mul_f64 v[51:52], v[11:12], v[51:52]
	ds_read_b128 v[5:8], v72 offset:1552
	s_waitcnt vmcnt(56)
	v_fma_f64 v[29:30], v[1:2], v[41:42], -v[29:30]
	v_fma_f64 v[41:42], v[3:4], v[41:42], v[123:124]
	v_add_f64 v[15:16], v[15:16], v[45:46]
	v_add_f64 v[13:14], v[13:14], v[23:24]
	s_clause 0x4
	buffer_load_dword v24, off, s[0:3], 0 offset:876
	buffer_load_dword v45, off, s[0:3], 0 offset:888
	;; [unrolled: 1-line block ×5, first 2 shown]
	ds_read_b128 v[1:4], v72 offset:1568
	s_waitcnt vmcnt(57) lgkmcnt(1)
	v_mul_f64 v[123:124], v[5:6], v[35:36]
	v_mul_f64 v[35:36], v[7:8], v[35:36]
	s_waitcnt vmcnt(56)
	v_fma_f64 v[51:52], v[9:10], v[53:54], -v[51:52]
	v_add_f64 v[15:16], v[15:16], v[29:30]
	v_fma_f64 v[29:30], v[11:12], v[53:54], v[103:104]
	v_add_f64 v[13:14], v[13:14], v[41:42]
	s_clause 0x2
	buffer_load_dword v46, off, s[0:3], 0 offset:892
	buffer_load_dword v42, off, s[0:3], 0 offset:868
	;; [unrolled: 1-line block ×3, first 2 shown]
	ds_read_b128 v[9:12], v72 offset:1584
	s_waitcnt vmcnt(58) lgkmcnt(1)
	v_mul_f64 v[53:54], v[1:2], v[59:60]
	v_mul_f64 v[59:60], v[3:4], v[59:60]
	s_waitcnt vmcnt(56)
	v_fma_f64 v[35:36], v[5:6], v[39:40], -v[35:36]
	v_fma_f64 v[39:40], v[7:8], v[39:40], v[123:124]
	v_add_f64 v[15:16], v[15:16], v[51:52]
	v_add_f64 v[13:14], v[13:14], v[29:30]
	s_clause 0x4
	buffer_load_dword v30, off, s[0:3], 0 offset:908
	buffer_load_dword v51, off, s[0:3], 0 offset:920
	;; [unrolled: 1-line block ×5, first 2 shown]
	ds_read_b128 v[5:8], v72 offset:1600
	s_waitcnt vmcnt(57) lgkmcnt(1)
	v_mul_f64 v[123:124], v[9:10], v[43:44]
	v_mul_f64 v[43:44], v[11:12], v[43:44]
	s_waitcnt vmcnt(56)
	v_fma_f64 v[59:60], v[1:2], v[61:62], -v[59:60]
	v_add_f64 v[15:16], v[15:16], v[35:36]
	v_fma_f64 v[35:36], v[3:4], v[61:62], v[53:54]
	v_add_f64 v[13:14], v[13:14], v[39:40]
	s_clause 0x2
	buffer_load_dword v52, off, s[0:3], 0 offset:924
	buffer_load_dword v40, off, s[0:3], 0 offset:900
	;; [unrolled: 1-line block ×3, first 2 shown]
	ds_read_b128 v[1:4], v72 offset:1616
	s_waitcnt vmcnt(58) lgkmcnt(1)
	v_mul_f64 v[61:62], v[7:8], v[95:96]
	v_mul_f64 v[53:54], v[5:6], v[95:96]
	s_waitcnt vmcnt(56)
	v_fma_f64 v[43:44], v[9:10], v[47:48], -v[43:44]
	v_fma_f64 v[47:48], v[11:12], v[47:48], v[123:124]
	v_add_f64 v[15:16], v[15:16], v[59:60]
	v_add_f64 v[13:14], v[13:14], v[35:36]
	s_clause 0x2
	buffer_load_dword v36, off, s[0:3], 0 offset:940
	buffer_load_dword v35, off, s[0:3], 0 offset:936
	;; [unrolled: 1-line block ×3, first 2 shown]
	ds_read_b128 v[9:12], v72 offset:1632
	s_waitcnt vmcnt(55) lgkmcnt(1)
	v_mul_f64 v[59:60], v[1:2], v[49:50]
	v_mul_f64 v[49:50], v[3:4], v[49:50]
	s_waitcnt vmcnt(54)
	v_fma_f64 v[61:62], v[5:6], v[101:102], -v[61:62]
	v_add_f64 v[15:16], v[15:16], v[43:44]
	v_fma_f64 v[43:44], v[7:8], v[101:102], v[53:54]
	v_add_f64 v[13:14], v[13:14], v[47:48]
	s_clause 0x1
	buffer_load_dword v48, off, s[0:3], 0 offset:932
	buffer_load_dword v47, off, s[0:3], 0 offset:928
	ds_read_b128 v[5:8], v72 offset:1648
	s_waitcnt vmcnt(55) lgkmcnt(1)
	v_mul_f64 v[53:54], v[9:10], v[55:56]
	v_mul_f64 v[55:56], v[11:12], v[55:56]
	s_waitcnt vmcnt(53)
	v_fma_f64 v[49:50], v[1:2], v[17:18], -v[49:50]
	v_fma_f64 v[17:18], v[3:4], v[17:18], v[59:60]
	ds_read_b128 v[1:4], v72 offset:1664
	v_add_f64 v[15:16], v[15:16], v[61:62]
	v_add_f64 v[13:14], v[13:14], v[43:44]
	s_waitcnt vmcnt(49) lgkmcnt(1)
	v_mul_f64 v[43:44], v[5:6], v[57:58]
	v_mul_f64 v[57:58], v[7:8], v[57:58]
	s_waitcnt vmcnt(48)
	v_fma_f64 v[55:56], v[9:10], v[111:112], -v[55:56]
	v_add_f64 v[15:16], v[15:16], v[49:50]
	v_fma_f64 v[49:50], v[11:12], v[111:112], v[53:54]
	v_add_f64 v[13:14], v[13:14], v[17:18]
	s_clause 0x3
	buffer_load_dword v17, off, s[0:3], 0 offset:192
	buffer_load_dword v18, off, s[0:3], 0 offset:196
	;; [unrolled: 1-line block ×4, first 2 shown]
	ds_read_b128 v[9:12], v72 offset:1680
	s_waitcnt vmcnt(51) lgkmcnt(1)
	v_mul_f64 v[61:62], v[3:4], v[105:106]
	v_mul_f64 v[59:60], v[1:2], v[105:106]
	s_waitcnt vmcnt(49)
	v_fma_f64 v[57:58], v[5:6], v[93:94], -v[57:58]
	v_fma_f64 v[43:44], v[7:8], v[93:94], v[43:44]
	ds_read_b128 v[5:8], v72 offset:1696
	v_add_f64 v[15:16], v[15:16], v[55:56]
	v_add_f64 v[13:14], v[13:14], v[49:50]
	s_waitcnt vmcnt(45) lgkmcnt(1)
	v_mul_f64 v[49:50], v[9:10], v[21:22]
	v_mul_f64 v[21:22], v[11:12], v[21:22]
	s_waitcnt vmcnt(44)
	v_fma_f64 v[55:56], v[1:2], v[115:116], -v[61:62]
	v_add_f64 v[15:16], v[15:16], v[57:58]
	v_fma_f64 v[57:58], v[3:4], v[115:116], v[59:60]
	v_add_f64 v[13:14], v[13:14], v[43:44]
	ds_read_b128 v[1:4], v72 offset:1712
	s_waitcnt vmcnt(43) lgkmcnt(1)
	v_mul_f64 v[59:60], v[7:8], v[113:114]
	v_mul_f64 v[43:44], v[5:6], v[113:114]
	s_waitcnt vmcnt(41)
	v_fma_f64 v[21:22], v[9:10], v[27:28], -v[21:22]
	v_fma_f64 v[27:28], v[11:12], v[27:28], v[49:50]
	ds_read_b128 v[9:12], v72 offset:1728
	v_add_f64 v[15:16], v[15:16], v[55:56]
	v_add_f64 v[13:14], v[13:14], v[57:58]
	s_waitcnt vmcnt(37) lgkmcnt(1)
	v_mul_f64 v[49:50], v[1:2], v[33:34]
	v_mul_f64 v[33:34], v[3:4], v[33:34]
	s_waitcnt vmcnt(36)
	v_fma_f64 v[55:56], v[5:6], v[119:120], -v[59:60]
	v_add_f64 v[15:16], v[15:16], v[21:22]
	v_fma_f64 v[21:22], v[7:8], v[119:120], v[43:44]
	v_add_f64 v[13:14], v[13:14], v[27:28]
	ds_read_b128 v[5:8], v72 offset:1744
	s_waitcnt vmcnt(35) lgkmcnt(1)
	v_mul_f64 v[43:44], v[11:12], v[107:108]
	v_mul_f64 v[27:28], v[9:10], v[107:108]
	s_waitcnt vmcnt(33)
	v_fma_f64 v[33:34], v[1:2], v[25:26], -v[33:34]
	v_fma_f64 v[25:26], v[3:4], v[25:26], v[49:50]
	ds_read_b128 v[1:4], v72 offset:1760
	v_add_f64 v[15:16], v[15:16], v[55:56]
	v_add_f64 v[13:14], v[13:14], v[21:22]
	s_waitcnt vmcnt(29) lgkmcnt(1)
	v_mul_f64 v[21:22], v[5:6], v[19:20]
	v_mul_f64 v[19:20], v[7:8], v[19:20]
	s_waitcnt vmcnt(28)
	v_fma_f64 v[43:44], v[9:10], v[121:122], -v[43:44]
	v_fma_f64 v[27:28], v[11:12], v[121:122], v[27:28]
	ds_read_b128 v[9:12], v72 offset:1776
	v_add_f64 v[15:16], v[15:16], v[33:34]
	v_add_f64 v[13:14], v[13:14], v[25:26]
	;; [unrolled: 9-line block ×3, first 2 shown]
	s_waitcnt vmcnt(21) lgkmcnt(1)
	v_mul_f64 v[27:28], v[9:10], v[23:24]
	v_mul_f64 v[23:24], v[11:12], v[23:24]
	s_waitcnt vmcnt(20)
	v_fma_f64 v[31:32], v[1:2], v[117:118], -v[33:34]
	v_add_f64 v[15:16], v[15:16], v[19:20]
	v_fma_f64 v[19:20], v[3:4], v[117:118], v[25:26]
	v_add_f64 v[13:14], v[13:14], v[21:22]
	ds_read_b128 v[1:4], v72 offset:1808
	s_waitcnt vmcnt(19) lgkmcnt(1)
	v_mul_f64 v[25:26], v[7:8], v[45:46]
	v_mul_f64 v[21:22], v[5:6], v[45:46]
	s_waitcnt vmcnt(17)
	v_fma_f64 v[23:24], v[9:10], v[41:42], -v[23:24]
	v_fma_f64 v[27:28], v[11:12], v[41:42], v[27:28]
	ds_read_b128 v[9:12], v72 offset:1824
	v_add_f64 v[15:16], v[15:16], v[31:32]
	v_add_f64 v[13:14], v[13:14], v[19:20]
	s_waitcnt vmcnt(13) lgkmcnt(1)
	v_mul_f64 v[19:20], v[1:2], v[29:30]
	v_mul_f64 v[29:30], v[3:4], v[29:30]
	s_waitcnt vmcnt(12)
	v_fma_f64 v[25:26], v[5:6], v[109:110], -v[25:26]
	v_fma_f64 v[21:22], v[7:8], v[109:110], v[21:22]
	ds_read_b128 v[5:8], v72 offset:1840
	v_add_f64 v[15:16], v[15:16], v[23:24]
	v_add_f64 v[13:14], v[13:14], v[27:28]
	s_waitcnt vmcnt(11) lgkmcnt(1)
	v_mul_f64 v[27:28], v[11:12], v[51:52]
	v_mul_f64 v[23:24], v[9:10], v[51:52]
	s_waitcnt vmcnt(9)
	v_fma_f64 v[1:2], v[1:2], v[39:40], -v[29:30]
	v_fma_f64 v[3:4], v[3:4], v[39:40], v[19:20]
	v_add_f64 v[15:16], v[15:16], v[25:26]
	v_add_f64 v[13:14], v[13:14], v[21:22]
	s_waitcnt vmcnt(7) lgkmcnt(0)
	v_mul_f64 v[21:22], v[7:8], v[35:36]
	s_waitcnt vmcnt(6)
	v_fma_f64 v[9:10], v[9:10], v[103:104], -v[27:28]
	v_mul_f64 v[19:20], v[5:6], v[35:36]
	v_fma_f64 v[11:12], v[11:12], v[103:104], v[23:24]
	v_add_f64 v[1:2], v[15:16], v[1:2]
	v_add_f64 v[3:4], v[13:14], v[3:4]
	s_waitcnt vmcnt(4)
	v_fma_f64 v[5:6], v[5:6], v[47:48], -v[21:22]
	v_fma_f64 v[7:8], v[7:8], v[47:48], v[19:20]
	v_add_f64 v[1:2], v[1:2], v[9:10]
	v_add_f64 v[3:4], v[3:4], v[11:12]
	;; [unrolled: 1-line block ×4, first 2 shown]
	s_waitcnt vmcnt(2)
	v_add_f64 v[1:2], v[17:18], -v[1:2]
	s_waitcnt vmcnt(0)
	v_add_f64 v[3:4], v[53:54], -v[3:4]
	buffer_store_dword v2, off, s[0:3], 0 offset:196
	buffer_store_dword v1, off, s[0:3], 0 offset:192
	;; [unrolled: 1-line block ×4, first 2 shown]
	v_cmpx_lt_u32_e32 10, v0
	s_cbranch_execz .LBB57_341
; %bb.340:
	v_mov_b32_e32 v4, s60
	v_mov_b32_e32 v5, 0
	s_clause 0x3
	buffer_load_dword v1, v4, s[0:3], 0 offen
	buffer_load_dword v2, v4, s[0:3], 0 offen offset:4
	buffer_load_dword v3, v4, s[0:3], 0 offen offset:8
	;; [unrolled: 1-line block ×3, first 2 shown]
	buffer_store_dword v5, off, s[0:3], 0 offset:176
	buffer_store_dword v5, off, s[0:3], 0 offset:180
	;; [unrolled: 1-line block ×4, first 2 shown]
	s_waitcnt vmcnt(0)
	ds_write_b128 v63, v[1:4]
.LBB57_341:
	s_or_b32 exec_lo, exec_lo, s4
	s_waitcnt lgkmcnt(0)
	s_waitcnt_vscnt null, 0x0
	s_barrier
	buffer_gl0_inv
	s_clause 0x37
	buffer_load_dword v17, off, s[0:3], 0 offset:200
	buffer_load_dword v18, off, s[0:3], 0 offset:204
	;; [unrolled: 1-line block ×56, first 2 shown]
	v_mov_b32_e32 v72, 0
	s_mov_b32 s4, exec_lo
	ds_read_b128 v[5:8], v72 offset:1104
	s_clause 0x2
	buffer_load_dword v96, off, s[0:3], 0 offset:428
	buffer_load_dword v102, off, s[0:3], 0 offset:404
	;; [unrolled: 1-line block ×3, first 2 shown]
	ds_read_b128 v[1:4], v72 offset:1120
	s_clause 0x4
	buffer_load_dword v110, off, s[0:3], 0 offset:444
	buffer_load_dword v111, off, s[0:3], 0 offset:456
	;; [unrolled: 1-line block ×5, first 2 shown]
	ds_read_b128 v[103:106], v72 offset:1136
	s_waitcnt vmcnt(62) lgkmcnt(2)
	v_mul_f64 v[107:108], v[7:8], v[17:18]
	v_mul_f64 v[17:18], v[5:6], v[17:18]
	s_waitcnt vmcnt(60) lgkmcnt(1)
	v_mul_f64 v[114:115], v[3:4], v[13:14]
	v_mul_f64 v[13:14], v[1:2], v[13:14]
	;; [unrolled: 3-line block ×3, first 2 shown]
	v_fma_f64 v[107:108], v[5:6], v[15:16], -v[107:108]
	v_fma_f64 v[15:16], v[7:8], v[15:16], v[17:18]
	s_clause 0x2
	buffer_load_dword v112, off, s[0:3], 0 offset:460
	buffer_load_dword v18, off, s[0:3], 0 offset:436
	;; [unrolled: 1-line block ×3, first 2 shown]
	s_waitcnt vmcnt(57)
	v_fma_f64 v[118:119], v[1:2], v[9:10], -v[114:115]
	ds_read_b128 v[5:8], v72 offset:1152
	v_fma_f64 v[9:10], v[3:4], v[9:10], v[13:14]
	s_waitcnt vmcnt(51)
	v_fma_f64 v[103:104], v[103:104], v[33:34], -v[11:12]
	v_fma_f64 v[33:34], v[105:106], v[33:34], v[116:117]
	v_add_f64 v[107:108], v[107:108], 0
	v_add_f64 v[13:14], v[15:16], 0
	s_clause 0x4
	buffer_load_dword v16, off, s[0:3], 0 offset:476
	buffer_load_dword v115, off, s[0:3], 0 offset:488
	;; [unrolled: 1-line block ×5, first 2 shown]
	s_waitcnt lgkmcnt(0)
	v_mul_f64 v[121:122], v[5:6], v[21:22]
	v_mul_f64 v[21:22], v[7:8], v[21:22]
	ds_read_b128 v[1:4], v72 offset:1168
	s_clause 0x2
	buffer_load_dword v116, off, s[0:3], 0 offset:492
	buffer_load_dword v106, off, s[0:3], 0 offset:468
	buffer_load_dword v105, off, s[0:3], 0 offset:464
	v_add_f64 v[107:108], v[107:108], v[118:119]
	v_add_f64 v[13:14], v[13:14], v[9:10]
	ds_read_b128 v[9:12], v72 offset:1184
	s_waitcnt vmcnt(58) lgkmcnt(1)
	v_mul_f64 v[117:118], v[1:2], v[25:26]
	v_mul_f64 v[25:26], v[3:4], v[25:26]
	s_waitcnt vmcnt(56)
	v_fma_f64 v[21:22], v[5:6], v[27:28], -v[21:22]
	v_fma_f64 v[27:28], v[7:8], v[27:28], v[121:122]
	s_waitcnt vmcnt(52) lgkmcnt(0)
	v_mul_f64 v[123:124], v[9:10], v[29:30]
	v_add_f64 v[103:104], v[107:108], v[103:104]
	v_add_f64 v[13:14], v[13:14], v[33:34]
	s_clause 0x4
	buffer_load_dword v34, off, s[0:3], 0 offset:508
	buffer_load_dword v107, off, s[0:3], 0 offset:520
	;; [unrolled: 1-line block ×5, first 2 shown]
	v_mul_f64 v[29:30], v[11:12], v[29:30]
	s_waitcnt vmcnt(56)
	v_fma_f64 v[25:26], v[1:2], v[19:20], -v[25:26]
	ds_read_b128 v[5:8], v72 offset:1200
	v_fma_f64 v[19:20], v[3:4], v[19:20], v[117:118]
	v_add_f64 v[21:22], v[103:104], v[21:22]
	v_add_f64 v[13:14], v[13:14], v[27:28]
	s_clause 0x2
	buffer_load_dword v108, off, s[0:3], 0 offset:524
	buffer_load_dword v28, off, s[0:3], 0 offset:500
	;; [unrolled: 1-line block ×3, first 2 shown]
	s_waitcnt vmcnt(58) lgkmcnt(0)
	v_mul_f64 v[103:104], v[5:6], v[35:36]
	v_mul_f64 v[35:36], v[7:8], v[35:36]
	s_waitcnt vmcnt(56)
	v_fma_f64 v[29:30], v[9:10], v[37:38], -v[29:30]
	ds_read_b128 v[1:4], v72 offset:1216
	v_add_f64 v[21:22], v[21:22], v[25:26]
	v_fma_f64 v[25:26], v[11:12], v[37:38], v[123:124]
	v_add_f64 v[13:14], v[13:14], v[19:20]
	s_clause 0x4
	buffer_load_dword v20, off, s[0:3], 0 offset:540
	buffer_load_dword v37, off, s[0:3], 0 offset:552
	;; [unrolled: 1-line block ×5, first 2 shown]
	s_waitcnt vmcnt(57) lgkmcnt(0)
	v_mul_f64 v[118:119], v[1:2], v[39:40]
	v_mul_f64 v[39:40], v[3:4], v[39:40]
	s_waitcnt vmcnt(56)
	v_fma_f64 v[35:36], v[5:6], v[23:24], -v[35:36]
	ds_read_b128 v[9:12], v72 offset:1232
	v_fma_f64 v[23:24], v[7:8], v[23:24], v[103:104]
	v_add_f64 v[21:22], v[21:22], v[29:30]
	v_add_f64 v[13:14], v[13:14], v[25:26]
	s_clause 0x2
	buffer_load_dword v38, off, s[0:3], 0 offset:556
	buffer_load_dword v26, off, s[0:3], 0 offset:532
	buffer_load_dword v25, off, s[0:3], 0 offset:528
	ds_read_b128 v[5:8], v72 offset:1248
	s_waitcnt vmcnt(58) lgkmcnt(1)
	v_mul_f64 v[29:30], v[9:10], v[43:44]
	v_mul_f64 v[43:44], v[11:12], v[43:44]
	s_waitcnt vmcnt(56)
	v_fma_f64 v[39:40], v[1:2], v[45:46], -v[39:40]
	v_add_f64 v[21:22], v[21:22], v[35:36]
	v_fma_f64 v[35:36], v[3:4], v[45:46], v[118:119]
	v_add_f64 v[13:14], v[13:14], v[23:24]
	s_clause 0x4
	buffer_load_dword v24, off, s[0:3], 0 offset:572
	buffer_load_dword v45, off, s[0:3], 0 offset:584
	;; [unrolled: 1-line block ×5, first 2 shown]
	s_waitcnt vmcnt(57) lgkmcnt(0)
	v_mul_f64 v[124:125], v[5:6], v[47:48]
	v_mul_f64 v[47:48], v[7:8], v[47:48]
	s_waitcnt vmcnt(56)
	v_fma_f64 v[43:44], v[9:10], v[31:32], -v[43:44]
	ds_read_b128 v[1:4], v72 offset:1264
	v_fma_f64 v[29:30], v[11:12], v[31:32], v[29:30]
	s_clause 0x2
	buffer_load_dword v46, off, s[0:3], 0 offset:588
	buffer_load_dword v32, off, s[0:3], 0 offset:564
	;; [unrolled: 1-line block ×3, first 2 shown]
	ds_read_b128 v[9:12], v72 offset:1280
	v_add_f64 v[21:22], v[21:22], v[39:40]
	v_add_f64 v[13:14], v[13:14], v[35:36]
	s_waitcnt vmcnt(58) lgkmcnt(1)
	v_mul_f64 v[39:40], v[3:4], v[51:52]
	s_waitcnt vmcnt(56)
	v_fma_f64 v[47:48], v[5:6], v[53:54], -v[47:48]
	v_mul_f64 v[35:36], v[1:2], v[51:52]
	v_add_f64 v[21:22], v[21:22], v[43:44]
	v_fma_f64 v[43:44], v[7:8], v[53:54], v[124:125]
	v_add_f64 v[13:14], v[13:14], v[29:30]
	s_clause 0x4
	buffer_load_dword v30, off, s[0:3], 0 offset:604
	buffer_load_dword v51, off, s[0:3], 0 offset:616
	;; [unrolled: 1-line block ×5, first 2 shown]
	s_waitcnt vmcnt(57) lgkmcnt(0)
	v_mul_f64 v[124:125], v[9:10], v[55:56]
	v_mul_f64 v[54:55], v[11:12], v[55:56]
	s_waitcnt vmcnt(56)
	v_fma_f64 v[39:40], v[1:2], v[41:42], -v[39:40]
	ds_read_b128 v[5:8], v72 offset:1296
	v_fma_f64 v[35:36], v[3:4], v[41:42], v[35:36]
	s_clause 0x2
	buffer_load_dword v52, off, s[0:3], 0 offset:620
	buffer_load_dword v42, off, s[0:3], 0 offset:596
	;; [unrolled: 1-line block ×3, first 2 shown]
	ds_read_b128 v[1:4], v72 offset:1312
	v_add_f64 v[21:22], v[21:22], v[47:48]
	v_add_f64 v[13:14], v[13:14], v[43:44]
	s_waitcnt vmcnt(58) lgkmcnt(1)
	v_mul_f64 v[47:48], v[7:8], v[59:60]
	s_waitcnt vmcnt(56)
	v_fma_f64 v[55:56], v[9:10], v[61:62], -v[54:55]
	v_mul_f64 v[43:44], v[5:6], v[59:60]
	v_add_f64 v[21:22], v[21:22], v[39:40]
	v_fma_f64 v[39:40], v[11:12], v[61:62], v[124:125]
	v_add_f64 v[13:14], v[13:14], v[35:36]
	s_clause 0x4
	buffer_load_dword v36, off, s[0:3], 0 offset:636
	buffer_load_dword v59, off, s[0:3], 0 offset:648
	;; [unrolled: 1-line block ×5, first 2 shown]
	s_waitcnt vmcnt(57) lgkmcnt(0)
	v_mul_f64 v[124:125], v[1:2], v[93:94]
	v_mul_f64 v[93:94], v[3:4], v[93:94]
	s_waitcnt vmcnt(56)
	v_fma_f64 v[47:48], v[5:6], v[49:50], -v[47:48]
	ds_read_b128 v[9:12], v72 offset:1328
	v_fma_f64 v[43:44], v[7:8], v[49:50], v[43:44]
	v_add_f64 v[21:22], v[21:22], v[55:56]
	v_add_f64 v[13:14], v[13:14], v[39:40]
	s_clause 0x2
	buffer_load_dword v60, off, s[0:3], 0 offset:652
	buffer_load_dword v40, off, s[0:3], 0 offset:628
	;; [unrolled: 1-line block ×3, first 2 shown]
	ds_read_b128 v[5:8], v72 offset:1344
	s_waitcnt vmcnt(58) lgkmcnt(1)
	v_mul_f64 v[55:56], v[11:12], v[95:96]
	s_waitcnt vmcnt(56)
	v_fma_f64 v[93:94], v[1:2], v[101:102], -v[93:94]
	v_mul_f64 v[49:50], v[9:10], v[95:96]
	v_add_f64 v[21:22], v[21:22], v[47:48]
	v_fma_f64 v[47:48], v[3:4], v[101:102], v[124:125]
	v_add_f64 v[13:14], v[13:14], v[43:44]
	s_clause 0x4
	buffer_load_dword v44, off, s[0:3], 0 offset:668
	buffer_load_dword v95, off, s[0:3], 0 offset:680
	;; [unrolled: 1-line block ×5, first 2 shown]
	s_waitcnt vmcnt(57) lgkmcnt(0)
	v_mul_f64 v[124:125], v[5:6], v[109:110]
	v_mul_f64 v[109:110], v[7:8], v[109:110]
	s_waitcnt vmcnt(56)
	v_fma_f64 v[55:56], v[9:10], v[57:58], -v[55:56]
	ds_read_b128 v[1:4], v72 offset:1360
	v_fma_f64 v[49:50], v[11:12], v[57:58], v[49:50]
	v_add_f64 v[21:22], v[21:22], v[93:94]
	v_add_f64 v[13:14], v[13:14], v[47:48]
	s_clause 0x2
	buffer_load_dword v96, off, s[0:3], 0 offset:684
	buffer_load_dword v48, off, s[0:3], 0 offset:660
	;; [unrolled: 1-line block ×3, first 2 shown]
	ds_read_b128 v[9:12], v72 offset:1376
	s_waitcnt vmcnt(58) lgkmcnt(1)
	v_mul_f64 v[93:94], v[3:4], v[111:112]
	v_mul_f64 v[57:58], v[1:2], v[111:112]
	s_waitcnt vmcnt(56)
	v_fma_f64 v[109:110], v[5:6], v[17:18], -v[109:110]
	v_fma_f64 v[17:18], v[7:8], v[17:18], v[124:125]
	v_add_f64 v[21:22], v[21:22], v[55:56]
	v_add_f64 v[13:14], v[13:14], v[49:50]
	s_clause 0x4
	buffer_load_dword v50, off, s[0:3], 0 offset:700
	buffer_load_dword v55, off, s[0:3], 0 offset:712
	;; [unrolled: 1-line block ×5, first 2 shown]
	ds_read_b128 v[5:8], v72 offset:1392
	s_waitcnt vmcnt(57) lgkmcnt(1)
	v_mul_f64 v[124:125], v[9:10], v[15:16]
	v_mul_f64 v[15:16], v[11:12], v[15:16]
	s_waitcnt vmcnt(56)
	v_fma_f64 v[93:94], v[1:2], v[113:114], -v[93:94]
	v_fma_f64 v[57:58], v[3:4], v[113:114], v[57:58]
	v_add_f64 v[21:22], v[21:22], v[109:110]
	v_add_f64 v[13:14], v[13:14], v[17:18]
	s_clause 0x2
	buffer_load_dword v56, off, s[0:3], 0 offset:716
	buffer_load_dword v18, off, s[0:3], 0 offset:692
	;; [unrolled: 1-line block ×3, first 2 shown]
	s_waitcnt vmcnt(58) lgkmcnt(0)
	v_mul_f64 v[113:114], v[7:8], v[115:116]
	ds_read_b128 v[1:4], v72 offset:1408
	v_mul_f64 v[109:110], v[5:6], v[115:116]
	s_waitcnt vmcnt(56)
	v_fma_f64 v[15:16], v[9:10], v[105:106], -v[15:16]
	v_add_f64 v[21:22], v[21:22], v[93:94]
	v_fma_f64 v[93:94], v[11:12], v[105:106], v[124:125]
	v_add_f64 v[13:14], v[13:14], v[57:58]
	s_clause 0x4
	buffer_load_dword v58, off, s[0:3], 0 offset:732
	buffer_load_dword v105, off, s[0:3], 0 offset:744
	;; [unrolled: 1-line block ×5, first 2 shown]
	ds_read_b128 v[9:12], v72 offset:1424
	s_waitcnt vmcnt(57) lgkmcnt(1)
	v_mul_f64 v[124:125], v[1:2], v[33:34]
	v_mul_f64 v[33:34], v[3:4], v[33:34]
	s_waitcnt vmcnt(56)
	v_fma_f64 v[113:114], v[5:6], v[120:121], -v[113:114]
	v_add_f64 v[15:16], v[21:22], v[15:16]
	v_fma_f64 v[21:22], v[7:8], v[120:121], v[109:110]
	v_add_f64 v[13:14], v[13:14], v[93:94]
	s_clause 0x2
	buffer_load_dword v106, off, s[0:3], 0 offset:748
	buffer_load_dword v94, off, s[0:3], 0 offset:724
	buffer_load_dword v93, off, s[0:3], 0 offset:720
	ds_read_b128 v[5:8], v72 offset:1440
	s_waitcnt vmcnt(58) lgkmcnt(1)
	v_mul_f64 v[109:110], v[9:10], v[107:108]
	v_mul_f64 v[107:108], v[11:12], v[107:108]
	s_waitcnt vmcnt(56)
	v_fma_f64 v[33:34], v[1:2], v[27:28], -v[33:34]
	v_fma_f64 v[27:28], v[3:4], v[27:28], v[124:125]
	v_add_f64 v[15:16], v[15:16], v[113:114]
	v_add_f64 v[13:14], v[13:14], v[21:22]
	s_clause 0x4
	buffer_load_dword v22, off, s[0:3], 0 offset:764
	buffer_load_dword v113, off, s[0:3], 0 offset:776
	;; [unrolled: 1-line block ×5, first 2 shown]
	ds_read_b128 v[1:4], v72 offset:1456
	s_waitcnt vmcnt(57) lgkmcnt(1)
	v_mul_f64 v[120:121], v[5:6], v[19:20]
	v_mul_f64 v[19:20], v[7:8], v[19:20]
	s_waitcnt vmcnt(56)
	v_fma_f64 v[107:108], v[9:10], v[122:123], -v[107:108]
	v_add_f64 v[15:16], v[15:16], v[33:34]
	v_fma_f64 v[33:34], v[11:12], v[122:123], v[109:110]
	v_add_f64 v[13:14], v[13:14], v[27:28]
	s_clause 0x2
	buffer_load_dword v114, off, s[0:3], 0 offset:780
	buffer_load_dword v28, off, s[0:3], 0 offset:756
	;; [unrolled: 1-line block ×3, first 2 shown]
	ds_read_b128 v[9:12], v72 offset:1472
	s_waitcnt vmcnt(58) lgkmcnt(1)
	v_mul_f64 v[109:110], v[1:2], v[37:38]
	v_mul_f64 v[37:38], v[3:4], v[37:38]
	s_waitcnt vmcnt(56)
	v_fma_f64 v[19:20], v[5:6], v[25:26], -v[19:20]
	v_fma_f64 v[25:26], v[7:8], v[25:26], v[120:121]
	v_add_f64 v[15:16], v[15:16], v[107:108]
	v_add_f64 v[13:14], v[13:14], v[33:34]
	s_clause 0x4
	buffer_load_dword v34, off, s[0:3], 0 offset:796
	buffer_load_dword v107, off, s[0:3], 0 offset:808
	;; [unrolled: 1-line block ×5, first 2 shown]
	ds_read_b128 v[5:8], v72 offset:1488
	s_waitcnt vmcnt(57) lgkmcnt(1)
	v_mul_f64 v[122:123], v[9:10], v[23:24]
	v_mul_f64 v[23:24], v[11:12], v[23:24]
	s_waitcnt vmcnt(56)
	v_fma_f64 v[37:38], v[1:2], v[117:118], -v[37:38]
	v_add_f64 v[15:16], v[15:16], v[19:20]
	v_fma_f64 v[19:20], v[3:4], v[117:118], v[109:110]
	v_add_f64 v[13:14], v[13:14], v[25:26]
	s_clause 0x2
	buffer_load_dword v108, off, s[0:3], 0 offset:812
	buffer_load_dword v26, off, s[0:3], 0 offset:788
	;; [unrolled: 1-line block ×3, first 2 shown]
	s_waitcnt vmcnt(58) lgkmcnt(0)
	v_mul_f64 v[109:110], v[5:6], v[45:46]
	v_mul_f64 v[45:46], v[7:8], v[45:46]
	ds_read_b128 v[1:4], v72 offset:1504
	s_waitcnt vmcnt(56)
	v_fma_f64 v[23:24], v[9:10], v[31:32], -v[23:24]
	v_fma_f64 v[31:32], v[11:12], v[31:32], v[122:123]
	v_add_f64 v[15:16], v[15:16], v[37:38]
	v_add_f64 v[13:14], v[13:14], v[19:20]
	s_clause 0x4
	buffer_load_dword v20, off, s[0:3], 0 offset:828
	buffer_load_dword v37, off, s[0:3], 0 offset:840
	;; [unrolled: 1-line block ×5, first 2 shown]
	ds_read_b128 v[9:12], v72 offset:1520
	s_waitcnt vmcnt(57) lgkmcnt(1)
	v_mul_f64 v[123:124], v[1:2], v[29:30]
	v_mul_f64 v[29:30], v[3:4], v[29:30]
	s_waitcnt vmcnt(56)
	v_fma_f64 v[45:46], v[5:6], v[103:104], -v[45:46]
	v_add_f64 v[15:16], v[15:16], v[23:24]
	v_fma_f64 v[23:24], v[7:8], v[103:104], v[109:110]
	v_add_f64 v[13:14], v[13:14], v[31:32]
	s_clause 0x2
	buffer_load_dword v38, off, s[0:3], 0 offset:844
	buffer_load_dword v32, off, s[0:3], 0 offset:820
	;; [unrolled: 1-line block ×3, first 2 shown]
	s_waitcnt vmcnt(58) lgkmcnt(0)
	v_mul_f64 v[103:104], v[9:10], v[51:52]
	v_mul_f64 v[51:52], v[11:12], v[51:52]
	ds_read_b128 v[5:8], v72 offset:1536
	s_waitcnt vmcnt(56)
	v_fma_f64 v[29:30], v[1:2], v[41:42], -v[29:30]
	v_fma_f64 v[41:42], v[3:4], v[41:42], v[123:124]
	v_add_f64 v[15:16], v[15:16], v[45:46]
	v_add_f64 v[13:14], v[13:14], v[23:24]
	s_clause 0x4
	buffer_load_dword v24, off, s[0:3], 0 offset:860
	buffer_load_dword v45, off, s[0:3], 0 offset:872
	;; [unrolled: 1-line block ×5, first 2 shown]
	ds_read_b128 v[1:4], v72 offset:1552
	s_waitcnt vmcnt(57) lgkmcnt(1)
	v_mul_f64 v[123:124], v[5:6], v[35:36]
	v_mul_f64 v[35:36], v[7:8], v[35:36]
	s_waitcnt vmcnt(56)
	v_fma_f64 v[51:52], v[9:10], v[53:54], -v[51:52]
	v_add_f64 v[15:16], v[15:16], v[29:30]
	v_fma_f64 v[29:30], v[11:12], v[53:54], v[103:104]
	v_add_f64 v[13:14], v[13:14], v[41:42]
	s_clause 0x2
	buffer_load_dword v46, off, s[0:3], 0 offset:876
	buffer_load_dword v42, off, s[0:3], 0 offset:852
	;; [unrolled: 1-line block ×3, first 2 shown]
	ds_read_b128 v[9:12], v72 offset:1568
	s_waitcnt vmcnt(58) lgkmcnt(1)
	v_mul_f64 v[53:54], v[1:2], v[59:60]
	v_mul_f64 v[59:60], v[3:4], v[59:60]
	s_waitcnt vmcnt(56)
	v_fma_f64 v[35:36], v[5:6], v[39:40], -v[35:36]
	v_fma_f64 v[39:40], v[7:8], v[39:40], v[123:124]
	v_add_f64 v[15:16], v[15:16], v[51:52]
	v_add_f64 v[13:14], v[13:14], v[29:30]
	s_clause 0x4
	buffer_load_dword v30, off, s[0:3], 0 offset:892
	buffer_load_dword v51, off, s[0:3], 0 offset:904
	;; [unrolled: 1-line block ×5, first 2 shown]
	ds_read_b128 v[5:8], v72 offset:1584
	s_waitcnt vmcnt(57) lgkmcnt(1)
	v_mul_f64 v[123:124], v[9:10], v[43:44]
	v_mul_f64 v[43:44], v[11:12], v[43:44]
	s_waitcnt vmcnt(56)
	v_fma_f64 v[59:60], v[1:2], v[61:62], -v[59:60]
	v_add_f64 v[15:16], v[15:16], v[35:36]
	v_fma_f64 v[35:36], v[3:4], v[61:62], v[53:54]
	v_add_f64 v[13:14], v[13:14], v[39:40]
	s_clause 0x2
	buffer_load_dword v52, off, s[0:3], 0 offset:908
	buffer_load_dword v40, off, s[0:3], 0 offset:884
	;; [unrolled: 1-line block ×3, first 2 shown]
	ds_read_b128 v[1:4], v72 offset:1600
	s_waitcnt vmcnt(58) lgkmcnt(1)
	v_mul_f64 v[61:62], v[7:8], v[95:96]
	v_mul_f64 v[53:54], v[5:6], v[95:96]
	s_waitcnt vmcnt(56)
	v_fma_f64 v[43:44], v[9:10], v[47:48], -v[43:44]
	v_fma_f64 v[47:48], v[11:12], v[47:48], v[123:124]
	v_add_f64 v[15:16], v[15:16], v[59:60]
	v_add_f64 v[13:14], v[13:14], v[35:36]
	s_clause 0x4
	buffer_load_dword v36, off, s[0:3], 0 offset:924
	buffer_load_dword v59, off, s[0:3], 0 offset:936
	;; [unrolled: 1-line block ×5, first 2 shown]
	ds_read_b128 v[9:12], v72 offset:1616
	s_waitcnt vmcnt(57) lgkmcnt(1)
	v_mul_f64 v[123:124], v[1:2], v[49:50]
	v_mul_f64 v[49:50], v[3:4], v[49:50]
	s_waitcnt vmcnt(56)
	v_fma_f64 v[61:62], v[5:6], v[101:102], -v[61:62]
	v_add_f64 v[15:16], v[15:16], v[43:44]
	v_fma_f64 v[43:44], v[7:8], v[101:102], v[53:54]
	v_add_f64 v[13:14], v[13:14], v[47:48]
	s_clause 0x2
	buffer_load_dword v60, off, s[0:3], 0 offset:940
	buffer_load_dword v48, off, s[0:3], 0 offset:916
	;; [unrolled: 1-line block ×3, first 2 shown]
	ds_read_b128 v[5:8], v72 offset:1632
	buffer_load_dword v96, off, s[0:3], 0 offset:932
	s_waitcnt vmcnt(59) lgkmcnt(1)
	v_mul_f64 v[53:54], v[9:10], v[55:56]
	v_mul_f64 v[55:56], v[11:12], v[55:56]
	s_waitcnt vmcnt(57)
	v_fma_f64 v[49:50], v[1:2], v[17:18], -v[49:50]
	v_fma_f64 v[17:18], v[3:4], v[17:18], v[123:124]
	ds_read_b128 v[1:4], v72 offset:1648
	v_add_f64 v[15:16], v[15:16], v[61:62]
	v_add_f64 v[13:14], v[13:14], v[43:44]
	s_waitcnt vmcnt(53) lgkmcnt(1)
	v_mul_f64 v[43:44], v[5:6], v[57:58]
	v_mul_f64 v[57:58], v[7:8], v[57:58]
	s_waitcnt vmcnt(52)
	v_fma_f64 v[55:56], v[9:10], v[111:112], -v[55:56]
	v_add_f64 v[15:16], v[15:16], v[49:50]
	v_fma_f64 v[49:50], v[11:12], v[111:112], v[53:54]
	v_add_f64 v[13:14], v[13:14], v[17:18]
	ds_read_b128 v[9:12], v72 offset:1664
	s_waitcnt vmcnt(51) lgkmcnt(1)
	v_mul_f64 v[53:54], v[3:4], v[105:106]
	v_mul_f64 v[17:18], v[1:2], v[105:106]
	s_waitcnt vmcnt(49)
	v_fma_f64 v[57:58], v[5:6], v[93:94], -v[57:58]
	v_fma_f64 v[43:44], v[7:8], v[93:94], v[43:44]
	v_add_f64 v[15:16], v[15:16], v[55:56]
	v_add_f64 v[13:14], v[13:14], v[49:50]
	s_clause 0x3
	buffer_load_dword v49, off, s[0:3], 0 offset:176
	buffer_load_dword v50, off, s[0:3], 0 offset:180
	;; [unrolled: 1-line block ×4, first 2 shown]
	ds_read_b128 v[5:8], v72 offset:1680
	s_waitcnt vmcnt(49) lgkmcnt(1)
	v_mul_f64 v[61:62], v[9:10], v[21:22]
	v_mul_f64 v[21:22], v[11:12], v[21:22]
	s_waitcnt vmcnt(48)
	v_fma_f64 v[53:54], v[1:2], v[115:116], -v[53:54]
	v_fma_f64 v[17:18], v[3:4], v[115:116], v[17:18]
	ds_read_b128 v[1:4], v72 offset:1696
	v_add_f64 v[15:16], v[15:16], v[57:58]
	v_add_f64 v[13:14], v[13:14], v[43:44]
	s_waitcnt vmcnt(47) lgkmcnt(1)
	v_mul_f64 v[57:58], v[7:8], v[113:114]
	v_mul_f64 v[43:44], v[5:6], v[113:114]
	s_waitcnt vmcnt(45)
	v_fma_f64 v[21:22], v[9:10], v[27:28], -v[21:22]
	v_fma_f64 v[27:28], v[11:12], v[27:28], v[61:62]
	ds_read_b128 v[9:12], v72 offset:1712
	v_add_f64 v[15:16], v[15:16], v[53:54]
	v_add_f64 v[13:14], v[13:14], v[17:18]
	s_waitcnt vmcnt(41) lgkmcnt(1)
	v_mul_f64 v[17:18], v[1:2], v[33:34]
	v_mul_f64 v[33:34], v[3:4], v[33:34]
	s_waitcnt vmcnt(40)
	v_fma_f64 v[53:54], v[5:6], v[119:120], -v[57:58]
	v_add_f64 v[15:16], v[15:16], v[21:22]
	v_fma_f64 v[21:22], v[7:8], v[119:120], v[43:44]
	v_add_f64 v[13:14], v[13:14], v[27:28]
	ds_read_b128 v[5:8], v72 offset:1728
	s_waitcnt vmcnt(39) lgkmcnt(1)
	v_mul_f64 v[43:44], v[11:12], v[107:108]
	v_mul_f64 v[27:28], v[9:10], v[107:108]
	s_waitcnt vmcnt(37)
	v_fma_f64 v[33:34], v[1:2], v[25:26], -v[33:34]
	v_fma_f64 v[17:18], v[3:4], v[25:26], v[17:18]
	ds_read_b128 v[1:4], v72 offset:1744
	v_add_f64 v[15:16], v[15:16], v[53:54]
	v_add_f64 v[13:14], v[13:14], v[21:22]
	s_waitcnt vmcnt(33) lgkmcnt(1)
	v_mul_f64 v[21:22], v[5:6], v[19:20]
	v_mul_f64 v[19:20], v[7:8], v[19:20]
	s_waitcnt vmcnt(32)
	v_fma_f64 v[25:26], v[9:10], v[121:122], -v[43:44]
	v_fma_f64 v[27:28], v[11:12], v[121:122], v[27:28]
	ds_read_b128 v[9:12], v72 offset:1760
	v_add_f64 v[15:16], v[15:16], v[33:34]
	v_add_f64 v[13:14], v[13:14], v[17:18]
	;; [unrolled: 9-line block ×5, first 2 shown]
	s_waitcnt vmcnt(17) lgkmcnt(1)
	v_mul_f64 v[27:28], v[3:4], v[29:30]
	s_waitcnt vmcnt(16)
	v_fma_f64 v[21:22], v[5:6], v[109:110], -v[21:22]
	v_mul_f64 v[17:18], v[1:2], v[29:30]
	v_fma_f64 v[19:20], v[7:8], v[109:110], v[19:20]
	ds_read_b128 v[5:8], v72 offset:1824
	v_add_f64 v[15:16], v[15:16], v[23:24]
	v_add_f64 v[13:14], v[13:14], v[25:26]
	s_waitcnt vmcnt(15) lgkmcnt(1)
	v_mul_f64 v[25:26], v[11:12], v[51:52]
	v_mul_f64 v[23:24], v[9:10], v[51:52]
	s_waitcnt vmcnt(13)
	v_fma_f64 v[27:28], v[1:2], v[39:40], -v[27:28]
	v_fma_f64 v[17:18], v[3:4], v[39:40], v[17:18]
	ds_read_b128 v[1:4], v72 offset:1840
	v_add_f64 v[15:16], v[15:16], v[21:22]
	v_add_f64 v[13:14], v[13:14], v[19:20]
	s_waitcnt vmcnt(9) lgkmcnt(1)
	v_mul_f64 v[21:22], v[7:8], v[35:36]
	s_waitcnt vmcnt(8)
	v_fma_f64 v[9:10], v[9:10], v[103:104], -v[25:26]
	v_mul_f64 v[19:20], v[5:6], v[35:36]
	v_fma_f64 v[11:12], v[11:12], v[103:104], v[23:24]
	v_add_f64 v[15:16], v[15:16], v[27:28]
	v_add_f64 v[13:14], v[13:14], v[17:18]
	s_waitcnt vmcnt(7) lgkmcnt(0)
	v_mul_f64 v[23:24], v[3:4], v[59:60]
	v_mul_f64 v[17:18], v[1:2], v[59:60]
	s_waitcnt vmcnt(5)
	v_fma_f64 v[5:6], v[5:6], v[47:48], -v[21:22]
	v_fma_f64 v[7:8], v[7:8], v[47:48], v[19:20]
	v_add_f64 v[9:10], v[15:16], v[9:10]
	v_add_f64 v[11:12], v[13:14], v[11:12]
	s_waitcnt vmcnt(4)
	v_fma_f64 v[1:2], v[1:2], v[95:96], -v[23:24]
	v_fma_f64 v[3:4], v[3:4], v[95:96], v[17:18]
	v_add_f64 v[5:6], v[9:10], v[5:6]
	v_add_f64 v[7:8], v[11:12], v[7:8]
	;; [unrolled: 1-line block ×4, first 2 shown]
	s_waitcnt vmcnt(2)
	v_add_f64 v[1:2], v[49:50], -v[1:2]
	s_waitcnt vmcnt(0)
	v_add_f64 v[3:4], v[55:56], -v[3:4]
	buffer_store_dword v2, off, s[0:3], 0 offset:180
	buffer_store_dword v1, off, s[0:3], 0 offset:176
	buffer_store_dword v4, off, s[0:3], 0 offset:188
	buffer_store_dword v3, off, s[0:3], 0 offset:184
	v_cmpx_lt_u32_e32 9, v0
	s_cbranch_execz .LBB57_343
; %bb.342:
	v_mov_b32_e32 v4, s61
	s_clause 0x3
	buffer_load_dword v1, v4, s[0:3], 0 offen
	buffer_load_dword v2, v4, s[0:3], 0 offen offset:4
	buffer_load_dword v3, v4, s[0:3], 0 offen offset:8
	;; [unrolled: 1-line block ×3, first 2 shown]
	buffer_store_dword v72, off, s[0:3], 0 offset:160
	buffer_store_dword v72, off, s[0:3], 0 offset:164
	;; [unrolled: 1-line block ×4, first 2 shown]
	s_waitcnt vmcnt(0)
	ds_write_b128 v63, v[1:4]
.LBB57_343:
	s_or_b32 exec_lo, exec_lo, s4
	s_waitcnt lgkmcnt(0)
	s_waitcnt_vscnt null, 0x0
	s_barrier
	buffer_gl0_inv
	s_clause 0x37
	buffer_load_dword v17, off, s[0:3], 0 offset:184
	buffer_load_dword v18, off, s[0:3], 0 offset:188
	buffer_load_dword v13, off, s[0:3], 0 offset:200
	buffer_load_dword v14, off, s[0:3], 0 offset:204
	buffer_load_dword v15, off, s[0:3], 0 offset:176
	buffer_load_dword v16, off, s[0:3], 0 offset:180
	buffer_load_dword v11, off, s[0:3], 0 offset:216
	buffer_load_dword v12, off, s[0:3], 0 offset:220
	buffer_load_dword v9, off, s[0:3], 0 offset:192
	buffer_load_dword v10, off, s[0:3], 0 offset:196
	buffer_load_dword v22, off, s[0:3], 0 offset:236
	buffer_load_dword v25, off, s[0:3], 0 offset:248
	buffer_load_dword v19, off, s[0:3], 0 offset:240
	buffer_load_dword v21, off, s[0:3], 0 offset:232
	buffer_load_dword v33, off, s[0:3], 0 offset:208
	buffer_load_dword v34, off, s[0:3], 0 offset:212
	buffer_load_dword v26, off, s[0:3], 0 offset:252
	buffer_load_dword v28, off, s[0:3], 0 offset:228
	buffer_load_dword v27, off, s[0:3], 0 offset:224
	buffer_load_dword v30, off, s[0:3], 0 offset:268
	buffer_load_dword v35, off, s[0:3], 0 offset:280
	buffer_load_dword v23, off, s[0:3], 0 offset:272
	buffer_load_dword v29, off, s[0:3], 0 offset:264
	buffer_load_dword v20, off, s[0:3], 0 offset:244
	buffer_load_dword v36, off, s[0:3], 0 offset:284
	buffer_load_dword v38, off, s[0:3], 0 offset:260
	buffer_load_dword v37, off, s[0:3], 0 offset:256
	buffer_load_dword v40, off, s[0:3], 0 offset:300
	buffer_load_dword v43, off, s[0:3], 0 offset:312
	buffer_load_dword v31, off, s[0:3], 0 offset:304
	buffer_load_dword v39, off, s[0:3], 0 offset:296
	buffer_load_dword v24, off, s[0:3], 0 offset:276
	buffer_load_dword v44, off, s[0:3], 0 offset:316
	buffer_load_dword v46, off, s[0:3], 0 offset:292
	buffer_load_dword v45, off, s[0:3], 0 offset:288
	buffer_load_dword v48, off, s[0:3], 0 offset:332
	buffer_load_dword v51, off, s[0:3], 0 offset:344
	buffer_load_dword v41, off, s[0:3], 0 offset:336
	buffer_load_dword v47, off, s[0:3], 0 offset:328
	buffer_load_dword v32, off, s[0:3], 0 offset:308
	buffer_load_dword v52, off, s[0:3], 0 offset:348
	buffer_load_dword v54, off, s[0:3], 0 offset:324
	buffer_load_dword v53, off, s[0:3], 0 offset:320
	buffer_load_dword v56, off, s[0:3], 0 offset:364
	buffer_load_dword v59, off, s[0:3], 0 offset:376
	buffer_load_dword v49, off, s[0:3], 0 offset:368
	buffer_load_dword v55, off, s[0:3], 0 offset:360
	buffer_load_dword v42, off, s[0:3], 0 offset:340
	buffer_load_dword v60, off, s[0:3], 0 offset:380
	buffer_load_dword v62, off, s[0:3], 0 offset:356
	buffer_load_dword v61, off, s[0:3], 0 offset:352
	buffer_load_dword v94, off, s[0:3], 0 offset:396
	buffer_load_dword v95, off, s[0:3], 0 offset:408
	buffer_load_dword v57, off, s[0:3], 0 offset:400
	buffer_load_dword v93, off, s[0:3], 0 offset:392
	buffer_load_dword v50, off, s[0:3], 0 offset:372
	ds_read_b128 v[5:8], v72 offset:1088
	s_clause 0x2
	buffer_load_dword v96, off, s[0:3], 0 offset:412
	buffer_load_dword v102, off, s[0:3], 0 offset:388
	;; [unrolled: 1-line block ×3, first 2 shown]
	ds_read_b128 v[1:4], v72 offset:1104
	s_clause 0x4
	buffer_load_dword v110, off, s[0:3], 0 offset:428
	buffer_load_dword v111, off, s[0:3], 0 offset:440
	;; [unrolled: 1-line block ×5, first 2 shown]
	ds_read_b128 v[103:106], v72 offset:1120
	s_mov_b32 s4, exec_lo
	s_waitcnt vmcnt(62) lgkmcnt(2)
	v_mul_f64 v[107:108], v[7:8], v[17:18]
	v_mul_f64 v[17:18], v[5:6], v[17:18]
	s_waitcnt vmcnt(60) lgkmcnt(1)
	v_mul_f64 v[114:115], v[3:4], v[13:14]
	v_mul_f64 v[13:14], v[1:2], v[13:14]
	;; [unrolled: 3-line block ×3, first 2 shown]
	v_fma_f64 v[107:108], v[5:6], v[15:16], -v[107:108]
	v_fma_f64 v[15:16], v[7:8], v[15:16], v[17:18]
	s_clause 0x2
	buffer_load_dword v112, off, s[0:3], 0 offset:444
	buffer_load_dword v18, off, s[0:3], 0 offset:420
	;; [unrolled: 1-line block ×3, first 2 shown]
	s_waitcnt vmcnt(57)
	v_fma_f64 v[118:119], v[1:2], v[9:10], -v[114:115]
	ds_read_b128 v[5:8], v72 offset:1136
	v_fma_f64 v[9:10], v[3:4], v[9:10], v[13:14]
	s_waitcnt vmcnt(51)
	v_fma_f64 v[103:104], v[103:104], v[33:34], -v[11:12]
	v_fma_f64 v[33:34], v[105:106], v[33:34], v[116:117]
	v_add_f64 v[107:108], v[107:108], 0
	v_add_f64 v[13:14], v[15:16], 0
	s_clause 0x4
	buffer_load_dword v16, off, s[0:3], 0 offset:460
	buffer_load_dword v115, off, s[0:3], 0 offset:472
	;; [unrolled: 1-line block ×5, first 2 shown]
	s_waitcnt lgkmcnt(0)
	v_mul_f64 v[121:122], v[5:6], v[21:22]
	v_mul_f64 v[21:22], v[7:8], v[21:22]
	ds_read_b128 v[1:4], v72 offset:1152
	s_clause 0x2
	buffer_load_dword v116, off, s[0:3], 0 offset:476
	buffer_load_dword v106, off, s[0:3], 0 offset:452
	;; [unrolled: 1-line block ×3, first 2 shown]
	v_add_f64 v[107:108], v[107:108], v[118:119]
	v_add_f64 v[13:14], v[13:14], v[9:10]
	ds_read_b128 v[9:12], v72 offset:1168
	s_waitcnt vmcnt(58) lgkmcnt(1)
	v_mul_f64 v[117:118], v[1:2], v[25:26]
	v_mul_f64 v[25:26], v[3:4], v[25:26]
	s_waitcnt vmcnt(56)
	v_fma_f64 v[21:22], v[5:6], v[27:28], -v[21:22]
	v_fma_f64 v[27:28], v[7:8], v[27:28], v[121:122]
	s_waitcnt vmcnt(52) lgkmcnt(0)
	v_mul_f64 v[123:124], v[9:10], v[29:30]
	v_add_f64 v[103:104], v[107:108], v[103:104]
	v_add_f64 v[13:14], v[13:14], v[33:34]
	s_clause 0x4
	buffer_load_dword v34, off, s[0:3], 0 offset:492
	buffer_load_dword v107, off, s[0:3], 0 offset:504
	;; [unrolled: 1-line block ×5, first 2 shown]
	v_mul_f64 v[29:30], v[11:12], v[29:30]
	s_waitcnt vmcnt(56)
	v_fma_f64 v[25:26], v[1:2], v[19:20], -v[25:26]
	ds_read_b128 v[5:8], v72 offset:1184
	v_fma_f64 v[19:20], v[3:4], v[19:20], v[117:118]
	v_add_f64 v[21:22], v[103:104], v[21:22]
	v_add_f64 v[13:14], v[13:14], v[27:28]
	s_clause 0x2
	buffer_load_dword v108, off, s[0:3], 0 offset:508
	buffer_load_dword v28, off, s[0:3], 0 offset:484
	;; [unrolled: 1-line block ×3, first 2 shown]
	s_waitcnt vmcnt(58) lgkmcnt(0)
	v_mul_f64 v[103:104], v[5:6], v[35:36]
	v_mul_f64 v[35:36], v[7:8], v[35:36]
	s_waitcnt vmcnt(56)
	v_fma_f64 v[29:30], v[9:10], v[37:38], -v[29:30]
	ds_read_b128 v[1:4], v72 offset:1200
	v_add_f64 v[21:22], v[21:22], v[25:26]
	v_fma_f64 v[25:26], v[11:12], v[37:38], v[123:124]
	v_add_f64 v[13:14], v[13:14], v[19:20]
	s_clause 0x4
	buffer_load_dword v20, off, s[0:3], 0 offset:524
	buffer_load_dword v37, off, s[0:3], 0 offset:536
	;; [unrolled: 1-line block ×5, first 2 shown]
	s_waitcnt vmcnt(57) lgkmcnt(0)
	v_mul_f64 v[118:119], v[1:2], v[39:40]
	v_mul_f64 v[39:40], v[3:4], v[39:40]
	s_waitcnt vmcnt(56)
	v_fma_f64 v[35:36], v[5:6], v[23:24], -v[35:36]
	ds_read_b128 v[9:12], v72 offset:1216
	v_fma_f64 v[23:24], v[7:8], v[23:24], v[103:104]
	v_add_f64 v[21:22], v[21:22], v[29:30]
	v_add_f64 v[13:14], v[13:14], v[25:26]
	s_clause 0x2
	buffer_load_dword v38, off, s[0:3], 0 offset:540
	buffer_load_dword v26, off, s[0:3], 0 offset:516
	;; [unrolled: 1-line block ×3, first 2 shown]
	ds_read_b128 v[5:8], v72 offset:1232
	s_waitcnt vmcnt(58) lgkmcnt(1)
	v_mul_f64 v[29:30], v[9:10], v[43:44]
	v_mul_f64 v[43:44], v[11:12], v[43:44]
	s_waitcnt vmcnt(56)
	v_fma_f64 v[39:40], v[1:2], v[45:46], -v[39:40]
	v_add_f64 v[21:22], v[21:22], v[35:36]
	v_fma_f64 v[35:36], v[3:4], v[45:46], v[118:119]
	v_add_f64 v[13:14], v[13:14], v[23:24]
	s_clause 0x4
	buffer_load_dword v24, off, s[0:3], 0 offset:556
	buffer_load_dword v45, off, s[0:3], 0 offset:568
	;; [unrolled: 1-line block ×5, first 2 shown]
	s_waitcnt vmcnt(57) lgkmcnt(0)
	v_mul_f64 v[124:125], v[5:6], v[47:48]
	v_mul_f64 v[47:48], v[7:8], v[47:48]
	s_waitcnt vmcnt(56)
	v_fma_f64 v[43:44], v[9:10], v[31:32], -v[43:44]
	ds_read_b128 v[1:4], v72 offset:1248
	v_fma_f64 v[29:30], v[11:12], v[31:32], v[29:30]
	s_clause 0x2
	buffer_load_dword v46, off, s[0:3], 0 offset:572
	buffer_load_dword v32, off, s[0:3], 0 offset:548
	;; [unrolled: 1-line block ×3, first 2 shown]
	ds_read_b128 v[9:12], v72 offset:1264
	v_add_f64 v[21:22], v[21:22], v[39:40]
	v_add_f64 v[13:14], v[13:14], v[35:36]
	s_waitcnt vmcnt(58) lgkmcnt(1)
	v_mul_f64 v[39:40], v[3:4], v[51:52]
	s_waitcnt vmcnt(56)
	v_fma_f64 v[47:48], v[5:6], v[53:54], -v[47:48]
	v_mul_f64 v[35:36], v[1:2], v[51:52]
	v_add_f64 v[21:22], v[21:22], v[43:44]
	v_fma_f64 v[43:44], v[7:8], v[53:54], v[124:125]
	v_add_f64 v[13:14], v[13:14], v[29:30]
	s_clause 0x4
	buffer_load_dword v30, off, s[0:3], 0 offset:588
	buffer_load_dword v51, off, s[0:3], 0 offset:600
	;; [unrolled: 1-line block ×5, first 2 shown]
	s_waitcnt vmcnt(57) lgkmcnt(0)
	v_mul_f64 v[124:125], v[9:10], v[55:56]
	v_mul_f64 v[54:55], v[11:12], v[55:56]
	s_waitcnt vmcnt(56)
	v_fma_f64 v[39:40], v[1:2], v[41:42], -v[39:40]
	ds_read_b128 v[5:8], v72 offset:1280
	v_fma_f64 v[35:36], v[3:4], v[41:42], v[35:36]
	s_clause 0x2
	buffer_load_dword v52, off, s[0:3], 0 offset:604
	buffer_load_dword v42, off, s[0:3], 0 offset:580
	;; [unrolled: 1-line block ×3, first 2 shown]
	ds_read_b128 v[1:4], v72 offset:1296
	v_add_f64 v[21:22], v[21:22], v[47:48]
	v_add_f64 v[13:14], v[13:14], v[43:44]
	s_waitcnt vmcnt(58) lgkmcnt(1)
	v_mul_f64 v[47:48], v[7:8], v[59:60]
	s_waitcnt vmcnt(56)
	v_fma_f64 v[55:56], v[9:10], v[61:62], -v[54:55]
	v_mul_f64 v[43:44], v[5:6], v[59:60]
	v_add_f64 v[21:22], v[21:22], v[39:40]
	v_fma_f64 v[39:40], v[11:12], v[61:62], v[124:125]
	v_add_f64 v[13:14], v[13:14], v[35:36]
	s_clause 0x4
	buffer_load_dword v36, off, s[0:3], 0 offset:620
	buffer_load_dword v59, off, s[0:3], 0 offset:632
	;; [unrolled: 1-line block ×5, first 2 shown]
	s_waitcnt vmcnt(57) lgkmcnt(0)
	v_mul_f64 v[124:125], v[1:2], v[93:94]
	v_mul_f64 v[93:94], v[3:4], v[93:94]
	s_waitcnt vmcnt(56)
	v_fma_f64 v[47:48], v[5:6], v[49:50], -v[47:48]
	ds_read_b128 v[9:12], v72 offset:1312
	v_fma_f64 v[43:44], v[7:8], v[49:50], v[43:44]
	v_add_f64 v[21:22], v[21:22], v[55:56]
	v_add_f64 v[13:14], v[13:14], v[39:40]
	s_clause 0x2
	buffer_load_dword v60, off, s[0:3], 0 offset:636
	buffer_load_dword v40, off, s[0:3], 0 offset:612
	;; [unrolled: 1-line block ×3, first 2 shown]
	ds_read_b128 v[5:8], v72 offset:1328
	s_waitcnt vmcnt(58) lgkmcnt(1)
	v_mul_f64 v[55:56], v[11:12], v[95:96]
	s_waitcnt vmcnt(56)
	v_fma_f64 v[93:94], v[1:2], v[101:102], -v[93:94]
	v_mul_f64 v[49:50], v[9:10], v[95:96]
	v_add_f64 v[21:22], v[21:22], v[47:48]
	v_fma_f64 v[47:48], v[3:4], v[101:102], v[124:125]
	v_add_f64 v[13:14], v[13:14], v[43:44]
	s_clause 0x4
	buffer_load_dword v44, off, s[0:3], 0 offset:652
	buffer_load_dword v95, off, s[0:3], 0 offset:664
	;; [unrolled: 1-line block ×5, first 2 shown]
	s_waitcnt vmcnt(57) lgkmcnt(0)
	v_mul_f64 v[124:125], v[5:6], v[109:110]
	v_mul_f64 v[109:110], v[7:8], v[109:110]
	s_waitcnt vmcnt(56)
	v_fma_f64 v[55:56], v[9:10], v[57:58], -v[55:56]
	ds_read_b128 v[1:4], v72 offset:1344
	v_fma_f64 v[49:50], v[11:12], v[57:58], v[49:50]
	v_add_f64 v[21:22], v[21:22], v[93:94]
	v_add_f64 v[13:14], v[13:14], v[47:48]
	s_clause 0x2
	buffer_load_dword v96, off, s[0:3], 0 offset:668
	buffer_load_dword v48, off, s[0:3], 0 offset:644
	;; [unrolled: 1-line block ×3, first 2 shown]
	ds_read_b128 v[9:12], v72 offset:1360
	s_waitcnt vmcnt(58) lgkmcnt(1)
	v_mul_f64 v[93:94], v[3:4], v[111:112]
	v_mul_f64 v[57:58], v[1:2], v[111:112]
	s_waitcnt vmcnt(56)
	v_fma_f64 v[109:110], v[5:6], v[17:18], -v[109:110]
	v_fma_f64 v[17:18], v[7:8], v[17:18], v[124:125]
	v_add_f64 v[21:22], v[21:22], v[55:56]
	v_add_f64 v[13:14], v[13:14], v[49:50]
	s_clause 0x4
	buffer_load_dword v50, off, s[0:3], 0 offset:684
	buffer_load_dword v55, off, s[0:3], 0 offset:696
	;; [unrolled: 1-line block ×5, first 2 shown]
	ds_read_b128 v[5:8], v72 offset:1376
	s_waitcnt vmcnt(57) lgkmcnt(1)
	v_mul_f64 v[124:125], v[9:10], v[15:16]
	v_mul_f64 v[15:16], v[11:12], v[15:16]
	s_waitcnt vmcnt(56)
	v_fma_f64 v[93:94], v[1:2], v[113:114], -v[93:94]
	v_fma_f64 v[57:58], v[3:4], v[113:114], v[57:58]
	v_add_f64 v[21:22], v[21:22], v[109:110]
	v_add_f64 v[13:14], v[13:14], v[17:18]
	s_clause 0x2
	buffer_load_dword v56, off, s[0:3], 0 offset:700
	buffer_load_dword v18, off, s[0:3], 0 offset:676
	;; [unrolled: 1-line block ×3, first 2 shown]
	s_waitcnt vmcnt(58) lgkmcnt(0)
	v_mul_f64 v[113:114], v[7:8], v[115:116]
	ds_read_b128 v[1:4], v72 offset:1392
	v_mul_f64 v[109:110], v[5:6], v[115:116]
	s_waitcnt vmcnt(56)
	v_fma_f64 v[15:16], v[9:10], v[105:106], -v[15:16]
	v_add_f64 v[21:22], v[21:22], v[93:94]
	v_fma_f64 v[93:94], v[11:12], v[105:106], v[124:125]
	v_add_f64 v[13:14], v[13:14], v[57:58]
	s_clause 0x4
	buffer_load_dword v58, off, s[0:3], 0 offset:716
	buffer_load_dword v105, off, s[0:3], 0 offset:728
	;; [unrolled: 1-line block ×5, first 2 shown]
	ds_read_b128 v[9:12], v72 offset:1408
	s_waitcnt vmcnt(57) lgkmcnt(1)
	v_mul_f64 v[124:125], v[1:2], v[33:34]
	v_mul_f64 v[33:34], v[3:4], v[33:34]
	s_waitcnt vmcnt(56)
	v_fma_f64 v[113:114], v[5:6], v[120:121], -v[113:114]
	v_add_f64 v[15:16], v[21:22], v[15:16]
	v_fma_f64 v[21:22], v[7:8], v[120:121], v[109:110]
	v_add_f64 v[13:14], v[13:14], v[93:94]
	s_clause 0x2
	buffer_load_dword v106, off, s[0:3], 0 offset:732
	buffer_load_dword v94, off, s[0:3], 0 offset:708
	;; [unrolled: 1-line block ×3, first 2 shown]
	ds_read_b128 v[5:8], v72 offset:1424
	s_waitcnt vmcnt(58) lgkmcnt(1)
	v_mul_f64 v[109:110], v[9:10], v[107:108]
	v_mul_f64 v[107:108], v[11:12], v[107:108]
	s_waitcnt vmcnt(56)
	v_fma_f64 v[33:34], v[1:2], v[27:28], -v[33:34]
	v_fma_f64 v[27:28], v[3:4], v[27:28], v[124:125]
	v_add_f64 v[15:16], v[15:16], v[113:114]
	v_add_f64 v[13:14], v[13:14], v[21:22]
	s_clause 0x4
	buffer_load_dword v22, off, s[0:3], 0 offset:748
	buffer_load_dword v113, off, s[0:3], 0 offset:760
	;; [unrolled: 1-line block ×5, first 2 shown]
	ds_read_b128 v[1:4], v72 offset:1440
	s_waitcnt vmcnt(57) lgkmcnt(1)
	v_mul_f64 v[120:121], v[5:6], v[19:20]
	v_mul_f64 v[19:20], v[7:8], v[19:20]
	s_waitcnt vmcnt(56)
	v_fma_f64 v[107:108], v[9:10], v[122:123], -v[107:108]
	v_add_f64 v[15:16], v[15:16], v[33:34]
	v_fma_f64 v[33:34], v[11:12], v[122:123], v[109:110]
	v_add_f64 v[13:14], v[13:14], v[27:28]
	s_clause 0x2
	buffer_load_dword v114, off, s[0:3], 0 offset:764
	buffer_load_dword v28, off, s[0:3], 0 offset:740
	;; [unrolled: 1-line block ×3, first 2 shown]
	ds_read_b128 v[9:12], v72 offset:1456
	s_waitcnt vmcnt(58) lgkmcnt(1)
	v_mul_f64 v[109:110], v[1:2], v[37:38]
	v_mul_f64 v[37:38], v[3:4], v[37:38]
	s_waitcnt vmcnt(56)
	v_fma_f64 v[19:20], v[5:6], v[25:26], -v[19:20]
	v_fma_f64 v[25:26], v[7:8], v[25:26], v[120:121]
	v_add_f64 v[15:16], v[15:16], v[107:108]
	v_add_f64 v[13:14], v[13:14], v[33:34]
	s_clause 0x4
	buffer_load_dword v34, off, s[0:3], 0 offset:780
	buffer_load_dword v107, off, s[0:3], 0 offset:792
	;; [unrolled: 1-line block ×5, first 2 shown]
	ds_read_b128 v[5:8], v72 offset:1472
	s_waitcnt vmcnt(57) lgkmcnt(1)
	v_mul_f64 v[122:123], v[9:10], v[23:24]
	v_mul_f64 v[23:24], v[11:12], v[23:24]
	s_waitcnt vmcnt(56)
	v_fma_f64 v[37:38], v[1:2], v[117:118], -v[37:38]
	v_add_f64 v[15:16], v[15:16], v[19:20]
	v_fma_f64 v[19:20], v[3:4], v[117:118], v[109:110]
	v_add_f64 v[13:14], v[13:14], v[25:26]
	s_clause 0x2
	buffer_load_dword v108, off, s[0:3], 0 offset:796
	buffer_load_dword v26, off, s[0:3], 0 offset:772
	;; [unrolled: 1-line block ×3, first 2 shown]
	s_waitcnt vmcnt(58) lgkmcnt(0)
	v_mul_f64 v[109:110], v[5:6], v[45:46]
	v_mul_f64 v[45:46], v[7:8], v[45:46]
	ds_read_b128 v[1:4], v72 offset:1488
	s_waitcnt vmcnt(56)
	v_fma_f64 v[23:24], v[9:10], v[31:32], -v[23:24]
	v_fma_f64 v[31:32], v[11:12], v[31:32], v[122:123]
	v_add_f64 v[15:16], v[15:16], v[37:38]
	v_add_f64 v[13:14], v[13:14], v[19:20]
	s_clause 0x4
	buffer_load_dword v20, off, s[0:3], 0 offset:812
	buffer_load_dword v37, off, s[0:3], 0 offset:824
	buffer_load_dword v117, off, s[0:3], 0 offset:816
	buffer_load_dword v19, off, s[0:3], 0 offset:808
	buffer_load_dword v122, off, s[0:3], 0 offset:788
	ds_read_b128 v[9:12], v72 offset:1504
	s_waitcnt vmcnt(57) lgkmcnt(1)
	v_mul_f64 v[123:124], v[1:2], v[29:30]
	v_mul_f64 v[29:30], v[3:4], v[29:30]
	s_waitcnt vmcnt(56)
	v_fma_f64 v[45:46], v[5:6], v[103:104], -v[45:46]
	v_add_f64 v[15:16], v[15:16], v[23:24]
	v_fma_f64 v[23:24], v[7:8], v[103:104], v[109:110]
	v_add_f64 v[13:14], v[13:14], v[31:32]
	s_clause 0x2
	buffer_load_dword v38, off, s[0:3], 0 offset:828
	buffer_load_dword v32, off, s[0:3], 0 offset:804
	;; [unrolled: 1-line block ×3, first 2 shown]
	s_waitcnt vmcnt(58) lgkmcnt(0)
	v_mul_f64 v[103:104], v[9:10], v[51:52]
	v_mul_f64 v[51:52], v[11:12], v[51:52]
	ds_read_b128 v[5:8], v72 offset:1520
	s_waitcnt vmcnt(56)
	v_fma_f64 v[29:30], v[1:2], v[41:42], -v[29:30]
	v_fma_f64 v[41:42], v[3:4], v[41:42], v[123:124]
	v_add_f64 v[15:16], v[15:16], v[45:46]
	v_add_f64 v[13:14], v[13:14], v[23:24]
	s_clause 0x4
	buffer_load_dword v24, off, s[0:3], 0 offset:844
	buffer_load_dword v45, off, s[0:3], 0 offset:856
	buffer_load_dword v109, off, s[0:3], 0 offset:848
	buffer_load_dword v23, off, s[0:3], 0 offset:840
	buffer_load_dword v118, off, s[0:3], 0 offset:820
	ds_read_b128 v[1:4], v72 offset:1536
	s_waitcnt vmcnt(57) lgkmcnt(1)
	v_mul_f64 v[123:124], v[5:6], v[35:36]
	v_mul_f64 v[35:36], v[7:8], v[35:36]
	s_waitcnt vmcnt(56)
	v_fma_f64 v[51:52], v[9:10], v[53:54], -v[51:52]
	v_add_f64 v[15:16], v[15:16], v[29:30]
	v_fma_f64 v[29:30], v[11:12], v[53:54], v[103:104]
	v_add_f64 v[13:14], v[13:14], v[41:42]
	s_clause 0x2
	buffer_load_dword v46, off, s[0:3], 0 offset:860
	buffer_load_dword v42, off, s[0:3], 0 offset:836
	buffer_load_dword v41, off, s[0:3], 0 offset:832
	ds_read_b128 v[9:12], v72 offset:1552
	s_waitcnt vmcnt(58) lgkmcnt(1)
	v_mul_f64 v[53:54], v[1:2], v[59:60]
	v_mul_f64 v[59:60], v[3:4], v[59:60]
	s_waitcnt vmcnt(56)
	v_fma_f64 v[35:36], v[5:6], v[39:40], -v[35:36]
	v_fma_f64 v[39:40], v[7:8], v[39:40], v[123:124]
	v_add_f64 v[15:16], v[15:16], v[51:52]
	v_add_f64 v[13:14], v[13:14], v[29:30]
	s_clause 0x4
	buffer_load_dword v30, off, s[0:3], 0 offset:876
	buffer_load_dword v51, off, s[0:3], 0 offset:888
	buffer_load_dword v103, off, s[0:3], 0 offset:880
	buffer_load_dword v29, off, s[0:3], 0 offset:872
	buffer_load_dword v110, off, s[0:3], 0 offset:852
	ds_read_b128 v[5:8], v72 offset:1568
	s_waitcnt vmcnt(57) lgkmcnt(1)
	v_mul_f64 v[123:124], v[9:10], v[43:44]
	v_mul_f64 v[43:44], v[11:12], v[43:44]
	s_waitcnt vmcnt(56)
	v_fma_f64 v[59:60], v[1:2], v[61:62], -v[59:60]
	v_add_f64 v[15:16], v[15:16], v[35:36]
	v_fma_f64 v[35:36], v[3:4], v[61:62], v[53:54]
	v_add_f64 v[13:14], v[13:14], v[39:40]
	s_clause 0x2
	buffer_load_dword v52, off, s[0:3], 0 offset:892
	buffer_load_dword v40, off, s[0:3], 0 offset:868
	buffer_load_dword v39, off, s[0:3], 0 offset:864
	ds_read_b128 v[1:4], v72 offset:1584
	s_waitcnt vmcnt(58) lgkmcnt(1)
	v_mul_f64 v[61:62], v[7:8], v[95:96]
	v_mul_f64 v[53:54], v[5:6], v[95:96]
	;; [unrolled: 28-line block ×3, first 2 shown]
	s_waitcnt vmcnt(56)
	v_fma_f64 v[49:50], v[1:2], v[17:18], -v[49:50]
	v_fma_f64 v[17:18], v[3:4], v[17:18], v[123:124]
	v_add_f64 v[15:16], v[15:16], v[61:62]
	v_add_f64 v[13:14], v[13:14], v[43:44]
	s_clause 0x2
	buffer_load_dword v44, off, s[0:3], 0 offset:940
	buffer_load_dword v43, off, s[0:3], 0 offset:936
	;; [unrolled: 1-line block ×3, first 2 shown]
	ds_read_b128 v[1:4], v72 offset:1632
	s_waitcnt vmcnt(55) lgkmcnt(1)
	v_mul_f64 v[61:62], v[5:6], v[57:58]
	v_mul_f64 v[57:58], v[7:8], v[57:58]
	s_waitcnt vmcnt(54)
	v_fma_f64 v[55:56], v[9:10], v[111:112], -v[55:56]
	v_add_f64 v[15:16], v[15:16], v[49:50]
	v_fma_f64 v[49:50], v[11:12], v[111:112], v[53:54]
	v_add_f64 v[13:14], v[13:14], v[17:18]
	s_clause 0x1
	buffer_load_dword v18, off, s[0:3], 0 offset:932
	buffer_load_dword v17, off, s[0:3], 0 offset:928
	ds_read_b128 v[9:12], v72 offset:1648
	s_waitcnt vmcnt(55) lgkmcnt(1)
	v_mul_f64 v[101:102], v[3:4], v[105:106]
	v_mul_f64 v[53:54], v[1:2], v[105:106]
	s_waitcnt vmcnt(53)
	v_fma_f64 v[57:58], v[5:6], v[93:94], -v[57:58]
	v_add_f64 v[15:16], v[15:16], v[55:56]
	v_fma_f64 v[55:56], v[7:8], v[93:94], v[61:62]
	v_add_f64 v[13:14], v[13:14], v[49:50]
	ds_read_b128 v[5:8], v72 offset:1664
	s_waitcnt vmcnt(49) lgkmcnt(1)
	v_mul_f64 v[49:50], v[9:10], v[21:22]
	v_mul_f64 v[21:22], v[11:12], v[21:22]
	s_waitcnt vmcnt(48)
	v_fma_f64 v[61:62], v[1:2], v[115:116], -v[101:102]
	v_fma_f64 v[53:54], v[3:4], v[115:116], v[53:54]
	v_add_f64 v[15:16], v[15:16], v[57:58]
	v_add_f64 v[13:14], v[13:14], v[55:56]
	s_clause 0x3
	buffer_load_dword v55, off, s[0:3], 0 offset:160
	buffer_load_dword v56, off, s[0:3], 0 offset:164
	;; [unrolled: 1-line block ×4, first 2 shown]
	ds_read_b128 v[1:4], v72 offset:1680
	s_waitcnt vmcnt(51) lgkmcnt(1)
	v_mul_f64 v[101:102], v[7:8], v[113:114]
	v_mul_f64 v[93:94], v[5:6], v[113:114]
	s_waitcnt vmcnt(49)
	v_fma_f64 v[21:22], v[9:10], v[27:28], -v[21:22]
	v_fma_f64 v[27:28], v[11:12], v[27:28], v[49:50]
	ds_read_b128 v[9:12], v72 offset:1696
	v_add_f64 v[15:16], v[15:16], v[61:62]
	v_add_f64 v[13:14], v[13:14], v[53:54]
	s_waitcnt vmcnt(45) lgkmcnt(1)
	v_mul_f64 v[49:50], v[1:2], v[33:34]
	v_mul_f64 v[33:34], v[3:4], v[33:34]
	s_waitcnt vmcnt(44)
	v_fma_f64 v[53:54], v[5:6], v[119:120], -v[101:102]
	v_add_f64 v[15:16], v[15:16], v[21:22]
	v_fma_f64 v[21:22], v[7:8], v[119:120], v[93:94]
	v_add_f64 v[13:14], v[13:14], v[27:28]
	ds_read_b128 v[5:8], v72 offset:1712
	s_waitcnt vmcnt(43) lgkmcnt(1)
	v_mul_f64 v[61:62], v[11:12], v[107:108]
	v_mul_f64 v[27:28], v[9:10], v[107:108]
	s_waitcnt vmcnt(41)
	v_fma_f64 v[33:34], v[1:2], v[25:26], -v[33:34]
	v_fma_f64 v[25:26], v[3:4], v[25:26], v[49:50]
	ds_read_b128 v[1:4], v72 offset:1728
	v_add_f64 v[15:16], v[15:16], v[53:54]
	v_add_f64 v[13:14], v[13:14], v[21:22]
	s_waitcnt vmcnt(37) lgkmcnt(1)
	v_mul_f64 v[21:22], v[5:6], v[19:20]
	v_mul_f64 v[19:20], v[7:8], v[19:20]
	s_waitcnt vmcnt(36)
	v_fma_f64 v[49:50], v[9:10], v[121:122], -v[61:62]
	v_fma_f64 v[27:28], v[11:12], v[121:122], v[27:28]
	ds_read_b128 v[9:12], v72 offset:1744
	v_add_f64 v[15:16], v[15:16], v[33:34]
	v_add_f64 v[13:14], v[13:14], v[25:26]
	;; [unrolled: 9-line block ×3, first 2 shown]
	s_waitcnt vmcnt(29) lgkmcnt(1)
	v_mul_f64 v[27:28], v[9:10], v[23:24]
	v_mul_f64 v[23:24], v[11:12], v[23:24]
	s_waitcnt vmcnt(28)
	v_fma_f64 v[31:32], v[1:2], v[117:118], -v[33:34]
	v_add_f64 v[15:16], v[15:16], v[19:20]
	v_fma_f64 v[19:20], v[3:4], v[117:118], v[25:26]
	v_add_f64 v[13:14], v[13:14], v[21:22]
	ds_read_b128 v[1:4], v72 offset:1776
	s_waitcnt vmcnt(27) lgkmcnt(1)
	v_mul_f64 v[25:26], v[7:8], v[45:46]
	v_mul_f64 v[21:22], v[5:6], v[45:46]
	s_waitcnt vmcnt(25)
	v_fma_f64 v[23:24], v[9:10], v[41:42], -v[23:24]
	v_fma_f64 v[27:28], v[11:12], v[41:42], v[27:28]
	ds_read_b128 v[9:12], v72 offset:1792
	v_add_f64 v[15:16], v[15:16], v[31:32]
	v_add_f64 v[13:14], v[13:14], v[19:20]
	s_waitcnt vmcnt(21) lgkmcnt(1)
	v_mul_f64 v[19:20], v[1:2], v[29:30]
	v_mul_f64 v[29:30], v[3:4], v[29:30]
	s_waitcnt vmcnt(20)
	v_fma_f64 v[25:26], v[5:6], v[109:110], -v[25:26]
	v_fma_f64 v[21:22], v[7:8], v[109:110], v[21:22]
	ds_read_b128 v[5:8], v72 offset:1808
	v_add_f64 v[15:16], v[15:16], v[23:24]
	v_add_f64 v[13:14], v[13:14], v[27:28]
	;; [unrolled: 9-line block ×3, first 2 shown]
	s_waitcnt vmcnt(13) lgkmcnt(1)
	v_mul_f64 v[25:26], v[7:8], v[35:36]
	s_waitcnt vmcnt(12)
	v_fma_f64 v[27:28], v[9:10], v[103:104], -v[27:28]
	v_mul_f64 v[21:22], v[5:6], v[35:36]
	v_fma_f64 v[23:24], v[11:12], v[103:104], v[23:24]
	ds_read_b128 v[9:12], v72 offset:1840
	v_add_f64 v[15:16], v[15:16], v[29:30]
	v_add_f64 v[13:14], v[13:14], v[19:20]
	s_waitcnt vmcnt(11) lgkmcnt(1)
	v_mul_f64 v[29:30], v[3:4], v[59:60]
	v_mul_f64 v[19:20], v[1:2], v[59:60]
	s_waitcnt vmcnt(9)
	v_fma_f64 v[5:6], v[5:6], v[47:48], -v[25:26]
	v_fma_f64 v[7:8], v[7:8], v[47:48], v[21:22]
	v_add_f64 v[15:16], v[15:16], v[27:28]
	v_add_f64 v[13:14], v[13:14], v[23:24]
	s_waitcnt vmcnt(7) lgkmcnt(0)
	v_mul_f64 v[23:24], v[11:12], v[43:44]
	s_waitcnt vmcnt(6)
	v_fma_f64 v[1:2], v[1:2], v[95:96], -v[29:30]
	v_mul_f64 v[21:22], v[9:10], v[43:44]
	v_fma_f64 v[3:4], v[3:4], v[95:96], v[19:20]
	v_add_f64 v[5:6], v[15:16], v[5:6]
	v_add_f64 v[7:8], v[13:14], v[7:8]
	s_waitcnt vmcnt(4)
	v_fma_f64 v[9:10], v[9:10], v[17:18], -v[23:24]
	v_add_f64 v[1:2], v[5:6], v[1:2]
	v_fma_f64 v[5:6], v[11:12], v[17:18], v[21:22]
	v_add_f64 v[3:4], v[7:8], v[3:4]
	v_add_f64 v[1:2], v[1:2], v[9:10]
	;; [unrolled: 1-line block ×3, first 2 shown]
	s_waitcnt vmcnt(2)
	v_add_f64 v[1:2], v[55:56], -v[1:2]
	s_waitcnt vmcnt(0)
	v_add_f64 v[3:4], v[57:58], -v[3:4]
	buffer_store_dword v2, off, s[0:3], 0 offset:164
	buffer_store_dword v1, off, s[0:3], 0 offset:160
	;; [unrolled: 1-line block ×4, first 2 shown]
	v_cmpx_lt_u32_e32 8, v0
	s_cbranch_execz .LBB57_345
; %bb.344:
	v_mov_b32_e32 v4, s62
	v_mov_b32_e32 v5, 0
	s_clause 0x3
	buffer_load_dword v1, v4, s[0:3], 0 offen
	buffer_load_dword v2, v4, s[0:3], 0 offen offset:4
	buffer_load_dword v3, v4, s[0:3], 0 offen offset:8
	;; [unrolled: 1-line block ×3, first 2 shown]
	buffer_store_dword v5, off, s[0:3], 0 offset:144
	buffer_store_dword v5, off, s[0:3], 0 offset:148
	;; [unrolled: 1-line block ×4, first 2 shown]
	s_waitcnt vmcnt(0)
	ds_write_b128 v63, v[1:4]
.LBB57_345:
	s_or_b32 exec_lo, exec_lo, s4
	s_waitcnt lgkmcnt(0)
	s_waitcnt_vscnt null, 0x0
	s_barrier
	buffer_gl0_inv
	s_clause 0x37
	buffer_load_dword v17, off, s[0:3], 0 offset:168
	buffer_load_dword v18, off, s[0:3], 0 offset:172
	;; [unrolled: 1-line block ×56, first 2 shown]
	v_mov_b32_e32 v72, 0
	s_mov_b32 s4, exec_lo
	ds_read_b128 v[5:8], v72 offset:1072
	s_clause 0x2
	buffer_load_dword v96, off, s[0:3], 0 offset:396
	buffer_load_dword v102, off, s[0:3], 0 offset:372
	;; [unrolled: 1-line block ×3, first 2 shown]
	ds_read_b128 v[1:4], v72 offset:1088
	s_clause 0x4
	buffer_load_dword v110, off, s[0:3], 0 offset:412
	buffer_load_dword v111, off, s[0:3], 0 offset:424
	;; [unrolled: 1-line block ×5, first 2 shown]
	ds_read_b128 v[103:106], v72 offset:1104
	s_waitcnt vmcnt(62) lgkmcnt(2)
	v_mul_f64 v[107:108], v[7:8], v[17:18]
	v_mul_f64 v[17:18], v[5:6], v[17:18]
	s_waitcnt vmcnt(60) lgkmcnt(1)
	v_mul_f64 v[114:115], v[3:4], v[13:14]
	v_mul_f64 v[13:14], v[1:2], v[13:14]
	s_waitcnt vmcnt(56) lgkmcnt(0)
	v_mul_f64 v[116:117], v[103:104], v[11:12]
	v_mul_f64 v[11:12], v[105:106], v[11:12]
	v_fma_f64 v[107:108], v[5:6], v[15:16], -v[107:108]
	v_fma_f64 v[15:16], v[7:8], v[15:16], v[17:18]
	s_clause 0x2
	buffer_load_dword v112, off, s[0:3], 0 offset:428
	buffer_load_dword v18, off, s[0:3], 0 offset:404
	;; [unrolled: 1-line block ×3, first 2 shown]
	s_waitcnt vmcnt(57)
	v_fma_f64 v[118:119], v[1:2], v[9:10], -v[114:115]
	ds_read_b128 v[5:8], v72 offset:1120
	v_fma_f64 v[9:10], v[3:4], v[9:10], v[13:14]
	s_waitcnt vmcnt(51)
	v_fma_f64 v[103:104], v[103:104], v[33:34], -v[11:12]
	v_fma_f64 v[33:34], v[105:106], v[33:34], v[116:117]
	v_add_f64 v[107:108], v[107:108], 0
	v_add_f64 v[13:14], v[15:16], 0
	s_clause 0x4
	buffer_load_dword v16, off, s[0:3], 0 offset:444
	buffer_load_dword v115, off, s[0:3], 0 offset:456
	;; [unrolled: 1-line block ×5, first 2 shown]
	s_waitcnt lgkmcnt(0)
	v_mul_f64 v[121:122], v[5:6], v[21:22]
	v_mul_f64 v[21:22], v[7:8], v[21:22]
	ds_read_b128 v[1:4], v72 offset:1136
	s_clause 0x2
	buffer_load_dword v116, off, s[0:3], 0 offset:460
	buffer_load_dword v106, off, s[0:3], 0 offset:436
	;; [unrolled: 1-line block ×3, first 2 shown]
	v_add_f64 v[107:108], v[107:108], v[118:119]
	v_add_f64 v[13:14], v[13:14], v[9:10]
	ds_read_b128 v[9:12], v72 offset:1152
	s_waitcnt vmcnt(58) lgkmcnt(1)
	v_mul_f64 v[117:118], v[1:2], v[25:26]
	v_mul_f64 v[25:26], v[3:4], v[25:26]
	s_waitcnt vmcnt(56)
	v_fma_f64 v[21:22], v[5:6], v[27:28], -v[21:22]
	v_fma_f64 v[27:28], v[7:8], v[27:28], v[121:122]
	s_waitcnt vmcnt(52) lgkmcnt(0)
	v_mul_f64 v[123:124], v[9:10], v[29:30]
	v_add_f64 v[103:104], v[107:108], v[103:104]
	v_add_f64 v[13:14], v[13:14], v[33:34]
	s_clause 0x4
	buffer_load_dword v34, off, s[0:3], 0 offset:476
	buffer_load_dword v107, off, s[0:3], 0 offset:488
	;; [unrolled: 1-line block ×5, first 2 shown]
	v_mul_f64 v[29:30], v[11:12], v[29:30]
	s_waitcnt vmcnt(56)
	v_fma_f64 v[25:26], v[1:2], v[19:20], -v[25:26]
	ds_read_b128 v[5:8], v72 offset:1168
	v_fma_f64 v[19:20], v[3:4], v[19:20], v[117:118]
	v_add_f64 v[21:22], v[103:104], v[21:22]
	v_add_f64 v[13:14], v[13:14], v[27:28]
	s_clause 0x2
	buffer_load_dword v108, off, s[0:3], 0 offset:492
	buffer_load_dword v28, off, s[0:3], 0 offset:468
	;; [unrolled: 1-line block ×3, first 2 shown]
	s_waitcnt vmcnt(58) lgkmcnt(0)
	v_mul_f64 v[103:104], v[5:6], v[35:36]
	v_mul_f64 v[35:36], v[7:8], v[35:36]
	s_waitcnt vmcnt(56)
	v_fma_f64 v[29:30], v[9:10], v[37:38], -v[29:30]
	ds_read_b128 v[1:4], v72 offset:1184
	v_add_f64 v[21:22], v[21:22], v[25:26]
	v_fma_f64 v[25:26], v[11:12], v[37:38], v[123:124]
	v_add_f64 v[13:14], v[13:14], v[19:20]
	s_clause 0x4
	buffer_load_dword v20, off, s[0:3], 0 offset:508
	buffer_load_dword v37, off, s[0:3], 0 offset:520
	;; [unrolled: 1-line block ×5, first 2 shown]
	s_waitcnt vmcnt(57) lgkmcnt(0)
	v_mul_f64 v[118:119], v[1:2], v[39:40]
	v_mul_f64 v[39:40], v[3:4], v[39:40]
	s_waitcnt vmcnt(56)
	v_fma_f64 v[35:36], v[5:6], v[23:24], -v[35:36]
	ds_read_b128 v[9:12], v72 offset:1200
	v_fma_f64 v[23:24], v[7:8], v[23:24], v[103:104]
	v_add_f64 v[21:22], v[21:22], v[29:30]
	v_add_f64 v[13:14], v[13:14], v[25:26]
	s_clause 0x2
	buffer_load_dword v38, off, s[0:3], 0 offset:524
	buffer_load_dword v26, off, s[0:3], 0 offset:500
	;; [unrolled: 1-line block ×3, first 2 shown]
	ds_read_b128 v[5:8], v72 offset:1216
	s_waitcnt vmcnt(58) lgkmcnt(1)
	v_mul_f64 v[29:30], v[9:10], v[43:44]
	v_mul_f64 v[43:44], v[11:12], v[43:44]
	s_waitcnt vmcnt(56)
	v_fma_f64 v[39:40], v[1:2], v[45:46], -v[39:40]
	v_add_f64 v[21:22], v[21:22], v[35:36]
	v_fma_f64 v[35:36], v[3:4], v[45:46], v[118:119]
	v_add_f64 v[13:14], v[13:14], v[23:24]
	s_clause 0x4
	buffer_load_dword v24, off, s[0:3], 0 offset:540
	buffer_load_dword v45, off, s[0:3], 0 offset:552
	;; [unrolled: 1-line block ×5, first 2 shown]
	s_waitcnt vmcnt(57) lgkmcnt(0)
	v_mul_f64 v[124:125], v[5:6], v[47:48]
	v_mul_f64 v[47:48], v[7:8], v[47:48]
	s_waitcnt vmcnt(56)
	v_fma_f64 v[43:44], v[9:10], v[31:32], -v[43:44]
	ds_read_b128 v[1:4], v72 offset:1232
	v_fma_f64 v[29:30], v[11:12], v[31:32], v[29:30]
	s_clause 0x2
	buffer_load_dword v46, off, s[0:3], 0 offset:556
	buffer_load_dword v32, off, s[0:3], 0 offset:532
	;; [unrolled: 1-line block ×3, first 2 shown]
	ds_read_b128 v[9:12], v72 offset:1248
	v_add_f64 v[21:22], v[21:22], v[39:40]
	v_add_f64 v[13:14], v[13:14], v[35:36]
	s_waitcnt vmcnt(58) lgkmcnt(1)
	v_mul_f64 v[39:40], v[3:4], v[51:52]
	s_waitcnt vmcnt(56)
	v_fma_f64 v[47:48], v[5:6], v[53:54], -v[47:48]
	v_mul_f64 v[35:36], v[1:2], v[51:52]
	v_add_f64 v[21:22], v[21:22], v[43:44]
	v_fma_f64 v[43:44], v[7:8], v[53:54], v[124:125]
	v_add_f64 v[13:14], v[13:14], v[29:30]
	s_clause 0x4
	buffer_load_dword v30, off, s[0:3], 0 offset:572
	buffer_load_dword v51, off, s[0:3], 0 offset:584
	buffer_load_dword v53, off, s[0:3], 0 offset:576
	buffer_load_dword v29, off, s[0:3], 0 offset:568
	buffer_load_dword v104, off, s[0:3], 0 offset:548
	s_waitcnt vmcnt(57) lgkmcnt(0)
	v_mul_f64 v[124:125], v[9:10], v[55:56]
	v_mul_f64 v[54:55], v[11:12], v[55:56]
	s_waitcnt vmcnt(56)
	v_fma_f64 v[39:40], v[1:2], v[41:42], -v[39:40]
	ds_read_b128 v[5:8], v72 offset:1264
	v_fma_f64 v[35:36], v[3:4], v[41:42], v[35:36]
	s_clause 0x2
	buffer_load_dword v52, off, s[0:3], 0 offset:588
	buffer_load_dword v42, off, s[0:3], 0 offset:564
	;; [unrolled: 1-line block ×3, first 2 shown]
	ds_read_b128 v[1:4], v72 offset:1280
	v_add_f64 v[21:22], v[21:22], v[47:48]
	v_add_f64 v[13:14], v[13:14], v[43:44]
	s_waitcnt vmcnt(58) lgkmcnt(1)
	v_mul_f64 v[47:48], v[7:8], v[59:60]
	s_waitcnt vmcnt(56)
	v_fma_f64 v[55:56], v[9:10], v[61:62], -v[54:55]
	v_mul_f64 v[43:44], v[5:6], v[59:60]
	v_add_f64 v[21:22], v[21:22], v[39:40]
	v_fma_f64 v[39:40], v[11:12], v[61:62], v[124:125]
	v_add_f64 v[13:14], v[13:14], v[35:36]
	s_clause 0x4
	buffer_load_dword v36, off, s[0:3], 0 offset:604
	buffer_load_dword v59, off, s[0:3], 0 offset:616
	;; [unrolled: 1-line block ×5, first 2 shown]
	s_waitcnt vmcnt(57) lgkmcnt(0)
	v_mul_f64 v[124:125], v[1:2], v[93:94]
	v_mul_f64 v[93:94], v[3:4], v[93:94]
	s_waitcnt vmcnt(56)
	v_fma_f64 v[47:48], v[5:6], v[49:50], -v[47:48]
	ds_read_b128 v[9:12], v72 offset:1296
	v_fma_f64 v[43:44], v[7:8], v[49:50], v[43:44]
	v_add_f64 v[21:22], v[21:22], v[55:56]
	v_add_f64 v[13:14], v[13:14], v[39:40]
	s_clause 0x2
	buffer_load_dword v60, off, s[0:3], 0 offset:620
	buffer_load_dword v40, off, s[0:3], 0 offset:596
	;; [unrolled: 1-line block ×3, first 2 shown]
	ds_read_b128 v[5:8], v72 offset:1312
	s_waitcnt vmcnt(58) lgkmcnt(1)
	v_mul_f64 v[55:56], v[11:12], v[95:96]
	s_waitcnt vmcnt(56)
	v_fma_f64 v[93:94], v[1:2], v[101:102], -v[93:94]
	v_mul_f64 v[49:50], v[9:10], v[95:96]
	v_add_f64 v[21:22], v[21:22], v[47:48]
	v_fma_f64 v[47:48], v[3:4], v[101:102], v[124:125]
	v_add_f64 v[13:14], v[13:14], v[43:44]
	s_clause 0x4
	buffer_load_dword v44, off, s[0:3], 0 offset:636
	buffer_load_dword v95, off, s[0:3], 0 offset:648
	;; [unrolled: 1-line block ×5, first 2 shown]
	s_waitcnt vmcnt(57) lgkmcnt(0)
	v_mul_f64 v[124:125], v[5:6], v[109:110]
	v_mul_f64 v[109:110], v[7:8], v[109:110]
	s_waitcnt vmcnt(56)
	v_fma_f64 v[55:56], v[9:10], v[57:58], -v[55:56]
	ds_read_b128 v[1:4], v72 offset:1328
	v_fma_f64 v[49:50], v[11:12], v[57:58], v[49:50]
	v_add_f64 v[21:22], v[21:22], v[93:94]
	v_add_f64 v[13:14], v[13:14], v[47:48]
	s_clause 0x2
	buffer_load_dword v96, off, s[0:3], 0 offset:652
	buffer_load_dword v48, off, s[0:3], 0 offset:628
	;; [unrolled: 1-line block ×3, first 2 shown]
	ds_read_b128 v[9:12], v72 offset:1344
	s_waitcnt vmcnt(58) lgkmcnt(1)
	v_mul_f64 v[93:94], v[3:4], v[111:112]
	v_mul_f64 v[57:58], v[1:2], v[111:112]
	s_waitcnt vmcnt(56)
	v_fma_f64 v[109:110], v[5:6], v[17:18], -v[109:110]
	v_fma_f64 v[17:18], v[7:8], v[17:18], v[124:125]
	v_add_f64 v[21:22], v[21:22], v[55:56]
	v_add_f64 v[13:14], v[13:14], v[49:50]
	s_clause 0x4
	buffer_load_dword v50, off, s[0:3], 0 offset:668
	buffer_load_dword v55, off, s[0:3], 0 offset:680
	;; [unrolled: 1-line block ×5, first 2 shown]
	ds_read_b128 v[5:8], v72 offset:1360
	s_waitcnt vmcnt(57) lgkmcnt(1)
	v_mul_f64 v[124:125], v[9:10], v[15:16]
	v_mul_f64 v[15:16], v[11:12], v[15:16]
	s_waitcnt vmcnt(56)
	v_fma_f64 v[93:94], v[1:2], v[113:114], -v[93:94]
	v_fma_f64 v[57:58], v[3:4], v[113:114], v[57:58]
	v_add_f64 v[21:22], v[21:22], v[109:110]
	v_add_f64 v[13:14], v[13:14], v[17:18]
	s_clause 0x2
	buffer_load_dword v56, off, s[0:3], 0 offset:684
	buffer_load_dword v18, off, s[0:3], 0 offset:660
	;; [unrolled: 1-line block ×3, first 2 shown]
	s_waitcnt vmcnt(58) lgkmcnt(0)
	v_mul_f64 v[113:114], v[7:8], v[115:116]
	ds_read_b128 v[1:4], v72 offset:1376
	v_mul_f64 v[109:110], v[5:6], v[115:116]
	s_waitcnt vmcnt(56)
	v_fma_f64 v[15:16], v[9:10], v[105:106], -v[15:16]
	v_add_f64 v[21:22], v[21:22], v[93:94]
	v_fma_f64 v[93:94], v[11:12], v[105:106], v[124:125]
	v_add_f64 v[13:14], v[13:14], v[57:58]
	s_clause 0x4
	buffer_load_dword v58, off, s[0:3], 0 offset:700
	buffer_load_dword v105, off, s[0:3], 0 offset:712
	buffer_load_dword v115, off, s[0:3], 0 offset:704
	buffer_load_dword v57, off, s[0:3], 0 offset:696
	buffer_load_dword v112, off, s[0:3], 0 offset:676
	ds_read_b128 v[9:12], v72 offset:1392
	s_waitcnt vmcnt(57) lgkmcnt(1)
	v_mul_f64 v[124:125], v[1:2], v[33:34]
	v_mul_f64 v[33:34], v[3:4], v[33:34]
	s_waitcnt vmcnt(56)
	v_fma_f64 v[113:114], v[5:6], v[120:121], -v[113:114]
	v_add_f64 v[15:16], v[21:22], v[15:16]
	v_fma_f64 v[21:22], v[7:8], v[120:121], v[109:110]
	v_add_f64 v[13:14], v[13:14], v[93:94]
	s_clause 0x2
	buffer_load_dword v106, off, s[0:3], 0 offset:716
	buffer_load_dword v94, off, s[0:3], 0 offset:692
	;; [unrolled: 1-line block ×3, first 2 shown]
	ds_read_b128 v[5:8], v72 offset:1408
	s_waitcnt vmcnt(58) lgkmcnt(1)
	v_mul_f64 v[109:110], v[9:10], v[107:108]
	v_mul_f64 v[107:108], v[11:12], v[107:108]
	s_waitcnt vmcnt(56)
	v_fma_f64 v[33:34], v[1:2], v[27:28], -v[33:34]
	v_fma_f64 v[27:28], v[3:4], v[27:28], v[124:125]
	v_add_f64 v[15:16], v[15:16], v[113:114]
	v_add_f64 v[13:14], v[13:14], v[21:22]
	s_clause 0x4
	buffer_load_dword v22, off, s[0:3], 0 offset:732
	buffer_load_dword v113, off, s[0:3], 0 offset:744
	;; [unrolled: 1-line block ×5, first 2 shown]
	ds_read_b128 v[1:4], v72 offset:1424
	s_waitcnt vmcnt(57) lgkmcnt(1)
	v_mul_f64 v[120:121], v[5:6], v[19:20]
	v_mul_f64 v[19:20], v[7:8], v[19:20]
	s_waitcnt vmcnt(56)
	v_fma_f64 v[107:108], v[9:10], v[122:123], -v[107:108]
	v_add_f64 v[15:16], v[15:16], v[33:34]
	v_fma_f64 v[33:34], v[11:12], v[122:123], v[109:110]
	v_add_f64 v[13:14], v[13:14], v[27:28]
	s_clause 0x2
	buffer_load_dword v114, off, s[0:3], 0 offset:748
	buffer_load_dword v28, off, s[0:3], 0 offset:724
	;; [unrolled: 1-line block ×3, first 2 shown]
	ds_read_b128 v[9:12], v72 offset:1440
	s_waitcnt vmcnt(58) lgkmcnt(1)
	v_mul_f64 v[109:110], v[1:2], v[37:38]
	v_mul_f64 v[37:38], v[3:4], v[37:38]
	s_waitcnt vmcnt(56)
	v_fma_f64 v[19:20], v[5:6], v[25:26], -v[19:20]
	v_fma_f64 v[25:26], v[7:8], v[25:26], v[120:121]
	v_add_f64 v[15:16], v[15:16], v[107:108]
	v_add_f64 v[13:14], v[13:14], v[33:34]
	s_clause 0x4
	buffer_load_dword v34, off, s[0:3], 0 offset:764
	buffer_load_dword v107, off, s[0:3], 0 offset:776
	;; [unrolled: 1-line block ×5, first 2 shown]
	ds_read_b128 v[5:8], v72 offset:1456
	s_waitcnt vmcnt(57) lgkmcnt(1)
	v_mul_f64 v[122:123], v[9:10], v[23:24]
	v_mul_f64 v[23:24], v[11:12], v[23:24]
	s_waitcnt vmcnt(56)
	v_fma_f64 v[37:38], v[1:2], v[117:118], -v[37:38]
	v_add_f64 v[15:16], v[15:16], v[19:20]
	v_fma_f64 v[19:20], v[3:4], v[117:118], v[109:110]
	v_add_f64 v[13:14], v[13:14], v[25:26]
	s_clause 0x2
	buffer_load_dword v108, off, s[0:3], 0 offset:780
	buffer_load_dword v26, off, s[0:3], 0 offset:756
	;; [unrolled: 1-line block ×3, first 2 shown]
	s_waitcnt vmcnt(58) lgkmcnt(0)
	v_mul_f64 v[109:110], v[5:6], v[45:46]
	v_mul_f64 v[45:46], v[7:8], v[45:46]
	ds_read_b128 v[1:4], v72 offset:1472
	s_waitcnt vmcnt(56)
	v_fma_f64 v[23:24], v[9:10], v[31:32], -v[23:24]
	v_fma_f64 v[31:32], v[11:12], v[31:32], v[122:123]
	v_add_f64 v[15:16], v[15:16], v[37:38]
	v_add_f64 v[13:14], v[13:14], v[19:20]
	s_clause 0x4
	buffer_load_dword v20, off, s[0:3], 0 offset:796
	buffer_load_dword v37, off, s[0:3], 0 offset:808
	;; [unrolled: 1-line block ×5, first 2 shown]
	ds_read_b128 v[9:12], v72 offset:1488
	s_waitcnt vmcnt(57) lgkmcnt(1)
	v_mul_f64 v[123:124], v[1:2], v[29:30]
	v_mul_f64 v[29:30], v[3:4], v[29:30]
	s_waitcnt vmcnt(56)
	v_fma_f64 v[45:46], v[5:6], v[103:104], -v[45:46]
	v_add_f64 v[15:16], v[15:16], v[23:24]
	v_fma_f64 v[23:24], v[7:8], v[103:104], v[109:110]
	v_add_f64 v[13:14], v[13:14], v[31:32]
	s_clause 0x2
	buffer_load_dword v38, off, s[0:3], 0 offset:812
	buffer_load_dword v32, off, s[0:3], 0 offset:788
	;; [unrolled: 1-line block ×3, first 2 shown]
	s_waitcnt vmcnt(58) lgkmcnt(0)
	v_mul_f64 v[103:104], v[9:10], v[51:52]
	v_mul_f64 v[51:52], v[11:12], v[51:52]
	ds_read_b128 v[5:8], v72 offset:1504
	s_waitcnt vmcnt(56)
	v_fma_f64 v[29:30], v[1:2], v[41:42], -v[29:30]
	v_fma_f64 v[41:42], v[3:4], v[41:42], v[123:124]
	v_add_f64 v[15:16], v[15:16], v[45:46]
	v_add_f64 v[13:14], v[13:14], v[23:24]
	s_clause 0x4
	buffer_load_dword v24, off, s[0:3], 0 offset:828
	buffer_load_dword v45, off, s[0:3], 0 offset:840
	buffer_load_dword v109, off, s[0:3], 0 offset:832
	buffer_load_dword v23, off, s[0:3], 0 offset:824
	buffer_load_dword v118, off, s[0:3], 0 offset:804
	ds_read_b128 v[1:4], v72 offset:1520
	s_waitcnt vmcnt(57) lgkmcnt(1)
	v_mul_f64 v[123:124], v[5:6], v[35:36]
	v_mul_f64 v[35:36], v[7:8], v[35:36]
	s_waitcnt vmcnt(56)
	v_fma_f64 v[51:52], v[9:10], v[53:54], -v[51:52]
	v_add_f64 v[15:16], v[15:16], v[29:30]
	v_fma_f64 v[29:30], v[11:12], v[53:54], v[103:104]
	v_add_f64 v[13:14], v[13:14], v[41:42]
	s_clause 0x2
	buffer_load_dword v46, off, s[0:3], 0 offset:844
	buffer_load_dword v42, off, s[0:3], 0 offset:820
	buffer_load_dword v41, off, s[0:3], 0 offset:816
	ds_read_b128 v[9:12], v72 offset:1536
	s_waitcnt vmcnt(58) lgkmcnt(1)
	v_mul_f64 v[53:54], v[1:2], v[59:60]
	v_mul_f64 v[59:60], v[3:4], v[59:60]
	s_waitcnt vmcnt(56)
	v_fma_f64 v[35:36], v[5:6], v[39:40], -v[35:36]
	v_fma_f64 v[39:40], v[7:8], v[39:40], v[123:124]
	v_add_f64 v[15:16], v[15:16], v[51:52]
	v_add_f64 v[13:14], v[13:14], v[29:30]
	s_clause 0x4
	buffer_load_dword v30, off, s[0:3], 0 offset:860
	buffer_load_dword v51, off, s[0:3], 0 offset:872
	buffer_load_dword v103, off, s[0:3], 0 offset:864
	buffer_load_dword v29, off, s[0:3], 0 offset:856
	buffer_load_dword v110, off, s[0:3], 0 offset:836
	ds_read_b128 v[5:8], v72 offset:1552
	s_waitcnt vmcnt(57) lgkmcnt(1)
	v_mul_f64 v[123:124], v[9:10], v[43:44]
	v_mul_f64 v[43:44], v[11:12], v[43:44]
	s_waitcnt vmcnt(56)
	v_fma_f64 v[59:60], v[1:2], v[61:62], -v[59:60]
	v_add_f64 v[15:16], v[15:16], v[35:36]
	v_fma_f64 v[35:36], v[3:4], v[61:62], v[53:54]
	v_add_f64 v[13:14], v[13:14], v[39:40]
	s_clause 0x2
	buffer_load_dword v52, off, s[0:3], 0 offset:876
	buffer_load_dword v40, off, s[0:3], 0 offset:852
	buffer_load_dword v39, off, s[0:3], 0 offset:848
	ds_read_b128 v[1:4], v72 offset:1568
	s_waitcnt vmcnt(58) lgkmcnt(1)
	v_mul_f64 v[61:62], v[7:8], v[95:96]
	v_mul_f64 v[53:54], v[5:6], v[95:96]
	;; [unrolled: 28-line block ×3, first 2 shown]
	s_waitcnt vmcnt(56)
	v_fma_f64 v[49:50], v[1:2], v[17:18], -v[49:50]
	v_fma_f64 v[17:18], v[3:4], v[17:18], v[123:124]
	v_add_f64 v[15:16], v[15:16], v[61:62]
	v_add_f64 v[13:14], v[13:14], v[43:44]
	s_clause 0x4
	buffer_load_dword v44, off, s[0:3], 0 offset:924
	buffer_load_dword v61, off, s[0:3], 0 offset:936
	;; [unrolled: 1-line block ×5, first 2 shown]
	ds_read_b128 v[1:4], v72 offset:1616
	s_waitcnt vmcnt(57) lgkmcnt(1)
	v_mul_f64 v[123:124], v[5:6], v[57:58]
	v_mul_f64 v[57:58], v[7:8], v[57:58]
	s_waitcnt vmcnt(56)
	v_fma_f64 v[55:56], v[9:10], v[111:112], -v[55:56]
	v_add_f64 v[15:16], v[15:16], v[49:50]
	v_fma_f64 v[49:50], v[11:12], v[111:112], v[53:54]
	v_add_f64 v[13:14], v[13:14], v[17:18]
	s_clause 0x2
	buffer_load_dword v62, off, s[0:3], 0 offset:940
	buffer_load_dword v18, off, s[0:3], 0 offset:916
	;; [unrolled: 1-line block ×3, first 2 shown]
	ds_read_b128 v[9:12], v72 offset:1632
	buffer_load_dword v102, off, s[0:3], 0 offset:932
	s_waitcnt vmcnt(59) lgkmcnt(1)
	v_mul_f64 v[53:54], v[1:2], v[105:106]
	v_mul_f64 v[105:106], v[3:4], v[105:106]
	s_waitcnt vmcnt(57)
	v_fma_f64 v[57:58], v[5:6], v[93:94], -v[57:58]
	v_add_f64 v[15:16], v[15:16], v[55:56]
	v_fma_f64 v[55:56], v[7:8], v[93:94], v[123:124]
	v_add_f64 v[13:14], v[13:14], v[49:50]
	ds_read_b128 v[5:8], v72 offset:1648
	s_waitcnt vmcnt(53) lgkmcnt(1)
	v_mul_f64 v[49:50], v[9:10], v[21:22]
	v_mul_f64 v[21:22], v[11:12], v[21:22]
	s_waitcnt vmcnt(52)
	v_fma_f64 v[93:94], v[1:2], v[115:116], -v[105:106]
	v_fma_f64 v[53:54], v[3:4], v[115:116], v[53:54]
	ds_read_b128 v[1:4], v72 offset:1664
	v_add_f64 v[15:16], v[15:16], v[57:58]
	v_add_f64 v[13:14], v[13:14], v[55:56]
	s_waitcnt vmcnt(51) lgkmcnt(1)
	v_mul_f64 v[57:58], v[7:8], v[113:114]
	v_mul_f64 v[55:56], v[5:6], v[113:114]
	s_waitcnt vmcnt(49)
	v_fma_f64 v[21:22], v[9:10], v[27:28], -v[21:22]
	v_fma_f64 v[27:28], v[11:12], v[27:28], v[49:50]
	v_add_f64 v[15:16], v[15:16], v[93:94]
	v_add_f64 v[13:14], v[13:14], v[53:54]
	s_clause 0x3
	buffer_load_dword v49, off, s[0:3], 0 offset:144
	buffer_load_dword v50, off, s[0:3], 0 offset:148
	;; [unrolled: 1-line block ×4, first 2 shown]
	ds_read_b128 v[9:12], v72 offset:1680
	s_waitcnt vmcnt(49) lgkmcnt(1)
	v_mul_f64 v[93:94], v[1:2], v[33:34]
	v_mul_f64 v[33:34], v[3:4], v[33:34]
	s_waitcnt vmcnt(48)
	v_fma_f64 v[57:58], v[5:6], v[119:120], -v[57:58]
	v_add_f64 v[15:16], v[15:16], v[21:22]
	v_fma_f64 v[21:22], v[7:8], v[119:120], v[55:56]
	v_add_f64 v[13:14], v[13:14], v[27:28]
	ds_read_b128 v[5:8], v72 offset:1696
	s_waitcnt vmcnt(47) lgkmcnt(1)
	v_mul_f64 v[55:56], v[11:12], v[107:108]
	v_mul_f64 v[27:28], v[9:10], v[107:108]
	s_waitcnt vmcnt(45)
	v_fma_f64 v[33:34], v[1:2], v[25:26], -v[33:34]
	v_fma_f64 v[25:26], v[3:4], v[25:26], v[93:94]
	ds_read_b128 v[1:4], v72 offset:1712
	v_add_f64 v[15:16], v[15:16], v[57:58]
	v_add_f64 v[13:14], v[13:14], v[21:22]
	s_waitcnt vmcnt(41) lgkmcnt(1)
	v_mul_f64 v[21:22], v[5:6], v[19:20]
	v_mul_f64 v[19:20], v[7:8], v[19:20]
	s_waitcnt vmcnt(40)
	v_fma_f64 v[55:56], v[9:10], v[121:122], -v[55:56]
	v_fma_f64 v[27:28], v[11:12], v[121:122], v[27:28]
	ds_read_b128 v[9:12], v72 offset:1728
	v_add_f64 v[15:16], v[15:16], v[33:34]
	v_add_f64 v[13:14], v[13:14], v[25:26]
	s_waitcnt vmcnt(39) lgkmcnt(1)
	v_mul_f64 v[33:34], v[3:4], v[37:38]
	v_mul_f64 v[25:26], v[1:2], v[37:38]
	s_waitcnt vmcnt(37)
	v_fma_f64 v[19:20], v[5:6], v[31:32], -v[19:20]
	v_fma_f64 v[21:22], v[7:8], v[31:32], v[21:22]
	ds_read_b128 v[5:8], v72 offset:1744
	v_add_f64 v[15:16], v[15:16], v[55:56]
	v_add_f64 v[13:14], v[13:14], v[27:28]
	s_waitcnt vmcnt(33) lgkmcnt(1)
	v_mul_f64 v[27:28], v[9:10], v[23:24]
	v_mul_f64 v[23:24], v[11:12], v[23:24]
	s_waitcnt vmcnt(32)
	v_fma_f64 v[31:32], v[1:2], v[117:118], -v[33:34]
	v_add_f64 v[15:16], v[15:16], v[19:20]
	v_fma_f64 v[19:20], v[3:4], v[117:118], v[25:26]
	v_add_f64 v[13:14], v[13:14], v[21:22]
	ds_read_b128 v[1:4], v72 offset:1760
	s_waitcnt vmcnt(31) lgkmcnt(1)
	v_mul_f64 v[25:26], v[7:8], v[45:46]
	v_mul_f64 v[21:22], v[5:6], v[45:46]
	s_waitcnt vmcnt(29)
	v_fma_f64 v[23:24], v[9:10], v[41:42], -v[23:24]
	v_fma_f64 v[27:28], v[11:12], v[41:42], v[27:28]
	ds_read_b128 v[9:12], v72 offset:1776
	v_add_f64 v[15:16], v[15:16], v[31:32]
	v_add_f64 v[13:14], v[13:14], v[19:20]
	s_waitcnt vmcnt(25) lgkmcnt(1)
	v_mul_f64 v[19:20], v[1:2], v[29:30]
	v_mul_f64 v[29:30], v[3:4], v[29:30]
	s_waitcnt vmcnt(24)
	v_fma_f64 v[25:26], v[5:6], v[109:110], -v[25:26]
	v_fma_f64 v[21:22], v[7:8], v[109:110], v[21:22]
	ds_read_b128 v[5:8], v72 offset:1792
	v_add_f64 v[15:16], v[15:16], v[23:24]
	v_add_f64 v[13:14], v[13:14], v[27:28]
	s_waitcnt vmcnt(23) lgkmcnt(1)
	v_mul_f64 v[27:28], v[11:12], v[51:52]
	v_mul_f64 v[23:24], v[9:10], v[51:52]
	s_waitcnt vmcnt(21)
	v_fma_f64 v[29:30], v[1:2], v[39:40], -v[29:30]
	v_fma_f64 v[19:20], v[3:4], v[39:40], v[19:20]
	ds_read_b128 v[1:4], v72 offset:1808
	v_add_f64 v[15:16], v[15:16], v[25:26]
	v_add_f64 v[13:14], v[13:14], v[21:22]
	s_waitcnt vmcnt(17) lgkmcnt(1)
	v_mul_f64 v[25:26], v[7:8], v[35:36]
	s_waitcnt vmcnt(16)
	v_fma_f64 v[27:28], v[9:10], v[103:104], -v[27:28]
	v_mul_f64 v[21:22], v[5:6], v[35:36]
	v_fma_f64 v[23:24], v[11:12], v[103:104], v[23:24]
	ds_read_b128 v[9:12], v72 offset:1824
	v_add_f64 v[15:16], v[15:16], v[29:30]
	v_add_f64 v[13:14], v[13:14], v[19:20]
	s_waitcnt vmcnt(15) lgkmcnt(1)
	v_mul_f64 v[29:30], v[3:4], v[59:60]
	v_mul_f64 v[19:20], v[1:2], v[59:60]
	s_waitcnt vmcnt(13)
	v_fma_f64 v[25:26], v[5:6], v[47:48], -v[25:26]
	v_fma_f64 v[21:22], v[7:8], v[47:48], v[21:22]
	ds_read_b128 v[5:8], v72 offset:1840
	v_add_f64 v[15:16], v[15:16], v[27:28]
	v_add_f64 v[13:14], v[13:14], v[23:24]
	s_waitcnt vmcnt(9) lgkmcnt(1)
	v_mul_f64 v[27:28], v[11:12], v[43:44]
	s_waitcnt vmcnt(8)
	v_fma_f64 v[1:2], v[1:2], v[95:96], -v[29:30]
	v_mul_f64 v[23:24], v[9:10], v[43:44]
	v_fma_f64 v[3:4], v[3:4], v[95:96], v[19:20]
	v_add_f64 v[15:16], v[15:16], v[25:26]
	v_add_f64 v[13:14], v[13:14], v[21:22]
	s_waitcnt vmcnt(7) lgkmcnt(0)
	v_mul_f64 v[21:22], v[7:8], v[61:62]
	v_mul_f64 v[19:20], v[5:6], v[61:62]
	s_waitcnt vmcnt(5)
	v_fma_f64 v[9:10], v[9:10], v[17:18], -v[27:28]
	v_fma_f64 v[11:12], v[11:12], v[17:18], v[23:24]
	v_add_f64 v[1:2], v[15:16], v[1:2]
	v_add_f64 v[3:4], v[13:14], v[3:4]
	s_waitcnt vmcnt(4)
	v_fma_f64 v[5:6], v[5:6], v[101:102], -v[21:22]
	v_fma_f64 v[7:8], v[7:8], v[101:102], v[19:20]
	v_add_f64 v[1:2], v[1:2], v[9:10]
	v_add_f64 v[3:4], v[3:4], v[11:12]
	;; [unrolled: 1-line block ×4, first 2 shown]
	s_waitcnt vmcnt(2)
	v_add_f64 v[1:2], v[49:50], -v[1:2]
	s_waitcnt vmcnt(0)
	v_add_f64 v[3:4], v[53:54], -v[3:4]
	buffer_store_dword v2, off, s[0:3], 0 offset:148
	buffer_store_dword v1, off, s[0:3], 0 offset:144
	;; [unrolled: 1-line block ×4, first 2 shown]
	v_cmpx_lt_u32_e32 7, v0
	s_cbranch_execz .LBB57_347
; %bb.346:
	v_mov_b32_e32 v4, s63
	s_clause 0x3
	buffer_load_dword v1, v4, s[0:3], 0 offen
	buffer_load_dword v2, v4, s[0:3], 0 offen offset:4
	buffer_load_dword v3, v4, s[0:3], 0 offen offset:8
	;; [unrolled: 1-line block ×3, first 2 shown]
	buffer_store_dword v72, off, s[0:3], 0 offset:128
	buffer_store_dword v72, off, s[0:3], 0 offset:132
	;; [unrolled: 1-line block ×4, first 2 shown]
	s_waitcnt vmcnt(0)
	ds_write_b128 v63, v[1:4]
.LBB57_347:
	s_or_b32 exec_lo, exec_lo, s4
	s_waitcnt lgkmcnt(0)
	s_waitcnt_vscnt null, 0x0
	s_barrier
	buffer_gl0_inv
	s_clause 0x37
	buffer_load_dword v17, off, s[0:3], 0 offset:152
	buffer_load_dword v18, off, s[0:3], 0 offset:156
	;; [unrolled: 1-line block ×56, first 2 shown]
	ds_read_b128 v[5:8], v72 offset:1056
	s_clause 0x2
	buffer_load_dword v96, off, s[0:3], 0 offset:380
	buffer_load_dword v102, off, s[0:3], 0 offset:356
	;; [unrolled: 1-line block ×3, first 2 shown]
	ds_read_b128 v[1:4], v72 offset:1072
	s_clause 0x4
	buffer_load_dword v110, off, s[0:3], 0 offset:396
	buffer_load_dword v111, off, s[0:3], 0 offset:408
	;; [unrolled: 1-line block ×5, first 2 shown]
	ds_read_b128 v[103:106], v72 offset:1088
	s_mov_b32 s4, exec_lo
	s_waitcnt vmcnt(62) lgkmcnt(2)
	v_mul_f64 v[107:108], v[7:8], v[17:18]
	v_mul_f64 v[17:18], v[5:6], v[17:18]
	s_waitcnt vmcnt(60) lgkmcnt(1)
	v_mul_f64 v[114:115], v[3:4], v[13:14]
	v_mul_f64 v[13:14], v[1:2], v[13:14]
	;; [unrolled: 3-line block ×3, first 2 shown]
	v_fma_f64 v[107:108], v[5:6], v[15:16], -v[107:108]
	v_fma_f64 v[15:16], v[7:8], v[15:16], v[17:18]
	s_clause 0x2
	buffer_load_dword v112, off, s[0:3], 0 offset:412
	buffer_load_dword v18, off, s[0:3], 0 offset:388
	;; [unrolled: 1-line block ×3, first 2 shown]
	s_waitcnt vmcnt(57)
	v_fma_f64 v[118:119], v[1:2], v[9:10], -v[114:115]
	ds_read_b128 v[5:8], v72 offset:1104
	v_fma_f64 v[9:10], v[3:4], v[9:10], v[13:14]
	s_waitcnt vmcnt(51)
	v_fma_f64 v[103:104], v[103:104], v[33:34], -v[11:12]
	v_fma_f64 v[33:34], v[105:106], v[33:34], v[116:117]
	v_add_f64 v[107:108], v[107:108], 0
	v_add_f64 v[13:14], v[15:16], 0
	s_clause 0x4
	buffer_load_dword v16, off, s[0:3], 0 offset:428
	buffer_load_dword v115, off, s[0:3], 0 offset:440
	;; [unrolled: 1-line block ×5, first 2 shown]
	s_waitcnt lgkmcnt(0)
	v_mul_f64 v[121:122], v[5:6], v[21:22]
	v_mul_f64 v[21:22], v[7:8], v[21:22]
	ds_read_b128 v[1:4], v72 offset:1120
	s_clause 0x2
	buffer_load_dword v116, off, s[0:3], 0 offset:444
	buffer_load_dword v106, off, s[0:3], 0 offset:420
	;; [unrolled: 1-line block ×3, first 2 shown]
	v_add_f64 v[107:108], v[107:108], v[118:119]
	v_add_f64 v[13:14], v[13:14], v[9:10]
	ds_read_b128 v[9:12], v72 offset:1136
	s_waitcnt vmcnt(58) lgkmcnt(1)
	v_mul_f64 v[117:118], v[1:2], v[25:26]
	v_mul_f64 v[25:26], v[3:4], v[25:26]
	s_waitcnt vmcnt(56)
	v_fma_f64 v[21:22], v[5:6], v[27:28], -v[21:22]
	v_fma_f64 v[27:28], v[7:8], v[27:28], v[121:122]
	s_waitcnt vmcnt(52) lgkmcnt(0)
	v_mul_f64 v[123:124], v[9:10], v[29:30]
	v_add_f64 v[103:104], v[107:108], v[103:104]
	v_add_f64 v[13:14], v[13:14], v[33:34]
	s_clause 0x4
	buffer_load_dword v34, off, s[0:3], 0 offset:460
	buffer_load_dword v107, off, s[0:3], 0 offset:472
	;; [unrolled: 1-line block ×5, first 2 shown]
	v_mul_f64 v[29:30], v[11:12], v[29:30]
	s_waitcnt vmcnt(56)
	v_fma_f64 v[25:26], v[1:2], v[19:20], -v[25:26]
	ds_read_b128 v[5:8], v72 offset:1152
	v_fma_f64 v[19:20], v[3:4], v[19:20], v[117:118]
	v_add_f64 v[21:22], v[103:104], v[21:22]
	v_add_f64 v[13:14], v[13:14], v[27:28]
	s_clause 0x2
	buffer_load_dword v108, off, s[0:3], 0 offset:476
	buffer_load_dword v28, off, s[0:3], 0 offset:452
	;; [unrolled: 1-line block ×3, first 2 shown]
	s_waitcnt vmcnt(58) lgkmcnt(0)
	v_mul_f64 v[103:104], v[5:6], v[35:36]
	v_mul_f64 v[35:36], v[7:8], v[35:36]
	s_waitcnt vmcnt(56)
	v_fma_f64 v[29:30], v[9:10], v[37:38], -v[29:30]
	ds_read_b128 v[1:4], v72 offset:1168
	v_add_f64 v[21:22], v[21:22], v[25:26]
	v_fma_f64 v[25:26], v[11:12], v[37:38], v[123:124]
	v_add_f64 v[13:14], v[13:14], v[19:20]
	s_clause 0x4
	buffer_load_dword v20, off, s[0:3], 0 offset:492
	buffer_load_dword v37, off, s[0:3], 0 offset:504
	;; [unrolled: 1-line block ×5, first 2 shown]
	s_waitcnt vmcnt(57) lgkmcnt(0)
	v_mul_f64 v[118:119], v[1:2], v[39:40]
	v_mul_f64 v[39:40], v[3:4], v[39:40]
	s_waitcnt vmcnt(56)
	v_fma_f64 v[35:36], v[5:6], v[23:24], -v[35:36]
	ds_read_b128 v[9:12], v72 offset:1184
	v_fma_f64 v[23:24], v[7:8], v[23:24], v[103:104]
	v_add_f64 v[21:22], v[21:22], v[29:30]
	v_add_f64 v[13:14], v[13:14], v[25:26]
	s_clause 0x2
	buffer_load_dword v38, off, s[0:3], 0 offset:508
	buffer_load_dword v26, off, s[0:3], 0 offset:484
	;; [unrolled: 1-line block ×3, first 2 shown]
	ds_read_b128 v[5:8], v72 offset:1200
	s_waitcnt vmcnt(58) lgkmcnt(1)
	v_mul_f64 v[29:30], v[9:10], v[43:44]
	v_mul_f64 v[43:44], v[11:12], v[43:44]
	s_waitcnt vmcnt(56)
	v_fma_f64 v[39:40], v[1:2], v[45:46], -v[39:40]
	v_add_f64 v[21:22], v[21:22], v[35:36]
	v_fma_f64 v[35:36], v[3:4], v[45:46], v[118:119]
	v_add_f64 v[13:14], v[13:14], v[23:24]
	s_clause 0x4
	buffer_load_dword v24, off, s[0:3], 0 offset:524
	buffer_load_dword v45, off, s[0:3], 0 offset:536
	;; [unrolled: 1-line block ×5, first 2 shown]
	s_waitcnt vmcnt(57) lgkmcnt(0)
	v_mul_f64 v[124:125], v[5:6], v[47:48]
	v_mul_f64 v[47:48], v[7:8], v[47:48]
	s_waitcnt vmcnt(56)
	v_fma_f64 v[43:44], v[9:10], v[31:32], -v[43:44]
	ds_read_b128 v[1:4], v72 offset:1216
	v_fma_f64 v[29:30], v[11:12], v[31:32], v[29:30]
	s_clause 0x2
	buffer_load_dword v46, off, s[0:3], 0 offset:540
	buffer_load_dword v32, off, s[0:3], 0 offset:516
	;; [unrolled: 1-line block ×3, first 2 shown]
	ds_read_b128 v[9:12], v72 offset:1232
	v_add_f64 v[21:22], v[21:22], v[39:40]
	v_add_f64 v[13:14], v[13:14], v[35:36]
	s_waitcnt vmcnt(58) lgkmcnt(1)
	v_mul_f64 v[39:40], v[3:4], v[51:52]
	s_waitcnt vmcnt(56)
	v_fma_f64 v[47:48], v[5:6], v[53:54], -v[47:48]
	v_mul_f64 v[35:36], v[1:2], v[51:52]
	v_add_f64 v[21:22], v[21:22], v[43:44]
	v_fma_f64 v[43:44], v[7:8], v[53:54], v[124:125]
	v_add_f64 v[13:14], v[13:14], v[29:30]
	s_clause 0x4
	buffer_load_dword v30, off, s[0:3], 0 offset:556
	buffer_load_dword v51, off, s[0:3], 0 offset:568
	;; [unrolled: 1-line block ×5, first 2 shown]
	s_waitcnt vmcnt(57) lgkmcnt(0)
	v_mul_f64 v[124:125], v[9:10], v[55:56]
	v_mul_f64 v[54:55], v[11:12], v[55:56]
	s_waitcnt vmcnt(56)
	v_fma_f64 v[39:40], v[1:2], v[41:42], -v[39:40]
	ds_read_b128 v[5:8], v72 offset:1248
	v_fma_f64 v[35:36], v[3:4], v[41:42], v[35:36]
	s_clause 0x2
	buffer_load_dword v52, off, s[0:3], 0 offset:572
	buffer_load_dword v42, off, s[0:3], 0 offset:548
	;; [unrolled: 1-line block ×3, first 2 shown]
	ds_read_b128 v[1:4], v72 offset:1264
	v_add_f64 v[21:22], v[21:22], v[47:48]
	v_add_f64 v[13:14], v[13:14], v[43:44]
	s_waitcnt vmcnt(58) lgkmcnt(1)
	v_mul_f64 v[47:48], v[7:8], v[59:60]
	s_waitcnt vmcnt(56)
	v_fma_f64 v[55:56], v[9:10], v[61:62], -v[54:55]
	v_mul_f64 v[43:44], v[5:6], v[59:60]
	v_add_f64 v[21:22], v[21:22], v[39:40]
	v_fma_f64 v[39:40], v[11:12], v[61:62], v[124:125]
	v_add_f64 v[13:14], v[13:14], v[35:36]
	s_clause 0x4
	buffer_load_dword v36, off, s[0:3], 0 offset:588
	buffer_load_dword v59, off, s[0:3], 0 offset:600
	buffer_load_dword v61, off, s[0:3], 0 offset:592
	buffer_load_dword v35, off, s[0:3], 0 offset:584
	buffer_load_dword v54, off, s[0:3], 0 offset:564
	s_waitcnt vmcnt(57) lgkmcnt(0)
	v_mul_f64 v[124:125], v[1:2], v[93:94]
	v_mul_f64 v[93:94], v[3:4], v[93:94]
	s_waitcnt vmcnt(56)
	v_fma_f64 v[47:48], v[5:6], v[49:50], -v[47:48]
	ds_read_b128 v[9:12], v72 offset:1280
	v_fma_f64 v[43:44], v[7:8], v[49:50], v[43:44]
	v_add_f64 v[21:22], v[21:22], v[55:56]
	v_add_f64 v[13:14], v[13:14], v[39:40]
	s_clause 0x2
	buffer_load_dword v60, off, s[0:3], 0 offset:604
	buffer_load_dword v40, off, s[0:3], 0 offset:580
	;; [unrolled: 1-line block ×3, first 2 shown]
	ds_read_b128 v[5:8], v72 offset:1296
	s_waitcnt vmcnt(58) lgkmcnt(1)
	v_mul_f64 v[55:56], v[11:12], v[95:96]
	s_waitcnt vmcnt(56)
	v_fma_f64 v[93:94], v[1:2], v[101:102], -v[93:94]
	v_mul_f64 v[49:50], v[9:10], v[95:96]
	v_add_f64 v[21:22], v[21:22], v[47:48]
	v_fma_f64 v[47:48], v[3:4], v[101:102], v[124:125]
	v_add_f64 v[13:14], v[13:14], v[43:44]
	s_clause 0x4
	buffer_load_dword v44, off, s[0:3], 0 offset:620
	buffer_load_dword v95, off, s[0:3], 0 offset:632
	;; [unrolled: 1-line block ×5, first 2 shown]
	s_waitcnt vmcnt(57) lgkmcnt(0)
	v_mul_f64 v[124:125], v[5:6], v[109:110]
	v_mul_f64 v[109:110], v[7:8], v[109:110]
	s_waitcnt vmcnt(56)
	v_fma_f64 v[55:56], v[9:10], v[57:58], -v[55:56]
	ds_read_b128 v[1:4], v72 offset:1312
	v_fma_f64 v[49:50], v[11:12], v[57:58], v[49:50]
	v_add_f64 v[21:22], v[21:22], v[93:94]
	v_add_f64 v[13:14], v[13:14], v[47:48]
	s_clause 0x2
	buffer_load_dword v96, off, s[0:3], 0 offset:636
	buffer_load_dword v48, off, s[0:3], 0 offset:612
	;; [unrolled: 1-line block ×3, first 2 shown]
	ds_read_b128 v[9:12], v72 offset:1328
	s_waitcnt vmcnt(58) lgkmcnt(1)
	v_mul_f64 v[93:94], v[3:4], v[111:112]
	v_mul_f64 v[57:58], v[1:2], v[111:112]
	s_waitcnt vmcnt(56)
	v_fma_f64 v[109:110], v[5:6], v[17:18], -v[109:110]
	v_fma_f64 v[17:18], v[7:8], v[17:18], v[124:125]
	v_add_f64 v[21:22], v[21:22], v[55:56]
	v_add_f64 v[13:14], v[13:14], v[49:50]
	s_clause 0x4
	buffer_load_dword v50, off, s[0:3], 0 offset:652
	buffer_load_dword v55, off, s[0:3], 0 offset:664
	;; [unrolled: 1-line block ×5, first 2 shown]
	ds_read_b128 v[5:8], v72 offset:1344
	s_waitcnt vmcnt(57) lgkmcnt(1)
	v_mul_f64 v[124:125], v[9:10], v[15:16]
	v_mul_f64 v[15:16], v[11:12], v[15:16]
	s_waitcnt vmcnt(56)
	v_fma_f64 v[93:94], v[1:2], v[113:114], -v[93:94]
	v_fma_f64 v[57:58], v[3:4], v[113:114], v[57:58]
	v_add_f64 v[21:22], v[21:22], v[109:110]
	v_add_f64 v[13:14], v[13:14], v[17:18]
	s_clause 0x2
	buffer_load_dword v56, off, s[0:3], 0 offset:668
	buffer_load_dword v18, off, s[0:3], 0 offset:644
	;; [unrolled: 1-line block ×3, first 2 shown]
	s_waitcnt vmcnt(58) lgkmcnt(0)
	v_mul_f64 v[113:114], v[7:8], v[115:116]
	ds_read_b128 v[1:4], v72 offset:1360
	v_mul_f64 v[109:110], v[5:6], v[115:116]
	s_waitcnt vmcnt(56)
	v_fma_f64 v[15:16], v[9:10], v[105:106], -v[15:16]
	v_add_f64 v[21:22], v[21:22], v[93:94]
	v_fma_f64 v[93:94], v[11:12], v[105:106], v[124:125]
	v_add_f64 v[13:14], v[13:14], v[57:58]
	s_clause 0x4
	buffer_load_dword v58, off, s[0:3], 0 offset:684
	buffer_load_dword v105, off, s[0:3], 0 offset:696
	;; [unrolled: 1-line block ×5, first 2 shown]
	ds_read_b128 v[9:12], v72 offset:1376
	s_waitcnt vmcnt(57) lgkmcnt(1)
	v_mul_f64 v[124:125], v[1:2], v[33:34]
	v_mul_f64 v[33:34], v[3:4], v[33:34]
	s_waitcnt vmcnt(56)
	v_fma_f64 v[113:114], v[5:6], v[120:121], -v[113:114]
	v_add_f64 v[15:16], v[21:22], v[15:16]
	v_fma_f64 v[21:22], v[7:8], v[120:121], v[109:110]
	v_add_f64 v[13:14], v[13:14], v[93:94]
	s_clause 0x2
	buffer_load_dword v106, off, s[0:3], 0 offset:700
	buffer_load_dword v94, off, s[0:3], 0 offset:676
	;; [unrolled: 1-line block ×3, first 2 shown]
	ds_read_b128 v[5:8], v72 offset:1392
	s_waitcnt vmcnt(58) lgkmcnt(1)
	v_mul_f64 v[109:110], v[9:10], v[107:108]
	v_mul_f64 v[107:108], v[11:12], v[107:108]
	s_waitcnt vmcnt(56)
	v_fma_f64 v[33:34], v[1:2], v[27:28], -v[33:34]
	v_fma_f64 v[27:28], v[3:4], v[27:28], v[124:125]
	v_add_f64 v[15:16], v[15:16], v[113:114]
	v_add_f64 v[13:14], v[13:14], v[21:22]
	s_clause 0x4
	buffer_load_dword v22, off, s[0:3], 0 offset:716
	buffer_load_dword v113, off, s[0:3], 0 offset:728
	buffer_load_dword v119, off, s[0:3], 0 offset:720
	buffer_load_dword v21, off, s[0:3], 0 offset:712
	buffer_load_dword v116, off, s[0:3], 0 offset:692
	ds_read_b128 v[1:4], v72 offset:1408
	s_waitcnt vmcnt(57) lgkmcnt(1)
	v_mul_f64 v[120:121], v[5:6], v[19:20]
	v_mul_f64 v[19:20], v[7:8], v[19:20]
	s_waitcnt vmcnt(56)
	v_fma_f64 v[107:108], v[9:10], v[122:123], -v[107:108]
	v_add_f64 v[15:16], v[15:16], v[33:34]
	v_fma_f64 v[33:34], v[11:12], v[122:123], v[109:110]
	v_add_f64 v[13:14], v[13:14], v[27:28]
	s_clause 0x2
	buffer_load_dword v114, off, s[0:3], 0 offset:732
	buffer_load_dword v28, off, s[0:3], 0 offset:708
	;; [unrolled: 1-line block ×3, first 2 shown]
	ds_read_b128 v[9:12], v72 offset:1424
	s_waitcnt vmcnt(58) lgkmcnt(1)
	v_mul_f64 v[109:110], v[1:2], v[37:38]
	v_mul_f64 v[37:38], v[3:4], v[37:38]
	s_waitcnt vmcnt(56)
	v_fma_f64 v[19:20], v[5:6], v[25:26], -v[19:20]
	v_fma_f64 v[25:26], v[7:8], v[25:26], v[120:121]
	v_add_f64 v[15:16], v[15:16], v[107:108]
	v_add_f64 v[13:14], v[13:14], v[33:34]
	s_clause 0x4
	buffer_load_dword v34, off, s[0:3], 0 offset:748
	buffer_load_dword v107, off, s[0:3], 0 offset:760
	;; [unrolled: 1-line block ×5, first 2 shown]
	ds_read_b128 v[5:8], v72 offset:1440
	s_waitcnt vmcnt(57) lgkmcnt(1)
	v_mul_f64 v[122:123], v[9:10], v[23:24]
	v_mul_f64 v[23:24], v[11:12], v[23:24]
	s_waitcnt vmcnt(56)
	v_fma_f64 v[37:38], v[1:2], v[117:118], -v[37:38]
	v_add_f64 v[15:16], v[15:16], v[19:20]
	v_fma_f64 v[19:20], v[3:4], v[117:118], v[109:110]
	v_add_f64 v[13:14], v[13:14], v[25:26]
	s_clause 0x2
	buffer_load_dword v108, off, s[0:3], 0 offset:764
	buffer_load_dword v26, off, s[0:3], 0 offset:740
	;; [unrolled: 1-line block ×3, first 2 shown]
	s_waitcnt vmcnt(58) lgkmcnt(0)
	v_mul_f64 v[109:110], v[5:6], v[45:46]
	v_mul_f64 v[45:46], v[7:8], v[45:46]
	ds_read_b128 v[1:4], v72 offset:1456
	s_waitcnt vmcnt(56)
	v_fma_f64 v[23:24], v[9:10], v[31:32], -v[23:24]
	v_fma_f64 v[31:32], v[11:12], v[31:32], v[122:123]
	v_add_f64 v[15:16], v[15:16], v[37:38]
	v_add_f64 v[13:14], v[13:14], v[19:20]
	s_clause 0x4
	buffer_load_dword v20, off, s[0:3], 0 offset:780
	buffer_load_dword v37, off, s[0:3], 0 offset:792
	;; [unrolled: 1-line block ×5, first 2 shown]
	ds_read_b128 v[9:12], v72 offset:1472
	s_waitcnt vmcnt(57) lgkmcnt(1)
	v_mul_f64 v[123:124], v[1:2], v[29:30]
	v_mul_f64 v[29:30], v[3:4], v[29:30]
	s_waitcnt vmcnt(56)
	v_fma_f64 v[45:46], v[5:6], v[103:104], -v[45:46]
	v_add_f64 v[15:16], v[15:16], v[23:24]
	v_fma_f64 v[23:24], v[7:8], v[103:104], v[109:110]
	v_add_f64 v[13:14], v[13:14], v[31:32]
	s_clause 0x2
	buffer_load_dword v38, off, s[0:3], 0 offset:796
	buffer_load_dword v32, off, s[0:3], 0 offset:772
	;; [unrolled: 1-line block ×3, first 2 shown]
	s_waitcnt vmcnt(58) lgkmcnt(0)
	v_mul_f64 v[103:104], v[9:10], v[51:52]
	v_mul_f64 v[51:52], v[11:12], v[51:52]
	ds_read_b128 v[5:8], v72 offset:1488
	s_waitcnt vmcnt(56)
	v_fma_f64 v[29:30], v[1:2], v[41:42], -v[29:30]
	v_fma_f64 v[41:42], v[3:4], v[41:42], v[123:124]
	v_add_f64 v[15:16], v[15:16], v[45:46]
	v_add_f64 v[13:14], v[13:14], v[23:24]
	s_clause 0x4
	buffer_load_dword v24, off, s[0:3], 0 offset:812
	buffer_load_dword v45, off, s[0:3], 0 offset:824
	buffer_load_dword v109, off, s[0:3], 0 offset:816
	buffer_load_dword v23, off, s[0:3], 0 offset:808
	buffer_load_dword v118, off, s[0:3], 0 offset:788
	ds_read_b128 v[1:4], v72 offset:1504
	s_waitcnt vmcnt(57) lgkmcnt(1)
	v_mul_f64 v[123:124], v[5:6], v[35:36]
	v_mul_f64 v[35:36], v[7:8], v[35:36]
	s_waitcnt vmcnt(56)
	v_fma_f64 v[51:52], v[9:10], v[53:54], -v[51:52]
	v_add_f64 v[15:16], v[15:16], v[29:30]
	v_fma_f64 v[29:30], v[11:12], v[53:54], v[103:104]
	v_add_f64 v[13:14], v[13:14], v[41:42]
	s_clause 0x2
	buffer_load_dword v46, off, s[0:3], 0 offset:828
	buffer_load_dword v42, off, s[0:3], 0 offset:804
	buffer_load_dword v41, off, s[0:3], 0 offset:800
	ds_read_b128 v[9:12], v72 offset:1520
	s_waitcnt vmcnt(58) lgkmcnt(1)
	v_mul_f64 v[53:54], v[1:2], v[59:60]
	v_mul_f64 v[59:60], v[3:4], v[59:60]
	s_waitcnt vmcnt(56)
	v_fma_f64 v[35:36], v[5:6], v[39:40], -v[35:36]
	v_fma_f64 v[39:40], v[7:8], v[39:40], v[123:124]
	v_add_f64 v[15:16], v[15:16], v[51:52]
	v_add_f64 v[13:14], v[13:14], v[29:30]
	s_clause 0x4
	buffer_load_dword v30, off, s[0:3], 0 offset:844
	buffer_load_dword v51, off, s[0:3], 0 offset:856
	buffer_load_dword v103, off, s[0:3], 0 offset:848
	buffer_load_dword v29, off, s[0:3], 0 offset:840
	buffer_load_dword v110, off, s[0:3], 0 offset:820
	ds_read_b128 v[5:8], v72 offset:1536
	s_waitcnt vmcnt(57) lgkmcnt(1)
	v_mul_f64 v[123:124], v[9:10], v[43:44]
	v_mul_f64 v[43:44], v[11:12], v[43:44]
	s_waitcnt vmcnt(56)
	v_fma_f64 v[59:60], v[1:2], v[61:62], -v[59:60]
	v_add_f64 v[15:16], v[15:16], v[35:36]
	v_fma_f64 v[35:36], v[3:4], v[61:62], v[53:54]
	v_add_f64 v[13:14], v[13:14], v[39:40]
	s_clause 0x2
	buffer_load_dword v52, off, s[0:3], 0 offset:860
	buffer_load_dword v40, off, s[0:3], 0 offset:836
	buffer_load_dword v39, off, s[0:3], 0 offset:832
	ds_read_b128 v[1:4], v72 offset:1552
	s_waitcnt vmcnt(58) lgkmcnt(1)
	v_mul_f64 v[61:62], v[7:8], v[95:96]
	v_mul_f64 v[53:54], v[5:6], v[95:96]
	;; [unrolled: 28-line block ×4, first 2 shown]
	s_waitcnt vmcnt(56)
	v_fma_f64 v[57:58], v[5:6], v[93:94], -v[57:58]
	v_add_f64 v[15:16], v[15:16], v[55:56]
	v_fma_f64 v[55:56], v[7:8], v[93:94], v[123:124]
	v_add_f64 v[13:14], v[13:14], v[49:50]
	s_clause 0x2
	buffer_load_dword v50, off, s[0:3], 0 offset:940
	buffer_load_dword v49, off, s[0:3], 0 offset:936
	buffer_load_dword v102, off, s[0:3], 0 offset:916
	ds_read_b128 v[5:8], v72 offset:1632
	s_waitcnt vmcnt(55) lgkmcnt(1)
	v_mul_f64 v[93:94], v[9:10], v[21:22]
	v_mul_f64 v[21:22], v[11:12], v[21:22]
	s_waitcnt vmcnt(54)
	v_fma_f64 v[105:106], v[1:2], v[115:116], -v[105:106]
	v_fma_f64 v[53:54], v[3:4], v[115:116], v[53:54]
	v_add_f64 v[15:16], v[15:16], v[57:58]
	v_add_f64 v[13:14], v[13:14], v[55:56]
	s_clause 0x1
	buffer_load_dword v56, off, s[0:3], 0 offset:932
	buffer_load_dword v55, off, s[0:3], 0 offset:928
	ds_read_b128 v[1:4], v72 offset:1648
	s_waitcnt vmcnt(55) lgkmcnt(1)
	v_mul_f64 v[111:112], v[7:8], v[113:114]
	v_mul_f64 v[57:58], v[5:6], v[113:114]
	s_waitcnt vmcnt(53)
	v_fma_f64 v[21:22], v[9:10], v[27:28], -v[21:22]
	v_fma_f64 v[27:28], v[11:12], v[27:28], v[93:94]
	ds_read_b128 v[9:12], v72 offset:1664
	v_add_f64 v[15:16], v[15:16], v[105:106]
	v_add_f64 v[13:14], v[13:14], v[53:54]
	s_waitcnt vmcnt(49) lgkmcnt(1)
	v_mul_f64 v[53:54], v[1:2], v[33:34]
	v_mul_f64 v[33:34], v[3:4], v[33:34]
	s_waitcnt vmcnt(48)
	v_fma_f64 v[93:94], v[5:6], v[119:120], -v[111:112]
	v_add_f64 v[15:16], v[15:16], v[21:22]
	v_fma_f64 v[21:22], v[7:8], v[119:120], v[57:58]
	v_add_f64 v[13:14], v[13:14], v[27:28]
	s_clause 0x3
	buffer_load_dword v27, off, s[0:3], 0 offset:128
	buffer_load_dword v28, off, s[0:3], 0 offset:132
	;; [unrolled: 1-line block ×4, first 2 shown]
	ds_read_b128 v[5:8], v72 offset:1680
	s_waitcnt vmcnt(51) lgkmcnt(1)
	v_mul_f64 v[105:106], v[9:10], v[107:108]
	v_mul_f64 v[107:108], v[11:12], v[107:108]
	s_waitcnt vmcnt(49)
	v_fma_f64 v[33:34], v[1:2], v[25:26], -v[33:34]
	v_fma_f64 v[25:26], v[3:4], v[25:26], v[53:54]
	ds_read_b128 v[1:4], v72 offset:1696
	v_add_f64 v[15:16], v[15:16], v[93:94]
	v_add_f64 v[13:14], v[13:14], v[21:22]
	s_waitcnt vmcnt(45) lgkmcnt(1)
	v_mul_f64 v[21:22], v[5:6], v[19:20]
	v_mul_f64 v[19:20], v[7:8], v[19:20]
	s_waitcnt vmcnt(44)
	v_fma_f64 v[53:54], v[9:10], v[121:122], -v[107:108]
	v_add_f64 v[15:16], v[15:16], v[33:34]
	v_fma_f64 v[33:34], v[11:12], v[121:122], v[105:106]
	v_add_f64 v[13:14], v[13:14], v[25:26]
	ds_read_b128 v[9:12], v72 offset:1712
	s_waitcnt vmcnt(43) lgkmcnt(1)
	v_mul_f64 v[25:26], v[1:2], v[37:38]
	v_mul_f64 v[37:38], v[3:4], v[37:38]
	s_waitcnt vmcnt(41)
	v_fma_f64 v[19:20], v[5:6], v[31:32], -v[19:20]
	v_fma_f64 v[21:22], v[7:8], v[31:32], v[21:22]
	ds_read_b128 v[5:8], v72 offset:1728
	v_add_f64 v[15:16], v[15:16], v[53:54]
	v_add_f64 v[13:14], v[13:14], v[33:34]
	s_waitcnt vmcnt(37) lgkmcnt(1)
	v_mul_f64 v[31:32], v[9:10], v[23:24]
	v_mul_f64 v[23:24], v[11:12], v[23:24]
	s_waitcnt vmcnt(36)
	v_fma_f64 v[33:34], v[1:2], v[117:118], -v[37:38]
	v_add_f64 v[15:16], v[15:16], v[19:20]
	v_fma_f64 v[19:20], v[3:4], v[117:118], v[25:26]
	v_add_f64 v[13:14], v[13:14], v[21:22]
	ds_read_b128 v[1:4], v72 offset:1744
	s_waitcnt vmcnt(35) lgkmcnt(1)
	v_mul_f64 v[25:26], v[7:8], v[45:46]
	v_mul_f64 v[21:22], v[5:6], v[45:46]
	s_waitcnt vmcnt(33)
	v_fma_f64 v[23:24], v[9:10], v[41:42], -v[23:24]
	v_fma_f64 v[31:32], v[11:12], v[41:42], v[31:32]
	ds_read_b128 v[9:12], v72 offset:1760
	v_add_f64 v[15:16], v[15:16], v[33:34]
	v_add_f64 v[13:14], v[13:14], v[19:20]
	s_waitcnt vmcnt(29) lgkmcnt(1)
	v_mul_f64 v[19:20], v[1:2], v[29:30]
	v_mul_f64 v[29:30], v[3:4], v[29:30]
	s_waitcnt vmcnt(28)
	v_fma_f64 v[25:26], v[5:6], v[109:110], -v[25:26]
	v_fma_f64 v[21:22], v[7:8], v[109:110], v[21:22]
	ds_read_b128 v[5:8], v72 offset:1776
	v_add_f64 v[15:16], v[15:16], v[23:24]
	v_add_f64 v[13:14], v[13:14], v[31:32]
	;; [unrolled: 9-line block ×3, first 2 shown]
	s_waitcnt vmcnt(21) lgkmcnt(1)
	v_mul_f64 v[25:26], v[7:8], v[35:36]
	s_waitcnt vmcnt(20)
	v_fma_f64 v[31:32], v[9:10], v[103:104], -v[31:32]
	v_mul_f64 v[21:22], v[5:6], v[35:36]
	v_fma_f64 v[23:24], v[11:12], v[103:104], v[23:24]
	ds_read_b128 v[9:12], v72 offset:1808
	v_add_f64 v[15:16], v[15:16], v[29:30]
	v_add_f64 v[13:14], v[13:14], v[19:20]
	s_waitcnt vmcnt(19) lgkmcnt(1)
	v_mul_f64 v[29:30], v[3:4], v[59:60]
	v_mul_f64 v[19:20], v[1:2], v[59:60]
	s_waitcnt vmcnt(17)
	v_fma_f64 v[25:26], v[5:6], v[47:48], -v[25:26]
	v_fma_f64 v[21:22], v[7:8], v[47:48], v[21:22]
	ds_read_b128 v[5:8], v72 offset:1824
	v_add_f64 v[15:16], v[15:16], v[31:32]
	v_add_f64 v[13:14], v[13:14], v[23:24]
	s_waitcnt vmcnt(13) lgkmcnt(1)
	v_mul_f64 v[31:32], v[11:12], v[43:44]
	s_waitcnt vmcnt(12)
	v_fma_f64 v[29:30], v[1:2], v[95:96], -v[29:30]
	v_mul_f64 v[23:24], v[9:10], v[43:44]
	v_fma_f64 v[19:20], v[3:4], v[95:96], v[19:20]
	ds_read_b128 v[1:4], v72 offset:1840
	v_add_f64 v[15:16], v[15:16], v[25:26]
	v_add_f64 v[13:14], v[13:14], v[21:22]
	s_waitcnt vmcnt(11) lgkmcnt(1)
	v_mul_f64 v[25:26], v[7:8], v[61:62]
	v_mul_f64 v[21:22], v[5:6], v[61:62]
	s_waitcnt vmcnt(9)
	v_fma_f64 v[9:10], v[9:10], v[17:18], -v[31:32]
	v_fma_f64 v[11:12], v[11:12], v[17:18], v[23:24]
	v_add_f64 v[15:16], v[15:16], v[29:30]
	v_add_f64 v[13:14], v[13:14], v[19:20]
	s_waitcnt vmcnt(7) lgkmcnt(0)
	v_mul_f64 v[19:20], v[3:4], v[49:50]
	s_waitcnt vmcnt(6)
	v_fma_f64 v[5:6], v[5:6], v[101:102], -v[25:26]
	v_mul_f64 v[17:18], v[1:2], v[49:50]
	v_fma_f64 v[7:8], v[7:8], v[101:102], v[21:22]
	v_add_f64 v[9:10], v[15:16], v[9:10]
	v_add_f64 v[11:12], v[13:14], v[11:12]
	s_waitcnt vmcnt(4)
	v_fma_f64 v[1:2], v[1:2], v[55:56], -v[19:20]
	v_fma_f64 v[3:4], v[3:4], v[55:56], v[17:18]
	v_add_f64 v[5:6], v[9:10], v[5:6]
	v_add_f64 v[7:8], v[11:12], v[7:8]
	v_add_f64 v[1:2], v[5:6], v[1:2]
	v_add_f64 v[3:4], v[7:8], v[3:4]
	s_waitcnt vmcnt(2)
	v_add_f64 v[1:2], v[27:28], -v[1:2]
	s_waitcnt vmcnt(0)
	v_add_f64 v[3:4], v[57:58], -v[3:4]
	buffer_store_dword v2, off, s[0:3], 0 offset:132
	buffer_store_dword v1, off, s[0:3], 0 offset:128
	;; [unrolled: 1-line block ×4, first 2 shown]
	v_cmpx_lt_u32_e32 6, v0
	s_cbranch_execz .LBB57_349
; %bb.348:
	v_mov_b32_e32 v4, s64
	v_mov_b32_e32 v5, 0
	s_clause 0x3
	buffer_load_dword v1, v4, s[0:3], 0 offen
	buffer_load_dword v2, v4, s[0:3], 0 offen offset:4
	buffer_load_dword v3, v4, s[0:3], 0 offen offset:8
	;; [unrolled: 1-line block ×3, first 2 shown]
	buffer_store_dword v5, off, s[0:3], 0 offset:112
	buffer_store_dword v5, off, s[0:3], 0 offset:116
	;; [unrolled: 1-line block ×4, first 2 shown]
	s_waitcnt vmcnt(0)
	ds_write_b128 v63, v[1:4]
.LBB57_349:
	s_or_b32 exec_lo, exec_lo, s4
	s_waitcnt lgkmcnt(0)
	s_waitcnt_vscnt null, 0x0
	s_barrier
	buffer_gl0_inv
	s_clause 0x37
	buffer_load_dword v17, off, s[0:3], 0 offset:136
	buffer_load_dword v18, off, s[0:3], 0 offset:140
	;; [unrolled: 1-line block ×56, first 2 shown]
	v_mov_b32_e32 v72, 0
	s_mov_b32 s4, exec_lo
	ds_read_b128 v[5:8], v72 offset:1040
	s_clause 0x2
	buffer_load_dword v96, off, s[0:3], 0 offset:364
	buffer_load_dword v102, off, s[0:3], 0 offset:340
	;; [unrolled: 1-line block ×3, first 2 shown]
	ds_read_b128 v[1:4], v72 offset:1056
	s_clause 0x4
	buffer_load_dword v110, off, s[0:3], 0 offset:380
	buffer_load_dword v111, off, s[0:3], 0 offset:392
	;; [unrolled: 1-line block ×5, first 2 shown]
	ds_read_b128 v[103:106], v72 offset:1072
	s_waitcnt vmcnt(62) lgkmcnt(2)
	v_mul_f64 v[107:108], v[7:8], v[17:18]
	v_mul_f64 v[17:18], v[5:6], v[17:18]
	s_waitcnt vmcnt(60) lgkmcnt(1)
	v_mul_f64 v[114:115], v[3:4], v[13:14]
	v_mul_f64 v[13:14], v[1:2], v[13:14]
	;; [unrolled: 3-line block ×3, first 2 shown]
	v_fma_f64 v[107:108], v[5:6], v[15:16], -v[107:108]
	v_fma_f64 v[15:16], v[7:8], v[15:16], v[17:18]
	s_clause 0x2
	buffer_load_dword v112, off, s[0:3], 0 offset:396
	buffer_load_dword v18, off, s[0:3], 0 offset:372
	;; [unrolled: 1-line block ×3, first 2 shown]
	s_waitcnt vmcnt(57)
	v_fma_f64 v[118:119], v[1:2], v[9:10], -v[114:115]
	ds_read_b128 v[5:8], v72 offset:1088
	v_fma_f64 v[9:10], v[3:4], v[9:10], v[13:14]
	s_waitcnt vmcnt(51)
	v_fma_f64 v[103:104], v[103:104], v[33:34], -v[11:12]
	v_fma_f64 v[33:34], v[105:106], v[33:34], v[116:117]
	v_add_f64 v[107:108], v[107:108], 0
	v_add_f64 v[13:14], v[15:16], 0
	s_clause 0x4
	buffer_load_dword v16, off, s[0:3], 0 offset:412
	buffer_load_dword v115, off, s[0:3], 0 offset:424
	buffer_load_dword v120, off, s[0:3], 0 offset:416
	buffer_load_dword v15, off, s[0:3], 0 offset:408
	buffer_load_dword v114, off, s[0:3], 0 offset:388
	s_waitcnt lgkmcnt(0)
	v_mul_f64 v[121:122], v[5:6], v[21:22]
	v_mul_f64 v[21:22], v[7:8], v[21:22]
	ds_read_b128 v[1:4], v72 offset:1104
	s_clause 0x2
	buffer_load_dword v116, off, s[0:3], 0 offset:428
	buffer_load_dword v106, off, s[0:3], 0 offset:404
	;; [unrolled: 1-line block ×3, first 2 shown]
	v_add_f64 v[107:108], v[107:108], v[118:119]
	v_add_f64 v[13:14], v[13:14], v[9:10]
	ds_read_b128 v[9:12], v72 offset:1120
	s_waitcnt vmcnt(58) lgkmcnt(1)
	v_mul_f64 v[117:118], v[1:2], v[25:26]
	v_mul_f64 v[25:26], v[3:4], v[25:26]
	s_waitcnt vmcnt(56)
	v_fma_f64 v[21:22], v[5:6], v[27:28], -v[21:22]
	v_fma_f64 v[27:28], v[7:8], v[27:28], v[121:122]
	s_waitcnt vmcnt(52) lgkmcnt(0)
	v_mul_f64 v[123:124], v[9:10], v[29:30]
	v_add_f64 v[103:104], v[107:108], v[103:104]
	v_add_f64 v[13:14], v[13:14], v[33:34]
	s_clause 0x4
	buffer_load_dword v34, off, s[0:3], 0 offset:444
	buffer_load_dword v107, off, s[0:3], 0 offset:456
	;; [unrolled: 1-line block ×5, first 2 shown]
	v_mul_f64 v[29:30], v[11:12], v[29:30]
	s_waitcnt vmcnt(56)
	v_fma_f64 v[25:26], v[1:2], v[19:20], -v[25:26]
	ds_read_b128 v[5:8], v72 offset:1136
	v_fma_f64 v[19:20], v[3:4], v[19:20], v[117:118]
	v_add_f64 v[21:22], v[103:104], v[21:22]
	v_add_f64 v[13:14], v[13:14], v[27:28]
	s_clause 0x2
	buffer_load_dword v108, off, s[0:3], 0 offset:460
	buffer_load_dword v28, off, s[0:3], 0 offset:436
	;; [unrolled: 1-line block ×3, first 2 shown]
	s_waitcnt vmcnt(58) lgkmcnt(0)
	v_mul_f64 v[103:104], v[5:6], v[35:36]
	v_mul_f64 v[35:36], v[7:8], v[35:36]
	s_waitcnt vmcnt(56)
	v_fma_f64 v[29:30], v[9:10], v[37:38], -v[29:30]
	ds_read_b128 v[1:4], v72 offset:1152
	v_add_f64 v[21:22], v[21:22], v[25:26]
	v_fma_f64 v[25:26], v[11:12], v[37:38], v[123:124]
	v_add_f64 v[13:14], v[13:14], v[19:20]
	s_clause 0x4
	buffer_load_dword v20, off, s[0:3], 0 offset:476
	buffer_load_dword v37, off, s[0:3], 0 offset:488
	;; [unrolled: 1-line block ×5, first 2 shown]
	s_waitcnt vmcnt(57) lgkmcnt(0)
	v_mul_f64 v[118:119], v[1:2], v[39:40]
	v_mul_f64 v[39:40], v[3:4], v[39:40]
	s_waitcnt vmcnt(56)
	v_fma_f64 v[35:36], v[5:6], v[23:24], -v[35:36]
	ds_read_b128 v[9:12], v72 offset:1168
	v_fma_f64 v[23:24], v[7:8], v[23:24], v[103:104]
	v_add_f64 v[21:22], v[21:22], v[29:30]
	v_add_f64 v[13:14], v[13:14], v[25:26]
	s_clause 0x2
	buffer_load_dword v38, off, s[0:3], 0 offset:492
	buffer_load_dword v26, off, s[0:3], 0 offset:468
	;; [unrolled: 1-line block ×3, first 2 shown]
	ds_read_b128 v[5:8], v72 offset:1184
	s_waitcnt vmcnt(58) lgkmcnt(1)
	v_mul_f64 v[29:30], v[9:10], v[43:44]
	v_mul_f64 v[43:44], v[11:12], v[43:44]
	s_waitcnt vmcnt(56)
	v_fma_f64 v[39:40], v[1:2], v[45:46], -v[39:40]
	v_add_f64 v[21:22], v[21:22], v[35:36]
	v_fma_f64 v[35:36], v[3:4], v[45:46], v[118:119]
	v_add_f64 v[13:14], v[13:14], v[23:24]
	s_clause 0x4
	buffer_load_dword v24, off, s[0:3], 0 offset:508
	buffer_load_dword v45, off, s[0:3], 0 offset:520
	;; [unrolled: 1-line block ×5, first 2 shown]
	s_waitcnt vmcnt(57) lgkmcnt(0)
	v_mul_f64 v[124:125], v[5:6], v[47:48]
	v_mul_f64 v[47:48], v[7:8], v[47:48]
	s_waitcnt vmcnt(56)
	v_fma_f64 v[43:44], v[9:10], v[31:32], -v[43:44]
	ds_read_b128 v[1:4], v72 offset:1200
	v_fma_f64 v[29:30], v[11:12], v[31:32], v[29:30]
	s_clause 0x2
	buffer_load_dword v46, off, s[0:3], 0 offset:524
	buffer_load_dword v32, off, s[0:3], 0 offset:500
	;; [unrolled: 1-line block ×3, first 2 shown]
	ds_read_b128 v[9:12], v72 offset:1216
	v_add_f64 v[21:22], v[21:22], v[39:40]
	v_add_f64 v[13:14], v[13:14], v[35:36]
	s_waitcnt vmcnt(58) lgkmcnt(1)
	v_mul_f64 v[39:40], v[3:4], v[51:52]
	s_waitcnt vmcnt(56)
	v_fma_f64 v[47:48], v[5:6], v[53:54], -v[47:48]
	v_mul_f64 v[35:36], v[1:2], v[51:52]
	v_add_f64 v[21:22], v[21:22], v[43:44]
	v_fma_f64 v[43:44], v[7:8], v[53:54], v[124:125]
	v_add_f64 v[13:14], v[13:14], v[29:30]
	s_clause 0x4
	buffer_load_dword v30, off, s[0:3], 0 offset:540
	buffer_load_dword v51, off, s[0:3], 0 offset:552
	;; [unrolled: 1-line block ×5, first 2 shown]
	s_waitcnt vmcnt(57) lgkmcnt(0)
	v_mul_f64 v[124:125], v[9:10], v[55:56]
	v_mul_f64 v[54:55], v[11:12], v[55:56]
	s_waitcnt vmcnt(56)
	v_fma_f64 v[39:40], v[1:2], v[41:42], -v[39:40]
	ds_read_b128 v[5:8], v72 offset:1232
	v_fma_f64 v[35:36], v[3:4], v[41:42], v[35:36]
	s_clause 0x2
	buffer_load_dword v52, off, s[0:3], 0 offset:556
	buffer_load_dword v42, off, s[0:3], 0 offset:532
	;; [unrolled: 1-line block ×3, first 2 shown]
	ds_read_b128 v[1:4], v72 offset:1248
	v_add_f64 v[21:22], v[21:22], v[47:48]
	v_add_f64 v[13:14], v[13:14], v[43:44]
	s_waitcnt vmcnt(58) lgkmcnt(1)
	v_mul_f64 v[47:48], v[7:8], v[59:60]
	s_waitcnt vmcnt(56)
	v_fma_f64 v[55:56], v[9:10], v[61:62], -v[54:55]
	v_mul_f64 v[43:44], v[5:6], v[59:60]
	v_add_f64 v[21:22], v[21:22], v[39:40]
	v_fma_f64 v[39:40], v[11:12], v[61:62], v[124:125]
	v_add_f64 v[13:14], v[13:14], v[35:36]
	s_clause 0x4
	buffer_load_dword v36, off, s[0:3], 0 offset:572
	buffer_load_dword v59, off, s[0:3], 0 offset:584
	;; [unrolled: 1-line block ×5, first 2 shown]
	s_waitcnt vmcnt(57) lgkmcnt(0)
	v_mul_f64 v[124:125], v[1:2], v[93:94]
	v_mul_f64 v[93:94], v[3:4], v[93:94]
	s_waitcnt vmcnt(56)
	v_fma_f64 v[47:48], v[5:6], v[49:50], -v[47:48]
	ds_read_b128 v[9:12], v72 offset:1264
	v_fma_f64 v[43:44], v[7:8], v[49:50], v[43:44]
	v_add_f64 v[21:22], v[21:22], v[55:56]
	v_add_f64 v[13:14], v[13:14], v[39:40]
	s_clause 0x2
	buffer_load_dword v60, off, s[0:3], 0 offset:588
	buffer_load_dword v40, off, s[0:3], 0 offset:564
	;; [unrolled: 1-line block ×3, first 2 shown]
	ds_read_b128 v[5:8], v72 offset:1280
	s_waitcnt vmcnt(58) lgkmcnt(1)
	v_mul_f64 v[55:56], v[11:12], v[95:96]
	s_waitcnt vmcnt(56)
	v_fma_f64 v[93:94], v[1:2], v[101:102], -v[93:94]
	v_mul_f64 v[49:50], v[9:10], v[95:96]
	v_add_f64 v[21:22], v[21:22], v[47:48]
	v_fma_f64 v[47:48], v[3:4], v[101:102], v[124:125]
	v_add_f64 v[13:14], v[13:14], v[43:44]
	s_clause 0x4
	buffer_load_dword v44, off, s[0:3], 0 offset:604
	buffer_load_dword v95, off, s[0:3], 0 offset:616
	;; [unrolled: 1-line block ×5, first 2 shown]
	s_waitcnt vmcnt(57) lgkmcnt(0)
	v_mul_f64 v[124:125], v[5:6], v[109:110]
	v_mul_f64 v[109:110], v[7:8], v[109:110]
	s_waitcnt vmcnt(56)
	v_fma_f64 v[55:56], v[9:10], v[57:58], -v[55:56]
	ds_read_b128 v[1:4], v72 offset:1296
	v_fma_f64 v[49:50], v[11:12], v[57:58], v[49:50]
	v_add_f64 v[21:22], v[21:22], v[93:94]
	v_add_f64 v[13:14], v[13:14], v[47:48]
	s_clause 0x2
	buffer_load_dword v96, off, s[0:3], 0 offset:620
	buffer_load_dword v48, off, s[0:3], 0 offset:596
	;; [unrolled: 1-line block ×3, first 2 shown]
	ds_read_b128 v[9:12], v72 offset:1312
	s_waitcnt vmcnt(58) lgkmcnt(1)
	v_mul_f64 v[93:94], v[3:4], v[111:112]
	v_mul_f64 v[57:58], v[1:2], v[111:112]
	s_waitcnt vmcnt(56)
	v_fma_f64 v[109:110], v[5:6], v[17:18], -v[109:110]
	v_fma_f64 v[17:18], v[7:8], v[17:18], v[124:125]
	v_add_f64 v[21:22], v[21:22], v[55:56]
	v_add_f64 v[13:14], v[13:14], v[49:50]
	s_clause 0x4
	buffer_load_dword v50, off, s[0:3], 0 offset:636
	buffer_load_dword v55, off, s[0:3], 0 offset:648
	;; [unrolled: 1-line block ×5, first 2 shown]
	ds_read_b128 v[5:8], v72 offset:1328
	s_waitcnt vmcnt(57) lgkmcnt(1)
	v_mul_f64 v[124:125], v[9:10], v[15:16]
	v_mul_f64 v[15:16], v[11:12], v[15:16]
	s_waitcnt vmcnt(56)
	v_fma_f64 v[93:94], v[1:2], v[113:114], -v[93:94]
	v_fma_f64 v[57:58], v[3:4], v[113:114], v[57:58]
	v_add_f64 v[21:22], v[21:22], v[109:110]
	v_add_f64 v[13:14], v[13:14], v[17:18]
	s_clause 0x2
	buffer_load_dword v56, off, s[0:3], 0 offset:652
	buffer_load_dword v18, off, s[0:3], 0 offset:628
	;; [unrolled: 1-line block ×3, first 2 shown]
	s_waitcnt vmcnt(58) lgkmcnt(0)
	v_mul_f64 v[113:114], v[7:8], v[115:116]
	ds_read_b128 v[1:4], v72 offset:1344
	v_mul_f64 v[109:110], v[5:6], v[115:116]
	s_waitcnt vmcnt(56)
	v_fma_f64 v[15:16], v[9:10], v[105:106], -v[15:16]
	v_add_f64 v[21:22], v[21:22], v[93:94]
	v_fma_f64 v[93:94], v[11:12], v[105:106], v[124:125]
	v_add_f64 v[13:14], v[13:14], v[57:58]
	s_clause 0x4
	buffer_load_dword v58, off, s[0:3], 0 offset:668
	buffer_load_dword v105, off, s[0:3], 0 offset:680
	buffer_load_dword v115, off, s[0:3], 0 offset:672
	buffer_load_dword v57, off, s[0:3], 0 offset:664
	buffer_load_dword v112, off, s[0:3], 0 offset:644
	ds_read_b128 v[9:12], v72 offset:1360
	s_waitcnt vmcnt(57) lgkmcnt(1)
	v_mul_f64 v[124:125], v[1:2], v[33:34]
	v_mul_f64 v[33:34], v[3:4], v[33:34]
	s_waitcnt vmcnt(56)
	v_fma_f64 v[113:114], v[5:6], v[120:121], -v[113:114]
	v_add_f64 v[15:16], v[21:22], v[15:16]
	v_fma_f64 v[21:22], v[7:8], v[120:121], v[109:110]
	v_add_f64 v[13:14], v[13:14], v[93:94]
	s_clause 0x2
	buffer_load_dword v106, off, s[0:3], 0 offset:684
	buffer_load_dword v94, off, s[0:3], 0 offset:660
	buffer_load_dword v93, off, s[0:3], 0 offset:656
	ds_read_b128 v[5:8], v72 offset:1376
	s_waitcnt vmcnt(58) lgkmcnt(1)
	v_mul_f64 v[109:110], v[9:10], v[107:108]
	v_mul_f64 v[107:108], v[11:12], v[107:108]
	s_waitcnt vmcnt(56)
	v_fma_f64 v[33:34], v[1:2], v[27:28], -v[33:34]
	v_fma_f64 v[27:28], v[3:4], v[27:28], v[124:125]
	v_add_f64 v[15:16], v[15:16], v[113:114]
	v_add_f64 v[13:14], v[13:14], v[21:22]
	s_clause 0x4
	buffer_load_dword v22, off, s[0:3], 0 offset:700
	buffer_load_dword v113, off, s[0:3], 0 offset:712
	;; [unrolled: 1-line block ×5, first 2 shown]
	ds_read_b128 v[1:4], v72 offset:1392
	s_waitcnt vmcnt(57) lgkmcnt(1)
	v_mul_f64 v[120:121], v[5:6], v[19:20]
	v_mul_f64 v[19:20], v[7:8], v[19:20]
	s_waitcnt vmcnt(56)
	v_fma_f64 v[107:108], v[9:10], v[122:123], -v[107:108]
	v_add_f64 v[15:16], v[15:16], v[33:34]
	v_fma_f64 v[33:34], v[11:12], v[122:123], v[109:110]
	v_add_f64 v[13:14], v[13:14], v[27:28]
	s_clause 0x2
	buffer_load_dword v114, off, s[0:3], 0 offset:716
	buffer_load_dword v28, off, s[0:3], 0 offset:692
	;; [unrolled: 1-line block ×3, first 2 shown]
	ds_read_b128 v[9:12], v72 offset:1408
	s_waitcnt vmcnt(58) lgkmcnt(1)
	v_mul_f64 v[109:110], v[1:2], v[37:38]
	v_mul_f64 v[37:38], v[3:4], v[37:38]
	s_waitcnt vmcnt(56)
	v_fma_f64 v[19:20], v[5:6], v[25:26], -v[19:20]
	v_fma_f64 v[25:26], v[7:8], v[25:26], v[120:121]
	v_add_f64 v[15:16], v[15:16], v[107:108]
	v_add_f64 v[13:14], v[13:14], v[33:34]
	s_clause 0x4
	buffer_load_dword v34, off, s[0:3], 0 offset:732
	buffer_load_dword v107, off, s[0:3], 0 offset:744
	;; [unrolled: 1-line block ×5, first 2 shown]
	ds_read_b128 v[5:8], v72 offset:1424
	s_waitcnt vmcnt(57) lgkmcnt(1)
	v_mul_f64 v[122:123], v[9:10], v[23:24]
	v_mul_f64 v[23:24], v[11:12], v[23:24]
	s_waitcnt vmcnt(56)
	v_fma_f64 v[37:38], v[1:2], v[117:118], -v[37:38]
	v_add_f64 v[15:16], v[15:16], v[19:20]
	v_fma_f64 v[19:20], v[3:4], v[117:118], v[109:110]
	v_add_f64 v[13:14], v[13:14], v[25:26]
	s_clause 0x2
	buffer_load_dword v108, off, s[0:3], 0 offset:748
	buffer_load_dword v26, off, s[0:3], 0 offset:724
	;; [unrolled: 1-line block ×3, first 2 shown]
	s_waitcnt vmcnt(58) lgkmcnt(0)
	v_mul_f64 v[109:110], v[5:6], v[45:46]
	v_mul_f64 v[45:46], v[7:8], v[45:46]
	ds_read_b128 v[1:4], v72 offset:1440
	s_waitcnt vmcnt(56)
	v_fma_f64 v[23:24], v[9:10], v[31:32], -v[23:24]
	v_fma_f64 v[31:32], v[11:12], v[31:32], v[122:123]
	v_add_f64 v[15:16], v[15:16], v[37:38]
	v_add_f64 v[13:14], v[13:14], v[19:20]
	s_clause 0x4
	buffer_load_dword v20, off, s[0:3], 0 offset:764
	buffer_load_dword v37, off, s[0:3], 0 offset:776
	;; [unrolled: 1-line block ×5, first 2 shown]
	ds_read_b128 v[9:12], v72 offset:1456
	s_waitcnt vmcnt(57) lgkmcnt(1)
	v_mul_f64 v[123:124], v[1:2], v[29:30]
	v_mul_f64 v[29:30], v[3:4], v[29:30]
	s_waitcnt vmcnt(56)
	v_fma_f64 v[45:46], v[5:6], v[103:104], -v[45:46]
	v_add_f64 v[15:16], v[15:16], v[23:24]
	v_fma_f64 v[23:24], v[7:8], v[103:104], v[109:110]
	v_add_f64 v[13:14], v[13:14], v[31:32]
	s_clause 0x2
	buffer_load_dword v38, off, s[0:3], 0 offset:780
	buffer_load_dword v32, off, s[0:3], 0 offset:756
	buffer_load_dword v31, off, s[0:3], 0 offset:752
	s_waitcnt vmcnt(58) lgkmcnt(0)
	v_mul_f64 v[103:104], v[9:10], v[51:52]
	v_mul_f64 v[51:52], v[11:12], v[51:52]
	ds_read_b128 v[5:8], v72 offset:1472
	s_waitcnt vmcnt(56)
	v_fma_f64 v[29:30], v[1:2], v[41:42], -v[29:30]
	v_fma_f64 v[41:42], v[3:4], v[41:42], v[123:124]
	v_add_f64 v[15:16], v[15:16], v[45:46]
	v_add_f64 v[13:14], v[13:14], v[23:24]
	s_clause 0x4
	buffer_load_dword v24, off, s[0:3], 0 offset:796
	buffer_load_dword v45, off, s[0:3], 0 offset:808
	buffer_load_dword v109, off, s[0:3], 0 offset:800
	buffer_load_dword v23, off, s[0:3], 0 offset:792
	buffer_load_dword v118, off, s[0:3], 0 offset:772
	ds_read_b128 v[1:4], v72 offset:1488
	s_waitcnt vmcnt(57) lgkmcnt(1)
	v_mul_f64 v[123:124], v[5:6], v[35:36]
	v_mul_f64 v[35:36], v[7:8], v[35:36]
	s_waitcnt vmcnt(56)
	v_fma_f64 v[51:52], v[9:10], v[53:54], -v[51:52]
	v_add_f64 v[15:16], v[15:16], v[29:30]
	v_fma_f64 v[29:30], v[11:12], v[53:54], v[103:104]
	v_add_f64 v[13:14], v[13:14], v[41:42]
	s_clause 0x2
	buffer_load_dword v46, off, s[0:3], 0 offset:812
	buffer_load_dword v42, off, s[0:3], 0 offset:788
	buffer_load_dword v41, off, s[0:3], 0 offset:784
	ds_read_b128 v[9:12], v72 offset:1504
	s_waitcnt vmcnt(58) lgkmcnt(1)
	v_mul_f64 v[53:54], v[1:2], v[59:60]
	v_mul_f64 v[59:60], v[3:4], v[59:60]
	s_waitcnt vmcnt(56)
	v_fma_f64 v[35:36], v[5:6], v[39:40], -v[35:36]
	v_fma_f64 v[39:40], v[7:8], v[39:40], v[123:124]
	v_add_f64 v[15:16], v[15:16], v[51:52]
	v_add_f64 v[13:14], v[13:14], v[29:30]
	s_clause 0x4
	buffer_load_dword v30, off, s[0:3], 0 offset:828
	buffer_load_dword v51, off, s[0:3], 0 offset:840
	buffer_load_dword v103, off, s[0:3], 0 offset:832
	buffer_load_dword v29, off, s[0:3], 0 offset:824
	buffer_load_dword v110, off, s[0:3], 0 offset:804
	ds_read_b128 v[5:8], v72 offset:1520
	s_waitcnt vmcnt(57) lgkmcnt(1)
	v_mul_f64 v[123:124], v[9:10], v[43:44]
	v_mul_f64 v[43:44], v[11:12], v[43:44]
	s_waitcnt vmcnt(56)
	v_fma_f64 v[59:60], v[1:2], v[61:62], -v[59:60]
	v_add_f64 v[15:16], v[15:16], v[35:36]
	v_fma_f64 v[35:36], v[3:4], v[61:62], v[53:54]
	v_add_f64 v[13:14], v[13:14], v[39:40]
	s_clause 0x2
	buffer_load_dword v52, off, s[0:3], 0 offset:844
	buffer_load_dword v40, off, s[0:3], 0 offset:820
	buffer_load_dword v39, off, s[0:3], 0 offset:816
	ds_read_b128 v[1:4], v72 offset:1536
	s_waitcnt vmcnt(58) lgkmcnt(1)
	v_mul_f64 v[61:62], v[7:8], v[95:96]
	v_mul_f64 v[53:54], v[5:6], v[95:96]
	;; [unrolled: 28-line block ×4, first 2 shown]
	s_waitcnt vmcnt(56)
	v_fma_f64 v[57:58], v[5:6], v[93:94], -v[57:58]
	v_add_f64 v[15:16], v[15:16], v[55:56]
	v_fma_f64 v[55:56], v[7:8], v[93:94], v[123:124]
	v_add_f64 v[13:14], v[13:14], v[49:50]
	s_clause 0x4
	buffer_load_dword v50, off, s[0:3], 0 offset:924
	buffer_load_dword v93, off, s[0:3], 0 offset:936
	;; [unrolled: 1-line block ×5, first 2 shown]
	ds_read_b128 v[5:8], v72 offset:1616
	s_waitcnt vmcnt(57) lgkmcnt(1)
	v_mul_f64 v[123:124], v[9:10], v[21:22]
	v_mul_f64 v[21:22], v[11:12], v[21:22]
	s_waitcnt vmcnt(56)
	v_fma_f64 v[105:106], v[1:2], v[115:116], -v[105:106]
	v_fma_f64 v[53:54], v[3:4], v[115:116], v[53:54]
	v_add_f64 v[15:16], v[15:16], v[57:58]
	v_add_f64 v[13:14], v[13:14], v[55:56]
	s_clause 0x2
	buffer_load_dword v94, off, s[0:3], 0 offset:940
	buffer_load_dword v56, off, s[0:3], 0 offset:916
	;; [unrolled: 1-line block ×3, first 2 shown]
	ds_read_b128 v[1:4], v72 offset:1632
	buffer_load_dword v112, off, s[0:3], 0 offset:932
	s_waitcnt vmcnt(59) lgkmcnt(1)
	v_mul_f64 v[57:58], v[5:6], v[113:114]
	v_mul_f64 v[113:114], v[7:8], v[113:114]
	s_waitcnt vmcnt(57)
	v_fma_f64 v[21:22], v[9:10], v[27:28], -v[21:22]
	v_fma_f64 v[27:28], v[11:12], v[27:28], v[123:124]
	ds_read_b128 v[9:12], v72 offset:1648
	v_add_f64 v[15:16], v[15:16], v[105:106]
	v_add_f64 v[13:14], v[13:14], v[53:54]
	s_waitcnt vmcnt(53) lgkmcnt(1)
	v_mul_f64 v[53:54], v[1:2], v[33:34]
	v_mul_f64 v[33:34], v[3:4], v[33:34]
	s_waitcnt vmcnt(52)
	v_fma_f64 v[105:106], v[5:6], v[119:120], -v[113:114]
	v_add_f64 v[15:16], v[15:16], v[21:22]
	v_fma_f64 v[21:22], v[7:8], v[119:120], v[57:58]
	v_add_f64 v[13:14], v[13:14], v[27:28]
	ds_read_b128 v[5:8], v72 offset:1664
	s_waitcnt vmcnt(51) lgkmcnt(1)
	v_mul_f64 v[57:58], v[11:12], v[107:108]
	v_mul_f64 v[27:28], v[9:10], v[107:108]
	s_waitcnt vmcnt(49)
	v_fma_f64 v[33:34], v[1:2], v[25:26], -v[33:34]
	v_fma_f64 v[25:26], v[3:4], v[25:26], v[53:54]
	v_add_f64 v[15:16], v[15:16], v[105:106]
	v_add_f64 v[13:14], v[13:14], v[21:22]
	s_clause 0x3
	buffer_load_dword v21, off, s[0:3], 0 offset:112
	buffer_load_dword v22, off, s[0:3], 0 offset:116
	;; [unrolled: 1-line block ×4, first 2 shown]
	ds_read_b128 v[1:4], v72 offset:1680
	s_waitcnt vmcnt(49) lgkmcnt(1)
	v_mul_f64 v[105:106], v[5:6], v[19:20]
	v_mul_f64 v[19:20], v[7:8], v[19:20]
	s_waitcnt vmcnt(48)
	v_fma_f64 v[57:58], v[9:10], v[121:122], -v[57:58]
	v_fma_f64 v[27:28], v[11:12], v[121:122], v[27:28]
	ds_read_b128 v[9:12], v72 offset:1696
	v_add_f64 v[15:16], v[15:16], v[33:34]
	v_add_f64 v[13:14], v[13:14], v[25:26]
	s_waitcnt vmcnt(47) lgkmcnt(1)
	v_mul_f64 v[33:34], v[3:4], v[37:38]
	v_mul_f64 v[25:26], v[1:2], v[37:38]
	s_waitcnt vmcnt(45)
	v_fma_f64 v[19:20], v[5:6], v[31:32], -v[19:20]
	v_fma_f64 v[31:32], v[7:8], v[31:32], v[105:106]
	ds_read_b128 v[5:8], v72 offset:1712
	v_add_f64 v[15:16], v[15:16], v[57:58]
	v_add_f64 v[13:14], v[13:14], v[27:28]
	s_waitcnt vmcnt(41) lgkmcnt(1)
	v_mul_f64 v[27:28], v[9:10], v[23:24]
	v_mul_f64 v[23:24], v[11:12], v[23:24]
	s_waitcnt vmcnt(40)
	v_fma_f64 v[33:34], v[1:2], v[117:118], -v[33:34]
	v_add_f64 v[15:16], v[15:16], v[19:20]
	v_fma_f64 v[19:20], v[3:4], v[117:118], v[25:26]
	v_add_f64 v[13:14], v[13:14], v[31:32]
	ds_read_b128 v[1:4], v72 offset:1728
	s_waitcnt vmcnt(39) lgkmcnt(1)
	v_mul_f64 v[31:32], v[7:8], v[45:46]
	v_mul_f64 v[25:26], v[5:6], v[45:46]
	s_waitcnt vmcnt(37)
	v_fma_f64 v[23:24], v[9:10], v[41:42], -v[23:24]
	v_fma_f64 v[27:28], v[11:12], v[41:42], v[27:28]
	ds_read_b128 v[9:12], v72 offset:1744
	v_add_f64 v[15:16], v[15:16], v[33:34]
	v_add_f64 v[13:14], v[13:14], v[19:20]
	s_waitcnt vmcnt(33) lgkmcnt(1)
	v_mul_f64 v[19:20], v[1:2], v[29:30]
	v_mul_f64 v[29:30], v[3:4], v[29:30]
	s_waitcnt vmcnt(32)
	v_fma_f64 v[31:32], v[5:6], v[109:110], -v[31:32]
	v_add_f64 v[15:16], v[15:16], v[23:24]
	v_fma_f64 v[23:24], v[7:8], v[109:110], v[25:26]
	v_add_f64 v[13:14], v[13:14], v[27:28]
	ds_read_b128 v[5:8], v72 offset:1760
	s_waitcnt vmcnt(31) lgkmcnt(1)
	v_mul_f64 v[27:28], v[11:12], v[51:52]
	v_mul_f64 v[25:26], v[9:10], v[51:52]
	s_waitcnt vmcnt(29)
	v_fma_f64 v[29:30], v[1:2], v[39:40], -v[29:30]
	v_fma_f64 v[19:20], v[3:4], v[39:40], v[19:20]
	ds_read_b128 v[1:4], v72 offset:1776
	v_add_f64 v[15:16], v[15:16], v[31:32]
	v_add_f64 v[13:14], v[13:14], v[23:24]
	s_waitcnt vmcnt(25) lgkmcnt(1)
	v_mul_f64 v[31:32], v[7:8], v[35:36]
	s_waitcnt vmcnt(24)
	v_fma_f64 v[27:28], v[9:10], v[103:104], -v[27:28]
	v_mul_f64 v[23:24], v[5:6], v[35:36]
	v_fma_f64 v[25:26], v[11:12], v[103:104], v[25:26]
	ds_read_b128 v[9:12], v72 offset:1792
	v_add_f64 v[15:16], v[15:16], v[29:30]
	v_add_f64 v[13:14], v[13:14], v[19:20]
	s_waitcnt vmcnt(23) lgkmcnt(1)
	v_mul_f64 v[29:30], v[3:4], v[59:60]
	v_mul_f64 v[19:20], v[1:2], v[59:60]
	s_waitcnt vmcnt(21)
	v_fma_f64 v[31:32], v[5:6], v[47:48], -v[31:32]
	v_fma_f64 v[23:24], v[7:8], v[47:48], v[23:24]
	ds_read_b128 v[5:8], v72 offset:1808
	v_add_f64 v[15:16], v[15:16], v[27:28]
	v_add_f64 v[13:14], v[13:14], v[25:26]
	s_waitcnt vmcnt(17) lgkmcnt(1)
	v_mul_f64 v[27:28], v[11:12], v[43:44]
	s_waitcnt vmcnt(16)
	v_fma_f64 v[29:30], v[1:2], v[95:96], -v[29:30]
	v_mul_f64 v[25:26], v[9:10], v[43:44]
	v_fma_f64 v[19:20], v[3:4], v[95:96], v[19:20]
	ds_read_b128 v[1:4], v72 offset:1824
	v_add_f64 v[15:16], v[15:16], v[31:32]
	v_add_f64 v[13:14], v[13:14], v[23:24]
	s_waitcnt vmcnt(15) lgkmcnt(1)
	v_mul_f64 v[31:32], v[7:8], v[61:62]
	v_mul_f64 v[23:24], v[5:6], v[61:62]
	s_waitcnt vmcnt(13)
	v_fma_f64 v[27:28], v[9:10], v[17:18], -v[27:28]
	v_fma_f64 v[17:18], v[11:12], v[17:18], v[25:26]
	ds_read_b128 v[9:12], v72 offset:1840
	v_add_f64 v[15:16], v[15:16], v[29:30]
	v_add_f64 v[13:14], v[13:14], v[19:20]
	s_waitcnt vmcnt(9) lgkmcnt(1)
	v_mul_f64 v[25:26], v[3:4], v[49:50]
	s_waitcnt vmcnt(8)
	v_fma_f64 v[5:6], v[5:6], v[101:102], -v[31:32]
	v_mul_f64 v[19:20], v[1:2], v[49:50]
	v_fma_f64 v[7:8], v[7:8], v[101:102], v[23:24]
	v_add_f64 v[15:16], v[15:16], v[27:28]
	v_add_f64 v[13:14], v[13:14], v[17:18]
	s_waitcnt vmcnt(7) lgkmcnt(0)
	v_mul_f64 v[23:24], v[11:12], v[93:94]
	v_mul_f64 v[17:18], v[9:10], v[93:94]
	s_waitcnt vmcnt(5)
	v_fma_f64 v[1:2], v[1:2], v[55:56], -v[25:26]
	v_fma_f64 v[3:4], v[3:4], v[55:56], v[19:20]
	v_add_f64 v[5:6], v[15:16], v[5:6]
	v_add_f64 v[7:8], v[13:14], v[7:8]
	s_waitcnt vmcnt(4)
	v_fma_f64 v[9:10], v[9:10], v[111:112], -v[23:24]
	v_add_f64 v[1:2], v[5:6], v[1:2]
	v_fma_f64 v[5:6], v[11:12], v[111:112], v[17:18]
	v_add_f64 v[3:4], v[7:8], v[3:4]
	v_add_f64 v[1:2], v[1:2], v[9:10]
	;; [unrolled: 1-line block ×3, first 2 shown]
	s_waitcnt vmcnt(2)
	v_add_f64 v[1:2], v[21:22], -v[1:2]
	s_waitcnt vmcnt(0)
	v_add_f64 v[3:4], v[53:54], -v[3:4]
	buffer_store_dword v2, off, s[0:3], 0 offset:116
	buffer_store_dword v1, off, s[0:3], 0 offset:112
	;; [unrolled: 1-line block ×4, first 2 shown]
	v_cmpx_lt_u32_e32 5, v0
	s_cbranch_execz .LBB57_351
; %bb.350:
	v_mov_b32_e32 v4, s65
	s_clause 0x3
	buffer_load_dword v1, v4, s[0:3], 0 offen
	buffer_load_dword v2, v4, s[0:3], 0 offen offset:4
	buffer_load_dword v3, v4, s[0:3], 0 offen offset:8
	;; [unrolled: 1-line block ×3, first 2 shown]
	buffer_store_dword v72, off, s[0:3], 0 offset:96
	buffer_store_dword v72, off, s[0:3], 0 offset:100
	;; [unrolled: 1-line block ×4, first 2 shown]
	s_waitcnt vmcnt(0)
	ds_write_b128 v63, v[1:4]
.LBB57_351:
	s_or_b32 exec_lo, exec_lo, s4
	s_waitcnt lgkmcnt(0)
	s_waitcnt_vscnt null, 0x0
	s_barrier
	buffer_gl0_inv
	s_clause 0x37
	buffer_load_dword v17, off, s[0:3], 0 offset:120
	buffer_load_dword v18, off, s[0:3], 0 offset:124
	;; [unrolled: 1-line block ×56, first 2 shown]
	ds_read_b128 v[5:8], v72 offset:1024
	s_clause 0x2
	buffer_load_dword v96, off, s[0:3], 0 offset:348
	buffer_load_dword v102, off, s[0:3], 0 offset:324
	;; [unrolled: 1-line block ×3, first 2 shown]
	ds_read_b128 v[1:4], v72 offset:1040
	s_clause 0x4
	buffer_load_dword v110, off, s[0:3], 0 offset:364
	buffer_load_dword v111, off, s[0:3], 0 offset:376
	;; [unrolled: 1-line block ×5, first 2 shown]
	ds_read_b128 v[103:106], v72 offset:1056
	s_mov_b32 s4, exec_lo
	s_waitcnt vmcnt(62) lgkmcnt(2)
	v_mul_f64 v[107:108], v[7:8], v[17:18]
	v_mul_f64 v[17:18], v[5:6], v[17:18]
	s_waitcnt vmcnt(60) lgkmcnt(1)
	v_mul_f64 v[114:115], v[3:4], v[13:14]
	v_mul_f64 v[13:14], v[1:2], v[13:14]
	;; [unrolled: 3-line block ×3, first 2 shown]
	v_fma_f64 v[107:108], v[5:6], v[15:16], -v[107:108]
	v_fma_f64 v[15:16], v[7:8], v[15:16], v[17:18]
	s_clause 0x2
	buffer_load_dword v112, off, s[0:3], 0 offset:380
	buffer_load_dword v18, off, s[0:3], 0 offset:356
	;; [unrolled: 1-line block ×3, first 2 shown]
	s_waitcnt vmcnt(57)
	v_fma_f64 v[118:119], v[1:2], v[9:10], -v[114:115]
	ds_read_b128 v[5:8], v72 offset:1072
	v_fma_f64 v[9:10], v[3:4], v[9:10], v[13:14]
	s_waitcnt vmcnt(51)
	v_fma_f64 v[103:104], v[103:104], v[33:34], -v[11:12]
	v_fma_f64 v[33:34], v[105:106], v[33:34], v[116:117]
	v_add_f64 v[107:108], v[107:108], 0
	v_add_f64 v[13:14], v[15:16], 0
	s_clause 0x4
	buffer_load_dword v16, off, s[0:3], 0 offset:396
	buffer_load_dword v115, off, s[0:3], 0 offset:408
	buffer_load_dword v120, off, s[0:3], 0 offset:400
	buffer_load_dword v15, off, s[0:3], 0 offset:392
	buffer_load_dword v114, off, s[0:3], 0 offset:372
	s_waitcnt lgkmcnt(0)
	v_mul_f64 v[121:122], v[5:6], v[21:22]
	v_mul_f64 v[21:22], v[7:8], v[21:22]
	ds_read_b128 v[1:4], v72 offset:1088
	s_clause 0x2
	buffer_load_dword v116, off, s[0:3], 0 offset:412
	buffer_load_dword v106, off, s[0:3], 0 offset:388
	;; [unrolled: 1-line block ×3, first 2 shown]
	v_add_f64 v[107:108], v[107:108], v[118:119]
	v_add_f64 v[13:14], v[13:14], v[9:10]
	ds_read_b128 v[9:12], v72 offset:1104
	s_waitcnt vmcnt(58) lgkmcnt(1)
	v_mul_f64 v[117:118], v[1:2], v[25:26]
	v_mul_f64 v[25:26], v[3:4], v[25:26]
	s_waitcnt vmcnt(56)
	v_fma_f64 v[21:22], v[5:6], v[27:28], -v[21:22]
	v_fma_f64 v[27:28], v[7:8], v[27:28], v[121:122]
	s_waitcnt vmcnt(52) lgkmcnt(0)
	v_mul_f64 v[123:124], v[9:10], v[29:30]
	v_add_f64 v[103:104], v[107:108], v[103:104]
	v_add_f64 v[13:14], v[13:14], v[33:34]
	s_clause 0x4
	buffer_load_dword v34, off, s[0:3], 0 offset:428
	buffer_load_dword v107, off, s[0:3], 0 offset:440
	;; [unrolled: 1-line block ×5, first 2 shown]
	v_mul_f64 v[29:30], v[11:12], v[29:30]
	s_waitcnt vmcnt(56)
	v_fma_f64 v[25:26], v[1:2], v[19:20], -v[25:26]
	ds_read_b128 v[5:8], v72 offset:1120
	v_fma_f64 v[19:20], v[3:4], v[19:20], v[117:118]
	v_add_f64 v[21:22], v[103:104], v[21:22]
	v_add_f64 v[13:14], v[13:14], v[27:28]
	s_clause 0x2
	buffer_load_dword v108, off, s[0:3], 0 offset:444
	buffer_load_dword v28, off, s[0:3], 0 offset:420
	;; [unrolled: 1-line block ×3, first 2 shown]
	s_waitcnt vmcnt(58) lgkmcnt(0)
	v_mul_f64 v[103:104], v[5:6], v[35:36]
	v_mul_f64 v[35:36], v[7:8], v[35:36]
	s_waitcnt vmcnt(56)
	v_fma_f64 v[29:30], v[9:10], v[37:38], -v[29:30]
	ds_read_b128 v[1:4], v72 offset:1136
	v_add_f64 v[21:22], v[21:22], v[25:26]
	v_fma_f64 v[25:26], v[11:12], v[37:38], v[123:124]
	v_add_f64 v[13:14], v[13:14], v[19:20]
	s_clause 0x4
	buffer_load_dword v20, off, s[0:3], 0 offset:460
	buffer_load_dword v37, off, s[0:3], 0 offset:472
	;; [unrolled: 1-line block ×5, first 2 shown]
	s_waitcnt vmcnt(57) lgkmcnt(0)
	v_mul_f64 v[118:119], v[1:2], v[39:40]
	v_mul_f64 v[39:40], v[3:4], v[39:40]
	s_waitcnt vmcnt(56)
	v_fma_f64 v[35:36], v[5:6], v[23:24], -v[35:36]
	ds_read_b128 v[9:12], v72 offset:1152
	v_fma_f64 v[23:24], v[7:8], v[23:24], v[103:104]
	v_add_f64 v[21:22], v[21:22], v[29:30]
	v_add_f64 v[13:14], v[13:14], v[25:26]
	s_clause 0x2
	buffer_load_dword v38, off, s[0:3], 0 offset:476
	buffer_load_dword v26, off, s[0:3], 0 offset:452
	;; [unrolled: 1-line block ×3, first 2 shown]
	ds_read_b128 v[5:8], v72 offset:1168
	s_waitcnt vmcnt(58) lgkmcnt(1)
	v_mul_f64 v[29:30], v[9:10], v[43:44]
	v_mul_f64 v[43:44], v[11:12], v[43:44]
	s_waitcnt vmcnt(56)
	v_fma_f64 v[39:40], v[1:2], v[45:46], -v[39:40]
	v_add_f64 v[21:22], v[21:22], v[35:36]
	v_fma_f64 v[35:36], v[3:4], v[45:46], v[118:119]
	v_add_f64 v[13:14], v[13:14], v[23:24]
	s_clause 0x4
	buffer_load_dword v24, off, s[0:3], 0 offset:492
	buffer_load_dword v45, off, s[0:3], 0 offset:504
	;; [unrolled: 1-line block ×5, first 2 shown]
	s_waitcnt vmcnt(57) lgkmcnt(0)
	v_mul_f64 v[124:125], v[5:6], v[47:48]
	v_mul_f64 v[47:48], v[7:8], v[47:48]
	s_waitcnt vmcnt(56)
	v_fma_f64 v[43:44], v[9:10], v[31:32], -v[43:44]
	ds_read_b128 v[1:4], v72 offset:1184
	v_fma_f64 v[29:30], v[11:12], v[31:32], v[29:30]
	s_clause 0x2
	buffer_load_dword v46, off, s[0:3], 0 offset:508
	buffer_load_dword v32, off, s[0:3], 0 offset:484
	;; [unrolled: 1-line block ×3, first 2 shown]
	ds_read_b128 v[9:12], v72 offset:1200
	v_add_f64 v[21:22], v[21:22], v[39:40]
	v_add_f64 v[13:14], v[13:14], v[35:36]
	s_waitcnt vmcnt(58) lgkmcnt(1)
	v_mul_f64 v[39:40], v[3:4], v[51:52]
	s_waitcnt vmcnt(56)
	v_fma_f64 v[47:48], v[5:6], v[53:54], -v[47:48]
	v_mul_f64 v[35:36], v[1:2], v[51:52]
	v_add_f64 v[21:22], v[21:22], v[43:44]
	v_fma_f64 v[43:44], v[7:8], v[53:54], v[124:125]
	v_add_f64 v[13:14], v[13:14], v[29:30]
	s_clause 0x4
	buffer_load_dword v30, off, s[0:3], 0 offset:524
	buffer_load_dword v51, off, s[0:3], 0 offset:536
	;; [unrolled: 1-line block ×5, first 2 shown]
	s_waitcnt vmcnt(57) lgkmcnt(0)
	v_mul_f64 v[124:125], v[9:10], v[55:56]
	v_mul_f64 v[54:55], v[11:12], v[55:56]
	s_waitcnt vmcnt(56)
	v_fma_f64 v[39:40], v[1:2], v[41:42], -v[39:40]
	ds_read_b128 v[5:8], v72 offset:1216
	v_fma_f64 v[35:36], v[3:4], v[41:42], v[35:36]
	s_clause 0x2
	buffer_load_dword v52, off, s[0:3], 0 offset:540
	buffer_load_dword v42, off, s[0:3], 0 offset:516
	buffer_load_dword v41, off, s[0:3], 0 offset:512
	ds_read_b128 v[1:4], v72 offset:1232
	v_add_f64 v[21:22], v[21:22], v[47:48]
	v_add_f64 v[13:14], v[13:14], v[43:44]
	s_waitcnt vmcnt(58) lgkmcnt(1)
	v_mul_f64 v[47:48], v[7:8], v[59:60]
	s_waitcnt vmcnt(56)
	v_fma_f64 v[55:56], v[9:10], v[61:62], -v[54:55]
	v_mul_f64 v[43:44], v[5:6], v[59:60]
	v_add_f64 v[21:22], v[21:22], v[39:40]
	v_fma_f64 v[39:40], v[11:12], v[61:62], v[124:125]
	v_add_f64 v[13:14], v[13:14], v[35:36]
	s_clause 0x4
	buffer_load_dword v36, off, s[0:3], 0 offset:556
	buffer_load_dword v59, off, s[0:3], 0 offset:568
	;; [unrolled: 1-line block ×5, first 2 shown]
	s_waitcnt vmcnt(57) lgkmcnt(0)
	v_mul_f64 v[124:125], v[1:2], v[93:94]
	v_mul_f64 v[93:94], v[3:4], v[93:94]
	s_waitcnt vmcnt(56)
	v_fma_f64 v[47:48], v[5:6], v[49:50], -v[47:48]
	ds_read_b128 v[9:12], v72 offset:1248
	v_fma_f64 v[43:44], v[7:8], v[49:50], v[43:44]
	v_add_f64 v[21:22], v[21:22], v[55:56]
	v_add_f64 v[13:14], v[13:14], v[39:40]
	s_clause 0x2
	buffer_load_dword v60, off, s[0:3], 0 offset:572
	buffer_load_dword v40, off, s[0:3], 0 offset:548
	;; [unrolled: 1-line block ×3, first 2 shown]
	ds_read_b128 v[5:8], v72 offset:1264
	s_waitcnt vmcnt(58) lgkmcnt(1)
	v_mul_f64 v[55:56], v[11:12], v[95:96]
	s_waitcnt vmcnt(56)
	v_fma_f64 v[93:94], v[1:2], v[101:102], -v[93:94]
	v_mul_f64 v[49:50], v[9:10], v[95:96]
	v_add_f64 v[21:22], v[21:22], v[47:48]
	v_fma_f64 v[47:48], v[3:4], v[101:102], v[124:125]
	v_add_f64 v[13:14], v[13:14], v[43:44]
	s_clause 0x4
	buffer_load_dword v44, off, s[0:3], 0 offset:588
	buffer_load_dword v95, off, s[0:3], 0 offset:600
	;; [unrolled: 1-line block ×5, first 2 shown]
	s_waitcnt vmcnt(57) lgkmcnt(0)
	v_mul_f64 v[124:125], v[5:6], v[109:110]
	v_mul_f64 v[109:110], v[7:8], v[109:110]
	s_waitcnt vmcnt(56)
	v_fma_f64 v[55:56], v[9:10], v[57:58], -v[55:56]
	ds_read_b128 v[1:4], v72 offset:1280
	v_fma_f64 v[49:50], v[11:12], v[57:58], v[49:50]
	v_add_f64 v[21:22], v[21:22], v[93:94]
	v_add_f64 v[13:14], v[13:14], v[47:48]
	s_clause 0x2
	buffer_load_dword v96, off, s[0:3], 0 offset:604
	buffer_load_dword v48, off, s[0:3], 0 offset:580
	buffer_load_dword v47, off, s[0:3], 0 offset:576
	ds_read_b128 v[9:12], v72 offset:1296
	s_waitcnt vmcnt(58) lgkmcnt(1)
	v_mul_f64 v[93:94], v[3:4], v[111:112]
	v_mul_f64 v[57:58], v[1:2], v[111:112]
	s_waitcnt vmcnt(56)
	v_fma_f64 v[109:110], v[5:6], v[17:18], -v[109:110]
	v_fma_f64 v[17:18], v[7:8], v[17:18], v[124:125]
	v_add_f64 v[21:22], v[21:22], v[55:56]
	v_add_f64 v[13:14], v[13:14], v[49:50]
	s_clause 0x4
	buffer_load_dword v50, off, s[0:3], 0 offset:620
	buffer_load_dword v55, off, s[0:3], 0 offset:632
	;; [unrolled: 1-line block ×5, first 2 shown]
	ds_read_b128 v[5:8], v72 offset:1312
	s_waitcnt vmcnt(57) lgkmcnt(1)
	v_mul_f64 v[124:125], v[9:10], v[15:16]
	v_mul_f64 v[15:16], v[11:12], v[15:16]
	s_waitcnt vmcnt(56)
	v_fma_f64 v[93:94], v[1:2], v[113:114], -v[93:94]
	v_fma_f64 v[57:58], v[3:4], v[113:114], v[57:58]
	v_add_f64 v[21:22], v[21:22], v[109:110]
	v_add_f64 v[13:14], v[13:14], v[17:18]
	s_clause 0x2
	buffer_load_dword v56, off, s[0:3], 0 offset:636
	buffer_load_dword v18, off, s[0:3], 0 offset:612
	buffer_load_dword v17, off, s[0:3], 0 offset:608
	s_waitcnt vmcnt(58) lgkmcnt(0)
	v_mul_f64 v[113:114], v[7:8], v[115:116]
	ds_read_b128 v[1:4], v72 offset:1328
	v_mul_f64 v[109:110], v[5:6], v[115:116]
	s_waitcnt vmcnt(56)
	v_fma_f64 v[15:16], v[9:10], v[105:106], -v[15:16]
	v_add_f64 v[21:22], v[21:22], v[93:94]
	v_fma_f64 v[93:94], v[11:12], v[105:106], v[124:125]
	v_add_f64 v[13:14], v[13:14], v[57:58]
	s_clause 0x4
	buffer_load_dword v58, off, s[0:3], 0 offset:652
	buffer_load_dword v105, off, s[0:3], 0 offset:664
	;; [unrolled: 1-line block ×5, first 2 shown]
	ds_read_b128 v[9:12], v72 offset:1344
	s_waitcnt vmcnt(57) lgkmcnt(1)
	v_mul_f64 v[124:125], v[1:2], v[33:34]
	v_mul_f64 v[33:34], v[3:4], v[33:34]
	s_waitcnt vmcnt(56)
	v_fma_f64 v[113:114], v[5:6], v[120:121], -v[113:114]
	v_add_f64 v[15:16], v[21:22], v[15:16]
	v_fma_f64 v[21:22], v[7:8], v[120:121], v[109:110]
	v_add_f64 v[13:14], v[13:14], v[93:94]
	s_clause 0x2
	buffer_load_dword v106, off, s[0:3], 0 offset:668
	buffer_load_dword v94, off, s[0:3], 0 offset:644
	;; [unrolled: 1-line block ×3, first 2 shown]
	ds_read_b128 v[5:8], v72 offset:1360
	s_waitcnt vmcnt(58) lgkmcnt(1)
	v_mul_f64 v[109:110], v[9:10], v[107:108]
	v_mul_f64 v[107:108], v[11:12], v[107:108]
	s_waitcnt vmcnt(56)
	v_fma_f64 v[33:34], v[1:2], v[27:28], -v[33:34]
	v_fma_f64 v[27:28], v[3:4], v[27:28], v[124:125]
	v_add_f64 v[15:16], v[15:16], v[113:114]
	v_add_f64 v[13:14], v[13:14], v[21:22]
	s_clause 0x4
	buffer_load_dword v22, off, s[0:3], 0 offset:684
	buffer_load_dword v113, off, s[0:3], 0 offset:696
	;; [unrolled: 1-line block ×5, first 2 shown]
	ds_read_b128 v[1:4], v72 offset:1376
	s_waitcnt vmcnt(57) lgkmcnt(1)
	v_mul_f64 v[120:121], v[5:6], v[19:20]
	v_mul_f64 v[19:20], v[7:8], v[19:20]
	s_waitcnt vmcnt(56)
	v_fma_f64 v[107:108], v[9:10], v[122:123], -v[107:108]
	v_add_f64 v[15:16], v[15:16], v[33:34]
	v_fma_f64 v[33:34], v[11:12], v[122:123], v[109:110]
	v_add_f64 v[13:14], v[13:14], v[27:28]
	s_clause 0x2
	buffer_load_dword v114, off, s[0:3], 0 offset:700
	buffer_load_dword v28, off, s[0:3], 0 offset:676
	;; [unrolled: 1-line block ×3, first 2 shown]
	ds_read_b128 v[9:12], v72 offset:1392
	s_waitcnt vmcnt(58) lgkmcnt(1)
	v_mul_f64 v[109:110], v[1:2], v[37:38]
	v_mul_f64 v[37:38], v[3:4], v[37:38]
	s_waitcnt vmcnt(56)
	v_fma_f64 v[19:20], v[5:6], v[25:26], -v[19:20]
	v_fma_f64 v[25:26], v[7:8], v[25:26], v[120:121]
	v_add_f64 v[15:16], v[15:16], v[107:108]
	v_add_f64 v[13:14], v[13:14], v[33:34]
	s_clause 0x4
	buffer_load_dword v34, off, s[0:3], 0 offset:716
	buffer_load_dword v107, off, s[0:3], 0 offset:728
	buffer_load_dword v121, off, s[0:3], 0 offset:720
	buffer_load_dword v33, off, s[0:3], 0 offset:712
	buffer_load_dword v120, off, s[0:3], 0 offset:692
	ds_read_b128 v[5:8], v72 offset:1408
	s_waitcnt vmcnt(57) lgkmcnt(1)
	v_mul_f64 v[122:123], v[9:10], v[23:24]
	v_mul_f64 v[23:24], v[11:12], v[23:24]
	s_waitcnt vmcnt(56)
	v_fma_f64 v[37:38], v[1:2], v[117:118], -v[37:38]
	v_add_f64 v[15:16], v[15:16], v[19:20]
	v_fma_f64 v[19:20], v[3:4], v[117:118], v[109:110]
	v_add_f64 v[13:14], v[13:14], v[25:26]
	s_clause 0x2
	buffer_load_dword v108, off, s[0:3], 0 offset:732
	buffer_load_dword v26, off, s[0:3], 0 offset:708
	;; [unrolled: 1-line block ×3, first 2 shown]
	s_waitcnt vmcnt(58) lgkmcnt(0)
	v_mul_f64 v[109:110], v[5:6], v[45:46]
	v_mul_f64 v[45:46], v[7:8], v[45:46]
	ds_read_b128 v[1:4], v72 offset:1424
	s_waitcnt vmcnt(56)
	v_fma_f64 v[23:24], v[9:10], v[31:32], -v[23:24]
	v_fma_f64 v[31:32], v[11:12], v[31:32], v[122:123]
	v_add_f64 v[15:16], v[15:16], v[37:38]
	v_add_f64 v[13:14], v[13:14], v[19:20]
	s_clause 0x4
	buffer_load_dword v20, off, s[0:3], 0 offset:748
	buffer_load_dword v37, off, s[0:3], 0 offset:760
	;; [unrolled: 1-line block ×5, first 2 shown]
	ds_read_b128 v[9:12], v72 offset:1440
	s_waitcnt vmcnt(57) lgkmcnt(1)
	v_mul_f64 v[123:124], v[1:2], v[29:30]
	v_mul_f64 v[29:30], v[3:4], v[29:30]
	s_waitcnt vmcnt(56)
	v_fma_f64 v[45:46], v[5:6], v[103:104], -v[45:46]
	v_add_f64 v[15:16], v[15:16], v[23:24]
	v_fma_f64 v[23:24], v[7:8], v[103:104], v[109:110]
	v_add_f64 v[13:14], v[13:14], v[31:32]
	s_clause 0x2
	buffer_load_dword v38, off, s[0:3], 0 offset:764
	buffer_load_dword v32, off, s[0:3], 0 offset:740
	;; [unrolled: 1-line block ×3, first 2 shown]
	s_waitcnt vmcnt(58) lgkmcnt(0)
	v_mul_f64 v[103:104], v[9:10], v[51:52]
	v_mul_f64 v[51:52], v[11:12], v[51:52]
	ds_read_b128 v[5:8], v72 offset:1456
	s_waitcnt vmcnt(56)
	v_fma_f64 v[29:30], v[1:2], v[41:42], -v[29:30]
	v_fma_f64 v[41:42], v[3:4], v[41:42], v[123:124]
	v_add_f64 v[15:16], v[15:16], v[45:46]
	v_add_f64 v[13:14], v[13:14], v[23:24]
	s_clause 0x4
	buffer_load_dword v24, off, s[0:3], 0 offset:780
	buffer_load_dword v45, off, s[0:3], 0 offset:792
	buffer_load_dword v109, off, s[0:3], 0 offset:784
	buffer_load_dword v23, off, s[0:3], 0 offset:776
	buffer_load_dword v118, off, s[0:3], 0 offset:756
	ds_read_b128 v[1:4], v72 offset:1472
	s_waitcnt vmcnt(57) lgkmcnt(1)
	v_mul_f64 v[123:124], v[5:6], v[35:36]
	v_mul_f64 v[35:36], v[7:8], v[35:36]
	s_waitcnt vmcnt(56)
	v_fma_f64 v[51:52], v[9:10], v[53:54], -v[51:52]
	v_add_f64 v[15:16], v[15:16], v[29:30]
	v_fma_f64 v[29:30], v[11:12], v[53:54], v[103:104]
	v_add_f64 v[13:14], v[13:14], v[41:42]
	s_clause 0x2
	buffer_load_dword v46, off, s[0:3], 0 offset:796
	buffer_load_dword v42, off, s[0:3], 0 offset:772
	buffer_load_dword v41, off, s[0:3], 0 offset:768
	ds_read_b128 v[9:12], v72 offset:1488
	s_waitcnt vmcnt(58) lgkmcnt(1)
	v_mul_f64 v[53:54], v[1:2], v[59:60]
	v_mul_f64 v[59:60], v[3:4], v[59:60]
	s_waitcnt vmcnt(56)
	v_fma_f64 v[35:36], v[5:6], v[39:40], -v[35:36]
	v_fma_f64 v[39:40], v[7:8], v[39:40], v[123:124]
	v_add_f64 v[15:16], v[15:16], v[51:52]
	v_add_f64 v[13:14], v[13:14], v[29:30]
	s_clause 0x4
	buffer_load_dword v30, off, s[0:3], 0 offset:812
	buffer_load_dword v51, off, s[0:3], 0 offset:824
	buffer_load_dword v103, off, s[0:3], 0 offset:816
	buffer_load_dword v29, off, s[0:3], 0 offset:808
	buffer_load_dword v110, off, s[0:3], 0 offset:788
	ds_read_b128 v[5:8], v72 offset:1504
	s_waitcnt vmcnt(57) lgkmcnt(1)
	v_mul_f64 v[123:124], v[9:10], v[43:44]
	v_mul_f64 v[43:44], v[11:12], v[43:44]
	s_waitcnt vmcnt(56)
	v_fma_f64 v[59:60], v[1:2], v[61:62], -v[59:60]
	v_add_f64 v[15:16], v[15:16], v[35:36]
	v_fma_f64 v[35:36], v[3:4], v[61:62], v[53:54]
	v_add_f64 v[13:14], v[13:14], v[39:40]
	s_clause 0x2
	buffer_load_dword v52, off, s[0:3], 0 offset:828
	buffer_load_dword v40, off, s[0:3], 0 offset:804
	buffer_load_dword v39, off, s[0:3], 0 offset:800
	ds_read_b128 v[1:4], v72 offset:1520
	s_waitcnt vmcnt(58) lgkmcnt(1)
	v_mul_f64 v[61:62], v[7:8], v[95:96]
	v_mul_f64 v[53:54], v[5:6], v[95:96]
	;; [unrolled: 28-line block ×4, first 2 shown]
	s_waitcnt vmcnt(56)
	v_fma_f64 v[57:58], v[5:6], v[93:94], -v[57:58]
	v_add_f64 v[15:16], v[15:16], v[55:56]
	v_fma_f64 v[55:56], v[7:8], v[93:94], v[123:124]
	v_add_f64 v[13:14], v[13:14], v[49:50]
	s_clause 0x4
	buffer_load_dword v50, off, s[0:3], 0 offset:908
	buffer_load_dword v93, off, s[0:3], 0 offset:920
	;; [unrolled: 1-line block ×5, first 2 shown]
	ds_read_b128 v[5:8], v72 offset:1600
	s_waitcnt vmcnt(57) lgkmcnt(1)
	v_mul_f64 v[123:124], v[9:10], v[21:22]
	v_mul_f64 v[21:22], v[11:12], v[21:22]
	s_waitcnt vmcnt(56)
	v_fma_f64 v[105:106], v[1:2], v[115:116], -v[105:106]
	v_fma_f64 v[53:54], v[3:4], v[115:116], v[53:54]
	v_add_f64 v[15:16], v[15:16], v[57:58]
	v_add_f64 v[13:14], v[13:14], v[55:56]
	s_clause 0x2
	buffer_load_dword v94, off, s[0:3], 0 offset:924
	buffer_load_dword v56, off, s[0:3], 0 offset:900
	;; [unrolled: 1-line block ×3, first 2 shown]
	ds_read_b128 v[1:4], v72 offset:1616
	s_waitcnt vmcnt(58) lgkmcnt(1)
	v_mul_f64 v[57:58], v[5:6], v[113:114]
	v_mul_f64 v[113:114], v[7:8], v[113:114]
	s_waitcnt vmcnt(56)
	v_fma_f64 v[21:22], v[9:10], v[27:28], -v[21:22]
	v_fma_f64 v[27:28], v[11:12], v[27:28], v[123:124]
	v_add_f64 v[15:16], v[15:16], v[105:106]
	v_add_f64 v[13:14], v[13:14], v[53:54]
	s_clause 0x2
	buffer_load_dword v54, off, s[0:3], 0 offset:940
	buffer_load_dword v53, off, s[0:3], 0 offset:936
	;; [unrolled: 1-line block ×3, first 2 shown]
	ds_read_b128 v[9:12], v72 offset:1632
	s_waitcnt vmcnt(55) lgkmcnt(1)
	v_mul_f64 v[105:106], v[1:2], v[33:34]
	v_mul_f64 v[33:34], v[3:4], v[33:34]
	s_waitcnt vmcnt(54)
	v_fma_f64 v[113:114], v[5:6], v[119:120], -v[113:114]
	v_add_f64 v[15:16], v[15:16], v[21:22]
	v_fma_f64 v[21:22], v[7:8], v[119:120], v[57:58]
	v_add_f64 v[13:14], v[13:14], v[27:28]
	s_clause 0x1
	buffer_load_dword v28, off, s[0:3], 0 offset:932
	buffer_load_dword v27, off, s[0:3], 0 offset:928
	ds_read_b128 v[5:8], v72 offset:1648
	s_waitcnt vmcnt(55) lgkmcnt(1)
	v_mul_f64 v[57:58], v[9:10], v[107:108]
	v_mul_f64 v[107:108], v[11:12], v[107:108]
	s_waitcnt vmcnt(53)
	v_fma_f64 v[33:34], v[1:2], v[25:26], -v[33:34]
	v_fma_f64 v[25:26], v[3:4], v[25:26], v[105:106]
	ds_read_b128 v[1:4], v72 offset:1664
	v_add_f64 v[15:16], v[15:16], v[113:114]
	v_add_f64 v[13:14], v[13:14], v[21:22]
	s_waitcnt vmcnt(49) lgkmcnt(1)
	v_mul_f64 v[21:22], v[5:6], v[19:20]
	v_mul_f64 v[19:20], v[7:8], v[19:20]
	s_waitcnt vmcnt(48)
	v_fma_f64 v[105:106], v[9:10], v[121:122], -v[107:108]
	v_add_f64 v[15:16], v[15:16], v[33:34]
	v_fma_f64 v[33:34], v[11:12], v[121:122], v[57:58]
	v_add_f64 v[13:14], v[13:14], v[25:26]
	s_clause 0x3
	buffer_load_dword v25, off, s[0:3], 0 offset:96
	buffer_load_dword v26, off, s[0:3], 0 offset:100
	;; [unrolled: 1-line block ×4, first 2 shown]
	ds_read_b128 v[9:12], v72 offset:1680
	s_waitcnt vmcnt(51) lgkmcnt(1)
	v_mul_f64 v[107:108], v[1:2], v[37:38]
	v_mul_f64 v[37:38], v[3:4], v[37:38]
	s_waitcnt vmcnt(49)
	v_fma_f64 v[19:20], v[5:6], v[31:32], -v[19:20]
	v_fma_f64 v[21:22], v[7:8], v[31:32], v[21:22]
	ds_read_b128 v[5:8], v72 offset:1696
	v_add_f64 v[15:16], v[15:16], v[105:106]
	v_add_f64 v[13:14], v[13:14], v[33:34]
	s_waitcnt vmcnt(45) lgkmcnt(1)
	v_mul_f64 v[31:32], v[9:10], v[23:24]
	v_mul_f64 v[23:24], v[11:12], v[23:24]
	s_waitcnt vmcnt(44)
	v_fma_f64 v[33:34], v[1:2], v[117:118], -v[37:38]
	v_add_f64 v[15:16], v[15:16], v[19:20]
	v_fma_f64 v[19:20], v[3:4], v[117:118], v[107:108]
	v_add_f64 v[13:14], v[13:14], v[21:22]
	ds_read_b128 v[1:4], v72 offset:1712
	s_waitcnt vmcnt(43) lgkmcnt(1)
	v_mul_f64 v[37:38], v[7:8], v[45:46]
	v_mul_f64 v[21:22], v[5:6], v[45:46]
	s_waitcnt vmcnt(41)
	v_fma_f64 v[23:24], v[9:10], v[41:42], -v[23:24]
	v_fma_f64 v[31:32], v[11:12], v[41:42], v[31:32]
	ds_read_b128 v[9:12], v72 offset:1728
	v_add_f64 v[15:16], v[15:16], v[33:34]
	v_add_f64 v[13:14], v[13:14], v[19:20]
	s_waitcnt vmcnt(37) lgkmcnt(1)
	v_mul_f64 v[19:20], v[1:2], v[29:30]
	v_mul_f64 v[29:30], v[3:4], v[29:30]
	s_waitcnt vmcnt(36)
	v_fma_f64 v[33:34], v[5:6], v[109:110], -v[37:38]
	v_fma_f64 v[21:22], v[7:8], v[109:110], v[21:22]
	ds_read_b128 v[5:8], v72 offset:1744
	v_add_f64 v[15:16], v[15:16], v[23:24]
	v_add_f64 v[13:14], v[13:14], v[31:32]
	s_waitcnt vmcnt(35) lgkmcnt(1)
	v_mul_f64 v[31:32], v[11:12], v[51:52]
	v_mul_f64 v[23:24], v[9:10], v[51:52]
	s_waitcnt vmcnt(33)
	v_fma_f64 v[29:30], v[1:2], v[39:40], -v[29:30]
	v_fma_f64 v[19:20], v[3:4], v[39:40], v[19:20]
	ds_read_b128 v[1:4], v72 offset:1760
	v_add_f64 v[15:16], v[15:16], v[33:34]
	v_add_f64 v[13:14], v[13:14], v[21:22]
	s_waitcnt vmcnt(29) lgkmcnt(1)
	v_mul_f64 v[33:34], v[7:8], v[35:36]
	s_waitcnt vmcnt(28)
	v_fma_f64 v[31:32], v[9:10], v[103:104], -v[31:32]
	v_mul_f64 v[21:22], v[5:6], v[35:36]
	v_fma_f64 v[23:24], v[11:12], v[103:104], v[23:24]
	ds_read_b128 v[9:12], v72 offset:1776
	v_add_f64 v[15:16], v[15:16], v[29:30]
	v_add_f64 v[13:14], v[13:14], v[19:20]
	s_waitcnt vmcnt(27) lgkmcnt(1)
	v_mul_f64 v[29:30], v[3:4], v[59:60]
	v_mul_f64 v[19:20], v[1:2], v[59:60]
	s_waitcnt vmcnt(25)
	v_fma_f64 v[33:34], v[5:6], v[47:48], -v[33:34]
	v_fma_f64 v[21:22], v[7:8], v[47:48], v[21:22]
	ds_read_b128 v[5:8], v72 offset:1792
	v_add_f64 v[15:16], v[15:16], v[31:32]
	v_add_f64 v[13:14], v[13:14], v[23:24]
	s_waitcnt vmcnt(21) lgkmcnt(1)
	v_mul_f64 v[31:32], v[11:12], v[43:44]
	s_waitcnt vmcnt(20)
	v_fma_f64 v[29:30], v[1:2], v[95:96], -v[29:30]
	v_mul_f64 v[23:24], v[9:10], v[43:44]
	v_fma_f64 v[19:20], v[3:4], v[95:96], v[19:20]
	ds_read_b128 v[1:4], v72 offset:1808
	v_add_f64 v[15:16], v[15:16], v[33:34]
	v_add_f64 v[13:14], v[13:14], v[21:22]
	s_waitcnt vmcnt(19) lgkmcnt(1)
	v_mul_f64 v[33:34], v[7:8], v[61:62]
	v_mul_f64 v[21:22], v[5:6], v[61:62]
	s_waitcnt vmcnt(17)
	v_fma_f64 v[31:32], v[9:10], v[17:18], -v[31:32]
	v_fma_f64 v[17:18], v[11:12], v[17:18], v[23:24]
	ds_read_b128 v[9:12], v72 offset:1824
	v_add_f64 v[15:16], v[15:16], v[29:30]
	v_add_f64 v[13:14], v[13:14], v[19:20]
	s_waitcnt vmcnt(13) lgkmcnt(1)
	v_mul_f64 v[23:24], v[3:4], v[49:50]
	s_waitcnt vmcnt(12)
	v_fma_f64 v[29:30], v[5:6], v[101:102], -v[33:34]
	v_mul_f64 v[19:20], v[1:2], v[49:50]
	v_fma_f64 v[21:22], v[7:8], v[101:102], v[21:22]
	ds_read_b128 v[5:8], v72 offset:1840
	v_add_f64 v[15:16], v[15:16], v[31:32]
	v_add_f64 v[13:14], v[13:14], v[17:18]
	s_waitcnt vmcnt(11) lgkmcnt(1)
	v_mul_f64 v[31:32], v[11:12], v[93:94]
	v_mul_f64 v[17:18], v[9:10], v[93:94]
	s_waitcnt vmcnt(9)
	v_fma_f64 v[1:2], v[1:2], v[55:56], -v[23:24]
	v_fma_f64 v[3:4], v[3:4], v[55:56], v[19:20]
	v_add_f64 v[15:16], v[15:16], v[29:30]
	v_add_f64 v[13:14], v[13:14], v[21:22]
	s_waitcnt vmcnt(7) lgkmcnt(0)
	v_mul_f64 v[21:22], v[7:8], v[53:54]
	s_waitcnt vmcnt(6)
	v_fma_f64 v[9:10], v[9:10], v[111:112], -v[31:32]
	v_mul_f64 v[19:20], v[5:6], v[53:54]
	v_fma_f64 v[11:12], v[11:12], v[111:112], v[17:18]
	v_add_f64 v[1:2], v[15:16], v[1:2]
	v_add_f64 v[3:4], v[13:14], v[3:4]
	s_waitcnt vmcnt(4)
	v_fma_f64 v[5:6], v[5:6], v[27:28], -v[21:22]
	v_fma_f64 v[7:8], v[7:8], v[27:28], v[19:20]
	v_add_f64 v[1:2], v[1:2], v[9:10]
	v_add_f64 v[3:4], v[3:4], v[11:12]
	v_add_f64 v[1:2], v[1:2], v[5:6]
	v_add_f64 v[3:4], v[3:4], v[7:8]
	s_waitcnt vmcnt(2)
	v_add_f64 v[1:2], v[25:26], -v[1:2]
	s_waitcnt vmcnt(0)
	v_add_f64 v[3:4], v[57:58], -v[3:4]
	buffer_store_dword v2, off, s[0:3], 0 offset:100
	buffer_store_dword v1, off, s[0:3], 0 offset:96
	;; [unrolled: 1-line block ×4, first 2 shown]
	v_cmpx_lt_u32_e32 4, v0
	s_cbranch_execz .LBB57_353
; %bb.352:
	v_mov_b32_e32 v4, s66
	v_mov_b32_e32 v5, 0
	s_clause 0x3
	buffer_load_dword v1, v4, s[0:3], 0 offen
	buffer_load_dword v2, v4, s[0:3], 0 offen offset:4
	buffer_load_dword v3, v4, s[0:3], 0 offen offset:8
	;; [unrolled: 1-line block ×3, first 2 shown]
	buffer_store_dword v5, off, s[0:3], 0 offset:80
	buffer_store_dword v5, off, s[0:3], 0 offset:84
	;; [unrolled: 1-line block ×4, first 2 shown]
	s_waitcnt vmcnt(0)
	ds_write_b128 v63, v[1:4]
.LBB57_353:
	s_or_b32 exec_lo, exec_lo, s4
	s_waitcnt lgkmcnt(0)
	s_waitcnt_vscnt null, 0x0
	s_barrier
	buffer_gl0_inv
	s_clause 0x37
	buffer_load_dword v17, off, s[0:3], 0 offset:104
	buffer_load_dword v18, off, s[0:3], 0 offset:108
	;; [unrolled: 1-line block ×56, first 2 shown]
	v_mov_b32_e32 v72, 0
	s_mov_b32 s4, exec_lo
	ds_read_b128 v[5:8], v72 offset:1008
	s_clause 0x2
	buffer_load_dword v96, off, s[0:3], 0 offset:332
	buffer_load_dword v102, off, s[0:3], 0 offset:308
	;; [unrolled: 1-line block ×3, first 2 shown]
	ds_read_b128 v[1:4], v72 offset:1024
	s_clause 0x4
	buffer_load_dword v110, off, s[0:3], 0 offset:348
	buffer_load_dword v111, off, s[0:3], 0 offset:360
	buffer_load_dword v113, off, s[0:3], 0 offset:352
	buffer_load_dword v109, off, s[0:3], 0 offset:344
	buffer_load_dword v58, off, s[0:3], 0 offset:324
	ds_read_b128 v[103:106], v72 offset:1040
	s_waitcnt vmcnt(62) lgkmcnt(2)
	v_mul_f64 v[107:108], v[7:8], v[17:18]
	v_mul_f64 v[17:18], v[5:6], v[17:18]
	s_waitcnt vmcnt(60) lgkmcnt(1)
	v_mul_f64 v[114:115], v[3:4], v[13:14]
	v_mul_f64 v[13:14], v[1:2], v[13:14]
	;; [unrolled: 3-line block ×3, first 2 shown]
	v_fma_f64 v[107:108], v[5:6], v[15:16], -v[107:108]
	v_fma_f64 v[15:16], v[7:8], v[15:16], v[17:18]
	s_clause 0x2
	buffer_load_dword v112, off, s[0:3], 0 offset:364
	buffer_load_dword v18, off, s[0:3], 0 offset:340
	buffer_load_dword v17, off, s[0:3], 0 offset:336
	s_waitcnt vmcnt(57)
	v_fma_f64 v[118:119], v[1:2], v[9:10], -v[114:115]
	ds_read_b128 v[5:8], v72 offset:1056
	v_fma_f64 v[9:10], v[3:4], v[9:10], v[13:14]
	s_waitcnt vmcnt(51)
	v_fma_f64 v[103:104], v[103:104], v[33:34], -v[11:12]
	v_fma_f64 v[33:34], v[105:106], v[33:34], v[116:117]
	v_add_f64 v[107:108], v[107:108], 0
	v_add_f64 v[13:14], v[15:16], 0
	s_clause 0x4
	buffer_load_dword v16, off, s[0:3], 0 offset:380
	buffer_load_dword v115, off, s[0:3], 0 offset:392
	;; [unrolled: 1-line block ×5, first 2 shown]
	s_waitcnt lgkmcnt(0)
	v_mul_f64 v[121:122], v[5:6], v[21:22]
	v_mul_f64 v[21:22], v[7:8], v[21:22]
	ds_read_b128 v[1:4], v72 offset:1072
	s_clause 0x2
	buffer_load_dword v116, off, s[0:3], 0 offset:396
	buffer_load_dword v106, off, s[0:3], 0 offset:372
	;; [unrolled: 1-line block ×3, first 2 shown]
	v_add_f64 v[107:108], v[107:108], v[118:119]
	v_add_f64 v[13:14], v[13:14], v[9:10]
	ds_read_b128 v[9:12], v72 offset:1088
	s_waitcnt vmcnt(58) lgkmcnt(1)
	v_mul_f64 v[117:118], v[1:2], v[25:26]
	v_mul_f64 v[25:26], v[3:4], v[25:26]
	s_waitcnt vmcnt(56)
	v_fma_f64 v[21:22], v[5:6], v[27:28], -v[21:22]
	v_fma_f64 v[27:28], v[7:8], v[27:28], v[121:122]
	s_waitcnt vmcnt(52) lgkmcnt(0)
	v_mul_f64 v[123:124], v[9:10], v[29:30]
	v_add_f64 v[103:104], v[107:108], v[103:104]
	v_add_f64 v[13:14], v[13:14], v[33:34]
	s_clause 0x4
	buffer_load_dword v34, off, s[0:3], 0 offset:412
	buffer_load_dword v107, off, s[0:3], 0 offset:424
	;; [unrolled: 1-line block ×5, first 2 shown]
	v_mul_f64 v[29:30], v[11:12], v[29:30]
	s_waitcnt vmcnt(56)
	v_fma_f64 v[25:26], v[1:2], v[19:20], -v[25:26]
	ds_read_b128 v[5:8], v72 offset:1104
	v_fma_f64 v[19:20], v[3:4], v[19:20], v[117:118]
	v_add_f64 v[21:22], v[103:104], v[21:22]
	v_add_f64 v[13:14], v[13:14], v[27:28]
	s_clause 0x2
	buffer_load_dword v108, off, s[0:3], 0 offset:428
	buffer_load_dword v28, off, s[0:3], 0 offset:404
	;; [unrolled: 1-line block ×3, first 2 shown]
	s_waitcnt vmcnt(58) lgkmcnt(0)
	v_mul_f64 v[103:104], v[5:6], v[35:36]
	v_mul_f64 v[35:36], v[7:8], v[35:36]
	s_waitcnt vmcnt(56)
	v_fma_f64 v[29:30], v[9:10], v[37:38], -v[29:30]
	ds_read_b128 v[1:4], v72 offset:1120
	v_add_f64 v[21:22], v[21:22], v[25:26]
	v_fma_f64 v[25:26], v[11:12], v[37:38], v[123:124]
	v_add_f64 v[13:14], v[13:14], v[19:20]
	s_clause 0x4
	buffer_load_dword v20, off, s[0:3], 0 offset:444
	buffer_load_dword v37, off, s[0:3], 0 offset:456
	;; [unrolled: 1-line block ×5, first 2 shown]
	s_waitcnt vmcnt(57) lgkmcnt(0)
	v_mul_f64 v[118:119], v[1:2], v[39:40]
	v_mul_f64 v[39:40], v[3:4], v[39:40]
	s_waitcnt vmcnt(56)
	v_fma_f64 v[35:36], v[5:6], v[23:24], -v[35:36]
	ds_read_b128 v[9:12], v72 offset:1136
	v_fma_f64 v[23:24], v[7:8], v[23:24], v[103:104]
	v_add_f64 v[21:22], v[21:22], v[29:30]
	v_add_f64 v[13:14], v[13:14], v[25:26]
	s_clause 0x2
	buffer_load_dword v38, off, s[0:3], 0 offset:460
	buffer_load_dword v26, off, s[0:3], 0 offset:436
	buffer_load_dword v25, off, s[0:3], 0 offset:432
	ds_read_b128 v[5:8], v72 offset:1152
	s_waitcnt vmcnt(58) lgkmcnt(1)
	v_mul_f64 v[29:30], v[9:10], v[43:44]
	v_mul_f64 v[43:44], v[11:12], v[43:44]
	s_waitcnt vmcnt(56)
	v_fma_f64 v[39:40], v[1:2], v[45:46], -v[39:40]
	v_add_f64 v[21:22], v[21:22], v[35:36]
	v_fma_f64 v[35:36], v[3:4], v[45:46], v[118:119]
	v_add_f64 v[13:14], v[13:14], v[23:24]
	s_clause 0x4
	buffer_load_dword v24, off, s[0:3], 0 offset:476
	buffer_load_dword v45, off, s[0:3], 0 offset:488
	;; [unrolled: 1-line block ×5, first 2 shown]
	s_waitcnt vmcnt(57) lgkmcnt(0)
	v_mul_f64 v[124:125], v[5:6], v[47:48]
	v_mul_f64 v[47:48], v[7:8], v[47:48]
	s_waitcnt vmcnt(56)
	v_fma_f64 v[43:44], v[9:10], v[31:32], -v[43:44]
	ds_read_b128 v[1:4], v72 offset:1168
	v_fma_f64 v[29:30], v[11:12], v[31:32], v[29:30]
	s_clause 0x2
	buffer_load_dword v46, off, s[0:3], 0 offset:492
	buffer_load_dword v32, off, s[0:3], 0 offset:468
	;; [unrolled: 1-line block ×3, first 2 shown]
	ds_read_b128 v[9:12], v72 offset:1184
	v_add_f64 v[21:22], v[21:22], v[39:40]
	v_add_f64 v[13:14], v[13:14], v[35:36]
	s_waitcnt vmcnt(58) lgkmcnt(1)
	v_mul_f64 v[39:40], v[3:4], v[51:52]
	s_waitcnt vmcnt(56)
	v_fma_f64 v[47:48], v[5:6], v[53:54], -v[47:48]
	v_mul_f64 v[35:36], v[1:2], v[51:52]
	v_add_f64 v[21:22], v[21:22], v[43:44]
	v_fma_f64 v[43:44], v[7:8], v[53:54], v[124:125]
	v_add_f64 v[13:14], v[13:14], v[29:30]
	s_clause 0x4
	buffer_load_dword v30, off, s[0:3], 0 offset:508
	buffer_load_dword v51, off, s[0:3], 0 offset:520
	;; [unrolled: 1-line block ×5, first 2 shown]
	s_waitcnt vmcnt(57) lgkmcnt(0)
	v_mul_f64 v[124:125], v[9:10], v[55:56]
	v_mul_f64 v[54:55], v[11:12], v[55:56]
	s_waitcnt vmcnt(56)
	v_fma_f64 v[39:40], v[1:2], v[41:42], -v[39:40]
	ds_read_b128 v[5:8], v72 offset:1200
	v_fma_f64 v[35:36], v[3:4], v[41:42], v[35:36]
	s_clause 0x2
	buffer_load_dword v52, off, s[0:3], 0 offset:524
	buffer_load_dword v42, off, s[0:3], 0 offset:500
	buffer_load_dword v41, off, s[0:3], 0 offset:496
	ds_read_b128 v[1:4], v72 offset:1216
	v_add_f64 v[21:22], v[21:22], v[47:48]
	v_add_f64 v[13:14], v[13:14], v[43:44]
	s_waitcnt vmcnt(58) lgkmcnt(1)
	v_mul_f64 v[47:48], v[7:8], v[59:60]
	s_waitcnt vmcnt(56)
	v_fma_f64 v[55:56], v[9:10], v[61:62], -v[54:55]
	v_mul_f64 v[43:44], v[5:6], v[59:60]
	v_add_f64 v[21:22], v[21:22], v[39:40]
	v_fma_f64 v[39:40], v[11:12], v[61:62], v[124:125]
	v_add_f64 v[13:14], v[13:14], v[35:36]
	s_clause 0x4
	buffer_load_dword v36, off, s[0:3], 0 offset:540
	buffer_load_dword v59, off, s[0:3], 0 offset:552
	;; [unrolled: 1-line block ×5, first 2 shown]
	s_waitcnt vmcnt(57) lgkmcnt(0)
	v_mul_f64 v[124:125], v[1:2], v[93:94]
	v_mul_f64 v[93:94], v[3:4], v[93:94]
	s_waitcnt vmcnt(56)
	v_fma_f64 v[47:48], v[5:6], v[49:50], -v[47:48]
	ds_read_b128 v[9:12], v72 offset:1232
	v_fma_f64 v[43:44], v[7:8], v[49:50], v[43:44]
	v_add_f64 v[21:22], v[21:22], v[55:56]
	v_add_f64 v[13:14], v[13:14], v[39:40]
	s_clause 0x2
	buffer_load_dword v60, off, s[0:3], 0 offset:556
	buffer_load_dword v40, off, s[0:3], 0 offset:532
	buffer_load_dword v39, off, s[0:3], 0 offset:528
	ds_read_b128 v[5:8], v72 offset:1248
	s_waitcnt vmcnt(58) lgkmcnt(1)
	v_mul_f64 v[55:56], v[11:12], v[95:96]
	s_waitcnt vmcnt(56)
	v_fma_f64 v[93:94], v[1:2], v[101:102], -v[93:94]
	v_mul_f64 v[49:50], v[9:10], v[95:96]
	v_add_f64 v[21:22], v[21:22], v[47:48]
	v_fma_f64 v[47:48], v[3:4], v[101:102], v[124:125]
	v_add_f64 v[13:14], v[13:14], v[43:44]
	s_clause 0x4
	buffer_load_dword v44, off, s[0:3], 0 offset:572
	buffer_load_dword v95, off, s[0:3], 0 offset:584
	;; [unrolled: 1-line block ×5, first 2 shown]
	s_waitcnt vmcnt(57) lgkmcnt(0)
	v_mul_f64 v[124:125], v[5:6], v[109:110]
	v_mul_f64 v[109:110], v[7:8], v[109:110]
	s_waitcnt vmcnt(56)
	v_fma_f64 v[55:56], v[9:10], v[57:58], -v[55:56]
	ds_read_b128 v[1:4], v72 offset:1264
	v_fma_f64 v[49:50], v[11:12], v[57:58], v[49:50]
	v_add_f64 v[21:22], v[21:22], v[93:94]
	v_add_f64 v[13:14], v[13:14], v[47:48]
	s_clause 0x2
	buffer_load_dword v96, off, s[0:3], 0 offset:588
	buffer_load_dword v48, off, s[0:3], 0 offset:564
	;; [unrolled: 1-line block ×3, first 2 shown]
	ds_read_b128 v[9:12], v72 offset:1280
	s_waitcnt vmcnt(58) lgkmcnt(1)
	v_mul_f64 v[93:94], v[3:4], v[111:112]
	v_mul_f64 v[57:58], v[1:2], v[111:112]
	s_waitcnt vmcnt(56)
	v_fma_f64 v[109:110], v[5:6], v[17:18], -v[109:110]
	v_fma_f64 v[17:18], v[7:8], v[17:18], v[124:125]
	v_add_f64 v[21:22], v[21:22], v[55:56]
	v_add_f64 v[13:14], v[13:14], v[49:50]
	s_clause 0x4
	buffer_load_dword v50, off, s[0:3], 0 offset:604
	buffer_load_dword v55, off, s[0:3], 0 offset:616
	;; [unrolled: 1-line block ×5, first 2 shown]
	ds_read_b128 v[5:8], v72 offset:1296
	s_waitcnt vmcnt(57) lgkmcnt(1)
	v_mul_f64 v[124:125], v[9:10], v[15:16]
	v_mul_f64 v[15:16], v[11:12], v[15:16]
	s_waitcnt vmcnt(56)
	v_fma_f64 v[93:94], v[1:2], v[113:114], -v[93:94]
	v_fma_f64 v[57:58], v[3:4], v[113:114], v[57:58]
	v_add_f64 v[21:22], v[21:22], v[109:110]
	v_add_f64 v[13:14], v[13:14], v[17:18]
	s_clause 0x2
	buffer_load_dword v56, off, s[0:3], 0 offset:620
	buffer_load_dword v18, off, s[0:3], 0 offset:596
	buffer_load_dword v17, off, s[0:3], 0 offset:592
	s_waitcnt vmcnt(58) lgkmcnt(0)
	v_mul_f64 v[113:114], v[7:8], v[115:116]
	ds_read_b128 v[1:4], v72 offset:1312
	v_mul_f64 v[109:110], v[5:6], v[115:116]
	s_waitcnt vmcnt(56)
	v_fma_f64 v[15:16], v[9:10], v[105:106], -v[15:16]
	v_add_f64 v[21:22], v[21:22], v[93:94]
	v_fma_f64 v[93:94], v[11:12], v[105:106], v[124:125]
	v_add_f64 v[13:14], v[13:14], v[57:58]
	s_clause 0x4
	buffer_load_dword v58, off, s[0:3], 0 offset:636
	buffer_load_dword v105, off, s[0:3], 0 offset:648
	;; [unrolled: 1-line block ×5, first 2 shown]
	ds_read_b128 v[9:12], v72 offset:1328
	s_waitcnt vmcnt(57) lgkmcnt(1)
	v_mul_f64 v[124:125], v[1:2], v[33:34]
	v_mul_f64 v[33:34], v[3:4], v[33:34]
	s_waitcnt vmcnt(56)
	v_fma_f64 v[113:114], v[5:6], v[120:121], -v[113:114]
	v_add_f64 v[15:16], v[21:22], v[15:16]
	v_fma_f64 v[21:22], v[7:8], v[120:121], v[109:110]
	v_add_f64 v[13:14], v[13:14], v[93:94]
	s_clause 0x2
	buffer_load_dword v106, off, s[0:3], 0 offset:652
	buffer_load_dword v94, off, s[0:3], 0 offset:628
	;; [unrolled: 1-line block ×3, first 2 shown]
	ds_read_b128 v[5:8], v72 offset:1344
	s_waitcnt vmcnt(58) lgkmcnt(1)
	v_mul_f64 v[109:110], v[9:10], v[107:108]
	v_mul_f64 v[107:108], v[11:12], v[107:108]
	s_waitcnt vmcnt(56)
	v_fma_f64 v[33:34], v[1:2], v[27:28], -v[33:34]
	v_fma_f64 v[27:28], v[3:4], v[27:28], v[124:125]
	v_add_f64 v[15:16], v[15:16], v[113:114]
	v_add_f64 v[13:14], v[13:14], v[21:22]
	s_clause 0x4
	buffer_load_dword v22, off, s[0:3], 0 offset:668
	buffer_load_dword v113, off, s[0:3], 0 offset:680
	;; [unrolled: 1-line block ×5, first 2 shown]
	ds_read_b128 v[1:4], v72 offset:1360
	s_waitcnt vmcnt(57) lgkmcnt(1)
	v_mul_f64 v[120:121], v[5:6], v[19:20]
	v_mul_f64 v[19:20], v[7:8], v[19:20]
	s_waitcnt vmcnt(56)
	v_fma_f64 v[107:108], v[9:10], v[122:123], -v[107:108]
	v_add_f64 v[15:16], v[15:16], v[33:34]
	v_fma_f64 v[33:34], v[11:12], v[122:123], v[109:110]
	v_add_f64 v[13:14], v[13:14], v[27:28]
	s_clause 0x2
	buffer_load_dword v114, off, s[0:3], 0 offset:684
	buffer_load_dword v28, off, s[0:3], 0 offset:660
	buffer_load_dword v27, off, s[0:3], 0 offset:656
	ds_read_b128 v[9:12], v72 offset:1376
	s_waitcnt vmcnt(58) lgkmcnt(1)
	v_mul_f64 v[109:110], v[1:2], v[37:38]
	v_mul_f64 v[37:38], v[3:4], v[37:38]
	s_waitcnt vmcnt(56)
	v_fma_f64 v[19:20], v[5:6], v[25:26], -v[19:20]
	v_fma_f64 v[25:26], v[7:8], v[25:26], v[120:121]
	v_add_f64 v[15:16], v[15:16], v[107:108]
	v_add_f64 v[13:14], v[13:14], v[33:34]
	s_clause 0x4
	buffer_load_dword v34, off, s[0:3], 0 offset:700
	buffer_load_dword v107, off, s[0:3], 0 offset:712
	;; [unrolled: 1-line block ×5, first 2 shown]
	ds_read_b128 v[5:8], v72 offset:1392
	s_waitcnt vmcnt(57) lgkmcnt(1)
	v_mul_f64 v[122:123], v[9:10], v[23:24]
	v_mul_f64 v[23:24], v[11:12], v[23:24]
	s_waitcnt vmcnt(56)
	v_fma_f64 v[37:38], v[1:2], v[117:118], -v[37:38]
	v_add_f64 v[15:16], v[15:16], v[19:20]
	v_fma_f64 v[19:20], v[3:4], v[117:118], v[109:110]
	v_add_f64 v[13:14], v[13:14], v[25:26]
	s_clause 0x2
	buffer_load_dword v108, off, s[0:3], 0 offset:716
	buffer_load_dword v26, off, s[0:3], 0 offset:692
	;; [unrolled: 1-line block ×3, first 2 shown]
	s_waitcnt vmcnt(58) lgkmcnt(0)
	v_mul_f64 v[109:110], v[5:6], v[45:46]
	v_mul_f64 v[45:46], v[7:8], v[45:46]
	ds_read_b128 v[1:4], v72 offset:1408
	s_waitcnt vmcnt(56)
	v_fma_f64 v[23:24], v[9:10], v[31:32], -v[23:24]
	v_fma_f64 v[31:32], v[11:12], v[31:32], v[122:123]
	v_add_f64 v[15:16], v[15:16], v[37:38]
	v_add_f64 v[13:14], v[13:14], v[19:20]
	s_clause 0x4
	buffer_load_dword v20, off, s[0:3], 0 offset:732
	buffer_load_dword v37, off, s[0:3], 0 offset:744
	;; [unrolled: 1-line block ×5, first 2 shown]
	ds_read_b128 v[9:12], v72 offset:1424
	s_waitcnt vmcnt(57) lgkmcnt(1)
	v_mul_f64 v[123:124], v[1:2], v[29:30]
	v_mul_f64 v[29:30], v[3:4], v[29:30]
	s_waitcnt vmcnt(56)
	v_fma_f64 v[45:46], v[5:6], v[103:104], -v[45:46]
	v_add_f64 v[15:16], v[15:16], v[23:24]
	v_fma_f64 v[23:24], v[7:8], v[103:104], v[109:110]
	v_add_f64 v[13:14], v[13:14], v[31:32]
	s_clause 0x2
	buffer_load_dword v38, off, s[0:3], 0 offset:748
	buffer_load_dword v32, off, s[0:3], 0 offset:724
	;; [unrolled: 1-line block ×3, first 2 shown]
	s_waitcnt vmcnt(58) lgkmcnt(0)
	v_mul_f64 v[103:104], v[9:10], v[51:52]
	v_mul_f64 v[51:52], v[11:12], v[51:52]
	ds_read_b128 v[5:8], v72 offset:1440
	s_waitcnt vmcnt(56)
	v_fma_f64 v[29:30], v[1:2], v[41:42], -v[29:30]
	v_fma_f64 v[41:42], v[3:4], v[41:42], v[123:124]
	v_add_f64 v[15:16], v[15:16], v[45:46]
	v_add_f64 v[13:14], v[13:14], v[23:24]
	s_clause 0x4
	buffer_load_dword v24, off, s[0:3], 0 offset:764
	buffer_load_dword v45, off, s[0:3], 0 offset:776
	buffer_load_dword v109, off, s[0:3], 0 offset:768
	buffer_load_dword v23, off, s[0:3], 0 offset:760
	buffer_load_dword v118, off, s[0:3], 0 offset:740
	ds_read_b128 v[1:4], v72 offset:1456
	s_waitcnt vmcnt(57) lgkmcnt(1)
	v_mul_f64 v[123:124], v[5:6], v[35:36]
	v_mul_f64 v[35:36], v[7:8], v[35:36]
	s_waitcnt vmcnt(56)
	v_fma_f64 v[51:52], v[9:10], v[53:54], -v[51:52]
	v_add_f64 v[15:16], v[15:16], v[29:30]
	v_fma_f64 v[29:30], v[11:12], v[53:54], v[103:104]
	v_add_f64 v[13:14], v[13:14], v[41:42]
	s_clause 0x2
	buffer_load_dword v46, off, s[0:3], 0 offset:780
	buffer_load_dword v42, off, s[0:3], 0 offset:756
	buffer_load_dword v41, off, s[0:3], 0 offset:752
	ds_read_b128 v[9:12], v72 offset:1472
	s_waitcnt vmcnt(58) lgkmcnt(1)
	v_mul_f64 v[53:54], v[1:2], v[59:60]
	v_mul_f64 v[59:60], v[3:4], v[59:60]
	s_waitcnt vmcnt(56)
	v_fma_f64 v[35:36], v[5:6], v[39:40], -v[35:36]
	v_fma_f64 v[39:40], v[7:8], v[39:40], v[123:124]
	v_add_f64 v[15:16], v[15:16], v[51:52]
	v_add_f64 v[13:14], v[13:14], v[29:30]
	s_clause 0x4
	buffer_load_dword v30, off, s[0:3], 0 offset:796
	buffer_load_dword v51, off, s[0:3], 0 offset:808
	buffer_load_dword v103, off, s[0:3], 0 offset:800
	buffer_load_dword v29, off, s[0:3], 0 offset:792
	buffer_load_dword v110, off, s[0:3], 0 offset:772
	ds_read_b128 v[5:8], v72 offset:1488
	s_waitcnt vmcnt(57) lgkmcnt(1)
	v_mul_f64 v[123:124], v[9:10], v[43:44]
	v_mul_f64 v[43:44], v[11:12], v[43:44]
	s_waitcnt vmcnt(56)
	v_fma_f64 v[59:60], v[1:2], v[61:62], -v[59:60]
	v_add_f64 v[15:16], v[15:16], v[35:36]
	v_fma_f64 v[35:36], v[3:4], v[61:62], v[53:54]
	v_add_f64 v[13:14], v[13:14], v[39:40]
	s_clause 0x2
	buffer_load_dword v52, off, s[0:3], 0 offset:812
	buffer_load_dword v40, off, s[0:3], 0 offset:788
	buffer_load_dword v39, off, s[0:3], 0 offset:784
	ds_read_b128 v[1:4], v72 offset:1504
	s_waitcnt vmcnt(58) lgkmcnt(1)
	v_mul_f64 v[61:62], v[7:8], v[95:96]
	v_mul_f64 v[53:54], v[5:6], v[95:96]
	;; [unrolled: 28-line block ×4, first 2 shown]
	s_waitcnt vmcnt(56)
	v_fma_f64 v[57:58], v[5:6], v[93:94], -v[57:58]
	v_add_f64 v[15:16], v[15:16], v[55:56]
	v_fma_f64 v[55:56], v[7:8], v[93:94], v[123:124]
	v_add_f64 v[13:14], v[13:14], v[49:50]
	s_clause 0x4
	buffer_load_dword v50, off, s[0:3], 0 offset:892
	buffer_load_dword v93, off, s[0:3], 0 offset:904
	;; [unrolled: 1-line block ×5, first 2 shown]
	ds_read_b128 v[5:8], v72 offset:1584
	s_waitcnt vmcnt(57) lgkmcnt(1)
	v_mul_f64 v[123:124], v[9:10], v[21:22]
	v_mul_f64 v[21:22], v[11:12], v[21:22]
	s_waitcnt vmcnt(56)
	v_fma_f64 v[105:106], v[1:2], v[115:116], -v[105:106]
	v_fma_f64 v[53:54], v[3:4], v[115:116], v[53:54]
	v_add_f64 v[15:16], v[15:16], v[57:58]
	v_add_f64 v[13:14], v[13:14], v[55:56]
	s_clause 0x2
	buffer_load_dword v94, off, s[0:3], 0 offset:908
	buffer_load_dword v56, off, s[0:3], 0 offset:884
	;; [unrolled: 1-line block ×3, first 2 shown]
	ds_read_b128 v[1:4], v72 offset:1600
	s_waitcnt vmcnt(58) lgkmcnt(1)
	v_mul_f64 v[57:58], v[5:6], v[113:114]
	v_mul_f64 v[113:114], v[7:8], v[113:114]
	s_waitcnt vmcnt(56)
	v_fma_f64 v[21:22], v[9:10], v[27:28], -v[21:22]
	v_fma_f64 v[27:28], v[11:12], v[27:28], v[123:124]
	v_add_f64 v[15:16], v[15:16], v[105:106]
	v_add_f64 v[13:14], v[13:14], v[53:54]
	s_clause 0x4
	buffer_load_dword v54, off, s[0:3], 0 offset:924
	buffer_load_dword v105, off, s[0:3], 0 offset:936
	;; [unrolled: 1-line block ×5, first 2 shown]
	ds_read_b128 v[9:12], v72 offset:1616
	s_waitcnt vmcnt(57) lgkmcnt(1)
	v_mul_f64 v[123:124], v[1:2], v[33:34]
	v_mul_f64 v[33:34], v[3:4], v[33:34]
	s_waitcnt vmcnt(56)
	v_fma_f64 v[113:114], v[5:6], v[119:120], -v[113:114]
	v_add_f64 v[15:16], v[15:16], v[21:22]
	v_fma_f64 v[21:22], v[7:8], v[119:120], v[57:58]
	v_add_f64 v[13:14], v[13:14], v[27:28]
	s_clause 0x2
	buffer_load_dword v106, off, s[0:3], 0 offset:940
	buffer_load_dword v28, off, s[0:3], 0 offset:916
	;; [unrolled: 1-line block ×3, first 2 shown]
	ds_read_b128 v[5:8], v72 offset:1632
	buffer_load_dword v116, off, s[0:3], 0 offset:932
	s_waitcnt vmcnt(59) lgkmcnt(1)
	v_mul_f64 v[57:58], v[9:10], v[107:108]
	v_mul_f64 v[107:108], v[11:12], v[107:108]
	s_waitcnt vmcnt(57)
	v_fma_f64 v[33:34], v[1:2], v[25:26], -v[33:34]
	v_fma_f64 v[25:26], v[3:4], v[25:26], v[123:124]
	ds_read_b128 v[1:4], v72 offset:1648
	v_add_f64 v[15:16], v[15:16], v[113:114]
	v_add_f64 v[13:14], v[13:14], v[21:22]
	s_waitcnt vmcnt(53) lgkmcnt(1)
	v_mul_f64 v[21:22], v[5:6], v[19:20]
	v_mul_f64 v[19:20], v[7:8], v[19:20]
	s_waitcnt vmcnt(52)
	v_fma_f64 v[107:108], v[9:10], v[121:122], -v[107:108]
	v_add_f64 v[15:16], v[15:16], v[33:34]
	v_fma_f64 v[33:34], v[11:12], v[121:122], v[57:58]
	v_add_f64 v[13:14], v[13:14], v[25:26]
	ds_read_b128 v[9:12], v72 offset:1664
	s_waitcnt vmcnt(51) lgkmcnt(1)
	v_mul_f64 v[25:26], v[1:2], v[37:38]
	v_mul_f64 v[37:38], v[3:4], v[37:38]
	s_waitcnt vmcnt(49)
	v_fma_f64 v[19:20], v[5:6], v[31:32], -v[19:20]
	v_fma_f64 v[21:22], v[7:8], v[31:32], v[21:22]
	v_add_f64 v[15:16], v[15:16], v[107:108]
	v_add_f64 v[13:14], v[13:14], v[33:34]
	s_clause 0x3
	buffer_load_dword v31, off, s[0:3], 0 offset:80
	buffer_load_dword v32, off, s[0:3], 0 offset:84
	;; [unrolled: 1-line block ×4, first 2 shown]
	ds_read_b128 v[5:8], v72 offset:1680
	s_waitcnt vmcnt(49) lgkmcnt(1)
	v_mul_f64 v[57:58], v[9:10], v[23:24]
	v_mul_f64 v[23:24], v[11:12], v[23:24]
	s_waitcnt vmcnt(48)
	v_fma_f64 v[37:38], v[1:2], v[117:118], -v[37:38]
	v_add_f64 v[15:16], v[15:16], v[19:20]
	v_fma_f64 v[19:20], v[3:4], v[117:118], v[25:26]
	v_add_f64 v[13:14], v[13:14], v[21:22]
	ds_read_b128 v[1:4], v72 offset:1696
	s_waitcnt vmcnt(47) lgkmcnt(1)
	v_mul_f64 v[25:26], v[7:8], v[45:46]
	v_mul_f64 v[21:22], v[5:6], v[45:46]
	s_waitcnt vmcnt(45)
	v_fma_f64 v[23:24], v[9:10], v[41:42], -v[23:24]
	v_add_f64 v[15:16], v[15:16], v[37:38]
	v_fma_f64 v[37:38], v[11:12], v[41:42], v[57:58]
	v_add_f64 v[13:14], v[13:14], v[19:20]
	ds_read_b128 v[9:12], v72 offset:1712
	s_waitcnt vmcnt(41) lgkmcnt(1)
	v_mul_f64 v[19:20], v[1:2], v[29:30]
	v_mul_f64 v[29:30], v[3:4], v[29:30]
	s_waitcnt vmcnt(40)
	v_fma_f64 v[25:26], v[5:6], v[109:110], -v[25:26]
	v_fma_f64 v[21:22], v[7:8], v[109:110], v[21:22]
	ds_read_b128 v[5:8], v72 offset:1728
	v_add_f64 v[15:16], v[15:16], v[23:24]
	v_add_f64 v[13:14], v[13:14], v[37:38]
	s_waitcnt vmcnt(39) lgkmcnt(1)
	v_mul_f64 v[37:38], v[11:12], v[51:52]
	v_mul_f64 v[23:24], v[9:10], v[51:52]
	s_waitcnt vmcnt(37)
	v_fma_f64 v[29:30], v[1:2], v[39:40], -v[29:30]
	v_fma_f64 v[19:20], v[3:4], v[39:40], v[19:20]
	ds_read_b128 v[1:4], v72 offset:1744
	v_add_f64 v[15:16], v[15:16], v[25:26]
	v_add_f64 v[13:14], v[13:14], v[21:22]
	;; [unrolled: 9-line block ×4, first 2 shown]
	s_waitcnt vmcnt(25) lgkmcnt(1)
	v_mul_f64 v[35:36], v[11:12], v[43:44]
	s_waitcnt vmcnt(24)
	v_fma_f64 v[29:30], v[1:2], v[95:96], -v[29:30]
	v_mul_f64 v[23:24], v[9:10], v[43:44]
	v_fma_f64 v[19:20], v[3:4], v[95:96], v[19:20]
	ds_read_b128 v[1:4], v72 offset:1792
	v_add_f64 v[15:16], v[15:16], v[25:26]
	v_add_f64 v[13:14], v[13:14], v[21:22]
	s_waitcnt vmcnt(23) lgkmcnt(1)
	v_mul_f64 v[25:26], v[7:8], v[61:62]
	v_mul_f64 v[21:22], v[5:6], v[61:62]
	s_waitcnt vmcnt(21)
	v_fma_f64 v[35:36], v[9:10], v[17:18], -v[35:36]
	v_fma_f64 v[17:18], v[11:12], v[17:18], v[23:24]
	ds_read_b128 v[9:12], v72 offset:1808
	v_add_f64 v[15:16], v[15:16], v[29:30]
	v_add_f64 v[13:14], v[13:14], v[19:20]
	s_waitcnt vmcnt(17) lgkmcnt(1)
	v_mul_f64 v[23:24], v[3:4], v[49:50]
	s_waitcnt vmcnt(16)
	v_fma_f64 v[25:26], v[5:6], v[101:102], -v[25:26]
	v_mul_f64 v[19:20], v[1:2], v[49:50]
	v_fma_f64 v[21:22], v[7:8], v[101:102], v[21:22]
	ds_read_b128 v[5:8], v72 offset:1824
	v_add_f64 v[15:16], v[15:16], v[35:36]
	v_add_f64 v[13:14], v[13:14], v[17:18]
	s_waitcnt vmcnt(15) lgkmcnt(1)
	v_mul_f64 v[29:30], v[11:12], v[93:94]
	v_mul_f64 v[17:18], v[9:10], v[93:94]
	s_waitcnt vmcnt(13)
	v_fma_f64 v[23:24], v[1:2], v[55:56], -v[23:24]
	v_fma_f64 v[19:20], v[3:4], v[55:56], v[19:20]
	ds_read_b128 v[1:4], v72 offset:1840
	v_add_f64 v[15:16], v[15:16], v[25:26]
	v_add_f64 v[13:14], v[13:14], v[21:22]
	s_waitcnt vmcnt(9) lgkmcnt(1)
	v_mul_f64 v[25:26], v[7:8], v[53:54]
	s_waitcnt vmcnt(8)
	v_fma_f64 v[9:10], v[9:10], v[111:112], -v[29:30]
	v_mul_f64 v[21:22], v[5:6], v[53:54]
	v_fma_f64 v[11:12], v[11:12], v[111:112], v[17:18]
	v_add_f64 v[15:16], v[15:16], v[23:24]
	v_add_f64 v[13:14], v[13:14], v[19:20]
	s_waitcnt vmcnt(7) lgkmcnt(0)
	v_mul_f64 v[19:20], v[3:4], v[105:106]
	v_mul_f64 v[17:18], v[1:2], v[105:106]
	s_waitcnt vmcnt(5)
	v_fma_f64 v[5:6], v[5:6], v[27:28], -v[25:26]
	v_fma_f64 v[7:8], v[7:8], v[27:28], v[21:22]
	v_add_f64 v[9:10], v[15:16], v[9:10]
	v_add_f64 v[11:12], v[13:14], v[11:12]
	s_waitcnt vmcnt(4)
	v_fma_f64 v[1:2], v[1:2], v[115:116], -v[19:20]
	v_fma_f64 v[3:4], v[3:4], v[115:116], v[17:18]
	v_add_f64 v[5:6], v[9:10], v[5:6]
	v_add_f64 v[7:8], v[11:12], v[7:8]
	;; [unrolled: 1-line block ×4, first 2 shown]
	s_waitcnt vmcnt(2)
	v_add_f64 v[1:2], v[31:32], -v[1:2]
	s_waitcnt vmcnt(0)
	v_add_f64 v[3:4], v[33:34], -v[3:4]
	buffer_store_dword v2, off, s[0:3], 0 offset:84
	buffer_store_dword v1, off, s[0:3], 0 offset:80
	;; [unrolled: 1-line block ×4, first 2 shown]
	v_cmpx_lt_u32_e32 3, v0
	s_cbranch_execz .LBB57_355
; %bb.354:
	v_mov_b32_e32 v4, s67
	s_clause 0x3
	buffer_load_dword v1, v4, s[0:3], 0 offen
	buffer_load_dword v2, v4, s[0:3], 0 offen offset:4
	buffer_load_dword v3, v4, s[0:3], 0 offen offset:8
	;; [unrolled: 1-line block ×3, first 2 shown]
	buffer_store_dword v72, off, s[0:3], 0 offset:64
	buffer_store_dword v72, off, s[0:3], 0 offset:68
	;; [unrolled: 1-line block ×4, first 2 shown]
	s_waitcnt vmcnt(0)
	ds_write_b128 v63, v[1:4]
.LBB57_355:
	s_or_b32 exec_lo, exec_lo, s4
	s_waitcnt lgkmcnt(0)
	s_waitcnt_vscnt null, 0x0
	s_barrier
	buffer_gl0_inv
	s_clause 0x37
	buffer_load_dword v17, off, s[0:3], 0 offset:88
	buffer_load_dword v18, off, s[0:3], 0 offset:92
	;; [unrolled: 1-line block ×56, first 2 shown]
	ds_read_b128 v[5:8], v72 offset:992
	s_clause 0x2
	buffer_load_dword v96, off, s[0:3], 0 offset:316
	buffer_load_dword v102, off, s[0:3], 0 offset:292
	;; [unrolled: 1-line block ×3, first 2 shown]
	ds_read_b128 v[1:4], v72 offset:1008
	s_clause 0x4
	buffer_load_dword v110, off, s[0:3], 0 offset:332
	buffer_load_dword v111, off, s[0:3], 0 offset:344
	;; [unrolled: 1-line block ×5, first 2 shown]
	ds_read_b128 v[103:106], v72 offset:1024
	s_mov_b32 s4, exec_lo
	s_waitcnt vmcnt(62) lgkmcnt(2)
	v_mul_f64 v[107:108], v[7:8], v[17:18]
	v_mul_f64 v[17:18], v[5:6], v[17:18]
	s_waitcnt vmcnt(60) lgkmcnt(1)
	v_mul_f64 v[114:115], v[3:4], v[13:14]
	v_mul_f64 v[13:14], v[1:2], v[13:14]
	;; [unrolled: 3-line block ×3, first 2 shown]
	v_fma_f64 v[107:108], v[5:6], v[15:16], -v[107:108]
	v_fma_f64 v[15:16], v[7:8], v[15:16], v[17:18]
	s_clause 0x2
	buffer_load_dword v112, off, s[0:3], 0 offset:348
	buffer_load_dword v18, off, s[0:3], 0 offset:324
	;; [unrolled: 1-line block ×3, first 2 shown]
	s_waitcnt vmcnt(57)
	v_fma_f64 v[118:119], v[1:2], v[9:10], -v[114:115]
	ds_read_b128 v[5:8], v72 offset:1040
	v_fma_f64 v[9:10], v[3:4], v[9:10], v[13:14]
	s_waitcnt vmcnt(51)
	v_fma_f64 v[103:104], v[103:104], v[33:34], -v[11:12]
	v_fma_f64 v[33:34], v[105:106], v[33:34], v[116:117]
	v_add_f64 v[107:108], v[107:108], 0
	v_add_f64 v[13:14], v[15:16], 0
	s_clause 0x4
	buffer_load_dword v16, off, s[0:3], 0 offset:364
	buffer_load_dword v115, off, s[0:3], 0 offset:376
	;; [unrolled: 1-line block ×5, first 2 shown]
	s_waitcnt lgkmcnt(0)
	v_mul_f64 v[121:122], v[5:6], v[21:22]
	v_mul_f64 v[21:22], v[7:8], v[21:22]
	ds_read_b128 v[1:4], v72 offset:1056
	s_clause 0x2
	buffer_load_dword v116, off, s[0:3], 0 offset:380
	buffer_load_dword v106, off, s[0:3], 0 offset:356
	;; [unrolled: 1-line block ×3, first 2 shown]
	v_add_f64 v[107:108], v[107:108], v[118:119]
	v_add_f64 v[13:14], v[13:14], v[9:10]
	ds_read_b128 v[9:12], v72 offset:1072
	s_waitcnt vmcnt(58) lgkmcnt(1)
	v_mul_f64 v[117:118], v[1:2], v[25:26]
	v_mul_f64 v[25:26], v[3:4], v[25:26]
	s_waitcnt vmcnt(56)
	v_fma_f64 v[21:22], v[5:6], v[27:28], -v[21:22]
	v_fma_f64 v[27:28], v[7:8], v[27:28], v[121:122]
	s_waitcnt vmcnt(52) lgkmcnt(0)
	v_mul_f64 v[123:124], v[9:10], v[29:30]
	v_add_f64 v[103:104], v[107:108], v[103:104]
	v_add_f64 v[13:14], v[13:14], v[33:34]
	s_clause 0x4
	buffer_load_dword v34, off, s[0:3], 0 offset:396
	buffer_load_dword v107, off, s[0:3], 0 offset:408
	buffer_load_dword v122, off, s[0:3], 0 offset:400
	buffer_load_dword v33, off, s[0:3], 0 offset:392
	buffer_load_dword v121, off, s[0:3], 0 offset:372
	v_mul_f64 v[29:30], v[11:12], v[29:30]
	s_waitcnt vmcnt(56)
	v_fma_f64 v[25:26], v[1:2], v[19:20], -v[25:26]
	ds_read_b128 v[5:8], v72 offset:1088
	v_fma_f64 v[19:20], v[3:4], v[19:20], v[117:118]
	v_add_f64 v[21:22], v[103:104], v[21:22]
	v_add_f64 v[13:14], v[13:14], v[27:28]
	s_clause 0x2
	buffer_load_dword v108, off, s[0:3], 0 offset:412
	buffer_load_dword v28, off, s[0:3], 0 offset:388
	;; [unrolled: 1-line block ×3, first 2 shown]
	s_waitcnt vmcnt(58) lgkmcnt(0)
	v_mul_f64 v[103:104], v[5:6], v[35:36]
	v_mul_f64 v[35:36], v[7:8], v[35:36]
	s_waitcnt vmcnt(56)
	v_fma_f64 v[29:30], v[9:10], v[37:38], -v[29:30]
	ds_read_b128 v[1:4], v72 offset:1104
	v_add_f64 v[21:22], v[21:22], v[25:26]
	v_fma_f64 v[25:26], v[11:12], v[37:38], v[123:124]
	v_add_f64 v[13:14], v[13:14], v[19:20]
	s_clause 0x4
	buffer_load_dword v20, off, s[0:3], 0 offset:428
	buffer_load_dword v37, off, s[0:3], 0 offset:440
	;; [unrolled: 1-line block ×5, first 2 shown]
	s_waitcnt vmcnt(57) lgkmcnt(0)
	v_mul_f64 v[118:119], v[1:2], v[39:40]
	v_mul_f64 v[39:40], v[3:4], v[39:40]
	s_waitcnt vmcnt(56)
	v_fma_f64 v[35:36], v[5:6], v[23:24], -v[35:36]
	ds_read_b128 v[9:12], v72 offset:1120
	v_fma_f64 v[23:24], v[7:8], v[23:24], v[103:104]
	v_add_f64 v[21:22], v[21:22], v[29:30]
	v_add_f64 v[13:14], v[13:14], v[25:26]
	s_clause 0x2
	buffer_load_dword v38, off, s[0:3], 0 offset:444
	buffer_load_dword v26, off, s[0:3], 0 offset:420
	;; [unrolled: 1-line block ×3, first 2 shown]
	ds_read_b128 v[5:8], v72 offset:1136
	s_waitcnt vmcnt(58) lgkmcnt(1)
	v_mul_f64 v[29:30], v[9:10], v[43:44]
	v_mul_f64 v[43:44], v[11:12], v[43:44]
	s_waitcnt vmcnt(56)
	v_fma_f64 v[39:40], v[1:2], v[45:46], -v[39:40]
	v_add_f64 v[21:22], v[21:22], v[35:36]
	v_fma_f64 v[35:36], v[3:4], v[45:46], v[118:119]
	v_add_f64 v[13:14], v[13:14], v[23:24]
	s_clause 0x4
	buffer_load_dword v24, off, s[0:3], 0 offset:460
	buffer_load_dword v45, off, s[0:3], 0 offset:472
	;; [unrolled: 1-line block ×5, first 2 shown]
	s_waitcnt vmcnt(57) lgkmcnt(0)
	v_mul_f64 v[124:125], v[5:6], v[47:48]
	v_mul_f64 v[47:48], v[7:8], v[47:48]
	s_waitcnt vmcnt(56)
	v_fma_f64 v[43:44], v[9:10], v[31:32], -v[43:44]
	ds_read_b128 v[1:4], v72 offset:1152
	v_fma_f64 v[29:30], v[11:12], v[31:32], v[29:30]
	s_clause 0x2
	buffer_load_dword v46, off, s[0:3], 0 offset:476
	buffer_load_dword v32, off, s[0:3], 0 offset:452
	;; [unrolled: 1-line block ×3, first 2 shown]
	ds_read_b128 v[9:12], v72 offset:1168
	v_add_f64 v[21:22], v[21:22], v[39:40]
	v_add_f64 v[13:14], v[13:14], v[35:36]
	s_waitcnt vmcnt(58) lgkmcnt(1)
	v_mul_f64 v[39:40], v[3:4], v[51:52]
	s_waitcnt vmcnt(56)
	v_fma_f64 v[47:48], v[5:6], v[53:54], -v[47:48]
	v_mul_f64 v[35:36], v[1:2], v[51:52]
	v_add_f64 v[21:22], v[21:22], v[43:44]
	v_fma_f64 v[43:44], v[7:8], v[53:54], v[124:125]
	v_add_f64 v[13:14], v[13:14], v[29:30]
	s_clause 0x4
	buffer_load_dword v30, off, s[0:3], 0 offset:492
	buffer_load_dword v51, off, s[0:3], 0 offset:504
	buffer_load_dword v53, off, s[0:3], 0 offset:496
	buffer_load_dword v29, off, s[0:3], 0 offset:488
	buffer_load_dword v104, off, s[0:3], 0 offset:468
	s_waitcnt vmcnt(57) lgkmcnt(0)
	v_mul_f64 v[124:125], v[9:10], v[55:56]
	v_mul_f64 v[54:55], v[11:12], v[55:56]
	s_waitcnt vmcnt(56)
	v_fma_f64 v[39:40], v[1:2], v[41:42], -v[39:40]
	ds_read_b128 v[5:8], v72 offset:1184
	v_fma_f64 v[35:36], v[3:4], v[41:42], v[35:36]
	s_clause 0x2
	buffer_load_dword v52, off, s[0:3], 0 offset:508
	buffer_load_dword v42, off, s[0:3], 0 offset:484
	;; [unrolled: 1-line block ×3, first 2 shown]
	ds_read_b128 v[1:4], v72 offset:1200
	v_add_f64 v[21:22], v[21:22], v[47:48]
	v_add_f64 v[13:14], v[13:14], v[43:44]
	s_waitcnt vmcnt(58) lgkmcnt(1)
	v_mul_f64 v[47:48], v[7:8], v[59:60]
	s_waitcnt vmcnt(56)
	v_fma_f64 v[55:56], v[9:10], v[61:62], -v[54:55]
	v_mul_f64 v[43:44], v[5:6], v[59:60]
	v_add_f64 v[21:22], v[21:22], v[39:40]
	v_fma_f64 v[39:40], v[11:12], v[61:62], v[124:125]
	v_add_f64 v[13:14], v[13:14], v[35:36]
	s_clause 0x4
	buffer_load_dword v36, off, s[0:3], 0 offset:524
	buffer_load_dword v59, off, s[0:3], 0 offset:536
	;; [unrolled: 1-line block ×5, first 2 shown]
	s_waitcnt vmcnt(57) lgkmcnt(0)
	v_mul_f64 v[124:125], v[1:2], v[93:94]
	v_mul_f64 v[93:94], v[3:4], v[93:94]
	s_waitcnt vmcnt(56)
	v_fma_f64 v[47:48], v[5:6], v[49:50], -v[47:48]
	ds_read_b128 v[9:12], v72 offset:1216
	v_fma_f64 v[43:44], v[7:8], v[49:50], v[43:44]
	v_add_f64 v[21:22], v[21:22], v[55:56]
	v_add_f64 v[13:14], v[13:14], v[39:40]
	s_clause 0x2
	buffer_load_dword v60, off, s[0:3], 0 offset:540
	buffer_load_dword v40, off, s[0:3], 0 offset:516
	;; [unrolled: 1-line block ×3, first 2 shown]
	ds_read_b128 v[5:8], v72 offset:1232
	s_waitcnt vmcnt(58) lgkmcnt(1)
	v_mul_f64 v[55:56], v[11:12], v[95:96]
	s_waitcnt vmcnt(56)
	v_fma_f64 v[93:94], v[1:2], v[101:102], -v[93:94]
	v_mul_f64 v[49:50], v[9:10], v[95:96]
	v_add_f64 v[21:22], v[21:22], v[47:48]
	v_fma_f64 v[47:48], v[3:4], v[101:102], v[124:125]
	v_add_f64 v[13:14], v[13:14], v[43:44]
	s_clause 0x4
	buffer_load_dword v44, off, s[0:3], 0 offset:556
	buffer_load_dword v95, off, s[0:3], 0 offset:568
	;; [unrolled: 1-line block ×5, first 2 shown]
	s_waitcnt vmcnt(57) lgkmcnt(0)
	v_mul_f64 v[124:125], v[5:6], v[109:110]
	v_mul_f64 v[109:110], v[7:8], v[109:110]
	s_waitcnt vmcnt(56)
	v_fma_f64 v[55:56], v[9:10], v[57:58], -v[55:56]
	ds_read_b128 v[1:4], v72 offset:1248
	v_fma_f64 v[49:50], v[11:12], v[57:58], v[49:50]
	v_add_f64 v[21:22], v[21:22], v[93:94]
	v_add_f64 v[13:14], v[13:14], v[47:48]
	s_clause 0x2
	buffer_load_dword v96, off, s[0:3], 0 offset:572
	buffer_load_dword v48, off, s[0:3], 0 offset:548
	;; [unrolled: 1-line block ×3, first 2 shown]
	ds_read_b128 v[9:12], v72 offset:1264
	s_waitcnt vmcnt(58) lgkmcnt(1)
	v_mul_f64 v[93:94], v[3:4], v[111:112]
	v_mul_f64 v[57:58], v[1:2], v[111:112]
	s_waitcnt vmcnt(56)
	v_fma_f64 v[109:110], v[5:6], v[17:18], -v[109:110]
	v_fma_f64 v[17:18], v[7:8], v[17:18], v[124:125]
	v_add_f64 v[21:22], v[21:22], v[55:56]
	v_add_f64 v[13:14], v[13:14], v[49:50]
	s_clause 0x4
	buffer_load_dword v50, off, s[0:3], 0 offset:588
	buffer_load_dword v55, off, s[0:3], 0 offset:600
	;; [unrolled: 1-line block ×5, first 2 shown]
	ds_read_b128 v[5:8], v72 offset:1280
	s_waitcnt vmcnt(57) lgkmcnt(1)
	v_mul_f64 v[124:125], v[9:10], v[15:16]
	v_mul_f64 v[15:16], v[11:12], v[15:16]
	s_waitcnt vmcnt(56)
	v_fma_f64 v[93:94], v[1:2], v[113:114], -v[93:94]
	v_fma_f64 v[57:58], v[3:4], v[113:114], v[57:58]
	v_add_f64 v[21:22], v[21:22], v[109:110]
	v_add_f64 v[13:14], v[13:14], v[17:18]
	s_clause 0x2
	buffer_load_dword v56, off, s[0:3], 0 offset:604
	buffer_load_dword v18, off, s[0:3], 0 offset:580
	;; [unrolled: 1-line block ×3, first 2 shown]
	s_waitcnt vmcnt(58) lgkmcnt(0)
	v_mul_f64 v[113:114], v[7:8], v[115:116]
	ds_read_b128 v[1:4], v72 offset:1296
	v_mul_f64 v[109:110], v[5:6], v[115:116]
	s_waitcnt vmcnt(56)
	v_fma_f64 v[15:16], v[9:10], v[105:106], -v[15:16]
	v_add_f64 v[21:22], v[21:22], v[93:94]
	v_fma_f64 v[93:94], v[11:12], v[105:106], v[124:125]
	v_add_f64 v[13:14], v[13:14], v[57:58]
	s_clause 0x4
	buffer_load_dword v58, off, s[0:3], 0 offset:620
	buffer_load_dword v105, off, s[0:3], 0 offset:632
	;; [unrolled: 1-line block ×5, first 2 shown]
	ds_read_b128 v[9:12], v72 offset:1312
	s_waitcnt vmcnt(57) lgkmcnt(1)
	v_mul_f64 v[124:125], v[1:2], v[33:34]
	v_mul_f64 v[33:34], v[3:4], v[33:34]
	s_waitcnt vmcnt(56)
	v_fma_f64 v[113:114], v[5:6], v[120:121], -v[113:114]
	v_add_f64 v[15:16], v[21:22], v[15:16]
	v_fma_f64 v[21:22], v[7:8], v[120:121], v[109:110]
	v_add_f64 v[13:14], v[13:14], v[93:94]
	s_clause 0x2
	buffer_load_dword v106, off, s[0:3], 0 offset:636
	buffer_load_dword v94, off, s[0:3], 0 offset:612
	;; [unrolled: 1-line block ×3, first 2 shown]
	ds_read_b128 v[5:8], v72 offset:1328
	s_waitcnt vmcnt(58) lgkmcnt(1)
	v_mul_f64 v[109:110], v[9:10], v[107:108]
	v_mul_f64 v[107:108], v[11:12], v[107:108]
	s_waitcnt vmcnt(56)
	v_fma_f64 v[33:34], v[1:2], v[27:28], -v[33:34]
	v_fma_f64 v[27:28], v[3:4], v[27:28], v[124:125]
	v_add_f64 v[15:16], v[15:16], v[113:114]
	v_add_f64 v[13:14], v[13:14], v[21:22]
	s_clause 0x4
	buffer_load_dword v22, off, s[0:3], 0 offset:652
	buffer_load_dword v113, off, s[0:3], 0 offset:664
	;; [unrolled: 1-line block ×5, first 2 shown]
	ds_read_b128 v[1:4], v72 offset:1344
	s_waitcnt vmcnt(57) lgkmcnt(1)
	v_mul_f64 v[120:121], v[5:6], v[19:20]
	v_mul_f64 v[19:20], v[7:8], v[19:20]
	s_waitcnt vmcnt(56)
	v_fma_f64 v[107:108], v[9:10], v[122:123], -v[107:108]
	v_add_f64 v[15:16], v[15:16], v[33:34]
	v_fma_f64 v[33:34], v[11:12], v[122:123], v[109:110]
	v_add_f64 v[13:14], v[13:14], v[27:28]
	s_clause 0x2
	buffer_load_dword v114, off, s[0:3], 0 offset:668
	buffer_load_dword v28, off, s[0:3], 0 offset:644
	;; [unrolled: 1-line block ×3, first 2 shown]
	ds_read_b128 v[9:12], v72 offset:1360
	s_waitcnt vmcnt(58) lgkmcnt(1)
	v_mul_f64 v[109:110], v[1:2], v[37:38]
	v_mul_f64 v[37:38], v[3:4], v[37:38]
	s_waitcnt vmcnt(56)
	v_fma_f64 v[19:20], v[5:6], v[25:26], -v[19:20]
	v_fma_f64 v[25:26], v[7:8], v[25:26], v[120:121]
	v_add_f64 v[15:16], v[15:16], v[107:108]
	v_add_f64 v[13:14], v[13:14], v[33:34]
	s_clause 0x4
	buffer_load_dword v34, off, s[0:3], 0 offset:684
	buffer_load_dword v107, off, s[0:3], 0 offset:696
	;; [unrolled: 1-line block ×5, first 2 shown]
	ds_read_b128 v[5:8], v72 offset:1376
	s_waitcnt vmcnt(57) lgkmcnt(1)
	v_mul_f64 v[122:123], v[9:10], v[23:24]
	v_mul_f64 v[23:24], v[11:12], v[23:24]
	s_waitcnt vmcnt(56)
	v_fma_f64 v[37:38], v[1:2], v[117:118], -v[37:38]
	v_add_f64 v[15:16], v[15:16], v[19:20]
	v_fma_f64 v[19:20], v[3:4], v[117:118], v[109:110]
	v_add_f64 v[13:14], v[13:14], v[25:26]
	s_clause 0x2
	buffer_load_dword v108, off, s[0:3], 0 offset:700
	buffer_load_dword v26, off, s[0:3], 0 offset:676
	;; [unrolled: 1-line block ×3, first 2 shown]
	s_waitcnt vmcnt(58) lgkmcnt(0)
	v_mul_f64 v[109:110], v[5:6], v[45:46]
	v_mul_f64 v[45:46], v[7:8], v[45:46]
	ds_read_b128 v[1:4], v72 offset:1392
	s_waitcnt vmcnt(56)
	v_fma_f64 v[23:24], v[9:10], v[31:32], -v[23:24]
	v_fma_f64 v[31:32], v[11:12], v[31:32], v[122:123]
	v_add_f64 v[15:16], v[15:16], v[37:38]
	v_add_f64 v[13:14], v[13:14], v[19:20]
	s_clause 0x4
	buffer_load_dword v20, off, s[0:3], 0 offset:716
	buffer_load_dword v37, off, s[0:3], 0 offset:728
	;; [unrolled: 1-line block ×5, first 2 shown]
	ds_read_b128 v[9:12], v72 offset:1408
	s_waitcnt vmcnt(57) lgkmcnt(1)
	v_mul_f64 v[123:124], v[1:2], v[29:30]
	v_mul_f64 v[29:30], v[3:4], v[29:30]
	s_waitcnt vmcnt(56)
	v_fma_f64 v[45:46], v[5:6], v[103:104], -v[45:46]
	v_add_f64 v[15:16], v[15:16], v[23:24]
	v_fma_f64 v[23:24], v[7:8], v[103:104], v[109:110]
	v_add_f64 v[13:14], v[13:14], v[31:32]
	s_clause 0x2
	buffer_load_dword v38, off, s[0:3], 0 offset:732
	buffer_load_dword v32, off, s[0:3], 0 offset:708
	;; [unrolled: 1-line block ×3, first 2 shown]
	s_waitcnt vmcnt(58) lgkmcnt(0)
	v_mul_f64 v[103:104], v[9:10], v[51:52]
	v_mul_f64 v[51:52], v[11:12], v[51:52]
	ds_read_b128 v[5:8], v72 offset:1424
	s_waitcnt vmcnt(56)
	v_fma_f64 v[29:30], v[1:2], v[41:42], -v[29:30]
	v_fma_f64 v[41:42], v[3:4], v[41:42], v[123:124]
	v_add_f64 v[15:16], v[15:16], v[45:46]
	v_add_f64 v[13:14], v[13:14], v[23:24]
	s_clause 0x4
	buffer_load_dword v24, off, s[0:3], 0 offset:748
	buffer_load_dword v45, off, s[0:3], 0 offset:760
	buffer_load_dword v109, off, s[0:3], 0 offset:752
	buffer_load_dword v23, off, s[0:3], 0 offset:744
	buffer_load_dword v118, off, s[0:3], 0 offset:724
	ds_read_b128 v[1:4], v72 offset:1440
	s_waitcnt vmcnt(57) lgkmcnt(1)
	v_mul_f64 v[123:124], v[5:6], v[35:36]
	v_mul_f64 v[35:36], v[7:8], v[35:36]
	s_waitcnt vmcnt(56)
	v_fma_f64 v[51:52], v[9:10], v[53:54], -v[51:52]
	v_add_f64 v[15:16], v[15:16], v[29:30]
	v_fma_f64 v[29:30], v[11:12], v[53:54], v[103:104]
	v_add_f64 v[13:14], v[13:14], v[41:42]
	s_clause 0x2
	buffer_load_dword v46, off, s[0:3], 0 offset:764
	buffer_load_dword v42, off, s[0:3], 0 offset:740
	buffer_load_dword v41, off, s[0:3], 0 offset:736
	ds_read_b128 v[9:12], v72 offset:1456
	s_waitcnt vmcnt(58) lgkmcnt(1)
	v_mul_f64 v[53:54], v[1:2], v[59:60]
	v_mul_f64 v[59:60], v[3:4], v[59:60]
	s_waitcnt vmcnt(56)
	v_fma_f64 v[35:36], v[5:6], v[39:40], -v[35:36]
	v_fma_f64 v[39:40], v[7:8], v[39:40], v[123:124]
	v_add_f64 v[15:16], v[15:16], v[51:52]
	v_add_f64 v[13:14], v[13:14], v[29:30]
	s_clause 0x4
	buffer_load_dword v30, off, s[0:3], 0 offset:780
	buffer_load_dword v51, off, s[0:3], 0 offset:792
	buffer_load_dword v103, off, s[0:3], 0 offset:784
	buffer_load_dword v29, off, s[0:3], 0 offset:776
	buffer_load_dword v110, off, s[0:3], 0 offset:756
	ds_read_b128 v[5:8], v72 offset:1472
	s_waitcnt vmcnt(57) lgkmcnt(1)
	v_mul_f64 v[123:124], v[9:10], v[43:44]
	v_mul_f64 v[43:44], v[11:12], v[43:44]
	s_waitcnt vmcnt(56)
	v_fma_f64 v[59:60], v[1:2], v[61:62], -v[59:60]
	v_add_f64 v[15:16], v[15:16], v[35:36]
	v_fma_f64 v[35:36], v[3:4], v[61:62], v[53:54]
	v_add_f64 v[13:14], v[13:14], v[39:40]
	s_clause 0x2
	buffer_load_dword v52, off, s[0:3], 0 offset:796
	buffer_load_dword v40, off, s[0:3], 0 offset:772
	buffer_load_dword v39, off, s[0:3], 0 offset:768
	ds_read_b128 v[1:4], v72 offset:1488
	s_waitcnt vmcnt(58) lgkmcnt(1)
	v_mul_f64 v[61:62], v[7:8], v[95:96]
	v_mul_f64 v[53:54], v[5:6], v[95:96]
	;; [unrolled: 28-line block ×4, first 2 shown]
	s_waitcnt vmcnt(56)
	v_fma_f64 v[57:58], v[5:6], v[93:94], -v[57:58]
	v_add_f64 v[15:16], v[15:16], v[55:56]
	v_fma_f64 v[55:56], v[7:8], v[93:94], v[123:124]
	v_add_f64 v[13:14], v[13:14], v[49:50]
	s_clause 0x4
	buffer_load_dword v50, off, s[0:3], 0 offset:876
	buffer_load_dword v93, off, s[0:3], 0 offset:888
	;; [unrolled: 1-line block ×5, first 2 shown]
	ds_read_b128 v[5:8], v72 offset:1568
	s_waitcnt vmcnt(57) lgkmcnt(1)
	v_mul_f64 v[123:124], v[9:10], v[21:22]
	v_mul_f64 v[21:22], v[11:12], v[21:22]
	s_waitcnt vmcnt(56)
	v_fma_f64 v[105:106], v[1:2], v[115:116], -v[105:106]
	v_fma_f64 v[53:54], v[3:4], v[115:116], v[53:54]
	v_add_f64 v[15:16], v[15:16], v[57:58]
	v_add_f64 v[13:14], v[13:14], v[55:56]
	s_clause 0x2
	buffer_load_dword v94, off, s[0:3], 0 offset:892
	buffer_load_dword v56, off, s[0:3], 0 offset:868
	;; [unrolled: 1-line block ×3, first 2 shown]
	ds_read_b128 v[1:4], v72 offset:1584
	s_waitcnt vmcnt(58) lgkmcnt(1)
	v_mul_f64 v[57:58], v[5:6], v[113:114]
	v_mul_f64 v[113:114], v[7:8], v[113:114]
	s_waitcnt vmcnt(56)
	v_fma_f64 v[21:22], v[9:10], v[27:28], -v[21:22]
	v_fma_f64 v[27:28], v[11:12], v[27:28], v[123:124]
	v_add_f64 v[15:16], v[15:16], v[105:106]
	v_add_f64 v[13:14], v[13:14], v[53:54]
	s_clause 0x4
	buffer_load_dword v54, off, s[0:3], 0 offset:908
	buffer_load_dword v105, off, s[0:3], 0 offset:920
	;; [unrolled: 1-line block ×5, first 2 shown]
	ds_read_b128 v[9:12], v72 offset:1600
	s_waitcnt vmcnt(57) lgkmcnt(1)
	v_mul_f64 v[123:124], v[1:2], v[33:34]
	v_mul_f64 v[33:34], v[3:4], v[33:34]
	s_waitcnt vmcnt(56)
	v_fma_f64 v[113:114], v[5:6], v[119:120], -v[113:114]
	v_add_f64 v[15:16], v[15:16], v[21:22]
	v_fma_f64 v[21:22], v[7:8], v[119:120], v[57:58]
	v_add_f64 v[13:14], v[13:14], v[27:28]
	s_clause 0x2
	buffer_load_dword v106, off, s[0:3], 0 offset:924
	buffer_load_dword v28, off, s[0:3], 0 offset:900
	;; [unrolled: 1-line block ×3, first 2 shown]
	ds_read_b128 v[5:8], v72 offset:1616
	s_waitcnt vmcnt(58) lgkmcnt(1)
	v_mul_f64 v[57:58], v[9:10], v[107:108]
	v_mul_f64 v[107:108], v[11:12], v[107:108]
	s_waitcnt vmcnt(56)
	v_fma_f64 v[33:34], v[1:2], v[25:26], -v[33:34]
	v_fma_f64 v[25:26], v[3:4], v[25:26], v[123:124]
	v_add_f64 v[15:16], v[15:16], v[113:114]
	v_add_f64 v[13:14], v[13:14], v[21:22]
	s_clause 0x2
	buffer_load_dword v22, off, s[0:3], 0 offset:940
	buffer_load_dword v21, off, s[0:3], 0 offset:936
	;; [unrolled: 1-line block ×3, first 2 shown]
	ds_read_b128 v[1:4], v72 offset:1632
	s_waitcnt vmcnt(55) lgkmcnt(1)
	v_mul_f64 v[113:114], v[5:6], v[19:20]
	v_mul_f64 v[19:20], v[7:8], v[19:20]
	s_waitcnt vmcnt(54)
	v_fma_f64 v[107:108], v[9:10], v[121:122], -v[107:108]
	v_add_f64 v[15:16], v[15:16], v[33:34]
	v_fma_f64 v[33:34], v[11:12], v[121:122], v[57:58]
	v_add_f64 v[13:14], v[13:14], v[25:26]
	s_clause 0x1
	buffer_load_dword v26, off, s[0:3], 0 offset:932
	buffer_load_dword v25, off, s[0:3], 0 offset:928
	ds_read_b128 v[9:12], v72 offset:1648
	s_waitcnt vmcnt(55) lgkmcnt(1)
	v_mul_f64 v[57:58], v[1:2], v[37:38]
	v_mul_f64 v[37:38], v[3:4], v[37:38]
	s_waitcnt vmcnt(53)
	v_fma_f64 v[19:20], v[5:6], v[31:32], -v[19:20]
	v_fma_f64 v[31:32], v[7:8], v[31:32], v[113:114]
	ds_read_b128 v[5:8], v72 offset:1664
	v_add_f64 v[15:16], v[15:16], v[107:108]
	v_add_f64 v[13:14], v[13:14], v[33:34]
	s_waitcnt vmcnt(49) lgkmcnt(1)
	v_mul_f64 v[33:34], v[9:10], v[23:24]
	v_mul_f64 v[23:24], v[11:12], v[23:24]
	s_waitcnt vmcnt(48)
	v_fma_f64 v[37:38], v[1:2], v[117:118], -v[37:38]
	v_add_f64 v[15:16], v[15:16], v[19:20]
	v_fma_f64 v[19:20], v[3:4], v[117:118], v[57:58]
	v_add_f64 v[13:14], v[13:14], v[31:32]
	s_clause 0x3
	buffer_load_dword v31, off, s[0:3], 0 offset:64
	buffer_load_dword v32, off, s[0:3], 0 offset:68
	;; [unrolled: 1-line block ×4, first 2 shown]
	ds_read_b128 v[1:4], v72 offset:1680
	s_waitcnt vmcnt(51) lgkmcnt(1)
	v_mul_f64 v[107:108], v[5:6], v[45:46]
	v_mul_f64 v[45:46], v[7:8], v[45:46]
	s_waitcnt vmcnt(49)
	v_fma_f64 v[23:24], v[9:10], v[41:42], -v[23:24]
	v_fma_f64 v[33:34], v[11:12], v[41:42], v[33:34]
	ds_read_b128 v[9:12], v72 offset:1696
	v_add_f64 v[15:16], v[15:16], v[37:38]
	v_add_f64 v[13:14], v[13:14], v[19:20]
	s_waitcnt vmcnt(45) lgkmcnt(1)
	v_mul_f64 v[19:20], v[1:2], v[29:30]
	v_mul_f64 v[29:30], v[3:4], v[29:30]
	s_waitcnt vmcnt(44)
	v_fma_f64 v[37:38], v[5:6], v[109:110], -v[45:46]
	v_add_f64 v[15:16], v[15:16], v[23:24]
	v_fma_f64 v[23:24], v[7:8], v[109:110], v[107:108]
	v_add_f64 v[13:14], v[13:14], v[33:34]
	ds_read_b128 v[5:8], v72 offset:1712
	s_waitcnt vmcnt(43) lgkmcnt(1)
	v_mul_f64 v[41:42], v[11:12], v[51:52]
	v_mul_f64 v[33:34], v[9:10], v[51:52]
	s_waitcnt vmcnt(41)
	v_fma_f64 v[29:30], v[1:2], v[39:40], -v[29:30]
	v_fma_f64 v[19:20], v[3:4], v[39:40], v[19:20]
	ds_read_b128 v[1:4], v72 offset:1728
	v_add_f64 v[15:16], v[15:16], v[37:38]
	v_add_f64 v[13:14], v[13:14], v[23:24]
	s_waitcnt vmcnt(37) lgkmcnt(1)
	v_mul_f64 v[23:24], v[5:6], v[35:36]
	v_mul_f64 v[35:36], v[7:8], v[35:36]
	s_waitcnt vmcnt(36)
	v_fma_f64 v[37:38], v[9:10], v[103:104], -v[41:42]
	v_add_f64 v[15:16], v[15:16], v[29:30]
	v_fma_f64 v[29:30], v[11:12], v[103:104], v[33:34]
	v_add_f64 v[13:14], v[13:14], v[19:20]
	ds_read_b128 v[9:12], v72 offset:1744
	s_waitcnt vmcnt(35) lgkmcnt(1)
	v_mul_f64 v[33:34], v[3:4], v[59:60]
	v_mul_f64 v[19:20], v[1:2], v[59:60]
	s_waitcnt vmcnt(33)
	v_fma_f64 v[35:36], v[5:6], v[47:48], -v[35:36]
	v_fma_f64 v[23:24], v[7:8], v[47:48], v[23:24]
	ds_read_b128 v[5:8], v72 offset:1760
	v_add_f64 v[15:16], v[15:16], v[37:38]
	v_add_f64 v[13:14], v[13:14], v[29:30]
	s_waitcnt vmcnt(29) lgkmcnt(1)
	v_mul_f64 v[37:38], v[11:12], v[43:44]
	s_waitcnt vmcnt(28)
	v_fma_f64 v[33:34], v[1:2], v[95:96], -v[33:34]
	v_mul_f64 v[29:30], v[9:10], v[43:44]
	v_fma_f64 v[19:20], v[3:4], v[95:96], v[19:20]
	ds_read_b128 v[1:4], v72 offset:1776
	v_add_f64 v[15:16], v[15:16], v[35:36]
	v_add_f64 v[13:14], v[13:14], v[23:24]
	s_waitcnt vmcnt(27) lgkmcnt(1)
	v_mul_f64 v[35:36], v[7:8], v[61:62]
	v_mul_f64 v[23:24], v[5:6], v[61:62]
	s_waitcnt vmcnt(25)
	v_fma_f64 v[37:38], v[9:10], v[17:18], -v[37:38]
	v_fma_f64 v[17:18], v[11:12], v[17:18], v[29:30]
	ds_read_b128 v[9:12], v72 offset:1792
	v_add_f64 v[15:16], v[15:16], v[33:34]
	v_add_f64 v[13:14], v[13:14], v[19:20]
	s_waitcnt vmcnt(21) lgkmcnt(1)
	v_mul_f64 v[29:30], v[3:4], v[49:50]
	s_waitcnt vmcnt(20)
	v_fma_f64 v[33:34], v[5:6], v[101:102], -v[35:36]
	v_mul_f64 v[19:20], v[1:2], v[49:50]
	v_fma_f64 v[23:24], v[7:8], v[101:102], v[23:24]
	ds_read_b128 v[5:8], v72 offset:1808
	v_add_f64 v[15:16], v[15:16], v[37:38]
	v_add_f64 v[13:14], v[13:14], v[17:18]
	;; [unrolled: 18-line block ×3, first 2 shown]
	s_waitcnt vmcnt(11) lgkmcnt(1)
	v_mul_f64 v[29:30], v[3:4], v[105:106]
	v_mul_f64 v[19:20], v[1:2], v[105:106]
	s_waitcnt vmcnt(9)
	v_fma_f64 v[5:6], v[5:6], v[27:28], -v[33:34]
	v_fma_f64 v[7:8], v[7:8], v[27:28], v[23:24]
	v_add_f64 v[15:16], v[15:16], v[35:36]
	v_add_f64 v[13:14], v[13:14], v[17:18]
	s_waitcnt vmcnt(7) lgkmcnt(0)
	v_mul_f64 v[17:18], v[9:10], v[21:22]
	v_mul_f64 v[21:22], v[11:12], v[21:22]
	s_waitcnt vmcnt(6)
	v_fma_f64 v[1:2], v[1:2], v[115:116], -v[29:30]
	v_fma_f64 v[3:4], v[3:4], v[115:116], v[19:20]
	v_add_f64 v[5:6], v[15:16], v[5:6]
	v_add_f64 v[7:8], v[13:14], v[7:8]
	s_waitcnt vmcnt(4)
	v_fma_f64 v[9:10], v[9:10], v[25:26], -v[21:22]
	v_add_f64 v[1:2], v[5:6], v[1:2]
	v_fma_f64 v[5:6], v[11:12], v[25:26], v[17:18]
	v_add_f64 v[3:4], v[7:8], v[3:4]
	v_add_f64 v[1:2], v[1:2], v[9:10]
	v_add_f64 v[3:4], v[3:4], v[5:6]
	s_waitcnt vmcnt(2)
	v_add_f64 v[1:2], v[31:32], -v[1:2]
	s_waitcnt vmcnt(0)
	v_add_f64 v[3:4], v[57:58], -v[3:4]
	buffer_store_dword v2, off, s[0:3], 0 offset:68
	buffer_store_dword v1, off, s[0:3], 0 offset:64
	;; [unrolled: 1-line block ×4, first 2 shown]
	v_cmpx_lt_u32_e32 2, v0
	s_cbranch_execz .LBB57_357
; %bb.356:
	v_mov_b32_e32 v4, s68
	v_mov_b32_e32 v5, 0
	s_clause 0x3
	buffer_load_dword v1, v4, s[0:3], 0 offen
	buffer_load_dword v2, v4, s[0:3], 0 offen offset:4
	buffer_load_dword v3, v4, s[0:3], 0 offen offset:8
	;; [unrolled: 1-line block ×3, first 2 shown]
	buffer_store_dword v5, off, s[0:3], 0 offset:48
	buffer_store_dword v5, off, s[0:3], 0 offset:52
	;; [unrolled: 1-line block ×4, first 2 shown]
	s_waitcnt vmcnt(0)
	ds_write_b128 v63, v[1:4]
.LBB57_357:
	s_or_b32 exec_lo, exec_lo, s4
	s_waitcnt lgkmcnt(0)
	s_waitcnt_vscnt null, 0x0
	s_barrier
	buffer_gl0_inv
	s_clause 0x37
	buffer_load_dword v17, off, s[0:3], 0 offset:72
	buffer_load_dword v18, off, s[0:3], 0 offset:76
	;; [unrolled: 1-line block ×56, first 2 shown]
	v_mov_b32_e32 v72, 0
	s_mov_b32 s4, exec_lo
	ds_read_b128 v[5:8], v72 offset:976
	s_clause 0x2
	buffer_load_dword v96, off, s[0:3], 0 offset:300
	buffer_load_dword v102, off, s[0:3], 0 offset:276
	;; [unrolled: 1-line block ×3, first 2 shown]
	ds_read_b128 v[1:4], v72 offset:992
	s_clause 0x4
	buffer_load_dword v110, off, s[0:3], 0 offset:316
	buffer_load_dword v111, off, s[0:3], 0 offset:328
	;; [unrolled: 1-line block ×5, first 2 shown]
	ds_read_b128 v[103:106], v72 offset:1008
	s_waitcnt vmcnt(62) lgkmcnt(2)
	v_mul_f64 v[107:108], v[7:8], v[17:18]
	v_mul_f64 v[17:18], v[5:6], v[17:18]
	s_waitcnt vmcnt(60) lgkmcnt(1)
	v_mul_f64 v[114:115], v[3:4], v[13:14]
	v_mul_f64 v[13:14], v[1:2], v[13:14]
	;; [unrolled: 3-line block ×3, first 2 shown]
	v_fma_f64 v[107:108], v[5:6], v[15:16], -v[107:108]
	v_fma_f64 v[15:16], v[7:8], v[15:16], v[17:18]
	s_clause 0x2
	buffer_load_dword v112, off, s[0:3], 0 offset:332
	buffer_load_dword v18, off, s[0:3], 0 offset:308
	;; [unrolled: 1-line block ×3, first 2 shown]
	s_waitcnt vmcnt(57)
	v_fma_f64 v[118:119], v[1:2], v[9:10], -v[114:115]
	ds_read_b128 v[5:8], v72 offset:1024
	v_fma_f64 v[9:10], v[3:4], v[9:10], v[13:14]
	s_waitcnt vmcnt(51)
	v_fma_f64 v[103:104], v[103:104], v[33:34], -v[11:12]
	v_fma_f64 v[33:34], v[105:106], v[33:34], v[116:117]
	v_add_f64 v[107:108], v[107:108], 0
	v_add_f64 v[13:14], v[15:16], 0
	s_clause 0x4
	buffer_load_dword v16, off, s[0:3], 0 offset:348
	buffer_load_dword v115, off, s[0:3], 0 offset:360
	;; [unrolled: 1-line block ×5, first 2 shown]
	s_waitcnt lgkmcnt(0)
	v_mul_f64 v[121:122], v[5:6], v[21:22]
	v_mul_f64 v[21:22], v[7:8], v[21:22]
	ds_read_b128 v[1:4], v72 offset:1040
	s_clause 0x2
	buffer_load_dword v116, off, s[0:3], 0 offset:364
	buffer_load_dword v106, off, s[0:3], 0 offset:340
	;; [unrolled: 1-line block ×3, first 2 shown]
	v_add_f64 v[107:108], v[107:108], v[118:119]
	v_add_f64 v[13:14], v[13:14], v[9:10]
	ds_read_b128 v[9:12], v72 offset:1056
	s_waitcnt vmcnt(58) lgkmcnt(1)
	v_mul_f64 v[117:118], v[1:2], v[25:26]
	v_mul_f64 v[25:26], v[3:4], v[25:26]
	s_waitcnt vmcnt(56)
	v_fma_f64 v[21:22], v[5:6], v[27:28], -v[21:22]
	v_fma_f64 v[27:28], v[7:8], v[27:28], v[121:122]
	s_waitcnt vmcnt(52) lgkmcnt(0)
	v_mul_f64 v[123:124], v[9:10], v[29:30]
	v_add_f64 v[103:104], v[107:108], v[103:104]
	v_add_f64 v[13:14], v[13:14], v[33:34]
	s_clause 0x4
	buffer_load_dword v34, off, s[0:3], 0 offset:380
	buffer_load_dword v107, off, s[0:3], 0 offset:392
	;; [unrolled: 1-line block ×5, first 2 shown]
	v_mul_f64 v[29:30], v[11:12], v[29:30]
	s_waitcnt vmcnt(56)
	v_fma_f64 v[25:26], v[1:2], v[19:20], -v[25:26]
	ds_read_b128 v[5:8], v72 offset:1072
	v_fma_f64 v[19:20], v[3:4], v[19:20], v[117:118]
	v_add_f64 v[21:22], v[103:104], v[21:22]
	v_add_f64 v[13:14], v[13:14], v[27:28]
	s_clause 0x2
	buffer_load_dword v108, off, s[0:3], 0 offset:396
	buffer_load_dword v28, off, s[0:3], 0 offset:372
	;; [unrolled: 1-line block ×3, first 2 shown]
	s_waitcnt vmcnt(58) lgkmcnt(0)
	v_mul_f64 v[103:104], v[5:6], v[35:36]
	v_mul_f64 v[35:36], v[7:8], v[35:36]
	s_waitcnt vmcnt(56)
	v_fma_f64 v[29:30], v[9:10], v[37:38], -v[29:30]
	ds_read_b128 v[1:4], v72 offset:1088
	v_add_f64 v[21:22], v[21:22], v[25:26]
	v_fma_f64 v[25:26], v[11:12], v[37:38], v[123:124]
	v_add_f64 v[13:14], v[13:14], v[19:20]
	s_clause 0x4
	buffer_load_dword v20, off, s[0:3], 0 offset:412
	buffer_load_dword v37, off, s[0:3], 0 offset:424
	;; [unrolled: 1-line block ×5, first 2 shown]
	s_waitcnt vmcnt(57) lgkmcnt(0)
	v_mul_f64 v[118:119], v[1:2], v[39:40]
	v_mul_f64 v[39:40], v[3:4], v[39:40]
	s_waitcnt vmcnt(56)
	v_fma_f64 v[35:36], v[5:6], v[23:24], -v[35:36]
	ds_read_b128 v[9:12], v72 offset:1104
	v_fma_f64 v[23:24], v[7:8], v[23:24], v[103:104]
	v_add_f64 v[21:22], v[21:22], v[29:30]
	v_add_f64 v[13:14], v[13:14], v[25:26]
	s_clause 0x2
	buffer_load_dword v38, off, s[0:3], 0 offset:428
	buffer_load_dword v26, off, s[0:3], 0 offset:404
	;; [unrolled: 1-line block ×3, first 2 shown]
	ds_read_b128 v[5:8], v72 offset:1120
	s_waitcnt vmcnt(58) lgkmcnt(1)
	v_mul_f64 v[29:30], v[9:10], v[43:44]
	v_mul_f64 v[43:44], v[11:12], v[43:44]
	s_waitcnt vmcnt(56)
	v_fma_f64 v[39:40], v[1:2], v[45:46], -v[39:40]
	v_add_f64 v[21:22], v[21:22], v[35:36]
	v_fma_f64 v[35:36], v[3:4], v[45:46], v[118:119]
	v_add_f64 v[13:14], v[13:14], v[23:24]
	s_clause 0x4
	buffer_load_dword v24, off, s[0:3], 0 offset:444
	buffer_load_dword v45, off, s[0:3], 0 offset:456
	;; [unrolled: 1-line block ×5, first 2 shown]
	s_waitcnt vmcnt(57) lgkmcnt(0)
	v_mul_f64 v[124:125], v[5:6], v[47:48]
	v_mul_f64 v[47:48], v[7:8], v[47:48]
	s_waitcnt vmcnt(56)
	v_fma_f64 v[43:44], v[9:10], v[31:32], -v[43:44]
	ds_read_b128 v[1:4], v72 offset:1136
	v_fma_f64 v[29:30], v[11:12], v[31:32], v[29:30]
	s_clause 0x2
	buffer_load_dword v46, off, s[0:3], 0 offset:460
	buffer_load_dword v32, off, s[0:3], 0 offset:436
	buffer_load_dword v31, off, s[0:3], 0 offset:432
	ds_read_b128 v[9:12], v72 offset:1152
	v_add_f64 v[21:22], v[21:22], v[39:40]
	v_add_f64 v[13:14], v[13:14], v[35:36]
	s_waitcnt vmcnt(58) lgkmcnt(1)
	v_mul_f64 v[39:40], v[3:4], v[51:52]
	s_waitcnt vmcnt(56)
	v_fma_f64 v[47:48], v[5:6], v[53:54], -v[47:48]
	v_mul_f64 v[35:36], v[1:2], v[51:52]
	v_add_f64 v[21:22], v[21:22], v[43:44]
	v_fma_f64 v[43:44], v[7:8], v[53:54], v[124:125]
	v_add_f64 v[13:14], v[13:14], v[29:30]
	s_clause 0x4
	buffer_load_dword v30, off, s[0:3], 0 offset:476
	buffer_load_dword v51, off, s[0:3], 0 offset:488
	;; [unrolled: 1-line block ×5, first 2 shown]
	s_waitcnt vmcnt(57) lgkmcnt(0)
	v_mul_f64 v[124:125], v[9:10], v[55:56]
	v_mul_f64 v[54:55], v[11:12], v[55:56]
	s_waitcnt vmcnt(56)
	v_fma_f64 v[39:40], v[1:2], v[41:42], -v[39:40]
	ds_read_b128 v[5:8], v72 offset:1168
	v_fma_f64 v[35:36], v[3:4], v[41:42], v[35:36]
	s_clause 0x2
	buffer_load_dword v52, off, s[0:3], 0 offset:492
	buffer_load_dword v42, off, s[0:3], 0 offset:468
	;; [unrolled: 1-line block ×3, first 2 shown]
	ds_read_b128 v[1:4], v72 offset:1184
	v_add_f64 v[21:22], v[21:22], v[47:48]
	v_add_f64 v[13:14], v[13:14], v[43:44]
	s_waitcnt vmcnt(58) lgkmcnt(1)
	v_mul_f64 v[47:48], v[7:8], v[59:60]
	s_waitcnt vmcnt(56)
	v_fma_f64 v[55:56], v[9:10], v[61:62], -v[54:55]
	v_mul_f64 v[43:44], v[5:6], v[59:60]
	v_add_f64 v[21:22], v[21:22], v[39:40]
	v_fma_f64 v[39:40], v[11:12], v[61:62], v[124:125]
	v_add_f64 v[13:14], v[13:14], v[35:36]
	s_clause 0x4
	buffer_load_dword v36, off, s[0:3], 0 offset:508
	buffer_load_dword v59, off, s[0:3], 0 offset:520
	;; [unrolled: 1-line block ×5, first 2 shown]
	s_waitcnt vmcnt(57) lgkmcnt(0)
	v_mul_f64 v[124:125], v[1:2], v[93:94]
	v_mul_f64 v[93:94], v[3:4], v[93:94]
	s_waitcnt vmcnt(56)
	v_fma_f64 v[47:48], v[5:6], v[49:50], -v[47:48]
	ds_read_b128 v[9:12], v72 offset:1200
	v_fma_f64 v[43:44], v[7:8], v[49:50], v[43:44]
	v_add_f64 v[21:22], v[21:22], v[55:56]
	v_add_f64 v[13:14], v[13:14], v[39:40]
	s_clause 0x2
	buffer_load_dword v60, off, s[0:3], 0 offset:524
	buffer_load_dword v40, off, s[0:3], 0 offset:500
	;; [unrolled: 1-line block ×3, first 2 shown]
	ds_read_b128 v[5:8], v72 offset:1216
	s_waitcnt vmcnt(58) lgkmcnt(1)
	v_mul_f64 v[55:56], v[11:12], v[95:96]
	s_waitcnt vmcnt(56)
	v_fma_f64 v[93:94], v[1:2], v[101:102], -v[93:94]
	v_mul_f64 v[49:50], v[9:10], v[95:96]
	v_add_f64 v[21:22], v[21:22], v[47:48]
	v_fma_f64 v[47:48], v[3:4], v[101:102], v[124:125]
	v_add_f64 v[13:14], v[13:14], v[43:44]
	s_clause 0x4
	buffer_load_dword v44, off, s[0:3], 0 offset:540
	buffer_load_dword v95, off, s[0:3], 0 offset:552
	;; [unrolled: 1-line block ×5, first 2 shown]
	s_waitcnt vmcnt(57) lgkmcnt(0)
	v_mul_f64 v[124:125], v[5:6], v[109:110]
	v_mul_f64 v[109:110], v[7:8], v[109:110]
	s_waitcnt vmcnt(56)
	v_fma_f64 v[55:56], v[9:10], v[57:58], -v[55:56]
	ds_read_b128 v[1:4], v72 offset:1232
	v_fma_f64 v[49:50], v[11:12], v[57:58], v[49:50]
	v_add_f64 v[21:22], v[21:22], v[93:94]
	v_add_f64 v[13:14], v[13:14], v[47:48]
	s_clause 0x2
	buffer_load_dword v96, off, s[0:3], 0 offset:556
	buffer_load_dword v48, off, s[0:3], 0 offset:532
	;; [unrolled: 1-line block ×3, first 2 shown]
	ds_read_b128 v[9:12], v72 offset:1248
	s_waitcnt vmcnt(58) lgkmcnt(1)
	v_mul_f64 v[93:94], v[3:4], v[111:112]
	v_mul_f64 v[57:58], v[1:2], v[111:112]
	s_waitcnt vmcnt(56)
	v_fma_f64 v[109:110], v[5:6], v[17:18], -v[109:110]
	v_fma_f64 v[17:18], v[7:8], v[17:18], v[124:125]
	v_add_f64 v[21:22], v[21:22], v[55:56]
	v_add_f64 v[13:14], v[13:14], v[49:50]
	s_clause 0x4
	buffer_load_dword v50, off, s[0:3], 0 offset:572
	buffer_load_dword v55, off, s[0:3], 0 offset:584
	;; [unrolled: 1-line block ×5, first 2 shown]
	ds_read_b128 v[5:8], v72 offset:1264
	s_waitcnt vmcnt(57) lgkmcnt(1)
	v_mul_f64 v[124:125], v[9:10], v[15:16]
	v_mul_f64 v[15:16], v[11:12], v[15:16]
	s_waitcnt vmcnt(56)
	v_fma_f64 v[93:94], v[1:2], v[113:114], -v[93:94]
	v_fma_f64 v[57:58], v[3:4], v[113:114], v[57:58]
	v_add_f64 v[21:22], v[21:22], v[109:110]
	v_add_f64 v[13:14], v[13:14], v[17:18]
	s_clause 0x2
	buffer_load_dword v56, off, s[0:3], 0 offset:588
	buffer_load_dword v18, off, s[0:3], 0 offset:564
	;; [unrolled: 1-line block ×3, first 2 shown]
	s_waitcnt vmcnt(58) lgkmcnt(0)
	v_mul_f64 v[113:114], v[7:8], v[115:116]
	ds_read_b128 v[1:4], v72 offset:1280
	v_mul_f64 v[109:110], v[5:6], v[115:116]
	s_waitcnt vmcnt(56)
	v_fma_f64 v[15:16], v[9:10], v[105:106], -v[15:16]
	v_add_f64 v[21:22], v[21:22], v[93:94]
	v_fma_f64 v[93:94], v[11:12], v[105:106], v[124:125]
	v_add_f64 v[13:14], v[13:14], v[57:58]
	s_clause 0x4
	buffer_load_dword v58, off, s[0:3], 0 offset:604
	buffer_load_dword v105, off, s[0:3], 0 offset:616
	;; [unrolled: 1-line block ×5, first 2 shown]
	ds_read_b128 v[9:12], v72 offset:1296
	s_waitcnt vmcnt(57) lgkmcnt(1)
	v_mul_f64 v[124:125], v[1:2], v[33:34]
	v_mul_f64 v[33:34], v[3:4], v[33:34]
	s_waitcnt vmcnt(56)
	v_fma_f64 v[113:114], v[5:6], v[120:121], -v[113:114]
	v_add_f64 v[15:16], v[21:22], v[15:16]
	v_fma_f64 v[21:22], v[7:8], v[120:121], v[109:110]
	v_add_f64 v[13:14], v[13:14], v[93:94]
	s_clause 0x2
	buffer_load_dword v106, off, s[0:3], 0 offset:620
	buffer_load_dword v94, off, s[0:3], 0 offset:596
	;; [unrolled: 1-line block ×3, first 2 shown]
	ds_read_b128 v[5:8], v72 offset:1312
	s_waitcnt vmcnt(58) lgkmcnt(1)
	v_mul_f64 v[109:110], v[9:10], v[107:108]
	v_mul_f64 v[107:108], v[11:12], v[107:108]
	s_waitcnt vmcnt(56)
	v_fma_f64 v[33:34], v[1:2], v[27:28], -v[33:34]
	v_fma_f64 v[27:28], v[3:4], v[27:28], v[124:125]
	v_add_f64 v[15:16], v[15:16], v[113:114]
	v_add_f64 v[13:14], v[13:14], v[21:22]
	s_clause 0x4
	buffer_load_dword v22, off, s[0:3], 0 offset:636
	buffer_load_dword v113, off, s[0:3], 0 offset:648
	;; [unrolled: 1-line block ×5, first 2 shown]
	ds_read_b128 v[1:4], v72 offset:1328
	s_waitcnt vmcnt(57) lgkmcnt(1)
	v_mul_f64 v[120:121], v[5:6], v[19:20]
	v_mul_f64 v[19:20], v[7:8], v[19:20]
	s_waitcnt vmcnt(56)
	v_fma_f64 v[107:108], v[9:10], v[122:123], -v[107:108]
	v_add_f64 v[15:16], v[15:16], v[33:34]
	v_fma_f64 v[33:34], v[11:12], v[122:123], v[109:110]
	v_add_f64 v[13:14], v[13:14], v[27:28]
	s_clause 0x2
	buffer_load_dword v114, off, s[0:3], 0 offset:652
	buffer_load_dword v28, off, s[0:3], 0 offset:628
	;; [unrolled: 1-line block ×3, first 2 shown]
	ds_read_b128 v[9:12], v72 offset:1344
	s_waitcnt vmcnt(58) lgkmcnt(1)
	v_mul_f64 v[109:110], v[1:2], v[37:38]
	v_mul_f64 v[37:38], v[3:4], v[37:38]
	s_waitcnt vmcnt(56)
	v_fma_f64 v[19:20], v[5:6], v[25:26], -v[19:20]
	v_fma_f64 v[25:26], v[7:8], v[25:26], v[120:121]
	v_add_f64 v[15:16], v[15:16], v[107:108]
	v_add_f64 v[13:14], v[13:14], v[33:34]
	s_clause 0x4
	buffer_load_dword v34, off, s[0:3], 0 offset:668
	buffer_load_dword v107, off, s[0:3], 0 offset:680
	;; [unrolled: 1-line block ×5, first 2 shown]
	ds_read_b128 v[5:8], v72 offset:1360
	s_waitcnt vmcnt(57) lgkmcnt(1)
	v_mul_f64 v[122:123], v[9:10], v[23:24]
	v_mul_f64 v[23:24], v[11:12], v[23:24]
	s_waitcnt vmcnt(56)
	v_fma_f64 v[37:38], v[1:2], v[117:118], -v[37:38]
	v_add_f64 v[15:16], v[15:16], v[19:20]
	v_fma_f64 v[19:20], v[3:4], v[117:118], v[109:110]
	v_add_f64 v[13:14], v[13:14], v[25:26]
	s_clause 0x2
	buffer_load_dword v108, off, s[0:3], 0 offset:684
	buffer_load_dword v26, off, s[0:3], 0 offset:660
	;; [unrolled: 1-line block ×3, first 2 shown]
	s_waitcnt vmcnt(58) lgkmcnt(0)
	v_mul_f64 v[109:110], v[5:6], v[45:46]
	v_mul_f64 v[45:46], v[7:8], v[45:46]
	ds_read_b128 v[1:4], v72 offset:1376
	s_waitcnt vmcnt(56)
	v_fma_f64 v[23:24], v[9:10], v[31:32], -v[23:24]
	v_fma_f64 v[31:32], v[11:12], v[31:32], v[122:123]
	v_add_f64 v[15:16], v[15:16], v[37:38]
	v_add_f64 v[13:14], v[13:14], v[19:20]
	s_clause 0x4
	buffer_load_dword v20, off, s[0:3], 0 offset:700
	buffer_load_dword v37, off, s[0:3], 0 offset:712
	;; [unrolled: 1-line block ×5, first 2 shown]
	ds_read_b128 v[9:12], v72 offset:1392
	s_waitcnt vmcnt(57) lgkmcnt(1)
	v_mul_f64 v[123:124], v[1:2], v[29:30]
	v_mul_f64 v[29:30], v[3:4], v[29:30]
	s_waitcnt vmcnt(56)
	v_fma_f64 v[45:46], v[5:6], v[103:104], -v[45:46]
	v_add_f64 v[15:16], v[15:16], v[23:24]
	v_fma_f64 v[23:24], v[7:8], v[103:104], v[109:110]
	v_add_f64 v[13:14], v[13:14], v[31:32]
	s_clause 0x2
	buffer_load_dword v38, off, s[0:3], 0 offset:716
	buffer_load_dword v32, off, s[0:3], 0 offset:692
	buffer_load_dword v31, off, s[0:3], 0 offset:688
	s_waitcnt vmcnt(58) lgkmcnt(0)
	v_mul_f64 v[103:104], v[9:10], v[51:52]
	v_mul_f64 v[51:52], v[11:12], v[51:52]
	ds_read_b128 v[5:8], v72 offset:1408
	s_waitcnt vmcnt(56)
	v_fma_f64 v[29:30], v[1:2], v[41:42], -v[29:30]
	v_fma_f64 v[41:42], v[3:4], v[41:42], v[123:124]
	v_add_f64 v[15:16], v[15:16], v[45:46]
	v_add_f64 v[13:14], v[13:14], v[23:24]
	s_clause 0x4
	buffer_load_dword v24, off, s[0:3], 0 offset:732
	buffer_load_dword v45, off, s[0:3], 0 offset:744
	buffer_load_dword v109, off, s[0:3], 0 offset:736
	buffer_load_dword v23, off, s[0:3], 0 offset:728
	buffer_load_dword v118, off, s[0:3], 0 offset:708
	ds_read_b128 v[1:4], v72 offset:1424
	s_waitcnt vmcnt(57) lgkmcnt(1)
	v_mul_f64 v[123:124], v[5:6], v[35:36]
	v_mul_f64 v[35:36], v[7:8], v[35:36]
	s_waitcnt vmcnt(56)
	v_fma_f64 v[51:52], v[9:10], v[53:54], -v[51:52]
	v_add_f64 v[15:16], v[15:16], v[29:30]
	v_fma_f64 v[29:30], v[11:12], v[53:54], v[103:104]
	v_add_f64 v[13:14], v[13:14], v[41:42]
	s_clause 0x2
	buffer_load_dword v46, off, s[0:3], 0 offset:748
	buffer_load_dword v42, off, s[0:3], 0 offset:724
	buffer_load_dword v41, off, s[0:3], 0 offset:720
	ds_read_b128 v[9:12], v72 offset:1440
	s_waitcnt vmcnt(58) lgkmcnt(1)
	v_mul_f64 v[53:54], v[1:2], v[59:60]
	v_mul_f64 v[59:60], v[3:4], v[59:60]
	s_waitcnt vmcnt(56)
	v_fma_f64 v[35:36], v[5:6], v[39:40], -v[35:36]
	v_fma_f64 v[39:40], v[7:8], v[39:40], v[123:124]
	v_add_f64 v[15:16], v[15:16], v[51:52]
	v_add_f64 v[13:14], v[13:14], v[29:30]
	s_clause 0x4
	buffer_load_dword v30, off, s[0:3], 0 offset:764
	buffer_load_dword v51, off, s[0:3], 0 offset:776
	buffer_load_dword v103, off, s[0:3], 0 offset:768
	buffer_load_dword v29, off, s[0:3], 0 offset:760
	buffer_load_dword v110, off, s[0:3], 0 offset:740
	ds_read_b128 v[5:8], v72 offset:1456
	s_waitcnt vmcnt(57) lgkmcnt(1)
	v_mul_f64 v[123:124], v[9:10], v[43:44]
	v_mul_f64 v[43:44], v[11:12], v[43:44]
	s_waitcnt vmcnt(56)
	v_fma_f64 v[59:60], v[1:2], v[61:62], -v[59:60]
	v_add_f64 v[15:16], v[15:16], v[35:36]
	v_fma_f64 v[35:36], v[3:4], v[61:62], v[53:54]
	v_add_f64 v[13:14], v[13:14], v[39:40]
	s_clause 0x2
	buffer_load_dword v52, off, s[0:3], 0 offset:780
	buffer_load_dword v40, off, s[0:3], 0 offset:756
	buffer_load_dword v39, off, s[0:3], 0 offset:752
	ds_read_b128 v[1:4], v72 offset:1472
	s_waitcnt vmcnt(58) lgkmcnt(1)
	v_mul_f64 v[61:62], v[7:8], v[95:96]
	v_mul_f64 v[53:54], v[5:6], v[95:96]
	;; [unrolled: 28-line block ×4, first 2 shown]
	s_waitcnt vmcnt(56)
	v_fma_f64 v[57:58], v[5:6], v[93:94], -v[57:58]
	v_add_f64 v[15:16], v[15:16], v[55:56]
	v_fma_f64 v[55:56], v[7:8], v[93:94], v[123:124]
	v_add_f64 v[13:14], v[13:14], v[49:50]
	s_clause 0x4
	buffer_load_dword v50, off, s[0:3], 0 offset:860
	buffer_load_dword v93, off, s[0:3], 0 offset:872
	;; [unrolled: 1-line block ×5, first 2 shown]
	ds_read_b128 v[5:8], v72 offset:1552
	s_waitcnt vmcnt(57) lgkmcnt(1)
	v_mul_f64 v[123:124], v[9:10], v[21:22]
	v_mul_f64 v[21:22], v[11:12], v[21:22]
	s_waitcnt vmcnt(56)
	v_fma_f64 v[105:106], v[1:2], v[115:116], -v[105:106]
	v_fma_f64 v[53:54], v[3:4], v[115:116], v[53:54]
	v_add_f64 v[15:16], v[15:16], v[57:58]
	v_add_f64 v[13:14], v[13:14], v[55:56]
	s_clause 0x2
	buffer_load_dword v94, off, s[0:3], 0 offset:876
	buffer_load_dword v56, off, s[0:3], 0 offset:852
	;; [unrolled: 1-line block ×3, first 2 shown]
	ds_read_b128 v[1:4], v72 offset:1568
	s_waitcnt vmcnt(58) lgkmcnt(1)
	v_mul_f64 v[57:58], v[5:6], v[113:114]
	v_mul_f64 v[113:114], v[7:8], v[113:114]
	s_waitcnt vmcnt(56)
	v_fma_f64 v[21:22], v[9:10], v[27:28], -v[21:22]
	v_fma_f64 v[27:28], v[11:12], v[27:28], v[123:124]
	v_add_f64 v[15:16], v[15:16], v[105:106]
	v_add_f64 v[13:14], v[13:14], v[53:54]
	s_clause 0x4
	buffer_load_dword v54, off, s[0:3], 0 offset:892
	buffer_load_dword v105, off, s[0:3], 0 offset:904
	;; [unrolled: 1-line block ×5, first 2 shown]
	ds_read_b128 v[9:12], v72 offset:1584
	s_waitcnt vmcnt(57) lgkmcnt(1)
	v_mul_f64 v[123:124], v[1:2], v[33:34]
	v_mul_f64 v[33:34], v[3:4], v[33:34]
	s_waitcnt vmcnt(56)
	v_fma_f64 v[113:114], v[5:6], v[119:120], -v[113:114]
	v_add_f64 v[15:16], v[15:16], v[21:22]
	v_fma_f64 v[21:22], v[7:8], v[119:120], v[57:58]
	v_add_f64 v[13:14], v[13:14], v[27:28]
	s_clause 0x2
	buffer_load_dword v106, off, s[0:3], 0 offset:908
	buffer_load_dword v28, off, s[0:3], 0 offset:884
	;; [unrolled: 1-line block ×3, first 2 shown]
	ds_read_b128 v[5:8], v72 offset:1600
	s_waitcnt vmcnt(58) lgkmcnt(1)
	v_mul_f64 v[57:58], v[9:10], v[107:108]
	v_mul_f64 v[107:108], v[11:12], v[107:108]
	s_waitcnt vmcnt(56)
	v_fma_f64 v[33:34], v[1:2], v[25:26], -v[33:34]
	v_fma_f64 v[25:26], v[3:4], v[25:26], v[123:124]
	v_add_f64 v[15:16], v[15:16], v[113:114]
	v_add_f64 v[13:14], v[13:14], v[21:22]
	s_clause 0x4
	buffer_load_dword v22, off, s[0:3], 0 offset:924
	buffer_load_dword v113, off, s[0:3], 0 offset:936
	buffer_load_dword v119, off, s[0:3], 0 offset:928
	buffer_load_dword v21, off, s[0:3], 0 offset:920
	buffer_load_dword v116, off, s[0:3], 0 offset:900
	ds_read_b128 v[1:4], v72 offset:1616
	s_waitcnt vmcnt(57) lgkmcnt(1)
	v_mul_f64 v[123:124], v[5:6], v[19:20]
	v_mul_f64 v[19:20], v[7:8], v[19:20]
	s_waitcnt vmcnt(56)
	v_fma_f64 v[107:108], v[9:10], v[121:122], -v[107:108]
	v_add_f64 v[15:16], v[15:16], v[33:34]
	v_fma_f64 v[33:34], v[11:12], v[121:122], v[57:58]
	v_add_f64 v[13:14], v[13:14], v[25:26]
	s_clause 0x2
	buffer_load_dword v114, off, s[0:3], 0 offset:940
	buffer_load_dword v26, off, s[0:3], 0 offset:916
	;; [unrolled: 1-line block ×3, first 2 shown]
	ds_read_b128 v[9:12], v72 offset:1632
	buffer_load_dword v120, off, s[0:3], 0 offset:932
	s_waitcnt vmcnt(59) lgkmcnt(1)
	v_mul_f64 v[57:58], v[1:2], v[37:38]
	v_mul_f64 v[37:38], v[3:4], v[37:38]
	s_waitcnt vmcnt(57)
	v_fma_f64 v[19:20], v[5:6], v[31:32], -v[19:20]
	v_fma_f64 v[31:32], v[7:8], v[31:32], v[123:124]
	ds_read_b128 v[5:8], v72 offset:1648
	v_add_f64 v[15:16], v[15:16], v[107:108]
	v_add_f64 v[13:14], v[13:14], v[33:34]
	s_waitcnt vmcnt(53) lgkmcnt(1)
	v_mul_f64 v[33:34], v[9:10], v[23:24]
	v_mul_f64 v[23:24], v[11:12], v[23:24]
	s_waitcnt vmcnt(52)
	v_fma_f64 v[37:38], v[1:2], v[117:118], -v[37:38]
	v_add_f64 v[15:16], v[15:16], v[19:20]
	v_fma_f64 v[19:20], v[3:4], v[117:118], v[57:58]
	v_add_f64 v[13:14], v[13:14], v[31:32]
	ds_read_b128 v[1:4], v72 offset:1664
	s_waitcnt vmcnt(51) lgkmcnt(1)
	v_mul_f64 v[31:32], v[5:6], v[45:46]
	v_mul_f64 v[45:46], v[7:8], v[45:46]
	s_waitcnt vmcnt(49)
	v_fma_f64 v[23:24], v[9:10], v[41:42], -v[23:24]
	v_fma_f64 v[33:34], v[11:12], v[41:42], v[33:34]
	v_add_f64 v[15:16], v[15:16], v[37:38]
	v_add_f64 v[13:14], v[13:14], v[19:20]
	s_clause 0x3
	buffer_load_dword v19, off, s[0:3], 0 offset:48
	buffer_load_dword v20, off, s[0:3], 0 offset:52
	;; [unrolled: 1-line block ×4, first 2 shown]
	ds_read_b128 v[9:12], v72 offset:1680
	s_waitcnt vmcnt(49) lgkmcnt(1)
	v_mul_f64 v[41:42], v[1:2], v[29:30]
	v_mul_f64 v[29:30], v[3:4], v[29:30]
	s_waitcnt vmcnt(48)
	v_fma_f64 v[45:46], v[5:6], v[109:110], -v[45:46]
	v_add_f64 v[15:16], v[15:16], v[23:24]
	v_fma_f64 v[23:24], v[7:8], v[109:110], v[31:32]
	v_add_f64 v[13:14], v[13:14], v[33:34]
	ds_read_b128 v[5:8], v72 offset:1696
	s_waitcnt vmcnt(47) lgkmcnt(1)
	v_mul_f64 v[33:34], v[11:12], v[51:52]
	v_mul_f64 v[31:32], v[9:10], v[51:52]
	s_waitcnt vmcnt(45)
	v_fma_f64 v[29:30], v[1:2], v[39:40], -v[29:30]
	v_fma_f64 v[39:40], v[3:4], v[39:40], v[41:42]
	ds_read_b128 v[1:4], v72 offset:1712
	v_add_f64 v[15:16], v[15:16], v[45:46]
	v_add_f64 v[13:14], v[13:14], v[23:24]
	s_waitcnt vmcnt(41) lgkmcnt(1)
	v_mul_f64 v[23:24], v[5:6], v[35:36]
	v_mul_f64 v[35:36], v[7:8], v[35:36]
	s_waitcnt vmcnt(40)
	v_fma_f64 v[33:34], v[9:10], v[103:104], -v[33:34]
	v_add_f64 v[15:16], v[15:16], v[29:30]
	v_fma_f64 v[29:30], v[11:12], v[103:104], v[31:32]
	v_add_f64 v[13:14], v[13:14], v[39:40]
	ds_read_b128 v[9:12], v72 offset:1728
	s_waitcnt vmcnt(39) lgkmcnt(1)
	v_mul_f64 v[39:40], v[3:4], v[59:60]
	v_mul_f64 v[31:32], v[1:2], v[59:60]
	s_waitcnt vmcnt(37)
	v_fma_f64 v[35:36], v[5:6], v[47:48], -v[35:36]
	v_fma_f64 v[23:24], v[7:8], v[47:48], v[23:24]
	ds_read_b128 v[5:8], v72 offset:1744
	v_add_f64 v[15:16], v[15:16], v[33:34]
	v_add_f64 v[13:14], v[13:14], v[29:30]
	s_waitcnt vmcnt(33) lgkmcnt(1)
	v_mul_f64 v[33:34], v[11:12], v[43:44]
	s_waitcnt vmcnt(32)
	v_fma_f64 v[39:40], v[1:2], v[95:96], -v[39:40]
	v_mul_f64 v[29:30], v[9:10], v[43:44]
	v_fma_f64 v[31:32], v[3:4], v[95:96], v[31:32]
	ds_read_b128 v[1:4], v72 offset:1760
	v_add_f64 v[15:16], v[15:16], v[35:36]
	v_add_f64 v[13:14], v[13:14], v[23:24]
	s_waitcnt vmcnt(31) lgkmcnt(1)
	v_mul_f64 v[35:36], v[7:8], v[61:62]
	v_mul_f64 v[23:24], v[5:6], v[61:62]
	s_waitcnt vmcnt(29)
	v_fma_f64 v[33:34], v[9:10], v[17:18], -v[33:34]
	v_fma_f64 v[17:18], v[11:12], v[17:18], v[29:30]
	ds_read_b128 v[9:12], v72 offset:1776
	v_add_f64 v[15:16], v[15:16], v[39:40]
	v_add_f64 v[13:14], v[13:14], v[31:32]
	s_waitcnt vmcnt(25) lgkmcnt(1)
	v_mul_f64 v[31:32], v[3:4], v[49:50]
	s_waitcnt vmcnt(24)
	v_fma_f64 v[35:36], v[5:6], v[101:102], -v[35:36]
	v_mul_f64 v[29:30], v[1:2], v[49:50]
	v_fma_f64 v[23:24], v[7:8], v[101:102], v[23:24]
	ds_read_b128 v[5:8], v72 offset:1792
	v_add_f64 v[15:16], v[15:16], v[33:34]
	v_add_f64 v[13:14], v[13:14], v[17:18]
	;; [unrolled: 18-line block ×3, first 2 shown]
	s_waitcnt vmcnt(15) lgkmcnt(1)
	v_mul_f64 v[31:32], v[3:4], v[105:106]
	v_mul_f64 v[29:30], v[1:2], v[105:106]
	s_waitcnt vmcnt(13)
	v_fma_f64 v[35:36], v[5:6], v[27:28], -v[35:36]
	v_fma_f64 v[23:24], v[7:8], v[27:28], v[23:24]
	ds_read_b128 v[5:8], v72 offset:1840
	v_add_f64 v[15:16], v[15:16], v[33:34]
	v_add_f64 v[13:14], v[13:14], v[17:18]
	s_waitcnt vmcnt(9) lgkmcnt(1)
	v_mul_f64 v[17:18], v[9:10], v[21:22]
	v_mul_f64 v[21:22], v[11:12], v[21:22]
	s_waitcnt vmcnt(8)
	v_fma_f64 v[1:2], v[1:2], v[115:116], -v[31:32]
	v_fma_f64 v[3:4], v[3:4], v[115:116], v[29:30]
	v_add_f64 v[15:16], v[15:16], v[35:36]
	v_add_f64 v[13:14], v[13:14], v[23:24]
	s_waitcnt vmcnt(7) lgkmcnt(0)
	v_mul_f64 v[27:28], v[7:8], v[113:114]
	v_mul_f64 v[23:24], v[5:6], v[113:114]
	s_waitcnt vmcnt(5)
	v_fma_f64 v[9:10], v[9:10], v[25:26], -v[21:22]
	v_fma_f64 v[11:12], v[11:12], v[25:26], v[17:18]
	v_add_f64 v[1:2], v[15:16], v[1:2]
	v_add_f64 v[3:4], v[13:14], v[3:4]
	s_waitcnt vmcnt(4)
	v_fma_f64 v[5:6], v[5:6], v[119:120], -v[27:28]
	v_fma_f64 v[7:8], v[7:8], v[119:120], v[23:24]
	v_add_f64 v[1:2], v[1:2], v[9:10]
	v_add_f64 v[3:4], v[3:4], v[11:12]
	;; [unrolled: 1-line block ×4, first 2 shown]
	s_waitcnt vmcnt(2)
	v_add_f64 v[1:2], v[19:20], -v[1:2]
	s_waitcnt vmcnt(0)
	v_add_f64 v[3:4], v[37:38], -v[3:4]
	buffer_store_dword v2, off, s[0:3], 0 offset:52
	buffer_store_dword v1, off, s[0:3], 0 offset:48
	;; [unrolled: 1-line block ×4, first 2 shown]
	v_cmpx_lt_u32_e32 1, v0
	s_cbranch_execz .LBB57_359
; %bb.358:
	v_mov_b32_e32 v4, s69
	s_clause 0x3
	buffer_load_dword v1, v4, s[0:3], 0 offen
	buffer_load_dword v2, v4, s[0:3], 0 offen offset:4
	buffer_load_dword v3, v4, s[0:3], 0 offen offset:8
	;; [unrolled: 1-line block ×3, first 2 shown]
	buffer_store_dword v72, off, s[0:3], 0 offset:32
	buffer_store_dword v72, off, s[0:3], 0 offset:36
	buffer_store_dword v72, off, s[0:3], 0 offset:40
	buffer_store_dword v72, off, s[0:3], 0 offset:44
	s_waitcnt vmcnt(0)
	ds_write_b128 v63, v[1:4]
.LBB57_359:
	s_or_b32 exec_lo, exec_lo, s4
	s_waitcnt lgkmcnt(0)
	s_waitcnt_vscnt null, 0x0
	s_barrier
	buffer_gl0_inv
	s_clause 0x37
	buffer_load_dword v17, off, s[0:3], 0 offset:56
	buffer_load_dword v18, off, s[0:3], 0 offset:60
	;; [unrolled: 1-line block ×56, first 2 shown]
	ds_read_b128 v[5:8], v72 offset:960
	s_clause 0x2
	buffer_load_dword v96, off, s[0:3], 0 offset:284
	buffer_load_dword v102, off, s[0:3], 0 offset:260
	;; [unrolled: 1-line block ×3, first 2 shown]
	ds_read_b128 v[1:4], v72 offset:976
	s_clause 0x4
	buffer_load_dword v110, off, s[0:3], 0 offset:300
	buffer_load_dword v111, off, s[0:3], 0 offset:312
	;; [unrolled: 1-line block ×5, first 2 shown]
	ds_read_b128 v[103:106], v72 offset:992
	s_mov_b32 s4, exec_lo
	s_waitcnt vmcnt(62) lgkmcnt(2)
	v_mul_f64 v[107:108], v[7:8], v[17:18]
	v_mul_f64 v[17:18], v[5:6], v[17:18]
	s_waitcnt vmcnt(60) lgkmcnt(1)
	v_mul_f64 v[114:115], v[3:4], v[13:14]
	v_mul_f64 v[13:14], v[1:2], v[13:14]
	;; [unrolled: 3-line block ×3, first 2 shown]
	v_fma_f64 v[107:108], v[5:6], v[15:16], -v[107:108]
	v_fma_f64 v[15:16], v[7:8], v[15:16], v[17:18]
	s_clause 0x2
	buffer_load_dword v112, off, s[0:3], 0 offset:316
	buffer_load_dword v18, off, s[0:3], 0 offset:292
	;; [unrolled: 1-line block ×3, first 2 shown]
	s_waitcnt vmcnt(57)
	v_fma_f64 v[118:119], v[1:2], v[9:10], -v[114:115]
	ds_read_b128 v[5:8], v72 offset:1008
	v_fma_f64 v[9:10], v[3:4], v[9:10], v[13:14]
	s_waitcnt vmcnt(51)
	v_fma_f64 v[103:104], v[103:104], v[33:34], -v[11:12]
	v_fma_f64 v[33:34], v[105:106], v[33:34], v[116:117]
	v_add_f64 v[107:108], v[107:108], 0
	v_add_f64 v[13:14], v[15:16], 0
	s_clause 0x4
	buffer_load_dword v16, off, s[0:3], 0 offset:332
	buffer_load_dword v115, off, s[0:3], 0 offset:344
	;; [unrolled: 1-line block ×5, first 2 shown]
	s_waitcnt lgkmcnt(0)
	v_mul_f64 v[121:122], v[5:6], v[21:22]
	v_mul_f64 v[21:22], v[7:8], v[21:22]
	ds_read_b128 v[1:4], v72 offset:1024
	s_clause 0x2
	buffer_load_dword v116, off, s[0:3], 0 offset:348
	buffer_load_dword v106, off, s[0:3], 0 offset:324
	;; [unrolled: 1-line block ×3, first 2 shown]
	v_add_f64 v[107:108], v[107:108], v[118:119]
	v_add_f64 v[13:14], v[13:14], v[9:10]
	ds_read_b128 v[9:12], v72 offset:1040
	s_waitcnt vmcnt(58) lgkmcnt(1)
	v_mul_f64 v[117:118], v[1:2], v[25:26]
	v_mul_f64 v[25:26], v[3:4], v[25:26]
	s_waitcnt vmcnt(56)
	v_fma_f64 v[21:22], v[5:6], v[27:28], -v[21:22]
	v_fma_f64 v[27:28], v[7:8], v[27:28], v[121:122]
	s_waitcnt vmcnt(52) lgkmcnt(0)
	v_mul_f64 v[123:124], v[9:10], v[29:30]
	v_add_f64 v[103:104], v[107:108], v[103:104]
	v_add_f64 v[13:14], v[13:14], v[33:34]
	s_clause 0x4
	buffer_load_dword v34, off, s[0:3], 0 offset:364
	buffer_load_dword v107, off, s[0:3], 0 offset:376
	;; [unrolled: 1-line block ×5, first 2 shown]
	v_mul_f64 v[29:30], v[11:12], v[29:30]
	s_waitcnt vmcnt(56)
	v_fma_f64 v[25:26], v[1:2], v[19:20], -v[25:26]
	ds_read_b128 v[5:8], v72 offset:1056
	v_fma_f64 v[19:20], v[3:4], v[19:20], v[117:118]
	v_add_f64 v[21:22], v[103:104], v[21:22]
	v_add_f64 v[13:14], v[13:14], v[27:28]
	s_clause 0x2
	buffer_load_dword v108, off, s[0:3], 0 offset:380
	buffer_load_dword v28, off, s[0:3], 0 offset:356
	;; [unrolled: 1-line block ×3, first 2 shown]
	s_waitcnt vmcnt(58) lgkmcnt(0)
	v_mul_f64 v[103:104], v[5:6], v[35:36]
	v_mul_f64 v[35:36], v[7:8], v[35:36]
	s_waitcnt vmcnt(56)
	v_fma_f64 v[29:30], v[9:10], v[37:38], -v[29:30]
	ds_read_b128 v[1:4], v72 offset:1072
	v_add_f64 v[21:22], v[21:22], v[25:26]
	v_fma_f64 v[25:26], v[11:12], v[37:38], v[123:124]
	v_add_f64 v[13:14], v[13:14], v[19:20]
	s_clause 0x4
	buffer_load_dword v20, off, s[0:3], 0 offset:396
	buffer_load_dword v37, off, s[0:3], 0 offset:408
	;; [unrolled: 1-line block ×5, first 2 shown]
	s_waitcnt vmcnt(57) lgkmcnt(0)
	v_mul_f64 v[118:119], v[1:2], v[39:40]
	v_mul_f64 v[39:40], v[3:4], v[39:40]
	s_waitcnt vmcnt(56)
	v_fma_f64 v[35:36], v[5:6], v[23:24], -v[35:36]
	ds_read_b128 v[9:12], v72 offset:1088
	v_fma_f64 v[23:24], v[7:8], v[23:24], v[103:104]
	v_add_f64 v[21:22], v[21:22], v[29:30]
	v_add_f64 v[13:14], v[13:14], v[25:26]
	s_clause 0x2
	buffer_load_dword v38, off, s[0:3], 0 offset:412
	buffer_load_dword v26, off, s[0:3], 0 offset:388
	;; [unrolled: 1-line block ×3, first 2 shown]
	ds_read_b128 v[5:8], v72 offset:1104
	s_waitcnt vmcnt(58) lgkmcnt(1)
	v_mul_f64 v[29:30], v[9:10], v[43:44]
	v_mul_f64 v[43:44], v[11:12], v[43:44]
	s_waitcnt vmcnt(56)
	v_fma_f64 v[39:40], v[1:2], v[45:46], -v[39:40]
	v_add_f64 v[21:22], v[21:22], v[35:36]
	v_fma_f64 v[35:36], v[3:4], v[45:46], v[118:119]
	v_add_f64 v[13:14], v[13:14], v[23:24]
	s_clause 0x4
	buffer_load_dword v24, off, s[0:3], 0 offset:428
	buffer_load_dword v45, off, s[0:3], 0 offset:440
	;; [unrolled: 1-line block ×5, first 2 shown]
	s_waitcnt vmcnt(57) lgkmcnt(0)
	v_mul_f64 v[124:125], v[5:6], v[47:48]
	v_mul_f64 v[47:48], v[7:8], v[47:48]
	s_waitcnt vmcnt(56)
	v_fma_f64 v[43:44], v[9:10], v[31:32], -v[43:44]
	ds_read_b128 v[1:4], v72 offset:1120
	v_fma_f64 v[29:30], v[11:12], v[31:32], v[29:30]
	s_clause 0x2
	buffer_load_dword v46, off, s[0:3], 0 offset:444
	buffer_load_dword v32, off, s[0:3], 0 offset:420
	;; [unrolled: 1-line block ×3, first 2 shown]
	ds_read_b128 v[9:12], v72 offset:1136
	v_add_f64 v[21:22], v[21:22], v[39:40]
	v_add_f64 v[13:14], v[13:14], v[35:36]
	s_waitcnt vmcnt(58) lgkmcnt(1)
	v_mul_f64 v[39:40], v[3:4], v[51:52]
	s_waitcnt vmcnt(56)
	v_fma_f64 v[47:48], v[5:6], v[53:54], -v[47:48]
	v_mul_f64 v[35:36], v[1:2], v[51:52]
	v_add_f64 v[21:22], v[21:22], v[43:44]
	v_fma_f64 v[43:44], v[7:8], v[53:54], v[124:125]
	v_add_f64 v[13:14], v[13:14], v[29:30]
	s_clause 0x4
	buffer_load_dword v30, off, s[0:3], 0 offset:460
	buffer_load_dword v51, off, s[0:3], 0 offset:472
	;; [unrolled: 1-line block ×5, first 2 shown]
	s_waitcnt vmcnt(57) lgkmcnt(0)
	v_mul_f64 v[124:125], v[9:10], v[55:56]
	v_mul_f64 v[54:55], v[11:12], v[55:56]
	s_waitcnt vmcnt(56)
	v_fma_f64 v[39:40], v[1:2], v[41:42], -v[39:40]
	ds_read_b128 v[5:8], v72 offset:1152
	v_fma_f64 v[35:36], v[3:4], v[41:42], v[35:36]
	s_clause 0x2
	buffer_load_dword v52, off, s[0:3], 0 offset:476
	buffer_load_dword v42, off, s[0:3], 0 offset:452
	;; [unrolled: 1-line block ×3, first 2 shown]
	ds_read_b128 v[1:4], v72 offset:1168
	v_add_f64 v[21:22], v[21:22], v[47:48]
	v_add_f64 v[13:14], v[13:14], v[43:44]
	s_waitcnt vmcnt(58) lgkmcnt(1)
	v_mul_f64 v[47:48], v[7:8], v[59:60]
	s_waitcnt vmcnt(56)
	v_fma_f64 v[55:56], v[9:10], v[61:62], -v[54:55]
	v_mul_f64 v[43:44], v[5:6], v[59:60]
	v_add_f64 v[21:22], v[21:22], v[39:40]
	v_fma_f64 v[39:40], v[11:12], v[61:62], v[124:125]
	v_add_f64 v[13:14], v[13:14], v[35:36]
	s_clause 0x4
	buffer_load_dword v36, off, s[0:3], 0 offset:492
	buffer_load_dword v59, off, s[0:3], 0 offset:504
	;; [unrolled: 1-line block ×5, first 2 shown]
	s_waitcnt vmcnt(57) lgkmcnt(0)
	v_mul_f64 v[124:125], v[1:2], v[93:94]
	v_mul_f64 v[93:94], v[3:4], v[93:94]
	s_waitcnt vmcnt(56)
	v_fma_f64 v[47:48], v[5:6], v[49:50], -v[47:48]
	ds_read_b128 v[9:12], v72 offset:1184
	v_fma_f64 v[43:44], v[7:8], v[49:50], v[43:44]
	v_add_f64 v[21:22], v[21:22], v[55:56]
	v_add_f64 v[13:14], v[13:14], v[39:40]
	s_clause 0x2
	buffer_load_dword v60, off, s[0:3], 0 offset:508
	buffer_load_dword v40, off, s[0:3], 0 offset:484
	;; [unrolled: 1-line block ×3, first 2 shown]
	ds_read_b128 v[5:8], v72 offset:1200
	s_waitcnt vmcnt(58) lgkmcnt(1)
	v_mul_f64 v[55:56], v[11:12], v[95:96]
	s_waitcnt vmcnt(56)
	v_fma_f64 v[93:94], v[1:2], v[101:102], -v[93:94]
	v_mul_f64 v[49:50], v[9:10], v[95:96]
	v_add_f64 v[21:22], v[21:22], v[47:48]
	v_fma_f64 v[47:48], v[3:4], v[101:102], v[124:125]
	v_add_f64 v[13:14], v[13:14], v[43:44]
	s_clause 0x4
	buffer_load_dword v44, off, s[0:3], 0 offset:524
	buffer_load_dword v95, off, s[0:3], 0 offset:536
	;; [unrolled: 1-line block ×5, first 2 shown]
	s_waitcnt vmcnt(57) lgkmcnt(0)
	v_mul_f64 v[124:125], v[5:6], v[109:110]
	v_mul_f64 v[109:110], v[7:8], v[109:110]
	s_waitcnt vmcnt(56)
	v_fma_f64 v[55:56], v[9:10], v[57:58], -v[55:56]
	ds_read_b128 v[1:4], v72 offset:1216
	v_fma_f64 v[49:50], v[11:12], v[57:58], v[49:50]
	v_add_f64 v[21:22], v[21:22], v[93:94]
	v_add_f64 v[13:14], v[13:14], v[47:48]
	s_clause 0x2
	buffer_load_dword v96, off, s[0:3], 0 offset:540
	buffer_load_dword v48, off, s[0:3], 0 offset:516
	;; [unrolled: 1-line block ×3, first 2 shown]
	ds_read_b128 v[9:12], v72 offset:1232
	s_waitcnt vmcnt(58) lgkmcnt(1)
	v_mul_f64 v[93:94], v[3:4], v[111:112]
	v_mul_f64 v[57:58], v[1:2], v[111:112]
	s_waitcnt vmcnt(56)
	v_fma_f64 v[109:110], v[5:6], v[17:18], -v[109:110]
	v_fma_f64 v[17:18], v[7:8], v[17:18], v[124:125]
	v_add_f64 v[21:22], v[21:22], v[55:56]
	v_add_f64 v[13:14], v[13:14], v[49:50]
	s_clause 0x4
	buffer_load_dword v50, off, s[0:3], 0 offset:556
	buffer_load_dword v55, off, s[0:3], 0 offset:568
	;; [unrolled: 1-line block ×5, first 2 shown]
	ds_read_b128 v[5:8], v72 offset:1248
	s_waitcnt vmcnt(57) lgkmcnt(1)
	v_mul_f64 v[124:125], v[9:10], v[15:16]
	v_mul_f64 v[15:16], v[11:12], v[15:16]
	s_waitcnt vmcnt(56)
	v_fma_f64 v[93:94], v[1:2], v[113:114], -v[93:94]
	v_fma_f64 v[57:58], v[3:4], v[113:114], v[57:58]
	v_add_f64 v[21:22], v[21:22], v[109:110]
	v_add_f64 v[13:14], v[13:14], v[17:18]
	s_clause 0x2
	buffer_load_dword v56, off, s[0:3], 0 offset:572
	buffer_load_dword v18, off, s[0:3], 0 offset:548
	;; [unrolled: 1-line block ×3, first 2 shown]
	s_waitcnt vmcnt(58) lgkmcnt(0)
	v_mul_f64 v[113:114], v[7:8], v[115:116]
	ds_read_b128 v[1:4], v72 offset:1264
	v_mul_f64 v[109:110], v[5:6], v[115:116]
	s_waitcnt vmcnt(56)
	v_fma_f64 v[15:16], v[9:10], v[105:106], -v[15:16]
	v_add_f64 v[21:22], v[21:22], v[93:94]
	v_fma_f64 v[93:94], v[11:12], v[105:106], v[124:125]
	v_add_f64 v[13:14], v[13:14], v[57:58]
	s_clause 0x4
	buffer_load_dword v58, off, s[0:3], 0 offset:588
	buffer_load_dword v105, off, s[0:3], 0 offset:600
	;; [unrolled: 1-line block ×5, first 2 shown]
	ds_read_b128 v[9:12], v72 offset:1280
	s_waitcnt vmcnt(57) lgkmcnt(1)
	v_mul_f64 v[124:125], v[1:2], v[33:34]
	v_mul_f64 v[33:34], v[3:4], v[33:34]
	s_waitcnt vmcnt(56)
	v_fma_f64 v[113:114], v[5:6], v[120:121], -v[113:114]
	v_add_f64 v[15:16], v[21:22], v[15:16]
	v_fma_f64 v[21:22], v[7:8], v[120:121], v[109:110]
	v_add_f64 v[13:14], v[13:14], v[93:94]
	s_clause 0x2
	buffer_load_dword v106, off, s[0:3], 0 offset:604
	buffer_load_dword v94, off, s[0:3], 0 offset:580
	buffer_load_dword v93, off, s[0:3], 0 offset:576
	ds_read_b128 v[5:8], v72 offset:1296
	s_waitcnt vmcnt(58) lgkmcnt(1)
	v_mul_f64 v[109:110], v[9:10], v[107:108]
	v_mul_f64 v[107:108], v[11:12], v[107:108]
	s_waitcnt vmcnt(56)
	v_fma_f64 v[33:34], v[1:2], v[27:28], -v[33:34]
	v_fma_f64 v[27:28], v[3:4], v[27:28], v[124:125]
	v_add_f64 v[15:16], v[15:16], v[113:114]
	v_add_f64 v[13:14], v[13:14], v[21:22]
	s_clause 0x4
	buffer_load_dword v22, off, s[0:3], 0 offset:620
	buffer_load_dword v113, off, s[0:3], 0 offset:632
	;; [unrolled: 1-line block ×5, first 2 shown]
	ds_read_b128 v[1:4], v72 offset:1312
	s_waitcnt vmcnt(57) lgkmcnt(1)
	v_mul_f64 v[120:121], v[5:6], v[19:20]
	v_mul_f64 v[19:20], v[7:8], v[19:20]
	s_waitcnt vmcnt(56)
	v_fma_f64 v[107:108], v[9:10], v[122:123], -v[107:108]
	v_add_f64 v[15:16], v[15:16], v[33:34]
	v_fma_f64 v[33:34], v[11:12], v[122:123], v[109:110]
	v_add_f64 v[13:14], v[13:14], v[27:28]
	s_clause 0x2
	buffer_load_dword v114, off, s[0:3], 0 offset:636
	buffer_load_dword v28, off, s[0:3], 0 offset:612
	buffer_load_dword v27, off, s[0:3], 0 offset:608
	ds_read_b128 v[9:12], v72 offset:1328
	s_waitcnt vmcnt(58) lgkmcnt(1)
	v_mul_f64 v[109:110], v[1:2], v[37:38]
	v_mul_f64 v[37:38], v[3:4], v[37:38]
	s_waitcnt vmcnt(56)
	v_fma_f64 v[19:20], v[5:6], v[25:26], -v[19:20]
	v_fma_f64 v[25:26], v[7:8], v[25:26], v[120:121]
	v_add_f64 v[15:16], v[15:16], v[107:108]
	v_add_f64 v[13:14], v[13:14], v[33:34]
	s_clause 0x4
	buffer_load_dword v34, off, s[0:3], 0 offset:652
	buffer_load_dword v107, off, s[0:3], 0 offset:664
	buffer_load_dword v121, off, s[0:3], 0 offset:656
	buffer_load_dword v33, off, s[0:3], 0 offset:648
	buffer_load_dword v120, off, s[0:3], 0 offset:628
	ds_read_b128 v[5:8], v72 offset:1344
	s_waitcnt vmcnt(57) lgkmcnt(1)
	v_mul_f64 v[122:123], v[9:10], v[23:24]
	v_mul_f64 v[23:24], v[11:12], v[23:24]
	s_waitcnt vmcnt(56)
	v_fma_f64 v[37:38], v[1:2], v[117:118], -v[37:38]
	v_add_f64 v[15:16], v[15:16], v[19:20]
	v_fma_f64 v[19:20], v[3:4], v[117:118], v[109:110]
	v_add_f64 v[13:14], v[13:14], v[25:26]
	s_clause 0x2
	buffer_load_dword v108, off, s[0:3], 0 offset:668
	buffer_load_dword v26, off, s[0:3], 0 offset:644
	;; [unrolled: 1-line block ×3, first 2 shown]
	s_waitcnt vmcnt(58) lgkmcnt(0)
	v_mul_f64 v[109:110], v[5:6], v[45:46]
	v_mul_f64 v[45:46], v[7:8], v[45:46]
	ds_read_b128 v[1:4], v72 offset:1360
	s_waitcnt vmcnt(56)
	v_fma_f64 v[23:24], v[9:10], v[31:32], -v[23:24]
	v_fma_f64 v[31:32], v[11:12], v[31:32], v[122:123]
	v_add_f64 v[15:16], v[15:16], v[37:38]
	v_add_f64 v[13:14], v[13:14], v[19:20]
	s_clause 0x4
	buffer_load_dword v20, off, s[0:3], 0 offset:684
	buffer_load_dword v37, off, s[0:3], 0 offset:696
	;; [unrolled: 1-line block ×5, first 2 shown]
	ds_read_b128 v[9:12], v72 offset:1376
	s_waitcnt vmcnt(57) lgkmcnt(1)
	v_mul_f64 v[123:124], v[1:2], v[29:30]
	v_mul_f64 v[29:30], v[3:4], v[29:30]
	s_waitcnt vmcnt(56)
	v_fma_f64 v[45:46], v[5:6], v[103:104], -v[45:46]
	v_add_f64 v[15:16], v[15:16], v[23:24]
	v_fma_f64 v[23:24], v[7:8], v[103:104], v[109:110]
	v_add_f64 v[13:14], v[13:14], v[31:32]
	s_clause 0x2
	buffer_load_dword v38, off, s[0:3], 0 offset:700
	buffer_load_dword v32, off, s[0:3], 0 offset:676
	;; [unrolled: 1-line block ×3, first 2 shown]
	s_waitcnt vmcnt(58) lgkmcnt(0)
	v_mul_f64 v[103:104], v[9:10], v[51:52]
	v_mul_f64 v[51:52], v[11:12], v[51:52]
	ds_read_b128 v[5:8], v72 offset:1392
	s_waitcnt vmcnt(56)
	v_fma_f64 v[29:30], v[1:2], v[41:42], -v[29:30]
	v_fma_f64 v[41:42], v[3:4], v[41:42], v[123:124]
	v_add_f64 v[15:16], v[15:16], v[45:46]
	v_add_f64 v[13:14], v[13:14], v[23:24]
	s_clause 0x4
	buffer_load_dword v24, off, s[0:3], 0 offset:716
	buffer_load_dword v45, off, s[0:3], 0 offset:728
	buffer_load_dword v109, off, s[0:3], 0 offset:720
	buffer_load_dword v23, off, s[0:3], 0 offset:712
	buffer_load_dword v118, off, s[0:3], 0 offset:692
	ds_read_b128 v[1:4], v72 offset:1408
	s_waitcnt vmcnt(57) lgkmcnt(1)
	v_mul_f64 v[123:124], v[5:6], v[35:36]
	v_mul_f64 v[35:36], v[7:8], v[35:36]
	s_waitcnt vmcnt(56)
	v_fma_f64 v[51:52], v[9:10], v[53:54], -v[51:52]
	v_add_f64 v[15:16], v[15:16], v[29:30]
	v_fma_f64 v[29:30], v[11:12], v[53:54], v[103:104]
	v_add_f64 v[13:14], v[13:14], v[41:42]
	s_clause 0x2
	buffer_load_dword v46, off, s[0:3], 0 offset:732
	buffer_load_dword v42, off, s[0:3], 0 offset:708
	buffer_load_dword v41, off, s[0:3], 0 offset:704
	ds_read_b128 v[9:12], v72 offset:1424
	s_waitcnt vmcnt(58) lgkmcnt(1)
	v_mul_f64 v[53:54], v[1:2], v[59:60]
	v_mul_f64 v[59:60], v[3:4], v[59:60]
	s_waitcnt vmcnt(56)
	v_fma_f64 v[35:36], v[5:6], v[39:40], -v[35:36]
	v_fma_f64 v[39:40], v[7:8], v[39:40], v[123:124]
	v_add_f64 v[15:16], v[15:16], v[51:52]
	v_add_f64 v[13:14], v[13:14], v[29:30]
	s_clause 0x4
	buffer_load_dword v30, off, s[0:3], 0 offset:748
	buffer_load_dword v51, off, s[0:3], 0 offset:760
	buffer_load_dword v103, off, s[0:3], 0 offset:752
	buffer_load_dword v29, off, s[0:3], 0 offset:744
	buffer_load_dword v110, off, s[0:3], 0 offset:724
	ds_read_b128 v[5:8], v72 offset:1440
	s_waitcnt vmcnt(57) lgkmcnt(1)
	v_mul_f64 v[123:124], v[9:10], v[43:44]
	v_mul_f64 v[43:44], v[11:12], v[43:44]
	s_waitcnt vmcnt(56)
	v_fma_f64 v[59:60], v[1:2], v[61:62], -v[59:60]
	v_add_f64 v[15:16], v[15:16], v[35:36]
	v_fma_f64 v[35:36], v[3:4], v[61:62], v[53:54]
	v_add_f64 v[13:14], v[13:14], v[39:40]
	s_clause 0x2
	buffer_load_dword v52, off, s[0:3], 0 offset:764
	buffer_load_dword v40, off, s[0:3], 0 offset:740
	buffer_load_dword v39, off, s[0:3], 0 offset:736
	ds_read_b128 v[1:4], v72 offset:1456
	s_waitcnt vmcnt(58) lgkmcnt(1)
	v_mul_f64 v[61:62], v[7:8], v[95:96]
	v_mul_f64 v[53:54], v[5:6], v[95:96]
	;; [unrolled: 28-line block ×4, first 2 shown]
	s_waitcnt vmcnt(56)
	v_fma_f64 v[57:58], v[5:6], v[93:94], -v[57:58]
	v_add_f64 v[15:16], v[15:16], v[55:56]
	v_fma_f64 v[55:56], v[7:8], v[93:94], v[123:124]
	v_add_f64 v[13:14], v[13:14], v[49:50]
	s_clause 0x4
	buffer_load_dword v50, off, s[0:3], 0 offset:844
	buffer_load_dword v93, off, s[0:3], 0 offset:856
	;; [unrolled: 1-line block ×5, first 2 shown]
	ds_read_b128 v[5:8], v72 offset:1536
	s_waitcnt vmcnt(57) lgkmcnt(1)
	v_mul_f64 v[123:124], v[9:10], v[21:22]
	v_mul_f64 v[21:22], v[11:12], v[21:22]
	s_waitcnt vmcnt(56)
	v_fma_f64 v[105:106], v[1:2], v[115:116], -v[105:106]
	v_fma_f64 v[53:54], v[3:4], v[115:116], v[53:54]
	v_add_f64 v[15:16], v[15:16], v[57:58]
	v_add_f64 v[13:14], v[13:14], v[55:56]
	s_clause 0x2
	buffer_load_dword v94, off, s[0:3], 0 offset:860
	buffer_load_dword v56, off, s[0:3], 0 offset:836
	;; [unrolled: 1-line block ×3, first 2 shown]
	ds_read_b128 v[1:4], v72 offset:1552
	s_waitcnt vmcnt(58) lgkmcnt(1)
	v_mul_f64 v[57:58], v[5:6], v[113:114]
	v_mul_f64 v[113:114], v[7:8], v[113:114]
	s_waitcnt vmcnt(56)
	v_fma_f64 v[21:22], v[9:10], v[27:28], -v[21:22]
	v_fma_f64 v[27:28], v[11:12], v[27:28], v[123:124]
	v_add_f64 v[15:16], v[15:16], v[105:106]
	v_add_f64 v[13:14], v[13:14], v[53:54]
	s_clause 0x4
	buffer_load_dword v54, off, s[0:3], 0 offset:876
	buffer_load_dword v105, off, s[0:3], 0 offset:888
	;; [unrolled: 1-line block ×5, first 2 shown]
	ds_read_b128 v[9:12], v72 offset:1568
	s_waitcnt vmcnt(57) lgkmcnt(1)
	v_mul_f64 v[123:124], v[1:2], v[33:34]
	v_mul_f64 v[33:34], v[3:4], v[33:34]
	s_waitcnt vmcnt(56)
	v_fma_f64 v[113:114], v[5:6], v[119:120], -v[113:114]
	v_add_f64 v[15:16], v[15:16], v[21:22]
	v_fma_f64 v[21:22], v[7:8], v[119:120], v[57:58]
	v_add_f64 v[13:14], v[13:14], v[27:28]
	s_clause 0x2
	buffer_load_dword v106, off, s[0:3], 0 offset:892
	buffer_load_dword v28, off, s[0:3], 0 offset:868
	;; [unrolled: 1-line block ×3, first 2 shown]
	ds_read_b128 v[5:8], v72 offset:1584
	s_waitcnt vmcnt(58) lgkmcnt(1)
	v_mul_f64 v[57:58], v[9:10], v[107:108]
	v_mul_f64 v[107:108], v[11:12], v[107:108]
	s_waitcnt vmcnt(56)
	v_fma_f64 v[33:34], v[1:2], v[25:26], -v[33:34]
	v_fma_f64 v[25:26], v[3:4], v[25:26], v[123:124]
	v_add_f64 v[15:16], v[15:16], v[113:114]
	v_add_f64 v[13:14], v[13:14], v[21:22]
	s_clause 0x4
	buffer_load_dword v22, off, s[0:3], 0 offset:908
	buffer_load_dword v113, off, s[0:3], 0 offset:920
	buffer_load_dword v119, off, s[0:3], 0 offset:912
	buffer_load_dword v21, off, s[0:3], 0 offset:904
	buffer_load_dword v116, off, s[0:3], 0 offset:884
	ds_read_b128 v[1:4], v72 offset:1600
	s_waitcnt vmcnt(57) lgkmcnt(1)
	v_mul_f64 v[123:124], v[5:6], v[19:20]
	v_mul_f64 v[19:20], v[7:8], v[19:20]
	s_waitcnt vmcnt(56)
	v_fma_f64 v[107:108], v[9:10], v[121:122], -v[107:108]
	v_add_f64 v[15:16], v[15:16], v[33:34]
	v_fma_f64 v[33:34], v[11:12], v[121:122], v[57:58]
	v_add_f64 v[13:14], v[13:14], v[25:26]
	s_clause 0x2
	buffer_load_dword v114, off, s[0:3], 0 offset:924
	buffer_load_dword v26, off, s[0:3], 0 offset:900
	;; [unrolled: 1-line block ×3, first 2 shown]
	ds_read_b128 v[9:12], v72 offset:1616
	s_waitcnt vmcnt(58) lgkmcnt(1)
	v_mul_f64 v[57:58], v[1:2], v[37:38]
	v_mul_f64 v[37:38], v[3:4], v[37:38]
	s_waitcnt vmcnt(56)
	v_fma_f64 v[19:20], v[5:6], v[31:32], -v[19:20]
	v_fma_f64 v[31:32], v[7:8], v[31:32], v[123:124]
	v_add_f64 v[15:16], v[15:16], v[107:108]
	v_add_f64 v[13:14], v[13:14], v[33:34]
	s_clause 0x2
	buffer_load_dword v34, off, s[0:3], 0 offset:940
	buffer_load_dword v33, off, s[0:3], 0 offset:936
	;; [unrolled: 1-line block ×3, first 2 shown]
	ds_read_b128 v[5:8], v72 offset:1632
	s_waitcnt vmcnt(55) lgkmcnt(1)
	v_mul_f64 v[107:108], v[9:10], v[23:24]
	v_mul_f64 v[23:24], v[11:12], v[23:24]
	s_waitcnt vmcnt(54)
	v_fma_f64 v[37:38], v[1:2], v[117:118], -v[37:38]
	v_add_f64 v[15:16], v[15:16], v[19:20]
	v_fma_f64 v[19:20], v[3:4], v[117:118], v[57:58]
	v_add_f64 v[13:14], v[13:14], v[31:32]
	s_clause 0x1
	buffer_load_dword v32, off, s[0:3], 0 offset:932
	buffer_load_dword v31, off, s[0:3], 0 offset:928
	ds_read_b128 v[1:4], v72 offset:1648
	s_waitcnt vmcnt(55) lgkmcnt(1)
	v_mul_f64 v[57:58], v[5:6], v[45:46]
	v_mul_f64 v[45:46], v[7:8], v[45:46]
	s_waitcnt vmcnt(53)
	v_fma_f64 v[23:24], v[9:10], v[41:42], -v[23:24]
	v_add_f64 v[15:16], v[15:16], v[37:38]
	v_fma_f64 v[37:38], v[11:12], v[41:42], v[107:108]
	v_add_f64 v[13:14], v[13:14], v[19:20]
	ds_read_b128 v[9:12], v72 offset:1664
	s_waitcnt vmcnt(49) lgkmcnt(1)
	v_mul_f64 v[19:20], v[1:2], v[29:30]
	v_mul_f64 v[29:30], v[3:4], v[29:30]
	s_waitcnt vmcnt(48)
	v_fma_f64 v[41:42], v[5:6], v[109:110], -v[45:46]
	v_add_f64 v[15:16], v[15:16], v[23:24]
	v_fma_f64 v[23:24], v[7:8], v[109:110], v[57:58]
	v_add_f64 v[13:14], v[13:14], v[37:38]
	s_clause 0x3
	buffer_load_dword v37, off, s[0:3], 0 offset:32
	buffer_load_dword v38, off, s[0:3], 0 offset:36
	;; [unrolled: 1-line block ×4, first 2 shown]
	ds_read_b128 v[5:8], v72 offset:1680
	s_waitcnt vmcnt(51) lgkmcnt(1)
	v_mul_f64 v[57:58], v[9:10], v[51:52]
	v_mul_f64 v[51:52], v[11:12], v[51:52]
	s_waitcnt vmcnt(49)
	v_fma_f64 v[29:30], v[1:2], v[39:40], -v[29:30]
	v_fma_f64 v[19:20], v[3:4], v[39:40], v[19:20]
	ds_read_b128 v[1:4], v72 offset:1696
	v_add_f64 v[15:16], v[15:16], v[41:42]
	v_add_f64 v[13:14], v[13:14], v[23:24]
	s_waitcnt vmcnt(45) lgkmcnt(1)
	v_mul_f64 v[23:24], v[5:6], v[35:36]
	v_mul_f64 v[35:36], v[7:8], v[35:36]
	s_waitcnt vmcnt(44)
	v_fma_f64 v[39:40], v[9:10], v[103:104], -v[51:52]
	v_add_f64 v[15:16], v[15:16], v[29:30]
	v_fma_f64 v[29:30], v[11:12], v[103:104], v[57:58]
	v_add_f64 v[13:14], v[13:14], v[19:20]
	ds_read_b128 v[9:12], v72 offset:1712
	s_waitcnt vmcnt(43) lgkmcnt(1)
	v_mul_f64 v[41:42], v[3:4], v[59:60]
	v_mul_f64 v[19:20], v[1:2], v[59:60]
	s_waitcnt vmcnt(41)
	v_fma_f64 v[35:36], v[5:6], v[47:48], -v[35:36]
	v_fma_f64 v[23:24], v[7:8], v[47:48], v[23:24]
	ds_read_b128 v[5:8], v72 offset:1728
	v_add_f64 v[15:16], v[15:16], v[39:40]
	v_add_f64 v[13:14], v[13:14], v[29:30]
	s_waitcnt vmcnt(37) lgkmcnt(1)
	v_mul_f64 v[39:40], v[11:12], v[43:44]
	s_waitcnt vmcnt(36)
	v_fma_f64 v[41:42], v[1:2], v[95:96], -v[41:42]
	v_mul_f64 v[29:30], v[9:10], v[43:44]
	v_fma_f64 v[19:20], v[3:4], v[95:96], v[19:20]
	ds_read_b128 v[1:4], v72 offset:1744
	v_add_f64 v[15:16], v[15:16], v[35:36]
	v_add_f64 v[13:14], v[13:14], v[23:24]
	s_waitcnt vmcnt(35) lgkmcnt(1)
	v_mul_f64 v[35:36], v[7:8], v[61:62]
	v_mul_f64 v[23:24], v[5:6], v[61:62]
	s_waitcnt vmcnt(33)
	v_fma_f64 v[39:40], v[9:10], v[17:18], -v[39:40]
	v_fma_f64 v[17:18], v[11:12], v[17:18], v[29:30]
	ds_read_b128 v[9:12], v72 offset:1760
	v_add_f64 v[15:16], v[15:16], v[41:42]
	v_add_f64 v[13:14], v[13:14], v[19:20]
	s_waitcnt vmcnt(29) lgkmcnt(1)
	v_mul_f64 v[29:30], v[3:4], v[49:50]
	s_waitcnt vmcnt(28)
	v_fma_f64 v[35:36], v[5:6], v[101:102], -v[35:36]
	v_mul_f64 v[19:20], v[1:2], v[49:50]
	v_fma_f64 v[23:24], v[7:8], v[101:102], v[23:24]
	ds_read_b128 v[5:8], v72 offset:1776
	v_add_f64 v[15:16], v[15:16], v[39:40]
	v_add_f64 v[13:14], v[13:14], v[17:18]
	;; [unrolled: 18-line block ×3, first 2 shown]
	s_waitcnt vmcnt(19) lgkmcnt(1)
	v_mul_f64 v[29:30], v[3:4], v[105:106]
	v_mul_f64 v[19:20], v[1:2], v[105:106]
	s_waitcnt vmcnt(17)
	v_fma_f64 v[35:36], v[5:6], v[27:28], -v[35:36]
	v_fma_f64 v[23:24], v[7:8], v[27:28], v[23:24]
	ds_read_b128 v[5:8], v72 offset:1824
	v_add_f64 v[15:16], v[15:16], v[39:40]
	v_add_f64 v[13:14], v[13:14], v[17:18]
	s_waitcnt vmcnt(13) lgkmcnt(1)
	v_mul_f64 v[17:18], v[9:10], v[21:22]
	v_mul_f64 v[21:22], v[11:12], v[21:22]
	s_waitcnt vmcnt(12)
	v_fma_f64 v[27:28], v[1:2], v[115:116], -v[29:30]
	v_fma_f64 v[19:20], v[3:4], v[115:116], v[19:20]
	ds_read_b128 v[1:4], v72 offset:1840
	v_add_f64 v[15:16], v[15:16], v[35:36]
	v_add_f64 v[13:14], v[13:14], v[23:24]
	s_waitcnt vmcnt(11) lgkmcnt(1)
	v_mul_f64 v[29:30], v[7:8], v[113:114]
	v_mul_f64 v[23:24], v[5:6], v[113:114]
	s_waitcnt vmcnt(9)
	v_fma_f64 v[9:10], v[9:10], v[25:26], -v[21:22]
	v_fma_f64 v[11:12], v[11:12], v[25:26], v[17:18]
	v_add_f64 v[15:16], v[15:16], v[27:28]
	v_add_f64 v[13:14], v[13:14], v[19:20]
	s_waitcnt vmcnt(7) lgkmcnt(0)
	v_mul_f64 v[19:20], v[3:4], v[33:34]
	s_waitcnt vmcnt(6)
	v_fma_f64 v[5:6], v[5:6], v[119:120], -v[29:30]
	v_mul_f64 v[17:18], v[1:2], v[33:34]
	v_fma_f64 v[7:8], v[7:8], v[119:120], v[23:24]
	v_add_f64 v[9:10], v[15:16], v[9:10]
	v_add_f64 v[11:12], v[13:14], v[11:12]
	s_waitcnt vmcnt(4)
	v_fma_f64 v[1:2], v[1:2], v[31:32], -v[19:20]
	v_fma_f64 v[3:4], v[3:4], v[31:32], v[17:18]
	v_add_f64 v[5:6], v[9:10], v[5:6]
	v_add_f64 v[7:8], v[11:12], v[7:8]
	;; [unrolled: 1-line block ×4, first 2 shown]
	s_waitcnt vmcnt(2)
	v_add_f64 v[1:2], v[37:38], -v[1:2]
	s_waitcnt vmcnt(0)
	v_add_f64 v[3:4], v[45:46], -v[3:4]
	buffer_store_dword v2, off, s[0:3], 0 offset:36
	buffer_store_dword v1, off, s[0:3], 0 offset:32
	;; [unrolled: 1-line block ×4, first 2 shown]
	v_cmpx_ne_u32_e32 0, v0
	s_cbranch_execz .LBB57_361
; %bb.360:
	s_clause 0x3
	buffer_load_dword v0, off, s[0:3], 0 offset:16
	buffer_load_dword v1, off, s[0:3], 0 offset:20
	;; [unrolled: 1-line block ×4, first 2 shown]
	v_mov_b32_e32 v4, 0
	buffer_store_dword v4, off, s[0:3], 0 offset:16
	buffer_store_dword v4, off, s[0:3], 0 offset:20
	;; [unrolled: 1-line block ×4, first 2 shown]
	s_waitcnt vmcnt(0)
	ds_write_b128 v63, v[0:3]
.LBB57_361:
	s_or_b32 exec_lo, exec_lo, s4
	s_waitcnt lgkmcnt(0)
	s_waitcnt_vscnt null, 0x0
	s_barrier
	buffer_gl0_inv
	s_clause 0x37
	buffer_load_dword v16, off, s[0:3], 0 offset:40
	buffer_load_dword v17, off, s[0:3], 0 offset:44
	;; [unrolled: 1-line block ×56, first 2 shown]
	v_mov_b32_e32 v72, 0
	v_mov_b32_e32 v73, v235
	;; [unrolled: 1-line block ×5, first 2 shown]
	ds_read_b128 v[4:7], v72 offset:944
	s_clause 0x2
	buffer_load_dword v94, off, s[0:3], 0 offset:268
	buffer_load_dword v96, off, s[0:3], 0 offset:244
	;; [unrolled: 1-line block ×3, first 2 shown]
	ds_read_b128 v[0:3], v72 offset:960
	s_clause 0x4
	buffer_load_dword v108, off, s[0:3], 0 offset:284
	buffer_load_dword v109, off, s[0:3], 0 offset:296
	;; [unrolled: 1-line block ×5, first 2 shown]
	ds_read_b128 v[101:104], v72 offset:976
	v_mov_b32_e32 v237, v231
	v_mov_b32_e32 v236, v230
	;; [unrolled: 1-line block ×50, first 2 shown]
	s_and_b32 vcc_lo, exec_lo, s70
	s_waitcnt vmcnt(62) lgkmcnt(2)
	v_mul_f64 v[105:106], v[6:7], v[16:17]
	v_mul_f64 v[16:17], v[4:5], v[16:17]
	s_waitcnt vmcnt(60) lgkmcnt(1)
	v_mul_f64 v[112:113], v[2:3], v[12:13]
	v_mul_f64 v[12:13], v[0:1], v[12:13]
	s_waitcnt vmcnt(56) lgkmcnt(0)
	v_mul_f64 v[114:115], v[101:102], v[10:11]
	v_mul_f64 v[10:11], v[103:104], v[10:11]
	v_fma_f64 v[105:106], v[4:5], v[14:15], -v[105:106]
	v_fma_f64 v[14:15], v[6:7], v[14:15], v[16:17]
	s_clause 0x2
	buffer_load_dword v110, off, s[0:3], 0 offset:300
	buffer_load_dword v17, off, s[0:3], 0 offset:276
	;; [unrolled: 1-line block ×3, first 2 shown]
	s_waitcnt vmcnt(57)
	v_fma_f64 v[116:117], v[0:1], v[8:9], -v[112:113]
	ds_read_b128 v[4:7], v72 offset:992
	v_fma_f64 v[8:9], v[2:3], v[8:9], v[12:13]
	s_waitcnt vmcnt(51)
	v_fma_f64 v[101:102], v[101:102], v[32:33], -v[10:11]
	v_fma_f64 v[32:33], v[103:104], v[32:33], v[114:115]
	v_add_f64 v[105:106], v[105:106], 0
	v_add_f64 v[12:13], v[14:15], 0
	s_clause 0x4
	buffer_load_dword v15, off, s[0:3], 0 offset:316
	buffer_load_dword v113, off, s[0:3], 0 offset:328
	;; [unrolled: 1-line block ×5, first 2 shown]
	s_waitcnt lgkmcnt(0)
	v_mul_f64 v[119:120], v[4:5], v[20:21]
	v_mul_f64 v[20:21], v[6:7], v[20:21]
	ds_read_b128 v[0:3], v72 offset:1008
	s_clause 0x2
	buffer_load_dword v114, off, s[0:3], 0 offset:332
	buffer_load_dword v104, off, s[0:3], 0 offset:308
	;; [unrolled: 1-line block ×3, first 2 shown]
	v_add_f64 v[105:106], v[105:106], v[116:117]
	v_add_f64 v[12:13], v[12:13], v[8:9]
	ds_read_b128 v[8:11], v72 offset:1024
	s_waitcnt vmcnt(58) lgkmcnt(1)
	v_mul_f64 v[115:116], v[0:1], v[24:25]
	v_mul_f64 v[24:25], v[2:3], v[24:25]
	s_waitcnt vmcnt(56)
	v_fma_f64 v[20:21], v[4:5], v[26:27], -v[20:21]
	v_fma_f64 v[26:27], v[6:7], v[26:27], v[119:120]
	s_waitcnt vmcnt(52) lgkmcnt(0)
	v_mul_f64 v[121:122], v[8:9], v[28:29]
	v_add_f64 v[101:102], v[105:106], v[101:102]
	v_add_f64 v[12:13], v[12:13], v[32:33]
	s_clause 0x4
	buffer_load_dword v33, off, s[0:3], 0 offset:348
	buffer_load_dword v105, off, s[0:3], 0 offset:360
	;; [unrolled: 1-line block ×5, first 2 shown]
	v_mul_f64 v[28:29], v[10:11], v[28:29]
	s_waitcnt vmcnt(56)
	v_fma_f64 v[24:25], v[0:1], v[18:19], -v[24:25]
	ds_read_b128 v[4:7], v72 offset:1040
	v_fma_f64 v[18:19], v[2:3], v[18:19], v[115:116]
	v_add_f64 v[20:21], v[101:102], v[20:21]
	v_add_f64 v[12:13], v[12:13], v[26:27]
	s_clause 0x2
	buffer_load_dword v106, off, s[0:3], 0 offset:364
	buffer_load_dword v27, off, s[0:3], 0 offset:340
	;; [unrolled: 1-line block ×3, first 2 shown]
	s_waitcnt vmcnt(58) lgkmcnt(0)
	v_mul_f64 v[101:102], v[4:5], v[34:35]
	v_mul_f64 v[34:35], v[6:7], v[34:35]
	s_waitcnt vmcnt(56)
	v_fma_f64 v[28:29], v[8:9], v[36:37], -v[28:29]
	ds_read_b128 v[0:3], v72 offset:1056
	v_add_f64 v[20:21], v[20:21], v[24:25]
	v_fma_f64 v[24:25], v[10:11], v[36:37], v[121:122]
	v_add_f64 v[12:13], v[12:13], v[18:19]
	s_clause 0x4
	buffer_load_dword v19, off, s[0:3], 0 offset:380
	buffer_load_dword v36, off, s[0:3], 0 offset:392
	;; [unrolled: 1-line block ×5, first 2 shown]
	s_waitcnt vmcnt(57) lgkmcnt(0)
	v_mul_f64 v[116:117], v[0:1], v[38:39]
	v_mul_f64 v[38:39], v[2:3], v[38:39]
	s_waitcnt vmcnt(56)
	v_fma_f64 v[34:35], v[4:5], v[22:23], -v[34:35]
	ds_read_b128 v[8:11], v72 offset:1072
	v_fma_f64 v[22:23], v[6:7], v[22:23], v[101:102]
	v_add_f64 v[20:21], v[20:21], v[28:29]
	v_add_f64 v[12:13], v[12:13], v[24:25]
	s_clause 0x2
	buffer_load_dword v37, off, s[0:3], 0 offset:396
	buffer_load_dword v25, off, s[0:3], 0 offset:372
	;; [unrolled: 1-line block ×3, first 2 shown]
	ds_read_b128 v[4:7], v72 offset:1088
	s_waitcnt vmcnt(58) lgkmcnt(1)
	v_mul_f64 v[28:29], v[8:9], v[42:43]
	v_mul_f64 v[42:43], v[10:11], v[42:43]
	s_waitcnt vmcnt(56)
	v_fma_f64 v[38:39], v[0:1], v[44:45], -v[38:39]
	v_add_f64 v[20:21], v[20:21], v[34:35]
	v_fma_f64 v[34:35], v[2:3], v[44:45], v[116:117]
	v_add_f64 v[12:13], v[12:13], v[22:23]
	s_clause 0x4
	buffer_load_dword v23, off, s[0:3], 0 offset:412
	buffer_load_dword v44, off, s[0:3], 0 offset:424
	;; [unrolled: 1-line block ×5, first 2 shown]
	s_waitcnt vmcnt(57) lgkmcnt(0)
	v_mul_f64 v[122:123], v[4:5], v[46:47]
	v_mul_f64 v[46:47], v[6:7], v[46:47]
	s_waitcnt vmcnt(56)
	v_fma_f64 v[42:43], v[8:9], v[30:31], -v[42:43]
	ds_read_b128 v[0:3], v72 offset:1104
	v_fma_f64 v[28:29], v[10:11], v[30:31], v[28:29]
	s_clause 0x2
	buffer_load_dword v45, off, s[0:3], 0 offset:428
	buffer_load_dword v31, off, s[0:3], 0 offset:404
	;; [unrolled: 1-line block ×3, first 2 shown]
	ds_read_b128 v[8:11], v72 offset:1120
	v_add_f64 v[20:21], v[20:21], v[38:39]
	v_add_f64 v[12:13], v[12:13], v[34:35]
	s_waitcnt vmcnt(58) lgkmcnt(1)
	v_mul_f64 v[38:39], v[2:3], v[50:51]
	s_waitcnt vmcnt(56)
	v_fma_f64 v[46:47], v[4:5], v[52:53], -v[46:47]
	v_mul_f64 v[34:35], v[0:1], v[50:51]
	v_add_f64 v[20:21], v[20:21], v[42:43]
	v_fma_f64 v[42:43], v[6:7], v[52:53], v[122:123]
	v_add_f64 v[12:13], v[12:13], v[28:29]
	s_clause 0x4
	buffer_load_dword v29, off, s[0:3], 0 offset:444
	buffer_load_dword v50, off, s[0:3], 0 offset:456
	;; [unrolled: 1-line block ×5, first 2 shown]
	s_waitcnt vmcnt(57) lgkmcnt(0)
	v_mul_f64 v[122:123], v[8:9], v[54:55]
	v_mul_f64 v[53:54], v[10:11], v[54:55]
	s_waitcnt vmcnt(56)
	v_fma_f64 v[38:39], v[0:1], v[40:41], -v[38:39]
	ds_read_b128 v[4:7], v72 offset:1136
	v_fma_f64 v[34:35], v[2:3], v[40:41], v[34:35]
	s_clause 0x2
	buffer_load_dword v51, off, s[0:3], 0 offset:460
	buffer_load_dword v41, off, s[0:3], 0 offset:436
	;; [unrolled: 1-line block ×3, first 2 shown]
	ds_read_b128 v[0:3], v72 offset:1152
	v_add_f64 v[20:21], v[20:21], v[46:47]
	v_add_f64 v[12:13], v[12:13], v[42:43]
	s_waitcnt vmcnt(58) lgkmcnt(1)
	v_mul_f64 v[46:47], v[6:7], v[58:59]
	s_waitcnt vmcnt(56)
	v_fma_f64 v[54:55], v[8:9], v[60:61], -v[53:54]
	v_mul_f64 v[42:43], v[4:5], v[58:59]
	v_add_f64 v[20:21], v[20:21], v[38:39]
	v_fma_f64 v[38:39], v[10:11], v[60:61], v[122:123]
	v_add_f64 v[12:13], v[12:13], v[34:35]
	s_clause 0x4
	buffer_load_dword v35, off, s[0:3], 0 offset:476
	buffer_load_dword v58, off, s[0:3], 0 offset:488
	;; [unrolled: 1-line block ×5, first 2 shown]
	s_waitcnt vmcnt(57) lgkmcnt(0)
	v_mul_f64 v[122:123], v[0:1], v[62:63]
	v_mul_f64 v[61:62], v[2:3], v[62:63]
	s_waitcnt vmcnt(56)
	v_fma_f64 v[46:47], v[4:5], v[48:49], -v[46:47]
	ds_read_b128 v[8:11], v72 offset:1168
	v_fma_f64 v[42:43], v[6:7], v[48:49], v[42:43]
	v_add_f64 v[20:21], v[20:21], v[54:55]
	v_add_f64 v[12:13], v[12:13], v[38:39]
	s_clause 0x2
	buffer_load_dword v59, off, s[0:3], 0 offset:492
	buffer_load_dword v39, off, s[0:3], 0 offset:468
	;; [unrolled: 1-line block ×3, first 2 shown]
	ds_read_b128 v[4:7], v72 offset:1184
	s_waitcnt vmcnt(58) lgkmcnt(1)
	v_mul_f64 v[54:55], v[10:11], v[93:94]
	s_waitcnt vmcnt(56)
	v_fma_f64 v[62:63], v[0:1], v[95:96], -v[61:62]
	v_mul_f64 v[48:49], v[8:9], v[93:94]
	v_add_f64 v[20:21], v[20:21], v[46:47]
	v_fma_f64 v[46:47], v[2:3], v[95:96], v[122:123]
	v_add_f64 v[12:13], v[12:13], v[42:43]
	s_clause 0x4
	buffer_load_dword v43, off, s[0:3], 0 offset:508
	buffer_load_dword v93, off, s[0:3], 0 offset:520
	;; [unrolled: 1-line block ×5, first 2 shown]
	s_waitcnt vmcnt(57) lgkmcnt(0)
	v_mul_f64 v[122:123], v[4:5], v[107:108]
	v_mul_f64 v[107:108], v[6:7], v[107:108]
	s_waitcnt vmcnt(56)
	v_fma_f64 v[54:55], v[8:9], v[56:57], -v[54:55]
	ds_read_b128 v[0:3], v72 offset:1200
	v_fma_f64 v[48:49], v[10:11], v[56:57], v[48:49]
	v_add_f64 v[20:21], v[20:21], v[62:63]
	v_add_f64 v[12:13], v[12:13], v[46:47]
	s_clause 0x2
	buffer_load_dword v94, off, s[0:3], 0 offset:524
	buffer_load_dword v47, off, s[0:3], 0 offset:500
	;; [unrolled: 1-line block ×3, first 2 shown]
	ds_read_b128 v[8:11], v72 offset:1216
	s_waitcnt vmcnt(58) lgkmcnt(1)
	v_mul_f64 v[62:63], v[2:3], v[109:110]
	v_mul_f64 v[56:57], v[0:1], v[109:110]
	s_waitcnt vmcnt(56)
	v_fma_f64 v[107:108], v[4:5], v[16:17], -v[107:108]
	v_fma_f64 v[16:17], v[6:7], v[16:17], v[122:123]
	v_add_f64 v[20:21], v[20:21], v[54:55]
	v_add_f64 v[12:13], v[12:13], v[48:49]
	s_clause 0x4
	buffer_load_dword v49, off, s[0:3], 0 offset:540
	buffer_load_dword v54, off, s[0:3], 0 offset:552
	;; [unrolled: 1-line block ×5, first 2 shown]
	ds_read_b128 v[4:7], v72 offset:1232
	s_waitcnt vmcnt(57) lgkmcnt(1)
	v_mul_f64 v[122:123], v[8:9], v[14:15]
	v_mul_f64 v[14:15], v[10:11], v[14:15]
	s_waitcnt vmcnt(56)
	v_fma_f64 v[62:63], v[0:1], v[111:112], -v[62:63]
	v_fma_f64 v[56:57], v[2:3], v[111:112], v[56:57]
	v_add_f64 v[20:21], v[20:21], v[107:108]
	v_add_f64 v[12:13], v[12:13], v[16:17]
	s_clause 0x2
	buffer_load_dword v55, off, s[0:3], 0 offset:556
	buffer_load_dword v17, off, s[0:3], 0 offset:532
	;; [unrolled: 1-line block ×3, first 2 shown]
	s_waitcnt vmcnt(58) lgkmcnt(0)
	v_mul_f64 v[111:112], v[6:7], v[113:114]
	ds_read_b128 v[0:3], v72 offset:1248
	v_mul_f64 v[107:108], v[4:5], v[113:114]
	s_waitcnt vmcnt(56)
	v_fma_f64 v[14:15], v[8:9], v[103:104], -v[14:15]
	v_add_f64 v[20:21], v[20:21], v[62:63]
	v_fma_f64 v[62:63], v[10:11], v[103:104], v[122:123]
	v_add_f64 v[12:13], v[12:13], v[56:57]
	s_clause 0x4
	buffer_load_dword v57, off, s[0:3], 0 offset:572
	buffer_load_dword v103, off, s[0:3], 0 offset:584
	;; [unrolled: 1-line block ×5, first 2 shown]
	ds_read_b128 v[8:11], v72 offset:1264
	s_waitcnt vmcnt(57) lgkmcnt(1)
	v_mul_f64 v[122:123], v[0:1], v[32:33]
	v_mul_f64 v[32:33], v[2:3], v[32:33]
	s_waitcnt vmcnt(56)
	v_fma_f64 v[111:112], v[4:5], v[118:119], -v[111:112]
	v_add_f64 v[14:15], v[20:21], v[14:15]
	v_fma_f64 v[20:21], v[6:7], v[118:119], v[107:108]
	v_add_f64 v[12:13], v[12:13], v[62:63]
	s_clause 0x2
	buffer_load_dword v104, off, s[0:3], 0 offset:588
	buffer_load_dword v63, off, s[0:3], 0 offset:564
	;; [unrolled: 1-line block ×3, first 2 shown]
	ds_read_b128 v[4:7], v72 offset:1280
	s_waitcnt vmcnt(58) lgkmcnt(1)
	v_mul_f64 v[107:108], v[8:9], v[105:106]
	v_mul_f64 v[105:106], v[10:11], v[105:106]
	s_waitcnt vmcnt(56)
	v_fma_f64 v[32:33], v[0:1], v[26:27], -v[32:33]
	v_fma_f64 v[26:27], v[2:3], v[26:27], v[122:123]
	v_add_f64 v[14:15], v[14:15], v[111:112]
	v_add_f64 v[12:13], v[12:13], v[20:21]
	s_clause 0x4
	buffer_load_dword v21, off, s[0:3], 0 offset:604
	buffer_load_dword v111, off, s[0:3], 0 offset:616
	;; [unrolled: 1-line block ×5, first 2 shown]
	ds_read_b128 v[0:3], v72 offset:1296
	s_waitcnt vmcnt(57) lgkmcnt(1)
	v_mul_f64 v[118:119], v[4:5], v[18:19]
	v_mul_f64 v[18:19], v[6:7], v[18:19]
	s_waitcnt vmcnt(56)
	v_fma_f64 v[105:106], v[8:9], v[120:121], -v[105:106]
	v_add_f64 v[14:15], v[14:15], v[32:33]
	v_fma_f64 v[32:33], v[10:11], v[120:121], v[107:108]
	v_add_f64 v[12:13], v[12:13], v[26:27]
	s_clause 0x2
	buffer_load_dword v112, off, s[0:3], 0 offset:620
	buffer_load_dword v27, off, s[0:3], 0 offset:596
	;; [unrolled: 1-line block ×3, first 2 shown]
	ds_read_b128 v[8:11], v72 offset:1312
	s_waitcnt vmcnt(58) lgkmcnt(1)
	v_mul_f64 v[107:108], v[0:1], v[36:37]
	v_mul_f64 v[36:37], v[2:3], v[36:37]
	s_waitcnt vmcnt(56)
	v_fma_f64 v[18:19], v[4:5], v[24:25], -v[18:19]
	v_fma_f64 v[24:25], v[6:7], v[24:25], v[118:119]
	v_add_f64 v[14:15], v[14:15], v[105:106]
	v_add_f64 v[12:13], v[12:13], v[32:33]
	s_clause 0x4
	buffer_load_dword v33, off, s[0:3], 0 offset:636
	buffer_load_dword v105, off, s[0:3], 0 offset:648
	buffer_load_dword v119, off, s[0:3], 0 offset:640
	buffer_load_dword v32, off, s[0:3], 0 offset:632
	buffer_load_dword v118, off, s[0:3], 0 offset:612
	ds_read_b128 v[4:7], v72 offset:1328
	s_waitcnt vmcnt(57) lgkmcnt(1)
	v_mul_f64 v[120:121], v[8:9], v[22:23]
	v_mul_f64 v[22:23], v[10:11], v[22:23]
	s_waitcnt vmcnt(56)
	v_fma_f64 v[36:37], v[0:1], v[115:116], -v[36:37]
	v_add_f64 v[14:15], v[14:15], v[18:19]
	v_fma_f64 v[18:19], v[2:3], v[115:116], v[107:108]
	v_add_f64 v[12:13], v[12:13], v[24:25]
	s_clause 0x2
	buffer_load_dword v106, off, s[0:3], 0 offset:652
	buffer_load_dword v25, off, s[0:3], 0 offset:628
	;; [unrolled: 1-line block ×3, first 2 shown]
	s_waitcnt vmcnt(58) lgkmcnt(0)
	v_mul_f64 v[107:108], v[4:5], v[44:45]
	v_mul_f64 v[44:45], v[6:7], v[44:45]
	ds_read_b128 v[0:3], v72 offset:1344
	s_waitcnt vmcnt(56)
	v_fma_f64 v[22:23], v[8:9], v[30:31], -v[22:23]
	v_fma_f64 v[30:31], v[10:11], v[30:31], v[120:121]
	v_add_f64 v[14:15], v[14:15], v[36:37]
	v_add_f64 v[12:13], v[12:13], v[18:19]
	s_clause 0x4
	buffer_load_dword v19, off, s[0:3], 0 offset:668
	buffer_load_dword v36, off, s[0:3], 0 offset:680
	;; [unrolled: 1-line block ×5, first 2 shown]
	ds_read_b128 v[8:11], v72 offset:1360
	s_waitcnt vmcnt(57) lgkmcnt(1)
	v_mul_f64 v[121:122], v[0:1], v[28:29]
	v_mul_f64 v[28:29], v[2:3], v[28:29]
	s_waitcnt vmcnt(56)
	v_fma_f64 v[44:45], v[4:5], v[101:102], -v[44:45]
	v_add_f64 v[14:15], v[14:15], v[22:23]
	v_fma_f64 v[22:23], v[6:7], v[101:102], v[107:108]
	v_add_f64 v[12:13], v[12:13], v[30:31]
	s_clause 0x2
	buffer_load_dword v37, off, s[0:3], 0 offset:684
	buffer_load_dword v31, off, s[0:3], 0 offset:660
	;; [unrolled: 1-line block ×3, first 2 shown]
	s_waitcnt vmcnt(58) lgkmcnt(0)
	v_mul_f64 v[101:102], v[8:9], v[50:51]
	v_mul_f64 v[50:51], v[10:11], v[50:51]
	ds_read_b128 v[4:7], v72 offset:1376
	s_waitcnt vmcnt(56)
	v_fma_f64 v[28:29], v[0:1], v[40:41], -v[28:29]
	v_fma_f64 v[40:41], v[2:3], v[40:41], v[121:122]
	v_add_f64 v[14:15], v[14:15], v[44:45]
	v_add_f64 v[12:13], v[12:13], v[22:23]
	s_clause 0x4
	buffer_load_dword v23, off, s[0:3], 0 offset:700
	buffer_load_dword v44, off, s[0:3], 0 offset:712
	buffer_load_dword v107, off, s[0:3], 0 offset:704
	buffer_load_dword v22, off, s[0:3], 0 offset:696
	buffer_load_dword v116, off, s[0:3], 0 offset:676
	ds_read_b128 v[0:3], v72 offset:1392
	s_waitcnt vmcnt(57) lgkmcnt(1)
	v_mul_f64 v[121:122], v[4:5], v[34:35]
	v_mul_f64 v[34:35], v[6:7], v[34:35]
	s_waitcnt vmcnt(56)
	v_fma_f64 v[50:51], v[8:9], v[52:53], -v[50:51]
	v_add_f64 v[14:15], v[14:15], v[28:29]
	v_fma_f64 v[28:29], v[10:11], v[52:53], v[101:102]
	v_add_f64 v[12:13], v[12:13], v[40:41]
	s_clause 0x2
	buffer_load_dword v45, off, s[0:3], 0 offset:716
	buffer_load_dword v41, off, s[0:3], 0 offset:692
	buffer_load_dword v40, off, s[0:3], 0 offset:688
	ds_read_b128 v[8:11], v72 offset:1408
	s_waitcnt vmcnt(58) lgkmcnt(1)
	v_mul_f64 v[52:53], v[0:1], v[58:59]
	v_mul_f64 v[58:59], v[2:3], v[58:59]
	s_waitcnt vmcnt(56)
	v_fma_f64 v[34:35], v[4:5], v[38:39], -v[34:35]
	v_fma_f64 v[38:39], v[6:7], v[38:39], v[121:122]
	v_add_f64 v[14:15], v[14:15], v[50:51]
	v_add_f64 v[12:13], v[12:13], v[28:29]
	s_clause 0x4
	buffer_load_dword v29, off, s[0:3], 0 offset:732
	buffer_load_dword v50, off, s[0:3], 0 offset:744
	buffer_load_dword v101, off, s[0:3], 0 offset:736
	buffer_load_dword v28, off, s[0:3], 0 offset:728
	buffer_load_dword v108, off, s[0:3], 0 offset:708
	ds_read_b128 v[4:7], v72 offset:1424
	s_waitcnt vmcnt(57) lgkmcnt(1)
	v_mul_f64 v[121:122], v[8:9], v[42:43]
	v_mul_f64 v[42:43], v[10:11], v[42:43]
	s_waitcnt vmcnt(56)
	v_fma_f64 v[58:59], v[0:1], v[60:61], -v[58:59]
	v_add_f64 v[14:15], v[14:15], v[34:35]
	v_fma_f64 v[34:35], v[2:3], v[60:61], v[52:53]
	v_add_f64 v[12:13], v[12:13], v[38:39]
	s_clause 0x2
	buffer_load_dword v51, off, s[0:3], 0 offset:748
	buffer_load_dword v39, off, s[0:3], 0 offset:724
	buffer_load_dword v38, off, s[0:3], 0 offset:720
	ds_read_b128 v[0:3], v72 offset:1440
	s_waitcnt vmcnt(58) lgkmcnt(1)
	v_mul_f64 v[60:61], v[6:7], v[93:94]
	v_mul_f64 v[52:53], v[4:5], v[93:94]
	;; [unrolled: 28-line block ×4, first 2 shown]
	s_waitcnt vmcnt(56)
	v_fma_f64 v[56:57], v[4:5], v[62:63], -v[56:57]
	v_add_f64 v[14:15], v[14:15], v[54:55]
	v_fma_f64 v[54:55], v[6:7], v[62:63], v[121:122]
	v_add_f64 v[12:13], v[12:13], v[48:49]
	s_clause 0x4
	buffer_load_dword v49, off, s[0:3], 0 offset:828
	buffer_load_dword v62, off, s[0:3], 0 offset:840
	;; [unrolled: 1-line block ×5, first 2 shown]
	ds_read_b128 v[4:7], v72 offset:1520
	s_waitcnt vmcnt(57) lgkmcnt(1)
	v_mul_f64 v[121:122], v[8:9], v[20:21]
	v_mul_f64 v[20:21], v[10:11], v[20:21]
	s_waitcnt vmcnt(56)
	v_fma_f64 v[103:104], v[0:1], v[113:114], -v[103:104]
	v_fma_f64 v[52:53], v[2:3], v[113:114], v[52:53]
	v_add_f64 v[14:15], v[14:15], v[56:57]
	v_add_f64 v[12:13], v[12:13], v[54:55]
	s_clause 0x2
	buffer_load_dword v63, off, s[0:3], 0 offset:844
	buffer_load_dword v55, off, s[0:3], 0 offset:820
	buffer_load_dword v54, off, s[0:3], 0 offset:816
	ds_read_b128 v[0:3], v72 offset:1536
	s_waitcnt vmcnt(58) lgkmcnt(1)
	v_mul_f64 v[56:57], v[4:5], v[111:112]
	v_mul_f64 v[111:112], v[6:7], v[111:112]
	s_waitcnt vmcnt(56)
	v_fma_f64 v[20:21], v[8:9], v[26:27], -v[20:21]
	v_fma_f64 v[26:27], v[10:11], v[26:27], v[121:122]
	v_add_f64 v[14:15], v[14:15], v[103:104]
	v_add_f64 v[12:13], v[12:13], v[52:53]
	s_clause 0x4
	buffer_load_dword v53, off, s[0:3], 0 offset:860
	buffer_load_dword v103, off, s[0:3], 0 offset:872
	buffer_load_dword v113, off, s[0:3], 0 offset:864
	buffer_load_dword v52, off, s[0:3], 0 offset:856
	buffer_load_dword v110, off, s[0:3], 0 offset:836
	ds_read_b128 v[8:11], v72 offset:1552
	s_waitcnt vmcnt(57) lgkmcnt(1)
	v_mul_f64 v[121:122], v[0:1], v[32:33]
	v_mul_f64 v[32:33], v[2:3], v[32:33]
	s_waitcnt vmcnt(56)
	v_fma_f64 v[111:112], v[4:5], v[117:118], -v[111:112]
	v_add_f64 v[14:15], v[14:15], v[20:21]
	v_fma_f64 v[20:21], v[6:7], v[117:118], v[56:57]
	v_add_f64 v[12:13], v[12:13], v[26:27]
	s_clause 0x2
	buffer_load_dword v104, off, s[0:3], 0 offset:876
	buffer_load_dword v27, off, s[0:3], 0 offset:852
	buffer_load_dword v26, off, s[0:3], 0 offset:848
	ds_read_b128 v[4:7], v72 offset:1568
	s_waitcnt vmcnt(58) lgkmcnt(1)
	v_mul_f64 v[56:57], v[8:9], v[105:106]
	v_mul_f64 v[105:106], v[10:11], v[105:106]
	s_waitcnt vmcnt(56)
	v_fma_f64 v[32:33], v[0:1], v[24:25], -v[32:33]
	v_fma_f64 v[24:25], v[2:3], v[24:25], v[121:122]
	v_add_f64 v[14:15], v[14:15], v[111:112]
	v_add_f64 v[12:13], v[12:13], v[20:21]
	s_clause 0x4
	buffer_load_dword v21, off, s[0:3], 0 offset:892
	buffer_load_dword v111, off, s[0:3], 0 offset:904
	buffer_load_dword v117, off, s[0:3], 0 offset:896
	buffer_load_dword v20, off, s[0:3], 0 offset:888
	buffer_load_dword v114, off, s[0:3], 0 offset:868
	ds_read_b128 v[0:3], v72 offset:1584
	s_waitcnt vmcnt(57) lgkmcnt(1)
	v_mul_f64 v[121:122], v[4:5], v[18:19]
	v_mul_f64 v[18:19], v[6:7], v[18:19]
	s_waitcnt vmcnt(56)
	v_fma_f64 v[105:106], v[8:9], v[119:120], -v[105:106]
	v_add_f64 v[14:15], v[14:15], v[32:33]
	v_fma_f64 v[32:33], v[10:11], v[119:120], v[56:57]
	;; [unrolled: 28-line block ×3, first 2 shown]
	v_add_f64 v[12:13], v[12:13], v[30:31]
	s_clause 0x2
	buffer_load_dword v106, off, s[0:3], 0 offset:940
	buffer_load_dword v31, off, s[0:3], 0 offset:916
	;; [unrolled: 1-line block ×3, first 2 shown]
	ds_read_b128 v[0:3], v72 offset:1632
	s_waitcnt vmcnt(58) lgkmcnt(1)
	v_mul_f64 v[56:57], v[4:5], v[44:45]
	v_mul_f64 v[44:45], v[6:7], v[44:45]
	s_waitcnt vmcnt(56)
	v_fma_f64 v[22:23], v[8:9], v[40:41], -v[22:23]
	v_add_f64 v[14:15], v[14:15], v[36:37]
	v_fma_f64 v[36:37], v[10:11], v[40:41], v[120:121]
	v_add_f64 v[12:13], v[12:13], v[18:19]
	buffer_load_dword v120, off, s[0:3], 0 offset:932
	ds_read_b128 v[8:11], v72 offset:1648
	s_waitcnt vmcnt(53) lgkmcnt(1)
	v_mul_f64 v[18:19], v[0:1], v[28:29]
	v_mul_f64 v[28:29], v[2:3], v[28:29]
	s_waitcnt vmcnt(52)
	v_fma_f64 v[40:41], v[4:5], v[107:108], -v[44:45]
	v_add_f64 v[14:15], v[14:15], v[22:23]
	v_fma_f64 v[22:23], v[6:7], v[107:108], v[56:57]
	v_add_f64 v[12:13], v[12:13], v[36:37]
	ds_read_b128 v[4:7], v72 offset:1664
	s_waitcnt vmcnt(51) lgkmcnt(1)
	v_mul_f64 v[44:45], v[10:11], v[50:51]
	v_mul_f64 v[36:37], v[8:9], v[50:51]
	s_waitcnt vmcnt(49)
	v_fma_f64 v[28:29], v[0:1], v[38:39], -v[28:29]
	v_fma_f64 v[18:19], v[2:3], v[38:39], v[18:19]
	v_add_f64 v[14:15], v[14:15], v[40:41]
	v_add_f64 v[12:13], v[12:13], v[22:23]
	s_clause 0x3
	buffer_load_dword v22, off, s[0:3], 0 offset:16
	buffer_load_dword v23, off, s[0:3], 0 offset:20
	;; [unrolled: 1-line block ×4, first 2 shown]
	ds_read_b128 v[0:3], v72 offset:1680
	s_waitcnt vmcnt(49) lgkmcnt(1)
	v_mul_f64 v[40:41], v[4:5], v[34:35]
	v_mul_f64 v[34:35], v[6:7], v[34:35]
	s_waitcnt vmcnt(48)
	v_fma_f64 v[44:45], v[8:9], v[101:102], -v[44:45]
	v_add_f64 v[14:15], v[14:15], v[28:29]
	v_fma_f64 v[28:29], v[10:11], v[101:102], v[36:37]
	v_add_f64 v[12:13], v[12:13], v[18:19]
	ds_read_b128 v[8:11], v72 offset:1696
	s_waitcnt vmcnt(47) lgkmcnt(1)
	v_mul_f64 v[36:37], v[2:3], v[58:59]
	v_mul_f64 v[18:19], v[0:1], v[58:59]
	s_waitcnt vmcnt(45)
	v_fma_f64 v[34:35], v[4:5], v[46:47], -v[34:35]
	v_fma_f64 v[40:41], v[6:7], v[46:47], v[40:41]
	ds_read_b128 v[4:7], v72 offset:1712
	v_add_f64 v[14:15], v[14:15], v[44:45]
	v_add_f64 v[12:13], v[12:13], v[28:29]
	s_waitcnt vmcnt(41) lgkmcnt(1)
	v_mul_f64 v[28:29], v[8:9], v[42:43]
	v_mul_f64 v[42:43], v[10:11], v[42:43]
	s_waitcnt vmcnt(40)
	v_fma_f64 v[36:37], v[0:1], v[93:94], -v[36:37]
	v_fma_f64 v[18:19], v[2:3], v[93:94], v[18:19]
	ds_read_b128 v[0:3], v72 offset:1728
	v_add_f64 v[14:15], v[14:15], v[34:35]
	v_add_f64 v[12:13], v[12:13], v[40:41]
	;; [unrolled: 9-line block ×3, first 2 shown]
	s_waitcnt vmcnt(33) lgkmcnt(1)
	v_mul_f64 v[28:29], v[2:3], v[48:49]
	s_waitcnt vmcnt(32)
	v_fma_f64 v[36:37], v[4:5], v[95:96], -v[40:41]
	v_mul_f64 v[18:19], v[0:1], v[48:49]
	v_fma_f64 v[34:35], v[6:7], v[95:96], v[34:35]
	ds_read_b128 v[4:7], v72 offset:1760
	v_add_f64 v[14:15], v[14:15], v[42:43]
	v_add_f64 v[12:13], v[12:13], v[16:17]
	s_waitcnt vmcnt(31) lgkmcnt(1)
	v_mul_f64 v[40:41], v[10:11], v[62:63]
	v_mul_f64 v[16:17], v[8:9], v[62:63]
	s_waitcnt vmcnt(29)
	v_fma_f64 v[28:29], v[0:1], v[54:55], -v[28:29]
	v_fma_f64 v[18:19], v[2:3], v[54:55], v[18:19]
	ds_read_b128 v[0:3], v72 offset:1776
	v_add_f64 v[14:15], v[14:15], v[36:37]
	v_add_f64 v[12:13], v[12:13], v[34:35]
	s_waitcnt vmcnt(25) lgkmcnt(1)
	v_mul_f64 v[36:37], v[6:7], v[52:53]
	s_waitcnt vmcnt(24)
	v_fma_f64 v[40:41], v[8:9], v[109:110], -v[40:41]
	v_mul_f64 v[34:35], v[4:5], v[52:53]
	v_fma_f64 v[16:17], v[10:11], v[109:110], v[16:17]
	ds_read_b128 v[8:11], v72 offset:1792
	v_add_f64 v[14:15], v[14:15], v[28:29]
	v_add_f64 v[12:13], v[12:13], v[18:19]
	s_waitcnt vmcnt(23) lgkmcnt(1)
	v_mul_f64 v[28:29], v[2:3], v[103:104]
	v_mul_f64 v[18:19], v[0:1], v[103:104]
	s_waitcnt vmcnt(21)
	v_fma_f64 v[36:37], v[4:5], v[26:27], -v[36:37]
	v_fma_f64 v[26:27], v[6:7], v[26:27], v[34:35]
	ds_read_b128 v[4:7], v72 offset:1808
	v_add_f64 v[14:15], v[14:15], v[40:41]
	v_add_f64 v[12:13], v[12:13], v[16:17]
	s_waitcnt vmcnt(17) lgkmcnt(1)
	v_mul_f64 v[16:17], v[8:9], v[20:21]
	v_mul_f64 v[20:21], v[10:11], v[20:21]
	s_waitcnt vmcnt(16)
	v_fma_f64 v[28:29], v[0:1], v[113:114], -v[28:29]
	;; [unrolled: 9-line block ×3, first 2 shown]
	v_fma_f64 v[16:17], v[10:11], v[24:25], v[16:17]
	ds_read_b128 v[8:11], v72 offset:1840
	v_add_f64 v[14:15], v[14:15], v[28:29]
	v_add_f64 v[12:13], v[12:13], v[18:19]
	s_waitcnt vmcnt(9) lgkmcnt(1)
	v_mul_f64 v[24:25], v[2:3], v[32:33]
	s_waitcnt vmcnt(8)
	v_fma_f64 v[4:5], v[4:5], v[117:118], -v[34:35]
	v_mul_f64 v[18:19], v[0:1], v[32:33]
	v_fma_f64 v[6:7], v[6:7], v[117:118], v[26:27]
	v_add_f64 v[14:15], v[14:15], v[20:21]
	v_add_f64 v[12:13], v[12:13], v[16:17]
	s_waitcnt vmcnt(7) lgkmcnt(0)
	v_mul_f64 v[20:21], v[10:11], v[105:106]
	v_mul_f64 v[16:17], v[8:9], v[105:106]
	s_waitcnt vmcnt(5)
	v_fma_f64 v[0:1], v[0:1], v[30:31], -v[24:25]
	v_fma_f64 v[2:3], v[2:3], v[30:31], v[18:19]
	v_add_f64 v[4:5], v[14:15], v[4:5]
	v_add_f64 v[6:7], v[12:13], v[6:7]
	s_waitcnt vmcnt(4)
	v_fma_f64 v[8:9], v[8:9], v[119:120], -v[20:21]
	v_add_f64 v[0:1], v[4:5], v[0:1]
	v_fma_f64 v[4:5], v[10:11], v[119:120], v[16:17]
	v_add_f64 v[2:3], v[6:7], v[2:3]
	v_add_f64 v[0:1], v[0:1], v[8:9]
	v_add_f64 v[2:3], v[2:3], v[4:5]
	s_waitcnt vmcnt(2)
	v_add_f64 v[0:1], v[22:23], -v[0:1]
	s_waitcnt vmcnt(0)
	v_add_f64 v[2:3], v[38:39], -v[2:3]
	buffer_store_dword v1, off, s[0:3], 0 offset:20
	buffer_store_dword v0, off, s[0:3], 0 offset:16
	;; [unrolled: 1-line block ×4, first 2 shown]
	s_cbranch_vccz .LBB57_476
; %bb.362:
	global_load_dword v0, v72, s[20:21] offset:224
	s_waitcnt vmcnt(0)
	v_add_nc_u32_e32 v0, -1, v0
	v_cmp_ne_u32_e32 vcc_lo, 56, v0
	s_cbranch_vccz .LBB57_364
; %bb.363:
	v_lshlrev_b32_e32 v0, 4, v0
	v_mov_b32_e32 v1, s9
	v_add_nc_u32_e32 v0, 16, v0
	s_clause 0x7
	buffer_load_dword v2, v0, s[0:3], 0 offen
	buffer_load_dword v3, v0, s[0:3], 0 offen offset:4
	buffer_load_dword v4, v0, s[0:3], 0 offen offset:8
	;; [unrolled: 1-line block ×6, first 2 shown]
	buffer_load_dword v9, v1, s[0:3], 0 offen
	s_waitcnt vmcnt(7)
	buffer_store_dword v2, v1, s[0:3], 0 offen
	s_waitcnt vmcnt(6)
	buffer_store_dword v3, v1, s[0:3], 0 offen offset:4
	s_waitcnt vmcnt(5)
	buffer_store_dword v4, v1, s[0:3], 0 offen offset:8
	;; [unrolled: 2-line block ×6, first 2 shown]
	s_waitcnt vmcnt(0)
	buffer_store_dword v9, v0, s[0:3], 0 offen
.LBB57_364:
	v_mov_b32_e32 v0, 0
	global_load_dword v1, v0, s[20:21] offset:220
	s_waitcnt vmcnt(0)
	v_add_nc_u32_e32 v1, -1, v1
	v_cmp_eq_u32_e32 vcc_lo, 55, v1
	s_cbranch_vccnz .LBB57_366
; %bb.365:
	v_lshlrev_b32_e32 v1, 4, v1
	v_mov_b32_e32 v2, s12
	v_add_nc_u32_e32 v1, 16, v1
	s_clause 0x7
	buffer_load_dword v3, v1, s[0:3], 0 offen
	buffer_load_dword v4, v1, s[0:3], 0 offen offset:4
	buffer_load_dword v5, v1, s[0:3], 0 offen offset:8
	;; [unrolled: 1-line block ×6, first 2 shown]
	buffer_load_dword v10, v2, s[0:3], 0 offen
	s_waitcnt vmcnt(7)
	buffer_store_dword v3, v2, s[0:3], 0 offen
	s_waitcnt vmcnt(6)
	buffer_store_dword v4, v2, s[0:3], 0 offen offset:4
	s_waitcnt vmcnt(5)
	buffer_store_dword v5, v2, s[0:3], 0 offen offset:8
	;; [unrolled: 2-line block ×6, first 2 shown]
	s_waitcnt vmcnt(0)
	buffer_store_dword v10, v1, s[0:3], 0 offen
.LBB57_366:
	global_load_dword v0, v0, s[20:21] offset:216
	s_waitcnt vmcnt(0)
	v_add_nc_u32_e32 v0, -1, v0
	v_cmp_eq_u32_e32 vcc_lo, 54, v0
	s_cbranch_vccnz .LBB57_368
; %bb.367:
	v_lshlrev_b32_e32 v0, 4, v0
	v_mov_b32_e32 v1, s13
	v_add_nc_u32_e32 v0, 16, v0
	s_clause 0x7
	buffer_load_dword v2, v0, s[0:3], 0 offen
	buffer_load_dword v3, v0, s[0:3], 0 offen offset:4
	buffer_load_dword v4, v0, s[0:3], 0 offen offset:8
	;; [unrolled: 1-line block ×6, first 2 shown]
	buffer_load_dword v9, v1, s[0:3], 0 offen
	s_waitcnt vmcnt(7)
	buffer_store_dword v2, v1, s[0:3], 0 offen
	s_waitcnt vmcnt(6)
	buffer_store_dword v3, v1, s[0:3], 0 offen offset:4
	s_waitcnt vmcnt(5)
	buffer_store_dword v4, v1, s[0:3], 0 offen offset:8
	;; [unrolled: 2-line block ×6, first 2 shown]
	s_waitcnt vmcnt(0)
	buffer_store_dword v9, v0, s[0:3], 0 offen
.LBB57_368:
	v_mov_b32_e32 v0, 0
	global_load_dword v1, v0, s[20:21] offset:212
	s_waitcnt vmcnt(0)
	v_add_nc_u32_e32 v1, -1, v1
	v_cmp_eq_u32_e32 vcc_lo, 53, v1
	s_cbranch_vccnz .LBB57_370
; %bb.369:
	v_lshlrev_b32_e32 v1, 4, v1
	v_mov_b32_e32 v2, s14
	v_add_nc_u32_e32 v1, 16, v1
	s_clause 0x7
	buffer_load_dword v3, v1, s[0:3], 0 offen
	buffer_load_dword v4, v1, s[0:3], 0 offen offset:4
	buffer_load_dword v5, v1, s[0:3], 0 offen offset:8
	;; [unrolled: 1-line block ×6, first 2 shown]
	buffer_load_dword v10, v2, s[0:3], 0 offen
	s_waitcnt vmcnt(7)
	buffer_store_dword v3, v2, s[0:3], 0 offen
	s_waitcnt vmcnt(6)
	buffer_store_dword v4, v2, s[0:3], 0 offen offset:4
	s_waitcnt vmcnt(5)
	buffer_store_dword v5, v2, s[0:3], 0 offen offset:8
	s_waitcnt vmcnt(4)
	buffer_store_dword v6, v2, s[0:3], 0 offen offset:12
	s_waitcnt vmcnt(3)
	buffer_store_dword v7, v1, s[0:3], 0 offen offset:12
	s_waitcnt vmcnt(2)
	buffer_store_dword v8, v1, s[0:3], 0 offen offset:8
	s_waitcnt vmcnt(1)
	buffer_store_dword v9, v1, s[0:3], 0 offen offset:4
	s_waitcnt vmcnt(0)
	buffer_store_dword v10, v1, s[0:3], 0 offen
.LBB57_370:
	global_load_dword v0, v0, s[20:21] offset:208
	s_waitcnt vmcnt(0)
	v_add_nc_u32_e32 v0, -1, v0
	v_cmp_eq_u32_e32 vcc_lo, 52, v0
	s_cbranch_vccnz .LBB57_372
; %bb.371:
	v_lshlrev_b32_e32 v0, 4, v0
	v_mov_b32_e32 v1, s15
	v_add_nc_u32_e32 v0, 16, v0
	s_clause 0x7
	buffer_load_dword v2, v0, s[0:3], 0 offen
	buffer_load_dword v3, v0, s[0:3], 0 offen offset:4
	buffer_load_dword v4, v0, s[0:3], 0 offen offset:8
	;; [unrolled: 1-line block ×6, first 2 shown]
	buffer_load_dword v9, v1, s[0:3], 0 offen
	s_waitcnt vmcnt(7)
	buffer_store_dword v2, v1, s[0:3], 0 offen
	s_waitcnt vmcnt(6)
	buffer_store_dword v3, v1, s[0:3], 0 offen offset:4
	s_waitcnt vmcnt(5)
	buffer_store_dword v4, v1, s[0:3], 0 offen offset:8
	;; [unrolled: 2-line block ×6, first 2 shown]
	s_waitcnt vmcnt(0)
	buffer_store_dword v9, v0, s[0:3], 0 offen
.LBB57_372:
	v_mov_b32_e32 v0, 0
	global_load_dword v1, v0, s[20:21] offset:204
	s_waitcnt vmcnt(0)
	v_add_nc_u32_e32 v1, -1, v1
	v_cmp_eq_u32_e32 vcc_lo, 51, v1
	s_cbranch_vccnz .LBB57_374
; %bb.373:
	v_lshlrev_b32_e32 v1, 4, v1
	v_mov_b32_e32 v2, s16
	v_add_nc_u32_e32 v1, 16, v1
	s_clause 0x7
	buffer_load_dword v3, v1, s[0:3], 0 offen
	buffer_load_dword v4, v1, s[0:3], 0 offen offset:4
	buffer_load_dword v5, v1, s[0:3], 0 offen offset:8
	;; [unrolled: 1-line block ×6, first 2 shown]
	buffer_load_dword v10, v2, s[0:3], 0 offen
	s_waitcnt vmcnt(7)
	buffer_store_dword v3, v2, s[0:3], 0 offen
	s_waitcnt vmcnt(6)
	buffer_store_dword v4, v2, s[0:3], 0 offen offset:4
	s_waitcnt vmcnt(5)
	buffer_store_dword v5, v2, s[0:3], 0 offen offset:8
	;; [unrolled: 2-line block ×6, first 2 shown]
	s_waitcnt vmcnt(0)
	buffer_store_dword v10, v1, s[0:3], 0 offen
.LBB57_374:
	global_load_dword v0, v0, s[20:21] offset:200
	s_waitcnt vmcnt(0)
	v_add_nc_u32_e32 v0, -1, v0
	v_cmp_eq_u32_e32 vcc_lo, 50, v0
	s_cbranch_vccnz .LBB57_376
; %bb.375:
	v_lshlrev_b32_e32 v0, 4, v0
	v_mov_b32_e32 v1, s17
	v_add_nc_u32_e32 v0, 16, v0
	s_clause 0x7
	buffer_load_dword v2, v0, s[0:3], 0 offen
	buffer_load_dword v3, v0, s[0:3], 0 offen offset:4
	buffer_load_dword v4, v0, s[0:3], 0 offen offset:8
	buffer_load_dword v5, v0, s[0:3], 0 offen offset:12
	buffer_load_dword v6, v1, s[0:3], 0 offen offset:12
	buffer_load_dword v7, v1, s[0:3], 0 offen offset:8
	buffer_load_dword v8, v1, s[0:3], 0 offen offset:4
	buffer_load_dword v9, v1, s[0:3], 0 offen
	s_waitcnt vmcnt(7)
	buffer_store_dword v2, v1, s[0:3], 0 offen
	s_waitcnt vmcnt(6)
	buffer_store_dword v3, v1, s[0:3], 0 offen offset:4
	s_waitcnt vmcnt(5)
	buffer_store_dword v4, v1, s[0:3], 0 offen offset:8
	;; [unrolled: 2-line block ×6, first 2 shown]
	s_waitcnt vmcnt(0)
	buffer_store_dword v9, v0, s[0:3], 0 offen
.LBB57_376:
	v_mov_b32_e32 v0, 0
	global_load_dword v1, v0, s[20:21] offset:196
	s_waitcnt vmcnt(0)
	v_add_nc_u32_e32 v1, -1, v1
	v_cmp_eq_u32_e32 vcc_lo, 49, v1
	s_cbranch_vccnz .LBB57_378
; %bb.377:
	v_lshlrev_b32_e32 v1, 4, v1
	v_mov_b32_e32 v2, s18
	v_add_nc_u32_e32 v1, 16, v1
	s_clause 0x7
	buffer_load_dword v3, v1, s[0:3], 0 offen
	buffer_load_dword v4, v1, s[0:3], 0 offen offset:4
	buffer_load_dword v5, v1, s[0:3], 0 offen offset:8
	;; [unrolled: 1-line block ×6, first 2 shown]
	buffer_load_dword v10, v2, s[0:3], 0 offen
	s_waitcnt vmcnt(7)
	buffer_store_dword v3, v2, s[0:3], 0 offen
	s_waitcnt vmcnt(6)
	buffer_store_dword v4, v2, s[0:3], 0 offen offset:4
	s_waitcnt vmcnt(5)
	buffer_store_dword v5, v2, s[0:3], 0 offen offset:8
	;; [unrolled: 2-line block ×6, first 2 shown]
	s_waitcnt vmcnt(0)
	buffer_store_dword v10, v1, s[0:3], 0 offen
.LBB57_378:
	global_load_dword v0, v0, s[20:21] offset:192
	s_waitcnt vmcnt(0)
	v_add_nc_u32_e32 v0, -1, v0
	v_cmp_eq_u32_e32 vcc_lo, 48, v0
	s_cbranch_vccnz .LBB57_380
; %bb.379:
	v_lshlrev_b32_e32 v0, 4, v0
	v_mov_b32_e32 v1, s19
	v_add_nc_u32_e32 v0, 16, v0
	s_clause 0x7
	buffer_load_dword v2, v0, s[0:3], 0 offen
	buffer_load_dword v3, v0, s[0:3], 0 offen offset:4
	buffer_load_dword v4, v0, s[0:3], 0 offen offset:8
	;; [unrolled: 1-line block ×6, first 2 shown]
	buffer_load_dword v9, v1, s[0:3], 0 offen
	s_waitcnt vmcnt(7)
	buffer_store_dword v2, v1, s[0:3], 0 offen
	s_waitcnt vmcnt(6)
	buffer_store_dword v3, v1, s[0:3], 0 offen offset:4
	s_waitcnt vmcnt(5)
	buffer_store_dword v4, v1, s[0:3], 0 offen offset:8
	;; [unrolled: 2-line block ×6, first 2 shown]
	s_waitcnt vmcnt(0)
	buffer_store_dword v9, v0, s[0:3], 0 offen
.LBB57_380:
	v_mov_b32_e32 v0, 0
	global_load_dword v1, v0, s[20:21] offset:188
	s_waitcnt vmcnt(0)
	v_add_nc_u32_e32 v1, -1, v1
	v_cmp_eq_u32_e32 vcc_lo, 47, v1
	s_cbranch_vccnz .LBB57_382
; %bb.381:
	v_lshlrev_b32_e32 v1, 4, v1
	v_mov_b32_e32 v2, s22
	v_add_nc_u32_e32 v1, 16, v1
	s_clause 0x7
	buffer_load_dword v3, v1, s[0:3], 0 offen
	buffer_load_dword v4, v1, s[0:3], 0 offen offset:4
	buffer_load_dword v5, v1, s[0:3], 0 offen offset:8
	;; [unrolled: 1-line block ×6, first 2 shown]
	buffer_load_dword v10, v2, s[0:3], 0 offen
	s_waitcnt vmcnt(7)
	buffer_store_dword v3, v2, s[0:3], 0 offen
	s_waitcnt vmcnt(6)
	buffer_store_dword v4, v2, s[0:3], 0 offen offset:4
	s_waitcnt vmcnt(5)
	buffer_store_dword v5, v2, s[0:3], 0 offen offset:8
	;; [unrolled: 2-line block ×6, first 2 shown]
	s_waitcnt vmcnt(0)
	buffer_store_dword v10, v1, s[0:3], 0 offen
.LBB57_382:
	global_load_dword v0, v0, s[20:21] offset:184
	s_waitcnt vmcnt(0)
	v_add_nc_u32_e32 v0, -1, v0
	v_cmp_eq_u32_e32 vcc_lo, 46, v0
	s_cbranch_vccnz .LBB57_384
; %bb.383:
	v_lshlrev_b32_e32 v0, 4, v0
	v_mov_b32_e32 v1, s23
	v_add_nc_u32_e32 v0, 16, v0
	s_clause 0x7
	buffer_load_dword v2, v0, s[0:3], 0 offen
	buffer_load_dword v3, v0, s[0:3], 0 offen offset:4
	buffer_load_dword v4, v0, s[0:3], 0 offen offset:8
	;; [unrolled: 1-line block ×6, first 2 shown]
	buffer_load_dword v9, v1, s[0:3], 0 offen
	s_waitcnt vmcnt(7)
	buffer_store_dword v2, v1, s[0:3], 0 offen
	s_waitcnt vmcnt(6)
	buffer_store_dword v3, v1, s[0:3], 0 offen offset:4
	s_waitcnt vmcnt(5)
	buffer_store_dword v4, v1, s[0:3], 0 offen offset:8
	;; [unrolled: 2-line block ×6, first 2 shown]
	s_waitcnt vmcnt(0)
	buffer_store_dword v9, v0, s[0:3], 0 offen
.LBB57_384:
	v_mov_b32_e32 v0, 0
	global_load_dword v1, v0, s[20:21] offset:180
	s_waitcnt vmcnt(0)
	v_add_nc_u32_e32 v1, -1, v1
	v_cmp_eq_u32_e32 vcc_lo, 45, v1
	s_cbranch_vccnz .LBB57_386
; %bb.385:
	v_lshlrev_b32_e32 v1, 4, v1
	v_mov_b32_e32 v2, s24
	v_add_nc_u32_e32 v1, 16, v1
	s_clause 0x7
	buffer_load_dword v3, v1, s[0:3], 0 offen
	buffer_load_dword v4, v1, s[0:3], 0 offen offset:4
	buffer_load_dword v5, v1, s[0:3], 0 offen offset:8
	;; [unrolled: 1-line block ×6, first 2 shown]
	buffer_load_dword v10, v2, s[0:3], 0 offen
	s_waitcnt vmcnt(7)
	buffer_store_dword v3, v2, s[0:3], 0 offen
	s_waitcnt vmcnt(6)
	buffer_store_dword v4, v2, s[0:3], 0 offen offset:4
	s_waitcnt vmcnt(5)
	buffer_store_dword v5, v2, s[0:3], 0 offen offset:8
	;; [unrolled: 2-line block ×6, first 2 shown]
	s_waitcnt vmcnt(0)
	buffer_store_dword v10, v1, s[0:3], 0 offen
.LBB57_386:
	global_load_dword v0, v0, s[20:21] offset:176
	s_waitcnt vmcnt(0)
	v_add_nc_u32_e32 v0, -1, v0
	v_cmp_eq_u32_e32 vcc_lo, 44, v0
	s_cbranch_vccnz .LBB57_388
; %bb.387:
	v_lshlrev_b32_e32 v0, 4, v0
	v_mov_b32_e32 v1, s25
	v_add_nc_u32_e32 v0, 16, v0
	s_clause 0x7
	buffer_load_dword v2, v0, s[0:3], 0 offen
	buffer_load_dword v3, v0, s[0:3], 0 offen offset:4
	buffer_load_dword v4, v0, s[0:3], 0 offen offset:8
	;; [unrolled: 1-line block ×6, first 2 shown]
	buffer_load_dword v9, v1, s[0:3], 0 offen
	s_waitcnt vmcnt(7)
	buffer_store_dword v2, v1, s[0:3], 0 offen
	s_waitcnt vmcnt(6)
	buffer_store_dword v3, v1, s[0:3], 0 offen offset:4
	s_waitcnt vmcnt(5)
	buffer_store_dword v4, v1, s[0:3], 0 offen offset:8
	;; [unrolled: 2-line block ×6, first 2 shown]
	s_waitcnt vmcnt(0)
	buffer_store_dword v9, v0, s[0:3], 0 offen
.LBB57_388:
	v_mov_b32_e32 v0, 0
	global_load_dword v1, v0, s[20:21] offset:172
	s_waitcnt vmcnt(0)
	v_add_nc_u32_e32 v1, -1, v1
	v_cmp_eq_u32_e32 vcc_lo, 43, v1
	s_cbranch_vccnz .LBB57_390
; %bb.389:
	v_lshlrev_b32_e32 v1, 4, v1
	v_mov_b32_e32 v2, s26
	v_add_nc_u32_e32 v1, 16, v1
	s_clause 0x7
	buffer_load_dword v3, v1, s[0:3], 0 offen
	buffer_load_dword v4, v1, s[0:3], 0 offen offset:4
	buffer_load_dword v5, v1, s[0:3], 0 offen offset:8
	;; [unrolled: 1-line block ×6, first 2 shown]
	buffer_load_dword v10, v2, s[0:3], 0 offen
	s_waitcnt vmcnt(7)
	buffer_store_dword v3, v2, s[0:3], 0 offen
	s_waitcnt vmcnt(6)
	buffer_store_dword v4, v2, s[0:3], 0 offen offset:4
	s_waitcnt vmcnt(5)
	buffer_store_dword v5, v2, s[0:3], 0 offen offset:8
	s_waitcnt vmcnt(4)
	buffer_store_dword v6, v2, s[0:3], 0 offen offset:12
	s_waitcnt vmcnt(3)
	buffer_store_dword v7, v1, s[0:3], 0 offen offset:12
	s_waitcnt vmcnt(2)
	buffer_store_dword v8, v1, s[0:3], 0 offen offset:8
	s_waitcnt vmcnt(1)
	buffer_store_dword v9, v1, s[0:3], 0 offen offset:4
	s_waitcnt vmcnt(0)
	buffer_store_dword v10, v1, s[0:3], 0 offen
.LBB57_390:
	global_load_dword v0, v0, s[20:21] offset:168
	s_waitcnt vmcnt(0)
	v_add_nc_u32_e32 v0, -1, v0
	v_cmp_eq_u32_e32 vcc_lo, 42, v0
	s_cbranch_vccnz .LBB57_392
; %bb.391:
	v_lshlrev_b32_e32 v0, 4, v0
	v_mov_b32_e32 v1, s27
	v_add_nc_u32_e32 v0, 16, v0
	s_clause 0x7
	buffer_load_dword v2, v0, s[0:3], 0 offen
	buffer_load_dword v3, v0, s[0:3], 0 offen offset:4
	buffer_load_dword v4, v0, s[0:3], 0 offen offset:8
	;; [unrolled: 1-line block ×6, first 2 shown]
	buffer_load_dword v9, v1, s[0:3], 0 offen
	s_waitcnt vmcnt(7)
	buffer_store_dword v2, v1, s[0:3], 0 offen
	s_waitcnt vmcnt(6)
	buffer_store_dword v3, v1, s[0:3], 0 offen offset:4
	s_waitcnt vmcnt(5)
	buffer_store_dword v4, v1, s[0:3], 0 offen offset:8
	;; [unrolled: 2-line block ×6, first 2 shown]
	s_waitcnt vmcnt(0)
	buffer_store_dword v9, v0, s[0:3], 0 offen
.LBB57_392:
	v_mov_b32_e32 v0, 0
	global_load_dword v1, v0, s[20:21] offset:164
	s_waitcnt vmcnt(0)
	v_add_nc_u32_e32 v1, -1, v1
	v_cmp_eq_u32_e32 vcc_lo, 41, v1
	s_cbranch_vccnz .LBB57_394
; %bb.393:
	v_lshlrev_b32_e32 v1, 4, v1
	v_mov_b32_e32 v2, s28
	v_add_nc_u32_e32 v1, 16, v1
	s_clause 0x7
	buffer_load_dword v3, v1, s[0:3], 0 offen
	buffer_load_dword v4, v1, s[0:3], 0 offen offset:4
	buffer_load_dword v5, v1, s[0:3], 0 offen offset:8
	;; [unrolled: 1-line block ×6, first 2 shown]
	buffer_load_dword v10, v2, s[0:3], 0 offen
	s_waitcnt vmcnt(7)
	buffer_store_dword v3, v2, s[0:3], 0 offen
	s_waitcnt vmcnt(6)
	buffer_store_dword v4, v2, s[0:3], 0 offen offset:4
	s_waitcnt vmcnt(5)
	buffer_store_dword v5, v2, s[0:3], 0 offen offset:8
	;; [unrolled: 2-line block ×6, first 2 shown]
	s_waitcnt vmcnt(0)
	buffer_store_dword v10, v1, s[0:3], 0 offen
.LBB57_394:
	global_load_dword v0, v0, s[20:21] offset:160
	s_waitcnt vmcnt(0)
	v_add_nc_u32_e32 v0, -1, v0
	v_cmp_eq_u32_e32 vcc_lo, 40, v0
	s_cbranch_vccnz .LBB57_396
; %bb.395:
	v_lshlrev_b32_e32 v0, 4, v0
	v_mov_b32_e32 v1, s29
	v_add_nc_u32_e32 v0, 16, v0
	s_clause 0x7
	buffer_load_dword v2, v0, s[0:3], 0 offen
	buffer_load_dword v3, v0, s[0:3], 0 offen offset:4
	buffer_load_dword v4, v0, s[0:3], 0 offen offset:8
	;; [unrolled: 1-line block ×6, first 2 shown]
	buffer_load_dword v9, v1, s[0:3], 0 offen
	s_waitcnt vmcnt(7)
	buffer_store_dword v2, v1, s[0:3], 0 offen
	s_waitcnt vmcnt(6)
	buffer_store_dword v3, v1, s[0:3], 0 offen offset:4
	s_waitcnt vmcnt(5)
	buffer_store_dword v4, v1, s[0:3], 0 offen offset:8
	;; [unrolled: 2-line block ×6, first 2 shown]
	s_waitcnt vmcnt(0)
	buffer_store_dword v9, v0, s[0:3], 0 offen
.LBB57_396:
	v_mov_b32_e32 v0, 0
	global_load_dword v1, v0, s[20:21] offset:156
	s_waitcnt vmcnt(0)
	v_add_nc_u32_e32 v1, -1, v1
	v_cmp_eq_u32_e32 vcc_lo, 39, v1
	s_cbranch_vccnz .LBB57_398
; %bb.397:
	v_lshlrev_b32_e32 v1, 4, v1
	v_mov_b32_e32 v2, s30
	v_add_nc_u32_e32 v1, 16, v1
	s_clause 0x7
	buffer_load_dword v3, v1, s[0:3], 0 offen
	buffer_load_dword v4, v1, s[0:3], 0 offen offset:4
	buffer_load_dword v5, v1, s[0:3], 0 offen offset:8
	;; [unrolled: 1-line block ×6, first 2 shown]
	buffer_load_dword v10, v2, s[0:3], 0 offen
	s_waitcnt vmcnt(7)
	buffer_store_dword v3, v2, s[0:3], 0 offen
	s_waitcnt vmcnt(6)
	buffer_store_dword v4, v2, s[0:3], 0 offen offset:4
	s_waitcnt vmcnt(5)
	buffer_store_dword v5, v2, s[0:3], 0 offen offset:8
	;; [unrolled: 2-line block ×6, first 2 shown]
	s_waitcnt vmcnt(0)
	buffer_store_dword v10, v1, s[0:3], 0 offen
.LBB57_398:
	global_load_dword v0, v0, s[20:21] offset:152
	s_waitcnt vmcnt(0)
	v_add_nc_u32_e32 v0, -1, v0
	v_cmp_eq_u32_e32 vcc_lo, 38, v0
	s_cbranch_vccnz .LBB57_400
; %bb.399:
	v_lshlrev_b32_e32 v0, 4, v0
	v_mov_b32_e32 v1, s31
	v_add_nc_u32_e32 v0, 16, v0
	s_clause 0x7
	buffer_load_dword v2, v0, s[0:3], 0 offen
	buffer_load_dword v3, v0, s[0:3], 0 offen offset:4
	buffer_load_dword v4, v0, s[0:3], 0 offen offset:8
	;; [unrolled: 1-line block ×6, first 2 shown]
	buffer_load_dword v9, v1, s[0:3], 0 offen
	s_waitcnt vmcnt(7)
	buffer_store_dword v2, v1, s[0:3], 0 offen
	s_waitcnt vmcnt(6)
	buffer_store_dword v3, v1, s[0:3], 0 offen offset:4
	s_waitcnt vmcnt(5)
	buffer_store_dword v4, v1, s[0:3], 0 offen offset:8
	s_waitcnt vmcnt(4)
	buffer_store_dword v5, v1, s[0:3], 0 offen offset:12
	s_waitcnt vmcnt(3)
	buffer_store_dword v6, v0, s[0:3], 0 offen offset:12
	s_waitcnt vmcnt(2)
	buffer_store_dword v7, v0, s[0:3], 0 offen offset:8
	s_waitcnt vmcnt(1)
	buffer_store_dword v8, v0, s[0:3], 0 offen offset:4
	s_waitcnt vmcnt(0)
	buffer_store_dword v9, v0, s[0:3], 0 offen
.LBB57_400:
	v_mov_b32_e32 v0, 0
	global_load_dword v1, v0, s[20:21] offset:148
	s_waitcnt vmcnt(0)
	v_add_nc_u32_e32 v1, -1, v1
	v_cmp_eq_u32_e32 vcc_lo, 37, v1
	s_cbranch_vccnz .LBB57_402
; %bb.401:
	v_lshlrev_b32_e32 v1, 4, v1
	v_mov_b32_e32 v2, s33
	v_add_nc_u32_e32 v1, 16, v1
	s_clause 0x7
	buffer_load_dword v3, v1, s[0:3], 0 offen
	buffer_load_dword v4, v1, s[0:3], 0 offen offset:4
	buffer_load_dword v5, v1, s[0:3], 0 offen offset:8
	;; [unrolled: 1-line block ×6, first 2 shown]
	buffer_load_dword v10, v2, s[0:3], 0 offen
	s_waitcnt vmcnt(7)
	buffer_store_dword v3, v2, s[0:3], 0 offen
	s_waitcnt vmcnt(6)
	buffer_store_dword v4, v2, s[0:3], 0 offen offset:4
	s_waitcnt vmcnt(5)
	buffer_store_dword v5, v2, s[0:3], 0 offen offset:8
	;; [unrolled: 2-line block ×6, first 2 shown]
	s_waitcnt vmcnt(0)
	buffer_store_dword v10, v1, s[0:3], 0 offen
.LBB57_402:
	global_load_dword v0, v0, s[20:21] offset:144
	s_waitcnt vmcnt(0)
	v_add_nc_u32_e32 v0, -1, v0
	v_cmp_eq_u32_e32 vcc_lo, 36, v0
	s_cbranch_vccnz .LBB57_404
; %bb.403:
	v_lshlrev_b32_e32 v0, 4, v0
	v_mov_b32_e32 v1, s34
	v_add_nc_u32_e32 v0, 16, v0
	s_clause 0x7
	buffer_load_dword v2, v0, s[0:3], 0 offen
	buffer_load_dword v3, v0, s[0:3], 0 offen offset:4
	buffer_load_dword v4, v0, s[0:3], 0 offen offset:8
	;; [unrolled: 1-line block ×6, first 2 shown]
	buffer_load_dword v9, v1, s[0:3], 0 offen
	s_waitcnt vmcnt(7)
	buffer_store_dword v2, v1, s[0:3], 0 offen
	s_waitcnt vmcnt(6)
	buffer_store_dword v3, v1, s[0:3], 0 offen offset:4
	s_waitcnt vmcnt(5)
	buffer_store_dword v4, v1, s[0:3], 0 offen offset:8
	;; [unrolled: 2-line block ×6, first 2 shown]
	s_waitcnt vmcnt(0)
	buffer_store_dword v9, v0, s[0:3], 0 offen
.LBB57_404:
	v_mov_b32_e32 v0, 0
	global_load_dword v1, v0, s[20:21] offset:140
	s_waitcnt vmcnt(0)
	v_add_nc_u32_e32 v1, -1, v1
	v_cmp_eq_u32_e32 vcc_lo, 35, v1
	s_cbranch_vccnz .LBB57_406
; %bb.405:
	v_lshlrev_b32_e32 v1, 4, v1
	v_mov_b32_e32 v2, s35
	v_add_nc_u32_e32 v1, 16, v1
	s_clause 0x7
	buffer_load_dword v3, v1, s[0:3], 0 offen
	buffer_load_dword v4, v1, s[0:3], 0 offen offset:4
	buffer_load_dword v5, v1, s[0:3], 0 offen offset:8
	;; [unrolled: 1-line block ×6, first 2 shown]
	buffer_load_dword v10, v2, s[0:3], 0 offen
	s_waitcnt vmcnt(7)
	buffer_store_dword v3, v2, s[0:3], 0 offen
	s_waitcnt vmcnt(6)
	buffer_store_dword v4, v2, s[0:3], 0 offen offset:4
	s_waitcnt vmcnt(5)
	buffer_store_dword v5, v2, s[0:3], 0 offen offset:8
	s_waitcnt vmcnt(4)
	buffer_store_dword v6, v2, s[0:3], 0 offen offset:12
	s_waitcnt vmcnt(3)
	buffer_store_dword v7, v1, s[0:3], 0 offen offset:12
	s_waitcnt vmcnt(2)
	buffer_store_dword v8, v1, s[0:3], 0 offen offset:8
	s_waitcnt vmcnt(1)
	buffer_store_dword v9, v1, s[0:3], 0 offen offset:4
	s_waitcnt vmcnt(0)
	buffer_store_dword v10, v1, s[0:3], 0 offen
.LBB57_406:
	global_load_dword v0, v0, s[20:21] offset:136
	s_waitcnt vmcnt(0)
	v_add_nc_u32_e32 v0, -1, v0
	v_cmp_eq_u32_e32 vcc_lo, 34, v0
	s_cbranch_vccnz .LBB57_408
; %bb.407:
	v_lshlrev_b32_e32 v0, 4, v0
	v_mov_b32_e32 v1, s36
	v_add_nc_u32_e32 v0, 16, v0
	s_clause 0x7
	buffer_load_dword v2, v0, s[0:3], 0 offen
	buffer_load_dword v3, v0, s[0:3], 0 offen offset:4
	buffer_load_dword v4, v0, s[0:3], 0 offen offset:8
	;; [unrolled: 1-line block ×6, first 2 shown]
	buffer_load_dword v9, v1, s[0:3], 0 offen
	s_waitcnt vmcnt(7)
	buffer_store_dword v2, v1, s[0:3], 0 offen
	s_waitcnt vmcnt(6)
	buffer_store_dword v3, v1, s[0:3], 0 offen offset:4
	s_waitcnt vmcnt(5)
	buffer_store_dword v4, v1, s[0:3], 0 offen offset:8
	;; [unrolled: 2-line block ×6, first 2 shown]
	s_waitcnt vmcnt(0)
	buffer_store_dword v9, v0, s[0:3], 0 offen
.LBB57_408:
	v_mov_b32_e32 v0, 0
	global_load_dword v1, v0, s[20:21] offset:132
	s_waitcnt vmcnt(0)
	v_add_nc_u32_e32 v1, -1, v1
	v_cmp_eq_u32_e32 vcc_lo, 33, v1
	s_cbranch_vccnz .LBB57_410
; %bb.409:
	v_lshlrev_b32_e32 v1, 4, v1
	v_mov_b32_e32 v2, s37
	v_add_nc_u32_e32 v1, 16, v1
	s_clause 0x7
	buffer_load_dword v3, v1, s[0:3], 0 offen
	buffer_load_dword v4, v1, s[0:3], 0 offen offset:4
	buffer_load_dword v5, v1, s[0:3], 0 offen offset:8
	;; [unrolled: 1-line block ×6, first 2 shown]
	buffer_load_dword v10, v2, s[0:3], 0 offen
	s_waitcnt vmcnt(7)
	buffer_store_dword v3, v2, s[0:3], 0 offen
	s_waitcnt vmcnt(6)
	buffer_store_dword v4, v2, s[0:3], 0 offen offset:4
	s_waitcnt vmcnt(5)
	buffer_store_dword v5, v2, s[0:3], 0 offen offset:8
	;; [unrolled: 2-line block ×6, first 2 shown]
	s_waitcnt vmcnt(0)
	buffer_store_dword v10, v1, s[0:3], 0 offen
.LBB57_410:
	global_load_dword v0, v0, s[20:21] offset:128
	s_waitcnt vmcnt(0)
	v_add_nc_u32_e32 v0, -1, v0
	v_cmp_eq_u32_e32 vcc_lo, 32, v0
	s_cbranch_vccnz .LBB57_412
; %bb.411:
	v_lshlrev_b32_e32 v0, 4, v0
	v_mov_b32_e32 v1, s38
	v_add_nc_u32_e32 v0, 16, v0
	s_clause 0x7
	buffer_load_dword v2, v0, s[0:3], 0 offen
	buffer_load_dword v3, v0, s[0:3], 0 offen offset:4
	buffer_load_dword v4, v0, s[0:3], 0 offen offset:8
	;; [unrolled: 1-line block ×6, first 2 shown]
	buffer_load_dword v9, v1, s[0:3], 0 offen
	s_waitcnt vmcnt(7)
	buffer_store_dword v2, v1, s[0:3], 0 offen
	s_waitcnt vmcnt(6)
	buffer_store_dword v3, v1, s[0:3], 0 offen offset:4
	s_waitcnt vmcnt(5)
	buffer_store_dword v4, v1, s[0:3], 0 offen offset:8
	;; [unrolled: 2-line block ×6, first 2 shown]
	s_waitcnt vmcnt(0)
	buffer_store_dword v9, v0, s[0:3], 0 offen
.LBB57_412:
	v_mov_b32_e32 v0, 0
	global_load_dword v1, v0, s[20:21] offset:124
	s_waitcnt vmcnt(0)
	v_add_nc_u32_e32 v1, -1, v1
	v_cmp_eq_u32_e32 vcc_lo, 31, v1
	s_cbranch_vccnz .LBB57_414
; %bb.413:
	v_lshlrev_b32_e32 v1, 4, v1
	v_mov_b32_e32 v2, s39
	v_add_nc_u32_e32 v1, 16, v1
	s_clause 0x7
	buffer_load_dword v3, v1, s[0:3], 0 offen
	buffer_load_dword v4, v1, s[0:3], 0 offen offset:4
	buffer_load_dword v5, v1, s[0:3], 0 offen offset:8
	;; [unrolled: 1-line block ×6, first 2 shown]
	buffer_load_dword v10, v2, s[0:3], 0 offen
	s_waitcnt vmcnt(7)
	buffer_store_dword v3, v2, s[0:3], 0 offen
	s_waitcnt vmcnt(6)
	buffer_store_dword v4, v2, s[0:3], 0 offen offset:4
	s_waitcnt vmcnt(5)
	buffer_store_dword v5, v2, s[0:3], 0 offen offset:8
	;; [unrolled: 2-line block ×6, first 2 shown]
	s_waitcnt vmcnt(0)
	buffer_store_dword v10, v1, s[0:3], 0 offen
.LBB57_414:
	global_load_dword v0, v0, s[20:21] offset:120
	s_waitcnt vmcnt(0)
	v_add_nc_u32_e32 v0, -1, v0
	v_cmp_eq_u32_e32 vcc_lo, 30, v0
	s_cbranch_vccnz .LBB57_416
; %bb.415:
	v_lshlrev_b32_e32 v0, 4, v0
	v_mov_b32_e32 v1, s40
	v_add_nc_u32_e32 v0, 16, v0
	s_clause 0x7
	buffer_load_dword v2, v0, s[0:3], 0 offen
	buffer_load_dword v3, v0, s[0:3], 0 offen offset:4
	buffer_load_dword v4, v0, s[0:3], 0 offen offset:8
	;; [unrolled: 1-line block ×6, first 2 shown]
	buffer_load_dword v9, v1, s[0:3], 0 offen
	s_waitcnt vmcnt(7)
	buffer_store_dword v2, v1, s[0:3], 0 offen
	s_waitcnt vmcnt(6)
	buffer_store_dword v3, v1, s[0:3], 0 offen offset:4
	s_waitcnt vmcnt(5)
	buffer_store_dword v4, v1, s[0:3], 0 offen offset:8
	s_waitcnt vmcnt(4)
	buffer_store_dword v5, v1, s[0:3], 0 offen offset:12
	s_waitcnt vmcnt(3)
	buffer_store_dword v6, v0, s[0:3], 0 offen offset:12
	s_waitcnt vmcnt(2)
	buffer_store_dword v7, v0, s[0:3], 0 offen offset:8
	s_waitcnt vmcnt(1)
	buffer_store_dword v8, v0, s[0:3], 0 offen offset:4
	s_waitcnt vmcnt(0)
	buffer_store_dword v9, v0, s[0:3], 0 offen
.LBB57_416:
	v_mov_b32_e32 v0, 0
	global_load_dword v1, v0, s[20:21] offset:116
	s_waitcnt vmcnt(0)
	v_add_nc_u32_e32 v1, -1, v1
	v_cmp_eq_u32_e32 vcc_lo, 29, v1
	s_cbranch_vccnz .LBB57_418
; %bb.417:
	v_lshlrev_b32_e32 v1, 4, v1
	v_mov_b32_e32 v2, s41
	v_add_nc_u32_e32 v1, 16, v1
	s_clause 0x7
	buffer_load_dword v3, v1, s[0:3], 0 offen
	buffer_load_dword v4, v1, s[0:3], 0 offen offset:4
	buffer_load_dword v5, v1, s[0:3], 0 offen offset:8
	;; [unrolled: 1-line block ×6, first 2 shown]
	buffer_load_dword v10, v2, s[0:3], 0 offen
	s_waitcnt vmcnt(7)
	buffer_store_dword v3, v2, s[0:3], 0 offen
	s_waitcnt vmcnt(6)
	buffer_store_dword v4, v2, s[0:3], 0 offen offset:4
	s_waitcnt vmcnt(5)
	buffer_store_dword v5, v2, s[0:3], 0 offen offset:8
	;; [unrolled: 2-line block ×6, first 2 shown]
	s_waitcnt vmcnt(0)
	buffer_store_dword v10, v1, s[0:3], 0 offen
.LBB57_418:
	global_load_dword v0, v0, s[20:21] offset:112
	s_waitcnt vmcnt(0)
	v_add_nc_u32_e32 v0, -1, v0
	v_cmp_eq_u32_e32 vcc_lo, 28, v0
	s_cbranch_vccnz .LBB57_420
; %bb.419:
	v_lshlrev_b32_e32 v0, 4, v0
	v_mov_b32_e32 v1, s42
	v_add_nc_u32_e32 v0, 16, v0
	s_clause 0x7
	buffer_load_dword v2, v0, s[0:3], 0 offen
	buffer_load_dword v3, v0, s[0:3], 0 offen offset:4
	buffer_load_dword v4, v0, s[0:3], 0 offen offset:8
	;; [unrolled: 1-line block ×6, first 2 shown]
	buffer_load_dword v9, v1, s[0:3], 0 offen
	s_waitcnt vmcnt(7)
	buffer_store_dword v2, v1, s[0:3], 0 offen
	s_waitcnt vmcnt(6)
	buffer_store_dword v3, v1, s[0:3], 0 offen offset:4
	s_waitcnt vmcnt(5)
	buffer_store_dword v4, v1, s[0:3], 0 offen offset:8
	;; [unrolled: 2-line block ×6, first 2 shown]
	s_waitcnt vmcnt(0)
	buffer_store_dword v9, v0, s[0:3], 0 offen
.LBB57_420:
	v_mov_b32_e32 v0, 0
	global_load_dword v1, v0, s[20:21] offset:108
	s_waitcnt vmcnt(0)
	v_add_nc_u32_e32 v1, -1, v1
	v_cmp_eq_u32_e32 vcc_lo, 27, v1
	s_cbranch_vccnz .LBB57_422
; %bb.421:
	v_lshlrev_b32_e32 v1, 4, v1
	v_mov_b32_e32 v2, s43
	v_add_nc_u32_e32 v1, 16, v1
	s_clause 0x7
	buffer_load_dword v3, v1, s[0:3], 0 offen
	buffer_load_dword v4, v1, s[0:3], 0 offen offset:4
	buffer_load_dword v5, v1, s[0:3], 0 offen offset:8
	;; [unrolled: 1-line block ×6, first 2 shown]
	buffer_load_dword v10, v2, s[0:3], 0 offen
	s_waitcnt vmcnt(7)
	buffer_store_dword v3, v2, s[0:3], 0 offen
	s_waitcnt vmcnt(6)
	buffer_store_dword v4, v2, s[0:3], 0 offen offset:4
	s_waitcnt vmcnt(5)
	buffer_store_dword v5, v2, s[0:3], 0 offen offset:8
	;; [unrolled: 2-line block ×6, first 2 shown]
	s_waitcnt vmcnt(0)
	buffer_store_dword v10, v1, s[0:3], 0 offen
.LBB57_422:
	global_load_dword v0, v0, s[20:21] offset:104
	s_waitcnt vmcnt(0)
	v_add_nc_u32_e32 v0, -1, v0
	v_cmp_eq_u32_e32 vcc_lo, 26, v0
	s_cbranch_vccnz .LBB57_424
; %bb.423:
	v_lshlrev_b32_e32 v0, 4, v0
	v_mov_b32_e32 v1, s44
	v_add_nc_u32_e32 v0, 16, v0
	s_clause 0x7
	buffer_load_dword v2, v0, s[0:3], 0 offen
	buffer_load_dword v3, v0, s[0:3], 0 offen offset:4
	buffer_load_dword v4, v0, s[0:3], 0 offen offset:8
	;; [unrolled: 1-line block ×6, first 2 shown]
	buffer_load_dword v9, v1, s[0:3], 0 offen
	s_waitcnt vmcnt(7)
	buffer_store_dword v2, v1, s[0:3], 0 offen
	s_waitcnt vmcnt(6)
	buffer_store_dword v3, v1, s[0:3], 0 offen offset:4
	s_waitcnt vmcnt(5)
	buffer_store_dword v4, v1, s[0:3], 0 offen offset:8
	s_waitcnt vmcnt(4)
	buffer_store_dword v5, v1, s[0:3], 0 offen offset:12
	s_waitcnt vmcnt(3)
	buffer_store_dword v6, v0, s[0:3], 0 offen offset:12
	s_waitcnt vmcnt(2)
	buffer_store_dword v7, v0, s[0:3], 0 offen offset:8
	s_waitcnt vmcnt(1)
	buffer_store_dword v8, v0, s[0:3], 0 offen offset:4
	s_waitcnt vmcnt(0)
	buffer_store_dword v9, v0, s[0:3], 0 offen
.LBB57_424:
	v_mov_b32_e32 v0, 0
	global_load_dword v1, v0, s[20:21] offset:100
	s_waitcnt vmcnt(0)
	v_add_nc_u32_e32 v1, -1, v1
	v_cmp_eq_u32_e32 vcc_lo, 25, v1
	s_cbranch_vccnz .LBB57_426
; %bb.425:
	v_lshlrev_b32_e32 v1, 4, v1
	v_mov_b32_e32 v2, s45
	v_add_nc_u32_e32 v1, 16, v1
	s_clause 0x7
	buffer_load_dword v3, v1, s[0:3], 0 offen
	buffer_load_dword v4, v1, s[0:3], 0 offen offset:4
	buffer_load_dword v5, v1, s[0:3], 0 offen offset:8
	;; [unrolled: 1-line block ×6, first 2 shown]
	buffer_load_dword v10, v2, s[0:3], 0 offen
	s_waitcnt vmcnt(7)
	buffer_store_dword v3, v2, s[0:3], 0 offen
	s_waitcnt vmcnt(6)
	buffer_store_dword v4, v2, s[0:3], 0 offen offset:4
	s_waitcnt vmcnt(5)
	buffer_store_dword v5, v2, s[0:3], 0 offen offset:8
	;; [unrolled: 2-line block ×6, first 2 shown]
	s_waitcnt vmcnt(0)
	buffer_store_dword v10, v1, s[0:3], 0 offen
.LBB57_426:
	global_load_dword v0, v0, s[20:21] offset:96
	s_waitcnt vmcnt(0)
	v_add_nc_u32_e32 v0, -1, v0
	v_cmp_eq_u32_e32 vcc_lo, 24, v0
	s_cbranch_vccnz .LBB57_428
; %bb.427:
	v_lshlrev_b32_e32 v0, 4, v0
	v_mov_b32_e32 v1, s47
	v_add_nc_u32_e32 v0, 16, v0
	s_clause 0x7
	buffer_load_dword v2, v0, s[0:3], 0 offen
	buffer_load_dword v3, v0, s[0:3], 0 offen offset:4
	buffer_load_dword v4, v0, s[0:3], 0 offen offset:8
	;; [unrolled: 1-line block ×6, first 2 shown]
	buffer_load_dword v9, v1, s[0:3], 0 offen
	s_waitcnt vmcnt(7)
	buffer_store_dword v2, v1, s[0:3], 0 offen
	s_waitcnt vmcnt(6)
	buffer_store_dword v3, v1, s[0:3], 0 offen offset:4
	s_waitcnt vmcnt(5)
	buffer_store_dword v4, v1, s[0:3], 0 offen offset:8
	;; [unrolled: 2-line block ×6, first 2 shown]
	s_waitcnt vmcnt(0)
	buffer_store_dword v9, v0, s[0:3], 0 offen
.LBB57_428:
	v_mov_b32_e32 v0, 0
	global_load_dword v1, v0, s[20:21] offset:92
	s_waitcnt vmcnt(0)
	v_add_nc_u32_e32 v1, -1, v1
	v_cmp_eq_u32_e32 vcc_lo, 23, v1
	s_cbranch_vccnz .LBB57_430
; %bb.429:
	v_lshlrev_b32_e32 v1, 4, v1
	v_mov_b32_e32 v2, s51
	v_add_nc_u32_e32 v1, 16, v1
	s_clause 0x7
	buffer_load_dword v3, v1, s[0:3], 0 offen
	buffer_load_dword v4, v1, s[0:3], 0 offen offset:4
	buffer_load_dword v5, v1, s[0:3], 0 offen offset:8
	;; [unrolled: 1-line block ×6, first 2 shown]
	buffer_load_dword v10, v2, s[0:3], 0 offen
	s_waitcnt vmcnt(7)
	buffer_store_dword v3, v2, s[0:3], 0 offen
	s_waitcnt vmcnt(6)
	buffer_store_dword v4, v2, s[0:3], 0 offen offset:4
	s_waitcnt vmcnt(5)
	buffer_store_dword v5, v2, s[0:3], 0 offen offset:8
	;; [unrolled: 2-line block ×6, first 2 shown]
	s_waitcnt vmcnt(0)
	buffer_store_dword v10, v1, s[0:3], 0 offen
.LBB57_430:
	global_load_dword v0, v0, s[20:21] offset:88
	s_waitcnt vmcnt(0)
	v_add_nc_u32_e32 v0, -1, v0
	v_cmp_eq_u32_e32 vcc_lo, 22, v0
	s_cbranch_vccnz .LBB57_432
; %bb.431:
	v_lshlrev_b32_e32 v0, 4, v0
	v_mov_b32_e32 v1, s46
	v_add_nc_u32_e32 v0, 16, v0
	s_clause 0x7
	buffer_load_dword v2, v0, s[0:3], 0 offen
	buffer_load_dword v3, v0, s[0:3], 0 offen offset:4
	buffer_load_dword v4, v0, s[0:3], 0 offen offset:8
	buffer_load_dword v5, v0, s[0:3], 0 offen offset:12
	buffer_load_dword v6, v1, s[0:3], 0 offen offset:12
	buffer_load_dword v7, v1, s[0:3], 0 offen offset:8
	buffer_load_dword v8, v1, s[0:3], 0 offen offset:4
	buffer_load_dword v9, v1, s[0:3], 0 offen
	s_waitcnt vmcnt(7)
	buffer_store_dword v2, v1, s[0:3], 0 offen
	s_waitcnt vmcnt(6)
	buffer_store_dword v3, v1, s[0:3], 0 offen offset:4
	s_waitcnt vmcnt(5)
	buffer_store_dword v4, v1, s[0:3], 0 offen offset:8
	s_waitcnt vmcnt(4)
	buffer_store_dword v5, v1, s[0:3], 0 offen offset:12
	s_waitcnt vmcnt(3)
	buffer_store_dword v6, v0, s[0:3], 0 offen offset:12
	s_waitcnt vmcnt(2)
	buffer_store_dword v7, v0, s[0:3], 0 offen offset:8
	s_waitcnt vmcnt(1)
	buffer_store_dword v8, v0, s[0:3], 0 offen offset:4
	s_waitcnt vmcnt(0)
	buffer_store_dword v9, v0, s[0:3], 0 offen
.LBB57_432:
	v_mov_b32_e32 v0, 0
	global_load_dword v1, v0, s[20:21] offset:84
	s_waitcnt vmcnt(0)
	v_add_nc_u32_e32 v1, -1, v1
	v_cmp_eq_u32_e32 vcc_lo, 21, v1
	s_cbranch_vccnz .LBB57_434
; %bb.433:
	v_lshlrev_b32_e32 v1, 4, v1
	v_mov_b32_e32 v2, s48
	v_add_nc_u32_e32 v1, 16, v1
	s_clause 0x7
	buffer_load_dword v3, v1, s[0:3], 0 offen
	buffer_load_dword v4, v1, s[0:3], 0 offen offset:4
	buffer_load_dword v5, v1, s[0:3], 0 offen offset:8
	;; [unrolled: 1-line block ×6, first 2 shown]
	buffer_load_dword v10, v2, s[0:3], 0 offen
	s_waitcnt vmcnt(7)
	buffer_store_dword v3, v2, s[0:3], 0 offen
	s_waitcnt vmcnt(6)
	buffer_store_dword v4, v2, s[0:3], 0 offen offset:4
	s_waitcnt vmcnt(5)
	buffer_store_dword v5, v2, s[0:3], 0 offen offset:8
	;; [unrolled: 2-line block ×6, first 2 shown]
	s_waitcnt vmcnt(0)
	buffer_store_dword v10, v1, s[0:3], 0 offen
.LBB57_434:
	global_load_dword v0, v0, s[20:21] offset:80
	s_waitcnt vmcnt(0)
	v_add_nc_u32_e32 v0, -1, v0
	v_cmp_eq_u32_e32 vcc_lo, 20, v0
	s_cbranch_vccnz .LBB57_436
; %bb.435:
	v_lshlrev_b32_e32 v0, 4, v0
	v_mov_b32_e32 v1, s49
	v_add_nc_u32_e32 v0, 16, v0
	s_clause 0x7
	buffer_load_dword v2, v0, s[0:3], 0 offen
	buffer_load_dword v3, v0, s[0:3], 0 offen offset:4
	buffer_load_dword v4, v0, s[0:3], 0 offen offset:8
	;; [unrolled: 1-line block ×6, first 2 shown]
	buffer_load_dword v9, v1, s[0:3], 0 offen
	s_waitcnt vmcnt(7)
	buffer_store_dword v2, v1, s[0:3], 0 offen
	s_waitcnt vmcnt(6)
	buffer_store_dword v3, v1, s[0:3], 0 offen offset:4
	s_waitcnt vmcnt(5)
	buffer_store_dword v4, v1, s[0:3], 0 offen offset:8
	;; [unrolled: 2-line block ×6, first 2 shown]
	s_waitcnt vmcnt(0)
	buffer_store_dword v9, v0, s[0:3], 0 offen
.LBB57_436:
	v_mov_b32_e32 v0, 0
	global_load_dword v1, v0, s[20:21] offset:76
	s_waitcnt vmcnt(0)
	v_add_nc_u32_e32 v1, -1, v1
	v_cmp_eq_u32_e32 vcc_lo, 19, v1
	s_cbranch_vccnz .LBB57_438
; %bb.437:
	v_lshlrev_b32_e32 v1, 4, v1
	v_mov_b32_e32 v2, s50
	v_add_nc_u32_e32 v1, 16, v1
	s_clause 0x7
	buffer_load_dword v3, v1, s[0:3], 0 offen
	buffer_load_dword v4, v1, s[0:3], 0 offen offset:4
	buffer_load_dword v5, v1, s[0:3], 0 offen offset:8
	;; [unrolled: 1-line block ×6, first 2 shown]
	buffer_load_dword v10, v2, s[0:3], 0 offen
	s_waitcnt vmcnt(7)
	buffer_store_dword v3, v2, s[0:3], 0 offen
	s_waitcnt vmcnt(6)
	buffer_store_dword v4, v2, s[0:3], 0 offen offset:4
	s_waitcnt vmcnt(5)
	buffer_store_dword v5, v2, s[0:3], 0 offen offset:8
	s_waitcnt vmcnt(4)
	buffer_store_dword v6, v2, s[0:3], 0 offen offset:12
	s_waitcnt vmcnt(3)
	buffer_store_dword v7, v1, s[0:3], 0 offen offset:12
	s_waitcnt vmcnt(2)
	buffer_store_dword v8, v1, s[0:3], 0 offen offset:8
	s_waitcnt vmcnt(1)
	buffer_store_dword v9, v1, s[0:3], 0 offen offset:4
	s_waitcnt vmcnt(0)
	buffer_store_dword v10, v1, s[0:3], 0 offen
.LBB57_438:
	global_load_dword v0, v0, s[20:21] offset:72
	s_waitcnt vmcnt(0)
	v_add_nc_u32_e32 v0, -1, v0
	v_cmp_eq_u32_e32 vcc_lo, 18, v0
	s_cbranch_vccnz .LBB57_440
; %bb.439:
	v_lshlrev_b32_e32 v0, 4, v0
	v_mov_b32_e32 v1, s52
	v_add_nc_u32_e32 v0, 16, v0
	s_clause 0x7
	buffer_load_dword v2, v0, s[0:3], 0 offen
	buffer_load_dword v3, v0, s[0:3], 0 offen offset:4
	buffer_load_dword v4, v0, s[0:3], 0 offen offset:8
	;; [unrolled: 1-line block ×6, first 2 shown]
	buffer_load_dword v9, v1, s[0:3], 0 offen
	s_waitcnt vmcnt(7)
	buffer_store_dword v2, v1, s[0:3], 0 offen
	s_waitcnt vmcnt(6)
	buffer_store_dword v3, v1, s[0:3], 0 offen offset:4
	s_waitcnt vmcnt(5)
	buffer_store_dword v4, v1, s[0:3], 0 offen offset:8
	s_waitcnt vmcnt(4)
	buffer_store_dword v5, v1, s[0:3], 0 offen offset:12
	s_waitcnt vmcnt(3)
	buffer_store_dword v6, v0, s[0:3], 0 offen offset:12
	s_waitcnt vmcnt(2)
	buffer_store_dword v7, v0, s[0:3], 0 offen offset:8
	s_waitcnt vmcnt(1)
	buffer_store_dword v8, v0, s[0:3], 0 offen offset:4
	s_waitcnt vmcnt(0)
	buffer_store_dword v9, v0, s[0:3], 0 offen
.LBB57_440:
	v_mov_b32_e32 v0, 0
	global_load_dword v1, v0, s[20:21] offset:68
	s_waitcnt vmcnt(0)
	v_add_nc_u32_e32 v1, -1, v1
	v_cmp_eq_u32_e32 vcc_lo, 17, v1
	s_cbranch_vccnz .LBB57_442
; %bb.441:
	v_lshlrev_b32_e32 v1, 4, v1
	v_mov_b32_e32 v2, s53
	v_add_nc_u32_e32 v1, 16, v1
	s_clause 0x7
	buffer_load_dword v3, v1, s[0:3], 0 offen
	buffer_load_dword v4, v1, s[0:3], 0 offen offset:4
	buffer_load_dword v5, v1, s[0:3], 0 offen offset:8
	;; [unrolled: 1-line block ×6, first 2 shown]
	buffer_load_dword v10, v2, s[0:3], 0 offen
	s_waitcnt vmcnt(7)
	buffer_store_dword v3, v2, s[0:3], 0 offen
	s_waitcnt vmcnt(6)
	buffer_store_dword v4, v2, s[0:3], 0 offen offset:4
	s_waitcnt vmcnt(5)
	buffer_store_dword v5, v2, s[0:3], 0 offen offset:8
	;; [unrolled: 2-line block ×6, first 2 shown]
	s_waitcnt vmcnt(0)
	buffer_store_dword v10, v1, s[0:3], 0 offen
.LBB57_442:
	global_load_dword v0, v0, s[20:21] offset:64
	s_waitcnt vmcnt(0)
	v_add_nc_u32_e32 v0, -1, v0
	v_cmp_eq_u32_e32 vcc_lo, 16, v0
	s_cbranch_vccnz .LBB57_444
; %bb.443:
	v_lshlrev_b32_e32 v0, 4, v0
	v_mov_b32_e32 v1, s54
	v_add_nc_u32_e32 v0, 16, v0
	s_clause 0x7
	buffer_load_dword v2, v0, s[0:3], 0 offen
	buffer_load_dword v3, v0, s[0:3], 0 offen offset:4
	buffer_load_dword v4, v0, s[0:3], 0 offen offset:8
	;; [unrolled: 1-line block ×6, first 2 shown]
	buffer_load_dword v9, v1, s[0:3], 0 offen
	s_waitcnt vmcnt(7)
	buffer_store_dword v2, v1, s[0:3], 0 offen
	s_waitcnt vmcnt(6)
	buffer_store_dword v3, v1, s[0:3], 0 offen offset:4
	s_waitcnt vmcnt(5)
	buffer_store_dword v4, v1, s[0:3], 0 offen offset:8
	s_waitcnt vmcnt(4)
	buffer_store_dword v5, v1, s[0:3], 0 offen offset:12
	s_waitcnt vmcnt(3)
	buffer_store_dword v6, v0, s[0:3], 0 offen offset:12
	s_waitcnt vmcnt(2)
	buffer_store_dword v7, v0, s[0:3], 0 offen offset:8
	s_waitcnt vmcnt(1)
	buffer_store_dword v8, v0, s[0:3], 0 offen offset:4
	s_waitcnt vmcnt(0)
	buffer_store_dword v9, v0, s[0:3], 0 offen
.LBB57_444:
	v_mov_b32_e32 v0, 0
	global_load_dword v1, v0, s[20:21] offset:60
	s_waitcnt vmcnt(0)
	v_add_nc_u32_e32 v1, -1, v1
	v_cmp_eq_u32_e32 vcc_lo, 15, v1
	s_cbranch_vccnz .LBB57_446
; %bb.445:
	v_lshlrev_b32_e32 v1, 4, v1
	v_mov_b32_e32 v2, s55
	v_add_nc_u32_e32 v1, 16, v1
	s_clause 0x7
	buffer_load_dword v3, v1, s[0:3], 0 offen
	buffer_load_dword v4, v1, s[0:3], 0 offen offset:4
	buffer_load_dword v5, v1, s[0:3], 0 offen offset:8
	;; [unrolled: 1-line block ×6, first 2 shown]
	buffer_load_dword v10, v2, s[0:3], 0 offen
	s_waitcnt vmcnt(7)
	buffer_store_dword v3, v2, s[0:3], 0 offen
	s_waitcnt vmcnt(6)
	buffer_store_dword v4, v2, s[0:3], 0 offen offset:4
	s_waitcnt vmcnt(5)
	buffer_store_dword v5, v2, s[0:3], 0 offen offset:8
	;; [unrolled: 2-line block ×6, first 2 shown]
	s_waitcnt vmcnt(0)
	buffer_store_dword v10, v1, s[0:3], 0 offen
.LBB57_446:
	global_load_dword v0, v0, s[20:21] offset:56
	s_waitcnt vmcnt(0)
	v_add_nc_u32_e32 v0, -1, v0
	v_cmp_eq_u32_e32 vcc_lo, 14, v0
	s_cbranch_vccnz .LBB57_448
; %bb.447:
	v_lshlrev_b32_e32 v0, 4, v0
	v_mov_b32_e32 v1, s56
	v_add_nc_u32_e32 v0, 16, v0
	s_clause 0x7
	buffer_load_dword v2, v0, s[0:3], 0 offen
	buffer_load_dword v3, v0, s[0:3], 0 offen offset:4
	buffer_load_dword v4, v0, s[0:3], 0 offen offset:8
	;; [unrolled: 1-line block ×6, first 2 shown]
	buffer_load_dword v9, v1, s[0:3], 0 offen
	s_waitcnt vmcnt(7)
	buffer_store_dword v2, v1, s[0:3], 0 offen
	s_waitcnt vmcnt(6)
	buffer_store_dword v3, v1, s[0:3], 0 offen offset:4
	s_waitcnt vmcnt(5)
	buffer_store_dword v4, v1, s[0:3], 0 offen offset:8
	;; [unrolled: 2-line block ×6, first 2 shown]
	s_waitcnt vmcnt(0)
	buffer_store_dword v9, v0, s[0:3], 0 offen
.LBB57_448:
	v_mov_b32_e32 v0, 0
	global_load_dword v1, v0, s[20:21] offset:52
	s_waitcnt vmcnt(0)
	v_add_nc_u32_e32 v1, -1, v1
	v_cmp_eq_u32_e32 vcc_lo, 13, v1
	s_cbranch_vccnz .LBB57_450
; %bb.449:
	v_lshlrev_b32_e32 v1, 4, v1
	v_mov_b32_e32 v2, s57
	v_add_nc_u32_e32 v1, 16, v1
	s_clause 0x7
	buffer_load_dword v3, v1, s[0:3], 0 offen
	buffer_load_dword v4, v1, s[0:3], 0 offen offset:4
	buffer_load_dword v5, v1, s[0:3], 0 offen offset:8
	buffer_load_dword v6, v1, s[0:3], 0 offen offset:12
	buffer_load_dword v7, v2, s[0:3], 0 offen offset:12
	buffer_load_dword v8, v2, s[0:3], 0 offen offset:8
	buffer_load_dword v9, v2, s[0:3], 0 offen offset:4
	buffer_load_dword v10, v2, s[0:3], 0 offen
	s_waitcnt vmcnt(7)
	buffer_store_dword v3, v2, s[0:3], 0 offen
	s_waitcnt vmcnt(6)
	buffer_store_dword v4, v2, s[0:3], 0 offen offset:4
	s_waitcnt vmcnt(5)
	buffer_store_dword v5, v2, s[0:3], 0 offen offset:8
	;; [unrolled: 2-line block ×6, first 2 shown]
	s_waitcnt vmcnt(0)
	buffer_store_dword v10, v1, s[0:3], 0 offen
.LBB57_450:
	global_load_dword v0, v0, s[20:21] offset:48
	s_waitcnt vmcnt(0)
	v_add_nc_u32_e32 v0, -1, v0
	v_cmp_eq_u32_e32 vcc_lo, 12, v0
	s_cbranch_vccnz .LBB57_452
; %bb.451:
	v_lshlrev_b32_e32 v0, 4, v0
	v_mov_b32_e32 v1, s58
	v_add_nc_u32_e32 v0, 16, v0
	s_clause 0x7
	buffer_load_dword v2, v0, s[0:3], 0 offen
	buffer_load_dword v3, v0, s[0:3], 0 offen offset:4
	buffer_load_dword v4, v0, s[0:3], 0 offen offset:8
	;; [unrolled: 1-line block ×6, first 2 shown]
	buffer_load_dword v9, v1, s[0:3], 0 offen
	s_waitcnt vmcnt(7)
	buffer_store_dword v2, v1, s[0:3], 0 offen
	s_waitcnt vmcnt(6)
	buffer_store_dword v3, v1, s[0:3], 0 offen offset:4
	s_waitcnt vmcnt(5)
	buffer_store_dword v4, v1, s[0:3], 0 offen offset:8
	;; [unrolled: 2-line block ×6, first 2 shown]
	s_waitcnt vmcnt(0)
	buffer_store_dword v9, v0, s[0:3], 0 offen
.LBB57_452:
	v_mov_b32_e32 v0, 0
	global_load_dword v1, v0, s[20:21] offset:44
	s_waitcnt vmcnt(0)
	v_add_nc_u32_e32 v1, -1, v1
	v_cmp_eq_u32_e32 vcc_lo, 11, v1
	s_cbranch_vccnz .LBB57_454
; %bb.453:
	v_lshlrev_b32_e32 v1, 4, v1
	v_mov_b32_e32 v2, s59
	v_add_nc_u32_e32 v1, 16, v1
	s_clause 0x7
	buffer_load_dword v3, v1, s[0:3], 0 offen
	buffer_load_dword v4, v1, s[0:3], 0 offen offset:4
	buffer_load_dword v5, v1, s[0:3], 0 offen offset:8
	;; [unrolled: 1-line block ×6, first 2 shown]
	buffer_load_dword v10, v2, s[0:3], 0 offen
	s_waitcnt vmcnt(7)
	buffer_store_dword v3, v2, s[0:3], 0 offen
	s_waitcnt vmcnt(6)
	buffer_store_dword v4, v2, s[0:3], 0 offen offset:4
	s_waitcnt vmcnt(5)
	buffer_store_dword v5, v2, s[0:3], 0 offen offset:8
	;; [unrolled: 2-line block ×6, first 2 shown]
	s_waitcnt vmcnt(0)
	buffer_store_dword v10, v1, s[0:3], 0 offen
.LBB57_454:
	global_load_dword v0, v0, s[20:21] offset:40
	s_waitcnt vmcnt(0)
	v_add_nc_u32_e32 v0, -1, v0
	v_cmp_eq_u32_e32 vcc_lo, 10, v0
	s_cbranch_vccnz .LBB57_456
; %bb.455:
	v_lshlrev_b32_e32 v0, 4, v0
	v_mov_b32_e32 v1, s60
	v_add_nc_u32_e32 v0, 16, v0
	s_clause 0x7
	buffer_load_dword v2, v0, s[0:3], 0 offen
	buffer_load_dword v3, v0, s[0:3], 0 offen offset:4
	buffer_load_dword v4, v0, s[0:3], 0 offen offset:8
	;; [unrolled: 1-line block ×6, first 2 shown]
	buffer_load_dword v9, v1, s[0:3], 0 offen
	s_waitcnt vmcnt(7)
	buffer_store_dword v2, v1, s[0:3], 0 offen
	s_waitcnt vmcnt(6)
	buffer_store_dword v3, v1, s[0:3], 0 offen offset:4
	s_waitcnt vmcnt(5)
	buffer_store_dword v4, v1, s[0:3], 0 offen offset:8
	;; [unrolled: 2-line block ×6, first 2 shown]
	s_waitcnt vmcnt(0)
	buffer_store_dword v9, v0, s[0:3], 0 offen
.LBB57_456:
	v_mov_b32_e32 v0, 0
	global_load_dword v1, v0, s[20:21] offset:36
	s_waitcnt vmcnt(0)
	v_add_nc_u32_e32 v1, -1, v1
	v_cmp_eq_u32_e32 vcc_lo, 9, v1
	s_cbranch_vccnz .LBB57_458
; %bb.457:
	v_lshlrev_b32_e32 v1, 4, v1
	v_mov_b32_e32 v2, s61
	v_add_nc_u32_e32 v1, 16, v1
	s_clause 0x7
	buffer_load_dword v3, v1, s[0:3], 0 offen
	buffer_load_dword v4, v1, s[0:3], 0 offen offset:4
	buffer_load_dword v5, v1, s[0:3], 0 offen offset:8
	;; [unrolled: 1-line block ×6, first 2 shown]
	buffer_load_dword v10, v2, s[0:3], 0 offen
	s_waitcnt vmcnt(7)
	buffer_store_dword v3, v2, s[0:3], 0 offen
	s_waitcnt vmcnt(6)
	buffer_store_dword v4, v2, s[0:3], 0 offen offset:4
	s_waitcnt vmcnt(5)
	buffer_store_dword v5, v2, s[0:3], 0 offen offset:8
	;; [unrolled: 2-line block ×6, first 2 shown]
	s_waitcnt vmcnt(0)
	buffer_store_dword v10, v1, s[0:3], 0 offen
.LBB57_458:
	global_load_dword v0, v0, s[20:21] offset:32
	s_waitcnt vmcnt(0)
	v_add_nc_u32_e32 v0, -1, v0
	v_cmp_eq_u32_e32 vcc_lo, 8, v0
	s_cbranch_vccnz .LBB57_460
; %bb.459:
	v_lshlrev_b32_e32 v0, 4, v0
	v_mov_b32_e32 v1, s62
	v_add_nc_u32_e32 v0, 16, v0
	s_clause 0x7
	buffer_load_dword v2, v0, s[0:3], 0 offen
	buffer_load_dword v3, v0, s[0:3], 0 offen offset:4
	buffer_load_dword v4, v0, s[0:3], 0 offen offset:8
	;; [unrolled: 1-line block ×6, first 2 shown]
	buffer_load_dword v9, v1, s[0:3], 0 offen
	s_waitcnt vmcnt(7)
	buffer_store_dword v2, v1, s[0:3], 0 offen
	s_waitcnt vmcnt(6)
	buffer_store_dword v3, v1, s[0:3], 0 offen offset:4
	s_waitcnt vmcnt(5)
	buffer_store_dword v4, v1, s[0:3], 0 offen offset:8
	;; [unrolled: 2-line block ×6, first 2 shown]
	s_waitcnt vmcnt(0)
	buffer_store_dword v9, v0, s[0:3], 0 offen
.LBB57_460:
	v_mov_b32_e32 v0, 0
	global_load_dword v1, v0, s[20:21] offset:28
	s_waitcnt vmcnt(0)
	v_add_nc_u32_e32 v1, -1, v1
	v_cmp_eq_u32_e32 vcc_lo, 7, v1
	s_cbranch_vccnz .LBB57_462
; %bb.461:
	v_lshlrev_b32_e32 v1, 4, v1
	v_mov_b32_e32 v2, s63
	v_add_nc_u32_e32 v1, 16, v1
	s_clause 0x7
	buffer_load_dword v3, v1, s[0:3], 0 offen
	buffer_load_dword v4, v1, s[0:3], 0 offen offset:4
	buffer_load_dword v5, v1, s[0:3], 0 offen offset:8
	;; [unrolled: 1-line block ×6, first 2 shown]
	buffer_load_dword v10, v2, s[0:3], 0 offen
	s_waitcnt vmcnt(7)
	buffer_store_dword v3, v2, s[0:3], 0 offen
	s_waitcnt vmcnt(6)
	buffer_store_dword v4, v2, s[0:3], 0 offen offset:4
	s_waitcnt vmcnt(5)
	buffer_store_dword v5, v2, s[0:3], 0 offen offset:8
	;; [unrolled: 2-line block ×6, first 2 shown]
	s_waitcnt vmcnt(0)
	buffer_store_dword v10, v1, s[0:3], 0 offen
.LBB57_462:
	global_load_dword v0, v0, s[20:21] offset:24
	s_waitcnt vmcnt(0)
	v_add_nc_u32_e32 v0, -1, v0
	v_cmp_eq_u32_e32 vcc_lo, 6, v0
	s_cbranch_vccnz .LBB57_464
; %bb.463:
	v_lshlrev_b32_e32 v0, 4, v0
	v_mov_b32_e32 v1, s64
	v_add_nc_u32_e32 v0, 16, v0
	s_clause 0x7
	buffer_load_dword v2, v0, s[0:3], 0 offen
	buffer_load_dword v3, v0, s[0:3], 0 offen offset:4
	buffer_load_dword v4, v0, s[0:3], 0 offen offset:8
	;; [unrolled: 1-line block ×6, first 2 shown]
	buffer_load_dword v9, v1, s[0:3], 0 offen
	s_waitcnt vmcnt(7)
	buffer_store_dword v2, v1, s[0:3], 0 offen
	s_waitcnt vmcnt(6)
	buffer_store_dword v3, v1, s[0:3], 0 offen offset:4
	s_waitcnt vmcnt(5)
	buffer_store_dword v4, v1, s[0:3], 0 offen offset:8
	;; [unrolled: 2-line block ×6, first 2 shown]
	s_waitcnt vmcnt(0)
	buffer_store_dword v9, v0, s[0:3], 0 offen
.LBB57_464:
	v_mov_b32_e32 v0, 0
	global_load_dword v1, v0, s[20:21] offset:20
	s_waitcnt vmcnt(0)
	v_add_nc_u32_e32 v1, -1, v1
	v_cmp_eq_u32_e32 vcc_lo, 5, v1
	s_cbranch_vccnz .LBB57_466
; %bb.465:
	v_lshlrev_b32_e32 v1, 4, v1
	v_mov_b32_e32 v2, s65
	v_add_nc_u32_e32 v1, 16, v1
	s_clause 0x7
	buffer_load_dword v3, v1, s[0:3], 0 offen
	buffer_load_dword v4, v1, s[0:3], 0 offen offset:4
	buffer_load_dword v5, v1, s[0:3], 0 offen offset:8
	;; [unrolled: 1-line block ×6, first 2 shown]
	buffer_load_dword v10, v2, s[0:3], 0 offen
	s_waitcnt vmcnt(7)
	buffer_store_dword v3, v2, s[0:3], 0 offen
	s_waitcnt vmcnt(6)
	buffer_store_dword v4, v2, s[0:3], 0 offen offset:4
	s_waitcnt vmcnt(5)
	buffer_store_dword v5, v2, s[0:3], 0 offen offset:8
	;; [unrolled: 2-line block ×6, first 2 shown]
	s_waitcnt vmcnt(0)
	buffer_store_dword v10, v1, s[0:3], 0 offen
.LBB57_466:
	global_load_dword v0, v0, s[20:21] offset:16
	s_waitcnt vmcnt(0)
	v_add_nc_u32_e32 v0, -1, v0
	v_cmp_eq_u32_e32 vcc_lo, 4, v0
	s_cbranch_vccnz .LBB57_468
; %bb.467:
	v_lshlrev_b32_e32 v0, 4, v0
	v_mov_b32_e32 v1, s66
	v_add_nc_u32_e32 v0, 16, v0
	s_clause 0x7
	buffer_load_dword v2, v0, s[0:3], 0 offen
	buffer_load_dword v3, v0, s[0:3], 0 offen offset:4
	buffer_load_dword v4, v0, s[0:3], 0 offen offset:8
	;; [unrolled: 1-line block ×6, first 2 shown]
	buffer_load_dword v9, v1, s[0:3], 0 offen
	s_waitcnt vmcnt(7)
	buffer_store_dword v2, v1, s[0:3], 0 offen
	s_waitcnt vmcnt(6)
	buffer_store_dword v3, v1, s[0:3], 0 offen offset:4
	s_waitcnt vmcnt(5)
	buffer_store_dword v4, v1, s[0:3], 0 offen offset:8
	;; [unrolled: 2-line block ×6, first 2 shown]
	s_waitcnt vmcnt(0)
	buffer_store_dword v9, v0, s[0:3], 0 offen
.LBB57_468:
	v_mov_b32_e32 v0, 0
	global_load_dword v1, v0, s[20:21] offset:12
	s_waitcnt vmcnt(0)
	v_add_nc_u32_e32 v1, -1, v1
	v_cmp_eq_u32_e32 vcc_lo, 3, v1
	s_cbranch_vccnz .LBB57_470
; %bb.469:
	v_lshlrev_b32_e32 v1, 4, v1
	v_mov_b32_e32 v2, s67
	v_add_nc_u32_e32 v1, 16, v1
	s_clause 0x7
	buffer_load_dword v3, v1, s[0:3], 0 offen
	buffer_load_dword v4, v1, s[0:3], 0 offen offset:4
	buffer_load_dword v5, v1, s[0:3], 0 offen offset:8
	;; [unrolled: 1-line block ×6, first 2 shown]
	buffer_load_dword v10, v2, s[0:3], 0 offen
	s_waitcnt vmcnt(7)
	buffer_store_dword v3, v2, s[0:3], 0 offen
	s_waitcnt vmcnt(6)
	buffer_store_dword v4, v2, s[0:3], 0 offen offset:4
	s_waitcnt vmcnt(5)
	buffer_store_dword v5, v2, s[0:3], 0 offen offset:8
	;; [unrolled: 2-line block ×6, first 2 shown]
	s_waitcnt vmcnt(0)
	buffer_store_dword v10, v1, s[0:3], 0 offen
.LBB57_470:
	global_load_dword v0, v0, s[20:21] offset:8
	s_waitcnt vmcnt(0)
	v_add_nc_u32_e32 v0, -1, v0
	v_cmp_eq_u32_e32 vcc_lo, 2, v0
	s_cbranch_vccnz .LBB57_472
; %bb.471:
	v_lshlrev_b32_e32 v0, 4, v0
	v_mov_b32_e32 v1, s68
	v_add_nc_u32_e32 v0, 16, v0
	s_clause 0x7
	buffer_load_dword v2, v0, s[0:3], 0 offen
	buffer_load_dword v3, v0, s[0:3], 0 offen offset:4
	buffer_load_dword v4, v0, s[0:3], 0 offen offset:8
	buffer_load_dword v5, v0, s[0:3], 0 offen offset:12
	buffer_load_dword v6, v1, s[0:3], 0 offen offset:12
	buffer_load_dword v7, v1, s[0:3], 0 offen offset:8
	buffer_load_dword v8, v1, s[0:3], 0 offen offset:4
	buffer_load_dword v9, v1, s[0:3], 0 offen
	s_waitcnt vmcnt(7)
	buffer_store_dword v2, v1, s[0:3], 0 offen
	s_waitcnt vmcnt(6)
	buffer_store_dword v3, v1, s[0:3], 0 offen offset:4
	s_waitcnt vmcnt(5)
	buffer_store_dword v4, v1, s[0:3], 0 offen offset:8
	;; [unrolled: 2-line block ×6, first 2 shown]
	s_waitcnt vmcnt(0)
	buffer_store_dword v9, v0, s[0:3], 0 offen
.LBB57_472:
	v_mov_b32_e32 v0, 0
	global_load_dword v1, v0, s[20:21] offset:4
	s_waitcnt vmcnt(0)
	v_add_nc_u32_e32 v1, -1, v1
	v_cmp_eq_u32_e32 vcc_lo, 1, v1
	s_cbranch_vccnz .LBB57_474
; %bb.473:
	v_lshlrev_b32_e32 v1, 4, v1
	v_mov_b32_e32 v2, s69
	v_add_nc_u32_e32 v1, 16, v1
	s_clause 0x7
	buffer_load_dword v3, v1, s[0:3], 0 offen
	buffer_load_dword v4, v1, s[0:3], 0 offen offset:4
	buffer_load_dword v5, v1, s[0:3], 0 offen offset:8
	;; [unrolled: 1-line block ×6, first 2 shown]
	buffer_load_dword v10, v2, s[0:3], 0 offen
	s_waitcnt vmcnt(7)
	buffer_store_dword v3, v2, s[0:3], 0 offen
	s_waitcnt vmcnt(6)
	buffer_store_dword v4, v2, s[0:3], 0 offen offset:4
	s_waitcnt vmcnt(5)
	buffer_store_dword v5, v2, s[0:3], 0 offen offset:8
	;; [unrolled: 2-line block ×6, first 2 shown]
	s_waitcnt vmcnt(0)
	buffer_store_dword v10, v1, s[0:3], 0 offen
.LBB57_474:
	global_load_dword v0, v0, s[20:21]
	s_waitcnt vmcnt(0)
	v_add_nc_u32_e32 v0, -1, v0
	v_cmp_eq_u32_e32 vcc_lo, 0, v0
	s_cbranch_vccnz .LBB57_476
; %bb.475:
	v_lshlrev_b32_e32 v0, 4, v0
	v_add_nc_u32_e32 v0, 16, v0
	s_clause 0x7
	buffer_load_dword v1, v0, s[0:3], 0 offen
	buffer_load_dword v2, v0, s[0:3], 0 offen offset:4
	buffer_load_dword v3, v0, s[0:3], 0 offen offset:8
	buffer_load_dword v4, v0, s[0:3], 0 offen offset:12
	buffer_load_dword v5, off, s[0:3], 0 offset:28
	buffer_load_dword v6, off, s[0:3], 0 offset:24
	;; [unrolled: 1-line block ×4, first 2 shown]
	s_waitcnt vmcnt(7)
	buffer_store_dword v1, off, s[0:3], 0 offset:16
	s_waitcnt vmcnt(6)
	buffer_store_dword v2, off, s[0:3], 0 offset:20
	;; [unrolled: 2-line block ×4, first 2 shown]
	s_waitcnt vmcnt(3)
	buffer_store_dword v5, v0, s[0:3], 0 offen offset:12
	s_waitcnt vmcnt(2)
	buffer_store_dword v6, v0, s[0:3], 0 offen offset:8
	;; [unrolled: 2-line block ×3, first 2 shown]
	s_waitcnt vmcnt(0)
	buffer_store_dword v8, v0, s[0:3], 0 offen
.LBB57_476:
	v_mov_b32_e32 v7, s69
	v_mov_b32_e32 v11, s68
	;; [unrolled: 1-line block ×5, first 2 shown]
	s_clause 0x17
	buffer_load_dword v0, off, s[0:3], 0 offset:16
	buffer_load_dword v1, off, s[0:3], 0 offset:20
	;; [unrolled: 1-line block ×4, first 2 shown]
	buffer_load_dword v4, v7, s[0:3], 0 offen
	buffer_load_dword v5, v7, s[0:3], 0 offen offset:4
	buffer_load_dword v6, v7, s[0:3], 0 offen offset:8
	buffer_load_dword v7, v7, s[0:3], 0 offen offset:12
	buffer_load_dword v8, v11, s[0:3], 0 offen
	buffer_load_dword v9, v11, s[0:3], 0 offen offset:4
	buffer_load_dword v10, v11, s[0:3], 0 offen offset:8
	buffer_load_dword v11, v11, s[0:3], 0 offen offset:12
	;; [unrolled: 4-line block ×5, first 2 shown]
	v_mov_b32_e32 v20, s64
	s_clause 0x3
	buffer_load_dword v28, v20, s[0:3], 0 offen
	buffer_load_dword v29, v20, s[0:3], 0 offen offset:4
	buffer_load_dword v30, v20, s[0:3], 0 offen offset:8
	buffer_load_dword v31, v20, s[0:3], 0 offen offset:12
	v_mov_b32_e32 v20, s63
	s_clause 0x3
	buffer_load_dword v32, v20, s[0:3], 0 offen
	buffer_load_dword v33, v20, s[0:3], 0 offen offset:4
	buffer_load_dword v34, v20, s[0:3], 0 offen offset:8
	buffer_load_dword v35, v20, s[0:3], 0 offen offset:12
	;; [unrolled: 6-line block ×8, first 2 shown]
	v_mov_b32_e32 v20, s56
	v_mov_b32_e32 v23, s55
	;; [unrolled: 1-line block ×16, first 2 shown]
	s_clause 0x7
	buffer_load_dword v60, v20, s[0:3], 0 offen
	buffer_load_dword v61, v20, s[0:3], 0 offen offset:4
	buffer_load_dword v62, v20, s[0:3], 0 offen offset:8
	buffer_load_dword v63, v20, s[0:3], 0 offen offset:12
	buffer_load_dword v20, v23, s[0:3], 0 offen
	buffer_load_dword v21, v23, s[0:3], 0 offen offset:4
	buffer_load_dword v22, v23, s[0:3], 0 offen offset:8
	;; [unrolled: 1-line block ×3, first 2 shown]
	v_mov_b32_e32 v140, s43
	v_mov_b32_e32 v153, s36
	s_clause 0x27
	buffer_load_dword v93, v72, s[0:3], 0 offen
	buffer_load_dword v94, v72, s[0:3], 0 offen offset:4
	buffer_load_dword v95, v72, s[0:3], 0 offen offset:8
	buffer_load_dword v96, v72, s[0:3], 0 offen offset:12
	buffer_load_dword v101, v104, s[0:3], 0 offen
	buffer_load_dword v102, v104, s[0:3], 0 offen offset:4
	buffer_load_dword v103, v104, s[0:3], 0 offen offset:8
	buffer_load_dword v104, v104, s[0:3], 0 offen offset:12
	;; [unrolled: 4-line block ×10, first 2 shown]
	v_mov_b32_e32 v144, s41
	v_mov_b32_e32 v187, s34
	v_mov_b32_e32 v148, s39
	v_mov_b32_e32 v241, s31
	v_mov_b32_e32 v152, s37
	v_mov_b32_e32 v156, s35
	v_mov_b32_e32 v188, s33
	v_mov_b32_e32 v242, s30
	v_mov_b32_e32 v243, s29
	v_mov_b32_e32 v245, s27
	v_mov_b32_e32 v247, s25
	v_mov_b32_e32 v249, s23
	v_mov_b32_e32 v244, s28
	v_mov_b32_e32 v251, s19
	v_mov_b32_e32 v246, s26
	v_mov_b32_e32 v253, s17
	v_mov_b32_e32 v248, s24
	v_mov_b32_e32 v182, s15
	v_mov_b32_e32 v250, s22
	v_mov_b32_e32 v184, s13
	v_mov_b32_e32 v252, s18
	v_mov_b32_e32 v254, s9
	v_mov_b32_e32 v181, s16
	v_mov_b32_e32 v183, s14
	v_mov_b32_e32 v186, s12
	v_mov_b32_e32 v72, s8
	s_waitcnt vmcnt(62)
	global_store_dwordx4 v[157:158], v[0:3], off
	s_clause 0x7
	buffer_load_dword v0, v137, s[0:3], 0 offen
	buffer_load_dword v1, v137, s[0:3], 0 offen offset:4
	buffer_load_dword v2, v137, s[0:3], 0 offen offset:8
	buffer_load_dword v3, v137, s[0:3], 0 offen offset:12
	buffer_load_dword v137, v140, s[0:3], 0 offen
	buffer_load_dword v138, v140, s[0:3], 0 offen offset:4
	buffer_load_dword v139, v140, s[0:3], 0 offen offset:8
	buffer_load_dword v140, v140, s[0:3], 0 offen offset:12
	global_store_dwordx4 v[159:160], v[4:7], off
	s_clause 0x7
	buffer_load_dword v4, v141, s[0:3], 0 offen
	buffer_load_dword v5, v141, s[0:3], 0 offen offset:4
	buffer_load_dword v6, v141, s[0:3], 0 offen offset:8
	buffer_load_dword v7, v141, s[0:3], 0 offen offset:12
	buffer_load_dword v141, v144, s[0:3], 0 offen
	buffer_load_dword v142, v144, s[0:3], 0 offen offset:4
	buffer_load_dword v143, v144, s[0:3], 0 offen offset:8
	buffer_load_dword v144, v144, s[0:3], 0 offen offset:12
	;; [unrolled: 10-line block ×10, first 2 shown]
	s_waitcnt vmcnt(62)
	global_store_dwordx4 v[177:178], v[44:47], off
	s_clause 0x7
	buffer_load_dword v44, v249, s[0:3], 0 offen
	buffer_load_dword v45, v249, s[0:3], 0 offen offset:4
	buffer_load_dword v46, v249, s[0:3], 0 offen offset:8
	buffer_load_dword v47, v249, s[0:3], 0 offen offset:12
	buffer_load_dword v241, v250, s[0:3], 0 offen
	buffer_load_dword v242, v250, s[0:3], 0 offen offset:4
	buffer_load_dword v243, v250, s[0:3], 0 offen offset:8
	buffer_load_dword v244, v250, s[0:3], 0 offen offset:12
	global_store_dwordx4 v[179:180], v[48:51], off
	s_clause 0x7
	buffer_load_dword v48, v251, s[0:3], 0 offen
	buffer_load_dword v49, v251, s[0:3], 0 offen offset:4
	buffer_load_dword v50, v251, s[0:3], 0 offen offset:8
	buffer_load_dword v51, v251, s[0:3], 0 offen offset:12
	buffer_load_dword v177, v252, s[0:3], 0 offen
	buffer_load_dword v178, v252, s[0:3], 0 offen offset:4
	buffer_load_dword v179, v252, s[0:3], 0 offen offset:8
	buffer_load_dword v180, v252, s[0:3], 0 offen offset:12
	;; [unrolled: 10-line block ×6, first 2 shown]
	global_store_dwordx4 v[195:196], v[93:96], off
	global_store_dwordx4 v[199:200], v[101:104], off
	;; [unrolled: 1-line block ×14, first 2 shown]
	s_waitcnt vmcnt(62)
	global_store_dwordx4 v[225:226], v[8:11], off
	global_store_dwordx4 v[227:228], v[145:148], off
	;; [unrolled: 1-line block ×10, first 2 shown]
	s_clause 0x1
	buffer_load_dword v0, off, s[0:3], 0 offset:944
	buffer_load_dword v1, off, s[0:3], 0 offset:948
	s_waitcnt vmcnt(0)
	global_store_dwordx4 v[0:1], v[32:35], off
	s_clause 0x1
	buffer_load_dword v0, off, s[0:3], 0 offset:952
	buffer_load_dword v1, off, s[0:3], 0 offset:956
	s_waitcnt vmcnt(0)
	global_store_dwordx4 v[0:1], v[165:168], off
	;; [unrolled: 5-line block ×4, first 2 shown]
	global_store_dwordx4 v[64:65], v[40:43], off
	global_store_dwordx4 v[66:67], v[173:176], off
	global_store_dwordx4 v[68:69], v[44:47], off
	global_store_dwordx4 v[70:71], v[241:244], off
	global_store_dwordx4 v[77:78], v[48:51], off
	global_store_dwordx4 v[79:80], v[177:180], off
	global_store_dwordx4 v[81:82], v[52:55], off
	global_store_dwordx4 v[83:84], v[245:248], off
	global_store_dwordx4 v[85:86], v[56:59], off
	global_store_dwordx4 v[87:88], v[249:252], off
	global_store_dwordx4 v[89:90], v[60:63], off
	global_store_dwordx4 v[91:92], v[183:186], off
	global_store_dwordx4 v[99:100], v[20:23], off
	global_store_dwordx4 v[97:98], v[187:190], off
	s_endpgm
	.section	.rodata,"a",@progbits
	.p2align	6, 0x0
	.amdhsa_kernel _ZN9rocsolver6v33100L18getri_kernel_smallILi58E19rocblas_complex_numIdEPS3_EEvT1_iilPiilS6_bb
		.amdhsa_group_segment_fixed_size 1864
		.amdhsa_private_segment_fixed_size 992
		.amdhsa_kernarg_size 60
		.amdhsa_user_sgpr_count 6
		.amdhsa_user_sgpr_private_segment_buffer 1
		.amdhsa_user_sgpr_dispatch_ptr 0
		.amdhsa_user_sgpr_queue_ptr 0
		.amdhsa_user_sgpr_kernarg_segment_ptr 1
		.amdhsa_user_sgpr_dispatch_id 0
		.amdhsa_user_sgpr_flat_scratch_init 0
		.amdhsa_user_sgpr_private_segment_size 0
		.amdhsa_wavefront_size32 1
		.amdhsa_uses_dynamic_stack 0
		.amdhsa_system_sgpr_private_segment_wavefront_offset 1
		.amdhsa_system_sgpr_workgroup_id_x 1
		.amdhsa_system_sgpr_workgroup_id_y 0
		.amdhsa_system_sgpr_workgroup_id_z 0
		.amdhsa_system_sgpr_workgroup_info 0
		.amdhsa_system_vgpr_workitem_id 0
		.amdhsa_next_free_vgpr 256
		.amdhsa_next_free_sgpr 74
		.amdhsa_reserve_vcc 1
		.amdhsa_reserve_flat_scratch 0
		.amdhsa_float_round_mode_32 0
		.amdhsa_float_round_mode_16_64 0
		.amdhsa_float_denorm_mode_32 3
		.amdhsa_float_denorm_mode_16_64 3
		.amdhsa_dx10_clamp 1
		.amdhsa_ieee_mode 1
		.amdhsa_fp16_overflow 0
		.amdhsa_workgroup_processor_mode 1
		.amdhsa_memory_ordered 1
		.amdhsa_forward_progress 1
		.amdhsa_shared_vgpr_count 0
		.amdhsa_exception_fp_ieee_invalid_op 0
		.amdhsa_exception_fp_denorm_src 0
		.amdhsa_exception_fp_ieee_div_zero 0
		.amdhsa_exception_fp_ieee_overflow 0
		.amdhsa_exception_fp_ieee_underflow 0
		.amdhsa_exception_fp_ieee_inexact 0
		.amdhsa_exception_int_div_zero 0
	.end_amdhsa_kernel
	.section	.text._ZN9rocsolver6v33100L18getri_kernel_smallILi58E19rocblas_complex_numIdEPS3_EEvT1_iilPiilS6_bb,"axG",@progbits,_ZN9rocsolver6v33100L18getri_kernel_smallILi58E19rocblas_complex_numIdEPS3_EEvT1_iilPiilS6_bb,comdat
.Lfunc_end57:
	.size	_ZN9rocsolver6v33100L18getri_kernel_smallILi58E19rocblas_complex_numIdEPS3_EEvT1_iilPiilS6_bb, .Lfunc_end57-_ZN9rocsolver6v33100L18getri_kernel_smallILi58E19rocblas_complex_numIdEPS3_EEvT1_iilPiilS6_bb
                                        ; -- End function
	.set _ZN9rocsolver6v33100L18getri_kernel_smallILi58E19rocblas_complex_numIdEPS3_EEvT1_iilPiilS6_bb.num_vgpr, 256
	.set _ZN9rocsolver6v33100L18getri_kernel_smallILi58E19rocblas_complex_numIdEPS3_EEvT1_iilPiilS6_bb.num_agpr, 0
	.set _ZN9rocsolver6v33100L18getri_kernel_smallILi58E19rocblas_complex_numIdEPS3_EEvT1_iilPiilS6_bb.numbered_sgpr, 74
	.set _ZN9rocsolver6v33100L18getri_kernel_smallILi58E19rocblas_complex_numIdEPS3_EEvT1_iilPiilS6_bb.num_named_barrier, 0
	.set _ZN9rocsolver6v33100L18getri_kernel_smallILi58E19rocblas_complex_numIdEPS3_EEvT1_iilPiilS6_bb.private_seg_size, 992
	.set _ZN9rocsolver6v33100L18getri_kernel_smallILi58E19rocblas_complex_numIdEPS3_EEvT1_iilPiilS6_bb.uses_vcc, 1
	.set _ZN9rocsolver6v33100L18getri_kernel_smallILi58E19rocblas_complex_numIdEPS3_EEvT1_iilPiilS6_bb.uses_flat_scratch, 0
	.set _ZN9rocsolver6v33100L18getri_kernel_smallILi58E19rocblas_complex_numIdEPS3_EEvT1_iilPiilS6_bb.has_dyn_sized_stack, 0
	.set _ZN9rocsolver6v33100L18getri_kernel_smallILi58E19rocblas_complex_numIdEPS3_EEvT1_iilPiilS6_bb.has_recursion, 0
	.set _ZN9rocsolver6v33100L18getri_kernel_smallILi58E19rocblas_complex_numIdEPS3_EEvT1_iilPiilS6_bb.has_indirect_call, 0
	.section	.AMDGPU.csdata,"",@progbits
; Kernel info:
; codeLenInByte = 217316
; TotalNumSgprs: 76
; NumVgprs: 256
; ScratchSize: 992
; MemoryBound: 0
; FloatMode: 240
; IeeeMode: 1
; LDSByteSize: 1864 bytes/workgroup (compile time only)
; SGPRBlocks: 0
; VGPRBlocks: 31
; NumSGPRsForWavesPerEU: 76
; NumVGPRsForWavesPerEU: 256
; Occupancy: 4
; WaveLimiterHint : 1
; COMPUTE_PGM_RSRC2:SCRATCH_EN: 1
; COMPUTE_PGM_RSRC2:USER_SGPR: 6
; COMPUTE_PGM_RSRC2:TRAP_HANDLER: 0
; COMPUTE_PGM_RSRC2:TGID_X_EN: 1
; COMPUTE_PGM_RSRC2:TGID_Y_EN: 0
; COMPUTE_PGM_RSRC2:TGID_Z_EN: 0
; COMPUTE_PGM_RSRC2:TIDIG_COMP_CNT: 0
	.section	.text._ZN9rocsolver6v33100L18getri_kernel_smallILi59E19rocblas_complex_numIdEPS3_EEvT1_iilPiilS6_bb,"axG",@progbits,_ZN9rocsolver6v33100L18getri_kernel_smallILi59E19rocblas_complex_numIdEPS3_EEvT1_iilPiilS6_bb,comdat
	.globl	_ZN9rocsolver6v33100L18getri_kernel_smallILi59E19rocblas_complex_numIdEPS3_EEvT1_iilPiilS6_bb ; -- Begin function _ZN9rocsolver6v33100L18getri_kernel_smallILi59E19rocblas_complex_numIdEPS3_EEvT1_iilPiilS6_bb
	.p2align	8
	.type	_ZN9rocsolver6v33100L18getri_kernel_smallILi59E19rocblas_complex_numIdEPS3_EEvT1_iilPiilS6_bb,@function
_ZN9rocsolver6v33100L18getri_kernel_smallILi59E19rocblas_complex_numIdEPS3_EEvT1_iilPiilS6_bb: ; @_ZN9rocsolver6v33100L18getri_kernel_smallILi59E19rocblas_complex_numIdEPS3_EEvT1_iilPiilS6_bb
; %bb.0:
	s_add_u32 s0, s0, s7
	s_addc_u32 s1, s1, 0
	s_mov_b32 s7, exec_lo
	v_cmpx_gt_u32_e32 59, v0
	s_cbranch_execz .LBB58_250
; %bb.1:
	s_clause 0x2
	s_load_dword s7, s[4:5], 0x38
	s_load_dwordx4 s[16:19], s[4:5], 0x10
	s_load_dwordx4 s[8:11], s[4:5], 0x28
                                        ; implicit-def: $sgpr20_sgpr21
	s_waitcnt lgkmcnt(0)
	s_bitcmp1_b32 s7, 8
	s_cselect_b32 s71, -1, 0
	s_bfe_u32 s12, s7, 0x10008
	s_ashr_i32 s7, s6, 31
	s_cmp_eq_u32 s12, 0
	s_cbranch_scc1 .LBB58_3
; %bb.2:
	s_load_dword s12, s[4:5], 0x20
	s_mul_i32 s13, s8, s7
	s_mul_hi_u32 s14, s8, s6
	s_mul_i32 s9, s9, s6
	s_add_i32 s13, s14, s13
	s_mul_i32 s8, s8, s6
	s_add_i32 s9, s13, s9
	s_lshl_b64 s[8:9], s[8:9], 2
	s_waitcnt lgkmcnt(0)
	s_ashr_i32 s13, s12, 31
	s_add_u32 s14, s18, s8
	s_addc_u32 s15, s19, s9
	s_lshl_b64 s[8:9], s[12:13], 2
	s_add_u32 s20, s14, s8
	s_addc_u32 s21, s15, s9
.LBB58_3:
	s_clause 0x1
	s_load_dwordx4 s[12:15], s[4:5], 0x0
	s_load_dword s72, s[4:5], 0x38
	s_mul_i32 s4, s16, s7
	s_mul_hi_u32 s5, s16, s6
	s_mul_i32 s8, s17, s6
	s_add_i32 s5, s5, s4
	s_mul_i32 s4, s16, s6
	s_add_i32 s5, s5, s8
	v_lshlrev_b32_e32 v243, 4, v0
	s_lshl_b64 s[4:5], s[4:5], 4
	s_mov_b32 s70, 32
	s_mov_b32 s69, 48
	;; [unrolled: 1-line block ×3, first 2 shown]
	s_movk_i32 s67, 0x50
	s_waitcnt lgkmcnt(0)
	v_add3_u32 v5, s15, s15, v0
	s_ashr_i32 s9, s14, 31
	s_mov_b32 s8, s14
	s_add_u32 s12, s12, s4
	s_addc_u32 s13, s13, s5
	v_add_nc_u32_e32 v7, s15, v5
	s_lshl_b64 s[4:5], s[8:9], 4
	v_ashrrev_i32_e32 v6, 31, v5
	s_add_u32 s4, s12, s4
	s_addc_u32 s5, s13, s5
	v_add_nc_u32_e32 v9, s15, v7
	v_add_co_u32 v157, s12, s4, v243
	s_mov_b32 s8, s15
	s_ashr_i32 s9, s15, 31
	v_lshlrev_b64 v[5:6], 4, v[5:6]
	v_ashrrev_i32_e32 v8, 31, v7
	v_add_co_ci_u32_e64 v158, null, s5, 0, s12
	s_lshl_b64 s[8:9], s[8:9], 4
	v_ashrrev_i32_e32 v10, 31, v9
	v_add_nc_u32_e32 v11, s15, v9
	v_add_co_u32 v181, vcc_lo, v157, s8
	v_lshlrev_b64 v[7:8], 4, v[7:8]
	v_add_co_ci_u32_e64 v182, null, s9, v158, vcc_lo
	v_add_co_u32 v161, vcc_lo, s4, v5
	v_add_co_ci_u32_e64 v162, null, s5, v6, vcc_lo
	v_lshlrev_b64 v[5:6], 4, v[9:10]
	v_ashrrev_i32_e32 v12, 31, v11
	v_add_nc_u32_e32 v9, s15, v11
	v_add_co_u32 v163, vcc_lo, s4, v7
	v_add_co_ci_u32_e64 v164, null, s5, v8, vcc_lo
	v_lshlrev_b64 v[7:8], 4, v[11:12]
	v_ashrrev_i32_e32 v10, 31, v9
	v_add_nc_u32_e32 v11, s15, v9
	;; [unrolled: 5-line block ×19, first 2 shown]
	v_add_co_u32 v199, vcc_lo, s4, v7
	v_add_co_ci_u32_e64 v200, null, s5, v8, vcc_lo
	v_lshlrev_b64 v[7:8], 4, v[11:12]
	v_add_nc_u32_e32 v11, s15, v9
	v_ashrrev_i32_e32 v10, 31, v9
	v_add_co_u32 v201, vcc_lo, s4, v5
	v_add_co_ci_u32_e64 v202, null, s5, v6, vcc_lo
	v_ashrrev_i32_e32 v12, 31, v11
	v_add_co_u32 v203, vcc_lo, s4, v7
	v_lshlrev_b64 v[5:6], 4, v[9:10]
	v_add_co_ci_u32_e64 v204, null, s5, v8, vcc_lo
	v_lshlrev_b64 v[7:8], 4, v[11:12]
	s_clause 0x1
	global_load_dwordx4 v[1:4], v243, s[4:5]
	global_load_dwordx4 v[29:32], v[161:162], off
	v_add_co_u32 v205, vcc_lo, s4, v5
	s_clause 0x1
	global_load_dwordx4 v[77:80], v[181:182], off
	global_load_dwordx4 v[41:44], v[167:168], off
	v_add_co_ci_u32_e64 v206, null, s5, v6, vcc_lo
	v_add_co_u32 v207, vcc_lo, s4, v7
	v_add_co_ci_u32_e64 v208, null, s5, v8, vcc_lo
	s_clause 0x15
	global_load_dwordx4 v[33:36], v[163:164], off
	global_load_dwordx4 v[37:40], v[165:166], off
	;; [unrolled: 1-line block ×22, first 2 shown]
	v_add_nc_u32_e32 v9, s15, v11
	s_movk_i32 s8, 0x150
	s_add_i32 s52, s8, 16
	s_movk_i32 s8, 0x170
	v_add_nc_u32_e32 v11, s15, v9
	v_ashrrev_i32_e32 v10, 31, v9
	s_add_i32 s48, s8, 16
	s_movk_i32 s8, 0x190
	v_add_nc_u32_e32 v13, s15, v11
	v_ashrrev_i32_e32 v12, 31, v11
	v_lshlrev_b64 v[9:10], 4, v[9:10]
	s_add_i32 s46, s8, 16
	s_movk_i32 s8, 0x1b0
	v_add_nc_u32_e32 v15, s15, v13
	v_ashrrev_i32_e32 v14, 31, v13
	v_lshlrev_b64 v[17:18], 4, v[11:12]
	v_add_co_u32 v209, vcc_lo, s4, v9
	v_add_nc_u32_e32 v19, s15, v15
	v_ashrrev_i32_e32 v16, 31, v15
	v_lshlrev_b64 v[13:14], 4, v[13:14]
	v_add_co_ci_u32_e64 v210, null, s5, v10, vcc_lo
	v_add_nc_u32_e32 v23, s15, v19
	v_ashrrev_i32_e32 v20, 31, v19
	v_lshlrev_b64 v[21:22], 4, v[15:16]
	v_add_co_u32 v211, vcc_lo, s4, v17
	v_add_nc_u32_e32 v27, s15, v23
	v_ashrrev_i32_e32 v24, 31, v23
	v_lshlrev_b64 v[25:26], 4, v[19:20]
	v_add_co_ci_u32_e64 v212, null, s5, v18, vcc_lo
	v_add_nc_u32_e32 v63, s15, v27
	v_ashrrev_i32_e32 v28, 31, v27
	v_add_co_u32 v213, vcc_lo, s4, v13
	v_lshlrev_b64 v[61:62], 4, v[23:24]
	v_add_nc_u32_e32 v71, s15, v63
	v_ashrrev_i32_e32 v64, 31, v63
	v_add_co_ci_u32_e64 v214, null, s5, v14, vcc_lo
	v_add_co_u32 v215, vcc_lo, s4, v21
	v_add_nc_u32_e32 v111, s15, v71
	v_ashrrev_i32_e32 v72, 31, v71
	v_lshlrev_b64 v[69:70], 4, v[27:28]
	v_add_co_ci_u32_e64 v216, null, s5, v22, vcc_lo
	v_add_nc_u32_e32 v115, s15, v111
	v_ashrrev_i32_e32 v112, 31, v111
	v_add_co_u32 v217, vcc_lo, s4, v25
	v_lshlrev_b64 v[109:110], 4, v[63:64]
	v_add_nc_u32_e32 v127, s15, v115
	v_ashrrev_i32_e32 v116, 31, v115
	v_add_co_ci_u32_e64 v218, null, s5, v26, vcc_lo
	v_add_co_u32 v219, vcc_lo, s4, v61
	v_add_nc_u32_e32 v135, s15, v127
	v_lshlrev_b64 v[113:114], 4, v[71:72]
	v_ashrrev_i32_e32 v128, 31, v127
	v_add_co_ci_u32_e64 v220, null, s5, v62, vcc_lo
	v_add_nc_u32_e32 v151, s15, v135
	v_add_co_u32 v221, vcc_lo, s4, v69
	v_lshlrev_b64 v[125:126], 4, v[111:112]
	v_ashrrev_i32_e32 v136, 31, v135
	v_add_nc_u32_e32 v155, s15, v151
	v_add_co_ci_u32_e64 v222, null, s5, v70, vcc_lo
	v_add_co_u32 v223, vcc_lo, s4, v109
	v_add_nc_u32_e32 v237, s15, v155
	v_lshlrev_b64 v[133:134], 4, v[115:116]
	v_ashrrev_i32_e32 v152, 31, v151
	v_add_co_ci_u32_e64 v224, null, s5, v110, vcc_lo
	v_add_nc_u32_e32 v241, s15, v237
	v_add_co_u32 v225, vcc_lo, s4, v113
	v_lshlrev_b64 v[149:150], 4, v[127:128]
	v_ashrrev_i32_e32 v156, 31, v155
	v_add_co_ci_u32_e64 v226, null, s5, v114, vcc_lo
	v_add_co_u32 v227, vcc_lo, s4, v125
	v_lshlrev_b64 v[153:154], 4, v[135:136]
	v_add_co_ci_u32_e64 v228, null, s5, v126, vcc_lo
	v_add_co_u32 v229, vcc_lo, s4, v133
	v_lshlrev_b64 v[235:236], 4, v[151:152]
	v_add_nc_u32_e32 v248, s15, v241
	v_ashrrev_i32_e32 v238, 31, v237
	v_add_co_ci_u32_e64 v230, null, s5, v134, vcc_lo
	v_add_co_u32 v231, vcc_lo, s4, v149
	v_lshlrev_b64 v[239:240], 4, v[155:156]
	v_ashrrev_i32_e32 v242, 31, v241
	v_add_co_ci_u32_e64 v232, null, s5, v150, vcc_lo
	v_add_co_u32 v233, vcc_lo, s4, v153
	v_ashrrev_i32_e32 v249, 31, v248
	v_add_co_ci_u32_e64 v234, null, s5, v154, vcc_lo
	v_add_co_u32 v235, vcc_lo, s4, v235
	v_lshlrev_b64 v[244:245], 4, v[237:238]
	v_add_nc_u32_e32 v250, s15, v248
	v_add_co_ci_u32_e64 v236, null, s5, v236, vcc_lo
	v_add_co_u32 v237, vcc_lo, s4, v239
	v_lshlrev_b64 v[241:242], 4, v[241:242]
	v_add_co_ci_u32_e64 v238, null, s5, v240, vcc_lo
	v_lshlrev_b64 v[248:249], 4, v[248:249]
	v_add_nc_u32_e32 v252, s15, v250
	v_add_co_u32 v239, vcc_lo, s4, v244
	s_clause 0xc
	global_load_dwordx4 v[9:12], v[209:210], off
	global_load_dwordx4 v[17:20], v[211:212], off
	;; [unrolled: 1-line block ×13, first 2 shown]
	s_waitcnt vmcnt(38)
	buffer_store_dword v4, off, s[0:3], 0 offset:28
	buffer_store_dword v3, off, s[0:3], 0 offset:24
	;; [unrolled: 1-line block ×4, first 2 shown]
	v_add_co_ci_u32_e64 v240, null, s5, v245, vcc_lo
	s_clause 0x1
	global_load_dwordx4 v[1:4], v[235:236], off
	global_load_dwordx4 v[244:247], v[237:238], off
	s_waitcnt vmcnt(38)
	buffer_store_dword v80, off, s[0:3], 0 offset:44
	buffer_store_dword v79, off, s[0:3], 0 offset:40
	;; [unrolled: 1-line block ×4, first 2 shown]
	v_add_co_u32 v77, vcc_lo, s4, v241
	v_add_co_ci_u32_e64 v78, null, s5, v242, vcc_lo
	v_add_co_u32 v79, vcc_lo, s4, v248
	v_add_nc_u32_e32 v248, s15, v252
	buffer_store_dword v32, off, s[0:3], 0 offset:60
	buffer_store_dword v31, off, s[0:3], 0 offset:56
	;; [unrolled: 1-line block ×4, first 2 shown]
	s_waitcnt vmcnt(36)
	buffer_store_dword v36, off, s[0:3], 0 offset:76
	buffer_store_dword v35, off, s[0:3], 0 offset:72
	buffer_store_dword v34, off, s[0:3], 0 offset:68
	buffer_store_dword v33, off, s[0:3], 0 offset:64
	s_clause 0x1
	global_load_dwordx4 v[29:32], v[239:240], off
	global_load_dwordx4 v[33:36], v[77:78], off
	s_waitcnt vmcnt(37)
	buffer_store_dword v40, off, s[0:3], 0 offset:92
	buffer_store_dword v39, off, s[0:3], 0 offset:88
	;; [unrolled: 1-line block ×8, first 2 shown]
	s_waitcnt vmcnt(36)
	buffer_store_dword v48, off, s[0:3], 0 offset:124
	buffer_store_dword v47, off, s[0:3], 0 offset:120
	buffer_store_dword v46, off, s[0:3], 0 offset:116
	buffer_store_dword v45, off, s[0:3], 0 offset:112
	s_waitcnt vmcnt(35)
	buffer_store_dword v52, off, s[0:3], 0 offset:140
	buffer_store_dword v51, off, s[0:3], 0 offset:136
	buffer_store_dword v50, off, s[0:3], 0 offset:132
	buffer_store_dword v49, off, s[0:3], 0 offset:128
	;; [unrolled: 5-line block ×4, first 2 shown]
	buffer_store_dword v65, off, s[0:3], 0 offset:176
	buffer_store_dword v66, off, s[0:3], 0 offset:180
	;; [unrolled: 1-line block ×4, first 2 shown]
	s_waitcnt vmcnt(30)
	buffer_store_dword v73, off, s[0:3], 0 offset:192
	buffer_store_dword v74, off, s[0:3], 0 offset:196
	;; [unrolled: 1-line block ×8, first 2 shown]
	s_waitcnt vmcnt(29)
	buffer_store_dword v88, off, s[0:3], 0 offset:236
	buffer_store_dword v87, off, s[0:3], 0 offset:232
	buffer_store_dword v86, off, s[0:3], 0 offset:228
	buffer_store_dword v85, off, s[0:3], 0 offset:224
	s_waitcnt vmcnt(28)
	buffer_store_dword v92, off, s[0:3], 0 offset:252
	buffer_store_dword v91, off, s[0:3], 0 offset:248
	buffer_store_dword v90, off, s[0:3], 0 offset:244
	buffer_store_dword v89, off, s[0:3], 0 offset:240
	;; [unrolled: 5-line block ×12, first 2 shown]
	s_waitcnt vmcnt(17)
	buffer_store_dword v8, off, s[0:3], 0 offset:428
	v_add_nc_u32_e32 v49, s15, v248
	v_ashrrev_i32_e32 v251, 31, v250
	v_ashrrev_i32_e32 v253, 31, v252
	v_add_co_ci_u32_e64 v80, null, s5, v249, vcc_lo
	v_add_nc_u32_e32 v53, s15, v49
	v_ashrrev_i32_e32 v249, 31, v248
	v_lshlrev_b64 v[241:242], 4, v[250:251]
	v_ashrrev_i32_e32 v50, 31, v49
	v_lshlrev_b64 v[45:46], 4, v[252:253]
	v_add_nc_u32_e32 v55, s15, v53
	v_ashrrev_i32_e32 v54, 31, v53
	v_lshlrev_b64 v[47:48], 4, v[248:249]
	v_add_co_u32 v241, vcc_lo, s4, v241
	v_add_nc_u32_e32 v59, s15, v55
	v_lshlrev_b64 v[57:58], 4, v[49:50]
	v_add_co_ci_u32_e64 v242, null, s5, v242, vcc_lo
	v_add_co_u32 v73, vcc_lo, s4, v45
	v_add_nc_u32_e32 v65, s15, v59
	v_lshlrev_b64 v[53:54], 4, v[53:54]
	v_ashrrev_i32_e32 v56, 31, v55
	v_add_co_ci_u32_e64 v74, null, s5, v46, vcc_lo
	v_add_nc_u32_e32 v89, s15, v65
	v_add_co_u32 v75, vcc_lo, s4, v47
	v_ashrrev_i32_e32 v60, 31, v59
	v_add_co_ci_u32_e64 v76, null, s5, v48, vcc_lo
	v_add_co_u32 v81, vcc_lo, s4, v57
	v_ashrrev_i32_e32 v66, 31, v65
	v_add_nc_u32_e32 v95, s15, v89
	v_add_co_ci_u32_e64 v82, null, s5, v58, vcc_lo
	v_lshlrev_b64 v[55:56], 4, v[55:56]
	v_add_co_u32 v83, vcc_lo, s4, v53
	v_ashrrev_i32_e32 v90, 31, v89
	v_add_co_ci_u32_e64 v84, null, s5, v54, vcc_lo
	v_lshlrev_b64 v[53:54], 4, v[59:60]
	v_lshlrev_b64 v[91:92], 4, v[65:66]
	v_add_nc_u32_e32 v97, s15, v95
	v_add_co_u32 v85, vcc_lo, s4, v55
	v_lshlrev_b64 v[93:94], 4, v[89:90]
	v_add_co_ci_u32_e64 v86, null, s5, v56, vcc_lo
	v_add_co_u32 v87, vcc_lo, s4, v53
	v_ashrrev_i32_e32 v96, 31, v95
	v_ashrrev_i32_e32 v98, 31, v97
	v_add_nc_u32_e32 v99, s15, v97
	v_add_co_ci_u32_e64 v88, null, s5, v54, vcc_lo
	v_add_co_u32 v89, vcc_lo, s4, v91
	v_add_co_ci_u32_e64 v90, null, s5, v92, vcc_lo
	v_add_co_u32 v91, vcc_lo, s4, v93
	v_add_co_ci_u32_e64 v92, null, s5, v94, vcc_lo
	v_lshlrev_b64 v[93:94], 4, v[95:96]
	v_lshlrev_b64 v[95:96], 4, v[97:98]
	v_add_nc_u32_e32 v97, s15, v99
	v_ashrrev_i32_e32 v100, 31, v99
	s_clause 0x3
	global_load_dwordx4 v[37:40], v[79:80], off
	global_load_dwordx4 v[41:44], v[241:242], off
	;; [unrolled: 1-line block ×4, first 2 shown]
	v_add_co_u32 v93, vcc_lo, s4, v93
	v_ashrrev_i32_e32 v98, 31, v97
	v_add_nc_u32_e32 v103, s15, v97
	v_lshlrev_b64 v[99:100], 4, v[99:100]
	v_add_co_ci_u32_e64 v94, null, s5, v94, vcc_lo
	v_lshlrev_b64 v[101:102], 4, v[97:98]
	v_add_nc_u32_e32 v248, s15, v103
	v_add_co_u32 v95, vcc_lo, s4, v95
	v_ashrrev_i32_e32 v104, 31, v103
	v_add_co_ci_u32_e64 v96, null, s5, v96, vcc_lo
	v_add_co_u32 v97, vcc_lo, s4, v99
	v_ashrrev_i32_e32 v249, 31, v248
	v_add_co_ci_u32_e64 v98, null, s5, v100, vcc_lo
	v_add_co_u32 v99, vcc_lo, s4, v101
	v_add_co_ci_u32_e64 v100, null, s5, v102, vcc_lo
	v_lshlrev_b64 v[101:102], 4, v[103:104]
	v_lshlrev_b64 v[248:249], 4, v[248:249]
	s_clause 0x6
	global_load_dwordx4 v[53:56], v[81:82], off
	global_load_dwordx4 v[57:60], v[83:84], off
	;; [unrolled: 1-line block ×7, first 2 shown]
	v_add_co_u32 v103, vcc_lo, s4, v101
	v_add_co_ci_u32_e64 v104, null, s5, v102, vcc_lo
	v_add_co_u32 v101, vcc_lo, s4, v248
	v_add_co_ci_u32_e64 v102, null, s5, v249, vcc_lo
	s_clause 0x3
	global_load_dwordx4 v[137:140], v[95:96], off
	global_load_dwordx4 v[141:144], v[97:98], off
	global_load_dwordx4 v[145:148], v[99:100], off
	global_load_dwordx4 v[248:251], v[103:104], off
	buffer_store_dword v7, off, s[0:3], 0 offset:424
	buffer_store_dword v6, off, s[0:3], 0 offset:420
	;; [unrolled: 1-line block ×3, first 2 shown]
	global_load_dwordx4 v[5:8], v[101:102], off
	s_movk_i32 s5, 0x60
	s_movk_i32 s4, 0x50
	s_add_i32 s65, s5, 16
	s_movk_i32 s5, 0x80
	s_add_i32 s66, s4, 16
	s_add_i32 s63, s5, 16
	s_movk_i32 s5, 0xa0
	s_movk_i32 s4, 0x70
	s_add_i32 s61, s5, 16
	s_movk_i32 s5, 0xc0
	s_add_i32 s64, s4, 16
	s_add_i32 s58, s5, 16
	;; [unrolled: 6-line block ×5, first 2 shown]
	s_movk_i32 s5, 0x1a0
	s_movk_i32 s4, 0xf0
	s_add_i32 s45, s5, 16
	s_movk_i32 s5, 0x1c0
	s_add_i32 s55, s4, 16
	;; [unrolled: 2-line block ×6, first 2 shown]
	s_add_i32 s39, s5, 16
	s_movk_i32 s5, 0x240
	s_movk_i32 s4, 0x230
	s_add_i32 s35, s5, 16
	s_add_i32 s36, s4, 16
	s_movk_i32 s4, 0x130
	s_movk_i32 s5, 0x260
	s_add_i32 s60, s4, 16
	;; [unrolled: 4-line block ×8, first 2 shown]
	s_movk_i32 s8, 0x1d0
	s_add_i32 s19, s4, 16
	s_add_i32 s18, s5, 16
	s_movk_i32 s4, 0x330
	s_movk_i32 s5, 0x340
	s_add_i32 s42, s8, 16
	s_movk_i32 s8, 0x1f0
	s_add_i32 s17, s4, 16
	s_add_i32 s16, s5, 16
	s_movk_i32 s4, 0x350
	s_movk_i32 s5, 0x360
	s_add_i32 s40, s8, 16
	;; [unrolled: 6-line block ×4, first 2 shown]
	s_add_i32 s9, s4, 16
	s_add_i32 s8, s5, 16
	s_bitcmp0_b32 s72, 0
	s_mov_b32 s5, -1
	s_waitcnt vmcnt(32)
	buffer_store_dword v12, off, s[0:3], 0 offset:444
	buffer_store_dword v11, off, s[0:3], 0 offset:440
	buffer_store_dword v10, off, s[0:3], 0 offset:436
	buffer_store_dword v9, off, s[0:3], 0 offset:432
	s_waitcnt vmcnt(31)
	buffer_store_dword v20, off, s[0:3], 0 offset:460
	buffer_store_dword v19, off, s[0:3], 0 offset:456
	buffer_store_dword v18, off, s[0:3], 0 offset:452
	buffer_store_dword v17, off, s[0:3], 0 offset:448
	;; [unrolled: 5-line block ×33, first 2 shown]
	s_cbranch_scc1 .LBB58_248
; %bb.4:
	v_cmp_eq_u32_e64 s4, 0, v0
	s_and_saveexec_b32 s5, s4
; %bb.5:
	v_mov_b32_e32 v1, 0
	ds_write_b32 v1, v1 offset:1888
; %bb.6:
	s_or_b32 exec_lo, exec_lo, s5
	v_lshl_add_u32 v11, v0, 4, 16
	s_waitcnt lgkmcnt(0)
	s_waitcnt_vscnt null, 0x0
	s_barrier
	buffer_gl0_inv
	s_clause 0x3
	buffer_load_dword v1, v11, s[0:3], 0 offen
	buffer_load_dword v2, v11, s[0:3], 0 offen offset:4
	buffer_load_dword v3, v11, s[0:3], 0 offen offset:8
	;; [unrolled: 1-line block ×3, first 2 shown]
	s_waitcnt vmcnt(2)
	v_cmp_eq_f64_e32 vcc_lo, 0, v[1:2]
	s_waitcnt vmcnt(0)
	v_cmp_eq_f64_e64 s5, 0, v[3:4]
	s_and_b32 s5, vcc_lo, s5
	s_and_saveexec_b32 s72, s5
	s_cbranch_execz .LBB58_10
; %bb.7:
	v_mov_b32_e32 v1, 0
	s_mov_b32 s73, 0
	ds_read_b32 v2, v1 offset:1888
	s_waitcnt lgkmcnt(0)
	v_readfirstlane_b32 s5, v2
	v_add_nc_u32_e32 v2, 1, v0
	s_cmp_eq_u32 s5, 0
	v_cmp_gt_i32_e32 vcc_lo, s5, v2
	s_cselect_b32 s74, -1, 0
	s_or_b32 s74, s74, vcc_lo
	s_and_b32 exec_lo, exec_lo, s74
	s_cbranch_execz .LBB58_10
; %bb.8:
	v_mov_b32_e32 v3, s5
.LBB58_9:                               ; =>This Inner Loop Header: Depth=1
	ds_cmpst_rtn_b32 v3, v1, v3, v2 offset:1888
	s_waitcnt lgkmcnt(0)
	v_cmp_ne_u32_e32 vcc_lo, 0, v3
	v_cmp_le_i32_e64 s5, v3, v2
	s_and_b32 s5, vcc_lo, s5
	s_and_b32 s5, exec_lo, s5
	s_or_b32 s73, s5, s73
	s_andn2_b32 exec_lo, exec_lo, s73
	s_cbranch_execnz .LBB58_9
.LBB58_10:
	s_or_b32 exec_lo, exec_lo, s72
	v_mov_b32_e32 v1, 0
	s_barrier
	buffer_gl0_inv
	ds_read_b32 v2, v1 offset:1888
	s_and_saveexec_b32 s5, s4
	s_cbranch_execz .LBB58_12
; %bb.11:
	s_lshl_b64 s[72:73], s[6:7], 2
	s_add_u32 s72, s10, s72
	s_addc_u32 s73, s11, s73
	s_waitcnt lgkmcnt(0)
	global_store_dword v1, v2, s[72:73]
.LBB58_12:
	s_or_b32 exec_lo, exec_lo, s5
	s_waitcnt lgkmcnt(0)
	v_cmp_ne_u32_e32 vcc_lo, 0, v2
	s_mov_b32 s5, 0
	s_cbranch_vccnz .LBB58_248
; %bb.13:
	s_clause 0x3
	buffer_load_dword v7, v11, s[0:3], 0 offen
	buffer_load_dword v8, v11, s[0:3], 0 offen offset:4
	buffer_load_dword v9, v11, s[0:3], 0 offen offset:8
	buffer_load_dword v10, v11, s[0:3], 0 offen offset:12
                                        ; implicit-def: $vgpr5_vgpr6
                                        ; implicit-def: $vgpr3_vgpr4
	s_waitcnt vmcnt(0)
	v_cmp_ngt_f64_e64 s5, |v[7:8]|, |v[9:10]|
	s_and_saveexec_b32 s72, s5
	s_xor_b32 s5, exec_lo, s72
	s_cbranch_execz .LBB58_15
; %bb.14:
	v_div_scale_f64 v[1:2], null, v[9:10], v[9:10], v[7:8]
	v_div_scale_f64 v[12:13], vcc_lo, v[7:8], v[9:10], v[7:8]
	v_rcp_f64_e32 v[3:4], v[1:2]
	v_fma_f64 v[5:6], -v[1:2], v[3:4], 1.0
	v_fma_f64 v[3:4], v[3:4], v[5:6], v[3:4]
	v_fma_f64 v[5:6], -v[1:2], v[3:4], 1.0
	v_fma_f64 v[3:4], v[3:4], v[5:6], v[3:4]
	v_mul_f64 v[5:6], v[12:13], v[3:4]
	v_fma_f64 v[1:2], -v[1:2], v[5:6], v[12:13]
	v_div_fmas_f64 v[1:2], v[1:2], v[3:4], v[5:6]
	v_div_fixup_f64 v[1:2], v[1:2], v[9:10], v[7:8]
	v_fma_f64 v[3:4], v[7:8], v[1:2], v[9:10]
	v_div_scale_f64 v[5:6], null, v[3:4], v[3:4], 1.0
	v_div_scale_f64 v[12:13], vcc_lo, 1.0, v[3:4], 1.0
	v_rcp_f64_e32 v[7:8], v[5:6]
	v_fma_f64 v[9:10], -v[5:6], v[7:8], 1.0
	v_fma_f64 v[7:8], v[7:8], v[9:10], v[7:8]
	v_fma_f64 v[9:10], -v[5:6], v[7:8], 1.0
	v_fma_f64 v[7:8], v[7:8], v[9:10], v[7:8]
	v_mul_f64 v[9:10], v[12:13], v[7:8]
	v_fma_f64 v[5:6], -v[5:6], v[9:10], v[12:13]
	v_div_fmas_f64 v[5:6], v[5:6], v[7:8], v[9:10]
                                        ; implicit-def: $vgpr7_vgpr8
                                        ; implicit-def: $vgpr9_vgpr10
	v_div_fixup_f64 v[3:4], v[5:6], v[3:4], 1.0
	v_mul_f64 v[5:6], v[1:2], v[3:4]
	v_xor_b32_e32 v4, 0x80000000, v4
	v_xor_b32_e32 v2, 0x80000000, v6
	v_mov_b32_e32 v1, v5
.LBB58_15:
	s_andn2_saveexec_b32 s5, s5
	s_cbranch_execz .LBB58_17
; %bb.16:
	v_div_scale_f64 v[1:2], null, v[7:8], v[7:8], v[9:10]
	v_div_scale_f64 v[12:13], vcc_lo, v[9:10], v[7:8], v[9:10]
	v_rcp_f64_e32 v[3:4], v[1:2]
	v_fma_f64 v[5:6], -v[1:2], v[3:4], 1.0
	v_fma_f64 v[3:4], v[3:4], v[5:6], v[3:4]
	v_fma_f64 v[5:6], -v[1:2], v[3:4], 1.0
	v_fma_f64 v[3:4], v[3:4], v[5:6], v[3:4]
	v_mul_f64 v[5:6], v[12:13], v[3:4]
	v_fma_f64 v[1:2], -v[1:2], v[5:6], v[12:13]
	v_div_fmas_f64 v[1:2], v[1:2], v[3:4], v[5:6]
	v_div_fixup_f64 v[1:2], v[1:2], v[7:8], v[9:10]
	v_fma_f64 v[3:4], v[9:10], v[1:2], v[7:8]
	v_div_scale_f64 v[5:6], null, v[3:4], v[3:4], 1.0
	v_rcp_f64_e32 v[7:8], v[5:6]
	v_fma_f64 v[9:10], -v[5:6], v[7:8], 1.0
	v_fma_f64 v[7:8], v[7:8], v[9:10], v[7:8]
	v_fma_f64 v[9:10], -v[5:6], v[7:8], 1.0
	v_fma_f64 v[7:8], v[7:8], v[9:10], v[7:8]
	v_div_scale_f64 v[9:10], vcc_lo, 1.0, v[3:4], 1.0
	v_mul_f64 v[12:13], v[9:10], v[7:8]
	v_fma_f64 v[5:6], -v[5:6], v[12:13], v[9:10]
	v_div_fmas_f64 v[5:6], v[5:6], v[7:8], v[12:13]
	v_div_fixup_f64 v[5:6], v[5:6], v[3:4], 1.0
	v_mul_f64 v[3:4], v[1:2], -v[5:6]
	v_xor_b32_e32 v2, 0x80000000, v6
	v_mov_b32_e32 v1, v5
.LBB58_17:
	s_or_b32 exec_lo, exec_lo, s5
	v_mov_b32_e32 v10, s70
	buffer_store_dword v6, v11, s[0:3], 0 offen offset:4
	buffer_store_dword v5, v11, s[0:3], 0 offen
	buffer_store_dword v4, v11, s[0:3], 0 offen offset:12
	buffer_store_dword v3, v11, s[0:3], 0 offen offset:8
	v_xor_b32_e32 v4, 0x80000000, v4
	v_add_nc_u32_e32 v5, 0x3b0, v243
	s_clause 0x3
	buffer_load_dword v9, v10, s[0:3], 0 offen offset:12
	buffer_load_dword v8, v10, s[0:3], 0 offen offset:8
	;; [unrolled: 1-line block ×3, first 2 shown]
	buffer_load_dword v6, v10, s[0:3], 0 offen
	ds_write_b128 v243, v[1:4]
	s_waitcnt vmcnt(0)
	ds_write_b128 v243, v[6:9] offset:944
	s_waitcnt lgkmcnt(0)
	s_waitcnt_vscnt null, 0x0
	s_barrier
	buffer_gl0_inv
	s_and_saveexec_b32 s5, s4
	s_cbranch_execz .LBB58_19
; %bb.18:
	s_clause 0x3
	buffer_load_dword v12, v11, s[0:3], 0 offen offset:8
	buffer_load_dword v13, v11, s[0:3], 0 offen offset:12
	buffer_load_dword v14, v11, s[0:3], 0 offen
	buffer_load_dword v15, v11, s[0:3], 0 offen offset:4
	ds_read_b128 v[1:4], v5
	v_mov_b32_e32 v6, 0
	ds_read_b128 v[6:9], v6 offset:16
	s_waitcnt vmcnt(2) lgkmcnt(1)
	v_mul_f64 v[16:17], v[1:2], v[12:13]
	v_mul_f64 v[12:13], v[3:4], v[12:13]
	s_waitcnt vmcnt(0)
	v_fma_f64 v[3:4], v[3:4], v[14:15], v[16:17]
	v_fma_f64 v[1:2], v[1:2], v[14:15], -v[12:13]
	v_add_f64 v[3:4], v[3:4], 0
	v_add_f64 v[1:2], v[1:2], 0
	s_waitcnt lgkmcnt(0)
	v_mul_f64 v[12:13], v[3:4], v[8:9]
	v_mul_f64 v[8:9], v[1:2], v[8:9]
	v_fma_f64 v[1:2], v[1:2], v[6:7], -v[12:13]
	v_fma_f64 v[3:4], v[3:4], v[6:7], v[8:9]
	buffer_store_dword v1, off, s[0:3], 0 offset:32
	buffer_store_dword v2, off, s[0:3], 0 offset:36
	;; [unrolled: 1-line block ×4, first 2 shown]
.LBB58_19:
	s_or_b32 exec_lo, exec_lo, s5
	v_mov_b32_e32 v4, s69
	s_waitcnt_vscnt null, 0x0
	s_barrier
	buffer_gl0_inv
	s_mov_b32 s5, exec_lo
	s_clause 0x3
	buffer_load_dword v1, v4, s[0:3], 0 offen
	buffer_load_dword v2, v4, s[0:3], 0 offen offset:4
	buffer_load_dword v3, v4, s[0:3], 0 offen offset:8
	;; [unrolled: 1-line block ×3, first 2 shown]
	s_waitcnt vmcnt(0)
	ds_write_b128 v5, v[1:4]
	s_waitcnt lgkmcnt(0)
	s_barrier
	buffer_gl0_inv
	v_cmpx_gt_u32_e32 2, v0
	s_cbranch_execz .LBB58_23
; %bb.20:
	s_clause 0x3
	buffer_load_dword v6, v11, s[0:3], 0 offen offset:8
	buffer_load_dword v7, v11, s[0:3], 0 offen offset:12
	buffer_load_dword v8, v11, s[0:3], 0 offen
	buffer_load_dword v9, v11, s[0:3], 0 offen offset:4
	ds_read_b128 v[1:4], v5
	s_waitcnt vmcnt(2) lgkmcnt(0)
	v_mul_f64 v[10:11], v[3:4], v[6:7]
	v_mul_f64 v[6:7], v[1:2], v[6:7]
	s_waitcnt vmcnt(0)
	v_fma_f64 v[1:2], v[1:2], v[8:9], -v[10:11]
	v_fma_f64 v[3:4], v[3:4], v[8:9], v[6:7]
	v_add_f64 v[1:2], v[1:2], 0
	v_add_f64 v[3:4], v[3:4], 0
	s_and_saveexec_b32 s72, s4
	s_cbranch_execz .LBB58_22
; %bb.21:
	s_clause 0x3
	buffer_load_dword v10, off, s[0:3], 0 offset:40
	buffer_load_dword v11, off, s[0:3], 0 offset:44
	;; [unrolled: 1-line block ×4, first 2 shown]
	v_mov_b32_e32 v6, 0
	ds_read_b128 v[6:9], v6 offset:960
	s_waitcnt vmcnt(2) lgkmcnt(0)
	v_mul_f64 v[14:15], v[6:7], v[10:11]
	v_mul_f64 v[10:11], v[8:9], v[10:11]
	s_waitcnt vmcnt(0)
	v_fma_f64 v[8:9], v[8:9], v[12:13], v[14:15]
	v_fma_f64 v[6:7], v[6:7], v[12:13], -v[10:11]
	v_add_f64 v[3:4], v[3:4], v[8:9]
	v_add_f64 v[1:2], v[1:2], v[6:7]
.LBB58_22:
	s_or_b32 exec_lo, exec_lo, s72
	v_mov_b32_e32 v6, 0
	ds_read_b128 v[6:9], v6 offset:32
	s_waitcnt lgkmcnt(0)
	v_mul_f64 v[10:11], v[3:4], v[8:9]
	v_mul_f64 v[8:9], v[1:2], v[8:9]
	v_fma_f64 v[1:2], v[1:2], v[6:7], -v[10:11]
	v_fma_f64 v[3:4], v[3:4], v[6:7], v[8:9]
	buffer_store_dword v2, off, s[0:3], 0 offset:52
	buffer_store_dword v1, off, s[0:3], 0 offset:48
	;; [unrolled: 1-line block ×4, first 2 shown]
.LBB58_23:
	s_or_b32 exec_lo, exec_lo, s5
	v_mov_b32_e32 v4, s68
	s_waitcnt_vscnt null, 0x0
	s_barrier
	buffer_gl0_inv
	v_add_nc_u32_e32 v6, -1, v0
	s_clause 0x3
	buffer_load_dword v1, v4, s[0:3], 0 offen
	buffer_load_dword v2, v4, s[0:3], 0 offen offset:4
	buffer_load_dword v3, v4, s[0:3], 0 offen offset:8
	;; [unrolled: 1-line block ×3, first 2 shown]
	s_mov_b32 s4, exec_lo
	s_waitcnt vmcnt(0)
	ds_write_b128 v5, v[1:4]
	s_waitcnt lgkmcnt(0)
	s_barrier
	buffer_gl0_inv
	v_cmpx_gt_u32_e32 3, v0
	s_cbranch_execz .LBB58_27
; %bb.24:
	v_mov_b32_e32 v1, 0
	v_mov_b32_e32 v3, 0
	v_add_nc_u32_e32 v7, -1, v0
	v_add_nc_u32_e32 v8, 0x3b0, v243
	v_mov_b32_e32 v2, 0
	v_mov_b32_e32 v4, 0
	v_add_nc_u32_e32 v9, 16, v243
	s_mov_b32 s5, 0
	.p2align	6
.LBB58_25:                              ; =>This Inner Loop Header: Depth=1
	s_clause 0x3
	buffer_load_dword v14, v9, s[0:3], 0 offen offset:8
	buffer_load_dword v15, v9, s[0:3], 0 offen offset:12
	buffer_load_dword v16, v9, s[0:3], 0 offen
	buffer_load_dword v17, v9, s[0:3], 0 offen offset:4
	ds_read_b128 v[10:13], v8
	v_add_nc_u32_e32 v7, 1, v7
	v_add_nc_u32_e32 v8, 16, v8
	;; [unrolled: 1-line block ×3, first 2 shown]
	v_cmp_lt_u32_e32 vcc_lo, 1, v7
	s_or_b32 s5, vcc_lo, s5
	s_waitcnt vmcnt(2) lgkmcnt(0)
	v_mul_f64 v[18:19], v[12:13], v[14:15]
	v_mul_f64 v[14:15], v[10:11], v[14:15]
	s_waitcnt vmcnt(0)
	v_fma_f64 v[10:11], v[10:11], v[16:17], -v[18:19]
	v_fma_f64 v[12:13], v[12:13], v[16:17], v[14:15]
	v_add_f64 v[3:4], v[3:4], v[10:11]
	v_add_f64 v[1:2], v[1:2], v[12:13]
	s_andn2_b32 exec_lo, exec_lo, s5
	s_cbranch_execnz .LBB58_25
; %bb.26:
	s_or_b32 exec_lo, exec_lo, s5
	v_mov_b32_e32 v7, 0
	ds_read_b128 v[7:10], v7 offset:48
	s_waitcnt lgkmcnt(0)
	v_mul_f64 v[11:12], v[1:2], v[9:10]
	v_mul_f64 v[9:10], v[3:4], v[9:10]
	v_fma_f64 v[3:4], v[3:4], v[7:8], -v[11:12]
	v_fma_f64 v[1:2], v[1:2], v[7:8], v[9:10]
	buffer_store_dword v4, off, s[0:3], 0 offset:68
	buffer_store_dword v3, off, s[0:3], 0 offset:64
	;; [unrolled: 1-line block ×4, first 2 shown]
.LBB58_27:
	s_or_b32 exec_lo, exec_lo, s4
	v_mov_b32_e32 v4, s67
	s_waitcnt_vscnt null, 0x0
	s_barrier
	buffer_gl0_inv
	s_mov_b32 s4, exec_lo
	s_clause 0x3
	buffer_load_dword v1, v4, s[0:3], 0 offen
	buffer_load_dword v2, v4, s[0:3], 0 offen offset:4
	buffer_load_dword v3, v4, s[0:3], 0 offen offset:8
	;; [unrolled: 1-line block ×3, first 2 shown]
	s_waitcnt vmcnt(0)
	ds_write_b128 v5, v[1:4]
	s_waitcnt lgkmcnt(0)
	s_barrier
	buffer_gl0_inv
	v_cmpx_gt_u32_e32 4, v0
	s_cbranch_execz .LBB58_31
; %bb.28:
	v_mov_b32_e32 v1, 0
	v_mov_b32_e32 v3, 0
	v_add_nc_u32_e32 v7, -1, v0
	v_add_nc_u32_e32 v8, 0x3b0, v243
	v_mov_b32_e32 v2, 0
	v_mov_b32_e32 v4, 0
	v_add_nc_u32_e32 v9, 16, v243
	s_mov_b32 s5, 0
	.p2align	6
.LBB58_29:                              ; =>This Inner Loop Header: Depth=1
	s_clause 0x3
	buffer_load_dword v14, v9, s[0:3], 0 offen offset:8
	buffer_load_dword v15, v9, s[0:3], 0 offen offset:12
	buffer_load_dword v16, v9, s[0:3], 0 offen
	buffer_load_dword v17, v9, s[0:3], 0 offen offset:4
	ds_read_b128 v[10:13], v8
	v_add_nc_u32_e32 v7, 1, v7
	v_add_nc_u32_e32 v8, 16, v8
	;; [unrolled: 1-line block ×3, first 2 shown]
	v_cmp_lt_u32_e32 vcc_lo, 2, v7
	s_or_b32 s5, vcc_lo, s5
	s_waitcnt vmcnt(2) lgkmcnt(0)
	v_mul_f64 v[18:19], v[12:13], v[14:15]
	v_mul_f64 v[14:15], v[10:11], v[14:15]
	s_waitcnt vmcnt(0)
	v_fma_f64 v[10:11], v[10:11], v[16:17], -v[18:19]
	v_fma_f64 v[12:13], v[12:13], v[16:17], v[14:15]
	v_add_f64 v[3:4], v[3:4], v[10:11]
	v_add_f64 v[1:2], v[1:2], v[12:13]
	s_andn2_b32 exec_lo, exec_lo, s5
	s_cbranch_execnz .LBB58_29
; %bb.30:
	s_or_b32 exec_lo, exec_lo, s5
	v_mov_b32_e32 v7, 0
	ds_read_b128 v[7:10], v7 offset:64
	s_waitcnt lgkmcnt(0)
	v_mul_f64 v[11:12], v[1:2], v[9:10]
	v_mul_f64 v[9:10], v[3:4], v[9:10]
	v_fma_f64 v[3:4], v[3:4], v[7:8], -v[11:12]
	v_fma_f64 v[1:2], v[1:2], v[7:8], v[9:10]
	buffer_store_dword v4, off, s[0:3], 0 offset:84
	buffer_store_dword v3, off, s[0:3], 0 offset:80
	;; [unrolled: 1-line block ×4, first 2 shown]
.LBB58_31:
	s_or_b32 exec_lo, exec_lo, s4
	v_mov_b32_e32 v4, s66
	s_waitcnt_vscnt null, 0x0
	s_barrier
	buffer_gl0_inv
	s_mov_b32 s4, exec_lo
	s_clause 0x3
	buffer_load_dword v1, v4, s[0:3], 0 offen
	buffer_load_dword v2, v4, s[0:3], 0 offen offset:4
	buffer_load_dword v3, v4, s[0:3], 0 offen offset:8
	;; [unrolled: 1-line block ×3, first 2 shown]
	s_waitcnt vmcnt(0)
	ds_write_b128 v5, v[1:4]
	s_waitcnt lgkmcnt(0)
	s_barrier
	buffer_gl0_inv
	v_cmpx_gt_u32_e32 5, v0
	s_cbranch_execz .LBB58_35
; %bb.32:
	v_mov_b32_e32 v1, 0
	v_mov_b32_e32 v3, 0
	v_add_nc_u32_e32 v7, -1, v0
	v_add_nc_u32_e32 v8, 0x3b0, v243
	v_mov_b32_e32 v2, 0
	v_mov_b32_e32 v4, 0
	v_add_nc_u32_e32 v9, 16, v243
	s_mov_b32 s5, 0
	.p2align	6
.LBB58_33:                              ; =>This Inner Loop Header: Depth=1
	s_clause 0x3
	buffer_load_dword v14, v9, s[0:3], 0 offen offset:8
	buffer_load_dword v15, v9, s[0:3], 0 offen offset:12
	buffer_load_dword v16, v9, s[0:3], 0 offen
	buffer_load_dword v17, v9, s[0:3], 0 offen offset:4
	ds_read_b128 v[10:13], v8
	v_add_nc_u32_e32 v7, 1, v7
	v_add_nc_u32_e32 v8, 16, v8
	;; [unrolled: 1-line block ×3, first 2 shown]
	v_cmp_lt_u32_e32 vcc_lo, 3, v7
	s_or_b32 s5, vcc_lo, s5
	s_waitcnt vmcnt(2) lgkmcnt(0)
	v_mul_f64 v[18:19], v[12:13], v[14:15]
	v_mul_f64 v[14:15], v[10:11], v[14:15]
	s_waitcnt vmcnt(0)
	v_fma_f64 v[10:11], v[10:11], v[16:17], -v[18:19]
	v_fma_f64 v[12:13], v[12:13], v[16:17], v[14:15]
	v_add_f64 v[3:4], v[3:4], v[10:11]
	v_add_f64 v[1:2], v[1:2], v[12:13]
	s_andn2_b32 exec_lo, exec_lo, s5
	s_cbranch_execnz .LBB58_33
; %bb.34:
	s_or_b32 exec_lo, exec_lo, s5
	v_mov_b32_e32 v7, 0
	ds_read_b128 v[7:10], v7 offset:80
	s_waitcnt lgkmcnt(0)
	v_mul_f64 v[11:12], v[1:2], v[9:10]
	v_mul_f64 v[9:10], v[3:4], v[9:10]
	v_fma_f64 v[3:4], v[3:4], v[7:8], -v[11:12]
	v_fma_f64 v[1:2], v[1:2], v[7:8], v[9:10]
	buffer_store_dword v4, off, s[0:3], 0 offset:100
	buffer_store_dword v3, off, s[0:3], 0 offset:96
	;; [unrolled: 1-line block ×4, first 2 shown]
.LBB58_35:
	s_or_b32 exec_lo, exec_lo, s4
	v_mov_b32_e32 v4, s65
	s_waitcnt_vscnt null, 0x0
	s_barrier
	buffer_gl0_inv
	s_mov_b32 s4, exec_lo
	s_clause 0x3
	buffer_load_dword v1, v4, s[0:3], 0 offen
	buffer_load_dword v2, v4, s[0:3], 0 offen offset:4
	buffer_load_dword v3, v4, s[0:3], 0 offen offset:8
	;; [unrolled: 1-line block ×3, first 2 shown]
	s_waitcnt vmcnt(0)
	ds_write_b128 v5, v[1:4]
	s_waitcnt lgkmcnt(0)
	s_barrier
	buffer_gl0_inv
	v_cmpx_gt_u32_e32 6, v0
	s_cbranch_execz .LBB58_39
; %bb.36:
	v_mov_b32_e32 v1, 0
	v_mov_b32_e32 v3, 0
	v_add_nc_u32_e32 v7, -1, v0
	v_add_nc_u32_e32 v8, 0x3b0, v243
	v_mov_b32_e32 v2, 0
	v_mov_b32_e32 v4, 0
	v_add_nc_u32_e32 v9, 16, v243
	s_mov_b32 s5, 0
	.p2align	6
.LBB58_37:                              ; =>This Inner Loop Header: Depth=1
	s_clause 0x3
	buffer_load_dword v14, v9, s[0:3], 0 offen offset:8
	buffer_load_dword v15, v9, s[0:3], 0 offen offset:12
	buffer_load_dword v16, v9, s[0:3], 0 offen
	buffer_load_dword v17, v9, s[0:3], 0 offen offset:4
	ds_read_b128 v[10:13], v8
	v_add_nc_u32_e32 v7, 1, v7
	v_add_nc_u32_e32 v8, 16, v8
	;; [unrolled: 1-line block ×3, first 2 shown]
	v_cmp_lt_u32_e32 vcc_lo, 4, v7
	s_or_b32 s5, vcc_lo, s5
	s_waitcnt vmcnt(2) lgkmcnt(0)
	v_mul_f64 v[18:19], v[12:13], v[14:15]
	v_mul_f64 v[14:15], v[10:11], v[14:15]
	s_waitcnt vmcnt(0)
	v_fma_f64 v[10:11], v[10:11], v[16:17], -v[18:19]
	v_fma_f64 v[12:13], v[12:13], v[16:17], v[14:15]
	v_add_f64 v[3:4], v[3:4], v[10:11]
	v_add_f64 v[1:2], v[1:2], v[12:13]
	s_andn2_b32 exec_lo, exec_lo, s5
	s_cbranch_execnz .LBB58_37
; %bb.38:
	s_or_b32 exec_lo, exec_lo, s5
	v_mov_b32_e32 v7, 0
	ds_read_b128 v[7:10], v7 offset:96
	s_waitcnt lgkmcnt(0)
	v_mul_f64 v[11:12], v[1:2], v[9:10]
	v_mul_f64 v[9:10], v[3:4], v[9:10]
	v_fma_f64 v[3:4], v[3:4], v[7:8], -v[11:12]
	v_fma_f64 v[1:2], v[1:2], v[7:8], v[9:10]
	buffer_store_dword v4, off, s[0:3], 0 offset:116
	buffer_store_dword v3, off, s[0:3], 0 offset:112
	;; [unrolled: 1-line block ×4, first 2 shown]
.LBB58_39:
	s_or_b32 exec_lo, exec_lo, s4
	v_mov_b32_e32 v4, s64
	s_waitcnt_vscnt null, 0x0
	s_barrier
	buffer_gl0_inv
	s_mov_b32 s4, exec_lo
	s_clause 0x3
	buffer_load_dword v1, v4, s[0:3], 0 offen
	buffer_load_dword v2, v4, s[0:3], 0 offen offset:4
	buffer_load_dword v3, v4, s[0:3], 0 offen offset:8
	;; [unrolled: 1-line block ×3, first 2 shown]
	s_waitcnt vmcnt(0)
	ds_write_b128 v5, v[1:4]
	s_waitcnt lgkmcnt(0)
	s_barrier
	buffer_gl0_inv
	v_cmpx_gt_u32_e32 7, v0
	s_cbranch_execz .LBB58_43
; %bb.40:
	v_mov_b32_e32 v1, 0
	v_mov_b32_e32 v3, 0
	v_add_nc_u32_e32 v7, -1, v0
	v_add_nc_u32_e32 v8, 0x3b0, v243
	v_mov_b32_e32 v2, 0
	v_mov_b32_e32 v4, 0
	v_add_nc_u32_e32 v9, 16, v243
	s_mov_b32 s5, 0
	.p2align	6
.LBB58_41:                              ; =>This Inner Loop Header: Depth=1
	s_clause 0x3
	buffer_load_dword v14, v9, s[0:3], 0 offen offset:8
	buffer_load_dword v15, v9, s[0:3], 0 offen offset:12
	buffer_load_dword v16, v9, s[0:3], 0 offen
	buffer_load_dword v17, v9, s[0:3], 0 offen offset:4
	ds_read_b128 v[10:13], v8
	v_add_nc_u32_e32 v7, 1, v7
	v_add_nc_u32_e32 v8, 16, v8
	;; [unrolled: 1-line block ×3, first 2 shown]
	v_cmp_lt_u32_e32 vcc_lo, 5, v7
	s_or_b32 s5, vcc_lo, s5
	s_waitcnt vmcnt(2) lgkmcnt(0)
	v_mul_f64 v[18:19], v[12:13], v[14:15]
	v_mul_f64 v[14:15], v[10:11], v[14:15]
	s_waitcnt vmcnt(0)
	v_fma_f64 v[10:11], v[10:11], v[16:17], -v[18:19]
	v_fma_f64 v[12:13], v[12:13], v[16:17], v[14:15]
	v_add_f64 v[3:4], v[3:4], v[10:11]
	v_add_f64 v[1:2], v[1:2], v[12:13]
	s_andn2_b32 exec_lo, exec_lo, s5
	s_cbranch_execnz .LBB58_41
; %bb.42:
	s_or_b32 exec_lo, exec_lo, s5
	v_mov_b32_e32 v7, 0
	ds_read_b128 v[7:10], v7 offset:112
	s_waitcnt lgkmcnt(0)
	v_mul_f64 v[11:12], v[1:2], v[9:10]
	v_mul_f64 v[9:10], v[3:4], v[9:10]
	v_fma_f64 v[3:4], v[3:4], v[7:8], -v[11:12]
	v_fma_f64 v[1:2], v[1:2], v[7:8], v[9:10]
	buffer_store_dword v4, off, s[0:3], 0 offset:132
	buffer_store_dword v3, off, s[0:3], 0 offset:128
	;; [unrolled: 1-line block ×4, first 2 shown]
.LBB58_43:
	s_or_b32 exec_lo, exec_lo, s4
	v_mov_b32_e32 v4, s63
	s_waitcnt_vscnt null, 0x0
	s_barrier
	buffer_gl0_inv
	s_mov_b32 s4, exec_lo
	s_clause 0x3
	buffer_load_dword v1, v4, s[0:3], 0 offen
	buffer_load_dword v2, v4, s[0:3], 0 offen offset:4
	buffer_load_dword v3, v4, s[0:3], 0 offen offset:8
	;; [unrolled: 1-line block ×3, first 2 shown]
	s_waitcnt vmcnt(0)
	ds_write_b128 v5, v[1:4]
	s_waitcnt lgkmcnt(0)
	s_barrier
	buffer_gl0_inv
	v_cmpx_gt_u32_e32 8, v0
	s_cbranch_execz .LBB58_47
; %bb.44:
	v_mov_b32_e32 v1, 0
	v_mov_b32_e32 v3, 0
	v_add_nc_u32_e32 v7, -1, v0
	v_add_nc_u32_e32 v8, 0x3b0, v243
	v_mov_b32_e32 v2, 0
	v_mov_b32_e32 v4, 0
	v_add_nc_u32_e32 v9, 16, v243
	s_mov_b32 s5, 0
	.p2align	6
.LBB58_45:                              ; =>This Inner Loop Header: Depth=1
	s_clause 0x3
	buffer_load_dword v14, v9, s[0:3], 0 offen offset:8
	buffer_load_dword v15, v9, s[0:3], 0 offen offset:12
	buffer_load_dword v16, v9, s[0:3], 0 offen
	buffer_load_dword v17, v9, s[0:3], 0 offen offset:4
	ds_read_b128 v[10:13], v8
	v_add_nc_u32_e32 v7, 1, v7
	v_add_nc_u32_e32 v8, 16, v8
	;; [unrolled: 1-line block ×3, first 2 shown]
	v_cmp_lt_u32_e32 vcc_lo, 6, v7
	s_or_b32 s5, vcc_lo, s5
	s_waitcnt vmcnt(2) lgkmcnt(0)
	v_mul_f64 v[18:19], v[12:13], v[14:15]
	v_mul_f64 v[14:15], v[10:11], v[14:15]
	s_waitcnt vmcnt(0)
	v_fma_f64 v[10:11], v[10:11], v[16:17], -v[18:19]
	v_fma_f64 v[12:13], v[12:13], v[16:17], v[14:15]
	v_add_f64 v[3:4], v[3:4], v[10:11]
	v_add_f64 v[1:2], v[1:2], v[12:13]
	s_andn2_b32 exec_lo, exec_lo, s5
	s_cbranch_execnz .LBB58_45
; %bb.46:
	s_or_b32 exec_lo, exec_lo, s5
	v_mov_b32_e32 v7, 0
	ds_read_b128 v[7:10], v7 offset:128
	s_waitcnt lgkmcnt(0)
	v_mul_f64 v[11:12], v[1:2], v[9:10]
	v_mul_f64 v[9:10], v[3:4], v[9:10]
	v_fma_f64 v[3:4], v[3:4], v[7:8], -v[11:12]
	v_fma_f64 v[1:2], v[1:2], v[7:8], v[9:10]
	buffer_store_dword v4, off, s[0:3], 0 offset:148
	buffer_store_dword v3, off, s[0:3], 0 offset:144
	;; [unrolled: 1-line block ×4, first 2 shown]
.LBB58_47:
	s_or_b32 exec_lo, exec_lo, s4
	v_mov_b32_e32 v4, s62
	s_waitcnt_vscnt null, 0x0
	s_barrier
	buffer_gl0_inv
	s_mov_b32 s4, exec_lo
	s_clause 0x3
	buffer_load_dword v1, v4, s[0:3], 0 offen
	buffer_load_dword v2, v4, s[0:3], 0 offen offset:4
	buffer_load_dword v3, v4, s[0:3], 0 offen offset:8
	;; [unrolled: 1-line block ×3, first 2 shown]
	s_waitcnt vmcnt(0)
	ds_write_b128 v5, v[1:4]
	s_waitcnt lgkmcnt(0)
	s_barrier
	buffer_gl0_inv
	v_cmpx_gt_u32_e32 9, v0
	s_cbranch_execz .LBB58_51
; %bb.48:
	v_mov_b32_e32 v1, 0
	v_mov_b32_e32 v3, 0
	v_add_nc_u32_e32 v7, -1, v0
	v_add_nc_u32_e32 v8, 0x3b0, v243
	v_mov_b32_e32 v2, 0
	v_mov_b32_e32 v4, 0
	v_add_nc_u32_e32 v9, 16, v243
	s_mov_b32 s5, 0
	.p2align	6
.LBB58_49:                              ; =>This Inner Loop Header: Depth=1
	s_clause 0x3
	buffer_load_dword v14, v9, s[0:3], 0 offen offset:8
	buffer_load_dword v15, v9, s[0:3], 0 offen offset:12
	buffer_load_dword v16, v9, s[0:3], 0 offen
	buffer_load_dword v17, v9, s[0:3], 0 offen offset:4
	ds_read_b128 v[10:13], v8
	v_add_nc_u32_e32 v7, 1, v7
	v_add_nc_u32_e32 v8, 16, v8
	;; [unrolled: 1-line block ×3, first 2 shown]
	v_cmp_lt_u32_e32 vcc_lo, 7, v7
	s_or_b32 s5, vcc_lo, s5
	s_waitcnt vmcnt(2) lgkmcnt(0)
	v_mul_f64 v[18:19], v[12:13], v[14:15]
	v_mul_f64 v[14:15], v[10:11], v[14:15]
	s_waitcnt vmcnt(0)
	v_fma_f64 v[10:11], v[10:11], v[16:17], -v[18:19]
	v_fma_f64 v[12:13], v[12:13], v[16:17], v[14:15]
	v_add_f64 v[3:4], v[3:4], v[10:11]
	v_add_f64 v[1:2], v[1:2], v[12:13]
	s_andn2_b32 exec_lo, exec_lo, s5
	s_cbranch_execnz .LBB58_49
; %bb.50:
	s_or_b32 exec_lo, exec_lo, s5
	v_mov_b32_e32 v7, 0
	ds_read_b128 v[7:10], v7 offset:144
	s_waitcnt lgkmcnt(0)
	v_mul_f64 v[11:12], v[1:2], v[9:10]
	v_mul_f64 v[9:10], v[3:4], v[9:10]
	v_fma_f64 v[3:4], v[3:4], v[7:8], -v[11:12]
	v_fma_f64 v[1:2], v[1:2], v[7:8], v[9:10]
	buffer_store_dword v4, off, s[0:3], 0 offset:164
	buffer_store_dword v3, off, s[0:3], 0 offset:160
	;; [unrolled: 1-line block ×4, first 2 shown]
.LBB58_51:
	s_or_b32 exec_lo, exec_lo, s4
	v_mov_b32_e32 v4, s61
	s_waitcnt_vscnt null, 0x0
	s_barrier
	buffer_gl0_inv
	s_mov_b32 s4, exec_lo
	s_clause 0x3
	buffer_load_dword v1, v4, s[0:3], 0 offen
	buffer_load_dword v2, v4, s[0:3], 0 offen offset:4
	buffer_load_dword v3, v4, s[0:3], 0 offen offset:8
	;; [unrolled: 1-line block ×3, first 2 shown]
	s_waitcnt vmcnt(0)
	ds_write_b128 v5, v[1:4]
	s_waitcnt lgkmcnt(0)
	s_barrier
	buffer_gl0_inv
	v_cmpx_gt_u32_e32 10, v0
	s_cbranch_execz .LBB58_55
; %bb.52:
	v_mov_b32_e32 v1, 0
	v_mov_b32_e32 v3, 0
	v_add_nc_u32_e32 v7, -1, v0
	v_add_nc_u32_e32 v8, 0x3b0, v243
	v_mov_b32_e32 v2, 0
	v_mov_b32_e32 v4, 0
	v_add_nc_u32_e32 v9, 16, v243
	s_mov_b32 s5, 0
	.p2align	6
.LBB58_53:                              ; =>This Inner Loop Header: Depth=1
	s_clause 0x3
	buffer_load_dword v14, v9, s[0:3], 0 offen offset:8
	buffer_load_dword v15, v9, s[0:3], 0 offen offset:12
	buffer_load_dword v16, v9, s[0:3], 0 offen
	buffer_load_dword v17, v9, s[0:3], 0 offen offset:4
	ds_read_b128 v[10:13], v8
	v_add_nc_u32_e32 v7, 1, v7
	v_add_nc_u32_e32 v8, 16, v8
	;; [unrolled: 1-line block ×3, first 2 shown]
	v_cmp_lt_u32_e32 vcc_lo, 8, v7
	s_or_b32 s5, vcc_lo, s5
	s_waitcnt vmcnt(2) lgkmcnt(0)
	v_mul_f64 v[18:19], v[12:13], v[14:15]
	v_mul_f64 v[14:15], v[10:11], v[14:15]
	s_waitcnt vmcnt(0)
	v_fma_f64 v[10:11], v[10:11], v[16:17], -v[18:19]
	v_fma_f64 v[12:13], v[12:13], v[16:17], v[14:15]
	v_add_f64 v[3:4], v[3:4], v[10:11]
	v_add_f64 v[1:2], v[1:2], v[12:13]
	s_andn2_b32 exec_lo, exec_lo, s5
	s_cbranch_execnz .LBB58_53
; %bb.54:
	s_or_b32 exec_lo, exec_lo, s5
	v_mov_b32_e32 v7, 0
	ds_read_b128 v[7:10], v7 offset:160
	s_waitcnt lgkmcnt(0)
	v_mul_f64 v[11:12], v[1:2], v[9:10]
	v_mul_f64 v[9:10], v[3:4], v[9:10]
	v_fma_f64 v[3:4], v[3:4], v[7:8], -v[11:12]
	v_fma_f64 v[1:2], v[1:2], v[7:8], v[9:10]
	buffer_store_dword v4, off, s[0:3], 0 offset:180
	buffer_store_dword v3, off, s[0:3], 0 offset:176
	;; [unrolled: 1-line block ×4, first 2 shown]
.LBB58_55:
	s_or_b32 exec_lo, exec_lo, s4
	v_mov_b32_e32 v4, s59
	s_waitcnt_vscnt null, 0x0
	s_barrier
	buffer_gl0_inv
	s_mov_b32 s4, exec_lo
	s_clause 0x3
	buffer_load_dword v1, v4, s[0:3], 0 offen
	buffer_load_dword v2, v4, s[0:3], 0 offen offset:4
	buffer_load_dword v3, v4, s[0:3], 0 offen offset:8
	buffer_load_dword v4, v4, s[0:3], 0 offen offset:12
	s_waitcnt vmcnt(0)
	ds_write_b128 v5, v[1:4]
	s_waitcnt lgkmcnt(0)
	s_barrier
	buffer_gl0_inv
	v_cmpx_gt_u32_e32 11, v0
	s_cbranch_execz .LBB58_59
; %bb.56:
	v_mov_b32_e32 v1, 0
	v_mov_b32_e32 v3, 0
	v_add_nc_u32_e32 v7, -1, v0
	v_add_nc_u32_e32 v8, 0x3b0, v243
	v_mov_b32_e32 v2, 0
	v_mov_b32_e32 v4, 0
	v_add_nc_u32_e32 v9, 16, v243
	s_mov_b32 s5, 0
	.p2align	6
.LBB58_57:                              ; =>This Inner Loop Header: Depth=1
	s_clause 0x3
	buffer_load_dword v14, v9, s[0:3], 0 offen offset:8
	buffer_load_dword v15, v9, s[0:3], 0 offen offset:12
	buffer_load_dword v16, v9, s[0:3], 0 offen
	buffer_load_dword v17, v9, s[0:3], 0 offen offset:4
	ds_read_b128 v[10:13], v8
	v_add_nc_u32_e32 v7, 1, v7
	v_add_nc_u32_e32 v8, 16, v8
	;; [unrolled: 1-line block ×3, first 2 shown]
	v_cmp_lt_u32_e32 vcc_lo, 9, v7
	s_or_b32 s5, vcc_lo, s5
	s_waitcnt vmcnt(2) lgkmcnt(0)
	v_mul_f64 v[18:19], v[12:13], v[14:15]
	v_mul_f64 v[14:15], v[10:11], v[14:15]
	s_waitcnt vmcnt(0)
	v_fma_f64 v[10:11], v[10:11], v[16:17], -v[18:19]
	v_fma_f64 v[12:13], v[12:13], v[16:17], v[14:15]
	v_add_f64 v[3:4], v[3:4], v[10:11]
	v_add_f64 v[1:2], v[1:2], v[12:13]
	s_andn2_b32 exec_lo, exec_lo, s5
	s_cbranch_execnz .LBB58_57
; %bb.58:
	s_or_b32 exec_lo, exec_lo, s5
	v_mov_b32_e32 v7, 0
	ds_read_b128 v[7:10], v7 offset:176
	s_waitcnt lgkmcnt(0)
	v_mul_f64 v[11:12], v[1:2], v[9:10]
	v_mul_f64 v[9:10], v[3:4], v[9:10]
	v_fma_f64 v[3:4], v[3:4], v[7:8], -v[11:12]
	v_fma_f64 v[1:2], v[1:2], v[7:8], v[9:10]
	buffer_store_dword v4, off, s[0:3], 0 offset:196
	buffer_store_dword v3, off, s[0:3], 0 offset:192
	;; [unrolled: 1-line block ×4, first 2 shown]
.LBB58_59:
	s_or_b32 exec_lo, exec_lo, s4
	v_mov_b32_e32 v4, s58
	s_waitcnt_vscnt null, 0x0
	s_barrier
	buffer_gl0_inv
	s_mov_b32 s4, exec_lo
	s_clause 0x3
	buffer_load_dword v1, v4, s[0:3], 0 offen
	buffer_load_dword v2, v4, s[0:3], 0 offen offset:4
	buffer_load_dword v3, v4, s[0:3], 0 offen offset:8
	buffer_load_dword v4, v4, s[0:3], 0 offen offset:12
	s_waitcnt vmcnt(0)
	ds_write_b128 v5, v[1:4]
	s_waitcnt lgkmcnt(0)
	s_barrier
	buffer_gl0_inv
	v_cmpx_gt_u32_e32 12, v0
	s_cbranch_execz .LBB58_63
; %bb.60:
	v_mov_b32_e32 v1, 0
	v_mov_b32_e32 v3, 0
	v_add_nc_u32_e32 v7, -1, v0
	v_add_nc_u32_e32 v8, 0x3b0, v243
	v_mov_b32_e32 v2, 0
	v_mov_b32_e32 v4, 0
	v_add_nc_u32_e32 v9, 16, v243
	s_mov_b32 s5, 0
	.p2align	6
.LBB58_61:                              ; =>This Inner Loop Header: Depth=1
	s_clause 0x3
	buffer_load_dword v14, v9, s[0:3], 0 offen offset:8
	buffer_load_dword v15, v9, s[0:3], 0 offen offset:12
	buffer_load_dword v16, v9, s[0:3], 0 offen
	buffer_load_dword v17, v9, s[0:3], 0 offen offset:4
	ds_read_b128 v[10:13], v8
	v_add_nc_u32_e32 v7, 1, v7
	v_add_nc_u32_e32 v8, 16, v8
	;; [unrolled: 1-line block ×3, first 2 shown]
	v_cmp_lt_u32_e32 vcc_lo, 10, v7
	s_or_b32 s5, vcc_lo, s5
	s_waitcnt vmcnt(2) lgkmcnt(0)
	v_mul_f64 v[18:19], v[12:13], v[14:15]
	v_mul_f64 v[14:15], v[10:11], v[14:15]
	s_waitcnt vmcnt(0)
	v_fma_f64 v[10:11], v[10:11], v[16:17], -v[18:19]
	v_fma_f64 v[12:13], v[12:13], v[16:17], v[14:15]
	v_add_f64 v[3:4], v[3:4], v[10:11]
	v_add_f64 v[1:2], v[1:2], v[12:13]
	s_andn2_b32 exec_lo, exec_lo, s5
	s_cbranch_execnz .LBB58_61
; %bb.62:
	s_or_b32 exec_lo, exec_lo, s5
	v_mov_b32_e32 v7, 0
	ds_read_b128 v[7:10], v7 offset:192
	s_waitcnt lgkmcnt(0)
	v_mul_f64 v[11:12], v[1:2], v[9:10]
	v_mul_f64 v[9:10], v[3:4], v[9:10]
	v_fma_f64 v[3:4], v[3:4], v[7:8], -v[11:12]
	v_fma_f64 v[1:2], v[1:2], v[7:8], v[9:10]
	buffer_store_dword v4, off, s[0:3], 0 offset:212
	buffer_store_dword v3, off, s[0:3], 0 offset:208
	buffer_store_dword v2, off, s[0:3], 0 offset:220
	buffer_store_dword v1, off, s[0:3], 0 offset:216
.LBB58_63:
	s_or_b32 exec_lo, exec_lo, s4
	v_mov_b32_e32 v4, s57
	s_waitcnt_vscnt null, 0x0
	s_barrier
	buffer_gl0_inv
	s_mov_b32 s4, exec_lo
	s_clause 0x3
	buffer_load_dword v1, v4, s[0:3], 0 offen
	buffer_load_dword v2, v4, s[0:3], 0 offen offset:4
	buffer_load_dword v3, v4, s[0:3], 0 offen offset:8
	;; [unrolled: 1-line block ×3, first 2 shown]
	s_waitcnt vmcnt(0)
	ds_write_b128 v5, v[1:4]
	s_waitcnt lgkmcnt(0)
	s_barrier
	buffer_gl0_inv
	v_cmpx_gt_u32_e32 13, v0
	s_cbranch_execz .LBB58_67
; %bb.64:
	v_mov_b32_e32 v1, 0
	v_mov_b32_e32 v3, 0
	v_add_nc_u32_e32 v7, -1, v0
	v_add_nc_u32_e32 v8, 0x3b0, v243
	v_mov_b32_e32 v2, 0
	v_mov_b32_e32 v4, 0
	v_add_nc_u32_e32 v9, 16, v243
	s_mov_b32 s5, 0
	.p2align	6
.LBB58_65:                              ; =>This Inner Loop Header: Depth=1
	s_clause 0x3
	buffer_load_dword v14, v9, s[0:3], 0 offen offset:8
	buffer_load_dword v15, v9, s[0:3], 0 offen offset:12
	buffer_load_dword v16, v9, s[0:3], 0 offen
	buffer_load_dword v17, v9, s[0:3], 0 offen offset:4
	ds_read_b128 v[10:13], v8
	v_add_nc_u32_e32 v7, 1, v7
	v_add_nc_u32_e32 v8, 16, v8
	;; [unrolled: 1-line block ×3, first 2 shown]
	v_cmp_lt_u32_e32 vcc_lo, 11, v7
	s_or_b32 s5, vcc_lo, s5
	s_waitcnt vmcnt(2) lgkmcnt(0)
	v_mul_f64 v[18:19], v[12:13], v[14:15]
	v_mul_f64 v[14:15], v[10:11], v[14:15]
	s_waitcnt vmcnt(0)
	v_fma_f64 v[10:11], v[10:11], v[16:17], -v[18:19]
	v_fma_f64 v[12:13], v[12:13], v[16:17], v[14:15]
	v_add_f64 v[3:4], v[3:4], v[10:11]
	v_add_f64 v[1:2], v[1:2], v[12:13]
	s_andn2_b32 exec_lo, exec_lo, s5
	s_cbranch_execnz .LBB58_65
; %bb.66:
	s_or_b32 exec_lo, exec_lo, s5
	v_mov_b32_e32 v7, 0
	ds_read_b128 v[7:10], v7 offset:208
	s_waitcnt lgkmcnt(0)
	v_mul_f64 v[11:12], v[1:2], v[9:10]
	v_mul_f64 v[9:10], v[3:4], v[9:10]
	v_fma_f64 v[3:4], v[3:4], v[7:8], -v[11:12]
	v_fma_f64 v[1:2], v[1:2], v[7:8], v[9:10]
	buffer_store_dword v4, off, s[0:3], 0 offset:228
	buffer_store_dword v3, off, s[0:3], 0 offset:224
	;; [unrolled: 1-line block ×4, first 2 shown]
.LBB58_67:
	s_or_b32 exec_lo, exec_lo, s4
	v_mov_b32_e32 v4, s56
	s_waitcnt_vscnt null, 0x0
	s_barrier
	buffer_gl0_inv
	s_mov_b32 s4, exec_lo
	s_clause 0x3
	buffer_load_dword v1, v4, s[0:3], 0 offen
	buffer_load_dword v2, v4, s[0:3], 0 offen offset:4
	buffer_load_dword v3, v4, s[0:3], 0 offen offset:8
	;; [unrolled: 1-line block ×3, first 2 shown]
	s_waitcnt vmcnt(0)
	ds_write_b128 v5, v[1:4]
	s_waitcnt lgkmcnt(0)
	s_barrier
	buffer_gl0_inv
	v_cmpx_gt_u32_e32 14, v0
	s_cbranch_execz .LBB58_71
; %bb.68:
	v_mov_b32_e32 v1, 0
	v_mov_b32_e32 v3, 0
	v_add_nc_u32_e32 v7, -1, v0
	v_add_nc_u32_e32 v8, 0x3b0, v243
	v_mov_b32_e32 v2, 0
	v_mov_b32_e32 v4, 0
	v_add_nc_u32_e32 v9, 16, v243
	s_mov_b32 s5, 0
	.p2align	6
.LBB58_69:                              ; =>This Inner Loop Header: Depth=1
	s_clause 0x3
	buffer_load_dword v14, v9, s[0:3], 0 offen offset:8
	buffer_load_dword v15, v9, s[0:3], 0 offen offset:12
	buffer_load_dword v16, v9, s[0:3], 0 offen
	buffer_load_dword v17, v9, s[0:3], 0 offen offset:4
	ds_read_b128 v[10:13], v8
	v_add_nc_u32_e32 v7, 1, v7
	v_add_nc_u32_e32 v8, 16, v8
	;; [unrolled: 1-line block ×3, first 2 shown]
	v_cmp_lt_u32_e32 vcc_lo, 12, v7
	s_or_b32 s5, vcc_lo, s5
	s_waitcnt vmcnt(2) lgkmcnt(0)
	v_mul_f64 v[18:19], v[12:13], v[14:15]
	v_mul_f64 v[14:15], v[10:11], v[14:15]
	s_waitcnt vmcnt(0)
	v_fma_f64 v[10:11], v[10:11], v[16:17], -v[18:19]
	v_fma_f64 v[12:13], v[12:13], v[16:17], v[14:15]
	v_add_f64 v[3:4], v[3:4], v[10:11]
	v_add_f64 v[1:2], v[1:2], v[12:13]
	s_andn2_b32 exec_lo, exec_lo, s5
	s_cbranch_execnz .LBB58_69
; %bb.70:
	s_or_b32 exec_lo, exec_lo, s5
	v_mov_b32_e32 v7, 0
	ds_read_b128 v[7:10], v7 offset:224
	s_waitcnt lgkmcnt(0)
	v_mul_f64 v[11:12], v[1:2], v[9:10]
	v_mul_f64 v[9:10], v[3:4], v[9:10]
	v_fma_f64 v[3:4], v[3:4], v[7:8], -v[11:12]
	v_fma_f64 v[1:2], v[1:2], v[7:8], v[9:10]
	buffer_store_dword v4, off, s[0:3], 0 offset:244
	buffer_store_dword v3, off, s[0:3], 0 offset:240
	;; [unrolled: 1-line block ×4, first 2 shown]
.LBB58_71:
	s_or_b32 exec_lo, exec_lo, s4
	v_mov_b32_e32 v4, s55
	s_waitcnt_vscnt null, 0x0
	s_barrier
	buffer_gl0_inv
	s_mov_b32 s4, exec_lo
	s_clause 0x3
	buffer_load_dword v1, v4, s[0:3], 0 offen
	buffer_load_dword v2, v4, s[0:3], 0 offen offset:4
	buffer_load_dword v3, v4, s[0:3], 0 offen offset:8
	;; [unrolled: 1-line block ×3, first 2 shown]
	s_waitcnt vmcnt(0)
	ds_write_b128 v5, v[1:4]
	s_waitcnt lgkmcnt(0)
	s_barrier
	buffer_gl0_inv
	v_cmpx_gt_u32_e32 15, v0
	s_cbranch_execz .LBB58_75
; %bb.72:
	v_mov_b32_e32 v1, 0
	v_mov_b32_e32 v3, 0
	v_add_nc_u32_e32 v7, -1, v0
	v_add_nc_u32_e32 v8, 0x3b0, v243
	v_mov_b32_e32 v2, 0
	v_mov_b32_e32 v4, 0
	v_add_nc_u32_e32 v9, 16, v243
	s_mov_b32 s5, 0
	.p2align	6
.LBB58_73:                              ; =>This Inner Loop Header: Depth=1
	s_clause 0x3
	buffer_load_dword v14, v9, s[0:3], 0 offen offset:8
	buffer_load_dword v15, v9, s[0:3], 0 offen offset:12
	buffer_load_dword v16, v9, s[0:3], 0 offen
	buffer_load_dword v17, v9, s[0:3], 0 offen offset:4
	ds_read_b128 v[10:13], v8
	v_add_nc_u32_e32 v7, 1, v7
	v_add_nc_u32_e32 v8, 16, v8
	;; [unrolled: 1-line block ×3, first 2 shown]
	v_cmp_lt_u32_e32 vcc_lo, 13, v7
	s_or_b32 s5, vcc_lo, s5
	s_waitcnt vmcnt(2) lgkmcnt(0)
	v_mul_f64 v[18:19], v[12:13], v[14:15]
	v_mul_f64 v[14:15], v[10:11], v[14:15]
	s_waitcnt vmcnt(0)
	v_fma_f64 v[10:11], v[10:11], v[16:17], -v[18:19]
	v_fma_f64 v[12:13], v[12:13], v[16:17], v[14:15]
	v_add_f64 v[3:4], v[3:4], v[10:11]
	v_add_f64 v[1:2], v[1:2], v[12:13]
	s_andn2_b32 exec_lo, exec_lo, s5
	s_cbranch_execnz .LBB58_73
; %bb.74:
	s_or_b32 exec_lo, exec_lo, s5
	v_mov_b32_e32 v7, 0
	ds_read_b128 v[7:10], v7 offset:240
	s_waitcnt lgkmcnt(0)
	v_mul_f64 v[11:12], v[1:2], v[9:10]
	v_mul_f64 v[9:10], v[3:4], v[9:10]
	v_fma_f64 v[3:4], v[3:4], v[7:8], -v[11:12]
	v_fma_f64 v[1:2], v[1:2], v[7:8], v[9:10]
	buffer_store_dword v4, off, s[0:3], 0 offset:260
	buffer_store_dword v3, off, s[0:3], 0 offset:256
	buffer_store_dword v2, off, s[0:3], 0 offset:268
	buffer_store_dword v1, off, s[0:3], 0 offset:264
.LBB58_75:
	s_or_b32 exec_lo, exec_lo, s4
	v_mov_b32_e32 v4, s53
	s_waitcnt_vscnt null, 0x0
	s_barrier
	buffer_gl0_inv
	s_mov_b32 s4, exec_lo
	s_clause 0x3
	buffer_load_dword v1, v4, s[0:3], 0 offen
	buffer_load_dword v2, v4, s[0:3], 0 offen offset:4
	buffer_load_dword v3, v4, s[0:3], 0 offen offset:8
	;; [unrolled: 1-line block ×3, first 2 shown]
	s_waitcnt vmcnt(0)
	ds_write_b128 v5, v[1:4]
	s_waitcnt lgkmcnt(0)
	s_barrier
	buffer_gl0_inv
	v_cmpx_gt_u32_e32 16, v0
	s_cbranch_execz .LBB58_79
; %bb.76:
	v_mov_b32_e32 v1, 0
	v_mov_b32_e32 v3, 0
	v_add_nc_u32_e32 v7, -1, v0
	v_add_nc_u32_e32 v8, 0x3b0, v243
	v_mov_b32_e32 v2, 0
	v_mov_b32_e32 v4, 0
	v_add_nc_u32_e32 v9, 16, v243
	s_mov_b32 s5, 0
	.p2align	6
.LBB58_77:                              ; =>This Inner Loop Header: Depth=1
	s_clause 0x3
	buffer_load_dword v14, v9, s[0:3], 0 offen offset:8
	buffer_load_dword v15, v9, s[0:3], 0 offen offset:12
	buffer_load_dword v16, v9, s[0:3], 0 offen
	buffer_load_dword v17, v9, s[0:3], 0 offen offset:4
	ds_read_b128 v[10:13], v8
	v_add_nc_u32_e32 v7, 1, v7
	v_add_nc_u32_e32 v8, 16, v8
	v_add_nc_u32_e32 v9, 16, v9
	v_cmp_lt_u32_e32 vcc_lo, 14, v7
	s_or_b32 s5, vcc_lo, s5
	s_waitcnt vmcnt(2) lgkmcnt(0)
	v_mul_f64 v[18:19], v[12:13], v[14:15]
	v_mul_f64 v[14:15], v[10:11], v[14:15]
	s_waitcnt vmcnt(0)
	v_fma_f64 v[10:11], v[10:11], v[16:17], -v[18:19]
	v_fma_f64 v[12:13], v[12:13], v[16:17], v[14:15]
	v_add_f64 v[3:4], v[3:4], v[10:11]
	v_add_f64 v[1:2], v[1:2], v[12:13]
	s_andn2_b32 exec_lo, exec_lo, s5
	s_cbranch_execnz .LBB58_77
; %bb.78:
	s_or_b32 exec_lo, exec_lo, s5
	v_mov_b32_e32 v7, 0
	ds_read_b128 v[7:10], v7 offset:256
	s_waitcnt lgkmcnt(0)
	v_mul_f64 v[11:12], v[1:2], v[9:10]
	v_mul_f64 v[9:10], v[3:4], v[9:10]
	v_fma_f64 v[3:4], v[3:4], v[7:8], -v[11:12]
	v_fma_f64 v[1:2], v[1:2], v[7:8], v[9:10]
	buffer_store_dword v4, off, s[0:3], 0 offset:276
	buffer_store_dword v3, off, s[0:3], 0 offset:272
	;; [unrolled: 1-line block ×4, first 2 shown]
.LBB58_79:
	s_or_b32 exec_lo, exec_lo, s4
	v_mov_b32_e32 v4, s51
	s_waitcnt_vscnt null, 0x0
	s_barrier
	buffer_gl0_inv
	s_mov_b32 s4, exec_lo
	s_clause 0x3
	buffer_load_dword v1, v4, s[0:3], 0 offen
	buffer_load_dword v2, v4, s[0:3], 0 offen offset:4
	buffer_load_dword v3, v4, s[0:3], 0 offen offset:8
	;; [unrolled: 1-line block ×3, first 2 shown]
	s_waitcnt vmcnt(0)
	ds_write_b128 v5, v[1:4]
	s_waitcnt lgkmcnt(0)
	s_barrier
	buffer_gl0_inv
	v_cmpx_gt_u32_e32 17, v0
	s_cbranch_execz .LBB58_83
; %bb.80:
	v_mov_b32_e32 v1, 0
	v_mov_b32_e32 v3, 0
	v_add_nc_u32_e32 v7, -1, v0
	v_add_nc_u32_e32 v8, 0x3b0, v243
	v_mov_b32_e32 v2, 0
	v_mov_b32_e32 v4, 0
	v_add_nc_u32_e32 v9, 16, v243
	s_mov_b32 s5, 0
	.p2align	6
.LBB58_81:                              ; =>This Inner Loop Header: Depth=1
	s_clause 0x3
	buffer_load_dword v14, v9, s[0:3], 0 offen offset:8
	buffer_load_dword v15, v9, s[0:3], 0 offen offset:12
	buffer_load_dword v16, v9, s[0:3], 0 offen
	buffer_load_dword v17, v9, s[0:3], 0 offen offset:4
	ds_read_b128 v[10:13], v8
	v_add_nc_u32_e32 v7, 1, v7
	v_add_nc_u32_e32 v8, 16, v8
	;; [unrolled: 1-line block ×3, first 2 shown]
	v_cmp_lt_u32_e32 vcc_lo, 15, v7
	s_or_b32 s5, vcc_lo, s5
	s_waitcnt vmcnt(2) lgkmcnt(0)
	v_mul_f64 v[18:19], v[12:13], v[14:15]
	v_mul_f64 v[14:15], v[10:11], v[14:15]
	s_waitcnt vmcnt(0)
	v_fma_f64 v[10:11], v[10:11], v[16:17], -v[18:19]
	v_fma_f64 v[12:13], v[12:13], v[16:17], v[14:15]
	v_add_f64 v[3:4], v[3:4], v[10:11]
	v_add_f64 v[1:2], v[1:2], v[12:13]
	s_andn2_b32 exec_lo, exec_lo, s5
	s_cbranch_execnz .LBB58_81
; %bb.82:
	s_or_b32 exec_lo, exec_lo, s5
	v_mov_b32_e32 v7, 0
	ds_read_b128 v[7:10], v7 offset:272
	s_waitcnt lgkmcnt(0)
	v_mul_f64 v[11:12], v[1:2], v[9:10]
	v_mul_f64 v[9:10], v[3:4], v[9:10]
	v_fma_f64 v[3:4], v[3:4], v[7:8], -v[11:12]
	v_fma_f64 v[1:2], v[1:2], v[7:8], v[9:10]
	buffer_store_dword v4, off, s[0:3], 0 offset:292
	buffer_store_dword v3, off, s[0:3], 0 offset:288
	;; [unrolled: 1-line block ×4, first 2 shown]
.LBB58_83:
	s_or_b32 exec_lo, exec_lo, s4
	v_mov_b32_e32 v4, s49
	s_waitcnt_vscnt null, 0x0
	s_barrier
	buffer_gl0_inv
	s_mov_b32 s4, exec_lo
	s_clause 0x3
	buffer_load_dword v1, v4, s[0:3], 0 offen
	buffer_load_dword v2, v4, s[0:3], 0 offen offset:4
	buffer_load_dword v3, v4, s[0:3], 0 offen offset:8
	;; [unrolled: 1-line block ×3, first 2 shown]
	s_waitcnt vmcnt(0)
	ds_write_b128 v5, v[1:4]
	s_waitcnt lgkmcnt(0)
	s_barrier
	buffer_gl0_inv
	v_cmpx_gt_u32_e32 18, v0
	s_cbranch_execz .LBB58_87
; %bb.84:
	v_mov_b32_e32 v1, 0
	v_mov_b32_e32 v3, 0
	v_add_nc_u32_e32 v7, -1, v0
	v_add_nc_u32_e32 v8, 0x3b0, v243
	v_mov_b32_e32 v2, 0
	v_mov_b32_e32 v4, 0
	v_add_nc_u32_e32 v9, 16, v243
	s_mov_b32 s5, 0
	.p2align	6
.LBB58_85:                              ; =>This Inner Loop Header: Depth=1
	s_clause 0x3
	buffer_load_dword v14, v9, s[0:3], 0 offen offset:8
	buffer_load_dword v15, v9, s[0:3], 0 offen offset:12
	buffer_load_dword v16, v9, s[0:3], 0 offen
	buffer_load_dword v17, v9, s[0:3], 0 offen offset:4
	ds_read_b128 v[10:13], v8
	v_add_nc_u32_e32 v7, 1, v7
	v_add_nc_u32_e32 v8, 16, v8
	;; [unrolled: 1-line block ×3, first 2 shown]
	v_cmp_lt_u32_e32 vcc_lo, 16, v7
	s_or_b32 s5, vcc_lo, s5
	s_waitcnt vmcnt(2) lgkmcnt(0)
	v_mul_f64 v[18:19], v[12:13], v[14:15]
	v_mul_f64 v[14:15], v[10:11], v[14:15]
	s_waitcnt vmcnt(0)
	v_fma_f64 v[10:11], v[10:11], v[16:17], -v[18:19]
	v_fma_f64 v[12:13], v[12:13], v[16:17], v[14:15]
	v_add_f64 v[3:4], v[3:4], v[10:11]
	v_add_f64 v[1:2], v[1:2], v[12:13]
	s_andn2_b32 exec_lo, exec_lo, s5
	s_cbranch_execnz .LBB58_85
; %bb.86:
	s_or_b32 exec_lo, exec_lo, s5
	v_mov_b32_e32 v7, 0
	ds_read_b128 v[7:10], v7 offset:288
	s_waitcnt lgkmcnt(0)
	v_mul_f64 v[11:12], v[1:2], v[9:10]
	v_mul_f64 v[9:10], v[3:4], v[9:10]
	v_fma_f64 v[3:4], v[3:4], v[7:8], -v[11:12]
	v_fma_f64 v[1:2], v[1:2], v[7:8], v[9:10]
	buffer_store_dword v4, off, s[0:3], 0 offset:308
	buffer_store_dword v3, off, s[0:3], 0 offset:304
	;; [unrolled: 1-line block ×4, first 2 shown]
.LBB58_87:
	s_or_b32 exec_lo, exec_lo, s4
	v_mov_b32_e32 v4, s60
	s_waitcnt_vscnt null, 0x0
	s_barrier
	buffer_gl0_inv
	s_mov_b32 s4, exec_lo
	s_clause 0x3
	buffer_load_dword v1, v4, s[0:3], 0 offen
	buffer_load_dword v2, v4, s[0:3], 0 offen offset:4
	buffer_load_dword v3, v4, s[0:3], 0 offen offset:8
	buffer_load_dword v4, v4, s[0:3], 0 offen offset:12
	s_waitcnt vmcnt(0)
	ds_write_b128 v5, v[1:4]
	s_waitcnt lgkmcnt(0)
	s_barrier
	buffer_gl0_inv
	v_cmpx_gt_u32_e32 19, v0
	s_cbranch_execz .LBB58_91
; %bb.88:
	v_mov_b32_e32 v1, 0
	v_mov_b32_e32 v3, 0
	v_add_nc_u32_e32 v7, -1, v0
	v_add_nc_u32_e32 v8, 0x3b0, v243
	v_mov_b32_e32 v2, 0
	v_mov_b32_e32 v4, 0
	v_add_nc_u32_e32 v9, 16, v243
	s_mov_b32 s5, 0
	.p2align	6
.LBB58_89:                              ; =>This Inner Loop Header: Depth=1
	s_clause 0x3
	buffer_load_dword v14, v9, s[0:3], 0 offen offset:8
	buffer_load_dword v15, v9, s[0:3], 0 offen offset:12
	buffer_load_dword v16, v9, s[0:3], 0 offen
	buffer_load_dword v17, v9, s[0:3], 0 offen offset:4
	ds_read_b128 v[10:13], v8
	v_add_nc_u32_e32 v7, 1, v7
	v_add_nc_u32_e32 v8, 16, v8
	;; [unrolled: 1-line block ×3, first 2 shown]
	v_cmp_lt_u32_e32 vcc_lo, 17, v7
	s_or_b32 s5, vcc_lo, s5
	s_waitcnt vmcnt(2) lgkmcnt(0)
	v_mul_f64 v[18:19], v[12:13], v[14:15]
	v_mul_f64 v[14:15], v[10:11], v[14:15]
	s_waitcnt vmcnt(0)
	v_fma_f64 v[10:11], v[10:11], v[16:17], -v[18:19]
	v_fma_f64 v[12:13], v[12:13], v[16:17], v[14:15]
	v_add_f64 v[3:4], v[3:4], v[10:11]
	v_add_f64 v[1:2], v[1:2], v[12:13]
	s_andn2_b32 exec_lo, exec_lo, s5
	s_cbranch_execnz .LBB58_89
; %bb.90:
	s_or_b32 exec_lo, exec_lo, s5
	v_mov_b32_e32 v7, 0
	ds_read_b128 v[7:10], v7 offset:304
	s_waitcnt lgkmcnt(0)
	v_mul_f64 v[11:12], v[1:2], v[9:10]
	v_mul_f64 v[9:10], v[3:4], v[9:10]
	v_fma_f64 v[3:4], v[3:4], v[7:8], -v[11:12]
	v_fma_f64 v[1:2], v[1:2], v[7:8], v[9:10]
	buffer_store_dword v4, off, s[0:3], 0 offset:324
	buffer_store_dword v3, off, s[0:3], 0 offset:320
	;; [unrolled: 1-line block ×4, first 2 shown]
.LBB58_91:
	s_or_b32 exec_lo, exec_lo, s4
	v_mov_b32_e32 v4, s54
	s_waitcnt_vscnt null, 0x0
	s_barrier
	buffer_gl0_inv
	s_mov_b32 s4, exec_lo
	s_clause 0x3
	buffer_load_dword v1, v4, s[0:3], 0 offen
	buffer_load_dword v2, v4, s[0:3], 0 offen offset:4
	buffer_load_dword v3, v4, s[0:3], 0 offen offset:8
	;; [unrolled: 1-line block ×3, first 2 shown]
	s_waitcnt vmcnt(0)
	ds_write_b128 v5, v[1:4]
	s_waitcnt lgkmcnt(0)
	s_barrier
	buffer_gl0_inv
	v_cmpx_gt_u32_e32 20, v0
	s_cbranch_execz .LBB58_95
; %bb.92:
	v_mov_b32_e32 v1, 0
	v_mov_b32_e32 v3, 0
	v_add_nc_u32_e32 v7, -1, v0
	v_add_nc_u32_e32 v8, 0x3b0, v243
	v_mov_b32_e32 v2, 0
	v_mov_b32_e32 v4, 0
	v_add_nc_u32_e32 v9, 16, v243
	s_mov_b32 s5, 0
	.p2align	6
.LBB58_93:                              ; =>This Inner Loop Header: Depth=1
	s_clause 0x3
	buffer_load_dword v14, v9, s[0:3], 0 offen offset:8
	buffer_load_dword v15, v9, s[0:3], 0 offen offset:12
	buffer_load_dword v16, v9, s[0:3], 0 offen
	buffer_load_dword v17, v9, s[0:3], 0 offen offset:4
	ds_read_b128 v[10:13], v8
	v_add_nc_u32_e32 v7, 1, v7
	v_add_nc_u32_e32 v8, 16, v8
	;; [unrolled: 1-line block ×3, first 2 shown]
	v_cmp_lt_u32_e32 vcc_lo, 18, v7
	s_or_b32 s5, vcc_lo, s5
	s_waitcnt vmcnt(2) lgkmcnt(0)
	v_mul_f64 v[18:19], v[12:13], v[14:15]
	v_mul_f64 v[14:15], v[10:11], v[14:15]
	s_waitcnt vmcnt(0)
	v_fma_f64 v[10:11], v[10:11], v[16:17], -v[18:19]
	v_fma_f64 v[12:13], v[12:13], v[16:17], v[14:15]
	v_add_f64 v[3:4], v[3:4], v[10:11]
	v_add_f64 v[1:2], v[1:2], v[12:13]
	s_andn2_b32 exec_lo, exec_lo, s5
	s_cbranch_execnz .LBB58_93
; %bb.94:
	s_or_b32 exec_lo, exec_lo, s5
	v_mov_b32_e32 v7, 0
	ds_read_b128 v[7:10], v7 offset:320
	s_waitcnt lgkmcnt(0)
	v_mul_f64 v[11:12], v[1:2], v[9:10]
	v_mul_f64 v[9:10], v[3:4], v[9:10]
	v_fma_f64 v[3:4], v[3:4], v[7:8], -v[11:12]
	v_fma_f64 v[1:2], v[1:2], v[7:8], v[9:10]
	buffer_store_dword v4, off, s[0:3], 0 offset:340
	buffer_store_dword v3, off, s[0:3], 0 offset:336
	;; [unrolled: 1-line block ×4, first 2 shown]
.LBB58_95:
	s_or_b32 exec_lo, exec_lo, s4
	v_mov_b32_e32 v4, s52
	s_waitcnt_vscnt null, 0x0
	s_barrier
	buffer_gl0_inv
	s_mov_b32 s4, exec_lo
	s_clause 0x3
	buffer_load_dword v1, v4, s[0:3], 0 offen
	buffer_load_dword v2, v4, s[0:3], 0 offen offset:4
	buffer_load_dword v3, v4, s[0:3], 0 offen offset:8
	;; [unrolled: 1-line block ×3, first 2 shown]
	s_waitcnt vmcnt(0)
	ds_write_b128 v5, v[1:4]
	s_waitcnt lgkmcnt(0)
	s_barrier
	buffer_gl0_inv
	v_cmpx_gt_u32_e32 21, v0
	s_cbranch_execz .LBB58_99
; %bb.96:
	v_mov_b32_e32 v1, 0
	v_mov_b32_e32 v3, 0
	v_add_nc_u32_e32 v7, -1, v0
	v_add_nc_u32_e32 v8, 0x3b0, v243
	v_mov_b32_e32 v2, 0
	v_mov_b32_e32 v4, 0
	v_add_nc_u32_e32 v9, 16, v243
	s_mov_b32 s5, 0
	.p2align	6
.LBB58_97:                              ; =>This Inner Loop Header: Depth=1
	s_clause 0x3
	buffer_load_dword v14, v9, s[0:3], 0 offen offset:8
	buffer_load_dword v15, v9, s[0:3], 0 offen offset:12
	buffer_load_dword v16, v9, s[0:3], 0 offen
	buffer_load_dword v17, v9, s[0:3], 0 offen offset:4
	ds_read_b128 v[10:13], v8
	v_add_nc_u32_e32 v7, 1, v7
	v_add_nc_u32_e32 v8, 16, v8
	;; [unrolled: 1-line block ×3, first 2 shown]
	v_cmp_lt_u32_e32 vcc_lo, 19, v7
	s_or_b32 s5, vcc_lo, s5
	s_waitcnt vmcnt(2) lgkmcnt(0)
	v_mul_f64 v[18:19], v[12:13], v[14:15]
	v_mul_f64 v[14:15], v[10:11], v[14:15]
	s_waitcnt vmcnt(0)
	v_fma_f64 v[10:11], v[10:11], v[16:17], -v[18:19]
	v_fma_f64 v[12:13], v[12:13], v[16:17], v[14:15]
	v_add_f64 v[3:4], v[3:4], v[10:11]
	v_add_f64 v[1:2], v[1:2], v[12:13]
	s_andn2_b32 exec_lo, exec_lo, s5
	s_cbranch_execnz .LBB58_97
; %bb.98:
	s_or_b32 exec_lo, exec_lo, s5
	v_mov_b32_e32 v7, 0
	ds_read_b128 v[7:10], v7 offset:336
	s_waitcnt lgkmcnt(0)
	v_mul_f64 v[11:12], v[1:2], v[9:10]
	v_mul_f64 v[9:10], v[3:4], v[9:10]
	v_fma_f64 v[3:4], v[3:4], v[7:8], -v[11:12]
	v_fma_f64 v[1:2], v[1:2], v[7:8], v[9:10]
	buffer_store_dword v4, off, s[0:3], 0 offset:356
	buffer_store_dword v3, off, s[0:3], 0 offset:352
	;; [unrolled: 1-line block ×4, first 2 shown]
.LBB58_99:
	s_or_b32 exec_lo, exec_lo, s4
	v_mov_b32_e32 v4, s50
	s_waitcnt_vscnt null, 0x0
	s_barrier
	buffer_gl0_inv
	s_mov_b32 s4, exec_lo
	s_clause 0x3
	buffer_load_dword v1, v4, s[0:3], 0 offen
	buffer_load_dword v2, v4, s[0:3], 0 offen offset:4
	buffer_load_dword v3, v4, s[0:3], 0 offen offset:8
	;; [unrolled: 1-line block ×3, first 2 shown]
	s_waitcnt vmcnt(0)
	ds_write_b128 v5, v[1:4]
	s_waitcnt lgkmcnt(0)
	s_barrier
	buffer_gl0_inv
	v_cmpx_gt_u32_e32 22, v0
	s_cbranch_execz .LBB58_103
; %bb.100:
	v_mov_b32_e32 v1, 0
	v_mov_b32_e32 v3, 0
	v_add_nc_u32_e32 v7, -1, v0
	v_add_nc_u32_e32 v8, 0x3b0, v243
	v_mov_b32_e32 v2, 0
	v_mov_b32_e32 v4, 0
	v_add_nc_u32_e32 v9, 16, v243
	s_mov_b32 s5, 0
	.p2align	6
.LBB58_101:                             ; =>This Inner Loop Header: Depth=1
	s_clause 0x3
	buffer_load_dword v14, v9, s[0:3], 0 offen offset:8
	buffer_load_dword v15, v9, s[0:3], 0 offen offset:12
	buffer_load_dword v16, v9, s[0:3], 0 offen
	buffer_load_dword v17, v9, s[0:3], 0 offen offset:4
	ds_read_b128 v[10:13], v8
	v_add_nc_u32_e32 v7, 1, v7
	v_add_nc_u32_e32 v8, 16, v8
	;; [unrolled: 1-line block ×3, first 2 shown]
	v_cmp_lt_u32_e32 vcc_lo, 20, v7
	s_or_b32 s5, vcc_lo, s5
	s_waitcnt vmcnt(2) lgkmcnt(0)
	v_mul_f64 v[18:19], v[12:13], v[14:15]
	v_mul_f64 v[14:15], v[10:11], v[14:15]
	s_waitcnt vmcnt(0)
	v_fma_f64 v[10:11], v[10:11], v[16:17], -v[18:19]
	v_fma_f64 v[12:13], v[12:13], v[16:17], v[14:15]
	v_add_f64 v[3:4], v[3:4], v[10:11]
	v_add_f64 v[1:2], v[1:2], v[12:13]
	s_andn2_b32 exec_lo, exec_lo, s5
	s_cbranch_execnz .LBB58_101
; %bb.102:
	s_or_b32 exec_lo, exec_lo, s5
	v_mov_b32_e32 v7, 0
	ds_read_b128 v[7:10], v7 offset:352
	s_waitcnt lgkmcnt(0)
	v_mul_f64 v[11:12], v[1:2], v[9:10]
	v_mul_f64 v[9:10], v[3:4], v[9:10]
	v_fma_f64 v[3:4], v[3:4], v[7:8], -v[11:12]
	v_fma_f64 v[1:2], v[1:2], v[7:8], v[9:10]
	buffer_store_dword v4, off, s[0:3], 0 offset:372
	buffer_store_dword v3, off, s[0:3], 0 offset:368
	;; [unrolled: 1-line block ×4, first 2 shown]
.LBB58_103:
	s_or_b32 exec_lo, exec_lo, s4
	v_mov_b32_e32 v4, s48
	s_waitcnt_vscnt null, 0x0
	s_barrier
	buffer_gl0_inv
	s_mov_b32 s4, exec_lo
	s_clause 0x3
	buffer_load_dword v1, v4, s[0:3], 0 offen
	buffer_load_dword v2, v4, s[0:3], 0 offen offset:4
	buffer_load_dword v3, v4, s[0:3], 0 offen offset:8
	;; [unrolled: 1-line block ×3, first 2 shown]
	s_waitcnt vmcnt(0)
	ds_write_b128 v5, v[1:4]
	s_waitcnt lgkmcnt(0)
	s_barrier
	buffer_gl0_inv
	v_cmpx_gt_u32_e32 23, v0
	s_cbranch_execz .LBB58_107
; %bb.104:
	v_mov_b32_e32 v1, 0
	v_mov_b32_e32 v3, 0
	v_add_nc_u32_e32 v7, -1, v0
	v_add_nc_u32_e32 v8, 0x3b0, v243
	v_mov_b32_e32 v2, 0
	v_mov_b32_e32 v4, 0
	v_add_nc_u32_e32 v9, 16, v243
	s_mov_b32 s5, 0
	.p2align	6
.LBB58_105:                             ; =>This Inner Loop Header: Depth=1
	s_clause 0x3
	buffer_load_dword v14, v9, s[0:3], 0 offen offset:8
	buffer_load_dword v15, v9, s[0:3], 0 offen offset:12
	buffer_load_dword v16, v9, s[0:3], 0 offen
	buffer_load_dword v17, v9, s[0:3], 0 offen offset:4
	ds_read_b128 v[10:13], v8
	v_add_nc_u32_e32 v7, 1, v7
	v_add_nc_u32_e32 v8, 16, v8
	v_add_nc_u32_e32 v9, 16, v9
	v_cmp_lt_u32_e32 vcc_lo, 21, v7
	s_or_b32 s5, vcc_lo, s5
	s_waitcnt vmcnt(2) lgkmcnt(0)
	v_mul_f64 v[18:19], v[12:13], v[14:15]
	v_mul_f64 v[14:15], v[10:11], v[14:15]
	s_waitcnt vmcnt(0)
	v_fma_f64 v[10:11], v[10:11], v[16:17], -v[18:19]
	v_fma_f64 v[12:13], v[12:13], v[16:17], v[14:15]
	v_add_f64 v[3:4], v[3:4], v[10:11]
	v_add_f64 v[1:2], v[1:2], v[12:13]
	s_andn2_b32 exec_lo, exec_lo, s5
	s_cbranch_execnz .LBB58_105
; %bb.106:
	s_or_b32 exec_lo, exec_lo, s5
	v_mov_b32_e32 v7, 0
	ds_read_b128 v[7:10], v7 offset:368
	s_waitcnt lgkmcnt(0)
	v_mul_f64 v[11:12], v[1:2], v[9:10]
	v_mul_f64 v[9:10], v[3:4], v[9:10]
	v_fma_f64 v[3:4], v[3:4], v[7:8], -v[11:12]
	v_fma_f64 v[1:2], v[1:2], v[7:8], v[9:10]
	buffer_store_dword v4, off, s[0:3], 0 offset:388
	buffer_store_dword v3, off, s[0:3], 0 offset:384
	;; [unrolled: 1-line block ×4, first 2 shown]
.LBB58_107:
	s_or_b32 exec_lo, exec_lo, s4
	v_mov_b32_e32 v4, s47
	s_waitcnt_vscnt null, 0x0
	s_barrier
	buffer_gl0_inv
	s_mov_b32 s4, exec_lo
	s_clause 0x3
	buffer_load_dword v1, v4, s[0:3], 0 offen
	buffer_load_dword v2, v4, s[0:3], 0 offen offset:4
	buffer_load_dword v3, v4, s[0:3], 0 offen offset:8
	;; [unrolled: 1-line block ×3, first 2 shown]
	s_waitcnt vmcnt(0)
	ds_write_b128 v5, v[1:4]
	s_waitcnt lgkmcnt(0)
	s_barrier
	buffer_gl0_inv
	v_cmpx_gt_u32_e32 24, v0
	s_cbranch_execz .LBB58_111
; %bb.108:
	v_mov_b32_e32 v1, 0
	v_mov_b32_e32 v3, 0
	v_add_nc_u32_e32 v7, -1, v0
	v_add_nc_u32_e32 v8, 0x3b0, v243
	v_mov_b32_e32 v2, 0
	v_mov_b32_e32 v4, 0
	v_add_nc_u32_e32 v9, 16, v243
	s_mov_b32 s5, 0
	.p2align	6
.LBB58_109:                             ; =>This Inner Loop Header: Depth=1
	s_clause 0x3
	buffer_load_dword v14, v9, s[0:3], 0 offen offset:8
	buffer_load_dword v15, v9, s[0:3], 0 offen offset:12
	buffer_load_dword v16, v9, s[0:3], 0 offen
	buffer_load_dword v17, v9, s[0:3], 0 offen offset:4
	ds_read_b128 v[10:13], v8
	v_add_nc_u32_e32 v7, 1, v7
	v_add_nc_u32_e32 v8, 16, v8
	;; [unrolled: 1-line block ×3, first 2 shown]
	v_cmp_lt_u32_e32 vcc_lo, 22, v7
	s_or_b32 s5, vcc_lo, s5
	s_waitcnt vmcnt(2) lgkmcnt(0)
	v_mul_f64 v[18:19], v[12:13], v[14:15]
	v_mul_f64 v[14:15], v[10:11], v[14:15]
	s_waitcnt vmcnt(0)
	v_fma_f64 v[10:11], v[10:11], v[16:17], -v[18:19]
	v_fma_f64 v[12:13], v[12:13], v[16:17], v[14:15]
	v_add_f64 v[3:4], v[3:4], v[10:11]
	v_add_f64 v[1:2], v[1:2], v[12:13]
	s_andn2_b32 exec_lo, exec_lo, s5
	s_cbranch_execnz .LBB58_109
; %bb.110:
	s_or_b32 exec_lo, exec_lo, s5
	v_mov_b32_e32 v7, 0
	ds_read_b128 v[7:10], v7 offset:384
	s_waitcnt lgkmcnt(0)
	v_mul_f64 v[11:12], v[1:2], v[9:10]
	v_mul_f64 v[9:10], v[3:4], v[9:10]
	v_fma_f64 v[3:4], v[3:4], v[7:8], -v[11:12]
	v_fma_f64 v[1:2], v[1:2], v[7:8], v[9:10]
	buffer_store_dword v4, off, s[0:3], 0 offset:404
	buffer_store_dword v3, off, s[0:3], 0 offset:400
	;; [unrolled: 1-line block ×4, first 2 shown]
.LBB58_111:
	s_or_b32 exec_lo, exec_lo, s4
	v_mov_b32_e32 v4, s46
	s_waitcnt_vscnt null, 0x0
	s_barrier
	buffer_gl0_inv
	s_mov_b32 s4, exec_lo
	s_clause 0x3
	buffer_load_dword v1, v4, s[0:3], 0 offen
	buffer_load_dword v2, v4, s[0:3], 0 offen offset:4
	buffer_load_dword v3, v4, s[0:3], 0 offen offset:8
	;; [unrolled: 1-line block ×3, first 2 shown]
	s_waitcnt vmcnt(0)
	ds_write_b128 v5, v[1:4]
	s_waitcnt lgkmcnt(0)
	s_barrier
	buffer_gl0_inv
	v_cmpx_gt_u32_e32 25, v0
	s_cbranch_execz .LBB58_115
; %bb.112:
	v_mov_b32_e32 v1, 0
	v_mov_b32_e32 v3, 0
	v_add_nc_u32_e32 v7, -1, v0
	v_add_nc_u32_e32 v8, 0x3b0, v243
	v_mov_b32_e32 v2, 0
	v_mov_b32_e32 v4, 0
	v_add_nc_u32_e32 v9, 16, v243
	s_mov_b32 s5, 0
	.p2align	6
.LBB58_113:                             ; =>This Inner Loop Header: Depth=1
	s_clause 0x3
	buffer_load_dword v14, v9, s[0:3], 0 offen offset:8
	buffer_load_dword v15, v9, s[0:3], 0 offen offset:12
	buffer_load_dword v16, v9, s[0:3], 0 offen
	buffer_load_dword v17, v9, s[0:3], 0 offen offset:4
	ds_read_b128 v[10:13], v8
	v_add_nc_u32_e32 v7, 1, v7
	v_add_nc_u32_e32 v8, 16, v8
	;; [unrolled: 1-line block ×3, first 2 shown]
	v_cmp_lt_u32_e32 vcc_lo, 23, v7
	s_or_b32 s5, vcc_lo, s5
	s_waitcnt vmcnt(2) lgkmcnt(0)
	v_mul_f64 v[18:19], v[12:13], v[14:15]
	v_mul_f64 v[14:15], v[10:11], v[14:15]
	s_waitcnt vmcnt(0)
	v_fma_f64 v[10:11], v[10:11], v[16:17], -v[18:19]
	v_fma_f64 v[12:13], v[12:13], v[16:17], v[14:15]
	v_add_f64 v[3:4], v[3:4], v[10:11]
	v_add_f64 v[1:2], v[1:2], v[12:13]
	s_andn2_b32 exec_lo, exec_lo, s5
	s_cbranch_execnz .LBB58_113
; %bb.114:
	s_or_b32 exec_lo, exec_lo, s5
	v_mov_b32_e32 v7, 0
	ds_read_b128 v[7:10], v7 offset:400
	s_waitcnt lgkmcnt(0)
	v_mul_f64 v[11:12], v[1:2], v[9:10]
	v_mul_f64 v[9:10], v[3:4], v[9:10]
	v_fma_f64 v[3:4], v[3:4], v[7:8], -v[11:12]
	v_fma_f64 v[1:2], v[1:2], v[7:8], v[9:10]
	buffer_store_dword v4, off, s[0:3], 0 offset:420
	buffer_store_dword v3, off, s[0:3], 0 offset:416
	;; [unrolled: 1-line block ×4, first 2 shown]
.LBB58_115:
	s_or_b32 exec_lo, exec_lo, s4
	v_mov_b32_e32 v4, s45
	s_waitcnt_vscnt null, 0x0
	s_barrier
	buffer_gl0_inv
	s_mov_b32 s4, exec_lo
	s_clause 0x3
	buffer_load_dword v1, v4, s[0:3], 0 offen
	buffer_load_dword v2, v4, s[0:3], 0 offen offset:4
	buffer_load_dword v3, v4, s[0:3], 0 offen offset:8
	;; [unrolled: 1-line block ×3, first 2 shown]
	s_waitcnt vmcnt(0)
	ds_write_b128 v5, v[1:4]
	s_waitcnt lgkmcnt(0)
	s_barrier
	buffer_gl0_inv
	v_cmpx_gt_u32_e32 26, v0
	s_cbranch_execz .LBB58_119
; %bb.116:
	v_mov_b32_e32 v1, 0
	v_mov_b32_e32 v3, 0
	v_add_nc_u32_e32 v7, -1, v0
	v_add_nc_u32_e32 v8, 0x3b0, v243
	v_mov_b32_e32 v2, 0
	v_mov_b32_e32 v4, 0
	v_add_nc_u32_e32 v9, 16, v243
	s_mov_b32 s5, 0
	.p2align	6
.LBB58_117:                             ; =>This Inner Loop Header: Depth=1
	s_clause 0x3
	buffer_load_dword v14, v9, s[0:3], 0 offen offset:8
	buffer_load_dword v15, v9, s[0:3], 0 offen offset:12
	buffer_load_dword v16, v9, s[0:3], 0 offen
	buffer_load_dword v17, v9, s[0:3], 0 offen offset:4
	ds_read_b128 v[10:13], v8
	v_add_nc_u32_e32 v7, 1, v7
	v_add_nc_u32_e32 v8, 16, v8
	;; [unrolled: 1-line block ×3, first 2 shown]
	v_cmp_lt_u32_e32 vcc_lo, 24, v7
	s_or_b32 s5, vcc_lo, s5
	s_waitcnt vmcnt(2) lgkmcnt(0)
	v_mul_f64 v[18:19], v[12:13], v[14:15]
	v_mul_f64 v[14:15], v[10:11], v[14:15]
	s_waitcnt vmcnt(0)
	v_fma_f64 v[10:11], v[10:11], v[16:17], -v[18:19]
	v_fma_f64 v[12:13], v[12:13], v[16:17], v[14:15]
	v_add_f64 v[3:4], v[3:4], v[10:11]
	v_add_f64 v[1:2], v[1:2], v[12:13]
	s_andn2_b32 exec_lo, exec_lo, s5
	s_cbranch_execnz .LBB58_117
; %bb.118:
	s_or_b32 exec_lo, exec_lo, s5
	v_mov_b32_e32 v7, 0
	ds_read_b128 v[7:10], v7 offset:416
	s_waitcnt lgkmcnt(0)
	v_mul_f64 v[11:12], v[1:2], v[9:10]
	v_mul_f64 v[9:10], v[3:4], v[9:10]
	v_fma_f64 v[3:4], v[3:4], v[7:8], -v[11:12]
	v_fma_f64 v[1:2], v[1:2], v[7:8], v[9:10]
	buffer_store_dword v4, off, s[0:3], 0 offset:436
	buffer_store_dword v3, off, s[0:3], 0 offset:432
	;; [unrolled: 1-line block ×4, first 2 shown]
.LBB58_119:
	s_or_b32 exec_lo, exec_lo, s4
	v_mov_b32_e32 v4, s44
	s_waitcnt_vscnt null, 0x0
	s_barrier
	buffer_gl0_inv
	s_mov_b32 s4, exec_lo
	s_clause 0x3
	buffer_load_dword v1, v4, s[0:3], 0 offen
	buffer_load_dword v2, v4, s[0:3], 0 offen offset:4
	buffer_load_dword v3, v4, s[0:3], 0 offen offset:8
	buffer_load_dword v4, v4, s[0:3], 0 offen offset:12
	s_waitcnt vmcnt(0)
	ds_write_b128 v5, v[1:4]
	s_waitcnt lgkmcnt(0)
	s_barrier
	buffer_gl0_inv
	v_cmpx_gt_u32_e32 27, v0
	s_cbranch_execz .LBB58_123
; %bb.120:
	v_mov_b32_e32 v1, 0
	v_mov_b32_e32 v3, 0
	v_add_nc_u32_e32 v7, -1, v0
	v_add_nc_u32_e32 v8, 0x3b0, v243
	v_mov_b32_e32 v2, 0
	v_mov_b32_e32 v4, 0
	v_add_nc_u32_e32 v9, 16, v243
	s_mov_b32 s5, 0
	.p2align	6
.LBB58_121:                             ; =>This Inner Loop Header: Depth=1
	s_clause 0x3
	buffer_load_dword v14, v9, s[0:3], 0 offen offset:8
	buffer_load_dword v15, v9, s[0:3], 0 offen offset:12
	buffer_load_dword v16, v9, s[0:3], 0 offen
	buffer_load_dword v17, v9, s[0:3], 0 offen offset:4
	ds_read_b128 v[10:13], v8
	v_add_nc_u32_e32 v7, 1, v7
	v_add_nc_u32_e32 v8, 16, v8
	;; [unrolled: 1-line block ×3, first 2 shown]
	v_cmp_lt_u32_e32 vcc_lo, 25, v7
	s_or_b32 s5, vcc_lo, s5
	s_waitcnt vmcnt(2) lgkmcnt(0)
	v_mul_f64 v[18:19], v[12:13], v[14:15]
	v_mul_f64 v[14:15], v[10:11], v[14:15]
	s_waitcnt vmcnt(0)
	v_fma_f64 v[10:11], v[10:11], v[16:17], -v[18:19]
	v_fma_f64 v[12:13], v[12:13], v[16:17], v[14:15]
	v_add_f64 v[3:4], v[3:4], v[10:11]
	v_add_f64 v[1:2], v[1:2], v[12:13]
	s_andn2_b32 exec_lo, exec_lo, s5
	s_cbranch_execnz .LBB58_121
; %bb.122:
	s_or_b32 exec_lo, exec_lo, s5
	v_mov_b32_e32 v7, 0
	ds_read_b128 v[7:10], v7 offset:432
	s_waitcnt lgkmcnt(0)
	v_mul_f64 v[11:12], v[1:2], v[9:10]
	v_mul_f64 v[9:10], v[3:4], v[9:10]
	v_fma_f64 v[3:4], v[3:4], v[7:8], -v[11:12]
	v_fma_f64 v[1:2], v[1:2], v[7:8], v[9:10]
	buffer_store_dword v4, off, s[0:3], 0 offset:452
	buffer_store_dword v3, off, s[0:3], 0 offset:448
	;; [unrolled: 1-line block ×4, first 2 shown]
.LBB58_123:
	s_or_b32 exec_lo, exec_lo, s4
	v_mov_b32_e32 v4, s43
	s_waitcnt_vscnt null, 0x0
	s_barrier
	buffer_gl0_inv
	s_mov_b32 s4, exec_lo
	s_clause 0x3
	buffer_load_dword v1, v4, s[0:3], 0 offen
	buffer_load_dword v2, v4, s[0:3], 0 offen offset:4
	buffer_load_dword v3, v4, s[0:3], 0 offen offset:8
	;; [unrolled: 1-line block ×3, first 2 shown]
	s_waitcnt vmcnt(0)
	ds_write_b128 v5, v[1:4]
	s_waitcnt lgkmcnt(0)
	s_barrier
	buffer_gl0_inv
	v_cmpx_gt_u32_e32 28, v0
	s_cbranch_execz .LBB58_127
; %bb.124:
	v_mov_b32_e32 v1, 0
	v_mov_b32_e32 v3, 0
	v_add_nc_u32_e32 v7, -1, v0
	v_add_nc_u32_e32 v8, 0x3b0, v243
	v_mov_b32_e32 v2, 0
	v_mov_b32_e32 v4, 0
	v_add_nc_u32_e32 v9, 16, v243
	s_mov_b32 s5, 0
	.p2align	6
.LBB58_125:                             ; =>This Inner Loop Header: Depth=1
	s_clause 0x3
	buffer_load_dword v14, v9, s[0:3], 0 offen offset:8
	buffer_load_dword v15, v9, s[0:3], 0 offen offset:12
	buffer_load_dword v16, v9, s[0:3], 0 offen
	buffer_load_dword v17, v9, s[0:3], 0 offen offset:4
	ds_read_b128 v[10:13], v8
	v_add_nc_u32_e32 v7, 1, v7
	v_add_nc_u32_e32 v8, 16, v8
	;; [unrolled: 1-line block ×3, first 2 shown]
	v_cmp_lt_u32_e32 vcc_lo, 26, v7
	s_or_b32 s5, vcc_lo, s5
	s_waitcnt vmcnt(2) lgkmcnt(0)
	v_mul_f64 v[18:19], v[12:13], v[14:15]
	v_mul_f64 v[14:15], v[10:11], v[14:15]
	s_waitcnt vmcnt(0)
	v_fma_f64 v[10:11], v[10:11], v[16:17], -v[18:19]
	v_fma_f64 v[12:13], v[12:13], v[16:17], v[14:15]
	v_add_f64 v[3:4], v[3:4], v[10:11]
	v_add_f64 v[1:2], v[1:2], v[12:13]
	s_andn2_b32 exec_lo, exec_lo, s5
	s_cbranch_execnz .LBB58_125
; %bb.126:
	s_or_b32 exec_lo, exec_lo, s5
	v_mov_b32_e32 v7, 0
	ds_read_b128 v[7:10], v7 offset:448
	s_waitcnt lgkmcnt(0)
	v_mul_f64 v[11:12], v[1:2], v[9:10]
	v_mul_f64 v[9:10], v[3:4], v[9:10]
	v_fma_f64 v[3:4], v[3:4], v[7:8], -v[11:12]
	v_fma_f64 v[1:2], v[1:2], v[7:8], v[9:10]
	buffer_store_dword v4, off, s[0:3], 0 offset:468
	buffer_store_dword v3, off, s[0:3], 0 offset:464
	;; [unrolled: 1-line block ×4, first 2 shown]
.LBB58_127:
	s_or_b32 exec_lo, exec_lo, s4
	v_mov_b32_e32 v4, s42
	s_waitcnt_vscnt null, 0x0
	s_barrier
	buffer_gl0_inv
	s_mov_b32 s4, exec_lo
	s_clause 0x3
	buffer_load_dword v1, v4, s[0:3], 0 offen
	buffer_load_dword v2, v4, s[0:3], 0 offen offset:4
	buffer_load_dword v3, v4, s[0:3], 0 offen offset:8
	;; [unrolled: 1-line block ×3, first 2 shown]
	s_waitcnt vmcnt(0)
	ds_write_b128 v5, v[1:4]
	s_waitcnt lgkmcnt(0)
	s_barrier
	buffer_gl0_inv
	v_cmpx_gt_u32_e32 29, v0
	s_cbranch_execz .LBB58_131
; %bb.128:
	v_mov_b32_e32 v1, 0
	v_mov_b32_e32 v3, 0
	v_add_nc_u32_e32 v7, -1, v0
	v_add_nc_u32_e32 v8, 0x3b0, v243
	v_mov_b32_e32 v2, 0
	v_mov_b32_e32 v4, 0
	v_add_nc_u32_e32 v9, 16, v243
	s_mov_b32 s5, 0
	.p2align	6
.LBB58_129:                             ; =>This Inner Loop Header: Depth=1
	s_clause 0x3
	buffer_load_dword v14, v9, s[0:3], 0 offen offset:8
	buffer_load_dword v15, v9, s[0:3], 0 offen offset:12
	buffer_load_dword v16, v9, s[0:3], 0 offen
	buffer_load_dword v17, v9, s[0:3], 0 offen offset:4
	ds_read_b128 v[10:13], v8
	v_add_nc_u32_e32 v7, 1, v7
	v_add_nc_u32_e32 v8, 16, v8
	;; [unrolled: 1-line block ×3, first 2 shown]
	v_cmp_lt_u32_e32 vcc_lo, 27, v7
	s_or_b32 s5, vcc_lo, s5
	s_waitcnt vmcnt(2) lgkmcnt(0)
	v_mul_f64 v[18:19], v[12:13], v[14:15]
	v_mul_f64 v[14:15], v[10:11], v[14:15]
	s_waitcnt vmcnt(0)
	v_fma_f64 v[10:11], v[10:11], v[16:17], -v[18:19]
	v_fma_f64 v[12:13], v[12:13], v[16:17], v[14:15]
	v_add_f64 v[3:4], v[3:4], v[10:11]
	v_add_f64 v[1:2], v[1:2], v[12:13]
	s_andn2_b32 exec_lo, exec_lo, s5
	s_cbranch_execnz .LBB58_129
; %bb.130:
	s_or_b32 exec_lo, exec_lo, s5
	v_mov_b32_e32 v7, 0
	ds_read_b128 v[7:10], v7 offset:464
	s_waitcnt lgkmcnt(0)
	v_mul_f64 v[11:12], v[1:2], v[9:10]
	v_mul_f64 v[9:10], v[3:4], v[9:10]
	v_fma_f64 v[3:4], v[3:4], v[7:8], -v[11:12]
	v_fma_f64 v[1:2], v[1:2], v[7:8], v[9:10]
	buffer_store_dword v4, off, s[0:3], 0 offset:484
	buffer_store_dword v3, off, s[0:3], 0 offset:480
	;; [unrolled: 1-line block ×4, first 2 shown]
.LBB58_131:
	s_or_b32 exec_lo, exec_lo, s4
	v_mov_b32_e32 v4, s41
	s_waitcnt_vscnt null, 0x0
	s_barrier
	buffer_gl0_inv
	s_mov_b32 s4, exec_lo
	s_clause 0x3
	buffer_load_dword v1, v4, s[0:3], 0 offen
	buffer_load_dword v2, v4, s[0:3], 0 offen offset:4
	buffer_load_dword v3, v4, s[0:3], 0 offen offset:8
	;; [unrolled: 1-line block ×3, first 2 shown]
	s_waitcnt vmcnt(0)
	ds_write_b128 v5, v[1:4]
	s_waitcnt lgkmcnt(0)
	s_barrier
	buffer_gl0_inv
	v_cmpx_gt_u32_e32 30, v0
	s_cbranch_execz .LBB58_135
; %bb.132:
	v_mov_b32_e32 v1, 0
	v_mov_b32_e32 v3, 0
	v_add_nc_u32_e32 v7, -1, v0
	v_add_nc_u32_e32 v8, 0x3b0, v243
	v_mov_b32_e32 v2, 0
	v_mov_b32_e32 v4, 0
	v_add_nc_u32_e32 v9, 16, v243
	s_mov_b32 s5, 0
	.p2align	6
.LBB58_133:                             ; =>This Inner Loop Header: Depth=1
	s_clause 0x3
	buffer_load_dword v14, v9, s[0:3], 0 offen offset:8
	buffer_load_dword v15, v9, s[0:3], 0 offen offset:12
	buffer_load_dword v16, v9, s[0:3], 0 offen
	buffer_load_dword v17, v9, s[0:3], 0 offen offset:4
	ds_read_b128 v[10:13], v8
	v_add_nc_u32_e32 v7, 1, v7
	v_add_nc_u32_e32 v8, 16, v8
	;; [unrolled: 1-line block ×3, first 2 shown]
	v_cmp_lt_u32_e32 vcc_lo, 28, v7
	s_or_b32 s5, vcc_lo, s5
	s_waitcnt vmcnt(2) lgkmcnt(0)
	v_mul_f64 v[18:19], v[12:13], v[14:15]
	v_mul_f64 v[14:15], v[10:11], v[14:15]
	s_waitcnt vmcnt(0)
	v_fma_f64 v[10:11], v[10:11], v[16:17], -v[18:19]
	v_fma_f64 v[12:13], v[12:13], v[16:17], v[14:15]
	v_add_f64 v[3:4], v[3:4], v[10:11]
	v_add_f64 v[1:2], v[1:2], v[12:13]
	s_andn2_b32 exec_lo, exec_lo, s5
	s_cbranch_execnz .LBB58_133
; %bb.134:
	s_or_b32 exec_lo, exec_lo, s5
	v_mov_b32_e32 v7, 0
	ds_read_b128 v[7:10], v7 offset:480
	s_waitcnt lgkmcnt(0)
	v_mul_f64 v[11:12], v[1:2], v[9:10]
	v_mul_f64 v[9:10], v[3:4], v[9:10]
	v_fma_f64 v[3:4], v[3:4], v[7:8], -v[11:12]
	v_fma_f64 v[1:2], v[1:2], v[7:8], v[9:10]
	buffer_store_dword v4, off, s[0:3], 0 offset:500
	buffer_store_dword v3, off, s[0:3], 0 offset:496
	;; [unrolled: 1-line block ×4, first 2 shown]
.LBB58_135:
	s_or_b32 exec_lo, exec_lo, s4
	v_mov_b32_e32 v4, s40
	s_waitcnt_vscnt null, 0x0
	s_barrier
	buffer_gl0_inv
	s_mov_b32 s4, exec_lo
	s_clause 0x3
	buffer_load_dword v1, v4, s[0:3], 0 offen
	buffer_load_dword v2, v4, s[0:3], 0 offen offset:4
	buffer_load_dword v3, v4, s[0:3], 0 offen offset:8
	;; [unrolled: 1-line block ×3, first 2 shown]
	s_waitcnt vmcnt(0)
	ds_write_b128 v5, v[1:4]
	s_waitcnt lgkmcnt(0)
	s_barrier
	buffer_gl0_inv
	v_cmpx_gt_u32_e32 31, v0
	s_cbranch_execz .LBB58_139
; %bb.136:
	v_mov_b32_e32 v1, 0
	v_mov_b32_e32 v3, 0
	v_add_nc_u32_e32 v7, -1, v0
	v_add_nc_u32_e32 v8, 0x3b0, v243
	v_mov_b32_e32 v2, 0
	v_mov_b32_e32 v4, 0
	v_add_nc_u32_e32 v9, 16, v243
	s_mov_b32 s5, 0
	.p2align	6
.LBB58_137:                             ; =>This Inner Loop Header: Depth=1
	s_clause 0x3
	buffer_load_dword v14, v9, s[0:3], 0 offen offset:8
	buffer_load_dword v15, v9, s[0:3], 0 offen offset:12
	buffer_load_dword v16, v9, s[0:3], 0 offen
	buffer_load_dword v17, v9, s[0:3], 0 offen offset:4
	ds_read_b128 v[10:13], v8
	v_add_nc_u32_e32 v7, 1, v7
	v_add_nc_u32_e32 v8, 16, v8
	;; [unrolled: 1-line block ×3, first 2 shown]
	v_cmp_lt_u32_e32 vcc_lo, 29, v7
	s_or_b32 s5, vcc_lo, s5
	s_waitcnt vmcnt(2) lgkmcnt(0)
	v_mul_f64 v[18:19], v[12:13], v[14:15]
	v_mul_f64 v[14:15], v[10:11], v[14:15]
	s_waitcnt vmcnt(0)
	v_fma_f64 v[10:11], v[10:11], v[16:17], -v[18:19]
	v_fma_f64 v[12:13], v[12:13], v[16:17], v[14:15]
	v_add_f64 v[3:4], v[3:4], v[10:11]
	v_add_f64 v[1:2], v[1:2], v[12:13]
	s_andn2_b32 exec_lo, exec_lo, s5
	s_cbranch_execnz .LBB58_137
; %bb.138:
	s_or_b32 exec_lo, exec_lo, s5
	v_mov_b32_e32 v7, 0
	ds_read_b128 v[7:10], v7 offset:496
	s_waitcnt lgkmcnt(0)
	v_mul_f64 v[11:12], v[1:2], v[9:10]
	v_mul_f64 v[9:10], v[3:4], v[9:10]
	v_fma_f64 v[3:4], v[3:4], v[7:8], -v[11:12]
	v_fma_f64 v[1:2], v[1:2], v[7:8], v[9:10]
	buffer_store_dword v4, off, s[0:3], 0 offset:516
	buffer_store_dword v3, off, s[0:3], 0 offset:512
	;; [unrolled: 1-line block ×4, first 2 shown]
.LBB58_139:
	s_or_b32 exec_lo, exec_lo, s4
	v_mov_b32_e32 v4, s39
	s_waitcnt_vscnt null, 0x0
	s_barrier
	buffer_gl0_inv
	s_mov_b32 s4, exec_lo
	s_clause 0x3
	buffer_load_dword v1, v4, s[0:3], 0 offen
	buffer_load_dword v2, v4, s[0:3], 0 offen offset:4
	buffer_load_dword v3, v4, s[0:3], 0 offen offset:8
	;; [unrolled: 1-line block ×3, first 2 shown]
	s_waitcnt vmcnt(0)
	ds_write_b128 v5, v[1:4]
	s_waitcnt lgkmcnt(0)
	s_barrier
	buffer_gl0_inv
	v_cmpx_gt_u32_e32 32, v0
	s_cbranch_execz .LBB58_143
; %bb.140:
	v_mov_b32_e32 v1, 0
	v_mov_b32_e32 v3, 0
	v_add_nc_u32_e32 v7, -1, v0
	v_add_nc_u32_e32 v8, 0x3b0, v243
	v_mov_b32_e32 v2, 0
	v_mov_b32_e32 v4, 0
	v_add_nc_u32_e32 v9, 16, v243
	s_mov_b32 s5, 0
	.p2align	6
.LBB58_141:                             ; =>This Inner Loop Header: Depth=1
	s_clause 0x3
	buffer_load_dword v14, v9, s[0:3], 0 offen offset:8
	buffer_load_dword v15, v9, s[0:3], 0 offen offset:12
	buffer_load_dword v16, v9, s[0:3], 0 offen
	buffer_load_dword v17, v9, s[0:3], 0 offen offset:4
	ds_read_b128 v[10:13], v8
	v_add_nc_u32_e32 v7, 1, v7
	v_add_nc_u32_e32 v8, 16, v8
	;; [unrolled: 1-line block ×3, first 2 shown]
	v_cmp_lt_u32_e32 vcc_lo, 30, v7
	s_or_b32 s5, vcc_lo, s5
	s_waitcnt vmcnt(2) lgkmcnt(0)
	v_mul_f64 v[18:19], v[12:13], v[14:15]
	v_mul_f64 v[14:15], v[10:11], v[14:15]
	s_waitcnt vmcnt(0)
	v_fma_f64 v[10:11], v[10:11], v[16:17], -v[18:19]
	v_fma_f64 v[12:13], v[12:13], v[16:17], v[14:15]
	v_add_f64 v[3:4], v[3:4], v[10:11]
	v_add_f64 v[1:2], v[1:2], v[12:13]
	s_andn2_b32 exec_lo, exec_lo, s5
	s_cbranch_execnz .LBB58_141
; %bb.142:
	s_or_b32 exec_lo, exec_lo, s5
	v_mov_b32_e32 v7, 0
	ds_read_b128 v[7:10], v7 offset:512
	s_waitcnt lgkmcnt(0)
	v_mul_f64 v[11:12], v[1:2], v[9:10]
	v_mul_f64 v[9:10], v[3:4], v[9:10]
	v_fma_f64 v[3:4], v[3:4], v[7:8], -v[11:12]
	v_fma_f64 v[1:2], v[1:2], v[7:8], v[9:10]
	buffer_store_dword v4, off, s[0:3], 0 offset:532
	buffer_store_dword v3, off, s[0:3], 0 offset:528
	;; [unrolled: 1-line block ×4, first 2 shown]
.LBB58_143:
	s_or_b32 exec_lo, exec_lo, s4
	v_mov_b32_e32 v4, s38
	s_waitcnt_vscnt null, 0x0
	s_barrier
	buffer_gl0_inv
	s_mov_b32 s4, exec_lo
	s_clause 0x3
	buffer_load_dword v1, v4, s[0:3], 0 offen
	buffer_load_dword v2, v4, s[0:3], 0 offen offset:4
	buffer_load_dword v3, v4, s[0:3], 0 offen offset:8
	;; [unrolled: 1-line block ×3, first 2 shown]
	s_waitcnt vmcnt(0)
	ds_write_b128 v5, v[1:4]
	s_waitcnt lgkmcnt(0)
	s_barrier
	buffer_gl0_inv
	v_cmpx_gt_u32_e32 33, v0
	s_cbranch_execz .LBB58_147
; %bb.144:
	v_mov_b32_e32 v1, 0
	v_mov_b32_e32 v3, 0
	v_add_nc_u32_e32 v7, -1, v0
	v_add_nc_u32_e32 v8, 0x3b0, v243
	v_mov_b32_e32 v2, 0
	v_mov_b32_e32 v4, 0
	v_add_nc_u32_e32 v9, 16, v243
	s_mov_b32 s5, 0
	.p2align	6
.LBB58_145:                             ; =>This Inner Loop Header: Depth=1
	s_clause 0x3
	buffer_load_dword v14, v9, s[0:3], 0 offen offset:8
	buffer_load_dword v15, v9, s[0:3], 0 offen offset:12
	buffer_load_dword v16, v9, s[0:3], 0 offen
	buffer_load_dword v17, v9, s[0:3], 0 offen offset:4
	ds_read_b128 v[10:13], v8
	v_add_nc_u32_e32 v7, 1, v7
	v_add_nc_u32_e32 v8, 16, v8
	v_add_nc_u32_e32 v9, 16, v9
	v_cmp_lt_u32_e32 vcc_lo, 31, v7
	s_or_b32 s5, vcc_lo, s5
	s_waitcnt vmcnt(2) lgkmcnt(0)
	v_mul_f64 v[18:19], v[12:13], v[14:15]
	v_mul_f64 v[14:15], v[10:11], v[14:15]
	s_waitcnt vmcnt(0)
	v_fma_f64 v[10:11], v[10:11], v[16:17], -v[18:19]
	v_fma_f64 v[12:13], v[12:13], v[16:17], v[14:15]
	v_add_f64 v[3:4], v[3:4], v[10:11]
	v_add_f64 v[1:2], v[1:2], v[12:13]
	s_andn2_b32 exec_lo, exec_lo, s5
	s_cbranch_execnz .LBB58_145
; %bb.146:
	s_or_b32 exec_lo, exec_lo, s5
	v_mov_b32_e32 v7, 0
	ds_read_b128 v[7:10], v7 offset:528
	s_waitcnt lgkmcnt(0)
	v_mul_f64 v[11:12], v[1:2], v[9:10]
	v_mul_f64 v[9:10], v[3:4], v[9:10]
	v_fma_f64 v[3:4], v[3:4], v[7:8], -v[11:12]
	v_fma_f64 v[1:2], v[1:2], v[7:8], v[9:10]
	buffer_store_dword v4, off, s[0:3], 0 offset:548
	buffer_store_dword v3, off, s[0:3], 0 offset:544
	;; [unrolled: 1-line block ×4, first 2 shown]
.LBB58_147:
	s_or_b32 exec_lo, exec_lo, s4
	v_mov_b32_e32 v4, s37
	s_waitcnt_vscnt null, 0x0
	s_barrier
	buffer_gl0_inv
	s_mov_b32 s4, exec_lo
	s_clause 0x3
	buffer_load_dword v1, v4, s[0:3], 0 offen
	buffer_load_dword v2, v4, s[0:3], 0 offen offset:4
	buffer_load_dword v3, v4, s[0:3], 0 offen offset:8
	buffer_load_dword v4, v4, s[0:3], 0 offen offset:12
	s_waitcnt vmcnt(0)
	ds_write_b128 v5, v[1:4]
	s_waitcnt lgkmcnt(0)
	s_barrier
	buffer_gl0_inv
	v_cmpx_gt_u32_e32 34, v0
	s_cbranch_execz .LBB58_151
; %bb.148:
	v_mov_b32_e32 v1, 0
	v_mov_b32_e32 v3, 0
	v_add_nc_u32_e32 v7, -1, v0
	v_add_nc_u32_e32 v8, 0x3b0, v243
	v_mov_b32_e32 v2, 0
	v_mov_b32_e32 v4, 0
	v_add_nc_u32_e32 v9, 16, v243
	s_mov_b32 s5, 0
	.p2align	6
.LBB58_149:                             ; =>This Inner Loop Header: Depth=1
	s_clause 0x3
	buffer_load_dword v14, v9, s[0:3], 0 offen offset:8
	buffer_load_dword v15, v9, s[0:3], 0 offen offset:12
	buffer_load_dword v16, v9, s[0:3], 0 offen
	buffer_load_dword v17, v9, s[0:3], 0 offen offset:4
	ds_read_b128 v[10:13], v8
	v_add_nc_u32_e32 v7, 1, v7
	v_add_nc_u32_e32 v8, 16, v8
	;; [unrolled: 1-line block ×3, first 2 shown]
	v_cmp_lt_u32_e32 vcc_lo, 32, v7
	s_or_b32 s5, vcc_lo, s5
	s_waitcnt vmcnt(2) lgkmcnt(0)
	v_mul_f64 v[18:19], v[12:13], v[14:15]
	v_mul_f64 v[14:15], v[10:11], v[14:15]
	s_waitcnt vmcnt(0)
	v_fma_f64 v[10:11], v[10:11], v[16:17], -v[18:19]
	v_fma_f64 v[12:13], v[12:13], v[16:17], v[14:15]
	v_add_f64 v[3:4], v[3:4], v[10:11]
	v_add_f64 v[1:2], v[1:2], v[12:13]
	s_andn2_b32 exec_lo, exec_lo, s5
	s_cbranch_execnz .LBB58_149
; %bb.150:
	s_or_b32 exec_lo, exec_lo, s5
	v_mov_b32_e32 v7, 0
	ds_read_b128 v[7:10], v7 offset:544
	s_waitcnt lgkmcnt(0)
	v_mul_f64 v[11:12], v[1:2], v[9:10]
	v_mul_f64 v[9:10], v[3:4], v[9:10]
	v_fma_f64 v[3:4], v[3:4], v[7:8], -v[11:12]
	v_fma_f64 v[1:2], v[1:2], v[7:8], v[9:10]
	buffer_store_dword v4, off, s[0:3], 0 offset:564
	buffer_store_dword v3, off, s[0:3], 0 offset:560
	;; [unrolled: 1-line block ×4, first 2 shown]
.LBB58_151:
	s_or_b32 exec_lo, exec_lo, s4
	v_mov_b32_e32 v4, s36
	s_waitcnt_vscnt null, 0x0
	s_barrier
	buffer_gl0_inv
	s_mov_b32 s4, exec_lo
	s_clause 0x3
	buffer_load_dword v1, v4, s[0:3], 0 offen
	buffer_load_dword v2, v4, s[0:3], 0 offen offset:4
	buffer_load_dword v3, v4, s[0:3], 0 offen offset:8
	;; [unrolled: 1-line block ×3, first 2 shown]
	s_waitcnt vmcnt(0)
	ds_write_b128 v5, v[1:4]
	s_waitcnt lgkmcnt(0)
	s_barrier
	buffer_gl0_inv
	v_cmpx_gt_u32_e32 35, v0
	s_cbranch_execz .LBB58_155
; %bb.152:
	v_mov_b32_e32 v1, 0
	v_mov_b32_e32 v3, 0
	v_add_nc_u32_e32 v7, -1, v0
	v_add_nc_u32_e32 v8, 0x3b0, v243
	v_mov_b32_e32 v2, 0
	v_mov_b32_e32 v4, 0
	v_add_nc_u32_e32 v9, 16, v243
	s_mov_b32 s5, 0
	.p2align	6
.LBB58_153:                             ; =>This Inner Loop Header: Depth=1
	s_clause 0x3
	buffer_load_dword v14, v9, s[0:3], 0 offen offset:8
	buffer_load_dword v15, v9, s[0:3], 0 offen offset:12
	buffer_load_dword v16, v9, s[0:3], 0 offen
	buffer_load_dword v17, v9, s[0:3], 0 offen offset:4
	ds_read_b128 v[10:13], v8
	v_add_nc_u32_e32 v7, 1, v7
	v_add_nc_u32_e32 v8, 16, v8
	;; [unrolled: 1-line block ×3, first 2 shown]
	v_cmp_lt_u32_e32 vcc_lo, 33, v7
	s_or_b32 s5, vcc_lo, s5
	s_waitcnt vmcnt(2) lgkmcnt(0)
	v_mul_f64 v[18:19], v[12:13], v[14:15]
	v_mul_f64 v[14:15], v[10:11], v[14:15]
	s_waitcnt vmcnt(0)
	v_fma_f64 v[10:11], v[10:11], v[16:17], -v[18:19]
	v_fma_f64 v[12:13], v[12:13], v[16:17], v[14:15]
	v_add_f64 v[3:4], v[3:4], v[10:11]
	v_add_f64 v[1:2], v[1:2], v[12:13]
	s_andn2_b32 exec_lo, exec_lo, s5
	s_cbranch_execnz .LBB58_153
; %bb.154:
	s_or_b32 exec_lo, exec_lo, s5
	v_mov_b32_e32 v7, 0
	ds_read_b128 v[7:10], v7 offset:560
	s_waitcnt lgkmcnt(0)
	v_mul_f64 v[11:12], v[1:2], v[9:10]
	v_mul_f64 v[9:10], v[3:4], v[9:10]
	v_fma_f64 v[3:4], v[3:4], v[7:8], -v[11:12]
	v_fma_f64 v[1:2], v[1:2], v[7:8], v[9:10]
	buffer_store_dword v4, off, s[0:3], 0 offset:580
	buffer_store_dword v3, off, s[0:3], 0 offset:576
	;; [unrolled: 1-line block ×4, first 2 shown]
.LBB58_155:
	s_or_b32 exec_lo, exec_lo, s4
	v_mov_b32_e32 v4, s35
	s_waitcnt_vscnt null, 0x0
	s_barrier
	buffer_gl0_inv
	s_mov_b32 s4, exec_lo
	s_clause 0x3
	buffer_load_dword v1, v4, s[0:3], 0 offen
	buffer_load_dword v2, v4, s[0:3], 0 offen offset:4
	buffer_load_dword v3, v4, s[0:3], 0 offen offset:8
	;; [unrolled: 1-line block ×3, first 2 shown]
	s_waitcnt vmcnt(0)
	ds_write_b128 v5, v[1:4]
	s_waitcnt lgkmcnt(0)
	s_barrier
	buffer_gl0_inv
	v_cmpx_gt_u32_e32 36, v0
	s_cbranch_execz .LBB58_159
; %bb.156:
	v_mov_b32_e32 v1, 0
	v_mov_b32_e32 v3, 0
	v_add_nc_u32_e32 v7, -1, v0
	v_add_nc_u32_e32 v8, 0x3b0, v243
	v_mov_b32_e32 v2, 0
	v_mov_b32_e32 v4, 0
	v_add_nc_u32_e32 v9, 16, v243
	s_mov_b32 s5, 0
	.p2align	6
.LBB58_157:                             ; =>This Inner Loop Header: Depth=1
	s_clause 0x3
	buffer_load_dword v14, v9, s[0:3], 0 offen offset:8
	buffer_load_dword v15, v9, s[0:3], 0 offen offset:12
	buffer_load_dword v16, v9, s[0:3], 0 offen
	buffer_load_dword v17, v9, s[0:3], 0 offen offset:4
	ds_read_b128 v[10:13], v8
	v_add_nc_u32_e32 v7, 1, v7
	v_add_nc_u32_e32 v8, 16, v8
	;; [unrolled: 1-line block ×3, first 2 shown]
	v_cmp_lt_u32_e32 vcc_lo, 34, v7
	s_or_b32 s5, vcc_lo, s5
	s_waitcnt vmcnt(2) lgkmcnt(0)
	v_mul_f64 v[18:19], v[12:13], v[14:15]
	v_mul_f64 v[14:15], v[10:11], v[14:15]
	s_waitcnt vmcnt(0)
	v_fma_f64 v[10:11], v[10:11], v[16:17], -v[18:19]
	v_fma_f64 v[12:13], v[12:13], v[16:17], v[14:15]
	v_add_f64 v[3:4], v[3:4], v[10:11]
	v_add_f64 v[1:2], v[1:2], v[12:13]
	s_andn2_b32 exec_lo, exec_lo, s5
	s_cbranch_execnz .LBB58_157
; %bb.158:
	s_or_b32 exec_lo, exec_lo, s5
	v_mov_b32_e32 v7, 0
	ds_read_b128 v[7:10], v7 offset:576
	s_waitcnt lgkmcnt(0)
	v_mul_f64 v[11:12], v[1:2], v[9:10]
	v_mul_f64 v[9:10], v[3:4], v[9:10]
	v_fma_f64 v[3:4], v[3:4], v[7:8], -v[11:12]
	v_fma_f64 v[1:2], v[1:2], v[7:8], v[9:10]
	buffer_store_dword v4, off, s[0:3], 0 offset:596
	buffer_store_dword v3, off, s[0:3], 0 offset:592
	;; [unrolled: 1-line block ×4, first 2 shown]
.LBB58_159:
	s_or_b32 exec_lo, exec_lo, s4
	v_mov_b32_e32 v4, s34
	s_waitcnt_vscnt null, 0x0
	s_barrier
	buffer_gl0_inv
	s_mov_b32 s4, exec_lo
	s_clause 0x3
	buffer_load_dword v1, v4, s[0:3], 0 offen
	buffer_load_dword v2, v4, s[0:3], 0 offen offset:4
	buffer_load_dword v3, v4, s[0:3], 0 offen offset:8
	;; [unrolled: 1-line block ×3, first 2 shown]
	s_waitcnt vmcnt(0)
	ds_write_b128 v5, v[1:4]
	s_waitcnt lgkmcnt(0)
	s_barrier
	buffer_gl0_inv
	v_cmpx_gt_u32_e32 37, v0
	s_cbranch_execz .LBB58_163
; %bb.160:
	v_mov_b32_e32 v1, 0
	v_mov_b32_e32 v3, 0
	v_add_nc_u32_e32 v7, -1, v0
	v_add_nc_u32_e32 v8, 0x3b0, v243
	v_mov_b32_e32 v2, 0
	v_mov_b32_e32 v4, 0
	v_add_nc_u32_e32 v9, 16, v243
	s_mov_b32 s5, 0
	.p2align	6
.LBB58_161:                             ; =>This Inner Loop Header: Depth=1
	s_clause 0x3
	buffer_load_dword v14, v9, s[0:3], 0 offen offset:8
	buffer_load_dword v15, v9, s[0:3], 0 offen offset:12
	buffer_load_dword v16, v9, s[0:3], 0 offen
	buffer_load_dword v17, v9, s[0:3], 0 offen offset:4
	ds_read_b128 v[10:13], v8
	v_add_nc_u32_e32 v7, 1, v7
	v_add_nc_u32_e32 v8, 16, v8
	;; [unrolled: 1-line block ×3, first 2 shown]
	v_cmp_lt_u32_e32 vcc_lo, 35, v7
	s_or_b32 s5, vcc_lo, s5
	s_waitcnt vmcnt(2) lgkmcnt(0)
	v_mul_f64 v[18:19], v[12:13], v[14:15]
	v_mul_f64 v[14:15], v[10:11], v[14:15]
	s_waitcnt vmcnt(0)
	v_fma_f64 v[10:11], v[10:11], v[16:17], -v[18:19]
	v_fma_f64 v[12:13], v[12:13], v[16:17], v[14:15]
	v_add_f64 v[3:4], v[3:4], v[10:11]
	v_add_f64 v[1:2], v[1:2], v[12:13]
	s_andn2_b32 exec_lo, exec_lo, s5
	s_cbranch_execnz .LBB58_161
; %bb.162:
	s_or_b32 exec_lo, exec_lo, s5
	v_mov_b32_e32 v7, 0
	ds_read_b128 v[7:10], v7 offset:592
	s_waitcnt lgkmcnt(0)
	v_mul_f64 v[11:12], v[1:2], v[9:10]
	v_mul_f64 v[9:10], v[3:4], v[9:10]
	v_fma_f64 v[3:4], v[3:4], v[7:8], -v[11:12]
	v_fma_f64 v[1:2], v[1:2], v[7:8], v[9:10]
	buffer_store_dword v4, off, s[0:3], 0 offset:612
	buffer_store_dword v3, off, s[0:3], 0 offset:608
	;; [unrolled: 1-line block ×4, first 2 shown]
.LBB58_163:
	s_or_b32 exec_lo, exec_lo, s4
	v_mov_b32_e32 v4, s33
	s_waitcnt_vscnt null, 0x0
	s_barrier
	buffer_gl0_inv
	s_mov_b32 s4, exec_lo
	s_clause 0x3
	buffer_load_dword v1, v4, s[0:3], 0 offen
	buffer_load_dword v2, v4, s[0:3], 0 offen offset:4
	buffer_load_dword v3, v4, s[0:3], 0 offen offset:8
	buffer_load_dword v4, v4, s[0:3], 0 offen offset:12
	s_waitcnt vmcnt(0)
	ds_write_b128 v5, v[1:4]
	s_waitcnt lgkmcnt(0)
	s_barrier
	buffer_gl0_inv
	v_cmpx_gt_u32_e32 38, v0
	s_cbranch_execz .LBB58_167
; %bb.164:
	v_mov_b32_e32 v1, 0
	v_mov_b32_e32 v3, 0
	v_add_nc_u32_e32 v7, -1, v0
	v_add_nc_u32_e32 v8, 0x3b0, v243
	v_mov_b32_e32 v2, 0
	v_mov_b32_e32 v4, 0
	v_add_nc_u32_e32 v9, 16, v243
	s_mov_b32 s5, 0
	.p2align	6
.LBB58_165:                             ; =>This Inner Loop Header: Depth=1
	s_clause 0x3
	buffer_load_dword v14, v9, s[0:3], 0 offen offset:8
	buffer_load_dword v15, v9, s[0:3], 0 offen offset:12
	buffer_load_dword v16, v9, s[0:3], 0 offen
	buffer_load_dword v17, v9, s[0:3], 0 offen offset:4
	ds_read_b128 v[10:13], v8
	v_add_nc_u32_e32 v7, 1, v7
	v_add_nc_u32_e32 v8, 16, v8
	v_add_nc_u32_e32 v9, 16, v9
	v_cmp_lt_u32_e32 vcc_lo, 36, v7
	s_or_b32 s5, vcc_lo, s5
	s_waitcnt vmcnt(2) lgkmcnt(0)
	v_mul_f64 v[18:19], v[12:13], v[14:15]
	v_mul_f64 v[14:15], v[10:11], v[14:15]
	s_waitcnt vmcnt(0)
	v_fma_f64 v[10:11], v[10:11], v[16:17], -v[18:19]
	v_fma_f64 v[12:13], v[12:13], v[16:17], v[14:15]
	v_add_f64 v[3:4], v[3:4], v[10:11]
	v_add_f64 v[1:2], v[1:2], v[12:13]
	s_andn2_b32 exec_lo, exec_lo, s5
	s_cbranch_execnz .LBB58_165
; %bb.166:
	s_or_b32 exec_lo, exec_lo, s5
	v_mov_b32_e32 v7, 0
	ds_read_b128 v[7:10], v7 offset:608
	s_waitcnt lgkmcnt(0)
	v_mul_f64 v[11:12], v[1:2], v[9:10]
	v_mul_f64 v[9:10], v[3:4], v[9:10]
	v_fma_f64 v[3:4], v[3:4], v[7:8], -v[11:12]
	v_fma_f64 v[1:2], v[1:2], v[7:8], v[9:10]
	buffer_store_dword v4, off, s[0:3], 0 offset:628
	buffer_store_dword v3, off, s[0:3], 0 offset:624
	;; [unrolled: 1-line block ×4, first 2 shown]
.LBB58_167:
	s_or_b32 exec_lo, exec_lo, s4
	v_mov_b32_e32 v4, s31
	s_waitcnt_vscnt null, 0x0
	s_barrier
	buffer_gl0_inv
	s_mov_b32 s4, exec_lo
	s_clause 0x3
	buffer_load_dword v1, v4, s[0:3], 0 offen
	buffer_load_dword v2, v4, s[0:3], 0 offen offset:4
	buffer_load_dword v3, v4, s[0:3], 0 offen offset:8
	;; [unrolled: 1-line block ×3, first 2 shown]
	s_waitcnt vmcnt(0)
	ds_write_b128 v5, v[1:4]
	s_waitcnt lgkmcnt(0)
	s_barrier
	buffer_gl0_inv
	v_cmpx_gt_u32_e32 39, v0
	s_cbranch_execz .LBB58_171
; %bb.168:
	v_mov_b32_e32 v1, 0
	v_mov_b32_e32 v3, 0
	v_add_nc_u32_e32 v7, -1, v0
	v_add_nc_u32_e32 v8, 0x3b0, v243
	v_mov_b32_e32 v2, 0
	v_mov_b32_e32 v4, 0
	v_add_nc_u32_e32 v9, 16, v243
	s_mov_b32 s5, 0
	.p2align	6
.LBB58_169:                             ; =>This Inner Loop Header: Depth=1
	s_clause 0x3
	buffer_load_dword v14, v9, s[0:3], 0 offen offset:8
	buffer_load_dword v15, v9, s[0:3], 0 offen offset:12
	buffer_load_dword v16, v9, s[0:3], 0 offen
	buffer_load_dword v17, v9, s[0:3], 0 offen offset:4
	ds_read_b128 v[10:13], v8
	v_add_nc_u32_e32 v7, 1, v7
	v_add_nc_u32_e32 v8, 16, v8
	;; [unrolled: 1-line block ×3, first 2 shown]
	v_cmp_lt_u32_e32 vcc_lo, 37, v7
	s_or_b32 s5, vcc_lo, s5
	s_waitcnt vmcnt(2) lgkmcnt(0)
	v_mul_f64 v[18:19], v[12:13], v[14:15]
	v_mul_f64 v[14:15], v[10:11], v[14:15]
	s_waitcnt vmcnt(0)
	v_fma_f64 v[10:11], v[10:11], v[16:17], -v[18:19]
	v_fma_f64 v[12:13], v[12:13], v[16:17], v[14:15]
	v_add_f64 v[3:4], v[3:4], v[10:11]
	v_add_f64 v[1:2], v[1:2], v[12:13]
	s_andn2_b32 exec_lo, exec_lo, s5
	s_cbranch_execnz .LBB58_169
; %bb.170:
	s_or_b32 exec_lo, exec_lo, s5
	v_mov_b32_e32 v7, 0
	ds_read_b128 v[7:10], v7 offset:624
	s_waitcnt lgkmcnt(0)
	v_mul_f64 v[11:12], v[1:2], v[9:10]
	v_mul_f64 v[9:10], v[3:4], v[9:10]
	v_fma_f64 v[3:4], v[3:4], v[7:8], -v[11:12]
	v_fma_f64 v[1:2], v[1:2], v[7:8], v[9:10]
	buffer_store_dword v4, off, s[0:3], 0 offset:644
	buffer_store_dword v3, off, s[0:3], 0 offset:640
	;; [unrolled: 1-line block ×4, first 2 shown]
.LBB58_171:
	s_or_b32 exec_lo, exec_lo, s4
	v_mov_b32_e32 v4, s30
	s_waitcnt_vscnt null, 0x0
	s_barrier
	buffer_gl0_inv
	s_mov_b32 s4, exec_lo
	s_clause 0x3
	buffer_load_dword v1, v4, s[0:3], 0 offen
	buffer_load_dword v2, v4, s[0:3], 0 offen offset:4
	buffer_load_dword v3, v4, s[0:3], 0 offen offset:8
	buffer_load_dword v4, v4, s[0:3], 0 offen offset:12
	s_waitcnt vmcnt(0)
	ds_write_b128 v5, v[1:4]
	s_waitcnt lgkmcnt(0)
	s_barrier
	buffer_gl0_inv
	v_cmpx_gt_u32_e32 40, v0
	s_cbranch_execz .LBB58_175
; %bb.172:
	v_mov_b32_e32 v1, 0
	v_mov_b32_e32 v3, 0
	v_add_nc_u32_e32 v7, -1, v0
	v_add_nc_u32_e32 v8, 0x3b0, v243
	v_mov_b32_e32 v2, 0
	v_mov_b32_e32 v4, 0
	v_add_nc_u32_e32 v9, 16, v243
	s_mov_b32 s5, 0
	.p2align	6
.LBB58_173:                             ; =>This Inner Loop Header: Depth=1
	s_clause 0x3
	buffer_load_dword v14, v9, s[0:3], 0 offen offset:8
	buffer_load_dword v15, v9, s[0:3], 0 offen offset:12
	buffer_load_dword v16, v9, s[0:3], 0 offen
	buffer_load_dword v17, v9, s[0:3], 0 offen offset:4
	ds_read_b128 v[10:13], v8
	v_add_nc_u32_e32 v7, 1, v7
	v_add_nc_u32_e32 v8, 16, v8
	;; [unrolled: 1-line block ×3, first 2 shown]
	v_cmp_lt_u32_e32 vcc_lo, 38, v7
	s_or_b32 s5, vcc_lo, s5
	s_waitcnt vmcnt(2) lgkmcnt(0)
	v_mul_f64 v[18:19], v[12:13], v[14:15]
	v_mul_f64 v[14:15], v[10:11], v[14:15]
	s_waitcnt vmcnt(0)
	v_fma_f64 v[10:11], v[10:11], v[16:17], -v[18:19]
	v_fma_f64 v[12:13], v[12:13], v[16:17], v[14:15]
	v_add_f64 v[3:4], v[3:4], v[10:11]
	v_add_f64 v[1:2], v[1:2], v[12:13]
	s_andn2_b32 exec_lo, exec_lo, s5
	s_cbranch_execnz .LBB58_173
; %bb.174:
	s_or_b32 exec_lo, exec_lo, s5
	v_mov_b32_e32 v7, 0
	ds_read_b128 v[7:10], v7 offset:640
	s_waitcnt lgkmcnt(0)
	v_mul_f64 v[11:12], v[1:2], v[9:10]
	v_mul_f64 v[9:10], v[3:4], v[9:10]
	v_fma_f64 v[3:4], v[3:4], v[7:8], -v[11:12]
	v_fma_f64 v[1:2], v[1:2], v[7:8], v[9:10]
	buffer_store_dword v4, off, s[0:3], 0 offset:660
	buffer_store_dword v3, off, s[0:3], 0 offset:656
	;; [unrolled: 1-line block ×4, first 2 shown]
.LBB58_175:
	s_or_b32 exec_lo, exec_lo, s4
	v_mov_b32_e32 v4, s29
	s_waitcnt_vscnt null, 0x0
	s_barrier
	buffer_gl0_inv
	s_mov_b32 s4, exec_lo
	s_clause 0x3
	buffer_load_dword v1, v4, s[0:3], 0 offen
	buffer_load_dword v2, v4, s[0:3], 0 offen offset:4
	buffer_load_dword v3, v4, s[0:3], 0 offen offset:8
	;; [unrolled: 1-line block ×3, first 2 shown]
	s_waitcnt vmcnt(0)
	ds_write_b128 v5, v[1:4]
	s_waitcnt lgkmcnt(0)
	s_barrier
	buffer_gl0_inv
	v_cmpx_gt_u32_e32 41, v0
	s_cbranch_execz .LBB58_179
; %bb.176:
	v_mov_b32_e32 v1, 0
	v_mov_b32_e32 v3, 0
	v_add_nc_u32_e32 v7, -1, v0
	v_add_nc_u32_e32 v8, 0x3b0, v243
	v_mov_b32_e32 v2, 0
	v_mov_b32_e32 v4, 0
	v_add_nc_u32_e32 v9, 16, v243
	s_mov_b32 s5, 0
	.p2align	6
.LBB58_177:                             ; =>This Inner Loop Header: Depth=1
	s_clause 0x3
	buffer_load_dword v14, v9, s[0:3], 0 offen offset:8
	buffer_load_dword v15, v9, s[0:3], 0 offen offset:12
	buffer_load_dword v16, v9, s[0:3], 0 offen
	buffer_load_dword v17, v9, s[0:3], 0 offen offset:4
	ds_read_b128 v[10:13], v8
	v_add_nc_u32_e32 v7, 1, v7
	v_add_nc_u32_e32 v8, 16, v8
	;; [unrolled: 1-line block ×3, first 2 shown]
	v_cmp_lt_u32_e32 vcc_lo, 39, v7
	s_or_b32 s5, vcc_lo, s5
	s_waitcnt vmcnt(2) lgkmcnt(0)
	v_mul_f64 v[18:19], v[12:13], v[14:15]
	v_mul_f64 v[14:15], v[10:11], v[14:15]
	s_waitcnt vmcnt(0)
	v_fma_f64 v[10:11], v[10:11], v[16:17], -v[18:19]
	v_fma_f64 v[12:13], v[12:13], v[16:17], v[14:15]
	v_add_f64 v[3:4], v[3:4], v[10:11]
	v_add_f64 v[1:2], v[1:2], v[12:13]
	s_andn2_b32 exec_lo, exec_lo, s5
	s_cbranch_execnz .LBB58_177
; %bb.178:
	s_or_b32 exec_lo, exec_lo, s5
	v_mov_b32_e32 v7, 0
	ds_read_b128 v[7:10], v7 offset:656
	s_waitcnt lgkmcnt(0)
	v_mul_f64 v[11:12], v[1:2], v[9:10]
	v_mul_f64 v[9:10], v[3:4], v[9:10]
	v_fma_f64 v[3:4], v[3:4], v[7:8], -v[11:12]
	v_fma_f64 v[1:2], v[1:2], v[7:8], v[9:10]
	buffer_store_dword v4, off, s[0:3], 0 offset:676
	buffer_store_dword v3, off, s[0:3], 0 offset:672
	;; [unrolled: 1-line block ×4, first 2 shown]
.LBB58_179:
	s_or_b32 exec_lo, exec_lo, s4
	v_mov_b32_e32 v4, s28
	s_waitcnt_vscnt null, 0x0
	s_barrier
	buffer_gl0_inv
	s_mov_b32 s4, exec_lo
	s_clause 0x3
	buffer_load_dword v1, v4, s[0:3], 0 offen
	buffer_load_dword v2, v4, s[0:3], 0 offen offset:4
	buffer_load_dword v3, v4, s[0:3], 0 offen offset:8
	;; [unrolled: 1-line block ×3, first 2 shown]
	s_waitcnt vmcnt(0)
	ds_write_b128 v5, v[1:4]
	s_waitcnt lgkmcnt(0)
	s_barrier
	buffer_gl0_inv
	v_cmpx_gt_u32_e32 42, v0
	s_cbranch_execz .LBB58_183
; %bb.180:
	v_mov_b32_e32 v1, 0
	v_mov_b32_e32 v3, 0
	v_add_nc_u32_e32 v7, -1, v0
	v_add_nc_u32_e32 v8, 0x3b0, v243
	v_mov_b32_e32 v2, 0
	v_mov_b32_e32 v4, 0
	v_add_nc_u32_e32 v9, 16, v243
	s_mov_b32 s5, 0
	.p2align	6
.LBB58_181:                             ; =>This Inner Loop Header: Depth=1
	s_clause 0x3
	buffer_load_dword v14, v9, s[0:3], 0 offen offset:8
	buffer_load_dword v15, v9, s[0:3], 0 offen offset:12
	buffer_load_dword v16, v9, s[0:3], 0 offen
	buffer_load_dword v17, v9, s[0:3], 0 offen offset:4
	ds_read_b128 v[10:13], v8
	v_add_nc_u32_e32 v7, 1, v7
	v_add_nc_u32_e32 v8, 16, v8
	;; [unrolled: 1-line block ×3, first 2 shown]
	v_cmp_lt_u32_e32 vcc_lo, 40, v7
	s_or_b32 s5, vcc_lo, s5
	s_waitcnt vmcnt(2) lgkmcnt(0)
	v_mul_f64 v[18:19], v[12:13], v[14:15]
	v_mul_f64 v[14:15], v[10:11], v[14:15]
	s_waitcnt vmcnt(0)
	v_fma_f64 v[10:11], v[10:11], v[16:17], -v[18:19]
	v_fma_f64 v[12:13], v[12:13], v[16:17], v[14:15]
	v_add_f64 v[3:4], v[3:4], v[10:11]
	v_add_f64 v[1:2], v[1:2], v[12:13]
	s_andn2_b32 exec_lo, exec_lo, s5
	s_cbranch_execnz .LBB58_181
; %bb.182:
	s_or_b32 exec_lo, exec_lo, s5
	v_mov_b32_e32 v7, 0
	ds_read_b128 v[7:10], v7 offset:672
	s_waitcnt lgkmcnt(0)
	v_mul_f64 v[11:12], v[1:2], v[9:10]
	v_mul_f64 v[9:10], v[3:4], v[9:10]
	v_fma_f64 v[3:4], v[3:4], v[7:8], -v[11:12]
	v_fma_f64 v[1:2], v[1:2], v[7:8], v[9:10]
	buffer_store_dword v4, off, s[0:3], 0 offset:692
	buffer_store_dword v3, off, s[0:3], 0 offset:688
	;; [unrolled: 1-line block ×4, first 2 shown]
.LBB58_183:
	s_or_b32 exec_lo, exec_lo, s4
	v_mov_b32_e32 v4, s27
	s_waitcnt_vscnt null, 0x0
	s_barrier
	buffer_gl0_inv
	s_mov_b32 s4, exec_lo
	s_clause 0x3
	buffer_load_dword v1, v4, s[0:3], 0 offen
	buffer_load_dword v2, v4, s[0:3], 0 offen offset:4
	buffer_load_dword v3, v4, s[0:3], 0 offen offset:8
	;; [unrolled: 1-line block ×3, first 2 shown]
	s_waitcnt vmcnt(0)
	ds_write_b128 v5, v[1:4]
	s_waitcnt lgkmcnt(0)
	s_barrier
	buffer_gl0_inv
	v_cmpx_gt_u32_e32 43, v0
	s_cbranch_execz .LBB58_187
; %bb.184:
	v_mov_b32_e32 v1, 0
	v_mov_b32_e32 v3, 0
	v_add_nc_u32_e32 v7, -1, v0
	v_add_nc_u32_e32 v8, 0x3b0, v243
	v_mov_b32_e32 v2, 0
	v_mov_b32_e32 v4, 0
	v_add_nc_u32_e32 v9, 16, v243
	s_mov_b32 s5, 0
	.p2align	6
.LBB58_185:                             ; =>This Inner Loop Header: Depth=1
	s_clause 0x3
	buffer_load_dword v14, v9, s[0:3], 0 offen offset:8
	buffer_load_dword v15, v9, s[0:3], 0 offen offset:12
	buffer_load_dword v16, v9, s[0:3], 0 offen
	buffer_load_dword v17, v9, s[0:3], 0 offen offset:4
	ds_read_b128 v[10:13], v8
	v_add_nc_u32_e32 v7, 1, v7
	v_add_nc_u32_e32 v8, 16, v8
	;; [unrolled: 1-line block ×3, first 2 shown]
	v_cmp_lt_u32_e32 vcc_lo, 41, v7
	s_or_b32 s5, vcc_lo, s5
	s_waitcnt vmcnt(2) lgkmcnt(0)
	v_mul_f64 v[18:19], v[12:13], v[14:15]
	v_mul_f64 v[14:15], v[10:11], v[14:15]
	s_waitcnt vmcnt(0)
	v_fma_f64 v[10:11], v[10:11], v[16:17], -v[18:19]
	v_fma_f64 v[12:13], v[12:13], v[16:17], v[14:15]
	v_add_f64 v[3:4], v[3:4], v[10:11]
	v_add_f64 v[1:2], v[1:2], v[12:13]
	s_andn2_b32 exec_lo, exec_lo, s5
	s_cbranch_execnz .LBB58_185
; %bb.186:
	s_or_b32 exec_lo, exec_lo, s5
	v_mov_b32_e32 v7, 0
	ds_read_b128 v[7:10], v7 offset:688
	s_waitcnt lgkmcnt(0)
	v_mul_f64 v[11:12], v[1:2], v[9:10]
	v_mul_f64 v[9:10], v[3:4], v[9:10]
	v_fma_f64 v[3:4], v[3:4], v[7:8], -v[11:12]
	v_fma_f64 v[1:2], v[1:2], v[7:8], v[9:10]
	buffer_store_dword v4, off, s[0:3], 0 offset:708
	buffer_store_dword v3, off, s[0:3], 0 offset:704
	;; [unrolled: 1-line block ×4, first 2 shown]
.LBB58_187:
	s_or_b32 exec_lo, exec_lo, s4
	v_mov_b32_e32 v4, s26
	s_waitcnt_vscnt null, 0x0
	s_barrier
	buffer_gl0_inv
	s_mov_b32 s4, exec_lo
	s_clause 0x3
	buffer_load_dword v1, v4, s[0:3], 0 offen
	buffer_load_dword v2, v4, s[0:3], 0 offen offset:4
	buffer_load_dword v3, v4, s[0:3], 0 offen offset:8
	;; [unrolled: 1-line block ×3, first 2 shown]
	s_waitcnt vmcnt(0)
	ds_write_b128 v5, v[1:4]
	s_waitcnt lgkmcnt(0)
	s_barrier
	buffer_gl0_inv
	v_cmpx_gt_u32_e32 44, v0
	s_cbranch_execz .LBB58_191
; %bb.188:
	v_mov_b32_e32 v1, 0
	v_mov_b32_e32 v3, 0
	v_add_nc_u32_e32 v7, -1, v0
	v_add_nc_u32_e32 v8, 0x3b0, v243
	v_mov_b32_e32 v2, 0
	v_mov_b32_e32 v4, 0
	v_add_nc_u32_e32 v9, 16, v243
	s_mov_b32 s5, 0
	.p2align	6
.LBB58_189:                             ; =>This Inner Loop Header: Depth=1
	s_clause 0x3
	buffer_load_dword v14, v9, s[0:3], 0 offen offset:8
	buffer_load_dword v15, v9, s[0:3], 0 offen offset:12
	buffer_load_dword v16, v9, s[0:3], 0 offen
	buffer_load_dword v17, v9, s[0:3], 0 offen offset:4
	ds_read_b128 v[10:13], v8
	v_add_nc_u32_e32 v7, 1, v7
	v_add_nc_u32_e32 v8, 16, v8
	;; [unrolled: 1-line block ×3, first 2 shown]
	v_cmp_lt_u32_e32 vcc_lo, 42, v7
	s_or_b32 s5, vcc_lo, s5
	s_waitcnt vmcnt(2) lgkmcnt(0)
	v_mul_f64 v[18:19], v[12:13], v[14:15]
	v_mul_f64 v[14:15], v[10:11], v[14:15]
	s_waitcnt vmcnt(0)
	v_fma_f64 v[10:11], v[10:11], v[16:17], -v[18:19]
	v_fma_f64 v[12:13], v[12:13], v[16:17], v[14:15]
	v_add_f64 v[3:4], v[3:4], v[10:11]
	v_add_f64 v[1:2], v[1:2], v[12:13]
	s_andn2_b32 exec_lo, exec_lo, s5
	s_cbranch_execnz .LBB58_189
; %bb.190:
	s_or_b32 exec_lo, exec_lo, s5
	v_mov_b32_e32 v7, 0
	ds_read_b128 v[7:10], v7 offset:704
	s_waitcnt lgkmcnt(0)
	v_mul_f64 v[11:12], v[1:2], v[9:10]
	v_mul_f64 v[9:10], v[3:4], v[9:10]
	v_fma_f64 v[3:4], v[3:4], v[7:8], -v[11:12]
	v_fma_f64 v[1:2], v[1:2], v[7:8], v[9:10]
	buffer_store_dword v4, off, s[0:3], 0 offset:724
	buffer_store_dword v3, off, s[0:3], 0 offset:720
	buffer_store_dword v2, off, s[0:3], 0 offset:732
	buffer_store_dword v1, off, s[0:3], 0 offset:728
.LBB58_191:
	s_or_b32 exec_lo, exec_lo, s4
	v_mov_b32_e32 v4, s25
	s_waitcnt_vscnt null, 0x0
	s_barrier
	buffer_gl0_inv
	s_mov_b32 s4, exec_lo
	s_clause 0x3
	buffer_load_dword v1, v4, s[0:3], 0 offen
	buffer_load_dword v2, v4, s[0:3], 0 offen offset:4
	buffer_load_dword v3, v4, s[0:3], 0 offen offset:8
	;; [unrolled: 1-line block ×3, first 2 shown]
	s_waitcnt vmcnt(0)
	ds_write_b128 v5, v[1:4]
	s_waitcnt lgkmcnt(0)
	s_barrier
	buffer_gl0_inv
	v_cmpx_gt_u32_e32 45, v0
	s_cbranch_execz .LBB58_195
; %bb.192:
	v_mov_b32_e32 v1, 0
	v_mov_b32_e32 v3, 0
	v_add_nc_u32_e32 v7, -1, v0
	v_add_nc_u32_e32 v8, 0x3b0, v243
	v_mov_b32_e32 v2, 0
	v_mov_b32_e32 v4, 0
	v_add_nc_u32_e32 v9, 16, v243
	s_mov_b32 s5, 0
	.p2align	6
.LBB58_193:                             ; =>This Inner Loop Header: Depth=1
	s_clause 0x3
	buffer_load_dword v14, v9, s[0:3], 0 offen offset:8
	buffer_load_dword v15, v9, s[0:3], 0 offen offset:12
	buffer_load_dword v16, v9, s[0:3], 0 offen
	buffer_load_dword v17, v9, s[0:3], 0 offen offset:4
	ds_read_b128 v[10:13], v8
	v_add_nc_u32_e32 v7, 1, v7
	v_add_nc_u32_e32 v8, 16, v8
	;; [unrolled: 1-line block ×3, first 2 shown]
	v_cmp_lt_u32_e32 vcc_lo, 43, v7
	s_or_b32 s5, vcc_lo, s5
	s_waitcnt vmcnt(2) lgkmcnt(0)
	v_mul_f64 v[18:19], v[12:13], v[14:15]
	v_mul_f64 v[14:15], v[10:11], v[14:15]
	s_waitcnt vmcnt(0)
	v_fma_f64 v[10:11], v[10:11], v[16:17], -v[18:19]
	v_fma_f64 v[12:13], v[12:13], v[16:17], v[14:15]
	v_add_f64 v[3:4], v[3:4], v[10:11]
	v_add_f64 v[1:2], v[1:2], v[12:13]
	s_andn2_b32 exec_lo, exec_lo, s5
	s_cbranch_execnz .LBB58_193
; %bb.194:
	s_or_b32 exec_lo, exec_lo, s5
	v_mov_b32_e32 v7, 0
	ds_read_b128 v[7:10], v7 offset:720
	s_waitcnt lgkmcnt(0)
	v_mul_f64 v[11:12], v[1:2], v[9:10]
	v_mul_f64 v[9:10], v[3:4], v[9:10]
	v_fma_f64 v[3:4], v[3:4], v[7:8], -v[11:12]
	v_fma_f64 v[1:2], v[1:2], v[7:8], v[9:10]
	buffer_store_dword v4, off, s[0:3], 0 offset:740
	buffer_store_dword v3, off, s[0:3], 0 offset:736
	;; [unrolled: 1-line block ×4, first 2 shown]
.LBB58_195:
	s_or_b32 exec_lo, exec_lo, s4
	v_mov_b32_e32 v4, s24
	s_waitcnt_vscnt null, 0x0
	s_barrier
	buffer_gl0_inv
	s_mov_b32 s4, exec_lo
	s_clause 0x3
	buffer_load_dword v1, v4, s[0:3], 0 offen
	buffer_load_dword v2, v4, s[0:3], 0 offen offset:4
	buffer_load_dword v3, v4, s[0:3], 0 offen offset:8
	;; [unrolled: 1-line block ×3, first 2 shown]
	s_waitcnt vmcnt(0)
	ds_write_b128 v5, v[1:4]
	s_waitcnt lgkmcnt(0)
	s_barrier
	buffer_gl0_inv
	v_cmpx_gt_u32_e32 46, v0
	s_cbranch_execz .LBB58_199
; %bb.196:
	v_mov_b32_e32 v1, 0
	v_mov_b32_e32 v3, 0
	v_add_nc_u32_e32 v7, -1, v0
	v_add_nc_u32_e32 v8, 0x3b0, v243
	v_mov_b32_e32 v2, 0
	v_mov_b32_e32 v4, 0
	v_add_nc_u32_e32 v9, 16, v243
	s_mov_b32 s5, 0
	.p2align	6
.LBB58_197:                             ; =>This Inner Loop Header: Depth=1
	s_clause 0x3
	buffer_load_dword v14, v9, s[0:3], 0 offen offset:8
	buffer_load_dword v15, v9, s[0:3], 0 offen offset:12
	buffer_load_dword v16, v9, s[0:3], 0 offen
	buffer_load_dword v17, v9, s[0:3], 0 offen offset:4
	ds_read_b128 v[10:13], v8
	v_add_nc_u32_e32 v7, 1, v7
	v_add_nc_u32_e32 v8, 16, v8
	;; [unrolled: 1-line block ×3, first 2 shown]
	v_cmp_lt_u32_e32 vcc_lo, 44, v7
	s_or_b32 s5, vcc_lo, s5
	s_waitcnt vmcnt(2) lgkmcnt(0)
	v_mul_f64 v[18:19], v[12:13], v[14:15]
	v_mul_f64 v[14:15], v[10:11], v[14:15]
	s_waitcnt vmcnt(0)
	v_fma_f64 v[10:11], v[10:11], v[16:17], -v[18:19]
	v_fma_f64 v[12:13], v[12:13], v[16:17], v[14:15]
	v_add_f64 v[3:4], v[3:4], v[10:11]
	v_add_f64 v[1:2], v[1:2], v[12:13]
	s_andn2_b32 exec_lo, exec_lo, s5
	s_cbranch_execnz .LBB58_197
; %bb.198:
	s_or_b32 exec_lo, exec_lo, s5
	v_mov_b32_e32 v7, 0
	ds_read_b128 v[7:10], v7 offset:736
	s_waitcnt lgkmcnt(0)
	v_mul_f64 v[11:12], v[1:2], v[9:10]
	v_mul_f64 v[9:10], v[3:4], v[9:10]
	v_fma_f64 v[3:4], v[3:4], v[7:8], -v[11:12]
	v_fma_f64 v[1:2], v[1:2], v[7:8], v[9:10]
	buffer_store_dword v4, off, s[0:3], 0 offset:756
	buffer_store_dword v3, off, s[0:3], 0 offset:752
	;; [unrolled: 1-line block ×4, first 2 shown]
.LBB58_199:
	s_or_b32 exec_lo, exec_lo, s4
	v_mov_b32_e32 v4, s23
	s_waitcnt_vscnt null, 0x0
	s_barrier
	buffer_gl0_inv
	s_mov_b32 s4, exec_lo
	s_clause 0x3
	buffer_load_dword v1, v4, s[0:3], 0 offen
	buffer_load_dword v2, v4, s[0:3], 0 offen offset:4
	buffer_load_dword v3, v4, s[0:3], 0 offen offset:8
	;; [unrolled: 1-line block ×3, first 2 shown]
	s_waitcnt vmcnt(0)
	ds_write_b128 v5, v[1:4]
	s_waitcnt lgkmcnt(0)
	s_barrier
	buffer_gl0_inv
	v_cmpx_gt_u32_e32 47, v0
	s_cbranch_execz .LBB58_203
; %bb.200:
	v_mov_b32_e32 v1, 0
	v_mov_b32_e32 v3, 0
	v_add_nc_u32_e32 v7, -1, v0
	v_add_nc_u32_e32 v8, 0x3b0, v243
	v_mov_b32_e32 v2, 0
	v_mov_b32_e32 v4, 0
	v_add_nc_u32_e32 v9, 16, v243
	s_mov_b32 s5, 0
	.p2align	6
.LBB58_201:                             ; =>This Inner Loop Header: Depth=1
	s_clause 0x3
	buffer_load_dword v14, v9, s[0:3], 0 offen offset:8
	buffer_load_dword v15, v9, s[0:3], 0 offen offset:12
	buffer_load_dword v16, v9, s[0:3], 0 offen
	buffer_load_dword v17, v9, s[0:3], 0 offen offset:4
	ds_read_b128 v[10:13], v8
	v_add_nc_u32_e32 v7, 1, v7
	v_add_nc_u32_e32 v8, 16, v8
	;; [unrolled: 1-line block ×3, first 2 shown]
	v_cmp_lt_u32_e32 vcc_lo, 45, v7
	s_or_b32 s5, vcc_lo, s5
	s_waitcnt vmcnt(2) lgkmcnt(0)
	v_mul_f64 v[18:19], v[12:13], v[14:15]
	v_mul_f64 v[14:15], v[10:11], v[14:15]
	s_waitcnt vmcnt(0)
	v_fma_f64 v[10:11], v[10:11], v[16:17], -v[18:19]
	v_fma_f64 v[12:13], v[12:13], v[16:17], v[14:15]
	v_add_f64 v[3:4], v[3:4], v[10:11]
	v_add_f64 v[1:2], v[1:2], v[12:13]
	s_andn2_b32 exec_lo, exec_lo, s5
	s_cbranch_execnz .LBB58_201
; %bb.202:
	s_or_b32 exec_lo, exec_lo, s5
	v_mov_b32_e32 v7, 0
	ds_read_b128 v[7:10], v7 offset:752
	s_waitcnt lgkmcnt(0)
	v_mul_f64 v[11:12], v[1:2], v[9:10]
	v_mul_f64 v[9:10], v[3:4], v[9:10]
	v_fma_f64 v[3:4], v[3:4], v[7:8], -v[11:12]
	v_fma_f64 v[1:2], v[1:2], v[7:8], v[9:10]
	buffer_store_dword v4, off, s[0:3], 0 offset:772
	buffer_store_dword v3, off, s[0:3], 0 offset:768
	;; [unrolled: 1-line block ×4, first 2 shown]
.LBB58_203:
	s_or_b32 exec_lo, exec_lo, s4
	v_mov_b32_e32 v4, s22
	s_waitcnt_vscnt null, 0x0
	s_barrier
	buffer_gl0_inv
	s_mov_b32 s4, exec_lo
	s_clause 0x3
	buffer_load_dword v1, v4, s[0:3], 0 offen
	buffer_load_dword v2, v4, s[0:3], 0 offen offset:4
	buffer_load_dword v3, v4, s[0:3], 0 offen offset:8
	;; [unrolled: 1-line block ×3, first 2 shown]
	s_waitcnt vmcnt(0)
	ds_write_b128 v5, v[1:4]
	s_waitcnt lgkmcnt(0)
	s_barrier
	buffer_gl0_inv
	v_cmpx_gt_u32_e32 48, v0
	s_cbranch_execz .LBB58_207
; %bb.204:
	v_mov_b32_e32 v1, 0
	v_mov_b32_e32 v3, 0
	v_add_nc_u32_e32 v7, -1, v0
	v_add_nc_u32_e32 v8, 0x3b0, v243
	v_mov_b32_e32 v2, 0
	v_mov_b32_e32 v4, 0
	v_add_nc_u32_e32 v9, 16, v243
	s_mov_b32 s5, 0
	.p2align	6
.LBB58_205:                             ; =>This Inner Loop Header: Depth=1
	s_clause 0x3
	buffer_load_dword v14, v9, s[0:3], 0 offen offset:8
	buffer_load_dword v15, v9, s[0:3], 0 offen offset:12
	buffer_load_dword v16, v9, s[0:3], 0 offen
	buffer_load_dword v17, v9, s[0:3], 0 offen offset:4
	ds_read_b128 v[10:13], v8
	v_add_nc_u32_e32 v7, 1, v7
	v_add_nc_u32_e32 v8, 16, v8
	;; [unrolled: 1-line block ×3, first 2 shown]
	v_cmp_lt_u32_e32 vcc_lo, 46, v7
	s_or_b32 s5, vcc_lo, s5
	s_waitcnt vmcnt(2) lgkmcnt(0)
	v_mul_f64 v[18:19], v[12:13], v[14:15]
	v_mul_f64 v[14:15], v[10:11], v[14:15]
	s_waitcnt vmcnt(0)
	v_fma_f64 v[10:11], v[10:11], v[16:17], -v[18:19]
	v_fma_f64 v[12:13], v[12:13], v[16:17], v[14:15]
	v_add_f64 v[3:4], v[3:4], v[10:11]
	v_add_f64 v[1:2], v[1:2], v[12:13]
	s_andn2_b32 exec_lo, exec_lo, s5
	s_cbranch_execnz .LBB58_205
; %bb.206:
	s_or_b32 exec_lo, exec_lo, s5
	v_mov_b32_e32 v7, 0
	ds_read_b128 v[7:10], v7 offset:768
	s_waitcnt lgkmcnt(0)
	v_mul_f64 v[11:12], v[1:2], v[9:10]
	v_mul_f64 v[9:10], v[3:4], v[9:10]
	v_fma_f64 v[3:4], v[3:4], v[7:8], -v[11:12]
	v_fma_f64 v[1:2], v[1:2], v[7:8], v[9:10]
	buffer_store_dword v4, off, s[0:3], 0 offset:788
	buffer_store_dword v3, off, s[0:3], 0 offset:784
	;; [unrolled: 1-line block ×4, first 2 shown]
.LBB58_207:
	s_or_b32 exec_lo, exec_lo, s4
	v_mov_b32_e32 v4, s19
	s_waitcnt_vscnt null, 0x0
	s_barrier
	buffer_gl0_inv
	s_mov_b32 s4, exec_lo
	s_clause 0x3
	buffer_load_dword v1, v4, s[0:3], 0 offen
	buffer_load_dword v2, v4, s[0:3], 0 offen offset:4
	buffer_load_dword v3, v4, s[0:3], 0 offen offset:8
	;; [unrolled: 1-line block ×3, first 2 shown]
	s_waitcnt vmcnt(0)
	ds_write_b128 v5, v[1:4]
	s_waitcnt lgkmcnt(0)
	s_barrier
	buffer_gl0_inv
	v_cmpx_gt_u32_e32 49, v0
	s_cbranch_execz .LBB58_211
; %bb.208:
	v_mov_b32_e32 v1, 0
	v_mov_b32_e32 v3, 0
	v_add_nc_u32_e32 v7, -1, v0
	v_add_nc_u32_e32 v8, 0x3b0, v243
	v_mov_b32_e32 v2, 0
	v_mov_b32_e32 v4, 0
	v_add_nc_u32_e32 v9, 16, v243
	s_mov_b32 s5, 0
	.p2align	6
.LBB58_209:                             ; =>This Inner Loop Header: Depth=1
	s_clause 0x3
	buffer_load_dword v14, v9, s[0:3], 0 offen offset:8
	buffer_load_dword v15, v9, s[0:3], 0 offen offset:12
	buffer_load_dword v16, v9, s[0:3], 0 offen
	buffer_load_dword v17, v9, s[0:3], 0 offen offset:4
	ds_read_b128 v[10:13], v8
	v_add_nc_u32_e32 v7, 1, v7
	v_add_nc_u32_e32 v8, 16, v8
	;; [unrolled: 1-line block ×3, first 2 shown]
	v_cmp_lt_u32_e32 vcc_lo, 47, v7
	s_or_b32 s5, vcc_lo, s5
	s_waitcnt vmcnt(2) lgkmcnt(0)
	v_mul_f64 v[18:19], v[12:13], v[14:15]
	v_mul_f64 v[14:15], v[10:11], v[14:15]
	s_waitcnt vmcnt(0)
	v_fma_f64 v[10:11], v[10:11], v[16:17], -v[18:19]
	v_fma_f64 v[12:13], v[12:13], v[16:17], v[14:15]
	v_add_f64 v[3:4], v[3:4], v[10:11]
	v_add_f64 v[1:2], v[1:2], v[12:13]
	s_andn2_b32 exec_lo, exec_lo, s5
	s_cbranch_execnz .LBB58_209
; %bb.210:
	s_or_b32 exec_lo, exec_lo, s5
	v_mov_b32_e32 v7, 0
	ds_read_b128 v[7:10], v7 offset:784
	s_waitcnt lgkmcnt(0)
	v_mul_f64 v[11:12], v[1:2], v[9:10]
	v_mul_f64 v[9:10], v[3:4], v[9:10]
	v_fma_f64 v[3:4], v[3:4], v[7:8], -v[11:12]
	v_fma_f64 v[1:2], v[1:2], v[7:8], v[9:10]
	buffer_store_dword v4, off, s[0:3], 0 offset:804
	buffer_store_dword v3, off, s[0:3], 0 offset:800
	;; [unrolled: 1-line block ×4, first 2 shown]
.LBB58_211:
	s_or_b32 exec_lo, exec_lo, s4
	v_mov_b32_e32 v4, s18
	s_waitcnt_vscnt null, 0x0
	s_barrier
	buffer_gl0_inv
	s_mov_b32 s4, exec_lo
	s_clause 0x3
	buffer_load_dword v1, v4, s[0:3], 0 offen
	buffer_load_dword v2, v4, s[0:3], 0 offen offset:4
	buffer_load_dword v3, v4, s[0:3], 0 offen offset:8
	;; [unrolled: 1-line block ×3, first 2 shown]
	s_waitcnt vmcnt(0)
	ds_write_b128 v5, v[1:4]
	s_waitcnt lgkmcnt(0)
	s_barrier
	buffer_gl0_inv
	v_cmpx_gt_u32_e32 50, v0
	s_cbranch_execz .LBB58_215
; %bb.212:
	v_mov_b32_e32 v1, 0
	v_mov_b32_e32 v3, 0
	v_add_nc_u32_e32 v7, -1, v0
	v_add_nc_u32_e32 v8, 0x3b0, v243
	v_mov_b32_e32 v2, 0
	v_mov_b32_e32 v4, 0
	v_add_nc_u32_e32 v9, 16, v243
	s_mov_b32 s5, 0
	.p2align	6
.LBB58_213:                             ; =>This Inner Loop Header: Depth=1
	s_clause 0x3
	buffer_load_dword v14, v9, s[0:3], 0 offen offset:8
	buffer_load_dword v15, v9, s[0:3], 0 offen offset:12
	buffer_load_dword v16, v9, s[0:3], 0 offen
	buffer_load_dword v17, v9, s[0:3], 0 offen offset:4
	ds_read_b128 v[10:13], v8
	v_add_nc_u32_e32 v7, 1, v7
	v_add_nc_u32_e32 v8, 16, v8
	v_add_nc_u32_e32 v9, 16, v9
	v_cmp_lt_u32_e32 vcc_lo, 48, v7
	s_or_b32 s5, vcc_lo, s5
	s_waitcnt vmcnt(2) lgkmcnt(0)
	v_mul_f64 v[18:19], v[12:13], v[14:15]
	v_mul_f64 v[14:15], v[10:11], v[14:15]
	s_waitcnt vmcnt(0)
	v_fma_f64 v[10:11], v[10:11], v[16:17], -v[18:19]
	v_fma_f64 v[12:13], v[12:13], v[16:17], v[14:15]
	v_add_f64 v[3:4], v[3:4], v[10:11]
	v_add_f64 v[1:2], v[1:2], v[12:13]
	s_andn2_b32 exec_lo, exec_lo, s5
	s_cbranch_execnz .LBB58_213
; %bb.214:
	s_or_b32 exec_lo, exec_lo, s5
	v_mov_b32_e32 v7, 0
	ds_read_b128 v[7:10], v7 offset:800
	s_waitcnt lgkmcnt(0)
	v_mul_f64 v[11:12], v[1:2], v[9:10]
	v_mul_f64 v[9:10], v[3:4], v[9:10]
	v_fma_f64 v[3:4], v[3:4], v[7:8], -v[11:12]
	v_fma_f64 v[1:2], v[1:2], v[7:8], v[9:10]
	buffer_store_dword v4, off, s[0:3], 0 offset:820
	buffer_store_dword v3, off, s[0:3], 0 offset:816
	;; [unrolled: 1-line block ×4, first 2 shown]
.LBB58_215:
	s_or_b32 exec_lo, exec_lo, s4
	v_mov_b32_e32 v4, s17
	s_waitcnt_vscnt null, 0x0
	s_barrier
	buffer_gl0_inv
	s_mov_b32 s4, exec_lo
	s_clause 0x3
	buffer_load_dword v1, v4, s[0:3], 0 offen
	buffer_load_dword v2, v4, s[0:3], 0 offen offset:4
	buffer_load_dword v3, v4, s[0:3], 0 offen offset:8
	;; [unrolled: 1-line block ×3, first 2 shown]
	s_waitcnt vmcnt(0)
	ds_write_b128 v5, v[1:4]
	s_waitcnt lgkmcnt(0)
	s_barrier
	buffer_gl0_inv
	v_cmpx_gt_u32_e32 51, v0
	s_cbranch_execz .LBB58_219
; %bb.216:
	v_mov_b32_e32 v1, 0
	v_mov_b32_e32 v3, 0
	v_add_nc_u32_e32 v7, -1, v0
	v_add_nc_u32_e32 v8, 0x3b0, v243
	v_mov_b32_e32 v2, 0
	v_mov_b32_e32 v4, 0
	v_add_nc_u32_e32 v9, 16, v243
	s_mov_b32 s5, 0
	.p2align	6
.LBB58_217:                             ; =>This Inner Loop Header: Depth=1
	s_clause 0x3
	buffer_load_dword v14, v9, s[0:3], 0 offen offset:8
	buffer_load_dword v15, v9, s[0:3], 0 offen offset:12
	buffer_load_dword v16, v9, s[0:3], 0 offen
	buffer_load_dword v17, v9, s[0:3], 0 offen offset:4
	ds_read_b128 v[10:13], v8
	v_add_nc_u32_e32 v7, 1, v7
	v_add_nc_u32_e32 v8, 16, v8
	;; [unrolled: 1-line block ×3, first 2 shown]
	v_cmp_lt_u32_e32 vcc_lo, 49, v7
	s_or_b32 s5, vcc_lo, s5
	s_waitcnt vmcnt(2) lgkmcnt(0)
	v_mul_f64 v[18:19], v[12:13], v[14:15]
	v_mul_f64 v[14:15], v[10:11], v[14:15]
	s_waitcnt vmcnt(0)
	v_fma_f64 v[10:11], v[10:11], v[16:17], -v[18:19]
	v_fma_f64 v[12:13], v[12:13], v[16:17], v[14:15]
	v_add_f64 v[3:4], v[3:4], v[10:11]
	v_add_f64 v[1:2], v[1:2], v[12:13]
	s_andn2_b32 exec_lo, exec_lo, s5
	s_cbranch_execnz .LBB58_217
; %bb.218:
	s_or_b32 exec_lo, exec_lo, s5
	v_mov_b32_e32 v7, 0
	ds_read_b128 v[7:10], v7 offset:816
	s_waitcnt lgkmcnt(0)
	v_mul_f64 v[11:12], v[1:2], v[9:10]
	v_mul_f64 v[9:10], v[3:4], v[9:10]
	v_fma_f64 v[3:4], v[3:4], v[7:8], -v[11:12]
	v_fma_f64 v[1:2], v[1:2], v[7:8], v[9:10]
	buffer_store_dword v4, off, s[0:3], 0 offset:836
	buffer_store_dword v3, off, s[0:3], 0 offset:832
	;; [unrolled: 1-line block ×4, first 2 shown]
.LBB58_219:
	s_or_b32 exec_lo, exec_lo, s4
	v_mov_b32_e32 v4, s16
	s_waitcnt_vscnt null, 0x0
	s_barrier
	buffer_gl0_inv
	s_mov_b32 s4, exec_lo
	s_clause 0x3
	buffer_load_dword v1, v4, s[0:3], 0 offen
	buffer_load_dword v2, v4, s[0:3], 0 offen offset:4
	buffer_load_dword v3, v4, s[0:3], 0 offen offset:8
	;; [unrolled: 1-line block ×3, first 2 shown]
	s_waitcnt vmcnt(0)
	ds_write_b128 v5, v[1:4]
	s_waitcnt lgkmcnt(0)
	s_barrier
	buffer_gl0_inv
	v_cmpx_gt_u32_e32 52, v0
	s_cbranch_execz .LBB58_223
; %bb.220:
	v_mov_b32_e32 v1, 0
	v_mov_b32_e32 v3, 0
	v_add_nc_u32_e32 v7, -1, v0
	v_add_nc_u32_e32 v8, 0x3b0, v243
	v_mov_b32_e32 v2, 0
	v_mov_b32_e32 v4, 0
	v_add_nc_u32_e32 v9, 16, v243
	s_mov_b32 s5, 0
	.p2align	6
.LBB58_221:                             ; =>This Inner Loop Header: Depth=1
	s_clause 0x3
	buffer_load_dword v14, v9, s[0:3], 0 offen offset:8
	buffer_load_dword v15, v9, s[0:3], 0 offen offset:12
	buffer_load_dword v16, v9, s[0:3], 0 offen
	buffer_load_dword v17, v9, s[0:3], 0 offen offset:4
	ds_read_b128 v[10:13], v8
	v_add_nc_u32_e32 v7, 1, v7
	v_add_nc_u32_e32 v8, 16, v8
	;; [unrolled: 1-line block ×3, first 2 shown]
	v_cmp_lt_u32_e32 vcc_lo, 50, v7
	s_or_b32 s5, vcc_lo, s5
	s_waitcnt vmcnt(2) lgkmcnt(0)
	v_mul_f64 v[18:19], v[12:13], v[14:15]
	v_mul_f64 v[14:15], v[10:11], v[14:15]
	s_waitcnt vmcnt(0)
	v_fma_f64 v[10:11], v[10:11], v[16:17], -v[18:19]
	v_fma_f64 v[12:13], v[12:13], v[16:17], v[14:15]
	v_add_f64 v[3:4], v[3:4], v[10:11]
	v_add_f64 v[1:2], v[1:2], v[12:13]
	s_andn2_b32 exec_lo, exec_lo, s5
	s_cbranch_execnz .LBB58_221
; %bb.222:
	s_or_b32 exec_lo, exec_lo, s5
	v_mov_b32_e32 v7, 0
	ds_read_b128 v[7:10], v7 offset:832
	s_waitcnt lgkmcnt(0)
	v_mul_f64 v[11:12], v[1:2], v[9:10]
	v_mul_f64 v[9:10], v[3:4], v[9:10]
	v_fma_f64 v[3:4], v[3:4], v[7:8], -v[11:12]
	v_fma_f64 v[1:2], v[1:2], v[7:8], v[9:10]
	buffer_store_dword v4, off, s[0:3], 0 offset:852
	buffer_store_dword v3, off, s[0:3], 0 offset:848
	;; [unrolled: 1-line block ×4, first 2 shown]
.LBB58_223:
	s_or_b32 exec_lo, exec_lo, s4
	v_mov_b32_e32 v4, s15
	s_waitcnt_vscnt null, 0x0
	s_barrier
	buffer_gl0_inv
	s_mov_b32 s4, exec_lo
	s_clause 0x3
	buffer_load_dword v1, v4, s[0:3], 0 offen
	buffer_load_dword v2, v4, s[0:3], 0 offen offset:4
	buffer_load_dword v3, v4, s[0:3], 0 offen offset:8
	;; [unrolled: 1-line block ×3, first 2 shown]
	s_waitcnt vmcnt(0)
	ds_write_b128 v5, v[1:4]
	s_waitcnt lgkmcnt(0)
	s_barrier
	buffer_gl0_inv
	v_cmpx_gt_u32_e32 53, v0
	s_cbranch_execz .LBB58_227
; %bb.224:
	v_mov_b32_e32 v1, 0
	v_mov_b32_e32 v3, 0
	v_add_nc_u32_e32 v7, -1, v0
	v_add_nc_u32_e32 v8, 0x3b0, v243
	v_mov_b32_e32 v2, 0
	v_mov_b32_e32 v4, 0
	v_add_nc_u32_e32 v9, 16, v243
	s_mov_b32 s5, 0
	.p2align	6
.LBB58_225:                             ; =>This Inner Loop Header: Depth=1
	s_clause 0x3
	buffer_load_dword v14, v9, s[0:3], 0 offen offset:8
	buffer_load_dword v15, v9, s[0:3], 0 offen offset:12
	buffer_load_dword v16, v9, s[0:3], 0 offen
	buffer_load_dword v17, v9, s[0:3], 0 offen offset:4
	ds_read_b128 v[10:13], v8
	v_add_nc_u32_e32 v7, 1, v7
	v_add_nc_u32_e32 v8, 16, v8
	;; [unrolled: 1-line block ×3, first 2 shown]
	v_cmp_lt_u32_e32 vcc_lo, 51, v7
	s_or_b32 s5, vcc_lo, s5
	s_waitcnt vmcnt(2) lgkmcnt(0)
	v_mul_f64 v[18:19], v[12:13], v[14:15]
	v_mul_f64 v[14:15], v[10:11], v[14:15]
	s_waitcnt vmcnt(0)
	v_fma_f64 v[10:11], v[10:11], v[16:17], -v[18:19]
	v_fma_f64 v[12:13], v[12:13], v[16:17], v[14:15]
	v_add_f64 v[3:4], v[3:4], v[10:11]
	v_add_f64 v[1:2], v[1:2], v[12:13]
	s_andn2_b32 exec_lo, exec_lo, s5
	s_cbranch_execnz .LBB58_225
; %bb.226:
	s_or_b32 exec_lo, exec_lo, s5
	v_mov_b32_e32 v7, 0
	ds_read_b128 v[7:10], v7 offset:848
	s_waitcnt lgkmcnt(0)
	v_mul_f64 v[11:12], v[1:2], v[9:10]
	v_mul_f64 v[9:10], v[3:4], v[9:10]
	v_fma_f64 v[3:4], v[3:4], v[7:8], -v[11:12]
	v_fma_f64 v[1:2], v[1:2], v[7:8], v[9:10]
	buffer_store_dword v4, off, s[0:3], 0 offset:868
	buffer_store_dword v3, off, s[0:3], 0 offset:864
	buffer_store_dword v2, off, s[0:3], 0 offset:876
	buffer_store_dword v1, off, s[0:3], 0 offset:872
.LBB58_227:
	s_or_b32 exec_lo, exec_lo, s4
	v_mov_b32_e32 v4, s14
	s_waitcnt_vscnt null, 0x0
	s_barrier
	buffer_gl0_inv
	s_mov_b32 s4, exec_lo
	s_clause 0x3
	buffer_load_dword v1, v4, s[0:3], 0 offen
	buffer_load_dword v2, v4, s[0:3], 0 offen offset:4
	buffer_load_dword v3, v4, s[0:3], 0 offen offset:8
	;; [unrolled: 1-line block ×3, first 2 shown]
	s_waitcnt vmcnt(0)
	ds_write_b128 v5, v[1:4]
	s_waitcnt lgkmcnt(0)
	s_barrier
	buffer_gl0_inv
	v_cmpx_gt_u32_e32 54, v0
	s_cbranch_execz .LBB58_231
; %bb.228:
	v_mov_b32_e32 v1, 0
	v_mov_b32_e32 v3, 0
	v_add_nc_u32_e32 v7, -1, v0
	v_add_nc_u32_e32 v8, 0x3b0, v243
	v_mov_b32_e32 v2, 0
	v_mov_b32_e32 v4, 0
	v_add_nc_u32_e32 v9, 16, v243
	s_mov_b32 s5, 0
	.p2align	6
.LBB58_229:                             ; =>This Inner Loop Header: Depth=1
	s_clause 0x3
	buffer_load_dword v14, v9, s[0:3], 0 offen offset:8
	buffer_load_dword v15, v9, s[0:3], 0 offen offset:12
	buffer_load_dword v16, v9, s[0:3], 0 offen
	buffer_load_dword v17, v9, s[0:3], 0 offen offset:4
	ds_read_b128 v[10:13], v8
	v_add_nc_u32_e32 v7, 1, v7
	v_add_nc_u32_e32 v8, 16, v8
	;; [unrolled: 1-line block ×3, first 2 shown]
	v_cmp_lt_u32_e32 vcc_lo, 52, v7
	s_or_b32 s5, vcc_lo, s5
	s_waitcnt vmcnt(2) lgkmcnt(0)
	v_mul_f64 v[18:19], v[12:13], v[14:15]
	v_mul_f64 v[14:15], v[10:11], v[14:15]
	s_waitcnt vmcnt(0)
	v_fma_f64 v[10:11], v[10:11], v[16:17], -v[18:19]
	v_fma_f64 v[12:13], v[12:13], v[16:17], v[14:15]
	v_add_f64 v[3:4], v[3:4], v[10:11]
	v_add_f64 v[1:2], v[1:2], v[12:13]
	s_andn2_b32 exec_lo, exec_lo, s5
	s_cbranch_execnz .LBB58_229
; %bb.230:
	s_or_b32 exec_lo, exec_lo, s5
	v_mov_b32_e32 v7, 0
	ds_read_b128 v[7:10], v7 offset:864
	s_waitcnt lgkmcnt(0)
	v_mul_f64 v[11:12], v[1:2], v[9:10]
	v_mul_f64 v[9:10], v[3:4], v[9:10]
	v_fma_f64 v[3:4], v[3:4], v[7:8], -v[11:12]
	v_fma_f64 v[1:2], v[1:2], v[7:8], v[9:10]
	buffer_store_dword v4, off, s[0:3], 0 offset:884
	buffer_store_dword v3, off, s[0:3], 0 offset:880
	;; [unrolled: 1-line block ×4, first 2 shown]
.LBB58_231:
	s_or_b32 exec_lo, exec_lo, s4
	v_mov_b32_e32 v4, s13
	s_waitcnt_vscnt null, 0x0
	s_barrier
	buffer_gl0_inv
	s_mov_b32 s4, exec_lo
	s_clause 0x3
	buffer_load_dword v1, v4, s[0:3], 0 offen
	buffer_load_dword v2, v4, s[0:3], 0 offen offset:4
	buffer_load_dword v3, v4, s[0:3], 0 offen offset:8
	;; [unrolled: 1-line block ×3, first 2 shown]
	s_waitcnt vmcnt(0)
	ds_write_b128 v5, v[1:4]
	s_waitcnt lgkmcnt(0)
	s_barrier
	buffer_gl0_inv
	v_cmpx_gt_u32_e32 55, v0
	s_cbranch_execz .LBB58_235
; %bb.232:
	v_mov_b32_e32 v1, 0
	v_mov_b32_e32 v3, 0
	v_add_nc_u32_e32 v7, -1, v0
	v_add_nc_u32_e32 v8, 0x3b0, v243
	v_mov_b32_e32 v2, 0
	v_mov_b32_e32 v4, 0
	v_add_nc_u32_e32 v9, 16, v243
	s_mov_b32 s5, 0
	.p2align	6
.LBB58_233:                             ; =>This Inner Loop Header: Depth=1
	s_clause 0x3
	buffer_load_dword v14, v9, s[0:3], 0 offen offset:8
	buffer_load_dword v15, v9, s[0:3], 0 offen offset:12
	buffer_load_dword v16, v9, s[0:3], 0 offen
	buffer_load_dword v17, v9, s[0:3], 0 offen offset:4
	ds_read_b128 v[10:13], v8
	v_add_nc_u32_e32 v7, 1, v7
	v_add_nc_u32_e32 v8, 16, v8
	v_add_nc_u32_e32 v9, 16, v9
	v_cmp_lt_u32_e32 vcc_lo, 53, v7
	s_or_b32 s5, vcc_lo, s5
	s_waitcnt vmcnt(2) lgkmcnt(0)
	v_mul_f64 v[18:19], v[12:13], v[14:15]
	v_mul_f64 v[14:15], v[10:11], v[14:15]
	s_waitcnt vmcnt(0)
	v_fma_f64 v[10:11], v[10:11], v[16:17], -v[18:19]
	v_fma_f64 v[12:13], v[12:13], v[16:17], v[14:15]
	v_add_f64 v[3:4], v[3:4], v[10:11]
	v_add_f64 v[1:2], v[1:2], v[12:13]
	s_andn2_b32 exec_lo, exec_lo, s5
	s_cbranch_execnz .LBB58_233
; %bb.234:
	s_or_b32 exec_lo, exec_lo, s5
	v_mov_b32_e32 v7, 0
	ds_read_b128 v[7:10], v7 offset:880
	s_waitcnt lgkmcnt(0)
	v_mul_f64 v[11:12], v[1:2], v[9:10]
	v_mul_f64 v[9:10], v[3:4], v[9:10]
	v_fma_f64 v[3:4], v[3:4], v[7:8], -v[11:12]
	v_fma_f64 v[1:2], v[1:2], v[7:8], v[9:10]
	buffer_store_dword v4, off, s[0:3], 0 offset:900
	buffer_store_dword v3, off, s[0:3], 0 offset:896
	;; [unrolled: 1-line block ×4, first 2 shown]
.LBB58_235:
	s_or_b32 exec_lo, exec_lo, s4
	v_mov_b32_e32 v4, s12
	s_waitcnt_vscnt null, 0x0
	s_barrier
	buffer_gl0_inv
	s_mov_b32 s4, exec_lo
	s_clause 0x3
	buffer_load_dword v1, v4, s[0:3], 0 offen
	buffer_load_dword v2, v4, s[0:3], 0 offen offset:4
	buffer_load_dword v3, v4, s[0:3], 0 offen offset:8
	;; [unrolled: 1-line block ×3, first 2 shown]
	s_waitcnt vmcnt(0)
	ds_write_b128 v5, v[1:4]
	s_waitcnt lgkmcnt(0)
	s_barrier
	buffer_gl0_inv
	v_cmpx_gt_u32_e32 56, v0
	s_cbranch_execz .LBB58_239
; %bb.236:
	v_mov_b32_e32 v1, 0
	v_mov_b32_e32 v3, 0
	v_add_nc_u32_e32 v7, -1, v0
	v_add_nc_u32_e32 v8, 0x3b0, v243
	v_mov_b32_e32 v2, 0
	v_mov_b32_e32 v4, 0
	v_add_nc_u32_e32 v9, 16, v243
	s_mov_b32 s5, 0
	.p2align	6
.LBB58_237:                             ; =>This Inner Loop Header: Depth=1
	s_clause 0x3
	buffer_load_dword v14, v9, s[0:3], 0 offen offset:8
	buffer_load_dword v15, v9, s[0:3], 0 offen offset:12
	buffer_load_dword v16, v9, s[0:3], 0 offen
	buffer_load_dword v17, v9, s[0:3], 0 offen offset:4
	ds_read_b128 v[10:13], v8
	v_add_nc_u32_e32 v7, 1, v7
	v_add_nc_u32_e32 v8, 16, v8
	;; [unrolled: 1-line block ×3, first 2 shown]
	v_cmp_lt_u32_e32 vcc_lo, 54, v7
	s_or_b32 s5, vcc_lo, s5
	s_waitcnt vmcnt(2) lgkmcnt(0)
	v_mul_f64 v[18:19], v[12:13], v[14:15]
	v_mul_f64 v[14:15], v[10:11], v[14:15]
	s_waitcnt vmcnt(0)
	v_fma_f64 v[10:11], v[10:11], v[16:17], -v[18:19]
	v_fma_f64 v[12:13], v[12:13], v[16:17], v[14:15]
	v_add_f64 v[3:4], v[3:4], v[10:11]
	v_add_f64 v[1:2], v[1:2], v[12:13]
	s_andn2_b32 exec_lo, exec_lo, s5
	s_cbranch_execnz .LBB58_237
; %bb.238:
	s_or_b32 exec_lo, exec_lo, s5
	v_mov_b32_e32 v7, 0
	ds_read_b128 v[7:10], v7 offset:896
	s_waitcnt lgkmcnt(0)
	v_mul_f64 v[11:12], v[1:2], v[9:10]
	v_mul_f64 v[9:10], v[3:4], v[9:10]
	v_fma_f64 v[3:4], v[3:4], v[7:8], -v[11:12]
	v_fma_f64 v[1:2], v[1:2], v[7:8], v[9:10]
	buffer_store_dword v4, off, s[0:3], 0 offset:916
	buffer_store_dword v3, off, s[0:3], 0 offset:912
	;; [unrolled: 1-line block ×4, first 2 shown]
.LBB58_239:
	s_or_b32 exec_lo, exec_lo, s4
	v_mov_b32_e32 v4, s9
	s_waitcnt_vscnt null, 0x0
	s_barrier
	buffer_gl0_inv
	s_mov_b32 s4, exec_lo
	s_clause 0x3
	buffer_load_dword v1, v4, s[0:3], 0 offen
	buffer_load_dword v2, v4, s[0:3], 0 offen offset:4
	buffer_load_dword v3, v4, s[0:3], 0 offen offset:8
	;; [unrolled: 1-line block ×3, first 2 shown]
	s_waitcnt vmcnt(0)
	ds_write_b128 v5, v[1:4]
	s_waitcnt lgkmcnt(0)
	s_barrier
	buffer_gl0_inv
	v_cmpx_gt_u32_e32 57, v0
	s_cbranch_execz .LBB58_243
; %bb.240:
	v_mov_b32_e32 v1, 0
	v_mov_b32_e32 v3, 0
	v_add_nc_u32_e32 v7, -1, v0
	v_add_nc_u32_e32 v8, 0x3b0, v243
	v_mov_b32_e32 v2, 0
	v_mov_b32_e32 v4, 0
	v_add_nc_u32_e32 v9, 16, v243
	s_mov_b32 s5, 0
	.p2align	6
.LBB58_241:                             ; =>This Inner Loop Header: Depth=1
	s_clause 0x3
	buffer_load_dword v14, v9, s[0:3], 0 offen offset:8
	buffer_load_dword v15, v9, s[0:3], 0 offen offset:12
	buffer_load_dword v16, v9, s[0:3], 0 offen
	buffer_load_dword v17, v9, s[0:3], 0 offen offset:4
	ds_read_b128 v[10:13], v8
	v_add_nc_u32_e32 v7, 1, v7
	v_add_nc_u32_e32 v8, 16, v8
	v_add_nc_u32_e32 v9, 16, v9
	v_cmp_lt_u32_e32 vcc_lo, 55, v7
	s_or_b32 s5, vcc_lo, s5
	s_waitcnt vmcnt(2) lgkmcnt(0)
	v_mul_f64 v[18:19], v[12:13], v[14:15]
	v_mul_f64 v[14:15], v[10:11], v[14:15]
	s_waitcnt vmcnt(0)
	v_fma_f64 v[10:11], v[10:11], v[16:17], -v[18:19]
	v_fma_f64 v[12:13], v[12:13], v[16:17], v[14:15]
	v_add_f64 v[3:4], v[3:4], v[10:11]
	v_add_f64 v[1:2], v[1:2], v[12:13]
	s_andn2_b32 exec_lo, exec_lo, s5
	s_cbranch_execnz .LBB58_241
; %bb.242:
	s_or_b32 exec_lo, exec_lo, s5
	v_mov_b32_e32 v7, 0
	ds_read_b128 v[7:10], v7 offset:912
	s_waitcnt lgkmcnt(0)
	v_mul_f64 v[11:12], v[1:2], v[9:10]
	v_mul_f64 v[9:10], v[3:4], v[9:10]
	v_fma_f64 v[3:4], v[3:4], v[7:8], -v[11:12]
	v_fma_f64 v[1:2], v[1:2], v[7:8], v[9:10]
	buffer_store_dword v4, off, s[0:3], 0 offset:932
	buffer_store_dword v3, off, s[0:3], 0 offset:928
	;; [unrolled: 1-line block ×4, first 2 shown]
.LBB58_243:
	s_or_b32 exec_lo, exec_lo, s4
	v_mov_b32_e32 v4, s8
	s_waitcnt_vscnt null, 0x0
	s_barrier
	buffer_gl0_inv
	s_mov_b32 s4, exec_lo
	s_clause 0x3
	buffer_load_dword v1, v4, s[0:3], 0 offen
	buffer_load_dword v2, v4, s[0:3], 0 offen offset:4
	buffer_load_dword v3, v4, s[0:3], 0 offen offset:8
	;; [unrolled: 1-line block ×3, first 2 shown]
	s_waitcnt vmcnt(0)
	ds_write_b128 v5, v[1:4]
	s_waitcnt lgkmcnt(0)
	s_barrier
	buffer_gl0_inv
	v_cmpx_ne_u32_e32 58, v0
	s_cbranch_execz .LBB58_247
; %bb.244:
	v_mov_b32_e32 v1, 0
	v_mov_b32_e32 v3, 0
	;; [unrolled: 1-line block ×4, first 2 shown]
	v_add_nc_u32_e32 v7, 16, v243
	s_mov_b32 s5, 0
	.p2align	6
.LBB58_245:                             ; =>This Inner Loop Header: Depth=1
	s_clause 0x3
	buffer_load_dword v12, v7, s[0:3], 0 offen offset:8
	buffer_load_dword v13, v7, s[0:3], 0 offen offset:12
	buffer_load_dword v14, v7, s[0:3], 0 offen
	buffer_load_dword v15, v7, s[0:3], 0 offen offset:4
	ds_read_b128 v[8:11], v5
	v_add_nc_u32_e32 v6, 1, v6
	v_add_nc_u32_e32 v5, 16, v5
	;; [unrolled: 1-line block ×3, first 2 shown]
	v_cmp_lt_u32_e32 vcc_lo, 56, v6
	s_or_b32 s5, vcc_lo, s5
	s_waitcnt vmcnt(2) lgkmcnt(0)
	v_mul_f64 v[16:17], v[10:11], v[12:13]
	v_mul_f64 v[12:13], v[8:9], v[12:13]
	s_waitcnt vmcnt(0)
	v_fma_f64 v[8:9], v[8:9], v[14:15], -v[16:17]
	v_fma_f64 v[10:11], v[10:11], v[14:15], v[12:13]
	v_add_f64 v[3:4], v[3:4], v[8:9]
	v_add_f64 v[1:2], v[1:2], v[10:11]
	s_andn2_b32 exec_lo, exec_lo, s5
	s_cbranch_execnz .LBB58_245
; %bb.246:
	s_or_b32 exec_lo, exec_lo, s5
	v_mov_b32_e32 v5, 0
	ds_read_b128 v[5:8], v5 offset:928
	s_waitcnt lgkmcnt(0)
	v_mul_f64 v[9:10], v[1:2], v[7:8]
	v_mul_f64 v[7:8], v[3:4], v[7:8]
	v_fma_f64 v[3:4], v[3:4], v[5:6], -v[9:10]
	v_fma_f64 v[1:2], v[1:2], v[5:6], v[7:8]
	buffer_store_dword v4, off, s[0:3], 0 offset:948
	buffer_store_dword v3, off, s[0:3], 0 offset:944
	;; [unrolled: 1-line block ×4, first 2 shown]
.LBB58_247:
	s_or_b32 exec_lo, exec_lo, s4
	s_mov_b32 s5, -1
	s_waitcnt_vscnt null, 0x0
	s_barrier
	buffer_gl0_inv
.LBB58_248:
	s_and_b32 vcc_lo, exec_lo, s5
	s_cbranch_vccz .LBB58_250
; %bb.249:
	s_lshl_b64 s[4:5], s[6:7], 2
	v_mov_b32_e32 v1, 0
	s_add_u32 s4, s10, s4
	s_addc_u32 s5, s11, s5
	global_load_dword v1, v1, s[4:5]
	s_waitcnt vmcnt(0)
	v_cmp_ne_u32_e32 vcc_lo, 0, v1
	s_cbranch_vccz .LBB58_251
.LBB58_250:
	s_endpgm
.LBB58_251:
	v_lshl_add_u32 v69, v0, 4, 0x3b0
	s_mov_b32 s4, exec_lo
	v_cmpx_eq_u32_e32 58, v0
	s_cbranch_execz .LBB58_253
; %bb.252:
	v_mov_b32_e32 v4, s9
	v_mov_b32_e32 v5, 0
	s_clause 0x3
	buffer_load_dword v1, v4, s[0:3], 0 offen
	buffer_load_dword v2, v4, s[0:3], 0 offen offset:4
	buffer_load_dword v3, v4, s[0:3], 0 offen offset:8
	;; [unrolled: 1-line block ×3, first 2 shown]
	buffer_store_dword v5, off, s[0:3], 0 offset:928
	buffer_store_dword v5, off, s[0:3], 0 offset:932
	;; [unrolled: 1-line block ×4, first 2 shown]
	s_waitcnt vmcnt(0)
	ds_write_b128 v69, v[1:4]
.LBB58_253:
	s_or_b32 exec_lo, exec_lo, s4
	s_waitcnt lgkmcnt(0)
	s_waitcnt_vscnt null, 0x0
	s_barrier
	buffer_gl0_inv
	s_clause 0x7
	buffer_load_dword v6, off, s[0:3], 0 offset:952
	buffer_load_dword v7, off, s[0:3], 0 offset:956
	;; [unrolled: 1-line block ×8, first 2 shown]
	v_mov_b32_e32 v1, 0
	s_mov_b32 s4, exec_lo
	ds_read_b128 v[2:5], v1 offset:1872
	s_waitcnt vmcnt(6) lgkmcnt(0)
	v_mul_f64 v[14:15], v[4:5], v[6:7]
	v_mul_f64 v[6:7], v[2:3], v[6:7]
	s_waitcnt vmcnt(4)
	v_fma_f64 v[2:3], v[2:3], v[8:9], -v[14:15]
	v_fma_f64 v[4:5], v[4:5], v[8:9], v[6:7]
	v_add_f64 v[2:3], v[2:3], 0
	v_add_f64 v[4:5], v[4:5], 0
	s_waitcnt vmcnt(2)
	v_add_f64 v[2:3], v[10:11], -v[2:3]
	s_waitcnt vmcnt(0)
	v_add_f64 v[4:5], v[12:13], -v[4:5]
	buffer_store_dword v2, off, s[0:3], 0 offset:928
	buffer_store_dword v3, off, s[0:3], 0 offset:932
	;; [unrolled: 1-line block ×4, first 2 shown]
	v_cmpx_lt_u32_e32 56, v0
	s_cbranch_execz .LBB58_255
; %bb.254:
	v_mov_b32_e32 v5, s12
	s_clause 0x3
	buffer_load_dword v2, v5, s[0:3], 0 offen
	buffer_load_dword v3, v5, s[0:3], 0 offen offset:4
	buffer_load_dword v4, v5, s[0:3], 0 offen offset:8
	;; [unrolled: 1-line block ×3, first 2 shown]
	buffer_store_dword v1, off, s[0:3], 0 offset:912
	buffer_store_dword v1, off, s[0:3], 0 offset:916
	;; [unrolled: 1-line block ×4, first 2 shown]
	s_waitcnt vmcnt(0)
	ds_write_b128 v69, v[2:5]
.LBB58_255:
	s_or_b32 exec_lo, exec_lo, s4
	s_waitcnt lgkmcnt(0)
	s_waitcnt_vscnt null, 0x0
	s_barrier
	buffer_gl0_inv
	s_clause 0xb
	buffer_load_dword v10, off, s[0:3], 0 offset:936
	buffer_load_dword v11, off, s[0:3], 0 offset:940
	;; [unrolled: 1-line block ×12, first 2 shown]
	ds_read_b128 v[2:5], v1 offset:1856
	ds_read_b128 v[6:9], v1 offset:1872
	s_mov_b32 s4, exec_lo
	s_waitcnt vmcnt(10) lgkmcnt(1)
	v_mul_f64 v[22:23], v[4:5], v[10:11]
	v_mul_f64 v[10:11], v[2:3], v[10:11]
	s_waitcnt vmcnt(8) lgkmcnt(0)
	v_mul_f64 v[24:25], v[8:9], v[12:13]
	v_mul_f64 v[12:13], v[6:7], v[12:13]
	s_waitcnt vmcnt(6)
	v_fma_f64 v[1:2], v[2:3], v[14:15], -v[22:23]
	v_fma_f64 v[3:4], v[4:5], v[14:15], v[10:11]
	s_waitcnt vmcnt(4)
	v_fma_f64 v[5:6], v[6:7], v[16:17], -v[24:25]
	v_fma_f64 v[7:8], v[8:9], v[16:17], v[12:13]
	v_add_f64 v[1:2], v[1:2], 0
	v_add_f64 v[3:4], v[3:4], 0
	v_add_f64 v[1:2], v[1:2], v[5:6]
	v_add_f64 v[3:4], v[3:4], v[7:8]
	s_waitcnt vmcnt(2)
	v_add_f64 v[1:2], v[18:19], -v[1:2]
	s_waitcnt vmcnt(0)
	v_add_f64 v[3:4], v[20:21], -v[3:4]
	buffer_store_dword v1, off, s[0:3], 0 offset:912
	buffer_store_dword v2, off, s[0:3], 0 offset:916
	;; [unrolled: 1-line block ×4, first 2 shown]
	v_cmpx_lt_u32_e32 55, v0
	s_cbranch_execz .LBB58_257
; %bb.256:
	v_mov_b32_e32 v4, s13
	v_mov_b32_e32 v5, 0
	s_clause 0x3
	buffer_load_dword v1, v4, s[0:3], 0 offen
	buffer_load_dword v2, v4, s[0:3], 0 offen offset:4
	buffer_load_dword v3, v4, s[0:3], 0 offen offset:8
	;; [unrolled: 1-line block ×3, first 2 shown]
	buffer_store_dword v5, off, s[0:3], 0 offset:896
	buffer_store_dword v5, off, s[0:3], 0 offset:900
	buffer_store_dword v5, off, s[0:3], 0 offset:904
	buffer_store_dword v5, off, s[0:3], 0 offset:908
	s_waitcnt vmcnt(0)
	ds_write_b128 v69, v[1:4]
.LBB58_257:
	s_or_b32 exec_lo, exec_lo, s4
	s_waitcnt lgkmcnt(0)
	s_waitcnt_vscnt null, 0x0
	s_barrier
	buffer_gl0_inv
	s_clause 0xf
	buffer_load_dword v10, off, s[0:3], 0 offset:920
	buffer_load_dword v11, off, s[0:3], 0 offset:924
	;; [unrolled: 1-line block ×16, first 2 shown]
	v_mov_b32_e32 v1, 0
	ds_read_b128 v[2:5], v1 offset:1840
	ds_read_b128 v[6:9], v1 offset:1856
	s_mov_b32 s4, exec_lo
	s_waitcnt vmcnt(14) lgkmcnt(1)
	v_mul_f64 v[28:29], v[4:5], v[10:11]
	v_mul_f64 v[30:31], v[2:3], v[10:11]
	s_waitcnt vmcnt(12) lgkmcnt(0)
	v_mul_f64 v[32:33], v[8:9], v[14:15]
	ds_read_b128 v[10:13], v1 offset:1872
	v_mul_f64 v[14:15], v[6:7], v[14:15]
	s_waitcnt vmcnt(10)
	v_fma_f64 v[2:3], v[2:3], v[16:17], -v[28:29]
	v_fma_f64 v[4:5], v[4:5], v[16:17], v[30:31]
	s_waitcnt vmcnt(8) lgkmcnt(0)
	v_mul_f64 v[16:17], v[10:11], v[18:19]
	v_mul_f64 v[18:19], v[12:13], v[18:19]
	s_waitcnt vmcnt(6)
	v_fma_f64 v[6:7], v[6:7], v[20:21], -v[32:33]
	v_fma_f64 v[8:9], v[8:9], v[20:21], v[14:15]
	v_add_f64 v[2:3], v[2:3], 0
	v_add_f64 v[4:5], v[4:5], 0
	s_waitcnt vmcnt(4)
	v_fma_f64 v[10:11], v[10:11], v[22:23], -v[18:19]
	v_add_f64 v[2:3], v[2:3], v[6:7]
	v_fma_f64 v[6:7], v[12:13], v[22:23], v[16:17]
	v_add_f64 v[4:5], v[4:5], v[8:9]
	v_add_f64 v[2:3], v[2:3], v[10:11]
	;; [unrolled: 1-line block ×3, first 2 shown]
	s_waitcnt vmcnt(2)
	v_add_f64 v[2:3], v[24:25], -v[2:3]
	s_waitcnt vmcnt(0)
	v_add_f64 v[4:5], v[26:27], -v[4:5]
	buffer_store_dword v2, off, s[0:3], 0 offset:896
	buffer_store_dword v3, off, s[0:3], 0 offset:900
	;; [unrolled: 1-line block ×4, first 2 shown]
	v_cmpx_lt_u32_e32 54, v0
	s_cbranch_execz .LBB58_259
; %bb.258:
	v_mov_b32_e32 v5, s14
	s_clause 0x3
	buffer_load_dword v2, v5, s[0:3], 0 offen
	buffer_load_dword v3, v5, s[0:3], 0 offen offset:4
	buffer_load_dword v4, v5, s[0:3], 0 offen offset:8
	;; [unrolled: 1-line block ×3, first 2 shown]
	buffer_store_dword v1, off, s[0:3], 0 offset:880
	buffer_store_dword v1, off, s[0:3], 0 offset:884
	;; [unrolled: 1-line block ×4, first 2 shown]
	s_waitcnt vmcnt(0)
	ds_write_b128 v69, v[2:5]
.LBB58_259:
	s_or_b32 exec_lo, exec_lo, s4
	s_waitcnt lgkmcnt(0)
	s_waitcnt_vscnt null, 0x0
	s_barrier
	buffer_gl0_inv
	s_clause 0x13
	buffer_load_dword v10, off, s[0:3], 0 offset:904
	buffer_load_dword v11, off, s[0:3], 0 offset:908
	buffer_load_dword v14, off, s[0:3], 0 offset:920
	buffer_load_dword v15, off, s[0:3], 0 offset:924
	buffer_load_dword v16, off, s[0:3], 0 offset:896
	buffer_load_dword v17, off, s[0:3], 0 offset:900
	buffer_load_dword v18, off, s[0:3], 0 offset:936
	buffer_load_dword v19, off, s[0:3], 0 offset:940
	buffer_load_dword v20, off, s[0:3], 0 offset:912
	buffer_load_dword v21, off, s[0:3], 0 offset:916
	buffer_load_dword v23, off, s[0:3], 0 offset:956
	buffer_load_dword v22, off, s[0:3], 0 offset:952
	buffer_load_dword v24, off, s[0:3], 0 offset:928
	buffer_load_dword v25, off, s[0:3], 0 offset:932
	buffer_load_dword v27, off, s[0:3], 0 offset:948
	buffer_load_dword v26, off, s[0:3], 0 offset:944
	buffer_load_dword v28, off, s[0:3], 0 offset:880
	buffer_load_dword v29, off, s[0:3], 0 offset:884
	buffer_load_dword v30, off, s[0:3], 0 offset:888
	buffer_load_dword v31, off, s[0:3], 0 offset:892
	ds_read_b128 v[2:5], v1 offset:1824
	ds_read_b128 v[6:9], v1 offset:1840
	s_mov_b32 s4, exec_lo
	s_waitcnt vmcnt(18) lgkmcnt(1)
	v_mul_f64 v[32:33], v[4:5], v[10:11]
	v_mul_f64 v[34:35], v[2:3], v[10:11]
	s_waitcnt vmcnt(16) lgkmcnt(0)
	v_mul_f64 v[36:37], v[8:9], v[14:15]
	ds_read_b128 v[10:13], v1 offset:1856
	v_mul_f64 v[14:15], v[6:7], v[14:15]
	s_waitcnt vmcnt(14)
	v_fma_f64 v[32:33], v[2:3], v[16:17], -v[32:33]
	v_fma_f64 v[16:17], v[4:5], v[16:17], v[34:35]
	s_waitcnt vmcnt(12) lgkmcnt(0)
	v_mul_f64 v[34:35], v[10:11], v[18:19]
	v_mul_f64 v[18:19], v[12:13], v[18:19]
	s_waitcnt vmcnt(10)
	v_fma_f64 v[5:6], v[6:7], v[20:21], -v[36:37]
	ds_read_b128 v[1:4], v1 offset:1872
	v_fma_f64 v[7:8], v[8:9], v[20:21], v[14:15]
	v_add_f64 v[32:33], v[32:33], 0
	v_add_f64 v[14:15], v[16:17], 0
	s_waitcnt vmcnt(8) lgkmcnt(0)
	v_mul_f64 v[20:21], v[3:4], v[22:23]
	s_waitcnt vmcnt(6)
	v_fma_f64 v[9:10], v[10:11], v[24:25], -v[18:19]
	v_mul_f64 v[16:17], v[1:2], v[22:23]
	v_fma_f64 v[11:12], v[12:13], v[24:25], v[34:35]
	v_add_f64 v[5:6], v[32:33], v[5:6]
	v_add_f64 v[7:8], v[14:15], v[7:8]
	s_waitcnt vmcnt(4)
	v_fma_f64 v[1:2], v[1:2], v[26:27], -v[20:21]
	v_fma_f64 v[3:4], v[3:4], v[26:27], v[16:17]
	v_add_f64 v[5:6], v[5:6], v[9:10]
	v_add_f64 v[7:8], v[7:8], v[11:12]
	;; [unrolled: 1-line block ×4, first 2 shown]
	s_waitcnt vmcnt(2)
	v_add_f64 v[1:2], v[28:29], -v[1:2]
	s_waitcnt vmcnt(0)
	v_add_f64 v[3:4], v[30:31], -v[3:4]
	buffer_store_dword v1, off, s[0:3], 0 offset:880
	buffer_store_dword v2, off, s[0:3], 0 offset:884
	;; [unrolled: 1-line block ×4, first 2 shown]
	v_cmpx_lt_u32_e32 53, v0
	s_cbranch_execz .LBB58_261
; %bb.260:
	v_mov_b32_e32 v4, s15
	v_mov_b32_e32 v5, 0
	s_clause 0x3
	buffer_load_dword v1, v4, s[0:3], 0 offen
	buffer_load_dword v2, v4, s[0:3], 0 offen offset:4
	buffer_load_dword v3, v4, s[0:3], 0 offen offset:8
	;; [unrolled: 1-line block ×3, first 2 shown]
	buffer_store_dword v5, off, s[0:3], 0 offset:864
	buffer_store_dword v5, off, s[0:3], 0 offset:868
	;; [unrolled: 1-line block ×4, first 2 shown]
	s_waitcnt vmcnt(0)
	ds_write_b128 v69, v[1:4]
.LBB58_261:
	s_or_b32 exec_lo, exec_lo, s4
	s_waitcnt lgkmcnt(0)
	s_waitcnt_vscnt null, 0x0
	s_barrier
	buffer_gl0_inv
	s_clause 0x17
	buffer_load_dword v10, off, s[0:3], 0 offset:888
	buffer_load_dword v11, off, s[0:3], 0 offset:892
	;; [unrolled: 1-line block ×24, first 2 shown]
	v_mov_b32_e32 v1, 0
	ds_read_b128 v[2:5], v1 offset:1808
	ds_read_b128 v[6:9], v1 offset:1824
	s_mov_b32 s4, exec_lo
	s_waitcnt vmcnt(22) lgkmcnt(1)
	v_mul_f64 v[36:37], v[4:5], v[10:11]
	v_mul_f64 v[38:39], v[2:3], v[10:11]
	s_waitcnt vmcnt(20) lgkmcnt(0)
	v_mul_f64 v[40:41], v[8:9], v[14:15]
	ds_read_b128 v[10:13], v1 offset:1840
	v_mul_f64 v[14:15], v[6:7], v[14:15]
	s_waitcnt vmcnt(18)
	v_fma_f64 v[36:37], v[2:3], v[16:17], -v[36:37]
	v_fma_f64 v[16:17], v[4:5], v[16:17], v[38:39]
	ds_read_b128 v[2:5], v1 offset:1856
	s_waitcnt vmcnt(16) lgkmcnt(1)
	v_mul_f64 v[38:39], v[10:11], v[18:19]
	v_mul_f64 v[18:19], v[12:13], v[18:19]
	s_waitcnt vmcnt(14)
	v_fma_f64 v[40:41], v[6:7], v[20:21], -v[40:41]
	v_fma_f64 v[14:15], v[8:9], v[20:21], v[14:15]
	ds_read_b128 v[6:9], v1 offset:1872
	s_waitcnt vmcnt(10) lgkmcnt(1)
	v_mul_f64 v[20:21], v[2:3], v[22:23]
	v_add_f64 v[36:37], v[36:37], 0
	v_add_f64 v[16:17], v[16:17], 0
	v_mul_f64 v[22:23], v[4:5], v[22:23]
	s_waitcnt vmcnt(8)
	v_fma_f64 v[10:11], v[10:11], v[28:29], -v[18:19]
	v_fma_f64 v[12:13], v[12:13], v[28:29], v[38:39]
	s_waitcnt vmcnt(5)
	v_fma_f64 v[4:5], v[4:5], v[30:31], v[20:21]
	v_add_f64 v[18:19], v[36:37], v[40:41]
	v_add_f64 v[14:15], v[16:17], v[14:15]
	s_waitcnt lgkmcnt(0)
	v_mul_f64 v[16:17], v[6:7], v[24:25]
	v_mul_f64 v[24:25], v[8:9], v[24:25]
	v_fma_f64 v[2:3], v[2:3], v[30:31], -v[22:23]
	v_add_f64 v[10:11], v[18:19], v[10:11]
	v_add_f64 v[12:13], v[14:15], v[12:13]
	s_waitcnt vmcnt(4)
	v_fma_f64 v[8:9], v[8:9], v[26:27], v[16:17]
	v_fma_f64 v[6:7], v[6:7], v[26:27], -v[24:25]
	v_add_f64 v[2:3], v[10:11], v[2:3]
	v_add_f64 v[4:5], v[12:13], v[4:5]
	;; [unrolled: 1-line block ×4, first 2 shown]
	s_waitcnt vmcnt(2)
	v_add_f64 v[2:3], v[32:33], -v[2:3]
	s_waitcnt vmcnt(0)
	v_add_f64 v[4:5], v[34:35], -v[4:5]
	buffer_store_dword v3, off, s[0:3], 0 offset:868
	buffer_store_dword v2, off, s[0:3], 0 offset:864
	;; [unrolled: 1-line block ×4, first 2 shown]
	v_cmpx_lt_u32_e32 52, v0
	s_cbranch_execz .LBB58_263
; %bb.262:
	v_mov_b32_e32 v5, s16
	s_clause 0x3
	buffer_load_dword v2, v5, s[0:3], 0 offen
	buffer_load_dword v3, v5, s[0:3], 0 offen offset:4
	buffer_load_dword v4, v5, s[0:3], 0 offen offset:8
	;; [unrolled: 1-line block ×3, first 2 shown]
	buffer_store_dword v1, off, s[0:3], 0 offset:848
	buffer_store_dword v1, off, s[0:3], 0 offset:852
	;; [unrolled: 1-line block ×4, first 2 shown]
	s_waitcnt vmcnt(0)
	ds_write_b128 v69, v[2:5]
.LBB58_263:
	s_or_b32 exec_lo, exec_lo, s4
	s_waitcnt lgkmcnt(0)
	s_waitcnt_vscnt null, 0x0
	s_barrier
	buffer_gl0_inv
	s_clause 0x1b
	buffer_load_dword v10, off, s[0:3], 0 offset:872
	buffer_load_dword v11, off, s[0:3], 0 offset:876
	;; [unrolled: 1-line block ×28, first 2 shown]
	ds_read_b128 v[2:5], v1 offset:1792
	ds_read_b128 v[6:9], v1 offset:1808
	s_mov_b32 s4, exec_lo
	s_waitcnt vmcnt(26) lgkmcnt(1)
	v_mul_f64 v[40:41], v[4:5], v[10:11]
	v_mul_f64 v[42:43], v[2:3], v[10:11]
	s_waitcnt vmcnt(24) lgkmcnt(0)
	v_mul_f64 v[44:45], v[8:9], v[14:15]
	ds_read_b128 v[10:13], v1 offset:1824
	v_mul_f64 v[14:15], v[6:7], v[14:15]
	s_waitcnt vmcnt(22)
	v_fma_f64 v[40:41], v[2:3], v[16:17], -v[40:41]
	v_fma_f64 v[16:17], v[4:5], v[16:17], v[42:43]
	ds_read_b128 v[2:5], v1 offset:1840
	s_waitcnt vmcnt(20) lgkmcnt(1)
	v_mul_f64 v[42:43], v[10:11], v[18:19]
	v_mul_f64 v[18:19], v[12:13], v[18:19]
	s_waitcnt vmcnt(18)
	v_fma_f64 v[44:45], v[6:7], v[20:21], -v[44:45]
	v_fma_f64 v[14:15], v[8:9], v[20:21], v[14:15]
	ds_read_b128 v[6:9], v1 offset:1856
	s_waitcnt vmcnt(14) lgkmcnt(1)
	v_mul_f64 v[20:21], v[2:3], v[22:23]
	v_add_f64 v[40:41], v[40:41], 0
	v_add_f64 v[16:17], v[16:17], 0
	v_mul_f64 v[22:23], v[4:5], v[22:23]
	s_waitcnt vmcnt(12)
	v_fma_f64 v[18:19], v[10:11], v[28:29], -v[18:19]
	v_fma_f64 v[28:29], v[12:13], v[28:29], v[42:43]
	ds_read_b128 v[10:13], v1 offset:1872
	v_add_f64 v[40:41], v[40:41], v[44:45]
	v_add_f64 v[14:15], v[16:17], v[14:15]
	s_waitcnt vmcnt(11) lgkmcnt(1)
	v_mul_f64 v[16:17], v[6:7], v[24:25]
	v_mul_f64 v[24:25], v[8:9], v[24:25]
	s_waitcnt vmcnt(9)
	v_fma_f64 v[1:2], v[2:3], v[30:31], -v[22:23]
	v_fma_f64 v[3:4], v[4:5], v[30:31], v[20:21]
	s_waitcnt vmcnt(7) lgkmcnt(0)
	v_mul_f64 v[22:23], v[12:13], v[32:33]
	v_mul_f64 v[20:21], v[10:11], v[32:33]
	v_add_f64 v[18:19], v[40:41], v[18:19]
	v_add_f64 v[14:15], v[14:15], v[28:29]
	s_waitcnt vmcnt(6)
	v_fma_f64 v[5:6], v[6:7], v[26:27], -v[24:25]
	v_fma_f64 v[7:8], v[8:9], v[26:27], v[16:17]
	s_waitcnt vmcnt(4)
	v_fma_f64 v[9:10], v[10:11], v[34:35], -v[22:23]
	v_add_f64 v[1:2], v[18:19], v[1:2]
	v_add_f64 v[3:4], v[14:15], v[3:4]
	;; [unrolled: 1-line block ×3, first 2 shown]
	v_fma_f64 v[5:6], v[12:13], v[34:35], v[20:21]
	v_add_f64 v[3:4], v[3:4], v[7:8]
	v_add_f64 v[1:2], v[1:2], v[9:10]
	;; [unrolled: 1-line block ×3, first 2 shown]
	s_waitcnt vmcnt(2)
	v_add_f64 v[1:2], v[36:37], -v[1:2]
	s_waitcnt vmcnt(0)
	v_add_f64 v[3:4], v[38:39], -v[3:4]
	buffer_store_dword v2, off, s[0:3], 0 offset:852
	buffer_store_dword v1, off, s[0:3], 0 offset:848
	;; [unrolled: 1-line block ×4, first 2 shown]
	v_cmpx_lt_u32_e32 51, v0
	s_cbranch_execz .LBB58_265
; %bb.264:
	v_mov_b32_e32 v4, s17
	v_mov_b32_e32 v5, 0
	s_clause 0x3
	buffer_load_dword v1, v4, s[0:3], 0 offen
	buffer_load_dword v2, v4, s[0:3], 0 offen offset:4
	buffer_load_dword v3, v4, s[0:3], 0 offen offset:8
	;; [unrolled: 1-line block ×3, first 2 shown]
	buffer_store_dword v5, off, s[0:3], 0 offset:832
	buffer_store_dword v5, off, s[0:3], 0 offset:836
	;; [unrolled: 1-line block ×4, first 2 shown]
	s_waitcnt vmcnt(0)
	ds_write_b128 v69, v[1:4]
.LBB58_265:
	s_or_b32 exec_lo, exec_lo, s4
	s_waitcnt lgkmcnt(0)
	s_waitcnt_vscnt null, 0x0
	s_barrier
	buffer_gl0_inv
	s_clause 0x1f
	buffer_load_dword v10, off, s[0:3], 0 offset:856
	buffer_load_dword v11, off, s[0:3], 0 offset:860
	buffer_load_dword v14, off, s[0:3], 0 offset:872
	buffer_load_dword v15, off, s[0:3], 0 offset:876
	buffer_load_dword v16, off, s[0:3], 0 offset:848
	buffer_load_dword v17, off, s[0:3], 0 offset:852
	buffer_load_dword v18, off, s[0:3], 0 offset:888
	buffer_load_dword v19, off, s[0:3], 0 offset:892
	buffer_load_dword v20, off, s[0:3], 0 offset:864
	buffer_load_dword v21, off, s[0:3], 0 offset:868
	buffer_load_dword v23, off, s[0:3], 0 offset:908
	buffer_load_dword v24, off, s[0:3], 0 offset:920
	buffer_load_dword v26, off, s[0:3], 0 offset:912
	buffer_load_dword v22, off, s[0:3], 0 offset:904
	buffer_load_dword v28, off, s[0:3], 0 offset:880
	buffer_load_dword v29, off, s[0:3], 0 offset:884
	buffer_load_dword v25, off, s[0:3], 0 offset:924
	buffer_load_dword v31, off, s[0:3], 0 offset:900
	buffer_load_dword v30, off, s[0:3], 0 offset:896
	buffer_load_dword v33, off, s[0:3], 0 offset:940
	buffer_load_dword v34, off, s[0:3], 0 offset:952
	buffer_load_dword v36, off, s[0:3], 0 offset:944
	buffer_load_dword v32, off, s[0:3], 0 offset:936
	buffer_load_dword v27, off, s[0:3], 0 offset:916
	buffer_load_dword v35, off, s[0:3], 0 offset:956
	buffer_load_dword v39, off, s[0:3], 0 offset:932
	buffer_load_dword v38, off, s[0:3], 0 offset:928
	buffer_load_dword v37, off, s[0:3], 0 offset:948
	buffer_load_dword v40, off, s[0:3], 0 offset:832
	buffer_load_dword v41, off, s[0:3], 0 offset:836
	buffer_load_dword v42, off, s[0:3], 0 offset:840
	buffer_load_dword v43, off, s[0:3], 0 offset:844
	v_mov_b32_e32 v1, 0
	ds_read_b128 v[2:5], v1 offset:1776
	ds_read_b128 v[6:9], v1 offset:1792
	s_mov_b32 s4, exec_lo
	s_waitcnt vmcnt(30) lgkmcnt(1)
	v_mul_f64 v[44:45], v[4:5], v[10:11]
	v_mul_f64 v[46:47], v[2:3], v[10:11]
	s_waitcnt vmcnt(28) lgkmcnt(0)
	v_mul_f64 v[48:49], v[8:9], v[14:15]
	ds_read_b128 v[10:13], v1 offset:1808
	v_mul_f64 v[14:15], v[6:7], v[14:15]
	s_waitcnt vmcnt(26)
	v_fma_f64 v[44:45], v[2:3], v[16:17], -v[44:45]
	v_fma_f64 v[16:17], v[4:5], v[16:17], v[46:47]
	ds_read_b128 v[2:5], v1 offset:1824
	s_waitcnt vmcnt(24) lgkmcnt(1)
	v_mul_f64 v[46:47], v[10:11], v[18:19]
	v_mul_f64 v[18:19], v[12:13], v[18:19]
	s_waitcnt vmcnt(22)
	v_fma_f64 v[48:49], v[6:7], v[20:21], -v[48:49]
	v_fma_f64 v[14:15], v[8:9], v[20:21], v[14:15]
	ds_read_b128 v[6:9], v1 offset:1840
	s_waitcnt vmcnt(18) lgkmcnt(1)
	v_mul_f64 v[20:21], v[2:3], v[22:23]
	v_add_f64 v[44:45], v[44:45], 0
	v_add_f64 v[16:17], v[16:17], 0
	v_mul_f64 v[22:23], v[4:5], v[22:23]
	s_waitcnt vmcnt(16)
	v_fma_f64 v[18:19], v[10:11], v[28:29], -v[18:19]
	v_fma_f64 v[28:29], v[12:13], v[28:29], v[46:47]
	ds_read_b128 v[10:13], v1 offset:1856
	s_waitcnt vmcnt(13)
	v_fma_f64 v[20:21], v[4:5], v[30:31], v[20:21]
	v_add_f64 v[44:45], v[44:45], v[48:49]
	v_add_f64 v[14:15], v[16:17], v[14:15]
	s_waitcnt lgkmcnt(1)
	v_mul_f64 v[16:17], v[6:7], v[24:25]
	v_mul_f64 v[24:25], v[8:9], v[24:25]
	v_fma_f64 v[22:23], v[2:3], v[30:31], -v[22:23]
	s_waitcnt vmcnt(9) lgkmcnt(0)
	v_mul_f64 v[30:31], v[12:13], v[32:33]
	ds_read_b128 v[2:5], v1 offset:1872
	v_add_f64 v[18:19], v[44:45], v[18:19]
	v_add_f64 v[14:15], v[14:15], v[28:29]
	v_mul_f64 v[28:29], v[10:11], v[32:33]
	s_waitcnt vmcnt(8)
	v_fma_f64 v[6:7], v[6:7], v[26:27], -v[24:25]
	v_fma_f64 v[8:9], v[8:9], v[26:27], v[16:17]
	s_waitcnt vmcnt(5)
	v_fma_f64 v[10:11], v[10:11], v[38:39], -v[30:31]
	s_waitcnt lgkmcnt(0)
	v_mul_f64 v[16:17], v[2:3], v[34:35]
	v_add_f64 v[18:19], v[18:19], v[22:23]
	v_add_f64 v[14:15], v[14:15], v[20:21]
	v_mul_f64 v[20:21], v[4:5], v[34:35]
	v_fma_f64 v[12:13], v[12:13], v[38:39], v[28:29]
	s_waitcnt vmcnt(4)
	v_fma_f64 v[4:5], v[4:5], v[36:37], v[16:17]
	v_add_f64 v[6:7], v[18:19], v[6:7]
	v_add_f64 v[8:9], v[14:15], v[8:9]
	v_fma_f64 v[2:3], v[2:3], v[36:37], -v[20:21]
	v_add_f64 v[6:7], v[6:7], v[10:11]
	v_add_f64 v[8:9], v[8:9], v[12:13]
	;; [unrolled: 1-line block ×4, first 2 shown]
	s_waitcnt vmcnt(2)
	v_add_f64 v[2:3], v[40:41], -v[2:3]
	s_waitcnt vmcnt(0)
	v_add_f64 v[4:5], v[42:43], -v[4:5]
	buffer_store_dword v3, off, s[0:3], 0 offset:836
	buffer_store_dword v2, off, s[0:3], 0 offset:832
	;; [unrolled: 1-line block ×4, first 2 shown]
	v_cmpx_lt_u32_e32 50, v0
	s_cbranch_execz .LBB58_267
; %bb.266:
	v_mov_b32_e32 v5, s18
	s_clause 0x3
	buffer_load_dword v2, v5, s[0:3], 0 offen
	buffer_load_dword v3, v5, s[0:3], 0 offen offset:4
	buffer_load_dword v4, v5, s[0:3], 0 offen offset:8
	;; [unrolled: 1-line block ×3, first 2 shown]
	buffer_store_dword v1, off, s[0:3], 0 offset:816
	buffer_store_dword v1, off, s[0:3], 0 offset:820
	;; [unrolled: 1-line block ×4, first 2 shown]
	s_waitcnt vmcnt(0)
	ds_write_b128 v69, v[2:5]
.LBB58_267:
	s_or_b32 exec_lo, exec_lo, s4
	s_waitcnt lgkmcnt(0)
	s_waitcnt_vscnt null, 0x0
	s_barrier
	buffer_gl0_inv
	s_clause 0x23
	buffer_load_dword v10, off, s[0:3], 0 offset:840
	buffer_load_dword v11, off, s[0:3], 0 offset:844
	buffer_load_dword v14, off, s[0:3], 0 offset:856
	buffer_load_dword v15, off, s[0:3], 0 offset:860
	buffer_load_dword v16, off, s[0:3], 0 offset:832
	buffer_load_dword v17, off, s[0:3], 0 offset:836
	buffer_load_dword v18, off, s[0:3], 0 offset:872
	buffer_load_dword v19, off, s[0:3], 0 offset:876
	buffer_load_dword v20, off, s[0:3], 0 offset:848
	buffer_load_dword v21, off, s[0:3], 0 offset:852
	buffer_load_dword v23, off, s[0:3], 0 offset:892
	buffer_load_dword v24, off, s[0:3], 0 offset:904
	buffer_load_dword v26, off, s[0:3], 0 offset:896
	buffer_load_dword v22, off, s[0:3], 0 offset:888
	buffer_load_dword v28, off, s[0:3], 0 offset:864
	buffer_load_dword v29, off, s[0:3], 0 offset:868
	buffer_load_dword v25, off, s[0:3], 0 offset:908
	buffer_load_dword v31, off, s[0:3], 0 offset:884
	buffer_load_dword v30, off, s[0:3], 0 offset:880
	buffer_load_dword v33, off, s[0:3], 0 offset:924
	buffer_load_dword v34, off, s[0:3], 0 offset:936
	buffer_load_dword v36, off, s[0:3], 0 offset:928
	buffer_load_dword v32, off, s[0:3], 0 offset:920
	buffer_load_dword v27, off, s[0:3], 0 offset:900
	buffer_load_dword v35, off, s[0:3], 0 offset:940
	buffer_load_dword v39, off, s[0:3], 0 offset:916
	buffer_load_dword v38, off, s[0:3], 0 offset:912
	buffer_load_dword v41, off, s[0:3], 0 offset:956
	buffer_load_dword v40, off, s[0:3], 0 offset:952
	buffer_load_dword v37, off, s[0:3], 0 offset:932
	buffer_load_dword v43, off, s[0:3], 0 offset:948
	buffer_load_dword v42, off, s[0:3], 0 offset:944
	buffer_load_dword v44, off, s[0:3], 0 offset:816
	buffer_load_dword v45, off, s[0:3], 0 offset:820
	buffer_load_dword v46, off, s[0:3], 0 offset:824
	buffer_load_dword v47, off, s[0:3], 0 offset:828
	ds_read_b128 v[2:5], v1 offset:1760
	ds_read_b128 v[6:9], v1 offset:1776
	s_mov_b32 s4, exec_lo
	s_waitcnt vmcnt(34) lgkmcnt(1)
	v_mul_f64 v[48:49], v[4:5], v[10:11]
	v_mul_f64 v[50:51], v[2:3], v[10:11]
	s_waitcnt vmcnt(32) lgkmcnt(0)
	v_mul_f64 v[52:53], v[8:9], v[14:15]
	ds_read_b128 v[10:13], v1 offset:1792
	v_mul_f64 v[14:15], v[6:7], v[14:15]
	s_waitcnt vmcnt(30)
	v_fma_f64 v[48:49], v[2:3], v[16:17], -v[48:49]
	v_fma_f64 v[16:17], v[4:5], v[16:17], v[50:51]
	ds_read_b128 v[2:5], v1 offset:1808
	s_waitcnt vmcnt(28) lgkmcnt(1)
	v_mul_f64 v[50:51], v[10:11], v[18:19]
	v_mul_f64 v[18:19], v[12:13], v[18:19]
	s_waitcnt vmcnt(26)
	v_fma_f64 v[52:53], v[6:7], v[20:21], -v[52:53]
	v_fma_f64 v[14:15], v[8:9], v[20:21], v[14:15]
	ds_read_b128 v[6:9], v1 offset:1824
	s_waitcnt vmcnt(22) lgkmcnt(1)
	v_mul_f64 v[20:21], v[2:3], v[22:23]
	v_add_f64 v[48:49], v[48:49], 0
	v_add_f64 v[16:17], v[16:17], 0
	v_mul_f64 v[22:23], v[4:5], v[22:23]
	s_waitcnt vmcnt(20)
	v_fma_f64 v[18:19], v[10:11], v[28:29], -v[18:19]
	v_fma_f64 v[28:29], v[12:13], v[28:29], v[50:51]
	ds_read_b128 v[10:13], v1 offset:1840
	s_waitcnt vmcnt(17)
	v_fma_f64 v[20:21], v[4:5], v[30:31], v[20:21]
	v_add_f64 v[48:49], v[48:49], v[52:53]
	v_add_f64 v[14:15], v[16:17], v[14:15]
	s_waitcnt lgkmcnt(1)
	v_mul_f64 v[16:17], v[6:7], v[24:25]
	v_mul_f64 v[24:25], v[8:9], v[24:25]
	v_fma_f64 v[22:23], v[2:3], v[30:31], -v[22:23]
	s_waitcnt vmcnt(13) lgkmcnt(0)
	v_mul_f64 v[30:31], v[12:13], v[32:33]
	ds_read_b128 v[2:5], v1 offset:1856
	v_add_f64 v[18:19], v[48:49], v[18:19]
	v_add_f64 v[14:15], v[14:15], v[28:29]
	v_mul_f64 v[28:29], v[10:11], v[32:33]
	s_waitcnt vmcnt(12)
	v_fma_f64 v[24:25], v[6:7], v[26:27], -v[24:25]
	v_fma_f64 v[16:17], v[8:9], v[26:27], v[16:17]
	ds_read_b128 v[6:9], v1 offset:1872
	s_waitcnt vmcnt(9)
	v_fma_f64 v[10:11], v[10:11], v[38:39], -v[30:31]
	v_add_f64 v[18:19], v[18:19], v[22:23]
	v_add_f64 v[14:15], v[14:15], v[20:21]
	s_waitcnt lgkmcnt(1)
	v_mul_f64 v[22:23], v[4:5], v[34:35]
	v_mul_f64 v[20:21], v[2:3], v[34:35]
	v_fma_f64 v[12:13], v[12:13], v[38:39], v[28:29]
	v_add_f64 v[18:19], v[18:19], v[24:25]
	v_add_f64 v[14:15], v[14:15], v[16:17]
	s_waitcnt vmcnt(7) lgkmcnt(0)
	v_mul_f64 v[24:25], v[8:9], v[40:41]
	s_waitcnt vmcnt(6)
	v_fma_f64 v[1:2], v[2:3], v[36:37], -v[22:23]
	v_mul_f64 v[16:17], v[6:7], v[40:41]
	v_fma_f64 v[3:4], v[4:5], v[36:37], v[20:21]
	v_add_f64 v[10:11], v[18:19], v[10:11]
	v_add_f64 v[12:13], v[14:15], v[12:13]
	s_waitcnt vmcnt(4)
	v_fma_f64 v[5:6], v[6:7], v[42:43], -v[24:25]
	v_fma_f64 v[7:8], v[8:9], v[42:43], v[16:17]
	v_add_f64 v[1:2], v[10:11], v[1:2]
	v_add_f64 v[3:4], v[12:13], v[3:4]
	;; [unrolled: 1-line block ×4, first 2 shown]
	s_waitcnt vmcnt(2)
	v_add_f64 v[1:2], v[44:45], -v[1:2]
	s_waitcnt vmcnt(0)
	v_add_f64 v[3:4], v[46:47], -v[3:4]
	buffer_store_dword v2, off, s[0:3], 0 offset:820
	buffer_store_dword v1, off, s[0:3], 0 offset:816
	;; [unrolled: 1-line block ×4, first 2 shown]
	v_cmpx_lt_u32_e32 49, v0
	s_cbranch_execz .LBB58_269
; %bb.268:
	v_mov_b32_e32 v4, s19
	v_mov_b32_e32 v5, 0
	s_clause 0x3
	buffer_load_dword v1, v4, s[0:3], 0 offen
	buffer_load_dword v2, v4, s[0:3], 0 offen offset:4
	buffer_load_dword v3, v4, s[0:3], 0 offen offset:8
	;; [unrolled: 1-line block ×3, first 2 shown]
	buffer_store_dword v5, off, s[0:3], 0 offset:800
	buffer_store_dword v5, off, s[0:3], 0 offset:804
	;; [unrolled: 1-line block ×4, first 2 shown]
	s_waitcnt vmcnt(0)
	ds_write_b128 v69, v[1:4]
.LBB58_269:
	s_or_b32 exec_lo, exec_lo, s4
	s_waitcnt lgkmcnt(0)
	s_waitcnt_vscnt null, 0x0
	s_barrier
	buffer_gl0_inv
	s_clause 0x27
	buffer_load_dword v10, off, s[0:3], 0 offset:824
	buffer_load_dword v11, off, s[0:3], 0 offset:828
	buffer_load_dword v14, off, s[0:3], 0 offset:840
	buffer_load_dword v15, off, s[0:3], 0 offset:844
	buffer_load_dword v16, off, s[0:3], 0 offset:816
	buffer_load_dword v17, off, s[0:3], 0 offset:820
	buffer_load_dword v18, off, s[0:3], 0 offset:856
	buffer_load_dword v19, off, s[0:3], 0 offset:860
	buffer_load_dword v20, off, s[0:3], 0 offset:832
	buffer_load_dword v21, off, s[0:3], 0 offset:836
	buffer_load_dword v23, off, s[0:3], 0 offset:876
	buffer_load_dword v24, off, s[0:3], 0 offset:888
	buffer_load_dword v26, off, s[0:3], 0 offset:880
	buffer_load_dword v22, off, s[0:3], 0 offset:872
	buffer_load_dword v28, off, s[0:3], 0 offset:848
	buffer_load_dword v29, off, s[0:3], 0 offset:852
	buffer_load_dword v25, off, s[0:3], 0 offset:892
	buffer_load_dword v31, off, s[0:3], 0 offset:868
	buffer_load_dword v30, off, s[0:3], 0 offset:864
	buffer_load_dword v33, off, s[0:3], 0 offset:908
	buffer_load_dword v34, off, s[0:3], 0 offset:920
	buffer_load_dword v36, off, s[0:3], 0 offset:912
	buffer_load_dword v32, off, s[0:3], 0 offset:904
	buffer_load_dword v27, off, s[0:3], 0 offset:884
	buffer_load_dword v35, off, s[0:3], 0 offset:924
	buffer_load_dword v39, off, s[0:3], 0 offset:900
	buffer_load_dword v38, off, s[0:3], 0 offset:896
	buffer_load_dword v41, off, s[0:3], 0 offset:940
	buffer_load_dword v42, off, s[0:3], 0 offset:952
	buffer_load_dword v44, off, s[0:3], 0 offset:944
	buffer_load_dword v40, off, s[0:3], 0 offset:936
	buffer_load_dword v37, off, s[0:3], 0 offset:916
	buffer_load_dword v43, off, s[0:3], 0 offset:956
	buffer_load_dword v47, off, s[0:3], 0 offset:932
	buffer_load_dword v46, off, s[0:3], 0 offset:928
	buffer_load_dword v45, off, s[0:3], 0 offset:948
	buffer_load_dword v48, off, s[0:3], 0 offset:800
	buffer_load_dword v49, off, s[0:3], 0 offset:804
	buffer_load_dword v50, off, s[0:3], 0 offset:808
	buffer_load_dword v51, off, s[0:3], 0 offset:812
	v_mov_b32_e32 v1, 0
	ds_read_b128 v[2:5], v1 offset:1744
	ds_read_b128 v[6:9], v1 offset:1760
	s_mov_b32 s4, exec_lo
	s_waitcnt vmcnt(38) lgkmcnt(1)
	v_mul_f64 v[52:53], v[4:5], v[10:11]
	v_mul_f64 v[54:55], v[2:3], v[10:11]
	s_waitcnt vmcnt(36) lgkmcnt(0)
	v_mul_f64 v[56:57], v[8:9], v[14:15]
	ds_read_b128 v[10:13], v1 offset:1776
	v_mul_f64 v[14:15], v[6:7], v[14:15]
	s_waitcnt vmcnt(34)
	v_fma_f64 v[52:53], v[2:3], v[16:17], -v[52:53]
	v_fma_f64 v[16:17], v[4:5], v[16:17], v[54:55]
	ds_read_b128 v[2:5], v1 offset:1792
	s_waitcnt vmcnt(32) lgkmcnt(1)
	v_mul_f64 v[54:55], v[10:11], v[18:19]
	v_mul_f64 v[18:19], v[12:13], v[18:19]
	s_waitcnt vmcnt(30)
	v_fma_f64 v[56:57], v[6:7], v[20:21], -v[56:57]
	v_fma_f64 v[14:15], v[8:9], v[20:21], v[14:15]
	ds_read_b128 v[6:9], v1 offset:1808
	s_waitcnt vmcnt(26) lgkmcnt(1)
	v_mul_f64 v[20:21], v[2:3], v[22:23]
	v_add_f64 v[52:53], v[52:53], 0
	v_add_f64 v[16:17], v[16:17], 0
	v_mul_f64 v[22:23], v[4:5], v[22:23]
	s_waitcnt vmcnt(24)
	v_fma_f64 v[18:19], v[10:11], v[28:29], -v[18:19]
	v_fma_f64 v[28:29], v[12:13], v[28:29], v[54:55]
	ds_read_b128 v[10:13], v1 offset:1824
	s_waitcnt vmcnt(21)
	v_fma_f64 v[20:21], v[4:5], v[30:31], v[20:21]
	v_add_f64 v[52:53], v[52:53], v[56:57]
	v_add_f64 v[14:15], v[16:17], v[14:15]
	s_waitcnt lgkmcnt(1)
	v_mul_f64 v[16:17], v[6:7], v[24:25]
	v_mul_f64 v[24:25], v[8:9], v[24:25]
	v_fma_f64 v[22:23], v[2:3], v[30:31], -v[22:23]
	s_waitcnt vmcnt(17) lgkmcnt(0)
	v_mul_f64 v[30:31], v[12:13], v[32:33]
	ds_read_b128 v[2:5], v1 offset:1840
	v_add_f64 v[18:19], v[52:53], v[18:19]
	v_add_f64 v[14:15], v[14:15], v[28:29]
	v_mul_f64 v[28:29], v[10:11], v[32:33]
	s_waitcnt vmcnt(16)
	v_fma_f64 v[24:25], v[6:7], v[26:27], -v[24:25]
	v_fma_f64 v[16:17], v[8:9], v[26:27], v[16:17]
	ds_read_b128 v[6:9], v1 offset:1856
	s_waitcnt vmcnt(13)
	v_fma_f64 v[26:27], v[10:11], v[38:39], -v[30:31]
	v_add_f64 v[18:19], v[18:19], v[22:23]
	v_add_f64 v[14:15], v[14:15], v[20:21]
	s_waitcnt lgkmcnt(1)
	v_mul_f64 v[22:23], v[4:5], v[34:35]
	v_mul_f64 v[20:21], v[2:3], v[34:35]
	v_add_f64 v[18:19], v[18:19], v[24:25]
	v_fma_f64 v[24:25], v[12:13], v[38:39], v[28:29]
	v_add_f64 v[14:15], v[14:15], v[16:17]
	s_waitcnt vmcnt(9) lgkmcnt(0)
	v_mul_f64 v[28:29], v[8:9], v[40:41]
	s_waitcnt vmcnt(8)
	v_fma_f64 v[2:3], v[2:3], v[36:37], -v[22:23]
	ds_read_b128 v[10:13], v1 offset:1872
	v_mul_f64 v[16:17], v[6:7], v[40:41]
	v_fma_f64 v[4:5], v[4:5], v[36:37], v[20:21]
	v_add_f64 v[18:19], v[18:19], v[26:27]
	v_add_f64 v[14:15], v[14:15], v[24:25]
	s_waitcnt vmcnt(7) lgkmcnt(0)
	v_mul_f64 v[22:23], v[12:13], v[42:43]
	s_waitcnt vmcnt(5)
	v_fma_f64 v[6:7], v[6:7], v[46:47], -v[28:29]
	v_mul_f64 v[20:21], v[10:11], v[42:43]
	v_fma_f64 v[8:9], v[8:9], v[46:47], v[16:17]
	v_add_f64 v[2:3], v[18:19], v[2:3]
	v_add_f64 v[4:5], v[14:15], v[4:5]
	s_waitcnt vmcnt(4)
	v_fma_f64 v[10:11], v[10:11], v[44:45], -v[22:23]
	v_add_f64 v[2:3], v[2:3], v[6:7]
	v_fma_f64 v[6:7], v[12:13], v[44:45], v[20:21]
	v_add_f64 v[4:5], v[4:5], v[8:9]
	v_add_f64 v[2:3], v[2:3], v[10:11]
	;; [unrolled: 1-line block ×3, first 2 shown]
	s_waitcnt vmcnt(2)
	v_add_f64 v[2:3], v[48:49], -v[2:3]
	s_waitcnt vmcnt(0)
	v_add_f64 v[4:5], v[50:51], -v[4:5]
	buffer_store_dword v3, off, s[0:3], 0 offset:804
	buffer_store_dword v2, off, s[0:3], 0 offset:800
	buffer_store_dword v5, off, s[0:3], 0 offset:812
	buffer_store_dword v4, off, s[0:3], 0 offset:808
	v_cmpx_lt_u32_e32 48, v0
	s_cbranch_execz .LBB58_271
; %bb.270:
	v_mov_b32_e32 v5, s22
	s_clause 0x3
	buffer_load_dword v2, v5, s[0:3], 0 offen
	buffer_load_dword v3, v5, s[0:3], 0 offen offset:4
	buffer_load_dword v4, v5, s[0:3], 0 offen offset:8
	;; [unrolled: 1-line block ×3, first 2 shown]
	buffer_store_dword v1, off, s[0:3], 0 offset:784
	buffer_store_dword v1, off, s[0:3], 0 offset:788
	;; [unrolled: 1-line block ×4, first 2 shown]
	s_waitcnt vmcnt(0)
	ds_write_b128 v69, v[2:5]
.LBB58_271:
	s_or_b32 exec_lo, exec_lo, s4
	s_waitcnt lgkmcnt(0)
	s_waitcnt_vscnt null, 0x0
	s_barrier
	buffer_gl0_inv
	s_clause 0x2b
	buffer_load_dword v10, off, s[0:3], 0 offset:808
	buffer_load_dword v11, off, s[0:3], 0 offset:812
	;; [unrolled: 1-line block ×44, first 2 shown]
	ds_read_b128 v[2:5], v1 offset:1728
	ds_read_b128 v[6:9], v1 offset:1744
	s_mov_b32 s4, exec_lo
	s_waitcnt vmcnt(42) lgkmcnt(1)
	v_mul_f64 v[56:57], v[4:5], v[10:11]
	v_mul_f64 v[58:59], v[2:3], v[10:11]
	s_waitcnt vmcnt(40) lgkmcnt(0)
	v_mul_f64 v[60:61], v[8:9], v[14:15]
	ds_read_b128 v[10:13], v1 offset:1760
	v_mul_f64 v[14:15], v[6:7], v[14:15]
	s_waitcnt vmcnt(38)
	v_fma_f64 v[56:57], v[2:3], v[16:17], -v[56:57]
	v_fma_f64 v[16:17], v[4:5], v[16:17], v[58:59]
	ds_read_b128 v[2:5], v1 offset:1776
	s_waitcnt vmcnt(36) lgkmcnt(1)
	v_mul_f64 v[58:59], v[10:11], v[18:19]
	v_mul_f64 v[18:19], v[12:13], v[18:19]
	s_waitcnt vmcnt(34)
	v_fma_f64 v[60:61], v[6:7], v[20:21], -v[60:61]
	v_fma_f64 v[14:15], v[8:9], v[20:21], v[14:15]
	ds_read_b128 v[6:9], v1 offset:1792
	s_waitcnt vmcnt(30) lgkmcnt(1)
	v_mul_f64 v[20:21], v[2:3], v[22:23]
	v_add_f64 v[56:57], v[56:57], 0
	v_add_f64 v[16:17], v[16:17], 0
	v_mul_f64 v[22:23], v[4:5], v[22:23]
	s_waitcnt vmcnt(28)
	v_fma_f64 v[18:19], v[10:11], v[28:29], -v[18:19]
	v_fma_f64 v[28:29], v[12:13], v[28:29], v[58:59]
	ds_read_b128 v[10:13], v1 offset:1808
	s_waitcnt vmcnt(25)
	v_fma_f64 v[20:21], v[4:5], v[30:31], v[20:21]
	v_add_f64 v[56:57], v[56:57], v[60:61]
	v_add_f64 v[14:15], v[16:17], v[14:15]
	s_waitcnt lgkmcnt(1)
	v_mul_f64 v[16:17], v[6:7], v[24:25]
	v_mul_f64 v[24:25], v[8:9], v[24:25]
	v_fma_f64 v[22:23], v[2:3], v[30:31], -v[22:23]
	s_waitcnt vmcnt(21) lgkmcnt(0)
	v_mul_f64 v[30:31], v[12:13], v[32:33]
	ds_read_b128 v[2:5], v1 offset:1824
	v_add_f64 v[18:19], v[56:57], v[18:19]
	v_add_f64 v[14:15], v[14:15], v[28:29]
	v_mul_f64 v[28:29], v[10:11], v[32:33]
	s_waitcnt vmcnt(20)
	v_fma_f64 v[24:25], v[6:7], v[26:27], -v[24:25]
	v_fma_f64 v[16:17], v[8:9], v[26:27], v[16:17]
	ds_read_b128 v[6:9], v1 offset:1840
	s_waitcnt vmcnt(17)
	v_fma_f64 v[26:27], v[10:11], v[38:39], -v[30:31]
	v_add_f64 v[18:19], v[18:19], v[22:23]
	v_add_f64 v[14:15], v[14:15], v[20:21]
	s_waitcnt lgkmcnt(1)
	v_mul_f64 v[22:23], v[4:5], v[34:35]
	v_mul_f64 v[20:21], v[2:3], v[34:35]
	v_add_f64 v[18:19], v[18:19], v[24:25]
	v_fma_f64 v[24:25], v[12:13], v[38:39], v[28:29]
	v_add_f64 v[14:15], v[14:15], v[16:17]
	s_waitcnt vmcnt(13) lgkmcnt(0)
	v_mul_f64 v[28:29], v[8:9], v[40:41]
	s_waitcnt vmcnt(12)
	v_fma_f64 v[22:23], v[2:3], v[36:37], -v[22:23]
	ds_read_b128 v[10:13], v1 offset:1856
	v_mul_f64 v[16:17], v[6:7], v[40:41]
	v_fma_f64 v[20:21], v[4:5], v[36:37], v[20:21]
	ds_read_b128 v[1:4], v1 offset:1872
	v_add_f64 v[18:19], v[18:19], v[26:27]
	v_add_f64 v[14:15], v[14:15], v[24:25]
	s_waitcnt vmcnt(11) lgkmcnt(1)
	v_mul_f64 v[26:27], v[12:13], v[42:43]
	s_waitcnt vmcnt(9)
	v_fma_f64 v[5:6], v[6:7], v[46:47], -v[28:29]
	v_mul_f64 v[24:25], v[10:11], v[42:43]
	v_fma_f64 v[7:8], v[8:9], v[46:47], v[16:17]
	s_waitcnt vmcnt(7) lgkmcnt(0)
	v_mul_f64 v[16:17], v[1:2], v[48:49]
	v_add_f64 v[18:19], v[18:19], v[22:23]
	v_add_f64 v[14:15], v[14:15], v[20:21]
	v_mul_f64 v[20:21], v[3:4], v[48:49]
	s_waitcnt vmcnt(6)
	v_fma_f64 v[9:10], v[10:11], v[44:45], -v[26:27]
	v_fma_f64 v[11:12], v[12:13], v[44:45], v[24:25]
	s_waitcnt vmcnt(4)
	v_fma_f64 v[3:4], v[3:4], v[50:51], v[16:17]
	v_add_f64 v[5:6], v[18:19], v[5:6]
	v_add_f64 v[7:8], v[14:15], v[7:8]
	v_fma_f64 v[1:2], v[1:2], v[50:51], -v[20:21]
	v_add_f64 v[5:6], v[5:6], v[9:10]
	v_add_f64 v[7:8], v[7:8], v[11:12]
	;; [unrolled: 1-line block ×4, first 2 shown]
	s_waitcnt vmcnt(2)
	v_add_f64 v[1:2], v[52:53], -v[1:2]
	s_waitcnt vmcnt(0)
	v_add_f64 v[3:4], v[54:55], -v[3:4]
	buffer_store_dword v2, off, s[0:3], 0 offset:788
	buffer_store_dword v1, off, s[0:3], 0 offset:784
	;; [unrolled: 1-line block ×4, first 2 shown]
	v_cmpx_lt_u32_e32 47, v0
	s_cbranch_execz .LBB58_273
; %bb.272:
	v_mov_b32_e32 v4, s23
	v_mov_b32_e32 v5, 0
	s_clause 0x3
	buffer_load_dword v1, v4, s[0:3], 0 offen
	buffer_load_dword v2, v4, s[0:3], 0 offen offset:4
	buffer_load_dword v3, v4, s[0:3], 0 offen offset:8
	;; [unrolled: 1-line block ×3, first 2 shown]
	buffer_store_dword v5, off, s[0:3], 0 offset:768
	buffer_store_dword v5, off, s[0:3], 0 offset:772
	;; [unrolled: 1-line block ×4, first 2 shown]
	s_waitcnt vmcnt(0)
	ds_write_b128 v69, v[1:4]
.LBB58_273:
	s_or_b32 exec_lo, exec_lo, s4
	s_waitcnt lgkmcnt(0)
	s_waitcnt_vscnt null, 0x0
	s_barrier
	buffer_gl0_inv
	s_clause 0x2f
	buffer_load_dword v10, off, s[0:3], 0 offset:792
	buffer_load_dword v11, off, s[0:3], 0 offset:796
	;; [unrolled: 1-line block ×48, first 2 shown]
	v_mov_b32_e32 v1, 0
	ds_read_b128 v[2:5], v1 offset:1712
	ds_read_b128 v[6:9], v1 offset:1728
	s_mov_b32 s4, exec_lo
	s_waitcnt vmcnt(46) lgkmcnt(1)
	v_mul_f64 v[60:61], v[4:5], v[10:11]
	v_mul_f64 v[62:63], v[2:3], v[10:11]
	s_waitcnt vmcnt(44) lgkmcnt(0)
	v_mul_f64 v[64:65], v[8:9], v[14:15]
	ds_read_b128 v[10:13], v1 offset:1744
	v_mul_f64 v[14:15], v[6:7], v[14:15]
	s_waitcnt vmcnt(42)
	v_fma_f64 v[60:61], v[2:3], v[16:17], -v[60:61]
	v_fma_f64 v[16:17], v[4:5], v[16:17], v[62:63]
	ds_read_b128 v[2:5], v1 offset:1760
	s_waitcnt vmcnt(40) lgkmcnt(1)
	v_mul_f64 v[62:63], v[10:11], v[18:19]
	v_mul_f64 v[18:19], v[12:13], v[18:19]
	s_waitcnt vmcnt(38)
	v_fma_f64 v[64:65], v[6:7], v[20:21], -v[64:65]
	v_fma_f64 v[14:15], v[8:9], v[20:21], v[14:15]
	ds_read_b128 v[6:9], v1 offset:1776
	s_waitcnt vmcnt(34) lgkmcnt(1)
	v_mul_f64 v[20:21], v[2:3], v[22:23]
	v_add_f64 v[60:61], v[60:61], 0
	v_add_f64 v[16:17], v[16:17], 0
	v_mul_f64 v[22:23], v[4:5], v[22:23]
	s_waitcnt vmcnt(32)
	v_fma_f64 v[18:19], v[10:11], v[28:29], -v[18:19]
	v_fma_f64 v[28:29], v[12:13], v[28:29], v[62:63]
	ds_read_b128 v[10:13], v1 offset:1792
	s_waitcnt vmcnt(29)
	v_fma_f64 v[20:21], v[4:5], v[30:31], v[20:21]
	v_add_f64 v[60:61], v[60:61], v[64:65]
	v_add_f64 v[14:15], v[16:17], v[14:15]
	s_waitcnt lgkmcnt(1)
	v_mul_f64 v[16:17], v[6:7], v[24:25]
	v_mul_f64 v[24:25], v[8:9], v[24:25]
	v_fma_f64 v[22:23], v[2:3], v[30:31], -v[22:23]
	s_waitcnt vmcnt(25) lgkmcnt(0)
	v_mul_f64 v[30:31], v[12:13], v[32:33]
	ds_read_b128 v[2:5], v1 offset:1808
	v_add_f64 v[18:19], v[60:61], v[18:19]
	v_add_f64 v[14:15], v[14:15], v[28:29]
	v_mul_f64 v[28:29], v[10:11], v[32:33]
	s_waitcnt vmcnt(24)
	v_fma_f64 v[24:25], v[6:7], v[26:27], -v[24:25]
	v_fma_f64 v[16:17], v[8:9], v[26:27], v[16:17]
	ds_read_b128 v[6:9], v1 offset:1824
	s_waitcnt vmcnt(21)
	v_fma_f64 v[26:27], v[10:11], v[38:39], -v[30:31]
	v_add_f64 v[18:19], v[18:19], v[22:23]
	v_add_f64 v[14:15], v[14:15], v[20:21]
	s_waitcnt lgkmcnt(1)
	v_mul_f64 v[22:23], v[4:5], v[34:35]
	v_mul_f64 v[20:21], v[2:3], v[34:35]
	v_add_f64 v[18:19], v[18:19], v[24:25]
	v_fma_f64 v[24:25], v[12:13], v[38:39], v[28:29]
	v_add_f64 v[14:15], v[14:15], v[16:17]
	s_waitcnt vmcnt(17) lgkmcnt(0)
	v_mul_f64 v[28:29], v[8:9], v[40:41]
	s_waitcnt vmcnt(16)
	v_fma_f64 v[22:23], v[2:3], v[36:37], -v[22:23]
	ds_read_b128 v[10:13], v1 offset:1840
	v_mul_f64 v[16:17], v[6:7], v[40:41]
	v_fma_f64 v[20:21], v[4:5], v[36:37], v[20:21]
	ds_read_b128 v[2:5], v1 offset:1856
	v_add_f64 v[18:19], v[18:19], v[26:27]
	v_add_f64 v[14:15], v[14:15], v[24:25]
	s_waitcnt vmcnt(15) lgkmcnt(1)
	v_mul_f64 v[26:27], v[12:13], v[42:43]
	s_waitcnt vmcnt(13)
	v_fma_f64 v[28:29], v[6:7], v[46:47], -v[28:29]
	v_mul_f64 v[24:25], v[10:11], v[42:43]
	v_fma_f64 v[16:17], v[8:9], v[46:47], v[16:17]
	ds_read_b128 v[6:9], v1 offset:1872
	v_add_f64 v[18:19], v[18:19], v[22:23]
	s_waitcnt vmcnt(9) lgkmcnt(1)
	v_mul_f64 v[22:23], v[4:5], v[48:49]
	v_add_f64 v[14:15], v[14:15], v[20:21]
	s_waitcnt vmcnt(8)
	v_fma_f64 v[10:11], v[10:11], v[44:45], -v[26:27]
	v_mul_f64 v[20:21], v[2:3], v[48:49]
	v_fma_f64 v[12:13], v[12:13], v[44:45], v[24:25]
	s_waitcnt vmcnt(7) lgkmcnt(0)
	v_mul_f64 v[24:25], v[8:9], v[50:51]
	v_add_f64 v[18:19], v[18:19], v[28:29]
	s_waitcnt vmcnt(5)
	v_fma_f64 v[2:3], v[2:3], v[54:55], -v[22:23]
	v_add_f64 v[14:15], v[14:15], v[16:17]
	v_mul_f64 v[16:17], v[6:7], v[50:51]
	v_fma_f64 v[4:5], v[4:5], v[54:55], v[20:21]
	s_waitcnt vmcnt(4)
	v_fma_f64 v[6:7], v[6:7], v[52:53], -v[24:25]
	v_add_f64 v[10:11], v[18:19], v[10:11]
	v_add_f64 v[12:13], v[14:15], v[12:13]
	v_fma_f64 v[8:9], v[8:9], v[52:53], v[16:17]
	v_add_f64 v[2:3], v[10:11], v[2:3]
	v_add_f64 v[4:5], v[12:13], v[4:5]
	;; [unrolled: 1-line block ×4, first 2 shown]
	s_waitcnt vmcnt(2)
	v_add_f64 v[2:3], v[56:57], -v[2:3]
	s_waitcnt vmcnt(0)
	v_add_f64 v[4:5], v[58:59], -v[4:5]
	buffer_store_dword v3, off, s[0:3], 0 offset:772
	buffer_store_dword v2, off, s[0:3], 0 offset:768
	;; [unrolled: 1-line block ×4, first 2 shown]
	v_cmpx_lt_u32_e32 46, v0
	s_cbranch_execz .LBB58_275
; %bb.274:
	v_mov_b32_e32 v5, s24
	s_clause 0x3
	buffer_load_dword v2, v5, s[0:3], 0 offen
	buffer_load_dword v3, v5, s[0:3], 0 offen offset:4
	buffer_load_dword v4, v5, s[0:3], 0 offen offset:8
	;; [unrolled: 1-line block ×3, first 2 shown]
	buffer_store_dword v1, off, s[0:3], 0 offset:752
	buffer_store_dword v1, off, s[0:3], 0 offset:756
	;; [unrolled: 1-line block ×4, first 2 shown]
	s_waitcnt vmcnt(0)
	ds_write_b128 v69, v[2:5]
.LBB58_275:
	s_or_b32 exec_lo, exec_lo, s4
	s_waitcnt lgkmcnt(0)
	s_waitcnt_vscnt null, 0x0
	s_barrier
	buffer_gl0_inv
	s_clause 0x2f
	buffer_load_dword v10, off, s[0:3], 0 offset:776
	buffer_load_dword v11, off, s[0:3], 0 offset:780
	;; [unrolled: 1-line block ×48, first 2 shown]
	ds_read_b128 v[2:5], v1 offset:1696
	s_clause 0x3
	buffer_load_dword v60, off, s[0:3], 0 offset:752
	buffer_load_dword v61, off, s[0:3], 0 offset:756
	;; [unrolled: 1-line block ×4, first 2 shown]
	ds_read_b128 v[6:9], v1 offset:1712
	s_mov_b32 s4, exec_lo
	s_waitcnt vmcnt(50) lgkmcnt(1)
	v_mul_f64 v[64:65], v[4:5], v[10:11]
	v_mul_f64 v[66:67], v[2:3], v[10:11]
	ds_read_b128 v[10:13], v1 offset:1728
	s_waitcnt vmcnt(48) lgkmcnt(1)
	v_mul_f64 v[70:71], v[8:9], v[14:15]
	v_mul_f64 v[14:15], v[6:7], v[14:15]
	s_waitcnt vmcnt(46)
	v_fma_f64 v[64:65], v[2:3], v[16:17], -v[64:65]
	v_fma_f64 v[16:17], v[4:5], v[16:17], v[66:67]
	s_waitcnt vmcnt(44) lgkmcnt(0)
	v_mul_f64 v[66:67], v[10:11], v[18:19]
	v_mul_f64 v[18:19], v[12:13], v[18:19]
	s_waitcnt vmcnt(42)
	v_fma_f64 v[70:71], v[6:7], v[20:21], -v[70:71]
	ds_read_b128 v[2:5], v1 offset:1744
	v_fma_f64 v[14:15], v[8:9], v[20:21], v[14:15]
	ds_read_b128 v[6:9], v1 offset:1760
	v_add_f64 v[64:65], v[64:65], 0
	v_add_f64 v[16:17], v[16:17], 0
	s_waitcnt vmcnt(38) lgkmcnt(1)
	v_mul_f64 v[20:21], v[2:3], v[22:23]
	v_mul_f64 v[22:23], v[4:5], v[22:23]
	s_waitcnt vmcnt(36)
	v_fma_f64 v[18:19], v[10:11], v[28:29], -v[18:19]
	v_fma_f64 v[28:29], v[12:13], v[28:29], v[66:67]
	ds_read_b128 v[10:13], v1 offset:1776
	v_add_f64 v[64:65], v[64:65], v[70:71]
	v_add_f64 v[14:15], v[16:17], v[14:15]
	s_waitcnt vmcnt(35) lgkmcnt(1)
	v_mul_f64 v[16:17], v[6:7], v[24:25]
	v_mul_f64 v[24:25], v[8:9], v[24:25]
	s_waitcnt vmcnt(33)
	v_fma_f64 v[22:23], v[2:3], v[30:31], -v[22:23]
	v_fma_f64 v[20:21], v[4:5], v[30:31], v[20:21]
	ds_read_b128 v[2:5], v1 offset:1792
	s_waitcnt vmcnt(29) lgkmcnt(1)
	v_mul_f64 v[30:31], v[12:13], v[32:33]
	v_add_f64 v[18:19], v[64:65], v[18:19]
	v_add_f64 v[14:15], v[14:15], v[28:29]
	v_mul_f64 v[28:29], v[10:11], v[32:33]
	s_waitcnt vmcnt(28)
	v_fma_f64 v[24:25], v[6:7], v[26:27], -v[24:25]
	v_fma_f64 v[16:17], v[8:9], v[26:27], v[16:17]
	ds_read_b128 v[6:9], v1 offset:1808
	s_waitcnt vmcnt(25)
	v_fma_f64 v[26:27], v[10:11], v[38:39], -v[30:31]
	v_add_f64 v[18:19], v[18:19], v[22:23]
	v_add_f64 v[14:15], v[14:15], v[20:21]
	s_waitcnt lgkmcnt(1)
	v_mul_f64 v[22:23], v[4:5], v[34:35]
	v_mul_f64 v[20:21], v[2:3], v[34:35]
	v_add_f64 v[18:19], v[18:19], v[24:25]
	v_fma_f64 v[24:25], v[12:13], v[38:39], v[28:29]
	v_add_f64 v[14:15], v[14:15], v[16:17]
	ds_read_b128 v[10:13], v1 offset:1824
	s_waitcnt vmcnt(21) lgkmcnt(1)
	v_mul_f64 v[28:29], v[8:9], v[40:41]
	s_waitcnt vmcnt(20)
	v_fma_f64 v[22:23], v[2:3], v[36:37], -v[22:23]
	v_mul_f64 v[16:17], v[6:7], v[40:41]
	v_fma_f64 v[20:21], v[4:5], v[36:37], v[20:21]
	ds_read_b128 v[2:5], v1 offset:1840
	v_add_f64 v[18:19], v[18:19], v[26:27]
	s_waitcnt vmcnt(19) lgkmcnt(1)
	v_mul_f64 v[26:27], v[12:13], v[42:43]
	v_add_f64 v[14:15], v[14:15], v[24:25]
	v_mul_f64 v[24:25], v[10:11], v[42:43]
	s_waitcnt vmcnt(17)
	v_fma_f64 v[28:29], v[6:7], v[46:47], -v[28:29]
	v_fma_f64 v[16:17], v[8:9], v[46:47], v[16:17]
	ds_read_b128 v[6:9], v1 offset:1856
	v_add_f64 v[18:19], v[18:19], v[22:23]
	s_waitcnt vmcnt(13) lgkmcnt(1)
	v_mul_f64 v[22:23], v[4:5], v[48:49]
	v_add_f64 v[14:15], v[14:15], v[20:21]
	s_waitcnt vmcnt(12)
	v_fma_f64 v[26:27], v[10:11], v[44:45], -v[26:27]
	v_mul_f64 v[20:21], v[2:3], v[48:49]
	v_fma_f64 v[24:25], v[12:13], v[44:45], v[24:25]
	ds_read_b128 v[10:13], v1 offset:1872
	v_add_f64 v[18:19], v[18:19], v[28:29]
	s_waitcnt vmcnt(11) lgkmcnt(1)
	v_mul_f64 v[28:29], v[8:9], v[50:51]
	v_add_f64 v[14:15], v[14:15], v[16:17]
	s_waitcnt vmcnt(9)
	v_fma_f64 v[1:2], v[2:3], v[54:55], -v[22:23]
	v_mul_f64 v[16:17], v[6:7], v[50:51]
	v_fma_f64 v[3:4], v[4:5], v[54:55], v[20:21]
	s_waitcnt vmcnt(7) lgkmcnt(0)
	v_mul_f64 v[22:23], v[12:13], v[56:57]
	v_mul_f64 v[20:21], v[10:11], v[56:57]
	v_add_f64 v[18:19], v[18:19], v[26:27]
	s_waitcnt vmcnt(6)
	v_fma_f64 v[5:6], v[6:7], v[52:53], -v[28:29]
	v_add_f64 v[14:15], v[14:15], v[24:25]
	v_fma_f64 v[7:8], v[8:9], v[52:53], v[16:17]
	s_waitcnt vmcnt(4)
	v_fma_f64 v[9:10], v[10:11], v[58:59], -v[22:23]
	v_add_f64 v[1:2], v[18:19], v[1:2]
	v_add_f64 v[3:4], v[14:15], v[3:4]
	;; [unrolled: 1-line block ×3, first 2 shown]
	v_fma_f64 v[5:6], v[12:13], v[58:59], v[20:21]
	v_add_f64 v[3:4], v[3:4], v[7:8]
	v_add_f64 v[1:2], v[1:2], v[9:10]
	;; [unrolled: 1-line block ×3, first 2 shown]
	s_waitcnt vmcnt(2)
	v_add_f64 v[1:2], v[60:61], -v[1:2]
	s_waitcnt vmcnt(0)
	v_add_f64 v[3:4], v[62:63], -v[3:4]
	buffer_store_dword v2, off, s[0:3], 0 offset:756
	buffer_store_dword v1, off, s[0:3], 0 offset:752
	;; [unrolled: 1-line block ×4, first 2 shown]
	v_cmpx_lt_u32_e32 45, v0
	s_cbranch_execz .LBB58_277
; %bb.276:
	v_mov_b32_e32 v4, s25
	v_mov_b32_e32 v5, 0
	s_clause 0x3
	buffer_load_dword v1, v4, s[0:3], 0 offen
	buffer_load_dword v2, v4, s[0:3], 0 offen offset:4
	buffer_load_dword v3, v4, s[0:3], 0 offen offset:8
	;; [unrolled: 1-line block ×3, first 2 shown]
	buffer_store_dword v5, off, s[0:3], 0 offset:736
	buffer_store_dword v5, off, s[0:3], 0 offset:740
	buffer_store_dword v5, off, s[0:3], 0 offset:744
	buffer_store_dword v5, off, s[0:3], 0 offset:748
	s_waitcnt vmcnt(0)
	ds_write_b128 v69, v[1:4]
.LBB58_277:
	s_or_b32 exec_lo, exec_lo, s4
	s_waitcnt lgkmcnt(0)
	s_waitcnt_vscnt null, 0x0
	s_barrier
	buffer_gl0_inv
	s_clause 0x33
	buffer_load_dword v10, off, s[0:3], 0 offset:760
	buffer_load_dword v11, off, s[0:3], 0 offset:764
	;; [unrolled: 1-line block ×52, first 2 shown]
	v_mov_b32_e32 v1, 0
	s_mov_b32 s4, exec_lo
	ds_read_b128 v[2:5], v1 offset:1680
	ds_read_b128 v[6:9], v1 offset:1696
	s_clause 0x3
	buffer_load_dword v70, off, s[0:3], 0 offset:736
	buffer_load_dword v71, off, s[0:3], 0 offset:740
	;; [unrolled: 1-line block ×4, first 2 shown]
	s_waitcnt vmcnt(54) lgkmcnt(1)
	v_mul_f64 v[64:65], v[4:5], v[10:11]
	v_mul_f64 v[66:67], v[2:3], v[10:11]
	s_waitcnt vmcnt(52) lgkmcnt(0)
	v_mul_f64 v[107:108], v[8:9], v[14:15]
	ds_read_b128 v[10:13], v1 offset:1712
	v_mul_f64 v[14:15], v[6:7], v[14:15]
	s_waitcnt vmcnt(50)
	v_fma_f64 v[64:65], v[2:3], v[16:17], -v[64:65]
	v_fma_f64 v[16:17], v[4:5], v[16:17], v[66:67]
	ds_read_b128 v[2:5], v1 offset:1728
	s_waitcnt vmcnt(48) lgkmcnt(1)
	v_mul_f64 v[66:67], v[10:11], v[18:19]
	v_mul_f64 v[18:19], v[12:13], v[18:19]
	s_waitcnt vmcnt(46)
	v_fma_f64 v[107:108], v[6:7], v[20:21], -v[107:108]
	v_fma_f64 v[14:15], v[8:9], v[20:21], v[14:15]
	ds_read_b128 v[6:9], v1 offset:1744
	s_waitcnt vmcnt(44) lgkmcnt(1)
	v_mul_f64 v[20:21], v[2:3], v[22:23]
	v_add_f64 v[64:65], v[64:65], 0
	v_add_f64 v[16:17], v[16:17], 0
	v_mul_f64 v[22:23], v[4:5], v[22:23]
	s_waitcnt vmcnt(42)
	v_fma_f64 v[18:19], v[10:11], v[24:25], -v[18:19]
	v_fma_f64 v[24:25], v[12:13], v[24:25], v[66:67]
	ds_read_b128 v[10:13], v1 offset:1760
	s_waitcnt vmcnt(38)
	v_fma_f64 v[20:21], v[4:5], v[28:29], v[20:21]
	v_add_f64 v[64:65], v[64:65], v[107:108]
	v_add_f64 v[14:15], v[16:17], v[14:15]
	s_waitcnt lgkmcnt(1)
	v_mul_f64 v[16:17], v[6:7], v[26:27]
	v_mul_f64 v[26:27], v[8:9], v[26:27]
	v_fma_f64 v[22:23], v[2:3], v[28:29], -v[22:23]
	s_waitcnt vmcnt(36) lgkmcnt(0)
	v_mul_f64 v[28:29], v[12:13], v[30:31]
	ds_read_b128 v[2:5], v1 offset:1776
	v_add_f64 v[18:19], v[64:65], v[18:19]
	v_add_f64 v[14:15], v[14:15], v[24:25]
	v_mul_f64 v[24:25], v[10:11], v[30:31]
	s_waitcnt vmcnt(34)
	v_fma_f64 v[26:27], v[6:7], v[32:33], -v[26:27]
	v_fma_f64 v[16:17], v[8:9], v[32:33], v[16:17]
	ds_read_b128 v[6:9], v1 offset:1792
	s_waitcnt vmcnt(30)
	v_fma_f64 v[28:29], v[10:11], v[36:37], -v[28:29]
	v_add_f64 v[18:19], v[18:19], v[22:23]
	v_add_f64 v[14:15], v[14:15], v[20:21]
	s_waitcnt lgkmcnt(1)
	v_mul_f64 v[22:23], v[4:5], v[34:35]
	v_mul_f64 v[20:21], v[2:3], v[34:35]
	v_fma_f64 v[24:25], v[12:13], v[36:37], v[24:25]
	ds_read_b128 v[10:13], v1 offset:1808
	v_add_f64 v[18:19], v[18:19], v[26:27]
	v_add_f64 v[14:15], v[14:15], v[16:17]
	s_waitcnt vmcnt(28) lgkmcnt(1)
	v_mul_f64 v[26:27], v[8:9], v[38:39]
	s_waitcnt vmcnt(26)
	v_fma_f64 v[22:23], v[2:3], v[40:41], -v[22:23]
	v_mul_f64 v[16:17], v[6:7], v[38:39]
	v_fma_f64 v[20:21], v[4:5], v[40:41], v[20:21]
	ds_read_b128 v[2:5], v1 offset:1824
	v_add_f64 v[18:19], v[18:19], v[28:29]
	v_add_f64 v[14:15], v[14:15], v[24:25]
	s_waitcnt vmcnt(24) lgkmcnt(1)
	v_mul_f64 v[28:29], v[12:13], v[42:43]
	s_waitcnt vmcnt(22)
	v_fma_f64 v[26:27], v[6:7], v[44:45], -v[26:27]
	;; [unrolled: 9-line block ×5, first 2 shown]
	v_mul_f64 v[24:25], v[10:11], v[54:55]
	v_fma_f64 v[8:9], v[8:9], v[56:57], v[16:17]
	s_waitcnt vmcnt(8) lgkmcnt(0)
	v_mul_f64 v[16:17], v[2:3], v[58:59]
	v_add_f64 v[18:19], v[18:19], v[22:23]
	v_add_f64 v[14:15], v[14:15], v[20:21]
	v_mul_f64 v[20:21], v[4:5], v[58:59]
	s_waitcnt vmcnt(6)
	v_fma_f64 v[10:11], v[10:11], v[60:61], -v[28:29]
	v_fma_f64 v[12:13], v[12:13], v[60:61], v[24:25]
	s_waitcnt vmcnt(4)
	v_fma_f64 v[4:5], v[4:5], v[62:63], v[16:17]
	v_add_f64 v[6:7], v[18:19], v[6:7]
	v_add_f64 v[8:9], v[14:15], v[8:9]
	v_fma_f64 v[2:3], v[2:3], v[62:63], -v[20:21]
	v_add_f64 v[6:7], v[6:7], v[10:11]
	v_add_f64 v[8:9], v[8:9], v[12:13]
	;; [unrolled: 1-line block ×4, first 2 shown]
	s_waitcnt vmcnt(2)
	v_add_f64 v[2:3], v[70:71], -v[2:3]
	s_waitcnt vmcnt(0)
	v_add_f64 v[4:5], v[105:106], -v[4:5]
	buffer_store_dword v3, off, s[0:3], 0 offset:740
	buffer_store_dword v2, off, s[0:3], 0 offset:736
	;; [unrolled: 1-line block ×4, first 2 shown]
	v_cmpx_lt_u32_e32 44, v0
	s_cbranch_execz .LBB58_279
; %bb.278:
	v_mov_b32_e32 v5, s26
	s_clause 0x3
	buffer_load_dword v2, v5, s[0:3], 0 offen
	buffer_load_dword v3, v5, s[0:3], 0 offen offset:4
	buffer_load_dword v4, v5, s[0:3], 0 offen offset:8
	;; [unrolled: 1-line block ×3, first 2 shown]
	buffer_store_dword v1, off, s[0:3], 0 offset:720
	buffer_store_dword v1, off, s[0:3], 0 offset:724
	;; [unrolled: 1-line block ×4, first 2 shown]
	s_waitcnt vmcnt(0)
	ds_write_b128 v69, v[2:5]
.LBB58_279:
	s_or_b32 exec_lo, exec_lo, s4
	s_waitcnt lgkmcnt(0)
	s_waitcnt_vscnt null, 0x0
	s_barrier
	buffer_gl0_inv
	s_clause 0x35
	buffer_load_dword v10, off, s[0:3], 0 offset:744
	buffer_load_dword v11, off, s[0:3], 0 offset:748
	;; [unrolled: 1-line block ×54, first 2 shown]
	ds_read_b128 v[2:5], v1 offset:1664
	s_clause 0x1
	buffer_load_dword v67, off, s[0:3], 0 offset:948
	buffer_load_dword v66, off, s[0:3], 0 offset:944
	ds_read_b128 v[6:9], v1 offset:1680
	s_mov_b32 s4, exec_lo
	s_waitcnt vmcnt(54) lgkmcnt(1)
	v_mul_f64 v[70:71], v[4:5], v[10:11]
	v_mul_f64 v[105:106], v[2:3], v[10:11]
	ds_read_b128 v[10:13], v1 offset:1696
	s_waitcnt vmcnt(52) lgkmcnt(1)
	v_mul_f64 v[107:108], v[8:9], v[14:15]
	v_mul_f64 v[14:15], v[6:7], v[14:15]
	s_waitcnt vmcnt(48) lgkmcnt(0)
	v_mul_f64 v[111:112], v[10:11], v[18:19]
	v_fma_f64 v[70:71], v[2:3], v[16:17], -v[70:71]
	v_fma_f64 v[16:17], v[4:5], v[16:17], v[105:106]
	s_clause 0x3
	buffer_load_dword v105, off, s[0:3], 0 offset:720
	buffer_load_dword v106, off, s[0:3], 0 offset:724
	;; [unrolled: 1-line block ×4, first 2 shown]
	v_mul_f64 v[18:19], v[12:13], v[18:19]
	s_waitcnt vmcnt(50)
	v_fma_f64 v[107:108], v[6:7], v[20:21], -v[107:108]
	ds_read_b128 v[2:5], v1 offset:1712
	v_fma_f64 v[14:15], v[8:9], v[20:21], v[14:15]
	ds_read_b128 v[6:9], v1 offset:1728
	v_add_f64 v[70:71], v[70:71], 0
	v_add_f64 v[16:17], v[16:17], 0
	s_waitcnt vmcnt(46) lgkmcnt(1)
	v_mul_f64 v[20:21], v[2:3], v[22:23]
	v_mul_f64 v[22:23], v[4:5], v[22:23]
	s_waitcnt vmcnt(44)
	v_fma_f64 v[18:19], v[10:11], v[28:29], -v[18:19]
	v_fma_f64 v[28:29], v[12:13], v[28:29], v[111:112]
	ds_read_b128 v[10:13], v1 offset:1744
	v_add_f64 v[70:71], v[70:71], v[107:108]
	v_add_f64 v[14:15], v[16:17], v[14:15]
	s_waitcnt vmcnt(43) lgkmcnt(1)
	v_mul_f64 v[16:17], v[6:7], v[24:25]
	v_mul_f64 v[24:25], v[8:9], v[24:25]
	s_waitcnt vmcnt(41)
	v_fma_f64 v[22:23], v[2:3], v[30:31], -v[22:23]
	v_fma_f64 v[20:21], v[4:5], v[30:31], v[20:21]
	ds_read_b128 v[2:5], v1 offset:1760
	s_waitcnt vmcnt(37) lgkmcnt(1)
	v_mul_f64 v[30:31], v[12:13], v[32:33]
	v_add_f64 v[18:19], v[70:71], v[18:19]
	v_add_f64 v[14:15], v[14:15], v[28:29]
	v_mul_f64 v[28:29], v[10:11], v[32:33]
	s_waitcnt vmcnt(36)
	v_fma_f64 v[24:25], v[6:7], v[26:27], -v[24:25]
	v_fma_f64 v[16:17], v[8:9], v[26:27], v[16:17]
	ds_read_b128 v[6:9], v1 offset:1776
	s_waitcnt vmcnt(33)
	v_fma_f64 v[26:27], v[10:11], v[38:39], -v[30:31]
	v_add_f64 v[18:19], v[18:19], v[22:23]
	v_add_f64 v[14:15], v[14:15], v[20:21]
	s_waitcnt lgkmcnt(1)
	v_mul_f64 v[22:23], v[4:5], v[34:35]
	v_mul_f64 v[20:21], v[2:3], v[34:35]
	v_add_f64 v[18:19], v[18:19], v[24:25]
	v_fma_f64 v[24:25], v[12:13], v[38:39], v[28:29]
	v_add_f64 v[14:15], v[14:15], v[16:17]
	ds_read_b128 v[10:13], v1 offset:1792
	s_waitcnt vmcnt(29) lgkmcnt(1)
	v_mul_f64 v[28:29], v[8:9], v[40:41]
	s_waitcnt vmcnt(28)
	v_fma_f64 v[22:23], v[2:3], v[36:37], -v[22:23]
	v_mul_f64 v[16:17], v[6:7], v[40:41]
	v_fma_f64 v[20:21], v[4:5], v[36:37], v[20:21]
	ds_read_b128 v[2:5], v1 offset:1808
	v_add_f64 v[18:19], v[18:19], v[26:27]
	s_waitcnt vmcnt(27) lgkmcnt(1)
	v_mul_f64 v[26:27], v[12:13], v[42:43]
	v_add_f64 v[14:15], v[14:15], v[24:25]
	v_mul_f64 v[24:25], v[10:11], v[42:43]
	s_waitcnt vmcnt(25)
	v_fma_f64 v[28:29], v[6:7], v[46:47], -v[28:29]
	v_fma_f64 v[16:17], v[8:9], v[46:47], v[16:17]
	ds_read_b128 v[6:9], v1 offset:1824
	v_add_f64 v[18:19], v[18:19], v[22:23]
	s_waitcnt vmcnt(21) lgkmcnt(1)
	v_mul_f64 v[22:23], v[4:5], v[48:49]
	v_add_f64 v[14:15], v[14:15], v[20:21]
	s_waitcnt vmcnt(20)
	v_fma_f64 v[26:27], v[10:11], v[44:45], -v[26:27]
	v_mul_f64 v[20:21], v[2:3], v[48:49]
	v_fma_f64 v[24:25], v[12:13], v[44:45], v[24:25]
	ds_read_b128 v[10:13], v1 offset:1840
	v_add_f64 v[18:19], v[18:19], v[28:29]
	s_waitcnt vmcnt(19) lgkmcnt(1)
	v_mul_f64 v[28:29], v[8:9], v[50:51]
	v_add_f64 v[14:15], v[14:15], v[16:17]
	s_waitcnt vmcnt(17)
	v_fma_f64 v[22:23], v[2:3], v[54:55], -v[22:23]
	v_mul_f64 v[16:17], v[6:7], v[50:51]
	;; [unrolled: 9-line block ×4, first 2 shown]
	v_fma_f64 v[12:13], v[12:13], v[62:63], v[24:25]
	s_waitcnt vmcnt(7) lgkmcnt(0)
	v_mul_f64 v[24:25], v[8:9], v[64:65]
	v_add_f64 v[18:19], v[18:19], v[28:29]
	s_waitcnt vmcnt(6)
	v_fma_f64 v[1:2], v[2:3], v[60:61], -v[22:23]
	v_add_f64 v[14:15], v[14:15], v[16:17]
	v_mul_f64 v[16:17], v[6:7], v[64:65]
	v_fma_f64 v[3:4], v[4:5], v[60:61], v[20:21]
	s_waitcnt vmcnt(4)
	v_fma_f64 v[5:6], v[6:7], v[66:67], -v[24:25]
	v_add_f64 v[10:11], v[18:19], v[10:11]
	v_add_f64 v[12:13], v[14:15], v[12:13]
	v_fma_f64 v[7:8], v[8:9], v[66:67], v[16:17]
	v_add_f64 v[1:2], v[10:11], v[1:2]
	v_add_f64 v[3:4], v[12:13], v[3:4]
	;; [unrolled: 1-line block ×4, first 2 shown]
	s_waitcnt vmcnt(2)
	v_add_f64 v[1:2], v[105:106], -v[1:2]
	s_waitcnt vmcnt(0)
	v_add_f64 v[3:4], v[109:110], -v[3:4]
	buffer_store_dword v2, off, s[0:3], 0 offset:724
	buffer_store_dword v1, off, s[0:3], 0 offset:720
	;; [unrolled: 1-line block ×4, first 2 shown]
	v_cmpx_lt_u32_e32 43, v0
	s_cbranch_execz .LBB58_281
; %bb.280:
	v_mov_b32_e32 v4, s27
	v_mov_b32_e32 v5, 0
	s_clause 0x3
	buffer_load_dword v1, v4, s[0:3], 0 offen
	buffer_load_dword v2, v4, s[0:3], 0 offen offset:4
	buffer_load_dword v3, v4, s[0:3], 0 offen offset:8
	;; [unrolled: 1-line block ×3, first 2 shown]
	buffer_store_dword v5, off, s[0:3], 0 offset:704
	buffer_store_dword v5, off, s[0:3], 0 offset:708
	;; [unrolled: 1-line block ×4, first 2 shown]
	s_waitcnt vmcnt(0)
	ds_write_b128 v69, v[1:4]
.LBB58_281:
	s_or_b32 exec_lo, exec_lo, s4
	s_waitcnt lgkmcnt(0)
	s_waitcnt_vscnt null, 0x0
	s_barrier
	buffer_gl0_inv
	s_clause 0x37
	buffer_load_dword v10, off, s[0:3], 0 offset:728
	buffer_load_dword v11, off, s[0:3], 0 offset:732
	;; [unrolled: 1-line block ×56, first 2 shown]
	v_mov_b32_e32 v1, 0
	s_mov_b32 s4, exec_lo
	ds_read_b128 v[2:5], v1 offset:1648
	s_clause 0x2
	buffer_load_dword v67, off, s[0:3], 0 offset:956
	buffer_load_dword v106, off, s[0:3], 0 offset:932
	;; [unrolled: 1-line block ×3, first 2 shown]
	ds_read_b128 v[6:9], v1 offset:1664
	buffer_load_dword v71, off, s[0:3], 0 offset:948
	s_waitcnt vmcnt(58) lgkmcnt(1)
	v_mul_f64 v[107:108], v[4:5], v[10:11]
	v_mul_f64 v[109:110], v[2:3], v[10:11]
	ds_read_b128 v[10:13], v1 offset:1680
	s_waitcnt vmcnt(56) lgkmcnt(1)
	v_mul_f64 v[111:112], v[8:9], v[14:15]
	v_mul_f64 v[14:15], v[6:7], v[14:15]
	s_waitcnt vmcnt(54)
	v_fma_f64 v[107:108], v[2:3], v[16:17], -v[107:108]
	v_fma_f64 v[16:17], v[4:5], v[16:17], v[109:110]
	s_waitcnt vmcnt(52) lgkmcnt(0)
	v_mul_f64 v[109:110], v[10:11], v[18:19]
	v_mul_f64 v[18:19], v[12:13], v[18:19]
	s_waitcnt vmcnt(50)
	v_fma_f64 v[111:112], v[6:7], v[20:21], -v[111:112]
	ds_read_b128 v[2:5], v1 offset:1696
	v_fma_f64 v[14:15], v[8:9], v[20:21], v[14:15]
	s_clause 0x3
	buffer_load_dword v20, off, s[0:3], 0 offset:704
	buffer_load_dword v21, off, s[0:3], 0 offset:708
	;; [unrolled: 1-line block ×4, first 2 shown]
	ds_read_b128 v[6:9], v1 offset:1712
	v_add_f64 v[107:108], v[107:108], 0
	v_add_f64 v[16:17], v[16:17], 0
	s_waitcnt vmcnt(50) lgkmcnt(1)
	v_mul_f64 v[115:116], v[2:3], v[22:23]
	v_mul_f64 v[22:23], v[4:5], v[22:23]
	s_waitcnt vmcnt(48)
	v_fma_f64 v[18:19], v[10:11], v[28:29], -v[18:19]
	v_fma_f64 v[28:29], v[12:13], v[28:29], v[109:110]
	ds_read_b128 v[10:13], v1 offset:1728
	v_add_f64 v[107:108], v[107:108], v[111:112]
	v_add_f64 v[14:15], v[16:17], v[14:15]
	s_waitcnt vmcnt(47) lgkmcnt(1)
	v_mul_f64 v[16:17], v[6:7], v[24:25]
	v_mul_f64 v[24:25], v[8:9], v[24:25]
	s_waitcnt vmcnt(45)
	v_fma_f64 v[22:23], v[2:3], v[30:31], -v[22:23]
	v_fma_f64 v[30:31], v[4:5], v[30:31], v[115:116]
	;; [unrolled: 9-line block ×3, first 2 shown]
	ds_read_b128 v[6:9], v1 offset:1760
	s_waitcnt vmcnt(39) lgkmcnt(1)
	v_mul_f64 v[26:27], v[4:5], v[34:35]
	v_add_f64 v[18:19], v[18:19], v[22:23]
	v_add_f64 v[14:15], v[14:15], v[30:31]
	v_mul_f64 v[22:23], v[2:3], v[34:35]
	s_waitcnt vmcnt(37)
	v_fma_f64 v[30:31], v[10:11], v[38:39], -v[32:33]
	s_waitcnt vmcnt(32)
	v_fma_f64 v[26:27], v[2:3], v[36:37], -v[26:27]
	v_add_f64 v[18:19], v[18:19], v[24:25]
	v_fma_f64 v[24:25], v[12:13], v[38:39], v[28:29]
	v_add_f64 v[14:15], v[14:15], v[16:17]
	s_waitcnt lgkmcnt(0)
	v_mul_f64 v[28:29], v[8:9], v[40:41]
	ds_read_b128 v[10:13], v1 offset:1776
	v_mul_f64 v[16:17], v[6:7], v[40:41]
	v_fma_f64 v[22:23], v[4:5], v[36:37], v[22:23]
	ds_read_b128 v[2:5], v1 offset:1792
	v_add_f64 v[18:19], v[18:19], v[30:31]
	v_add_f64 v[14:15], v[14:15], v[24:25]
	s_waitcnt vmcnt(31) lgkmcnt(1)
	v_mul_f64 v[30:31], v[12:13], v[42:43]
	s_waitcnt vmcnt(29)
	v_fma_f64 v[28:29], v[6:7], v[46:47], -v[28:29]
	v_mul_f64 v[24:25], v[10:11], v[42:43]
	v_fma_f64 v[16:17], v[8:9], v[46:47], v[16:17]
	ds_read_b128 v[6:9], v1 offset:1808
	v_add_f64 v[18:19], v[18:19], v[26:27]
	s_waitcnt vmcnt(25) lgkmcnt(1)
	v_mul_f64 v[26:27], v[4:5], v[48:49]
	v_add_f64 v[14:15], v[14:15], v[22:23]
	s_waitcnt vmcnt(24)
	v_fma_f64 v[30:31], v[10:11], v[44:45], -v[30:31]
	v_mul_f64 v[22:23], v[2:3], v[48:49]
	v_fma_f64 v[24:25], v[12:13], v[44:45], v[24:25]
	ds_read_b128 v[10:13], v1 offset:1824
	v_add_f64 v[18:19], v[18:19], v[28:29]
	s_waitcnt vmcnt(23) lgkmcnt(1)
	v_mul_f64 v[28:29], v[8:9], v[50:51]
	v_add_f64 v[14:15], v[14:15], v[16:17]
	;; [unrolled: 9-line block ×5, first 2 shown]
	s_waitcnt vmcnt(8)
	v_fma_f64 v[2:3], v[2:3], v[60:61], -v[26:27]
	v_mul_f64 v[16:17], v[6:7], v[64:65]
	v_fma_f64 v[4:5], v[4:5], v[60:61], v[22:23]
	s_waitcnt vmcnt(7) lgkmcnt(0)
	v_mul_f64 v[22:23], v[10:11], v[66:67]
	v_add_f64 v[18:19], v[18:19], v[30:31]
	s_waitcnt vmcnt(5)
	v_fma_f64 v[6:7], v[6:7], v[105:106], -v[28:29]
	v_add_f64 v[14:15], v[14:15], v[24:25]
	v_mul_f64 v[24:25], v[12:13], v[66:67]
	v_fma_f64 v[8:9], v[8:9], v[105:106], v[16:17]
	v_add_f64 v[2:3], v[18:19], v[2:3]
	v_add_f64 v[4:5], v[14:15], v[4:5]
	s_waitcnt vmcnt(4)
	v_fma_f64 v[10:11], v[10:11], v[70:71], -v[24:25]
	v_add_f64 v[2:3], v[2:3], v[6:7]
	v_fma_f64 v[6:7], v[12:13], v[70:71], v[22:23]
	v_add_f64 v[4:5], v[4:5], v[8:9]
	v_add_f64 v[2:3], v[2:3], v[10:11]
	;; [unrolled: 1-line block ×3, first 2 shown]
	s_waitcnt vmcnt(2)
	v_add_f64 v[2:3], v[20:21], -v[2:3]
	s_waitcnt vmcnt(0)
	v_add_f64 v[4:5], v[113:114], -v[4:5]
	buffer_store_dword v3, off, s[0:3], 0 offset:708
	buffer_store_dword v2, off, s[0:3], 0 offset:704
	;; [unrolled: 1-line block ×4, first 2 shown]
	v_cmpx_lt_u32_e32 42, v0
	s_cbranch_execz .LBB58_283
; %bb.282:
	v_mov_b32_e32 v5, s28
	s_clause 0x3
	buffer_load_dword v2, v5, s[0:3], 0 offen
	buffer_load_dword v3, v5, s[0:3], 0 offen offset:4
	buffer_load_dword v4, v5, s[0:3], 0 offen offset:8
	;; [unrolled: 1-line block ×3, first 2 shown]
	buffer_store_dword v1, off, s[0:3], 0 offset:688
	buffer_store_dword v1, off, s[0:3], 0 offset:692
	;; [unrolled: 1-line block ×4, first 2 shown]
	s_waitcnt vmcnt(0)
	ds_write_b128 v69, v[2:5]
.LBB58_283:
	s_or_b32 exec_lo, exec_lo, s4
	s_waitcnt lgkmcnt(0)
	s_waitcnt_vscnt null, 0x0
	s_barrier
	buffer_gl0_inv
	s_clause 0x37
	buffer_load_dword v10, off, s[0:3], 0 offset:712
	buffer_load_dword v11, off, s[0:3], 0 offset:716
	;; [unrolled: 1-line block ×56, first 2 shown]
	ds_read_b128 v[2:5], v1 offset:1632
	s_clause 0x2
	buffer_load_dword v67, off, s[0:3], 0 offset:940
	buffer_load_dword v106, off, s[0:3], 0 offset:916
	;; [unrolled: 1-line block ×3, first 2 shown]
	ds_read_b128 v[6:9], v1 offset:1648
	s_clause 0x2
	buffer_load_dword v112, off, s[0:3], 0 offset:956
	buffer_load_dword v111, off, s[0:3], 0 offset:952
	;; [unrolled: 1-line block ×3, first 2 shown]
	s_mov_b32 s4, exec_lo
	s_waitcnt vmcnt(60) lgkmcnt(1)
	v_mul_f64 v[107:108], v[4:5], v[10:11]
	v_mul_f64 v[109:110], v[2:3], v[10:11]
	s_waitcnt vmcnt(58) lgkmcnt(0)
	v_mul_f64 v[113:114], v[8:9], v[14:15]
	ds_read_b128 v[10:13], v1 offset:1664
	v_mul_f64 v[14:15], v[6:7], v[14:15]
	s_waitcnt vmcnt(56)
	v_fma_f64 v[107:108], v[2:3], v[16:17], -v[107:108]
	v_fma_f64 v[16:17], v[4:5], v[16:17], v[109:110]
	s_clause 0x1
	buffer_load_dword v110, off, s[0:3], 0 offset:948
	buffer_load_dword v109, off, s[0:3], 0 offset:944
	s_waitcnt vmcnt(56) lgkmcnt(0)
	v_mul_f64 v[115:116], v[10:11], v[18:19]
	v_mul_f64 v[18:19], v[12:13], v[18:19]
	s_waitcnt vmcnt(54)
	v_fma_f64 v[113:114], v[6:7], v[20:21], -v[113:114]
	ds_read_b128 v[2:5], v1 offset:1680
	v_fma_f64 v[14:15], v[8:9], v[20:21], v[14:15]
	ds_read_b128 v[6:9], v1 offset:1696
	v_add_f64 v[107:108], v[107:108], 0
	v_add_f64 v[16:17], v[16:17], 0
	s_waitcnt vmcnt(50) lgkmcnt(1)
	v_mul_f64 v[20:21], v[2:3], v[22:23]
	v_mul_f64 v[22:23], v[4:5], v[22:23]
	s_waitcnt vmcnt(48)
	v_fma_f64 v[18:19], v[10:11], v[28:29], -v[18:19]
	v_fma_f64 v[28:29], v[12:13], v[28:29], v[115:116]
	s_waitcnt vmcnt(47) lgkmcnt(0)
	v_mul_f64 v[115:116], v[6:7], v[24:25]
	v_mul_f64 v[24:25], v[8:9], v[24:25]
	v_add_f64 v[107:108], v[107:108], v[113:114]
	v_add_f64 v[14:15], v[16:17], v[14:15]
	s_clause 0x3
	buffer_load_dword v16, off, s[0:3], 0 offset:688
	buffer_load_dword v17, off, s[0:3], 0 offset:692
	;; [unrolled: 1-line block ×4, first 2 shown]
	ds_read_b128 v[10:13], v1 offset:1712
	s_waitcnt vmcnt(49)
	v_fma_f64 v[20:21], v[4:5], v[30:31], v[20:21]
	v_fma_f64 v[22:23], v[2:3], v[30:31], -v[22:23]
	ds_read_b128 v[2:5], v1 offset:1728
	s_waitcnt vmcnt(44)
	v_fma_f64 v[24:25], v[6:7], v[26:27], -v[24:25]
	v_add_f64 v[18:19], v[107:108], v[18:19]
	v_add_f64 v[14:15], v[14:15], v[28:29]
	s_waitcnt lgkmcnt(1)
	v_mul_f64 v[30:31], v[12:13], v[32:33]
	v_mul_f64 v[28:29], v[10:11], v[32:33]
	v_add_f64 v[18:19], v[18:19], v[22:23]
	v_fma_f64 v[22:23], v[8:9], v[26:27], v[115:116]
	v_add_f64 v[14:15], v[14:15], v[20:21]
	s_waitcnt vmcnt(43) lgkmcnt(0)
	v_mul_f64 v[26:27], v[4:5], v[34:35]
	s_waitcnt vmcnt(41)
	v_fma_f64 v[30:31], v[10:11], v[38:39], -v[30:31]
	ds_read_b128 v[6:9], v1 offset:1744
	v_mul_f64 v[20:21], v[2:3], v[34:35]
	v_add_f64 v[18:19], v[18:19], v[24:25]
	v_fma_f64 v[24:25], v[12:13], v[38:39], v[28:29]
	v_add_f64 v[14:15], v[14:15], v[22:23]
	ds_read_b128 v[10:13], v1 offset:1760
	s_waitcnt vmcnt(37) lgkmcnt(1)
	v_mul_f64 v[28:29], v[8:9], v[40:41]
	s_waitcnt vmcnt(36)
	v_fma_f64 v[26:27], v[2:3], v[36:37], -v[26:27]
	v_mul_f64 v[22:23], v[6:7], v[40:41]
	v_fma_f64 v[20:21], v[4:5], v[36:37], v[20:21]
	ds_read_b128 v[2:5], v1 offset:1776
	v_add_f64 v[18:19], v[18:19], v[30:31]
	s_waitcnt vmcnt(35) lgkmcnt(1)
	v_mul_f64 v[30:31], v[12:13], v[42:43]
	v_add_f64 v[14:15], v[14:15], v[24:25]
	v_mul_f64 v[24:25], v[10:11], v[42:43]
	s_waitcnt vmcnt(33)
	v_fma_f64 v[28:29], v[6:7], v[46:47], -v[28:29]
	v_fma_f64 v[22:23], v[8:9], v[46:47], v[22:23]
	ds_read_b128 v[6:9], v1 offset:1792
	v_add_f64 v[18:19], v[18:19], v[26:27]
	s_waitcnt vmcnt(29) lgkmcnt(1)
	v_mul_f64 v[26:27], v[4:5], v[48:49]
	v_add_f64 v[14:15], v[14:15], v[20:21]
	s_waitcnt vmcnt(28)
	v_fma_f64 v[30:31], v[10:11], v[44:45], -v[30:31]
	v_mul_f64 v[20:21], v[2:3], v[48:49]
	v_fma_f64 v[24:25], v[12:13], v[44:45], v[24:25]
	ds_read_b128 v[10:13], v1 offset:1808
	v_add_f64 v[18:19], v[18:19], v[28:29]
	s_waitcnt vmcnt(27) lgkmcnt(1)
	v_mul_f64 v[28:29], v[8:9], v[50:51]
	v_add_f64 v[14:15], v[14:15], v[22:23]
	s_waitcnt vmcnt(25)
	v_fma_f64 v[26:27], v[2:3], v[54:55], -v[26:27]
	v_mul_f64 v[22:23], v[6:7], v[50:51]
	;; [unrolled: 9-line block ×6, first 2 shown]
	v_fma_f64 v[7:8], v[8:9], v[105:106], v[22:23]
	s_waitcnt vmcnt(7) lgkmcnt(0)
	v_mul_f64 v[22:23], v[3:4], v[111:112]
	v_add_f64 v[18:19], v[18:19], v[26:27]
	s_waitcnt vmcnt(6)
	v_fma_f64 v[9:10], v[10:11], v[70:71], -v[30:31]
	v_add_f64 v[14:15], v[14:15], v[20:21]
	v_mul_f64 v[20:21], v[1:2], v[111:112]
	v_fma_f64 v[11:12], v[12:13], v[70:71], v[24:25]
	v_add_f64 v[5:6], v[18:19], v[5:6]
	v_add_f64 v[7:8], v[14:15], v[7:8]
	s_waitcnt vmcnt(4)
	v_fma_f64 v[1:2], v[1:2], v[109:110], -v[22:23]
	v_fma_f64 v[3:4], v[3:4], v[109:110], v[20:21]
	v_add_f64 v[5:6], v[5:6], v[9:10]
	v_add_f64 v[7:8], v[7:8], v[11:12]
	;; [unrolled: 1-line block ×4, first 2 shown]
	s_waitcnt vmcnt(2)
	v_add_f64 v[1:2], v[16:17], -v[1:2]
	s_waitcnt vmcnt(0)
	v_add_f64 v[3:4], v[113:114], -v[3:4]
	buffer_store_dword v2, off, s[0:3], 0 offset:692
	buffer_store_dword v1, off, s[0:3], 0 offset:688
	;; [unrolled: 1-line block ×4, first 2 shown]
	v_cmpx_lt_u32_e32 41, v0
	s_cbranch_execz .LBB58_285
; %bb.284:
	v_mov_b32_e32 v4, s29
	v_mov_b32_e32 v5, 0
	s_clause 0x3
	buffer_load_dword v1, v4, s[0:3], 0 offen
	buffer_load_dword v2, v4, s[0:3], 0 offen offset:4
	buffer_load_dword v3, v4, s[0:3], 0 offen offset:8
	;; [unrolled: 1-line block ×3, first 2 shown]
	buffer_store_dword v5, off, s[0:3], 0 offset:672
	buffer_store_dword v5, off, s[0:3], 0 offset:676
	;; [unrolled: 1-line block ×4, first 2 shown]
	s_waitcnt vmcnt(0)
	ds_write_b128 v69, v[1:4]
.LBB58_285:
	s_or_b32 exec_lo, exec_lo, s4
	s_waitcnt lgkmcnt(0)
	s_waitcnt_vscnt null, 0x0
	s_barrier
	buffer_gl0_inv
	s_clause 0x37
	buffer_load_dword v10, off, s[0:3], 0 offset:696
	buffer_load_dword v11, off, s[0:3], 0 offset:700
	;; [unrolled: 1-line block ×56, first 2 shown]
	v_mov_b32_e32 v1, 0
	s_mov_b32 s4, exec_lo
	ds_read_b128 v[2:5], v1 offset:1616
	s_clause 0x2
	buffer_load_dword v67, off, s[0:3], 0 offset:924
	buffer_load_dword v106, off, s[0:3], 0 offset:900
	buffer_load_dword v105, off, s[0:3], 0 offset:896
	ds_read_b128 v[6:9], v1 offset:1632
	s_clause 0x4
	buffer_load_dword v112, off, s[0:3], 0 offset:940
	buffer_load_dword v113, off, s[0:3], 0 offset:952
	;; [unrolled: 1-line block ×5, first 2 shown]
	s_waitcnt vmcnt(62) lgkmcnt(1)
	v_mul_f64 v[107:108], v[4:5], v[10:11]
	v_mul_f64 v[109:110], v[2:3], v[10:11]
	s_waitcnt vmcnt(60) lgkmcnt(0)
	v_mul_f64 v[116:117], v[8:9], v[14:15]
	ds_read_b128 v[10:13], v1 offset:1648
	v_mul_f64 v[14:15], v[6:7], v[14:15]
	s_waitcnt vmcnt(58)
	v_fma_f64 v[107:108], v[2:3], v[16:17], -v[107:108]
	v_fma_f64 v[16:17], v[4:5], v[16:17], v[109:110]
	s_clause 0x2
	buffer_load_dword v114, off, s[0:3], 0 offset:956
	buffer_load_dword v110, off, s[0:3], 0 offset:932
	;; [unrolled: 1-line block ×3, first 2 shown]
	s_waitcnt vmcnt(59) lgkmcnt(0)
	v_mul_f64 v[118:119], v[10:11], v[18:19]
	v_mul_f64 v[18:19], v[12:13], v[18:19]
	s_waitcnt vmcnt(57)
	v_fma_f64 v[120:121], v[6:7], v[20:21], -v[116:117]
	ds_read_b128 v[2:5], v1 offset:1664
	v_fma_f64 v[14:15], v[8:9], v[20:21], v[14:15]
	buffer_load_dword v116, off, s[0:3], 0 offset:948
	ds_read_b128 v[6:9], v1 offset:1680
	v_add_f64 v[107:108], v[107:108], 0
	v_add_f64 v[16:17], v[16:17], 0
	s_waitcnt vmcnt(54) lgkmcnt(1)
	v_mul_f64 v[20:21], v[2:3], v[22:23]
	v_mul_f64 v[22:23], v[4:5], v[22:23]
	s_waitcnt vmcnt(52)
	v_fma_f64 v[18:19], v[10:11], v[28:29], -v[18:19]
	v_fma_f64 v[28:29], v[12:13], v[28:29], v[118:119]
	ds_read_b128 v[10:13], v1 offset:1696
	v_add_f64 v[107:108], v[107:108], v[120:121]
	v_add_f64 v[14:15], v[16:17], v[14:15]
	s_waitcnt vmcnt(51) lgkmcnt(1)
	v_mul_f64 v[16:17], v[6:7], v[24:25]
	v_mul_f64 v[24:25], v[8:9], v[24:25]
	s_waitcnt vmcnt(49)
	v_fma_f64 v[20:21], v[4:5], v[30:31], v[20:21]
	v_fma_f64 v[22:23], v[2:3], v[30:31], -v[22:23]
	v_add_f64 v[18:19], v[107:108], v[18:19]
	v_add_f64 v[14:15], v[14:15], v[28:29]
	s_clause 0x3
	buffer_load_dword v28, off, s[0:3], 0 offset:672
	buffer_load_dword v29, off, s[0:3], 0 offset:676
	;; [unrolled: 1-line block ×4, first 2 shown]
	s_waitcnt vmcnt(49) lgkmcnt(0)
	v_mul_f64 v[107:108], v[10:11], v[32:33]
	v_mul_f64 v[32:33], v[12:13], v[32:33]
	s_waitcnt vmcnt(48)
	v_fma_f64 v[24:25], v[6:7], v[26:27], -v[24:25]
	ds_read_b128 v[2:5], v1 offset:1712
	v_fma_f64 v[16:17], v[8:9], v[26:27], v[16:17]
	ds_read_b128 v[6:9], v1 offset:1728
	v_add_f64 v[18:19], v[18:19], v[22:23]
	v_add_f64 v[14:15], v[14:15], v[20:21]
	s_waitcnt vmcnt(47) lgkmcnt(1)
	v_mul_f64 v[22:23], v[4:5], v[34:35]
	s_waitcnt vmcnt(45)
	v_fma_f64 v[26:27], v[10:11], v[38:39], -v[32:33]
	v_mul_f64 v[20:21], v[2:3], v[34:35]
	s_waitcnt vmcnt(41) lgkmcnt(0)
	v_mul_f64 v[32:33], v[8:9], v[40:41]
	v_add_f64 v[18:19], v[18:19], v[24:25]
	v_fma_f64 v[24:25], v[12:13], v[38:39], v[107:108]
	v_add_f64 v[14:15], v[14:15], v[16:17]
	ds_read_b128 v[10:13], v1 offset:1744
	s_waitcnt vmcnt(40)
	v_fma_f64 v[22:23], v[2:3], v[36:37], -v[22:23]
	v_mul_f64 v[16:17], v[6:7], v[40:41]
	v_fma_f64 v[20:21], v[4:5], v[36:37], v[20:21]
	ds_read_b128 v[2:5], v1 offset:1760
	s_waitcnt vmcnt(37)
	v_fma_f64 v[32:33], v[6:7], v[46:47], -v[32:33]
	v_add_f64 v[18:19], v[18:19], v[26:27]
	s_waitcnt lgkmcnt(1)
	v_mul_f64 v[26:27], v[12:13], v[42:43]
	v_add_f64 v[14:15], v[14:15], v[24:25]
	v_mul_f64 v[24:25], v[10:11], v[42:43]
	v_fma_f64 v[16:17], v[8:9], v[46:47], v[16:17]
	ds_read_b128 v[6:9], v1 offset:1776
	v_add_f64 v[18:19], v[18:19], v[22:23]
	s_waitcnt vmcnt(33) lgkmcnt(1)
	v_mul_f64 v[22:23], v[4:5], v[48:49]
	v_add_f64 v[14:15], v[14:15], v[20:21]
	s_waitcnt vmcnt(32)
	v_fma_f64 v[26:27], v[10:11], v[44:45], -v[26:27]
	v_mul_f64 v[20:21], v[2:3], v[48:49]
	v_fma_f64 v[24:25], v[12:13], v[44:45], v[24:25]
	ds_read_b128 v[10:13], v1 offset:1792
	v_add_f64 v[18:19], v[18:19], v[32:33]
	s_waitcnt vmcnt(31) lgkmcnt(1)
	v_mul_f64 v[32:33], v[8:9], v[50:51]
	v_add_f64 v[14:15], v[14:15], v[16:17]
	s_waitcnt vmcnt(29)
	v_fma_f64 v[22:23], v[2:3], v[54:55], -v[22:23]
	;; [unrolled: 9-line block ×7, first 2 shown]
	v_mul_f64 v[20:21], v[2:3], v[111:112]
	v_fma_f64 v[12:13], v[12:13], v[70:71], v[24:25]
	v_add_f64 v[18:19], v[18:19], v[32:33]
	v_add_f64 v[14:15], v[14:15], v[16:17]
	s_waitcnt vmcnt(7) lgkmcnt(0)
	v_mul_f64 v[24:25], v[8:9], v[113:114]
	v_mul_f64 v[16:17], v[6:7], v[113:114]
	s_waitcnt vmcnt(5)
	v_fma_f64 v[2:3], v[2:3], v[109:110], -v[22:23]
	v_fma_f64 v[4:5], v[4:5], v[109:110], v[20:21]
	v_add_f64 v[10:11], v[18:19], v[10:11]
	v_add_f64 v[12:13], v[14:15], v[12:13]
	s_waitcnt vmcnt(4)
	v_fma_f64 v[6:7], v[6:7], v[115:116], -v[24:25]
	v_fma_f64 v[8:9], v[8:9], v[115:116], v[16:17]
	v_add_f64 v[2:3], v[10:11], v[2:3]
	v_add_f64 v[4:5], v[12:13], v[4:5]
	;; [unrolled: 1-line block ×4, first 2 shown]
	s_waitcnt vmcnt(2)
	v_add_f64 v[2:3], v[28:29], -v[2:3]
	s_waitcnt vmcnt(0)
	v_add_f64 v[4:5], v[30:31], -v[4:5]
	buffer_store_dword v3, off, s[0:3], 0 offset:676
	buffer_store_dword v2, off, s[0:3], 0 offset:672
	;; [unrolled: 1-line block ×4, first 2 shown]
	v_cmpx_lt_u32_e32 40, v0
	s_cbranch_execz .LBB58_287
; %bb.286:
	v_mov_b32_e32 v5, s30
	s_clause 0x3
	buffer_load_dword v2, v5, s[0:3], 0 offen
	buffer_load_dword v3, v5, s[0:3], 0 offen offset:4
	buffer_load_dword v4, v5, s[0:3], 0 offen offset:8
	;; [unrolled: 1-line block ×3, first 2 shown]
	buffer_store_dword v1, off, s[0:3], 0 offset:656
	buffer_store_dword v1, off, s[0:3], 0 offset:660
	;; [unrolled: 1-line block ×4, first 2 shown]
	s_waitcnt vmcnt(0)
	ds_write_b128 v69, v[2:5]
.LBB58_287:
	s_or_b32 exec_lo, exec_lo, s4
	s_waitcnt lgkmcnt(0)
	s_waitcnt_vscnt null, 0x0
	s_barrier
	buffer_gl0_inv
	s_clause 0x37
	buffer_load_dword v10, off, s[0:3], 0 offset:680
	buffer_load_dword v11, off, s[0:3], 0 offset:684
	;; [unrolled: 1-line block ×56, first 2 shown]
	ds_read_b128 v[2:5], v1 offset:1600
	s_clause 0x2
	buffer_load_dword v67, off, s[0:3], 0 offset:908
	buffer_load_dword v106, off, s[0:3], 0 offset:884
	;; [unrolled: 1-line block ×3, first 2 shown]
	ds_read_b128 v[6:9], v1 offset:1616
	s_clause 0x4
	buffer_load_dword v112, off, s[0:3], 0 offset:924
	buffer_load_dword v113, off, s[0:3], 0 offset:936
	;; [unrolled: 1-line block ×5, first 2 shown]
	s_mov_b32 s4, exec_lo
	s_waitcnt vmcnt(62) lgkmcnt(1)
	v_mul_f64 v[107:108], v[4:5], v[10:11]
	v_mul_f64 v[109:110], v[2:3], v[10:11]
	s_waitcnt vmcnt(60) lgkmcnt(0)
	v_mul_f64 v[116:117], v[8:9], v[14:15]
	ds_read_b128 v[10:13], v1 offset:1632
	v_mul_f64 v[14:15], v[6:7], v[14:15]
	s_waitcnt vmcnt(58)
	v_fma_f64 v[107:108], v[2:3], v[16:17], -v[107:108]
	v_fma_f64 v[16:17], v[4:5], v[16:17], v[109:110]
	s_clause 0x2
	buffer_load_dword v114, off, s[0:3], 0 offset:940
	buffer_load_dword v110, off, s[0:3], 0 offset:916
	;; [unrolled: 1-line block ×3, first 2 shown]
	s_waitcnt vmcnt(59) lgkmcnt(0)
	v_mul_f64 v[118:119], v[10:11], v[18:19]
	v_mul_f64 v[18:19], v[12:13], v[18:19]
	s_waitcnt vmcnt(57)
	v_fma_f64 v[120:121], v[6:7], v[20:21], -v[116:117]
	ds_read_b128 v[2:5], v1 offset:1648
	v_fma_f64 v[14:15], v[8:9], v[20:21], v[14:15]
	s_clause 0x2
	buffer_load_dword v21, off, s[0:3], 0 offset:956
	buffer_load_dword v20, off, s[0:3], 0 offset:952
	;; [unrolled: 1-line block ×3, first 2 shown]
	ds_read_b128 v[6:9], v1 offset:1664
	v_add_f64 v[107:108], v[107:108], 0
	v_add_f64 v[16:17], v[16:17], 0
	s_waitcnt vmcnt(56) lgkmcnt(1)
	v_mul_f64 v[122:123], v[2:3], v[22:23]
	v_mul_f64 v[22:23], v[4:5], v[22:23]
	s_waitcnt vmcnt(54)
	v_fma_f64 v[18:19], v[10:11], v[28:29], -v[18:19]
	v_fma_f64 v[28:29], v[12:13], v[28:29], v[118:119]
	s_waitcnt vmcnt(53) lgkmcnt(0)
	v_mul_f64 v[117:118], v[6:7], v[24:25]
	v_mul_f64 v[24:25], v[8:9], v[24:25]
	v_add_f64 v[107:108], v[107:108], v[120:121]
	v_add_f64 v[14:15], v[16:17], v[14:15]
	s_clause 0x1
	buffer_load_dword v17, off, s[0:3], 0 offset:948
	buffer_load_dword v16, off, s[0:3], 0 offset:944
	ds_read_b128 v[10:13], v1 offset:1680
	s_waitcnt vmcnt(53)
	v_fma_f64 v[22:23], v[2:3], v[30:31], -v[22:23]
	v_fma_f64 v[30:31], v[4:5], v[30:31], v[122:123]
	ds_read_b128 v[2:5], v1 offset:1696
	s_waitcnt vmcnt(48)
	v_fma_f64 v[24:25], v[6:7], v[26:27], -v[24:25]
	v_add_f64 v[18:19], v[107:108], v[18:19]
	v_add_f64 v[14:15], v[14:15], v[28:29]
	s_waitcnt lgkmcnt(1)
	v_mul_f64 v[28:29], v[10:11], v[32:33]
	v_mul_f64 v[32:33], v[12:13], v[32:33]
	s_waitcnt vmcnt(47) lgkmcnt(0)
	v_mul_f64 v[107:108], v[2:3], v[34:35]
	v_mul_f64 v[34:35], v[4:5], v[34:35]
	v_add_f64 v[18:19], v[18:19], v[22:23]
	v_fma_f64 v[22:23], v[8:9], v[26:27], v[117:118]
	v_add_f64 v[14:15], v[14:15], v[30:31]
	s_clause 0x3
	buffer_load_dword v26, off, s[0:3], 0 offset:656
	buffer_load_dword v27, off, s[0:3], 0 offset:660
	;; [unrolled: 1-line block ×4, first 2 shown]
	s_waitcnt vmcnt(49)
	v_fma_f64 v[32:33], v[10:11], v[38:39], -v[32:33]
	ds_read_b128 v[6:9], v1 offset:1712
	s_waitcnt vmcnt(44)
	v_fma_f64 v[34:35], v[2:3], v[36:37], -v[34:35]
	v_add_f64 v[18:19], v[18:19], v[24:25]
	v_fma_f64 v[24:25], v[12:13], v[38:39], v[28:29]
	v_add_f64 v[14:15], v[14:15], v[22:23]
	ds_read_b128 v[10:13], v1 offset:1728
	s_waitcnt lgkmcnt(1)
	v_mul_f64 v[28:29], v[8:9], v[40:41]
	v_mul_f64 v[22:23], v[6:7], v[40:41]
	v_add_f64 v[18:19], v[18:19], v[32:33]
	v_fma_f64 v[32:33], v[4:5], v[36:37], v[107:108]
	v_add_f64 v[14:15], v[14:15], v[24:25]
	s_waitcnt vmcnt(43) lgkmcnt(0)
	v_mul_f64 v[36:37], v[12:13], v[42:43]
	s_waitcnt vmcnt(41)
	v_fma_f64 v[28:29], v[6:7], v[46:47], -v[28:29]
	ds_read_b128 v[2:5], v1 offset:1744
	v_mul_f64 v[24:25], v[10:11], v[42:43]
	v_fma_f64 v[22:23], v[8:9], v[46:47], v[22:23]
	ds_read_b128 v[6:9], v1 offset:1760
	v_add_f64 v[18:19], v[18:19], v[34:35]
	v_add_f64 v[14:15], v[14:15], v[32:33]
	s_waitcnt vmcnt(37) lgkmcnt(1)
	v_mul_f64 v[34:35], v[4:5], v[48:49]
	s_waitcnt vmcnt(36)
	v_fma_f64 v[36:37], v[10:11], v[44:45], -v[36:37]
	v_mul_f64 v[32:33], v[2:3], v[48:49]
	v_fma_f64 v[24:25], v[12:13], v[44:45], v[24:25]
	ds_read_b128 v[10:13], v1 offset:1776
	v_add_f64 v[18:19], v[18:19], v[28:29]
	s_waitcnt vmcnt(35) lgkmcnt(1)
	v_mul_f64 v[28:29], v[8:9], v[50:51]
	v_add_f64 v[14:15], v[14:15], v[22:23]
	s_waitcnt vmcnt(33)
	v_fma_f64 v[34:35], v[2:3], v[54:55], -v[34:35]
	v_mul_f64 v[22:23], v[6:7], v[50:51]
	v_fma_f64 v[32:33], v[4:5], v[54:55], v[32:33]
	ds_read_b128 v[2:5], v1 offset:1792
	v_add_f64 v[18:19], v[18:19], v[36:37]
	s_waitcnt vmcnt(29) lgkmcnt(1)
	v_mul_f64 v[36:37], v[12:13], v[56:57]
	v_add_f64 v[14:15], v[14:15], v[24:25]
	;; [unrolled: 9-line block ×6, first 2 shown]
	s_waitcnt vmcnt(12)
	v_fma_f64 v[36:37], v[10:11], v[70:71], -v[36:37]
	v_mul_f64 v[32:33], v[2:3], v[111:112]
	v_fma_f64 v[24:25], v[12:13], v[70:71], v[24:25]
	ds_read_b128 v[10:13], v1 offset:1872
	v_add_f64 v[18:19], v[18:19], v[28:29]
	v_add_f64 v[14:15], v[14:15], v[22:23]
	s_waitcnt vmcnt(11) lgkmcnt(1)
	v_mul_f64 v[28:29], v[8:9], v[113:114]
	v_mul_f64 v[22:23], v[6:7], v[113:114]
	s_waitcnt vmcnt(9)
	v_fma_f64 v[1:2], v[2:3], v[109:110], -v[34:35]
	v_fma_f64 v[3:4], v[4:5], v[109:110], v[32:33]
	v_add_f64 v[18:19], v[18:19], v[36:37]
	v_add_f64 v[14:15], v[14:15], v[24:25]
	s_waitcnt vmcnt(7) lgkmcnt(0)
	v_mul_f64 v[24:25], v[10:11], v[20:21]
	v_mul_f64 v[20:21], v[12:13], v[20:21]
	s_waitcnt vmcnt(6)
	v_fma_f64 v[5:6], v[6:7], v[115:116], -v[28:29]
	v_fma_f64 v[7:8], v[8:9], v[115:116], v[22:23]
	v_add_f64 v[1:2], v[18:19], v[1:2]
	v_add_f64 v[3:4], v[14:15], v[3:4]
	s_waitcnt vmcnt(4)
	v_fma_f64 v[9:10], v[10:11], v[16:17], -v[20:21]
	v_add_f64 v[1:2], v[1:2], v[5:6]
	v_fma_f64 v[5:6], v[12:13], v[16:17], v[24:25]
	v_add_f64 v[3:4], v[3:4], v[7:8]
	v_add_f64 v[1:2], v[1:2], v[9:10]
	;; [unrolled: 1-line block ×3, first 2 shown]
	s_waitcnt vmcnt(2)
	v_add_f64 v[1:2], v[26:27], -v[1:2]
	s_waitcnt vmcnt(0)
	v_add_f64 v[3:4], v[30:31], -v[3:4]
	buffer_store_dword v2, off, s[0:3], 0 offset:660
	buffer_store_dword v1, off, s[0:3], 0 offset:656
	;; [unrolled: 1-line block ×4, first 2 shown]
	v_cmpx_lt_u32_e32 39, v0
	s_cbranch_execz .LBB58_289
; %bb.288:
	v_mov_b32_e32 v4, s31
	v_mov_b32_e32 v5, 0
	s_clause 0x3
	buffer_load_dword v1, v4, s[0:3], 0 offen
	buffer_load_dword v2, v4, s[0:3], 0 offen offset:4
	buffer_load_dword v3, v4, s[0:3], 0 offen offset:8
	;; [unrolled: 1-line block ×3, first 2 shown]
	buffer_store_dword v5, off, s[0:3], 0 offset:640
	buffer_store_dword v5, off, s[0:3], 0 offset:644
	;; [unrolled: 1-line block ×4, first 2 shown]
	s_waitcnt vmcnt(0)
	ds_write_b128 v69, v[1:4]
.LBB58_289:
	s_or_b32 exec_lo, exec_lo, s4
	s_waitcnt lgkmcnt(0)
	s_waitcnt_vscnt null, 0x0
	s_barrier
	buffer_gl0_inv
	s_clause 0x37
	buffer_load_dword v10, off, s[0:3], 0 offset:664
	buffer_load_dword v11, off, s[0:3], 0 offset:668
	;; [unrolled: 1-line block ×56, first 2 shown]
	v_mov_b32_e32 v1, 0
	s_mov_b32 s4, exec_lo
	ds_read_b128 v[2:5], v1 offset:1584
	s_clause 0x2
	buffer_load_dword v67, off, s[0:3], 0 offset:892
	buffer_load_dword v106, off, s[0:3], 0 offset:868
	;; [unrolled: 1-line block ×3, first 2 shown]
	ds_read_b128 v[6:9], v1 offset:1600
	s_clause 0x4
	buffer_load_dword v112, off, s[0:3], 0 offset:908
	buffer_load_dword v113, off, s[0:3], 0 offset:920
	;; [unrolled: 1-line block ×5, first 2 shown]
	s_waitcnt vmcnt(62) lgkmcnt(1)
	v_mul_f64 v[107:108], v[4:5], v[10:11]
	v_mul_f64 v[109:110], v[2:3], v[10:11]
	s_waitcnt vmcnt(60) lgkmcnt(0)
	v_mul_f64 v[116:117], v[8:9], v[14:15]
	ds_read_b128 v[10:13], v1 offset:1616
	v_mul_f64 v[14:15], v[6:7], v[14:15]
	s_waitcnt vmcnt(58)
	v_fma_f64 v[107:108], v[2:3], v[16:17], -v[107:108]
	v_fma_f64 v[16:17], v[4:5], v[16:17], v[109:110]
	s_clause 0x2
	buffer_load_dword v114, off, s[0:3], 0 offset:924
	buffer_load_dword v110, off, s[0:3], 0 offset:900
	;; [unrolled: 1-line block ×3, first 2 shown]
	s_waitcnt vmcnt(59) lgkmcnt(0)
	v_mul_f64 v[118:119], v[10:11], v[18:19]
	v_mul_f64 v[18:19], v[12:13], v[18:19]
	s_waitcnt vmcnt(57)
	v_fma_f64 v[120:121], v[6:7], v[20:21], -v[116:117]
	ds_read_b128 v[2:5], v1 offset:1632
	v_fma_f64 v[14:15], v[8:9], v[20:21], v[14:15]
	s_clause 0x4
	buffer_load_dword v21, off, s[0:3], 0 offset:940
	buffer_load_dword v117, off, s[0:3], 0 offset:952
	;; [unrolled: 1-line block ×5, first 2 shown]
	ds_read_b128 v[6:9], v1 offset:1648
	v_add_f64 v[107:108], v[107:108], 0
	v_add_f64 v[16:17], v[16:17], 0
	s_waitcnt vmcnt(58) lgkmcnt(1)
	v_mul_f64 v[123:124], v[2:3], v[22:23]
	v_mul_f64 v[22:23], v[4:5], v[22:23]
	s_waitcnt vmcnt(56)
	v_fma_f64 v[18:19], v[10:11], v[28:29], -v[18:19]
	v_fma_f64 v[28:29], v[12:13], v[28:29], v[118:119]
	v_add_f64 v[107:108], v[107:108], v[120:121]
	v_add_f64 v[14:15], v[16:17], v[14:15]
	s_clause 0x2
	buffer_load_dword v118, off, s[0:3], 0 offset:956
	buffer_load_dword v17, off, s[0:3], 0 offset:932
	;; [unrolled: 1-line block ×3, first 2 shown]
	s_waitcnt vmcnt(58) lgkmcnt(0)
	v_mul_f64 v[119:120], v[6:7], v[24:25]
	v_mul_f64 v[24:25], v[8:9], v[24:25]
	s_waitcnt vmcnt(56)
	v_fma_f64 v[22:23], v[2:3], v[30:31], -v[22:23]
	ds_read_b128 v[10:13], v1 offset:1664
	v_fma_f64 v[30:31], v[4:5], v[30:31], v[123:124]
	buffer_load_dword v123, off, s[0:3], 0 offset:948
	ds_read_b128 v[2:5], v1 offset:1680
	v_add_f64 v[18:19], v[107:108], v[18:19]
	v_add_f64 v[14:15], v[14:15], v[28:29]
	s_waitcnt vmcnt(53) lgkmcnt(1)
	v_mul_f64 v[28:29], v[10:11], v[32:33]
	v_mul_f64 v[32:33], v[12:13], v[32:33]
	s_waitcnt vmcnt(52)
	v_fma_f64 v[24:25], v[6:7], v[26:27], -v[24:25]
	v_add_f64 v[18:19], v[18:19], v[22:23]
	v_fma_f64 v[22:23], v[8:9], v[26:27], v[119:120]
	v_add_f64 v[14:15], v[14:15], v[30:31]
	s_waitcnt vmcnt(51) lgkmcnt(0)
	v_mul_f64 v[30:31], v[4:5], v[34:35]
	ds_read_b128 v[6:9], v1 offset:1696
	s_waitcnt vmcnt(49)
	v_fma_f64 v[32:33], v[10:11], v[38:39], -v[32:33]
	v_mul_f64 v[26:27], v[2:3], v[34:35]
	v_add_f64 v[18:19], v[18:19], v[24:25]
	v_fma_f64 v[24:25], v[12:13], v[38:39], v[28:29]
	v_add_f64 v[14:15], v[14:15], v[22:23]
	s_clause 0x3
	buffer_load_dword v22, off, s[0:3], 0 offset:640
	buffer_load_dword v23, off, s[0:3], 0 offset:644
	;; [unrolled: 1-line block ×4, first 2 shown]
	s_waitcnt vmcnt(49) lgkmcnt(0)
	v_mul_f64 v[38:39], v[8:9], v[40:41]
	s_waitcnt vmcnt(48)
	v_fma_f64 v[30:31], v[2:3], v[36:37], -v[30:31]
	ds_read_b128 v[10:13], v1 offset:1712
	v_mul_f64 v[34:35], v[6:7], v[40:41]
	v_fma_f64 v[26:27], v[4:5], v[36:37], v[26:27]
	ds_read_b128 v[2:5], v1 offset:1728
	v_add_f64 v[18:19], v[18:19], v[32:33]
	v_add_f64 v[14:15], v[14:15], v[24:25]
	s_waitcnt vmcnt(47) lgkmcnt(1)
	v_mul_f64 v[32:33], v[12:13], v[42:43]
	s_waitcnt vmcnt(45)
	v_fma_f64 v[36:37], v[6:7], v[46:47], -v[38:39]
	v_mul_f64 v[24:25], v[10:11], v[42:43]
	v_add_f64 v[18:19], v[18:19], v[30:31]
	v_fma_f64 v[30:31], v[8:9], v[46:47], v[34:35]
	v_add_f64 v[14:15], v[14:15], v[26:27]
	s_waitcnt vmcnt(41) lgkmcnt(0)
	v_mul_f64 v[34:35], v[4:5], v[48:49]
	s_waitcnt vmcnt(40)
	v_fma_f64 v[32:33], v[10:11], v[44:45], -v[32:33]
	ds_read_b128 v[6:9], v1 offset:1744
	v_mul_f64 v[26:27], v[2:3], v[48:49]
	v_fma_f64 v[24:25], v[12:13], v[44:45], v[24:25]
	ds_read_b128 v[10:13], v1 offset:1760
	v_add_f64 v[18:19], v[18:19], v[36:37]
	v_add_f64 v[14:15], v[14:15], v[30:31]
	s_waitcnt vmcnt(39) lgkmcnt(1)
	v_mul_f64 v[36:37], v[8:9], v[50:51]
	s_waitcnt vmcnt(37)
	v_fma_f64 v[34:35], v[2:3], v[54:55], -v[34:35]
	v_mul_f64 v[30:31], v[6:7], v[50:51]
	v_fma_f64 v[26:27], v[4:5], v[54:55], v[26:27]
	ds_read_b128 v[2:5], v1 offset:1776
	v_add_f64 v[18:19], v[18:19], v[32:33]
	s_waitcnt vmcnt(33) lgkmcnt(1)
	v_mul_f64 v[32:33], v[12:13], v[56:57]
	v_add_f64 v[14:15], v[14:15], v[24:25]
	s_waitcnt vmcnt(32)
	v_fma_f64 v[36:37], v[6:7], v[52:53], -v[36:37]
	v_mul_f64 v[24:25], v[10:11], v[56:57]
	v_fma_f64 v[30:31], v[8:9], v[52:53], v[30:31]
	ds_read_b128 v[6:9], v1 offset:1792
	v_add_f64 v[18:19], v[18:19], v[34:35]
	s_waitcnt vmcnt(31) lgkmcnt(1)
	v_mul_f64 v[34:35], v[4:5], v[58:59]
	v_add_f64 v[14:15], v[14:15], v[26:27]
	;; [unrolled: 9-line block ×5, first 2 shown]
	s_waitcnt vmcnt(16)
	v_fma_f64 v[32:33], v[10:11], v[70:71], -v[32:33]
	v_mul_f64 v[26:27], v[2:3], v[111:112]
	v_fma_f64 v[24:25], v[12:13], v[70:71], v[24:25]
	ds_read_b128 v[10:13], v1 offset:1856
	v_add_f64 v[18:19], v[18:19], v[36:37]
	v_add_f64 v[14:15], v[14:15], v[30:31]
	s_waitcnt vmcnt(15) lgkmcnt(1)
	v_mul_f64 v[36:37], v[8:9], v[113:114]
	v_mul_f64 v[30:31], v[6:7], v[113:114]
	s_waitcnt vmcnt(13)
	v_fma_f64 v[34:35], v[2:3], v[109:110], -v[34:35]
	v_fma_f64 v[26:27], v[4:5], v[109:110], v[26:27]
	ds_read_b128 v[2:5], v1 offset:1872
	v_add_f64 v[18:19], v[18:19], v[32:33]
	v_add_f64 v[14:15], v[14:15], v[24:25]
	s_waitcnt vmcnt(9) lgkmcnt(1)
	v_mul_f64 v[24:25], v[10:11], v[20:21]
	v_mul_f64 v[20:21], v[12:13], v[20:21]
	s_waitcnt vmcnt(8)
	v_fma_f64 v[6:7], v[6:7], v[115:116], -v[36:37]
	v_fma_f64 v[8:9], v[8:9], v[115:116], v[30:31]
	v_add_f64 v[18:19], v[18:19], v[34:35]
	v_add_f64 v[14:15], v[14:15], v[26:27]
	s_waitcnt vmcnt(7) lgkmcnt(0)
	v_mul_f64 v[30:31], v[4:5], v[117:118]
	v_mul_f64 v[26:27], v[2:3], v[117:118]
	s_waitcnt vmcnt(5)
	v_fma_f64 v[10:11], v[10:11], v[16:17], -v[20:21]
	v_fma_f64 v[12:13], v[12:13], v[16:17], v[24:25]
	v_add_f64 v[6:7], v[18:19], v[6:7]
	v_add_f64 v[8:9], v[14:15], v[8:9]
	s_waitcnt vmcnt(4)
	v_fma_f64 v[2:3], v[2:3], v[122:123], -v[30:31]
	v_fma_f64 v[4:5], v[4:5], v[122:123], v[26:27]
	v_add_f64 v[6:7], v[6:7], v[10:11]
	v_add_f64 v[8:9], v[8:9], v[12:13]
	;; [unrolled: 1-line block ×4, first 2 shown]
	s_waitcnt vmcnt(2)
	v_add_f64 v[2:3], v[22:23], -v[2:3]
	s_waitcnt vmcnt(0)
	v_add_f64 v[4:5], v[28:29], -v[4:5]
	buffer_store_dword v3, off, s[0:3], 0 offset:644
	buffer_store_dword v2, off, s[0:3], 0 offset:640
	;; [unrolled: 1-line block ×4, first 2 shown]
	v_cmpx_lt_u32_e32 38, v0
	s_cbranch_execz .LBB58_291
; %bb.290:
	v_mov_b32_e32 v5, s33
	s_clause 0x3
	buffer_load_dword v2, v5, s[0:3], 0 offen
	buffer_load_dword v3, v5, s[0:3], 0 offen offset:4
	buffer_load_dword v4, v5, s[0:3], 0 offen offset:8
	;; [unrolled: 1-line block ×3, first 2 shown]
	buffer_store_dword v1, off, s[0:3], 0 offset:624
	buffer_store_dword v1, off, s[0:3], 0 offset:628
	;; [unrolled: 1-line block ×4, first 2 shown]
	s_waitcnt vmcnt(0)
	ds_write_b128 v69, v[2:5]
.LBB58_291:
	s_or_b32 exec_lo, exec_lo, s4
	s_waitcnt lgkmcnt(0)
	s_waitcnt_vscnt null, 0x0
	s_barrier
	buffer_gl0_inv
	s_clause 0x37
	buffer_load_dword v10, off, s[0:3], 0 offset:648
	buffer_load_dword v11, off, s[0:3], 0 offset:652
	;; [unrolled: 1-line block ×56, first 2 shown]
	ds_read_b128 v[2:5], v1 offset:1568
	s_clause 0x2
	buffer_load_dword v67, off, s[0:3], 0 offset:876
	buffer_load_dword v106, off, s[0:3], 0 offset:852
	;; [unrolled: 1-line block ×3, first 2 shown]
	ds_read_b128 v[6:9], v1 offset:1584
	s_clause 0x4
	buffer_load_dword v112, off, s[0:3], 0 offset:892
	buffer_load_dword v113, off, s[0:3], 0 offset:904
	;; [unrolled: 1-line block ×5, first 2 shown]
	s_mov_b32 s4, exec_lo
	s_waitcnt vmcnt(62) lgkmcnt(1)
	v_mul_f64 v[107:108], v[4:5], v[10:11]
	v_mul_f64 v[109:110], v[2:3], v[10:11]
	s_waitcnt vmcnt(60) lgkmcnt(0)
	v_mul_f64 v[116:117], v[8:9], v[14:15]
	ds_read_b128 v[10:13], v1 offset:1600
	v_mul_f64 v[14:15], v[6:7], v[14:15]
	s_waitcnt vmcnt(58)
	v_fma_f64 v[107:108], v[2:3], v[16:17], -v[107:108]
	v_fma_f64 v[16:17], v[4:5], v[16:17], v[109:110]
	s_clause 0x2
	buffer_load_dword v114, off, s[0:3], 0 offset:908
	buffer_load_dword v110, off, s[0:3], 0 offset:884
	;; [unrolled: 1-line block ×3, first 2 shown]
	s_waitcnt vmcnt(59) lgkmcnt(0)
	v_mul_f64 v[118:119], v[10:11], v[18:19]
	v_mul_f64 v[18:19], v[12:13], v[18:19]
	s_waitcnt vmcnt(57)
	v_fma_f64 v[120:121], v[6:7], v[20:21], -v[116:117]
	ds_read_b128 v[2:5], v1 offset:1616
	v_fma_f64 v[14:15], v[8:9], v[20:21], v[14:15]
	s_clause 0x4
	buffer_load_dword v21, off, s[0:3], 0 offset:924
	buffer_load_dword v117, off, s[0:3], 0 offset:936
	;; [unrolled: 1-line block ×5, first 2 shown]
	ds_read_b128 v[6:9], v1 offset:1632
	v_add_f64 v[107:108], v[107:108], 0
	v_add_f64 v[16:17], v[16:17], 0
	s_waitcnt vmcnt(58) lgkmcnt(1)
	v_mul_f64 v[123:124], v[2:3], v[22:23]
	v_mul_f64 v[22:23], v[4:5], v[22:23]
	s_waitcnt vmcnt(56)
	v_fma_f64 v[18:19], v[10:11], v[28:29], -v[18:19]
	v_fma_f64 v[28:29], v[12:13], v[28:29], v[118:119]
	v_add_f64 v[107:108], v[107:108], v[120:121]
	v_add_f64 v[14:15], v[16:17], v[14:15]
	s_clause 0x2
	buffer_load_dword v118, off, s[0:3], 0 offset:940
	buffer_load_dword v17, off, s[0:3], 0 offset:916
	;; [unrolled: 1-line block ×3, first 2 shown]
	s_waitcnt vmcnt(58) lgkmcnt(0)
	v_mul_f64 v[119:120], v[6:7], v[24:25]
	v_mul_f64 v[24:25], v[8:9], v[24:25]
	s_waitcnt vmcnt(56)
	v_fma_f64 v[22:23], v[2:3], v[30:31], -v[22:23]
	ds_read_b128 v[10:13], v1 offset:1648
	v_fma_f64 v[30:31], v[4:5], v[30:31], v[123:124]
	v_add_f64 v[18:19], v[107:108], v[18:19]
	v_add_f64 v[14:15], v[14:15], v[28:29]
	s_clause 0x2
	buffer_load_dword v29, off, s[0:3], 0 offset:956
	buffer_load_dword v28, off, s[0:3], 0 offset:952
	;; [unrolled: 1-line block ×3, first 2 shown]
	ds_read_b128 v[2:5], v1 offset:1664
	s_waitcnt vmcnt(55) lgkmcnt(1)
	v_mul_f64 v[107:108], v[10:11], v[32:33]
	v_mul_f64 v[32:33], v[12:13], v[32:33]
	s_waitcnt vmcnt(54)
	v_fma_f64 v[24:25], v[6:7], v[26:27], -v[24:25]
	v_add_f64 v[18:19], v[18:19], v[22:23]
	v_fma_f64 v[22:23], v[8:9], v[26:27], v[119:120]
	v_add_f64 v[14:15], v[14:15], v[30:31]
	s_clause 0x1
	buffer_load_dword v27, off, s[0:3], 0 offset:948
	buffer_load_dword v26, off, s[0:3], 0 offset:944
	s_waitcnt vmcnt(55) lgkmcnt(0)
	v_mul_f64 v[30:31], v[2:3], v[34:35]
	v_mul_f64 v[34:35], v[4:5], v[34:35]
	s_waitcnt vmcnt(53)
	v_fma_f64 v[32:33], v[10:11], v[38:39], -v[32:33]
	ds_read_b128 v[6:9], v1 offset:1680
	v_add_f64 v[18:19], v[18:19], v[24:25]
	v_fma_f64 v[24:25], v[12:13], v[38:39], v[107:108]
	v_add_f64 v[14:15], v[14:15], v[22:23]
	ds_read_b128 v[10:13], v1 offset:1696
	s_waitcnt vmcnt(48)
	v_fma_f64 v[30:31], v[4:5], v[36:37], v[30:31]
	s_waitcnt lgkmcnt(1)
	v_mul_f64 v[38:39], v[8:9], v[40:41]
	v_fma_f64 v[34:35], v[2:3], v[36:37], -v[34:35]
	v_mul_f64 v[22:23], v[6:7], v[40:41]
	v_add_f64 v[18:19], v[18:19], v[32:33]
	s_waitcnt vmcnt(47) lgkmcnt(0)
	v_mul_f64 v[40:41], v[12:13], v[42:43]
	v_add_f64 v[14:15], v[14:15], v[24:25]
	s_clause 0x3
	buffer_load_dword v24, off, s[0:3], 0 offset:624
	buffer_load_dword v25, off, s[0:3], 0 offset:628
	;; [unrolled: 1-line block ×4, first 2 shown]
	ds_read_b128 v[2:5], v1 offset:1712
	s_waitcnt vmcnt(49)
	v_fma_f64 v[38:39], v[6:7], v[46:47], -v[38:39]
	v_mul_f64 v[36:37], v[10:11], v[42:43]
	v_fma_f64 v[22:23], v[8:9], v[46:47], v[22:23]
	ds_read_b128 v[6:9], v1 offset:1728
	v_add_f64 v[18:19], v[18:19], v[34:35]
	s_waitcnt vmcnt(44)
	v_fma_f64 v[40:41], v[10:11], v[44:45], -v[40:41]
	v_add_f64 v[14:15], v[14:15], v[30:31]
	s_waitcnt lgkmcnt(1)
	v_mul_f64 v[34:35], v[4:5], v[48:49]
	v_mul_f64 v[30:31], v[2:3], v[48:49]
	v_fma_f64 v[36:37], v[12:13], v[44:45], v[36:37]
	ds_read_b128 v[10:13], v1 offset:1744
	v_add_f64 v[18:19], v[18:19], v[38:39]
	s_waitcnt vmcnt(43) lgkmcnt(1)
	v_mul_f64 v[38:39], v[8:9], v[50:51]
	v_add_f64 v[14:15], v[14:15], v[22:23]
	s_waitcnt vmcnt(41)
	v_fma_f64 v[34:35], v[2:3], v[54:55], -v[34:35]
	v_mul_f64 v[22:23], v[6:7], v[50:51]
	v_fma_f64 v[30:31], v[4:5], v[54:55], v[30:31]
	ds_read_b128 v[2:5], v1 offset:1760
	v_add_f64 v[18:19], v[18:19], v[40:41]
	s_waitcnt vmcnt(37) lgkmcnt(1)
	v_mul_f64 v[40:41], v[12:13], v[56:57]
	v_add_f64 v[14:15], v[14:15], v[36:37]
	s_waitcnt vmcnt(36)
	v_fma_f64 v[38:39], v[6:7], v[52:53], -v[38:39]
	;; [unrolled: 9-line block ×6, first 2 shown]
	v_mul_f64 v[30:31], v[2:3], v[111:112]
	v_fma_f64 v[36:37], v[12:13], v[70:71], v[36:37]
	ds_read_b128 v[10:13], v1 offset:1840
	v_add_f64 v[18:19], v[18:19], v[38:39]
	v_add_f64 v[14:15], v[14:15], v[22:23]
	s_waitcnt vmcnt(19) lgkmcnt(1)
	v_mul_f64 v[38:39], v[8:9], v[113:114]
	v_mul_f64 v[22:23], v[6:7], v[113:114]
	s_waitcnt vmcnt(17)
	v_fma_f64 v[34:35], v[2:3], v[109:110], -v[34:35]
	v_fma_f64 v[30:31], v[4:5], v[109:110], v[30:31]
	ds_read_b128 v[2:5], v1 offset:1856
	v_add_f64 v[18:19], v[18:19], v[40:41]
	v_add_f64 v[14:15], v[14:15], v[36:37]
	s_waitcnt vmcnt(13) lgkmcnt(1)
	v_mul_f64 v[36:37], v[10:11], v[20:21]
	v_mul_f64 v[20:21], v[12:13], v[20:21]
	s_waitcnt vmcnt(12)
	v_fma_f64 v[38:39], v[6:7], v[115:116], -v[38:39]
	;; [unrolled: 9-line block ×3, first 2 shown]
	v_fma_f64 v[12:13], v[12:13], v[16:17], v[36:37]
	v_add_f64 v[18:19], v[18:19], v[38:39]
	v_add_f64 v[14:15], v[14:15], v[22:23]
	s_waitcnt vmcnt(7) lgkmcnt(0)
	v_mul_f64 v[20:21], v[8:9], v[28:29]
	s_waitcnt vmcnt(6)
	v_fma_f64 v[1:2], v[2:3], v[122:123], -v[34:35]
	v_mul_f64 v[16:17], v[6:7], v[28:29]
	v_fma_f64 v[3:4], v[4:5], v[122:123], v[30:31]
	v_add_f64 v[10:11], v[18:19], v[10:11]
	v_add_f64 v[12:13], v[14:15], v[12:13]
	s_waitcnt vmcnt(4)
	v_fma_f64 v[5:6], v[6:7], v[26:27], -v[20:21]
	v_fma_f64 v[7:8], v[8:9], v[26:27], v[16:17]
	v_add_f64 v[1:2], v[10:11], v[1:2]
	v_add_f64 v[3:4], v[12:13], v[3:4]
	;; [unrolled: 1-line block ×4, first 2 shown]
	s_waitcnt vmcnt(2)
	v_add_f64 v[1:2], v[24:25], -v[1:2]
	s_waitcnt vmcnt(0)
	v_add_f64 v[3:4], v[32:33], -v[3:4]
	buffer_store_dword v2, off, s[0:3], 0 offset:628
	buffer_store_dword v1, off, s[0:3], 0 offset:624
	;; [unrolled: 1-line block ×4, first 2 shown]
	v_cmpx_lt_u32_e32 37, v0
	s_cbranch_execz .LBB58_293
; %bb.292:
	v_mov_b32_e32 v4, s34
	v_mov_b32_e32 v5, 0
	s_clause 0x3
	buffer_load_dword v1, v4, s[0:3], 0 offen
	buffer_load_dword v2, v4, s[0:3], 0 offen offset:4
	buffer_load_dword v3, v4, s[0:3], 0 offen offset:8
	;; [unrolled: 1-line block ×3, first 2 shown]
	buffer_store_dword v5, off, s[0:3], 0 offset:608
	buffer_store_dword v5, off, s[0:3], 0 offset:612
	;; [unrolled: 1-line block ×4, first 2 shown]
	s_waitcnt vmcnt(0)
	ds_write_b128 v69, v[1:4]
.LBB58_293:
	s_or_b32 exec_lo, exec_lo, s4
	s_waitcnt lgkmcnt(0)
	s_waitcnt_vscnt null, 0x0
	s_barrier
	buffer_gl0_inv
	s_clause 0x37
	buffer_load_dword v10, off, s[0:3], 0 offset:632
	buffer_load_dword v11, off, s[0:3], 0 offset:636
	;; [unrolled: 1-line block ×56, first 2 shown]
	v_mov_b32_e32 v1, 0
	s_mov_b32 s4, exec_lo
	ds_read_b128 v[2:5], v1 offset:1552
	s_clause 0x2
	buffer_load_dword v67, off, s[0:3], 0 offset:860
	buffer_load_dword v106, off, s[0:3], 0 offset:836
	;; [unrolled: 1-line block ×3, first 2 shown]
	ds_read_b128 v[6:9], v1 offset:1568
	s_clause 0x4
	buffer_load_dword v112, off, s[0:3], 0 offset:876
	buffer_load_dword v113, off, s[0:3], 0 offset:888
	;; [unrolled: 1-line block ×5, first 2 shown]
	s_waitcnt vmcnt(62) lgkmcnt(1)
	v_mul_f64 v[107:108], v[4:5], v[10:11]
	v_mul_f64 v[109:110], v[2:3], v[10:11]
	s_waitcnt vmcnt(60) lgkmcnt(0)
	v_mul_f64 v[116:117], v[8:9], v[14:15]
	ds_read_b128 v[10:13], v1 offset:1584
	v_mul_f64 v[14:15], v[6:7], v[14:15]
	s_waitcnt vmcnt(58)
	v_fma_f64 v[107:108], v[2:3], v[16:17], -v[107:108]
	v_fma_f64 v[16:17], v[4:5], v[16:17], v[109:110]
	s_clause 0x2
	buffer_load_dword v114, off, s[0:3], 0 offset:892
	buffer_load_dword v110, off, s[0:3], 0 offset:868
	;; [unrolled: 1-line block ×3, first 2 shown]
	s_waitcnt vmcnt(59) lgkmcnt(0)
	v_mul_f64 v[118:119], v[10:11], v[18:19]
	v_mul_f64 v[18:19], v[12:13], v[18:19]
	s_waitcnt vmcnt(57)
	v_fma_f64 v[120:121], v[6:7], v[20:21], -v[116:117]
	ds_read_b128 v[2:5], v1 offset:1600
	v_fma_f64 v[14:15], v[8:9], v[20:21], v[14:15]
	s_clause 0x4
	buffer_load_dword v21, off, s[0:3], 0 offset:908
	buffer_load_dword v117, off, s[0:3], 0 offset:920
	;; [unrolled: 1-line block ×5, first 2 shown]
	ds_read_b128 v[6:9], v1 offset:1616
	v_add_f64 v[107:108], v[107:108], 0
	v_add_f64 v[16:17], v[16:17], 0
	s_waitcnt vmcnt(58) lgkmcnt(1)
	v_mul_f64 v[123:124], v[2:3], v[22:23]
	v_mul_f64 v[22:23], v[4:5], v[22:23]
	s_waitcnt vmcnt(56)
	v_fma_f64 v[18:19], v[10:11], v[28:29], -v[18:19]
	v_fma_f64 v[28:29], v[12:13], v[28:29], v[118:119]
	v_add_f64 v[107:108], v[107:108], v[120:121]
	v_add_f64 v[14:15], v[16:17], v[14:15]
	s_clause 0x2
	buffer_load_dword v118, off, s[0:3], 0 offset:924
	buffer_load_dword v17, off, s[0:3], 0 offset:900
	buffer_load_dword v16, off, s[0:3], 0 offset:896
	s_waitcnt vmcnt(58) lgkmcnt(0)
	v_mul_f64 v[119:120], v[6:7], v[24:25]
	v_mul_f64 v[24:25], v[8:9], v[24:25]
	s_waitcnt vmcnt(56)
	v_fma_f64 v[22:23], v[2:3], v[30:31], -v[22:23]
	ds_read_b128 v[10:13], v1 offset:1632
	v_fma_f64 v[30:31], v[4:5], v[30:31], v[123:124]
	v_add_f64 v[18:19], v[107:108], v[18:19]
	v_add_f64 v[14:15], v[14:15], v[28:29]
	s_clause 0x4
	buffer_load_dword v29, off, s[0:3], 0 offset:940
	buffer_load_dword v107, off, s[0:3], 0 offset:952
	;; [unrolled: 1-line block ×5, first 2 shown]
	ds_read_b128 v[2:5], v1 offset:1648
	s_waitcnt vmcnt(57) lgkmcnt(1)
	v_mul_f64 v[125:126], v[10:11], v[32:33]
	v_mul_f64 v[32:33], v[12:13], v[32:33]
	s_waitcnt vmcnt(56)
	v_fma_f64 v[24:25], v[6:7], v[26:27], -v[24:25]
	v_add_f64 v[18:19], v[18:19], v[22:23]
	v_fma_f64 v[22:23], v[8:9], v[26:27], v[119:120]
	v_add_f64 v[14:15], v[14:15], v[30:31]
	s_clause 0x2
	buffer_load_dword v108, off, s[0:3], 0 offset:956
	buffer_load_dword v27, off, s[0:3], 0 offset:932
	;; [unrolled: 1-line block ×3, first 2 shown]
	s_waitcnt vmcnt(58) lgkmcnt(0)
	v_mul_f64 v[30:31], v[2:3], v[34:35]
	v_mul_f64 v[34:35], v[4:5], v[34:35]
	s_waitcnt vmcnt(56)
	v_fma_f64 v[32:33], v[10:11], v[38:39], -v[32:33]
	ds_read_b128 v[6:9], v1 offset:1664
	v_add_f64 v[18:19], v[18:19], v[24:25]
	v_fma_f64 v[24:25], v[12:13], v[38:39], v[125:126]
	v_add_f64 v[14:15], v[14:15], v[22:23]
	buffer_load_dword v125, off, s[0:3], 0 offset:948
	ds_read_b128 v[10:13], v1 offset:1680
	s_waitcnt vmcnt(53) lgkmcnt(1)
	v_mul_f64 v[38:39], v[8:9], v[40:41]
	s_waitcnt vmcnt(52)
	v_fma_f64 v[34:35], v[2:3], v[36:37], -v[34:35]
	v_mul_f64 v[22:23], v[6:7], v[40:41]
	v_fma_f64 v[30:31], v[4:5], v[36:37], v[30:31]
	ds_read_b128 v[2:5], v1 offset:1696
	v_add_f64 v[18:19], v[18:19], v[32:33]
	v_add_f64 v[14:15], v[14:15], v[24:25]
	s_waitcnt vmcnt(51) lgkmcnt(1)
	v_mul_f64 v[32:33], v[12:13], v[42:43]
	v_mul_f64 v[24:25], v[10:11], v[42:43]
	s_waitcnt vmcnt(49)
	v_fma_f64 v[36:37], v[6:7], v[46:47], -v[38:39]
	v_fma_f64 v[22:23], v[8:9], v[46:47], v[22:23]
	s_waitcnt vmcnt(45) lgkmcnt(0)
	v_mul_f64 v[40:41], v[4:5], v[48:49]
	v_mul_f64 v[38:39], v[2:3], v[48:49]
	v_add_f64 v[18:19], v[18:19], v[34:35]
	v_add_f64 v[14:15], v[14:15], v[30:31]
	s_clause 0x3
	buffer_load_dword v30, off, s[0:3], 0 offset:608
	buffer_load_dword v31, off, s[0:3], 0 offset:612
	;; [unrolled: 1-line block ×4, first 2 shown]
	s_waitcnt vmcnt(48)
	v_fma_f64 v[32:33], v[10:11], v[44:45], -v[32:33]
	ds_read_b128 v[6:9], v1 offset:1712
	v_fma_f64 v[24:25], v[12:13], v[44:45], v[24:25]
	ds_read_b128 v[10:13], v1 offset:1728
	s_waitcnt vmcnt(45)
	v_fma_f64 v[40:41], v[2:3], v[54:55], -v[40:41]
	v_add_f64 v[18:19], v[18:19], v[36:37]
	v_add_f64 v[14:15], v[14:15], v[22:23]
	s_waitcnt lgkmcnt(1)
	v_mul_f64 v[36:37], v[8:9], v[50:51]
	v_mul_f64 v[22:23], v[6:7], v[50:51]
	v_add_f64 v[18:19], v[18:19], v[32:33]
	v_fma_f64 v[32:33], v[4:5], v[54:55], v[38:39]
	v_add_f64 v[14:15], v[14:15], v[24:25]
	s_waitcnt vmcnt(41) lgkmcnt(0)
	v_mul_f64 v[38:39], v[12:13], v[56:57]
	s_waitcnt vmcnt(40)
	v_fma_f64 v[36:37], v[6:7], v[52:53], -v[36:37]
	ds_read_b128 v[2:5], v1 offset:1744
	v_mul_f64 v[24:25], v[10:11], v[56:57]
	v_fma_f64 v[22:23], v[8:9], v[52:53], v[22:23]
	ds_read_b128 v[6:9], v1 offset:1760
	v_add_f64 v[18:19], v[18:19], v[40:41]
	v_add_f64 v[14:15], v[14:15], v[32:33]
	s_waitcnt vmcnt(39) lgkmcnt(1)
	v_mul_f64 v[40:41], v[4:5], v[58:59]
	s_waitcnt vmcnt(37)
	v_fma_f64 v[38:39], v[10:11], v[62:63], -v[38:39]
	v_mul_f64 v[32:33], v[2:3], v[58:59]
	v_fma_f64 v[24:25], v[12:13], v[62:63], v[24:25]
	ds_read_b128 v[10:13], v1 offset:1776
	v_add_f64 v[18:19], v[18:19], v[36:37]
	s_waitcnt vmcnt(33) lgkmcnt(1)
	v_mul_f64 v[36:37], v[8:9], v[64:65]
	v_add_f64 v[14:15], v[14:15], v[22:23]
	s_waitcnt vmcnt(32)
	v_fma_f64 v[40:41], v[2:3], v[60:61], -v[40:41]
	v_mul_f64 v[22:23], v[6:7], v[64:65]
	v_fma_f64 v[32:33], v[4:5], v[60:61], v[32:33]
	ds_read_b128 v[2:5], v1 offset:1792
	v_add_f64 v[18:19], v[18:19], v[38:39]
	s_waitcnt vmcnt(31) lgkmcnt(1)
	v_mul_f64 v[38:39], v[12:13], v[66:67]
	v_add_f64 v[14:15], v[14:15], v[24:25]
	;; [unrolled: 9-line block ×3, first 2 shown]
	s_waitcnt vmcnt(24)
	v_fma_f64 v[38:39], v[10:11], v[70:71], -v[38:39]
	v_mul_f64 v[32:33], v[2:3], v[111:112]
	v_fma_f64 v[24:25], v[12:13], v[70:71], v[24:25]
	ds_read_b128 v[10:13], v1 offset:1824
	v_add_f64 v[18:19], v[18:19], v[36:37]
	v_add_f64 v[14:15], v[14:15], v[22:23]
	s_waitcnt vmcnt(23) lgkmcnt(1)
	v_mul_f64 v[36:37], v[8:9], v[113:114]
	v_mul_f64 v[22:23], v[6:7], v[113:114]
	s_waitcnt vmcnt(21)
	v_fma_f64 v[40:41], v[2:3], v[109:110], -v[40:41]
	v_fma_f64 v[32:33], v[4:5], v[109:110], v[32:33]
	ds_read_b128 v[2:5], v1 offset:1840
	v_add_f64 v[18:19], v[18:19], v[38:39]
	v_add_f64 v[14:15], v[14:15], v[24:25]
	s_waitcnt vmcnt(17) lgkmcnt(1)
	v_mul_f64 v[24:25], v[10:11], v[20:21]
	v_mul_f64 v[20:21], v[12:13], v[20:21]
	s_waitcnt vmcnt(16)
	v_fma_f64 v[36:37], v[6:7], v[115:116], -v[36:37]
	;; [unrolled: 9-line block ×3, first 2 shown]
	v_fma_f64 v[16:17], v[12:13], v[16:17], v[24:25]
	ds_read_b128 v[10:13], v1 offset:1872
	v_add_f64 v[18:19], v[18:19], v[36:37]
	v_add_f64 v[14:15], v[14:15], v[22:23]
	s_waitcnt vmcnt(9) lgkmcnt(1)
	v_mul_f64 v[24:25], v[8:9], v[28:29]
	s_waitcnt vmcnt(8)
	v_fma_f64 v[2:3], v[2:3], v[122:123], -v[38:39]
	v_mul_f64 v[22:23], v[6:7], v[28:29]
	v_fma_f64 v[4:5], v[4:5], v[122:123], v[32:33]
	v_add_f64 v[18:19], v[18:19], v[20:21]
	v_add_f64 v[14:15], v[14:15], v[16:17]
	s_waitcnt vmcnt(7) lgkmcnt(0)
	v_mul_f64 v[20:21], v[12:13], v[107:108]
	v_mul_f64 v[16:17], v[10:11], v[107:108]
	s_waitcnt vmcnt(5)
	v_fma_f64 v[6:7], v[6:7], v[26:27], -v[24:25]
	v_fma_f64 v[8:9], v[8:9], v[26:27], v[22:23]
	v_add_f64 v[2:3], v[18:19], v[2:3]
	v_add_f64 v[4:5], v[14:15], v[4:5]
	s_waitcnt vmcnt(4)
	v_fma_f64 v[10:11], v[10:11], v[124:125], -v[20:21]
	v_add_f64 v[2:3], v[2:3], v[6:7]
	v_fma_f64 v[6:7], v[12:13], v[124:125], v[16:17]
	v_add_f64 v[4:5], v[4:5], v[8:9]
	v_add_f64 v[2:3], v[2:3], v[10:11]
	;; [unrolled: 1-line block ×3, first 2 shown]
	s_waitcnt vmcnt(2)
	v_add_f64 v[2:3], v[30:31], -v[2:3]
	s_waitcnt vmcnt(0)
	v_add_f64 v[4:5], v[34:35], -v[4:5]
	buffer_store_dword v3, off, s[0:3], 0 offset:612
	buffer_store_dword v2, off, s[0:3], 0 offset:608
	;; [unrolled: 1-line block ×4, first 2 shown]
	v_cmpx_lt_u32_e32 36, v0
	s_cbranch_execz .LBB58_295
; %bb.294:
	v_mov_b32_e32 v5, s35
	s_clause 0x3
	buffer_load_dword v2, v5, s[0:3], 0 offen
	buffer_load_dword v3, v5, s[0:3], 0 offen offset:4
	buffer_load_dword v4, v5, s[0:3], 0 offen offset:8
	;; [unrolled: 1-line block ×3, first 2 shown]
	buffer_store_dword v1, off, s[0:3], 0 offset:592
	buffer_store_dword v1, off, s[0:3], 0 offset:596
	;; [unrolled: 1-line block ×4, first 2 shown]
	s_waitcnt vmcnt(0)
	ds_write_b128 v69, v[2:5]
.LBB58_295:
	s_or_b32 exec_lo, exec_lo, s4
	s_waitcnt lgkmcnt(0)
	s_waitcnt_vscnt null, 0x0
	s_barrier
	buffer_gl0_inv
	s_clause 0x37
	buffer_load_dword v10, off, s[0:3], 0 offset:616
	buffer_load_dword v11, off, s[0:3], 0 offset:620
	;; [unrolled: 1-line block ×56, first 2 shown]
	ds_read_b128 v[2:5], v1 offset:1536
	s_clause 0x2
	buffer_load_dword v67, off, s[0:3], 0 offset:844
	buffer_load_dword v106, off, s[0:3], 0 offset:820
	;; [unrolled: 1-line block ×3, first 2 shown]
	ds_read_b128 v[6:9], v1 offset:1552
	s_clause 0x4
	buffer_load_dword v112, off, s[0:3], 0 offset:860
	buffer_load_dword v113, off, s[0:3], 0 offset:872
	;; [unrolled: 1-line block ×5, first 2 shown]
	s_mov_b32 s4, exec_lo
	s_waitcnt vmcnt(62) lgkmcnt(1)
	v_mul_f64 v[107:108], v[4:5], v[10:11]
	v_mul_f64 v[109:110], v[2:3], v[10:11]
	s_waitcnt vmcnt(60) lgkmcnt(0)
	v_mul_f64 v[116:117], v[8:9], v[14:15]
	ds_read_b128 v[10:13], v1 offset:1568
	v_mul_f64 v[14:15], v[6:7], v[14:15]
	s_waitcnt vmcnt(58)
	v_fma_f64 v[107:108], v[2:3], v[16:17], -v[107:108]
	v_fma_f64 v[16:17], v[4:5], v[16:17], v[109:110]
	s_clause 0x2
	buffer_load_dword v114, off, s[0:3], 0 offset:876
	buffer_load_dword v110, off, s[0:3], 0 offset:852
	;; [unrolled: 1-line block ×3, first 2 shown]
	s_waitcnt vmcnt(59) lgkmcnt(0)
	v_mul_f64 v[118:119], v[10:11], v[18:19]
	v_mul_f64 v[18:19], v[12:13], v[18:19]
	s_waitcnt vmcnt(57)
	v_fma_f64 v[120:121], v[6:7], v[20:21], -v[116:117]
	ds_read_b128 v[2:5], v1 offset:1584
	v_fma_f64 v[14:15], v[8:9], v[20:21], v[14:15]
	s_clause 0x4
	buffer_load_dword v21, off, s[0:3], 0 offset:892
	buffer_load_dword v117, off, s[0:3], 0 offset:904
	;; [unrolled: 1-line block ×5, first 2 shown]
	ds_read_b128 v[6:9], v1 offset:1600
	v_add_f64 v[107:108], v[107:108], 0
	v_add_f64 v[16:17], v[16:17], 0
	s_waitcnt vmcnt(58) lgkmcnt(1)
	v_mul_f64 v[123:124], v[2:3], v[22:23]
	v_mul_f64 v[22:23], v[4:5], v[22:23]
	s_waitcnt vmcnt(56)
	v_fma_f64 v[18:19], v[10:11], v[28:29], -v[18:19]
	v_fma_f64 v[28:29], v[12:13], v[28:29], v[118:119]
	v_add_f64 v[107:108], v[107:108], v[120:121]
	v_add_f64 v[14:15], v[16:17], v[14:15]
	s_clause 0x2
	buffer_load_dword v118, off, s[0:3], 0 offset:908
	buffer_load_dword v17, off, s[0:3], 0 offset:884
	;; [unrolled: 1-line block ×3, first 2 shown]
	s_waitcnt vmcnt(58) lgkmcnt(0)
	v_mul_f64 v[119:120], v[6:7], v[24:25]
	v_mul_f64 v[24:25], v[8:9], v[24:25]
	s_waitcnt vmcnt(56)
	v_fma_f64 v[22:23], v[2:3], v[30:31], -v[22:23]
	ds_read_b128 v[10:13], v1 offset:1616
	v_fma_f64 v[30:31], v[4:5], v[30:31], v[123:124]
	v_add_f64 v[18:19], v[107:108], v[18:19]
	v_add_f64 v[14:15], v[14:15], v[28:29]
	s_clause 0x4
	buffer_load_dword v29, off, s[0:3], 0 offset:924
	buffer_load_dword v107, off, s[0:3], 0 offset:936
	buffer_load_dword v124, off, s[0:3], 0 offset:928
	buffer_load_dword v28, off, s[0:3], 0 offset:920
	buffer_load_dword v123, off, s[0:3], 0 offset:900
	ds_read_b128 v[2:5], v1 offset:1632
	s_waitcnt vmcnt(57) lgkmcnt(1)
	v_mul_f64 v[125:126], v[10:11], v[32:33]
	v_mul_f64 v[32:33], v[12:13], v[32:33]
	s_waitcnt vmcnt(56)
	v_fma_f64 v[24:25], v[6:7], v[26:27], -v[24:25]
	v_add_f64 v[18:19], v[18:19], v[22:23]
	v_fma_f64 v[22:23], v[8:9], v[26:27], v[119:120]
	v_add_f64 v[14:15], v[14:15], v[30:31]
	s_clause 0x2
	buffer_load_dword v108, off, s[0:3], 0 offset:940
	buffer_load_dword v27, off, s[0:3], 0 offset:916
	;; [unrolled: 1-line block ×3, first 2 shown]
	s_waitcnt vmcnt(58) lgkmcnt(0)
	v_mul_f64 v[30:31], v[2:3], v[34:35]
	v_mul_f64 v[34:35], v[4:5], v[34:35]
	s_waitcnt vmcnt(56)
	v_fma_f64 v[32:33], v[10:11], v[38:39], -v[32:33]
	ds_read_b128 v[6:9], v1 offset:1648
	v_add_f64 v[18:19], v[18:19], v[24:25]
	v_fma_f64 v[24:25], v[12:13], v[38:39], v[125:126]
	v_add_f64 v[14:15], v[14:15], v[22:23]
	s_clause 0x2
	buffer_load_dword v23, off, s[0:3], 0 offset:956
	buffer_load_dword v22, off, s[0:3], 0 offset:952
	;; [unrolled: 1-line block ×3, first 2 shown]
	ds_read_b128 v[10:13], v1 offset:1664
	s_waitcnt vmcnt(55) lgkmcnt(1)
	v_mul_f64 v[38:39], v[6:7], v[40:41]
	v_mul_f64 v[40:41], v[8:9], v[40:41]
	s_waitcnt vmcnt(54)
	v_fma_f64 v[34:35], v[2:3], v[36:37], -v[34:35]
	v_fma_f64 v[30:31], v[4:5], v[36:37], v[30:31]
	v_add_f64 v[18:19], v[18:19], v[32:33]
	v_add_f64 v[14:15], v[14:15], v[24:25]
	s_clause 0x1
	buffer_load_dword v25, off, s[0:3], 0 offset:948
	buffer_load_dword v24, off, s[0:3], 0 offset:944
	s_waitcnt vmcnt(55) lgkmcnt(0)
	v_mul_f64 v[36:37], v[12:13], v[42:43]
	ds_read_b128 v[2:5], v1 offset:1680
	s_waitcnt vmcnt(53)
	v_fma_f64 v[40:41], v[6:7], v[46:47], -v[40:41]
	v_mul_f64 v[32:33], v[10:11], v[42:43]
	v_add_f64 v[18:19], v[18:19], v[34:35]
	v_fma_f64 v[34:35], v[8:9], v[46:47], v[38:39]
	v_add_f64 v[14:15], v[14:15], v[30:31]
	ds_read_b128 v[6:9], v1 offset:1696
	s_waitcnt vmcnt(49) lgkmcnt(1)
	v_mul_f64 v[38:39], v[4:5], v[48:49]
	s_waitcnt vmcnt(48)
	v_fma_f64 v[36:37], v[10:11], v[44:45], -v[36:37]
	v_mul_f64 v[30:31], v[2:3], v[48:49]
	v_fma_f64 v[32:33], v[12:13], v[44:45], v[32:33]
	v_add_f64 v[18:19], v[18:19], v[40:41]
	s_waitcnt vmcnt(47) lgkmcnt(0)
	v_mul_f64 v[44:45], v[8:9], v[50:51]
	v_add_f64 v[14:15], v[14:15], v[34:35]
	s_clause 0x3
	buffer_load_dword v34, off, s[0:3], 0 offset:592
	buffer_load_dword v35, off, s[0:3], 0 offset:596
	;; [unrolled: 1-line block ×4, first 2 shown]
	s_waitcnt vmcnt(49)
	v_fma_f64 v[38:39], v[2:3], v[54:55], -v[38:39]
	ds_read_b128 v[10:13], v1 offset:1712
	v_mul_f64 v[42:43], v[6:7], v[50:51]
	v_fma_f64 v[30:31], v[4:5], v[54:55], v[30:31]
	ds_read_b128 v[2:5], v1 offset:1728
	v_add_f64 v[18:19], v[18:19], v[36:37]
	s_waitcnt vmcnt(44)
	v_fma_f64 v[44:45], v[6:7], v[52:53], -v[44:45]
	v_add_f64 v[14:15], v[14:15], v[32:33]
	s_waitcnt lgkmcnt(1)
	v_mul_f64 v[36:37], v[12:13], v[56:57]
	v_mul_f64 v[32:33], v[10:11], v[56:57]
	v_add_f64 v[18:19], v[18:19], v[38:39]
	v_fma_f64 v[38:39], v[8:9], v[52:53], v[42:43]
	v_add_f64 v[14:15], v[14:15], v[30:31]
	s_waitcnt vmcnt(43) lgkmcnt(0)
	v_mul_f64 v[42:43], v[4:5], v[58:59]
	s_waitcnt vmcnt(41)
	v_fma_f64 v[36:37], v[10:11], v[62:63], -v[36:37]
	ds_read_b128 v[6:9], v1 offset:1744
	v_mul_f64 v[30:31], v[2:3], v[58:59]
	v_fma_f64 v[32:33], v[12:13], v[62:63], v[32:33]
	ds_read_b128 v[10:13], v1 offset:1760
	v_add_f64 v[18:19], v[18:19], v[44:45]
	v_add_f64 v[14:15], v[14:15], v[38:39]
	s_waitcnt vmcnt(37) lgkmcnt(1)
	v_mul_f64 v[44:45], v[8:9], v[64:65]
	s_waitcnt vmcnt(36)
	v_fma_f64 v[42:43], v[2:3], v[60:61], -v[42:43]
	v_mul_f64 v[38:39], v[6:7], v[64:65]
	v_fma_f64 v[30:31], v[4:5], v[60:61], v[30:31]
	ds_read_b128 v[2:5], v1 offset:1776
	v_add_f64 v[18:19], v[18:19], v[36:37]
	s_waitcnt vmcnt(35) lgkmcnt(1)
	v_mul_f64 v[36:37], v[12:13], v[66:67]
	v_add_f64 v[14:15], v[14:15], v[32:33]
	s_waitcnt vmcnt(33)
	v_fma_f64 v[44:45], v[6:7], v[105:106], -v[44:45]
	v_mul_f64 v[32:33], v[10:11], v[66:67]
	v_fma_f64 v[38:39], v[8:9], v[105:106], v[38:39]
	ds_read_b128 v[6:9], v1 offset:1792
	v_add_f64 v[18:19], v[18:19], v[42:43]
	s_waitcnt vmcnt(29) lgkmcnt(1)
	v_mul_f64 v[42:43], v[4:5], v[111:112]
	v_add_f64 v[14:15], v[14:15], v[30:31]
	s_waitcnt vmcnt(28)
	v_fma_f64 v[36:37], v[10:11], v[70:71], -v[36:37]
	v_mul_f64 v[30:31], v[2:3], v[111:112]
	v_fma_f64 v[32:33], v[12:13], v[70:71], v[32:33]
	ds_read_b128 v[10:13], v1 offset:1808
	v_add_f64 v[18:19], v[18:19], v[44:45]
	v_add_f64 v[14:15], v[14:15], v[38:39]
	s_waitcnt vmcnt(27) lgkmcnt(1)
	v_mul_f64 v[44:45], v[8:9], v[113:114]
	v_mul_f64 v[38:39], v[6:7], v[113:114]
	s_waitcnt vmcnt(25)
	v_fma_f64 v[42:43], v[2:3], v[109:110], -v[42:43]
	v_fma_f64 v[30:31], v[4:5], v[109:110], v[30:31]
	ds_read_b128 v[2:5], v1 offset:1824
	v_add_f64 v[18:19], v[18:19], v[36:37]
	v_add_f64 v[14:15], v[14:15], v[32:33]
	s_waitcnt vmcnt(21) lgkmcnt(1)
	v_mul_f64 v[32:33], v[10:11], v[20:21]
	v_mul_f64 v[20:21], v[12:13], v[20:21]
	s_waitcnt vmcnt(20)
	v_fma_f64 v[36:37], v[6:7], v[115:116], -v[44:45]
	v_fma_f64 v[38:39], v[8:9], v[115:116], v[38:39]
	ds_read_b128 v[6:9], v1 offset:1840
	v_add_f64 v[18:19], v[18:19], v[42:43]
	v_add_f64 v[14:15], v[14:15], v[30:31]
	s_waitcnt vmcnt(19) lgkmcnt(1)
	v_mul_f64 v[42:43], v[4:5], v[117:118]
	v_mul_f64 v[30:31], v[2:3], v[117:118]
	s_waitcnt vmcnt(17)
	v_fma_f64 v[20:21], v[10:11], v[16:17], -v[20:21]
	v_fma_f64 v[16:17], v[12:13], v[16:17], v[32:33]
	ds_read_b128 v[10:13], v1 offset:1856
	v_add_f64 v[18:19], v[18:19], v[36:37]
	v_add_f64 v[14:15], v[14:15], v[38:39]
	s_waitcnt vmcnt(13) lgkmcnt(1)
	v_mul_f64 v[32:33], v[6:7], v[28:29]
	v_mul_f64 v[28:29], v[8:9], v[28:29]
	s_waitcnt vmcnt(12)
	v_fma_f64 v[36:37], v[2:3], v[122:123], -v[42:43]
	v_add_f64 v[18:19], v[18:19], v[20:21]
	v_fma_f64 v[20:21], v[4:5], v[122:123], v[30:31]
	v_add_f64 v[14:15], v[14:15], v[16:17]
	ds_read_b128 v[1:4], v1 offset:1872
	s_waitcnt vmcnt(11) lgkmcnt(1)
	v_mul_f64 v[30:31], v[12:13], v[107:108]
	v_mul_f64 v[16:17], v[10:11], v[107:108]
	s_waitcnt vmcnt(9)
	v_fma_f64 v[5:6], v[6:7], v[26:27], -v[28:29]
	v_fma_f64 v[7:8], v[8:9], v[26:27], v[32:33]
	v_add_f64 v[18:19], v[18:19], v[36:37]
	v_add_f64 v[14:15], v[14:15], v[20:21]
	s_waitcnt vmcnt(7) lgkmcnt(0)
	v_mul_f64 v[20:21], v[1:2], v[22:23]
	v_mul_f64 v[22:23], v[3:4], v[22:23]
	s_waitcnt vmcnt(6)
	v_fma_f64 v[9:10], v[10:11], v[124:125], -v[30:31]
	v_fma_f64 v[11:12], v[12:13], v[124:125], v[16:17]
	v_add_f64 v[5:6], v[18:19], v[5:6]
	v_add_f64 v[7:8], v[14:15], v[7:8]
	s_waitcnt vmcnt(4)
	v_fma_f64 v[1:2], v[1:2], v[24:25], -v[22:23]
	v_fma_f64 v[3:4], v[3:4], v[24:25], v[20:21]
	v_add_f64 v[5:6], v[5:6], v[9:10]
	v_add_f64 v[7:8], v[7:8], v[11:12]
	v_add_f64 v[1:2], v[5:6], v[1:2]
	v_add_f64 v[3:4], v[7:8], v[3:4]
	s_waitcnt vmcnt(2)
	v_add_f64 v[1:2], v[34:35], -v[1:2]
	s_waitcnt vmcnt(0)
	v_add_f64 v[3:4], v[40:41], -v[3:4]
	buffer_store_dword v2, off, s[0:3], 0 offset:596
	buffer_store_dword v1, off, s[0:3], 0 offset:592
	buffer_store_dword v4, off, s[0:3], 0 offset:604
	buffer_store_dword v3, off, s[0:3], 0 offset:600
	v_cmpx_lt_u32_e32 35, v0
	s_cbranch_execz .LBB58_297
; %bb.296:
	v_mov_b32_e32 v4, s36
	v_mov_b32_e32 v5, 0
	s_clause 0x3
	buffer_load_dword v1, v4, s[0:3], 0 offen
	buffer_load_dword v2, v4, s[0:3], 0 offen offset:4
	buffer_load_dword v3, v4, s[0:3], 0 offen offset:8
	;; [unrolled: 1-line block ×3, first 2 shown]
	buffer_store_dword v5, off, s[0:3], 0 offset:576
	buffer_store_dword v5, off, s[0:3], 0 offset:580
	;; [unrolled: 1-line block ×4, first 2 shown]
	s_waitcnt vmcnt(0)
	ds_write_b128 v69, v[1:4]
.LBB58_297:
	s_or_b32 exec_lo, exec_lo, s4
	s_waitcnt lgkmcnt(0)
	s_waitcnt_vscnt null, 0x0
	s_barrier
	buffer_gl0_inv
	s_clause 0x37
	buffer_load_dword v10, off, s[0:3], 0 offset:600
	buffer_load_dword v11, off, s[0:3], 0 offset:604
	;; [unrolled: 1-line block ×56, first 2 shown]
	v_mov_b32_e32 v1, 0
	s_mov_b32 s4, exec_lo
	ds_read_b128 v[2:5], v1 offset:1520
	s_clause 0x2
	buffer_load_dword v67, off, s[0:3], 0 offset:828
	buffer_load_dword v106, off, s[0:3], 0 offset:804
	;; [unrolled: 1-line block ×3, first 2 shown]
	ds_read_b128 v[6:9], v1 offset:1536
	s_clause 0x4
	buffer_load_dword v112, off, s[0:3], 0 offset:844
	buffer_load_dword v113, off, s[0:3], 0 offset:856
	buffer_load_dword v115, off, s[0:3], 0 offset:848
	buffer_load_dword v111, off, s[0:3], 0 offset:840
	buffer_load_dword v71, off, s[0:3], 0 offset:820
	s_waitcnt vmcnt(62) lgkmcnt(1)
	v_mul_f64 v[107:108], v[4:5], v[10:11]
	v_mul_f64 v[109:110], v[2:3], v[10:11]
	s_waitcnt vmcnt(60) lgkmcnt(0)
	v_mul_f64 v[116:117], v[8:9], v[14:15]
	ds_read_b128 v[10:13], v1 offset:1552
	v_mul_f64 v[14:15], v[6:7], v[14:15]
	s_waitcnt vmcnt(58)
	v_fma_f64 v[107:108], v[2:3], v[16:17], -v[107:108]
	v_fma_f64 v[16:17], v[4:5], v[16:17], v[109:110]
	s_clause 0x2
	buffer_load_dword v114, off, s[0:3], 0 offset:860
	buffer_load_dword v110, off, s[0:3], 0 offset:836
	;; [unrolled: 1-line block ×3, first 2 shown]
	s_waitcnt vmcnt(59) lgkmcnt(0)
	v_mul_f64 v[118:119], v[10:11], v[18:19]
	v_mul_f64 v[18:19], v[12:13], v[18:19]
	s_waitcnt vmcnt(57)
	v_fma_f64 v[120:121], v[6:7], v[20:21], -v[116:117]
	ds_read_b128 v[2:5], v1 offset:1568
	v_fma_f64 v[14:15], v[8:9], v[20:21], v[14:15]
	s_clause 0x4
	buffer_load_dword v21, off, s[0:3], 0 offset:876
	buffer_load_dword v117, off, s[0:3], 0 offset:888
	;; [unrolled: 1-line block ×5, first 2 shown]
	ds_read_b128 v[6:9], v1 offset:1584
	v_add_f64 v[107:108], v[107:108], 0
	v_add_f64 v[16:17], v[16:17], 0
	s_waitcnt vmcnt(58) lgkmcnt(1)
	v_mul_f64 v[123:124], v[2:3], v[22:23]
	v_mul_f64 v[22:23], v[4:5], v[22:23]
	s_waitcnt vmcnt(56)
	v_fma_f64 v[18:19], v[10:11], v[28:29], -v[18:19]
	v_fma_f64 v[28:29], v[12:13], v[28:29], v[118:119]
	v_add_f64 v[107:108], v[107:108], v[120:121]
	v_add_f64 v[14:15], v[16:17], v[14:15]
	s_clause 0x2
	buffer_load_dword v118, off, s[0:3], 0 offset:892
	buffer_load_dword v17, off, s[0:3], 0 offset:868
	;; [unrolled: 1-line block ×3, first 2 shown]
	s_waitcnt vmcnt(58) lgkmcnt(0)
	v_mul_f64 v[119:120], v[6:7], v[24:25]
	v_mul_f64 v[24:25], v[8:9], v[24:25]
	s_waitcnt vmcnt(56)
	v_fma_f64 v[22:23], v[2:3], v[30:31], -v[22:23]
	ds_read_b128 v[10:13], v1 offset:1600
	v_fma_f64 v[30:31], v[4:5], v[30:31], v[123:124]
	v_add_f64 v[18:19], v[107:108], v[18:19]
	v_add_f64 v[14:15], v[14:15], v[28:29]
	s_clause 0x4
	buffer_load_dword v29, off, s[0:3], 0 offset:908
	buffer_load_dword v107, off, s[0:3], 0 offset:920
	;; [unrolled: 1-line block ×5, first 2 shown]
	ds_read_b128 v[2:5], v1 offset:1616
	s_waitcnt vmcnt(57) lgkmcnt(1)
	v_mul_f64 v[125:126], v[10:11], v[32:33]
	v_mul_f64 v[32:33], v[12:13], v[32:33]
	s_waitcnt vmcnt(56)
	v_fma_f64 v[24:25], v[6:7], v[26:27], -v[24:25]
	v_add_f64 v[18:19], v[18:19], v[22:23]
	v_fma_f64 v[22:23], v[8:9], v[26:27], v[119:120]
	v_add_f64 v[14:15], v[14:15], v[30:31]
	s_clause 0x2
	buffer_load_dword v108, off, s[0:3], 0 offset:924
	buffer_load_dword v27, off, s[0:3], 0 offset:900
	buffer_load_dword v26, off, s[0:3], 0 offset:896
	s_waitcnt vmcnt(58) lgkmcnt(0)
	v_mul_f64 v[30:31], v[2:3], v[34:35]
	v_mul_f64 v[34:35], v[4:5], v[34:35]
	s_waitcnt vmcnt(56)
	v_fma_f64 v[32:33], v[10:11], v[38:39], -v[32:33]
	ds_read_b128 v[6:9], v1 offset:1632
	v_add_f64 v[18:19], v[18:19], v[24:25]
	v_fma_f64 v[24:25], v[12:13], v[38:39], v[125:126]
	v_add_f64 v[14:15], v[14:15], v[22:23]
	s_clause 0x4
	buffer_load_dword v23, off, s[0:3], 0 offset:940
	buffer_load_dword v38, off, s[0:3], 0 offset:952
	;; [unrolled: 1-line block ×5, first 2 shown]
	ds_read_b128 v[10:13], v1 offset:1648
	s_waitcnt vmcnt(57) lgkmcnt(1)
	v_mul_f64 v[120:121], v[6:7], v[40:41]
	v_mul_f64 v[40:41], v[8:9], v[40:41]
	s_waitcnt vmcnt(56)
	v_fma_f64 v[34:35], v[2:3], v[36:37], -v[34:35]
	v_fma_f64 v[30:31], v[4:5], v[36:37], v[30:31]
	v_add_f64 v[18:19], v[18:19], v[32:33]
	v_add_f64 v[14:15], v[14:15], v[24:25]
	s_clause 0x2
	buffer_load_dword v39, off, s[0:3], 0 offset:956
	buffer_load_dword v25, off, s[0:3], 0 offset:932
	;; [unrolled: 1-line block ×3, first 2 shown]
	s_waitcnt vmcnt(58) lgkmcnt(0)
	v_mul_f64 v[36:37], v[12:13], v[42:43]
	ds_read_b128 v[2:5], v1 offset:1664
	s_waitcnt vmcnt(56)
	v_fma_f64 v[40:41], v[6:7], v[46:47], -v[40:41]
	v_mul_f64 v[32:33], v[10:11], v[42:43]
	v_add_f64 v[18:19], v[18:19], v[34:35]
	v_fma_f64 v[34:35], v[8:9], v[46:47], v[120:121]
	v_add_f64 v[14:15], v[14:15], v[30:31]
	buffer_load_dword v120, off, s[0:3], 0 offset:948
	ds_read_b128 v[6:9], v1 offset:1680
	s_waitcnt vmcnt(53) lgkmcnt(1)
	v_mul_f64 v[42:43], v[4:5], v[48:49]
	s_waitcnt vmcnt(52)
	v_fma_f64 v[36:37], v[10:11], v[44:45], -v[36:37]
	v_mul_f64 v[30:31], v[2:3], v[48:49]
	v_fma_f64 v[32:33], v[12:13], v[44:45], v[32:33]
	ds_read_b128 v[10:13], v1 offset:1696
	v_add_f64 v[18:19], v[18:19], v[40:41]
	v_add_f64 v[14:15], v[14:15], v[34:35]
	s_waitcnt vmcnt(51) lgkmcnt(1)
	v_mul_f64 v[40:41], v[8:9], v[50:51]
	v_mul_f64 v[34:35], v[6:7], v[50:51]
	s_waitcnt vmcnt(49)
	v_fma_f64 v[42:43], v[2:3], v[54:55], -v[42:43]
	v_fma_f64 v[30:31], v[4:5], v[54:55], v[30:31]
	s_waitcnt vmcnt(45) lgkmcnt(0)
	v_mul_f64 v[46:47], v[12:13], v[56:57]
	v_mul_f64 v[44:45], v[10:11], v[56:57]
	v_add_f64 v[18:19], v[18:19], v[36:37]
	v_add_f64 v[14:15], v[14:15], v[32:33]
	s_clause 0x3
	buffer_load_dword v32, off, s[0:3], 0 offset:576
	buffer_load_dword v33, off, s[0:3], 0 offset:580
	;; [unrolled: 1-line block ×4, first 2 shown]
	s_waitcnt vmcnt(48)
	v_fma_f64 v[40:41], v[6:7], v[52:53], -v[40:41]
	ds_read_b128 v[2:5], v1 offset:1712
	v_fma_f64 v[34:35], v[8:9], v[52:53], v[34:35]
	ds_read_b128 v[6:9], v1 offset:1728
	s_waitcnt vmcnt(45)
	v_fma_f64 v[46:47], v[10:11], v[62:63], -v[46:47]
	v_add_f64 v[18:19], v[18:19], v[42:43]
	v_add_f64 v[14:15], v[14:15], v[30:31]
	s_waitcnt lgkmcnt(1)
	v_mul_f64 v[42:43], v[4:5], v[58:59]
	v_mul_f64 v[30:31], v[2:3], v[58:59]
	v_add_f64 v[18:19], v[18:19], v[40:41]
	v_fma_f64 v[40:41], v[12:13], v[62:63], v[44:45]
	v_add_f64 v[14:15], v[14:15], v[34:35]
	s_waitcnt vmcnt(41) lgkmcnt(0)
	v_mul_f64 v[44:45], v[8:9], v[64:65]
	s_waitcnt vmcnt(40)
	v_fma_f64 v[42:43], v[2:3], v[60:61], -v[42:43]
	ds_read_b128 v[10:13], v1 offset:1744
	v_mul_f64 v[34:35], v[6:7], v[64:65]
	v_fma_f64 v[30:31], v[4:5], v[60:61], v[30:31]
	ds_read_b128 v[2:5], v1 offset:1760
	v_add_f64 v[18:19], v[18:19], v[46:47]
	v_add_f64 v[14:15], v[14:15], v[40:41]
	s_waitcnt vmcnt(39) lgkmcnt(1)
	v_mul_f64 v[46:47], v[12:13], v[66:67]
	s_waitcnt vmcnt(37)
	v_fma_f64 v[44:45], v[6:7], v[105:106], -v[44:45]
	v_mul_f64 v[40:41], v[10:11], v[66:67]
	v_fma_f64 v[34:35], v[8:9], v[105:106], v[34:35]
	ds_read_b128 v[6:9], v1 offset:1776
	v_add_f64 v[18:19], v[18:19], v[42:43]
	s_waitcnt vmcnt(33) lgkmcnt(1)
	v_mul_f64 v[42:43], v[4:5], v[111:112]
	v_add_f64 v[14:15], v[14:15], v[30:31]
	s_waitcnt vmcnt(32)
	v_fma_f64 v[46:47], v[10:11], v[70:71], -v[46:47]
	v_mul_f64 v[30:31], v[2:3], v[111:112]
	v_fma_f64 v[40:41], v[12:13], v[70:71], v[40:41]
	ds_read_b128 v[10:13], v1 offset:1792
	v_add_f64 v[18:19], v[18:19], v[44:45]
	v_add_f64 v[14:15], v[14:15], v[34:35]
	s_waitcnt vmcnt(31) lgkmcnt(1)
	v_mul_f64 v[44:45], v[8:9], v[113:114]
	v_mul_f64 v[34:35], v[6:7], v[113:114]
	s_waitcnt vmcnt(29)
	v_fma_f64 v[42:43], v[2:3], v[109:110], -v[42:43]
	v_fma_f64 v[30:31], v[4:5], v[109:110], v[30:31]
	ds_read_b128 v[2:5], v1 offset:1808
	v_add_f64 v[18:19], v[18:19], v[46:47]
	v_add_f64 v[14:15], v[14:15], v[40:41]
	s_waitcnt vmcnt(25) lgkmcnt(1)
	v_mul_f64 v[40:41], v[10:11], v[20:21]
	v_mul_f64 v[20:21], v[12:13], v[20:21]
	s_waitcnt vmcnt(24)
	v_fma_f64 v[44:45], v[6:7], v[115:116], -v[44:45]
	;; [unrolled: 9-line block ×4, first 2 shown]
	v_add_f64 v[18:19], v[18:19], v[20:21]
	v_fma_f64 v[20:21], v[4:5], v[122:123], v[30:31]
	v_add_f64 v[14:15], v[14:15], v[16:17]
	ds_read_b128 v[2:5], v1 offset:1856
	s_waitcnt vmcnt(15) lgkmcnt(1)
	v_mul_f64 v[30:31], v[12:13], v[107:108]
	v_mul_f64 v[16:17], v[10:11], v[107:108]
	s_waitcnt vmcnt(13)
	v_fma_f64 v[28:29], v[6:7], v[26:27], -v[28:29]
	v_fma_f64 v[26:27], v[8:9], v[26:27], v[34:35]
	ds_read_b128 v[6:9], v1 offset:1872
	v_add_f64 v[18:19], v[18:19], v[40:41]
	v_add_f64 v[14:15], v[14:15], v[20:21]
	s_waitcnt vmcnt(9) lgkmcnt(1)
	v_mul_f64 v[20:21], v[2:3], v[22:23]
	v_mul_f64 v[22:23], v[4:5], v[22:23]
	s_waitcnt vmcnt(8)
	v_fma_f64 v[10:11], v[10:11], v[124:125], -v[30:31]
	v_fma_f64 v[12:13], v[12:13], v[124:125], v[16:17]
	v_add_f64 v[18:19], v[18:19], v[28:29]
	v_add_f64 v[14:15], v[14:15], v[26:27]
	s_waitcnt vmcnt(7) lgkmcnt(0)
	v_mul_f64 v[26:27], v[8:9], v[38:39]
	v_mul_f64 v[16:17], v[6:7], v[38:39]
	s_waitcnt vmcnt(5)
	v_fma_f64 v[2:3], v[2:3], v[24:25], -v[22:23]
	v_fma_f64 v[4:5], v[4:5], v[24:25], v[20:21]
	v_add_f64 v[10:11], v[18:19], v[10:11]
	v_add_f64 v[12:13], v[14:15], v[12:13]
	s_waitcnt vmcnt(4)
	v_fma_f64 v[6:7], v[6:7], v[119:120], -v[26:27]
	v_fma_f64 v[8:9], v[8:9], v[119:120], v[16:17]
	v_add_f64 v[2:3], v[10:11], v[2:3]
	v_add_f64 v[4:5], v[12:13], v[4:5]
	;; [unrolled: 1-line block ×4, first 2 shown]
	s_waitcnt vmcnt(2)
	v_add_f64 v[2:3], v[32:33], -v[2:3]
	s_waitcnt vmcnt(0)
	v_add_f64 v[4:5], v[36:37], -v[4:5]
	buffer_store_dword v3, off, s[0:3], 0 offset:580
	buffer_store_dword v2, off, s[0:3], 0 offset:576
	;; [unrolled: 1-line block ×4, first 2 shown]
	v_cmpx_lt_u32_e32 34, v0
	s_cbranch_execz .LBB58_299
; %bb.298:
	v_mov_b32_e32 v5, s37
	s_clause 0x3
	buffer_load_dword v2, v5, s[0:3], 0 offen
	buffer_load_dword v3, v5, s[0:3], 0 offen offset:4
	buffer_load_dword v4, v5, s[0:3], 0 offen offset:8
	;; [unrolled: 1-line block ×3, first 2 shown]
	buffer_store_dword v1, off, s[0:3], 0 offset:560
	buffer_store_dword v1, off, s[0:3], 0 offset:564
	;; [unrolled: 1-line block ×4, first 2 shown]
	s_waitcnt vmcnt(0)
	ds_write_b128 v69, v[2:5]
.LBB58_299:
	s_or_b32 exec_lo, exec_lo, s4
	s_waitcnt lgkmcnt(0)
	s_waitcnt_vscnt null, 0x0
	s_barrier
	buffer_gl0_inv
	s_clause 0x37
	buffer_load_dword v10, off, s[0:3], 0 offset:584
	buffer_load_dword v11, off, s[0:3], 0 offset:588
	;; [unrolled: 1-line block ×56, first 2 shown]
	ds_read_b128 v[2:5], v1 offset:1504
	s_clause 0x2
	buffer_load_dword v67, off, s[0:3], 0 offset:812
	buffer_load_dword v106, off, s[0:3], 0 offset:788
	;; [unrolled: 1-line block ×3, first 2 shown]
	ds_read_b128 v[6:9], v1 offset:1520
	s_clause 0x4
	buffer_load_dword v112, off, s[0:3], 0 offset:828
	buffer_load_dword v113, off, s[0:3], 0 offset:840
	;; [unrolled: 1-line block ×5, first 2 shown]
	s_mov_b32 s4, exec_lo
	s_waitcnt vmcnt(62) lgkmcnt(1)
	v_mul_f64 v[107:108], v[4:5], v[10:11]
	v_mul_f64 v[109:110], v[2:3], v[10:11]
	s_waitcnt vmcnt(60) lgkmcnt(0)
	v_mul_f64 v[116:117], v[8:9], v[14:15]
	ds_read_b128 v[10:13], v1 offset:1536
	v_mul_f64 v[14:15], v[6:7], v[14:15]
	s_waitcnt vmcnt(58)
	v_fma_f64 v[107:108], v[2:3], v[16:17], -v[107:108]
	v_fma_f64 v[16:17], v[4:5], v[16:17], v[109:110]
	s_clause 0x2
	buffer_load_dword v114, off, s[0:3], 0 offset:844
	buffer_load_dword v110, off, s[0:3], 0 offset:820
	;; [unrolled: 1-line block ×3, first 2 shown]
	s_waitcnt vmcnt(59) lgkmcnt(0)
	v_mul_f64 v[118:119], v[10:11], v[18:19]
	v_mul_f64 v[18:19], v[12:13], v[18:19]
	s_waitcnt vmcnt(57)
	v_fma_f64 v[120:121], v[6:7], v[20:21], -v[116:117]
	ds_read_b128 v[2:5], v1 offset:1552
	v_fma_f64 v[14:15], v[8:9], v[20:21], v[14:15]
	s_clause 0x4
	buffer_load_dword v21, off, s[0:3], 0 offset:860
	buffer_load_dword v117, off, s[0:3], 0 offset:872
	;; [unrolled: 1-line block ×5, first 2 shown]
	ds_read_b128 v[6:9], v1 offset:1568
	v_add_f64 v[107:108], v[107:108], 0
	v_add_f64 v[16:17], v[16:17], 0
	s_waitcnt vmcnt(58) lgkmcnt(1)
	v_mul_f64 v[123:124], v[2:3], v[22:23]
	v_mul_f64 v[22:23], v[4:5], v[22:23]
	s_waitcnt vmcnt(56)
	v_fma_f64 v[18:19], v[10:11], v[28:29], -v[18:19]
	v_fma_f64 v[28:29], v[12:13], v[28:29], v[118:119]
	v_add_f64 v[107:108], v[107:108], v[120:121]
	v_add_f64 v[14:15], v[16:17], v[14:15]
	s_clause 0x2
	buffer_load_dword v118, off, s[0:3], 0 offset:876
	buffer_load_dword v17, off, s[0:3], 0 offset:852
	;; [unrolled: 1-line block ×3, first 2 shown]
	s_waitcnt vmcnt(58) lgkmcnt(0)
	v_mul_f64 v[119:120], v[6:7], v[24:25]
	v_mul_f64 v[24:25], v[8:9], v[24:25]
	s_waitcnt vmcnt(56)
	v_fma_f64 v[22:23], v[2:3], v[30:31], -v[22:23]
	ds_read_b128 v[10:13], v1 offset:1584
	v_fma_f64 v[30:31], v[4:5], v[30:31], v[123:124]
	v_add_f64 v[18:19], v[107:108], v[18:19]
	v_add_f64 v[14:15], v[14:15], v[28:29]
	s_clause 0x4
	buffer_load_dword v29, off, s[0:3], 0 offset:892
	buffer_load_dword v107, off, s[0:3], 0 offset:904
	;; [unrolled: 1-line block ×5, first 2 shown]
	ds_read_b128 v[2:5], v1 offset:1600
	s_waitcnt vmcnt(57) lgkmcnt(1)
	v_mul_f64 v[125:126], v[10:11], v[32:33]
	v_mul_f64 v[32:33], v[12:13], v[32:33]
	s_waitcnt vmcnt(56)
	v_fma_f64 v[24:25], v[6:7], v[26:27], -v[24:25]
	v_add_f64 v[18:19], v[18:19], v[22:23]
	v_fma_f64 v[22:23], v[8:9], v[26:27], v[119:120]
	v_add_f64 v[14:15], v[14:15], v[30:31]
	s_clause 0x2
	buffer_load_dword v108, off, s[0:3], 0 offset:908
	buffer_load_dword v27, off, s[0:3], 0 offset:884
	;; [unrolled: 1-line block ×3, first 2 shown]
	s_waitcnt vmcnt(58) lgkmcnt(0)
	v_mul_f64 v[30:31], v[2:3], v[34:35]
	v_mul_f64 v[34:35], v[4:5], v[34:35]
	s_waitcnt vmcnt(56)
	v_fma_f64 v[32:33], v[10:11], v[38:39], -v[32:33]
	ds_read_b128 v[6:9], v1 offset:1616
	v_add_f64 v[18:19], v[18:19], v[24:25]
	v_fma_f64 v[24:25], v[12:13], v[38:39], v[125:126]
	v_add_f64 v[14:15], v[14:15], v[22:23]
	s_clause 0x4
	buffer_load_dword v23, off, s[0:3], 0 offset:924
	buffer_load_dword v38, off, s[0:3], 0 offset:936
	;; [unrolled: 1-line block ×5, first 2 shown]
	ds_read_b128 v[10:13], v1 offset:1632
	s_waitcnt vmcnt(57) lgkmcnt(1)
	v_mul_f64 v[120:121], v[6:7], v[40:41]
	v_mul_f64 v[40:41], v[8:9], v[40:41]
	s_waitcnt vmcnt(56)
	v_fma_f64 v[34:35], v[2:3], v[36:37], -v[34:35]
	v_fma_f64 v[30:31], v[4:5], v[36:37], v[30:31]
	v_add_f64 v[18:19], v[18:19], v[32:33]
	v_add_f64 v[14:15], v[14:15], v[24:25]
	s_clause 0x2
	buffer_load_dword v39, off, s[0:3], 0 offset:940
	buffer_load_dword v25, off, s[0:3], 0 offset:916
	;; [unrolled: 1-line block ×3, first 2 shown]
	s_waitcnt vmcnt(58) lgkmcnt(0)
	v_mul_f64 v[36:37], v[12:13], v[42:43]
	ds_read_b128 v[2:5], v1 offset:1648
	s_waitcnt vmcnt(56)
	v_fma_f64 v[40:41], v[6:7], v[46:47], -v[40:41]
	v_mul_f64 v[32:33], v[10:11], v[42:43]
	v_add_f64 v[18:19], v[18:19], v[34:35]
	v_fma_f64 v[34:35], v[8:9], v[46:47], v[120:121]
	v_add_f64 v[14:15], v[14:15], v[30:31]
	s_clause 0x2
	buffer_load_dword v31, off, s[0:3], 0 offset:956
	buffer_load_dword v30, off, s[0:3], 0 offset:952
	;; [unrolled: 1-line block ×3, first 2 shown]
	s_waitcnt vmcnt(55) lgkmcnt(0)
	v_mul_f64 v[46:47], v[4:5], v[48:49]
	s_waitcnt vmcnt(54)
	v_fma_f64 v[36:37], v[10:11], v[44:45], -v[36:37]
	ds_read_b128 v[6:9], v1 offset:1664
	v_mul_f64 v[42:43], v[2:3], v[48:49]
	v_fma_f64 v[32:33], v[12:13], v[44:45], v[32:33]
	v_add_f64 v[18:19], v[18:19], v[40:41]
	v_add_f64 v[14:15], v[14:15], v[34:35]
	s_clause 0x1
	buffer_load_dword v35, off, s[0:3], 0 offset:948
	buffer_load_dword v34, off, s[0:3], 0 offset:944
	s_waitcnt vmcnt(55) lgkmcnt(0)
	v_mul_f64 v[44:45], v[8:9], v[50:51]
	s_waitcnt vmcnt(53)
	v_fma_f64 v[46:47], v[2:3], v[54:55], -v[46:47]
	ds_read_b128 v[10:13], v1 offset:1680
	v_mul_f64 v[40:41], v[6:7], v[50:51]
	v_add_f64 v[18:19], v[18:19], v[36:37]
	v_fma_f64 v[36:37], v[4:5], v[54:55], v[42:43]
	v_add_f64 v[14:15], v[14:15], v[32:33]
	ds_read_b128 v[2:5], v1 offset:1696
	s_waitcnt vmcnt(49) lgkmcnt(1)
	v_mul_f64 v[42:43], v[12:13], v[56:57]
	s_waitcnt vmcnt(48)
	v_fma_f64 v[44:45], v[6:7], v[52:53], -v[44:45]
	v_mul_f64 v[32:33], v[10:11], v[56:57]
	v_fma_f64 v[40:41], v[8:9], v[52:53], v[40:41]
	v_add_f64 v[18:19], v[18:19], v[46:47]
	s_waitcnt vmcnt(47) lgkmcnt(0)
	v_mul_f64 v[50:51], v[4:5], v[58:59]
	v_add_f64 v[14:15], v[14:15], v[36:37]
	s_clause 0x3
	buffer_load_dword v36, off, s[0:3], 0 offset:560
	buffer_load_dword v37, off, s[0:3], 0 offset:564
	;; [unrolled: 1-line block ×4, first 2 shown]
	s_waitcnt vmcnt(49)
	v_fma_f64 v[42:43], v[10:11], v[62:63], -v[42:43]
	ds_read_b128 v[6:9], v1 offset:1712
	v_mul_f64 v[48:49], v[2:3], v[58:59]
	v_fma_f64 v[32:33], v[12:13], v[62:63], v[32:33]
	ds_read_b128 v[10:13], v1 offset:1728
	v_add_f64 v[18:19], v[18:19], v[44:45]
	s_waitcnt vmcnt(44)
	v_fma_f64 v[50:51], v[2:3], v[60:61], -v[50:51]
	v_add_f64 v[14:15], v[14:15], v[40:41]
	s_waitcnt lgkmcnt(1)
	v_mul_f64 v[44:45], v[8:9], v[64:65]
	v_mul_f64 v[40:41], v[6:7], v[64:65]
	v_add_f64 v[18:19], v[18:19], v[42:43]
	v_fma_f64 v[42:43], v[4:5], v[60:61], v[48:49]
	v_add_f64 v[14:15], v[14:15], v[32:33]
	s_waitcnt vmcnt(43) lgkmcnt(0)
	v_mul_f64 v[48:49], v[12:13], v[66:67]
	s_waitcnt vmcnt(41)
	v_fma_f64 v[44:45], v[6:7], v[105:106], -v[44:45]
	ds_read_b128 v[2:5], v1 offset:1744
	v_mul_f64 v[32:33], v[10:11], v[66:67]
	v_fma_f64 v[40:41], v[8:9], v[105:106], v[40:41]
	ds_read_b128 v[6:9], v1 offset:1760
	v_add_f64 v[18:19], v[18:19], v[50:51]
	v_add_f64 v[14:15], v[14:15], v[42:43]
	s_waitcnt vmcnt(37) lgkmcnt(1)
	v_mul_f64 v[50:51], v[4:5], v[111:112]
	s_waitcnt vmcnt(36)
	v_fma_f64 v[48:49], v[10:11], v[70:71], -v[48:49]
	v_mul_f64 v[42:43], v[2:3], v[111:112]
	v_fma_f64 v[32:33], v[12:13], v[70:71], v[32:33]
	ds_read_b128 v[10:13], v1 offset:1776
	v_add_f64 v[18:19], v[18:19], v[44:45]
	v_add_f64 v[14:15], v[14:15], v[40:41]
	s_waitcnt vmcnt(35) lgkmcnt(1)
	v_mul_f64 v[44:45], v[8:9], v[113:114]
	v_mul_f64 v[40:41], v[6:7], v[113:114]
	s_waitcnt vmcnt(33)
	v_fma_f64 v[50:51], v[2:3], v[109:110], -v[50:51]
	v_fma_f64 v[42:43], v[4:5], v[109:110], v[42:43]
	ds_read_b128 v[2:5], v1 offset:1792
	v_add_f64 v[18:19], v[18:19], v[48:49]
	v_add_f64 v[14:15], v[14:15], v[32:33]
	s_waitcnt vmcnt(29) lgkmcnt(1)
	v_mul_f64 v[32:33], v[10:11], v[20:21]
	v_mul_f64 v[20:21], v[12:13], v[20:21]
	s_waitcnt vmcnt(28)
	v_fma_f64 v[44:45], v[6:7], v[115:116], -v[44:45]
	;; [unrolled: 9-line block ×4, first 2 shown]
	v_add_f64 v[18:19], v[18:19], v[20:21]
	v_fma_f64 v[20:21], v[4:5], v[122:123], v[42:43]
	v_add_f64 v[14:15], v[14:15], v[16:17]
	ds_read_b128 v[2:5], v1 offset:1840
	s_waitcnt vmcnt(19) lgkmcnt(1)
	v_mul_f64 v[42:43], v[12:13], v[107:108]
	v_mul_f64 v[16:17], v[10:11], v[107:108]
	s_waitcnt vmcnt(17)
	v_fma_f64 v[28:29], v[6:7], v[26:27], -v[28:29]
	v_fma_f64 v[26:27], v[8:9], v[26:27], v[32:33]
	ds_read_b128 v[6:9], v1 offset:1856
	v_add_f64 v[18:19], v[18:19], v[40:41]
	v_add_f64 v[14:15], v[14:15], v[20:21]
	s_waitcnt vmcnt(13) lgkmcnt(1)
	v_mul_f64 v[20:21], v[2:3], v[22:23]
	v_mul_f64 v[22:23], v[4:5], v[22:23]
	s_waitcnt vmcnt(12)
	v_fma_f64 v[32:33], v[10:11], v[124:125], -v[42:43]
	v_fma_f64 v[16:17], v[12:13], v[124:125], v[16:17]
	ds_read_b128 v[10:13], v1 offset:1872
	v_add_f64 v[18:19], v[18:19], v[28:29]
	v_add_f64 v[14:15], v[14:15], v[26:27]
	s_waitcnt vmcnt(11) lgkmcnt(1)
	v_mul_f64 v[28:29], v[8:9], v[38:39]
	v_mul_f64 v[26:27], v[6:7], v[38:39]
	s_waitcnt vmcnt(9)
	v_fma_f64 v[1:2], v[2:3], v[24:25], -v[22:23]
	v_fma_f64 v[3:4], v[4:5], v[24:25], v[20:21]
	v_add_f64 v[18:19], v[18:19], v[32:33]
	v_add_f64 v[14:15], v[14:15], v[16:17]
	s_waitcnt vmcnt(7) lgkmcnt(0)
	v_mul_f64 v[20:21], v[12:13], v[30:31]
	s_waitcnt vmcnt(6)
	v_fma_f64 v[5:6], v[6:7], v[119:120], -v[28:29]
	v_mul_f64 v[16:17], v[10:11], v[30:31]
	v_fma_f64 v[7:8], v[8:9], v[119:120], v[26:27]
	v_add_f64 v[1:2], v[18:19], v[1:2]
	v_add_f64 v[3:4], v[14:15], v[3:4]
	s_waitcnt vmcnt(4)
	v_fma_f64 v[9:10], v[10:11], v[34:35], -v[20:21]
	v_add_f64 v[1:2], v[1:2], v[5:6]
	v_fma_f64 v[5:6], v[12:13], v[34:35], v[16:17]
	v_add_f64 v[3:4], v[3:4], v[7:8]
	v_add_f64 v[1:2], v[1:2], v[9:10]
	v_add_f64 v[3:4], v[3:4], v[5:6]
	s_waitcnt vmcnt(2)
	v_add_f64 v[1:2], v[36:37], -v[1:2]
	s_waitcnt vmcnt(0)
	v_add_f64 v[3:4], v[46:47], -v[3:4]
	buffer_store_dword v2, off, s[0:3], 0 offset:564
	buffer_store_dword v1, off, s[0:3], 0 offset:560
	;; [unrolled: 1-line block ×4, first 2 shown]
	v_cmpx_lt_u32_e32 33, v0
	s_cbranch_execz .LBB58_301
; %bb.300:
	v_mov_b32_e32 v4, s38
	v_mov_b32_e32 v5, 0
	s_clause 0x3
	buffer_load_dword v1, v4, s[0:3], 0 offen
	buffer_load_dword v2, v4, s[0:3], 0 offen offset:4
	buffer_load_dword v3, v4, s[0:3], 0 offen offset:8
	;; [unrolled: 1-line block ×3, first 2 shown]
	buffer_store_dword v5, off, s[0:3], 0 offset:544
	buffer_store_dword v5, off, s[0:3], 0 offset:548
	;; [unrolled: 1-line block ×4, first 2 shown]
	s_waitcnt vmcnt(0)
	ds_write_b128 v69, v[1:4]
.LBB58_301:
	s_or_b32 exec_lo, exec_lo, s4
	s_waitcnt lgkmcnt(0)
	s_waitcnt_vscnt null, 0x0
	s_barrier
	buffer_gl0_inv
	s_clause 0x37
	buffer_load_dword v10, off, s[0:3], 0 offset:568
	buffer_load_dword v11, off, s[0:3], 0 offset:572
	;; [unrolled: 1-line block ×56, first 2 shown]
	v_mov_b32_e32 v1, 0
	s_mov_b32 s4, exec_lo
	ds_read_b128 v[2:5], v1 offset:1488
	s_clause 0x2
	buffer_load_dword v67, off, s[0:3], 0 offset:796
	buffer_load_dword v106, off, s[0:3], 0 offset:772
	;; [unrolled: 1-line block ×3, first 2 shown]
	ds_read_b128 v[6:9], v1 offset:1504
	s_clause 0x4
	buffer_load_dword v112, off, s[0:3], 0 offset:812
	buffer_load_dword v113, off, s[0:3], 0 offset:824
	buffer_load_dword v115, off, s[0:3], 0 offset:816
	buffer_load_dword v111, off, s[0:3], 0 offset:808
	buffer_load_dword v71, off, s[0:3], 0 offset:788
	s_waitcnt vmcnt(62) lgkmcnt(1)
	v_mul_f64 v[107:108], v[4:5], v[10:11]
	v_mul_f64 v[109:110], v[2:3], v[10:11]
	s_waitcnt vmcnt(60) lgkmcnt(0)
	v_mul_f64 v[116:117], v[8:9], v[14:15]
	ds_read_b128 v[10:13], v1 offset:1520
	v_mul_f64 v[14:15], v[6:7], v[14:15]
	s_waitcnt vmcnt(58)
	v_fma_f64 v[107:108], v[2:3], v[16:17], -v[107:108]
	v_fma_f64 v[16:17], v[4:5], v[16:17], v[109:110]
	s_clause 0x2
	buffer_load_dword v114, off, s[0:3], 0 offset:828
	buffer_load_dword v110, off, s[0:3], 0 offset:804
	;; [unrolled: 1-line block ×3, first 2 shown]
	s_waitcnt vmcnt(59) lgkmcnt(0)
	v_mul_f64 v[118:119], v[10:11], v[18:19]
	v_mul_f64 v[18:19], v[12:13], v[18:19]
	s_waitcnt vmcnt(57)
	v_fma_f64 v[120:121], v[6:7], v[20:21], -v[116:117]
	ds_read_b128 v[2:5], v1 offset:1536
	v_fma_f64 v[14:15], v[8:9], v[20:21], v[14:15]
	s_clause 0x4
	buffer_load_dword v21, off, s[0:3], 0 offset:844
	buffer_load_dword v117, off, s[0:3], 0 offset:856
	buffer_load_dword v122, off, s[0:3], 0 offset:848
	buffer_load_dword v20, off, s[0:3], 0 offset:840
	buffer_load_dword v116, off, s[0:3], 0 offset:820
	ds_read_b128 v[6:9], v1 offset:1552
	v_add_f64 v[107:108], v[107:108], 0
	v_add_f64 v[16:17], v[16:17], 0
	s_waitcnt vmcnt(58) lgkmcnt(1)
	v_mul_f64 v[123:124], v[2:3], v[22:23]
	v_mul_f64 v[22:23], v[4:5], v[22:23]
	s_waitcnt vmcnt(56)
	v_fma_f64 v[18:19], v[10:11], v[28:29], -v[18:19]
	v_fma_f64 v[28:29], v[12:13], v[28:29], v[118:119]
	v_add_f64 v[107:108], v[107:108], v[120:121]
	v_add_f64 v[14:15], v[16:17], v[14:15]
	s_clause 0x2
	buffer_load_dword v118, off, s[0:3], 0 offset:860
	buffer_load_dword v17, off, s[0:3], 0 offset:836
	;; [unrolled: 1-line block ×3, first 2 shown]
	s_waitcnt vmcnt(58) lgkmcnt(0)
	v_mul_f64 v[119:120], v[6:7], v[24:25]
	v_mul_f64 v[24:25], v[8:9], v[24:25]
	s_waitcnt vmcnt(56)
	v_fma_f64 v[22:23], v[2:3], v[30:31], -v[22:23]
	ds_read_b128 v[10:13], v1 offset:1568
	v_fma_f64 v[30:31], v[4:5], v[30:31], v[123:124]
	v_add_f64 v[18:19], v[107:108], v[18:19]
	v_add_f64 v[14:15], v[14:15], v[28:29]
	s_clause 0x4
	buffer_load_dword v29, off, s[0:3], 0 offset:876
	buffer_load_dword v107, off, s[0:3], 0 offset:888
	buffer_load_dword v124, off, s[0:3], 0 offset:880
	buffer_load_dword v28, off, s[0:3], 0 offset:872
	buffer_load_dword v123, off, s[0:3], 0 offset:852
	ds_read_b128 v[2:5], v1 offset:1584
	s_waitcnt vmcnt(57) lgkmcnt(1)
	v_mul_f64 v[125:126], v[10:11], v[32:33]
	v_mul_f64 v[32:33], v[12:13], v[32:33]
	s_waitcnt vmcnt(56)
	v_fma_f64 v[24:25], v[6:7], v[26:27], -v[24:25]
	v_add_f64 v[18:19], v[18:19], v[22:23]
	v_fma_f64 v[22:23], v[8:9], v[26:27], v[119:120]
	v_add_f64 v[14:15], v[14:15], v[30:31]
	s_clause 0x2
	buffer_load_dword v108, off, s[0:3], 0 offset:892
	buffer_load_dword v27, off, s[0:3], 0 offset:868
	;; [unrolled: 1-line block ×3, first 2 shown]
	s_waitcnt vmcnt(58) lgkmcnt(0)
	v_mul_f64 v[30:31], v[2:3], v[34:35]
	v_mul_f64 v[34:35], v[4:5], v[34:35]
	s_waitcnt vmcnt(56)
	v_fma_f64 v[32:33], v[10:11], v[38:39], -v[32:33]
	ds_read_b128 v[6:9], v1 offset:1600
	v_add_f64 v[18:19], v[18:19], v[24:25]
	v_fma_f64 v[24:25], v[12:13], v[38:39], v[125:126]
	v_add_f64 v[14:15], v[14:15], v[22:23]
	s_clause 0x4
	buffer_load_dword v23, off, s[0:3], 0 offset:908
	buffer_load_dword v38, off, s[0:3], 0 offset:920
	;; [unrolled: 1-line block ×5, first 2 shown]
	ds_read_b128 v[10:13], v1 offset:1616
	s_waitcnt vmcnt(57) lgkmcnt(1)
	v_mul_f64 v[120:121], v[6:7], v[40:41]
	v_mul_f64 v[40:41], v[8:9], v[40:41]
	s_waitcnt vmcnt(56)
	v_fma_f64 v[34:35], v[2:3], v[36:37], -v[34:35]
	v_fma_f64 v[30:31], v[4:5], v[36:37], v[30:31]
	v_add_f64 v[18:19], v[18:19], v[32:33]
	v_add_f64 v[14:15], v[14:15], v[24:25]
	s_clause 0x2
	buffer_load_dword v39, off, s[0:3], 0 offset:924
	buffer_load_dword v25, off, s[0:3], 0 offset:900
	;; [unrolled: 1-line block ×3, first 2 shown]
	s_waitcnt vmcnt(58) lgkmcnt(0)
	v_mul_f64 v[36:37], v[12:13], v[42:43]
	ds_read_b128 v[2:5], v1 offset:1632
	s_waitcnt vmcnt(56)
	v_fma_f64 v[40:41], v[6:7], v[46:47], -v[40:41]
	v_mul_f64 v[32:33], v[10:11], v[42:43]
	v_add_f64 v[18:19], v[18:19], v[34:35]
	v_fma_f64 v[34:35], v[8:9], v[46:47], v[120:121]
	v_add_f64 v[14:15], v[14:15], v[30:31]
	s_clause 0x4
	buffer_load_dword v31, off, s[0:3], 0 offset:940
	buffer_load_dword v42, off, s[0:3], 0 offset:952
	;; [unrolled: 1-line block ×5, first 2 shown]
	s_waitcnt vmcnt(57) lgkmcnt(0)
	v_mul_f64 v[126:127], v[2:3], v[48:49]
	v_mul_f64 v[47:48], v[4:5], v[48:49]
	s_waitcnt vmcnt(56)
	v_fma_f64 v[36:37], v[10:11], v[44:45], -v[36:37]
	ds_read_b128 v[6:9], v1 offset:1648
	v_fma_f64 v[32:33], v[12:13], v[44:45], v[32:33]
	v_add_f64 v[18:19], v[18:19], v[40:41]
	v_add_f64 v[14:15], v[14:15], v[34:35]
	s_clause 0x2
	buffer_load_dword v43, off, s[0:3], 0 offset:956
	buffer_load_dword v35, off, s[0:3], 0 offset:932
	;; [unrolled: 1-line block ×3, first 2 shown]
	ds_read_b128 v[10:13], v1 offset:1664
	s_waitcnt vmcnt(58) lgkmcnt(1)
	v_mul_f64 v[44:45], v[8:9], v[50:51]
	s_waitcnt vmcnt(56)
	v_fma_f64 v[48:49], v[2:3], v[54:55], -v[47:48]
	v_mul_f64 v[40:41], v[6:7], v[50:51]
	buffer_load_dword v47, off, s[0:3], 0 offset:948
	v_add_f64 v[18:19], v[18:19], v[36:37]
	v_fma_f64 v[36:37], v[4:5], v[54:55], v[126:127]
	v_add_f64 v[14:15], v[14:15], v[32:33]
	ds_read_b128 v[2:5], v1 offset:1680
	s_waitcnt vmcnt(53) lgkmcnt(1)
	v_mul_f64 v[50:51], v[12:13], v[56:57]
	s_waitcnt vmcnt(52)
	v_fma_f64 v[44:45], v[6:7], v[52:53], -v[44:45]
	v_mul_f64 v[32:33], v[10:11], v[56:57]
	v_fma_f64 v[40:41], v[8:9], v[52:53], v[40:41]
	ds_read_b128 v[6:9], v1 offset:1696
	v_add_f64 v[18:19], v[18:19], v[48:49]
	s_waitcnt vmcnt(51) lgkmcnt(1)
	v_mul_f64 v[48:49], v[4:5], v[58:59]
	v_add_f64 v[14:15], v[14:15], v[36:37]
	v_mul_f64 v[36:37], v[2:3], v[58:59]
	s_waitcnt vmcnt(49)
	v_fma_f64 v[50:51], v[10:11], v[62:63], -v[50:51]
	v_fma_f64 v[32:33], v[12:13], v[62:63], v[32:33]
	s_waitcnt vmcnt(45) lgkmcnt(0)
	v_mul_f64 v[54:55], v[8:9], v[64:65]
	v_mul_f64 v[52:53], v[6:7], v[64:65]
	v_add_f64 v[18:19], v[18:19], v[44:45]
	s_waitcnt vmcnt(44)
	v_fma_f64 v[48:49], v[2:3], v[60:61], -v[48:49]
	v_add_f64 v[14:15], v[14:15], v[40:41]
	s_clause 0x3
	buffer_load_dword v40, off, s[0:3], 0 offset:544
	buffer_load_dword v41, off, s[0:3], 0 offset:548
	;; [unrolled: 1-line block ×4, first 2 shown]
	ds_read_b128 v[10:13], v1 offset:1712
	v_fma_f64 v[36:37], v[4:5], v[60:61], v[36:37]
	ds_read_b128 v[2:5], v1 offset:1728
	s_waitcnt vmcnt(45)
	v_fma_f64 v[54:55], v[6:7], v[105:106], -v[54:55]
	v_add_f64 v[18:19], v[18:19], v[50:51]
	v_add_f64 v[14:15], v[14:15], v[32:33]
	s_waitcnt lgkmcnt(1)
	v_mul_f64 v[50:51], v[12:13], v[66:67]
	v_mul_f64 v[32:33], v[10:11], v[66:67]
	v_add_f64 v[18:19], v[18:19], v[48:49]
	v_fma_f64 v[48:49], v[8:9], v[105:106], v[52:53]
	v_add_f64 v[14:15], v[14:15], v[36:37]
	s_waitcnt vmcnt(41) lgkmcnt(0)
	v_mul_f64 v[52:53], v[4:5], v[111:112]
	s_waitcnt vmcnt(40)
	v_fma_f64 v[50:51], v[10:11], v[70:71], -v[50:51]
	ds_read_b128 v[6:9], v1 offset:1744
	v_mul_f64 v[36:37], v[2:3], v[111:112]
	v_fma_f64 v[32:33], v[12:13], v[70:71], v[32:33]
	ds_read_b128 v[10:13], v1 offset:1760
	v_add_f64 v[18:19], v[18:19], v[54:55]
	v_add_f64 v[14:15], v[14:15], v[48:49]
	s_waitcnt vmcnt(39) lgkmcnt(1)
	v_mul_f64 v[54:55], v[8:9], v[113:114]
	v_mul_f64 v[48:49], v[6:7], v[113:114]
	s_waitcnt vmcnt(37)
	v_fma_f64 v[52:53], v[2:3], v[109:110], -v[52:53]
	v_fma_f64 v[36:37], v[4:5], v[109:110], v[36:37]
	ds_read_b128 v[2:5], v1 offset:1776
	v_add_f64 v[18:19], v[18:19], v[50:51]
	v_add_f64 v[14:15], v[14:15], v[32:33]
	s_waitcnt vmcnt(33) lgkmcnt(1)
	v_mul_f64 v[32:33], v[10:11], v[20:21]
	v_mul_f64 v[20:21], v[12:13], v[20:21]
	s_waitcnt vmcnt(32)
	v_fma_f64 v[50:51], v[6:7], v[115:116], -v[54:55]
	;; [unrolled: 9-line block ×4, first 2 shown]
	v_add_f64 v[18:19], v[18:19], v[20:21]
	v_fma_f64 v[20:21], v[4:5], v[122:123], v[36:37]
	v_add_f64 v[14:15], v[14:15], v[16:17]
	ds_read_b128 v[2:5], v1 offset:1824
	s_waitcnt vmcnt(23) lgkmcnt(1)
	v_mul_f64 v[36:37], v[12:13], v[107:108]
	v_mul_f64 v[16:17], v[10:11], v[107:108]
	s_waitcnt vmcnt(21)
	v_fma_f64 v[28:29], v[6:7], v[26:27], -v[28:29]
	v_fma_f64 v[26:27], v[8:9], v[26:27], v[32:33]
	ds_read_b128 v[6:9], v1 offset:1840
	v_add_f64 v[18:19], v[18:19], v[48:49]
	v_add_f64 v[14:15], v[14:15], v[20:21]
	s_waitcnt vmcnt(17) lgkmcnt(1)
	v_mul_f64 v[20:21], v[2:3], v[22:23]
	v_mul_f64 v[22:23], v[4:5], v[22:23]
	s_waitcnt vmcnt(16)
	v_fma_f64 v[32:33], v[10:11], v[124:125], -v[36:37]
	v_fma_f64 v[16:17], v[12:13], v[124:125], v[16:17]
	ds_read_b128 v[10:13], v1 offset:1856
	v_add_f64 v[18:19], v[18:19], v[28:29]
	v_add_f64 v[14:15], v[14:15], v[26:27]
	;; [unrolled: 9-line block ×3, first 2 shown]
	s_waitcnt vmcnt(9) lgkmcnt(1)
	v_mul_f64 v[24:25], v[12:13], v[30:31]
	s_waitcnt vmcnt(8)
	v_fma_f64 v[6:7], v[6:7], v[119:120], -v[28:29]
	v_mul_f64 v[16:17], v[10:11], v[30:31]
	v_fma_f64 v[8:9], v[8:9], v[119:120], v[26:27]
	v_add_f64 v[18:19], v[18:19], v[22:23]
	v_add_f64 v[14:15], v[14:15], v[20:21]
	s_waitcnt vmcnt(7) lgkmcnt(0)
	v_mul_f64 v[22:23], v[4:5], v[42:43]
	v_mul_f64 v[20:21], v[2:3], v[42:43]
	s_waitcnt vmcnt(5)
	v_fma_f64 v[10:11], v[10:11], v[34:35], -v[24:25]
	v_fma_f64 v[12:13], v[12:13], v[34:35], v[16:17]
	v_add_f64 v[6:7], v[18:19], v[6:7]
	v_add_f64 v[8:9], v[14:15], v[8:9]
	s_waitcnt vmcnt(4)
	v_fma_f64 v[2:3], v[2:3], v[46:47], -v[22:23]
	v_fma_f64 v[4:5], v[4:5], v[46:47], v[20:21]
	v_add_f64 v[6:7], v[6:7], v[10:11]
	v_add_f64 v[8:9], v[8:9], v[12:13]
	;; [unrolled: 1-line block ×4, first 2 shown]
	s_waitcnt vmcnt(2)
	v_add_f64 v[2:3], v[40:41], -v[2:3]
	s_waitcnt vmcnt(0)
	v_add_f64 v[4:5], v[44:45], -v[4:5]
	buffer_store_dword v3, off, s[0:3], 0 offset:548
	buffer_store_dword v2, off, s[0:3], 0 offset:544
	;; [unrolled: 1-line block ×4, first 2 shown]
	v_cmpx_lt_u32_e32 32, v0
	s_cbranch_execz .LBB58_303
; %bb.302:
	v_mov_b32_e32 v5, s39
	s_clause 0x3
	buffer_load_dword v2, v5, s[0:3], 0 offen
	buffer_load_dword v3, v5, s[0:3], 0 offen offset:4
	buffer_load_dword v4, v5, s[0:3], 0 offen offset:8
	;; [unrolled: 1-line block ×3, first 2 shown]
	buffer_store_dword v1, off, s[0:3], 0 offset:528
	buffer_store_dword v1, off, s[0:3], 0 offset:532
	;; [unrolled: 1-line block ×4, first 2 shown]
	s_waitcnt vmcnt(0)
	ds_write_b128 v69, v[2:5]
.LBB58_303:
	s_or_b32 exec_lo, exec_lo, s4
	s_waitcnt lgkmcnt(0)
	s_waitcnt_vscnt null, 0x0
	s_barrier
	buffer_gl0_inv
	s_clause 0x37
	buffer_load_dword v10, off, s[0:3], 0 offset:552
	buffer_load_dword v11, off, s[0:3], 0 offset:556
	;; [unrolled: 1-line block ×56, first 2 shown]
	ds_read_b128 v[2:5], v1 offset:1472
	s_clause 0x2
	buffer_load_dword v67, off, s[0:3], 0 offset:780
	buffer_load_dword v106, off, s[0:3], 0 offset:756
	;; [unrolled: 1-line block ×3, first 2 shown]
	ds_read_b128 v[6:9], v1 offset:1488
	s_clause 0x4
	buffer_load_dword v112, off, s[0:3], 0 offset:796
	buffer_load_dword v113, off, s[0:3], 0 offset:808
	;; [unrolled: 1-line block ×5, first 2 shown]
	s_mov_b32 s4, exec_lo
	s_waitcnt vmcnt(62) lgkmcnt(1)
	v_mul_f64 v[107:108], v[4:5], v[10:11]
	v_mul_f64 v[109:110], v[2:3], v[10:11]
	s_waitcnt vmcnt(60) lgkmcnt(0)
	v_mul_f64 v[116:117], v[8:9], v[14:15]
	ds_read_b128 v[10:13], v1 offset:1504
	v_mul_f64 v[14:15], v[6:7], v[14:15]
	s_waitcnt vmcnt(58)
	v_fma_f64 v[107:108], v[2:3], v[16:17], -v[107:108]
	v_fma_f64 v[16:17], v[4:5], v[16:17], v[109:110]
	s_clause 0x2
	buffer_load_dword v114, off, s[0:3], 0 offset:812
	buffer_load_dword v110, off, s[0:3], 0 offset:788
	;; [unrolled: 1-line block ×3, first 2 shown]
	s_waitcnt vmcnt(59) lgkmcnt(0)
	v_mul_f64 v[118:119], v[10:11], v[18:19]
	v_mul_f64 v[18:19], v[12:13], v[18:19]
	s_waitcnt vmcnt(57)
	v_fma_f64 v[120:121], v[6:7], v[20:21], -v[116:117]
	ds_read_b128 v[2:5], v1 offset:1520
	v_fma_f64 v[14:15], v[8:9], v[20:21], v[14:15]
	s_clause 0x4
	buffer_load_dword v21, off, s[0:3], 0 offset:828
	buffer_load_dword v117, off, s[0:3], 0 offset:840
	;; [unrolled: 1-line block ×5, first 2 shown]
	ds_read_b128 v[6:9], v1 offset:1536
	v_add_f64 v[107:108], v[107:108], 0
	v_add_f64 v[16:17], v[16:17], 0
	s_waitcnt vmcnt(58) lgkmcnt(1)
	v_mul_f64 v[123:124], v[2:3], v[22:23]
	v_mul_f64 v[22:23], v[4:5], v[22:23]
	s_waitcnt vmcnt(56)
	v_fma_f64 v[18:19], v[10:11], v[28:29], -v[18:19]
	v_fma_f64 v[28:29], v[12:13], v[28:29], v[118:119]
	v_add_f64 v[107:108], v[107:108], v[120:121]
	v_add_f64 v[14:15], v[16:17], v[14:15]
	s_clause 0x2
	buffer_load_dword v118, off, s[0:3], 0 offset:844
	buffer_load_dword v17, off, s[0:3], 0 offset:820
	;; [unrolled: 1-line block ×3, first 2 shown]
	s_waitcnt vmcnt(58) lgkmcnt(0)
	v_mul_f64 v[119:120], v[6:7], v[24:25]
	v_mul_f64 v[24:25], v[8:9], v[24:25]
	s_waitcnt vmcnt(56)
	v_fma_f64 v[22:23], v[2:3], v[30:31], -v[22:23]
	ds_read_b128 v[10:13], v1 offset:1552
	v_fma_f64 v[30:31], v[4:5], v[30:31], v[123:124]
	v_add_f64 v[18:19], v[107:108], v[18:19]
	v_add_f64 v[14:15], v[14:15], v[28:29]
	s_clause 0x4
	buffer_load_dword v29, off, s[0:3], 0 offset:860
	buffer_load_dword v107, off, s[0:3], 0 offset:872
	;; [unrolled: 1-line block ×5, first 2 shown]
	ds_read_b128 v[2:5], v1 offset:1568
	s_waitcnt vmcnt(57) lgkmcnt(1)
	v_mul_f64 v[125:126], v[10:11], v[32:33]
	v_mul_f64 v[32:33], v[12:13], v[32:33]
	s_waitcnt vmcnt(56)
	v_fma_f64 v[24:25], v[6:7], v[26:27], -v[24:25]
	v_add_f64 v[18:19], v[18:19], v[22:23]
	v_fma_f64 v[22:23], v[8:9], v[26:27], v[119:120]
	v_add_f64 v[14:15], v[14:15], v[30:31]
	s_clause 0x2
	buffer_load_dword v108, off, s[0:3], 0 offset:876
	buffer_load_dword v27, off, s[0:3], 0 offset:852
	;; [unrolled: 1-line block ×3, first 2 shown]
	s_waitcnt vmcnt(58) lgkmcnt(0)
	v_mul_f64 v[30:31], v[2:3], v[34:35]
	v_mul_f64 v[34:35], v[4:5], v[34:35]
	s_waitcnt vmcnt(56)
	v_fma_f64 v[32:33], v[10:11], v[38:39], -v[32:33]
	ds_read_b128 v[6:9], v1 offset:1584
	v_add_f64 v[18:19], v[18:19], v[24:25]
	v_fma_f64 v[24:25], v[12:13], v[38:39], v[125:126]
	v_add_f64 v[14:15], v[14:15], v[22:23]
	s_clause 0x4
	buffer_load_dword v23, off, s[0:3], 0 offset:892
	buffer_load_dword v38, off, s[0:3], 0 offset:904
	;; [unrolled: 1-line block ×5, first 2 shown]
	ds_read_b128 v[10:13], v1 offset:1600
	s_waitcnt vmcnt(57) lgkmcnt(1)
	v_mul_f64 v[120:121], v[6:7], v[40:41]
	v_mul_f64 v[40:41], v[8:9], v[40:41]
	s_waitcnt vmcnt(56)
	v_fma_f64 v[34:35], v[2:3], v[36:37], -v[34:35]
	v_fma_f64 v[30:31], v[4:5], v[36:37], v[30:31]
	v_add_f64 v[18:19], v[18:19], v[32:33]
	v_add_f64 v[14:15], v[14:15], v[24:25]
	s_clause 0x2
	buffer_load_dword v39, off, s[0:3], 0 offset:908
	buffer_load_dword v25, off, s[0:3], 0 offset:884
	;; [unrolled: 1-line block ×3, first 2 shown]
	s_waitcnt vmcnt(58) lgkmcnt(0)
	v_mul_f64 v[36:37], v[12:13], v[42:43]
	ds_read_b128 v[2:5], v1 offset:1616
	s_waitcnt vmcnt(56)
	v_fma_f64 v[40:41], v[6:7], v[46:47], -v[40:41]
	v_mul_f64 v[32:33], v[10:11], v[42:43]
	v_add_f64 v[18:19], v[18:19], v[34:35]
	v_fma_f64 v[34:35], v[8:9], v[46:47], v[120:121]
	v_add_f64 v[14:15], v[14:15], v[30:31]
	s_clause 0x4
	buffer_load_dword v31, off, s[0:3], 0 offset:924
	buffer_load_dword v42, off, s[0:3], 0 offset:936
	;; [unrolled: 1-line block ×5, first 2 shown]
	s_waitcnt vmcnt(57) lgkmcnt(0)
	v_mul_f64 v[126:127], v[2:3], v[48:49]
	v_mul_f64 v[47:48], v[4:5], v[48:49]
	s_waitcnt vmcnt(56)
	v_fma_f64 v[36:37], v[10:11], v[44:45], -v[36:37]
	ds_read_b128 v[6:9], v1 offset:1632
	v_fma_f64 v[32:33], v[12:13], v[44:45], v[32:33]
	v_add_f64 v[18:19], v[18:19], v[40:41]
	v_add_f64 v[14:15], v[14:15], v[34:35]
	s_clause 0x2
	buffer_load_dword v43, off, s[0:3], 0 offset:940
	buffer_load_dword v35, off, s[0:3], 0 offset:916
	;; [unrolled: 1-line block ×3, first 2 shown]
	ds_read_b128 v[10:13], v1 offset:1648
	s_waitcnt vmcnt(58) lgkmcnt(1)
	v_mul_f64 v[44:45], v[8:9], v[50:51]
	s_waitcnt vmcnt(56)
	v_fma_f64 v[48:49], v[2:3], v[54:55], -v[47:48]
	v_mul_f64 v[40:41], v[6:7], v[50:51]
	v_add_f64 v[18:19], v[18:19], v[36:37]
	v_fma_f64 v[36:37], v[4:5], v[54:55], v[126:127]
	v_add_f64 v[14:15], v[14:15], v[32:33]
	s_clause 0x2
	buffer_load_dword v33, off, s[0:3], 0 offset:956
	buffer_load_dword v32, off, s[0:3], 0 offset:952
	;; [unrolled: 1-line block ×3, first 2 shown]
	s_waitcnt vmcnt(55) lgkmcnt(0)
	v_mul_f64 v[54:55], v[12:13], v[56:57]
	s_waitcnt vmcnt(54)
	v_fma_f64 v[44:45], v[6:7], v[52:53], -v[44:45]
	ds_read_b128 v[2:5], v1 offset:1664
	v_mul_f64 v[50:51], v[10:11], v[56:57]
	v_fma_f64 v[40:41], v[8:9], v[52:53], v[40:41]
	v_add_f64 v[18:19], v[18:19], v[48:49]
	v_add_f64 v[14:15], v[14:15], v[36:37]
	s_clause 0x1
	buffer_load_dword v37, off, s[0:3], 0 offset:948
	buffer_load_dword v36, off, s[0:3], 0 offset:944
	s_waitcnt vmcnt(55) lgkmcnt(0)
	v_mul_f64 v[52:53], v[4:5], v[58:59]
	s_waitcnt vmcnt(53)
	v_fma_f64 v[54:55], v[10:11], v[62:63], -v[54:55]
	ds_read_b128 v[6:9], v1 offset:1680
	v_mul_f64 v[48:49], v[2:3], v[58:59]
	v_add_f64 v[18:19], v[18:19], v[44:45]
	v_fma_f64 v[44:45], v[12:13], v[62:63], v[50:51]
	v_add_f64 v[14:15], v[14:15], v[40:41]
	ds_read_b128 v[10:13], v1 offset:1696
	s_waitcnt vmcnt(49) lgkmcnt(1)
	v_mul_f64 v[50:51], v[8:9], v[64:65]
	s_waitcnt vmcnt(48)
	v_fma_f64 v[52:53], v[2:3], v[60:61], -v[52:53]
	v_mul_f64 v[40:41], v[6:7], v[64:65]
	v_fma_f64 v[48:49], v[4:5], v[60:61], v[48:49]
	v_add_f64 v[18:19], v[18:19], v[54:55]
	s_waitcnt vmcnt(47) lgkmcnt(0)
	v_mul_f64 v[58:59], v[12:13], v[66:67]
	v_add_f64 v[14:15], v[14:15], v[44:45]
	s_clause 0x3
	buffer_load_dword v44, off, s[0:3], 0 offset:528
	buffer_load_dword v45, off, s[0:3], 0 offset:532
	buffer_load_dword v54, off, s[0:3], 0 offset:536
	buffer_load_dword v55, off, s[0:3], 0 offset:540
	s_waitcnt vmcnt(49)
	v_fma_f64 v[50:51], v[6:7], v[105:106], -v[50:51]
	ds_read_b128 v[2:5], v1 offset:1712
	v_mul_f64 v[56:57], v[10:11], v[66:67]
	v_fma_f64 v[40:41], v[8:9], v[105:106], v[40:41]
	ds_read_b128 v[6:9], v1 offset:1728
	v_add_f64 v[18:19], v[18:19], v[52:53]
	s_waitcnt vmcnt(44)
	v_fma_f64 v[58:59], v[10:11], v[70:71], -v[58:59]
	v_add_f64 v[14:15], v[14:15], v[48:49]
	s_waitcnt lgkmcnt(1)
	v_mul_f64 v[52:53], v[4:5], v[111:112]
	v_mul_f64 v[48:49], v[2:3], v[111:112]
	v_add_f64 v[18:19], v[18:19], v[50:51]
	v_fma_f64 v[50:51], v[12:13], v[70:71], v[56:57]
	v_add_f64 v[14:15], v[14:15], v[40:41]
	ds_read_b128 v[10:13], v1 offset:1744
	s_waitcnt vmcnt(43) lgkmcnt(1)
	v_mul_f64 v[56:57], v[8:9], v[113:114]
	v_mul_f64 v[40:41], v[6:7], v[113:114]
	s_waitcnt vmcnt(41)
	v_fma_f64 v[52:53], v[2:3], v[109:110], -v[52:53]
	v_fma_f64 v[48:49], v[4:5], v[109:110], v[48:49]
	ds_read_b128 v[2:5], v1 offset:1760
	v_add_f64 v[18:19], v[18:19], v[58:59]
	v_add_f64 v[14:15], v[14:15], v[50:51]
	s_waitcnt vmcnt(37) lgkmcnt(1)
	v_mul_f64 v[50:51], v[10:11], v[20:21]
	v_mul_f64 v[20:21], v[12:13], v[20:21]
	s_waitcnt vmcnt(36)
	v_fma_f64 v[56:57], v[6:7], v[115:116], -v[56:57]
	v_fma_f64 v[40:41], v[8:9], v[115:116], v[40:41]
	ds_read_b128 v[6:9], v1 offset:1776
	v_add_f64 v[18:19], v[18:19], v[52:53]
	v_add_f64 v[14:15], v[14:15], v[48:49]
	;; [unrolled: 9-line block ×3, first 2 shown]
	s_waitcnt vmcnt(29) lgkmcnt(1)
	v_mul_f64 v[40:41], v[6:7], v[28:29]
	v_mul_f64 v[28:29], v[8:9], v[28:29]
	s_waitcnt vmcnt(28)
	v_fma_f64 v[50:51], v[2:3], v[122:123], -v[52:53]
	v_add_f64 v[18:19], v[18:19], v[20:21]
	v_fma_f64 v[20:21], v[4:5], v[122:123], v[48:49]
	v_add_f64 v[14:15], v[14:15], v[16:17]
	ds_read_b128 v[2:5], v1 offset:1808
	s_waitcnt vmcnt(27) lgkmcnt(1)
	v_mul_f64 v[48:49], v[12:13], v[107:108]
	v_mul_f64 v[16:17], v[10:11], v[107:108]
	s_waitcnt vmcnt(25)
	v_fma_f64 v[28:29], v[6:7], v[26:27], -v[28:29]
	v_fma_f64 v[26:27], v[8:9], v[26:27], v[40:41]
	ds_read_b128 v[6:9], v1 offset:1824
	v_add_f64 v[18:19], v[18:19], v[50:51]
	v_add_f64 v[14:15], v[14:15], v[20:21]
	s_waitcnt vmcnt(21) lgkmcnt(1)
	v_mul_f64 v[20:21], v[2:3], v[22:23]
	v_mul_f64 v[22:23], v[4:5], v[22:23]
	s_waitcnt vmcnt(20)
	v_fma_f64 v[40:41], v[10:11], v[124:125], -v[48:49]
	v_fma_f64 v[16:17], v[12:13], v[124:125], v[16:17]
	ds_read_b128 v[10:13], v1 offset:1840
	v_add_f64 v[18:19], v[18:19], v[28:29]
	v_add_f64 v[14:15], v[14:15], v[26:27]
	s_waitcnt vmcnt(19) lgkmcnt(1)
	v_mul_f64 v[28:29], v[8:9], v[38:39]
	v_mul_f64 v[26:27], v[6:7], v[38:39]
	s_waitcnt vmcnt(17)
	v_fma_f64 v[22:23], v[2:3], v[24:25], -v[22:23]
	v_fma_f64 v[20:21], v[4:5], v[24:25], v[20:21]
	ds_read_b128 v[2:5], v1 offset:1856
	v_add_f64 v[18:19], v[18:19], v[40:41]
	v_add_f64 v[14:15], v[14:15], v[16:17]
	s_waitcnt vmcnt(13) lgkmcnt(1)
	v_mul_f64 v[24:25], v[12:13], v[30:31]
	s_waitcnt vmcnt(12)
	v_fma_f64 v[28:29], v[6:7], v[119:120], -v[28:29]
	v_mul_f64 v[16:17], v[10:11], v[30:31]
	v_add_f64 v[18:19], v[18:19], v[22:23]
	v_fma_f64 v[22:23], v[8:9], v[119:120], v[26:27]
	v_add_f64 v[14:15], v[14:15], v[20:21]
	ds_read_b128 v[6:9], v1 offset:1872
	s_waitcnt vmcnt(11) lgkmcnt(1)
	v_mul_f64 v[26:27], v[4:5], v[42:43]
	v_mul_f64 v[20:21], v[2:3], v[42:43]
	s_waitcnt vmcnt(9)
	v_fma_f64 v[10:11], v[10:11], v[34:35], -v[24:25]
	v_fma_f64 v[12:13], v[12:13], v[34:35], v[16:17]
	v_add_f64 v[18:19], v[18:19], v[28:29]
	v_add_f64 v[14:15], v[14:15], v[22:23]
	s_waitcnt vmcnt(7) lgkmcnt(0)
	v_mul_f64 v[22:23], v[8:9], v[32:33]
	s_waitcnt vmcnt(6)
	v_fma_f64 v[1:2], v[2:3], v[46:47], -v[26:27]
	v_mul_f64 v[16:17], v[6:7], v[32:33]
	v_fma_f64 v[3:4], v[4:5], v[46:47], v[20:21]
	v_add_f64 v[10:11], v[18:19], v[10:11]
	v_add_f64 v[12:13], v[14:15], v[12:13]
	s_waitcnt vmcnt(4)
	v_fma_f64 v[5:6], v[6:7], v[36:37], -v[22:23]
	v_fma_f64 v[7:8], v[8:9], v[36:37], v[16:17]
	v_add_f64 v[1:2], v[10:11], v[1:2]
	v_add_f64 v[3:4], v[12:13], v[3:4]
	;; [unrolled: 1-line block ×4, first 2 shown]
	s_waitcnt vmcnt(2)
	v_add_f64 v[1:2], v[44:45], -v[1:2]
	s_waitcnt vmcnt(0)
	v_add_f64 v[3:4], v[54:55], -v[3:4]
	buffer_store_dword v2, off, s[0:3], 0 offset:532
	buffer_store_dword v1, off, s[0:3], 0 offset:528
	;; [unrolled: 1-line block ×4, first 2 shown]
	v_cmpx_lt_u32_e32 31, v0
	s_cbranch_execz .LBB58_305
; %bb.304:
	v_mov_b32_e32 v4, s40
	v_mov_b32_e32 v5, 0
	s_clause 0x3
	buffer_load_dword v1, v4, s[0:3], 0 offen
	buffer_load_dword v2, v4, s[0:3], 0 offen offset:4
	buffer_load_dword v3, v4, s[0:3], 0 offen offset:8
	;; [unrolled: 1-line block ×3, first 2 shown]
	buffer_store_dword v5, off, s[0:3], 0 offset:512
	buffer_store_dword v5, off, s[0:3], 0 offset:516
	buffer_store_dword v5, off, s[0:3], 0 offset:520
	buffer_store_dword v5, off, s[0:3], 0 offset:524
	s_waitcnt vmcnt(0)
	ds_write_b128 v69, v[1:4]
.LBB58_305:
	s_or_b32 exec_lo, exec_lo, s4
	s_waitcnt lgkmcnt(0)
	s_waitcnt_vscnt null, 0x0
	s_barrier
	buffer_gl0_inv
	s_clause 0x37
	buffer_load_dword v10, off, s[0:3], 0 offset:536
	buffer_load_dword v11, off, s[0:3], 0 offset:540
	;; [unrolled: 1-line block ×56, first 2 shown]
	v_mov_b32_e32 v1, 0
	s_mov_b32 s4, exec_lo
	ds_read_b128 v[2:5], v1 offset:1456
	s_clause 0x2
	buffer_load_dword v67, off, s[0:3], 0 offset:764
	buffer_load_dword v106, off, s[0:3], 0 offset:740
	;; [unrolled: 1-line block ×3, first 2 shown]
	ds_read_b128 v[6:9], v1 offset:1472
	s_clause 0x4
	buffer_load_dword v112, off, s[0:3], 0 offset:780
	buffer_load_dword v113, off, s[0:3], 0 offset:792
	;; [unrolled: 1-line block ×5, first 2 shown]
	s_waitcnt vmcnt(62) lgkmcnt(1)
	v_mul_f64 v[107:108], v[4:5], v[10:11]
	v_mul_f64 v[109:110], v[2:3], v[10:11]
	s_waitcnt vmcnt(60) lgkmcnt(0)
	v_mul_f64 v[116:117], v[8:9], v[14:15]
	ds_read_b128 v[10:13], v1 offset:1488
	v_mul_f64 v[14:15], v[6:7], v[14:15]
	s_waitcnt vmcnt(58)
	v_fma_f64 v[107:108], v[2:3], v[16:17], -v[107:108]
	v_fma_f64 v[16:17], v[4:5], v[16:17], v[109:110]
	s_clause 0x2
	buffer_load_dword v114, off, s[0:3], 0 offset:796
	buffer_load_dword v110, off, s[0:3], 0 offset:772
	;; [unrolled: 1-line block ×3, first 2 shown]
	s_waitcnt vmcnt(59) lgkmcnt(0)
	v_mul_f64 v[118:119], v[10:11], v[18:19]
	v_mul_f64 v[18:19], v[12:13], v[18:19]
	s_waitcnt vmcnt(57)
	v_fma_f64 v[120:121], v[6:7], v[20:21], -v[116:117]
	ds_read_b128 v[2:5], v1 offset:1504
	v_fma_f64 v[14:15], v[8:9], v[20:21], v[14:15]
	s_clause 0x4
	buffer_load_dword v21, off, s[0:3], 0 offset:812
	buffer_load_dword v117, off, s[0:3], 0 offset:824
	buffer_load_dword v122, off, s[0:3], 0 offset:816
	buffer_load_dword v20, off, s[0:3], 0 offset:808
	buffer_load_dword v116, off, s[0:3], 0 offset:788
	ds_read_b128 v[6:9], v1 offset:1520
	v_add_f64 v[107:108], v[107:108], 0
	v_add_f64 v[16:17], v[16:17], 0
	s_waitcnt vmcnt(58) lgkmcnt(1)
	v_mul_f64 v[123:124], v[2:3], v[22:23]
	v_mul_f64 v[22:23], v[4:5], v[22:23]
	s_waitcnt vmcnt(56)
	v_fma_f64 v[18:19], v[10:11], v[28:29], -v[18:19]
	v_fma_f64 v[28:29], v[12:13], v[28:29], v[118:119]
	v_add_f64 v[107:108], v[107:108], v[120:121]
	v_add_f64 v[14:15], v[16:17], v[14:15]
	s_clause 0x2
	buffer_load_dword v118, off, s[0:3], 0 offset:828
	buffer_load_dword v17, off, s[0:3], 0 offset:804
	;; [unrolled: 1-line block ×3, first 2 shown]
	s_waitcnt vmcnt(58) lgkmcnt(0)
	v_mul_f64 v[119:120], v[6:7], v[24:25]
	v_mul_f64 v[24:25], v[8:9], v[24:25]
	s_waitcnt vmcnt(56)
	v_fma_f64 v[22:23], v[2:3], v[30:31], -v[22:23]
	ds_read_b128 v[10:13], v1 offset:1536
	v_fma_f64 v[30:31], v[4:5], v[30:31], v[123:124]
	v_add_f64 v[18:19], v[107:108], v[18:19]
	v_add_f64 v[14:15], v[14:15], v[28:29]
	s_clause 0x4
	buffer_load_dword v29, off, s[0:3], 0 offset:844
	buffer_load_dword v107, off, s[0:3], 0 offset:856
	;; [unrolled: 1-line block ×5, first 2 shown]
	ds_read_b128 v[2:5], v1 offset:1552
	s_waitcnt vmcnt(57) lgkmcnt(1)
	v_mul_f64 v[125:126], v[10:11], v[32:33]
	v_mul_f64 v[32:33], v[12:13], v[32:33]
	s_waitcnt vmcnt(56)
	v_fma_f64 v[24:25], v[6:7], v[26:27], -v[24:25]
	v_add_f64 v[18:19], v[18:19], v[22:23]
	v_fma_f64 v[22:23], v[8:9], v[26:27], v[119:120]
	v_add_f64 v[14:15], v[14:15], v[30:31]
	s_clause 0x2
	buffer_load_dword v108, off, s[0:3], 0 offset:860
	buffer_load_dword v27, off, s[0:3], 0 offset:836
	;; [unrolled: 1-line block ×3, first 2 shown]
	s_waitcnt vmcnt(58) lgkmcnt(0)
	v_mul_f64 v[30:31], v[2:3], v[34:35]
	v_mul_f64 v[34:35], v[4:5], v[34:35]
	s_waitcnt vmcnt(56)
	v_fma_f64 v[32:33], v[10:11], v[38:39], -v[32:33]
	ds_read_b128 v[6:9], v1 offset:1568
	v_add_f64 v[18:19], v[18:19], v[24:25]
	v_fma_f64 v[24:25], v[12:13], v[38:39], v[125:126]
	v_add_f64 v[14:15], v[14:15], v[22:23]
	s_clause 0x4
	buffer_load_dword v23, off, s[0:3], 0 offset:876
	buffer_load_dword v38, off, s[0:3], 0 offset:888
	;; [unrolled: 1-line block ×5, first 2 shown]
	ds_read_b128 v[10:13], v1 offset:1584
	s_waitcnt vmcnt(57) lgkmcnt(1)
	v_mul_f64 v[120:121], v[6:7], v[40:41]
	v_mul_f64 v[40:41], v[8:9], v[40:41]
	s_waitcnt vmcnt(56)
	v_fma_f64 v[34:35], v[2:3], v[36:37], -v[34:35]
	v_fma_f64 v[30:31], v[4:5], v[36:37], v[30:31]
	v_add_f64 v[18:19], v[18:19], v[32:33]
	v_add_f64 v[14:15], v[14:15], v[24:25]
	s_clause 0x2
	buffer_load_dword v39, off, s[0:3], 0 offset:892
	buffer_load_dword v25, off, s[0:3], 0 offset:868
	;; [unrolled: 1-line block ×3, first 2 shown]
	s_waitcnt vmcnt(58) lgkmcnt(0)
	v_mul_f64 v[36:37], v[12:13], v[42:43]
	ds_read_b128 v[2:5], v1 offset:1600
	s_waitcnt vmcnt(56)
	v_fma_f64 v[40:41], v[6:7], v[46:47], -v[40:41]
	v_mul_f64 v[32:33], v[10:11], v[42:43]
	v_add_f64 v[18:19], v[18:19], v[34:35]
	v_fma_f64 v[34:35], v[8:9], v[46:47], v[120:121]
	v_add_f64 v[14:15], v[14:15], v[30:31]
	s_clause 0x4
	buffer_load_dword v31, off, s[0:3], 0 offset:908
	buffer_load_dword v42, off, s[0:3], 0 offset:920
	;; [unrolled: 1-line block ×5, first 2 shown]
	s_waitcnt vmcnt(57) lgkmcnt(0)
	v_mul_f64 v[126:127], v[2:3], v[48:49]
	v_mul_f64 v[47:48], v[4:5], v[48:49]
	s_waitcnt vmcnt(56)
	v_fma_f64 v[36:37], v[10:11], v[44:45], -v[36:37]
	ds_read_b128 v[6:9], v1 offset:1616
	v_fma_f64 v[32:33], v[12:13], v[44:45], v[32:33]
	v_add_f64 v[18:19], v[18:19], v[40:41]
	v_add_f64 v[14:15], v[14:15], v[34:35]
	s_clause 0x2
	buffer_load_dword v43, off, s[0:3], 0 offset:924
	buffer_load_dword v35, off, s[0:3], 0 offset:900
	;; [unrolled: 1-line block ×3, first 2 shown]
	ds_read_b128 v[10:13], v1 offset:1632
	s_waitcnt vmcnt(58) lgkmcnt(1)
	v_mul_f64 v[44:45], v[8:9], v[50:51]
	s_waitcnt vmcnt(56)
	v_fma_f64 v[48:49], v[2:3], v[54:55], -v[47:48]
	v_mul_f64 v[40:41], v[6:7], v[50:51]
	v_add_f64 v[18:19], v[18:19], v[36:37]
	v_fma_f64 v[36:37], v[4:5], v[54:55], v[126:127]
	v_add_f64 v[14:15], v[14:15], v[32:33]
	s_clause 0x4
	buffer_load_dword v33, off, s[0:3], 0 offset:940
	buffer_load_dword v50, off, s[0:3], 0 offset:952
	;; [unrolled: 1-line block ×5, first 2 shown]
	s_waitcnt vmcnt(57) lgkmcnt(0)
	v_mul_f64 v[126:127], v[10:11], v[56:57]
	v_mul_f64 v[55:56], v[12:13], v[56:57]
	s_waitcnt vmcnt(56)
	v_fma_f64 v[44:45], v[6:7], v[52:53], -v[44:45]
	ds_read_b128 v[2:5], v1 offset:1648
	v_fma_f64 v[40:41], v[8:9], v[52:53], v[40:41]
	v_add_f64 v[18:19], v[18:19], v[48:49]
	v_add_f64 v[14:15], v[14:15], v[36:37]
	s_clause 0x2
	buffer_load_dword v51, off, s[0:3], 0 offset:956
	buffer_load_dword v37, off, s[0:3], 0 offset:932
	;; [unrolled: 1-line block ×3, first 2 shown]
	ds_read_b128 v[6:9], v1 offset:1664
	s_waitcnt vmcnt(58) lgkmcnt(1)
	v_mul_f64 v[52:53], v[4:5], v[58:59]
	s_waitcnt vmcnt(56)
	v_fma_f64 v[56:57], v[10:11], v[62:63], -v[55:56]
	v_mul_f64 v[48:49], v[2:3], v[58:59]
	buffer_load_dword v55, off, s[0:3], 0 offset:948
	v_add_f64 v[18:19], v[18:19], v[44:45]
	v_fma_f64 v[44:45], v[12:13], v[62:63], v[126:127]
	v_add_f64 v[14:15], v[14:15], v[40:41]
	ds_read_b128 v[10:13], v1 offset:1680
	s_waitcnt vmcnt(53) lgkmcnt(1)
	v_mul_f64 v[58:59], v[8:9], v[64:65]
	s_waitcnt vmcnt(52)
	v_fma_f64 v[52:53], v[2:3], v[60:61], -v[52:53]
	v_mul_f64 v[40:41], v[6:7], v[64:65]
	v_fma_f64 v[48:49], v[4:5], v[60:61], v[48:49]
	ds_read_b128 v[2:5], v1 offset:1696
	v_add_f64 v[18:19], v[18:19], v[56:57]
	s_waitcnt vmcnt(51) lgkmcnt(1)
	v_mul_f64 v[56:57], v[12:13], v[66:67]
	v_add_f64 v[14:15], v[14:15], v[44:45]
	v_mul_f64 v[44:45], v[10:11], v[66:67]
	s_waitcnt vmcnt(49)
	v_fma_f64 v[58:59], v[6:7], v[105:106], -v[58:59]
	v_fma_f64 v[40:41], v[8:9], v[105:106], v[40:41]
	s_waitcnt vmcnt(45) lgkmcnt(0)
	v_mul_f64 v[62:63], v[4:5], v[111:112]
	v_mul_f64 v[60:61], v[2:3], v[111:112]
	v_add_f64 v[18:19], v[18:19], v[52:53]
	s_waitcnt vmcnt(44)
	v_fma_f64 v[56:57], v[10:11], v[70:71], -v[56:57]
	v_add_f64 v[14:15], v[14:15], v[48:49]
	s_clause 0x3
	buffer_load_dword v48, off, s[0:3], 0 offset:512
	buffer_load_dword v49, off, s[0:3], 0 offset:516
	buffer_load_dword v52, off, s[0:3], 0 offset:520
	buffer_load_dword v53, off, s[0:3], 0 offset:524
	ds_read_b128 v[6:9], v1 offset:1712
	v_fma_f64 v[44:45], v[12:13], v[70:71], v[44:45]
	ds_read_b128 v[10:13], v1 offset:1728
	v_add_f64 v[18:19], v[18:19], v[58:59]
	v_add_f64 v[14:15], v[14:15], v[40:41]
	s_waitcnt vmcnt(47) lgkmcnt(1)
	v_mul_f64 v[58:59], v[8:9], v[113:114]
	v_mul_f64 v[40:41], v[6:7], v[113:114]
	s_waitcnt vmcnt(45)
	v_fma_f64 v[62:63], v[2:3], v[109:110], -v[62:63]
	v_add_f64 v[18:19], v[18:19], v[56:57]
	v_fma_f64 v[56:57], v[4:5], v[109:110], v[60:61]
	v_add_f64 v[14:15], v[14:15], v[44:45]
	s_waitcnt vmcnt(41) lgkmcnt(0)
	v_mul_f64 v[44:45], v[10:11], v[20:21]
	v_mul_f64 v[20:21], v[12:13], v[20:21]
	ds_read_b128 v[2:5], v1 offset:1744
	s_waitcnt vmcnt(40)
	v_fma_f64 v[58:59], v[6:7], v[115:116], -v[58:59]
	v_fma_f64 v[40:41], v[8:9], v[115:116], v[40:41]
	ds_read_b128 v[6:9], v1 offset:1760
	v_add_f64 v[18:19], v[18:19], v[62:63]
	v_add_f64 v[14:15], v[14:15], v[56:57]
	s_waitcnt vmcnt(39) lgkmcnt(1)
	v_mul_f64 v[60:61], v[4:5], v[117:118]
	v_mul_f64 v[56:57], v[2:3], v[117:118]
	s_waitcnt vmcnt(37)
	v_fma_f64 v[20:21], v[10:11], v[16:17], -v[20:21]
	v_fma_f64 v[16:17], v[12:13], v[16:17], v[44:45]
	ds_read_b128 v[10:13], v1 offset:1776
	v_add_f64 v[18:19], v[18:19], v[58:59]
	v_add_f64 v[14:15], v[14:15], v[40:41]
	s_waitcnt vmcnt(33) lgkmcnt(1)
	v_mul_f64 v[40:41], v[6:7], v[28:29]
	v_mul_f64 v[28:29], v[8:9], v[28:29]
	s_waitcnt vmcnt(32)
	v_fma_f64 v[44:45], v[2:3], v[122:123], -v[60:61]
	v_add_f64 v[18:19], v[18:19], v[20:21]
	v_fma_f64 v[20:21], v[4:5], v[122:123], v[56:57]
	v_add_f64 v[14:15], v[14:15], v[16:17]
	ds_read_b128 v[2:5], v1 offset:1792
	s_waitcnt vmcnt(31) lgkmcnt(1)
	v_mul_f64 v[56:57], v[12:13], v[107:108]
	v_mul_f64 v[16:17], v[10:11], v[107:108]
	s_waitcnt vmcnt(29)
	v_fma_f64 v[28:29], v[6:7], v[26:27], -v[28:29]
	v_fma_f64 v[26:27], v[8:9], v[26:27], v[40:41]
	ds_read_b128 v[6:9], v1 offset:1808
	v_add_f64 v[18:19], v[18:19], v[44:45]
	v_add_f64 v[14:15], v[14:15], v[20:21]
	s_waitcnt vmcnt(25) lgkmcnt(1)
	v_mul_f64 v[20:21], v[2:3], v[22:23]
	v_mul_f64 v[22:23], v[4:5], v[22:23]
	s_waitcnt vmcnt(24)
	v_fma_f64 v[40:41], v[10:11], v[124:125], -v[56:57]
	v_fma_f64 v[16:17], v[12:13], v[124:125], v[16:17]
	ds_read_b128 v[10:13], v1 offset:1824
	v_add_f64 v[18:19], v[18:19], v[28:29]
	v_add_f64 v[14:15], v[14:15], v[26:27]
	;; [unrolled: 9-line block ×3, first 2 shown]
	s_waitcnt vmcnt(17) lgkmcnt(1)
	v_mul_f64 v[24:25], v[12:13], v[30:31]
	s_waitcnt vmcnt(16)
	v_fma_f64 v[28:29], v[6:7], v[119:120], -v[28:29]
	v_mul_f64 v[16:17], v[10:11], v[30:31]
	v_add_f64 v[18:19], v[18:19], v[22:23]
	v_fma_f64 v[22:23], v[8:9], v[119:120], v[26:27]
	v_add_f64 v[14:15], v[14:15], v[20:21]
	ds_read_b128 v[6:9], v1 offset:1856
	s_waitcnt vmcnt(15) lgkmcnt(1)
	v_mul_f64 v[26:27], v[4:5], v[42:43]
	v_mul_f64 v[20:21], v[2:3], v[42:43]
	s_waitcnt vmcnt(13)
	v_fma_f64 v[24:25], v[10:11], v[34:35], -v[24:25]
	v_fma_f64 v[16:17], v[12:13], v[34:35], v[16:17]
	ds_read_b128 v[10:13], v1 offset:1872
	v_add_f64 v[18:19], v[18:19], v[28:29]
	v_add_f64 v[14:15], v[14:15], v[22:23]
	s_waitcnt vmcnt(9) lgkmcnt(1)
	v_mul_f64 v[28:29], v[8:9], v[32:33]
	s_waitcnt vmcnt(8)
	v_fma_f64 v[2:3], v[2:3], v[46:47], -v[26:27]
	v_mul_f64 v[22:23], v[6:7], v[32:33]
	v_fma_f64 v[4:5], v[4:5], v[46:47], v[20:21]
	v_add_f64 v[18:19], v[18:19], v[24:25]
	v_add_f64 v[14:15], v[14:15], v[16:17]
	s_waitcnt vmcnt(7) lgkmcnt(0)
	v_mul_f64 v[20:21], v[12:13], v[50:51]
	v_mul_f64 v[16:17], v[10:11], v[50:51]
	s_waitcnt vmcnt(5)
	v_fma_f64 v[6:7], v[6:7], v[36:37], -v[28:29]
	v_fma_f64 v[8:9], v[8:9], v[36:37], v[22:23]
	v_add_f64 v[2:3], v[18:19], v[2:3]
	v_add_f64 v[4:5], v[14:15], v[4:5]
	s_waitcnt vmcnt(4)
	v_fma_f64 v[10:11], v[10:11], v[54:55], -v[20:21]
	v_add_f64 v[2:3], v[2:3], v[6:7]
	v_fma_f64 v[6:7], v[12:13], v[54:55], v[16:17]
	v_add_f64 v[4:5], v[4:5], v[8:9]
	v_add_f64 v[2:3], v[2:3], v[10:11]
	;; [unrolled: 1-line block ×3, first 2 shown]
	s_waitcnt vmcnt(2)
	v_add_f64 v[2:3], v[48:49], -v[2:3]
	s_waitcnt vmcnt(0)
	v_add_f64 v[4:5], v[52:53], -v[4:5]
	buffer_store_dword v3, off, s[0:3], 0 offset:516
	buffer_store_dword v2, off, s[0:3], 0 offset:512
	;; [unrolled: 1-line block ×4, first 2 shown]
	v_cmpx_lt_u32_e32 30, v0
	s_cbranch_execz .LBB58_307
; %bb.306:
	v_mov_b32_e32 v5, s41
	s_clause 0x3
	buffer_load_dword v2, v5, s[0:3], 0 offen
	buffer_load_dword v3, v5, s[0:3], 0 offen offset:4
	buffer_load_dword v4, v5, s[0:3], 0 offen offset:8
	;; [unrolled: 1-line block ×3, first 2 shown]
	buffer_store_dword v1, off, s[0:3], 0 offset:496
	buffer_store_dword v1, off, s[0:3], 0 offset:500
	;; [unrolled: 1-line block ×4, first 2 shown]
	s_waitcnt vmcnt(0)
	ds_write_b128 v69, v[2:5]
.LBB58_307:
	s_or_b32 exec_lo, exec_lo, s4
	s_waitcnt lgkmcnt(0)
	s_waitcnt_vscnt null, 0x0
	s_barrier
	buffer_gl0_inv
	s_clause 0x37
	buffer_load_dword v10, off, s[0:3], 0 offset:520
	buffer_load_dword v11, off, s[0:3], 0 offset:524
	;; [unrolled: 1-line block ×56, first 2 shown]
	ds_read_b128 v[2:5], v1 offset:1440
	s_clause 0x2
	buffer_load_dword v67, off, s[0:3], 0 offset:748
	buffer_load_dword v106, off, s[0:3], 0 offset:724
	;; [unrolled: 1-line block ×3, first 2 shown]
	ds_read_b128 v[6:9], v1 offset:1456
	s_clause 0x4
	buffer_load_dword v112, off, s[0:3], 0 offset:764
	buffer_load_dword v113, off, s[0:3], 0 offset:776
	;; [unrolled: 1-line block ×5, first 2 shown]
	s_mov_b32 s4, exec_lo
	s_waitcnt vmcnt(62) lgkmcnt(1)
	v_mul_f64 v[107:108], v[4:5], v[10:11]
	v_mul_f64 v[109:110], v[2:3], v[10:11]
	s_waitcnt vmcnt(60) lgkmcnt(0)
	v_mul_f64 v[116:117], v[8:9], v[14:15]
	ds_read_b128 v[10:13], v1 offset:1472
	v_mul_f64 v[14:15], v[6:7], v[14:15]
	s_waitcnt vmcnt(58)
	v_fma_f64 v[107:108], v[2:3], v[16:17], -v[107:108]
	v_fma_f64 v[16:17], v[4:5], v[16:17], v[109:110]
	s_clause 0x2
	buffer_load_dword v114, off, s[0:3], 0 offset:780
	buffer_load_dword v110, off, s[0:3], 0 offset:756
	;; [unrolled: 1-line block ×3, first 2 shown]
	s_waitcnt vmcnt(59) lgkmcnt(0)
	v_mul_f64 v[118:119], v[10:11], v[18:19]
	v_mul_f64 v[18:19], v[12:13], v[18:19]
	s_waitcnt vmcnt(57)
	v_fma_f64 v[120:121], v[6:7], v[20:21], -v[116:117]
	ds_read_b128 v[2:5], v1 offset:1488
	v_fma_f64 v[14:15], v[8:9], v[20:21], v[14:15]
	s_clause 0x4
	buffer_load_dword v21, off, s[0:3], 0 offset:796
	buffer_load_dword v117, off, s[0:3], 0 offset:808
	;; [unrolled: 1-line block ×5, first 2 shown]
	ds_read_b128 v[6:9], v1 offset:1504
	v_add_f64 v[107:108], v[107:108], 0
	v_add_f64 v[16:17], v[16:17], 0
	s_waitcnt vmcnt(58) lgkmcnt(1)
	v_mul_f64 v[123:124], v[2:3], v[22:23]
	v_mul_f64 v[22:23], v[4:5], v[22:23]
	s_waitcnt vmcnt(56)
	v_fma_f64 v[18:19], v[10:11], v[28:29], -v[18:19]
	v_fma_f64 v[28:29], v[12:13], v[28:29], v[118:119]
	v_add_f64 v[107:108], v[107:108], v[120:121]
	v_add_f64 v[14:15], v[16:17], v[14:15]
	s_clause 0x2
	buffer_load_dword v118, off, s[0:3], 0 offset:812
	buffer_load_dword v17, off, s[0:3], 0 offset:788
	;; [unrolled: 1-line block ×3, first 2 shown]
	s_waitcnt vmcnt(58) lgkmcnt(0)
	v_mul_f64 v[119:120], v[6:7], v[24:25]
	v_mul_f64 v[24:25], v[8:9], v[24:25]
	s_waitcnt vmcnt(56)
	v_fma_f64 v[22:23], v[2:3], v[30:31], -v[22:23]
	ds_read_b128 v[10:13], v1 offset:1520
	v_fma_f64 v[30:31], v[4:5], v[30:31], v[123:124]
	v_add_f64 v[18:19], v[107:108], v[18:19]
	v_add_f64 v[14:15], v[14:15], v[28:29]
	s_clause 0x4
	buffer_load_dword v29, off, s[0:3], 0 offset:828
	buffer_load_dword v107, off, s[0:3], 0 offset:840
	;; [unrolled: 1-line block ×5, first 2 shown]
	ds_read_b128 v[2:5], v1 offset:1536
	s_waitcnt vmcnt(57) lgkmcnt(1)
	v_mul_f64 v[125:126], v[10:11], v[32:33]
	v_mul_f64 v[32:33], v[12:13], v[32:33]
	s_waitcnt vmcnt(56)
	v_fma_f64 v[24:25], v[6:7], v[26:27], -v[24:25]
	v_add_f64 v[18:19], v[18:19], v[22:23]
	v_fma_f64 v[22:23], v[8:9], v[26:27], v[119:120]
	v_add_f64 v[14:15], v[14:15], v[30:31]
	s_clause 0x2
	buffer_load_dword v108, off, s[0:3], 0 offset:844
	buffer_load_dword v27, off, s[0:3], 0 offset:820
	;; [unrolled: 1-line block ×3, first 2 shown]
	s_waitcnt vmcnt(58) lgkmcnt(0)
	v_mul_f64 v[30:31], v[2:3], v[34:35]
	v_mul_f64 v[34:35], v[4:5], v[34:35]
	s_waitcnt vmcnt(56)
	v_fma_f64 v[32:33], v[10:11], v[38:39], -v[32:33]
	ds_read_b128 v[6:9], v1 offset:1552
	v_add_f64 v[18:19], v[18:19], v[24:25]
	v_fma_f64 v[24:25], v[12:13], v[38:39], v[125:126]
	v_add_f64 v[14:15], v[14:15], v[22:23]
	s_clause 0x4
	buffer_load_dword v23, off, s[0:3], 0 offset:860
	buffer_load_dword v38, off, s[0:3], 0 offset:872
	;; [unrolled: 1-line block ×5, first 2 shown]
	ds_read_b128 v[10:13], v1 offset:1568
	s_waitcnt vmcnt(57) lgkmcnt(1)
	v_mul_f64 v[120:121], v[6:7], v[40:41]
	v_mul_f64 v[40:41], v[8:9], v[40:41]
	s_waitcnt vmcnt(56)
	v_fma_f64 v[34:35], v[2:3], v[36:37], -v[34:35]
	v_fma_f64 v[30:31], v[4:5], v[36:37], v[30:31]
	v_add_f64 v[18:19], v[18:19], v[32:33]
	v_add_f64 v[14:15], v[14:15], v[24:25]
	s_clause 0x2
	buffer_load_dword v39, off, s[0:3], 0 offset:876
	buffer_load_dword v25, off, s[0:3], 0 offset:852
	;; [unrolled: 1-line block ×3, first 2 shown]
	s_waitcnt vmcnt(58) lgkmcnt(0)
	v_mul_f64 v[36:37], v[12:13], v[42:43]
	ds_read_b128 v[2:5], v1 offset:1584
	s_waitcnt vmcnt(56)
	v_fma_f64 v[40:41], v[6:7], v[46:47], -v[40:41]
	v_mul_f64 v[32:33], v[10:11], v[42:43]
	v_add_f64 v[18:19], v[18:19], v[34:35]
	v_fma_f64 v[34:35], v[8:9], v[46:47], v[120:121]
	v_add_f64 v[14:15], v[14:15], v[30:31]
	s_clause 0x4
	buffer_load_dword v31, off, s[0:3], 0 offset:892
	buffer_load_dword v42, off, s[0:3], 0 offset:904
	;; [unrolled: 1-line block ×5, first 2 shown]
	s_waitcnt vmcnt(57) lgkmcnt(0)
	v_mul_f64 v[126:127], v[2:3], v[48:49]
	v_mul_f64 v[47:48], v[4:5], v[48:49]
	s_waitcnt vmcnt(56)
	v_fma_f64 v[36:37], v[10:11], v[44:45], -v[36:37]
	ds_read_b128 v[6:9], v1 offset:1600
	v_fma_f64 v[32:33], v[12:13], v[44:45], v[32:33]
	v_add_f64 v[18:19], v[18:19], v[40:41]
	v_add_f64 v[14:15], v[14:15], v[34:35]
	s_clause 0x2
	buffer_load_dword v43, off, s[0:3], 0 offset:908
	buffer_load_dword v35, off, s[0:3], 0 offset:884
	buffer_load_dword v34, off, s[0:3], 0 offset:880
	ds_read_b128 v[10:13], v1 offset:1616
	s_waitcnt vmcnt(58) lgkmcnt(1)
	v_mul_f64 v[44:45], v[8:9], v[50:51]
	s_waitcnt vmcnt(56)
	v_fma_f64 v[48:49], v[2:3], v[54:55], -v[47:48]
	v_mul_f64 v[40:41], v[6:7], v[50:51]
	v_add_f64 v[18:19], v[18:19], v[36:37]
	v_fma_f64 v[36:37], v[4:5], v[54:55], v[126:127]
	v_add_f64 v[14:15], v[14:15], v[32:33]
	s_clause 0x4
	buffer_load_dword v33, off, s[0:3], 0 offset:924
	buffer_load_dword v50, off, s[0:3], 0 offset:936
	;; [unrolled: 1-line block ×5, first 2 shown]
	s_waitcnt vmcnt(57) lgkmcnt(0)
	v_mul_f64 v[126:127], v[10:11], v[56:57]
	v_mul_f64 v[55:56], v[12:13], v[56:57]
	s_waitcnt vmcnt(56)
	v_fma_f64 v[44:45], v[6:7], v[52:53], -v[44:45]
	ds_read_b128 v[2:5], v1 offset:1632
	v_fma_f64 v[40:41], v[8:9], v[52:53], v[40:41]
	v_add_f64 v[18:19], v[18:19], v[48:49]
	v_add_f64 v[14:15], v[14:15], v[36:37]
	s_clause 0x2
	buffer_load_dword v51, off, s[0:3], 0 offset:940
	buffer_load_dword v37, off, s[0:3], 0 offset:916
	;; [unrolled: 1-line block ×3, first 2 shown]
	ds_read_b128 v[6:9], v1 offset:1648
	s_waitcnt vmcnt(58) lgkmcnt(1)
	v_mul_f64 v[52:53], v[4:5], v[58:59]
	s_waitcnt vmcnt(56)
	v_fma_f64 v[56:57], v[10:11], v[62:63], -v[55:56]
	v_mul_f64 v[48:49], v[2:3], v[58:59]
	v_add_f64 v[18:19], v[18:19], v[44:45]
	v_fma_f64 v[44:45], v[12:13], v[62:63], v[126:127]
	v_add_f64 v[14:15], v[14:15], v[40:41]
	s_clause 0x2
	buffer_load_dword v41, off, s[0:3], 0 offset:956
	buffer_load_dword v40, off, s[0:3], 0 offset:952
	;; [unrolled: 1-line block ×3, first 2 shown]
	s_waitcnt vmcnt(55) lgkmcnt(0)
	v_mul_f64 v[62:63], v[8:9], v[64:65]
	s_waitcnt vmcnt(54)
	v_fma_f64 v[52:53], v[2:3], v[60:61], -v[52:53]
	ds_read_b128 v[10:13], v1 offset:1664
	v_mul_f64 v[58:59], v[6:7], v[64:65]
	v_fma_f64 v[48:49], v[4:5], v[60:61], v[48:49]
	v_add_f64 v[18:19], v[18:19], v[56:57]
	v_add_f64 v[14:15], v[14:15], v[44:45]
	s_clause 0x1
	buffer_load_dword v45, off, s[0:3], 0 offset:948
	buffer_load_dword v44, off, s[0:3], 0 offset:944
	s_waitcnt vmcnt(55) lgkmcnt(0)
	v_mul_f64 v[60:61], v[12:13], v[66:67]
	s_waitcnt vmcnt(53)
	v_fma_f64 v[62:63], v[6:7], v[105:106], -v[62:63]
	ds_read_b128 v[2:5], v1 offset:1680
	v_mul_f64 v[56:57], v[10:11], v[66:67]
	v_add_f64 v[18:19], v[18:19], v[52:53]
	v_fma_f64 v[52:53], v[8:9], v[105:106], v[58:59]
	v_add_f64 v[14:15], v[14:15], v[48:49]
	ds_read_b128 v[6:9], v1 offset:1696
	s_waitcnt vmcnt(49) lgkmcnt(1)
	v_mul_f64 v[58:59], v[4:5], v[111:112]
	s_waitcnt vmcnt(48)
	v_fma_f64 v[60:61], v[10:11], v[70:71], -v[60:61]
	v_mul_f64 v[48:49], v[2:3], v[111:112]
	v_fma_f64 v[56:57], v[12:13], v[70:71], v[56:57]
	v_add_f64 v[18:19], v[18:19], v[62:63]
	v_add_f64 v[14:15], v[14:15], v[52:53]
	s_clause 0x3
	buffer_load_dword v52, off, s[0:3], 0 offset:496
	buffer_load_dword v53, off, s[0:3], 0 offset:500
	;; [unrolled: 1-line block ×4, first 2 shown]
	ds_read_b128 v[10:13], v1 offset:1712
	s_waitcnt vmcnt(51) lgkmcnt(1)
	v_mul_f64 v[66:67], v[8:9], v[113:114]
	v_mul_f64 v[64:65], v[6:7], v[113:114]
	s_waitcnt vmcnt(49)
	v_fma_f64 v[58:59], v[2:3], v[109:110], -v[58:59]
	v_fma_f64 v[48:49], v[4:5], v[109:110], v[48:49]
	ds_read_b128 v[2:5], v1 offset:1728
	v_add_f64 v[18:19], v[18:19], v[60:61]
	v_add_f64 v[14:15], v[14:15], v[56:57]
	s_waitcnt vmcnt(45) lgkmcnt(1)
	v_mul_f64 v[56:57], v[10:11], v[20:21]
	v_mul_f64 v[20:21], v[12:13], v[20:21]
	s_waitcnt vmcnt(44)
	v_fma_f64 v[60:61], v[6:7], v[115:116], -v[66:67]
	v_add_f64 v[18:19], v[18:19], v[58:59]
	v_fma_f64 v[58:59], v[8:9], v[115:116], v[64:65]
	v_add_f64 v[14:15], v[14:15], v[48:49]
	ds_read_b128 v[6:9], v1 offset:1744
	s_waitcnt vmcnt(43) lgkmcnt(1)
	v_mul_f64 v[64:65], v[4:5], v[117:118]
	v_mul_f64 v[48:49], v[2:3], v[117:118]
	s_waitcnt vmcnt(41)
	v_fma_f64 v[20:21], v[10:11], v[16:17], -v[20:21]
	v_fma_f64 v[16:17], v[12:13], v[16:17], v[56:57]
	ds_read_b128 v[10:13], v1 offset:1760
	v_add_f64 v[18:19], v[18:19], v[60:61]
	v_add_f64 v[14:15], v[14:15], v[58:59]
	s_waitcnt vmcnt(37) lgkmcnt(1)
	v_mul_f64 v[56:57], v[6:7], v[28:29]
	v_mul_f64 v[28:29], v[8:9], v[28:29]
	s_waitcnt vmcnt(36)
	v_fma_f64 v[58:59], v[2:3], v[122:123], -v[64:65]
	v_add_f64 v[18:19], v[18:19], v[20:21]
	v_fma_f64 v[20:21], v[4:5], v[122:123], v[48:49]
	v_add_f64 v[14:15], v[14:15], v[16:17]
	ds_read_b128 v[2:5], v1 offset:1776
	s_waitcnt vmcnt(35) lgkmcnt(1)
	v_mul_f64 v[48:49], v[12:13], v[107:108]
	v_mul_f64 v[16:17], v[10:11], v[107:108]
	s_waitcnt vmcnt(33)
	v_fma_f64 v[28:29], v[6:7], v[26:27], -v[28:29]
	v_fma_f64 v[26:27], v[8:9], v[26:27], v[56:57]
	ds_read_b128 v[6:9], v1 offset:1792
	v_add_f64 v[18:19], v[18:19], v[58:59]
	v_add_f64 v[14:15], v[14:15], v[20:21]
	s_waitcnt vmcnt(29) lgkmcnt(1)
	v_mul_f64 v[20:21], v[2:3], v[22:23]
	v_mul_f64 v[22:23], v[4:5], v[22:23]
	s_waitcnt vmcnt(28)
	v_fma_f64 v[48:49], v[10:11], v[124:125], -v[48:49]
	v_fma_f64 v[16:17], v[12:13], v[124:125], v[16:17]
	ds_read_b128 v[10:13], v1 offset:1808
	v_add_f64 v[18:19], v[18:19], v[28:29]
	v_add_f64 v[14:15], v[14:15], v[26:27]
	;; [unrolled: 9-line block ×3, first 2 shown]
	s_waitcnt vmcnt(21) lgkmcnt(1)
	v_mul_f64 v[24:25], v[12:13], v[30:31]
	s_waitcnt vmcnt(20)
	v_fma_f64 v[28:29], v[6:7], v[119:120], -v[28:29]
	v_mul_f64 v[16:17], v[10:11], v[30:31]
	v_add_f64 v[18:19], v[18:19], v[22:23]
	v_fma_f64 v[22:23], v[8:9], v[119:120], v[26:27]
	v_add_f64 v[14:15], v[14:15], v[20:21]
	ds_read_b128 v[6:9], v1 offset:1840
	s_waitcnt vmcnt(19) lgkmcnt(1)
	v_mul_f64 v[26:27], v[4:5], v[42:43]
	v_mul_f64 v[20:21], v[2:3], v[42:43]
	s_waitcnt vmcnt(17)
	v_fma_f64 v[24:25], v[10:11], v[34:35], -v[24:25]
	v_fma_f64 v[16:17], v[12:13], v[34:35], v[16:17]
	ds_read_b128 v[10:13], v1 offset:1856
	v_add_f64 v[18:19], v[18:19], v[28:29]
	v_add_f64 v[14:15], v[14:15], v[22:23]
	s_waitcnt vmcnt(13) lgkmcnt(1)
	v_mul_f64 v[28:29], v[8:9], v[32:33]
	s_waitcnt vmcnt(12)
	v_fma_f64 v[26:27], v[2:3], v[46:47], -v[26:27]
	v_mul_f64 v[22:23], v[6:7], v[32:33]
	v_fma_f64 v[20:21], v[4:5], v[46:47], v[20:21]
	ds_read_b128 v[1:4], v1 offset:1872
	v_add_f64 v[18:19], v[18:19], v[24:25]
	v_add_f64 v[14:15], v[14:15], v[16:17]
	s_waitcnt vmcnt(11) lgkmcnt(1)
	v_mul_f64 v[24:25], v[12:13], v[50:51]
	v_mul_f64 v[16:17], v[10:11], v[50:51]
	s_waitcnt vmcnt(9)
	v_fma_f64 v[5:6], v[6:7], v[36:37], -v[28:29]
	v_fma_f64 v[7:8], v[8:9], v[36:37], v[22:23]
	v_add_f64 v[18:19], v[18:19], v[26:27]
	v_add_f64 v[14:15], v[14:15], v[20:21]
	s_waitcnt vmcnt(7) lgkmcnt(0)
	v_mul_f64 v[22:23], v[3:4], v[40:41]
	s_waitcnt vmcnt(6)
	v_fma_f64 v[9:10], v[10:11], v[54:55], -v[24:25]
	v_mul_f64 v[20:21], v[1:2], v[40:41]
	v_fma_f64 v[11:12], v[12:13], v[54:55], v[16:17]
	v_add_f64 v[5:6], v[18:19], v[5:6]
	v_add_f64 v[7:8], v[14:15], v[7:8]
	s_waitcnt vmcnt(4)
	v_fma_f64 v[1:2], v[1:2], v[44:45], -v[22:23]
	v_fma_f64 v[3:4], v[3:4], v[44:45], v[20:21]
	v_add_f64 v[5:6], v[5:6], v[9:10]
	v_add_f64 v[7:8], v[7:8], v[11:12]
	;; [unrolled: 1-line block ×4, first 2 shown]
	s_waitcnt vmcnt(2)
	v_add_f64 v[1:2], v[52:53], -v[1:2]
	s_waitcnt vmcnt(0)
	v_add_f64 v[3:4], v[62:63], -v[3:4]
	buffer_store_dword v2, off, s[0:3], 0 offset:500
	buffer_store_dword v1, off, s[0:3], 0 offset:496
	;; [unrolled: 1-line block ×4, first 2 shown]
	v_cmpx_lt_u32_e32 29, v0
	s_cbranch_execz .LBB58_309
; %bb.308:
	v_mov_b32_e32 v4, s42
	v_mov_b32_e32 v5, 0
	s_clause 0x3
	buffer_load_dword v1, v4, s[0:3], 0 offen
	buffer_load_dword v2, v4, s[0:3], 0 offen offset:4
	buffer_load_dword v3, v4, s[0:3], 0 offen offset:8
	;; [unrolled: 1-line block ×3, first 2 shown]
	buffer_store_dword v5, off, s[0:3], 0 offset:480
	buffer_store_dword v5, off, s[0:3], 0 offset:484
	;; [unrolled: 1-line block ×4, first 2 shown]
	s_waitcnt vmcnt(0)
	ds_write_b128 v69, v[1:4]
.LBB58_309:
	s_or_b32 exec_lo, exec_lo, s4
	s_waitcnt lgkmcnt(0)
	s_waitcnt_vscnt null, 0x0
	s_barrier
	buffer_gl0_inv
	s_clause 0x37
	buffer_load_dword v9, off, s[0:3], 0 offset:504
	buffer_load_dword v10, off, s[0:3], 0 offset:508
	;; [unrolled: 1-line block ×56, first 2 shown]
	v_mov_b32_e32 v11, 0
	s_mov_b32 s4, exec_lo
	ds_read_b128 v[5:8], v11 offset:1424
	s_clause 0x2
	buffer_load_dword v71, off, s[0:3], 0 offset:732
	buffer_load_dword v108, off, s[0:3], 0 offset:708
	;; [unrolled: 1-line block ×3, first 2 shown]
	ds_read_b128 v[12:15], v11 offset:1440
	s_clause 0x4
	buffer_load_dword v112, off, s[0:3], 0 offset:748
	buffer_load_dword v113, off, s[0:3], 0 offset:760
	;; [unrolled: 1-line block ×5, first 2 shown]
	ds_read_b128 v[16:19], v11 offset:1456
	s_waitcnt vmcnt(62) lgkmcnt(2)
	v_mul_f64 v[109:110], v[7:8], v[9:10]
	v_mul_f64 v[9:10], v[5:6], v[9:10]
	s_waitcnt vmcnt(60) lgkmcnt(1)
	v_mul_f64 v[116:117], v[14:15], v[20:21]
	v_mul_f64 v[20:21], v[12:13], v[20:21]
	s_waitcnt vmcnt(56) lgkmcnt(0)
	v_mul_f64 v[120:121], v[18:19], v[3:4]
	v_mul_f64 v[118:119], v[16:17], v[3:4]
	v_fma_f64 v[109:110], v[5:6], v[22:23], -v[109:110]
	v_fma_f64 v[9:10], v[7:8], v[22:23], v[9:10]
	s_clause 0x2
	buffer_load_dword v114, off, s[0:3], 0 offset:764
	buffer_load_dword v23, off, s[0:3], 0 offset:740
	;; [unrolled: 1-line block ×3, first 2 shown]
	s_waitcnt vmcnt(57)
	v_fma_f64 v[12:13], v[12:13], v[1:2], -v[116:117]
	ds_read_b128 v[5:8], v11 offset:1472
	v_fma_f64 v[14:15], v[14:15], v[1:2], v[20:21]
	s_clause 0x4
	buffer_load_dword v21, off, s[0:3], 0 offset:780
	buffer_load_dword v117, off, s[0:3], 0 offset:792
	;; [unrolled: 1-line block ×5, first 2 shown]
	s_waitcnt vmcnt(56)
	v_fma_f64 v[16:17], v[16:17], v[30:31], -v[120:121]
	ds_read_b128 v[1:4], v11 offset:1488
	v_fma_f64 v[18:19], v[18:19], v[30:31], v[118:119]
	s_clause 0x2
	buffer_load_dword v118, off, s[0:3], 0 offset:796
	buffer_load_dword v31, off, s[0:3], 0 offset:772
	;; [unrolled: 1-line block ×3, first 2 shown]
	v_add_f64 v[109:110], v[109:110], 0
	v_add_f64 v[9:10], v[9:10], 0
	s_waitcnt lgkmcnt(1)
	v_mul_f64 v[123:124], v[5:6], v[24:25]
	v_mul_f64 v[24:25], v[7:8], v[24:25]
	s_waitcnt vmcnt(58) lgkmcnt(0)
	v_mul_f64 v[119:120], v[1:2], v[26:27]
	v_mul_f64 v[26:27], v[3:4], v[26:27]
	v_add_f64 v[109:110], v[109:110], v[12:13]
	v_add_f64 v[9:10], v[9:10], v[14:15]
	ds_read_b128 v[12:15], v11 offset:1504
	s_waitcnt vmcnt(56)
	v_fma_f64 v[24:25], v[5:6], v[32:33], -v[24:25]
	v_fma_f64 v[32:33], v[7:8], v[32:33], v[123:124]
	s_waitcnt vmcnt(51)
	v_fma_f64 v[26:27], v[1:2], v[28:29], -v[26:27]
	s_waitcnt lgkmcnt(0)
	v_mul_f64 v[125:126], v[12:13], v[34:35]
	v_add_f64 v[16:17], v[109:110], v[16:17]
	v_add_f64 v[9:10], v[9:10], v[18:19]
	s_clause 0x4
	buffer_load_dword v19, off, s[0:3], 0 offset:812
	buffer_load_dword v109, off, s[0:3], 0 offset:824
	buffer_load_dword v124, off, s[0:3], 0 offset:816
	buffer_load_dword v18, off, s[0:3], 0 offset:808
	buffer_load_dword v123, off, s[0:3], 0 offset:788
	v_mul_f64 v[34:35], v[14:15], v[34:35]
	ds_read_b128 v[5:8], v11 offset:1520
	v_add_f64 v[16:17], v[16:17], v[24:25]
	v_fma_f64 v[24:25], v[3:4], v[28:29], v[119:120]
	v_add_f64 v[9:10], v[9:10], v[32:33]
	s_clause 0x2
	buffer_load_dword v110, off, s[0:3], 0 offset:828
	buffer_load_dword v29, off, s[0:3], 0 offset:804
	;; [unrolled: 1-line block ×3, first 2 shown]
	s_waitcnt vmcnt(58) lgkmcnt(0)
	v_mul_f64 v[32:33], v[5:6], v[36:37]
	v_mul_f64 v[36:37], v[7:8], v[36:37]
	s_waitcnt vmcnt(56)
	v_fma_f64 v[34:35], v[12:13], v[40:41], -v[34:35]
	ds_read_b128 v[1:4], v11 offset:1536
	v_add_f64 v[16:17], v[16:17], v[26:27]
	v_fma_f64 v[26:27], v[14:15], v[40:41], v[125:126]
	v_add_f64 v[9:10], v[9:10], v[24:25]
	s_clause 0x4
	buffer_load_dword v25, off, s[0:3], 0 offset:844
	buffer_load_dword v40, off, s[0:3], 0 offset:856
	;; [unrolled: 1-line block ×5, first 2 shown]
	ds_read_b128 v[12:15], v11 offset:1552
	s_waitcnt vmcnt(57) lgkmcnt(1)
	v_mul_f64 v[120:121], v[1:2], v[42:43]
	v_mul_f64 v[42:43], v[3:4], v[42:43]
	s_waitcnt vmcnt(56)
	v_fma_f64 v[36:37], v[5:6], v[38:39], -v[36:37]
	v_fma_f64 v[32:33], v[7:8], v[38:39], v[32:33]
	v_add_f64 v[16:17], v[16:17], v[34:35]
	v_add_f64 v[9:10], v[9:10], v[26:27]
	s_clause 0x2
	buffer_load_dword v41, off, s[0:3], 0 offset:860
	buffer_load_dword v27, off, s[0:3], 0 offset:836
	;; [unrolled: 1-line block ×3, first 2 shown]
	s_waitcnt vmcnt(58) lgkmcnt(0)
	v_mul_f64 v[38:39], v[14:15], v[44:45]
	ds_read_b128 v[5:8], v11 offset:1568
	s_waitcnt vmcnt(56)
	v_fma_f64 v[42:43], v[1:2], v[48:49], -v[42:43]
	v_mul_f64 v[34:35], v[12:13], v[44:45]
	v_add_f64 v[16:17], v[16:17], v[36:37]
	v_fma_f64 v[36:37], v[3:4], v[48:49], v[120:121]
	v_add_f64 v[9:10], v[9:10], v[32:33]
	s_clause 0x4
	buffer_load_dword v33, off, s[0:3], 0 offset:876
	buffer_load_dword v44, off, s[0:3], 0 offset:888
	buffer_load_dword v48, off, s[0:3], 0 offset:880
	buffer_load_dword v32, off, s[0:3], 0 offset:872
	buffer_load_dword v120, off, s[0:3], 0 offset:852
	s_waitcnt vmcnt(57) lgkmcnt(0)
	v_mul_f64 v[126:127], v[5:6], v[50:51]
	v_mul_f64 v[49:50], v[7:8], v[50:51]
	s_waitcnt vmcnt(56)
	v_fma_f64 v[38:39], v[12:13], v[46:47], -v[38:39]
	ds_read_b128 v[1:4], v11 offset:1584
	v_fma_f64 v[34:35], v[14:15], v[46:47], v[34:35]
	v_add_f64 v[16:17], v[16:17], v[42:43]
	v_add_f64 v[9:10], v[9:10], v[36:37]
	s_clause 0x2
	buffer_load_dword v45, off, s[0:3], 0 offset:892
	buffer_load_dword v37, off, s[0:3], 0 offset:868
	buffer_load_dword v36, off, s[0:3], 0 offset:864
	ds_read_b128 v[12:15], v11 offset:1600
	s_waitcnt vmcnt(58) lgkmcnt(1)
	v_mul_f64 v[46:47], v[3:4], v[52:53]
	s_waitcnt vmcnt(56)
	v_fma_f64 v[50:51], v[5:6], v[56:57], -v[49:50]
	v_mul_f64 v[42:43], v[1:2], v[52:53]
	v_add_f64 v[16:17], v[16:17], v[38:39]
	v_fma_f64 v[38:39], v[7:8], v[56:57], v[126:127]
	v_add_f64 v[9:10], v[9:10], v[34:35]
	s_clause 0x4
	buffer_load_dword v35, off, s[0:3], 0 offset:908
	buffer_load_dword v52, off, s[0:3], 0 offset:920
	buffer_load_dword v56, off, s[0:3], 0 offset:912
	buffer_load_dword v34, off, s[0:3], 0 offset:904
	buffer_load_dword v49, off, s[0:3], 0 offset:884
	s_waitcnt vmcnt(57) lgkmcnt(0)
	v_mul_f64 v[126:127], v[12:13], v[58:59]
	v_mul_f64 v[57:58], v[14:15], v[58:59]
	s_waitcnt vmcnt(56)
	v_fma_f64 v[46:47], v[1:2], v[54:55], -v[46:47]
	ds_read_b128 v[5:8], v11 offset:1616
	v_fma_f64 v[42:43], v[3:4], v[54:55], v[42:43]
	v_add_f64 v[16:17], v[16:17], v[50:51]
	v_add_f64 v[9:10], v[9:10], v[38:39]
	s_clause 0x2
	buffer_load_dword v53, off, s[0:3], 0 offset:924
	buffer_load_dword v39, off, s[0:3], 0 offset:900
	buffer_load_dword v38, off, s[0:3], 0 offset:896
	ds_read_b128 v[1:4], v11 offset:1632
	s_waitcnt vmcnt(58) lgkmcnt(1)
	v_mul_f64 v[54:55], v[7:8], v[60:61]
	;; [unrolled: 28-line block ×3, first 2 shown]
	s_waitcnt vmcnt(56)
	v_fma_f64 v[66:67], v[1:2], v[107:108], -v[65:66]
	v_mul_f64 v[58:59], v[12:13], v[70:71]
	buffer_load_dword v65, off, s[0:3], 0 offset:948
	v_add_f64 v[16:17], v[16:17], v[54:55]
	v_fma_f64 v[54:55], v[3:4], v[107:108], v[126:127]
	v_add_f64 v[9:10], v[9:10], v[50:51]
	ds_read_b128 v[1:4], v11 offset:1680
	s_waitcnt vmcnt(53) lgkmcnt(1)
	v_mul_f64 v[70:71], v[7:8], v[111:112]
	s_waitcnt vmcnt(52)
	v_fma_f64 v[62:63], v[12:13], v[105:106], -v[62:63]
	v_mul_f64 v[50:51], v[5:6], v[111:112]
	v_fma_f64 v[58:59], v[14:15], v[105:106], v[58:59]
	ds_read_b128 v[12:15], v11 offset:1696
	v_add_f64 v[16:17], v[16:17], v[66:67]
	v_add_f64 v[9:10], v[9:10], v[54:55]
	s_waitcnt vmcnt(51) lgkmcnt(1)
	v_mul_f64 v[66:67], v[3:4], v[113:114]
	v_mul_f64 v[54:55], v[1:2], v[113:114]
	s_waitcnt vmcnt(49)
	v_fma_f64 v[70:71], v[5:6], v[22:23], -v[70:71]
	v_fma_f64 v[22:23], v[7:8], v[22:23], v[50:51]
	v_add_f64 v[16:17], v[16:17], v[62:63]
	s_waitcnt vmcnt(45) lgkmcnt(0)
	v_mul_f64 v[62:63], v[12:13], v[20:21]
	v_add_f64 v[9:10], v[9:10], v[58:59]
	s_clause 0x3
	buffer_load_dword v50, off, s[0:3], 0 offset:480
	buffer_load_dword v51, off, s[0:3], 0 offset:484
	;; [unrolled: 1-line block ×4, first 2 shown]
	v_mul_f64 v[20:21], v[14:15], v[20:21]
	ds_read_b128 v[5:8], v11 offset:1712
	s_waitcnt vmcnt(48)
	v_fma_f64 v[66:67], v[1:2], v[115:116], -v[66:67]
	v_fma_f64 v[54:55], v[3:4], v[115:116], v[54:55]
	ds_read_b128 v[1:4], v11 offset:1728
	v_add_f64 v[16:17], v[16:17], v[70:71]
	v_add_f64 v[9:10], v[9:10], v[22:23]
	s_waitcnt vmcnt(47) lgkmcnt(1)
	v_mul_f64 v[70:71], v[7:8], v[117:118]
	s_waitcnt vmcnt(45)
	v_fma_f64 v[20:21], v[12:13], v[30:31], -v[20:21]
	v_mul_f64 v[22:23], v[5:6], v[117:118]
	v_fma_f64 v[30:31], v[14:15], v[30:31], v[62:63]
	ds_read_b128 v[12:15], v11 offset:1744
	v_add_f64 v[16:17], v[16:17], v[66:67]
	v_add_f64 v[9:10], v[9:10], v[54:55]
	s_waitcnt vmcnt(41) lgkmcnt(1)
	v_mul_f64 v[54:55], v[1:2], v[18:19]
	v_mul_f64 v[18:19], v[3:4], v[18:19]
	s_waitcnt vmcnt(40)
	v_fma_f64 v[62:63], v[5:6], v[122:123], -v[70:71]
	v_add_f64 v[16:17], v[16:17], v[20:21]
	v_fma_f64 v[20:21], v[7:8], v[122:123], v[22:23]
	v_add_f64 v[9:10], v[9:10], v[30:31]
	ds_read_b128 v[5:8], v11 offset:1760
	s_waitcnt vmcnt(39) lgkmcnt(1)
	v_mul_f64 v[30:31], v[14:15], v[109:110]
	v_mul_f64 v[22:23], v[12:13], v[109:110]
	s_waitcnt vmcnt(37)
	v_fma_f64 v[18:19], v[1:2], v[28:29], -v[18:19]
	v_fma_f64 v[28:29], v[3:4], v[28:29], v[54:55]
	ds_read_b128 v[1:4], v11 offset:1776
	v_add_f64 v[16:17], v[16:17], v[62:63]
	v_add_f64 v[9:10], v[9:10], v[20:21]
	s_waitcnt vmcnt(33) lgkmcnt(1)
	v_mul_f64 v[20:21], v[5:6], v[24:25]
	v_mul_f64 v[24:25], v[7:8], v[24:25]
	s_waitcnt vmcnt(32)
	v_fma_f64 v[30:31], v[12:13], v[124:125], -v[30:31]
	v_add_f64 v[16:17], v[16:17], v[18:19]
	v_fma_f64 v[18:19], v[14:15], v[124:125], v[22:23]
	v_add_f64 v[9:10], v[9:10], v[28:29]
	ds_read_b128 v[12:15], v11 offset:1792
	s_waitcnt vmcnt(31) lgkmcnt(1)
	v_mul_f64 v[28:29], v[3:4], v[40:41]
	v_mul_f64 v[22:23], v[1:2], v[40:41]
	s_waitcnt vmcnt(29)
	v_fma_f64 v[24:25], v[5:6], v[26:27], -v[24:25]
	v_fma_f64 v[20:21], v[7:8], v[26:27], v[20:21]
	ds_read_b128 v[5:8], v11 offset:1808
	v_add_f64 v[16:17], v[16:17], v[30:31]
	v_add_f64 v[9:10], v[9:10], v[18:19]
	s_waitcnt vmcnt(25) lgkmcnt(1)
	v_mul_f64 v[26:27], v[14:15], v[32:33]
	s_waitcnt vmcnt(24)
	v_fma_f64 v[28:29], v[1:2], v[119:120], -v[28:29]
	v_mul_f64 v[18:19], v[12:13], v[32:33]
	v_fma_f64 v[22:23], v[3:4], v[119:120], v[22:23]
	ds_read_b128 v[1:4], v11 offset:1824
	v_add_f64 v[16:17], v[16:17], v[24:25]
	v_add_f64 v[9:10], v[9:10], v[20:21]
	s_waitcnt vmcnt(23) lgkmcnt(1)
	v_mul_f64 v[24:25], v[7:8], v[44:45]
	v_mul_f64 v[20:21], v[5:6], v[44:45]
	s_waitcnt vmcnt(21)
	v_fma_f64 v[26:27], v[12:13], v[36:37], -v[26:27]
	v_fma_f64 v[18:19], v[14:15], v[36:37], v[18:19]
	ds_read_b128 v[12:15], v11 offset:1840
	v_add_f64 v[16:17], v[16:17], v[28:29]
	v_add_f64 v[9:10], v[9:10], v[22:23]
	s_waitcnt vmcnt(17) lgkmcnt(1)
	v_mul_f64 v[28:29], v[3:4], v[34:35]
	s_waitcnt vmcnt(16)
	v_fma_f64 v[24:25], v[5:6], v[48:49], -v[24:25]
	v_mul_f64 v[22:23], v[1:2], v[34:35]
	v_fma_f64 v[20:21], v[7:8], v[48:49], v[20:21]
	ds_read_b128 v[5:8], v11 offset:1856
	v_add_f64 v[16:17], v[16:17], v[26:27]
	v_add_f64 v[9:10], v[9:10], v[18:19]
	s_waitcnt vmcnt(15) lgkmcnt(1)
	v_mul_f64 v[26:27], v[14:15], v[52:53]
	v_mul_f64 v[18:19], v[12:13], v[52:53]
	s_waitcnt vmcnt(13)
	v_fma_f64 v[28:29], v[1:2], v[38:39], -v[28:29]
	v_fma_f64 v[22:23], v[3:4], v[38:39], v[22:23]
	ds_read_b128 v[1:4], v11 offset:1872
	v_add_f64 v[16:17], v[16:17], v[24:25]
	v_add_f64 v[9:10], v[9:10], v[20:21]
	s_waitcnt vmcnt(9) lgkmcnt(1)
	v_mul_f64 v[24:25], v[7:8], v[42:43]
	s_waitcnt vmcnt(8)
	v_fma_f64 v[12:13], v[12:13], v[56:57], -v[26:27]
	v_mul_f64 v[20:21], v[5:6], v[42:43]
	v_fma_f64 v[14:15], v[14:15], v[56:57], v[18:19]
	v_add_f64 v[16:17], v[16:17], v[28:29]
	v_add_f64 v[9:10], v[9:10], v[22:23]
	s_waitcnt vmcnt(7) lgkmcnt(0)
	v_mul_f64 v[22:23], v[3:4], v[60:61]
	v_mul_f64 v[18:19], v[1:2], v[60:61]
	s_waitcnt vmcnt(5)
	v_fma_f64 v[5:6], v[5:6], v[46:47], -v[24:25]
	v_fma_f64 v[7:8], v[7:8], v[46:47], v[20:21]
	v_add_f64 v[12:13], v[16:17], v[12:13]
	v_add_f64 v[9:10], v[9:10], v[14:15]
	s_waitcnt vmcnt(4)
	v_fma_f64 v[1:2], v[1:2], v[64:65], -v[22:23]
	v_fma_f64 v[3:4], v[3:4], v[64:65], v[18:19]
	v_add_f64 v[5:6], v[12:13], v[5:6]
	v_add_f64 v[7:8], v[9:10], v[7:8]
	;; [unrolled: 1-line block ×4, first 2 shown]
	s_waitcnt vmcnt(2)
	v_add_f64 v[1:2], v[50:51], -v[1:2]
	s_waitcnt vmcnt(0)
	v_add_f64 v[3:4], v[58:59], -v[3:4]
	buffer_store_dword v2, off, s[0:3], 0 offset:484
	buffer_store_dword v1, off, s[0:3], 0 offset:480
	;; [unrolled: 1-line block ×4, first 2 shown]
	v_cmpx_lt_u32_e32 28, v0
	s_cbranch_execz .LBB58_311
; %bb.310:
	v_mov_b32_e32 v4, s43
	s_clause 0x3
	buffer_load_dword v1, v4, s[0:3], 0 offen
	buffer_load_dword v2, v4, s[0:3], 0 offen offset:4
	buffer_load_dword v3, v4, s[0:3], 0 offen offset:8
	;; [unrolled: 1-line block ×3, first 2 shown]
	buffer_store_dword v11, off, s[0:3], 0 offset:464
	buffer_store_dword v11, off, s[0:3], 0 offset:468
	;; [unrolled: 1-line block ×4, first 2 shown]
	s_waitcnt vmcnt(0)
	ds_write_b128 v69, v[1:4]
.LBB58_311:
	s_or_b32 exec_lo, exec_lo, s4
	s_waitcnt lgkmcnt(0)
	s_waitcnt_vscnt null, 0x0
	s_barrier
	buffer_gl0_inv
	s_clause 0x37
	buffer_load_dword v9, off, s[0:3], 0 offset:488
	buffer_load_dword v10, off, s[0:3], 0 offset:492
	;; [unrolled: 1-line block ×56, first 2 shown]
	ds_read_b128 v[12:15], v11 offset:1408
	s_clause 0x2
	buffer_load_dword v71, off, s[0:3], 0 offset:716
	buffer_load_dword v108, off, s[0:3], 0 offset:692
	;; [unrolled: 1-line block ×3, first 2 shown]
	ds_read_b128 v[16:19], v11 offset:1424
	s_clause 0x4
	buffer_load_dword v112, off, s[0:3], 0 offset:732
	buffer_load_dword v113, off, s[0:3], 0 offset:744
	;; [unrolled: 1-line block ×5, first 2 shown]
	ds_read_b128 v[20:23], v11 offset:1440
	s_clause 0x2
	buffer_load_dword v114, off, s[0:3], 0 offset:748
	buffer_load_dword v119, off, s[0:3], 0 offset:724
	;; [unrolled: 1-line block ×3, first 2 shown]
	s_mov_b32 s4, exec_lo
	s_waitcnt vmcnt(62) lgkmcnt(2)
	v_mul_f64 v[109:110], v[14:15], v[9:10]
	v_mul_f64 v[9:10], v[12:13], v[9:10]
	s_waitcnt lgkmcnt(1)
	v_mul_f64 v[116:117], v[18:19], v[5:6]
	s_waitcnt vmcnt(59) lgkmcnt(0)
	v_mul_f64 v[120:121], v[22:23], v[3:4]
	v_fma_f64 v[12:13], v[12:13], v[7:8], -v[109:110]
	v_mul_f64 v[109:110], v[16:17], v[5:6]
	v_fma_f64 v[9:10], v[14:15], v[7:8], v[9:10]
	s_waitcnt vmcnt(57)
	v_fma_f64 v[16:17], v[16:17], v[1:2], -v[116:117]
	ds_read_b128 v[5:8], v11 offset:1456
	v_mul_f64 v[14:15], v[20:21], v[3:4]
	s_waitcnt vmcnt(51)
	v_fma_f64 v[20:21], v[20:21], v[30:31], -v[120:121]
	v_add_f64 v[12:13], v[12:13], 0
	v_fma_f64 v[18:19], v[18:19], v[1:2], v[109:110]
	v_add_f64 v[9:10], v[9:10], 0
	s_clause 0x4
	buffer_load_dword v110, off, s[0:3], 0 offset:764
	buffer_load_dword v122, off, s[0:3], 0 offset:776
	;; [unrolled: 1-line block ×5, first 2 shown]
	s_waitcnt lgkmcnt(0)
	v_mul_f64 v[125:126], v[5:6], v[24:25]
	v_mul_f64 v[24:25], v[7:8], v[24:25]
	ds_read_b128 v[1:4], v11 offset:1472
	v_fma_f64 v[22:23], v[22:23], v[30:31], v[14:15]
	v_add_f64 v[16:17], v[12:13], v[16:17]
	v_add_f64 v[9:10], v[9:10], v[18:19]
	s_clause 0x2
	buffer_load_dword v123, off, s[0:3], 0 offset:780
	buffer_load_dword v19, off, s[0:3], 0 offset:756
	;; [unrolled: 1-line block ×3, first 2 shown]
	s_waitcnt vmcnt(58) lgkmcnt(0)
	v_mul_f64 v[30:31], v[1:2], v[26:27]
	v_mul_f64 v[26:27], v[3:4], v[26:27]
	s_waitcnt vmcnt(56)
	v_fma_f64 v[24:25], v[5:6], v[32:33], -v[24:25]
	ds_read_b128 v[12:15], v11 offset:1488
	v_add_f64 v[16:17], v[16:17], v[20:21]
	v_fma_f64 v[20:21], v[7:8], v[32:33], v[125:126]
	v_add_f64 v[9:10], v[9:10], v[22:23]
	s_clause 0x4
	buffer_load_dword v23, off, s[0:3], 0 offset:796
	buffer_load_dword v32, off, s[0:3], 0 offset:808
	;; [unrolled: 1-line block ×5, first 2 shown]
	ds_read_b128 v[5:8], v11 offset:1504
	s_waitcnt vmcnt(57) lgkmcnt(1)
	v_mul_f64 v[126:127], v[12:13], v[34:35]
	v_mul_f64 v[34:35], v[14:15], v[34:35]
	s_waitcnt vmcnt(56)
	v_fma_f64 v[26:27], v[1:2], v[28:29], -v[26:27]
	v_add_f64 v[16:17], v[16:17], v[24:25]
	v_fma_f64 v[24:25], v[3:4], v[28:29], v[30:31]
	v_add_f64 v[9:10], v[9:10], v[20:21]
	s_clause 0x2
	buffer_load_dword v33, off, s[0:3], 0 offset:812
	buffer_load_dword v21, off, s[0:3], 0 offset:788
	;; [unrolled: 1-line block ×3, first 2 shown]
	s_waitcnt vmcnt(58) lgkmcnt(0)
	v_mul_f64 v[30:31], v[7:8], v[36:37]
	ds_read_b128 v[1:4], v11 offset:1520
	s_waitcnt vmcnt(56)
	v_fma_f64 v[34:35], v[12:13], v[40:41], -v[34:35]
	v_mul_f64 v[28:29], v[5:6], v[36:37]
	v_add_f64 v[16:17], v[16:17], v[26:27]
	v_fma_f64 v[26:27], v[14:15], v[40:41], v[126:127]
	v_add_f64 v[9:10], v[9:10], v[24:25]
	s_clause 0x4
	buffer_load_dword v25, off, s[0:3], 0 offset:828
	buffer_load_dword v36, off, s[0:3], 0 offset:840
	buffer_load_dword v40, off, s[0:3], 0 offset:832
	buffer_load_dword v24, off, s[0:3], 0 offset:824
	buffer_load_dword v121, off, s[0:3], 0 offset:804
	s_waitcnt vmcnt(57) lgkmcnt(0)
	v_mul_f64 v[126:127], v[1:2], v[42:43]
	v_mul_f64 v[41:42], v[3:4], v[42:43]
	s_waitcnt vmcnt(56)
	v_fma_f64 v[30:31], v[5:6], v[38:39], -v[30:31]
	ds_read_b128 v[12:15], v11 offset:1536
	v_fma_f64 v[28:29], v[7:8], v[38:39], v[28:29]
	v_add_f64 v[16:17], v[16:17], v[34:35]
	v_add_f64 v[9:10], v[9:10], v[26:27]
	s_clause 0x2
	buffer_load_dword v37, off, s[0:3], 0 offset:844
	buffer_load_dword v27, off, s[0:3], 0 offset:820
	buffer_load_dword v26, off, s[0:3], 0 offset:816
	ds_read_b128 v[5:8], v11 offset:1552
	s_waitcnt vmcnt(58) lgkmcnt(1)
	v_mul_f64 v[38:39], v[14:15], v[44:45]
	s_waitcnt vmcnt(56)
	v_fma_f64 v[42:43], v[1:2], v[48:49], -v[41:42]
	v_mul_f64 v[34:35], v[12:13], v[44:45]
	v_add_f64 v[16:17], v[16:17], v[30:31]
	v_fma_f64 v[30:31], v[3:4], v[48:49], v[126:127]
	v_add_f64 v[9:10], v[9:10], v[28:29]
	s_clause 0x4
	buffer_load_dword v29, off, s[0:3], 0 offset:860
	buffer_load_dword v44, off, s[0:3], 0 offset:872
	buffer_load_dword v48, off, s[0:3], 0 offset:864
	buffer_load_dword v28, off, s[0:3], 0 offset:856
	buffer_load_dword v41, off, s[0:3], 0 offset:836
	s_waitcnt vmcnt(57) lgkmcnt(0)
	v_mul_f64 v[126:127], v[5:6], v[50:51]
	v_mul_f64 v[49:50], v[7:8], v[50:51]
	s_waitcnt vmcnt(56)
	v_fma_f64 v[38:39], v[12:13], v[46:47], -v[38:39]
	ds_read_b128 v[1:4], v11 offset:1568
	v_fma_f64 v[34:35], v[14:15], v[46:47], v[34:35]
	v_add_f64 v[16:17], v[16:17], v[42:43]
	v_add_f64 v[9:10], v[9:10], v[30:31]
	s_clause 0x2
	buffer_load_dword v45, off, s[0:3], 0 offset:876
	buffer_load_dword v31, off, s[0:3], 0 offset:852
	buffer_load_dword v30, off, s[0:3], 0 offset:848
	ds_read_b128 v[12:15], v11 offset:1584
	s_waitcnt vmcnt(58) lgkmcnt(1)
	v_mul_f64 v[46:47], v[3:4], v[52:53]
	;; [unrolled: 28-line block ×4, first 2 shown]
	s_waitcnt vmcnt(56)
	v_fma_f64 v[66:67], v[1:2], v[107:108], -v[65:66]
	v_mul_f64 v[58:59], v[12:13], v[70:71]
	v_add_f64 v[16:17], v[16:17], v[54:55]
	v_fma_f64 v[54:55], v[3:4], v[107:108], v[126:127]
	v_add_f64 v[9:10], v[9:10], v[50:51]
	s_clause 0x2
	buffer_load_dword v51, off, s[0:3], 0 offset:956
	buffer_load_dword v50, off, s[0:3], 0 offset:952
	;; [unrolled: 1-line block ×3, first 2 shown]
	s_waitcnt vmcnt(55) lgkmcnt(0)
	v_mul_f64 v[107:108], v[7:8], v[111:112]
	s_waitcnt vmcnt(54)
	v_fma_f64 v[62:63], v[12:13], v[105:106], -v[62:63]
	ds_read_b128 v[1:4], v11 offset:1664
	v_mul_f64 v[70:71], v[5:6], v[111:112]
	v_fma_f64 v[58:59], v[14:15], v[105:106], v[58:59]
	v_add_f64 v[16:17], v[16:17], v[66:67]
	v_add_f64 v[9:10], v[9:10], v[54:55]
	s_clause 0x1
	buffer_load_dword v55, off, s[0:3], 0 offset:948
	buffer_load_dword v54, off, s[0:3], 0 offset:944
	s_waitcnt vmcnt(55) lgkmcnt(0)
	v_mul_f64 v[105:106], v[3:4], v[113:114]
	s_waitcnt vmcnt(53)
	v_fma_f64 v[107:108], v[5:6], v[118:119], -v[107:108]
	ds_read_b128 v[12:15], v11 offset:1680
	v_mul_f64 v[66:67], v[1:2], v[113:114]
	v_add_f64 v[16:17], v[16:17], v[62:63]
	v_fma_f64 v[62:63], v[7:8], v[118:119], v[70:71]
	v_add_f64 v[9:10], v[9:10], v[58:59]
	ds_read_b128 v[5:8], v11 offset:1696
	s_waitcnt vmcnt(49) lgkmcnt(1)
	v_mul_f64 v[70:71], v[14:15], v[109:110]
	s_waitcnt vmcnt(48)
	v_fma_f64 v[105:106], v[1:2], v[115:116], -v[105:106]
	v_mul_f64 v[58:59], v[12:13], v[109:110]
	v_fma_f64 v[66:67], v[3:4], v[115:116], v[66:67]
	v_add_f64 v[16:17], v[16:17], v[107:108]
	v_add_f64 v[9:10], v[9:10], v[62:63]
	s_clause 0x3
	buffer_load_dword v62, off, s[0:3], 0 offset:464
	buffer_load_dword v63, off, s[0:3], 0 offset:468
	;; [unrolled: 1-line block ×4, first 2 shown]
	ds_read_b128 v[1:4], v11 offset:1712
	s_waitcnt vmcnt(51) lgkmcnt(1)
	v_mul_f64 v[111:112], v[7:8], v[122:123]
	v_mul_f64 v[109:110], v[5:6], v[122:123]
	s_waitcnt vmcnt(49)
	v_fma_f64 v[70:71], v[12:13], v[18:19], -v[70:71]
	v_fma_f64 v[18:19], v[14:15], v[18:19], v[58:59]
	ds_read_b128 v[12:15], v11 offset:1728
	v_add_f64 v[16:17], v[16:17], v[105:106]
	v_add_f64 v[9:10], v[9:10], v[66:67]
	s_waitcnt vmcnt(45) lgkmcnt(1)
	v_mul_f64 v[58:59], v[1:2], v[22:23]
	v_mul_f64 v[22:23], v[3:4], v[22:23]
	s_waitcnt vmcnt(44)
	v_fma_f64 v[66:67], v[5:6], v[124:125], -v[111:112]
	v_add_f64 v[16:17], v[16:17], v[70:71]
	v_fma_f64 v[70:71], v[7:8], v[124:125], v[109:110]
	v_add_f64 v[9:10], v[9:10], v[18:19]
	ds_read_b128 v[5:8], v11 offset:1744
	s_waitcnt vmcnt(43) lgkmcnt(1)
	v_mul_f64 v[18:19], v[12:13], v[32:33]
	v_mul_f64 v[32:33], v[14:15], v[32:33]
	s_waitcnt vmcnt(41)
	v_fma_f64 v[22:23], v[1:2], v[20:21], -v[22:23]
	v_fma_f64 v[20:21], v[3:4], v[20:21], v[58:59]
	ds_read_b128 v[1:4], v11 offset:1760
	v_add_f64 v[16:17], v[16:17], v[66:67]
	v_add_f64 v[9:10], v[9:10], v[70:71]
	s_waitcnt vmcnt(37) lgkmcnt(1)
	v_mul_f64 v[58:59], v[5:6], v[24:25]
	v_mul_f64 v[24:25], v[7:8], v[24:25]
	s_waitcnt vmcnt(36)
	v_fma_f64 v[32:33], v[12:13], v[120:121], -v[32:33]
	v_fma_f64 v[18:19], v[14:15], v[120:121], v[18:19]
	ds_read_b128 v[12:15], v11 offset:1776
	v_add_f64 v[16:17], v[16:17], v[22:23]
	v_add_f64 v[9:10], v[9:10], v[20:21]
	;; [unrolled: 9-line block ×5, first 2 shown]
	s_waitcnt vmcnt(21) lgkmcnt(1)
	v_mul_f64 v[22:23], v[3:4], v[34:35]
	s_waitcnt vmcnt(20)
	v_fma_f64 v[26:27], v[5:6], v[48:49], -v[26:27]
	v_mul_f64 v[20:21], v[1:2], v[34:35]
	v_fma_f64 v[24:25], v[7:8], v[48:49], v[24:25]
	ds_read_b128 v[5:8], v11 offset:1840
	v_add_f64 v[16:17], v[16:17], v[28:29]
	v_add_f64 v[9:10], v[9:10], v[18:19]
	s_waitcnt vmcnt(19) lgkmcnt(1)
	v_mul_f64 v[28:29], v[14:15], v[52:53]
	v_mul_f64 v[18:19], v[12:13], v[52:53]
	s_waitcnt vmcnt(17)
	v_fma_f64 v[22:23], v[1:2], v[38:39], -v[22:23]
	v_fma_f64 v[20:21], v[3:4], v[38:39], v[20:21]
	ds_read_b128 v[1:4], v11 offset:1856
	v_add_f64 v[16:17], v[16:17], v[26:27]
	v_add_f64 v[9:10], v[9:10], v[24:25]
	s_waitcnt vmcnt(13) lgkmcnt(1)
	v_mul_f64 v[26:27], v[7:8], v[42:43]
	s_waitcnt vmcnt(12)
	v_fma_f64 v[28:29], v[12:13], v[56:57], -v[28:29]
	v_mul_f64 v[24:25], v[5:6], v[42:43]
	v_fma_f64 v[13:14], v[14:15], v[56:57], v[18:19]
	v_add_f64 v[16:17], v[16:17], v[22:23]
	v_add_f64 v[18:19], v[9:10], v[20:21]
	ds_read_b128 v[9:12], v11 offset:1872
	s_waitcnt vmcnt(11) lgkmcnt(1)
	v_mul_f64 v[22:23], v[3:4], v[60:61]
	v_mul_f64 v[20:21], v[1:2], v[60:61]
	s_waitcnt vmcnt(9)
	v_fma_f64 v[5:6], v[5:6], v[46:47], -v[26:27]
	v_fma_f64 v[7:8], v[7:8], v[46:47], v[24:25]
	v_add_f64 v[15:16], v[16:17], v[28:29]
	v_add_f64 v[13:14], v[18:19], v[13:14]
	s_waitcnt vmcnt(7) lgkmcnt(0)
	v_mul_f64 v[24:25], v[11:12], v[50:51]
	s_waitcnt vmcnt(6)
	v_fma_f64 v[1:2], v[1:2], v[64:65], -v[22:23]
	v_mul_f64 v[17:18], v[9:10], v[50:51]
	v_fma_f64 v[3:4], v[3:4], v[64:65], v[20:21]
	v_add_f64 v[5:6], v[15:16], v[5:6]
	v_add_f64 v[7:8], v[13:14], v[7:8]
	s_waitcnt vmcnt(4)
	v_fma_f64 v[9:10], v[9:10], v[54:55], -v[24:25]
	v_add_f64 v[1:2], v[5:6], v[1:2]
	v_fma_f64 v[5:6], v[11:12], v[54:55], v[17:18]
	v_add_f64 v[3:4], v[7:8], v[3:4]
	v_add_f64 v[1:2], v[1:2], v[9:10]
	;; [unrolled: 1-line block ×3, first 2 shown]
	s_waitcnt vmcnt(2)
	v_add_f64 v[1:2], v[62:63], -v[1:2]
	s_waitcnt vmcnt(0)
	v_add_f64 v[3:4], v[107:108], -v[3:4]
	buffer_store_dword v2, off, s[0:3], 0 offset:468
	buffer_store_dword v1, off, s[0:3], 0 offset:464
	;; [unrolled: 1-line block ×4, first 2 shown]
	v_cmpx_lt_u32_e32 27, v0
	s_cbranch_execz .LBB58_313
; %bb.312:
	v_mov_b32_e32 v4, s44
	v_mov_b32_e32 v5, 0
	s_clause 0x3
	buffer_load_dword v1, v4, s[0:3], 0 offen
	buffer_load_dword v2, v4, s[0:3], 0 offen offset:4
	buffer_load_dword v3, v4, s[0:3], 0 offen offset:8
	;; [unrolled: 1-line block ×3, first 2 shown]
	buffer_store_dword v5, off, s[0:3], 0 offset:448
	buffer_store_dword v5, off, s[0:3], 0 offset:452
	;; [unrolled: 1-line block ×4, first 2 shown]
	s_waitcnt vmcnt(0)
	ds_write_b128 v69, v[1:4]
.LBB58_313:
	s_or_b32 exec_lo, exec_lo, s4
	s_waitcnt lgkmcnt(0)
	s_waitcnt_vscnt null, 0x0
	s_barrier
	buffer_gl0_inv
	s_clause 0x37
	buffer_load_dword v9, off, s[0:3], 0 offset:472
	buffer_load_dword v10, off, s[0:3], 0 offset:476
	;; [unrolled: 1-line block ×56, first 2 shown]
	v_mov_b32_e32 v29, 0
	s_mov_b32 s4, exec_lo
	ds_read_b128 v[17:20], v29 offset:1392
	s_clause 0x2
	buffer_load_dword v71, off, s[0:3], 0 offset:700
	buffer_load_dword v108, off, s[0:3], 0 offset:676
	;; [unrolled: 1-line block ×3, first 2 shown]
	ds_read_b128 v[21:24], v29 offset:1408
	s_clause 0x4
	buffer_load_dword v112, off, s[0:3], 0 offset:716
	buffer_load_dword v113, off, s[0:3], 0 offset:728
	;; [unrolled: 1-line block ×5, first 2 shown]
	ds_read_b128 v[25:28], v29 offset:1424
	s_clause 0x2
	buffer_load_dword v114, off, s[0:3], 0 offset:732
	buffer_load_dword v119, off, s[0:3], 0 offset:708
	;; [unrolled: 1-line block ×3, first 2 shown]
	s_waitcnt vmcnt(62) lgkmcnt(2)
	v_mul_f64 v[109:110], v[19:20], v[9:10]
	v_mul_f64 v[9:10], v[17:18], v[9:10]
	s_waitcnt lgkmcnt(1)
	v_mul_f64 v[116:117], v[23:24], v[5:6]
	s_waitcnt vmcnt(59) lgkmcnt(0)
	v_mul_f64 v[120:121], v[27:28], v[3:4]
	v_fma_f64 v[17:18], v[17:18], v[7:8], -v[109:110]
	v_mul_f64 v[109:110], v[21:22], v[5:6]
	v_fma_f64 v[9:10], v[19:20], v[7:8], v[9:10]
	s_waitcnt vmcnt(57)
	v_fma_f64 v[21:22], v[21:22], v[1:2], -v[116:117]
	ds_read_b128 v[5:8], v29 offset:1440
	v_mul_f64 v[19:20], v[25:26], v[3:4]
	s_waitcnt vmcnt(51)
	v_fma_f64 v[25:26], v[25:26], v[32:33], -v[120:121]
	v_add_f64 v[17:18], v[17:18], 0
	v_fma_f64 v[23:24], v[23:24], v[1:2], v[109:110]
	v_add_f64 v[9:10], v[9:10], 0
	s_clause 0x4
	buffer_load_dword v110, off, s[0:3], 0 offset:748
	buffer_load_dword v122, off, s[0:3], 0 offset:760
	;; [unrolled: 1-line block ×5, first 2 shown]
	s_waitcnt lgkmcnt(0)
	v_mul_f64 v[125:126], v[5:6], v[13:14]
	v_mul_f64 v[13:14], v[7:8], v[13:14]
	ds_read_b128 v[1:4], v29 offset:1456
	v_fma_f64 v[27:28], v[27:28], v[32:33], v[19:20]
	v_add_f64 v[21:22], v[17:18], v[21:22]
	v_add_f64 v[9:10], v[9:10], v[23:24]
	s_clause 0x2
	buffer_load_dword v123, off, s[0:3], 0 offset:764
	buffer_load_dword v24, off, s[0:3], 0 offset:740
	;; [unrolled: 1-line block ×3, first 2 shown]
	s_waitcnt vmcnt(58) lgkmcnt(0)
	v_mul_f64 v[32:33], v[1:2], v[30:31]
	v_mul_f64 v[30:31], v[3:4], v[30:31]
	s_waitcnt vmcnt(56)
	v_fma_f64 v[13:14], v[5:6], v[34:35], -v[13:14]
	ds_read_b128 v[17:20], v29 offset:1472
	v_add_f64 v[21:22], v[21:22], v[25:26]
	v_fma_f64 v[25:26], v[7:8], v[34:35], v[125:126]
	v_add_f64 v[9:10], v[9:10], v[27:28]
	s_clause 0x4
	buffer_load_dword v28, off, s[0:3], 0 offset:780
	buffer_load_dword v34, off, s[0:3], 0 offset:792
	;; [unrolled: 1-line block ×5, first 2 shown]
	ds_read_b128 v[5:8], v29 offset:1488
	s_waitcnt vmcnt(57) lgkmcnt(1)
	v_mul_f64 v[126:127], v[17:18], v[36:37]
	v_mul_f64 v[36:37], v[19:20], v[36:37]
	s_waitcnt vmcnt(56)
	v_fma_f64 v[30:31], v[1:2], v[11:12], -v[30:31]
	v_fma_f64 v[11:12], v[3:4], v[11:12], v[32:33]
	v_add_f64 v[13:14], v[21:22], v[13:14]
	s_clause 0x2
	buffer_load_dword v35, off, s[0:3], 0 offset:796
	buffer_load_dword v22, off, s[0:3], 0 offset:772
	buffer_load_dword v21, off, s[0:3], 0 offset:768
	v_add_f64 v[9:10], v[9:10], v[25:26]
	s_waitcnt vmcnt(58) lgkmcnt(0)
	v_mul_f64 v[32:33], v[7:8], v[38:39]
	ds_read_b128 v[1:4], v29 offset:1504
	v_mul_f64 v[25:26], v[5:6], v[38:39]
	s_waitcnt vmcnt(56)
	v_fma_f64 v[17:18], v[17:18], v[40:41], -v[36:37]
	v_fma_f64 v[19:20], v[19:20], v[40:41], v[126:127]
	s_clause 0x4
	buffer_load_dword v37, off, s[0:3], 0 offset:812
	buffer_load_dword v38, off, s[0:3], 0 offset:824
	buffer_load_dword v40, off, s[0:3], 0 offset:816
	buffer_load_dword v36, off, s[0:3], 0 offset:808
	buffer_load_dword v121, off, s[0:3], 0 offset:788
	v_add_f64 v[13:14], v[13:14], v[30:31]
	v_add_f64 v[30:31], v[9:10], v[11:12]
	s_waitcnt vmcnt(57) lgkmcnt(0)
	v_mul_f64 v[126:127], v[1:2], v[42:43]
	v_mul_f64 v[41:42], v[3:4], v[42:43]
	s_waitcnt vmcnt(56)
	v_fma_f64 v[32:33], v[5:6], v[15:16], -v[32:33]
	ds_read_b128 v[9:12], v29 offset:1520
	v_fma_f64 v[15:16], v[7:8], v[15:16], v[25:26]
	v_add_f64 v[13:14], v[13:14], v[17:18]
	v_add_f64 v[17:18], v[30:31], v[19:20]
	s_clause 0x2
	buffer_load_dword v39, off, s[0:3], 0 offset:828
	buffer_load_dword v20, off, s[0:3], 0 offset:804
	;; [unrolled: 1-line block ×3, first 2 shown]
	s_waitcnt vmcnt(58) lgkmcnt(0)
	v_mul_f64 v[30:31], v[11:12], v[44:45]
	s_waitcnt vmcnt(56)
	v_fma_f64 v[42:43], v[1:2], v[48:49], -v[41:42]
	ds_read_b128 v[5:8], v29 offset:1536
	v_mul_f64 v[25:26], v[9:10], v[44:45]
	v_add_f64 v[13:14], v[13:14], v[32:33]
	v_fma_f64 v[32:33], v[3:4], v[48:49], v[126:127]
	v_add_f64 v[15:16], v[17:18], v[15:16]
	s_clause 0x4
	buffer_load_dword v18, off, s[0:3], 0 offset:844
	buffer_load_dword v44, off, s[0:3], 0 offset:856
	buffer_load_dword v48, off, s[0:3], 0 offset:848
	buffer_load_dword v17, off, s[0:3], 0 offset:840
	buffer_load_dword v41, off, s[0:3], 0 offset:820
	s_waitcnt vmcnt(57) lgkmcnt(0)
	v_mul_f64 v[126:127], v[5:6], v[50:51]
	v_mul_f64 v[49:50], v[7:8], v[50:51]
	s_waitcnt vmcnt(56)
	v_fma_f64 v[30:31], v[9:10], v[46:47], -v[30:31]
	ds_read_b128 v[1:4], v29 offset:1552
	v_fma_f64 v[25:26], v[11:12], v[46:47], v[25:26]
	v_add_f64 v[13:14], v[13:14], v[42:43]
	v_add_f64 v[15:16], v[15:16], v[32:33]
	s_clause 0x2
	buffer_load_dword v45, off, s[0:3], 0 offset:860
	buffer_load_dword v33, off, s[0:3], 0 offset:836
	buffer_load_dword v32, off, s[0:3], 0 offset:832
	ds_read_b128 v[9:12], v29 offset:1568
	s_waitcnt vmcnt(58) lgkmcnt(1)
	v_mul_f64 v[46:47], v[3:4], v[52:53]
	s_waitcnt vmcnt(56)
	v_fma_f64 v[50:51], v[5:6], v[56:57], -v[49:50]
	v_mul_f64 v[42:43], v[1:2], v[52:53]
	v_add_f64 v[13:14], v[13:14], v[30:31]
	v_fma_f64 v[30:31], v[7:8], v[56:57], v[126:127]
	v_add_f64 v[15:16], v[15:16], v[25:26]
	s_clause 0x4
	buffer_load_dword v26, off, s[0:3], 0 offset:876
	buffer_load_dword v52, off, s[0:3], 0 offset:888
	buffer_load_dword v56, off, s[0:3], 0 offset:880
	buffer_load_dword v25, off, s[0:3], 0 offset:872
	buffer_load_dword v49, off, s[0:3], 0 offset:852
	s_waitcnt vmcnt(57) lgkmcnt(0)
	v_mul_f64 v[126:127], v[9:10], v[58:59]
	v_mul_f64 v[57:58], v[11:12], v[58:59]
	s_waitcnt vmcnt(56)
	v_fma_f64 v[46:47], v[1:2], v[54:55], -v[46:47]
	ds_read_b128 v[5:8], v29 offset:1584
	v_fma_f64 v[42:43], v[3:4], v[54:55], v[42:43]
	v_add_f64 v[13:14], v[13:14], v[50:51]
	v_add_f64 v[15:16], v[15:16], v[30:31]
	s_clause 0x2
	buffer_load_dword v53, off, s[0:3], 0 offset:892
	buffer_load_dword v31, off, s[0:3], 0 offset:868
	buffer_load_dword v30, off, s[0:3], 0 offset:864
	ds_read_b128 v[1:4], v29 offset:1600
	s_waitcnt vmcnt(58) lgkmcnt(1)
	v_mul_f64 v[54:55], v[7:8], v[60:61]
	s_waitcnt vmcnt(56)
	v_fma_f64 v[58:59], v[9:10], v[64:65], -v[57:58]
	v_mul_f64 v[50:51], v[5:6], v[60:61]
	v_add_f64 v[13:14], v[13:14], v[46:47]
	v_fma_f64 v[46:47], v[11:12], v[64:65], v[126:127]
	v_add_f64 v[15:16], v[15:16], v[42:43]
	s_clause 0x4
	buffer_load_dword v43, off, s[0:3], 0 offset:908
	buffer_load_dword v60, off, s[0:3], 0 offset:920
	buffer_load_dword v64, off, s[0:3], 0 offset:912
	buffer_load_dword v42, off, s[0:3], 0 offset:904
	buffer_load_dword v57, off, s[0:3], 0 offset:884
	s_waitcnt vmcnt(57) lgkmcnt(0)
	v_mul_f64 v[126:127], v[1:2], v[66:67]
	v_mul_f64 v[65:66], v[3:4], v[66:67]
	s_waitcnt vmcnt(56)
	v_fma_f64 v[54:55], v[5:6], v[62:63], -v[54:55]
	ds_read_b128 v[9:12], v29 offset:1616
	v_fma_f64 v[50:51], v[7:8], v[62:63], v[50:51]
	v_add_f64 v[13:14], v[13:14], v[58:59]
	v_add_f64 v[15:16], v[15:16], v[46:47]
	s_clause 0x2
	buffer_load_dword v61, off, s[0:3], 0 offset:924
	buffer_load_dword v47, off, s[0:3], 0 offset:900
	buffer_load_dword v46, off, s[0:3], 0 offset:896
	ds_read_b128 v[5:8], v29 offset:1632
	s_waitcnt vmcnt(58) lgkmcnt(1)
	v_mul_f64 v[62:63], v[11:12], v[70:71]
	s_waitcnt vmcnt(56)
	v_fma_f64 v[66:67], v[1:2], v[107:108], -v[65:66]
	v_mul_f64 v[58:59], v[9:10], v[70:71]
	v_add_f64 v[13:14], v[13:14], v[54:55]
	v_fma_f64 v[54:55], v[3:4], v[107:108], v[126:127]
	v_add_f64 v[15:16], v[15:16], v[50:51]
	s_clause 0x4
	buffer_load_dword v51, off, s[0:3], 0 offset:940
	buffer_load_dword v70, off, s[0:3], 0 offset:952
	buffer_load_dword v107, off, s[0:3], 0 offset:944
	buffer_load_dword v50, off, s[0:3], 0 offset:936
	buffer_load_dword v65, off, s[0:3], 0 offset:916
	s_waitcnt vmcnt(57) lgkmcnt(0)
	v_mul_f64 v[126:127], v[5:6], v[111:112]
	v_mul_f64 v[111:112], v[7:8], v[111:112]
	s_waitcnt vmcnt(56)
	v_fma_f64 v[62:63], v[9:10], v[105:106], -v[62:63]
	ds_read_b128 v[1:4], v29 offset:1648
	v_fma_f64 v[58:59], v[11:12], v[105:106], v[58:59]
	v_add_f64 v[13:14], v[13:14], v[66:67]
	v_add_f64 v[15:16], v[15:16], v[54:55]
	s_clause 0x2
	buffer_load_dword v71, off, s[0:3], 0 offset:956
	buffer_load_dword v55, off, s[0:3], 0 offset:932
	buffer_load_dword v54, off, s[0:3], 0 offset:928
	ds_read_b128 v[9:12], v29 offset:1664
	s_waitcnt vmcnt(58) lgkmcnt(1)
	v_mul_f64 v[105:106], v[3:4], v[113:114]
	s_waitcnt vmcnt(56)
	v_fma_f64 v[111:112], v[5:6], v[118:119], -v[111:112]
	v_mul_f64 v[66:67], v[1:2], v[113:114]
	buffer_load_dword v108, off, s[0:3], 0 offset:948
	v_add_f64 v[13:14], v[13:14], v[62:63]
	v_fma_f64 v[62:63], v[7:8], v[118:119], v[126:127]
	v_add_f64 v[15:16], v[15:16], v[58:59]
	ds_read_b128 v[5:8], v29 offset:1680
	s_waitcnt vmcnt(53) lgkmcnt(1)
	v_mul_f64 v[58:59], v[9:10], v[109:110]
	v_mul_f64 v[109:110], v[11:12], v[109:110]
	s_waitcnt vmcnt(52)
	v_fma_f64 v[105:106], v[1:2], v[115:116], -v[105:106]
	v_fma_f64 v[66:67], v[3:4], v[115:116], v[66:67]
	ds_read_b128 v[1:4], v29 offset:1696
	v_add_f64 v[13:14], v[13:14], v[111:112]
	v_add_f64 v[15:16], v[15:16], v[62:63]
	s_waitcnt vmcnt(51) lgkmcnt(1)
	v_mul_f64 v[111:112], v[7:8], v[122:123]
	v_mul_f64 v[62:63], v[5:6], v[122:123]
	s_waitcnt vmcnt(49)
	v_fma_f64 v[109:110], v[9:10], v[23:24], -v[109:110]
	v_fma_f64 v[23:24], v[11:12], v[23:24], v[58:59]
	v_add_f64 v[13:14], v[13:14], v[105:106]
	v_add_f64 v[15:16], v[15:16], v[66:67]
	s_clause 0x3
	buffer_load_dword v58, off, s[0:3], 0 offset:448
	buffer_load_dword v59, off, s[0:3], 0 offset:452
	;; [unrolled: 1-line block ×4, first 2 shown]
	ds_read_b128 v[9:12], v29 offset:1712
	s_waitcnt vmcnt(49) lgkmcnt(1)
	v_mul_f64 v[105:106], v[1:2], v[27:28]
	v_mul_f64 v[27:28], v[3:4], v[27:28]
	s_waitcnt vmcnt(48)
	v_fma_f64 v[111:112], v[5:6], v[124:125], -v[111:112]
	v_fma_f64 v[62:63], v[7:8], v[124:125], v[62:63]
	ds_read_b128 v[5:8], v29 offset:1728
	v_add_f64 v[13:14], v[13:14], v[109:110]
	v_add_f64 v[15:16], v[15:16], v[23:24]
	s_waitcnt vmcnt(47) lgkmcnt(1)
	v_mul_f64 v[23:24], v[9:10], v[34:35]
	v_mul_f64 v[34:35], v[11:12], v[34:35]
	s_waitcnt vmcnt(45)
	v_fma_f64 v[27:28], v[1:2], v[21:22], -v[27:28]
	v_fma_f64 v[21:22], v[3:4], v[21:22], v[105:106]
	ds_read_b128 v[1:4], v29 offset:1744
	v_add_f64 v[13:14], v[13:14], v[111:112]
	v_add_f64 v[15:16], v[15:16], v[62:63]
	s_waitcnt vmcnt(41) lgkmcnt(1)
	v_mul_f64 v[62:63], v[5:6], v[36:37]
	v_mul_f64 v[36:37], v[7:8], v[36:37]
	s_waitcnt vmcnt(40)
	v_fma_f64 v[23:24], v[11:12], v[120:121], v[23:24]
	v_fma_f64 v[34:35], v[9:10], v[120:121], -v[34:35]
	ds_read_b128 v[9:12], v29 offset:1760
	v_add_f64 v[13:14], v[13:14], v[27:28]
	v_add_f64 v[15:16], v[15:16], v[21:22]
	s_waitcnt vmcnt(39) lgkmcnt(1)
	v_mul_f64 v[27:28], v[3:4], v[38:39]
	v_mul_f64 v[21:22], v[1:2], v[38:39]
	s_waitcnt vmcnt(37)
	v_fma_f64 v[36:37], v[5:6], v[19:20], -v[36:37]
	v_fma_f64 v[19:20], v[7:8], v[19:20], v[62:63]
	ds_read_b128 v[5:8], v29 offset:1776
	v_add_f64 v[13:14], v[13:14], v[34:35]
	v_add_f64 v[15:16], v[15:16], v[23:24]
	s_waitcnt vmcnt(33) lgkmcnt(1)
	v_mul_f64 v[23:24], v[9:10], v[17:18]
	v_mul_f64 v[17:18], v[11:12], v[17:18]
	s_waitcnt vmcnt(32)
	v_fma_f64 v[27:28], v[1:2], v[40:41], -v[27:28]
	v_fma_f64 v[21:22], v[3:4], v[40:41], v[21:22]
	;; [unrolled: 9-line block ×3, first 2 shown]
	ds_read_b128 v[9:12], v29 offset:1808
	v_add_f64 v[13:14], v[13:14], v[27:28]
	v_add_f64 v[15:16], v[15:16], v[21:22]
	s_waitcnt vmcnt(25) lgkmcnt(1)
	v_mul_f64 v[21:22], v[1:2], v[25:26]
	v_mul_f64 v[25:26], v[3:4], v[25:26]
	s_waitcnt vmcnt(24)
	v_fma_f64 v[27:28], v[5:6], v[48:49], -v[34:35]
	v_add_f64 v[13:14], v[13:14], v[17:18]
	v_fma_f64 v[17:18], v[7:8], v[48:49], v[19:20]
	v_add_f64 v[15:16], v[15:16], v[23:24]
	ds_read_b128 v[5:8], v29 offset:1824
	s_waitcnt vmcnt(23) lgkmcnt(1)
	v_mul_f64 v[23:24], v[11:12], v[52:53]
	v_mul_f64 v[19:20], v[9:10], v[52:53]
	s_waitcnt vmcnt(21)
	v_fma_f64 v[25:26], v[1:2], v[30:31], -v[25:26]
	v_fma_f64 v[21:22], v[3:4], v[30:31], v[21:22]
	ds_read_b128 v[1:4], v29 offset:1840
	v_add_f64 v[13:14], v[13:14], v[27:28]
	v_add_f64 v[15:16], v[15:16], v[17:18]
	s_waitcnt vmcnt(17) lgkmcnt(1)
	v_mul_f64 v[27:28], v[7:8], v[42:43]
	s_waitcnt vmcnt(16)
	v_fma_f64 v[23:24], v[9:10], v[56:57], -v[23:24]
	v_mul_f64 v[17:18], v[5:6], v[42:43]
	v_fma_f64 v[19:20], v[11:12], v[56:57], v[19:20]
	ds_read_b128 v[9:12], v29 offset:1856
	v_add_f64 v[13:14], v[13:14], v[25:26]
	v_add_f64 v[15:16], v[15:16], v[21:22]
	s_waitcnt vmcnt(15) lgkmcnt(1)
	v_mul_f64 v[25:26], v[3:4], v[60:61]
	v_mul_f64 v[21:22], v[1:2], v[60:61]
	s_waitcnt vmcnt(13)
	v_fma_f64 v[27:28], v[5:6], v[46:47], -v[27:28]
	v_fma_f64 v[17:18], v[7:8], v[46:47], v[17:18]
	ds_read_b128 v[5:8], v29 offset:1872
	v_add_f64 v[13:14], v[13:14], v[23:24]
	v_add_f64 v[15:16], v[15:16], v[19:20]
	s_waitcnt vmcnt(9) lgkmcnt(1)
	v_mul_f64 v[23:24], v[11:12], v[50:51]
	s_waitcnt vmcnt(8)
	v_fma_f64 v[1:2], v[1:2], v[64:65], -v[25:26]
	v_mul_f64 v[19:20], v[9:10], v[50:51]
	v_fma_f64 v[3:4], v[3:4], v[64:65], v[21:22]
	v_add_f64 v[13:14], v[13:14], v[27:28]
	v_add_f64 v[15:16], v[15:16], v[17:18]
	s_waitcnt vmcnt(7) lgkmcnt(0)
	v_mul_f64 v[21:22], v[7:8], v[70:71]
	v_mul_f64 v[17:18], v[5:6], v[70:71]
	s_waitcnt vmcnt(5)
	v_fma_f64 v[9:10], v[9:10], v[54:55], -v[23:24]
	v_fma_f64 v[11:12], v[11:12], v[54:55], v[19:20]
	v_add_f64 v[1:2], v[13:14], v[1:2]
	v_add_f64 v[3:4], v[15:16], v[3:4]
	s_waitcnt vmcnt(4)
	v_fma_f64 v[5:6], v[5:6], v[107:108], -v[21:22]
	v_fma_f64 v[7:8], v[7:8], v[107:108], v[17:18]
	v_add_f64 v[1:2], v[1:2], v[9:10]
	v_add_f64 v[3:4], v[3:4], v[11:12]
	;; [unrolled: 1-line block ×4, first 2 shown]
	s_waitcnt vmcnt(2)
	v_add_f64 v[1:2], v[58:59], -v[1:2]
	s_waitcnt vmcnt(0)
	v_add_f64 v[3:4], v[66:67], -v[3:4]
	buffer_store_dword v2, off, s[0:3], 0 offset:452
	buffer_store_dword v1, off, s[0:3], 0 offset:448
	;; [unrolled: 1-line block ×4, first 2 shown]
	v_cmpx_lt_u32_e32 26, v0
	s_cbranch_execz .LBB58_315
; %bb.314:
	v_mov_b32_e32 v4, s45
	s_clause 0x3
	buffer_load_dword v1, v4, s[0:3], 0 offen
	buffer_load_dword v2, v4, s[0:3], 0 offen offset:4
	buffer_load_dword v3, v4, s[0:3], 0 offen offset:8
	;; [unrolled: 1-line block ×3, first 2 shown]
	buffer_store_dword v29, off, s[0:3], 0 offset:432
	buffer_store_dword v29, off, s[0:3], 0 offset:436
	;; [unrolled: 1-line block ×4, first 2 shown]
	s_waitcnt vmcnt(0)
	ds_write_b128 v69, v[1:4]
.LBB58_315:
	s_or_b32 exec_lo, exec_lo, s4
	s_waitcnt lgkmcnt(0)
	s_waitcnt_vscnt null, 0x0
	s_barrier
	buffer_gl0_inv
	s_clause 0x37
	buffer_load_dword v9, off, s[0:3], 0 offset:456
	buffer_load_dword v10, off, s[0:3], 0 offset:460
	;; [unrolled: 1-line block ×56, first 2 shown]
	ds_read_b128 v[30:33], v29 offset:1376
	s_clause 0x2
	buffer_load_dword v71, off, s[0:3], 0 offset:684
	buffer_load_dword v108, off, s[0:3], 0 offset:660
	;; [unrolled: 1-line block ×3, first 2 shown]
	ds_read_b128 v[34:37], v29 offset:1392
	s_clause 0x4
	buffer_load_dword v112, off, s[0:3], 0 offset:700
	buffer_load_dword v113, off, s[0:3], 0 offset:712
	;; [unrolled: 1-line block ×5, first 2 shown]
	ds_read_b128 v[38:41], v29 offset:1408
	s_clause 0x2
	buffer_load_dword v114, off, s[0:3], 0 offset:716
	buffer_load_dword v119, off, s[0:3], 0 offset:692
	;; [unrolled: 1-line block ×3, first 2 shown]
	s_mov_b32 s4, exec_lo
	s_waitcnt vmcnt(62) lgkmcnt(2)
	v_mul_f64 v[109:110], v[32:33], v[9:10]
	v_mul_f64 v[9:10], v[30:31], v[9:10]
	s_waitcnt lgkmcnt(1)
	v_mul_f64 v[116:117], v[36:37], v[5:6]
	s_waitcnt vmcnt(59) lgkmcnt(0)
	v_mul_f64 v[120:121], v[40:41], v[3:4]
	v_fma_f64 v[30:31], v[30:31], v[7:8], -v[109:110]
	v_mul_f64 v[109:110], v[34:35], v[5:6]
	v_fma_f64 v[9:10], v[32:33], v[7:8], v[9:10]
	s_waitcnt vmcnt(57)
	v_fma_f64 v[34:35], v[34:35], v[1:2], -v[116:117]
	ds_read_b128 v[5:8], v29 offset:1424
	v_mul_f64 v[32:33], v[38:39], v[3:4]
	s_waitcnt vmcnt(51)
	v_fma_f64 v[38:39], v[38:39], v[25:26], -v[120:121]
	v_add_f64 v[30:31], v[30:31], 0
	v_fma_f64 v[36:37], v[36:37], v[1:2], v[109:110]
	v_add_f64 v[9:10], v[9:10], 0
	s_clause 0x4
	buffer_load_dword v110, off, s[0:3], 0 offset:732
	buffer_load_dword v122, off, s[0:3], 0 offset:744
	;; [unrolled: 1-line block ×5, first 2 shown]
	s_waitcnt lgkmcnt(0)
	v_mul_f64 v[125:126], v[5:6], v[13:14]
	v_mul_f64 v[13:14], v[7:8], v[13:14]
	ds_read_b128 v[1:4], v29 offset:1440
	v_fma_f64 v[25:26], v[40:41], v[25:26], v[32:33]
	v_add_f64 v[34:35], v[30:31], v[34:35]
	v_add_f64 v[9:10], v[9:10], v[36:37]
	s_clause 0x2
	buffer_load_dword v123, off, s[0:3], 0 offset:748
	buffer_load_dword v37, off, s[0:3], 0 offset:724
	;; [unrolled: 1-line block ×3, first 2 shown]
	s_waitcnt vmcnt(58) lgkmcnt(0)
	v_mul_f64 v[40:41], v[1:2], v[17:18]
	v_mul_f64 v[17:18], v[3:4], v[17:18]
	s_waitcnt vmcnt(56)
	v_fma_f64 v[13:14], v[5:6], v[19:20], -v[13:14]
	ds_read_b128 v[30:33], v29 offset:1456
	v_fma_f64 v[19:20], v[7:8], v[19:20], v[125:126]
	v_add_f64 v[34:35], v[34:35], v[38:39]
	v_add_f64 v[9:10], v[9:10], v[25:26]
	s_clause 0x4
	buffer_load_dword v26, off, s[0:3], 0 offset:764
	buffer_load_dword v38, off, s[0:3], 0 offset:776
	buffer_load_dword v120, off, s[0:3], 0 offset:768
	buffer_load_dword v25, off, s[0:3], 0 offset:760
	buffer_load_dword v125, off, s[0:3], 0 offset:740
	ds_read_b128 v[5:8], v29 offset:1472
	s_waitcnt vmcnt(57) lgkmcnt(1)
	v_mul_f64 v[126:127], v[30:31], v[21:22]
	v_mul_f64 v[21:22], v[32:33], v[21:22]
	s_waitcnt vmcnt(56)
	v_fma_f64 v[17:18], v[1:2], v[11:12], -v[17:18]
	v_fma_f64 v[11:12], v[3:4], v[11:12], v[40:41]
	v_add_f64 v[13:14], v[34:35], v[13:14]
	v_add_f64 v[9:10], v[9:10], v[19:20]
	s_clause 0x2
	buffer_load_dword v39, off, s[0:3], 0 offset:780
	buffer_load_dword v20, off, s[0:3], 0 offset:756
	;; [unrolled: 1-line block ×3, first 2 shown]
	s_waitcnt vmcnt(58) lgkmcnt(0)
	v_mul_f64 v[34:35], v[5:6], v[27:28]
	v_mul_f64 v[27:28], v[7:8], v[27:28]
	s_waitcnt vmcnt(56)
	v_fma_f64 v[21:22], v[30:31], v[42:43], -v[21:22]
	ds_read_b128 v[1:4], v29 offset:1488
	v_add_f64 v[13:14], v[13:14], v[17:18]
	v_fma_f64 v[17:18], v[32:33], v[42:43], v[126:127]
	v_add_f64 v[30:31], v[9:10], v[11:12]
	s_clause 0x4
	buffer_load_dword v33, off, s[0:3], 0 offset:796
	buffer_load_dword v40, off, s[0:3], 0 offset:808
	;; [unrolled: 1-line block ×5, first 2 shown]
	ds_read_b128 v[9:12], v29 offset:1504
	s_waitcnt vmcnt(57) lgkmcnt(1)
	v_mul_f64 v[126:127], v[1:2], v[44:45]
	v_mul_f64 v[43:44], v[3:4], v[44:45]
	s_waitcnt vmcnt(56)
	v_fma_f64 v[27:28], v[5:6], v[15:16], -v[27:28]
	v_fma_f64 v[15:16], v[7:8], v[15:16], v[34:35]
	v_add_f64 v[13:14], v[13:14], v[21:22]
	s_clause 0x2
	buffer_load_dword v41, off, s[0:3], 0 offset:812
	buffer_load_dword v22, off, s[0:3], 0 offset:788
	;; [unrolled: 1-line block ×3, first 2 shown]
	v_add_f64 v[17:18], v[30:31], v[17:18]
	s_waitcnt vmcnt(58) lgkmcnt(0)
	v_mul_f64 v[34:35], v[11:12], v[46:47]
	ds_read_b128 v[5:8], v29 offset:1520
	v_mul_f64 v[30:31], v[9:10], v[46:47]
	s_waitcnt vmcnt(56)
	v_fma_f64 v[44:45], v[1:2], v[48:49], -v[43:44]
	v_add_f64 v[13:14], v[13:14], v[27:28]
	v_fma_f64 v[27:28], v[3:4], v[48:49], v[126:127]
	v_add_f64 v[15:16], v[17:18], v[15:16]
	s_clause 0x4
	buffer_load_dword v18, off, s[0:3], 0 offset:828
	buffer_load_dword v46, off, s[0:3], 0 offset:840
	buffer_load_dword v48, off, s[0:3], 0 offset:832
	buffer_load_dword v17, off, s[0:3], 0 offset:824
	buffer_load_dword v43, off, s[0:3], 0 offset:804
	s_waitcnt vmcnt(57) lgkmcnt(0)
	v_mul_f64 v[126:127], v[5:6], v[50:51]
	v_mul_f64 v[49:50], v[7:8], v[50:51]
	s_waitcnt vmcnt(56)
	v_fma_f64 v[34:35], v[9:10], v[23:24], -v[34:35]
	ds_read_b128 v[1:4], v29 offset:1536
	v_fma_f64 v[23:24], v[11:12], v[23:24], v[30:31]
	v_add_f64 v[13:14], v[13:14], v[44:45]
	v_add_f64 v[15:16], v[15:16], v[27:28]
	s_clause 0x2
	buffer_load_dword v47, off, s[0:3], 0 offset:844
	buffer_load_dword v28, off, s[0:3], 0 offset:820
	buffer_load_dword v27, off, s[0:3], 0 offset:816
	ds_read_b128 v[9:12], v29 offset:1552
	s_waitcnt vmcnt(58) lgkmcnt(1)
	v_mul_f64 v[44:45], v[3:4], v[52:53]
	s_waitcnt vmcnt(56)
	v_fma_f64 v[50:51], v[5:6], v[56:57], -v[49:50]
	v_mul_f64 v[30:31], v[1:2], v[52:53]
	v_add_f64 v[13:14], v[13:14], v[34:35]
	v_fma_f64 v[34:35], v[7:8], v[56:57], v[126:127]
	v_add_f64 v[15:16], v[15:16], v[23:24]
	s_clause 0x4
	buffer_load_dword v24, off, s[0:3], 0 offset:860
	buffer_load_dword v52, off, s[0:3], 0 offset:872
	buffer_load_dword v56, off, s[0:3], 0 offset:864
	buffer_load_dword v23, off, s[0:3], 0 offset:856
	buffer_load_dword v49, off, s[0:3], 0 offset:836
	s_waitcnt vmcnt(57) lgkmcnt(0)
	v_mul_f64 v[126:127], v[9:10], v[58:59]
	v_mul_f64 v[57:58], v[11:12], v[58:59]
	s_waitcnt vmcnt(56)
	v_fma_f64 v[44:45], v[1:2], v[54:55], -v[44:45]
	ds_read_b128 v[5:8], v29 offset:1568
	v_fma_f64 v[30:31], v[3:4], v[54:55], v[30:31]
	v_add_f64 v[13:14], v[13:14], v[50:51]
	v_add_f64 v[15:16], v[15:16], v[34:35]
	s_clause 0x2
	buffer_load_dword v53, off, s[0:3], 0 offset:876
	buffer_load_dword v35, off, s[0:3], 0 offset:852
	buffer_load_dword v34, off, s[0:3], 0 offset:848
	ds_read_b128 v[1:4], v29 offset:1584
	s_waitcnt vmcnt(58) lgkmcnt(1)
	v_mul_f64 v[54:55], v[7:8], v[60:61]
	s_waitcnt vmcnt(56)
	v_fma_f64 v[58:59], v[9:10], v[64:65], -v[57:58]
	v_mul_f64 v[50:51], v[5:6], v[60:61]
	;; [unrolled: 28-line block ×4, first 2 shown]
	v_add_f64 v[13:14], v[13:14], v[62:63]
	v_fma_f64 v[62:63], v[7:8], v[118:119], v[126:127]
	v_add_f64 v[15:16], v[15:16], v[58:59]
	s_clause 0x2
	buffer_load_dword v59, off, s[0:3], 0 offset:956
	buffer_load_dword v58, off, s[0:3], 0 offset:952
	;; [unrolled: 1-line block ×3, first 2 shown]
	ds_read_b128 v[5:8], v29 offset:1664
	s_waitcnt vmcnt(55) lgkmcnt(1)
	v_mul_f64 v[113:114], v[9:10], v[109:110]
	v_mul_f64 v[109:110], v[11:12], v[109:110]
	s_waitcnt vmcnt(54)
	v_fma_f64 v[105:106], v[1:2], v[115:116], -v[105:106]
	v_fma_f64 v[66:67], v[3:4], v[115:116], v[66:67]
	v_add_f64 v[13:14], v[13:14], v[111:112]
	v_add_f64 v[15:16], v[15:16], v[62:63]
	s_clause 0x1
	buffer_load_dword v63, off, s[0:3], 0 offset:948
	buffer_load_dword v62, off, s[0:3], 0 offset:944
	ds_read_b128 v[1:4], v29 offset:1680
	s_waitcnt vmcnt(55) lgkmcnt(1)
	v_mul_f64 v[115:116], v[7:8], v[122:123]
	v_mul_f64 v[111:112], v[5:6], v[122:123]
	s_waitcnt vmcnt(53)
	v_fma_f64 v[109:110], v[9:10], v[36:37], -v[109:110]
	v_fma_f64 v[36:37], v[11:12], v[36:37], v[113:114]
	ds_read_b128 v[9:12], v29 offset:1696
	v_add_f64 v[13:14], v[13:14], v[105:106]
	v_add_f64 v[15:16], v[15:16], v[66:67]
	s_waitcnt vmcnt(49) lgkmcnt(1)
	v_mul_f64 v[66:67], v[1:2], v[25:26]
	v_mul_f64 v[25:26], v[3:4], v[25:26]
	s_waitcnt vmcnt(48)
	v_fma_f64 v[105:106], v[5:6], v[124:125], -v[115:116]
	v_add_f64 v[13:14], v[13:14], v[109:110]
	v_fma_f64 v[109:110], v[7:8], v[124:125], v[111:112]
	v_add_f64 v[15:16], v[15:16], v[36:37]
	s_clause 0x3
	buffer_load_dword v36, off, s[0:3], 0 offset:432
	buffer_load_dword v37, off, s[0:3], 0 offset:436
	;; [unrolled: 1-line block ×4, first 2 shown]
	ds_read_b128 v[5:8], v29 offset:1712
	s_waitcnt vmcnt(51) lgkmcnt(1)
	v_mul_f64 v[113:114], v[9:10], v[38:39]
	v_mul_f64 v[38:39], v[11:12], v[38:39]
	s_waitcnt vmcnt(49)
	v_fma_f64 v[25:26], v[1:2], v[19:20], -v[25:26]
	v_fma_f64 v[19:20], v[3:4], v[19:20], v[66:67]
	ds_read_b128 v[1:4], v29 offset:1728
	v_add_f64 v[13:14], v[13:14], v[105:106]
	v_add_f64 v[15:16], v[15:16], v[109:110]
	s_waitcnt vmcnt(45) lgkmcnt(1)
	v_mul_f64 v[66:67], v[5:6], v[32:33]
	v_mul_f64 v[32:33], v[7:8], v[32:33]
	s_waitcnt vmcnt(44)
	v_fma_f64 v[38:39], v[9:10], v[120:121], -v[38:39]
	v_add_f64 v[13:14], v[13:14], v[25:26]
	v_fma_f64 v[25:26], v[11:12], v[120:121], v[113:114]
	v_add_f64 v[15:16], v[15:16], v[19:20]
	ds_read_b128 v[9:12], v29 offset:1744
	s_waitcnt vmcnt(43) lgkmcnt(1)
	v_mul_f64 v[19:20], v[1:2], v[40:41]
	v_mul_f64 v[40:41], v[3:4], v[40:41]
	s_waitcnt vmcnt(41)
	v_fma_f64 v[32:33], v[5:6], v[21:22], -v[32:33]
	v_fma_f64 v[21:22], v[7:8], v[21:22], v[66:67]
	ds_read_b128 v[5:8], v29 offset:1760
	v_add_f64 v[13:14], v[13:14], v[38:39]
	v_add_f64 v[15:16], v[15:16], v[25:26]
	s_waitcnt vmcnt(37) lgkmcnt(1)
	v_mul_f64 v[25:26], v[9:10], v[17:18]
	v_mul_f64 v[17:18], v[11:12], v[17:18]
	s_waitcnt vmcnt(36)
	v_fma_f64 v[38:39], v[1:2], v[42:43], -v[40:41]
	v_fma_f64 v[19:20], v[3:4], v[42:43], v[19:20]
	ds_read_b128 v[1:4], v29 offset:1776
	v_add_f64 v[13:14], v[13:14], v[32:33]
	v_add_f64 v[15:16], v[15:16], v[21:22]
	;; [unrolled: 9-line block ×3, first 2 shown]
	s_waitcnt vmcnt(29) lgkmcnt(1)
	v_mul_f64 v[19:20], v[1:2], v[23:24]
	v_mul_f64 v[23:24], v[3:4], v[23:24]
	s_waitcnt vmcnt(28)
	v_fma_f64 v[27:28], v[5:6], v[48:49], -v[32:33]
	v_add_f64 v[13:14], v[13:14], v[17:18]
	v_fma_f64 v[17:18], v[7:8], v[48:49], v[21:22]
	v_add_f64 v[15:16], v[15:16], v[25:26]
	ds_read_b128 v[5:8], v29 offset:1808
	s_waitcnt vmcnt(27) lgkmcnt(1)
	v_mul_f64 v[25:26], v[11:12], v[52:53]
	v_mul_f64 v[21:22], v[9:10], v[52:53]
	s_waitcnt vmcnt(25)
	v_fma_f64 v[23:24], v[1:2], v[34:35], -v[23:24]
	v_fma_f64 v[19:20], v[3:4], v[34:35], v[19:20]
	ds_read_b128 v[1:4], v29 offset:1824
	v_add_f64 v[13:14], v[13:14], v[27:28]
	v_add_f64 v[15:16], v[15:16], v[17:18]
	s_waitcnt vmcnt(21) lgkmcnt(1)
	v_mul_f64 v[27:28], v[7:8], v[30:31]
	s_waitcnt vmcnt(20)
	v_fma_f64 v[25:26], v[9:10], v[56:57], -v[25:26]
	v_mul_f64 v[17:18], v[5:6], v[30:31]
	v_fma_f64 v[21:22], v[11:12], v[56:57], v[21:22]
	ds_read_b128 v[9:12], v29 offset:1840
	v_add_f64 v[13:14], v[13:14], v[23:24]
	v_add_f64 v[15:16], v[15:16], v[19:20]
	s_waitcnt vmcnt(19) lgkmcnt(1)
	v_mul_f64 v[23:24], v[3:4], v[60:61]
	v_mul_f64 v[19:20], v[1:2], v[60:61]
	s_waitcnt vmcnt(17)
	v_fma_f64 v[27:28], v[5:6], v[44:45], -v[27:28]
	v_fma_f64 v[17:18], v[7:8], v[44:45], v[17:18]
	ds_read_b128 v[5:8], v29 offset:1856
	v_add_f64 v[13:14], v[13:14], v[25:26]
	v_add_f64 v[15:16], v[15:16], v[21:22]
	s_waitcnt vmcnt(13) lgkmcnt(1)
	v_mul_f64 v[25:26], v[11:12], v[50:51]
	s_waitcnt vmcnt(12)
	v_fma_f64 v[23:24], v[1:2], v[64:65], -v[23:24]
	v_mul_f64 v[21:22], v[9:10], v[50:51]
	v_fma_f64 v[19:20], v[3:4], v[64:65], v[19:20]
	ds_read_b128 v[1:4], v29 offset:1872
	v_add_f64 v[13:14], v[13:14], v[27:28]
	v_add_f64 v[15:16], v[15:16], v[17:18]
	s_waitcnt vmcnt(11) lgkmcnt(1)
	v_mul_f64 v[27:28], v[7:8], v[70:71]
	v_mul_f64 v[17:18], v[5:6], v[70:71]
	s_waitcnt vmcnt(9)
	v_fma_f64 v[9:10], v[9:10], v[54:55], -v[25:26]
	v_fma_f64 v[11:12], v[11:12], v[54:55], v[21:22]
	v_add_f64 v[13:14], v[13:14], v[23:24]
	v_add_f64 v[15:16], v[15:16], v[19:20]
	s_waitcnt vmcnt(7) lgkmcnt(0)
	v_mul_f64 v[21:22], v[3:4], v[58:59]
	s_waitcnt vmcnt(6)
	v_fma_f64 v[5:6], v[5:6], v[107:108], -v[27:28]
	v_mul_f64 v[19:20], v[1:2], v[58:59]
	v_fma_f64 v[7:8], v[7:8], v[107:108], v[17:18]
	v_add_f64 v[9:10], v[13:14], v[9:10]
	v_add_f64 v[11:12], v[15:16], v[11:12]
	s_waitcnt vmcnt(4)
	v_fma_f64 v[1:2], v[1:2], v[62:63], -v[21:22]
	v_fma_f64 v[3:4], v[3:4], v[62:63], v[19:20]
	v_add_f64 v[5:6], v[9:10], v[5:6]
	v_add_f64 v[7:8], v[11:12], v[7:8]
	;; [unrolled: 1-line block ×4, first 2 shown]
	s_waitcnt vmcnt(2)
	v_add_f64 v[1:2], v[36:37], -v[1:2]
	s_waitcnt vmcnt(0)
	v_add_f64 v[3:4], v[111:112], -v[3:4]
	buffer_store_dword v2, off, s[0:3], 0 offset:436
	buffer_store_dword v1, off, s[0:3], 0 offset:432
	;; [unrolled: 1-line block ×4, first 2 shown]
	v_cmpx_lt_u32_e32 25, v0
	s_cbranch_execz .LBB58_317
; %bb.316:
	v_mov_b32_e32 v4, s46
	v_mov_b32_e32 v5, 0
	s_clause 0x3
	buffer_load_dword v1, v4, s[0:3], 0 offen
	buffer_load_dword v2, v4, s[0:3], 0 offen offset:4
	buffer_load_dword v3, v4, s[0:3], 0 offen offset:8
	;; [unrolled: 1-line block ×3, first 2 shown]
	buffer_store_dword v5, off, s[0:3], 0 offset:416
	buffer_store_dword v5, off, s[0:3], 0 offset:420
	;; [unrolled: 1-line block ×4, first 2 shown]
	s_waitcnt vmcnt(0)
	ds_write_b128 v69, v[1:4]
.LBB58_317:
	s_or_b32 exec_lo, exec_lo, s4
	s_waitcnt lgkmcnt(0)
	s_waitcnt_vscnt null, 0x0
	s_barrier
	buffer_gl0_inv
	s_clause 0x37
	buffer_load_dword v9, off, s[0:3], 0 offset:440
	buffer_load_dword v10, off, s[0:3], 0 offset:444
	;; [unrolled: 1-line block ×56, first 2 shown]
	v_mov_b32_e32 v51, 0
	s_mov_b32 s4, exec_lo
	ds_read_b128 v[39:42], v51 offset:1360
	s_clause 0x2
	buffer_load_dword v71, off, s[0:3], 0 offset:668
	buffer_load_dword v108, off, s[0:3], 0 offset:644
	;; [unrolled: 1-line block ×3, first 2 shown]
	ds_read_b128 v[43:46], v51 offset:1376
	s_clause 0x4
	buffer_load_dword v112, off, s[0:3], 0 offset:684
	buffer_load_dword v113, off, s[0:3], 0 offset:696
	;; [unrolled: 1-line block ×5, first 2 shown]
	ds_read_b128 v[47:50], v51 offset:1392
	s_clause 0x2
	buffer_load_dword v114, off, s[0:3], 0 offset:700
	buffer_load_dword v119, off, s[0:3], 0 offset:676
	;; [unrolled: 1-line block ×3, first 2 shown]
	s_waitcnt vmcnt(62) lgkmcnt(2)
	v_mul_f64 v[109:110], v[41:42], v[9:10]
	v_mul_f64 v[9:10], v[39:40], v[9:10]
	s_waitcnt lgkmcnt(1)
	v_mul_f64 v[116:117], v[45:46], v[5:6]
	s_waitcnt vmcnt(59) lgkmcnt(0)
	v_mul_f64 v[120:121], v[49:50], v[3:4]
	v_fma_f64 v[39:40], v[39:40], v[7:8], -v[109:110]
	v_mul_f64 v[109:110], v[43:44], v[5:6]
	v_fma_f64 v[9:10], v[41:42], v[7:8], v[9:10]
	s_waitcnt vmcnt(57)
	v_fma_f64 v[43:44], v[43:44], v[1:2], -v[116:117]
	ds_read_b128 v[5:8], v51 offset:1408
	v_mul_f64 v[41:42], v[47:48], v[3:4]
	s_waitcnt vmcnt(51)
	v_fma_f64 v[47:48], v[47:48], v[25:26], -v[120:121]
	v_add_f64 v[39:40], v[39:40], 0
	v_fma_f64 v[45:46], v[45:46], v[1:2], v[109:110]
	v_add_f64 v[9:10], v[9:10], 0
	s_clause 0x4
	buffer_load_dword v110, off, s[0:3], 0 offset:716
	buffer_load_dword v122, off, s[0:3], 0 offset:728
	;; [unrolled: 1-line block ×5, first 2 shown]
	s_waitcnt lgkmcnt(0)
	v_mul_f64 v[125:126], v[5:6], v[13:14]
	v_mul_f64 v[13:14], v[7:8], v[13:14]
	ds_read_b128 v[1:4], v51 offset:1424
	v_fma_f64 v[25:26], v[49:50], v[25:26], v[41:42]
	v_add_f64 v[43:44], v[39:40], v[43:44]
	v_add_f64 v[9:10], v[9:10], v[45:46]
	s_clause 0x2
	buffer_load_dword v123, off, s[0:3], 0 offset:732
	buffer_load_dword v46, off, s[0:3], 0 offset:708
	buffer_load_dword v45, off, s[0:3], 0 offset:704
	s_waitcnt vmcnt(58) lgkmcnt(0)
	v_mul_f64 v[49:50], v[1:2], v[17:18]
	v_mul_f64 v[17:18], v[3:4], v[17:18]
	s_waitcnt vmcnt(56)
	v_fma_f64 v[13:14], v[5:6], v[19:20], -v[13:14]
	ds_read_b128 v[39:42], v51 offset:1440
	v_fma_f64 v[19:20], v[7:8], v[19:20], v[125:126]
	v_add_f64 v[43:44], v[43:44], v[47:48]
	v_add_f64 v[9:10], v[9:10], v[25:26]
	s_clause 0x4
	buffer_load_dword v26, off, s[0:3], 0 offset:748
	buffer_load_dword v47, off, s[0:3], 0 offset:760
	;; [unrolled: 1-line block ×5, first 2 shown]
	ds_read_b128 v[5:8], v51 offset:1456
	s_waitcnt vmcnt(57) lgkmcnt(1)
	v_mul_f64 v[126:127], v[39:40], v[21:22]
	v_mul_f64 v[21:22], v[41:42], v[21:22]
	s_waitcnt vmcnt(56)
	v_fma_f64 v[17:18], v[1:2], v[11:12], -v[17:18]
	v_fma_f64 v[11:12], v[3:4], v[11:12], v[49:50]
	v_add_f64 v[13:14], v[43:44], v[13:14]
	v_add_f64 v[9:10], v[9:10], v[19:20]
	s_clause 0x2
	buffer_load_dword v48, off, s[0:3], 0 offset:764
	buffer_load_dword v20, off, s[0:3], 0 offset:740
	;; [unrolled: 1-line block ×3, first 2 shown]
	s_waitcnt vmcnt(58) lgkmcnt(0)
	v_mul_f64 v[43:44], v[5:6], v[27:28]
	v_mul_f64 v[27:28], v[7:8], v[27:28]
	s_waitcnt vmcnt(56)
	v_fma_f64 v[21:22], v[39:40], v[29:30], -v[21:22]
	ds_read_b128 v[1:4], v51 offset:1472
	v_add_f64 v[13:14], v[13:14], v[17:18]
	v_fma_f64 v[17:18], v[41:42], v[29:30], v[126:127]
	v_add_f64 v[29:30], v[9:10], v[11:12]
	s_clause 0x4
	buffer_load_dword v40, off, s[0:3], 0 offset:780
	buffer_load_dword v41, off, s[0:3], 0 offset:792
	;; [unrolled: 1-line block ×5, first 2 shown]
	ds_read_b128 v[9:12], v51 offset:1488
	s_waitcnt vmcnt(57) lgkmcnt(1)
	v_mul_f64 v[126:127], v[1:2], v[31:32]
	v_mul_f64 v[31:32], v[3:4], v[31:32]
	s_waitcnt vmcnt(56)
	v_fma_f64 v[27:28], v[5:6], v[15:16], -v[27:28]
	v_fma_f64 v[15:16], v[7:8], v[15:16], v[43:44]
	v_add_f64 v[13:14], v[13:14], v[21:22]
	s_clause 0x2
	buffer_load_dword v42, off, s[0:3], 0 offset:796
	buffer_load_dword v22, off, s[0:3], 0 offset:772
	;; [unrolled: 1-line block ×3, first 2 shown]
	v_add_f64 v[17:18], v[29:30], v[17:18]
	s_waitcnt vmcnt(58) lgkmcnt(0)
	v_mul_f64 v[29:30], v[9:10], v[35:36]
	v_mul_f64 v[35:36], v[11:12], v[35:36]
	ds_read_b128 v[5:8], v51 offset:1504
	s_waitcnt vmcnt(56)
	v_fma_f64 v[31:32], v[1:2], v[37:38], -v[31:32]
	v_add_f64 v[13:14], v[13:14], v[27:28]
	v_fma_f64 v[27:28], v[3:4], v[37:38], v[126:127]
	v_add_f64 v[15:16], v[17:18], v[15:16]
	s_clause 0x4
	buffer_load_dword v18, off, s[0:3], 0 offset:812
	buffer_load_dword v37, off, s[0:3], 0 offset:824
	;; [unrolled: 1-line block ×5, first 2 shown]
	s_waitcnt vmcnt(57) lgkmcnt(0)
	v_mul_f64 v[126:127], v[5:6], v[52:53]
	v_mul_f64 v[52:53], v[7:8], v[52:53]
	s_waitcnt vmcnt(56)
	v_fma_f64 v[35:36], v[9:10], v[23:24], -v[35:36]
	ds_read_b128 v[1:4], v51 offset:1520
	v_fma_f64 v[23:24], v[11:12], v[23:24], v[29:30]
	v_add_f64 v[13:14], v[13:14], v[31:32]
	v_add_f64 v[15:16], v[15:16], v[27:28]
	s_clause 0x2
	buffer_load_dword v38, off, s[0:3], 0 offset:828
	buffer_load_dword v28, off, s[0:3], 0 offset:804
	;; [unrolled: 1-line block ×3, first 2 shown]
	ds_read_b128 v[9:12], v51 offset:1536
	s_waitcnt vmcnt(58) lgkmcnt(1)
	v_mul_f64 v[31:32], v[3:4], v[54:55]
	s_waitcnt vmcnt(56)
	v_fma_f64 v[52:53], v[5:6], v[56:57], -v[52:53]
	v_mul_f64 v[29:30], v[1:2], v[54:55]
	v_add_f64 v[13:14], v[13:14], v[35:36]
	v_fma_f64 v[35:36], v[7:8], v[56:57], v[126:127]
	v_add_f64 v[15:16], v[15:16], v[23:24]
	s_clause 0x4
	buffer_load_dword v24, off, s[0:3], 0 offset:844
	buffer_load_dword v54, off, s[0:3], 0 offset:856
	;; [unrolled: 1-line block ×5, first 2 shown]
	s_waitcnt vmcnt(57) lgkmcnt(0)
	v_mul_f64 v[126:127], v[9:10], v[58:59]
	v_mul_f64 v[57:58], v[11:12], v[58:59]
	s_waitcnt vmcnt(56)
	v_fma_f64 v[31:32], v[1:2], v[33:34], -v[31:32]
	ds_read_b128 v[5:8], v51 offset:1552
	v_fma_f64 v[29:30], v[3:4], v[33:34], v[29:30]
	s_clause 0x2
	buffer_load_dword v55, off, s[0:3], 0 offset:860
	buffer_load_dword v34, off, s[0:3], 0 offset:836
	;; [unrolled: 1-line block ×3, first 2 shown]
	ds_read_b128 v[1:4], v51 offset:1568
	v_add_f64 v[13:14], v[13:14], v[52:53]
	v_add_f64 v[15:16], v[15:16], v[35:36]
	s_waitcnt vmcnt(58) lgkmcnt(1)
	v_mul_f64 v[52:53], v[7:8], v[60:61]
	s_waitcnt vmcnt(56)
	v_fma_f64 v[58:59], v[9:10], v[64:65], -v[57:58]
	v_mul_f64 v[35:36], v[5:6], v[60:61]
	v_add_f64 v[13:14], v[13:14], v[31:32]
	v_fma_f64 v[31:32], v[11:12], v[64:65], v[126:127]
	v_add_f64 v[15:16], v[15:16], v[29:30]
	s_clause 0x4
	buffer_load_dword v30, off, s[0:3], 0 offset:876
	buffer_load_dword v60, off, s[0:3], 0 offset:888
	;; [unrolled: 1-line block ×5, first 2 shown]
	s_waitcnt vmcnt(57) lgkmcnt(0)
	v_mul_f64 v[126:127], v[1:2], v[66:67]
	v_mul_f64 v[65:66], v[3:4], v[66:67]
	s_waitcnt vmcnt(56)
	v_fma_f64 v[52:53], v[5:6], v[62:63], -v[52:53]
	ds_read_b128 v[9:12], v51 offset:1584
	v_fma_f64 v[35:36], v[7:8], v[62:63], v[35:36]
	v_add_f64 v[13:14], v[13:14], v[58:59]
	v_add_f64 v[15:16], v[15:16], v[31:32]
	s_clause 0x2
	buffer_load_dword v61, off, s[0:3], 0 offset:892
	buffer_load_dword v32, off, s[0:3], 0 offset:868
	;; [unrolled: 1-line block ×3, first 2 shown]
	ds_read_b128 v[5:8], v51 offset:1600
	s_waitcnt vmcnt(58) lgkmcnt(1)
	v_mul_f64 v[62:63], v[11:12], v[70:71]
	s_waitcnt vmcnt(56)
	v_fma_f64 v[66:67], v[1:2], v[107:108], -v[65:66]
	v_mul_f64 v[58:59], v[9:10], v[70:71]
	v_add_f64 v[13:14], v[13:14], v[52:53]
	v_fma_f64 v[52:53], v[3:4], v[107:108], v[126:127]
	v_add_f64 v[15:16], v[15:16], v[35:36]
	s_clause 0x4
	buffer_load_dword v36, off, s[0:3], 0 offset:908
	buffer_load_dword v70, off, s[0:3], 0 offset:920
	;; [unrolled: 1-line block ×5, first 2 shown]
	s_waitcnt vmcnt(57) lgkmcnt(0)
	v_mul_f64 v[126:127], v[5:6], v[111:112]
	v_mul_f64 v[111:112], v[7:8], v[111:112]
	s_waitcnt vmcnt(56)
	v_fma_f64 v[62:63], v[9:10], v[105:106], -v[62:63]
	ds_read_b128 v[1:4], v51 offset:1616
	v_fma_f64 v[58:59], v[11:12], v[105:106], v[58:59]
	v_add_f64 v[13:14], v[13:14], v[66:67]
	v_add_f64 v[15:16], v[15:16], v[52:53]
	s_clause 0x2
	buffer_load_dword v71, off, s[0:3], 0 offset:924
	buffer_load_dword v53, off, s[0:3], 0 offset:900
	;; [unrolled: 1-line block ×3, first 2 shown]
	ds_read_b128 v[9:12], v51 offset:1632
	s_waitcnt vmcnt(58) lgkmcnt(1)
	v_mul_f64 v[105:106], v[3:4], v[113:114]
	s_waitcnt vmcnt(56)
	v_fma_f64 v[111:112], v[5:6], v[118:119], -v[111:112]
	v_mul_f64 v[66:67], v[1:2], v[113:114]
	v_add_f64 v[13:14], v[13:14], v[62:63]
	v_fma_f64 v[62:63], v[7:8], v[118:119], v[126:127]
	v_add_f64 v[15:16], v[15:16], v[58:59]
	s_clause 0x4
	buffer_load_dword v59, off, s[0:3], 0 offset:940
	buffer_load_dword v113, off, s[0:3], 0 offset:952
	;; [unrolled: 1-line block ×5, first 2 shown]
	ds_read_b128 v[5:8], v51 offset:1648
	s_waitcnt vmcnt(57) lgkmcnt(1)
	v_mul_f64 v[118:119], v[9:10], v[109:110]
	v_mul_f64 v[109:110], v[11:12], v[109:110]
	s_waitcnt vmcnt(56)
	v_fma_f64 v[105:106], v[1:2], v[115:116], -v[105:106]
	v_fma_f64 v[66:67], v[3:4], v[115:116], v[66:67]
	v_add_f64 v[13:14], v[13:14], v[111:112]
	v_add_f64 v[15:16], v[15:16], v[62:63]
	s_clause 0x2
	buffer_load_dword v114, off, s[0:3], 0 offset:956
	buffer_load_dword v63, off, s[0:3], 0 offset:932
	;; [unrolled: 1-line block ×3, first 2 shown]
	ds_read_b128 v[1:4], v51 offset:1664
	s_waitcnt vmcnt(58) lgkmcnt(1)
	v_mul_f64 v[115:116], v[7:8], v[122:123]
	v_mul_f64 v[111:112], v[5:6], v[122:123]
	s_waitcnt vmcnt(56)
	v_fma_f64 v[109:110], v[9:10], v[45:46], -v[109:110]
	v_fma_f64 v[45:46], v[11:12], v[45:46], v[118:119]
	buffer_load_dword v118, off, s[0:3], 0 offset:948
	ds_read_b128 v[9:12], v51 offset:1680
	v_add_f64 v[13:14], v[13:14], v[105:106]
	v_add_f64 v[15:16], v[15:16], v[66:67]
	s_waitcnt vmcnt(53) lgkmcnt(1)
	v_mul_f64 v[66:67], v[1:2], v[25:26]
	v_mul_f64 v[25:26], v[3:4], v[25:26]
	s_waitcnt vmcnt(52)
	v_fma_f64 v[105:106], v[5:6], v[124:125], -v[115:116]
	v_add_f64 v[13:14], v[13:14], v[109:110]
	v_fma_f64 v[109:110], v[7:8], v[124:125], v[111:112]
	v_add_f64 v[15:16], v[15:16], v[45:46]
	ds_read_b128 v[5:8], v51 offset:1696
	s_waitcnt vmcnt(51) lgkmcnt(1)
	v_mul_f64 v[45:46], v[9:10], v[47:48]
	v_mul_f64 v[47:48], v[11:12], v[47:48]
	s_waitcnt vmcnt(49)
	v_fma_f64 v[25:26], v[1:2], v[19:20], -v[25:26]
	v_fma_f64 v[19:20], v[3:4], v[19:20], v[66:67]
	v_add_f64 v[13:14], v[13:14], v[105:106]
	s_clause 0x3
	buffer_load_dword v66, off, s[0:3], 0 offset:416
	buffer_load_dword v67, off, s[0:3], 0 offset:420
	buffer_load_dword v105, off, s[0:3], 0 offset:424
	buffer_load_dword v106, off, s[0:3], 0 offset:428
	v_add_f64 v[15:16], v[15:16], v[109:110]
	ds_read_b128 v[1:4], v51 offset:1712
	s_waitcnt vmcnt(49) lgkmcnt(1)
	v_mul_f64 v[109:110], v[5:6], v[39:40]
	v_mul_f64 v[39:40], v[7:8], v[39:40]
	s_waitcnt vmcnt(48)
	v_fma_f64 v[47:48], v[9:10], v[120:121], -v[47:48]
	v_add_f64 v[13:14], v[13:14], v[25:26]
	v_fma_f64 v[25:26], v[11:12], v[120:121], v[45:46]
	v_add_f64 v[15:16], v[15:16], v[19:20]
	ds_read_b128 v[9:12], v51 offset:1728
	s_waitcnt vmcnt(47) lgkmcnt(1)
	v_mul_f64 v[19:20], v[1:2], v[41:42]
	v_mul_f64 v[41:42], v[3:4], v[41:42]
	s_waitcnt vmcnt(45)
	v_fma_f64 v[39:40], v[5:6], v[21:22], -v[39:40]
	v_fma_f64 v[21:22], v[7:8], v[21:22], v[109:110]
	ds_read_b128 v[5:8], v51 offset:1744
	v_add_f64 v[13:14], v[13:14], v[47:48]
	v_add_f64 v[15:16], v[15:16], v[25:26]
	s_waitcnt vmcnt(41) lgkmcnt(1)
	v_mul_f64 v[25:26], v[9:10], v[17:18]
	v_mul_f64 v[17:18], v[11:12], v[17:18]
	s_waitcnt vmcnt(40)
	v_fma_f64 v[41:42], v[1:2], v[49:50], -v[41:42]
	v_fma_f64 v[19:20], v[3:4], v[49:50], v[19:20]
	ds_read_b128 v[1:4], v51 offset:1760
	v_add_f64 v[13:14], v[13:14], v[39:40]
	v_add_f64 v[15:16], v[15:16], v[21:22]
	;; [unrolled: 9-line block ×3, first 2 shown]
	s_waitcnt vmcnt(33) lgkmcnt(1)
	v_mul_f64 v[19:20], v[1:2], v[23:24]
	v_mul_f64 v[23:24], v[3:4], v[23:24]
	s_waitcnt vmcnt(32)
	v_fma_f64 v[27:28], v[5:6], v[43:44], -v[37:38]
	v_add_f64 v[13:14], v[13:14], v[17:18]
	v_fma_f64 v[17:18], v[7:8], v[43:44], v[21:22]
	v_add_f64 v[15:16], v[15:16], v[25:26]
	ds_read_b128 v[5:8], v51 offset:1792
	s_waitcnt vmcnt(31) lgkmcnt(1)
	v_mul_f64 v[25:26], v[11:12], v[54:55]
	v_mul_f64 v[21:22], v[9:10], v[54:55]
	s_waitcnt vmcnt(29)
	v_fma_f64 v[19:20], v[3:4], v[33:34], v[19:20]
	v_fma_f64 v[23:24], v[1:2], v[33:34], -v[23:24]
	ds_read_b128 v[1:4], v51 offset:1808
	v_add_f64 v[13:14], v[13:14], v[27:28]
	v_add_f64 v[15:16], v[15:16], v[17:18]
	s_waitcnt vmcnt(25) lgkmcnt(1)
	v_mul_f64 v[27:28], v[7:8], v[29:30]
	s_waitcnt vmcnt(24)
	v_fma_f64 v[25:26], v[9:10], v[56:57], -v[25:26]
	v_mul_f64 v[17:18], v[5:6], v[29:30]
	v_fma_f64 v[21:22], v[11:12], v[56:57], v[21:22]
	ds_read_b128 v[9:12], v51 offset:1824
	v_add_f64 v[13:14], v[13:14], v[23:24]
	v_add_f64 v[15:16], v[15:16], v[19:20]
	s_waitcnt vmcnt(23) lgkmcnt(1)
	v_mul_f64 v[23:24], v[3:4], v[60:61]
	v_mul_f64 v[19:20], v[1:2], v[60:61]
	s_waitcnt vmcnt(21)
	v_fma_f64 v[27:28], v[5:6], v[31:32], -v[27:28]
	v_fma_f64 v[17:18], v[7:8], v[31:32], v[17:18]
	ds_read_b128 v[5:8], v51 offset:1840
	v_add_f64 v[13:14], v[13:14], v[25:26]
	v_add_f64 v[15:16], v[15:16], v[21:22]
	s_waitcnt vmcnt(17) lgkmcnt(1)
	v_mul_f64 v[25:26], v[11:12], v[35:36]
	s_waitcnt vmcnt(16)
	v_fma_f64 v[23:24], v[1:2], v[64:65], -v[23:24]
	v_mul_f64 v[21:22], v[9:10], v[35:36]
	v_fma_f64 v[19:20], v[3:4], v[64:65], v[19:20]
	ds_read_b128 v[1:4], v51 offset:1856
	v_add_f64 v[13:14], v[13:14], v[27:28]
	v_add_f64 v[15:16], v[15:16], v[17:18]
	s_waitcnt vmcnt(15) lgkmcnt(1)
	v_mul_f64 v[27:28], v[7:8], v[70:71]
	v_mul_f64 v[17:18], v[5:6], v[70:71]
	s_waitcnt vmcnt(13)
	v_fma_f64 v[25:26], v[9:10], v[52:53], -v[25:26]
	v_fma_f64 v[21:22], v[11:12], v[52:53], v[21:22]
	ds_read_b128 v[9:12], v51 offset:1872
	v_add_f64 v[13:14], v[13:14], v[23:24]
	v_add_f64 v[15:16], v[15:16], v[19:20]
	s_waitcnt vmcnt(9) lgkmcnt(1)
	v_mul_f64 v[23:24], v[3:4], v[58:59]
	s_waitcnt vmcnt(8)
	v_fma_f64 v[5:6], v[5:6], v[107:108], -v[27:28]
	v_mul_f64 v[19:20], v[1:2], v[58:59]
	v_fma_f64 v[7:8], v[7:8], v[107:108], v[17:18]
	v_add_f64 v[13:14], v[13:14], v[25:26]
	v_add_f64 v[15:16], v[15:16], v[21:22]
	s_waitcnt vmcnt(7) lgkmcnt(0)
	v_mul_f64 v[21:22], v[11:12], v[113:114]
	v_mul_f64 v[17:18], v[9:10], v[113:114]
	s_waitcnt vmcnt(5)
	v_fma_f64 v[1:2], v[1:2], v[62:63], -v[23:24]
	v_fma_f64 v[3:4], v[3:4], v[62:63], v[19:20]
	v_add_f64 v[5:6], v[13:14], v[5:6]
	v_add_f64 v[7:8], v[15:16], v[7:8]
	s_waitcnt vmcnt(4)
	v_fma_f64 v[9:10], v[9:10], v[117:118], -v[21:22]
	v_add_f64 v[1:2], v[5:6], v[1:2]
	v_fma_f64 v[5:6], v[11:12], v[117:118], v[17:18]
	v_add_f64 v[3:4], v[7:8], v[3:4]
	v_add_f64 v[1:2], v[1:2], v[9:10]
	v_add_f64 v[3:4], v[3:4], v[5:6]
	s_waitcnt vmcnt(2)
	v_add_f64 v[1:2], v[66:67], -v[1:2]
	s_waitcnt vmcnt(0)
	v_add_f64 v[3:4], v[105:106], -v[3:4]
	buffer_store_dword v2, off, s[0:3], 0 offset:420
	buffer_store_dword v1, off, s[0:3], 0 offset:416
	;; [unrolled: 1-line block ×4, first 2 shown]
	v_cmpx_lt_u32_e32 24, v0
	s_cbranch_execz .LBB58_319
; %bb.318:
	v_mov_b32_e32 v4, s47
	s_clause 0x3
	buffer_load_dword v1, v4, s[0:3], 0 offen
	buffer_load_dword v2, v4, s[0:3], 0 offen offset:4
	buffer_load_dword v3, v4, s[0:3], 0 offen offset:8
	;; [unrolled: 1-line block ×3, first 2 shown]
	buffer_store_dword v51, off, s[0:3], 0 offset:400
	buffer_store_dword v51, off, s[0:3], 0 offset:404
	;; [unrolled: 1-line block ×4, first 2 shown]
	s_waitcnt vmcnt(0)
	ds_write_b128 v69, v[1:4]
.LBB58_319:
	s_or_b32 exec_lo, exec_lo, s4
	s_waitcnt lgkmcnt(0)
	s_waitcnt_vscnt null, 0x0
	s_barrier
	buffer_gl0_inv
	s_clause 0x37
	buffer_load_dword v9, off, s[0:3], 0 offset:424
	buffer_load_dword v10, off, s[0:3], 0 offset:428
	;; [unrolled: 1-line block ×56, first 2 shown]
	ds_read_b128 v[52:55], v51 offset:1344
	s_clause 0x2
	buffer_load_dword v106, off, s[0:3], 0 offset:652
	buffer_load_dword v108, off, s[0:3], 0 offset:628
	;; [unrolled: 1-line block ×3, first 2 shown]
	ds_read_b128 v[56:59], v51 offset:1360
	s_clause 0x4
	buffer_load_dword v112, off, s[0:3], 0 offset:668
	buffer_load_dword v113, off, s[0:3], 0 offset:680
	;; [unrolled: 1-line block ×5, first 2 shown]
	ds_read_b128 v[60:63], v51 offset:1376
	s_clause 0x2
	buffer_load_dword v114, off, s[0:3], 0 offset:684
	buffer_load_dword v119, off, s[0:3], 0 offset:660
	;; [unrolled: 1-line block ×3, first 2 shown]
	s_mov_b32 s4, exec_lo
	s_waitcnt vmcnt(62) lgkmcnt(2)
	v_mul_f64 v[109:110], v[54:55], v[9:10]
	v_mul_f64 v[9:10], v[52:53], v[9:10]
	s_waitcnt lgkmcnt(1)
	v_mul_f64 v[116:117], v[58:59], v[5:6]
	s_waitcnt vmcnt(59) lgkmcnt(0)
	v_mul_f64 v[120:121], v[62:63], v[3:4]
	v_fma_f64 v[52:53], v[52:53], v[7:8], -v[109:110]
	v_mul_f64 v[109:110], v[56:57], v[5:6]
	v_fma_f64 v[9:10], v[54:55], v[7:8], v[9:10]
	s_waitcnt vmcnt(57)
	v_fma_f64 v[56:57], v[56:57], v[1:2], -v[116:117]
	ds_read_b128 v[5:8], v51 offset:1392
	v_mul_f64 v[54:55], v[60:61], v[3:4]
	s_waitcnt vmcnt(51)
	v_fma_f64 v[60:61], v[60:61], v[25:26], -v[120:121]
	v_add_f64 v[52:53], v[52:53], 0
	v_fma_f64 v[58:59], v[58:59], v[1:2], v[109:110]
	v_add_f64 v[9:10], v[9:10], 0
	s_clause 0x4
	buffer_load_dword v110, off, s[0:3], 0 offset:700
	buffer_load_dword v122, off, s[0:3], 0 offset:712
	;; [unrolled: 1-line block ×5, first 2 shown]
	s_waitcnt lgkmcnt(0)
	v_mul_f64 v[125:126], v[5:6], v[13:14]
	v_mul_f64 v[13:14], v[7:8], v[13:14]
	ds_read_b128 v[1:4], v51 offset:1408
	v_fma_f64 v[25:26], v[62:63], v[25:26], v[54:55]
	v_add_f64 v[56:57], v[52:53], v[56:57]
	v_add_f64 v[9:10], v[9:10], v[58:59]
	s_clause 0x2
	buffer_load_dword v123, off, s[0:3], 0 offset:716
	buffer_load_dword v59, off, s[0:3], 0 offset:692
	;; [unrolled: 1-line block ×3, first 2 shown]
	s_waitcnt vmcnt(58) lgkmcnt(0)
	v_mul_f64 v[62:63], v[1:2], v[17:18]
	v_mul_f64 v[17:18], v[3:4], v[17:18]
	s_waitcnt vmcnt(56)
	v_fma_f64 v[13:14], v[5:6], v[19:20], -v[13:14]
	ds_read_b128 v[52:55], v51 offset:1424
	v_fma_f64 v[19:20], v[7:8], v[19:20], v[125:126]
	v_add_f64 v[56:57], v[56:57], v[60:61]
	v_add_f64 v[9:10], v[9:10], v[25:26]
	s_clause 0x4
	buffer_load_dword v26, off, s[0:3], 0 offset:732
	buffer_load_dword v60, off, s[0:3], 0 offset:744
	;; [unrolled: 1-line block ×5, first 2 shown]
	ds_read_b128 v[5:8], v51 offset:1440
	s_waitcnt vmcnt(57) lgkmcnt(1)
	v_mul_f64 v[126:127], v[52:53], v[21:22]
	v_mul_f64 v[21:22], v[54:55], v[21:22]
	s_waitcnt vmcnt(56)
	v_fma_f64 v[17:18], v[1:2], v[11:12], -v[17:18]
	v_fma_f64 v[11:12], v[3:4], v[11:12], v[62:63]
	v_add_f64 v[13:14], v[56:57], v[13:14]
	v_add_f64 v[9:10], v[9:10], v[19:20]
	s_clause 0x2
	buffer_load_dword v61, off, s[0:3], 0 offset:748
	buffer_load_dword v20, off, s[0:3], 0 offset:724
	;; [unrolled: 1-line block ×3, first 2 shown]
	s_waitcnt vmcnt(58) lgkmcnt(0)
	v_mul_f64 v[56:57], v[5:6], v[27:28]
	v_mul_f64 v[27:28], v[7:8], v[27:28]
	s_waitcnt vmcnt(56)
	v_fma_f64 v[21:22], v[52:53], v[29:30], -v[21:22]
	ds_read_b128 v[1:4], v51 offset:1456
	v_add_f64 v[13:14], v[13:14], v[17:18]
	v_fma_f64 v[17:18], v[54:55], v[29:30], v[126:127]
	v_add_f64 v[29:30], v[9:10], v[11:12]
	s_clause 0x4
	buffer_load_dword v53, off, s[0:3], 0 offset:764
	buffer_load_dword v54, off, s[0:3], 0 offset:776
	;; [unrolled: 1-line block ×5, first 2 shown]
	ds_read_b128 v[9:12], v51 offset:1472
	s_waitcnt vmcnt(57) lgkmcnt(1)
	v_mul_f64 v[126:127], v[1:2], v[31:32]
	v_mul_f64 v[31:32], v[3:4], v[31:32]
	s_waitcnt vmcnt(56)
	v_fma_f64 v[27:28], v[5:6], v[15:16], -v[27:28]
	v_fma_f64 v[15:16], v[7:8], v[15:16], v[56:57]
	v_add_f64 v[13:14], v[13:14], v[21:22]
	s_clause 0x2
	buffer_load_dword v55, off, s[0:3], 0 offset:780
	buffer_load_dword v22, off, s[0:3], 0 offset:756
	;; [unrolled: 1-line block ×3, first 2 shown]
	v_add_f64 v[17:18], v[29:30], v[17:18]
	s_waitcnt vmcnt(58) lgkmcnt(0)
	v_mul_f64 v[29:30], v[9:10], v[35:36]
	v_mul_f64 v[35:36], v[11:12], v[35:36]
	ds_read_b128 v[5:8], v51 offset:1488
	s_waitcnt vmcnt(56)
	v_fma_f64 v[31:32], v[1:2], v[37:38], -v[31:32]
	v_add_f64 v[13:14], v[13:14], v[27:28]
	v_fma_f64 v[27:28], v[3:4], v[37:38], v[126:127]
	v_add_f64 v[15:16], v[17:18], v[15:16]
	s_clause 0x4
	buffer_load_dword v18, off, s[0:3], 0 offset:796
	buffer_load_dword v37, off, s[0:3], 0 offset:808
	;; [unrolled: 1-line block ×5, first 2 shown]
	s_waitcnt vmcnt(57) lgkmcnt(0)
	v_mul_f64 v[126:127], v[5:6], v[39:40]
	v_mul_f64 v[39:40], v[7:8], v[39:40]
	s_waitcnt vmcnt(56)
	v_fma_f64 v[35:36], v[9:10], v[23:24], -v[35:36]
	ds_read_b128 v[1:4], v51 offset:1504
	v_fma_f64 v[23:24], v[11:12], v[23:24], v[29:30]
	v_add_f64 v[13:14], v[13:14], v[31:32]
	v_add_f64 v[15:16], v[15:16], v[27:28]
	s_clause 0x2
	buffer_load_dword v38, off, s[0:3], 0 offset:812
	buffer_load_dword v28, off, s[0:3], 0 offset:788
	;; [unrolled: 1-line block ×3, first 2 shown]
	ds_read_b128 v[9:12], v51 offset:1520
	s_waitcnt vmcnt(58) lgkmcnt(1)
	v_mul_f64 v[31:32], v[3:4], v[43:44]
	s_waitcnt vmcnt(56)
	v_fma_f64 v[39:40], v[5:6], v[45:46], -v[39:40]
	v_mul_f64 v[29:30], v[1:2], v[43:44]
	v_add_f64 v[13:14], v[13:14], v[35:36]
	v_fma_f64 v[35:36], v[7:8], v[45:46], v[126:127]
	v_add_f64 v[15:16], v[15:16], v[23:24]
	s_clause 0x4
	buffer_load_dword v24, off, s[0:3], 0 offset:828
	buffer_load_dword v43, off, s[0:3], 0 offset:840
	;; [unrolled: 1-line block ×5, first 2 shown]
	s_waitcnt vmcnt(57) lgkmcnt(0)
	v_mul_f64 v[126:127], v[9:10], v[47:48]
	v_mul_f64 v[46:47], v[11:12], v[47:48]
	s_waitcnt vmcnt(56)
	v_fma_f64 v[31:32], v[1:2], v[33:34], -v[31:32]
	ds_read_b128 v[5:8], v51 offset:1536
	v_fma_f64 v[29:30], v[3:4], v[33:34], v[29:30]
	s_clause 0x2
	buffer_load_dword v44, off, s[0:3], 0 offset:844
	buffer_load_dword v34, off, s[0:3], 0 offset:820
	;; [unrolled: 1-line block ×3, first 2 shown]
	ds_read_b128 v[1:4], v51 offset:1552
	v_add_f64 v[13:14], v[13:14], v[39:40]
	v_add_f64 v[15:16], v[15:16], v[35:36]
	s_waitcnt vmcnt(58) lgkmcnt(1)
	v_mul_f64 v[39:40], v[7:8], v[64:65]
	s_waitcnt vmcnt(56)
	v_fma_f64 v[47:48], v[9:10], v[66:67], -v[46:47]
	v_mul_f64 v[35:36], v[5:6], v[64:65]
	v_add_f64 v[13:14], v[13:14], v[31:32]
	v_fma_f64 v[31:32], v[11:12], v[66:67], v[126:127]
	v_add_f64 v[15:16], v[15:16], v[29:30]
	s_clause 0x4
	buffer_load_dword v30, off, s[0:3], 0 offset:860
	buffer_load_dword v64, off, s[0:3], 0 offset:872
	;; [unrolled: 1-line block ×5, first 2 shown]
	s_waitcnt vmcnt(57) lgkmcnt(0)
	v_mul_f64 v[67:68], v[1:2], v[70:71]
	v_mul_f64 v[70:71], v[3:4], v[70:71]
	s_waitcnt vmcnt(56)
	v_fma_f64 v[39:40], v[5:6], v[41:42], -v[39:40]
	ds_read_b128 v[9:12], v51 offset:1568
	v_fma_f64 v[35:36], v[7:8], v[41:42], v[35:36]
	v_add_f64 v[13:14], v[13:14], v[47:48]
	v_add_f64 v[15:16], v[15:16], v[31:32]
	s_clause 0x2
	buffer_load_dword v65, off, s[0:3], 0 offset:876
	buffer_load_dword v32, off, s[0:3], 0 offset:852
	;; [unrolled: 1-line block ×3, first 2 shown]
	ds_read_b128 v[5:8], v51 offset:1584
	s_waitcnt vmcnt(58) lgkmcnt(1)
	v_mul_f64 v[47:48], v[11:12], v[105:106]
	s_waitcnt vmcnt(56)
	v_fma_f64 v[70:71], v[1:2], v[107:108], -v[70:71]
	v_mul_f64 v[41:42], v[9:10], v[105:106]
	v_add_f64 v[13:14], v[13:14], v[39:40]
	v_fma_f64 v[39:40], v[3:4], v[107:108], v[67:68]
	v_add_f64 v[15:16], v[15:16], v[35:36]
	s_clause 0x4
	buffer_load_dword v36, off, s[0:3], 0 offset:892
	buffer_load_dword v105, off, s[0:3], 0 offset:904
	buffer_load_dword v107, off, s[0:3], 0 offset:896
	buffer_load_dword v35, off, s[0:3], 0 offset:888
	buffer_load_dword v67, off, s[0:3], 0 offset:868
	s_waitcnt vmcnt(57) lgkmcnt(0)
	v_mul_f64 v[126:127], v[5:6], v[111:112]
	v_mul_f64 v[111:112], v[7:8], v[111:112]
	s_waitcnt vmcnt(56)
	v_fma_f64 v[47:48], v[9:10], v[49:50], -v[47:48]
	ds_read_b128 v[1:4], v51 offset:1600
	v_fma_f64 v[41:42], v[11:12], v[49:50], v[41:42]
	v_add_f64 v[13:14], v[13:14], v[70:71]
	v_add_f64 v[15:16], v[15:16], v[39:40]
	s_clause 0x2
	buffer_load_dword v106, off, s[0:3], 0 offset:908
	buffer_load_dword v40, off, s[0:3], 0 offset:884
	;; [unrolled: 1-line block ×3, first 2 shown]
	ds_read_b128 v[9:12], v51 offset:1616
	s_waitcnt vmcnt(58) lgkmcnt(1)
	v_mul_f64 v[70:71], v[3:4], v[113:114]
	s_waitcnt vmcnt(56)
	v_fma_f64 v[111:112], v[5:6], v[118:119], -v[111:112]
	v_mul_f64 v[49:50], v[1:2], v[113:114]
	v_add_f64 v[13:14], v[13:14], v[47:48]
	v_fma_f64 v[47:48], v[7:8], v[118:119], v[126:127]
	v_add_f64 v[15:16], v[15:16], v[41:42]
	s_clause 0x4
	buffer_load_dword v42, off, s[0:3], 0 offset:924
	buffer_load_dword v113, off, s[0:3], 0 offset:936
	;; [unrolled: 1-line block ×5, first 2 shown]
	ds_read_b128 v[5:8], v51 offset:1632
	s_waitcnt vmcnt(57) lgkmcnt(1)
	v_mul_f64 v[118:119], v[9:10], v[109:110]
	v_mul_f64 v[109:110], v[11:12], v[109:110]
	s_waitcnt vmcnt(56)
	v_fma_f64 v[70:71], v[1:2], v[115:116], -v[70:71]
	v_fma_f64 v[49:50], v[3:4], v[115:116], v[49:50]
	v_add_f64 v[13:14], v[13:14], v[111:112]
	v_add_f64 v[15:16], v[15:16], v[47:48]
	s_clause 0x2
	buffer_load_dword v114, off, s[0:3], 0 offset:940
	buffer_load_dword v48, off, s[0:3], 0 offset:916
	;; [unrolled: 1-line block ×3, first 2 shown]
	ds_read_b128 v[1:4], v51 offset:1648
	s_waitcnt vmcnt(58) lgkmcnt(1)
	v_mul_f64 v[115:116], v[7:8], v[122:123]
	v_mul_f64 v[111:112], v[5:6], v[122:123]
	s_waitcnt vmcnt(56)
	v_fma_f64 v[109:110], v[9:10], v[58:59], -v[109:110]
	v_fma_f64 v[58:59], v[11:12], v[58:59], v[118:119]
	v_add_f64 v[13:14], v[13:14], v[70:71]
	v_add_f64 v[15:16], v[15:16], v[49:50]
	s_clause 0x2
	buffer_load_dword v50, off, s[0:3], 0 offset:956
	buffer_load_dword v49, off, s[0:3], 0 offset:952
	;; [unrolled: 1-line block ×3, first 2 shown]
	ds_read_b128 v[9:12], v51 offset:1664
	s_waitcnt vmcnt(55) lgkmcnt(1)
	v_mul_f64 v[70:71], v[1:2], v[25:26]
	v_mul_f64 v[25:26], v[3:4], v[25:26]
	s_waitcnt vmcnt(54)
	v_fma_f64 v[115:116], v[5:6], v[124:125], -v[115:116]
	v_add_f64 v[13:14], v[13:14], v[109:110]
	v_fma_f64 v[109:110], v[7:8], v[124:125], v[111:112]
	v_add_f64 v[15:16], v[15:16], v[58:59]
	s_clause 0x1
	buffer_load_dword v59, off, s[0:3], 0 offset:948
	buffer_load_dword v58, off, s[0:3], 0 offset:944
	ds_read_b128 v[5:8], v51 offset:1680
	s_waitcnt vmcnt(55) lgkmcnt(1)
	v_mul_f64 v[111:112], v[9:10], v[60:61]
	v_mul_f64 v[60:61], v[11:12], v[60:61]
	s_waitcnt vmcnt(53)
	v_fma_f64 v[25:26], v[1:2], v[19:20], -v[25:26]
	v_fma_f64 v[19:20], v[3:4], v[19:20], v[70:71]
	ds_read_b128 v[1:4], v51 offset:1696
	v_add_f64 v[13:14], v[13:14], v[115:116]
	v_add_f64 v[15:16], v[15:16], v[109:110]
	s_waitcnt vmcnt(49) lgkmcnt(1)
	v_mul_f64 v[70:71], v[5:6], v[52:53]
	v_mul_f64 v[52:53], v[7:8], v[52:53]
	s_waitcnt vmcnt(48)
	v_fma_f64 v[60:61], v[9:10], v[120:121], -v[60:61]
	v_add_f64 v[13:14], v[13:14], v[25:26]
	v_fma_f64 v[25:26], v[11:12], v[120:121], v[111:112]
	v_add_f64 v[15:16], v[15:16], v[19:20]
	s_clause 0x3
	buffer_load_dword v19, off, s[0:3], 0 offset:400
	buffer_load_dword v20, off, s[0:3], 0 offset:404
	;; [unrolled: 1-line block ×4, first 2 shown]
	ds_read_b128 v[9:12], v51 offset:1712
	s_waitcnt vmcnt(51) lgkmcnt(1)
	v_mul_f64 v[111:112], v[1:2], v[54:55]
	v_mul_f64 v[54:55], v[3:4], v[54:55]
	s_waitcnt vmcnt(49)
	v_fma_f64 v[52:53], v[5:6], v[21:22], -v[52:53]
	v_fma_f64 v[21:22], v[7:8], v[21:22], v[70:71]
	ds_read_b128 v[5:8], v51 offset:1728
	v_add_f64 v[13:14], v[13:14], v[60:61]
	v_add_f64 v[15:16], v[15:16], v[25:26]
	s_waitcnt vmcnt(45) lgkmcnt(1)
	v_mul_f64 v[25:26], v[9:10], v[17:18]
	v_mul_f64 v[17:18], v[11:12], v[17:18]
	s_waitcnt vmcnt(44)
	v_fma_f64 v[54:55], v[1:2], v[62:63], -v[54:55]
	v_add_f64 v[13:14], v[13:14], v[52:53]
	v_fma_f64 v[52:53], v[3:4], v[62:63], v[111:112]
	v_add_f64 v[15:16], v[15:16], v[21:22]
	ds_read_b128 v[1:4], v51 offset:1744
	s_waitcnt vmcnt(43) lgkmcnt(1)
	v_mul_f64 v[21:22], v[5:6], v[37:38]
	v_mul_f64 v[37:38], v[7:8], v[37:38]
	s_waitcnt vmcnt(41)
	v_fma_f64 v[17:18], v[9:10], v[27:28], -v[17:18]
	v_fma_f64 v[25:26], v[11:12], v[27:28], v[25:26]
	ds_read_b128 v[9:12], v51 offset:1760
	v_add_f64 v[13:14], v[13:14], v[54:55]
	v_add_f64 v[15:16], v[15:16], v[52:53]
	s_waitcnt vmcnt(37) lgkmcnt(1)
	v_mul_f64 v[27:28], v[1:2], v[23:24]
	v_mul_f64 v[23:24], v[3:4], v[23:24]
	s_waitcnt vmcnt(36)
	v_fma_f64 v[37:38], v[5:6], v[56:57], -v[37:38]
	v_add_f64 v[13:14], v[13:14], v[17:18]
	v_fma_f64 v[17:18], v[7:8], v[56:57], v[21:22]
	v_add_f64 v[15:16], v[15:16], v[25:26]
	s_waitcnt vmcnt(35) lgkmcnt(0)
	v_mul_f64 v[25:26], v[11:12], v[43:44]
	ds_read_b128 v[5:8], v51 offset:1776
	v_mul_f64 v[21:22], v[9:10], v[43:44]
	s_waitcnt vmcnt(33)
	v_fma_f64 v[27:28], v[3:4], v[33:34], v[27:28]
	v_fma_f64 v[23:24], v[1:2], v[33:34], -v[23:24]
	ds_read_b128 v[1:4], v51 offset:1792
	v_add_f64 v[13:14], v[13:14], v[37:38]
	v_add_f64 v[15:16], v[15:16], v[17:18]
	s_waitcnt vmcnt(29) lgkmcnt(1)
	v_mul_f64 v[17:18], v[5:6], v[29:30]
	v_mul_f64 v[29:30], v[7:8], v[29:30]
	s_waitcnt vmcnt(28)
	v_fma_f64 v[25:26], v[9:10], v[45:46], -v[25:26]
	v_fma_f64 v[21:22], v[11:12], v[45:46], v[21:22]
	ds_read_b128 v[9:12], v51 offset:1808
	v_add_f64 v[13:14], v[13:14], v[23:24]
	v_add_f64 v[15:16], v[15:16], v[27:28]
	s_waitcnt vmcnt(27) lgkmcnt(1)
	v_mul_f64 v[27:28], v[3:4], v[64:65]
	v_mul_f64 v[23:24], v[1:2], v[64:65]
	s_waitcnt vmcnt(25)
	v_fma_f64 v[29:30], v[5:6], v[31:32], -v[29:30]
	v_fma_f64 v[17:18], v[7:8], v[31:32], v[17:18]
	ds_read_b128 v[5:8], v51 offset:1824
	v_add_f64 v[13:14], v[13:14], v[25:26]
	v_add_f64 v[15:16], v[15:16], v[21:22]
	s_waitcnt vmcnt(21) lgkmcnt(1)
	v_mul_f64 v[25:26], v[11:12], v[35:36]
	s_waitcnt vmcnt(20)
	v_fma_f64 v[27:28], v[1:2], v[66:67], -v[27:28]
	v_mul_f64 v[21:22], v[9:10], v[35:36]
	v_fma_f64 v[23:24], v[3:4], v[66:67], v[23:24]
	ds_read_b128 v[1:4], v51 offset:1840
	v_add_f64 v[13:14], v[13:14], v[29:30]
	v_add_f64 v[15:16], v[15:16], v[17:18]
	s_waitcnt vmcnt(19) lgkmcnt(1)
	v_mul_f64 v[29:30], v[7:8], v[105:106]
	v_mul_f64 v[17:18], v[5:6], v[105:106]
	s_waitcnt vmcnt(17)
	v_fma_f64 v[25:26], v[9:10], v[39:40], -v[25:26]
	v_fma_f64 v[21:22], v[11:12], v[39:40], v[21:22]
	ds_read_b128 v[9:12], v51 offset:1856
	v_add_f64 v[13:14], v[13:14], v[27:28]
	v_add_f64 v[15:16], v[15:16], v[23:24]
	s_waitcnt vmcnt(13) lgkmcnt(1)
	v_mul_f64 v[27:28], v[3:4], v[41:42]
	s_waitcnt vmcnt(12)
	v_fma_f64 v[29:30], v[5:6], v[107:108], -v[29:30]
	v_mul_f64 v[23:24], v[1:2], v[41:42]
	v_fma_f64 v[17:18], v[7:8], v[107:108], v[17:18]
	ds_read_b128 v[5:8], v51 offset:1872
	v_add_f64 v[13:14], v[13:14], v[25:26]
	v_add_f64 v[15:16], v[15:16], v[21:22]
	s_waitcnt vmcnt(11) lgkmcnt(1)
	v_mul_f64 v[25:26], v[11:12], v[113:114]
	v_mul_f64 v[21:22], v[9:10], v[113:114]
	s_waitcnt vmcnt(9)
	v_fma_f64 v[1:2], v[1:2], v[47:48], -v[27:28]
	v_fma_f64 v[3:4], v[3:4], v[47:48], v[23:24]
	v_add_f64 v[13:14], v[13:14], v[29:30]
	v_add_f64 v[15:16], v[15:16], v[17:18]
	s_waitcnt vmcnt(7) lgkmcnt(0)
	v_mul_f64 v[23:24], v[7:8], v[49:50]
	s_waitcnt vmcnt(6)
	v_fma_f64 v[9:10], v[9:10], v[117:118], -v[25:26]
	v_mul_f64 v[17:18], v[5:6], v[49:50]
	v_fma_f64 v[11:12], v[11:12], v[117:118], v[21:22]
	v_add_f64 v[1:2], v[13:14], v[1:2]
	v_add_f64 v[3:4], v[15:16], v[3:4]
	s_waitcnt vmcnt(4)
	v_fma_f64 v[5:6], v[5:6], v[58:59], -v[23:24]
	v_fma_f64 v[7:8], v[7:8], v[58:59], v[17:18]
	v_add_f64 v[1:2], v[1:2], v[9:10]
	v_add_f64 v[3:4], v[3:4], v[11:12]
	;; [unrolled: 1-line block ×4, first 2 shown]
	s_waitcnt vmcnt(2)
	v_add_f64 v[1:2], v[19:20], -v[1:2]
	s_waitcnt vmcnt(0)
	v_add_f64 v[3:4], v[109:110], -v[3:4]
	buffer_store_dword v2, off, s[0:3], 0 offset:404
	buffer_store_dword v1, off, s[0:3], 0 offset:400
	;; [unrolled: 1-line block ×4, first 2 shown]
	v_cmpx_lt_u32_e32 23, v0
	s_cbranch_execz .LBB58_321
; %bb.320:
	v_mov_b32_e32 v4, s48
	v_mov_b32_e32 v5, 0
	s_clause 0x3
	buffer_load_dword v1, v4, s[0:3], 0 offen
	buffer_load_dword v2, v4, s[0:3], 0 offen offset:4
	buffer_load_dword v3, v4, s[0:3], 0 offen offset:8
	;; [unrolled: 1-line block ×3, first 2 shown]
	buffer_store_dword v5, off, s[0:3], 0 offset:384
	buffer_store_dword v5, off, s[0:3], 0 offset:388
	;; [unrolled: 1-line block ×4, first 2 shown]
	s_waitcnt vmcnt(0)
	ds_write_b128 v69, v[1:4]
.LBB58_321:
	s_or_b32 exec_lo, exec_lo, s4
	s_waitcnt lgkmcnt(0)
	s_waitcnt_vscnt null, 0x0
	s_barrier
	buffer_gl0_inv
	s_clause 0x37
	buffer_load_dword v9, off, s[0:3], 0 offset:408
	buffer_load_dword v10, off, s[0:3], 0 offset:412
	;; [unrolled: 1-line block ×56, first 2 shown]
	v_mov_b32_e32 v61, 0
	s_mov_b32 s4, exec_lo
	ds_read_b128 v[62:65], v61 offset:1328
	s_clause 0x2
	buffer_load_dword v58, off, s[0:3], 0 offset:636
	buffer_load_dword v60, off, s[0:3], 0 offset:612
	;; [unrolled: 1-line block ×3, first 2 shown]
	ds_read_b128 v[105:108], v61 offset:1344
	s_clause 0x4
	buffer_load_dword v71, off, s[0:3], 0 offset:652
	buffer_load_dword v113, off, s[0:3], 0 offset:664
	;; [unrolled: 1-line block ×5, first 2 shown]
	ds_read_b128 v[109:112], v61 offset:1360
	s_clause 0x2
	buffer_load_dword v114, off, s[0:3], 0 offset:668
	buffer_load_dword v119, off, s[0:3], 0 offset:644
	;; [unrolled: 1-line block ×3, first 2 shown]
	s_waitcnt vmcnt(62) lgkmcnt(2)
	v_mul_f64 v[66:67], v[64:65], v[9:10]
	v_mul_f64 v[9:10], v[62:63], v[9:10]
	s_waitcnt lgkmcnt(1)
	v_mul_f64 v[116:117], v[107:108], v[5:6]
	s_waitcnt vmcnt(59) lgkmcnt(0)
	v_mul_f64 v[120:121], v[111:112], v[3:4]
	v_fma_f64 v[62:63], v[62:63], v[7:8], -v[66:67]
	v_mul_f64 v[66:67], v[105:106], v[5:6]
	v_fma_f64 v[9:10], v[64:65], v[7:8], v[9:10]
	s_waitcnt vmcnt(57)
	v_fma_f64 v[105:106], v[105:106], v[1:2], -v[116:117]
	ds_read_b128 v[5:8], v61 offset:1376
	v_mul_f64 v[64:65], v[109:110], v[3:4]
	s_waitcnt vmcnt(51)
	v_fma_f64 v[109:110], v[109:110], v[25:26], -v[120:121]
	v_add_f64 v[62:63], v[62:63], 0
	v_fma_f64 v[66:67], v[107:108], v[1:2], v[66:67]
	v_add_f64 v[9:10], v[9:10], 0
	s_clause 0x4
	buffer_load_dword v108, off, s[0:3], 0 offset:684
	buffer_load_dword v122, off, s[0:3], 0 offset:696
	buffer_load_dword v124, off, s[0:3], 0 offset:688
	buffer_load_dword v107, off, s[0:3], 0 offset:680
	buffer_load_dword v116, off, s[0:3], 0 offset:660
	s_waitcnt lgkmcnt(0)
	v_mul_f64 v[125:126], v[5:6], v[13:14]
	v_mul_f64 v[13:14], v[7:8], v[13:14]
	ds_read_b128 v[1:4], v61 offset:1392
	v_fma_f64 v[25:26], v[111:112], v[25:26], v[64:65]
	v_add_f64 v[105:106], v[62:63], v[105:106]
	v_add_f64 v[9:10], v[9:10], v[66:67]
	s_clause 0x2
	buffer_load_dword v123, off, s[0:3], 0 offset:700
	buffer_load_dword v67, off, s[0:3], 0 offset:676
	;; [unrolled: 1-line block ×3, first 2 shown]
	s_waitcnt vmcnt(58) lgkmcnt(0)
	v_mul_f64 v[111:112], v[1:2], v[17:18]
	v_mul_f64 v[17:18], v[3:4], v[17:18]
	s_waitcnt vmcnt(56)
	v_fma_f64 v[13:14], v[5:6], v[19:20], -v[13:14]
	ds_read_b128 v[62:65], v61 offset:1408
	v_fma_f64 v[19:20], v[7:8], v[19:20], v[125:126]
	v_add_f64 v[105:106], v[105:106], v[109:110]
	v_add_f64 v[9:10], v[9:10], v[25:26]
	s_clause 0x4
	buffer_load_dword v26, off, s[0:3], 0 offset:716
	buffer_load_dword v109, off, s[0:3], 0 offset:728
	;; [unrolled: 1-line block ×5, first 2 shown]
	ds_read_b128 v[5:8], v61 offset:1424
	s_waitcnt vmcnt(57) lgkmcnt(1)
	v_mul_f64 v[126:127], v[62:63], v[21:22]
	v_mul_f64 v[21:22], v[64:65], v[21:22]
	s_waitcnt vmcnt(56)
	v_fma_f64 v[17:18], v[1:2], v[11:12], -v[17:18]
	v_fma_f64 v[11:12], v[3:4], v[11:12], v[111:112]
	v_add_f64 v[13:14], v[105:106], v[13:14]
	v_add_f64 v[9:10], v[9:10], v[19:20]
	s_clause 0x2
	buffer_load_dword v110, off, s[0:3], 0 offset:732
	buffer_load_dword v20, off, s[0:3], 0 offset:708
	;; [unrolled: 1-line block ×3, first 2 shown]
	s_waitcnt vmcnt(58) lgkmcnt(0)
	v_mul_f64 v[105:106], v[5:6], v[27:28]
	v_mul_f64 v[27:28], v[7:8], v[27:28]
	s_waitcnt vmcnt(56)
	v_fma_f64 v[21:22], v[62:63], v[29:30], -v[21:22]
	ds_read_b128 v[1:4], v61 offset:1440
	v_add_f64 v[13:14], v[13:14], v[17:18]
	v_fma_f64 v[17:18], v[64:65], v[29:30], v[126:127]
	v_add_f64 v[29:30], v[9:10], v[11:12]
	s_clause 0x4
	buffer_load_dword v63, off, s[0:3], 0 offset:748
	buffer_load_dword v64, off, s[0:3], 0 offset:760
	;; [unrolled: 1-line block ×5, first 2 shown]
	ds_read_b128 v[9:12], v61 offset:1456
	s_waitcnt vmcnt(57) lgkmcnt(1)
	v_mul_f64 v[126:127], v[1:2], v[31:32]
	v_mul_f64 v[31:32], v[3:4], v[31:32]
	s_waitcnt vmcnt(56)
	v_fma_f64 v[27:28], v[5:6], v[15:16], -v[27:28]
	v_fma_f64 v[15:16], v[7:8], v[15:16], v[105:106]
	v_add_f64 v[13:14], v[13:14], v[21:22]
	s_clause 0x2
	buffer_load_dword v65, off, s[0:3], 0 offset:764
	buffer_load_dword v22, off, s[0:3], 0 offset:740
	buffer_load_dword v21, off, s[0:3], 0 offset:736
	v_add_f64 v[17:18], v[29:30], v[17:18]
	s_waitcnt vmcnt(58) lgkmcnt(0)
	v_mul_f64 v[29:30], v[9:10], v[35:36]
	v_mul_f64 v[35:36], v[11:12], v[35:36]
	ds_read_b128 v[5:8], v61 offset:1472
	s_waitcnt vmcnt(56)
	v_fma_f64 v[31:32], v[1:2], v[37:38], -v[31:32]
	v_add_f64 v[13:14], v[13:14], v[27:28]
	v_fma_f64 v[27:28], v[3:4], v[37:38], v[126:127]
	v_add_f64 v[15:16], v[17:18], v[15:16]
	s_clause 0x4
	buffer_load_dword v18, off, s[0:3], 0 offset:780
	buffer_load_dword v37, off, s[0:3], 0 offset:792
	buffer_load_dword v105, off, s[0:3], 0 offset:784
	buffer_load_dword v17, off, s[0:3], 0 offset:776
	buffer_load_dword v112, off, s[0:3], 0 offset:756
	s_waitcnt vmcnt(57) lgkmcnt(0)
	v_mul_f64 v[126:127], v[5:6], v[39:40]
	v_mul_f64 v[39:40], v[7:8], v[39:40]
	s_waitcnt vmcnt(56)
	v_fma_f64 v[35:36], v[9:10], v[23:24], -v[35:36]
	ds_read_b128 v[1:4], v61 offset:1488
	v_fma_f64 v[23:24], v[11:12], v[23:24], v[29:30]
	v_add_f64 v[13:14], v[13:14], v[31:32]
	v_add_f64 v[15:16], v[15:16], v[27:28]
	s_clause 0x2
	buffer_load_dword v38, off, s[0:3], 0 offset:796
	buffer_load_dword v28, off, s[0:3], 0 offset:772
	;; [unrolled: 1-line block ×3, first 2 shown]
	ds_read_b128 v[9:12], v61 offset:1504
	s_waitcnt vmcnt(58) lgkmcnt(1)
	v_mul_f64 v[31:32], v[3:4], v[43:44]
	s_waitcnt vmcnt(56)
	v_fma_f64 v[39:40], v[5:6], v[45:46], -v[39:40]
	v_mul_f64 v[29:30], v[1:2], v[43:44]
	v_add_f64 v[13:14], v[13:14], v[35:36]
	v_fma_f64 v[35:36], v[7:8], v[45:46], v[126:127]
	v_add_f64 v[15:16], v[15:16], v[23:24]
	s_clause 0x4
	buffer_load_dword v24, off, s[0:3], 0 offset:812
	buffer_load_dword v43, off, s[0:3], 0 offset:824
	buffer_load_dword v45, off, s[0:3], 0 offset:816
	buffer_load_dword v23, off, s[0:3], 0 offset:808
	buffer_load_dword v106, off, s[0:3], 0 offset:788
	s_waitcnt vmcnt(57) lgkmcnt(0)
	v_mul_f64 v[126:127], v[9:10], v[47:48]
	v_mul_f64 v[46:47], v[11:12], v[47:48]
	s_waitcnt vmcnt(56)
	v_fma_f64 v[31:32], v[1:2], v[33:34], -v[31:32]
	ds_read_b128 v[5:8], v61 offset:1520
	v_fma_f64 v[29:30], v[3:4], v[33:34], v[29:30]
	s_clause 0x2
	buffer_load_dword v44, off, s[0:3], 0 offset:828
	buffer_load_dword v34, off, s[0:3], 0 offset:804
	;; [unrolled: 1-line block ×3, first 2 shown]
	ds_read_b128 v[1:4], v61 offset:1536
	v_add_f64 v[13:14], v[13:14], v[39:40]
	v_add_f64 v[15:16], v[15:16], v[35:36]
	s_waitcnt vmcnt(58) lgkmcnt(1)
	v_mul_f64 v[39:40], v[7:8], v[51:52]
	s_waitcnt vmcnt(56)
	v_fma_f64 v[47:48], v[9:10], v[53:54], -v[46:47]
	v_mul_f64 v[35:36], v[5:6], v[51:52]
	v_add_f64 v[13:14], v[13:14], v[31:32]
	v_fma_f64 v[31:32], v[11:12], v[53:54], v[126:127]
	v_add_f64 v[15:16], v[15:16], v[29:30]
	s_clause 0x4
	buffer_load_dword v30, off, s[0:3], 0 offset:844
	buffer_load_dword v51, off, s[0:3], 0 offset:856
	;; [unrolled: 1-line block ×5, first 2 shown]
	s_waitcnt vmcnt(57) lgkmcnt(0)
	v_mul_f64 v[126:127], v[1:2], v[55:56]
	v_mul_f64 v[54:55], v[3:4], v[55:56]
	s_waitcnt vmcnt(56)
	v_fma_f64 v[39:40], v[5:6], v[41:42], -v[39:40]
	ds_read_b128 v[9:12], v61 offset:1552
	v_fma_f64 v[35:36], v[7:8], v[41:42], v[35:36]
	v_add_f64 v[13:14], v[13:14], v[47:48]
	v_add_f64 v[15:16], v[15:16], v[31:32]
	s_clause 0x2
	buffer_load_dword v52, off, s[0:3], 0 offset:860
	buffer_load_dword v32, off, s[0:3], 0 offset:836
	;; [unrolled: 1-line block ×3, first 2 shown]
	ds_read_b128 v[5:8], v61 offset:1568
	s_waitcnt vmcnt(58) lgkmcnt(1)
	v_mul_f64 v[47:48], v[11:12], v[57:58]
	s_waitcnt vmcnt(56)
	v_fma_f64 v[55:56], v[1:2], v[59:60], -v[54:55]
	v_mul_f64 v[41:42], v[9:10], v[57:58]
	v_add_f64 v[13:14], v[13:14], v[39:40]
	v_fma_f64 v[39:40], v[3:4], v[59:60], v[126:127]
	v_add_f64 v[15:16], v[15:16], v[35:36]
	s_clause 0x4
	buffer_load_dword v36, off, s[0:3], 0 offset:876
	buffer_load_dword v57, off, s[0:3], 0 offset:888
	;; [unrolled: 1-line block ×5, first 2 shown]
	s_waitcnt vmcnt(57) lgkmcnt(0)
	v_mul_f64 v[126:127], v[5:6], v[70:71]
	v_mul_f64 v[70:71], v[7:8], v[70:71]
	s_waitcnt vmcnt(56)
	v_fma_f64 v[47:48], v[9:10], v[49:50], -v[47:48]
	ds_read_b128 v[1:4], v61 offset:1584
	v_fma_f64 v[41:42], v[11:12], v[49:50], v[41:42]
	v_add_f64 v[13:14], v[13:14], v[55:56]
	v_add_f64 v[15:16], v[15:16], v[39:40]
	s_clause 0x2
	buffer_load_dword v58, off, s[0:3], 0 offset:892
	buffer_load_dword v40, off, s[0:3], 0 offset:868
	buffer_load_dword v39, off, s[0:3], 0 offset:864
	ds_read_b128 v[9:12], v61 offset:1600
	s_waitcnt vmcnt(58) lgkmcnt(1)
	v_mul_f64 v[55:56], v[3:4], v[113:114]
	s_waitcnt vmcnt(56)
	v_fma_f64 v[70:71], v[5:6], v[118:119], -v[70:71]
	v_mul_f64 v[49:50], v[1:2], v[113:114]
	v_add_f64 v[13:14], v[13:14], v[47:48]
	v_fma_f64 v[47:48], v[7:8], v[118:119], v[126:127]
	v_add_f64 v[15:16], v[15:16], v[41:42]
	s_clause 0x4
	buffer_load_dword v42, off, s[0:3], 0 offset:908
	buffer_load_dword v113, off, s[0:3], 0 offset:920
	;; [unrolled: 1-line block ×5, first 2 shown]
	ds_read_b128 v[5:8], v61 offset:1616
	s_waitcnt vmcnt(57) lgkmcnt(1)
	v_mul_f64 v[118:119], v[9:10], v[107:108]
	v_mul_f64 v[107:108], v[11:12], v[107:108]
	s_waitcnt vmcnt(56)
	v_fma_f64 v[55:56], v[1:2], v[115:116], -v[55:56]
	v_fma_f64 v[49:50], v[3:4], v[115:116], v[49:50]
	v_add_f64 v[13:14], v[13:14], v[70:71]
	v_add_f64 v[15:16], v[15:16], v[47:48]
	s_clause 0x2
	buffer_load_dword v114, off, s[0:3], 0 offset:924
	buffer_load_dword v48, off, s[0:3], 0 offset:900
	;; [unrolled: 1-line block ×3, first 2 shown]
	ds_read_b128 v[1:4], v61 offset:1632
	s_waitcnt vmcnt(58) lgkmcnt(1)
	v_mul_f64 v[115:116], v[7:8], v[122:123]
	v_mul_f64 v[70:71], v[5:6], v[122:123]
	s_waitcnt vmcnt(56)
	v_fma_f64 v[107:108], v[9:10], v[66:67], -v[107:108]
	v_add_f64 v[13:14], v[13:14], v[55:56]
	v_fma_f64 v[55:56], v[11:12], v[66:67], v[118:119]
	v_add_f64 v[15:16], v[15:16], v[49:50]
	s_clause 0x4
	buffer_load_dword v50, off, s[0:3], 0 offset:940
	buffer_load_dword v66, off, s[0:3], 0 offset:952
	;; [unrolled: 1-line block ×5, first 2 shown]
	ds_read_b128 v[9:12], v61 offset:1648
	s_waitcnt vmcnt(57) lgkmcnt(1)
	v_mul_f64 v[126:127], v[1:2], v[25:26]
	v_mul_f64 v[25:26], v[3:4], v[25:26]
	s_waitcnt vmcnt(56)
	v_fma_f64 v[115:116], v[5:6], v[124:125], -v[115:116]
	v_fma_f64 v[70:71], v[7:8], v[124:125], v[70:71]
	v_add_f64 v[13:14], v[13:14], v[107:108]
	v_add_f64 v[15:16], v[15:16], v[55:56]
	s_clause 0x2
	buffer_load_dword v67, off, s[0:3], 0 offset:956
	buffer_load_dword v56, off, s[0:3], 0 offset:932
	;; [unrolled: 1-line block ×3, first 2 shown]
	ds_read_b128 v[5:8], v61 offset:1664
	buffer_load_dword v123, off, s[0:3], 0 offset:948
	s_waitcnt vmcnt(59) lgkmcnt(1)
	v_mul_f64 v[107:108], v[9:10], v[109:110]
	v_mul_f64 v[109:110], v[11:12], v[109:110]
	s_waitcnt vmcnt(57)
	v_fma_f64 v[25:26], v[1:2], v[19:20], -v[25:26]
	v_fma_f64 v[19:20], v[3:4], v[19:20], v[126:127]
	ds_read_b128 v[1:4], v61 offset:1680
	v_add_f64 v[13:14], v[13:14], v[115:116]
	v_add_f64 v[15:16], v[15:16], v[70:71]
	s_waitcnt vmcnt(53) lgkmcnt(1)
	v_mul_f64 v[70:71], v[5:6], v[62:63]
	v_mul_f64 v[62:63], v[7:8], v[62:63]
	s_waitcnt vmcnt(52)
	v_fma_f64 v[109:110], v[9:10], v[120:121], -v[109:110]
	v_add_f64 v[13:14], v[13:14], v[25:26]
	v_fma_f64 v[25:26], v[11:12], v[120:121], v[107:108]
	v_add_f64 v[15:16], v[15:16], v[19:20]
	ds_read_b128 v[9:12], v61 offset:1696
	s_waitcnt vmcnt(51) lgkmcnt(1)
	v_mul_f64 v[19:20], v[1:2], v[64:65]
	v_mul_f64 v[64:65], v[3:4], v[64:65]
	s_waitcnt vmcnt(49)
	v_fma_f64 v[62:63], v[5:6], v[21:22], -v[62:63]
	v_fma_f64 v[21:22], v[7:8], v[21:22], v[70:71]
	v_add_f64 v[13:14], v[13:14], v[109:110]
	v_add_f64 v[15:16], v[15:16], v[25:26]
	s_clause 0x3
	buffer_load_dword v25, off, s[0:3], 0 offset:384
	buffer_load_dword v26, off, s[0:3], 0 offset:388
	;; [unrolled: 1-line block ×4, first 2 shown]
	ds_read_b128 v[5:8], v61 offset:1712
	s_waitcnt vmcnt(49) lgkmcnt(1)
	v_mul_f64 v[107:108], v[9:10], v[17:18]
	v_mul_f64 v[17:18], v[11:12], v[17:18]
	s_waitcnt vmcnt(48)
	v_fma_f64 v[64:65], v[1:2], v[111:112], -v[64:65]
	v_fma_f64 v[19:20], v[3:4], v[111:112], v[19:20]
	ds_read_b128 v[1:4], v61 offset:1728
	v_add_f64 v[13:14], v[13:14], v[62:63]
	v_add_f64 v[15:16], v[15:16], v[21:22]
	s_waitcnt vmcnt(47) lgkmcnt(1)
	v_mul_f64 v[21:22], v[5:6], v[37:38]
	v_mul_f64 v[37:38], v[7:8], v[37:38]
	s_waitcnt vmcnt(45)
	v_fma_f64 v[17:18], v[9:10], v[27:28], -v[17:18]
	v_fma_f64 v[27:28], v[11:12], v[27:28], v[107:108]
	ds_read_b128 v[9:12], v61 offset:1744
	v_add_f64 v[13:14], v[13:14], v[64:65]
	v_add_f64 v[15:16], v[15:16], v[19:20]
	s_waitcnt vmcnt(41) lgkmcnt(1)
	v_mul_f64 v[19:20], v[1:2], v[23:24]
	v_mul_f64 v[23:24], v[3:4], v[23:24]
	s_waitcnt vmcnt(40)
	v_fma_f64 v[37:38], v[5:6], v[105:106], -v[37:38]
	v_add_f64 v[13:14], v[13:14], v[17:18]
	v_fma_f64 v[17:18], v[7:8], v[105:106], v[21:22]
	v_add_f64 v[15:16], v[15:16], v[27:28]
	ds_read_b128 v[5:8], v61 offset:1760
	s_waitcnt vmcnt(39) lgkmcnt(1)
	v_mul_f64 v[27:28], v[11:12], v[43:44]
	v_mul_f64 v[21:22], v[9:10], v[43:44]
	s_waitcnt vmcnt(37)
	v_fma_f64 v[19:20], v[3:4], v[33:34], v[19:20]
	v_fma_f64 v[23:24], v[1:2], v[33:34], -v[23:24]
	ds_read_b128 v[1:4], v61 offset:1776
	v_add_f64 v[13:14], v[13:14], v[37:38]
	v_add_f64 v[15:16], v[15:16], v[17:18]
	s_waitcnt vmcnt(33) lgkmcnt(1)
	v_mul_f64 v[17:18], v[5:6], v[29:30]
	v_mul_f64 v[29:30], v[7:8], v[29:30]
	s_waitcnt vmcnt(32)
	v_fma_f64 v[27:28], v[9:10], v[45:46], -v[27:28]
	v_fma_f64 v[21:22], v[11:12], v[45:46], v[21:22]
	ds_read_b128 v[9:12], v61 offset:1792
	v_add_f64 v[13:14], v[13:14], v[23:24]
	v_add_f64 v[15:16], v[15:16], v[19:20]
	s_waitcnt vmcnt(31) lgkmcnt(1)
	v_mul_f64 v[23:24], v[3:4], v[51:52]
	v_mul_f64 v[19:20], v[1:2], v[51:52]
	s_waitcnt vmcnt(29)
	v_fma_f64 v[29:30], v[5:6], v[31:32], -v[29:30]
	v_fma_f64 v[17:18], v[7:8], v[31:32], v[17:18]
	ds_read_b128 v[5:8], v61 offset:1808
	v_add_f64 v[13:14], v[13:14], v[27:28]
	v_add_f64 v[15:16], v[15:16], v[21:22]
	s_waitcnt vmcnt(25) lgkmcnt(1)
	v_mul_f64 v[27:28], v[11:12], v[35:36]
	s_waitcnt vmcnt(24)
	v_fma_f64 v[23:24], v[1:2], v[53:54], -v[23:24]
	v_mul_f64 v[21:22], v[9:10], v[35:36]
	v_fma_f64 v[19:20], v[3:4], v[53:54], v[19:20]
	ds_read_b128 v[1:4], v61 offset:1824
	v_add_f64 v[13:14], v[13:14], v[29:30]
	v_add_f64 v[15:16], v[15:16], v[17:18]
	s_waitcnt vmcnt(23) lgkmcnt(1)
	v_mul_f64 v[29:30], v[7:8], v[57:58]
	v_mul_f64 v[17:18], v[5:6], v[57:58]
	s_waitcnt vmcnt(21)
	v_fma_f64 v[27:28], v[9:10], v[39:40], -v[27:28]
	v_fma_f64 v[21:22], v[11:12], v[39:40], v[21:22]
	ds_read_b128 v[9:12], v61 offset:1840
	v_add_f64 v[13:14], v[13:14], v[23:24]
	v_add_f64 v[15:16], v[15:16], v[19:20]
	s_waitcnt vmcnt(17) lgkmcnt(1)
	v_mul_f64 v[23:24], v[3:4], v[41:42]
	s_waitcnt vmcnt(16)
	v_fma_f64 v[29:30], v[5:6], v[59:60], -v[29:30]
	v_mul_f64 v[19:20], v[1:2], v[41:42]
	;; [unrolled: 18-line block ×3, first 2 shown]
	v_fma_f64 v[11:12], v[11:12], v[117:118], v[21:22]
	v_add_f64 v[13:14], v[13:14], v[23:24]
	v_add_f64 v[15:16], v[15:16], v[19:20]
	s_waitcnt vmcnt(7) lgkmcnt(0)
	v_mul_f64 v[21:22], v[3:4], v[66:67]
	v_mul_f64 v[19:20], v[1:2], v[66:67]
	s_waitcnt vmcnt(5)
	v_fma_f64 v[5:6], v[5:6], v[55:56], -v[29:30]
	v_fma_f64 v[7:8], v[7:8], v[55:56], v[17:18]
	v_add_f64 v[9:10], v[13:14], v[9:10]
	v_add_f64 v[11:12], v[15:16], v[11:12]
	s_waitcnt vmcnt(4)
	v_fma_f64 v[1:2], v[1:2], v[122:123], -v[21:22]
	v_fma_f64 v[3:4], v[3:4], v[122:123], v[19:20]
	v_add_f64 v[5:6], v[9:10], v[5:6]
	v_add_f64 v[7:8], v[11:12], v[7:8]
	;; [unrolled: 1-line block ×4, first 2 shown]
	s_waitcnt vmcnt(2)
	v_add_f64 v[1:2], v[25:26], -v[1:2]
	s_waitcnt vmcnt(0)
	v_add_f64 v[3:4], v[70:71], -v[3:4]
	buffer_store_dword v2, off, s[0:3], 0 offset:388
	buffer_store_dword v1, off, s[0:3], 0 offset:384
	;; [unrolled: 1-line block ×4, first 2 shown]
	v_cmpx_lt_u32_e32 22, v0
	s_cbranch_execz .LBB58_323
; %bb.322:
	v_mov_b32_e32 v4, s50
	s_clause 0x3
	buffer_load_dword v1, v4, s[0:3], 0 offen
	buffer_load_dword v2, v4, s[0:3], 0 offen offset:4
	buffer_load_dword v3, v4, s[0:3], 0 offen offset:8
	;; [unrolled: 1-line block ×3, first 2 shown]
	buffer_store_dword v61, off, s[0:3], 0 offset:368
	buffer_store_dword v61, off, s[0:3], 0 offset:372
	;; [unrolled: 1-line block ×4, first 2 shown]
	s_waitcnt vmcnt(0)
	ds_write_b128 v69, v[1:4]
.LBB58_323:
	s_or_b32 exec_lo, exec_lo, s4
	s_waitcnt lgkmcnt(0)
	s_waitcnt_vscnt null, 0x0
	s_barrier
	buffer_gl0_inv
	s_clause 0x37
	buffer_load_dword v9, off, s[0:3], 0 offset:392
	buffer_load_dword v10, off, s[0:3], 0 offset:396
	;; [unrolled: 1-line block ×56, first 2 shown]
	ds_read_b128 v[62:65], v61 offset:1312
	s_clause 0x2
	buffer_load_dword v58, off, s[0:3], 0 offset:620
	buffer_load_dword v60, off, s[0:3], 0 offset:596
	;; [unrolled: 1-line block ×3, first 2 shown]
	ds_read_b128 v[105:108], v61 offset:1328
	s_clause 0x4
	buffer_load_dword v71, off, s[0:3], 0 offset:636
	buffer_load_dword v113, off, s[0:3], 0 offset:648
	buffer_load_dword v115, off, s[0:3], 0 offset:640
	buffer_load_dword v70, off, s[0:3], 0 offset:632
	buffer_load_dword v50, off, s[0:3], 0 offset:612
	ds_read_b128 v[109:112], v61 offset:1344
	s_clause 0x2
	buffer_load_dword v114, off, s[0:3], 0 offset:652
	buffer_load_dword v119, off, s[0:3], 0 offset:628
	;; [unrolled: 1-line block ×3, first 2 shown]
	s_mov_b32 s4, exec_lo
	s_waitcnt vmcnt(62) lgkmcnt(2)
	v_mul_f64 v[66:67], v[64:65], v[9:10]
	v_mul_f64 v[9:10], v[62:63], v[9:10]
	s_waitcnt lgkmcnt(1)
	v_mul_f64 v[116:117], v[107:108], v[5:6]
	s_waitcnt vmcnt(59) lgkmcnt(0)
	v_mul_f64 v[120:121], v[111:112], v[3:4]
	v_fma_f64 v[62:63], v[62:63], v[7:8], -v[66:67]
	v_mul_f64 v[66:67], v[105:106], v[5:6]
	v_fma_f64 v[9:10], v[64:65], v[7:8], v[9:10]
	s_waitcnt vmcnt(57)
	v_fma_f64 v[105:106], v[105:106], v[1:2], -v[116:117]
	ds_read_b128 v[5:8], v61 offset:1360
	v_mul_f64 v[64:65], v[109:110], v[3:4]
	s_waitcnt vmcnt(51)
	v_fma_f64 v[109:110], v[109:110], v[25:26], -v[120:121]
	v_add_f64 v[62:63], v[62:63], 0
	v_fma_f64 v[66:67], v[107:108], v[1:2], v[66:67]
	v_add_f64 v[9:10], v[9:10], 0
	s_clause 0x4
	buffer_load_dword v108, off, s[0:3], 0 offset:668
	buffer_load_dword v122, off, s[0:3], 0 offset:680
	;; [unrolled: 1-line block ×5, first 2 shown]
	s_waitcnt lgkmcnt(0)
	v_mul_f64 v[125:126], v[5:6], v[13:14]
	v_mul_f64 v[13:14], v[7:8], v[13:14]
	ds_read_b128 v[1:4], v61 offset:1376
	v_fma_f64 v[25:26], v[111:112], v[25:26], v[64:65]
	v_add_f64 v[105:106], v[62:63], v[105:106]
	v_add_f64 v[9:10], v[9:10], v[66:67]
	s_clause 0x2
	buffer_load_dword v123, off, s[0:3], 0 offset:684
	buffer_load_dword v67, off, s[0:3], 0 offset:660
	;; [unrolled: 1-line block ×3, first 2 shown]
	s_waitcnt vmcnt(58) lgkmcnt(0)
	v_mul_f64 v[111:112], v[1:2], v[17:18]
	v_mul_f64 v[17:18], v[3:4], v[17:18]
	s_waitcnt vmcnt(56)
	v_fma_f64 v[13:14], v[5:6], v[19:20], -v[13:14]
	ds_read_b128 v[62:65], v61 offset:1392
	v_fma_f64 v[19:20], v[7:8], v[19:20], v[125:126]
	v_add_f64 v[105:106], v[105:106], v[109:110]
	v_add_f64 v[9:10], v[9:10], v[25:26]
	s_clause 0x4
	buffer_load_dword v26, off, s[0:3], 0 offset:700
	buffer_load_dword v109, off, s[0:3], 0 offset:712
	;; [unrolled: 1-line block ×5, first 2 shown]
	ds_read_b128 v[5:8], v61 offset:1408
	s_waitcnt vmcnt(57) lgkmcnt(1)
	v_mul_f64 v[126:127], v[62:63], v[21:22]
	v_mul_f64 v[21:22], v[64:65], v[21:22]
	s_waitcnt vmcnt(56)
	v_fma_f64 v[17:18], v[1:2], v[11:12], -v[17:18]
	v_fma_f64 v[11:12], v[3:4], v[11:12], v[111:112]
	v_add_f64 v[13:14], v[105:106], v[13:14]
	v_add_f64 v[9:10], v[9:10], v[19:20]
	s_clause 0x2
	buffer_load_dword v110, off, s[0:3], 0 offset:716
	buffer_load_dword v20, off, s[0:3], 0 offset:692
	;; [unrolled: 1-line block ×3, first 2 shown]
	s_waitcnt vmcnt(58) lgkmcnt(0)
	v_mul_f64 v[105:106], v[5:6], v[27:28]
	v_mul_f64 v[27:28], v[7:8], v[27:28]
	s_waitcnt vmcnt(56)
	v_fma_f64 v[21:22], v[62:63], v[29:30], -v[21:22]
	ds_read_b128 v[1:4], v61 offset:1424
	v_add_f64 v[13:14], v[13:14], v[17:18]
	v_fma_f64 v[17:18], v[64:65], v[29:30], v[126:127]
	v_add_f64 v[29:30], v[9:10], v[11:12]
	s_clause 0x4
	buffer_load_dword v63, off, s[0:3], 0 offset:732
	buffer_load_dword v64, off, s[0:3], 0 offset:744
	;; [unrolled: 1-line block ×5, first 2 shown]
	ds_read_b128 v[9:12], v61 offset:1440
	s_waitcnt vmcnt(57) lgkmcnt(1)
	v_mul_f64 v[126:127], v[1:2], v[31:32]
	v_mul_f64 v[31:32], v[3:4], v[31:32]
	s_waitcnt vmcnt(56)
	v_fma_f64 v[27:28], v[5:6], v[15:16], -v[27:28]
	v_fma_f64 v[15:16], v[7:8], v[15:16], v[105:106]
	v_add_f64 v[13:14], v[13:14], v[21:22]
	s_clause 0x2
	buffer_load_dword v65, off, s[0:3], 0 offset:748
	buffer_load_dword v22, off, s[0:3], 0 offset:724
	;; [unrolled: 1-line block ×3, first 2 shown]
	v_add_f64 v[17:18], v[29:30], v[17:18]
	s_waitcnt vmcnt(58) lgkmcnt(0)
	v_mul_f64 v[29:30], v[9:10], v[35:36]
	v_mul_f64 v[35:36], v[11:12], v[35:36]
	ds_read_b128 v[5:8], v61 offset:1456
	s_waitcnt vmcnt(56)
	v_fma_f64 v[31:32], v[1:2], v[37:38], -v[31:32]
	v_add_f64 v[13:14], v[13:14], v[27:28]
	v_fma_f64 v[27:28], v[3:4], v[37:38], v[126:127]
	v_add_f64 v[15:16], v[17:18], v[15:16]
	s_clause 0x4
	buffer_load_dword v18, off, s[0:3], 0 offset:764
	buffer_load_dword v37, off, s[0:3], 0 offset:776
	;; [unrolled: 1-line block ×5, first 2 shown]
	s_waitcnt vmcnt(57) lgkmcnt(0)
	v_mul_f64 v[126:127], v[5:6], v[39:40]
	v_mul_f64 v[39:40], v[7:8], v[39:40]
	s_waitcnt vmcnt(56)
	v_fma_f64 v[35:36], v[9:10], v[23:24], -v[35:36]
	ds_read_b128 v[1:4], v61 offset:1472
	v_fma_f64 v[23:24], v[11:12], v[23:24], v[29:30]
	v_add_f64 v[13:14], v[13:14], v[31:32]
	v_add_f64 v[15:16], v[15:16], v[27:28]
	s_clause 0x2
	buffer_load_dword v38, off, s[0:3], 0 offset:780
	buffer_load_dword v28, off, s[0:3], 0 offset:756
	;; [unrolled: 1-line block ×3, first 2 shown]
	ds_read_b128 v[9:12], v61 offset:1488
	s_waitcnt vmcnt(58) lgkmcnt(1)
	v_mul_f64 v[31:32], v[3:4], v[43:44]
	s_waitcnt vmcnt(56)
	v_fma_f64 v[39:40], v[5:6], v[45:46], -v[39:40]
	v_mul_f64 v[29:30], v[1:2], v[43:44]
	v_add_f64 v[13:14], v[13:14], v[35:36]
	v_fma_f64 v[35:36], v[7:8], v[45:46], v[126:127]
	v_add_f64 v[15:16], v[15:16], v[23:24]
	s_clause 0x4
	buffer_load_dword v24, off, s[0:3], 0 offset:796
	buffer_load_dword v43, off, s[0:3], 0 offset:808
	;; [unrolled: 1-line block ×5, first 2 shown]
	s_waitcnt vmcnt(57) lgkmcnt(0)
	v_mul_f64 v[126:127], v[9:10], v[47:48]
	v_mul_f64 v[46:47], v[11:12], v[47:48]
	s_waitcnt vmcnt(56)
	v_fma_f64 v[31:32], v[1:2], v[33:34], -v[31:32]
	ds_read_b128 v[5:8], v61 offset:1504
	v_fma_f64 v[29:30], v[3:4], v[33:34], v[29:30]
	s_clause 0x2
	buffer_load_dword v44, off, s[0:3], 0 offset:812
	buffer_load_dword v34, off, s[0:3], 0 offset:788
	;; [unrolled: 1-line block ×3, first 2 shown]
	ds_read_b128 v[1:4], v61 offset:1520
	v_add_f64 v[13:14], v[13:14], v[39:40]
	v_add_f64 v[15:16], v[15:16], v[35:36]
	s_waitcnt vmcnt(58) lgkmcnt(1)
	v_mul_f64 v[39:40], v[7:8], v[51:52]
	s_waitcnt vmcnt(56)
	v_fma_f64 v[47:48], v[9:10], v[53:54], -v[46:47]
	v_mul_f64 v[35:36], v[5:6], v[51:52]
	v_add_f64 v[13:14], v[13:14], v[31:32]
	v_fma_f64 v[31:32], v[11:12], v[53:54], v[126:127]
	v_add_f64 v[15:16], v[15:16], v[29:30]
	s_clause 0x4
	buffer_load_dword v30, off, s[0:3], 0 offset:828
	buffer_load_dword v51, off, s[0:3], 0 offset:840
	;; [unrolled: 1-line block ×5, first 2 shown]
	s_waitcnt vmcnt(57) lgkmcnt(0)
	v_mul_f64 v[126:127], v[1:2], v[55:56]
	v_mul_f64 v[54:55], v[3:4], v[55:56]
	s_waitcnt vmcnt(56)
	v_fma_f64 v[39:40], v[5:6], v[41:42], -v[39:40]
	ds_read_b128 v[9:12], v61 offset:1536
	v_fma_f64 v[35:36], v[7:8], v[41:42], v[35:36]
	v_add_f64 v[13:14], v[13:14], v[47:48]
	v_add_f64 v[15:16], v[15:16], v[31:32]
	s_clause 0x2
	buffer_load_dword v52, off, s[0:3], 0 offset:844
	buffer_load_dword v32, off, s[0:3], 0 offset:820
	buffer_load_dword v31, off, s[0:3], 0 offset:816
	ds_read_b128 v[5:8], v61 offset:1552
	s_waitcnt vmcnt(58) lgkmcnt(1)
	v_mul_f64 v[47:48], v[11:12], v[57:58]
	s_waitcnt vmcnt(56)
	v_fma_f64 v[55:56], v[1:2], v[59:60], -v[54:55]
	v_mul_f64 v[41:42], v[9:10], v[57:58]
	v_add_f64 v[13:14], v[13:14], v[39:40]
	v_fma_f64 v[39:40], v[3:4], v[59:60], v[126:127]
	v_add_f64 v[15:16], v[15:16], v[35:36]
	s_clause 0x4
	buffer_load_dword v36, off, s[0:3], 0 offset:860
	buffer_load_dword v57, off, s[0:3], 0 offset:872
	;; [unrolled: 1-line block ×5, first 2 shown]
	s_waitcnt vmcnt(57) lgkmcnt(0)
	v_mul_f64 v[126:127], v[5:6], v[70:71]
	v_mul_f64 v[70:71], v[7:8], v[70:71]
	s_waitcnt vmcnt(56)
	v_fma_f64 v[47:48], v[9:10], v[49:50], -v[47:48]
	ds_read_b128 v[1:4], v61 offset:1568
	v_fma_f64 v[41:42], v[11:12], v[49:50], v[41:42]
	v_add_f64 v[13:14], v[13:14], v[55:56]
	v_add_f64 v[15:16], v[15:16], v[39:40]
	s_clause 0x2
	buffer_load_dword v58, off, s[0:3], 0 offset:876
	buffer_load_dword v40, off, s[0:3], 0 offset:852
	;; [unrolled: 1-line block ×3, first 2 shown]
	ds_read_b128 v[9:12], v61 offset:1584
	s_waitcnt vmcnt(58) lgkmcnt(1)
	v_mul_f64 v[55:56], v[3:4], v[113:114]
	s_waitcnt vmcnt(56)
	v_fma_f64 v[70:71], v[5:6], v[118:119], -v[70:71]
	v_mul_f64 v[49:50], v[1:2], v[113:114]
	v_add_f64 v[13:14], v[13:14], v[47:48]
	v_fma_f64 v[47:48], v[7:8], v[118:119], v[126:127]
	v_add_f64 v[15:16], v[15:16], v[41:42]
	s_clause 0x4
	buffer_load_dword v42, off, s[0:3], 0 offset:892
	buffer_load_dword v113, off, s[0:3], 0 offset:904
	;; [unrolled: 1-line block ×5, first 2 shown]
	ds_read_b128 v[5:8], v61 offset:1600
	s_waitcnt vmcnt(57) lgkmcnt(1)
	v_mul_f64 v[118:119], v[9:10], v[107:108]
	v_mul_f64 v[107:108], v[11:12], v[107:108]
	s_waitcnt vmcnt(56)
	v_fma_f64 v[55:56], v[1:2], v[115:116], -v[55:56]
	v_fma_f64 v[49:50], v[3:4], v[115:116], v[49:50]
	v_add_f64 v[13:14], v[13:14], v[70:71]
	v_add_f64 v[15:16], v[15:16], v[47:48]
	s_clause 0x2
	buffer_load_dword v114, off, s[0:3], 0 offset:908
	buffer_load_dword v48, off, s[0:3], 0 offset:884
	buffer_load_dword v47, off, s[0:3], 0 offset:880
	ds_read_b128 v[1:4], v61 offset:1616
	s_waitcnt vmcnt(58) lgkmcnt(1)
	v_mul_f64 v[115:116], v[7:8], v[122:123]
	v_mul_f64 v[70:71], v[5:6], v[122:123]
	s_waitcnt vmcnt(56)
	v_fma_f64 v[107:108], v[9:10], v[66:67], -v[107:108]
	v_add_f64 v[13:14], v[13:14], v[55:56]
	v_fma_f64 v[55:56], v[11:12], v[66:67], v[118:119]
	v_add_f64 v[15:16], v[15:16], v[49:50]
	s_clause 0x4
	buffer_load_dword v50, off, s[0:3], 0 offset:924
	buffer_load_dword v66, off, s[0:3], 0 offset:936
	;; [unrolled: 1-line block ×5, first 2 shown]
	ds_read_b128 v[9:12], v61 offset:1632
	s_waitcnt vmcnt(57) lgkmcnt(1)
	v_mul_f64 v[126:127], v[1:2], v[25:26]
	v_mul_f64 v[25:26], v[3:4], v[25:26]
	s_waitcnt vmcnt(56)
	v_fma_f64 v[115:116], v[5:6], v[124:125], -v[115:116]
	v_fma_f64 v[70:71], v[7:8], v[124:125], v[70:71]
	v_add_f64 v[13:14], v[13:14], v[107:108]
	v_add_f64 v[15:16], v[15:16], v[55:56]
	s_clause 0x2
	buffer_load_dword v67, off, s[0:3], 0 offset:940
	buffer_load_dword v56, off, s[0:3], 0 offset:916
	;; [unrolled: 1-line block ×3, first 2 shown]
	ds_read_b128 v[5:8], v61 offset:1648
	s_waitcnt vmcnt(58) lgkmcnt(1)
	v_mul_f64 v[107:108], v[9:10], v[109:110]
	v_mul_f64 v[109:110], v[11:12], v[109:110]
	s_waitcnt vmcnt(56)
	v_fma_f64 v[25:26], v[1:2], v[19:20], -v[25:26]
	v_fma_f64 v[19:20], v[3:4], v[19:20], v[126:127]
	v_add_f64 v[13:14], v[13:14], v[115:116]
	v_add_f64 v[15:16], v[15:16], v[70:71]
	s_clause 0x2
	buffer_load_dword v71, off, s[0:3], 0 offset:956
	buffer_load_dword v70, off, s[0:3], 0 offset:952
	;; [unrolled: 1-line block ×3, first 2 shown]
	ds_read_b128 v[1:4], v61 offset:1664
	s_waitcnt vmcnt(55) lgkmcnt(1)
	v_mul_f64 v[115:116], v[5:6], v[62:63]
	v_mul_f64 v[62:63], v[7:8], v[62:63]
	s_waitcnt vmcnt(54)
	v_fma_f64 v[109:110], v[9:10], v[120:121], -v[109:110]
	v_add_f64 v[13:14], v[13:14], v[25:26]
	v_fma_f64 v[25:26], v[11:12], v[120:121], v[107:108]
	v_add_f64 v[15:16], v[15:16], v[19:20]
	s_clause 0x1
	buffer_load_dword v20, off, s[0:3], 0 offset:948
	buffer_load_dword v19, off, s[0:3], 0 offset:944
	ds_read_b128 v[9:12], v61 offset:1680
	s_waitcnt vmcnt(55) lgkmcnt(1)
	v_mul_f64 v[107:108], v[1:2], v[64:65]
	v_mul_f64 v[64:65], v[3:4], v[64:65]
	s_waitcnt vmcnt(53)
	v_fma_f64 v[62:63], v[5:6], v[21:22], -v[62:63]
	v_fma_f64 v[21:22], v[7:8], v[21:22], v[115:116]
	ds_read_b128 v[5:8], v61 offset:1696
	v_add_f64 v[13:14], v[13:14], v[109:110]
	v_add_f64 v[15:16], v[15:16], v[25:26]
	s_waitcnt vmcnt(49) lgkmcnt(1)
	v_mul_f64 v[25:26], v[9:10], v[17:18]
	v_mul_f64 v[17:18], v[11:12], v[17:18]
	s_waitcnt vmcnt(48)
	v_fma_f64 v[64:65], v[1:2], v[111:112], -v[64:65]
	v_add_f64 v[13:14], v[13:14], v[62:63]
	v_fma_f64 v[62:63], v[3:4], v[111:112], v[107:108]
	v_add_f64 v[15:16], v[15:16], v[21:22]
	s_clause 0x3
	buffer_load_dword v21, off, s[0:3], 0 offset:368
	buffer_load_dword v22, off, s[0:3], 0 offset:372
	;; [unrolled: 1-line block ×4, first 2 shown]
	ds_read_b128 v[1:4], v61 offset:1712
	s_waitcnt vmcnt(51) lgkmcnt(1)
	v_mul_f64 v[109:110], v[5:6], v[37:38]
	v_mul_f64 v[37:38], v[7:8], v[37:38]
	s_waitcnt vmcnt(49)
	v_fma_f64 v[17:18], v[9:10], v[27:28], -v[17:18]
	v_fma_f64 v[25:26], v[11:12], v[27:28], v[25:26]
	ds_read_b128 v[9:12], v61 offset:1728
	v_add_f64 v[13:14], v[13:14], v[64:65]
	v_add_f64 v[15:16], v[15:16], v[62:63]
	s_waitcnt vmcnt(45) lgkmcnt(1)
	v_mul_f64 v[27:28], v[1:2], v[23:24]
	v_mul_f64 v[23:24], v[3:4], v[23:24]
	s_waitcnt vmcnt(44)
	v_fma_f64 v[37:38], v[5:6], v[105:106], -v[37:38]
	v_add_f64 v[13:14], v[13:14], v[17:18]
	v_fma_f64 v[17:18], v[7:8], v[105:106], v[109:110]
	v_add_f64 v[15:16], v[15:16], v[25:26]
	s_waitcnt vmcnt(43) lgkmcnt(0)
	v_mul_f64 v[25:26], v[9:10], v[43:44]
	v_mul_f64 v[43:44], v[11:12], v[43:44]
	ds_read_b128 v[5:8], v61 offset:1744
	s_waitcnt vmcnt(41)
	v_fma_f64 v[27:28], v[3:4], v[33:34], v[27:28]
	v_fma_f64 v[23:24], v[1:2], v[33:34], -v[23:24]
	ds_read_b128 v[1:4], v61 offset:1760
	v_add_f64 v[13:14], v[13:14], v[37:38]
	v_add_f64 v[15:16], v[15:16], v[17:18]
	s_waitcnt vmcnt(37) lgkmcnt(1)
	v_mul_f64 v[17:18], v[5:6], v[29:30]
	v_mul_f64 v[29:30], v[7:8], v[29:30]
	s_waitcnt vmcnt(36)
	v_fma_f64 v[33:34], v[9:10], v[45:46], -v[43:44]
	v_add_f64 v[13:14], v[13:14], v[23:24]
	v_fma_f64 v[23:24], v[11:12], v[45:46], v[25:26]
	v_add_f64 v[15:16], v[15:16], v[27:28]
	ds_read_b128 v[9:12], v61 offset:1776
	s_waitcnt vmcnt(35) lgkmcnt(1)
	v_mul_f64 v[27:28], v[3:4], v[51:52]
	v_mul_f64 v[25:26], v[1:2], v[51:52]
	s_waitcnt vmcnt(33)
	v_fma_f64 v[29:30], v[5:6], v[31:32], -v[29:30]
	v_fma_f64 v[17:18], v[7:8], v[31:32], v[17:18]
	ds_read_b128 v[5:8], v61 offset:1792
	v_add_f64 v[13:14], v[13:14], v[33:34]
	v_add_f64 v[15:16], v[15:16], v[23:24]
	s_waitcnt vmcnt(29) lgkmcnt(1)
	v_mul_f64 v[31:32], v[11:12], v[35:36]
	s_waitcnt vmcnt(28)
	v_fma_f64 v[27:28], v[1:2], v[53:54], -v[27:28]
	v_mul_f64 v[23:24], v[9:10], v[35:36]
	v_fma_f64 v[25:26], v[3:4], v[53:54], v[25:26]
	ds_read_b128 v[1:4], v61 offset:1808
	v_add_f64 v[13:14], v[13:14], v[29:30]
	v_add_f64 v[15:16], v[15:16], v[17:18]
	s_waitcnt vmcnt(27) lgkmcnt(1)
	v_mul_f64 v[29:30], v[7:8], v[57:58]
	v_mul_f64 v[17:18], v[5:6], v[57:58]
	s_waitcnt vmcnt(25)
	v_fma_f64 v[31:32], v[9:10], v[39:40], -v[31:32]
	v_fma_f64 v[23:24], v[11:12], v[39:40], v[23:24]
	ds_read_b128 v[9:12], v61 offset:1824
	v_add_f64 v[13:14], v[13:14], v[27:28]
	v_add_f64 v[15:16], v[15:16], v[25:26]
	s_waitcnt vmcnt(21) lgkmcnt(1)
	v_mul_f64 v[27:28], v[3:4], v[41:42]
	s_waitcnt vmcnt(20)
	v_fma_f64 v[29:30], v[5:6], v[59:60], -v[29:30]
	v_mul_f64 v[25:26], v[1:2], v[41:42]
	v_fma_f64 v[17:18], v[7:8], v[59:60], v[17:18]
	ds_read_b128 v[5:8], v61 offset:1840
	v_add_f64 v[13:14], v[13:14], v[31:32]
	v_add_f64 v[15:16], v[15:16], v[23:24]
	;; [unrolled: 18-line block ×3, first 2 shown]
	s_waitcnt vmcnt(11) lgkmcnt(1)
	v_mul_f64 v[27:28], v[3:4], v[66:67]
	v_mul_f64 v[25:26], v[1:2], v[66:67]
	s_waitcnt vmcnt(9)
	v_fma_f64 v[5:6], v[5:6], v[55:56], -v[29:30]
	v_fma_f64 v[7:8], v[7:8], v[55:56], v[17:18]
	v_add_f64 v[13:14], v[13:14], v[31:32]
	v_add_f64 v[15:16], v[15:16], v[23:24]
	s_waitcnt vmcnt(7) lgkmcnt(0)
	v_mul_f64 v[23:24], v[11:12], v[70:71]
	s_waitcnt vmcnt(6)
	v_fma_f64 v[1:2], v[1:2], v[122:123], -v[27:28]
	v_mul_f64 v[17:18], v[9:10], v[70:71]
	v_fma_f64 v[3:4], v[3:4], v[122:123], v[25:26]
	v_add_f64 v[5:6], v[13:14], v[5:6]
	v_add_f64 v[7:8], v[15:16], v[7:8]
	s_waitcnt vmcnt(4)
	v_fma_f64 v[9:10], v[9:10], v[19:20], -v[23:24]
	v_add_f64 v[1:2], v[5:6], v[1:2]
	v_fma_f64 v[5:6], v[11:12], v[19:20], v[17:18]
	v_add_f64 v[3:4], v[7:8], v[3:4]
	v_add_f64 v[1:2], v[1:2], v[9:10]
	;; [unrolled: 1-line block ×3, first 2 shown]
	s_waitcnt vmcnt(2)
	v_add_f64 v[1:2], v[21:22], -v[1:2]
	s_waitcnt vmcnt(0)
	v_add_f64 v[3:4], v[107:108], -v[3:4]
	buffer_store_dword v2, off, s[0:3], 0 offset:372
	buffer_store_dword v1, off, s[0:3], 0 offset:368
	buffer_store_dword v4, off, s[0:3], 0 offset:380
	buffer_store_dword v3, off, s[0:3], 0 offset:376
	v_cmpx_lt_u32_e32 21, v0
	s_cbranch_execz .LBB58_325
; %bb.324:
	v_mov_b32_e32 v4, s52
	v_mov_b32_e32 v5, 0
	s_clause 0x3
	buffer_load_dword v1, v4, s[0:3], 0 offen
	buffer_load_dword v2, v4, s[0:3], 0 offen offset:4
	buffer_load_dword v3, v4, s[0:3], 0 offen offset:8
	;; [unrolled: 1-line block ×3, first 2 shown]
	buffer_store_dword v5, off, s[0:3], 0 offset:352
	buffer_store_dword v5, off, s[0:3], 0 offset:356
	;; [unrolled: 1-line block ×4, first 2 shown]
	s_waitcnt vmcnt(0)
	ds_write_b128 v69, v[1:4]
.LBB58_325:
	s_or_b32 exec_lo, exec_lo, s4
	s_waitcnt lgkmcnt(0)
	s_waitcnt_vscnt null, 0x0
	s_barrier
	buffer_gl0_inv
	s_clause 0x37
	buffer_load_dword v9, off, s[0:3], 0 offset:376
	buffer_load_dword v10, off, s[0:3], 0 offset:380
	;; [unrolled: 1-line block ×56, first 2 shown]
	v_mov_b32_e32 v61, 0
	s_mov_b32 s4, exec_lo
	ds_read_b128 v[62:65], v61 offset:1296
	s_clause 0x2
	buffer_load_dword v58, off, s[0:3], 0 offset:604
	buffer_load_dword v60, off, s[0:3], 0 offset:580
	;; [unrolled: 1-line block ×3, first 2 shown]
	ds_read_b128 v[105:108], v61 offset:1312
	s_clause 0x4
	buffer_load_dword v71, off, s[0:3], 0 offset:620
	buffer_load_dword v113, off, s[0:3], 0 offset:632
	;; [unrolled: 1-line block ×5, first 2 shown]
	ds_read_b128 v[109:112], v61 offset:1328
	s_clause 0x2
	buffer_load_dword v114, off, s[0:3], 0 offset:636
	buffer_load_dword v119, off, s[0:3], 0 offset:612
	buffer_load_dword v118, off, s[0:3], 0 offset:608
	s_waitcnt vmcnt(62) lgkmcnt(2)
	v_mul_f64 v[66:67], v[64:65], v[9:10]
	v_mul_f64 v[9:10], v[62:63], v[9:10]
	s_waitcnt lgkmcnt(1)
	v_mul_f64 v[116:117], v[107:108], v[5:6]
	s_waitcnt vmcnt(59) lgkmcnt(0)
	v_mul_f64 v[120:121], v[111:112], v[3:4]
	v_fma_f64 v[62:63], v[62:63], v[7:8], -v[66:67]
	v_mul_f64 v[66:67], v[105:106], v[5:6]
	v_fma_f64 v[9:10], v[64:65], v[7:8], v[9:10]
	s_waitcnt vmcnt(57)
	v_fma_f64 v[105:106], v[105:106], v[1:2], -v[116:117]
	ds_read_b128 v[5:8], v61 offset:1344
	v_mul_f64 v[64:65], v[109:110], v[3:4]
	s_waitcnt vmcnt(51)
	v_fma_f64 v[109:110], v[109:110], v[25:26], -v[120:121]
	v_add_f64 v[62:63], v[62:63], 0
	v_fma_f64 v[66:67], v[107:108], v[1:2], v[66:67]
	v_add_f64 v[9:10], v[9:10], 0
	s_clause 0x4
	buffer_load_dword v108, off, s[0:3], 0 offset:652
	buffer_load_dword v122, off, s[0:3], 0 offset:664
	;; [unrolled: 1-line block ×5, first 2 shown]
	s_waitcnt lgkmcnt(0)
	v_mul_f64 v[125:126], v[5:6], v[13:14]
	v_mul_f64 v[13:14], v[7:8], v[13:14]
	ds_read_b128 v[1:4], v61 offset:1360
	v_fma_f64 v[25:26], v[111:112], v[25:26], v[64:65]
	v_add_f64 v[105:106], v[62:63], v[105:106]
	v_add_f64 v[9:10], v[9:10], v[66:67]
	s_clause 0x2
	buffer_load_dword v123, off, s[0:3], 0 offset:668
	buffer_load_dword v67, off, s[0:3], 0 offset:644
	;; [unrolled: 1-line block ×3, first 2 shown]
	s_waitcnt vmcnt(58) lgkmcnt(0)
	v_mul_f64 v[111:112], v[1:2], v[17:18]
	v_mul_f64 v[17:18], v[3:4], v[17:18]
	s_waitcnt vmcnt(56)
	v_fma_f64 v[13:14], v[5:6], v[19:20], -v[13:14]
	ds_read_b128 v[62:65], v61 offset:1376
	v_fma_f64 v[19:20], v[7:8], v[19:20], v[125:126]
	v_add_f64 v[105:106], v[105:106], v[109:110]
	v_add_f64 v[9:10], v[9:10], v[25:26]
	s_clause 0x4
	buffer_load_dword v26, off, s[0:3], 0 offset:684
	buffer_load_dword v109, off, s[0:3], 0 offset:696
	buffer_load_dword v120, off, s[0:3], 0 offset:688
	buffer_load_dword v25, off, s[0:3], 0 offset:680
	buffer_load_dword v125, off, s[0:3], 0 offset:660
	ds_read_b128 v[5:8], v61 offset:1392
	s_waitcnt vmcnt(57) lgkmcnt(1)
	v_mul_f64 v[126:127], v[62:63], v[21:22]
	v_mul_f64 v[21:22], v[64:65], v[21:22]
	s_waitcnt vmcnt(56)
	v_fma_f64 v[17:18], v[1:2], v[11:12], -v[17:18]
	v_fma_f64 v[11:12], v[3:4], v[11:12], v[111:112]
	v_add_f64 v[13:14], v[105:106], v[13:14]
	v_add_f64 v[9:10], v[9:10], v[19:20]
	s_clause 0x2
	buffer_load_dword v110, off, s[0:3], 0 offset:700
	buffer_load_dword v20, off, s[0:3], 0 offset:676
	;; [unrolled: 1-line block ×3, first 2 shown]
	s_waitcnt vmcnt(58) lgkmcnt(0)
	v_mul_f64 v[105:106], v[5:6], v[27:28]
	v_mul_f64 v[27:28], v[7:8], v[27:28]
	s_waitcnt vmcnt(56)
	v_fma_f64 v[21:22], v[62:63], v[29:30], -v[21:22]
	ds_read_b128 v[1:4], v61 offset:1408
	v_add_f64 v[13:14], v[13:14], v[17:18]
	v_fma_f64 v[17:18], v[64:65], v[29:30], v[126:127]
	v_add_f64 v[29:30], v[9:10], v[11:12]
	s_clause 0x4
	buffer_load_dword v63, off, s[0:3], 0 offset:716
	buffer_load_dword v64, off, s[0:3], 0 offset:728
	;; [unrolled: 1-line block ×5, first 2 shown]
	ds_read_b128 v[9:12], v61 offset:1424
	s_waitcnt vmcnt(57) lgkmcnt(1)
	v_mul_f64 v[126:127], v[1:2], v[31:32]
	v_mul_f64 v[31:32], v[3:4], v[31:32]
	s_waitcnt vmcnt(56)
	v_fma_f64 v[27:28], v[5:6], v[15:16], -v[27:28]
	v_fma_f64 v[15:16], v[7:8], v[15:16], v[105:106]
	v_add_f64 v[13:14], v[13:14], v[21:22]
	s_clause 0x2
	buffer_load_dword v65, off, s[0:3], 0 offset:732
	buffer_load_dword v22, off, s[0:3], 0 offset:708
	;; [unrolled: 1-line block ×3, first 2 shown]
	v_add_f64 v[17:18], v[29:30], v[17:18]
	s_waitcnt vmcnt(58) lgkmcnt(0)
	v_mul_f64 v[29:30], v[9:10], v[35:36]
	v_mul_f64 v[35:36], v[11:12], v[35:36]
	ds_read_b128 v[5:8], v61 offset:1440
	s_waitcnt vmcnt(56)
	v_fma_f64 v[31:32], v[1:2], v[37:38], -v[31:32]
	v_add_f64 v[13:14], v[13:14], v[27:28]
	v_fma_f64 v[27:28], v[3:4], v[37:38], v[126:127]
	v_add_f64 v[15:16], v[17:18], v[15:16]
	s_clause 0x4
	buffer_load_dword v18, off, s[0:3], 0 offset:748
	buffer_load_dword v37, off, s[0:3], 0 offset:760
	;; [unrolled: 1-line block ×5, first 2 shown]
	s_waitcnt vmcnt(57) lgkmcnt(0)
	v_mul_f64 v[126:127], v[5:6], v[39:40]
	v_mul_f64 v[39:40], v[7:8], v[39:40]
	s_waitcnt vmcnt(56)
	v_fma_f64 v[35:36], v[9:10], v[23:24], -v[35:36]
	ds_read_b128 v[1:4], v61 offset:1456
	v_fma_f64 v[23:24], v[11:12], v[23:24], v[29:30]
	v_add_f64 v[13:14], v[13:14], v[31:32]
	v_add_f64 v[15:16], v[15:16], v[27:28]
	s_clause 0x2
	buffer_load_dword v38, off, s[0:3], 0 offset:764
	buffer_load_dword v28, off, s[0:3], 0 offset:740
	;; [unrolled: 1-line block ×3, first 2 shown]
	ds_read_b128 v[9:12], v61 offset:1472
	s_waitcnt vmcnt(58) lgkmcnt(1)
	v_mul_f64 v[31:32], v[3:4], v[43:44]
	s_waitcnt vmcnt(56)
	v_fma_f64 v[39:40], v[5:6], v[45:46], -v[39:40]
	v_mul_f64 v[29:30], v[1:2], v[43:44]
	v_add_f64 v[13:14], v[13:14], v[35:36]
	v_fma_f64 v[35:36], v[7:8], v[45:46], v[126:127]
	v_add_f64 v[15:16], v[15:16], v[23:24]
	s_clause 0x4
	buffer_load_dword v24, off, s[0:3], 0 offset:780
	buffer_load_dword v43, off, s[0:3], 0 offset:792
	;; [unrolled: 1-line block ×5, first 2 shown]
	s_waitcnt vmcnt(57) lgkmcnt(0)
	v_mul_f64 v[126:127], v[9:10], v[47:48]
	v_mul_f64 v[46:47], v[11:12], v[47:48]
	s_waitcnt vmcnt(56)
	v_fma_f64 v[31:32], v[1:2], v[33:34], -v[31:32]
	ds_read_b128 v[5:8], v61 offset:1488
	v_fma_f64 v[29:30], v[3:4], v[33:34], v[29:30]
	s_clause 0x2
	buffer_load_dword v44, off, s[0:3], 0 offset:796
	buffer_load_dword v34, off, s[0:3], 0 offset:772
	buffer_load_dword v33, off, s[0:3], 0 offset:768
	ds_read_b128 v[1:4], v61 offset:1504
	v_add_f64 v[13:14], v[13:14], v[39:40]
	v_add_f64 v[15:16], v[15:16], v[35:36]
	s_waitcnt vmcnt(58) lgkmcnt(1)
	v_mul_f64 v[39:40], v[7:8], v[51:52]
	s_waitcnt vmcnt(56)
	v_fma_f64 v[47:48], v[9:10], v[53:54], -v[46:47]
	v_mul_f64 v[35:36], v[5:6], v[51:52]
	v_add_f64 v[13:14], v[13:14], v[31:32]
	v_fma_f64 v[31:32], v[11:12], v[53:54], v[126:127]
	v_add_f64 v[15:16], v[15:16], v[29:30]
	s_clause 0x4
	buffer_load_dword v30, off, s[0:3], 0 offset:812
	buffer_load_dword v51, off, s[0:3], 0 offset:824
	;; [unrolled: 1-line block ×5, first 2 shown]
	s_waitcnt vmcnt(57) lgkmcnt(0)
	v_mul_f64 v[126:127], v[1:2], v[55:56]
	v_mul_f64 v[54:55], v[3:4], v[55:56]
	s_waitcnt vmcnt(56)
	v_fma_f64 v[39:40], v[5:6], v[41:42], -v[39:40]
	ds_read_b128 v[9:12], v61 offset:1520
	v_fma_f64 v[35:36], v[7:8], v[41:42], v[35:36]
	v_add_f64 v[13:14], v[13:14], v[47:48]
	v_add_f64 v[15:16], v[15:16], v[31:32]
	s_clause 0x2
	buffer_load_dword v52, off, s[0:3], 0 offset:828
	buffer_load_dword v32, off, s[0:3], 0 offset:804
	;; [unrolled: 1-line block ×3, first 2 shown]
	ds_read_b128 v[5:8], v61 offset:1536
	s_waitcnt vmcnt(58) lgkmcnt(1)
	v_mul_f64 v[47:48], v[11:12], v[57:58]
	s_waitcnt vmcnt(56)
	v_fma_f64 v[55:56], v[1:2], v[59:60], -v[54:55]
	v_mul_f64 v[41:42], v[9:10], v[57:58]
	v_add_f64 v[13:14], v[13:14], v[39:40]
	v_fma_f64 v[39:40], v[3:4], v[59:60], v[126:127]
	v_add_f64 v[15:16], v[15:16], v[35:36]
	s_clause 0x4
	buffer_load_dword v36, off, s[0:3], 0 offset:844
	buffer_load_dword v57, off, s[0:3], 0 offset:856
	;; [unrolled: 1-line block ×5, first 2 shown]
	s_waitcnt vmcnt(57) lgkmcnt(0)
	v_mul_f64 v[126:127], v[5:6], v[70:71]
	v_mul_f64 v[70:71], v[7:8], v[70:71]
	s_waitcnt vmcnt(56)
	v_fma_f64 v[47:48], v[9:10], v[49:50], -v[47:48]
	ds_read_b128 v[1:4], v61 offset:1552
	v_fma_f64 v[41:42], v[11:12], v[49:50], v[41:42]
	v_add_f64 v[13:14], v[13:14], v[55:56]
	v_add_f64 v[15:16], v[15:16], v[39:40]
	s_clause 0x2
	buffer_load_dword v58, off, s[0:3], 0 offset:860
	buffer_load_dword v40, off, s[0:3], 0 offset:836
	;; [unrolled: 1-line block ×3, first 2 shown]
	ds_read_b128 v[9:12], v61 offset:1568
	s_waitcnt vmcnt(58) lgkmcnt(1)
	v_mul_f64 v[55:56], v[3:4], v[113:114]
	s_waitcnt vmcnt(56)
	v_fma_f64 v[70:71], v[5:6], v[118:119], -v[70:71]
	v_mul_f64 v[49:50], v[1:2], v[113:114]
	v_add_f64 v[13:14], v[13:14], v[47:48]
	v_fma_f64 v[47:48], v[7:8], v[118:119], v[126:127]
	v_add_f64 v[15:16], v[15:16], v[41:42]
	s_clause 0x4
	buffer_load_dword v42, off, s[0:3], 0 offset:876
	buffer_load_dword v113, off, s[0:3], 0 offset:888
	;; [unrolled: 1-line block ×5, first 2 shown]
	ds_read_b128 v[5:8], v61 offset:1584
	s_waitcnt vmcnt(57) lgkmcnt(1)
	v_mul_f64 v[118:119], v[9:10], v[107:108]
	v_mul_f64 v[107:108], v[11:12], v[107:108]
	s_waitcnt vmcnt(56)
	v_fma_f64 v[55:56], v[1:2], v[115:116], -v[55:56]
	v_fma_f64 v[49:50], v[3:4], v[115:116], v[49:50]
	v_add_f64 v[13:14], v[13:14], v[70:71]
	v_add_f64 v[15:16], v[15:16], v[47:48]
	s_clause 0x2
	buffer_load_dword v114, off, s[0:3], 0 offset:892
	buffer_load_dword v48, off, s[0:3], 0 offset:868
	;; [unrolled: 1-line block ×3, first 2 shown]
	ds_read_b128 v[1:4], v61 offset:1600
	s_waitcnt vmcnt(58) lgkmcnt(1)
	v_mul_f64 v[115:116], v[7:8], v[122:123]
	v_mul_f64 v[70:71], v[5:6], v[122:123]
	s_waitcnt vmcnt(56)
	v_fma_f64 v[107:108], v[9:10], v[66:67], -v[107:108]
	v_add_f64 v[13:14], v[13:14], v[55:56]
	v_fma_f64 v[55:56], v[11:12], v[66:67], v[118:119]
	v_add_f64 v[15:16], v[15:16], v[49:50]
	s_clause 0x4
	buffer_load_dword v50, off, s[0:3], 0 offset:908
	buffer_load_dword v66, off, s[0:3], 0 offset:920
	;; [unrolled: 1-line block ×5, first 2 shown]
	ds_read_b128 v[9:12], v61 offset:1616
	s_waitcnt vmcnt(57) lgkmcnt(1)
	v_mul_f64 v[126:127], v[1:2], v[25:26]
	v_mul_f64 v[25:26], v[3:4], v[25:26]
	s_waitcnt vmcnt(56)
	v_fma_f64 v[115:116], v[5:6], v[124:125], -v[115:116]
	v_fma_f64 v[70:71], v[7:8], v[124:125], v[70:71]
	v_add_f64 v[13:14], v[13:14], v[107:108]
	v_add_f64 v[15:16], v[15:16], v[55:56]
	s_clause 0x2
	buffer_load_dword v67, off, s[0:3], 0 offset:924
	buffer_load_dword v56, off, s[0:3], 0 offset:900
	;; [unrolled: 1-line block ×3, first 2 shown]
	ds_read_b128 v[5:8], v61 offset:1632
	s_waitcnt vmcnt(58) lgkmcnt(1)
	v_mul_f64 v[107:108], v[9:10], v[109:110]
	v_mul_f64 v[109:110], v[11:12], v[109:110]
	s_waitcnt vmcnt(56)
	v_fma_f64 v[25:26], v[1:2], v[19:20], -v[25:26]
	v_fma_f64 v[19:20], v[3:4], v[19:20], v[126:127]
	v_add_f64 v[13:14], v[13:14], v[115:116]
	v_add_f64 v[15:16], v[15:16], v[70:71]
	s_clause 0x4
	buffer_load_dword v71, off, s[0:3], 0 offset:940
	buffer_load_dword v115, off, s[0:3], 0 offset:952
	;; [unrolled: 1-line block ×5, first 2 shown]
	ds_read_b128 v[1:4], v61 offset:1648
	s_waitcnt vmcnt(57) lgkmcnt(1)
	v_mul_f64 v[124:125], v[5:6], v[62:63]
	v_mul_f64 v[62:63], v[7:8], v[62:63]
	s_waitcnt vmcnt(56)
	v_fma_f64 v[109:110], v[9:10], v[120:121], -v[109:110]
	v_add_f64 v[13:14], v[13:14], v[25:26]
	v_fma_f64 v[25:26], v[11:12], v[120:121], v[107:108]
	v_add_f64 v[15:16], v[15:16], v[19:20]
	s_clause 0x2
	buffer_load_dword v116, off, s[0:3], 0 offset:956
	buffer_load_dword v20, off, s[0:3], 0 offset:932
	;; [unrolled: 1-line block ×3, first 2 shown]
	ds_read_b128 v[9:12], v61 offset:1664
	buffer_load_dword v120, off, s[0:3], 0 offset:948
	s_waitcnt vmcnt(59) lgkmcnt(1)
	v_mul_f64 v[107:108], v[1:2], v[64:65]
	v_mul_f64 v[64:65], v[3:4], v[64:65]
	s_waitcnt vmcnt(57)
	v_fma_f64 v[62:63], v[5:6], v[21:22], -v[62:63]
	v_fma_f64 v[21:22], v[7:8], v[21:22], v[124:125]
	ds_read_b128 v[5:8], v61 offset:1680
	v_add_f64 v[13:14], v[13:14], v[109:110]
	v_add_f64 v[15:16], v[15:16], v[25:26]
	s_waitcnt vmcnt(53) lgkmcnt(1)
	v_mul_f64 v[25:26], v[9:10], v[17:18]
	v_mul_f64 v[17:18], v[11:12], v[17:18]
	s_waitcnt vmcnt(52)
	v_fma_f64 v[64:65], v[1:2], v[111:112], -v[64:65]
	v_add_f64 v[13:14], v[13:14], v[62:63]
	v_fma_f64 v[62:63], v[3:4], v[111:112], v[107:108]
	v_add_f64 v[15:16], v[15:16], v[21:22]
	ds_read_b128 v[1:4], v61 offset:1696
	s_waitcnt vmcnt(51) lgkmcnt(1)
	v_mul_f64 v[21:22], v[5:6], v[37:38]
	v_mul_f64 v[37:38], v[7:8], v[37:38]
	s_waitcnt vmcnt(49)
	v_fma_f64 v[17:18], v[9:10], v[27:28], -v[17:18]
	v_fma_f64 v[25:26], v[11:12], v[27:28], v[25:26]
	v_add_f64 v[13:14], v[13:14], v[64:65]
	v_add_f64 v[15:16], v[15:16], v[62:63]
	s_clause 0x3
	buffer_load_dword v27, off, s[0:3], 0 offset:352
	buffer_load_dword v28, off, s[0:3], 0 offset:356
	;; [unrolled: 1-line block ×4, first 2 shown]
	ds_read_b128 v[9:12], v61 offset:1712
	s_waitcnt vmcnt(49) lgkmcnt(1)
	v_mul_f64 v[64:65], v[1:2], v[23:24]
	v_mul_f64 v[23:24], v[3:4], v[23:24]
	s_waitcnt vmcnt(48)
	v_fma_f64 v[37:38], v[5:6], v[105:106], -v[37:38]
	v_add_f64 v[13:14], v[13:14], v[17:18]
	v_fma_f64 v[17:18], v[7:8], v[105:106], v[21:22]
	v_add_f64 v[15:16], v[15:16], v[25:26]
	ds_read_b128 v[5:8], v61 offset:1728
	s_waitcnt vmcnt(47) lgkmcnt(1)
	v_mul_f64 v[25:26], v[11:12], v[43:44]
	v_mul_f64 v[21:22], v[9:10], v[43:44]
	s_waitcnt vmcnt(45)
	v_fma_f64 v[23:24], v[1:2], v[33:34], -v[23:24]
	v_fma_f64 v[33:34], v[3:4], v[33:34], v[64:65]
	ds_read_b128 v[1:4], v61 offset:1744
	v_add_f64 v[13:14], v[13:14], v[37:38]
	v_add_f64 v[15:16], v[15:16], v[17:18]
	s_waitcnt vmcnt(41) lgkmcnt(1)
	v_mul_f64 v[17:18], v[5:6], v[29:30]
	v_mul_f64 v[29:30], v[7:8], v[29:30]
	s_waitcnt vmcnt(40)
	v_fma_f64 v[25:26], v[9:10], v[45:46], -v[25:26]
	v_fma_f64 v[21:22], v[11:12], v[45:46], v[21:22]
	ds_read_b128 v[9:12], v61 offset:1760
	v_add_f64 v[13:14], v[13:14], v[23:24]
	v_add_f64 v[15:16], v[15:16], v[33:34]
	;; [unrolled: 9-line block ×3, first 2 shown]
	s_waitcnt vmcnt(33) lgkmcnt(1)
	v_mul_f64 v[25:26], v[11:12], v[35:36]
	s_waitcnt vmcnt(32)
	v_fma_f64 v[31:32], v[1:2], v[53:54], -v[33:34]
	v_mul_f64 v[21:22], v[9:10], v[35:36]
	v_fma_f64 v[23:24], v[3:4], v[53:54], v[23:24]
	ds_read_b128 v[1:4], v61 offset:1792
	v_add_f64 v[13:14], v[13:14], v[29:30]
	v_add_f64 v[15:16], v[15:16], v[17:18]
	s_waitcnt vmcnt(31) lgkmcnt(1)
	v_mul_f64 v[29:30], v[7:8], v[57:58]
	v_mul_f64 v[17:18], v[5:6], v[57:58]
	s_waitcnt vmcnt(29)
	v_fma_f64 v[25:26], v[9:10], v[39:40], -v[25:26]
	v_fma_f64 v[21:22], v[11:12], v[39:40], v[21:22]
	ds_read_b128 v[9:12], v61 offset:1808
	v_add_f64 v[13:14], v[13:14], v[31:32]
	v_add_f64 v[15:16], v[15:16], v[23:24]
	s_waitcnt vmcnt(25) lgkmcnt(1)
	v_mul_f64 v[31:32], v[3:4], v[41:42]
	s_waitcnt vmcnt(24)
	v_fma_f64 v[29:30], v[5:6], v[59:60], -v[29:30]
	v_mul_f64 v[23:24], v[1:2], v[41:42]
	v_fma_f64 v[17:18], v[7:8], v[59:60], v[17:18]
	ds_read_b128 v[5:8], v61 offset:1824
	v_add_f64 v[13:14], v[13:14], v[25:26]
	v_add_f64 v[15:16], v[15:16], v[21:22]
	s_waitcnt vmcnt(23) lgkmcnt(1)
	v_mul_f64 v[25:26], v[11:12], v[113:114]
	v_mul_f64 v[21:22], v[9:10], v[113:114]
	s_waitcnt vmcnt(21)
	v_fma_f64 v[31:32], v[1:2], v[47:48], -v[31:32]
	v_fma_f64 v[23:24], v[3:4], v[47:48], v[23:24]
	ds_read_b128 v[1:4], v61 offset:1840
	v_add_f64 v[13:14], v[13:14], v[29:30]
	v_add_f64 v[15:16], v[15:16], v[17:18]
	;; [unrolled: 18-line block ×3, first 2 shown]
	s_waitcnt vmcnt(9) lgkmcnt(1)
	v_mul_f64 v[25:26], v[11:12], v[70:71]
	s_waitcnt vmcnt(8)
	v_fma_f64 v[1:2], v[1:2], v[122:123], -v[31:32]
	v_mul_f64 v[21:22], v[9:10], v[70:71]
	v_fma_f64 v[3:4], v[3:4], v[122:123], v[23:24]
	v_add_f64 v[13:14], v[13:14], v[29:30]
	v_add_f64 v[15:16], v[15:16], v[17:18]
	s_waitcnt vmcnt(7) lgkmcnt(0)
	v_mul_f64 v[23:24], v[7:8], v[115:116]
	v_mul_f64 v[17:18], v[5:6], v[115:116]
	s_waitcnt vmcnt(5)
	v_fma_f64 v[9:10], v[9:10], v[19:20], -v[25:26]
	v_fma_f64 v[11:12], v[11:12], v[19:20], v[21:22]
	v_add_f64 v[1:2], v[13:14], v[1:2]
	v_add_f64 v[3:4], v[15:16], v[3:4]
	s_waitcnt vmcnt(4)
	v_fma_f64 v[5:6], v[5:6], v[119:120], -v[23:24]
	v_fma_f64 v[7:8], v[7:8], v[119:120], v[17:18]
	v_add_f64 v[1:2], v[1:2], v[9:10]
	v_add_f64 v[3:4], v[3:4], v[11:12]
	;; [unrolled: 1-line block ×4, first 2 shown]
	s_waitcnt vmcnt(2)
	v_add_f64 v[1:2], v[27:28], -v[1:2]
	s_waitcnt vmcnt(0)
	v_add_f64 v[3:4], v[62:63], -v[3:4]
	buffer_store_dword v2, off, s[0:3], 0 offset:356
	buffer_store_dword v1, off, s[0:3], 0 offset:352
	;; [unrolled: 1-line block ×4, first 2 shown]
	v_cmpx_lt_u32_e32 20, v0
	s_cbranch_execz .LBB58_327
; %bb.326:
	v_mov_b32_e32 v4, s54
	s_clause 0x3
	buffer_load_dword v1, v4, s[0:3], 0 offen
	buffer_load_dword v2, v4, s[0:3], 0 offen offset:4
	buffer_load_dword v3, v4, s[0:3], 0 offen offset:8
	;; [unrolled: 1-line block ×3, first 2 shown]
	buffer_store_dword v61, off, s[0:3], 0 offset:336
	buffer_store_dword v61, off, s[0:3], 0 offset:340
	;; [unrolled: 1-line block ×4, first 2 shown]
	s_waitcnt vmcnt(0)
	ds_write_b128 v69, v[1:4]
.LBB58_327:
	s_or_b32 exec_lo, exec_lo, s4
	s_waitcnt lgkmcnt(0)
	s_waitcnt_vscnt null, 0x0
	s_barrier
	buffer_gl0_inv
	s_clause 0x37
	buffer_load_dword v9, off, s[0:3], 0 offset:360
	buffer_load_dword v10, off, s[0:3], 0 offset:364
	;; [unrolled: 1-line block ×56, first 2 shown]
	ds_read_b128 v[62:65], v61 offset:1280
	s_clause 0x2
	buffer_load_dword v58, off, s[0:3], 0 offset:588
	buffer_load_dword v60, off, s[0:3], 0 offset:564
	;; [unrolled: 1-line block ×3, first 2 shown]
	ds_read_b128 v[105:108], v61 offset:1296
	s_clause 0x4
	buffer_load_dword v71, off, s[0:3], 0 offset:604
	buffer_load_dword v113, off, s[0:3], 0 offset:616
	;; [unrolled: 1-line block ×5, first 2 shown]
	ds_read_b128 v[109:112], v61 offset:1312
	s_clause 0x2
	buffer_load_dword v114, off, s[0:3], 0 offset:620
	buffer_load_dword v119, off, s[0:3], 0 offset:596
	;; [unrolled: 1-line block ×3, first 2 shown]
	s_mov_b32 s4, exec_lo
	s_waitcnt vmcnt(62) lgkmcnt(2)
	v_mul_f64 v[66:67], v[64:65], v[9:10]
	v_mul_f64 v[9:10], v[62:63], v[9:10]
	s_waitcnt lgkmcnt(1)
	v_mul_f64 v[116:117], v[107:108], v[5:6]
	s_waitcnt vmcnt(59) lgkmcnt(0)
	v_mul_f64 v[120:121], v[111:112], v[3:4]
	v_fma_f64 v[62:63], v[62:63], v[7:8], -v[66:67]
	v_mul_f64 v[66:67], v[105:106], v[5:6]
	v_fma_f64 v[9:10], v[64:65], v[7:8], v[9:10]
	s_waitcnt vmcnt(57)
	v_fma_f64 v[105:106], v[105:106], v[1:2], -v[116:117]
	ds_read_b128 v[5:8], v61 offset:1328
	v_mul_f64 v[64:65], v[109:110], v[3:4]
	s_waitcnt vmcnt(51)
	v_fma_f64 v[109:110], v[109:110], v[25:26], -v[120:121]
	v_add_f64 v[62:63], v[62:63], 0
	v_fma_f64 v[66:67], v[107:108], v[1:2], v[66:67]
	v_add_f64 v[9:10], v[9:10], 0
	s_clause 0x4
	buffer_load_dword v108, off, s[0:3], 0 offset:636
	buffer_load_dword v122, off, s[0:3], 0 offset:648
	;; [unrolled: 1-line block ×5, first 2 shown]
	s_waitcnt lgkmcnt(0)
	v_mul_f64 v[125:126], v[5:6], v[13:14]
	v_mul_f64 v[13:14], v[7:8], v[13:14]
	ds_read_b128 v[1:4], v61 offset:1344
	v_fma_f64 v[25:26], v[111:112], v[25:26], v[64:65]
	v_add_f64 v[105:106], v[62:63], v[105:106]
	v_add_f64 v[9:10], v[9:10], v[66:67]
	s_clause 0x2
	buffer_load_dword v123, off, s[0:3], 0 offset:652
	buffer_load_dword v67, off, s[0:3], 0 offset:628
	;; [unrolled: 1-line block ×3, first 2 shown]
	s_waitcnt vmcnt(58) lgkmcnt(0)
	v_mul_f64 v[111:112], v[1:2], v[17:18]
	v_mul_f64 v[17:18], v[3:4], v[17:18]
	s_waitcnt vmcnt(56)
	v_fma_f64 v[13:14], v[5:6], v[19:20], -v[13:14]
	ds_read_b128 v[62:65], v61 offset:1360
	v_fma_f64 v[19:20], v[7:8], v[19:20], v[125:126]
	v_add_f64 v[105:106], v[105:106], v[109:110]
	v_add_f64 v[9:10], v[9:10], v[25:26]
	s_clause 0x4
	buffer_load_dword v26, off, s[0:3], 0 offset:668
	buffer_load_dword v109, off, s[0:3], 0 offset:680
	;; [unrolled: 1-line block ×5, first 2 shown]
	ds_read_b128 v[5:8], v61 offset:1376
	s_waitcnt vmcnt(57) lgkmcnt(1)
	v_mul_f64 v[126:127], v[62:63], v[21:22]
	v_mul_f64 v[21:22], v[64:65], v[21:22]
	s_waitcnt vmcnt(56)
	v_fma_f64 v[17:18], v[1:2], v[11:12], -v[17:18]
	v_fma_f64 v[11:12], v[3:4], v[11:12], v[111:112]
	v_add_f64 v[13:14], v[105:106], v[13:14]
	v_add_f64 v[9:10], v[9:10], v[19:20]
	s_clause 0x2
	buffer_load_dword v110, off, s[0:3], 0 offset:684
	buffer_load_dword v20, off, s[0:3], 0 offset:660
	;; [unrolled: 1-line block ×3, first 2 shown]
	s_waitcnt vmcnt(58) lgkmcnt(0)
	v_mul_f64 v[105:106], v[5:6], v[27:28]
	v_mul_f64 v[27:28], v[7:8], v[27:28]
	s_waitcnt vmcnt(56)
	v_fma_f64 v[21:22], v[62:63], v[29:30], -v[21:22]
	ds_read_b128 v[1:4], v61 offset:1392
	v_add_f64 v[13:14], v[13:14], v[17:18]
	v_fma_f64 v[17:18], v[64:65], v[29:30], v[126:127]
	v_add_f64 v[29:30], v[9:10], v[11:12]
	s_clause 0x4
	buffer_load_dword v63, off, s[0:3], 0 offset:700
	buffer_load_dword v64, off, s[0:3], 0 offset:712
	;; [unrolled: 1-line block ×5, first 2 shown]
	ds_read_b128 v[9:12], v61 offset:1408
	s_waitcnt vmcnt(57) lgkmcnt(1)
	v_mul_f64 v[126:127], v[1:2], v[31:32]
	v_mul_f64 v[31:32], v[3:4], v[31:32]
	s_waitcnt vmcnt(56)
	v_fma_f64 v[27:28], v[5:6], v[15:16], -v[27:28]
	v_fma_f64 v[15:16], v[7:8], v[15:16], v[105:106]
	v_add_f64 v[13:14], v[13:14], v[21:22]
	s_clause 0x2
	buffer_load_dword v65, off, s[0:3], 0 offset:716
	buffer_load_dword v22, off, s[0:3], 0 offset:692
	;; [unrolled: 1-line block ×3, first 2 shown]
	v_add_f64 v[17:18], v[29:30], v[17:18]
	s_waitcnt vmcnt(58) lgkmcnt(0)
	v_mul_f64 v[29:30], v[9:10], v[35:36]
	v_mul_f64 v[35:36], v[11:12], v[35:36]
	ds_read_b128 v[5:8], v61 offset:1424
	s_waitcnt vmcnt(56)
	v_fma_f64 v[31:32], v[1:2], v[37:38], -v[31:32]
	v_add_f64 v[13:14], v[13:14], v[27:28]
	v_fma_f64 v[27:28], v[3:4], v[37:38], v[126:127]
	v_add_f64 v[15:16], v[17:18], v[15:16]
	s_clause 0x4
	buffer_load_dword v18, off, s[0:3], 0 offset:732
	buffer_load_dword v37, off, s[0:3], 0 offset:744
	;; [unrolled: 1-line block ×5, first 2 shown]
	s_waitcnt vmcnt(57) lgkmcnt(0)
	v_mul_f64 v[126:127], v[5:6], v[39:40]
	v_mul_f64 v[39:40], v[7:8], v[39:40]
	s_waitcnt vmcnt(56)
	v_fma_f64 v[35:36], v[9:10], v[23:24], -v[35:36]
	ds_read_b128 v[1:4], v61 offset:1440
	v_fma_f64 v[23:24], v[11:12], v[23:24], v[29:30]
	v_add_f64 v[13:14], v[13:14], v[31:32]
	v_add_f64 v[15:16], v[15:16], v[27:28]
	s_clause 0x2
	buffer_load_dword v38, off, s[0:3], 0 offset:748
	buffer_load_dword v28, off, s[0:3], 0 offset:724
	;; [unrolled: 1-line block ×3, first 2 shown]
	ds_read_b128 v[9:12], v61 offset:1456
	s_waitcnt vmcnt(58) lgkmcnt(1)
	v_mul_f64 v[31:32], v[3:4], v[43:44]
	s_waitcnt vmcnt(56)
	v_fma_f64 v[39:40], v[5:6], v[45:46], -v[39:40]
	v_mul_f64 v[29:30], v[1:2], v[43:44]
	v_add_f64 v[13:14], v[13:14], v[35:36]
	v_fma_f64 v[35:36], v[7:8], v[45:46], v[126:127]
	v_add_f64 v[15:16], v[15:16], v[23:24]
	s_clause 0x4
	buffer_load_dword v24, off, s[0:3], 0 offset:764
	buffer_load_dword v43, off, s[0:3], 0 offset:776
	;; [unrolled: 1-line block ×5, first 2 shown]
	s_waitcnt vmcnt(57) lgkmcnt(0)
	v_mul_f64 v[126:127], v[9:10], v[47:48]
	v_mul_f64 v[46:47], v[11:12], v[47:48]
	s_waitcnt vmcnt(56)
	v_fma_f64 v[31:32], v[1:2], v[33:34], -v[31:32]
	ds_read_b128 v[5:8], v61 offset:1472
	v_fma_f64 v[29:30], v[3:4], v[33:34], v[29:30]
	s_clause 0x2
	buffer_load_dword v44, off, s[0:3], 0 offset:780
	buffer_load_dword v34, off, s[0:3], 0 offset:756
	;; [unrolled: 1-line block ×3, first 2 shown]
	ds_read_b128 v[1:4], v61 offset:1488
	v_add_f64 v[13:14], v[13:14], v[39:40]
	v_add_f64 v[15:16], v[15:16], v[35:36]
	s_waitcnt vmcnt(58) lgkmcnt(1)
	v_mul_f64 v[39:40], v[7:8], v[51:52]
	s_waitcnt vmcnt(56)
	v_fma_f64 v[47:48], v[9:10], v[53:54], -v[46:47]
	v_mul_f64 v[35:36], v[5:6], v[51:52]
	v_add_f64 v[13:14], v[13:14], v[31:32]
	v_fma_f64 v[31:32], v[11:12], v[53:54], v[126:127]
	v_add_f64 v[15:16], v[15:16], v[29:30]
	s_clause 0x4
	buffer_load_dword v30, off, s[0:3], 0 offset:796
	buffer_load_dword v51, off, s[0:3], 0 offset:808
	;; [unrolled: 1-line block ×5, first 2 shown]
	s_waitcnt vmcnt(57) lgkmcnt(0)
	v_mul_f64 v[126:127], v[1:2], v[55:56]
	v_mul_f64 v[54:55], v[3:4], v[55:56]
	s_waitcnt vmcnt(56)
	v_fma_f64 v[39:40], v[5:6], v[41:42], -v[39:40]
	ds_read_b128 v[9:12], v61 offset:1504
	v_fma_f64 v[35:36], v[7:8], v[41:42], v[35:36]
	v_add_f64 v[13:14], v[13:14], v[47:48]
	v_add_f64 v[15:16], v[15:16], v[31:32]
	s_clause 0x2
	buffer_load_dword v52, off, s[0:3], 0 offset:812
	buffer_load_dword v32, off, s[0:3], 0 offset:788
	;; [unrolled: 1-line block ×3, first 2 shown]
	ds_read_b128 v[5:8], v61 offset:1520
	s_waitcnt vmcnt(58) lgkmcnt(1)
	v_mul_f64 v[47:48], v[11:12], v[57:58]
	s_waitcnt vmcnt(56)
	v_fma_f64 v[55:56], v[1:2], v[59:60], -v[54:55]
	v_mul_f64 v[41:42], v[9:10], v[57:58]
	v_add_f64 v[13:14], v[13:14], v[39:40]
	v_fma_f64 v[39:40], v[3:4], v[59:60], v[126:127]
	v_add_f64 v[15:16], v[15:16], v[35:36]
	s_clause 0x4
	buffer_load_dword v36, off, s[0:3], 0 offset:828
	buffer_load_dword v57, off, s[0:3], 0 offset:840
	;; [unrolled: 1-line block ×5, first 2 shown]
	s_waitcnt vmcnt(57) lgkmcnt(0)
	v_mul_f64 v[126:127], v[5:6], v[70:71]
	v_mul_f64 v[70:71], v[7:8], v[70:71]
	s_waitcnt vmcnt(56)
	v_fma_f64 v[47:48], v[9:10], v[49:50], -v[47:48]
	ds_read_b128 v[1:4], v61 offset:1536
	v_fma_f64 v[41:42], v[11:12], v[49:50], v[41:42]
	v_add_f64 v[13:14], v[13:14], v[55:56]
	v_add_f64 v[15:16], v[15:16], v[39:40]
	s_clause 0x2
	buffer_load_dword v58, off, s[0:3], 0 offset:844
	buffer_load_dword v40, off, s[0:3], 0 offset:820
	;; [unrolled: 1-line block ×3, first 2 shown]
	ds_read_b128 v[9:12], v61 offset:1552
	s_waitcnt vmcnt(58) lgkmcnt(1)
	v_mul_f64 v[55:56], v[3:4], v[113:114]
	s_waitcnt vmcnt(56)
	v_fma_f64 v[70:71], v[5:6], v[118:119], -v[70:71]
	v_mul_f64 v[49:50], v[1:2], v[113:114]
	v_add_f64 v[13:14], v[13:14], v[47:48]
	v_fma_f64 v[47:48], v[7:8], v[118:119], v[126:127]
	v_add_f64 v[15:16], v[15:16], v[41:42]
	s_clause 0x4
	buffer_load_dword v42, off, s[0:3], 0 offset:860
	buffer_load_dword v113, off, s[0:3], 0 offset:872
	;; [unrolled: 1-line block ×5, first 2 shown]
	ds_read_b128 v[5:8], v61 offset:1568
	s_waitcnt vmcnt(57) lgkmcnt(1)
	v_mul_f64 v[118:119], v[9:10], v[107:108]
	v_mul_f64 v[107:108], v[11:12], v[107:108]
	s_waitcnt vmcnt(56)
	v_fma_f64 v[55:56], v[1:2], v[115:116], -v[55:56]
	v_fma_f64 v[49:50], v[3:4], v[115:116], v[49:50]
	v_add_f64 v[13:14], v[13:14], v[70:71]
	v_add_f64 v[15:16], v[15:16], v[47:48]
	s_clause 0x2
	buffer_load_dword v114, off, s[0:3], 0 offset:876
	buffer_load_dword v48, off, s[0:3], 0 offset:852
	buffer_load_dword v47, off, s[0:3], 0 offset:848
	ds_read_b128 v[1:4], v61 offset:1584
	s_waitcnt vmcnt(58) lgkmcnt(1)
	v_mul_f64 v[115:116], v[7:8], v[122:123]
	v_mul_f64 v[70:71], v[5:6], v[122:123]
	s_waitcnt vmcnt(56)
	v_fma_f64 v[107:108], v[9:10], v[66:67], -v[107:108]
	v_add_f64 v[13:14], v[13:14], v[55:56]
	v_fma_f64 v[55:56], v[11:12], v[66:67], v[118:119]
	v_add_f64 v[15:16], v[15:16], v[49:50]
	s_clause 0x4
	buffer_load_dword v50, off, s[0:3], 0 offset:892
	buffer_load_dword v66, off, s[0:3], 0 offset:904
	;; [unrolled: 1-line block ×5, first 2 shown]
	ds_read_b128 v[9:12], v61 offset:1600
	s_waitcnt vmcnt(57) lgkmcnt(1)
	v_mul_f64 v[126:127], v[1:2], v[25:26]
	v_mul_f64 v[25:26], v[3:4], v[25:26]
	s_waitcnt vmcnt(56)
	v_fma_f64 v[115:116], v[5:6], v[124:125], -v[115:116]
	v_fma_f64 v[70:71], v[7:8], v[124:125], v[70:71]
	v_add_f64 v[13:14], v[13:14], v[107:108]
	v_add_f64 v[15:16], v[15:16], v[55:56]
	s_clause 0x2
	buffer_load_dword v67, off, s[0:3], 0 offset:908
	buffer_load_dword v56, off, s[0:3], 0 offset:884
	;; [unrolled: 1-line block ×3, first 2 shown]
	ds_read_b128 v[5:8], v61 offset:1616
	s_waitcnt vmcnt(58) lgkmcnt(1)
	v_mul_f64 v[107:108], v[9:10], v[109:110]
	v_mul_f64 v[109:110], v[11:12], v[109:110]
	s_waitcnt vmcnt(56)
	v_fma_f64 v[25:26], v[1:2], v[19:20], -v[25:26]
	v_fma_f64 v[19:20], v[3:4], v[19:20], v[126:127]
	v_add_f64 v[13:14], v[13:14], v[115:116]
	v_add_f64 v[15:16], v[15:16], v[70:71]
	s_clause 0x4
	buffer_load_dword v71, off, s[0:3], 0 offset:924
	buffer_load_dword v115, off, s[0:3], 0 offset:936
	;; [unrolled: 1-line block ×5, first 2 shown]
	ds_read_b128 v[1:4], v61 offset:1632
	s_waitcnt vmcnt(57) lgkmcnt(1)
	v_mul_f64 v[124:125], v[5:6], v[62:63]
	v_mul_f64 v[62:63], v[7:8], v[62:63]
	s_waitcnt vmcnt(56)
	v_fma_f64 v[109:110], v[9:10], v[120:121], -v[109:110]
	v_add_f64 v[13:14], v[13:14], v[25:26]
	v_fma_f64 v[25:26], v[11:12], v[120:121], v[107:108]
	v_add_f64 v[15:16], v[15:16], v[19:20]
	s_clause 0x2
	buffer_load_dword v116, off, s[0:3], 0 offset:940
	buffer_load_dword v20, off, s[0:3], 0 offset:916
	;; [unrolled: 1-line block ×3, first 2 shown]
	ds_read_b128 v[9:12], v61 offset:1648
	s_waitcnt vmcnt(58) lgkmcnt(1)
	v_mul_f64 v[107:108], v[1:2], v[64:65]
	v_mul_f64 v[64:65], v[3:4], v[64:65]
	s_waitcnt vmcnt(56)
	v_fma_f64 v[62:63], v[5:6], v[21:22], -v[62:63]
	v_fma_f64 v[21:22], v[7:8], v[21:22], v[124:125]
	v_add_f64 v[13:14], v[13:14], v[109:110]
	v_add_f64 v[15:16], v[15:16], v[25:26]
	s_clause 0x2
	buffer_load_dword v26, off, s[0:3], 0 offset:956
	buffer_load_dword v25, off, s[0:3], 0 offset:952
	;; [unrolled: 1-line block ×3, first 2 shown]
	ds_read_b128 v[5:8], v61 offset:1664
	s_waitcnt vmcnt(55) lgkmcnt(1)
	v_mul_f64 v[109:110], v[9:10], v[17:18]
	v_mul_f64 v[17:18], v[11:12], v[17:18]
	s_waitcnt vmcnt(54)
	v_fma_f64 v[64:65], v[1:2], v[111:112], -v[64:65]
	v_add_f64 v[13:14], v[13:14], v[62:63]
	v_fma_f64 v[62:63], v[3:4], v[111:112], v[107:108]
	v_add_f64 v[15:16], v[15:16], v[21:22]
	s_clause 0x1
	buffer_load_dword v22, off, s[0:3], 0 offset:948
	buffer_load_dword v21, off, s[0:3], 0 offset:944
	ds_read_b128 v[1:4], v61 offset:1680
	s_waitcnt vmcnt(55) lgkmcnt(1)
	v_mul_f64 v[107:108], v[5:6], v[37:38]
	v_mul_f64 v[37:38], v[7:8], v[37:38]
	s_waitcnt vmcnt(53)
	v_fma_f64 v[17:18], v[9:10], v[27:28], -v[17:18]
	v_fma_f64 v[27:28], v[11:12], v[27:28], v[109:110]
	ds_read_b128 v[9:12], v61 offset:1696
	v_add_f64 v[13:14], v[13:14], v[64:65]
	v_add_f64 v[15:16], v[15:16], v[62:63]
	s_waitcnt vmcnt(49) lgkmcnt(1)
	v_mul_f64 v[62:63], v[1:2], v[23:24]
	v_mul_f64 v[23:24], v[3:4], v[23:24]
	s_waitcnt vmcnt(48)
	v_fma_f64 v[37:38], v[5:6], v[105:106], -v[37:38]
	v_add_f64 v[13:14], v[13:14], v[17:18]
	v_fma_f64 v[17:18], v[7:8], v[105:106], v[107:108]
	v_add_f64 v[15:16], v[15:16], v[27:28]
	s_clause 0x3
	buffer_load_dword v27, off, s[0:3], 0 offset:336
	buffer_load_dword v28, off, s[0:3], 0 offset:340
	;; [unrolled: 1-line block ×4, first 2 shown]
	s_waitcnt vmcnt(51) lgkmcnt(0)
	v_mul_f64 v[105:106], v[9:10], v[43:44]
	v_mul_f64 v[43:44], v[11:12], v[43:44]
	ds_read_b128 v[5:8], v61 offset:1712
	s_waitcnt vmcnt(49)
	v_fma_f64 v[23:24], v[1:2], v[33:34], -v[23:24]
	v_fma_f64 v[33:34], v[3:4], v[33:34], v[62:63]
	ds_read_b128 v[1:4], v61 offset:1728
	v_add_f64 v[13:14], v[13:14], v[37:38]
	v_add_f64 v[15:16], v[15:16], v[17:18]
	s_waitcnt vmcnt(45) lgkmcnt(1)
	v_mul_f64 v[17:18], v[5:6], v[29:30]
	v_mul_f64 v[29:30], v[7:8], v[29:30]
	s_waitcnt vmcnt(44)
	v_fma_f64 v[37:38], v[9:10], v[45:46], -v[43:44]
	v_add_f64 v[13:14], v[13:14], v[23:24]
	v_fma_f64 v[23:24], v[11:12], v[45:46], v[105:106]
	v_add_f64 v[15:16], v[15:16], v[33:34]
	ds_read_b128 v[9:12], v61 offset:1744
	s_waitcnt vmcnt(43) lgkmcnt(1)
	v_mul_f64 v[43:44], v[3:4], v[51:52]
	v_mul_f64 v[33:34], v[1:2], v[51:52]
	s_waitcnt vmcnt(41)
	v_fma_f64 v[29:30], v[5:6], v[31:32], -v[29:30]
	v_fma_f64 v[17:18], v[7:8], v[31:32], v[17:18]
	ds_read_b128 v[5:8], v61 offset:1760
	v_add_f64 v[13:14], v[13:14], v[37:38]
	v_add_f64 v[15:16], v[15:16], v[23:24]
	s_waitcnt vmcnt(37) lgkmcnt(1)
	v_mul_f64 v[23:24], v[9:10], v[35:36]
	v_mul_f64 v[31:32], v[11:12], v[35:36]
	s_waitcnt vmcnt(36)
	v_fma_f64 v[35:36], v[1:2], v[53:54], -v[43:44]
	v_add_f64 v[13:14], v[13:14], v[29:30]
	v_fma_f64 v[29:30], v[3:4], v[53:54], v[33:34]
	v_add_f64 v[15:16], v[15:16], v[17:18]
	ds_read_b128 v[1:4], v61 offset:1776
	s_waitcnt vmcnt(35) lgkmcnt(1)
	v_mul_f64 v[33:34], v[7:8], v[57:58]
	v_mul_f64 v[17:18], v[5:6], v[57:58]
	s_waitcnt vmcnt(33)
	v_fma_f64 v[31:32], v[9:10], v[39:40], -v[31:32]
	v_fma_f64 v[23:24], v[11:12], v[39:40], v[23:24]
	ds_read_b128 v[9:12], v61 offset:1792
	v_add_f64 v[13:14], v[13:14], v[35:36]
	v_add_f64 v[15:16], v[15:16], v[29:30]
	s_waitcnt vmcnt(29) lgkmcnt(1)
	v_mul_f64 v[35:36], v[3:4], v[41:42]
	s_waitcnt vmcnt(28)
	v_fma_f64 v[33:34], v[5:6], v[59:60], -v[33:34]
	v_mul_f64 v[29:30], v[1:2], v[41:42]
	v_fma_f64 v[17:18], v[7:8], v[59:60], v[17:18]
	ds_read_b128 v[5:8], v61 offset:1808
	v_add_f64 v[13:14], v[13:14], v[31:32]
	v_add_f64 v[15:16], v[15:16], v[23:24]
	s_waitcnt vmcnt(27) lgkmcnt(1)
	v_mul_f64 v[31:32], v[11:12], v[113:114]
	v_mul_f64 v[23:24], v[9:10], v[113:114]
	s_waitcnt vmcnt(25)
	v_fma_f64 v[35:36], v[1:2], v[47:48], -v[35:36]
	v_fma_f64 v[29:30], v[3:4], v[47:48], v[29:30]
	ds_read_b128 v[1:4], v61 offset:1824
	v_add_f64 v[13:14], v[13:14], v[33:34]
	v_add_f64 v[15:16], v[15:16], v[17:18]
	s_waitcnt vmcnt(21) lgkmcnt(1)
	v_mul_f64 v[33:34], v[7:8], v[49:50]
	s_waitcnt vmcnt(20)
	v_fma_f64 v[31:32], v[9:10], v[117:118], -v[31:32]
	v_mul_f64 v[17:18], v[5:6], v[49:50]
	v_fma_f64 v[23:24], v[11:12], v[117:118], v[23:24]
	ds_read_b128 v[9:12], v61 offset:1840
	v_add_f64 v[13:14], v[13:14], v[35:36]
	v_add_f64 v[15:16], v[15:16], v[29:30]
	;; [unrolled: 18-line block ×3, first 2 shown]
	s_waitcnt vmcnt(11) lgkmcnt(1)
	v_mul_f64 v[33:34], v[7:8], v[115:116]
	v_mul_f64 v[17:18], v[5:6], v[115:116]
	s_waitcnt vmcnt(9)
	v_fma_f64 v[9:10], v[9:10], v[19:20], -v[31:32]
	v_fma_f64 v[11:12], v[11:12], v[19:20], v[23:24]
	v_add_f64 v[13:14], v[13:14], v[35:36]
	v_add_f64 v[15:16], v[15:16], v[29:30]
	s_waitcnt vmcnt(7) lgkmcnt(0)
	v_mul_f64 v[23:24], v[3:4], v[25:26]
	s_waitcnt vmcnt(6)
	v_fma_f64 v[5:6], v[5:6], v[119:120], -v[33:34]
	v_mul_f64 v[19:20], v[1:2], v[25:26]
	v_fma_f64 v[7:8], v[7:8], v[119:120], v[17:18]
	v_add_f64 v[9:10], v[13:14], v[9:10]
	v_add_f64 v[11:12], v[15:16], v[11:12]
	s_waitcnt vmcnt(4)
	v_fma_f64 v[1:2], v[1:2], v[21:22], -v[23:24]
	v_fma_f64 v[3:4], v[3:4], v[21:22], v[19:20]
	v_add_f64 v[5:6], v[9:10], v[5:6]
	v_add_f64 v[7:8], v[11:12], v[7:8]
	;; [unrolled: 1-line block ×4, first 2 shown]
	s_waitcnt vmcnt(2)
	v_add_f64 v[1:2], v[27:28], -v[1:2]
	s_waitcnt vmcnt(0)
	v_add_f64 v[3:4], v[64:65], -v[3:4]
	buffer_store_dword v2, off, s[0:3], 0 offset:340
	buffer_store_dword v1, off, s[0:3], 0 offset:336
	;; [unrolled: 1-line block ×4, first 2 shown]
	v_cmpx_lt_u32_e32 19, v0
	s_cbranch_execz .LBB58_329
; %bb.328:
	v_mov_b32_e32 v4, s60
	v_mov_b32_e32 v5, 0
	s_clause 0x3
	buffer_load_dword v1, v4, s[0:3], 0 offen
	buffer_load_dword v2, v4, s[0:3], 0 offen offset:4
	buffer_load_dword v3, v4, s[0:3], 0 offen offset:8
	;; [unrolled: 1-line block ×3, first 2 shown]
	buffer_store_dword v5, off, s[0:3], 0 offset:320
	buffer_store_dword v5, off, s[0:3], 0 offset:324
	;; [unrolled: 1-line block ×4, first 2 shown]
	s_waitcnt vmcnt(0)
	ds_write_b128 v69, v[1:4]
.LBB58_329:
	s_or_b32 exec_lo, exec_lo, s4
	s_waitcnt lgkmcnt(0)
	s_waitcnt_vscnt null, 0x0
	s_barrier
	buffer_gl0_inv
	s_clause 0x37
	buffer_load_dword v9, off, s[0:3], 0 offset:344
	buffer_load_dword v10, off, s[0:3], 0 offset:348
	;; [unrolled: 1-line block ×56, first 2 shown]
	v_mov_b32_e32 v61, 0
	s_mov_b32 s4, exec_lo
	ds_read_b128 v[62:65], v61 offset:1264
	s_clause 0x2
	buffer_load_dword v58, off, s[0:3], 0 offset:572
	buffer_load_dword v60, off, s[0:3], 0 offset:548
	;; [unrolled: 1-line block ×3, first 2 shown]
	ds_read_b128 v[105:108], v61 offset:1280
	s_clause 0x4
	buffer_load_dword v71, off, s[0:3], 0 offset:588
	buffer_load_dword v113, off, s[0:3], 0 offset:600
	;; [unrolled: 1-line block ×5, first 2 shown]
	ds_read_b128 v[109:112], v61 offset:1296
	s_clause 0x2
	buffer_load_dword v114, off, s[0:3], 0 offset:604
	buffer_load_dword v119, off, s[0:3], 0 offset:580
	;; [unrolled: 1-line block ×3, first 2 shown]
	s_waitcnt vmcnt(62) lgkmcnt(2)
	v_mul_f64 v[66:67], v[64:65], v[9:10]
	v_mul_f64 v[9:10], v[62:63], v[9:10]
	s_waitcnt lgkmcnt(1)
	v_mul_f64 v[116:117], v[107:108], v[5:6]
	s_waitcnt vmcnt(59) lgkmcnt(0)
	v_mul_f64 v[120:121], v[111:112], v[3:4]
	v_fma_f64 v[62:63], v[62:63], v[7:8], -v[66:67]
	v_mul_f64 v[66:67], v[105:106], v[5:6]
	v_fma_f64 v[9:10], v[64:65], v[7:8], v[9:10]
	s_waitcnt vmcnt(57)
	v_fma_f64 v[105:106], v[105:106], v[1:2], -v[116:117]
	ds_read_b128 v[5:8], v61 offset:1312
	v_mul_f64 v[64:65], v[109:110], v[3:4]
	s_waitcnt vmcnt(51)
	v_fma_f64 v[109:110], v[109:110], v[25:26], -v[120:121]
	v_add_f64 v[62:63], v[62:63], 0
	v_fma_f64 v[66:67], v[107:108], v[1:2], v[66:67]
	v_add_f64 v[9:10], v[9:10], 0
	s_clause 0x4
	buffer_load_dword v108, off, s[0:3], 0 offset:620
	buffer_load_dword v122, off, s[0:3], 0 offset:632
	;; [unrolled: 1-line block ×5, first 2 shown]
	s_waitcnt lgkmcnt(0)
	v_mul_f64 v[125:126], v[5:6], v[13:14]
	v_mul_f64 v[13:14], v[7:8], v[13:14]
	ds_read_b128 v[1:4], v61 offset:1328
	v_fma_f64 v[25:26], v[111:112], v[25:26], v[64:65]
	v_add_f64 v[105:106], v[62:63], v[105:106]
	v_add_f64 v[9:10], v[9:10], v[66:67]
	s_clause 0x2
	buffer_load_dword v123, off, s[0:3], 0 offset:636
	buffer_load_dword v67, off, s[0:3], 0 offset:612
	;; [unrolled: 1-line block ×3, first 2 shown]
	s_waitcnt vmcnt(58) lgkmcnt(0)
	v_mul_f64 v[111:112], v[1:2], v[17:18]
	v_mul_f64 v[17:18], v[3:4], v[17:18]
	s_waitcnt vmcnt(56)
	v_fma_f64 v[13:14], v[5:6], v[19:20], -v[13:14]
	ds_read_b128 v[62:65], v61 offset:1344
	v_fma_f64 v[19:20], v[7:8], v[19:20], v[125:126]
	v_add_f64 v[105:106], v[105:106], v[109:110]
	v_add_f64 v[9:10], v[9:10], v[25:26]
	s_clause 0x4
	buffer_load_dword v26, off, s[0:3], 0 offset:652
	buffer_load_dword v109, off, s[0:3], 0 offset:664
	;; [unrolled: 1-line block ×5, first 2 shown]
	ds_read_b128 v[5:8], v61 offset:1360
	s_waitcnt vmcnt(57) lgkmcnt(1)
	v_mul_f64 v[126:127], v[62:63], v[21:22]
	v_mul_f64 v[21:22], v[64:65], v[21:22]
	s_waitcnt vmcnt(56)
	v_fma_f64 v[17:18], v[1:2], v[11:12], -v[17:18]
	v_fma_f64 v[11:12], v[3:4], v[11:12], v[111:112]
	v_add_f64 v[13:14], v[105:106], v[13:14]
	v_add_f64 v[9:10], v[9:10], v[19:20]
	s_clause 0x2
	buffer_load_dword v110, off, s[0:3], 0 offset:668
	buffer_load_dword v20, off, s[0:3], 0 offset:644
	;; [unrolled: 1-line block ×3, first 2 shown]
	s_waitcnt vmcnt(58) lgkmcnt(0)
	v_mul_f64 v[105:106], v[5:6], v[27:28]
	v_mul_f64 v[27:28], v[7:8], v[27:28]
	s_waitcnt vmcnt(56)
	v_fma_f64 v[21:22], v[62:63], v[29:30], -v[21:22]
	ds_read_b128 v[1:4], v61 offset:1376
	v_add_f64 v[13:14], v[13:14], v[17:18]
	v_fma_f64 v[17:18], v[64:65], v[29:30], v[126:127]
	v_add_f64 v[29:30], v[9:10], v[11:12]
	s_clause 0x4
	buffer_load_dword v63, off, s[0:3], 0 offset:684
	buffer_load_dword v64, off, s[0:3], 0 offset:696
	;; [unrolled: 1-line block ×5, first 2 shown]
	ds_read_b128 v[9:12], v61 offset:1392
	s_waitcnt vmcnt(57) lgkmcnt(1)
	v_mul_f64 v[126:127], v[1:2], v[31:32]
	v_mul_f64 v[31:32], v[3:4], v[31:32]
	s_waitcnt vmcnt(56)
	v_fma_f64 v[27:28], v[5:6], v[15:16], -v[27:28]
	v_fma_f64 v[15:16], v[7:8], v[15:16], v[105:106]
	v_add_f64 v[13:14], v[13:14], v[21:22]
	s_clause 0x2
	buffer_load_dword v65, off, s[0:3], 0 offset:700
	buffer_load_dword v22, off, s[0:3], 0 offset:676
	buffer_load_dword v21, off, s[0:3], 0 offset:672
	v_add_f64 v[17:18], v[29:30], v[17:18]
	s_waitcnt vmcnt(58) lgkmcnt(0)
	v_mul_f64 v[29:30], v[9:10], v[35:36]
	v_mul_f64 v[35:36], v[11:12], v[35:36]
	ds_read_b128 v[5:8], v61 offset:1408
	s_waitcnt vmcnt(56)
	v_fma_f64 v[31:32], v[1:2], v[37:38], -v[31:32]
	v_add_f64 v[13:14], v[13:14], v[27:28]
	v_fma_f64 v[27:28], v[3:4], v[37:38], v[126:127]
	v_add_f64 v[15:16], v[17:18], v[15:16]
	s_clause 0x4
	buffer_load_dword v18, off, s[0:3], 0 offset:716
	buffer_load_dword v37, off, s[0:3], 0 offset:728
	;; [unrolled: 1-line block ×5, first 2 shown]
	s_waitcnt vmcnt(57) lgkmcnt(0)
	v_mul_f64 v[126:127], v[5:6], v[39:40]
	v_mul_f64 v[39:40], v[7:8], v[39:40]
	s_waitcnt vmcnt(56)
	v_fma_f64 v[35:36], v[9:10], v[23:24], -v[35:36]
	ds_read_b128 v[1:4], v61 offset:1424
	v_fma_f64 v[23:24], v[11:12], v[23:24], v[29:30]
	v_add_f64 v[13:14], v[13:14], v[31:32]
	v_add_f64 v[15:16], v[15:16], v[27:28]
	s_clause 0x2
	buffer_load_dword v38, off, s[0:3], 0 offset:732
	buffer_load_dword v28, off, s[0:3], 0 offset:708
	;; [unrolled: 1-line block ×3, first 2 shown]
	ds_read_b128 v[9:12], v61 offset:1440
	s_waitcnt vmcnt(58) lgkmcnt(1)
	v_mul_f64 v[31:32], v[3:4], v[43:44]
	s_waitcnt vmcnt(56)
	v_fma_f64 v[39:40], v[5:6], v[45:46], -v[39:40]
	v_mul_f64 v[29:30], v[1:2], v[43:44]
	v_add_f64 v[13:14], v[13:14], v[35:36]
	v_fma_f64 v[35:36], v[7:8], v[45:46], v[126:127]
	v_add_f64 v[15:16], v[15:16], v[23:24]
	s_clause 0x4
	buffer_load_dword v24, off, s[0:3], 0 offset:748
	buffer_load_dword v43, off, s[0:3], 0 offset:760
	;; [unrolled: 1-line block ×5, first 2 shown]
	s_waitcnt vmcnt(57) lgkmcnt(0)
	v_mul_f64 v[126:127], v[9:10], v[47:48]
	v_mul_f64 v[46:47], v[11:12], v[47:48]
	s_waitcnt vmcnt(56)
	v_fma_f64 v[31:32], v[1:2], v[33:34], -v[31:32]
	ds_read_b128 v[5:8], v61 offset:1456
	v_fma_f64 v[29:30], v[3:4], v[33:34], v[29:30]
	s_clause 0x2
	buffer_load_dword v44, off, s[0:3], 0 offset:764
	buffer_load_dword v34, off, s[0:3], 0 offset:740
	;; [unrolled: 1-line block ×3, first 2 shown]
	ds_read_b128 v[1:4], v61 offset:1472
	v_add_f64 v[13:14], v[13:14], v[39:40]
	v_add_f64 v[15:16], v[15:16], v[35:36]
	s_waitcnt vmcnt(58) lgkmcnt(1)
	v_mul_f64 v[39:40], v[7:8], v[51:52]
	s_waitcnt vmcnt(56)
	v_fma_f64 v[47:48], v[9:10], v[53:54], -v[46:47]
	v_mul_f64 v[35:36], v[5:6], v[51:52]
	v_add_f64 v[13:14], v[13:14], v[31:32]
	v_fma_f64 v[31:32], v[11:12], v[53:54], v[126:127]
	v_add_f64 v[15:16], v[15:16], v[29:30]
	s_clause 0x4
	buffer_load_dword v30, off, s[0:3], 0 offset:780
	buffer_load_dword v51, off, s[0:3], 0 offset:792
	buffer_load_dword v53, off, s[0:3], 0 offset:784
	buffer_load_dword v29, off, s[0:3], 0 offset:776
	buffer_load_dword v46, off, s[0:3], 0 offset:756
	s_waitcnt vmcnt(57) lgkmcnt(0)
	v_mul_f64 v[126:127], v[1:2], v[55:56]
	v_mul_f64 v[54:55], v[3:4], v[55:56]
	s_waitcnt vmcnt(56)
	v_fma_f64 v[39:40], v[5:6], v[41:42], -v[39:40]
	ds_read_b128 v[9:12], v61 offset:1488
	v_fma_f64 v[35:36], v[7:8], v[41:42], v[35:36]
	v_add_f64 v[13:14], v[13:14], v[47:48]
	v_add_f64 v[15:16], v[15:16], v[31:32]
	s_clause 0x2
	buffer_load_dword v52, off, s[0:3], 0 offset:796
	buffer_load_dword v32, off, s[0:3], 0 offset:772
	;; [unrolled: 1-line block ×3, first 2 shown]
	ds_read_b128 v[5:8], v61 offset:1504
	s_waitcnt vmcnt(58) lgkmcnt(1)
	v_mul_f64 v[47:48], v[11:12], v[57:58]
	s_waitcnt vmcnt(56)
	v_fma_f64 v[55:56], v[1:2], v[59:60], -v[54:55]
	v_mul_f64 v[41:42], v[9:10], v[57:58]
	v_add_f64 v[13:14], v[13:14], v[39:40]
	v_fma_f64 v[39:40], v[3:4], v[59:60], v[126:127]
	v_add_f64 v[15:16], v[15:16], v[35:36]
	s_clause 0x4
	buffer_load_dword v36, off, s[0:3], 0 offset:812
	buffer_load_dword v57, off, s[0:3], 0 offset:824
	;; [unrolled: 1-line block ×5, first 2 shown]
	s_waitcnt vmcnt(57) lgkmcnt(0)
	v_mul_f64 v[126:127], v[5:6], v[70:71]
	v_mul_f64 v[70:71], v[7:8], v[70:71]
	s_waitcnt vmcnt(56)
	v_fma_f64 v[47:48], v[9:10], v[49:50], -v[47:48]
	ds_read_b128 v[1:4], v61 offset:1520
	v_fma_f64 v[41:42], v[11:12], v[49:50], v[41:42]
	v_add_f64 v[13:14], v[13:14], v[55:56]
	v_add_f64 v[15:16], v[15:16], v[39:40]
	s_clause 0x2
	buffer_load_dword v58, off, s[0:3], 0 offset:828
	buffer_load_dword v40, off, s[0:3], 0 offset:804
	;; [unrolled: 1-line block ×3, first 2 shown]
	ds_read_b128 v[9:12], v61 offset:1536
	s_waitcnt vmcnt(58) lgkmcnt(1)
	v_mul_f64 v[55:56], v[3:4], v[113:114]
	s_waitcnt vmcnt(56)
	v_fma_f64 v[70:71], v[5:6], v[118:119], -v[70:71]
	v_mul_f64 v[49:50], v[1:2], v[113:114]
	v_add_f64 v[13:14], v[13:14], v[47:48]
	v_fma_f64 v[47:48], v[7:8], v[118:119], v[126:127]
	v_add_f64 v[15:16], v[15:16], v[41:42]
	s_clause 0x4
	buffer_load_dword v42, off, s[0:3], 0 offset:844
	buffer_load_dword v113, off, s[0:3], 0 offset:856
	buffer_load_dword v117, off, s[0:3], 0 offset:848
	buffer_load_dword v41, off, s[0:3], 0 offset:840
	buffer_load_dword v60, off, s[0:3], 0 offset:820
	ds_read_b128 v[5:8], v61 offset:1552
	s_waitcnt vmcnt(57) lgkmcnt(1)
	v_mul_f64 v[118:119], v[9:10], v[107:108]
	v_mul_f64 v[107:108], v[11:12], v[107:108]
	s_waitcnt vmcnt(56)
	v_fma_f64 v[55:56], v[1:2], v[115:116], -v[55:56]
	v_fma_f64 v[49:50], v[3:4], v[115:116], v[49:50]
	v_add_f64 v[13:14], v[13:14], v[70:71]
	v_add_f64 v[15:16], v[15:16], v[47:48]
	s_clause 0x2
	buffer_load_dword v114, off, s[0:3], 0 offset:860
	buffer_load_dword v48, off, s[0:3], 0 offset:836
	;; [unrolled: 1-line block ×3, first 2 shown]
	ds_read_b128 v[1:4], v61 offset:1568
	s_waitcnt vmcnt(58) lgkmcnt(1)
	v_mul_f64 v[115:116], v[7:8], v[122:123]
	v_mul_f64 v[70:71], v[5:6], v[122:123]
	s_waitcnt vmcnt(56)
	v_fma_f64 v[107:108], v[9:10], v[66:67], -v[107:108]
	v_add_f64 v[13:14], v[13:14], v[55:56]
	v_fma_f64 v[55:56], v[11:12], v[66:67], v[118:119]
	v_add_f64 v[15:16], v[15:16], v[49:50]
	s_clause 0x4
	buffer_load_dword v50, off, s[0:3], 0 offset:876
	buffer_load_dword v66, off, s[0:3], 0 offset:888
	;; [unrolled: 1-line block ×5, first 2 shown]
	ds_read_b128 v[9:12], v61 offset:1584
	s_waitcnt vmcnt(57) lgkmcnt(1)
	v_mul_f64 v[126:127], v[1:2], v[25:26]
	v_mul_f64 v[25:26], v[3:4], v[25:26]
	s_waitcnt vmcnt(56)
	v_fma_f64 v[115:116], v[5:6], v[124:125], -v[115:116]
	v_fma_f64 v[70:71], v[7:8], v[124:125], v[70:71]
	v_add_f64 v[13:14], v[13:14], v[107:108]
	v_add_f64 v[15:16], v[15:16], v[55:56]
	s_clause 0x2
	buffer_load_dword v67, off, s[0:3], 0 offset:892
	buffer_load_dword v56, off, s[0:3], 0 offset:868
	;; [unrolled: 1-line block ×3, first 2 shown]
	ds_read_b128 v[5:8], v61 offset:1600
	s_waitcnt vmcnt(58) lgkmcnt(1)
	v_mul_f64 v[107:108], v[9:10], v[109:110]
	v_mul_f64 v[109:110], v[11:12], v[109:110]
	s_waitcnt vmcnt(56)
	v_fma_f64 v[25:26], v[1:2], v[19:20], -v[25:26]
	v_fma_f64 v[19:20], v[3:4], v[19:20], v[126:127]
	v_add_f64 v[13:14], v[13:14], v[115:116]
	v_add_f64 v[15:16], v[15:16], v[70:71]
	s_clause 0x4
	buffer_load_dword v71, off, s[0:3], 0 offset:908
	buffer_load_dword v115, off, s[0:3], 0 offset:920
	;; [unrolled: 1-line block ×5, first 2 shown]
	ds_read_b128 v[1:4], v61 offset:1616
	s_waitcnt vmcnt(57) lgkmcnt(1)
	v_mul_f64 v[124:125], v[5:6], v[62:63]
	v_mul_f64 v[62:63], v[7:8], v[62:63]
	s_waitcnt vmcnt(56)
	v_fma_f64 v[109:110], v[9:10], v[120:121], -v[109:110]
	v_add_f64 v[13:14], v[13:14], v[25:26]
	v_fma_f64 v[25:26], v[11:12], v[120:121], v[107:108]
	v_add_f64 v[15:16], v[15:16], v[19:20]
	s_clause 0x2
	buffer_load_dword v116, off, s[0:3], 0 offset:924
	buffer_load_dword v20, off, s[0:3], 0 offset:900
	;; [unrolled: 1-line block ×3, first 2 shown]
	ds_read_b128 v[9:12], v61 offset:1632
	s_waitcnt vmcnt(58) lgkmcnt(1)
	v_mul_f64 v[107:108], v[1:2], v[64:65]
	v_mul_f64 v[64:65], v[3:4], v[64:65]
	s_waitcnt vmcnt(56)
	v_fma_f64 v[62:63], v[5:6], v[21:22], -v[62:63]
	v_fma_f64 v[21:22], v[7:8], v[21:22], v[124:125]
	v_add_f64 v[13:14], v[13:14], v[109:110]
	v_add_f64 v[15:16], v[15:16], v[25:26]
	s_clause 0x4
	buffer_load_dword v26, off, s[0:3], 0 offset:940
	buffer_load_dword v109, off, s[0:3], 0 offset:952
	;; [unrolled: 1-line block ×5, first 2 shown]
	ds_read_b128 v[5:8], v61 offset:1648
	s_waitcnt vmcnt(57) lgkmcnt(1)
	v_mul_f64 v[125:126], v[9:10], v[17:18]
	v_mul_f64 v[17:18], v[11:12], v[17:18]
	s_waitcnt vmcnt(56)
	v_fma_f64 v[64:65], v[1:2], v[111:112], -v[64:65]
	v_add_f64 v[13:14], v[13:14], v[62:63]
	v_fma_f64 v[62:63], v[3:4], v[111:112], v[107:108]
	v_add_f64 v[15:16], v[15:16], v[21:22]
	s_clause 0x2
	buffer_load_dword v110, off, s[0:3], 0 offset:956
	buffer_load_dword v22, off, s[0:3], 0 offset:932
	;; [unrolled: 1-line block ×3, first 2 shown]
	ds_read_b128 v[1:4], v61 offset:1664
	s_waitcnt vmcnt(58) lgkmcnt(1)
	v_mul_f64 v[107:108], v[5:6], v[37:38]
	v_mul_f64 v[37:38], v[7:8], v[37:38]
	s_waitcnt vmcnt(56)
	v_fma_f64 v[17:18], v[9:10], v[27:28], -v[17:18]
	v_fma_f64 v[27:28], v[11:12], v[27:28], v[125:126]
	buffer_load_dword v125, off, s[0:3], 0 offset:948
	ds_read_b128 v[9:12], v61 offset:1680
	v_add_f64 v[13:14], v[13:14], v[64:65]
	v_add_f64 v[15:16], v[15:16], v[62:63]
	s_waitcnt vmcnt(53) lgkmcnt(1)
	v_mul_f64 v[62:63], v[1:2], v[23:24]
	v_mul_f64 v[23:24], v[3:4], v[23:24]
	s_waitcnt vmcnt(52)
	v_fma_f64 v[37:38], v[5:6], v[105:106], -v[37:38]
	v_add_f64 v[13:14], v[13:14], v[17:18]
	v_fma_f64 v[17:18], v[7:8], v[105:106], v[107:108]
	v_add_f64 v[15:16], v[15:16], v[27:28]
	s_waitcnt vmcnt(51) lgkmcnt(0)
	v_mul_f64 v[27:28], v[9:10], v[43:44]
	v_mul_f64 v[43:44], v[11:12], v[43:44]
	ds_read_b128 v[5:8], v61 offset:1696
	s_waitcnt vmcnt(49)
	v_fma_f64 v[23:24], v[1:2], v[33:34], -v[23:24]
	v_fma_f64 v[33:34], v[3:4], v[33:34], v[62:63]
	v_add_f64 v[13:14], v[13:14], v[37:38]
	v_add_f64 v[15:16], v[15:16], v[17:18]
	s_clause 0x3
	buffer_load_dword v17, off, s[0:3], 0 offset:320
	buffer_load_dword v18, off, s[0:3], 0 offset:324
	;; [unrolled: 1-line block ×4, first 2 shown]
	ds_read_b128 v[1:4], v61 offset:1712
	s_waitcnt vmcnt(49) lgkmcnt(1)
	v_mul_f64 v[62:63], v[5:6], v[29:30]
	v_mul_f64 v[29:30], v[7:8], v[29:30]
	s_waitcnt vmcnt(48)
	v_fma_f64 v[43:44], v[9:10], v[45:46], -v[43:44]
	v_add_f64 v[13:14], v[13:14], v[23:24]
	v_fma_f64 v[23:24], v[11:12], v[45:46], v[27:28]
	v_add_f64 v[15:16], v[15:16], v[33:34]
	ds_read_b128 v[9:12], v61 offset:1728
	s_waitcnt vmcnt(47) lgkmcnt(1)
	v_mul_f64 v[33:34], v[3:4], v[51:52]
	v_mul_f64 v[27:28], v[1:2], v[51:52]
	s_waitcnt vmcnt(45)
	v_fma_f64 v[29:30], v[5:6], v[31:32], -v[29:30]
	v_fma_f64 v[31:32], v[7:8], v[31:32], v[62:63]
	ds_read_b128 v[5:8], v61 offset:1744
	v_add_f64 v[13:14], v[13:14], v[43:44]
	v_add_f64 v[15:16], v[15:16], v[23:24]
	s_waitcnt vmcnt(41) lgkmcnt(1)
	v_mul_f64 v[23:24], v[9:10], v[35:36]
	v_mul_f64 v[35:36], v[11:12], v[35:36]
	s_waitcnt vmcnt(40)
	v_fma_f64 v[33:34], v[1:2], v[53:54], -v[33:34]
	v_fma_f64 v[27:28], v[3:4], v[53:54], v[27:28]
	ds_read_b128 v[1:4], v61 offset:1760
	v_add_f64 v[13:14], v[13:14], v[29:30]
	v_add_f64 v[15:16], v[15:16], v[31:32]
	;; [unrolled: 9-line block ×3, first 2 shown]
	s_waitcnt vmcnt(33) lgkmcnt(1)
	v_mul_f64 v[33:34], v[3:4], v[41:42]
	s_waitcnt vmcnt(32)
	v_fma_f64 v[31:32], v[5:6], v[59:60], -v[31:32]
	v_mul_f64 v[27:28], v[1:2], v[41:42]
	v_fma_f64 v[29:30], v[7:8], v[59:60], v[29:30]
	ds_read_b128 v[5:8], v61 offset:1792
	v_add_f64 v[13:14], v[13:14], v[35:36]
	v_add_f64 v[15:16], v[15:16], v[23:24]
	s_waitcnt vmcnt(31) lgkmcnt(1)
	v_mul_f64 v[35:36], v[11:12], v[113:114]
	v_mul_f64 v[23:24], v[9:10], v[113:114]
	s_waitcnt vmcnt(29)
	v_fma_f64 v[33:34], v[1:2], v[47:48], -v[33:34]
	v_fma_f64 v[27:28], v[3:4], v[47:48], v[27:28]
	ds_read_b128 v[1:4], v61 offset:1808
	v_add_f64 v[13:14], v[13:14], v[31:32]
	v_add_f64 v[15:16], v[15:16], v[29:30]
	s_waitcnt vmcnt(25) lgkmcnt(1)
	v_mul_f64 v[31:32], v[7:8], v[49:50]
	s_waitcnt vmcnt(24)
	v_fma_f64 v[35:36], v[9:10], v[117:118], -v[35:36]
	v_mul_f64 v[29:30], v[5:6], v[49:50]
	v_fma_f64 v[23:24], v[11:12], v[117:118], v[23:24]
	ds_read_b128 v[9:12], v61 offset:1824
	v_add_f64 v[13:14], v[13:14], v[33:34]
	v_add_f64 v[15:16], v[15:16], v[27:28]
	s_waitcnt vmcnt(23) lgkmcnt(1)
	v_mul_f64 v[33:34], v[3:4], v[66:67]
	v_mul_f64 v[27:28], v[1:2], v[66:67]
	s_waitcnt vmcnt(21)
	v_fma_f64 v[31:32], v[5:6], v[55:56], -v[31:32]
	v_fma_f64 v[29:30], v[7:8], v[55:56], v[29:30]
	ds_read_b128 v[5:8], v61 offset:1840
	v_add_f64 v[13:14], v[13:14], v[35:36]
	v_add_f64 v[15:16], v[15:16], v[23:24]
	;; [unrolled: 18-line block ×3, first 2 shown]
	s_waitcnt vmcnt(9) lgkmcnt(1)
	v_mul_f64 v[23:24], v[1:2], v[25:26]
	v_mul_f64 v[25:26], v[3:4], v[25:26]
	s_waitcnt vmcnt(8)
	v_fma_f64 v[5:6], v[5:6], v[119:120], -v[31:32]
	v_fma_f64 v[7:8], v[7:8], v[119:120], v[29:30]
	v_add_f64 v[13:14], v[13:14], v[35:36]
	v_add_f64 v[15:16], v[15:16], v[19:20]
	s_waitcnt vmcnt(7) lgkmcnt(0)
	v_mul_f64 v[27:28], v[11:12], v[109:110]
	v_mul_f64 v[19:20], v[9:10], v[109:110]
	s_waitcnt vmcnt(5)
	v_fma_f64 v[1:2], v[1:2], v[21:22], -v[25:26]
	v_fma_f64 v[3:4], v[3:4], v[21:22], v[23:24]
	v_add_f64 v[5:6], v[13:14], v[5:6]
	v_add_f64 v[7:8], v[15:16], v[7:8]
	s_waitcnt vmcnt(4)
	v_fma_f64 v[9:10], v[9:10], v[124:125], -v[27:28]
	v_add_f64 v[1:2], v[5:6], v[1:2]
	v_fma_f64 v[5:6], v[11:12], v[124:125], v[19:20]
	v_add_f64 v[3:4], v[7:8], v[3:4]
	v_add_f64 v[1:2], v[1:2], v[9:10]
	;; [unrolled: 1-line block ×3, first 2 shown]
	s_waitcnt vmcnt(2)
	v_add_f64 v[1:2], v[17:18], -v[1:2]
	s_waitcnt vmcnt(0)
	v_add_f64 v[3:4], v[37:38], -v[3:4]
	buffer_store_dword v2, off, s[0:3], 0 offset:324
	buffer_store_dword v1, off, s[0:3], 0 offset:320
	;; [unrolled: 1-line block ×4, first 2 shown]
	v_cmpx_lt_u32_e32 18, v0
	s_cbranch_execz .LBB58_331
; %bb.330:
	v_mov_b32_e32 v4, s49
	s_clause 0x3
	buffer_load_dword v1, v4, s[0:3], 0 offen
	buffer_load_dword v2, v4, s[0:3], 0 offen offset:4
	buffer_load_dword v3, v4, s[0:3], 0 offen offset:8
	;; [unrolled: 1-line block ×3, first 2 shown]
	buffer_store_dword v61, off, s[0:3], 0 offset:304
	buffer_store_dword v61, off, s[0:3], 0 offset:308
	;; [unrolled: 1-line block ×4, first 2 shown]
	s_waitcnt vmcnt(0)
	ds_write_b128 v69, v[1:4]
.LBB58_331:
	s_or_b32 exec_lo, exec_lo, s4
	s_waitcnt lgkmcnt(0)
	s_waitcnt_vscnt null, 0x0
	s_barrier
	buffer_gl0_inv
	s_clause 0x37
	buffer_load_dword v9, off, s[0:3], 0 offset:328
	buffer_load_dword v10, off, s[0:3], 0 offset:332
	buffer_load_dword v5, off, s[0:3], 0 offset:344
	buffer_load_dword v6, off, s[0:3], 0 offset:348
	buffer_load_dword v7, off, s[0:3], 0 offset:320
	buffer_load_dword v8, off, s[0:3], 0 offset:324
	buffer_load_dword v3, off, s[0:3], 0 offset:360
	buffer_load_dword v4, off, s[0:3], 0 offset:364
	buffer_load_dword v1, off, s[0:3], 0 offset:336
	buffer_load_dword v2, off, s[0:3], 0 offset:340
	buffer_load_dword v14, off, s[0:3], 0 offset:380
	buffer_load_dword v17, off, s[0:3], 0 offset:392
	buffer_load_dword v11, off, s[0:3], 0 offset:384
	buffer_load_dword v13, off, s[0:3], 0 offset:376
	buffer_load_dword v25, off, s[0:3], 0 offset:352
	buffer_load_dword v26, off, s[0:3], 0 offset:356
	buffer_load_dword v18, off, s[0:3], 0 offset:396
	buffer_load_dword v20, off, s[0:3], 0 offset:372
	buffer_load_dword v19, off, s[0:3], 0 offset:368
	buffer_load_dword v22, off, s[0:3], 0 offset:412
	buffer_load_dword v27, off, s[0:3], 0 offset:424
	buffer_load_dword v15, off, s[0:3], 0 offset:416
	buffer_load_dword v21, off, s[0:3], 0 offset:408
	buffer_load_dword v12, off, s[0:3], 0 offset:388
	buffer_load_dword v28, off, s[0:3], 0 offset:428
	buffer_load_dword v30, off, s[0:3], 0 offset:404
	buffer_load_dword v29, off, s[0:3], 0 offset:400
	buffer_load_dword v32, off, s[0:3], 0 offset:444
	buffer_load_dword v35, off, s[0:3], 0 offset:456
	buffer_load_dword v23, off, s[0:3], 0 offset:448
	buffer_load_dword v31, off, s[0:3], 0 offset:440
	buffer_load_dword v16, off, s[0:3], 0 offset:420
	buffer_load_dword v36, off, s[0:3], 0 offset:460
	buffer_load_dword v38, off, s[0:3], 0 offset:436
	buffer_load_dword v37, off, s[0:3], 0 offset:432
	buffer_load_dword v40, off, s[0:3], 0 offset:476
	buffer_load_dword v43, off, s[0:3], 0 offset:488
	buffer_load_dword v33, off, s[0:3], 0 offset:480
	buffer_load_dword v39, off, s[0:3], 0 offset:472
	buffer_load_dword v24, off, s[0:3], 0 offset:452
	buffer_load_dword v44, off, s[0:3], 0 offset:492
	buffer_load_dword v46, off, s[0:3], 0 offset:468
	buffer_load_dword v45, off, s[0:3], 0 offset:464
	buffer_load_dword v48, off, s[0:3], 0 offset:508
	buffer_load_dword v51, off, s[0:3], 0 offset:520
	buffer_load_dword v41, off, s[0:3], 0 offset:512
	buffer_load_dword v47, off, s[0:3], 0 offset:504
	buffer_load_dword v34, off, s[0:3], 0 offset:484
	buffer_load_dword v52, off, s[0:3], 0 offset:524
	buffer_load_dword v54, off, s[0:3], 0 offset:500
	buffer_load_dword v53, off, s[0:3], 0 offset:496
	buffer_load_dword v56, off, s[0:3], 0 offset:540
	buffer_load_dword v57, off, s[0:3], 0 offset:552
	buffer_load_dword v49, off, s[0:3], 0 offset:544
	buffer_load_dword v55, off, s[0:3], 0 offset:536
	buffer_load_dword v42, off, s[0:3], 0 offset:516
	ds_read_b128 v[62:65], v61 offset:1248
	s_clause 0x2
	buffer_load_dword v58, off, s[0:3], 0 offset:556
	buffer_load_dword v60, off, s[0:3], 0 offset:532
	;; [unrolled: 1-line block ×3, first 2 shown]
	ds_read_b128 v[105:108], v61 offset:1264
	s_clause 0x4
	buffer_load_dword v71, off, s[0:3], 0 offset:572
	buffer_load_dword v113, off, s[0:3], 0 offset:584
	;; [unrolled: 1-line block ×5, first 2 shown]
	ds_read_b128 v[109:112], v61 offset:1280
	s_clause 0x2
	buffer_load_dword v114, off, s[0:3], 0 offset:588
	buffer_load_dword v119, off, s[0:3], 0 offset:564
	;; [unrolled: 1-line block ×3, first 2 shown]
	s_mov_b32 s4, exec_lo
	s_waitcnt vmcnt(62) lgkmcnt(2)
	v_mul_f64 v[66:67], v[64:65], v[9:10]
	v_mul_f64 v[9:10], v[62:63], v[9:10]
	s_waitcnt lgkmcnt(1)
	v_mul_f64 v[116:117], v[107:108], v[5:6]
	s_waitcnt vmcnt(59) lgkmcnt(0)
	v_mul_f64 v[120:121], v[111:112], v[3:4]
	v_fma_f64 v[62:63], v[62:63], v[7:8], -v[66:67]
	v_mul_f64 v[66:67], v[105:106], v[5:6]
	v_fma_f64 v[9:10], v[64:65], v[7:8], v[9:10]
	s_waitcnt vmcnt(57)
	v_fma_f64 v[105:106], v[105:106], v[1:2], -v[116:117]
	ds_read_b128 v[5:8], v61 offset:1296
	v_mul_f64 v[64:65], v[109:110], v[3:4]
	s_waitcnt vmcnt(51)
	v_fma_f64 v[109:110], v[109:110], v[25:26], -v[120:121]
	v_add_f64 v[62:63], v[62:63], 0
	v_fma_f64 v[66:67], v[107:108], v[1:2], v[66:67]
	v_add_f64 v[9:10], v[9:10], 0
	s_clause 0x4
	buffer_load_dword v108, off, s[0:3], 0 offset:604
	buffer_load_dword v122, off, s[0:3], 0 offset:616
	;; [unrolled: 1-line block ×5, first 2 shown]
	s_waitcnt lgkmcnt(0)
	v_mul_f64 v[125:126], v[5:6], v[13:14]
	v_mul_f64 v[13:14], v[7:8], v[13:14]
	ds_read_b128 v[1:4], v61 offset:1312
	v_fma_f64 v[25:26], v[111:112], v[25:26], v[64:65]
	v_add_f64 v[105:106], v[62:63], v[105:106]
	v_add_f64 v[9:10], v[9:10], v[66:67]
	s_clause 0x2
	buffer_load_dword v123, off, s[0:3], 0 offset:620
	buffer_load_dword v67, off, s[0:3], 0 offset:596
	;; [unrolled: 1-line block ×3, first 2 shown]
	s_waitcnt vmcnt(58) lgkmcnt(0)
	v_mul_f64 v[111:112], v[1:2], v[17:18]
	v_mul_f64 v[17:18], v[3:4], v[17:18]
	s_waitcnt vmcnt(56)
	v_fma_f64 v[13:14], v[5:6], v[19:20], -v[13:14]
	ds_read_b128 v[62:65], v61 offset:1328
	v_fma_f64 v[19:20], v[7:8], v[19:20], v[125:126]
	v_add_f64 v[105:106], v[105:106], v[109:110]
	v_add_f64 v[9:10], v[9:10], v[25:26]
	s_clause 0x4
	buffer_load_dword v26, off, s[0:3], 0 offset:636
	buffer_load_dword v109, off, s[0:3], 0 offset:648
	;; [unrolled: 1-line block ×5, first 2 shown]
	ds_read_b128 v[5:8], v61 offset:1344
	s_waitcnt vmcnt(57) lgkmcnt(1)
	v_mul_f64 v[126:127], v[62:63], v[21:22]
	v_mul_f64 v[21:22], v[64:65], v[21:22]
	s_waitcnt vmcnt(56)
	v_fma_f64 v[17:18], v[1:2], v[11:12], -v[17:18]
	v_fma_f64 v[11:12], v[3:4], v[11:12], v[111:112]
	v_add_f64 v[13:14], v[105:106], v[13:14]
	v_add_f64 v[9:10], v[9:10], v[19:20]
	s_clause 0x2
	buffer_load_dword v110, off, s[0:3], 0 offset:652
	buffer_load_dword v20, off, s[0:3], 0 offset:628
	;; [unrolled: 1-line block ×3, first 2 shown]
	s_waitcnt vmcnt(58) lgkmcnt(0)
	v_mul_f64 v[105:106], v[5:6], v[27:28]
	v_mul_f64 v[27:28], v[7:8], v[27:28]
	s_waitcnt vmcnt(56)
	v_fma_f64 v[21:22], v[62:63], v[29:30], -v[21:22]
	ds_read_b128 v[1:4], v61 offset:1360
	v_add_f64 v[13:14], v[13:14], v[17:18]
	v_fma_f64 v[17:18], v[64:65], v[29:30], v[126:127]
	v_add_f64 v[29:30], v[9:10], v[11:12]
	s_clause 0x4
	buffer_load_dword v63, off, s[0:3], 0 offset:668
	buffer_load_dword v64, off, s[0:3], 0 offset:680
	buffer_load_dword v111, off, s[0:3], 0 offset:672
	buffer_load_dword v62, off, s[0:3], 0 offset:664
	buffer_load_dword v121, off, s[0:3], 0 offset:644
	ds_read_b128 v[9:12], v61 offset:1376
	s_waitcnt vmcnt(57) lgkmcnt(1)
	v_mul_f64 v[126:127], v[1:2], v[31:32]
	v_mul_f64 v[31:32], v[3:4], v[31:32]
	s_waitcnt vmcnt(56)
	v_fma_f64 v[27:28], v[5:6], v[15:16], -v[27:28]
	v_fma_f64 v[15:16], v[7:8], v[15:16], v[105:106]
	v_add_f64 v[13:14], v[13:14], v[21:22]
	s_clause 0x2
	buffer_load_dword v65, off, s[0:3], 0 offset:684
	buffer_load_dword v22, off, s[0:3], 0 offset:660
	;; [unrolled: 1-line block ×3, first 2 shown]
	v_add_f64 v[17:18], v[29:30], v[17:18]
	s_waitcnt vmcnt(58) lgkmcnt(0)
	v_mul_f64 v[29:30], v[9:10], v[35:36]
	v_mul_f64 v[35:36], v[11:12], v[35:36]
	ds_read_b128 v[5:8], v61 offset:1392
	s_waitcnt vmcnt(56)
	v_fma_f64 v[31:32], v[1:2], v[37:38], -v[31:32]
	v_add_f64 v[13:14], v[13:14], v[27:28]
	v_fma_f64 v[27:28], v[3:4], v[37:38], v[126:127]
	v_add_f64 v[15:16], v[17:18], v[15:16]
	s_clause 0x4
	buffer_load_dword v18, off, s[0:3], 0 offset:700
	buffer_load_dword v37, off, s[0:3], 0 offset:712
	;; [unrolled: 1-line block ×5, first 2 shown]
	s_waitcnt vmcnt(57) lgkmcnt(0)
	v_mul_f64 v[126:127], v[5:6], v[39:40]
	v_mul_f64 v[39:40], v[7:8], v[39:40]
	s_waitcnt vmcnt(56)
	v_fma_f64 v[35:36], v[9:10], v[23:24], -v[35:36]
	ds_read_b128 v[1:4], v61 offset:1408
	v_fma_f64 v[23:24], v[11:12], v[23:24], v[29:30]
	v_add_f64 v[13:14], v[13:14], v[31:32]
	v_add_f64 v[15:16], v[15:16], v[27:28]
	s_clause 0x2
	buffer_load_dword v38, off, s[0:3], 0 offset:716
	buffer_load_dword v28, off, s[0:3], 0 offset:692
	;; [unrolled: 1-line block ×3, first 2 shown]
	ds_read_b128 v[9:12], v61 offset:1424
	s_waitcnt vmcnt(58) lgkmcnt(1)
	v_mul_f64 v[31:32], v[3:4], v[43:44]
	s_waitcnt vmcnt(56)
	v_fma_f64 v[39:40], v[5:6], v[45:46], -v[39:40]
	v_mul_f64 v[29:30], v[1:2], v[43:44]
	v_add_f64 v[13:14], v[13:14], v[35:36]
	v_fma_f64 v[35:36], v[7:8], v[45:46], v[126:127]
	v_add_f64 v[15:16], v[15:16], v[23:24]
	s_clause 0x4
	buffer_load_dword v24, off, s[0:3], 0 offset:732
	buffer_load_dword v43, off, s[0:3], 0 offset:744
	;; [unrolled: 1-line block ×5, first 2 shown]
	s_waitcnt vmcnt(57) lgkmcnt(0)
	v_mul_f64 v[126:127], v[9:10], v[47:48]
	v_mul_f64 v[46:47], v[11:12], v[47:48]
	s_waitcnt vmcnt(56)
	v_fma_f64 v[31:32], v[1:2], v[33:34], -v[31:32]
	ds_read_b128 v[5:8], v61 offset:1440
	v_fma_f64 v[29:30], v[3:4], v[33:34], v[29:30]
	s_clause 0x2
	buffer_load_dword v44, off, s[0:3], 0 offset:748
	buffer_load_dword v34, off, s[0:3], 0 offset:724
	;; [unrolled: 1-line block ×3, first 2 shown]
	ds_read_b128 v[1:4], v61 offset:1456
	v_add_f64 v[13:14], v[13:14], v[39:40]
	v_add_f64 v[15:16], v[15:16], v[35:36]
	s_waitcnt vmcnt(58) lgkmcnt(1)
	v_mul_f64 v[39:40], v[7:8], v[51:52]
	s_waitcnt vmcnt(56)
	v_fma_f64 v[47:48], v[9:10], v[53:54], -v[46:47]
	v_mul_f64 v[35:36], v[5:6], v[51:52]
	v_add_f64 v[13:14], v[13:14], v[31:32]
	v_fma_f64 v[31:32], v[11:12], v[53:54], v[126:127]
	v_add_f64 v[15:16], v[15:16], v[29:30]
	s_clause 0x4
	buffer_load_dword v30, off, s[0:3], 0 offset:764
	buffer_load_dword v51, off, s[0:3], 0 offset:776
	buffer_load_dword v53, off, s[0:3], 0 offset:768
	buffer_load_dword v29, off, s[0:3], 0 offset:760
	buffer_load_dword v46, off, s[0:3], 0 offset:740
	s_waitcnt vmcnt(57) lgkmcnt(0)
	v_mul_f64 v[126:127], v[1:2], v[55:56]
	v_mul_f64 v[54:55], v[3:4], v[55:56]
	s_waitcnt vmcnt(56)
	v_fma_f64 v[39:40], v[5:6], v[41:42], -v[39:40]
	ds_read_b128 v[9:12], v61 offset:1472
	v_fma_f64 v[35:36], v[7:8], v[41:42], v[35:36]
	v_add_f64 v[13:14], v[13:14], v[47:48]
	v_add_f64 v[15:16], v[15:16], v[31:32]
	s_clause 0x2
	buffer_load_dword v52, off, s[0:3], 0 offset:780
	buffer_load_dword v32, off, s[0:3], 0 offset:756
	;; [unrolled: 1-line block ×3, first 2 shown]
	ds_read_b128 v[5:8], v61 offset:1488
	s_waitcnt vmcnt(58) lgkmcnt(1)
	v_mul_f64 v[47:48], v[11:12], v[57:58]
	s_waitcnt vmcnt(56)
	v_fma_f64 v[55:56], v[1:2], v[59:60], -v[54:55]
	v_mul_f64 v[41:42], v[9:10], v[57:58]
	v_add_f64 v[13:14], v[13:14], v[39:40]
	v_fma_f64 v[39:40], v[3:4], v[59:60], v[126:127]
	v_add_f64 v[15:16], v[15:16], v[35:36]
	s_clause 0x4
	buffer_load_dword v36, off, s[0:3], 0 offset:796
	buffer_load_dword v57, off, s[0:3], 0 offset:808
	;; [unrolled: 1-line block ×5, first 2 shown]
	s_waitcnt vmcnt(57) lgkmcnt(0)
	v_mul_f64 v[126:127], v[5:6], v[70:71]
	v_mul_f64 v[70:71], v[7:8], v[70:71]
	s_waitcnt vmcnt(56)
	v_fma_f64 v[47:48], v[9:10], v[49:50], -v[47:48]
	ds_read_b128 v[1:4], v61 offset:1504
	v_fma_f64 v[41:42], v[11:12], v[49:50], v[41:42]
	v_add_f64 v[13:14], v[13:14], v[55:56]
	v_add_f64 v[15:16], v[15:16], v[39:40]
	s_clause 0x2
	buffer_load_dword v58, off, s[0:3], 0 offset:812
	buffer_load_dword v40, off, s[0:3], 0 offset:788
	;; [unrolled: 1-line block ×3, first 2 shown]
	ds_read_b128 v[9:12], v61 offset:1520
	s_waitcnt vmcnt(58) lgkmcnt(1)
	v_mul_f64 v[55:56], v[3:4], v[113:114]
	s_waitcnt vmcnt(56)
	v_fma_f64 v[70:71], v[5:6], v[118:119], -v[70:71]
	v_mul_f64 v[49:50], v[1:2], v[113:114]
	v_add_f64 v[13:14], v[13:14], v[47:48]
	v_fma_f64 v[47:48], v[7:8], v[118:119], v[126:127]
	v_add_f64 v[15:16], v[15:16], v[41:42]
	s_clause 0x4
	buffer_load_dword v42, off, s[0:3], 0 offset:828
	buffer_load_dword v113, off, s[0:3], 0 offset:840
	;; [unrolled: 1-line block ×5, first 2 shown]
	ds_read_b128 v[5:8], v61 offset:1536
	s_waitcnt vmcnt(57) lgkmcnt(1)
	v_mul_f64 v[118:119], v[9:10], v[107:108]
	v_mul_f64 v[107:108], v[11:12], v[107:108]
	s_waitcnt vmcnt(56)
	v_fma_f64 v[55:56], v[1:2], v[115:116], -v[55:56]
	v_fma_f64 v[49:50], v[3:4], v[115:116], v[49:50]
	v_add_f64 v[13:14], v[13:14], v[70:71]
	v_add_f64 v[15:16], v[15:16], v[47:48]
	s_clause 0x2
	buffer_load_dword v114, off, s[0:3], 0 offset:844
	buffer_load_dword v48, off, s[0:3], 0 offset:820
	;; [unrolled: 1-line block ×3, first 2 shown]
	ds_read_b128 v[1:4], v61 offset:1552
	s_waitcnt vmcnt(58) lgkmcnt(1)
	v_mul_f64 v[115:116], v[7:8], v[122:123]
	v_mul_f64 v[70:71], v[5:6], v[122:123]
	s_waitcnt vmcnt(56)
	v_fma_f64 v[107:108], v[9:10], v[66:67], -v[107:108]
	v_add_f64 v[13:14], v[13:14], v[55:56]
	v_fma_f64 v[55:56], v[11:12], v[66:67], v[118:119]
	v_add_f64 v[15:16], v[15:16], v[49:50]
	s_clause 0x4
	buffer_load_dword v50, off, s[0:3], 0 offset:860
	buffer_load_dword v66, off, s[0:3], 0 offset:872
	;; [unrolled: 1-line block ×5, first 2 shown]
	ds_read_b128 v[9:12], v61 offset:1568
	s_waitcnt vmcnt(57) lgkmcnt(1)
	v_mul_f64 v[126:127], v[1:2], v[25:26]
	v_mul_f64 v[25:26], v[3:4], v[25:26]
	s_waitcnt vmcnt(56)
	v_fma_f64 v[115:116], v[5:6], v[124:125], -v[115:116]
	v_fma_f64 v[70:71], v[7:8], v[124:125], v[70:71]
	v_add_f64 v[13:14], v[13:14], v[107:108]
	v_add_f64 v[15:16], v[15:16], v[55:56]
	s_clause 0x2
	buffer_load_dword v67, off, s[0:3], 0 offset:876
	buffer_load_dword v56, off, s[0:3], 0 offset:852
	;; [unrolled: 1-line block ×3, first 2 shown]
	ds_read_b128 v[5:8], v61 offset:1584
	s_waitcnt vmcnt(58) lgkmcnt(1)
	v_mul_f64 v[107:108], v[9:10], v[109:110]
	v_mul_f64 v[109:110], v[11:12], v[109:110]
	s_waitcnt vmcnt(56)
	v_fma_f64 v[25:26], v[1:2], v[19:20], -v[25:26]
	v_fma_f64 v[19:20], v[3:4], v[19:20], v[126:127]
	v_add_f64 v[13:14], v[13:14], v[115:116]
	v_add_f64 v[15:16], v[15:16], v[70:71]
	s_clause 0x4
	buffer_load_dword v71, off, s[0:3], 0 offset:892
	buffer_load_dword v115, off, s[0:3], 0 offset:904
	;; [unrolled: 1-line block ×5, first 2 shown]
	ds_read_b128 v[1:4], v61 offset:1600
	s_waitcnt vmcnt(57) lgkmcnt(1)
	v_mul_f64 v[124:125], v[5:6], v[62:63]
	v_mul_f64 v[62:63], v[7:8], v[62:63]
	s_waitcnt vmcnt(56)
	v_fma_f64 v[109:110], v[9:10], v[120:121], -v[109:110]
	v_add_f64 v[13:14], v[13:14], v[25:26]
	v_fma_f64 v[25:26], v[11:12], v[120:121], v[107:108]
	v_add_f64 v[15:16], v[15:16], v[19:20]
	s_clause 0x2
	buffer_load_dword v116, off, s[0:3], 0 offset:908
	buffer_load_dword v20, off, s[0:3], 0 offset:884
	;; [unrolled: 1-line block ×3, first 2 shown]
	ds_read_b128 v[9:12], v61 offset:1616
	s_waitcnt vmcnt(58) lgkmcnt(1)
	v_mul_f64 v[107:108], v[1:2], v[64:65]
	v_mul_f64 v[64:65], v[3:4], v[64:65]
	s_waitcnt vmcnt(56)
	v_fma_f64 v[62:63], v[5:6], v[21:22], -v[62:63]
	v_fma_f64 v[21:22], v[7:8], v[21:22], v[124:125]
	v_add_f64 v[13:14], v[13:14], v[109:110]
	v_add_f64 v[15:16], v[15:16], v[25:26]
	s_clause 0x4
	buffer_load_dword v26, off, s[0:3], 0 offset:924
	buffer_load_dword v109, off, s[0:3], 0 offset:936
	buffer_load_dword v124, off, s[0:3], 0 offset:928
	buffer_load_dword v25, off, s[0:3], 0 offset:920
	buffer_load_dword v120, off, s[0:3], 0 offset:900
	ds_read_b128 v[5:8], v61 offset:1632
	s_waitcnt vmcnt(57) lgkmcnt(1)
	v_mul_f64 v[125:126], v[9:10], v[17:18]
	v_mul_f64 v[17:18], v[11:12], v[17:18]
	s_waitcnt vmcnt(56)
	v_fma_f64 v[64:65], v[1:2], v[111:112], -v[64:65]
	v_add_f64 v[13:14], v[13:14], v[62:63]
	v_fma_f64 v[62:63], v[3:4], v[111:112], v[107:108]
	v_add_f64 v[15:16], v[15:16], v[21:22]
	s_clause 0x2
	buffer_load_dword v110, off, s[0:3], 0 offset:940
	buffer_load_dword v22, off, s[0:3], 0 offset:916
	;; [unrolled: 1-line block ×3, first 2 shown]
	ds_read_b128 v[1:4], v61 offset:1648
	s_waitcnt vmcnt(58) lgkmcnt(1)
	v_mul_f64 v[107:108], v[5:6], v[37:38]
	v_mul_f64 v[37:38], v[7:8], v[37:38]
	s_waitcnt vmcnt(56)
	v_fma_f64 v[17:18], v[9:10], v[27:28], -v[17:18]
	v_fma_f64 v[27:28], v[11:12], v[27:28], v[125:126]
	v_add_f64 v[13:14], v[13:14], v[64:65]
	v_add_f64 v[15:16], v[15:16], v[62:63]
	s_clause 0x2
	buffer_load_dword v63, off, s[0:3], 0 offset:956
	buffer_load_dword v62, off, s[0:3], 0 offset:952
	;; [unrolled: 1-line block ×3, first 2 shown]
	ds_read_b128 v[9:12], v61 offset:1664
	s_waitcnt vmcnt(55) lgkmcnt(1)
	v_mul_f64 v[64:65], v[1:2], v[23:24]
	v_mul_f64 v[23:24], v[3:4], v[23:24]
	s_waitcnt vmcnt(54)
	v_fma_f64 v[37:38], v[5:6], v[105:106], -v[37:38]
	v_add_f64 v[13:14], v[13:14], v[17:18]
	v_fma_f64 v[17:18], v[7:8], v[105:106], v[107:108]
	v_add_f64 v[15:16], v[15:16], v[27:28]
	s_clause 0x1
	buffer_load_dword v28, off, s[0:3], 0 offset:948
	buffer_load_dword v27, off, s[0:3], 0 offset:944
	s_waitcnt vmcnt(55) lgkmcnt(0)
	v_mul_f64 v[105:106], v[9:10], v[43:44]
	v_mul_f64 v[43:44], v[11:12], v[43:44]
	ds_read_b128 v[5:8], v61 offset:1680
	s_waitcnt vmcnt(53)
	v_fma_f64 v[23:24], v[1:2], v[33:34], -v[23:24]
	v_fma_f64 v[33:34], v[3:4], v[33:34], v[64:65]
	ds_read_b128 v[1:4], v61 offset:1696
	v_add_f64 v[13:14], v[13:14], v[37:38]
	v_add_f64 v[15:16], v[15:16], v[17:18]
	s_waitcnt vmcnt(49) lgkmcnt(1)
	v_mul_f64 v[17:18], v[5:6], v[29:30]
	v_mul_f64 v[29:30], v[7:8], v[29:30]
	s_waitcnt vmcnt(48)
	v_fma_f64 v[37:38], v[9:10], v[45:46], -v[43:44]
	v_add_f64 v[13:14], v[13:14], v[23:24]
	v_fma_f64 v[23:24], v[11:12], v[45:46], v[105:106]
	v_add_f64 v[15:16], v[15:16], v[33:34]
	s_clause 0x3
	buffer_load_dword v33, off, s[0:3], 0 offset:304
	buffer_load_dword v34, off, s[0:3], 0 offset:308
	;; [unrolled: 1-line block ×4, first 2 shown]
	ds_read_b128 v[9:12], v61 offset:1712
	s_waitcnt vmcnt(51) lgkmcnt(1)
	v_mul_f64 v[45:46], v[1:2], v[51:52]
	v_mul_f64 v[51:52], v[3:4], v[51:52]
	s_waitcnt vmcnt(49)
	v_fma_f64 v[29:30], v[5:6], v[31:32], -v[29:30]
	v_fma_f64 v[17:18], v[7:8], v[31:32], v[17:18]
	ds_read_b128 v[5:8], v61 offset:1728
	v_add_f64 v[13:14], v[13:14], v[37:38]
	v_add_f64 v[15:16], v[15:16], v[23:24]
	s_waitcnt vmcnt(45) lgkmcnt(1)
	v_mul_f64 v[23:24], v[9:10], v[35:36]
	v_mul_f64 v[31:32], v[11:12], v[35:36]
	s_waitcnt vmcnt(44)
	v_fma_f64 v[35:36], v[1:2], v[53:54], -v[51:52]
	v_add_f64 v[13:14], v[13:14], v[29:30]
	v_fma_f64 v[29:30], v[3:4], v[53:54], v[45:46]
	v_add_f64 v[15:16], v[15:16], v[17:18]
	ds_read_b128 v[1:4], v61 offset:1744
	s_waitcnt vmcnt(43) lgkmcnt(1)
	v_mul_f64 v[37:38], v[7:8], v[57:58]
	v_mul_f64 v[17:18], v[5:6], v[57:58]
	s_waitcnt vmcnt(41)
	v_fma_f64 v[31:32], v[9:10], v[39:40], -v[31:32]
	v_fma_f64 v[23:24], v[11:12], v[39:40], v[23:24]
	ds_read_b128 v[9:12], v61 offset:1760
	v_add_f64 v[13:14], v[13:14], v[35:36]
	v_add_f64 v[15:16], v[15:16], v[29:30]
	s_waitcnt vmcnt(37) lgkmcnt(1)
	v_mul_f64 v[35:36], v[3:4], v[41:42]
	s_waitcnt vmcnt(36)
	v_fma_f64 v[37:38], v[5:6], v[59:60], -v[37:38]
	v_mul_f64 v[29:30], v[1:2], v[41:42]
	v_fma_f64 v[17:18], v[7:8], v[59:60], v[17:18]
	ds_read_b128 v[5:8], v61 offset:1776
	v_add_f64 v[13:14], v[13:14], v[31:32]
	v_add_f64 v[15:16], v[15:16], v[23:24]
	s_waitcnt vmcnt(35) lgkmcnt(1)
	v_mul_f64 v[31:32], v[11:12], v[113:114]
	v_mul_f64 v[23:24], v[9:10], v[113:114]
	s_waitcnt vmcnt(33)
	v_fma_f64 v[35:36], v[1:2], v[47:48], -v[35:36]
	v_fma_f64 v[29:30], v[3:4], v[47:48], v[29:30]
	ds_read_b128 v[1:4], v61 offset:1792
	v_add_f64 v[13:14], v[13:14], v[37:38]
	v_add_f64 v[15:16], v[15:16], v[17:18]
	s_waitcnt vmcnt(29) lgkmcnt(1)
	v_mul_f64 v[37:38], v[7:8], v[49:50]
	s_waitcnt vmcnt(28)
	v_fma_f64 v[31:32], v[9:10], v[117:118], -v[31:32]
	v_mul_f64 v[17:18], v[5:6], v[49:50]
	v_fma_f64 v[23:24], v[11:12], v[117:118], v[23:24]
	ds_read_b128 v[9:12], v61 offset:1808
	v_add_f64 v[13:14], v[13:14], v[35:36]
	v_add_f64 v[15:16], v[15:16], v[29:30]
	;; [unrolled: 18-line block ×3, first 2 shown]
	s_waitcnt vmcnt(19) lgkmcnt(1)
	v_mul_f64 v[37:38], v[7:8], v[115:116]
	v_mul_f64 v[17:18], v[5:6], v[115:116]
	s_waitcnt vmcnt(17)
	v_fma_f64 v[31:32], v[9:10], v[19:20], -v[31:32]
	v_fma_f64 v[19:20], v[11:12], v[19:20], v[23:24]
	ds_read_b128 v[9:12], v61 offset:1856
	v_add_f64 v[13:14], v[13:14], v[35:36]
	v_add_f64 v[15:16], v[15:16], v[29:30]
	s_waitcnt vmcnt(13) lgkmcnt(1)
	v_mul_f64 v[23:24], v[1:2], v[25:26]
	v_mul_f64 v[25:26], v[3:4], v[25:26]
	s_waitcnt vmcnt(12)
	v_fma_f64 v[29:30], v[5:6], v[119:120], -v[37:38]
	v_fma_f64 v[17:18], v[7:8], v[119:120], v[17:18]
	ds_read_b128 v[5:8], v61 offset:1872
	v_add_f64 v[13:14], v[13:14], v[31:32]
	v_add_f64 v[15:16], v[15:16], v[19:20]
	s_waitcnt vmcnt(11) lgkmcnt(1)
	v_mul_f64 v[31:32], v[11:12], v[109:110]
	v_mul_f64 v[19:20], v[9:10], v[109:110]
	s_waitcnt vmcnt(9)
	v_fma_f64 v[1:2], v[1:2], v[21:22], -v[25:26]
	v_fma_f64 v[3:4], v[3:4], v[21:22], v[23:24]
	v_add_f64 v[13:14], v[13:14], v[29:30]
	v_add_f64 v[15:16], v[15:16], v[17:18]
	s_waitcnt vmcnt(7) lgkmcnt(0)
	v_mul_f64 v[21:22], v[7:8], v[62:63]
	s_waitcnt vmcnt(6)
	v_fma_f64 v[9:10], v[9:10], v[124:125], -v[31:32]
	v_mul_f64 v[17:18], v[5:6], v[62:63]
	v_fma_f64 v[11:12], v[11:12], v[124:125], v[19:20]
	v_add_f64 v[1:2], v[13:14], v[1:2]
	v_add_f64 v[3:4], v[15:16], v[3:4]
	s_waitcnt vmcnt(4)
	v_fma_f64 v[5:6], v[5:6], v[27:28], -v[21:22]
	v_fma_f64 v[7:8], v[7:8], v[27:28], v[17:18]
	v_add_f64 v[1:2], v[1:2], v[9:10]
	v_add_f64 v[3:4], v[3:4], v[11:12]
	;; [unrolled: 1-line block ×4, first 2 shown]
	s_waitcnt vmcnt(2)
	v_add_f64 v[1:2], v[33:34], -v[1:2]
	s_waitcnt vmcnt(0)
	v_add_f64 v[3:4], v[43:44], -v[3:4]
	buffer_store_dword v2, off, s[0:3], 0 offset:308
	buffer_store_dword v1, off, s[0:3], 0 offset:304
	buffer_store_dword v4, off, s[0:3], 0 offset:316
	buffer_store_dword v3, off, s[0:3], 0 offset:312
	v_cmpx_lt_u32_e32 17, v0
	s_cbranch_execz .LBB58_333
; %bb.332:
	v_mov_b32_e32 v4, s51
	v_mov_b32_e32 v5, 0
	s_clause 0x3
	buffer_load_dword v1, v4, s[0:3], 0 offen
	buffer_load_dword v2, v4, s[0:3], 0 offen offset:4
	buffer_load_dword v3, v4, s[0:3], 0 offen offset:8
	;; [unrolled: 1-line block ×3, first 2 shown]
	buffer_store_dword v5, off, s[0:3], 0 offset:288
	buffer_store_dword v5, off, s[0:3], 0 offset:292
	;; [unrolled: 1-line block ×4, first 2 shown]
	s_waitcnt vmcnt(0)
	ds_write_b128 v69, v[1:4]
.LBB58_333:
	s_or_b32 exec_lo, exec_lo, s4
	s_waitcnt lgkmcnt(0)
	s_waitcnt_vscnt null, 0x0
	s_barrier
	buffer_gl0_inv
	s_clause 0x37
	buffer_load_dword v9, off, s[0:3], 0 offset:312
	buffer_load_dword v10, off, s[0:3], 0 offset:316
	;; [unrolled: 1-line block ×56, first 2 shown]
	v_mov_b32_e32 v61, 0
	s_mov_b32 s4, exec_lo
	ds_read_b128 v[62:65], v61 offset:1232
	s_clause 0x2
	buffer_load_dword v58, off, s[0:3], 0 offset:540
	buffer_load_dword v60, off, s[0:3], 0 offset:516
	;; [unrolled: 1-line block ×3, first 2 shown]
	ds_read_b128 v[105:108], v61 offset:1248
	s_clause 0x4
	buffer_load_dword v71, off, s[0:3], 0 offset:556
	buffer_load_dword v113, off, s[0:3], 0 offset:568
	;; [unrolled: 1-line block ×5, first 2 shown]
	ds_read_b128 v[109:112], v61 offset:1264
	s_clause 0x2
	buffer_load_dword v114, off, s[0:3], 0 offset:572
	buffer_load_dword v119, off, s[0:3], 0 offset:548
	;; [unrolled: 1-line block ×3, first 2 shown]
	s_waitcnt vmcnt(62) lgkmcnt(2)
	v_mul_f64 v[66:67], v[64:65], v[9:10]
	v_mul_f64 v[9:10], v[62:63], v[9:10]
	s_waitcnt lgkmcnt(1)
	v_mul_f64 v[116:117], v[107:108], v[5:6]
	s_waitcnt vmcnt(59) lgkmcnt(0)
	v_mul_f64 v[120:121], v[111:112], v[3:4]
	v_fma_f64 v[62:63], v[62:63], v[7:8], -v[66:67]
	v_mul_f64 v[66:67], v[105:106], v[5:6]
	v_fma_f64 v[9:10], v[64:65], v[7:8], v[9:10]
	s_waitcnt vmcnt(57)
	v_fma_f64 v[105:106], v[105:106], v[1:2], -v[116:117]
	ds_read_b128 v[5:8], v61 offset:1280
	v_mul_f64 v[64:65], v[109:110], v[3:4]
	s_waitcnt vmcnt(51)
	v_fma_f64 v[109:110], v[109:110], v[25:26], -v[120:121]
	v_add_f64 v[62:63], v[62:63], 0
	v_fma_f64 v[66:67], v[107:108], v[1:2], v[66:67]
	v_add_f64 v[9:10], v[9:10], 0
	s_clause 0x4
	buffer_load_dword v108, off, s[0:3], 0 offset:588
	buffer_load_dword v122, off, s[0:3], 0 offset:600
	;; [unrolled: 1-line block ×5, first 2 shown]
	s_waitcnt lgkmcnt(0)
	v_mul_f64 v[125:126], v[5:6], v[13:14]
	v_mul_f64 v[13:14], v[7:8], v[13:14]
	ds_read_b128 v[1:4], v61 offset:1296
	v_fma_f64 v[25:26], v[111:112], v[25:26], v[64:65]
	v_add_f64 v[105:106], v[62:63], v[105:106]
	v_add_f64 v[9:10], v[9:10], v[66:67]
	s_clause 0x2
	buffer_load_dword v123, off, s[0:3], 0 offset:604
	buffer_load_dword v67, off, s[0:3], 0 offset:580
	;; [unrolled: 1-line block ×3, first 2 shown]
	s_waitcnt vmcnt(58) lgkmcnt(0)
	v_mul_f64 v[111:112], v[1:2], v[17:18]
	v_mul_f64 v[17:18], v[3:4], v[17:18]
	s_waitcnt vmcnt(56)
	v_fma_f64 v[13:14], v[5:6], v[19:20], -v[13:14]
	ds_read_b128 v[62:65], v61 offset:1312
	v_fma_f64 v[19:20], v[7:8], v[19:20], v[125:126]
	v_add_f64 v[105:106], v[105:106], v[109:110]
	v_add_f64 v[9:10], v[9:10], v[25:26]
	s_clause 0x4
	buffer_load_dword v26, off, s[0:3], 0 offset:620
	buffer_load_dword v109, off, s[0:3], 0 offset:632
	;; [unrolled: 1-line block ×5, first 2 shown]
	ds_read_b128 v[5:8], v61 offset:1328
	s_waitcnt vmcnt(57) lgkmcnt(1)
	v_mul_f64 v[126:127], v[62:63], v[21:22]
	v_mul_f64 v[21:22], v[64:65], v[21:22]
	s_waitcnt vmcnt(56)
	v_fma_f64 v[17:18], v[1:2], v[11:12], -v[17:18]
	v_fma_f64 v[11:12], v[3:4], v[11:12], v[111:112]
	v_add_f64 v[13:14], v[105:106], v[13:14]
	v_add_f64 v[9:10], v[9:10], v[19:20]
	s_clause 0x2
	buffer_load_dword v110, off, s[0:3], 0 offset:636
	buffer_load_dword v20, off, s[0:3], 0 offset:612
	;; [unrolled: 1-line block ×3, first 2 shown]
	s_waitcnt vmcnt(58) lgkmcnt(0)
	v_mul_f64 v[105:106], v[5:6], v[27:28]
	v_mul_f64 v[27:28], v[7:8], v[27:28]
	s_waitcnt vmcnt(56)
	v_fma_f64 v[21:22], v[62:63], v[29:30], -v[21:22]
	ds_read_b128 v[1:4], v61 offset:1344
	v_add_f64 v[13:14], v[13:14], v[17:18]
	v_fma_f64 v[17:18], v[64:65], v[29:30], v[126:127]
	v_add_f64 v[29:30], v[9:10], v[11:12]
	s_clause 0x4
	buffer_load_dword v63, off, s[0:3], 0 offset:652
	buffer_load_dword v64, off, s[0:3], 0 offset:664
	;; [unrolled: 1-line block ×5, first 2 shown]
	ds_read_b128 v[9:12], v61 offset:1360
	s_waitcnt vmcnt(57) lgkmcnt(1)
	v_mul_f64 v[126:127], v[1:2], v[31:32]
	v_mul_f64 v[31:32], v[3:4], v[31:32]
	s_waitcnt vmcnt(56)
	v_fma_f64 v[27:28], v[5:6], v[15:16], -v[27:28]
	v_fma_f64 v[15:16], v[7:8], v[15:16], v[105:106]
	v_add_f64 v[13:14], v[13:14], v[21:22]
	s_clause 0x2
	buffer_load_dword v65, off, s[0:3], 0 offset:668
	buffer_load_dword v22, off, s[0:3], 0 offset:644
	;; [unrolled: 1-line block ×3, first 2 shown]
	v_add_f64 v[17:18], v[29:30], v[17:18]
	s_waitcnt vmcnt(58) lgkmcnt(0)
	v_mul_f64 v[29:30], v[9:10], v[35:36]
	v_mul_f64 v[35:36], v[11:12], v[35:36]
	ds_read_b128 v[5:8], v61 offset:1376
	s_waitcnt vmcnt(56)
	v_fma_f64 v[31:32], v[1:2], v[37:38], -v[31:32]
	v_add_f64 v[13:14], v[13:14], v[27:28]
	v_fma_f64 v[27:28], v[3:4], v[37:38], v[126:127]
	v_add_f64 v[15:16], v[17:18], v[15:16]
	s_clause 0x4
	buffer_load_dword v18, off, s[0:3], 0 offset:684
	buffer_load_dword v37, off, s[0:3], 0 offset:696
	;; [unrolled: 1-line block ×5, first 2 shown]
	s_waitcnt vmcnt(57) lgkmcnt(0)
	v_mul_f64 v[126:127], v[5:6], v[39:40]
	v_mul_f64 v[39:40], v[7:8], v[39:40]
	s_waitcnt vmcnt(56)
	v_fma_f64 v[35:36], v[9:10], v[23:24], -v[35:36]
	ds_read_b128 v[1:4], v61 offset:1392
	v_fma_f64 v[23:24], v[11:12], v[23:24], v[29:30]
	v_add_f64 v[13:14], v[13:14], v[31:32]
	v_add_f64 v[15:16], v[15:16], v[27:28]
	s_clause 0x2
	buffer_load_dword v38, off, s[0:3], 0 offset:700
	buffer_load_dword v28, off, s[0:3], 0 offset:676
	;; [unrolled: 1-line block ×3, first 2 shown]
	ds_read_b128 v[9:12], v61 offset:1408
	s_waitcnt vmcnt(58) lgkmcnt(1)
	v_mul_f64 v[31:32], v[3:4], v[43:44]
	s_waitcnt vmcnt(56)
	v_fma_f64 v[39:40], v[5:6], v[45:46], -v[39:40]
	v_mul_f64 v[29:30], v[1:2], v[43:44]
	v_add_f64 v[13:14], v[13:14], v[35:36]
	v_fma_f64 v[35:36], v[7:8], v[45:46], v[126:127]
	v_add_f64 v[15:16], v[15:16], v[23:24]
	s_clause 0x4
	buffer_load_dword v24, off, s[0:3], 0 offset:716
	buffer_load_dword v43, off, s[0:3], 0 offset:728
	;; [unrolled: 1-line block ×5, first 2 shown]
	s_waitcnt vmcnt(57) lgkmcnt(0)
	v_mul_f64 v[126:127], v[9:10], v[47:48]
	v_mul_f64 v[46:47], v[11:12], v[47:48]
	s_waitcnt vmcnt(56)
	v_fma_f64 v[31:32], v[1:2], v[33:34], -v[31:32]
	ds_read_b128 v[5:8], v61 offset:1424
	v_fma_f64 v[29:30], v[3:4], v[33:34], v[29:30]
	s_clause 0x2
	buffer_load_dword v44, off, s[0:3], 0 offset:732
	buffer_load_dword v34, off, s[0:3], 0 offset:708
	;; [unrolled: 1-line block ×3, first 2 shown]
	ds_read_b128 v[1:4], v61 offset:1440
	v_add_f64 v[13:14], v[13:14], v[39:40]
	v_add_f64 v[15:16], v[15:16], v[35:36]
	s_waitcnt vmcnt(58) lgkmcnt(1)
	v_mul_f64 v[39:40], v[7:8], v[51:52]
	s_waitcnt vmcnt(56)
	v_fma_f64 v[47:48], v[9:10], v[53:54], -v[46:47]
	v_mul_f64 v[35:36], v[5:6], v[51:52]
	v_add_f64 v[13:14], v[13:14], v[31:32]
	v_fma_f64 v[31:32], v[11:12], v[53:54], v[126:127]
	v_add_f64 v[15:16], v[15:16], v[29:30]
	s_clause 0x4
	buffer_load_dword v30, off, s[0:3], 0 offset:748
	buffer_load_dword v51, off, s[0:3], 0 offset:760
	;; [unrolled: 1-line block ×5, first 2 shown]
	s_waitcnt vmcnt(57) lgkmcnt(0)
	v_mul_f64 v[126:127], v[1:2], v[55:56]
	v_mul_f64 v[54:55], v[3:4], v[55:56]
	s_waitcnt vmcnt(56)
	v_fma_f64 v[39:40], v[5:6], v[41:42], -v[39:40]
	ds_read_b128 v[9:12], v61 offset:1456
	v_fma_f64 v[35:36], v[7:8], v[41:42], v[35:36]
	v_add_f64 v[13:14], v[13:14], v[47:48]
	v_add_f64 v[15:16], v[15:16], v[31:32]
	s_clause 0x2
	buffer_load_dword v52, off, s[0:3], 0 offset:764
	buffer_load_dword v32, off, s[0:3], 0 offset:740
	;; [unrolled: 1-line block ×3, first 2 shown]
	ds_read_b128 v[5:8], v61 offset:1472
	s_waitcnt vmcnt(58) lgkmcnt(1)
	v_mul_f64 v[47:48], v[11:12], v[57:58]
	s_waitcnt vmcnt(56)
	v_fma_f64 v[55:56], v[1:2], v[59:60], -v[54:55]
	v_mul_f64 v[41:42], v[9:10], v[57:58]
	v_add_f64 v[13:14], v[13:14], v[39:40]
	v_fma_f64 v[39:40], v[3:4], v[59:60], v[126:127]
	v_add_f64 v[15:16], v[15:16], v[35:36]
	s_clause 0x4
	buffer_load_dword v36, off, s[0:3], 0 offset:780
	buffer_load_dword v57, off, s[0:3], 0 offset:792
	;; [unrolled: 1-line block ×5, first 2 shown]
	s_waitcnt vmcnt(57) lgkmcnt(0)
	v_mul_f64 v[126:127], v[5:6], v[70:71]
	v_mul_f64 v[70:71], v[7:8], v[70:71]
	s_waitcnt vmcnt(56)
	v_fma_f64 v[47:48], v[9:10], v[49:50], -v[47:48]
	ds_read_b128 v[1:4], v61 offset:1488
	v_fma_f64 v[41:42], v[11:12], v[49:50], v[41:42]
	v_add_f64 v[13:14], v[13:14], v[55:56]
	v_add_f64 v[15:16], v[15:16], v[39:40]
	s_clause 0x2
	buffer_load_dword v58, off, s[0:3], 0 offset:796
	buffer_load_dword v40, off, s[0:3], 0 offset:772
	;; [unrolled: 1-line block ×3, first 2 shown]
	ds_read_b128 v[9:12], v61 offset:1504
	s_waitcnt vmcnt(58) lgkmcnt(1)
	v_mul_f64 v[55:56], v[3:4], v[113:114]
	s_waitcnt vmcnt(56)
	v_fma_f64 v[70:71], v[5:6], v[118:119], -v[70:71]
	v_mul_f64 v[49:50], v[1:2], v[113:114]
	v_add_f64 v[13:14], v[13:14], v[47:48]
	v_fma_f64 v[47:48], v[7:8], v[118:119], v[126:127]
	v_add_f64 v[15:16], v[15:16], v[41:42]
	s_clause 0x4
	buffer_load_dword v42, off, s[0:3], 0 offset:812
	buffer_load_dword v113, off, s[0:3], 0 offset:824
	;; [unrolled: 1-line block ×5, first 2 shown]
	ds_read_b128 v[5:8], v61 offset:1520
	s_waitcnt vmcnt(57) lgkmcnt(1)
	v_mul_f64 v[118:119], v[9:10], v[107:108]
	v_mul_f64 v[107:108], v[11:12], v[107:108]
	s_waitcnt vmcnt(56)
	v_fma_f64 v[55:56], v[1:2], v[115:116], -v[55:56]
	v_fma_f64 v[49:50], v[3:4], v[115:116], v[49:50]
	v_add_f64 v[13:14], v[13:14], v[70:71]
	v_add_f64 v[15:16], v[15:16], v[47:48]
	s_clause 0x2
	buffer_load_dword v114, off, s[0:3], 0 offset:828
	buffer_load_dword v48, off, s[0:3], 0 offset:804
	;; [unrolled: 1-line block ×3, first 2 shown]
	ds_read_b128 v[1:4], v61 offset:1536
	s_waitcnt vmcnt(58) lgkmcnt(1)
	v_mul_f64 v[115:116], v[7:8], v[122:123]
	v_mul_f64 v[70:71], v[5:6], v[122:123]
	s_waitcnt vmcnt(56)
	v_fma_f64 v[107:108], v[9:10], v[66:67], -v[107:108]
	v_add_f64 v[13:14], v[13:14], v[55:56]
	v_fma_f64 v[55:56], v[11:12], v[66:67], v[118:119]
	v_add_f64 v[15:16], v[15:16], v[49:50]
	s_clause 0x4
	buffer_load_dword v50, off, s[0:3], 0 offset:844
	buffer_load_dword v66, off, s[0:3], 0 offset:856
	;; [unrolled: 1-line block ×5, first 2 shown]
	ds_read_b128 v[9:12], v61 offset:1552
	s_waitcnt vmcnt(57) lgkmcnt(1)
	v_mul_f64 v[126:127], v[1:2], v[25:26]
	v_mul_f64 v[25:26], v[3:4], v[25:26]
	s_waitcnt vmcnt(56)
	v_fma_f64 v[115:116], v[5:6], v[124:125], -v[115:116]
	v_fma_f64 v[70:71], v[7:8], v[124:125], v[70:71]
	v_add_f64 v[13:14], v[13:14], v[107:108]
	v_add_f64 v[15:16], v[15:16], v[55:56]
	s_clause 0x2
	buffer_load_dword v67, off, s[0:3], 0 offset:860
	buffer_load_dword v56, off, s[0:3], 0 offset:836
	buffer_load_dword v55, off, s[0:3], 0 offset:832
	ds_read_b128 v[5:8], v61 offset:1568
	s_waitcnt vmcnt(58) lgkmcnt(1)
	v_mul_f64 v[107:108], v[9:10], v[109:110]
	v_mul_f64 v[109:110], v[11:12], v[109:110]
	s_waitcnt vmcnt(56)
	v_fma_f64 v[25:26], v[1:2], v[19:20], -v[25:26]
	v_fma_f64 v[19:20], v[3:4], v[19:20], v[126:127]
	v_add_f64 v[13:14], v[13:14], v[115:116]
	v_add_f64 v[15:16], v[15:16], v[70:71]
	s_clause 0x4
	buffer_load_dword v71, off, s[0:3], 0 offset:876
	buffer_load_dword v115, off, s[0:3], 0 offset:888
	buffer_load_dword v119, off, s[0:3], 0 offset:880
	buffer_load_dword v70, off, s[0:3], 0 offset:872
	buffer_load_dword v123, off, s[0:3], 0 offset:852
	ds_read_b128 v[1:4], v61 offset:1584
	s_waitcnt vmcnt(57) lgkmcnt(1)
	v_mul_f64 v[124:125], v[5:6], v[62:63]
	v_mul_f64 v[62:63], v[7:8], v[62:63]
	s_waitcnt vmcnt(56)
	v_fma_f64 v[109:110], v[9:10], v[120:121], -v[109:110]
	v_add_f64 v[13:14], v[13:14], v[25:26]
	v_fma_f64 v[25:26], v[11:12], v[120:121], v[107:108]
	v_add_f64 v[15:16], v[15:16], v[19:20]
	s_clause 0x2
	buffer_load_dword v116, off, s[0:3], 0 offset:892
	buffer_load_dword v20, off, s[0:3], 0 offset:868
	buffer_load_dword v19, off, s[0:3], 0 offset:864
	ds_read_b128 v[9:12], v61 offset:1600
	s_waitcnt vmcnt(58) lgkmcnt(1)
	v_mul_f64 v[107:108], v[1:2], v[64:65]
	v_mul_f64 v[64:65], v[3:4], v[64:65]
	s_waitcnt vmcnt(56)
	v_fma_f64 v[62:63], v[5:6], v[21:22], -v[62:63]
	v_fma_f64 v[21:22], v[7:8], v[21:22], v[124:125]
	v_add_f64 v[13:14], v[13:14], v[109:110]
	v_add_f64 v[15:16], v[15:16], v[25:26]
	s_clause 0x4
	buffer_load_dword v26, off, s[0:3], 0 offset:908
	buffer_load_dword v109, off, s[0:3], 0 offset:920
	buffer_load_dword v124, off, s[0:3], 0 offset:912
	buffer_load_dword v25, off, s[0:3], 0 offset:904
	buffer_load_dword v120, off, s[0:3], 0 offset:884
	ds_read_b128 v[5:8], v61 offset:1616
	s_waitcnt vmcnt(57) lgkmcnt(1)
	v_mul_f64 v[125:126], v[9:10], v[17:18]
	v_mul_f64 v[17:18], v[11:12], v[17:18]
	s_waitcnt vmcnt(56)
	v_fma_f64 v[64:65], v[1:2], v[111:112], -v[64:65]
	v_add_f64 v[13:14], v[13:14], v[62:63]
	v_fma_f64 v[62:63], v[3:4], v[111:112], v[107:108]
	;; [unrolled: 28-line block ×3, first 2 shown]
	v_add_f64 v[15:16], v[15:16], v[27:28]
	s_clause 0x2
	buffer_load_dword v65, off, s[0:3], 0 offset:956
	buffer_load_dword v28, off, s[0:3], 0 offset:932
	;; [unrolled: 1-line block ×3, first 2 shown]
	s_waitcnt vmcnt(58) lgkmcnt(0)
	v_mul_f64 v[105:106], v[9:10], v[43:44]
	v_mul_f64 v[43:44], v[11:12], v[43:44]
	ds_read_b128 v[5:8], v61 offset:1664
	buffer_load_dword v112, off, s[0:3], 0 offset:948
	s_waitcnt vmcnt(57)
	v_fma_f64 v[23:24], v[1:2], v[33:34], -v[23:24]
	v_fma_f64 v[33:34], v[3:4], v[33:34], v[126:127]
	ds_read_b128 v[1:4], v61 offset:1680
	v_add_f64 v[13:14], v[13:14], v[37:38]
	v_add_f64 v[15:16], v[15:16], v[17:18]
	s_waitcnt vmcnt(53) lgkmcnt(1)
	v_mul_f64 v[17:18], v[5:6], v[29:30]
	v_mul_f64 v[29:30], v[7:8], v[29:30]
	s_waitcnt vmcnt(52)
	v_fma_f64 v[37:38], v[9:10], v[45:46], -v[43:44]
	v_add_f64 v[13:14], v[13:14], v[23:24]
	v_fma_f64 v[23:24], v[11:12], v[45:46], v[105:106]
	v_add_f64 v[15:16], v[15:16], v[33:34]
	ds_read_b128 v[9:12], v61 offset:1696
	s_waitcnt vmcnt(51) lgkmcnt(1)
	v_mul_f64 v[43:44], v[3:4], v[51:52]
	v_mul_f64 v[33:34], v[1:2], v[51:52]
	s_waitcnt vmcnt(49)
	v_fma_f64 v[29:30], v[5:6], v[31:32], -v[29:30]
	v_fma_f64 v[17:18], v[7:8], v[31:32], v[17:18]
	v_add_f64 v[13:14], v[13:14], v[37:38]
	v_add_f64 v[15:16], v[15:16], v[23:24]
	s_clause 0x3
	buffer_load_dword v23, off, s[0:3], 0 offset:288
	buffer_load_dword v24, off, s[0:3], 0 offset:292
	buffer_load_dword v31, off, s[0:3], 0 offset:296
	buffer_load_dword v32, off, s[0:3], 0 offset:300
	ds_read_b128 v[5:8], v61 offset:1712
	s_waitcnt vmcnt(49) lgkmcnt(1)
	v_mul_f64 v[37:38], v[9:10], v[35:36]
	v_mul_f64 v[35:36], v[11:12], v[35:36]
	s_waitcnt vmcnt(48)
	v_fma_f64 v[43:44], v[1:2], v[53:54], -v[43:44]
	v_add_f64 v[13:14], v[13:14], v[29:30]
	v_fma_f64 v[29:30], v[3:4], v[53:54], v[33:34]
	v_add_f64 v[15:16], v[15:16], v[17:18]
	ds_read_b128 v[1:4], v61 offset:1728
	s_waitcnt vmcnt(47) lgkmcnt(1)
	v_mul_f64 v[33:34], v[7:8], v[57:58]
	v_mul_f64 v[17:18], v[5:6], v[57:58]
	s_waitcnt vmcnt(45)
	v_fma_f64 v[35:36], v[9:10], v[39:40], -v[35:36]
	v_fma_f64 v[37:38], v[11:12], v[39:40], v[37:38]
	ds_read_b128 v[9:12], v61 offset:1744
	v_add_f64 v[13:14], v[13:14], v[43:44]
	v_add_f64 v[15:16], v[15:16], v[29:30]
	s_waitcnt vmcnt(41) lgkmcnt(1)
	v_mul_f64 v[39:40], v[3:4], v[41:42]
	s_waitcnt vmcnt(40)
	v_fma_f64 v[33:34], v[5:6], v[59:60], -v[33:34]
	v_mul_f64 v[29:30], v[1:2], v[41:42]
	v_fma_f64 v[17:18], v[7:8], v[59:60], v[17:18]
	ds_read_b128 v[5:8], v61 offset:1760
	v_add_f64 v[13:14], v[13:14], v[35:36]
	v_add_f64 v[15:16], v[15:16], v[37:38]
	s_waitcnt vmcnt(39) lgkmcnt(1)
	v_mul_f64 v[37:38], v[11:12], v[113:114]
	v_mul_f64 v[35:36], v[9:10], v[113:114]
	s_waitcnt vmcnt(37)
	v_fma_f64 v[39:40], v[1:2], v[47:48], -v[39:40]
	v_fma_f64 v[29:30], v[3:4], v[47:48], v[29:30]
	ds_read_b128 v[1:4], v61 offset:1776
	v_add_f64 v[13:14], v[13:14], v[33:34]
	v_add_f64 v[15:16], v[15:16], v[17:18]
	s_waitcnt vmcnt(33) lgkmcnt(1)
	v_mul_f64 v[33:34], v[7:8], v[49:50]
	s_waitcnt vmcnt(32)
	v_fma_f64 v[37:38], v[9:10], v[117:118], -v[37:38]
	v_mul_f64 v[17:18], v[5:6], v[49:50]
	v_fma_f64 v[35:36], v[11:12], v[117:118], v[35:36]
	ds_read_b128 v[9:12], v61 offset:1792
	v_add_f64 v[13:14], v[13:14], v[39:40]
	v_add_f64 v[15:16], v[15:16], v[29:30]
	;; [unrolled: 18-line block ×3, first 2 shown]
	s_waitcnt vmcnt(23) lgkmcnt(1)
	v_mul_f64 v[33:34], v[7:8], v[115:116]
	v_mul_f64 v[17:18], v[5:6], v[115:116]
	s_waitcnt vmcnt(21)
	v_fma_f64 v[37:38], v[9:10], v[19:20], -v[37:38]
	v_fma_f64 v[19:20], v[11:12], v[19:20], v[35:36]
	ds_read_b128 v[9:12], v61 offset:1840
	v_add_f64 v[13:14], v[13:14], v[39:40]
	v_add_f64 v[15:16], v[15:16], v[29:30]
	s_waitcnt vmcnt(17) lgkmcnt(1)
	v_mul_f64 v[29:30], v[1:2], v[25:26]
	v_mul_f64 v[25:26], v[3:4], v[25:26]
	s_waitcnt vmcnt(16)
	v_fma_f64 v[33:34], v[5:6], v[119:120], -v[33:34]
	v_fma_f64 v[17:18], v[7:8], v[119:120], v[17:18]
	ds_read_b128 v[5:8], v61 offset:1856
	v_add_f64 v[13:14], v[13:14], v[37:38]
	v_add_f64 v[15:16], v[15:16], v[19:20]
	;; [unrolled: 9-line block ×3, first 2 shown]
	s_waitcnt vmcnt(9) lgkmcnt(1)
	v_mul_f64 v[29:30], v[7:8], v[62:63]
	s_waitcnt vmcnt(8)
	v_fma_f64 v[9:10], v[9:10], v[124:125], -v[35:36]
	v_mul_f64 v[17:18], v[5:6], v[62:63]
	v_fma_f64 v[11:12], v[11:12], v[124:125], v[19:20]
	v_add_f64 v[13:14], v[13:14], v[25:26]
	v_add_f64 v[15:16], v[15:16], v[21:22]
	s_waitcnt vmcnt(7) lgkmcnt(0)
	v_mul_f64 v[21:22], v[3:4], v[64:65]
	v_mul_f64 v[19:20], v[1:2], v[64:65]
	s_waitcnt vmcnt(5)
	v_fma_f64 v[5:6], v[5:6], v[27:28], -v[29:30]
	v_fma_f64 v[7:8], v[7:8], v[27:28], v[17:18]
	v_add_f64 v[9:10], v[13:14], v[9:10]
	v_add_f64 v[11:12], v[15:16], v[11:12]
	s_waitcnt vmcnt(4)
	v_fma_f64 v[1:2], v[1:2], v[111:112], -v[21:22]
	v_fma_f64 v[3:4], v[3:4], v[111:112], v[19:20]
	v_add_f64 v[5:6], v[9:10], v[5:6]
	v_add_f64 v[7:8], v[11:12], v[7:8]
	;; [unrolled: 1-line block ×4, first 2 shown]
	s_waitcnt vmcnt(2)
	v_add_f64 v[1:2], v[23:24], -v[1:2]
	s_waitcnt vmcnt(0)
	v_add_f64 v[3:4], v[31:32], -v[3:4]
	buffer_store_dword v2, off, s[0:3], 0 offset:292
	buffer_store_dword v1, off, s[0:3], 0 offset:288
	;; [unrolled: 1-line block ×4, first 2 shown]
	v_cmpx_lt_u32_e32 16, v0
	s_cbranch_execz .LBB58_335
; %bb.334:
	v_mov_b32_e32 v4, s53
	s_clause 0x3
	buffer_load_dword v1, v4, s[0:3], 0 offen
	buffer_load_dword v2, v4, s[0:3], 0 offen offset:4
	buffer_load_dword v3, v4, s[0:3], 0 offen offset:8
	;; [unrolled: 1-line block ×3, first 2 shown]
	buffer_store_dword v61, off, s[0:3], 0 offset:272
	buffer_store_dword v61, off, s[0:3], 0 offset:276
	;; [unrolled: 1-line block ×4, first 2 shown]
	s_waitcnt vmcnt(0)
	ds_write_b128 v69, v[1:4]
.LBB58_335:
	s_or_b32 exec_lo, exec_lo, s4
	s_waitcnt lgkmcnt(0)
	s_waitcnt_vscnt null, 0x0
	s_barrier
	buffer_gl0_inv
	s_clause 0x37
	buffer_load_dword v9, off, s[0:3], 0 offset:296
	buffer_load_dword v10, off, s[0:3], 0 offset:300
	;; [unrolled: 1-line block ×56, first 2 shown]
	ds_read_b128 v[62:65], v61 offset:1216
	s_clause 0x2
	buffer_load_dword v58, off, s[0:3], 0 offset:524
	buffer_load_dword v60, off, s[0:3], 0 offset:500
	;; [unrolled: 1-line block ×3, first 2 shown]
	ds_read_b128 v[105:108], v61 offset:1232
	s_clause 0x4
	buffer_load_dword v71, off, s[0:3], 0 offset:540
	buffer_load_dword v113, off, s[0:3], 0 offset:552
	buffer_load_dword v115, off, s[0:3], 0 offset:544
	buffer_load_dword v70, off, s[0:3], 0 offset:536
	buffer_load_dword v50, off, s[0:3], 0 offset:516
	ds_read_b128 v[109:112], v61 offset:1248
	s_clause 0x2
	buffer_load_dword v114, off, s[0:3], 0 offset:556
	buffer_load_dword v119, off, s[0:3], 0 offset:532
	;; [unrolled: 1-line block ×3, first 2 shown]
	s_mov_b32 s4, exec_lo
	s_waitcnt vmcnt(62) lgkmcnt(2)
	v_mul_f64 v[66:67], v[64:65], v[9:10]
	v_mul_f64 v[9:10], v[62:63], v[9:10]
	s_waitcnt lgkmcnt(1)
	v_mul_f64 v[116:117], v[107:108], v[5:6]
	s_waitcnt vmcnt(59) lgkmcnt(0)
	v_mul_f64 v[120:121], v[111:112], v[3:4]
	v_fma_f64 v[62:63], v[62:63], v[7:8], -v[66:67]
	v_mul_f64 v[66:67], v[105:106], v[5:6]
	v_fma_f64 v[9:10], v[64:65], v[7:8], v[9:10]
	s_waitcnt vmcnt(57)
	v_fma_f64 v[105:106], v[105:106], v[1:2], -v[116:117]
	ds_read_b128 v[5:8], v61 offset:1264
	v_mul_f64 v[64:65], v[109:110], v[3:4]
	s_waitcnt vmcnt(51)
	v_fma_f64 v[109:110], v[109:110], v[25:26], -v[120:121]
	v_add_f64 v[62:63], v[62:63], 0
	v_fma_f64 v[66:67], v[107:108], v[1:2], v[66:67]
	v_add_f64 v[9:10], v[9:10], 0
	s_clause 0x4
	buffer_load_dword v108, off, s[0:3], 0 offset:572
	buffer_load_dword v122, off, s[0:3], 0 offset:584
	buffer_load_dword v124, off, s[0:3], 0 offset:576
	buffer_load_dword v107, off, s[0:3], 0 offset:568
	buffer_load_dword v116, off, s[0:3], 0 offset:548
	s_waitcnt lgkmcnt(0)
	v_mul_f64 v[125:126], v[5:6], v[13:14]
	v_mul_f64 v[13:14], v[7:8], v[13:14]
	ds_read_b128 v[1:4], v61 offset:1280
	v_fma_f64 v[25:26], v[111:112], v[25:26], v[64:65]
	v_add_f64 v[105:106], v[62:63], v[105:106]
	v_add_f64 v[9:10], v[9:10], v[66:67]
	s_clause 0x2
	buffer_load_dword v123, off, s[0:3], 0 offset:588
	buffer_load_dword v67, off, s[0:3], 0 offset:564
	;; [unrolled: 1-line block ×3, first 2 shown]
	s_waitcnt vmcnt(58) lgkmcnt(0)
	v_mul_f64 v[111:112], v[1:2], v[17:18]
	v_mul_f64 v[17:18], v[3:4], v[17:18]
	s_waitcnt vmcnt(56)
	v_fma_f64 v[13:14], v[5:6], v[19:20], -v[13:14]
	ds_read_b128 v[62:65], v61 offset:1296
	v_fma_f64 v[19:20], v[7:8], v[19:20], v[125:126]
	v_add_f64 v[105:106], v[105:106], v[109:110]
	v_add_f64 v[9:10], v[9:10], v[25:26]
	s_clause 0x4
	buffer_load_dword v26, off, s[0:3], 0 offset:604
	buffer_load_dword v109, off, s[0:3], 0 offset:616
	;; [unrolled: 1-line block ×5, first 2 shown]
	ds_read_b128 v[5:8], v61 offset:1312
	s_waitcnt vmcnt(57) lgkmcnt(1)
	v_mul_f64 v[126:127], v[62:63], v[21:22]
	v_mul_f64 v[21:22], v[64:65], v[21:22]
	s_waitcnt vmcnt(56)
	v_fma_f64 v[17:18], v[1:2], v[11:12], -v[17:18]
	v_fma_f64 v[11:12], v[3:4], v[11:12], v[111:112]
	v_add_f64 v[13:14], v[105:106], v[13:14]
	v_add_f64 v[9:10], v[9:10], v[19:20]
	s_clause 0x2
	buffer_load_dword v110, off, s[0:3], 0 offset:620
	buffer_load_dword v20, off, s[0:3], 0 offset:596
	;; [unrolled: 1-line block ×3, first 2 shown]
	s_waitcnt vmcnt(58) lgkmcnt(0)
	v_mul_f64 v[105:106], v[5:6], v[27:28]
	v_mul_f64 v[27:28], v[7:8], v[27:28]
	s_waitcnt vmcnt(56)
	v_fma_f64 v[21:22], v[62:63], v[29:30], -v[21:22]
	ds_read_b128 v[1:4], v61 offset:1328
	v_add_f64 v[13:14], v[13:14], v[17:18]
	v_fma_f64 v[17:18], v[64:65], v[29:30], v[126:127]
	v_add_f64 v[29:30], v[9:10], v[11:12]
	s_clause 0x4
	buffer_load_dword v63, off, s[0:3], 0 offset:636
	buffer_load_dword v64, off, s[0:3], 0 offset:648
	;; [unrolled: 1-line block ×5, first 2 shown]
	ds_read_b128 v[9:12], v61 offset:1344
	s_waitcnt vmcnt(57) lgkmcnt(1)
	v_mul_f64 v[126:127], v[1:2], v[31:32]
	v_mul_f64 v[31:32], v[3:4], v[31:32]
	s_waitcnt vmcnt(56)
	v_fma_f64 v[27:28], v[5:6], v[15:16], -v[27:28]
	v_fma_f64 v[15:16], v[7:8], v[15:16], v[105:106]
	v_add_f64 v[13:14], v[13:14], v[21:22]
	s_clause 0x2
	buffer_load_dword v65, off, s[0:3], 0 offset:652
	buffer_load_dword v22, off, s[0:3], 0 offset:628
	;; [unrolled: 1-line block ×3, first 2 shown]
	v_add_f64 v[17:18], v[29:30], v[17:18]
	s_waitcnt vmcnt(58) lgkmcnt(0)
	v_mul_f64 v[29:30], v[9:10], v[35:36]
	v_mul_f64 v[35:36], v[11:12], v[35:36]
	ds_read_b128 v[5:8], v61 offset:1360
	s_waitcnt vmcnt(56)
	v_fma_f64 v[31:32], v[1:2], v[37:38], -v[31:32]
	v_add_f64 v[13:14], v[13:14], v[27:28]
	v_fma_f64 v[27:28], v[3:4], v[37:38], v[126:127]
	v_add_f64 v[15:16], v[17:18], v[15:16]
	s_clause 0x4
	buffer_load_dword v18, off, s[0:3], 0 offset:668
	buffer_load_dword v37, off, s[0:3], 0 offset:680
	buffer_load_dword v105, off, s[0:3], 0 offset:672
	buffer_load_dword v17, off, s[0:3], 0 offset:664
	buffer_load_dword v112, off, s[0:3], 0 offset:644
	s_waitcnt vmcnt(57) lgkmcnt(0)
	v_mul_f64 v[126:127], v[5:6], v[39:40]
	v_mul_f64 v[39:40], v[7:8], v[39:40]
	s_waitcnt vmcnt(56)
	v_fma_f64 v[35:36], v[9:10], v[23:24], -v[35:36]
	ds_read_b128 v[1:4], v61 offset:1376
	v_fma_f64 v[23:24], v[11:12], v[23:24], v[29:30]
	v_add_f64 v[13:14], v[13:14], v[31:32]
	v_add_f64 v[15:16], v[15:16], v[27:28]
	s_clause 0x2
	buffer_load_dword v38, off, s[0:3], 0 offset:684
	buffer_load_dword v28, off, s[0:3], 0 offset:660
	;; [unrolled: 1-line block ×3, first 2 shown]
	ds_read_b128 v[9:12], v61 offset:1392
	s_waitcnt vmcnt(58) lgkmcnt(1)
	v_mul_f64 v[31:32], v[3:4], v[43:44]
	s_waitcnt vmcnt(56)
	v_fma_f64 v[39:40], v[5:6], v[45:46], -v[39:40]
	v_mul_f64 v[29:30], v[1:2], v[43:44]
	v_add_f64 v[13:14], v[13:14], v[35:36]
	v_fma_f64 v[35:36], v[7:8], v[45:46], v[126:127]
	v_add_f64 v[15:16], v[15:16], v[23:24]
	s_clause 0x4
	buffer_load_dword v24, off, s[0:3], 0 offset:700
	buffer_load_dword v43, off, s[0:3], 0 offset:712
	;; [unrolled: 1-line block ×5, first 2 shown]
	s_waitcnt vmcnt(57) lgkmcnt(0)
	v_mul_f64 v[126:127], v[9:10], v[47:48]
	v_mul_f64 v[46:47], v[11:12], v[47:48]
	s_waitcnt vmcnt(56)
	v_fma_f64 v[31:32], v[1:2], v[33:34], -v[31:32]
	ds_read_b128 v[5:8], v61 offset:1408
	v_fma_f64 v[29:30], v[3:4], v[33:34], v[29:30]
	s_clause 0x2
	buffer_load_dword v44, off, s[0:3], 0 offset:716
	buffer_load_dword v34, off, s[0:3], 0 offset:692
	;; [unrolled: 1-line block ×3, first 2 shown]
	ds_read_b128 v[1:4], v61 offset:1424
	v_add_f64 v[13:14], v[13:14], v[39:40]
	v_add_f64 v[15:16], v[15:16], v[35:36]
	s_waitcnt vmcnt(58) lgkmcnt(1)
	v_mul_f64 v[39:40], v[7:8], v[51:52]
	s_waitcnt vmcnt(56)
	v_fma_f64 v[47:48], v[9:10], v[53:54], -v[46:47]
	v_mul_f64 v[35:36], v[5:6], v[51:52]
	v_add_f64 v[13:14], v[13:14], v[31:32]
	v_fma_f64 v[31:32], v[11:12], v[53:54], v[126:127]
	v_add_f64 v[15:16], v[15:16], v[29:30]
	s_clause 0x4
	buffer_load_dword v30, off, s[0:3], 0 offset:732
	buffer_load_dword v51, off, s[0:3], 0 offset:744
	;; [unrolled: 1-line block ×5, first 2 shown]
	s_waitcnt vmcnt(57) lgkmcnt(0)
	v_mul_f64 v[126:127], v[1:2], v[55:56]
	v_mul_f64 v[54:55], v[3:4], v[55:56]
	s_waitcnt vmcnt(56)
	v_fma_f64 v[39:40], v[5:6], v[41:42], -v[39:40]
	ds_read_b128 v[9:12], v61 offset:1440
	v_fma_f64 v[35:36], v[7:8], v[41:42], v[35:36]
	v_add_f64 v[13:14], v[13:14], v[47:48]
	v_add_f64 v[15:16], v[15:16], v[31:32]
	s_clause 0x2
	buffer_load_dword v52, off, s[0:3], 0 offset:748
	buffer_load_dword v32, off, s[0:3], 0 offset:724
	;; [unrolled: 1-line block ×3, first 2 shown]
	ds_read_b128 v[5:8], v61 offset:1456
	s_waitcnt vmcnt(58) lgkmcnt(1)
	v_mul_f64 v[47:48], v[11:12], v[57:58]
	s_waitcnt vmcnt(56)
	v_fma_f64 v[55:56], v[1:2], v[59:60], -v[54:55]
	v_mul_f64 v[41:42], v[9:10], v[57:58]
	v_add_f64 v[13:14], v[13:14], v[39:40]
	v_fma_f64 v[39:40], v[3:4], v[59:60], v[126:127]
	v_add_f64 v[15:16], v[15:16], v[35:36]
	s_clause 0x4
	buffer_load_dword v36, off, s[0:3], 0 offset:764
	buffer_load_dword v57, off, s[0:3], 0 offset:776
	;; [unrolled: 1-line block ×5, first 2 shown]
	s_waitcnt vmcnt(57) lgkmcnt(0)
	v_mul_f64 v[126:127], v[5:6], v[70:71]
	v_mul_f64 v[70:71], v[7:8], v[70:71]
	s_waitcnt vmcnt(56)
	v_fma_f64 v[47:48], v[9:10], v[49:50], -v[47:48]
	ds_read_b128 v[1:4], v61 offset:1472
	v_fma_f64 v[41:42], v[11:12], v[49:50], v[41:42]
	v_add_f64 v[13:14], v[13:14], v[55:56]
	v_add_f64 v[15:16], v[15:16], v[39:40]
	s_clause 0x2
	buffer_load_dword v58, off, s[0:3], 0 offset:780
	buffer_load_dword v40, off, s[0:3], 0 offset:756
	;; [unrolled: 1-line block ×3, first 2 shown]
	ds_read_b128 v[9:12], v61 offset:1488
	s_waitcnt vmcnt(58) lgkmcnt(1)
	v_mul_f64 v[55:56], v[3:4], v[113:114]
	s_waitcnt vmcnt(56)
	v_fma_f64 v[70:71], v[5:6], v[118:119], -v[70:71]
	v_mul_f64 v[49:50], v[1:2], v[113:114]
	v_add_f64 v[13:14], v[13:14], v[47:48]
	v_fma_f64 v[47:48], v[7:8], v[118:119], v[126:127]
	v_add_f64 v[15:16], v[15:16], v[41:42]
	s_clause 0x4
	buffer_load_dword v42, off, s[0:3], 0 offset:796
	buffer_load_dword v113, off, s[0:3], 0 offset:808
	;; [unrolled: 1-line block ×5, first 2 shown]
	ds_read_b128 v[5:8], v61 offset:1504
	s_waitcnt vmcnt(57) lgkmcnt(1)
	v_mul_f64 v[118:119], v[9:10], v[107:108]
	v_mul_f64 v[107:108], v[11:12], v[107:108]
	s_waitcnt vmcnt(56)
	v_fma_f64 v[55:56], v[1:2], v[115:116], -v[55:56]
	v_fma_f64 v[49:50], v[3:4], v[115:116], v[49:50]
	v_add_f64 v[13:14], v[13:14], v[70:71]
	v_add_f64 v[15:16], v[15:16], v[47:48]
	s_clause 0x2
	buffer_load_dword v114, off, s[0:3], 0 offset:812
	buffer_load_dword v48, off, s[0:3], 0 offset:788
	;; [unrolled: 1-line block ×3, first 2 shown]
	ds_read_b128 v[1:4], v61 offset:1520
	s_waitcnt vmcnt(58) lgkmcnt(1)
	v_mul_f64 v[115:116], v[7:8], v[122:123]
	v_mul_f64 v[70:71], v[5:6], v[122:123]
	s_waitcnt vmcnt(56)
	v_fma_f64 v[107:108], v[9:10], v[66:67], -v[107:108]
	v_add_f64 v[13:14], v[13:14], v[55:56]
	v_fma_f64 v[55:56], v[11:12], v[66:67], v[118:119]
	v_add_f64 v[15:16], v[15:16], v[49:50]
	s_clause 0x4
	buffer_load_dword v50, off, s[0:3], 0 offset:828
	buffer_load_dword v66, off, s[0:3], 0 offset:840
	;; [unrolled: 1-line block ×5, first 2 shown]
	ds_read_b128 v[9:12], v61 offset:1536
	s_waitcnt vmcnt(57) lgkmcnt(1)
	v_mul_f64 v[126:127], v[1:2], v[25:26]
	v_mul_f64 v[25:26], v[3:4], v[25:26]
	s_waitcnt vmcnt(56)
	v_fma_f64 v[115:116], v[5:6], v[124:125], -v[115:116]
	v_fma_f64 v[70:71], v[7:8], v[124:125], v[70:71]
	v_add_f64 v[13:14], v[13:14], v[107:108]
	v_add_f64 v[15:16], v[15:16], v[55:56]
	s_clause 0x2
	buffer_load_dword v67, off, s[0:3], 0 offset:844
	buffer_load_dword v56, off, s[0:3], 0 offset:820
	buffer_load_dword v55, off, s[0:3], 0 offset:816
	ds_read_b128 v[5:8], v61 offset:1552
	s_waitcnt vmcnt(58) lgkmcnt(1)
	v_mul_f64 v[107:108], v[9:10], v[109:110]
	v_mul_f64 v[109:110], v[11:12], v[109:110]
	s_waitcnt vmcnt(56)
	v_fma_f64 v[25:26], v[1:2], v[19:20], -v[25:26]
	v_fma_f64 v[19:20], v[3:4], v[19:20], v[126:127]
	v_add_f64 v[13:14], v[13:14], v[115:116]
	v_add_f64 v[15:16], v[15:16], v[70:71]
	s_clause 0x4
	buffer_load_dword v71, off, s[0:3], 0 offset:860
	buffer_load_dword v115, off, s[0:3], 0 offset:872
	buffer_load_dword v119, off, s[0:3], 0 offset:864
	buffer_load_dword v70, off, s[0:3], 0 offset:856
	buffer_load_dword v123, off, s[0:3], 0 offset:836
	ds_read_b128 v[1:4], v61 offset:1568
	s_waitcnt vmcnt(57) lgkmcnt(1)
	v_mul_f64 v[124:125], v[5:6], v[62:63]
	v_mul_f64 v[62:63], v[7:8], v[62:63]
	s_waitcnt vmcnt(56)
	v_fma_f64 v[109:110], v[9:10], v[120:121], -v[109:110]
	v_add_f64 v[13:14], v[13:14], v[25:26]
	v_fma_f64 v[25:26], v[11:12], v[120:121], v[107:108]
	v_add_f64 v[15:16], v[15:16], v[19:20]
	s_clause 0x2
	buffer_load_dword v116, off, s[0:3], 0 offset:876
	buffer_load_dword v20, off, s[0:3], 0 offset:852
	buffer_load_dword v19, off, s[0:3], 0 offset:848
	ds_read_b128 v[9:12], v61 offset:1584
	s_waitcnt vmcnt(58) lgkmcnt(1)
	v_mul_f64 v[107:108], v[1:2], v[64:65]
	v_mul_f64 v[64:65], v[3:4], v[64:65]
	s_waitcnt vmcnt(56)
	v_fma_f64 v[62:63], v[5:6], v[21:22], -v[62:63]
	v_fma_f64 v[21:22], v[7:8], v[21:22], v[124:125]
	v_add_f64 v[13:14], v[13:14], v[109:110]
	v_add_f64 v[15:16], v[15:16], v[25:26]
	s_clause 0x4
	buffer_load_dword v26, off, s[0:3], 0 offset:892
	buffer_load_dword v109, off, s[0:3], 0 offset:904
	buffer_load_dword v124, off, s[0:3], 0 offset:896
	buffer_load_dword v25, off, s[0:3], 0 offset:888
	buffer_load_dword v120, off, s[0:3], 0 offset:868
	ds_read_b128 v[5:8], v61 offset:1600
	s_waitcnt vmcnt(57) lgkmcnt(1)
	v_mul_f64 v[125:126], v[9:10], v[17:18]
	v_mul_f64 v[17:18], v[11:12], v[17:18]
	s_waitcnt vmcnt(56)
	v_fma_f64 v[64:65], v[1:2], v[111:112], -v[64:65]
	v_add_f64 v[13:14], v[13:14], v[62:63]
	v_fma_f64 v[62:63], v[3:4], v[111:112], v[107:108]
	;; [unrolled: 28-line block ×3, first 2 shown]
	v_add_f64 v[15:16], v[15:16], v[27:28]
	s_clause 0x2
	buffer_load_dword v65, off, s[0:3], 0 offset:940
	buffer_load_dword v28, off, s[0:3], 0 offset:916
	;; [unrolled: 1-line block ×3, first 2 shown]
	s_waitcnt vmcnt(58) lgkmcnt(0)
	v_mul_f64 v[105:106], v[9:10], v[43:44]
	v_mul_f64 v[43:44], v[11:12], v[43:44]
	ds_read_b128 v[5:8], v61 offset:1648
	s_waitcnt vmcnt(56)
	v_fma_f64 v[23:24], v[1:2], v[33:34], -v[23:24]
	v_fma_f64 v[33:34], v[3:4], v[33:34], v[126:127]
	v_add_f64 v[13:14], v[13:14], v[37:38]
	v_add_f64 v[15:16], v[15:16], v[17:18]
	s_clause 0x2
	buffer_load_dword v18, off, s[0:3], 0 offset:956
	buffer_load_dword v17, off, s[0:3], 0 offset:952
	;; [unrolled: 1-line block ×3, first 2 shown]
	ds_read_b128 v[1:4], v61 offset:1664
	s_waitcnt vmcnt(55) lgkmcnt(1)
	v_mul_f64 v[37:38], v[5:6], v[29:30]
	v_mul_f64 v[29:30], v[7:8], v[29:30]
	s_waitcnt vmcnt(54)
	v_fma_f64 v[43:44], v[9:10], v[45:46], -v[43:44]
	v_add_f64 v[13:14], v[13:14], v[23:24]
	v_fma_f64 v[23:24], v[11:12], v[45:46], v[105:106]
	v_add_f64 v[15:16], v[15:16], v[33:34]
	s_clause 0x1
	buffer_load_dword v34, off, s[0:3], 0 offset:948
	buffer_load_dword v33, off, s[0:3], 0 offset:944
	ds_read_b128 v[9:12], v61 offset:1680
	s_waitcnt vmcnt(55) lgkmcnt(1)
	v_mul_f64 v[45:46], v[1:2], v[51:52]
	v_mul_f64 v[51:52], v[3:4], v[51:52]
	s_waitcnt vmcnt(53)
	v_fma_f64 v[29:30], v[5:6], v[31:32], -v[29:30]
	v_fma_f64 v[31:32], v[7:8], v[31:32], v[37:38]
	ds_read_b128 v[5:8], v61 offset:1696
	v_add_f64 v[13:14], v[13:14], v[43:44]
	v_add_f64 v[15:16], v[15:16], v[23:24]
	s_waitcnt vmcnt(49) lgkmcnt(1)
	v_mul_f64 v[23:24], v[9:10], v[35:36]
	v_mul_f64 v[35:36], v[11:12], v[35:36]
	s_waitcnt vmcnt(48)
	v_fma_f64 v[37:38], v[1:2], v[53:54], -v[51:52]
	v_add_f64 v[13:14], v[13:14], v[29:30]
	v_fma_f64 v[29:30], v[3:4], v[53:54], v[45:46]
	v_add_f64 v[15:16], v[15:16], v[31:32]
	s_clause 0x3
	buffer_load_dword v31, off, s[0:3], 0 offset:272
	buffer_load_dword v32, off, s[0:3], 0 offset:276
	buffer_load_dword v43, off, s[0:3], 0 offset:280
	buffer_load_dword v44, off, s[0:3], 0 offset:284
	ds_read_b128 v[1:4], v61 offset:1712
	s_waitcnt vmcnt(51) lgkmcnt(1)
	v_mul_f64 v[51:52], v[7:8], v[57:58]
	v_mul_f64 v[45:46], v[5:6], v[57:58]
	s_waitcnt vmcnt(49)
	v_fma_f64 v[35:36], v[9:10], v[39:40], -v[35:36]
	v_fma_f64 v[23:24], v[11:12], v[39:40], v[23:24]
	ds_read_b128 v[9:12], v61 offset:1728
	v_add_f64 v[13:14], v[13:14], v[37:38]
	v_add_f64 v[15:16], v[15:16], v[29:30]
	s_waitcnt vmcnt(45) lgkmcnt(1)
	v_mul_f64 v[37:38], v[3:4], v[41:42]
	s_waitcnt vmcnt(44)
	v_fma_f64 v[39:40], v[5:6], v[59:60], -v[51:52]
	v_mul_f64 v[29:30], v[1:2], v[41:42]
	v_add_f64 v[13:14], v[13:14], v[35:36]
	v_fma_f64 v[35:36], v[7:8], v[59:60], v[45:46]
	v_add_f64 v[15:16], v[15:16], v[23:24]
	ds_read_b128 v[5:8], v61 offset:1744
	s_waitcnt vmcnt(43) lgkmcnt(1)
	v_mul_f64 v[41:42], v[11:12], v[113:114]
	v_mul_f64 v[23:24], v[9:10], v[113:114]
	s_waitcnt vmcnt(41)
	v_fma_f64 v[37:38], v[1:2], v[47:48], -v[37:38]
	v_fma_f64 v[29:30], v[3:4], v[47:48], v[29:30]
	ds_read_b128 v[1:4], v61 offset:1760
	v_add_f64 v[13:14], v[13:14], v[39:40]
	v_add_f64 v[15:16], v[15:16], v[35:36]
	s_waitcnt vmcnt(37) lgkmcnt(1)
	v_mul_f64 v[39:40], v[7:8], v[49:50]
	s_waitcnt vmcnt(36)
	v_fma_f64 v[41:42], v[9:10], v[117:118], -v[41:42]
	v_mul_f64 v[35:36], v[5:6], v[49:50]
	v_fma_f64 v[23:24], v[11:12], v[117:118], v[23:24]
	ds_read_b128 v[9:12], v61 offset:1776
	v_add_f64 v[13:14], v[13:14], v[37:38]
	v_add_f64 v[15:16], v[15:16], v[29:30]
	s_waitcnt vmcnt(35) lgkmcnt(1)
	v_mul_f64 v[37:38], v[3:4], v[66:67]
	v_mul_f64 v[29:30], v[1:2], v[66:67]
	s_waitcnt vmcnt(33)
	v_fma_f64 v[39:40], v[5:6], v[55:56], -v[39:40]
	v_fma_f64 v[35:36], v[7:8], v[55:56], v[35:36]
	ds_read_b128 v[5:8], v61 offset:1792
	v_add_f64 v[13:14], v[13:14], v[41:42]
	v_add_f64 v[15:16], v[15:16], v[23:24]
	s_waitcnt vmcnt(29) lgkmcnt(1)
	v_mul_f64 v[41:42], v[11:12], v[70:71]
	s_waitcnt vmcnt(28)
	v_fma_f64 v[37:38], v[1:2], v[122:123], -v[37:38]
	v_mul_f64 v[23:24], v[9:10], v[70:71]
	v_fma_f64 v[29:30], v[3:4], v[122:123], v[29:30]
	ds_read_b128 v[1:4], v61 offset:1808
	v_add_f64 v[13:14], v[13:14], v[39:40]
	v_add_f64 v[15:16], v[15:16], v[35:36]
	s_waitcnt vmcnt(27) lgkmcnt(1)
	v_mul_f64 v[39:40], v[7:8], v[115:116]
	v_mul_f64 v[35:36], v[5:6], v[115:116]
	s_waitcnt vmcnt(25)
	v_fma_f64 v[41:42], v[9:10], v[19:20], -v[41:42]
	v_fma_f64 v[19:20], v[11:12], v[19:20], v[23:24]
	ds_read_b128 v[9:12], v61 offset:1824
	v_add_f64 v[13:14], v[13:14], v[37:38]
	v_add_f64 v[15:16], v[15:16], v[29:30]
	s_waitcnt vmcnt(21) lgkmcnt(1)
	v_mul_f64 v[23:24], v[1:2], v[25:26]
	v_mul_f64 v[25:26], v[3:4], v[25:26]
	s_waitcnt vmcnt(20)
	v_fma_f64 v[29:30], v[5:6], v[119:120], -v[39:40]
	;; [unrolled: 9-line block ×3, first 2 shown]
	v_fma_f64 v[21:22], v[3:4], v[21:22], v[23:24]
	ds_read_b128 v[1:4], v61 offset:1856
	v_add_f64 v[13:14], v[13:14], v[29:30]
	v_add_f64 v[15:16], v[15:16], v[35:36]
	s_waitcnt vmcnt(13) lgkmcnt(1)
	v_mul_f64 v[29:30], v[7:8], v[62:63]
	s_waitcnt vmcnt(12)
	v_fma_f64 v[35:36], v[9:10], v[124:125], -v[37:38]
	v_mul_f64 v[23:24], v[5:6], v[62:63]
	v_fma_f64 v[19:20], v[11:12], v[124:125], v[19:20]
	ds_read_b128 v[9:12], v61 offset:1872
	v_add_f64 v[13:14], v[13:14], v[25:26]
	v_add_f64 v[15:16], v[15:16], v[21:22]
	s_waitcnt vmcnt(11) lgkmcnt(1)
	v_mul_f64 v[25:26], v[3:4], v[64:65]
	v_mul_f64 v[21:22], v[1:2], v[64:65]
	s_waitcnt vmcnt(9)
	v_fma_f64 v[5:6], v[5:6], v[27:28], -v[29:30]
	v_fma_f64 v[7:8], v[7:8], v[27:28], v[23:24]
	v_add_f64 v[13:14], v[13:14], v[35:36]
	v_add_f64 v[15:16], v[15:16], v[19:20]
	s_waitcnt vmcnt(7) lgkmcnt(0)
	v_mul_f64 v[19:20], v[9:10], v[17:18]
	v_mul_f64 v[17:18], v[11:12], v[17:18]
	s_waitcnt vmcnt(6)
	v_fma_f64 v[1:2], v[1:2], v[111:112], -v[25:26]
	v_fma_f64 v[3:4], v[3:4], v[111:112], v[21:22]
	v_add_f64 v[5:6], v[13:14], v[5:6]
	v_add_f64 v[7:8], v[15:16], v[7:8]
	s_waitcnt vmcnt(4)
	v_fma_f64 v[9:10], v[9:10], v[33:34], -v[17:18]
	v_add_f64 v[1:2], v[5:6], v[1:2]
	v_fma_f64 v[5:6], v[11:12], v[33:34], v[19:20]
	v_add_f64 v[3:4], v[7:8], v[3:4]
	v_add_f64 v[1:2], v[1:2], v[9:10]
	;; [unrolled: 1-line block ×3, first 2 shown]
	s_waitcnt vmcnt(2)
	v_add_f64 v[1:2], v[31:32], -v[1:2]
	s_waitcnt vmcnt(0)
	v_add_f64 v[3:4], v[43:44], -v[3:4]
	buffer_store_dword v2, off, s[0:3], 0 offset:276
	buffer_store_dword v1, off, s[0:3], 0 offset:272
	;; [unrolled: 1-line block ×4, first 2 shown]
	v_cmpx_lt_u32_e32 15, v0
	s_cbranch_execz .LBB58_337
; %bb.336:
	v_mov_b32_e32 v4, s55
	v_mov_b32_e32 v5, 0
	s_clause 0x3
	buffer_load_dword v1, v4, s[0:3], 0 offen
	buffer_load_dword v2, v4, s[0:3], 0 offen offset:4
	buffer_load_dword v3, v4, s[0:3], 0 offen offset:8
	;; [unrolled: 1-line block ×3, first 2 shown]
	buffer_store_dword v5, off, s[0:3], 0 offset:256
	buffer_store_dword v5, off, s[0:3], 0 offset:260
	;; [unrolled: 1-line block ×4, first 2 shown]
	s_waitcnt vmcnt(0)
	ds_write_b128 v69, v[1:4]
.LBB58_337:
	s_or_b32 exec_lo, exec_lo, s4
	s_waitcnt lgkmcnt(0)
	s_waitcnt_vscnt null, 0x0
	s_barrier
	buffer_gl0_inv
	s_clause 0x37
	buffer_load_dword v9, off, s[0:3], 0 offset:280
	buffer_load_dword v10, off, s[0:3], 0 offset:284
	;; [unrolled: 1-line block ×56, first 2 shown]
	v_mov_b32_e32 v61, 0
	s_mov_b32 s4, exec_lo
	ds_read_b128 v[62:65], v61 offset:1200
	s_clause 0x2
	buffer_load_dword v58, off, s[0:3], 0 offset:508
	buffer_load_dword v60, off, s[0:3], 0 offset:484
	;; [unrolled: 1-line block ×3, first 2 shown]
	ds_read_b128 v[105:108], v61 offset:1216
	s_clause 0x4
	buffer_load_dword v71, off, s[0:3], 0 offset:524
	buffer_load_dword v113, off, s[0:3], 0 offset:536
	;; [unrolled: 1-line block ×5, first 2 shown]
	ds_read_b128 v[109:112], v61 offset:1232
	s_clause 0x2
	buffer_load_dword v114, off, s[0:3], 0 offset:540
	buffer_load_dword v119, off, s[0:3], 0 offset:516
	;; [unrolled: 1-line block ×3, first 2 shown]
	s_waitcnt vmcnt(62) lgkmcnt(2)
	v_mul_f64 v[66:67], v[64:65], v[9:10]
	v_mul_f64 v[9:10], v[62:63], v[9:10]
	s_waitcnt lgkmcnt(1)
	v_mul_f64 v[116:117], v[107:108], v[5:6]
	s_waitcnt vmcnt(59) lgkmcnt(0)
	v_mul_f64 v[120:121], v[111:112], v[3:4]
	v_fma_f64 v[62:63], v[62:63], v[7:8], -v[66:67]
	v_mul_f64 v[66:67], v[105:106], v[5:6]
	v_fma_f64 v[9:10], v[64:65], v[7:8], v[9:10]
	s_waitcnt vmcnt(57)
	v_fma_f64 v[105:106], v[105:106], v[1:2], -v[116:117]
	ds_read_b128 v[5:8], v61 offset:1248
	v_mul_f64 v[64:65], v[109:110], v[3:4]
	s_waitcnt vmcnt(51)
	v_fma_f64 v[109:110], v[109:110], v[25:26], -v[120:121]
	v_add_f64 v[62:63], v[62:63], 0
	v_fma_f64 v[66:67], v[107:108], v[1:2], v[66:67]
	v_add_f64 v[9:10], v[9:10], 0
	s_clause 0x4
	buffer_load_dword v108, off, s[0:3], 0 offset:556
	buffer_load_dword v122, off, s[0:3], 0 offset:568
	;; [unrolled: 1-line block ×5, first 2 shown]
	s_waitcnt lgkmcnt(0)
	v_mul_f64 v[125:126], v[5:6], v[13:14]
	v_mul_f64 v[13:14], v[7:8], v[13:14]
	ds_read_b128 v[1:4], v61 offset:1264
	v_fma_f64 v[25:26], v[111:112], v[25:26], v[64:65]
	v_add_f64 v[105:106], v[62:63], v[105:106]
	v_add_f64 v[9:10], v[9:10], v[66:67]
	s_clause 0x2
	buffer_load_dword v123, off, s[0:3], 0 offset:572
	buffer_load_dword v67, off, s[0:3], 0 offset:548
	;; [unrolled: 1-line block ×3, first 2 shown]
	s_waitcnt vmcnt(58) lgkmcnt(0)
	v_mul_f64 v[111:112], v[1:2], v[17:18]
	v_mul_f64 v[17:18], v[3:4], v[17:18]
	s_waitcnt vmcnt(56)
	v_fma_f64 v[13:14], v[5:6], v[19:20], -v[13:14]
	ds_read_b128 v[62:65], v61 offset:1280
	v_fma_f64 v[19:20], v[7:8], v[19:20], v[125:126]
	v_add_f64 v[105:106], v[105:106], v[109:110]
	v_add_f64 v[9:10], v[9:10], v[25:26]
	s_clause 0x4
	buffer_load_dword v26, off, s[0:3], 0 offset:588
	buffer_load_dword v109, off, s[0:3], 0 offset:600
	;; [unrolled: 1-line block ×5, first 2 shown]
	ds_read_b128 v[5:8], v61 offset:1296
	s_waitcnt vmcnt(57) lgkmcnt(1)
	v_mul_f64 v[126:127], v[62:63], v[21:22]
	v_mul_f64 v[21:22], v[64:65], v[21:22]
	s_waitcnt vmcnt(56)
	v_fma_f64 v[17:18], v[1:2], v[11:12], -v[17:18]
	v_fma_f64 v[11:12], v[3:4], v[11:12], v[111:112]
	v_add_f64 v[13:14], v[105:106], v[13:14]
	v_add_f64 v[9:10], v[9:10], v[19:20]
	s_clause 0x2
	buffer_load_dword v110, off, s[0:3], 0 offset:604
	buffer_load_dword v20, off, s[0:3], 0 offset:580
	;; [unrolled: 1-line block ×3, first 2 shown]
	s_waitcnt vmcnt(58) lgkmcnt(0)
	v_mul_f64 v[105:106], v[5:6], v[27:28]
	v_mul_f64 v[27:28], v[7:8], v[27:28]
	s_waitcnt vmcnt(56)
	v_fma_f64 v[21:22], v[62:63], v[29:30], -v[21:22]
	ds_read_b128 v[1:4], v61 offset:1312
	v_add_f64 v[13:14], v[13:14], v[17:18]
	v_fma_f64 v[17:18], v[64:65], v[29:30], v[126:127]
	v_add_f64 v[29:30], v[9:10], v[11:12]
	s_clause 0x4
	buffer_load_dword v63, off, s[0:3], 0 offset:620
	buffer_load_dword v64, off, s[0:3], 0 offset:632
	;; [unrolled: 1-line block ×5, first 2 shown]
	ds_read_b128 v[9:12], v61 offset:1328
	s_waitcnt vmcnt(57) lgkmcnt(1)
	v_mul_f64 v[126:127], v[1:2], v[31:32]
	v_mul_f64 v[31:32], v[3:4], v[31:32]
	s_waitcnt vmcnt(56)
	v_fma_f64 v[27:28], v[5:6], v[15:16], -v[27:28]
	v_fma_f64 v[15:16], v[7:8], v[15:16], v[105:106]
	v_add_f64 v[13:14], v[13:14], v[21:22]
	s_clause 0x2
	buffer_load_dword v65, off, s[0:3], 0 offset:636
	buffer_load_dword v22, off, s[0:3], 0 offset:612
	;; [unrolled: 1-line block ×3, first 2 shown]
	v_add_f64 v[17:18], v[29:30], v[17:18]
	s_waitcnt vmcnt(58) lgkmcnt(0)
	v_mul_f64 v[29:30], v[9:10], v[35:36]
	v_mul_f64 v[35:36], v[11:12], v[35:36]
	ds_read_b128 v[5:8], v61 offset:1344
	s_waitcnt vmcnt(56)
	v_fma_f64 v[31:32], v[1:2], v[37:38], -v[31:32]
	v_add_f64 v[13:14], v[13:14], v[27:28]
	v_fma_f64 v[27:28], v[3:4], v[37:38], v[126:127]
	v_add_f64 v[15:16], v[17:18], v[15:16]
	s_clause 0x4
	buffer_load_dword v18, off, s[0:3], 0 offset:652
	buffer_load_dword v37, off, s[0:3], 0 offset:664
	;; [unrolled: 1-line block ×5, first 2 shown]
	s_waitcnt vmcnt(57) lgkmcnt(0)
	v_mul_f64 v[126:127], v[5:6], v[39:40]
	v_mul_f64 v[39:40], v[7:8], v[39:40]
	s_waitcnt vmcnt(56)
	v_fma_f64 v[35:36], v[9:10], v[23:24], -v[35:36]
	ds_read_b128 v[1:4], v61 offset:1360
	v_fma_f64 v[23:24], v[11:12], v[23:24], v[29:30]
	v_add_f64 v[13:14], v[13:14], v[31:32]
	v_add_f64 v[15:16], v[15:16], v[27:28]
	s_clause 0x2
	buffer_load_dword v38, off, s[0:3], 0 offset:668
	buffer_load_dword v28, off, s[0:3], 0 offset:644
	;; [unrolled: 1-line block ×3, first 2 shown]
	ds_read_b128 v[9:12], v61 offset:1376
	s_waitcnt vmcnt(58) lgkmcnt(1)
	v_mul_f64 v[31:32], v[3:4], v[43:44]
	s_waitcnt vmcnt(56)
	v_fma_f64 v[39:40], v[5:6], v[45:46], -v[39:40]
	v_mul_f64 v[29:30], v[1:2], v[43:44]
	v_add_f64 v[13:14], v[13:14], v[35:36]
	v_fma_f64 v[35:36], v[7:8], v[45:46], v[126:127]
	v_add_f64 v[15:16], v[15:16], v[23:24]
	s_clause 0x4
	buffer_load_dword v24, off, s[0:3], 0 offset:684
	buffer_load_dword v43, off, s[0:3], 0 offset:696
	;; [unrolled: 1-line block ×5, first 2 shown]
	s_waitcnt vmcnt(57) lgkmcnt(0)
	v_mul_f64 v[126:127], v[9:10], v[47:48]
	v_mul_f64 v[46:47], v[11:12], v[47:48]
	s_waitcnt vmcnt(56)
	v_fma_f64 v[31:32], v[1:2], v[33:34], -v[31:32]
	ds_read_b128 v[5:8], v61 offset:1392
	v_fma_f64 v[29:30], v[3:4], v[33:34], v[29:30]
	s_clause 0x2
	buffer_load_dword v44, off, s[0:3], 0 offset:700
	buffer_load_dword v34, off, s[0:3], 0 offset:676
	;; [unrolled: 1-line block ×3, first 2 shown]
	ds_read_b128 v[1:4], v61 offset:1408
	v_add_f64 v[13:14], v[13:14], v[39:40]
	v_add_f64 v[15:16], v[15:16], v[35:36]
	s_waitcnt vmcnt(58) lgkmcnt(1)
	v_mul_f64 v[39:40], v[7:8], v[51:52]
	s_waitcnt vmcnt(56)
	v_fma_f64 v[47:48], v[9:10], v[53:54], -v[46:47]
	v_mul_f64 v[35:36], v[5:6], v[51:52]
	v_add_f64 v[13:14], v[13:14], v[31:32]
	v_fma_f64 v[31:32], v[11:12], v[53:54], v[126:127]
	v_add_f64 v[15:16], v[15:16], v[29:30]
	s_clause 0x4
	buffer_load_dword v30, off, s[0:3], 0 offset:716
	buffer_load_dword v51, off, s[0:3], 0 offset:728
	;; [unrolled: 1-line block ×5, first 2 shown]
	s_waitcnt vmcnt(57) lgkmcnt(0)
	v_mul_f64 v[126:127], v[1:2], v[55:56]
	v_mul_f64 v[54:55], v[3:4], v[55:56]
	s_waitcnt vmcnt(56)
	v_fma_f64 v[39:40], v[5:6], v[41:42], -v[39:40]
	ds_read_b128 v[9:12], v61 offset:1424
	v_fma_f64 v[35:36], v[7:8], v[41:42], v[35:36]
	v_add_f64 v[13:14], v[13:14], v[47:48]
	v_add_f64 v[15:16], v[15:16], v[31:32]
	s_clause 0x2
	buffer_load_dword v52, off, s[0:3], 0 offset:732
	buffer_load_dword v32, off, s[0:3], 0 offset:708
	;; [unrolled: 1-line block ×3, first 2 shown]
	ds_read_b128 v[5:8], v61 offset:1440
	s_waitcnt vmcnt(58) lgkmcnt(1)
	v_mul_f64 v[47:48], v[11:12], v[57:58]
	s_waitcnt vmcnt(56)
	v_fma_f64 v[55:56], v[1:2], v[59:60], -v[54:55]
	v_mul_f64 v[41:42], v[9:10], v[57:58]
	v_add_f64 v[13:14], v[13:14], v[39:40]
	v_fma_f64 v[39:40], v[3:4], v[59:60], v[126:127]
	v_add_f64 v[15:16], v[15:16], v[35:36]
	s_clause 0x4
	buffer_load_dword v36, off, s[0:3], 0 offset:748
	buffer_load_dword v57, off, s[0:3], 0 offset:760
	buffer_load_dword v59, off, s[0:3], 0 offset:752
	buffer_load_dword v35, off, s[0:3], 0 offset:744
	buffer_load_dword v54, off, s[0:3], 0 offset:724
	s_waitcnt vmcnt(57) lgkmcnt(0)
	v_mul_f64 v[126:127], v[5:6], v[70:71]
	v_mul_f64 v[70:71], v[7:8], v[70:71]
	s_waitcnt vmcnt(56)
	v_fma_f64 v[47:48], v[9:10], v[49:50], -v[47:48]
	ds_read_b128 v[1:4], v61 offset:1456
	v_fma_f64 v[41:42], v[11:12], v[49:50], v[41:42]
	v_add_f64 v[13:14], v[13:14], v[55:56]
	v_add_f64 v[15:16], v[15:16], v[39:40]
	s_clause 0x2
	buffer_load_dword v58, off, s[0:3], 0 offset:764
	buffer_load_dword v40, off, s[0:3], 0 offset:740
	;; [unrolled: 1-line block ×3, first 2 shown]
	ds_read_b128 v[9:12], v61 offset:1472
	s_waitcnt vmcnt(58) lgkmcnt(1)
	v_mul_f64 v[55:56], v[3:4], v[113:114]
	s_waitcnt vmcnt(56)
	v_fma_f64 v[70:71], v[5:6], v[118:119], -v[70:71]
	v_mul_f64 v[49:50], v[1:2], v[113:114]
	v_add_f64 v[13:14], v[13:14], v[47:48]
	v_fma_f64 v[47:48], v[7:8], v[118:119], v[126:127]
	v_add_f64 v[15:16], v[15:16], v[41:42]
	s_clause 0x4
	buffer_load_dword v42, off, s[0:3], 0 offset:780
	buffer_load_dword v113, off, s[0:3], 0 offset:792
	;; [unrolled: 1-line block ×5, first 2 shown]
	ds_read_b128 v[5:8], v61 offset:1488
	s_waitcnt vmcnt(57) lgkmcnt(1)
	v_mul_f64 v[118:119], v[9:10], v[107:108]
	v_mul_f64 v[107:108], v[11:12], v[107:108]
	s_waitcnt vmcnt(56)
	v_fma_f64 v[55:56], v[1:2], v[115:116], -v[55:56]
	v_fma_f64 v[49:50], v[3:4], v[115:116], v[49:50]
	v_add_f64 v[13:14], v[13:14], v[70:71]
	v_add_f64 v[15:16], v[15:16], v[47:48]
	s_clause 0x2
	buffer_load_dword v114, off, s[0:3], 0 offset:796
	buffer_load_dword v48, off, s[0:3], 0 offset:772
	;; [unrolled: 1-line block ×3, first 2 shown]
	ds_read_b128 v[1:4], v61 offset:1504
	s_waitcnt vmcnt(58) lgkmcnt(1)
	v_mul_f64 v[115:116], v[7:8], v[122:123]
	v_mul_f64 v[70:71], v[5:6], v[122:123]
	s_waitcnt vmcnt(56)
	v_fma_f64 v[107:108], v[9:10], v[66:67], -v[107:108]
	v_add_f64 v[13:14], v[13:14], v[55:56]
	v_fma_f64 v[55:56], v[11:12], v[66:67], v[118:119]
	v_add_f64 v[15:16], v[15:16], v[49:50]
	s_clause 0x4
	buffer_load_dword v50, off, s[0:3], 0 offset:812
	buffer_load_dword v66, off, s[0:3], 0 offset:824
	;; [unrolled: 1-line block ×5, first 2 shown]
	ds_read_b128 v[9:12], v61 offset:1520
	s_waitcnt vmcnt(57) lgkmcnt(1)
	v_mul_f64 v[126:127], v[1:2], v[25:26]
	v_mul_f64 v[25:26], v[3:4], v[25:26]
	s_waitcnt vmcnt(56)
	v_fma_f64 v[115:116], v[5:6], v[124:125], -v[115:116]
	v_fma_f64 v[70:71], v[7:8], v[124:125], v[70:71]
	v_add_f64 v[13:14], v[13:14], v[107:108]
	v_add_f64 v[15:16], v[15:16], v[55:56]
	s_clause 0x2
	buffer_load_dword v67, off, s[0:3], 0 offset:828
	buffer_load_dword v56, off, s[0:3], 0 offset:804
	buffer_load_dword v55, off, s[0:3], 0 offset:800
	ds_read_b128 v[5:8], v61 offset:1536
	s_waitcnt vmcnt(58) lgkmcnt(1)
	v_mul_f64 v[107:108], v[9:10], v[109:110]
	v_mul_f64 v[109:110], v[11:12], v[109:110]
	s_waitcnt vmcnt(56)
	v_fma_f64 v[25:26], v[1:2], v[19:20], -v[25:26]
	v_fma_f64 v[19:20], v[3:4], v[19:20], v[126:127]
	v_add_f64 v[13:14], v[13:14], v[115:116]
	v_add_f64 v[15:16], v[15:16], v[70:71]
	s_clause 0x4
	buffer_load_dword v71, off, s[0:3], 0 offset:844
	buffer_load_dword v115, off, s[0:3], 0 offset:856
	buffer_load_dword v119, off, s[0:3], 0 offset:848
	buffer_load_dword v70, off, s[0:3], 0 offset:840
	buffer_load_dword v123, off, s[0:3], 0 offset:820
	ds_read_b128 v[1:4], v61 offset:1552
	s_waitcnt vmcnt(57) lgkmcnt(1)
	v_mul_f64 v[124:125], v[5:6], v[62:63]
	v_mul_f64 v[62:63], v[7:8], v[62:63]
	s_waitcnt vmcnt(56)
	v_fma_f64 v[109:110], v[9:10], v[120:121], -v[109:110]
	v_add_f64 v[13:14], v[13:14], v[25:26]
	v_fma_f64 v[25:26], v[11:12], v[120:121], v[107:108]
	v_add_f64 v[15:16], v[15:16], v[19:20]
	s_clause 0x2
	buffer_load_dword v116, off, s[0:3], 0 offset:860
	buffer_load_dword v20, off, s[0:3], 0 offset:836
	buffer_load_dword v19, off, s[0:3], 0 offset:832
	ds_read_b128 v[9:12], v61 offset:1568
	s_waitcnt vmcnt(58) lgkmcnt(1)
	v_mul_f64 v[107:108], v[1:2], v[64:65]
	v_mul_f64 v[64:65], v[3:4], v[64:65]
	s_waitcnt vmcnt(56)
	v_fma_f64 v[62:63], v[5:6], v[21:22], -v[62:63]
	v_fma_f64 v[21:22], v[7:8], v[21:22], v[124:125]
	v_add_f64 v[13:14], v[13:14], v[109:110]
	v_add_f64 v[15:16], v[15:16], v[25:26]
	s_clause 0x4
	buffer_load_dword v26, off, s[0:3], 0 offset:876
	buffer_load_dword v109, off, s[0:3], 0 offset:888
	buffer_load_dword v124, off, s[0:3], 0 offset:880
	buffer_load_dword v25, off, s[0:3], 0 offset:872
	buffer_load_dword v120, off, s[0:3], 0 offset:852
	ds_read_b128 v[5:8], v61 offset:1584
	s_waitcnt vmcnt(57) lgkmcnt(1)
	v_mul_f64 v[125:126], v[9:10], v[17:18]
	v_mul_f64 v[17:18], v[11:12], v[17:18]
	s_waitcnt vmcnt(56)
	v_fma_f64 v[64:65], v[1:2], v[111:112], -v[64:65]
	v_add_f64 v[13:14], v[13:14], v[62:63]
	v_fma_f64 v[62:63], v[3:4], v[111:112], v[107:108]
	;; [unrolled: 28-line block ×3, first 2 shown]
	v_add_f64 v[15:16], v[15:16], v[27:28]
	s_clause 0x2
	buffer_load_dword v65, off, s[0:3], 0 offset:924
	buffer_load_dword v28, off, s[0:3], 0 offset:900
	;; [unrolled: 1-line block ×3, first 2 shown]
	s_waitcnt vmcnt(58) lgkmcnt(0)
	v_mul_f64 v[105:106], v[9:10], v[43:44]
	v_mul_f64 v[43:44], v[11:12], v[43:44]
	ds_read_b128 v[5:8], v61 offset:1632
	s_waitcnt vmcnt(56)
	v_fma_f64 v[23:24], v[1:2], v[33:34], -v[23:24]
	v_fma_f64 v[33:34], v[3:4], v[33:34], v[126:127]
	v_add_f64 v[13:14], v[13:14], v[37:38]
	v_add_f64 v[15:16], v[15:16], v[17:18]
	s_clause 0x4
	buffer_load_dword v18, off, s[0:3], 0 offset:940
	buffer_load_dword v37, off, s[0:3], 0 offset:952
	;; [unrolled: 1-line block ×5, first 2 shown]
	ds_read_b128 v[1:4], v61 offset:1648
	s_waitcnt vmcnt(57) lgkmcnt(1)
	v_mul_f64 v[126:127], v[5:6], v[29:30]
	v_mul_f64 v[29:30], v[7:8], v[29:30]
	s_waitcnt vmcnt(56)
	v_fma_f64 v[43:44], v[9:10], v[45:46], -v[43:44]
	v_add_f64 v[13:14], v[13:14], v[23:24]
	v_fma_f64 v[23:24], v[11:12], v[45:46], v[105:106]
	v_add_f64 v[15:16], v[15:16], v[33:34]
	s_clause 0x2
	buffer_load_dword v38, off, s[0:3], 0 offset:956
	buffer_load_dword v34, off, s[0:3], 0 offset:932
	;; [unrolled: 1-line block ×3, first 2 shown]
	ds_read_b128 v[9:12], v61 offset:1664
	buffer_load_dword v108, off, s[0:3], 0 offset:948
	s_waitcnt vmcnt(59) lgkmcnt(1)
	v_mul_f64 v[45:46], v[1:2], v[51:52]
	v_mul_f64 v[51:52], v[3:4], v[51:52]
	s_waitcnt vmcnt(57)
	v_fma_f64 v[29:30], v[5:6], v[31:32], -v[29:30]
	v_fma_f64 v[31:32], v[7:8], v[31:32], v[126:127]
	ds_read_b128 v[5:8], v61 offset:1680
	v_add_f64 v[13:14], v[13:14], v[43:44]
	v_add_f64 v[15:16], v[15:16], v[23:24]
	s_waitcnt vmcnt(53) lgkmcnt(1)
	v_mul_f64 v[23:24], v[9:10], v[35:36]
	v_mul_f64 v[35:36], v[11:12], v[35:36]
	s_waitcnt vmcnt(52)
	v_fma_f64 v[43:44], v[1:2], v[53:54], -v[51:52]
	v_add_f64 v[13:14], v[13:14], v[29:30]
	v_fma_f64 v[29:30], v[3:4], v[53:54], v[45:46]
	v_add_f64 v[15:16], v[15:16], v[31:32]
	ds_read_b128 v[1:4], v61 offset:1696
	s_waitcnt vmcnt(51) lgkmcnt(1)
	v_mul_f64 v[45:46], v[7:8], v[57:58]
	v_mul_f64 v[31:32], v[5:6], v[57:58]
	s_waitcnt vmcnt(49)
	v_fma_f64 v[35:36], v[9:10], v[39:40], -v[35:36]
	v_fma_f64 v[23:24], v[11:12], v[39:40], v[23:24]
	v_add_f64 v[13:14], v[13:14], v[43:44]
	v_add_f64 v[15:16], v[15:16], v[29:30]
	s_clause 0x3
	buffer_load_dword v29, off, s[0:3], 0 offset:256
	buffer_load_dword v30, off, s[0:3], 0 offset:260
	;; [unrolled: 1-line block ×4, first 2 shown]
	ds_read_b128 v[9:12], v61 offset:1712
	s_waitcnt vmcnt(49) lgkmcnt(1)
	v_mul_f64 v[43:44], v[1:2], v[41:42]
	v_mul_f64 v[41:42], v[3:4], v[41:42]
	s_waitcnt vmcnt(48)
	v_fma_f64 v[45:46], v[5:6], v[59:60], -v[45:46]
	v_fma_f64 v[31:32], v[7:8], v[59:60], v[31:32]
	ds_read_b128 v[5:8], v61 offset:1728
	v_add_f64 v[13:14], v[13:14], v[35:36]
	v_add_f64 v[15:16], v[15:16], v[23:24]
	s_waitcnt vmcnt(47) lgkmcnt(1)
	v_mul_f64 v[35:36], v[11:12], v[113:114]
	v_mul_f64 v[23:24], v[9:10], v[113:114]
	s_waitcnt vmcnt(45)
	v_fma_f64 v[41:42], v[1:2], v[47:48], -v[41:42]
	v_fma_f64 v[43:44], v[3:4], v[47:48], v[43:44]
	ds_read_b128 v[1:4], v61 offset:1744
	v_add_f64 v[13:14], v[13:14], v[45:46]
	v_add_f64 v[15:16], v[15:16], v[31:32]
	s_waitcnt vmcnt(41) lgkmcnt(1)
	v_mul_f64 v[45:46], v[7:8], v[49:50]
	s_waitcnt vmcnt(40)
	v_fma_f64 v[35:36], v[9:10], v[117:118], -v[35:36]
	v_mul_f64 v[31:32], v[5:6], v[49:50]
	v_fma_f64 v[23:24], v[11:12], v[117:118], v[23:24]
	ds_read_b128 v[9:12], v61 offset:1760
	v_add_f64 v[13:14], v[13:14], v[41:42]
	v_add_f64 v[15:16], v[15:16], v[43:44]
	s_waitcnt vmcnt(39) lgkmcnt(1)
	v_mul_f64 v[43:44], v[3:4], v[66:67]
	v_mul_f64 v[41:42], v[1:2], v[66:67]
	s_waitcnt vmcnt(37)
	v_fma_f64 v[45:46], v[5:6], v[55:56], -v[45:46]
	v_fma_f64 v[31:32], v[7:8], v[55:56], v[31:32]
	ds_read_b128 v[5:8], v61 offset:1776
	v_add_f64 v[13:14], v[13:14], v[35:36]
	v_add_f64 v[15:16], v[15:16], v[23:24]
	s_waitcnt vmcnt(33) lgkmcnt(1)
	v_mul_f64 v[35:36], v[11:12], v[70:71]
	s_waitcnt vmcnt(32)
	v_fma_f64 v[43:44], v[1:2], v[122:123], -v[43:44]
	v_mul_f64 v[23:24], v[9:10], v[70:71]
	v_fma_f64 v[41:42], v[3:4], v[122:123], v[41:42]
	ds_read_b128 v[1:4], v61 offset:1792
	v_add_f64 v[13:14], v[13:14], v[45:46]
	v_add_f64 v[15:16], v[15:16], v[31:32]
	s_waitcnt vmcnt(31) lgkmcnt(1)
	v_mul_f64 v[45:46], v[7:8], v[115:116]
	v_mul_f64 v[31:32], v[5:6], v[115:116]
	s_waitcnt vmcnt(29)
	v_fma_f64 v[35:36], v[9:10], v[19:20], -v[35:36]
	v_fma_f64 v[19:20], v[11:12], v[19:20], v[23:24]
	ds_read_b128 v[9:12], v61 offset:1808
	v_add_f64 v[13:14], v[13:14], v[43:44]
	v_add_f64 v[15:16], v[15:16], v[41:42]
	s_waitcnt vmcnt(25) lgkmcnt(1)
	v_mul_f64 v[23:24], v[1:2], v[25:26]
	v_mul_f64 v[25:26], v[3:4], v[25:26]
	s_waitcnt vmcnt(24)
	v_fma_f64 v[41:42], v[5:6], v[119:120], -v[45:46]
	;; [unrolled: 9-line block ×3, first 2 shown]
	v_fma_f64 v[21:22], v[3:4], v[21:22], v[23:24]
	ds_read_b128 v[1:4], v61 offset:1840
	v_add_f64 v[13:14], v[13:14], v[41:42]
	v_add_f64 v[15:16], v[15:16], v[31:32]
	s_waitcnt vmcnt(17) lgkmcnt(1)
	v_mul_f64 v[31:32], v[7:8], v[62:63]
	s_waitcnt vmcnt(16)
	v_fma_f64 v[35:36], v[9:10], v[124:125], -v[35:36]
	v_mul_f64 v[23:24], v[5:6], v[62:63]
	v_fma_f64 v[19:20], v[11:12], v[124:125], v[19:20]
	ds_read_b128 v[9:12], v61 offset:1856
	v_add_f64 v[13:14], v[13:14], v[25:26]
	v_add_f64 v[15:16], v[15:16], v[21:22]
	s_waitcnt vmcnt(15) lgkmcnt(1)
	v_mul_f64 v[25:26], v[3:4], v[64:65]
	v_mul_f64 v[21:22], v[1:2], v[64:65]
	s_waitcnt vmcnt(13)
	v_fma_f64 v[31:32], v[5:6], v[27:28], -v[31:32]
	v_fma_f64 v[23:24], v[7:8], v[27:28], v[23:24]
	ds_read_b128 v[5:8], v61 offset:1872
	v_add_f64 v[13:14], v[13:14], v[35:36]
	v_add_f64 v[15:16], v[15:16], v[19:20]
	s_waitcnt vmcnt(9) lgkmcnt(1)
	v_mul_f64 v[19:20], v[9:10], v[17:18]
	v_mul_f64 v[17:18], v[11:12], v[17:18]
	s_waitcnt vmcnt(8)
	v_fma_f64 v[1:2], v[1:2], v[111:112], -v[25:26]
	v_fma_f64 v[3:4], v[3:4], v[111:112], v[21:22]
	v_add_f64 v[13:14], v[13:14], v[31:32]
	v_add_f64 v[15:16], v[15:16], v[23:24]
	s_waitcnt vmcnt(7) lgkmcnt(0)
	v_mul_f64 v[23:24], v[7:8], v[37:38]
	v_mul_f64 v[21:22], v[5:6], v[37:38]
	s_waitcnt vmcnt(5)
	v_fma_f64 v[9:10], v[9:10], v[33:34], -v[17:18]
	v_fma_f64 v[11:12], v[11:12], v[33:34], v[19:20]
	v_add_f64 v[1:2], v[13:14], v[1:2]
	v_add_f64 v[3:4], v[15:16], v[3:4]
	s_waitcnt vmcnt(4)
	v_fma_f64 v[5:6], v[5:6], v[107:108], -v[23:24]
	v_fma_f64 v[7:8], v[7:8], v[107:108], v[21:22]
	v_add_f64 v[1:2], v[1:2], v[9:10]
	v_add_f64 v[3:4], v[3:4], v[11:12]
	;; [unrolled: 1-line block ×4, first 2 shown]
	s_waitcnt vmcnt(2)
	v_add_f64 v[1:2], v[29:30], -v[1:2]
	s_waitcnt vmcnt(0)
	v_add_f64 v[3:4], v[39:40], -v[3:4]
	buffer_store_dword v2, off, s[0:3], 0 offset:260
	buffer_store_dword v1, off, s[0:3], 0 offset:256
	;; [unrolled: 1-line block ×4, first 2 shown]
	v_cmpx_lt_u32_e32 14, v0
	s_cbranch_execz .LBB58_339
; %bb.338:
	v_mov_b32_e32 v4, s56
	s_clause 0x3
	buffer_load_dword v1, v4, s[0:3], 0 offen
	buffer_load_dword v2, v4, s[0:3], 0 offen offset:4
	buffer_load_dword v3, v4, s[0:3], 0 offen offset:8
	;; [unrolled: 1-line block ×3, first 2 shown]
	buffer_store_dword v61, off, s[0:3], 0 offset:240
	buffer_store_dword v61, off, s[0:3], 0 offset:244
	;; [unrolled: 1-line block ×4, first 2 shown]
	s_waitcnt vmcnt(0)
	ds_write_b128 v69, v[1:4]
.LBB58_339:
	s_or_b32 exec_lo, exec_lo, s4
	s_waitcnt lgkmcnt(0)
	s_waitcnt_vscnt null, 0x0
	s_barrier
	buffer_gl0_inv
	s_clause 0x37
	buffer_load_dword v9, off, s[0:3], 0 offset:264
	buffer_load_dword v10, off, s[0:3], 0 offset:268
	;; [unrolled: 1-line block ×56, first 2 shown]
	ds_read_b128 v[62:65], v61 offset:1184
	s_clause 0x2
	buffer_load_dword v58, off, s[0:3], 0 offset:492
	buffer_load_dword v60, off, s[0:3], 0 offset:468
	;; [unrolled: 1-line block ×3, first 2 shown]
	ds_read_b128 v[105:108], v61 offset:1200
	s_clause 0x4
	buffer_load_dword v71, off, s[0:3], 0 offset:508
	buffer_load_dword v113, off, s[0:3], 0 offset:520
	;; [unrolled: 1-line block ×5, first 2 shown]
	ds_read_b128 v[109:112], v61 offset:1216
	s_clause 0x2
	buffer_load_dword v114, off, s[0:3], 0 offset:524
	buffer_load_dword v119, off, s[0:3], 0 offset:500
	;; [unrolled: 1-line block ×3, first 2 shown]
	s_mov_b32 s4, exec_lo
	s_waitcnt vmcnt(62) lgkmcnt(2)
	v_mul_f64 v[66:67], v[64:65], v[9:10]
	v_mul_f64 v[9:10], v[62:63], v[9:10]
	s_waitcnt lgkmcnt(1)
	v_mul_f64 v[116:117], v[107:108], v[5:6]
	s_waitcnt vmcnt(59) lgkmcnt(0)
	v_mul_f64 v[120:121], v[111:112], v[3:4]
	v_fma_f64 v[62:63], v[62:63], v[7:8], -v[66:67]
	v_mul_f64 v[66:67], v[105:106], v[5:6]
	v_fma_f64 v[9:10], v[64:65], v[7:8], v[9:10]
	s_waitcnt vmcnt(57)
	v_fma_f64 v[105:106], v[105:106], v[1:2], -v[116:117]
	ds_read_b128 v[5:8], v61 offset:1232
	v_mul_f64 v[64:65], v[109:110], v[3:4]
	s_waitcnt vmcnt(51)
	v_fma_f64 v[109:110], v[109:110], v[25:26], -v[120:121]
	v_add_f64 v[62:63], v[62:63], 0
	v_fma_f64 v[66:67], v[107:108], v[1:2], v[66:67]
	v_add_f64 v[9:10], v[9:10], 0
	s_clause 0x4
	buffer_load_dword v108, off, s[0:3], 0 offset:540
	buffer_load_dword v122, off, s[0:3], 0 offset:552
	;; [unrolled: 1-line block ×5, first 2 shown]
	s_waitcnt lgkmcnt(0)
	v_mul_f64 v[125:126], v[5:6], v[13:14]
	v_mul_f64 v[13:14], v[7:8], v[13:14]
	ds_read_b128 v[1:4], v61 offset:1248
	v_fma_f64 v[25:26], v[111:112], v[25:26], v[64:65]
	v_add_f64 v[105:106], v[62:63], v[105:106]
	v_add_f64 v[9:10], v[9:10], v[66:67]
	s_clause 0x2
	buffer_load_dword v123, off, s[0:3], 0 offset:556
	buffer_load_dword v67, off, s[0:3], 0 offset:532
	;; [unrolled: 1-line block ×3, first 2 shown]
	s_waitcnt vmcnt(58) lgkmcnt(0)
	v_mul_f64 v[111:112], v[1:2], v[17:18]
	v_mul_f64 v[17:18], v[3:4], v[17:18]
	s_waitcnt vmcnt(56)
	v_fma_f64 v[13:14], v[5:6], v[19:20], -v[13:14]
	ds_read_b128 v[62:65], v61 offset:1264
	v_fma_f64 v[19:20], v[7:8], v[19:20], v[125:126]
	v_add_f64 v[105:106], v[105:106], v[109:110]
	v_add_f64 v[9:10], v[9:10], v[25:26]
	s_clause 0x4
	buffer_load_dword v26, off, s[0:3], 0 offset:572
	buffer_load_dword v109, off, s[0:3], 0 offset:584
	buffer_load_dword v120, off, s[0:3], 0 offset:576
	buffer_load_dword v25, off, s[0:3], 0 offset:568
	buffer_load_dword v125, off, s[0:3], 0 offset:548
	ds_read_b128 v[5:8], v61 offset:1280
	s_waitcnt vmcnt(57) lgkmcnt(1)
	v_mul_f64 v[126:127], v[62:63], v[21:22]
	v_mul_f64 v[21:22], v[64:65], v[21:22]
	s_waitcnt vmcnt(56)
	v_fma_f64 v[17:18], v[1:2], v[11:12], -v[17:18]
	v_fma_f64 v[11:12], v[3:4], v[11:12], v[111:112]
	v_add_f64 v[13:14], v[105:106], v[13:14]
	v_add_f64 v[9:10], v[9:10], v[19:20]
	s_clause 0x2
	buffer_load_dword v110, off, s[0:3], 0 offset:588
	buffer_load_dword v20, off, s[0:3], 0 offset:564
	;; [unrolled: 1-line block ×3, first 2 shown]
	s_waitcnt vmcnt(58) lgkmcnt(0)
	v_mul_f64 v[105:106], v[5:6], v[27:28]
	v_mul_f64 v[27:28], v[7:8], v[27:28]
	s_waitcnt vmcnt(56)
	v_fma_f64 v[21:22], v[62:63], v[29:30], -v[21:22]
	ds_read_b128 v[1:4], v61 offset:1296
	v_add_f64 v[13:14], v[13:14], v[17:18]
	v_fma_f64 v[17:18], v[64:65], v[29:30], v[126:127]
	v_add_f64 v[29:30], v[9:10], v[11:12]
	s_clause 0x4
	buffer_load_dword v63, off, s[0:3], 0 offset:604
	buffer_load_dword v64, off, s[0:3], 0 offset:616
	;; [unrolled: 1-line block ×5, first 2 shown]
	ds_read_b128 v[9:12], v61 offset:1312
	s_waitcnt vmcnt(57) lgkmcnt(1)
	v_mul_f64 v[126:127], v[1:2], v[31:32]
	v_mul_f64 v[31:32], v[3:4], v[31:32]
	s_waitcnt vmcnt(56)
	v_fma_f64 v[27:28], v[5:6], v[15:16], -v[27:28]
	v_fma_f64 v[15:16], v[7:8], v[15:16], v[105:106]
	v_add_f64 v[13:14], v[13:14], v[21:22]
	s_clause 0x2
	buffer_load_dword v65, off, s[0:3], 0 offset:620
	buffer_load_dword v22, off, s[0:3], 0 offset:596
	;; [unrolled: 1-line block ×3, first 2 shown]
	v_add_f64 v[17:18], v[29:30], v[17:18]
	s_waitcnt vmcnt(58) lgkmcnt(0)
	v_mul_f64 v[29:30], v[9:10], v[35:36]
	v_mul_f64 v[35:36], v[11:12], v[35:36]
	ds_read_b128 v[5:8], v61 offset:1328
	s_waitcnt vmcnt(56)
	v_fma_f64 v[31:32], v[1:2], v[37:38], -v[31:32]
	v_add_f64 v[13:14], v[13:14], v[27:28]
	v_fma_f64 v[27:28], v[3:4], v[37:38], v[126:127]
	v_add_f64 v[15:16], v[17:18], v[15:16]
	s_clause 0x4
	buffer_load_dword v18, off, s[0:3], 0 offset:636
	buffer_load_dword v37, off, s[0:3], 0 offset:648
	;; [unrolled: 1-line block ×5, first 2 shown]
	s_waitcnt vmcnt(57) lgkmcnt(0)
	v_mul_f64 v[126:127], v[5:6], v[39:40]
	v_mul_f64 v[39:40], v[7:8], v[39:40]
	s_waitcnt vmcnt(56)
	v_fma_f64 v[35:36], v[9:10], v[23:24], -v[35:36]
	ds_read_b128 v[1:4], v61 offset:1344
	v_fma_f64 v[23:24], v[11:12], v[23:24], v[29:30]
	v_add_f64 v[13:14], v[13:14], v[31:32]
	v_add_f64 v[15:16], v[15:16], v[27:28]
	s_clause 0x2
	buffer_load_dword v38, off, s[0:3], 0 offset:652
	buffer_load_dword v28, off, s[0:3], 0 offset:628
	;; [unrolled: 1-line block ×3, first 2 shown]
	ds_read_b128 v[9:12], v61 offset:1360
	s_waitcnt vmcnt(58) lgkmcnt(1)
	v_mul_f64 v[31:32], v[3:4], v[43:44]
	s_waitcnt vmcnt(56)
	v_fma_f64 v[39:40], v[5:6], v[45:46], -v[39:40]
	v_mul_f64 v[29:30], v[1:2], v[43:44]
	v_add_f64 v[13:14], v[13:14], v[35:36]
	v_fma_f64 v[35:36], v[7:8], v[45:46], v[126:127]
	v_add_f64 v[15:16], v[15:16], v[23:24]
	s_clause 0x4
	buffer_load_dword v24, off, s[0:3], 0 offset:668
	buffer_load_dword v43, off, s[0:3], 0 offset:680
	;; [unrolled: 1-line block ×5, first 2 shown]
	s_waitcnt vmcnt(57) lgkmcnt(0)
	v_mul_f64 v[126:127], v[9:10], v[47:48]
	v_mul_f64 v[46:47], v[11:12], v[47:48]
	s_waitcnt vmcnt(56)
	v_fma_f64 v[31:32], v[1:2], v[33:34], -v[31:32]
	ds_read_b128 v[5:8], v61 offset:1376
	v_fma_f64 v[29:30], v[3:4], v[33:34], v[29:30]
	s_clause 0x2
	buffer_load_dword v44, off, s[0:3], 0 offset:684
	buffer_load_dword v34, off, s[0:3], 0 offset:660
	buffer_load_dword v33, off, s[0:3], 0 offset:656
	ds_read_b128 v[1:4], v61 offset:1392
	v_add_f64 v[13:14], v[13:14], v[39:40]
	v_add_f64 v[15:16], v[15:16], v[35:36]
	s_waitcnt vmcnt(58) lgkmcnt(1)
	v_mul_f64 v[39:40], v[7:8], v[51:52]
	s_waitcnt vmcnt(56)
	v_fma_f64 v[47:48], v[9:10], v[53:54], -v[46:47]
	v_mul_f64 v[35:36], v[5:6], v[51:52]
	v_add_f64 v[13:14], v[13:14], v[31:32]
	v_fma_f64 v[31:32], v[11:12], v[53:54], v[126:127]
	v_add_f64 v[15:16], v[15:16], v[29:30]
	s_clause 0x4
	buffer_load_dword v30, off, s[0:3], 0 offset:700
	buffer_load_dword v51, off, s[0:3], 0 offset:712
	;; [unrolled: 1-line block ×5, first 2 shown]
	s_waitcnt vmcnt(57) lgkmcnt(0)
	v_mul_f64 v[126:127], v[1:2], v[55:56]
	v_mul_f64 v[54:55], v[3:4], v[55:56]
	s_waitcnt vmcnt(56)
	v_fma_f64 v[39:40], v[5:6], v[41:42], -v[39:40]
	ds_read_b128 v[9:12], v61 offset:1408
	v_fma_f64 v[35:36], v[7:8], v[41:42], v[35:36]
	v_add_f64 v[13:14], v[13:14], v[47:48]
	v_add_f64 v[15:16], v[15:16], v[31:32]
	s_clause 0x2
	buffer_load_dword v52, off, s[0:3], 0 offset:716
	buffer_load_dword v32, off, s[0:3], 0 offset:692
	;; [unrolled: 1-line block ×3, first 2 shown]
	ds_read_b128 v[5:8], v61 offset:1424
	s_waitcnt vmcnt(58) lgkmcnt(1)
	v_mul_f64 v[47:48], v[11:12], v[57:58]
	s_waitcnt vmcnt(56)
	v_fma_f64 v[55:56], v[1:2], v[59:60], -v[54:55]
	v_mul_f64 v[41:42], v[9:10], v[57:58]
	v_add_f64 v[13:14], v[13:14], v[39:40]
	v_fma_f64 v[39:40], v[3:4], v[59:60], v[126:127]
	v_add_f64 v[15:16], v[15:16], v[35:36]
	s_clause 0x4
	buffer_load_dword v36, off, s[0:3], 0 offset:732
	buffer_load_dword v57, off, s[0:3], 0 offset:744
	;; [unrolled: 1-line block ×5, first 2 shown]
	s_waitcnt vmcnt(57) lgkmcnt(0)
	v_mul_f64 v[126:127], v[5:6], v[70:71]
	v_mul_f64 v[70:71], v[7:8], v[70:71]
	s_waitcnt vmcnt(56)
	v_fma_f64 v[47:48], v[9:10], v[49:50], -v[47:48]
	ds_read_b128 v[1:4], v61 offset:1440
	v_fma_f64 v[41:42], v[11:12], v[49:50], v[41:42]
	v_add_f64 v[13:14], v[13:14], v[55:56]
	v_add_f64 v[15:16], v[15:16], v[39:40]
	s_clause 0x2
	buffer_load_dword v58, off, s[0:3], 0 offset:748
	buffer_load_dword v40, off, s[0:3], 0 offset:724
	;; [unrolled: 1-line block ×3, first 2 shown]
	ds_read_b128 v[9:12], v61 offset:1456
	s_waitcnt vmcnt(58) lgkmcnt(1)
	v_mul_f64 v[55:56], v[3:4], v[113:114]
	s_waitcnt vmcnt(56)
	v_fma_f64 v[70:71], v[5:6], v[118:119], -v[70:71]
	v_mul_f64 v[49:50], v[1:2], v[113:114]
	v_add_f64 v[13:14], v[13:14], v[47:48]
	v_fma_f64 v[47:48], v[7:8], v[118:119], v[126:127]
	v_add_f64 v[15:16], v[15:16], v[41:42]
	s_clause 0x4
	buffer_load_dword v42, off, s[0:3], 0 offset:764
	buffer_load_dword v113, off, s[0:3], 0 offset:776
	;; [unrolled: 1-line block ×5, first 2 shown]
	ds_read_b128 v[5:8], v61 offset:1472
	s_waitcnt vmcnt(57) lgkmcnt(1)
	v_mul_f64 v[118:119], v[9:10], v[107:108]
	v_mul_f64 v[107:108], v[11:12], v[107:108]
	s_waitcnt vmcnt(56)
	v_fma_f64 v[55:56], v[1:2], v[115:116], -v[55:56]
	v_fma_f64 v[49:50], v[3:4], v[115:116], v[49:50]
	v_add_f64 v[13:14], v[13:14], v[70:71]
	v_add_f64 v[15:16], v[15:16], v[47:48]
	s_clause 0x2
	buffer_load_dword v114, off, s[0:3], 0 offset:780
	buffer_load_dword v48, off, s[0:3], 0 offset:756
	buffer_load_dword v47, off, s[0:3], 0 offset:752
	ds_read_b128 v[1:4], v61 offset:1488
	s_waitcnt vmcnt(58) lgkmcnt(1)
	v_mul_f64 v[115:116], v[7:8], v[122:123]
	v_mul_f64 v[70:71], v[5:6], v[122:123]
	s_waitcnt vmcnt(56)
	v_fma_f64 v[107:108], v[9:10], v[66:67], -v[107:108]
	v_add_f64 v[13:14], v[13:14], v[55:56]
	v_fma_f64 v[55:56], v[11:12], v[66:67], v[118:119]
	v_add_f64 v[15:16], v[15:16], v[49:50]
	s_clause 0x4
	buffer_load_dword v50, off, s[0:3], 0 offset:796
	buffer_load_dword v66, off, s[0:3], 0 offset:808
	buffer_load_dword v122, off, s[0:3], 0 offset:800
	buffer_load_dword v49, off, s[0:3], 0 offset:792
	buffer_load_dword v118, off, s[0:3], 0 offset:772
	ds_read_b128 v[9:12], v61 offset:1504
	s_waitcnt vmcnt(57) lgkmcnt(1)
	v_mul_f64 v[126:127], v[1:2], v[25:26]
	v_mul_f64 v[25:26], v[3:4], v[25:26]
	s_waitcnt vmcnt(56)
	v_fma_f64 v[115:116], v[5:6], v[124:125], -v[115:116]
	v_fma_f64 v[70:71], v[7:8], v[124:125], v[70:71]
	v_add_f64 v[13:14], v[13:14], v[107:108]
	v_add_f64 v[15:16], v[15:16], v[55:56]
	s_clause 0x2
	buffer_load_dword v67, off, s[0:3], 0 offset:812
	buffer_load_dword v56, off, s[0:3], 0 offset:788
	buffer_load_dword v55, off, s[0:3], 0 offset:784
	ds_read_b128 v[5:8], v61 offset:1520
	s_waitcnt vmcnt(58) lgkmcnt(1)
	v_mul_f64 v[107:108], v[9:10], v[109:110]
	v_mul_f64 v[109:110], v[11:12], v[109:110]
	s_waitcnt vmcnt(56)
	v_fma_f64 v[25:26], v[1:2], v[19:20], -v[25:26]
	v_fma_f64 v[19:20], v[3:4], v[19:20], v[126:127]
	v_add_f64 v[13:14], v[13:14], v[115:116]
	v_add_f64 v[15:16], v[15:16], v[70:71]
	s_clause 0x4
	buffer_load_dword v71, off, s[0:3], 0 offset:828
	buffer_load_dword v115, off, s[0:3], 0 offset:840
	buffer_load_dword v119, off, s[0:3], 0 offset:832
	buffer_load_dword v70, off, s[0:3], 0 offset:824
	buffer_load_dword v123, off, s[0:3], 0 offset:804
	ds_read_b128 v[1:4], v61 offset:1536
	s_waitcnt vmcnt(57) lgkmcnt(1)
	v_mul_f64 v[124:125], v[5:6], v[62:63]
	v_mul_f64 v[62:63], v[7:8], v[62:63]
	s_waitcnt vmcnt(56)
	v_fma_f64 v[109:110], v[9:10], v[120:121], -v[109:110]
	v_add_f64 v[13:14], v[13:14], v[25:26]
	v_fma_f64 v[25:26], v[11:12], v[120:121], v[107:108]
	v_add_f64 v[15:16], v[15:16], v[19:20]
	s_clause 0x2
	buffer_load_dword v116, off, s[0:3], 0 offset:844
	buffer_load_dword v20, off, s[0:3], 0 offset:820
	buffer_load_dword v19, off, s[0:3], 0 offset:816
	ds_read_b128 v[9:12], v61 offset:1552
	s_waitcnt vmcnt(58) lgkmcnt(1)
	v_mul_f64 v[107:108], v[1:2], v[64:65]
	v_mul_f64 v[64:65], v[3:4], v[64:65]
	s_waitcnt vmcnt(56)
	v_fma_f64 v[62:63], v[5:6], v[21:22], -v[62:63]
	v_fma_f64 v[21:22], v[7:8], v[21:22], v[124:125]
	v_add_f64 v[13:14], v[13:14], v[109:110]
	v_add_f64 v[15:16], v[15:16], v[25:26]
	s_clause 0x4
	buffer_load_dword v26, off, s[0:3], 0 offset:860
	buffer_load_dword v109, off, s[0:3], 0 offset:872
	buffer_load_dword v124, off, s[0:3], 0 offset:864
	buffer_load_dword v25, off, s[0:3], 0 offset:856
	buffer_load_dword v120, off, s[0:3], 0 offset:836
	ds_read_b128 v[5:8], v61 offset:1568
	s_waitcnt vmcnt(57) lgkmcnt(1)
	v_mul_f64 v[125:126], v[9:10], v[17:18]
	v_mul_f64 v[17:18], v[11:12], v[17:18]
	s_waitcnt vmcnt(56)
	v_fma_f64 v[64:65], v[1:2], v[111:112], -v[64:65]
	v_add_f64 v[13:14], v[13:14], v[62:63]
	v_fma_f64 v[62:63], v[3:4], v[111:112], v[107:108]
	;; [unrolled: 28-line block ×3, first 2 shown]
	v_add_f64 v[15:16], v[15:16], v[27:28]
	s_clause 0x2
	buffer_load_dword v65, off, s[0:3], 0 offset:908
	buffer_load_dword v28, off, s[0:3], 0 offset:884
	;; [unrolled: 1-line block ×3, first 2 shown]
	s_waitcnt vmcnt(58) lgkmcnt(0)
	v_mul_f64 v[105:106], v[9:10], v[43:44]
	v_mul_f64 v[43:44], v[11:12], v[43:44]
	ds_read_b128 v[5:8], v61 offset:1616
	s_waitcnt vmcnt(56)
	v_fma_f64 v[23:24], v[1:2], v[33:34], -v[23:24]
	v_fma_f64 v[33:34], v[3:4], v[33:34], v[126:127]
	v_add_f64 v[13:14], v[13:14], v[37:38]
	v_add_f64 v[15:16], v[15:16], v[17:18]
	s_clause 0x4
	buffer_load_dword v18, off, s[0:3], 0 offset:924
	buffer_load_dword v37, off, s[0:3], 0 offset:936
	;; [unrolled: 1-line block ×5, first 2 shown]
	ds_read_b128 v[1:4], v61 offset:1632
	s_waitcnt vmcnt(57) lgkmcnt(1)
	v_mul_f64 v[126:127], v[5:6], v[29:30]
	v_mul_f64 v[29:30], v[7:8], v[29:30]
	s_waitcnt vmcnt(56)
	v_fma_f64 v[43:44], v[9:10], v[45:46], -v[43:44]
	v_add_f64 v[13:14], v[13:14], v[23:24]
	v_fma_f64 v[23:24], v[11:12], v[45:46], v[105:106]
	v_add_f64 v[15:16], v[15:16], v[33:34]
	s_clause 0x2
	buffer_load_dword v38, off, s[0:3], 0 offset:940
	buffer_load_dword v34, off, s[0:3], 0 offset:916
	;; [unrolled: 1-line block ×3, first 2 shown]
	ds_read_b128 v[9:12], v61 offset:1648
	s_waitcnt vmcnt(58) lgkmcnt(1)
	v_mul_f64 v[45:46], v[1:2], v[51:52]
	v_mul_f64 v[51:52], v[3:4], v[51:52]
	s_waitcnt vmcnt(56)
	v_fma_f64 v[29:30], v[5:6], v[31:32], -v[29:30]
	v_fma_f64 v[31:32], v[7:8], v[31:32], v[126:127]
	v_add_f64 v[13:14], v[13:14], v[43:44]
	v_add_f64 v[15:16], v[15:16], v[23:24]
	s_clause 0x2
	buffer_load_dword v24, off, s[0:3], 0 offset:956
	buffer_load_dword v23, off, s[0:3], 0 offset:952
	;; [unrolled: 1-line block ×3, first 2 shown]
	ds_read_b128 v[5:8], v61 offset:1664
	s_waitcnt vmcnt(55) lgkmcnt(1)
	v_mul_f64 v[43:44], v[9:10], v[35:36]
	v_mul_f64 v[35:36], v[11:12], v[35:36]
	s_waitcnt vmcnt(54)
	v_fma_f64 v[51:52], v[1:2], v[53:54], -v[51:52]
	v_add_f64 v[13:14], v[13:14], v[29:30]
	v_fma_f64 v[29:30], v[3:4], v[53:54], v[45:46]
	v_add_f64 v[15:16], v[15:16], v[31:32]
	s_clause 0x1
	buffer_load_dword v32, off, s[0:3], 0 offset:948
	buffer_load_dword v31, off, s[0:3], 0 offset:944
	ds_read_b128 v[1:4], v61 offset:1680
	s_waitcnt vmcnt(55) lgkmcnt(1)
	v_mul_f64 v[53:54], v[7:8], v[57:58]
	v_mul_f64 v[45:46], v[5:6], v[57:58]
	s_waitcnt vmcnt(53)
	v_fma_f64 v[35:36], v[9:10], v[39:40], -v[35:36]
	v_fma_f64 v[39:40], v[11:12], v[39:40], v[43:44]
	ds_read_b128 v[9:12], v61 offset:1696
	v_add_f64 v[13:14], v[13:14], v[51:52]
	v_add_f64 v[15:16], v[15:16], v[29:30]
	s_waitcnt vmcnt(49) lgkmcnt(1)
	v_mul_f64 v[29:30], v[1:2], v[41:42]
	v_mul_f64 v[41:42], v[3:4], v[41:42]
	s_waitcnt vmcnt(48)
	v_fma_f64 v[43:44], v[5:6], v[59:60], -v[53:54]
	v_add_f64 v[13:14], v[13:14], v[35:36]
	v_fma_f64 v[35:36], v[7:8], v[59:60], v[45:46]
	v_add_f64 v[15:16], v[15:16], v[39:40]
	s_clause 0x3
	buffer_load_dword v39, off, s[0:3], 0 offset:240
	buffer_load_dword v40, off, s[0:3], 0 offset:244
	;; [unrolled: 1-line block ×4, first 2 shown]
	ds_read_b128 v[5:8], v61 offset:1712
	s_waitcnt vmcnt(51) lgkmcnt(1)
	v_mul_f64 v[53:54], v[11:12], v[113:114]
	v_mul_f64 v[51:52], v[9:10], v[113:114]
	s_waitcnt vmcnt(49)
	v_fma_f64 v[41:42], v[1:2], v[47:48], -v[41:42]
	v_fma_f64 v[29:30], v[3:4], v[47:48], v[29:30]
	ds_read_b128 v[1:4], v61 offset:1728
	v_add_f64 v[13:14], v[13:14], v[43:44]
	v_add_f64 v[15:16], v[15:16], v[35:36]
	s_waitcnt vmcnt(45) lgkmcnt(1)
	v_mul_f64 v[43:44], v[7:8], v[49:50]
	s_waitcnt vmcnt(44)
	v_fma_f64 v[47:48], v[9:10], v[117:118], -v[53:54]
	v_mul_f64 v[35:36], v[5:6], v[49:50]
	v_add_f64 v[13:14], v[13:14], v[41:42]
	v_fma_f64 v[41:42], v[11:12], v[117:118], v[51:52]
	v_add_f64 v[15:16], v[15:16], v[29:30]
	ds_read_b128 v[9:12], v61 offset:1744
	s_waitcnt vmcnt(43) lgkmcnt(1)
	v_mul_f64 v[49:50], v[3:4], v[66:67]
	v_mul_f64 v[29:30], v[1:2], v[66:67]
	s_waitcnt vmcnt(41)
	v_fma_f64 v[43:44], v[5:6], v[55:56], -v[43:44]
	v_fma_f64 v[35:36], v[7:8], v[55:56], v[35:36]
	ds_read_b128 v[5:8], v61 offset:1760
	v_add_f64 v[13:14], v[13:14], v[47:48]
	v_add_f64 v[15:16], v[15:16], v[41:42]
	s_waitcnt vmcnt(37) lgkmcnt(1)
	v_mul_f64 v[47:48], v[11:12], v[70:71]
	s_waitcnt vmcnt(36)
	v_fma_f64 v[49:50], v[1:2], v[122:123], -v[49:50]
	v_mul_f64 v[41:42], v[9:10], v[70:71]
	v_fma_f64 v[29:30], v[3:4], v[122:123], v[29:30]
	ds_read_b128 v[1:4], v61 offset:1776
	v_add_f64 v[13:14], v[13:14], v[43:44]
	v_add_f64 v[15:16], v[15:16], v[35:36]
	s_waitcnt vmcnt(35) lgkmcnt(1)
	v_mul_f64 v[43:44], v[7:8], v[115:116]
	v_mul_f64 v[35:36], v[5:6], v[115:116]
	s_waitcnt vmcnt(33)
	v_fma_f64 v[47:48], v[9:10], v[19:20], -v[47:48]
	v_fma_f64 v[19:20], v[11:12], v[19:20], v[41:42]
	ds_read_b128 v[9:12], v61 offset:1792
	v_add_f64 v[13:14], v[13:14], v[49:50]
	v_add_f64 v[15:16], v[15:16], v[29:30]
	s_waitcnt vmcnt(29) lgkmcnt(1)
	v_mul_f64 v[29:30], v[1:2], v[25:26]
	v_mul_f64 v[25:26], v[3:4], v[25:26]
	s_waitcnt vmcnt(28)
	v_fma_f64 v[41:42], v[5:6], v[119:120], -v[43:44]
	;; [unrolled: 9-line block ×3, first 2 shown]
	v_fma_f64 v[21:22], v[3:4], v[21:22], v[29:30]
	ds_read_b128 v[1:4], v61 offset:1824
	v_add_f64 v[13:14], v[13:14], v[41:42]
	v_add_f64 v[15:16], v[15:16], v[35:36]
	s_waitcnt vmcnt(21) lgkmcnt(1)
	v_mul_f64 v[35:36], v[7:8], v[62:63]
	s_waitcnt vmcnt(20)
	v_fma_f64 v[41:42], v[9:10], v[124:125], -v[43:44]
	v_mul_f64 v[29:30], v[5:6], v[62:63]
	v_fma_f64 v[19:20], v[11:12], v[124:125], v[19:20]
	ds_read_b128 v[9:12], v61 offset:1840
	v_add_f64 v[13:14], v[13:14], v[25:26]
	v_add_f64 v[15:16], v[15:16], v[21:22]
	s_waitcnt vmcnt(19) lgkmcnt(1)
	v_mul_f64 v[25:26], v[3:4], v[64:65]
	v_mul_f64 v[21:22], v[1:2], v[64:65]
	s_waitcnt vmcnt(17)
	v_fma_f64 v[35:36], v[5:6], v[27:28], -v[35:36]
	v_fma_f64 v[27:28], v[7:8], v[27:28], v[29:30]
	ds_read_b128 v[5:8], v61 offset:1856
	v_add_f64 v[13:14], v[13:14], v[41:42]
	v_add_f64 v[15:16], v[15:16], v[19:20]
	s_waitcnt vmcnt(13) lgkmcnt(1)
	v_mul_f64 v[19:20], v[9:10], v[17:18]
	v_mul_f64 v[17:18], v[11:12], v[17:18]
	s_waitcnt vmcnt(12)
	v_fma_f64 v[25:26], v[1:2], v[111:112], -v[25:26]
	;; [unrolled: 9-line block ×3, first 2 shown]
	v_fma_f64 v[11:12], v[11:12], v[33:34], v[19:20]
	v_add_f64 v[13:14], v[13:14], v[25:26]
	v_add_f64 v[15:16], v[15:16], v[21:22]
	s_waitcnt vmcnt(7) lgkmcnt(0)
	v_mul_f64 v[19:20], v[3:4], v[23:24]
	s_waitcnt vmcnt(6)
	v_fma_f64 v[5:6], v[5:6], v[107:108], -v[29:30]
	v_mul_f64 v[17:18], v[1:2], v[23:24]
	v_fma_f64 v[7:8], v[7:8], v[107:108], v[27:28]
	v_add_f64 v[9:10], v[13:14], v[9:10]
	v_add_f64 v[11:12], v[15:16], v[11:12]
	s_waitcnt vmcnt(4)
	v_fma_f64 v[1:2], v[1:2], v[31:32], -v[19:20]
	v_fma_f64 v[3:4], v[3:4], v[31:32], v[17:18]
	v_add_f64 v[5:6], v[9:10], v[5:6]
	v_add_f64 v[7:8], v[11:12], v[7:8]
	;; [unrolled: 1-line block ×4, first 2 shown]
	s_waitcnt vmcnt(2)
	v_add_f64 v[1:2], v[39:40], -v[1:2]
	s_waitcnt vmcnt(0)
	v_add_f64 v[3:4], v[45:46], -v[3:4]
	buffer_store_dword v2, off, s[0:3], 0 offset:244
	buffer_store_dword v1, off, s[0:3], 0 offset:240
	;; [unrolled: 1-line block ×4, first 2 shown]
	v_cmpx_lt_u32_e32 13, v0
	s_cbranch_execz .LBB58_341
; %bb.340:
	v_mov_b32_e32 v4, s57
	v_mov_b32_e32 v5, 0
	s_clause 0x3
	buffer_load_dword v1, v4, s[0:3], 0 offen
	buffer_load_dword v2, v4, s[0:3], 0 offen offset:4
	buffer_load_dword v3, v4, s[0:3], 0 offen offset:8
	;; [unrolled: 1-line block ×3, first 2 shown]
	buffer_store_dword v5, off, s[0:3], 0 offset:224
	buffer_store_dword v5, off, s[0:3], 0 offset:228
	;; [unrolled: 1-line block ×4, first 2 shown]
	s_waitcnt vmcnt(0)
	ds_write_b128 v69, v[1:4]
.LBB58_341:
	s_or_b32 exec_lo, exec_lo, s4
	s_waitcnt lgkmcnt(0)
	s_waitcnt_vscnt null, 0x0
	s_barrier
	buffer_gl0_inv
	s_clause 0x37
	buffer_load_dword v13, off, s[0:3], 0 offset:248
	buffer_load_dword v14, off, s[0:3], 0 offset:252
	;; [unrolled: 1-line block ×56, first 2 shown]
	v_mov_b32_e32 v70, 0
	s_mov_b32 s4, exec_lo
	ds_read_b128 v[65:68], v70 offset:1168
	s_clause 0x2
	buffer_load_dword v62, off, s[0:3], 0 offset:476
	buffer_load_dword v64, off, s[0:3], 0 offset:452
	;; [unrolled: 1-line block ×3, first 2 shown]
	ds_read_b128 v[1:4], v70 offset:1184
	s_clause 0x4
	buffer_load_dword v110, off, s[0:3], 0 offset:492
	buffer_load_dword v111, off, s[0:3], 0 offset:504
	;; [unrolled: 1-line block ×5, first 2 shown]
	ds_read_b128 v[105:108], v70 offset:1200
	s_waitcnt vmcnt(62) lgkmcnt(2)
	v_mul_f64 v[71:72], v[67:68], v[13:14]
	v_mul_f64 v[13:14], v[65:66], v[13:14]
	s_waitcnt vmcnt(60) lgkmcnt(1)
	v_mul_f64 v[114:115], v[3:4], v[9:10]
	s_waitcnt vmcnt(56) lgkmcnt(0)
	v_mul_f64 v[116:117], v[105:106], v[7:8]
	v_mul_f64 v[7:8], v[107:108], v[7:8]
	v_fma_f64 v[65:66], v[65:66], v[11:12], -v[71:72]
	v_mul_f64 v[71:72], v[1:2], v[9:10]
	v_fma_f64 v[13:14], v[67:68], v[11:12], v[13:14]
	s_clause 0x2
	buffer_load_dword v112, off, s[0:3], 0 offset:508
	buffer_load_dword v68, off, s[0:3], 0 offset:484
	;; [unrolled: 1-line block ×3, first 2 shown]
	s_waitcnt vmcnt(57)
	v_fma_f64 v[118:119], v[1:2], v[5:6], -v[114:115]
	ds_read_b128 v[9:12], v70 offset:1216
	s_waitcnt vmcnt(51)
	v_fma_f64 v[105:106], v[105:106], v[29:30], -v[7:8]
	v_fma_f64 v[29:30], v[107:108], v[29:30], v[116:117]
	v_add_f64 v[65:66], v[65:66], 0
	v_fma_f64 v[5:6], v[3:4], v[5:6], v[71:72]
	v_add_f64 v[13:14], v[13:14], 0
	s_clause 0x4
	buffer_load_dword v72, off, s[0:3], 0 offset:524
	buffer_load_dword v115, off, s[0:3], 0 offset:536
	;; [unrolled: 1-line block ×5, first 2 shown]
	s_waitcnt lgkmcnt(0)
	v_mul_f64 v[121:122], v[9:10], v[17:18]
	v_mul_f64 v[17:18], v[11:12], v[17:18]
	ds_read_b128 v[1:4], v70 offset:1232
	s_clause 0x2
	buffer_load_dword v116, off, s[0:3], 0 offset:540
	buffer_load_dword v108, off, s[0:3], 0 offset:516
	;; [unrolled: 1-line block ×3, first 2 shown]
	v_add_f64 v[65:66], v[65:66], v[118:119]
	v_add_f64 v[13:14], v[13:14], v[5:6]
	ds_read_b128 v[5:8], v70 offset:1248
	s_waitcnt vmcnt(58) lgkmcnt(1)
	v_mul_f64 v[117:118], v[1:2], v[21:22]
	v_mul_f64 v[21:22], v[3:4], v[21:22]
	s_waitcnt vmcnt(56)
	v_fma_f64 v[17:18], v[9:10], v[23:24], -v[17:18]
	v_fma_f64 v[23:24], v[11:12], v[23:24], v[121:122]
	v_add_f64 v[65:66], v[65:66], v[105:106]
	s_waitcnt vmcnt(52) lgkmcnt(0)
	v_mul_f64 v[123:124], v[5:6], v[25:26]
	v_add_f64 v[13:14], v[13:14], v[29:30]
	s_clause 0x4
	buffer_load_dword v30, off, s[0:3], 0 offset:556
	buffer_load_dword v105, off, s[0:3], 0 offset:568
	;; [unrolled: 1-line block ×5, first 2 shown]
	v_mul_f64 v[25:26], v[7:8], v[25:26]
	s_waitcnt vmcnt(56)
	v_fma_f64 v[21:22], v[1:2], v[15:16], -v[21:22]
	ds_read_b128 v[9:12], v70 offset:1264
	v_fma_f64 v[15:16], v[3:4], v[15:16], v[117:118]
	v_add_f64 v[17:18], v[65:66], v[17:18]
	v_add_f64 v[13:14], v[13:14], v[23:24]
	s_clause 0x2
	buffer_load_dword v106, off, s[0:3], 0 offset:572
	buffer_load_dword v24, off, s[0:3], 0 offset:548
	;; [unrolled: 1-line block ×3, first 2 shown]
	s_waitcnt vmcnt(58) lgkmcnt(0)
	v_mul_f64 v[65:66], v[9:10], v[31:32]
	v_mul_f64 v[31:32], v[11:12], v[31:32]
	s_waitcnt vmcnt(56)
	v_fma_f64 v[25:26], v[5:6], v[33:34], -v[25:26]
	ds_read_b128 v[1:4], v70 offset:1280
	v_add_f64 v[17:18], v[17:18], v[21:22]
	v_fma_f64 v[21:22], v[7:8], v[33:34], v[123:124]
	v_add_f64 v[13:14], v[13:14], v[15:16]
	s_clause 0x4
	buffer_load_dword v16, off, s[0:3], 0 offset:588
	buffer_load_dword v33, off, s[0:3], 0 offset:600
	;; [unrolled: 1-line block ×5, first 2 shown]
	ds_read_b128 v[5:8], v70 offset:1296
	s_waitcnt vmcnt(57) lgkmcnt(1)
	v_mul_f64 v[118:119], v[1:2], v[35:36]
	v_mul_f64 v[35:36], v[3:4], v[35:36]
	s_waitcnt vmcnt(56)
	v_fma_f64 v[31:32], v[9:10], v[19:20], -v[31:32]
	v_fma_f64 v[19:20], v[11:12], v[19:20], v[65:66]
	v_add_f64 v[17:18], v[17:18], v[25:26]
	v_add_f64 v[13:14], v[13:14], v[21:22]
	s_clause 0x2
	buffer_load_dword v34, off, s[0:3], 0 offset:604
	buffer_load_dword v22, off, s[0:3], 0 offset:580
	;; [unrolled: 1-line block ×3, first 2 shown]
	s_waitcnt vmcnt(58) lgkmcnt(0)
	v_mul_f64 v[25:26], v[5:6], v[39:40]
	v_mul_f64 v[39:40], v[7:8], v[39:40]
	s_waitcnt vmcnt(56)
	v_fma_f64 v[35:36], v[1:2], v[41:42], -v[35:36]
	ds_read_b128 v[9:12], v70 offset:1312
	v_add_f64 v[17:18], v[17:18], v[31:32]
	v_fma_f64 v[31:32], v[3:4], v[41:42], v[118:119]
	v_add_f64 v[13:14], v[13:14], v[19:20]
	s_clause 0x4
	buffer_load_dword v20, off, s[0:3], 0 offset:620
	buffer_load_dword v41, off, s[0:3], 0 offset:632
	;; [unrolled: 1-line block ×5, first 2 shown]
	ds_read_b128 v[1:4], v70 offset:1328
	s_waitcnt vmcnt(57) lgkmcnt(1)
	v_mul_f64 v[124:125], v[9:10], v[43:44]
	v_mul_f64 v[43:44], v[11:12], v[43:44]
	s_waitcnt vmcnt(56)
	v_fma_f64 v[39:40], v[5:6], v[27:28], -v[39:40]
	v_fma_f64 v[25:26], v[7:8], v[27:28], v[25:26]
	s_clause 0x2
	buffer_load_dword v42, off, s[0:3], 0 offset:636
	buffer_load_dword v28, off, s[0:3], 0 offset:612
	;; [unrolled: 1-line block ×3, first 2 shown]
	ds_read_b128 v[5:8], v70 offset:1344
	v_add_f64 v[17:18], v[17:18], v[35:36]
	v_add_f64 v[13:14], v[13:14], v[31:32]
	s_waitcnt vmcnt(58) lgkmcnt(1)
	v_mul_f64 v[35:36], v[3:4], v[47:48]
	v_mul_f64 v[31:32], v[1:2], v[47:48]
	s_waitcnt vmcnt(56)
	v_fma_f64 v[43:44], v[9:10], v[49:50], -v[43:44]
	v_add_f64 v[17:18], v[17:18], v[39:40]
	v_fma_f64 v[39:40], v[11:12], v[49:50], v[124:125]
	v_add_f64 v[13:14], v[13:14], v[25:26]
	s_clause 0x4
	buffer_load_dword v26, off, s[0:3], 0 offset:652
	buffer_load_dword v47, off, s[0:3], 0 offset:664
	buffer_load_dword v49, off, s[0:3], 0 offset:656
	buffer_load_dword v25, off, s[0:3], 0 offset:648
	buffer_load_dword v66, off, s[0:3], 0 offset:628
	s_waitcnt vmcnt(57) lgkmcnt(0)
	v_mul_f64 v[124:125], v[5:6], v[51:52]
	v_mul_f64 v[50:51], v[7:8], v[51:52]
	s_waitcnt vmcnt(56)
	v_fma_f64 v[35:36], v[1:2], v[37:38], -v[35:36]
	ds_read_b128 v[9:12], v70 offset:1360
	v_fma_f64 v[31:32], v[3:4], v[37:38], v[31:32]
	s_clause 0x2
	buffer_load_dword v48, off, s[0:3], 0 offset:668
	buffer_load_dword v38, off, s[0:3], 0 offset:644
	;; [unrolled: 1-line block ×3, first 2 shown]
	ds_read_b128 v[1:4], v70 offset:1376
	v_add_f64 v[17:18], v[17:18], v[43:44]
	v_add_f64 v[13:14], v[13:14], v[39:40]
	s_waitcnt vmcnt(58) lgkmcnt(1)
	v_mul_f64 v[43:44], v[11:12], v[55:56]
	s_waitcnt vmcnt(56)
	v_fma_f64 v[51:52], v[5:6], v[57:58], -v[50:51]
	v_mul_f64 v[39:40], v[9:10], v[55:56]
	v_add_f64 v[17:18], v[17:18], v[35:36]
	v_fma_f64 v[35:36], v[7:8], v[57:58], v[124:125]
	v_add_f64 v[13:14], v[13:14], v[31:32]
	s_clause 0x4
	buffer_load_dword v32, off, s[0:3], 0 offset:684
	buffer_load_dword v55, off, s[0:3], 0 offset:696
	;; [unrolled: 1-line block ×5, first 2 shown]
	s_waitcnt vmcnt(57) lgkmcnt(0)
	v_mul_f64 v[124:125], v[1:2], v[59:60]
	v_mul_f64 v[58:59], v[3:4], v[59:60]
	s_waitcnt vmcnt(56)
	v_fma_f64 v[43:44], v[9:10], v[45:46], -v[43:44]
	ds_read_b128 v[5:8], v70 offset:1392
	v_fma_f64 v[39:40], v[11:12], v[45:46], v[39:40]
	v_add_f64 v[17:18], v[17:18], v[51:52]
	v_add_f64 v[13:14], v[13:14], v[35:36]
	s_clause 0x2
	buffer_load_dword v56, off, s[0:3], 0 offset:700
	buffer_load_dword v36, off, s[0:3], 0 offset:676
	;; [unrolled: 1-line block ×3, first 2 shown]
	ds_read_b128 v[9:12], v70 offset:1408
	s_waitcnt vmcnt(58) lgkmcnt(1)
	v_mul_f64 v[51:52], v[7:8], v[61:62]
	s_waitcnt vmcnt(56)
	v_fma_f64 v[59:60], v[1:2], v[63:64], -v[58:59]
	v_mul_f64 v[45:46], v[5:6], v[61:62]
	v_add_f64 v[17:18], v[17:18], v[43:44]
	v_fma_f64 v[43:44], v[3:4], v[63:64], v[124:125]
	v_add_f64 v[13:14], v[13:14], v[39:40]
	s_clause 0x4
	buffer_load_dword v40, off, s[0:3], 0 offset:716
	buffer_load_dword v61, off, s[0:3], 0 offset:728
	;; [unrolled: 1-line block ×5, first 2 shown]
	s_waitcnt vmcnt(57) lgkmcnt(0)
	v_mul_f64 v[124:125], v[9:10], v[109:110]
	v_mul_f64 v[109:110], v[11:12], v[109:110]
	s_waitcnt vmcnt(56)
	v_fma_f64 v[51:52], v[5:6], v[53:54], -v[51:52]
	ds_read_b128 v[1:4], v70 offset:1424
	v_fma_f64 v[45:46], v[7:8], v[53:54], v[45:46]
	v_add_f64 v[17:18], v[17:18], v[59:60]
	v_add_f64 v[13:14], v[13:14], v[43:44]
	s_clause 0x2
	buffer_load_dword v62, off, s[0:3], 0 offset:732
	buffer_load_dword v44, off, s[0:3], 0 offset:708
	;; [unrolled: 1-line block ×3, first 2 shown]
	ds_read_b128 v[5:8], v70 offset:1440
	s_waitcnt vmcnt(58) lgkmcnt(1)
	v_mul_f64 v[59:60], v[3:4], v[111:112]
	v_mul_f64 v[53:54], v[1:2], v[111:112]
	s_waitcnt vmcnt(56)
	v_fma_f64 v[109:110], v[9:10], v[67:68], -v[109:110]
	v_add_f64 v[17:18], v[17:18], v[51:52]
	v_fma_f64 v[51:52], v[11:12], v[67:68], v[124:125]
	v_add_f64 v[13:14], v[13:14], v[45:46]
	s_clause 0x4
	buffer_load_dword v46, off, s[0:3], 0 offset:748
	buffer_load_dword v67, off, s[0:3], 0 offset:760
	;; [unrolled: 1-line block ×5, first 2 shown]
	ds_read_b128 v[9:12], v70 offset:1456
	s_waitcnt vmcnt(57) lgkmcnt(1)
	v_mul_f64 v[124:125], v[5:6], v[71:72]
	v_mul_f64 v[71:72], v[7:8], v[71:72]
	s_waitcnt vmcnt(56)
	v_fma_f64 v[59:60], v[1:2], v[113:114], -v[59:60]
	v_fma_f64 v[53:54], v[3:4], v[113:114], v[53:54]
	v_add_f64 v[17:18], v[17:18], v[109:110]
	v_add_f64 v[13:14], v[13:14], v[51:52]
	s_clause 0x2
	buffer_load_dword v68, off, s[0:3], 0 offset:764
	buffer_load_dword v52, off, s[0:3], 0 offset:740
	;; [unrolled: 1-line block ×3, first 2 shown]
	s_waitcnt vmcnt(58) lgkmcnt(0)
	v_mul_f64 v[113:114], v[11:12], v[115:116]
	ds_read_b128 v[1:4], v70 offset:1472
	v_mul_f64 v[109:110], v[9:10], v[115:116]
	s_waitcnt vmcnt(56)
	v_fma_f64 v[71:72], v[5:6], v[107:108], -v[71:72]
	v_add_f64 v[17:18], v[17:18], v[59:60]
	v_fma_f64 v[59:60], v[7:8], v[107:108], v[124:125]
	v_add_f64 v[13:14], v[13:14], v[53:54]
	s_clause 0x4
	buffer_load_dword v54, off, s[0:3], 0 offset:780
	buffer_load_dword v107, off, s[0:3], 0 offset:792
	;; [unrolled: 1-line block ×5, first 2 shown]
	ds_read_b128 v[5:8], v70 offset:1488
	s_waitcnt vmcnt(57) lgkmcnt(1)
	v_mul_f64 v[124:125], v[1:2], v[29:30]
	v_mul_f64 v[29:30], v[3:4], v[29:30]
	s_waitcnt vmcnt(56)
	v_fma_f64 v[113:114], v[9:10], v[120:121], -v[113:114]
	v_add_f64 v[17:18], v[17:18], v[71:72]
	v_fma_f64 v[71:72], v[11:12], v[120:121], v[109:110]
	v_add_f64 v[13:14], v[13:14], v[59:60]
	s_clause 0x2
	buffer_load_dword v108, off, s[0:3], 0 offset:796
	buffer_load_dword v60, off, s[0:3], 0 offset:772
	;; [unrolled: 1-line block ×3, first 2 shown]
	ds_read_b128 v[9:12], v70 offset:1504
	s_waitcnt vmcnt(58) lgkmcnt(1)
	v_mul_f64 v[109:110], v[5:6], v[105:106]
	v_mul_f64 v[105:106], v[7:8], v[105:106]
	s_waitcnt vmcnt(56)
	v_fma_f64 v[29:30], v[1:2], v[23:24], -v[29:30]
	v_fma_f64 v[23:24], v[3:4], v[23:24], v[124:125]
	v_add_f64 v[17:18], v[17:18], v[113:114]
	v_add_f64 v[13:14], v[13:14], v[71:72]
	s_clause 0x4
	buffer_load_dword v72, off, s[0:3], 0 offset:812
	buffer_load_dword v113, off, s[0:3], 0 offset:824
	;; [unrolled: 1-line block ×5, first 2 shown]
	ds_read_b128 v[1:4], v70 offset:1520
	s_waitcnt vmcnt(57) lgkmcnt(1)
	v_mul_f64 v[120:121], v[9:10], v[15:16]
	v_mul_f64 v[15:16], v[11:12], v[15:16]
	s_waitcnt vmcnt(56)
	v_fma_f64 v[105:106], v[5:6], v[122:123], -v[105:106]
	v_add_f64 v[17:18], v[17:18], v[29:30]
	v_fma_f64 v[29:30], v[7:8], v[122:123], v[109:110]
	v_add_f64 v[13:14], v[13:14], v[23:24]
	s_clause 0x2
	buffer_load_dword v114, off, s[0:3], 0 offset:828
	buffer_load_dword v24, off, s[0:3], 0 offset:804
	;; [unrolled: 1-line block ×3, first 2 shown]
	ds_read_b128 v[5:8], v70 offset:1536
	s_waitcnt vmcnt(58) lgkmcnt(1)
	v_mul_f64 v[109:110], v[1:2], v[33:34]
	v_mul_f64 v[33:34], v[3:4], v[33:34]
	s_waitcnt vmcnt(56)
	v_fma_f64 v[15:16], v[9:10], v[21:22], -v[15:16]
	v_fma_f64 v[21:22], v[11:12], v[21:22], v[120:121]
	v_add_f64 v[17:18], v[17:18], v[105:106]
	v_add_f64 v[13:14], v[13:14], v[29:30]
	s_clause 0x4
	buffer_load_dword v30, off, s[0:3], 0 offset:844
	buffer_load_dword v105, off, s[0:3], 0 offset:856
	;; [unrolled: 1-line block ×5, first 2 shown]
	ds_read_b128 v[9:12], v70 offset:1552
	s_waitcnt vmcnt(57) lgkmcnt(1)
	v_mul_f64 v[122:123], v[5:6], v[19:20]
	v_mul_f64 v[19:20], v[7:8], v[19:20]
	s_waitcnt vmcnt(56)
	v_fma_f64 v[33:34], v[1:2], v[117:118], -v[33:34]
	v_add_f64 v[15:16], v[17:18], v[15:16]
	v_fma_f64 v[17:18], v[3:4], v[117:118], v[109:110]
	v_add_f64 v[13:14], v[13:14], v[21:22]
	s_clause 0x2
	buffer_load_dword v106, off, s[0:3], 0 offset:860
	buffer_load_dword v22, off, s[0:3], 0 offset:836
	;; [unrolled: 1-line block ×3, first 2 shown]
	s_waitcnt vmcnt(58) lgkmcnt(0)
	v_mul_f64 v[109:110], v[9:10], v[41:42]
	v_mul_f64 v[41:42], v[11:12], v[41:42]
	ds_read_b128 v[1:4], v70 offset:1568
	s_waitcnt vmcnt(56)
	v_fma_f64 v[19:20], v[5:6], v[27:28], -v[19:20]
	v_fma_f64 v[27:28], v[7:8], v[27:28], v[122:123]
	v_add_f64 v[15:16], v[15:16], v[33:34]
	v_add_f64 v[13:14], v[13:14], v[17:18]
	s_clause 0x4
	buffer_load_dword v18, off, s[0:3], 0 offset:876
	buffer_load_dword v33, off, s[0:3], 0 offset:888
	;; [unrolled: 1-line block ×5, first 2 shown]
	ds_read_b128 v[5:8], v70 offset:1584
	s_waitcnt vmcnt(57) lgkmcnt(1)
	v_mul_f64 v[123:124], v[1:2], v[25:26]
	v_mul_f64 v[25:26], v[3:4], v[25:26]
	s_waitcnt vmcnt(56)
	v_fma_f64 v[41:42], v[9:10], v[65:66], -v[41:42]
	v_add_f64 v[15:16], v[15:16], v[19:20]
	v_fma_f64 v[19:20], v[11:12], v[65:66], v[109:110]
	v_add_f64 v[13:14], v[13:14], v[27:28]
	s_clause 0x2
	buffer_load_dword v34, off, s[0:3], 0 offset:892
	buffer_load_dword v28, off, s[0:3], 0 offset:868
	;; [unrolled: 1-line block ×3, first 2 shown]
	s_waitcnt vmcnt(58) lgkmcnt(0)
	v_mul_f64 v[65:66], v[5:6], v[47:48]
	v_mul_f64 v[47:48], v[7:8], v[47:48]
	ds_read_b128 v[9:12], v70 offset:1600
	s_waitcnt vmcnt(56)
	v_fma_f64 v[25:26], v[1:2], v[37:38], -v[25:26]
	v_fma_f64 v[37:38], v[3:4], v[37:38], v[123:124]
	v_add_f64 v[15:16], v[15:16], v[41:42]
	v_add_f64 v[13:14], v[13:14], v[19:20]
	s_clause 0x4
	buffer_load_dword v20, off, s[0:3], 0 offset:908
	buffer_load_dword v41, off, s[0:3], 0 offset:920
	;; [unrolled: 1-line block ×5, first 2 shown]
	ds_read_b128 v[1:4], v70 offset:1616
	s_waitcnt vmcnt(57) lgkmcnt(1)
	v_mul_f64 v[123:124], v[9:10], v[31:32]
	v_mul_f64 v[31:32], v[11:12], v[31:32]
	s_waitcnt vmcnt(56)
	v_fma_f64 v[47:48], v[5:6], v[49:50], -v[47:48]
	v_add_f64 v[15:16], v[15:16], v[25:26]
	v_fma_f64 v[25:26], v[7:8], v[49:50], v[65:66]
	v_add_f64 v[13:14], v[13:14], v[37:38]
	s_clause 0x2
	buffer_load_dword v42, off, s[0:3], 0 offset:924
	buffer_load_dword v38, off, s[0:3], 0 offset:900
	;; [unrolled: 1-line block ×3, first 2 shown]
	ds_read_b128 v[5:8], v70 offset:1632
	s_waitcnt vmcnt(58) lgkmcnt(1)
	v_mul_f64 v[49:50], v[1:2], v[55:56]
	v_mul_f64 v[55:56], v[3:4], v[55:56]
	s_waitcnt vmcnt(56)
	v_fma_f64 v[31:32], v[9:10], v[35:36], -v[31:32]
	v_fma_f64 v[35:36], v[11:12], v[35:36], v[123:124]
	v_add_f64 v[15:16], v[15:16], v[47:48]
	v_add_f64 v[13:14], v[13:14], v[25:26]
	s_clause 0x4
	buffer_load_dword v26, off, s[0:3], 0 offset:940
	buffer_load_dword v47, off, s[0:3], 0 offset:952
	buffer_load_dword v65, off, s[0:3], 0 offset:944
	buffer_load_dword v25, off, s[0:3], 0 offset:936
	buffer_load_dword v110, off, s[0:3], 0 offset:916
	ds_read_b128 v[9:12], v70 offset:1648
	s_waitcnt vmcnt(57) lgkmcnt(1)
	v_mul_f64 v[123:124], v[5:6], v[39:40]
	v_mul_f64 v[39:40], v[7:8], v[39:40]
	s_waitcnt vmcnt(56)
	v_fma_f64 v[55:56], v[1:2], v[57:58], -v[55:56]
	v_add_f64 v[15:16], v[15:16], v[31:32]
	v_fma_f64 v[31:32], v[3:4], v[57:58], v[49:50]
	v_add_f64 v[13:14], v[13:14], v[35:36]
	s_clause 0x2
	buffer_load_dword v48, off, s[0:3], 0 offset:956
	buffer_load_dword v36, off, s[0:3], 0 offset:932
	buffer_load_dword v35, off, s[0:3], 0 offset:928
	ds_read_b128 v[1:4], v70 offset:1664
	buffer_load_dword v66, off, s[0:3], 0 offset:948
	s_waitcnt vmcnt(59) lgkmcnt(1)
	v_mul_f64 v[57:58], v[11:12], v[61:62]
	v_mul_f64 v[49:50], v[9:10], v[61:62]
	s_waitcnt vmcnt(57)
	v_fma_f64 v[39:40], v[5:6], v[43:44], -v[39:40]
	v_fma_f64 v[43:44], v[7:8], v[43:44], v[123:124]
	ds_read_b128 v[5:8], v70 offset:1680
	v_add_f64 v[15:16], v[15:16], v[55:56]
	v_add_f64 v[13:14], v[13:14], v[31:32]
	s_waitcnt vmcnt(53) lgkmcnt(1)
	v_mul_f64 v[31:32], v[1:2], v[45:46]
	v_mul_f64 v[45:46], v[3:4], v[45:46]
	s_waitcnt vmcnt(52)
	v_fma_f64 v[55:56], v[9:10], v[63:64], -v[57:58]
	v_add_f64 v[15:16], v[15:16], v[39:40]
	v_fma_f64 v[39:40], v[11:12], v[63:64], v[49:50]
	v_add_f64 v[13:14], v[13:14], v[43:44]
	ds_read_b128 v[9:12], v70 offset:1696
	s_waitcnt vmcnt(51) lgkmcnt(1)
	v_mul_f64 v[49:50], v[7:8], v[67:68]
	v_mul_f64 v[43:44], v[5:6], v[67:68]
	s_waitcnt vmcnt(49)
	v_fma_f64 v[45:46], v[1:2], v[51:52], -v[45:46]
	v_fma_f64 v[31:32], v[3:4], v[51:52], v[31:32]
	v_add_f64 v[15:16], v[15:16], v[55:56]
	v_add_f64 v[13:14], v[13:14], v[39:40]
	s_clause 0x3
	buffer_load_dword v39, off, s[0:3], 0 offset:224
	buffer_load_dword v40, off, s[0:3], 0 offset:228
	;; [unrolled: 1-line block ×4, first 2 shown]
	ds_read_b128 v[1:4], v70 offset:1712
	s_waitcnt vmcnt(49) lgkmcnt(1)
	v_mul_f64 v[55:56], v[9:10], v[53:54]
	v_mul_f64 v[53:54], v[11:12], v[53:54]
	s_waitcnt vmcnt(48)
	v_fma_f64 v[49:50], v[5:6], v[111:112], -v[49:50]
	v_fma_f64 v[43:44], v[7:8], v[111:112], v[43:44]
	ds_read_b128 v[5:8], v70 offset:1728
	v_add_f64 v[15:16], v[15:16], v[45:46]
	v_add_f64 v[13:14], v[13:14], v[31:32]
	s_waitcnt vmcnt(47) lgkmcnt(1)
	v_mul_f64 v[45:46], v[3:4], v[107:108]
	v_mul_f64 v[31:32], v[1:2], v[107:108]
	s_waitcnt vmcnt(45)
	v_fma_f64 v[53:54], v[9:10], v[59:60], -v[53:54]
	v_add_f64 v[15:16], v[15:16], v[49:50]
	v_fma_f64 v[49:50], v[11:12], v[59:60], v[55:56]
	v_add_f64 v[13:14], v[13:14], v[43:44]
	ds_read_b128 v[9:12], v70 offset:1744
	s_waitcnt vmcnt(41) lgkmcnt(1)
	v_mul_f64 v[55:56], v[7:8], v[71:72]
	s_waitcnt vmcnt(40)
	v_fma_f64 v[45:46], v[1:2], v[115:116], -v[45:46]
	v_mul_f64 v[43:44], v[5:6], v[71:72]
	v_fma_f64 v[31:32], v[3:4], v[115:116], v[31:32]
	ds_read_b128 v[1:4], v70 offset:1760
	v_add_f64 v[15:16], v[15:16], v[53:54]
	v_add_f64 v[13:14], v[13:14], v[49:50]
	s_waitcnt vmcnt(39) lgkmcnt(1)
	v_mul_f64 v[53:54], v[11:12], v[113:114]
	v_mul_f64 v[49:50], v[9:10], v[113:114]
	s_waitcnt vmcnt(37)
	v_fma_f64 v[55:56], v[5:6], v[23:24], -v[55:56]
	v_fma_f64 v[23:24], v[7:8], v[23:24], v[43:44]
	ds_read_b128 v[5:8], v70 offset:1776
	v_add_f64 v[15:16], v[15:16], v[45:46]
	v_add_f64 v[13:14], v[13:14], v[31:32]
	s_waitcnt vmcnt(33) lgkmcnt(1)
	v_mul_f64 v[31:32], v[1:2], v[29:30]
	v_mul_f64 v[29:30], v[3:4], v[29:30]
	s_waitcnt vmcnt(32)
	v_fma_f64 v[43:44], v[9:10], v[119:120], -v[53:54]
	;; [unrolled: 9-line block ×6, first 2 shown]
	v_add_f64 v[15:16], v[15:16], v[17:18]
	v_fma_f64 v[17:18], v[3:4], v[117:118], v[21:22]
	v_add_f64 v[13:14], v[13:14], v[27:28]
	ds_read_b128 v[1:4], v70 offset:1856
	s_waitcnt vmcnt(15) lgkmcnt(1)
	v_mul_f64 v[27:28], v[11:12], v[41:42]
	v_mul_f64 v[21:22], v[9:10], v[41:42]
	s_waitcnt vmcnt(13)
	v_fma_f64 v[19:20], v[5:6], v[37:38], -v[19:20]
	v_fma_f64 v[23:24], v[7:8], v[37:38], v[23:24]
	ds_read_b128 v[5:8], v70 offset:1872
	v_add_f64 v[15:16], v[15:16], v[29:30]
	v_add_f64 v[13:14], v[13:14], v[17:18]
	s_waitcnt vmcnt(9) lgkmcnt(1)
	v_mul_f64 v[17:18], v[1:2], v[25:26]
	v_mul_f64 v[25:26], v[3:4], v[25:26]
	s_waitcnt vmcnt(8)
	v_fma_f64 v[9:10], v[9:10], v[109:110], -v[27:28]
	v_fma_f64 v[11:12], v[11:12], v[109:110], v[21:22]
	v_add_f64 v[15:16], v[15:16], v[19:20]
	v_add_f64 v[13:14], v[13:14], v[23:24]
	s_waitcnt vmcnt(7) lgkmcnt(0)
	v_mul_f64 v[21:22], v[7:8], v[47:48]
	v_mul_f64 v[19:20], v[5:6], v[47:48]
	s_waitcnt vmcnt(5)
	v_fma_f64 v[1:2], v[1:2], v[35:36], -v[25:26]
	v_fma_f64 v[3:4], v[3:4], v[35:36], v[17:18]
	v_add_f64 v[9:10], v[15:16], v[9:10]
	v_add_f64 v[11:12], v[13:14], v[11:12]
	s_waitcnt vmcnt(4)
	v_fma_f64 v[5:6], v[5:6], v[65:66], -v[21:22]
	v_fma_f64 v[7:8], v[7:8], v[65:66], v[19:20]
	v_add_f64 v[1:2], v[9:10], v[1:2]
	v_add_f64 v[3:4], v[11:12], v[3:4]
	;; [unrolled: 1-line block ×4, first 2 shown]
	s_waitcnt vmcnt(2)
	v_add_f64 v[1:2], v[39:40], -v[1:2]
	s_waitcnt vmcnt(0)
	v_add_f64 v[3:4], v[51:52], -v[3:4]
	buffer_store_dword v2, off, s[0:3], 0 offset:228
	buffer_store_dword v1, off, s[0:3], 0 offset:224
	buffer_store_dword v4, off, s[0:3], 0 offset:236
	buffer_store_dword v3, off, s[0:3], 0 offset:232
	v_cmpx_lt_u32_e32 12, v0
	s_cbranch_execz .LBB58_343
; %bb.342:
	v_mov_b32_e32 v4, s58
	s_clause 0x3
	buffer_load_dword v1, v4, s[0:3], 0 offen
	buffer_load_dword v2, v4, s[0:3], 0 offen offset:4
	buffer_load_dword v3, v4, s[0:3], 0 offen offset:8
	;; [unrolled: 1-line block ×3, first 2 shown]
	buffer_store_dword v70, off, s[0:3], 0 offset:208
	buffer_store_dword v70, off, s[0:3], 0 offset:212
	;; [unrolled: 1-line block ×4, first 2 shown]
	s_waitcnt vmcnt(0)
	ds_write_b128 v69, v[1:4]
.LBB58_343:
	s_or_b32 exec_lo, exec_lo, s4
	s_waitcnt lgkmcnt(0)
	s_waitcnt_vscnt null, 0x0
	s_barrier
	buffer_gl0_inv
	s_clause 0x37
	buffer_load_dword v17, off, s[0:3], 0 offset:232
	buffer_load_dword v18, off, s[0:3], 0 offset:236
	;; [unrolled: 1-line block ×56, first 2 shown]
	ds_read_b128 v[5:8], v70 offset:1152
	s_clause 0x2
	buffer_load_dword v66, off, s[0:3], 0 offset:460
	buffer_load_dword v68, off, s[0:3], 0 offset:436
	;; [unrolled: 1-line block ×3, first 2 shown]
	ds_read_b128 v[1:4], v70 offset:1168
	s_clause 0x4
	buffer_load_dword v110, off, s[0:3], 0 offset:476
	buffer_load_dword v111, off, s[0:3], 0 offset:488
	;; [unrolled: 1-line block ×5, first 2 shown]
	ds_read_b128 v[105:108], v70 offset:1184
	s_mov_b32 s4, exec_lo
	s_waitcnt vmcnt(62) lgkmcnt(2)
	v_mul_f64 v[71:72], v[7:8], v[17:18]
	v_mul_f64 v[17:18], v[5:6], v[17:18]
	s_waitcnt vmcnt(60) lgkmcnt(1)
	v_mul_f64 v[114:115], v[3:4], v[13:14]
	v_mul_f64 v[13:14], v[1:2], v[13:14]
	;; [unrolled: 3-line block ×3, first 2 shown]
	v_fma_f64 v[71:72], v[5:6], v[15:16], -v[71:72]
	v_fma_f64 v[15:16], v[7:8], v[15:16], v[17:18]
	s_clause 0x2
	buffer_load_dword v112, off, s[0:3], 0 offset:492
	buffer_load_dword v18, off, s[0:3], 0 offset:468
	;; [unrolled: 1-line block ×3, first 2 shown]
	s_waitcnt vmcnt(57)
	v_fma_f64 v[118:119], v[1:2], v[9:10], -v[114:115]
	ds_read_b128 v[5:8], v70 offset:1200
	v_fma_f64 v[9:10], v[3:4], v[9:10], v[13:14]
	s_waitcnt vmcnt(51)
	v_fma_f64 v[105:106], v[105:106], v[33:34], -v[11:12]
	v_fma_f64 v[33:34], v[107:108], v[33:34], v[116:117]
	v_add_f64 v[71:72], v[71:72], 0
	v_add_f64 v[13:14], v[15:16], 0
	s_clause 0x4
	buffer_load_dword v16, off, s[0:3], 0 offset:508
	buffer_load_dword v115, off, s[0:3], 0 offset:520
	;; [unrolled: 1-line block ×5, first 2 shown]
	s_waitcnt lgkmcnt(0)
	v_mul_f64 v[121:122], v[5:6], v[21:22]
	v_mul_f64 v[21:22], v[7:8], v[21:22]
	ds_read_b128 v[1:4], v70 offset:1216
	s_clause 0x2
	buffer_load_dword v116, off, s[0:3], 0 offset:524
	buffer_load_dword v108, off, s[0:3], 0 offset:500
	;; [unrolled: 1-line block ×3, first 2 shown]
	v_add_f64 v[71:72], v[71:72], v[118:119]
	v_add_f64 v[13:14], v[13:14], v[9:10]
	ds_read_b128 v[9:12], v70 offset:1232
	s_waitcnt vmcnt(58) lgkmcnt(1)
	v_mul_f64 v[117:118], v[1:2], v[25:26]
	v_mul_f64 v[25:26], v[3:4], v[25:26]
	s_waitcnt vmcnt(56)
	v_fma_f64 v[21:22], v[5:6], v[27:28], -v[21:22]
	v_fma_f64 v[27:28], v[7:8], v[27:28], v[121:122]
	s_waitcnt vmcnt(52) lgkmcnt(0)
	v_mul_f64 v[123:124], v[9:10], v[29:30]
	v_add_f64 v[71:72], v[71:72], v[105:106]
	v_add_f64 v[13:14], v[13:14], v[33:34]
	s_clause 0x4
	buffer_load_dword v34, off, s[0:3], 0 offset:540
	buffer_load_dword v105, off, s[0:3], 0 offset:552
	buffer_load_dword v122, off, s[0:3], 0 offset:544
	buffer_load_dword v33, off, s[0:3], 0 offset:536
	buffer_load_dword v121, off, s[0:3], 0 offset:516
	v_mul_f64 v[29:30], v[11:12], v[29:30]
	s_waitcnt vmcnt(56)
	v_fma_f64 v[25:26], v[1:2], v[19:20], -v[25:26]
	ds_read_b128 v[5:8], v70 offset:1248
	v_fma_f64 v[19:20], v[3:4], v[19:20], v[117:118]
	v_add_f64 v[21:22], v[71:72], v[21:22]
	v_add_f64 v[13:14], v[13:14], v[27:28]
	s_clause 0x2
	buffer_load_dword v106, off, s[0:3], 0 offset:556
	buffer_load_dword v28, off, s[0:3], 0 offset:532
	;; [unrolled: 1-line block ×3, first 2 shown]
	s_waitcnt vmcnt(58) lgkmcnt(0)
	v_mul_f64 v[71:72], v[5:6], v[35:36]
	v_mul_f64 v[35:36], v[7:8], v[35:36]
	s_waitcnt vmcnt(56)
	v_fma_f64 v[29:30], v[9:10], v[37:38], -v[29:30]
	ds_read_b128 v[1:4], v70 offset:1264
	v_add_f64 v[21:22], v[21:22], v[25:26]
	v_fma_f64 v[25:26], v[11:12], v[37:38], v[123:124]
	v_add_f64 v[13:14], v[13:14], v[19:20]
	s_clause 0x4
	buffer_load_dword v20, off, s[0:3], 0 offset:572
	buffer_load_dword v37, off, s[0:3], 0 offset:584
	;; [unrolled: 1-line block ×5, first 2 shown]
	s_waitcnt vmcnt(57) lgkmcnt(0)
	v_mul_f64 v[118:119], v[1:2], v[39:40]
	v_mul_f64 v[39:40], v[3:4], v[39:40]
	s_waitcnt vmcnt(56)
	v_fma_f64 v[35:36], v[5:6], v[23:24], -v[35:36]
	ds_read_b128 v[9:12], v70 offset:1280
	v_fma_f64 v[23:24], v[7:8], v[23:24], v[71:72]
	v_add_f64 v[21:22], v[21:22], v[29:30]
	v_add_f64 v[13:14], v[13:14], v[25:26]
	s_clause 0x2
	buffer_load_dword v38, off, s[0:3], 0 offset:588
	buffer_load_dword v26, off, s[0:3], 0 offset:564
	buffer_load_dword v25, off, s[0:3], 0 offset:560
	ds_read_b128 v[5:8], v70 offset:1296
	s_waitcnt vmcnt(58) lgkmcnt(1)
	v_mul_f64 v[29:30], v[9:10], v[43:44]
	v_mul_f64 v[43:44], v[11:12], v[43:44]
	s_waitcnt vmcnt(56)
	v_fma_f64 v[39:40], v[1:2], v[45:46], -v[39:40]
	v_add_f64 v[21:22], v[21:22], v[35:36]
	v_fma_f64 v[35:36], v[3:4], v[45:46], v[118:119]
	v_add_f64 v[13:14], v[13:14], v[23:24]
	s_clause 0x4
	buffer_load_dword v24, off, s[0:3], 0 offset:604
	buffer_load_dword v45, off, s[0:3], 0 offset:616
	;; [unrolled: 1-line block ×5, first 2 shown]
	s_waitcnt vmcnt(57) lgkmcnt(0)
	v_mul_f64 v[124:125], v[5:6], v[47:48]
	v_mul_f64 v[47:48], v[7:8], v[47:48]
	s_waitcnt vmcnt(56)
	v_fma_f64 v[43:44], v[9:10], v[31:32], -v[43:44]
	ds_read_b128 v[1:4], v70 offset:1312
	v_fma_f64 v[29:30], v[11:12], v[31:32], v[29:30]
	s_clause 0x2
	buffer_load_dword v46, off, s[0:3], 0 offset:620
	buffer_load_dword v32, off, s[0:3], 0 offset:596
	;; [unrolled: 1-line block ×3, first 2 shown]
	ds_read_b128 v[9:12], v70 offset:1328
	v_add_f64 v[21:22], v[21:22], v[39:40]
	v_add_f64 v[13:14], v[13:14], v[35:36]
	s_waitcnt vmcnt(58) lgkmcnt(1)
	v_mul_f64 v[39:40], v[3:4], v[51:52]
	s_waitcnt vmcnt(56)
	v_fma_f64 v[47:48], v[5:6], v[53:54], -v[47:48]
	v_mul_f64 v[35:36], v[1:2], v[51:52]
	v_add_f64 v[21:22], v[21:22], v[43:44]
	v_fma_f64 v[43:44], v[7:8], v[53:54], v[124:125]
	v_add_f64 v[13:14], v[13:14], v[29:30]
	s_clause 0x4
	buffer_load_dword v30, off, s[0:3], 0 offset:636
	buffer_load_dword v51, off, s[0:3], 0 offset:648
	;; [unrolled: 1-line block ×5, first 2 shown]
	s_waitcnt vmcnt(57) lgkmcnt(0)
	v_mul_f64 v[124:125], v[9:10], v[55:56]
	v_mul_f64 v[54:55], v[11:12], v[55:56]
	s_waitcnt vmcnt(56)
	v_fma_f64 v[39:40], v[1:2], v[41:42], -v[39:40]
	ds_read_b128 v[5:8], v70 offset:1344
	v_fma_f64 v[35:36], v[3:4], v[41:42], v[35:36]
	s_clause 0x2
	buffer_load_dword v52, off, s[0:3], 0 offset:652
	buffer_load_dword v42, off, s[0:3], 0 offset:628
	;; [unrolled: 1-line block ×3, first 2 shown]
	ds_read_b128 v[1:4], v70 offset:1360
	v_add_f64 v[21:22], v[21:22], v[47:48]
	v_add_f64 v[13:14], v[13:14], v[43:44]
	s_waitcnt vmcnt(58) lgkmcnt(1)
	v_mul_f64 v[47:48], v[7:8], v[59:60]
	s_waitcnt vmcnt(56)
	v_fma_f64 v[55:56], v[9:10], v[61:62], -v[54:55]
	v_mul_f64 v[43:44], v[5:6], v[59:60]
	v_add_f64 v[21:22], v[21:22], v[39:40]
	v_fma_f64 v[39:40], v[11:12], v[61:62], v[124:125]
	v_add_f64 v[13:14], v[13:14], v[35:36]
	s_clause 0x4
	buffer_load_dword v36, off, s[0:3], 0 offset:668
	buffer_load_dword v59, off, s[0:3], 0 offset:680
	;; [unrolled: 1-line block ×5, first 2 shown]
	s_waitcnt vmcnt(57) lgkmcnt(0)
	v_mul_f64 v[124:125], v[1:2], v[63:64]
	v_mul_f64 v[62:63], v[3:4], v[63:64]
	s_waitcnt vmcnt(56)
	v_fma_f64 v[47:48], v[5:6], v[49:50], -v[47:48]
	ds_read_b128 v[9:12], v70 offset:1376
	v_fma_f64 v[43:44], v[7:8], v[49:50], v[43:44]
	v_add_f64 v[21:22], v[21:22], v[55:56]
	v_add_f64 v[13:14], v[13:14], v[39:40]
	s_clause 0x2
	buffer_load_dword v60, off, s[0:3], 0 offset:684
	buffer_load_dword v40, off, s[0:3], 0 offset:660
	;; [unrolled: 1-line block ×3, first 2 shown]
	ds_read_b128 v[5:8], v70 offset:1392
	s_waitcnt vmcnt(58) lgkmcnt(1)
	v_mul_f64 v[55:56], v[11:12], v[65:66]
	s_waitcnt vmcnt(56)
	v_fma_f64 v[63:64], v[1:2], v[67:68], -v[62:63]
	v_mul_f64 v[49:50], v[9:10], v[65:66]
	v_add_f64 v[21:22], v[21:22], v[47:48]
	v_fma_f64 v[47:48], v[3:4], v[67:68], v[124:125]
	v_add_f64 v[13:14], v[13:14], v[43:44]
	s_clause 0x4
	buffer_load_dword v44, off, s[0:3], 0 offset:700
	buffer_load_dword v65, off, s[0:3], 0 offset:712
	;; [unrolled: 1-line block ×5, first 2 shown]
	s_waitcnt vmcnt(57) lgkmcnt(0)
	v_mul_f64 v[124:125], v[5:6], v[109:110]
	v_mul_f64 v[109:110], v[7:8], v[109:110]
	s_waitcnt vmcnt(56)
	v_fma_f64 v[55:56], v[9:10], v[57:58], -v[55:56]
	ds_read_b128 v[1:4], v70 offset:1408
	v_fma_f64 v[49:50], v[11:12], v[57:58], v[49:50]
	v_add_f64 v[21:22], v[21:22], v[63:64]
	v_add_f64 v[13:14], v[13:14], v[47:48]
	s_clause 0x2
	buffer_load_dword v66, off, s[0:3], 0 offset:716
	buffer_load_dword v48, off, s[0:3], 0 offset:692
	;; [unrolled: 1-line block ×3, first 2 shown]
	ds_read_b128 v[9:12], v70 offset:1424
	s_waitcnt vmcnt(58) lgkmcnt(1)
	v_mul_f64 v[63:64], v[3:4], v[111:112]
	v_mul_f64 v[57:58], v[1:2], v[111:112]
	s_waitcnt vmcnt(56)
	v_fma_f64 v[109:110], v[5:6], v[17:18], -v[109:110]
	v_fma_f64 v[17:18], v[7:8], v[17:18], v[124:125]
	v_add_f64 v[21:22], v[21:22], v[55:56]
	v_add_f64 v[13:14], v[13:14], v[49:50]
	s_clause 0x4
	buffer_load_dword v50, off, s[0:3], 0 offset:732
	buffer_load_dword v55, off, s[0:3], 0 offset:744
	;; [unrolled: 1-line block ×5, first 2 shown]
	ds_read_b128 v[5:8], v70 offset:1440
	s_waitcnt vmcnt(57) lgkmcnt(1)
	v_mul_f64 v[124:125], v[9:10], v[15:16]
	v_mul_f64 v[15:16], v[11:12], v[15:16]
	s_waitcnt vmcnt(56)
	v_fma_f64 v[63:64], v[1:2], v[113:114], -v[63:64]
	v_fma_f64 v[57:58], v[3:4], v[113:114], v[57:58]
	v_add_f64 v[21:22], v[21:22], v[109:110]
	v_add_f64 v[13:14], v[13:14], v[17:18]
	s_clause 0x2
	buffer_load_dword v56, off, s[0:3], 0 offset:748
	buffer_load_dword v18, off, s[0:3], 0 offset:724
	;; [unrolled: 1-line block ×3, first 2 shown]
	s_waitcnt vmcnt(58) lgkmcnt(0)
	v_mul_f64 v[113:114], v[7:8], v[115:116]
	ds_read_b128 v[1:4], v70 offset:1456
	v_mul_f64 v[109:110], v[5:6], v[115:116]
	s_waitcnt vmcnt(56)
	v_fma_f64 v[15:16], v[9:10], v[107:108], -v[15:16]
	v_add_f64 v[21:22], v[21:22], v[63:64]
	v_fma_f64 v[63:64], v[11:12], v[107:108], v[124:125]
	v_add_f64 v[13:14], v[13:14], v[57:58]
	s_clause 0x4
	buffer_load_dword v58, off, s[0:3], 0 offset:764
	buffer_load_dword v107, off, s[0:3], 0 offset:776
	;; [unrolled: 1-line block ×5, first 2 shown]
	ds_read_b128 v[9:12], v70 offset:1472
	s_waitcnt vmcnt(57) lgkmcnt(1)
	v_mul_f64 v[124:125], v[1:2], v[33:34]
	v_mul_f64 v[33:34], v[3:4], v[33:34]
	s_waitcnt vmcnt(56)
	v_fma_f64 v[113:114], v[5:6], v[120:121], -v[113:114]
	v_add_f64 v[15:16], v[21:22], v[15:16]
	v_fma_f64 v[21:22], v[7:8], v[120:121], v[109:110]
	v_add_f64 v[13:14], v[13:14], v[63:64]
	s_clause 0x2
	buffer_load_dword v108, off, s[0:3], 0 offset:780
	buffer_load_dword v64, off, s[0:3], 0 offset:756
	;; [unrolled: 1-line block ×3, first 2 shown]
	ds_read_b128 v[5:8], v70 offset:1488
	s_waitcnt vmcnt(58) lgkmcnt(1)
	v_mul_f64 v[109:110], v[9:10], v[105:106]
	v_mul_f64 v[105:106], v[11:12], v[105:106]
	s_waitcnt vmcnt(56)
	v_fma_f64 v[33:34], v[1:2], v[27:28], -v[33:34]
	v_fma_f64 v[27:28], v[3:4], v[27:28], v[124:125]
	v_add_f64 v[15:16], v[15:16], v[113:114]
	v_add_f64 v[13:14], v[13:14], v[21:22]
	s_clause 0x4
	buffer_load_dword v22, off, s[0:3], 0 offset:796
	buffer_load_dword v113, off, s[0:3], 0 offset:808
	;; [unrolled: 1-line block ×5, first 2 shown]
	ds_read_b128 v[1:4], v70 offset:1504
	s_waitcnt vmcnt(57) lgkmcnt(1)
	v_mul_f64 v[120:121], v[5:6], v[19:20]
	v_mul_f64 v[19:20], v[7:8], v[19:20]
	s_waitcnt vmcnt(56)
	v_fma_f64 v[105:106], v[9:10], v[122:123], -v[105:106]
	v_add_f64 v[15:16], v[15:16], v[33:34]
	v_fma_f64 v[33:34], v[11:12], v[122:123], v[109:110]
	v_add_f64 v[13:14], v[13:14], v[27:28]
	s_clause 0x2
	buffer_load_dword v114, off, s[0:3], 0 offset:812
	buffer_load_dword v28, off, s[0:3], 0 offset:788
	;; [unrolled: 1-line block ×3, first 2 shown]
	ds_read_b128 v[9:12], v70 offset:1520
	s_waitcnt vmcnt(58) lgkmcnt(1)
	v_mul_f64 v[109:110], v[1:2], v[37:38]
	v_mul_f64 v[37:38], v[3:4], v[37:38]
	s_waitcnt vmcnt(56)
	v_fma_f64 v[19:20], v[5:6], v[25:26], -v[19:20]
	v_fma_f64 v[25:26], v[7:8], v[25:26], v[120:121]
	v_add_f64 v[15:16], v[15:16], v[105:106]
	v_add_f64 v[13:14], v[13:14], v[33:34]
	s_clause 0x4
	buffer_load_dword v34, off, s[0:3], 0 offset:828
	buffer_load_dword v105, off, s[0:3], 0 offset:840
	;; [unrolled: 1-line block ×5, first 2 shown]
	ds_read_b128 v[5:8], v70 offset:1536
	s_waitcnt vmcnt(57) lgkmcnt(1)
	v_mul_f64 v[122:123], v[9:10], v[23:24]
	v_mul_f64 v[23:24], v[11:12], v[23:24]
	s_waitcnt vmcnt(56)
	v_fma_f64 v[37:38], v[1:2], v[117:118], -v[37:38]
	v_add_f64 v[15:16], v[15:16], v[19:20]
	v_fma_f64 v[19:20], v[3:4], v[117:118], v[109:110]
	v_add_f64 v[13:14], v[13:14], v[25:26]
	s_clause 0x2
	buffer_load_dword v106, off, s[0:3], 0 offset:844
	buffer_load_dword v26, off, s[0:3], 0 offset:820
	;; [unrolled: 1-line block ×3, first 2 shown]
	s_waitcnt vmcnt(58) lgkmcnt(0)
	v_mul_f64 v[109:110], v[5:6], v[45:46]
	v_mul_f64 v[45:46], v[7:8], v[45:46]
	ds_read_b128 v[1:4], v70 offset:1552
	s_waitcnt vmcnt(56)
	v_fma_f64 v[23:24], v[9:10], v[31:32], -v[23:24]
	v_fma_f64 v[31:32], v[11:12], v[31:32], v[122:123]
	v_add_f64 v[15:16], v[15:16], v[37:38]
	v_add_f64 v[13:14], v[13:14], v[19:20]
	s_clause 0x4
	buffer_load_dword v20, off, s[0:3], 0 offset:860
	buffer_load_dword v37, off, s[0:3], 0 offset:872
	buffer_load_dword v117, off, s[0:3], 0 offset:864
	buffer_load_dword v19, off, s[0:3], 0 offset:856
	buffer_load_dword v122, off, s[0:3], 0 offset:836
	ds_read_b128 v[9:12], v70 offset:1568
	s_waitcnt vmcnt(57) lgkmcnt(1)
	v_mul_f64 v[123:124], v[1:2], v[29:30]
	v_mul_f64 v[29:30], v[3:4], v[29:30]
	s_waitcnt vmcnt(56)
	v_fma_f64 v[45:46], v[5:6], v[71:72], -v[45:46]
	v_add_f64 v[15:16], v[15:16], v[23:24]
	v_fma_f64 v[23:24], v[7:8], v[71:72], v[109:110]
	v_add_f64 v[13:14], v[13:14], v[31:32]
	s_clause 0x2
	buffer_load_dword v38, off, s[0:3], 0 offset:876
	buffer_load_dword v32, off, s[0:3], 0 offset:852
	;; [unrolled: 1-line block ×3, first 2 shown]
	s_waitcnt vmcnt(58) lgkmcnt(0)
	v_mul_f64 v[71:72], v[9:10], v[51:52]
	v_mul_f64 v[51:52], v[11:12], v[51:52]
	ds_read_b128 v[5:8], v70 offset:1584
	s_waitcnt vmcnt(56)
	v_fma_f64 v[29:30], v[1:2], v[41:42], -v[29:30]
	v_fma_f64 v[41:42], v[3:4], v[41:42], v[123:124]
	v_add_f64 v[15:16], v[15:16], v[45:46]
	v_add_f64 v[13:14], v[13:14], v[23:24]
	s_clause 0x4
	buffer_load_dword v24, off, s[0:3], 0 offset:892
	buffer_load_dword v45, off, s[0:3], 0 offset:904
	buffer_load_dword v109, off, s[0:3], 0 offset:896
	buffer_load_dword v23, off, s[0:3], 0 offset:888
	buffer_load_dword v118, off, s[0:3], 0 offset:868
	ds_read_b128 v[1:4], v70 offset:1600
	s_waitcnt vmcnt(57) lgkmcnt(1)
	v_mul_f64 v[123:124], v[5:6], v[35:36]
	v_mul_f64 v[35:36], v[7:8], v[35:36]
	s_waitcnt vmcnt(56)
	v_fma_f64 v[51:52], v[9:10], v[53:54], -v[51:52]
	v_add_f64 v[15:16], v[15:16], v[29:30]
	v_fma_f64 v[29:30], v[11:12], v[53:54], v[71:72]
	v_add_f64 v[13:14], v[13:14], v[41:42]
	s_clause 0x2
	buffer_load_dword v46, off, s[0:3], 0 offset:908
	buffer_load_dword v42, off, s[0:3], 0 offset:884
	;; [unrolled: 1-line block ×3, first 2 shown]
	ds_read_b128 v[9:12], v70 offset:1616
	s_waitcnt vmcnt(58) lgkmcnt(1)
	v_mul_f64 v[53:54], v[1:2], v[59:60]
	v_mul_f64 v[59:60], v[3:4], v[59:60]
	s_waitcnt vmcnt(56)
	v_fma_f64 v[35:36], v[5:6], v[39:40], -v[35:36]
	v_fma_f64 v[39:40], v[7:8], v[39:40], v[123:124]
	v_add_f64 v[15:16], v[15:16], v[51:52]
	v_add_f64 v[13:14], v[13:14], v[29:30]
	s_clause 0x4
	buffer_load_dword v30, off, s[0:3], 0 offset:924
	buffer_load_dword v51, off, s[0:3], 0 offset:936
	;; [unrolled: 1-line block ×5, first 2 shown]
	ds_read_b128 v[5:8], v70 offset:1632
	s_waitcnt vmcnt(57) lgkmcnt(1)
	v_mul_f64 v[123:124], v[9:10], v[43:44]
	v_mul_f64 v[43:44], v[11:12], v[43:44]
	s_waitcnt vmcnt(56)
	v_fma_f64 v[59:60], v[1:2], v[61:62], -v[59:60]
	v_add_f64 v[15:16], v[15:16], v[35:36]
	v_fma_f64 v[35:36], v[3:4], v[61:62], v[53:54]
	v_add_f64 v[13:14], v[13:14], v[39:40]
	s_clause 0x2
	buffer_load_dword v52, off, s[0:3], 0 offset:940
	buffer_load_dword v40, off, s[0:3], 0 offset:916
	;; [unrolled: 1-line block ×3, first 2 shown]
	ds_read_b128 v[1:4], v70 offset:1648
	s_waitcnt vmcnt(58) lgkmcnt(1)
	v_mul_f64 v[61:62], v[7:8], v[65:66]
	v_mul_f64 v[53:54], v[5:6], v[65:66]
	s_waitcnt vmcnt(56)
	v_fma_f64 v[43:44], v[9:10], v[47:48], -v[43:44]
	v_fma_f64 v[47:48], v[11:12], v[47:48], v[123:124]
	v_add_f64 v[15:16], v[15:16], v[59:60]
	v_add_f64 v[13:14], v[13:14], v[35:36]
	s_clause 0x2
	buffer_load_dword v36, off, s[0:3], 0 offset:956
	buffer_load_dword v35, off, s[0:3], 0 offset:952
	;; [unrolled: 1-line block ×3, first 2 shown]
	ds_read_b128 v[9:12], v70 offset:1664
	s_waitcnt vmcnt(55) lgkmcnt(1)
	v_mul_f64 v[59:60], v[1:2], v[49:50]
	v_mul_f64 v[49:50], v[3:4], v[49:50]
	s_waitcnt vmcnt(54)
	v_fma_f64 v[61:62], v[5:6], v[67:68], -v[61:62]
	v_add_f64 v[15:16], v[15:16], v[43:44]
	v_fma_f64 v[43:44], v[7:8], v[67:68], v[53:54]
	v_add_f64 v[13:14], v[13:14], v[47:48]
	s_clause 0x1
	buffer_load_dword v48, off, s[0:3], 0 offset:948
	buffer_load_dword v47, off, s[0:3], 0 offset:944
	ds_read_b128 v[5:8], v70 offset:1680
	s_waitcnt vmcnt(55) lgkmcnt(1)
	v_mul_f64 v[53:54], v[9:10], v[55:56]
	v_mul_f64 v[55:56], v[11:12], v[55:56]
	s_waitcnt vmcnt(53)
	v_fma_f64 v[49:50], v[1:2], v[17:18], -v[49:50]
	v_fma_f64 v[17:18], v[3:4], v[17:18], v[59:60]
	ds_read_b128 v[1:4], v70 offset:1696
	v_add_f64 v[15:16], v[15:16], v[61:62]
	v_add_f64 v[13:14], v[13:14], v[43:44]
	s_waitcnt vmcnt(49) lgkmcnt(1)
	v_mul_f64 v[43:44], v[5:6], v[57:58]
	v_mul_f64 v[57:58], v[7:8], v[57:58]
	s_waitcnt vmcnt(48)
	v_fma_f64 v[55:56], v[9:10], v[111:112], -v[55:56]
	v_add_f64 v[15:16], v[15:16], v[49:50]
	v_fma_f64 v[49:50], v[11:12], v[111:112], v[53:54]
	v_add_f64 v[13:14], v[13:14], v[17:18]
	s_clause 0x3
	buffer_load_dword v17, off, s[0:3], 0 offset:208
	buffer_load_dword v18, off, s[0:3], 0 offset:212
	;; [unrolled: 1-line block ×4, first 2 shown]
	ds_read_b128 v[9:12], v70 offset:1712
	s_waitcnt vmcnt(51) lgkmcnt(1)
	v_mul_f64 v[61:62], v[3:4], v[107:108]
	v_mul_f64 v[59:60], v[1:2], v[107:108]
	s_waitcnt vmcnt(49)
	v_fma_f64 v[57:58], v[5:6], v[63:64], -v[57:58]
	v_fma_f64 v[43:44], v[7:8], v[63:64], v[43:44]
	ds_read_b128 v[5:8], v70 offset:1728
	v_add_f64 v[15:16], v[15:16], v[55:56]
	v_add_f64 v[13:14], v[13:14], v[49:50]
	s_waitcnt vmcnt(45) lgkmcnt(1)
	v_mul_f64 v[49:50], v[9:10], v[21:22]
	v_mul_f64 v[21:22], v[11:12], v[21:22]
	s_waitcnt vmcnt(44)
	v_fma_f64 v[55:56], v[1:2], v[115:116], -v[61:62]
	v_add_f64 v[15:16], v[15:16], v[57:58]
	v_fma_f64 v[57:58], v[3:4], v[115:116], v[59:60]
	v_add_f64 v[13:14], v[13:14], v[43:44]
	ds_read_b128 v[1:4], v70 offset:1744
	s_waitcnt vmcnt(43) lgkmcnt(1)
	v_mul_f64 v[59:60], v[7:8], v[113:114]
	v_mul_f64 v[43:44], v[5:6], v[113:114]
	s_waitcnt vmcnt(41)
	v_fma_f64 v[21:22], v[9:10], v[27:28], -v[21:22]
	v_fma_f64 v[27:28], v[11:12], v[27:28], v[49:50]
	ds_read_b128 v[9:12], v70 offset:1760
	v_add_f64 v[15:16], v[15:16], v[55:56]
	v_add_f64 v[13:14], v[13:14], v[57:58]
	s_waitcnt vmcnt(37) lgkmcnt(1)
	v_mul_f64 v[49:50], v[1:2], v[33:34]
	v_mul_f64 v[33:34], v[3:4], v[33:34]
	s_waitcnt vmcnt(36)
	v_fma_f64 v[55:56], v[5:6], v[119:120], -v[59:60]
	v_add_f64 v[15:16], v[15:16], v[21:22]
	v_fma_f64 v[21:22], v[7:8], v[119:120], v[43:44]
	v_add_f64 v[13:14], v[13:14], v[27:28]
	ds_read_b128 v[5:8], v70 offset:1776
	s_waitcnt vmcnt(35) lgkmcnt(1)
	v_mul_f64 v[43:44], v[11:12], v[105:106]
	v_mul_f64 v[27:28], v[9:10], v[105:106]
	s_waitcnt vmcnt(33)
	v_fma_f64 v[33:34], v[1:2], v[25:26], -v[33:34]
	v_fma_f64 v[25:26], v[3:4], v[25:26], v[49:50]
	ds_read_b128 v[1:4], v70 offset:1792
	v_add_f64 v[15:16], v[15:16], v[55:56]
	v_add_f64 v[13:14], v[13:14], v[21:22]
	s_waitcnt vmcnt(29) lgkmcnt(1)
	v_mul_f64 v[21:22], v[5:6], v[19:20]
	v_mul_f64 v[19:20], v[7:8], v[19:20]
	s_waitcnt vmcnt(28)
	v_fma_f64 v[43:44], v[9:10], v[121:122], -v[43:44]
	v_fma_f64 v[27:28], v[11:12], v[121:122], v[27:28]
	ds_read_b128 v[9:12], v70 offset:1808
	v_add_f64 v[15:16], v[15:16], v[33:34]
	v_add_f64 v[13:14], v[13:14], v[25:26]
	;; [unrolled: 9-line block ×3, first 2 shown]
	s_waitcnt vmcnt(21) lgkmcnt(1)
	v_mul_f64 v[27:28], v[9:10], v[23:24]
	v_mul_f64 v[23:24], v[11:12], v[23:24]
	s_waitcnt vmcnt(20)
	v_fma_f64 v[31:32], v[1:2], v[117:118], -v[33:34]
	v_add_f64 v[15:16], v[15:16], v[19:20]
	v_fma_f64 v[19:20], v[3:4], v[117:118], v[25:26]
	v_add_f64 v[13:14], v[13:14], v[21:22]
	ds_read_b128 v[1:4], v70 offset:1840
	s_waitcnt vmcnt(19) lgkmcnt(1)
	v_mul_f64 v[25:26], v[7:8], v[45:46]
	v_mul_f64 v[21:22], v[5:6], v[45:46]
	s_waitcnt vmcnt(17)
	v_fma_f64 v[23:24], v[9:10], v[41:42], -v[23:24]
	v_fma_f64 v[27:28], v[11:12], v[41:42], v[27:28]
	ds_read_b128 v[9:12], v70 offset:1856
	v_add_f64 v[15:16], v[15:16], v[31:32]
	v_add_f64 v[13:14], v[13:14], v[19:20]
	s_waitcnt vmcnt(13) lgkmcnt(1)
	v_mul_f64 v[19:20], v[1:2], v[29:30]
	v_mul_f64 v[29:30], v[3:4], v[29:30]
	s_waitcnt vmcnt(12)
	v_fma_f64 v[25:26], v[5:6], v[109:110], -v[25:26]
	v_fma_f64 v[21:22], v[7:8], v[109:110], v[21:22]
	ds_read_b128 v[5:8], v70 offset:1872
	v_add_f64 v[15:16], v[15:16], v[23:24]
	v_add_f64 v[13:14], v[13:14], v[27:28]
	s_waitcnt vmcnt(11) lgkmcnt(1)
	v_mul_f64 v[27:28], v[11:12], v[51:52]
	v_mul_f64 v[23:24], v[9:10], v[51:52]
	s_waitcnt vmcnt(9)
	v_fma_f64 v[1:2], v[1:2], v[39:40], -v[29:30]
	v_fma_f64 v[3:4], v[3:4], v[39:40], v[19:20]
	v_add_f64 v[15:16], v[15:16], v[25:26]
	v_add_f64 v[13:14], v[13:14], v[21:22]
	s_waitcnt vmcnt(7) lgkmcnt(0)
	v_mul_f64 v[21:22], v[7:8], v[35:36]
	s_waitcnt vmcnt(6)
	v_fma_f64 v[9:10], v[9:10], v[71:72], -v[27:28]
	v_mul_f64 v[19:20], v[5:6], v[35:36]
	v_fma_f64 v[11:12], v[11:12], v[71:72], v[23:24]
	v_add_f64 v[1:2], v[15:16], v[1:2]
	v_add_f64 v[3:4], v[13:14], v[3:4]
	s_waitcnt vmcnt(4)
	v_fma_f64 v[5:6], v[5:6], v[47:48], -v[21:22]
	v_fma_f64 v[7:8], v[7:8], v[47:48], v[19:20]
	v_add_f64 v[1:2], v[1:2], v[9:10]
	v_add_f64 v[3:4], v[3:4], v[11:12]
	v_add_f64 v[1:2], v[1:2], v[5:6]
	v_add_f64 v[3:4], v[3:4], v[7:8]
	s_waitcnt vmcnt(2)
	v_add_f64 v[1:2], v[17:18], -v[1:2]
	s_waitcnt vmcnt(0)
	v_add_f64 v[3:4], v[53:54], -v[3:4]
	buffer_store_dword v2, off, s[0:3], 0 offset:212
	buffer_store_dword v1, off, s[0:3], 0 offset:208
	;; [unrolled: 1-line block ×4, first 2 shown]
	v_cmpx_lt_u32_e32 11, v0
	s_cbranch_execz .LBB58_345
; %bb.344:
	v_mov_b32_e32 v4, s59
	v_mov_b32_e32 v5, 0
	s_clause 0x3
	buffer_load_dword v1, v4, s[0:3], 0 offen
	buffer_load_dword v2, v4, s[0:3], 0 offen offset:4
	buffer_load_dword v3, v4, s[0:3], 0 offen offset:8
	;; [unrolled: 1-line block ×3, first 2 shown]
	buffer_store_dword v5, off, s[0:3], 0 offset:192
	buffer_store_dword v5, off, s[0:3], 0 offset:196
	;; [unrolled: 1-line block ×4, first 2 shown]
	s_waitcnt vmcnt(0)
	ds_write_b128 v69, v[1:4]
.LBB58_345:
	s_or_b32 exec_lo, exec_lo, s4
	s_waitcnt lgkmcnt(0)
	s_waitcnt_vscnt null, 0x0
	s_barrier
	buffer_gl0_inv
	s_clause 0x37
	buffer_load_dword v17, off, s[0:3], 0 offset:216
	buffer_load_dword v18, off, s[0:3], 0 offset:220
	buffer_load_dword v13, off, s[0:3], 0 offset:232
	buffer_load_dword v14, off, s[0:3], 0 offset:236
	buffer_load_dword v15, off, s[0:3], 0 offset:208
	buffer_load_dword v16, off, s[0:3], 0 offset:212
	buffer_load_dword v11, off, s[0:3], 0 offset:248
	buffer_load_dword v12, off, s[0:3], 0 offset:252
	buffer_load_dword v9, off, s[0:3], 0 offset:224
	buffer_load_dword v10, off, s[0:3], 0 offset:228
	buffer_load_dword v22, off, s[0:3], 0 offset:268
	buffer_load_dword v25, off, s[0:3], 0 offset:280
	buffer_load_dword v19, off, s[0:3], 0 offset:272
	buffer_load_dword v21, off, s[0:3], 0 offset:264
	buffer_load_dword v33, off, s[0:3], 0 offset:240
	buffer_load_dword v34, off, s[0:3], 0 offset:244
	buffer_load_dword v26, off, s[0:3], 0 offset:284
	buffer_load_dword v28, off, s[0:3], 0 offset:260
	buffer_load_dword v27, off, s[0:3], 0 offset:256
	buffer_load_dword v30, off, s[0:3], 0 offset:300
	buffer_load_dword v35, off, s[0:3], 0 offset:312
	buffer_load_dword v23, off, s[0:3], 0 offset:304
	buffer_load_dword v29, off, s[0:3], 0 offset:296
	buffer_load_dword v20, off, s[0:3], 0 offset:276
	buffer_load_dword v36, off, s[0:3], 0 offset:316
	buffer_load_dword v38, off, s[0:3], 0 offset:292
	buffer_load_dword v37, off, s[0:3], 0 offset:288
	buffer_load_dword v40, off, s[0:3], 0 offset:332
	buffer_load_dword v43, off, s[0:3], 0 offset:344
	buffer_load_dword v31, off, s[0:3], 0 offset:336
	buffer_load_dword v39, off, s[0:3], 0 offset:328
	buffer_load_dword v24, off, s[0:3], 0 offset:308
	buffer_load_dword v44, off, s[0:3], 0 offset:348
	buffer_load_dword v46, off, s[0:3], 0 offset:324
	buffer_load_dword v45, off, s[0:3], 0 offset:320
	buffer_load_dword v48, off, s[0:3], 0 offset:364
	buffer_load_dword v51, off, s[0:3], 0 offset:376
	buffer_load_dword v41, off, s[0:3], 0 offset:368
	buffer_load_dword v47, off, s[0:3], 0 offset:360
	buffer_load_dword v32, off, s[0:3], 0 offset:340
	buffer_load_dword v52, off, s[0:3], 0 offset:380
	buffer_load_dword v54, off, s[0:3], 0 offset:356
	buffer_load_dword v53, off, s[0:3], 0 offset:352
	buffer_load_dword v56, off, s[0:3], 0 offset:396
	buffer_load_dword v59, off, s[0:3], 0 offset:408
	buffer_load_dword v49, off, s[0:3], 0 offset:400
	buffer_load_dword v55, off, s[0:3], 0 offset:392
	buffer_load_dword v42, off, s[0:3], 0 offset:372
	buffer_load_dword v60, off, s[0:3], 0 offset:412
	buffer_load_dword v62, off, s[0:3], 0 offset:388
	buffer_load_dword v61, off, s[0:3], 0 offset:384
	buffer_load_dword v64, off, s[0:3], 0 offset:428
	buffer_load_dword v65, off, s[0:3], 0 offset:440
	buffer_load_dword v57, off, s[0:3], 0 offset:432
	buffer_load_dword v63, off, s[0:3], 0 offset:424
	buffer_load_dword v50, off, s[0:3], 0 offset:404
	v_mov_b32_e32 v70, 0
	s_mov_b32 s4, exec_lo
	ds_read_b128 v[5:8], v70 offset:1136
	s_clause 0x2
	buffer_load_dword v66, off, s[0:3], 0 offset:444
	buffer_load_dword v68, off, s[0:3], 0 offset:420
	;; [unrolled: 1-line block ×3, first 2 shown]
	ds_read_b128 v[1:4], v70 offset:1152
	s_clause 0x4
	buffer_load_dword v110, off, s[0:3], 0 offset:460
	buffer_load_dword v111, off, s[0:3], 0 offset:472
	;; [unrolled: 1-line block ×5, first 2 shown]
	ds_read_b128 v[105:108], v70 offset:1168
	s_waitcnt vmcnt(62) lgkmcnt(2)
	v_mul_f64 v[71:72], v[7:8], v[17:18]
	v_mul_f64 v[17:18], v[5:6], v[17:18]
	s_waitcnt vmcnt(60) lgkmcnt(1)
	v_mul_f64 v[114:115], v[3:4], v[13:14]
	v_mul_f64 v[13:14], v[1:2], v[13:14]
	;; [unrolled: 3-line block ×3, first 2 shown]
	v_fma_f64 v[71:72], v[5:6], v[15:16], -v[71:72]
	v_fma_f64 v[15:16], v[7:8], v[15:16], v[17:18]
	s_clause 0x2
	buffer_load_dword v112, off, s[0:3], 0 offset:476
	buffer_load_dword v18, off, s[0:3], 0 offset:452
	;; [unrolled: 1-line block ×3, first 2 shown]
	s_waitcnt vmcnt(57)
	v_fma_f64 v[118:119], v[1:2], v[9:10], -v[114:115]
	ds_read_b128 v[5:8], v70 offset:1184
	v_fma_f64 v[9:10], v[3:4], v[9:10], v[13:14]
	s_waitcnt vmcnt(51)
	v_fma_f64 v[105:106], v[105:106], v[33:34], -v[11:12]
	v_fma_f64 v[33:34], v[107:108], v[33:34], v[116:117]
	v_add_f64 v[71:72], v[71:72], 0
	v_add_f64 v[13:14], v[15:16], 0
	s_clause 0x4
	buffer_load_dword v16, off, s[0:3], 0 offset:492
	buffer_load_dword v115, off, s[0:3], 0 offset:504
	;; [unrolled: 1-line block ×5, first 2 shown]
	s_waitcnt lgkmcnt(0)
	v_mul_f64 v[121:122], v[5:6], v[21:22]
	v_mul_f64 v[21:22], v[7:8], v[21:22]
	ds_read_b128 v[1:4], v70 offset:1200
	s_clause 0x2
	buffer_load_dword v116, off, s[0:3], 0 offset:508
	buffer_load_dword v108, off, s[0:3], 0 offset:484
	;; [unrolled: 1-line block ×3, first 2 shown]
	v_add_f64 v[71:72], v[71:72], v[118:119]
	v_add_f64 v[13:14], v[13:14], v[9:10]
	ds_read_b128 v[9:12], v70 offset:1216
	s_waitcnt vmcnt(58) lgkmcnt(1)
	v_mul_f64 v[117:118], v[1:2], v[25:26]
	v_mul_f64 v[25:26], v[3:4], v[25:26]
	s_waitcnt vmcnt(56)
	v_fma_f64 v[21:22], v[5:6], v[27:28], -v[21:22]
	v_fma_f64 v[27:28], v[7:8], v[27:28], v[121:122]
	s_waitcnt vmcnt(52) lgkmcnt(0)
	v_mul_f64 v[123:124], v[9:10], v[29:30]
	v_add_f64 v[71:72], v[71:72], v[105:106]
	v_add_f64 v[13:14], v[13:14], v[33:34]
	s_clause 0x4
	buffer_load_dword v34, off, s[0:3], 0 offset:524
	buffer_load_dword v105, off, s[0:3], 0 offset:536
	;; [unrolled: 1-line block ×5, first 2 shown]
	v_mul_f64 v[29:30], v[11:12], v[29:30]
	s_waitcnt vmcnt(56)
	v_fma_f64 v[25:26], v[1:2], v[19:20], -v[25:26]
	ds_read_b128 v[5:8], v70 offset:1232
	v_fma_f64 v[19:20], v[3:4], v[19:20], v[117:118]
	v_add_f64 v[21:22], v[71:72], v[21:22]
	v_add_f64 v[13:14], v[13:14], v[27:28]
	s_clause 0x2
	buffer_load_dword v106, off, s[0:3], 0 offset:540
	buffer_load_dword v28, off, s[0:3], 0 offset:516
	;; [unrolled: 1-line block ×3, first 2 shown]
	s_waitcnt vmcnt(58) lgkmcnt(0)
	v_mul_f64 v[71:72], v[5:6], v[35:36]
	v_mul_f64 v[35:36], v[7:8], v[35:36]
	s_waitcnt vmcnt(56)
	v_fma_f64 v[29:30], v[9:10], v[37:38], -v[29:30]
	ds_read_b128 v[1:4], v70 offset:1248
	v_add_f64 v[21:22], v[21:22], v[25:26]
	v_fma_f64 v[25:26], v[11:12], v[37:38], v[123:124]
	v_add_f64 v[13:14], v[13:14], v[19:20]
	s_clause 0x4
	buffer_load_dword v20, off, s[0:3], 0 offset:556
	buffer_load_dword v37, off, s[0:3], 0 offset:568
	;; [unrolled: 1-line block ×5, first 2 shown]
	s_waitcnt vmcnt(57) lgkmcnt(0)
	v_mul_f64 v[118:119], v[1:2], v[39:40]
	v_mul_f64 v[39:40], v[3:4], v[39:40]
	s_waitcnt vmcnt(56)
	v_fma_f64 v[35:36], v[5:6], v[23:24], -v[35:36]
	ds_read_b128 v[9:12], v70 offset:1264
	v_fma_f64 v[23:24], v[7:8], v[23:24], v[71:72]
	v_add_f64 v[21:22], v[21:22], v[29:30]
	v_add_f64 v[13:14], v[13:14], v[25:26]
	s_clause 0x2
	buffer_load_dword v38, off, s[0:3], 0 offset:572
	buffer_load_dword v26, off, s[0:3], 0 offset:548
	buffer_load_dword v25, off, s[0:3], 0 offset:544
	ds_read_b128 v[5:8], v70 offset:1280
	s_waitcnt vmcnt(58) lgkmcnt(1)
	v_mul_f64 v[29:30], v[9:10], v[43:44]
	v_mul_f64 v[43:44], v[11:12], v[43:44]
	s_waitcnt vmcnt(56)
	v_fma_f64 v[39:40], v[1:2], v[45:46], -v[39:40]
	v_add_f64 v[21:22], v[21:22], v[35:36]
	v_fma_f64 v[35:36], v[3:4], v[45:46], v[118:119]
	v_add_f64 v[13:14], v[13:14], v[23:24]
	s_clause 0x4
	buffer_load_dword v24, off, s[0:3], 0 offset:588
	buffer_load_dword v45, off, s[0:3], 0 offset:600
	;; [unrolled: 1-line block ×5, first 2 shown]
	s_waitcnt vmcnt(57) lgkmcnt(0)
	v_mul_f64 v[124:125], v[5:6], v[47:48]
	v_mul_f64 v[47:48], v[7:8], v[47:48]
	s_waitcnt vmcnt(56)
	v_fma_f64 v[43:44], v[9:10], v[31:32], -v[43:44]
	ds_read_b128 v[1:4], v70 offset:1296
	v_fma_f64 v[29:30], v[11:12], v[31:32], v[29:30]
	s_clause 0x2
	buffer_load_dword v46, off, s[0:3], 0 offset:604
	buffer_load_dword v32, off, s[0:3], 0 offset:580
	;; [unrolled: 1-line block ×3, first 2 shown]
	ds_read_b128 v[9:12], v70 offset:1312
	v_add_f64 v[21:22], v[21:22], v[39:40]
	v_add_f64 v[13:14], v[13:14], v[35:36]
	s_waitcnt vmcnt(58) lgkmcnt(1)
	v_mul_f64 v[39:40], v[3:4], v[51:52]
	s_waitcnt vmcnt(56)
	v_fma_f64 v[47:48], v[5:6], v[53:54], -v[47:48]
	v_mul_f64 v[35:36], v[1:2], v[51:52]
	v_add_f64 v[21:22], v[21:22], v[43:44]
	v_fma_f64 v[43:44], v[7:8], v[53:54], v[124:125]
	v_add_f64 v[13:14], v[13:14], v[29:30]
	s_clause 0x4
	buffer_load_dword v30, off, s[0:3], 0 offset:620
	buffer_load_dword v51, off, s[0:3], 0 offset:632
	;; [unrolled: 1-line block ×5, first 2 shown]
	s_waitcnt vmcnt(57) lgkmcnt(0)
	v_mul_f64 v[124:125], v[9:10], v[55:56]
	v_mul_f64 v[54:55], v[11:12], v[55:56]
	s_waitcnt vmcnt(56)
	v_fma_f64 v[39:40], v[1:2], v[41:42], -v[39:40]
	ds_read_b128 v[5:8], v70 offset:1328
	v_fma_f64 v[35:36], v[3:4], v[41:42], v[35:36]
	s_clause 0x2
	buffer_load_dword v52, off, s[0:3], 0 offset:636
	buffer_load_dword v42, off, s[0:3], 0 offset:612
	;; [unrolled: 1-line block ×3, first 2 shown]
	ds_read_b128 v[1:4], v70 offset:1344
	v_add_f64 v[21:22], v[21:22], v[47:48]
	v_add_f64 v[13:14], v[13:14], v[43:44]
	s_waitcnt vmcnt(58) lgkmcnt(1)
	v_mul_f64 v[47:48], v[7:8], v[59:60]
	s_waitcnt vmcnt(56)
	v_fma_f64 v[55:56], v[9:10], v[61:62], -v[54:55]
	v_mul_f64 v[43:44], v[5:6], v[59:60]
	v_add_f64 v[21:22], v[21:22], v[39:40]
	v_fma_f64 v[39:40], v[11:12], v[61:62], v[124:125]
	v_add_f64 v[13:14], v[13:14], v[35:36]
	s_clause 0x4
	buffer_load_dword v36, off, s[0:3], 0 offset:652
	buffer_load_dword v59, off, s[0:3], 0 offset:664
	;; [unrolled: 1-line block ×5, first 2 shown]
	s_waitcnt vmcnt(57) lgkmcnt(0)
	v_mul_f64 v[124:125], v[1:2], v[63:64]
	v_mul_f64 v[62:63], v[3:4], v[63:64]
	s_waitcnt vmcnt(56)
	v_fma_f64 v[47:48], v[5:6], v[49:50], -v[47:48]
	ds_read_b128 v[9:12], v70 offset:1360
	v_fma_f64 v[43:44], v[7:8], v[49:50], v[43:44]
	v_add_f64 v[21:22], v[21:22], v[55:56]
	v_add_f64 v[13:14], v[13:14], v[39:40]
	s_clause 0x2
	buffer_load_dword v60, off, s[0:3], 0 offset:668
	buffer_load_dword v40, off, s[0:3], 0 offset:644
	buffer_load_dword v39, off, s[0:3], 0 offset:640
	ds_read_b128 v[5:8], v70 offset:1376
	s_waitcnt vmcnt(58) lgkmcnt(1)
	v_mul_f64 v[55:56], v[11:12], v[65:66]
	s_waitcnt vmcnt(56)
	v_fma_f64 v[63:64], v[1:2], v[67:68], -v[62:63]
	v_mul_f64 v[49:50], v[9:10], v[65:66]
	v_add_f64 v[21:22], v[21:22], v[47:48]
	v_fma_f64 v[47:48], v[3:4], v[67:68], v[124:125]
	v_add_f64 v[13:14], v[13:14], v[43:44]
	s_clause 0x4
	buffer_load_dword v44, off, s[0:3], 0 offset:684
	buffer_load_dword v65, off, s[0:3], 0 offset:696
	;; [unrolled: 1-line block ×5, first 2 shown]
	s_waitcnt vmcnt(57) lgkmcnt(0)
	v_mul_f64 v[124:125], v[5:6], v[109:110]
	v_mul_f64 v[109:110], v[7:8], v[109:110]
	s_waitcnt vmcnt(56)
	v_fma_f64 v[55:56], v[9:10], v[57:58], -v[55:56]
	ds_read_b128 v[1:4], v70 offset:1392
	v_fma_f64 v[49:50], v[11:12], v[57:58], v[49:50]
	v_add_f64 v[21:22], v[21:22], v[63:64]
	v_add_f64 v[13:14], v[13:14], v[47:48]
	s_clause 0x2
	buffer_load_dword v66, off, s[0:3], 0 offset:700
	buffer_load_dword v48, off, s[0:3], 0 offset:676
	buffer_load_dword v47, off, s[0:3], 0 offset:672
	ds_read_b128 v[9:12], v70 offset:1408
	s_waitcnt vmcnt(58) lgkmcnt(1)
	v_mul_f64 v[63:64], v[3:4], v[111:112]
	v_mul_f64 v[57:58], v[1:2], v[111:112]
	s_waitcnt vmcnt(56)
	v_fma_f64 v[109:110], v[5:6], v[17:18], -v[109:110]
	v_fma_f64 v[17:18], v[7:8], v[17:18], v[124:125]
	v_add_f64 v[21:22], v[21:22], v[55:56]
	v_add_f64 v[13:14], v[13:14], v[49:50]
	s_clause 0x4
	buffer_load_dword v50, off, s[0:3], 0 offset:716
	buffer_load_dword v55, off, s[0:3], 0 offset:728
	;; [unrolled: 1-line block ×5, first 2 shown]
	ds_read_b128 v[5:8], v70 offset:1424
	s_waitcnt vmcnt(57) lgkmcnt(1)
	v_mul_f64 v[124:125], v[9:10], v[15:16]
	v_mul_f64 v[15:16], v[11:12], v[15:16]
	s_waitcnt vmcnt(56)
	v_fma_f64 v[63:64], v[1:2], v[113:114], -v[63:64]
	v_fma_f64 v[57:58], v[3:4], v[113:114], v[57:58]
	v_add_f64 v[21:22], v[21:22], v[109:110]
	v_add_f64 v[13:14], v[13:14], v[17:18]
	s_clause 0x2
	buffer_load_dword v56, off, s[0:3], 0 offset:732
	buffer_load_dword v18, off, s[0:3], 0 offset:708
	;; [unrolled: 1-line block ×3, first 2 shown]
	s_waitcnt vmcnt(58) lgkmcnt(0)
	v_mul_f64 v[113:114], v[7:8], v[115:116]
	ds_read_b128 v[1:4], v70 offset:1440
	v_mul_f64 v[109:110], v[5:6], v[115:116]
	s_waitcnt vmcnt(56)
	v_fma_f64 v[15:16], v[9:10], v[107:108], -v[15:16]
	v_add_f64 v[21:22], v[21:22], v[63:64]
	v_fma_f64 v[63:64], v[11:12], v[107:108], v[124:125]
	v_add_f64 v[13:14], v[13:14], v[57:58]
	s_clause 0x4
	buffer_load_dword v58, off, s[0:3], 0 offset:748
	buffer_load_dword v107, off, s[0:3], 0 offset:760
	buffer_load_dword v115, off, s[0:3], 0 offset:752
	buffer_load_dword v57, off, s[0:3], 0 offset:744
	buffer_load_dword v112, off, s[0:3], 0 offset:724
	ds_read_b128 v[9:12], v70 offset:1456
	s_waitcnt vmcnt(57) lgkmcnt(1)
	v_mul_f64 v[124:125], v[1:2], v[33:34]
	v_mul_f64 v[33:34], v[3:4], v[33:34]
	s_waitcnt vmcnt(56)
	v_fma_f64 v[113:114], v[5:6], v[120:121], -v[113:114]
	v_add_f64 v[15:16], v[21:22], v[15:16]
	v_fma_f64 v[21:22], v[7:8], v[120:121], v[109:110]
	v_add_f64 v[13:14], v[13:14], v[63:64]
	s_clause 0x2
	buffer_load_dword v108, off, s[0:3], 0 offset:764
	buffer_load_dword v64, off, s[0:3], 0 offset:740
	;; [unrolled: 1-line block ×3, first 2 shown]
	ds_read_b128 v[5:8], v70 offset:1472
	s_waitcnt vmcnt(58) lgkmcnt(1)
	v_mul_f64 v[109:110], v[9:10], v[105:106]
	v_mul_f64 v[105:106], v[11:12], v[105:106]
	s_waitcnt vmcnt(56)
	v_fma_f64 v[33:34], v[1:2], v[27:28], -v[33:34]
	v_fma_f64 v[27:28], v[3:4], v[27:28], v[124:125]
	v_add_f64 v[15:16], v[15:16], v[113:114]
	v_add_f64 v[13:14], v[13:14], v[21:22]
	s_clause 0x4
	buffer_load_dword v22, off, s[0:3], 0 offset:780
	buffer_load_dword v113, off, s[0:3], 0 offset:792
	;; [unrolled: 1-line block ×5, first 2 shown]
	ds_read_b128 v[1:4], v70 offset:1488
	s_waitcnt vmcnt(57) lgkmcnt(1)
	v_mul_f64 v[120:121], v[5:6], v[19:20]
	v_mul_f64 v[19:20], v[7:8], v[19:20]
	s_waitcnt vmcnt(56)
	v_fma_f64 v[105:106], v[9:10], v[122:123], -v[105:106]
	v_add_f64 v[15:16], v[15:16], v[33:34]
	v_fma_f64 v[33:34], v[11:12], v[122:123], v[109:110]
	v_add_f64 v[13:14], v[13:14], v[27:28]
	s_clause 0x2
	buffer_load_dword v114, off, s[0:3], 0 offset:796
	buffer_load_dword v28, off, s[0:3], 0 offset:772
	;; [unrolled: 1-line block ×3, first 2 shown]
	ds_read_b128 v[9:12], v70 offset:1504
	s_waitcnt vmcnt(58) lgkmcnt(1)
	v_mul_f64 v[109:110], v[1:2], v[37:38]
	v_mul_f64 v[37:38], v[3:4], v[37:38]
	s_waitcnt vmcnt(56)
	v_fma_f64 v[19:20], v[5:6], v[25:26], -v[19:20]
	v_fma_f64 v[25:26], v[7:8], v[25:26], v[120:121]
	v_add_f64 v[15:16], v[15:16], v[105:106]
	v_add_f64 v[13:14], v[13:14], v[33:34]
	s_clause 0x4
	buffer_load_dword v34, off, s[0:3], 0 offset:812
	buffer_load_dword v105, off, s[0:3], 0 offset:824
	;; [unrolled: 1-line block ×5, first 2 shown]
	ds_read_b128 v[5:8], v70 offset:1520
	s_waitcnt vmcnt(57) lgkmcnt(1)
	v_mul_f64 v[122:123], v[9:10], v[23:24]
	v_mul_f64 v[23:24], v[11:12], v[23:24]
	s_waitcnt vmcnt(56)
	v_fma_f64 v[37:38], v[1:2], v[117:118], -v[37:38]
	v_add_f64 v[15:16], v[15:16], v[19:20]
	v_fma_f64 v[19:20], v[3:4], v[117:118], v[109:110]
	v_add_f64 v[13:14], v[13:14], v[25:26]
	s_clause 0x2
	buffer_load_dword v106, off, s[0:3], 0 offset:828
	buffer_load_dword v26, off, s[0:3], 0 offset:804
	;; [unrolled: 1-line block ×3, first 2 shown]
	s_waitcnt vmcnt(58) lgkmcnt(0)
	v_mul_f64 v[109:110], v[5:6], v[45:46]
	v_mul_f64 v[45:46], v[7:8], v[45:46]
	ds_read_b128 v[1:4], v70 offset:1536
	s_waitcnt vmcnt(56)
	v_fma_f64 v[23:24], v[9:10], v[31:32], -v[23:24]
	v_fma_f64 v[31:32], v[11:12], v[31:32], v[122:123]
	v_add_f64 v[15:16], v[15:16], v[37:38]
	v_add_f64 v[13:14], v[13:14], v[19:20]
	s_clause 0x4
	buffer_load_dword v20, off, s[0:3], 0 offset:844
	buffer_load_dword v37, off, s[0:3], 0 offset:856
	;; [unrolled: 1-line block ×5, first 2 shown]
	ds_read_b128 v[9:12], v70 offset:1552
	s_waitcnt vmcnt(57) lgkmcnt(1)
	v_mul_f64 v[123:124], v[1:2], v[29:30]
	v_mul_f64 v[29:30], v[3:4], v[29:30]
	s_waitcnt vmcnt(56)
	v_fma_f64 v[45:46], v[5:6], v[71:72], -v[45:46]
	v_add_f64 v[15:16], v[15:16], v[23:24]
	v_fma_f64 v[23:24], v[7:8], v[71:72], v[109:110]
	v_add_f64 v[13:14], v[13:14], v[31:32]
	s_clause 0x2
	buffer_load_dword v38, off, s[0:3], 0 offset:860
	buffer_load_dword v32, off, s[0:3], 0 offset:836
	;; [unrolled: 1-line block ×3, first 2 shown]
	s_waitcnt vmcnt(58) lgkmcnt(0)
	v_mul_f64 v[71:72], v[9:10], v[51:52]
	v_mul_f64 v[51:52], v[11:12], v[51:52]
	ds_read_b128 v[5:8], v70 offset:1568
	s_waitcnt vmcnt(56)
	v_fma_f64 v[29:30], v[1:2], v[41:42], -v[29:30]
	v_fma_f64 v[41:42], v[3:4], v[41:42], v[123:124]
	v_add_f64 v[15:16], v[15:16], v[45:46]
	v_add_f64 v[13:14], v[13:14], v[23:24]
	s_clause 0x4
	buffer_load_dword v24, off, s[0:3], 0 offset:876
	buffer_load_dword v45, off, s[0:3], 0 offset:888
	;; [unrolled: 1-line block ×5, first 2 shown]
	ds_read_b128 v[1:4], v70 offset:1584
	s_waitcnt vmcnt(57) lgkmcnt(1)
	v_mul_f64 v[123:124], v[5:6], v[35:36]
	v_mul_f64 v[35:36], v[7:8], v[35:36]
	s_waitcnt vmcnt(56)
	v_fma_f64 v[51:52], v[9:10], v[53:54], -v[51:52]
	v_add_f64 v[15:16], v[15:16], v[29:30]
	v_fma_f64 v[29:30], v[11:12], v[53:54], v[71:72]
	v_add_f64 v[13:14], v[13:14], v[41:42]
	s_clause 0x2
	buffer_load_dword v46, off, s[0:3], 0 offset:892
	buffer_load_dword v42, off, s[0:3], 0 offset:868
	;; [unrolled: 1-line block ×3, first 2 shown]
	ds_read_b128 v[9:12], v70 offset:1600
	s_waitcnt vmcnt(58) lgkmcnt(1)
	v_mul_f64 v[53:54], v[1:2], v[59:60]
	v_mul_f64 v[59:60], v[3:4], v[59:60]
	s_waitcnt vmcnt(56)
	v_fma_f64 v[35:36], v[5:6], v[39:40], -v[35:36]
	v_fma_f64 v[39:40], v[7:8], v[39:40], v[123:124]
	v_add_f64 v[15:16], v[15:16], v[51:52]
	v_add_f64 v[13:14], v[13:14], v[29:30]
	s_clause 0x4
	buffer_load_dword v30, off, s[0:3], 0 offset:908
	buffer_load_dword v51, off, s[0:3], 0 offset:920
	;; [unrolled: 1-line block ×5, first 2 shown]
	ds_read_b128 v[5:8], v70 offset:1616
	s_waitcnt vmcnt(57) lgkmcnt(1)
	v_mul_f64 v[123:124], v[9:10], v[43:44]
	v_mul_f64 v[43:44], v[11:12], v[43:44]
	s_waitcnt vmcnt(56)
	v_fma_f64 v[59:60], v[1:2], v[61:62], -v[59:60]
	v_add_f64 v[15:16], v[15:16], v[35:36]
	v_fma_f64 v[35:36], v[3:4], v[61:62], v[53:54]
	v_add_f64 v[13:14], v[13:14], v[39:40]
	s_clause 0x2
	buffer_load_dword v52, off, s[0:3], 0 offset:924
	buffer_load_dword v40, off, s[0:3], 0 offset:900
	;; [unrolled: 1-line block ×3, first 2 shown]
	ds_read_b128 v[1:4], v70 offset:1632
	s_waitcnt vmcnt(58) lgkmcnt(1)
	v_mul_f64 v[61:62], v[7:8], v[65:66]
	v_mul_f64 v[53:54], v[5:6], v[65:66]
	s_waitcnt vmcnt(56)
	v_fma_f64 v[43:44], v[9:10], v[47:48], -v[43:44]
	v_fma_f64 v[47:48], v[11:12], v[47:48], v[123:124]
	v_add_f64 v[15:16], v[15:16], v[59:60]
	v_add_f64 v[13:14], v[13:14], v[35:36]
	s_clause 0x4
	buffer_load_dword v36, off, s[0:3], 0 offset:940
	buffer_load_dword v59, off, s[0:3], 0 offset:952
	;; [unrolled: 1-line block ×5, first 2 shown]
	ds_read_b128 v[9:12], v70 offset:1648
	s_waitcnt vmcnt(57) lgkmcnt(1)
	v_mul_f64 v[123:124], v[1:2], v[49:50]
	v_mul_f64 v[49:50], v[3:4], v[49:50]
	s_waitcnt vmcnt(56)
	v_fma_f64 v[61:62], v[5:6], v[67:68], -v[61:62]
	v_add_f64 v[15:16], v[15:16], v[43:44]
	v_fma_f64 v[43:44], v[7:8], v[67:68], v[53:54]
	v_add_f64 v[13:14], v[13:14], v[47:48]
	s_clause 0x2
	buffer_load_dword v60, off, s[0:3], 0 offset:956
	buffer_load_dword v48, off, s[0:3], 0 offset:932
	;; [unrolled: 1-line block ×3, first 2 shown]
	ds_read_b128 v[5:8], v70 offset:1664
	buffer_load_dword v66, off, s[0:3], 0 offset:948
	s_waitcnt vmcnt(59) lgkmcnt(1)
	v_mul_f64 v[53:54], v[9:10], v[55:56]
	v_mul_f64 v[55:56], v[11:12], v[55:56]
	s_waitcnt vmcnt(57)
	v_fma_f64 v[49:50], v[1:2], v[17:18], -v[49:50]
	v_fma_f64 v[17:18], v[3:4], v[17:18], v[123:124]
	ds_read_b128 v[1:4], v70 offset:1680
	v_add_f64 v[15:16], v[15:16], v[61:62]
	v_add_f64 v[13:14], v[13:14], v[43:44]
	s_waitcnt vmcnt(53) lgkmcnt(1)
	v_mul_f64 v[43:44], v[5:6], v[57:58]
	v_mul_f64 v[57:58], v[7:8], v[57:58]
	s_waitcnt vmcnt(52)
	v_fma_f64 v[55:56], v[9:10], v[111:112], -v[55:56]
	v_add_f64 v[15:16], v[15:16], v[49:50]
	v_fma_f64 v[49:50], v[11:12], v[111:112], v[53:54]
	v_add_f64 v[13:14], v[13:14], v[17:18]
	ds_read_b128 v[9:12], v70 offset:1696
	s_waitcnt vmcnt(51) lgkmcnt(1)
	v_mul_f64 v[53:54], v[3:4], v[107:108]
	v_mul_f64 v[17:18], v[1:2], v[107:108]
	s_waitcnt vmcnt(49)
	v_fma_f64 v[57:58], v[5:6], v[63:64], -v[57:58]
	v_fma_f64 v[43:44], v[7:8], v[63:64], v[43:44]
	v_add_f64 v[15:16], v[15:16], v[55:56]
	v_add_f64 v[13:14], v[13:14], v[49:50]
	s_clause 0x3
	buffer_load_dword v49, off, s[0:3], 0 offset:192
	buffer_load_dword v50, off, s[0:3], 0 offset:196
	;; [unrolled: 1-line block ×4, first 2 shown]
	ds_read_b128 v[5:8], v70 offset:1712
	s_waitcnt vmcnt(49) lgkmcnt(1)
	v_mul_f64 v[61:62], v[9:10], v[21:22]
	v_mul_f64 v[21:22], v[11:12], v[21:22]
	s_waitcnt vmcnt(48)
	v_fma_f64 v[53:54], v[1:2], v[115:116], -v[53:54]
	v_fma_f64 v[17:18], v[3:4], v[115:116], v[17:18]
	ds_read_b128 v[1:4], v70 offset:1728
	v_add_f64 v[15:16], v[15:16], v[57:58]
	v_add_f64 v[13:14], v[13:14], v[43:44]
	s_waitcnt vmcnt(47) lgkmcnt(1)
	v_mul_f64 v[57:58], v[7:8], v[113:114]
	v_mul_f64 v[43:44], v[5:6], v[113:114]
	s_waitcnt vmcnt(45)
	v_fma_f64 v[21:22], v[9:10], v[27:28], -v[21:22]
	v_fma_f64 v[27:28], v[11:12], v[27:28], v[61:62]
	ds_read_b128 v[9:12], v70 offset:1744
	v_add_f64 v[15:16], v[15:16], v[53:54]
	v_add_f64 v[13:14], v[13:14], v[17:18]
	s_waitcnt vmcnt(41) lgkmcnt(1)
	v_mul_f64 v[17:18], v[1:2], v[33:34]
	v_mul_f64 v[33:34], v[3:4], v[33:34]
	s_waitcnt vmcnt(40)
	v_fma_f64 v[53:54], v[5:6], v[119:120], -v[57:58]
	v_add_f64 v[15:16], v[15:16], v[21:22]
	v_fma_f64 v[21:22], v[7:8], v[119:120], v[43:44]
	v_add_f64 v[13:14], v[13:14], v[27:28]
	ds_read_b128 v[5:8], v70 offset:1760
	s_waitcnt vmcnt(39) lgkmcnt(1)
	v_mul_f64 v[43:44], v[11:12], v[105:106]
	v_mul_f64 v[27:28], v[9:10], v[105:106]
	s_waitcnt vmcnt(37)
	v_fma_f64 v[33:34], v[1:2], v[25:26], -v[33:34]
	v_fma_f64 v[17:18], v[3:4], v[25:26], v[17:18]
	ds_read_b128 v[1:4], v70 offset:1776
	v_add_f64 v[15:16], v[15:16], v[53:54]
	v_add_f64 v[13:14], v[13:14], v[21:22]
	s_waitcnt vmcnt(33) lgkmcnt(1)
	v_mul_f64 v[21:22], v[5:6], v[19:20]
	v_mul_f64 v[19:20], v[7:8], v[19:20]
	s_waitcnt vmcnt(32)
	v_fma_f64 v[25:26], v[9:10], v[121:122], -v[43:44]
	v_fma_f64 v[27:28], v[11:12], v[121:122], v[27:28]
	ds_read_b128 v[9:12], v70 offset:1792
	v_add_f64 v[15:16], v[15:16], v[33:34]
	v_add_f64 v[13:14], v[13:14], v[17:18]
	;; [unrolled: 9-line block ×5, first 2 shown]
	s_waitcnt vmcnt(17) lgkmcnt(1)
	v_mul_f64 v[27:28], v[3:4], v[29:30]
	s_waitcnt vmcnt(16)
	v_fma_f64 v[21:22], v[5:6], v[109:110], -v[21:22]
	v_mul_f64 v[17:18], v[1:2], v[29:30]
	v_fma_f64 v[19:20], v[7:8], v[109:110], v[19:20]
	ds_read_b128 v[5:8], v70 offset:1856
	v_add_f64 v[15:16], v[15:16], v[23:24]
	v_add_f64 v[13:14], v[13:14], v[25:26]
	s_waitcnt vmcnt(15) lgkmcnt(1)
	v_mul_f64 v[25:26], v[11:12], v[51:52]
	v_mul_f64 v[23:24], v[9:10], v[51:52]
	s_waitcnt vmcnt(13)
	v_fma_f64 v[27:28], v[1:2], v[39:40], -v[27:28]
	v_fma_f64 v[17:18], v[3:4], v[39:40], v[17:18]
	ds_read_b128 v[1:4], v70 offset:1872
	v_add_f64 v[15:16], v[15:16], v[21:22]
	v_add_f64 v[13:14], v[13:14], v[19:20]
	s_waitcnt vmcnt(9) lgkmcnt(1)
	v_mul_f64 v[21:22], v[7:8], v[35:36]
	s_waitcnt vmcnt(8)
	v_fma_f64 v[9:10], v[9:10], v[71:72], -v[25:26]
	v_mul_f64 v[19:20], v[5:6], v[35:36]
	v_fma_f64 v[11:12], v[11:12], v[71:72], v[23:24]
	v_add_f64 v[15:16], v[15:16], v[27:28]
	v_add_f64 v[13:14], v[13:14], v[17:18]
	s_waitcnt vmcnt(7) lgkmcnt(0)
	v_mul_f64 v[23:24], v[3:4], v[59:60]
	v_mul_f64 v[17:18], v[1:2], v[59:60]
	s_waitcnt vmcnt(5)
	v_fma_f64 v[5:6], v[5:6], v[47:48], -v[21:22]
	v_fma_f64 v[7:8], v[7:8], v[47:48], v[19:20]
	v_add_f64 v[9:10], v[15:16], v[9:10]
	v_add_f64 v[11:12], v[13:14], v[11:12]
	s_waitcnt vmcnt(4)
	v_fma_f64 v[1:2], v[1:2], v[65:66], -v[23:24]
	v_fma_f64 v[3:4], v[3:4], v[65:66], v[17:18]
	v_add_f64 v[5:6], v[9:10], v[5:6]
	v_add_f64 v[7:8], v[11:12], v[7:8]
	;; [unrolled: 1-line block ×4, first 2 shown]
	s_waitcnt vmcnt(2)
	v_add_f64 v[1:2], v[49:50], -v[1:2]
	s_waitcnt vmcnt(0)
	v_add_f64 v[3:4], v[55:56], -v[3:4]
	buffer_store_dword v2, off, s[0:3], 0 offset:196
	buffer_store_dword v1, off, s[0:3], 0 offset:192
	;; [unrolled: 1-line block ×4, first 2 shown]
	v_cmpx_lt_u32_e32 10, v0
	s_cbranch_execz .LBB58_347
; %bb.346:
	v_mov_b32_e32 v4, s61
	s_clause 0x3
	buffer_load_dword v1, v4, s[0:3], 0 offen
	buffer_load_dword v2, v4, s[0:3], 0 offen offset:4
	buffer_load_dword v3, v4, s[0:3], 0 offen offset:8
	;; [unrolled: 1-line block ×3, first 2 shown]
	buffer_store_dword v70, off, s[0:3], 0 offset:176
	buffer_store_dword v70, off, s[0:3], 0 offset:180
	;; [unrolled: 1-line block ×4, first 2 shown]
	s_waitcnt vmcnt(0)
	ds_write_b128 v69, v[1:4]
.LBB58_347:
	s_or_b32 exec_lo, exec_lo, s4
	s_waitcnt lgkmcnt(0)
	s_waitcnt_vscnt null, 0x0
	s_barrier
	buffer_gl0_inv
	s_clause 0x37
	buffer_load_dword v17, off, s[0:3], 0 offset:200
	buffer_load_dword v18, off, s[0:3], 0 offset:204
	;; [unrolled: 1-line block ×56, first 2 shown]
	ds_read_b128 v[5:8], v70 offset:1120
	s_clause 0x2
	buffer_load_dword v66, off, s[0:3], 0 offset:428
	buffer_load_dword v68, off, s[0:3], 0 offset:404
	;; [unrolled: 1-line block ×3, first 2 shown]
	ds_read_b128 v[1:4], v70 offset:1136
	s_clause 0x4
	buffer_load_dword v110, off, s[0:3], 0 offset:444
	buffer_load_dword v111, off, s[0:3], 0 offset:456
	;; [unrolled: 1-line block ×5, first 2 shown]
	ds_read_b128 v[105:108], v70 offset:1152
	s_mov_b32 s4, exec_lo
	s_waitcnt vmcnt(62) lgkmcnt(2)
	v_mul_f64 v[71:72], v[7:8], v[17:18]
	v_mul_f64 v[17:18], v[5:6], v[17:18]
	s_waitcnt vmcnt(60) lgkmcnt(1)
	v_mul_f64 v[114:115], v[3:4], v[13:14]
	v_mul_f64 v[13:14], v[1:2], v[13:14]
	;; [unrolled: 3-line block ×3, first 2 shown]
	v_fma_f64 v[71:72], v[5:6], v[15:16], -v[71:72]
	v_fma_f64 v[15:16], v[7:8], v[15:16], v[17:18]
	s_clause 0x2
	buffer_load_dword v112, off, s[0:3], 0 offset:460
	buffer_load_dword v18, off, s[0:3], 0 offset:436
	;; [unrolled: 1-line block ×3, first 2 shown]
	s_waitcnt vmcnt(57)
	v_fma_f64 v[118:119], v[1:2], v[9:10], -v[114:115]
	ds_read_b128 v[5:8], v70 offset:1168
	v_fma_f64 v[9:10], v[3:4], v[9:10], v[13:14]
	s_waitcnt vmcnt(51)
	v_fma_f64 v[105:106], v[105:106], v[33:34], -v[11:12]
	v_fma_f64 v[33:34], v[107:108], v[33:34], v[116:117]
	v_add_f64 v[71:72], v[71:72], 0
	v_add_f64 v[13:14], v[15:16], 0
	s_clause 0x4
	buffer_load_dword v16, off, s[0:3], 0 offset:476
	buffer_load_dword v115, off, s[0:3], 0 offset:488
	;; [unrolled: 1-line block ×5, first 2 shown]
	s_waitcnt lgkmcnt(0)
	v_mul_f64 v[121:122], v[5:6], v[21:22]
	v_mul_f64 v[21:22], v[7:8], v[21:22]
	ds_read_b128 v[1:4], v70 offset:1184
	s_clause 0x2
	buffer_load_dword v116, off, s[0:3], 0 offset:492
	buffer_load_dword v108, off, s[0:3], 0 offset:468
	;; [unrolled: 1-line block ×3, first 2 shown]
	v_add_f64 v[71:72], v[71:72], v[118:119]
	v_add_f64 v[13:14], v[13:14], v[9:10]
	ds_read_b128 v[9:12], v70 offset:1200
	s_waitcnt vmcnt(58) lgkmcnt(1)
	v_mul_f64 v[117:118], v[1:2], v[25:26]
	v_mul_f64 v[25:26], v[3:4], v[25:26]
	s_waitcnt vmcnt(56)
	v_fma_f64 v[21:22], v[5:6], v[27:28], -v[21:22]
	v_fma_f64 v[27:28], v[7:8], v[27:28], v[121:122]
	s_waitcnt vmcnt(52) lgkmcnt(0)
	v_mul_f64 v[123:124], v[9:10], v[29:30]
	v_add_f64 v[71:72], v[71:72], v[105:106]
	v_add_f64 v[13:14], v[13:14], v[33:34]
	s_clause 0x4
	buffer_load_dword v34, off, s[0:3], 0 offset:508
	buffer_load_dword v105, off, s[0:3], 0 offset:520
	;; [unrolled: 1-line block ×5, first 2 shown]
	v_mul_f64 v[29:30], v[11:12], v[29:30]
	s_waitcnt vmcnt(56)
	v_fma_f64 v[25:26], v[1:2], v[19:20], -v[25:26]
	ds_read_b128 v[5:8], v70 offset:1216
	v_fma_f64 v[19:20], v[3:4], v[19:20], v[117:118]
	v_add_f64 v[21:22], v[71:72], v[21:22]
	v_add_f64 v[13:14], v[13:14], v[27:28]
	s_clause 0x2
	buffer_load_dword v106, off, s[0:3], 0 offset:524
	buffer_load_dword v28, off, s[0:3], 0 offset:500
	;; [unrolled: 1-line block ×3, first 2 shown]
	s_waitcnt vmcnt(58) lgkmcnt(0)
	v_mul_f64 v[71:72], v[5:6], v[35:36]
	v_mul_f64 v[35:36], v[7:8], v[35:36]
	s_waitcnt vmcnt(56)
	v_fma_f64 v[29:30], v[9:10], v[37:38], -v[29:30]
	ds_read_b128 v[1:4], v70 offset:1232
	v_add_f64 v[21:22], v[21:22], v[25:26]
	v_fma_f64 v[25:26], v[11:12], v[37:38], v[123:124]
	v_add_f64 v[13:14], v[13:14], v[19:20]
	s_clause 0x4
	buffer_load_dword v20, off, s[0:3], 0 offset:540
	buffer_load_dword v37, off, s[0:3], 0 offset:552
	;; [unrolled: 1-line block ×5, first 2 shown]
	s_waitcnt vmcnt(57) lgkmcnt(0)
	v_mul_f64 v[118:119], v[1:2], v[39:40]
	v_mul_f64 v[39:40], v[3:4], v[39:40]
	s_waitcnt vmcnt(56)
	v_fma_f64 v[35:36], v[5:6], v[23:24], -v[35:36]
	ds_read_b128 v[9:12], v70 offset:1248
	v_fma_f64 v[23:24], v[7:8], v[23:24], v[71:72]
	v_add_f64 v[21:22], v[21:22], v[29:30]
	v_add_f64 v[13:14], v[13:14], v[25:26]
	s_clause 0x2
	buffer_load_dword v38, off, s[0:3], 0 offset:556
	buffer_load_dword v26, off, s[0:3], 0 offset:532
	;; [unrolled: 1-line block ×3, first 2 shown]
	ds_read_b128 v[5:8], v70 offset:1264
	s_waitcnt vmcnt(58) lgkmcnt(1)
	v_mul_f64 v[29:30], v[9:10], v[43:44]
	v_mul_f64 v[43:44], v[11:12], v[43:44]
	s_waitcnt vmcnt(56)
	v_fma_f64 v[39:40], v[1:2], v[45:46], -v[39:40]
	v_add_f64 v[21:22], v[21:22], v[35:36]
	v_fma_f64 v[35:36], v[3:4], v[45:46], v[118:119]
	v_add_f64 v[13:14], v[13:14], v[23:24]
	s_clause 0x4
	buffer_load_dword v24, off, s[0:3], 0 offset:572
	buffer_load_dword v45, off, s[0:3], 0 offset:584
	;; [unrolled: 1-line block ×5, first 2 shown]
	s_waitcnt vmcnt(57) lgkmcnt(0)
	v_mul_f64 v[124:125], v[5:6], v[47:48]
	v_mul_f64 v[47:48], v[7:8], v[47:48]
	s_waitcnt vmcnt(56)
	v_fma_f64 v[43:44], v[9:10], v[31:32], -v[43:44]
	ds_read_b128 v[1:4], v70 offset:1280
	v_fma_f64 v[29:30], v[11:12], v[31:32], v[29:30]
	s_clause 0x2
	buffer_load_dword v46, off, s[0:3], 0 offset:588
	buffer_load_dword v32, off, s[0:3], 0 offset:564
	;; [unrolled: 1-line block ×3, first 2 shown]
	ds_read_b128 v[9:12], v70 offset:1296
	v_add_f64 v[21:22], v[21:22], v[39:40]
	v_add_f64 v[13:14], v[13:14], v[35:36]
	s_waitcnt vmcnt(58) lgkmcnt(1)
	v_mul_f64 v[39:40], v[3:4], v[51:52]
	s_waitcnt vmcnt(56)
	v_fma_f64 v[47:48], v[5:6], v[53:54], -v[47:48]
	v_mul_f64 v[35:36], v[1:2], v[51:52]
	v_add_f64 v[21:22], v[21:22], v[43:44]
	v_fma_f64 v[43:44], v[7:8], v[53:54], v[124:125]
	v_add_f64 v[13:14], v[13:14], v[29:30]
	s_clause 0x4
	buffer_load_dword v30, off, s[0:3], 0 offset:604
	buffer_load_dword v51, off, s[0:3], 0 offset:616
	buffer_load_dword v53, off, s[0:3], 0 offset:608
	buffer_load_dword v29, off, s[0:3], 0 offset:600
	buffer_load_dword v72, off, s[0:3], 0 offset:580
	s_waitcnt vmcnt(57) lgkmcnt(0)
	v_mul_f64 v[124:125], v[9:10], v[55:56]
	v_mul_f64 v[54:55], v[11:12], v[55:56]
	s_waitcnt vmcnt(56)
	v_fma_f64 v[39:40], v[1:2], v[41:42], -v[39:40]
	ds_read_b128 v[5:8], v70 offset:1312
	v_fma_f64 v[35:36], v[3:4], v[41:42], v[35:36]
	s_clause 0x2
	buffer_load_dword v52, off, s[0:3], 0 offset:620
	buffer_load_dword v42, off, s[0:3], 0 offset:596
	;; [unrolled: 1-line block ×3, first 2 shown]
	ds_read_b128 v[1:4], v70 offset:1328
	v_add_f64 v[21:22], v[21:22], v[47:48]
	v_add_f64 v[13:14], v[13:14], v[43:44]
	s_waitcnt vmcnt(58) lgkmcnt(1)
	v_mul_f64 v[47:48], v[7:8], v[59:60]
	s_waitcnt vmcnt(56)
	v_fma_f64 v[55:56], v[9:10], v[61:62], -v[54:55]
	v_mul_f64 v[43:44], v[5:6], v[59:60]
	v_add_f64 v[21:22], v[21:22], v[39:40]
	v_fma_f64 v[39:40], v[11:12], v[61:62], v[124:125]
	v_add_f64 v[13:14], v[13:14], v[35:36]
	s_clause 0x4
	buffer_load_dword v36, off, s[0:3], 0 offset:636
	buffer_load_dword v59, off, s[0:3], 0 offset:648
	;; [unrolled: 1-line block ×5, first 2 shown]
	s_waitcnt vmcnt(57) lgkmcnt(0)
	v_mul_f64 v[124:125], v[1:2], v[63:64]
	v_mul_f64 v[62:63], v[3:4], v[63:64]
	s_waitcnt vmcnt(56)
	v_fma_f64 v[47:48], v[5:6], v[49:50], -v[47:48]
	ds_read_b128 v[9:12], v70 offset:1344
	v_fma_f64 v[43:44], v[7:8], v[49:50], v[43:44]
	v_add_f64 v[21:22], v[21:22], v[55:56]
	v_add_f64 v[13:14], v[13:14], v[39:40]
	s_clause 0x2
	buffer_load_dword v60, off, s[0:3], 0 offset:652
	buffer_load_dword v40, off, s[0:3], 0 offset:628
	;; [unrolled: 1-line block ×3, first 2 shown]
	ds_read_b128 v[5:8], v70 offset:1360
	s_waitcnt vmcnt(58) lgkmcnt(1)
	v_mul_f64 v[55:56], v[11:12], v[65:66]
	s_waitcnt vmcnt(56)
	v_fma_f64 v[63:64], v[1:2], v[67:68], -v[62:63]
	v_mul_f64 v[49:50], v[9:10], v[65:66]
	v_add_f64 v[21:22], v[21:22], v[47:48]
	v_fma_f64 v[47:48], v[3:4], v[67:68], v[124:125]
	v_add_f64 v[13:14], v[13:14], v[43:44]
	s_clause 0x4
	buffer_load_dword v44, off, s[0:3], 0 offset:668
	buffer_load_dword v65, off, s[0:3], 0 offset:680
	buffer_load_dword v67, off, s[0:3], 0 offset:672
	buffer_load_dword v43, off, s[0:3], 0 offset:664
	buffer_load_dword v62, off, s[0:3], 0 offset:644
	s_waitcnt vmcnt(57) lgkmcnt(0)
	v_mul_f64 v[124:125], v[5:6], v[109:110]
	v_mul_f64 v[109:110], v[7:8], v[109:110]
	s_waitcnt vmcnt(56)
	v_fma_f64 v[55:56], v[9:10], v[57:58], -v[55:56]
	ds_read_b128 v[1:4], v70 offset:1376
	v_fma_f64 v[49:50], v[11:12], v[57:58], v[49:50]
	v_add_f64 v[21:22], v[21:22], v[63:64]
	v_add_f64 v[13:14], v[13:14], v[47:48]
	s_clause 0x2
	buffer_load_dword v66, off, s[0:3], 0 offset:684
	buffer_load_dword v48, off, s[0:3], 0 offset:660
	;; [unrolled: 1-line block ×3, first 2 shown]
	ds_read_b128 v[9:12], v70 offset:1392
	s_waitcnt vmcnt(58) lgkmcnt(1)
	v_mul_f64 v[63:64], v[3:4], v[111:112]
	v_mul_f64 v[57:58], v[1:2], v[111:112]
	s_waitcnt vmcnt(56)
	v_fma_f64 v[109:110], v[5:6], v[17:18], -v[109:110]
	v_fma_f64 v[17:18], v[7:8], v[17:18], v[124:125]
	v_add_f64 v[21:22], v[21:22], v[55:56]
	v_add_f64 v[13:14], v[13:14], v[49:50]
	s_clause 0x4
	buffer_load_dword v50, off, s[0:3], 0 offset:700
	buffer_load_dword v55, off, s[0:3], 0 offset:712
	buffer_load_dword v111, off, s[0:3], 0 offset:704
	buffer_load_dword v49, off, s[0:3], 0 offset:696
	buffer_load_dword v68, off, s[0:3], 0 offset:676
	ds_read_b128 v[5:8], v70 offset:1408
	s_waitcnt vmcnt(57) lgkmcnt(1)
	v_mul_f64 v[124:125], v[9:10], v[15:16]
	v_mul_f64 v[15:16], v[11:12], v[15:16]
	s_waitcnt vmcnt(56)
	v_fma_f64 v[63:64], v[1:2], v[113:114], -v[63:64]
	v_fma_f64 v[57:58], v[3:4], v[113:114], v[57:58]
	v_add_f64 v[21:22], v[21:22], v[109:110]
	v_add_f64 v[13:14], v[13:14], v[17:18]
	s_clause 0x2
	buffer_load_dword v56, off, s[0:3], 0 offset:716
	buffer_load_dword v18, off, s[0:3], 0 offset:692
	;; [unrolled: 1-line block ×3, first 2 shown]
	s_waitcnt vmcnt(58) lgkmcnt(0)
	v_mul_f64 v[113:114], v[7:8], v[115:116]
	ds_read_b128 v[1:4], v70 offset:1424
	v_mul_f64 v[109:110], v[5:6], v[115:116]
	s_waitcnt vmcnt(56)
	v_fma_f64 v[15:16], v[9:10], v[107:108], -v[15:16]
	v_add_f64 v[21:22], v[21:22], v[63:64]
	v_fma_f64 v[63:64], v[11:12], v[107:108], v[124:125]
	v_add_f64 v[13:14], v[13:14], v[57:58]
	s_clause 0x4
	buffer_load_dword v58, off, s[0:3], 0 offset:732
	buffer_load_dword v107, off, s[0:3], 0 offset:744
	;; [unrolled: 1-line block ×5, first 2 shown]
	ds_read_b128 v[9:12], v70 offset:1440
	s_waitcnt vmcnt(57) lgkmcnt(1)
	v_mul_f64 v[124:125], v[1:2], v[33:34]
	v_mul_f64 v[33:34], v[3:4], v[33:34]
	s_waitcnt vmcnt(56)
	v_fma_f64 v[113:114], v[5:6], v[120:121], -v[113:114]
	v_add_f64 v[15:16], v[21:22], v[15:16]
	v_fma_f64 v[21:22], v[7:8], v[120:121], v[109:110]
	v_add_f64 v[13:14], v[13:14], v[63:64]
	s_clause 0x2
	buffer_load_dword v108, off, s[0:3], 0 offset:748
	buffer_load_dword v64, off, s[0:3], 0 offset:724
	;; [unrolled: 1-line block ×3, first 2 shown]
	ds_read_b128 v[5:8], v70 offset:1456
	s_waitcnt vmcnt(58) lgkmcnt(1)
	v_mul_f64 v[109:110], v[9:10], v[105:106]
	v_mul_f64 v[105:106], v[11:12], v[105:106]
	s_waitcnt vmcnt(56)
	v_fma_f64 v[33:34], v[1:2], v[27:28], -v[33:34]
	v_fma_f64 v[27:28], v[3:4], v[27:28], v[124:125]
	v_add_f64 v[15:16], v[15:16], v[113:114]
	v_add_f64 v[13:14], v[13:14], v[21:22]
	s_clause 0x4
	buffer_load_dword v22, off, s[0:3], 0 offset:764
	buffer_load_dword v113, off, s[0:3], 0 offset:776
	;; [unrolled: 1-line block ×5, first 2 shown]
	ds_read_b128 v[1:4], v70 offset:1472
	s_waitcnt vmcnt(57) lgkmcnt(1)
	v_mul_f64 v[120:121], v[5:6], v[19:20]
	v_mul_f64 v[19:20], v[7:8], v[19:20]
	s_waitcnt vmcnt(56)
	v_fma_f64 v[105:106], v[9:10], v[122:123], -v[105:106]
	v_add_f64 v[15:16], v[15:16], v[33:34]
	v_fma_f64 v[33:34], v[11:12], v[122:123], v[109:110]
	v_add_f64 v[13:14], v[13:14], v[27:28]
	s_clause 0x2
	buffer_load_dword v114, off, s[0:3], 0 offset:780
	buffer_load_dword v28, off, s[0:3], 0 offset:756
	;; [unrolled: 1-line block ×3, first 2 shown]
	ds_read_b128 v[9:12], v70 offset:1488
	s_waitcnt vmcnt(58) lgkmcnt(1)
	v_mul_f64 v[109:110], v[1:2], v[37:38]
	v_mul_f64 v[37:38], v[3:4], v[37:38]
	s_waitcnt vmcnt(56)
	v_fma_f64 v[19:20], v[5:6], v[25:26], -v[19:20]
	v_fma_f64 v[25:26], v[7:8], v[25:26], v[120:121]
	v_add_f64 v[15:16], v[15:16], v[105:106]
	v_add_f64 v[13:14], v[13:14], v[33:34]
	s_clause 0x4
	buffer_load_dword v34, off, s[0:3], 0 offset:796
	buffer_load_dword v105, off, s[0:3], 0 offset:808
	;; [unrolled: 1-line block ×5, first 2 shown]
	ds_read_b128 v[5:8], v70 offset:1504
	s_waitcnt vmcnt(57) lgkmcnt(1)
	v_mul_f64 v[122:123], v[9:10], v[23:24]
	v_mul_f64 v[23:24], v[11:12], v[23:24]
	s_waitcnt vmcnt(56)
	v_fma_f64 v[37:38], v[1:2], v[117:118], -v[37:38]
	v_add_f64 v[15:16], v[15:16], v[19:20]
	v_fma_f64 v[19:20], v[3:4], v[117:118], v[109:110]
	v_add_f64 v[13:14], v[13:14], v[25:26]
	s_clause 0x2
	buffer_load_dword v106, off, s[0:3], 0 offset:812
	buffer_load_dword v26, off, s[0:3], 0 offset:788
	;; [unrolled: 1-line block ×3, first 2 shown]
	s_waitcnt vmcnt(58) lgkmcnt(0)
	v_mul_f64 v[109:110], v[5:6], v[45:46]
	v_mul_f64 v[45:46], v[7:8], v[45:46]
	ds_read_b128 v[1:4], v70 offset:1520
	s_waitcnt vmcnt(56)
	v_fma_f64 v[23:24], v[9:10], v[31:32], -v[23:24]
	v_fma_f64 v[31:32], v[11:12], v[31:32], v[122:123]
	v_add_f64 v[15:16], v[15:16], v[37:38]
	v_add_f64 v[13:14], v[13:14], v[19:20]
	s_clause 0x4
	buffer_load_dword v20, off, s[0:3], 0 offset:828
	buffer_load_dword v37, off, s[0:3], 0 offset:840
	;; [unrolled: 1-line block ×5, first 2 shown]
	ds_read_b128 v[9:12], v70 offset:1536
	s_waitcnt vmcnt(57) lgkmcnt(1)
	v_mul_f64 v[123:124], v[1:2], v[29:30]
	v_mul_f64 v[29:30], v[3:4], v[29:30]
	s_waitcnt vmcnt(56)
	v_fma_f64 v[45:46], v[5:6], v[71:72], -v[45:46]
	v_add_f64 v[15:16], v[15:16], v[23:24]
	v_fma_f64 v[23:24], v[7:8], v[71:72], v[109:110]
	v_add_f64 v[13:14], v[13:14], v[31:32]
	s_clause 0x2
	buffer_load_dword v38, off, s[0:3], 0 offset:844
	buffer_load_dword v32, off, s[0:3], 0 offset:820
	;; [unrolled: 1-line block ×3, first 2 shown]
	s_waitcnt vmcnt(58) lgkmcnt(0)
	v_mul_f64 v[71:72], v[9:10], v[51:52]
	v_mul_f64 v[51:52], v[11:12], v[51:52]
	ds_read_b128 v[5:8], v70 offset:1552
	s_waitcnt vmcnt(56)
	v_fma_f64 v[29:30], v[1:2], v[41:42], -v[29:30]
	v_fma_f64 v[41:42], v[3:4], v[41:42], v[123:124]
	v_add_f64 v[15:16], v[15:16], v[45:46]
	v_add_f64 v[13:14], v[13:14], v[23:24]
	s_clause 0x4
	buffer_load_dword v24, off, s[0:3], 0 offset:860
	buffer_load_dword v45, off, s[0:3], 0 offset:872
	buffer_load_dword v109, off, s[0:3], 0 offset:864
	buffer_load_dword v23, off, s[0:3], 0 offset:856
	buffer_load_dword v118, off, s[0:3], 0 offset:836
	ds_read_b128 v[1:4], v70 offset:1568
	s_waitcnt vmcnt(57) lgkmcnt(1)
	v_mul_f64 v[123:124], v[5:6], v[35:36]
	v_mul_f64 v[35:36], v[7:8], v[35:36]
	s_waitcnt vmcnt(56)
	v_fma_f64 v[51:52], v[9:10], v[53:54], -v[51:52]
	v_add_f64 v[15:16], v[15:16], v[29:30]
	v_fma_f64 v[29:30], v[11:12], v[53:54], v[71:72]
	v_add_f64 v[13:14], v[13:14], v[41:42]
	s_clause 0x2
	buffer_load_dword v46, off, s[0:3], 0 offset:876
	buffer_load_dword v42, off, s[0:3], 0 offset:852
	buffer_load_dword v41, off, s[0:3], 0 offset:848
	ds_read_b128 v[9:12], v70 offset:1584
	s_waitcnt vmcnt(58) lgkmcnt(1)
	v_mul_f64 v[53:54], v[1:2], v[59:60]
	v_mul_f64 v[59:60], v[3:4], v[59:60]
	s_waitcnt vmcnt(56)
	v_fma_f64 v[35:36], v[5:6], v[39:40], -v[35:36]
	v_fma_f64 v[39:40], v[7:8], v[39:40], v[123:124]
	v_add_f64 v[15:16], v[15:16], v[51:52]
	v_add_f64 v[13:14], v[13:14], v[29:30]
	s_clause 0x4
	buffer_load_dword v30, off, s[0:3], 0 offset:892
	buffer_load_dword v51, off, s[0:3], 0 offset:904
	buffer_load_dword v71, off, s[0:3], 0 offset:896
	buffer_load_dword v29, off, s[0:3], 0 offset:888
	buffer_load_dword v110, off, s[0:3], 0 offset:868
	ds_read_b128 v[5:8], v70 offset:1600
	s_waitcnt vmcnt(57) lgkmcnt(1)
	v_mul_f64 v[123:124], v[9:10], v[43:44]
	v_mul_f64 v[43:44], v[11:12], v[43:44]
	s_waitcnt vmcnt(56)
	v_fma_f64 v[59:60], v[1:2], v[61:62], -v[59:60]
	v_add_f64 v[15:16], v[15:16], v[35:36]
	v_fma_f64 v[35:36], v[3:4], v[61:62], v[53:54]
	v_add_f64 v[13:14], v[13:14], v[39:40]
	s_clause 0x2
	buffer_load_dword v52, off, s[0:3], 0 offset:908
	buffer_load_dword v40, off, s[0:3], 0 offset:884
	buffer_load_dword v39, off, s[0:3], 0 offset:880
	ds_read_b128 v[1:4], v70 offset:1616
	s_waitcnt vmcnt(58) lgkmcnt(1)
	v_mul_f64 v[61:62], v[7:8], v[65:66]
	v_mul_f64 v[53:54], v[5:6], v[65:66]
	;; [unrolled: 28-line block ×3, first 2 shown]
	s_waitcnt vmcnt(56)
	v_fma_f64 v[49:50], v[1:2], v[17:18], -v[49:50]
	v_fma_f64 v[17:18], v[3:4], v[17:18], v[123:124]
	v_add_f64 v[15:16], v[15:16], v[61:62]
	v_add_f64 v[13:14], v[13:14], v[43:44]
	s_clause 0x2
	buffer_load_dword v44, off, s[0:3], 0 offset:956
	buffer_load_dword v43, off, s[0:3], 0 offset:952
	;; [unrolled: 1-line block ×3, first 2 shown]
	ds_read_b128 v[1:4], v70 offset:1664
	s_waitcnt vmcnt(55) lgkmcnt(1)
	v_mul_f64 v[61:62], v[5:6], v[57:58]
	v_mul_f64 v[57:58], v[7:8], v[57:58]
	s_waitcnt vmcnt(54)
	v_fma_f64 v[55:56], v[9:10], v[111:112], -v[55:56]
	v_add_f64 v[15:16], v[15:16], v[49:50]
	v_fma_f64 v[49:50], v[11:12], v[111:112], v[53:54]
	v_add_f64 v[13:14], v[13:14], v[17:18]
	s_clause 0x1
	buffer_load_dword v18, off, s[0:3], 0 offset:948
	buffer_load_dword v17, off, s[0:3], 0 offset:944
	ds_read_b128 v[9:12], v70 offset:1680
	s_waitcnt vmcnt(55) lgkmcnt(1)
	v_mul_f64 v[67:68], v[3:4], v[107:108]
	v_mul_f64 v[53:54], v[1:2], v[107:108]
	s_waitcnt vmcnt(53)
	v_fma_f64 v[57:58], v[5:6], v[63:64], -v[57:58]
	v_add_f64 v[15:16], v[15:16], v[55:56]
	v_fma_f64 v[55:56], v[7:8], v[63:64], v[61:62]
	v_add_f64 v[13:14], v[13:14], v[49:50]
	ds_read_b128 v[5:8], v70 offset:1696
	s_waitcnt vmcnt(49) lgkmcnt(1)
	v_mul_f64 v[49:50], v[9:10], v[21:22]
	v_mul_f64 v[21:22], v[11:12], v[21:22]
	s_waitcnt vmcnt(48)
	v_fma_f64 v[61:62], v[1:2], v[115:116], -v[67:68]
	v_fma_f64 v[53:54], v[3:4], v[115:116], v[53:54]
	v_add_f64 v[15:16], v[15:16], v[57:58]
	v_add_f64 v[13:14], v[13:14], v[55:56]
	s_clause 0x3
	buffer_load_dword v55, off, s[0:3], 0 offset:176
	buffer_load_dword v56, off, s[0:3], 0 offset:180
	;; [unrolled: 1-line block ×4, first 2 shown]
	ds_read_b128 v[1:4], v70 offset:1712
	s_waitcnt vmcnt(51) lgkmcnt(1)
	v_mul_f64 v[67:68], v[7:8], v[113:114]
	v_mul_f64 v[63:64], v[5:6], v[113:114]
	s_waitcnt vmcnt(49)
	v_fma_f64 v[21:22], v[9:10], v[27:28], -v[21:22]
	v_fma_f64 v[27:28], v[11:12], v[27:28], v[49:50]
	ds_read_b128 v[9:12], v70 offset:1728
	v_add_f64 v[15:16], v[15:16], v[61:62]
	v_add_f64 v[13:14], v[13:14], v[53:54]
	s_waitcnt vmcnt(45) lgkmcnt(1)
	v_mul_f64 v[49:50], v[1:2], v[33:34]
	v_mul_f64 v[33:34], v[3:4], v[33:34]
	s_waitcnt vmcnt(44)
	v_fma_f64 v[53:54], v[5:6], v[119:120], -v[67:68]
	v_add_f64 v[15:16], v[15:16], v[21:22]
	v_fma_f64 v[21:22], v[7:8], v[119:120], v[63:64]
	v_add_f64 v[13:14], v[13:14], v[27:28]
	ds_read_b128 v[5:8], v70 offset:1744
	s_waitcnt vmcnt(43) lgkmcnt(1)
	v_mul_f64 v[61:62], v[11:12], v[105:106]
	v_mul_f64 v[27:28], v[9:10], v[105:106]
	s_waitcnt vmcnt(41)
	v_fma_f64 v[33:34], v[1:2], v[25:26], -v[33:34]
	v_fma_f64 v[25:26], v[3:4], v[25:26], v[49:50]
	ds_read_b128 v[1:4], v70 offset:1760
	v_add_f64 v[15:16], v[15:16], v[53:54]
	v_add_f64 v[13:14], v[13:14], v[21:22]
	s_waitcnt vmcnt(37) lgkmcnt(1)
	v_mul_f64 v[21:22], v[5:6], v[19:20]
	v_mul_f64 v[19:20], v[7:8], v[19:20]
	s_waitcnt vmcnt(36)
	v_fma_f64 v[49:50], v[9:10], v[121:122], -v[61:62]
	v_fma_f64 v[27:28], v[11:12], v[121:122], v[27:28]
	ds_read_b128 v[9:12], v70 offset:1776
	v_add_f64 v[15:16], v[15:16], v[33:34]
	v_add_f64 v[13:14], v[13:14], v[25:26]
	;; [unrolled: 9-line block ×3, first 2 shown]
	s_waitcnt vmcnt(29) lgkmcnt(1)
	v_mul_f64 v[27:28], v[9:10], v[23:24]
	v_mul_f64 v[23:24], v[11:12], v[23:24]
	s_waitcnt vmcnt(28)
	v_fma_f64 v[31:32], v[1:2], v[117:118], -v[33:34]
	v_add_f64 v[15:16], v[15:16], v[19:20]
	v_fma_f64 v[19:20], v[3:4], v[117:118], v[25:26]
	v_add_f64 v[13:14], v[13:14], v[21:22]
	ds_read_b128 v[1:4], v70 offset:1808
	s_waitcnt vmcnt(27) lgkmcnt(1)
	v_mul_f64 v[25:26], v[7:8], v[45:46]
	v_mul_f64 v[21:22], v[5:6], v[45:46]
	s_waitcnt vmcnt(25)
	v_fma_f64 v[23:24], v[9:10], v[41:42], -v[23:24]
	v_fma_f64 v[27:28], v[11:12], v[41:42], v[27:28]
	ds_read_b128 v[9:12], v70 offset:1824
	v_add_f64 v[15:16], v[15:16], v[31:32]
	v_add_f64 v[13:14], v[13:14], v[19:20]
	s_waitcnt vmcnt(21) lgkmcnt(1)
	v_mul_f64 v[19:20], v[1:2], v[29:30]
	v_mul_f64 v[29:30], v[3:4], v[29:30]
	s_waitcnt vmcnt(20)
	v_fma_f64 v[25:26], v[5:6], v[109:110], -v[25:26]
	v_fma_f64 v[21:22], v[7:8], v[109:110], v[21:22]
	ds_read_b128 v[5:8], v70 offset:1840
	v_add_f64 v[15:16], v[15:16], v[23:24]
	v_add_f64 v[13:14], v[13:14], v[27:28]
	;; [unrolled: 9-line block ×3, first 2 shown]
	s_waitcnt vmcnt(13) lgkmcnt(1)
	v_mul_f64 v[25:26], v[7:8], v[35:36]
	s_waitcnt vmcnt(12)
	v_fma_f64 v[27:28], v[9:10], v[71:72], -v[27:28]
	v_mul_f64 v[21:22], v[5:6], v[35:36]
	v_fma_f64 v[23:24], v[11:12], v[71:72], v[23:24]
	ds_read_b128 v[9:12], v70 offset:1872
	v_add_f64 v[15:16], v[15:16], v[29:30]
	v_add_f64 v[13:14], v[13:14], v[19:20]
	s_waitcnt vmcnt(11) lgkmcnt(1)
	v_mul_f64 v[29:30], v[3:4], v[59:60]
	v_mul_f64 v[19:20], v[1:2], v[59:60]
	s_waitcnt vmcnt(9)
	v_fma_f64 v[5:6], v[5:6], v[47:48], -v[25:26]
	v_fma_f64 v[7:8], v[7:8], v[47:48], v[21:22]
	v_add_f64 v[15:16], v[15:16], v[27:28]
	v_add_f64 v[13:14], v[13:14], v[23:24]
	s_waitcnt vmcnt(7) lgkmcnt(0)
	v_mul_f64 v[23:24], v[11:12], v[43:44]
	s_waitcnt vmcnt(6)
	v_fma_f64 v[1:2], v[1:2], v[65:66], -v[29:30]
	v_mul_f64 v[21:22], v[9:10], v[43:44]
	v_fma_f64 v[3:4], v[3:4], v[65:66], v[19:20]
	v_add_f64 v[5:6], v[15:16], v[5:6]
	v_add_f64 v[7:8], v[13:14], v[7:8]
	s_waitcnt vmcnt(4)
	v_fma_f64 v[9:10], v[9:10], v[17:18], -v[23:24]
	v_add_f64 v[1:2], v[5:6], v[1:2]
	v_fma_f64 v[5:6], v[11:12], v[17:18], v[21:22]
	v_add_f64 v[3:4], v[7:8], v[3:4]
	v_add_f64 v[1:2], v[1:2], v[9:10]
	;; [unrolled: 1-line block ×3, first 2 shown]
	s_waitcnt vmcnt(2)
	v_add_f64 v[1:2], v[55:56], -v[1:2]
	s_waitcnt vmcnt(0)
	v_add_f64 v[3:4], v[57:58], -v[3:4]
	buffer_store_dword v2, off, s[0:3], 0 offset:180
	buffer_store_dword v1, off, s[0:3], 0 offset:176
	;; [unrolled: 1-line block ×4, first 2 shown]
	v_cmpx_lt_u32_e32 9, v0
	s_cbranch_execz .LBB58_349
; %bb.348:
	v_mov_b32_e32 v4, s62
	v_mov_b32_e32 v5, 0
	s_clause 0x3
	buffer_load_dword v1, v4, s[0:3], 0 offen
	buffer_load_dword v2, v4, s[0:3], 0 offen offset:4
	buffer_load_dword v3, v4, s[0:3], 0 offen offset:8
	;; [unrolled: 1-line block ×3, first 2 shown]
	buffer_store_dword v5, off, s[0:3], 0 offset:160
	buffer_store_dword v5, off, s[0:3], 0 offset:164
	;; [unrolled: 1-line block ×4, first 2 shown]
	s_waitcnt vmcnt(0)
	ds_write_b128 v69, v[1:4]
.LBB58_349:
	s_or_b32 exec_lo, exec_lo, s4
	s_waitcnt lgkmcnt(0)
	s_waitcnt_vscnt null, 0x0
	s_barrier
	buffer_gl0_inv
	s_clause 0x37
	buffer_load_dword v17, off, s[0:3], 0 offset:184
	buffer_load_dword v18, off, s[0:3], 0 offset:188
	;; [unrolled: 1-line block ×56, first 2 shown]
	v_mov_b32_e32 v70, 0
	s_mov_b32 s4, exec_lo
	ds_read_b128 v[5:8], v70 offset:1104
	s_clause 0x2
	buffer_load_dword v66, off, s[0:3], 0 offset:412
	buffer_load_dword v68, off, s[0:3], 0 offset:388
	;; [unrolled: 1-line block ×3, first 2 shown]
	ds_read_b128 v[1:4], v70 offset:1120
	s_clause 0x4
	buffer_load_dword v110, off, s[0:3], 0 offset:428
	buffer_load_dword v111, off, s[0:3], 0 offset:440
	;; [unrolled: 1-line block ×5, first 2 shown]
	ds_read_b128 v[105:108], v70 offset:1136
	s_waitcnt vmcnt(62) lgkmcnt(2)
	v_mul_f64 v[71:72], v[7:8], v[17:18]
	v_mul_f64 v[17:18], v[5:6], v[17:18]
	s_waitcnt vmcnt(60) lgkmcnt(1)
	v_mul_f64 v[114:115], v[3:4], v[13:14]
	v_mul_f64 v[13:14], v[1:2], v[13:14]
	;; [unrolled: 3-line block ×3, first 2 shown]
	v_fma_f64 v[71:72], v[5:6], v[15:16], -v[71:72]
	v_fma_f64 v[15:16], v[7:8], v[15:16], v[17:18]
	s_clause 0x2
	buffer_load_dword v112, off, s[0:3], 0 offset:444
	buffer_load_dword v18, off, s[0:3], 0 offset:420
	;; [unrolled: 1-line block ×3, first 2 shown]
	s_waitcnt vmcnt(57)
	v_fma_f64 v[118:119], v[1:2], v[9:10], -v[114:115]
	ds_read_b128 v[5:8], v70 offset:1152
	v_fma_f64 v[9:10], v[3:4], v[9:10], v[13:14]
	s_waitcnt vmcnt(51)
	v_fma_f64 v[105:106], v[105:106], v[33:34], -v[11:12]
	v_fma_f64 v[33:34], v[107:108], v[33:34], v[116:117]
	v_add_f64 v[71:72], v[71:72], 0
	v_add_f64 v[13:14], v[15:16], 0
	s_clause 0x4
	buffer_load_dword v16, off, s[0:3], 0 offset:460
	buffer_load_dword v115, off, s[0:3], 0 offset:472
	buffer_load_dword v120, off, s[0:3], 0 offset:464
	buffer_load_dword v15, off, s[0:3], 0 offset:456
	buffer_load_dword v114, off, s[0:3], 0 offset:436
	s_waitcnt lgkmcnt(0)
	v_mul_f64 v[121:122], v[5:6], v[21:22]
	v_mul_f64 v[21:22], v[7:8], v[21:22]
	ds_read_b128 v[1:4], v70 offset:1168
	s_clause 0x2
	buffer_load_dword v116, off, s[0:3], 0 offset:476
	buffer_load_dword v108, off, s[0:3], 0 offset:452
	;; [unrolled: 1-line block ×3, first 2 shown]
	v_add_f64 v[71:72], v[71:72], v[118:119]
	v_add_f64 v[13:14], v[13:14], v[9:10]
	ds_read_b128 v[9:12], v70 offset:1184
	s_waitcnt vmcnt(58) lgkmcnt(1)
	v_mul_f64 v[117:118], v[1:2], v[25:26]
	v_mul_f64 v[25:26], v[3:4], v[25:26]
	s_waitcnt vmcnt(56)
	v_fma_f64 v[21:22], v[5:6], v[27:28], -v[21:22]
	v_fma_f64 v[27:28], v[7:8], v[27:28], v[121:122]
	s_waitcnt vmcnt(52) lgkmcnt(0)
	v_mul_f64 v[123:124], v[9:10], v[29:30]
	v_add_f64 v[71:72], v[71:72], v[105:106]
	v_add_f64 v[13:14], v[13:14], v[33:34]
	s_clause 0x4
	buffer_load_dword v34, off, s[0:3], 0 offset:492
	buffer_load_dword v105, off, s[0:3], 0 offset:504
	;; [unrolled: 1-line block ×5, first 2 shown]
	v_mul_f64 v[29:30], v[11:12], v[29:30]
	s_waitcnt vmcnt(56)
	v_fma_f64 v[25:26], v[1:2], v[19:20], -v[25:26]
	ds_read_b128 v[5:8], v70 offset:1200
	v_fma_f64 v[19:20], v[3:4], v[19:20], v[117:118]
	v_add_f64 v[21:22], v[71:72], v[21:22]
	v_add_f64 v[13:14], v[13:14], v[27:28]
	s_clause 0x2
	buffer_load_dword v106, off, s[0:3], 0 offset:508
	buffer_load_dword v28, off, s[0:3], 0 offset:484
	buffer_load_dword v27, off, s[0:3], 0 offset:480
	s_waitcnt vmcnt(58) lgkmcnt(0)
	v_mul_f64 v[71:72], v[5:6], v[35:36]
	v_mul_f64 v[35:36], v[7:8], v[35:36]
	s_waitcnt vmcnt(56)
	v_fma_f64 v[29:30], v[9:10], v[37:38], -v[29:30]
	ds_read_b128 v[1:4], v70 offset:1216
	v_add_f64 v[21:22], v[21:22], v[25:26]
	v_fma_f64 v[25:26], v[11:12], v[37:38], v[123:124]
	v_add_f64 v[13:14], v[13:14], v[19:20]
	s_clause 0x4
	buffer_load_dword v20, off, s[0:3], 0 offset:524
	buffer_load_dword v37, off, s[0:3], 0 offset:536
	;; [unrolled: 1-line block ×5, first 2 shown]
	s_waitcnt vmcnt(57) lgkmcnt(0)
	v_mul_f64 v[118:119], v[1:2], v[39:40]
	v_mul_f64 v[39:40], v[3:4], v[39:40]
	s_waitcnt vmcnt(56)
	v_fma_f64 v[35:36], v[5:6], v[23:24], -v[35:36]
	ds_read_b128 v[9:12], v70 offset:1232
	v_fma_f64 v[23:24], v[7:8], v[23:24], v[71:72]
	v_add_f64 v[21:22], v[21:22], v[29:30]
	v_add_f64 v[13:14], v[13:14], v[25:26]
	s_clause 0x2
	buffer_load_dword v38, off, s[0:3], 0 offset:540
	buffer_load_dword v26, off, s[0:3], 0 offset:516
	buffer_load_dword v25, off, s[0:3], 0 offset:512
	ds_read_b128 v[5:8], v70 offset:1248
	s_waitcnt vmcnt(58) lgkmcnt(1)
	v_mul_f64 v[29:30], v[9:10], v[43:44]
	v_mul_f64 v[43:44], v[11:12], v[43:44]
	s_waitcnt vmcnt(56)
	v_fma_f64 v[39:40], v[1:2], v[45:46], -v[39:40]
	v_add_f64 v[21:22], v[21:22], v[35:36]
	v_fma_f64 v[35:36], v[3:4], v[45:46], v[118:119]
	v_add_f64 v[13:14], v[13:14], v[23:24]
	s_clause 0x4
	buffer_load_dword v24, off, s[0:3], 0 offset:556
	buffer_load_dword v45, off, s[0:3], 0 offset:568
	;; [unrolled: 1-line block ×5, first 2 shown]
	s_waitcnt vmcnt(57) lgkmcnt(0)
	v_mul_f64 v[124:125], v[5:6], v[47:48]
	v_mul_f64 v[47:48], v[7:8], v[47:48]
	s_waitcnt vmcnt(56)
	v_fma_f64 v[43:44], v[9:10], v[31:32], -v[43:44]
	ds_read_b128 v[1:4], v70 offset:1264
	v_fma_f64 v[29:30], v[11:12], v[31:32], v[29:30]
	s_clause 0x2
	buffer_load_dword v46, off, s[0:3], 0 offset:572
	buffer_load_dword v32, off, s[0:3], 0 offset:548
	;; [unrolled: 1-line block ×3, first 2 shown]
	ds_read_b128 v[9:12], v70 offset:1280
	v_add_f64 v[21:22], v[21:22], v[39:40]
	v_add_f64 v[13:14], v[13:14], v[35:36]
	s_waitcnt vmcnt(58) lgkmcnt(1)
	v_mul_f64 v[39:40], v[3:4], v[51:52]
	s_waitcnt vmcnt(56)
	v_fma_f64 v[47:48], v[5:6], v[53:54], -v[47:48]
	v_mul_f64 v[35:36], v[1:2], v[51:52]
	v_add_f64 v[21:22], v[21:22], v[43:44]
	v_fma_f64 v[43:44], v[7:8], v[53:54], v[124:125]
	v_add_f64 v[13:14], v[13:14], v[29:30]
	s_clause 0x4
	buffer_load_dword v30, off, s[0:3], 0 offset:588
	buffer_load_dword v51, off, s[0:3], 0 offset:600
	;; [unrolled: 1-line block ×5, first 2 shown]
	s_waitcnt vmcnt(57) lgkmcnt(0)
	v_mul_f64 v[124:125], v[9:10], v[55:56]
	v_mul_f64 v[54:55], v[11:12], v[55:56]
	s_waitcnt vmcnt(56)
	v_fma_f64 v[39:40], v[1:2], v[41:42], -v[39:40]
	ds_read_b128 v[5:8], v70 offset:1296
	v_fma_f64 v[35:36], v[3:4], v[41:42], v[35:36]
	s_clause 0x2
	buffer_load_dword v52, off, s[0:3], 0 offset:604
	buffer_load_dword v42, off, s[0:3], 0 offset:580
	;; [unrolled: 1-line block ×3, first 2 shown]
	ds_read_b128 v[1:4], v70 offset:1312
	v_add_f64 v[21:22], v[21:22], v[47:48]
	v_add_f64 v[13:14], v[13:14], v[43:44]
	s_waitcnt vmcnt(58) lgkmcnt(1)
	v_mul_f64 v[47:48], v[7:8], v[59:60]
	s_waitcnt vmcnt(56)
	v_fma_f64 v[55:56], v[9:10], v[61:62], -v[54:55]
	v_mul_f64 v[43:44], v[5:6], v[59:60]
	v_add_f64 v[21:22], v[21:22], v[39:40]
	v_fma_f64 v[39:40], v[11:12], v[61:62], v[124:125]
	v_add_f64 v[13:14], v[13:14], v[35:36]
	s_clause 0x4
	buffer_load_dword v36, off, s[0:3], 0 offset:620
	buffer_load_dword v59, off, s[0:3], 0 offset:632
	;; [unrolled: 1-line block ×5, first 2 shown]
	s_waitcnt vmcnt(57) lgkmcnt(0)
	v_mul_f64 v[124:125], v[1:2], v[63:64]
	v_mul_f64 v[62:63], v[3:4], v[63:64]
	s_waitcnt vmcnt(56)
	v_fma_f64 v[47:48], v[5:6], v[49:50], -v[47:48]
	ds_read_b128 v[9:12], v70 offset:1328
	v_fma_f64 v[43:44], v[7:8], v[49:50], v[43:44]
	v_add_f64 v[21:22], v[21:22], v[55:56]
	v_add_f64 v[13:14], v[13:14], v[39:40]
	s_clause 0x2
	buffer_load_dword v60, off, s[0:3], 0 offset:636
	buffer_load_dword v40, off, s[0:3], 0 offset:612
	buffer_load_dword v39, off, s[0:3], 0 offset:608
	ds_read_b128 v[5:8], v70 offset:1344
	s_waitcnt vmcnt(58) lgkmcnt(1)
	v_mul_f64 v[55:56], v[11:12], v[65:66]
	s_waitcnt vmcnt(56)
	v_fma_f64 v[63:64], v[1:2], v[67:68], -v[62:63]
	v_mul_f64 v[49:50], v[9:10], v[65:66]
	v_add_f64 v[21:22], v[21:22], v[47:48]
	v_fma_f64 v[47:48], v[3:4], v[67:68], v[124:125]
	v_add_f64 v[13:14], v[13:14], v[43:44]
	s_clause 0x4
	buffer_load_dword v44, off, s[0:3], 0 offset:652
	buffer_load_dword v65, off, s[0:3], 0 offset:664
	;; [unrolled: 1-line block ×5, first 2 shown]
	s_waitcnt vmcnt(57) lgkmcnt(0)
	v_mul_f64 v[124:125], v[5:6], v[109:110]
	v_mul_f64 v[109:110], v[7:8], v[109:110]
	s_waitcnt vmcnt(56)
	v_fma_f64 v[55:56], v[9:10], v[57:58], -v[55:56]
	ds_read_b128 v[1:4], v70 offset:1360
	v_fma_f64 v[49:50], v[11:12], v[57:58], v[49:50]
	v_add_f64 v[21:22], v[21:22], v[63:64]
	v_add_f64 v[13:14], v[13:14], v[47:48]
	s_clause 0x2
	buffer_load_dword v66, off, s[0:3], 0 offset:668
	buffer_load_dword v48, off, s[0:3], 0 offset:644
	;; [unrolled: 1-line block ×3, first 2 shown]
	ds_read_b128 v[9:12], v70 offset:1376
	s_waitcnt vmcnt(58) lgkmcnt(1)
	v_mul_f64 v[63:64], v[3:4], v[111:112]
	v_mul_f64 v[57:58], v[1:2], v[111:112]
	s_waitcnt vmcnt(56)
	v_fma_f64 v[109:110], v[5:6], v[17:18], -v[109:110]
	v_fma_f64 v[17:18], v[7:8], v[17:18], v[124:125]
	v_add_f64 v[21:22], v[21:22], v[55:56]
	v_add_f64 v[13:14], v[13:14], v[49:50]
	s_clause 0x4
	buffer_load_dword v50, off, s[0:3], 0 offset:684
	buffer_load_dword v55, off, s[0:3], 0 offset:696
	;; [unrolled: 1-line block ×5, first 2 shown]
	ds_read_b128 v[5:8], v70 offset:1392
	s_waitcnt vmcnt(57) lgkmcnt(1)
	v_mul_f64 v[124:125], v[9:10], v[15:16]
	v_mul_f64 v[15:16], v[11:12], v[15:16]
	s_waitcnt vmcnt(56)
	v_fma_f64 v[63:64], v[1:2], v[113:114], -v[63:64]
	v_fma_f64 v[57:58], v[3:4], v[113:114], v[57:58]
	v_add_f64 v[21:22], v[21:22], v[109:110]
	v_add_f64 v[13:14], v[13:14], v[17:18]
	s_clause 0x2
	buffer_load_dword v56, off, s[0:3], 0 offset:700
	buffer_load_dword v18, off, s[0:3], 0 offset:676
	;; [unrolled: 1-line block ×3, first 2 shown]
	s_waitcnt vmcnt(58) lgkmcnt(0)
	v_mul_f64 v[113:114], v[7:8], v[115:116]
	ds_read_b128 v[1:4], v70 offset:1408
	v_mul_f64 v[109:110], v[5:6], v[115:116]
	s_waitcnt vmcnt(56)
	v_fma_f64 v[15:16], v[9:10], v[107:108], -v[15:16]
	v_add_f64 v[21:22], v[21:22], v[63:64]
	v_fma_f64 v[63:64], v[11:12], v[107:108], v[124:125]
	v_add_f64 v[13:14], v[13:14], v[57:58]
	s_clause 0x4
	buffer_load_dword v58, off, s[0:3], 0 offset:716
	buffer_load_dword v107, off, s[0:3], 0 offset:728
	;; [unrolled: 1-line block ×5, first 2 shown]
	ds_read_b128 v[9:12], v70 offset:1424
	s_waitcnt vmcnt(57) lgkmcnt(1)
	v_mul_f64 v[124:125], v[1:2], v[33:34]
	v_mul_f64 v[33:34], v[3:4], v[33:34]
	s_waitcnt vmcnt(56)
	v_fma_f64 v[113:114], v[5:6], v[120:121], -v[113:114]
	v_add_f64 v[15:16], v[21:22], v[15:16]
	v_fma_f64 v[21:22], v[7:8], v[120:121], v[109:110]
	v_add_f64 v[13:14], v[13:14], v[63:64]
	s_clause 0x2
	buffer_load_dword v108, off, s[0:3], 0 offset:732
	buffer_load_dword v64, off, s[0:3], 0 offset:708
	;; [unrolled: 1-line block ×3, first 2 shown]
	ds_read_b128 v[5:8], v70 offset:1440
	s_waitcnt vmcnt(58) lgkmcnt(1)
	v_mul_f64 v[109:110], v[9:10], v[105:106]
	v_mul_f64 v[105:106], v[11:12], v[105:106]
	s_waitcnt vmcnt(56)
	v_fma_f64 v[33:34], v[1:2], v[27:28], -v[33:34]
	v_fma_f64 v[27:28], v[3:4], v[27:28], v[124:125]
	v_add_f64 v[15:16], v[15:16], v[113:114]
	v_add_f64 v[13:14], v[13:14], v[21:22]
	s_clause 0x4
	buffer_load_dword v22, off, s[0:3], 0 offset:748
	buffer_load_dword v113, off, s[0:3], 0 offset:760
	;; [unrolled: 1-line block ×5, first 2 shown]
	ds_read_b128 v[1:4], v70 offset:1456
	s_waitcnt vmcnt(57) lgkmcnt(1)
	v_mul_f64 v[120:121], v[5:6], v[19:20]
	v_mul_f64 v[19:20], v[7:8], v[19:20]
	s_waitcnt vmcnt(56)
	v_fma_f64 v[105:106], v[9:10], v[122:123], -v[105:106]
	v_add_f64 v[15:16], v[15:16], v[33:34]
	v_fma_f64 v[33:34], v[11:12], v[122:123], v[109:110]
	v_add_f64 v[13:14], v[13:14], v[27:28]
	s_clause 0x2
	buffer_load_dword v114, off, s[0:3], 0 offset:764
	buffer_load_dword v28, off, s[0:3], 0 offset:740
	;; [unrolled: 1-line block ×3, first 2 shown]
	ds_read_b128 v[9:12], v70 offset:1472
	s_waitcnt vmcnt(58) lgkmcnt(1)
	v_mul_f64 v[109:110], v[1:2], v[37:38]
	v_mul_f64 v[37:38], v[3:4], v[37:38]
	s_waitcnt vmcnt(56)
	v_fma_f64 v[19:20], v[5:6], v[25:26], -v[19:20]
	v_fma_f64 v[25:26], v[7:8], v[25:26], v[120:121]
	v_add_f64 v[15:16], v[15:16], v[105:106]
	v_add_f64 v[13:14], v[13:14], v[33:34]
	s_clause 0x4
	buffer_load_dword v34, off, s[0:3], 0 offset:780
	buffer_load_dword v105, off, s[0:3], 0 offset:792
	;; [unrolled: 1-line block ×5, first 2 shown]
	ds_read_b128 v[5:8], v70 offset:1488
	s_waitcnt vmcnt(57) lgkmcnt(1)
	v_mul_f64 v[122:123], v[9:10], v[23:24]
	v_mul_f64 v[23:24], v[11:12], v[23:24]
	s_waitcnt vmcnt(56)
	v_fma_f64 v[37:38], v[1:2], v[117:118], -v[37:38]
	v_add_f64 v[15:16], v[15:16], v[19:20]
	v_fma_f64 v[19:20], v[3:4], v[117:118], v[109:110]
	v_add_f64 v[13:14], v[13:14], v[25:26]
	s_clause 0x2
	buffer_load_dword v106, off, s[0:3], 0 offset:796
	buffer_load_dword v26, off, s[0:3], 0 offset:772
	;; [unrolled: 1-line block ×3, first 2 shown]
	s_waitcnt vmcnt(58) lgkmcnt(0)
	v_mul_f64 v[109:110], v[5:6], v[45:46]
	v_mul_f64 v[45:46], v[7:8], v[45:46]
	ds_read_b128 v[1:4], v70 offset:1504
	s_waitcnt vmcnt(56)
	v_fma_f64 v[23:24], v[9:10], v[31:32], -v[23:24]
	v_fma_f64 v[31:32], v[11:12], v[31:32], v[122:123]
	v_add_f64 v[15:16], v[15:16], v[37:38]
	v_add_f64 v[13:14], v[13:14], v[19:20]
	s_clause 0x4
	buffer_load_dword v20, off, s[0:3], 0 offset:812
	buffer_load_dword v37, off, s[0:3], 0 offset:824
	;; [unrolled: 1-line block ×5, first 2 shown]
	ds_read_b128 v[9:12], v70 offset:1520
	s_waitcnt vmcnt(57) lgkmcnt(1)
	v_mul_f64 v[123:124], v[1:2], v[29:30]
	v_mul_f64 v[29:30], v[3:4], v[29:30]
	s_waitcnt vmcnt(56)
	v_fma_f64 v[45:46], v[5:6], v[71:72], -v[45:46]
	v_add_f64 v[15:16], v[15:16], v[23:24]
	v_fma_f64 v[23:24], v[7:8], v[71:72], v[109:110]
	v_add_f64 v[13:14], v[13:14], v[31:32]
	s_clause 0x2
	buffer_load_dword v38, off, s[0:3], 0 offset:828
	buffer_load_dword v32, off, s[0:3], 0 offset:804
	;; [unrolled: 1-line block ×3, first 2 shown]
	s_waitcnt vmcnt(58) lgkmcnt(0)
	v_mul_f64 v[71:72], v[9:10], v[51:52]
	v_mul_f64 v[51:52], v[11:12], v[51:52]
	ds_read_b128 v[5:8], v70 offset:1536
	s_waitcnt vmcnt(56)
	v_fma_f64 v[29:30], v[1:2], v[41:42], -v[29:30]
	v_fma_f64 v[41:42], v[3:4], v[41:42], v[123:124]
	v_add_f64 v[15:16], v[15:16], v[45:46]
	v_add_f64 v[13:14], v[13:14], v[23:24]
	s_clause 0x4
	buffer_load_dword v24, off, s[0:3], 0 offset:844
	buffer_load_dword v45, off, s[0:3], 0 offset:856
	buffer_load_dword v109, off, s[0:3], 0 offset:848
	buffer_load_dword v23, off, s[0:3], 0 offset:840
	buffer_load_dword v118, off, s[0:3], 0 offset:820
	ds_read_b128 v[1:4], v70 offset:1552
	s_waitcnt vmcnt(57) lgkmcnt(1)
	v_mul_f64 v[123:124], v[5:6], v[35:36]
	v_mul_f64 v[35:36], v[7:8], v[35:36]
	s_waitcnt vmcnt(56)
	v_fma_f64 v[51:52], v[9:10], v[53:54], -v[51:52]
	v_add_f64 v[15:16], v[15:16], v[29:30]
	v_fma_f64 v[29:30], v[11:12], v[53:54], v[71:72]
	v_add_f64 v[13:14], v[13:14], v[41:42]
	s_clause 0x2
	buffer_load_dword v46, off, s[0:3], 0 offset:860
	buffer_load_dword v42, off, s[0:3], 0 offset:836
	buffer_load_dword v41, off, s[0:3], 0 offset:832
	ds_read_b128 v[9:12], v70 offset:1568
	s_waitcnt vmcnt(58) lgkmcnt(1)
	v_mul_f64 v[53:54], v[1:2], v[59:60]
	v_mul_f64 v[59:60], v[3:4], v[59:60]
	s_waitcnt vmcnt(56)
	v_fma_f64 v[35:36], v[5:6], v[39:40], -v[35:36]
	v_fma_f64 v[39:40], v[7:8], v[39:40], v[123:124]
	v_add_f64 v[15:16], v[15:16], v[51:52]
	v_add_f64 v[13:14], v[13:14], v[29:30]
	s_clause 0x4
	buffer_load_dword v30, off, s[0:3], 0 offset:876
	buffer_load_dword v51, off, s[0:3], 0 offset:888
	buffer_load_dword v71, off, s[0:3], 0 offset:880
	buffer_load_dword v29, off, s[0:3], 0 offset:872
	buffer_load_dword v110, off, s[0:3], 0 offset:852
	ds_read_b128 v[5:8], v70 offset:1584
	s_waitcnt vmcnt(57) lgkmcnt(1)
	v_mul_f64 v[123:124], v[9:10], v[43:44]
	v_mul_f64 v[43:44], v[11:12], v[43:44]
	s_waitcnt vmcnt(56)
	v_fma_f64 v[59:60], v[1:2], v[61:62], -v[59:60]
	v_add_f64 v[15:16], v[15:16], v[35:36]
	v_fma_f64 v[35:36], v[3:4], v[61:62], v[53:54]
	v_add_f64 v[13:14], v[13:14], v[39:40]
	s_clause 0x2
	buffer_load_dword v52, off, s[0:3], 0 offset:892
	buffer_load_dword v40, off, s[0:3], 0 offset:868
	buffer_load_dword v39, off, s[0:3], 0 offset:864
	ds_read_b128 v[1:4], v70 offset:1600
	s_waitcnt vmcnt(58) lgkmcnt(1)
	v_mul_f64 v[61:62], v[7:8], v[65:66]
	v_mul_f64 v[53:54], v[5:6], v[65:66]
	;; [unrolled: 28-line block ×3, first 2 shown]
	s_waitcnt vmcnt(56)
	v_fma_f64 v[49:50], v[1:2], v[17:18], -v[49:50]
	v_fma_f64 v[17:18], v[3:4], v[17:18], v[123:124]
	v_add_f64 v[15:16], v[15:16], v[61:62]
	v_add_f64 v[13:14], v[13:14], v[43:44]
	s_clause 0x4
	buffer_load_dword v44, off, s[0:3], 0 offset:940
	buffer_load_dword v61, off, s[0:3], 0 offset:952
	;; [unrolled: 1-line block ×5, first 2 shown]
	ds_read_b128 v[1:4], v70 offset:1648
	s_waitcnt vmcnt(57) lgkmcnt(1)
	v_mul_f64 v[123:124], v[5:6], v[57:58]
	v_mul_f64 v[57:58], v[7:8], v[57:58]
	s_waitcnt vmcnt(56)
	v_fma_f64 v[55:56], v[9:10], v[111:112], -v[55:56]
	v_add_f64 v[15:16], v[15:16], v[49:50]
	v_fma_f64 v[49:50], v[11:12], v[111:112], v[53:54]
	v_add_f64 v[13:14], v[13:14], v[17:18]
	s_clause 0x2
	buffer_load_dword v62, off, s[0:3], 0 offset:956
	buffer_load_dword v18, off, s[0:3], 0 offset:932
	;; [unrolled: 1-line block ×3, first 2 shown]
	ds_read_b128 v[9:12], v70 offset:1664
	buffer_load_dword v68, off, s[0:3], 0 offset:948
	s_waitcnt vmcnt(59) lgkmcnt(1)
	v_mul_f64 v[53:54], v[1:2], v[107:108]
	v_mul_f64 v[107:108], v[3:4], v[107:108]
	s_waitcnt vmcnt(57)
	v_fma_f64 v[57:58], v[5:6], v[63:64], -v[57:58]
	v_add_f64 v[15:16], v[15:16], v[55:56]
	v_fma_f64 v[55:56], v[7:8], v[63:64], v[123:124]
	v_add_f64 v[13:14], v[13:14], v[49:50]
	ds_read_b128 v[5:8], v70 offset:1680
	s_waitcnt vmcnt(53) lgkmcnt(1)
	v_mul_f64 v[49:50], v[9:10], v[21:22]
	v_mul_f64 v[21:22], v[11:12], v[21:22]
	s_waitcnt vmcnt(52)
	v_fma_f64 v[63:64], v[1:2], v[115:116], -v[107:108]
	v_fma_f64 v[53:54], v[3:4], v[115:116], v[53:54]
	ds_read_b128 v[1:4], v70 offset:1696
	v_add_f64 v[15:16], v[15:16], v[57:58]
	v_add_f64 v[13:14], v[13:14], v[55:56]
	s_waitcnt vmcnt(51) lgkmcnt(1)
	v_mul_f64 v[57:58], v[7:8], v[113:114]
	v_mul_f64 v[55:56], v[5:6], v[113:114]
	s_waitcnt vmcnt(49)
	v_fma_f64 v[21:22], v[9:10], v[27:28], -v[21:22]
	v_fma_f64 v[27:28], v[11:12], v[27:28], v[49:50]
	v_add_f64 v[15:16], v[15:16], v[63:64]
	v_add_f64 v[13:14], v[13:14], v[53:54]
	s_clause 0x3
	buffer_load_dword v49, off, s[0:3], 0 offset:160
	buffer_load_dword v50, off, s[0:3], 0 offset:164
	;; [unrolled: 1-line block ×4, first 2 shown]
	ds_read_b128 v[9:12], v70 offset:1712
	s_waitcnt vmcnt(49) lgkmcnt(1)
	v_mul_f64 v[63:64], v[1:2], v[33:34]
	v_mul_f64 v[33:34], v[3:4], v[33:34]
	s_waitcnt vmcnt(48)
	v_fma_f64 v[57:58], v[5:6], v[119:120], -v[57:58]
	v_add_f64 v[15:16], v[15:16], v[21:22]
	v_fma_f64 v[21:22], v[7:8], v[119:120], v[55:56]
	v_add_f64 v[13:14], v[13:14], v[27:28]
	ds_read_b128 v[5:8], v70 offset:1728
	s_waitcnt vmcnt(47) lgkmcnt(1)
	v_mul_f64 v[55:56], v[11:12], v[105:106]
	v_mul_f64 v[27:28], v[9:10], v[105:106]
	s_waitcnt vmcnt(45)
	v_fma_f64 v[33:34], v[1:2], v[25:26], -v[33:34]
	v_fma_f64 v[25:26], v[3:4], v[25:26], v[63:64]
	ds_read_b128 v[1:4], v70 offset:1744
	v_add_f64 v[15:16], v[15:16], v[57:58]
	v_add_f64 v[13:14], v[13:14], v[21:22]
	s_waitcnt vmcnt(41) lgkmcnt(1)
	v_mul_f64 v[21:22], v[5:6], v[19:20]
	v_mul_f64 v[19:20], v[7:8], v[19:20]
	s_waitcnt vmcnt(40)
	v_fma_f64 v[55:56], v[9:10], v[121:122], -v[55:56]
	v_fma_f64 v[27:28], v[11:12], v[121:122], v[27:28]
	ds_read_b128 v[9:12], v70 offset:1760
	v_add_f64 v[15:16], v[15:16], v[33:34]
	v_add_f64 v[13:14], v[13:14], v[25:26]
	;; [unrolled: 9-line block ×3, first 2 shown]
	s_waitcnt vmcnt(33) lgkmcnt(1)
	v_mul_f64 v[27:28], v[9:10], v[23:24]
	v_mul_f64 v[23:24], v[11:12], v[23:24]
	s_waitcnt vmcnt(32)
	v_fma_f64 v[31:32], v[1:2], v[117:118], -v[33:34]
	v_add_f64 v[15:16], v[15:16], v[19:20]
	v_fma_f64 v[19:20], v[3:4], v[117:118], v[25:26]
	v_add_f64 v[13:14], v[13:14], v[21:22]
	ds_read_b128 v[1:4], v70 offset:1792
	s_waitcnt vmcnt(31) lgkmcnt(1)
	v_mul_f64 v[25:26], v[7:8], v[45:46]
	v_mul_f64 v[21:22], v[5:6], v[45:46]
	s_waitcnt vmcnt(29)
	v_fma_f64 v[23:24], v[9:10], v[41:42], -v[23:24]
	v_fma_f64 v[27:28], v[11:12], v[41:42], v[27:28]
	ds_read_b128 v[9:12], v70 offset:1808
	v_add_f64 v[15:16], v[15:16], v[31:32]
	v_add_f64 v[13:14], v[13:14], v[19:20]
	s_waitcnt vmcnt(25) lgkmcnt(1)
	v_mul_f64 v[19:20], v[1:2], v[29:30]
	v_mul_f64 v[29:30], v[3:4], v[29:30]
	s_waitcnt vmcnt(24)
	v_fma_f64 v[25:26], v[5:6], v[109:110], -v[25:26]
	v_fma_f64 v[21:22], v[7:8], v[109:110], v[21:22]
	ds_read_b128 v[5:8], v70 offset:1824
	v_add_f64 v[15:16], v[15:16], v[23:24]
	v_add_f64 v[13:14], v[13:14], v[27:28]
	;; [unrolled: 9-line block ×3, first 2 shown]
	s_waitcnt vmcnt(17) lgkmcnt(1)
	v_mul_f64 v[25:26], v[7:8], v[35:36]
	s_waitcnt vmcnt(16)
	v_fma_f64 v[27:28], v[9:10], v[71:72], -v[27:28]
	v_mul_f64 v[21:22], v[5:6], v[35:36]
	v_fma_f64 v[23:24], v[11:12], v[71:72], v[23:24]
	ds_read_b128 v[9:12], v70 offset:1856
	v_add_f64 v[15:16], v[15:16], v[29:30]
	v_add_f64 v[13:14], v[13:14], v[19:20]
	s_waitcnt vmcnt(15) lgkmcnt(1)
	v_mul_f64 v[29:30], v[3:4], v[59:60]
	v_mul_f64 v[19:20], v[1:2], v[59:60]
	s_waitcnt vmcnt(13)
	v_fma_f64 v[25:26], v[5:6], v[47:48], -v[25:26]
	v_fma_f64 v[21:22], v[7:8], v[47:48], v[21:22]
	ds_read_b128 v[5:8], v70 offset:1872
	v_add_f64 v[15:16], v[15:16], v[27:28]
	v_add_f64 v[13:14], v[13:14], v[23:24]
	s_waitcnt vmcnt(9) lgkmcnt(1)
	v_mul_f64 v[27:28], v[11:12], v[43:44]
	s_waitcnt vmcnt(8)
	v_fma_f64 v[1:2], v[1:2], v[65:66], -v[29:30]
	v_mul_f64 v[23:24], v[9:10], v[43:44]
	v_fma_f64 v[3:4], v[3:4], v[65:66], v[19:20]
	v_add_f64 v[15:16], v[15:16], v[25:26]
	v_add_f64 v[13:14], v[13:14], v[21:22]
	s_waitcnt vmcnt(7) lgkmcnt(0)
	v_mul_f64 v[21:22], v[7:8], v[61:62]
	v_mul_f64 v[19:20], v[5:6], v[61:62]
	s_waitcnt vmcnt(5)
	v_fma_f64 v[9:10], v[9:10], v[17:18], -v[27:28]
	v_fma_f64 v[11:12], v[11:12], v[17:18], v[23:24]
	v_add_f64 v[1:2], v[15:16], v[1:2]
	v_add_f64 v[3:4], v[13:14], v[3:4]
	s_waitcnt vmcnt(4)
	v_fma_f64 v[5:6], v[5:6], v[67:68], -v[21:22]
	v_fma_f64 v[7:8], v[7:8], v[67:68], v[19:20]
	v_add_f64 v[1:2], v[1:2], v[9:10]
	v_add_f64 v[3:4], v[3:4], v[11:12]
	;; [unrolled: 1-line block ×4, first 2 shown]
	s_waitcnt vmcnt(2)
	v_add_f64 v[1:2], v[49:50], -v[1:2]
	s_waitcnt vmcnt(0)
	v_add_f64 v[3:4], v[53:54], -v[3:4]
	buffer_store_dword v2, off, s[0:3], 0 offset:164
	buffer_store_dword v1, off, s[0:3], 0 offset:160
	;; [unrolled: 1-line block ×4, first 2 shown]
	v_cmpx_lt_u32_e32 8, v0
	s_cbranch_execz .LBB58_351
; %bb.350:
	v_mov_b32_e32 v4, s63
	s_clause 0x3
	buffer_load_dword v1, v4, s[0:3], 0 offen
	buffer_load_dword v2, v4, s[0:3], 0 offen offset:4
	buffer_load_dword v3, v4, s[0:3], 0 offen offset:8
	;; [unrolled: 1-line block ×3, first 2 shown]
	buffer_store_dword v70, off, s[0:3], 0 offset:144
	buffer_store_dword v70, off, s[0:3], 0 offset:148
	;; [unrolled: 1-line block ×4, first 2 shown]
	s_waitcnt vmcnt(0)
	ds_write_b128 v69, v[1:4]
.LBB58_351:
	s_or_b32 exec_lo, exec_lo, s4
	s_waitcnt lgkmcnt(0)
	s_waitcnt_vscnt null, 0x0
	s_barrier
	buffer_gl0_inv
	s_clause 0x37
	buffer_load_dword v17, off, s[0:3], 0 offset:168
	buffer_load_dword v18, off, s[0:3], 0 offset:172
	;; [unrolled: 1-line block ×56, first 2 shown]
	ds_read_b128 v[5:8], v70 offset:1088
	s_clause 0x2
	buffer_load_dword v66, off, s[0:3], 0 offset:396
	buffer_load_dword v68, off, s[0:3], 0 offset:372
	;; [unrolled: 1-line block ×3, first 2 shown]
	ds_read_b128 v[1:4], v70 offset:1104
	s_clause 0x4
	buffer_load_dword v110, off, s[0:3], 0 offset:412
	buffer_load_dword v111, off, s[0:3], 0 offset:424
	;; [unrolled: 1-line block ×5, first 2 shown]
	ds_read_b128 v[105:108], v70 offset:1120
	s_mov_b32 s4, exec_lo
	s_waitcnt vmcnt(62) lgkmcnt(2)
	v_mul_f64 v[71:72], v[7:8], v[17:18]
	v_mul_f64 v[17:18], v[5:6], v[17:18]
	s_waitcnt vmcnt(60) lgkmcnt(1)
	v_mul_f64 v[114:115], v[3:4], v[13:14]
	v_mul_f64 v[13:14], v[1:2], v[13:14]
	;; [unrolled: 3-line block ×3, first 2 shown]
	v_fma_f64 v[71:72], v[5:6], v[15:16], -v[71:72]
	v_fma_f64 v[15:16], v[7:8], v[15:16], v[17:18]
	s_clause 0x2
	buffer_load_dword v112, off, s[0:3], 0 offset:428
	buffer_load_dword v18, off, s[0:3], 0 offset:404
	;; [unrolled: 1-line block ×3, first 2 shown]
	s_waitcnt vmcnt(57)
	v_fma_f64 v[118:119], v[1:2], v[9:10], -v[114:115]
	ds_read_b128 v[5:8], v70 offset:1136
	v_fma_f64 v[9:10], v[3:4], v[9:10], v[13:14]
	s_waitcnt vmcnt(51)
	v_fma_f64 v[105:106], v[105:106], v[33:34], -v[11:12]
	v_fma_f64 v[33:34], v[107:108], v[33:34], v[116:117]
	v_add_f64 v[71:72], v[71:72], 0
	v_add_f64 v[13:14], v[15:16], 0
	s_clause 0x4
	buffer_load_dword v16, off, s[0:3], 0 offset:444
	buffer_load_dword v115, off, s[0:3], 0 offset:456
	;; [unrolled: 1-line block ×5, first 2 shown]
	s_waitcnt lgkmcnt(0)
	v_mul_f64 v[121:122], v[5:6], v[21:22]
	v_mul_f64 v[21:22], v[7:8], v[21:22]
	ds_read_b128 v[1:4], v70 offset:1152
	s_clause 0x2
	buffer_load_dword v116, off, s[0:3], 0 offset:460
	buffer_load_dword v108, off, s[0:3], 0 offset:436
	;; [unrolled: 1-line block ×3, first 2 shown]
	v_add_f64 v[71:72], v[71:72], v[118:119]
	v_add_f64 v[13:14], v[13:14], v[9:10]
	ds_read_b128 v[9:12], v70 offset:1168
	s_waitcnt vmcnt(58) lgkmcnt(1)
	v_mul_f64 v[117:118], v[1:2], v[25:26]
	v_mul_f64 v[25:26], v[3:4], v[25:26]
	s_waitcnt vmcnt(56)
	v_fma_f64 v[21:22], v[5:6], v[27:28], -v[21:22]
	v_fma_f64 v[27:28], v[7:8], v[27:28], v[121:122]
	s_waitcnt vmcnt(52) lgkmcnt(0)
	v_mul_f64 v[123:124], v[9:10], v[29:30]
	v_add_f64 v[71:72], v[71:72], v[105:106]
	v_add_f64 v[13:14], v[13:14], v[33:34]
	s_clause 0x4
	buffer_load_dword v34, off, s[0:3], 0 offset:476
	buffer_load_dword v105, off, s[0:3], 0 offset:488
	;; [unrolled: 1-line block ×5, first 2 shown]
	v_mul_f64 v[29:30], v[11:12], v[29:30]
	s_waitcnt vmcnt(56)
	v_fma_f64 v[25:26], v[1:2], v[19:20], -v[25:26]
	ds_read_b128 v[5:8], v70 offset:1184
	v_fma_f64 v[19:20], v[3:4], v[19:20], v[117:118]
	v_add_f64 v[21:22], v[71:72], v[21:22]
	v_add_f64 v[13:14], v[13:14], v[27:28]
	s_clause 0x2
	buffer_load_dword v106, off, s[0:3], 0 offset:492
	buffer_load_dword v28, off, s[0:3], 0 offset:468
	;; [unrolled: 1-line block ×3, first 2 shown]
	s_waitcnt vmcnt(58) lgkmcnt(0)
	v_mul_f64 v[71:72], v[5:6], v[35:36]
	v_mul_f64 v[35:36], v[7:8], v[35:36]
	s_waitcnt vmcnt(56)
	v_fma_f64 v[29:30], v[9:10], v[37:38], -v[29:30]
	ds_read_b128 v[1:4], v70 offset:1200
	v_add_f64 v[21:22], v[21:22], v[25:26]
	v_fma_f64 v[25:26], v[11:12], v[37:38], v[123:124]
	v_add_f64 v[13:14], v[13:14], v[19:20]
	s_clause 0x4
	buffer_load_dword v20, off, s[0:3], 0 offset:508
	buffer_load_dword v37, off, s[0:3], 0 offset:520
	buffer_load_dword v117, off, s[0:3], 0 offset:512
	buffer_load_dword v19, off, s[0:3], 0 offset:504
	buffer_load_dword v123, off, s[0:3], 0 offset:484
	s_waitcnt vmcnt(57) lgkmcnt(0)
	v_mul_f64 v[118:119], v[1:2], v[39:40]
	v_mul_f64 v[39:40], v[3:4], v[39:40]
	s_waitcnt vmcnt(56)
	v_fma_f64 v[35:36], v[5:6], v[23:24], -v[35:36]
	ds_read_b128 v[9:12], v70 offset:1216
	v_fma_f64 v[23:24], v[7:8], v[23:24], v[71:72]
	v_add_f64 v[21:22], v[21:22], v[29:30]
	v_add_f64 v[13:14], v[13:14], v[25:26]
	s_clause 0x2
	buffer_load_dword v38, off, s[0:3], 0 offset:524
	buffer_load_dword v26, off, s[0:3], 0 offset:500
	;; [unrolled: 1-line block ×3, first 2 shown]
	ds_read_b128 v[5:8], v70 offset:1232
	s_waitcnt vmcnt(58) lgkmcnt(1)
	v_mul_f64 v[29:30], v[9:10], v[43:44]
	v_mul_f64 v[43:44], v[11:12], v[43:44]
	s_waitcnt vmcnt(56)
	v_fma_f64 v[39:40], v[1:2], v[45:46], -v[39:40]
	v_add_f64 v[21:22], v[21:22], v[35:36]
	v_fma_f64 v[35:36], v[3:4], v[45:46], v[118:119]
	v_add_f64 v[13:14], v[13:14], v[23:24]
	s_clause 0x4
	buffer_load_dword v24, off, s[0:3], 0 offset:540
	buffer_load_dword v45, off, s[0:3], 0 offset:552
	;; [unrolled: 1-line block ×5, first 2 shown]
	s_waitcnt vmcnt(57) lgkmcnt(0)
	v_mul_f64 v[124:125], v[5:6], v[47:48]
	v_mul_f64 v[47:48], v[7:8], v[47:48]
	s_waitcnt vmcnt(56)
	v_fma_f64 v[43:44], v[9:10], v[31:32], -v[43:44]
	ds_read_b128 v[1:4], v70 offset:1248
	v_fma_f64 v[29:30], v[11:12], v[31:32], v[29:30]
	s_clause 0x2
	buffer_load_dword v46, off, s[0:3], 0 offset:556
	buffer_load_dword v32, off, s[0:3], 0 offset:532
	buffer_load_dword v31, off, s[0:3], 0 offset:528
	ds_read_b128 v[9:12], v70 offset:1264
	v_add_f64 v[21:22], v[21:22], v[39:40]
	v_add_f64 v[13:14], v[13:14], v[35:36]
	s_waitcnt vmcnt(58) lgkmcnt(1)
	v_mul_f64 v[39:40], v[3:4], v[51:52]
	s_waitcnt vmcnt(56)
	v_fma_f64 v[47:48], v[5:6], v[53:54], -v[47:48]
	v_mul_f64 v[35:36], v[1:2], v[51:52]
	v_add_f64 v[21:22], v[21:22], v[43:44]
	v_fma_f64 v[43:44], v[7:8], v[53:54], v[124:125]
	v_add_f64 v[13:14], v[13:14], v[29:30]
	s_clause 0x4
	buffer_load_dword v30, off, s[0:3], 0 offset:572
	buffer_load_dword v51, off, s[0:3], 0 offset:584
	;; [unrolled: 1-line block ×5, first 2 shown]
	s_waitcnt vmcnt(57) lgkmcnt(0)
	v_mul_f64 v[124:125], v[9:10], v[55:56]
	v_mul_f64 v[54:55], v[11:12], v[55:56]
	s_waitcnt vmcnt(56)
	v_fma_f64 v[39:40], v[1:2], v[41:42], -v[39:40]
	ds_read_b128 v[5:8], v70 offset:1280
	v_fma_f64 v[35:36], v[3:4], v[41:42], v[35:36]
	s_clause 0x2
	buffer_load_dword v52, off, s[0:3], 0 offset:588
	buffer_load_dword v42, off, s[0:3], 0 offset:564
	;; [unrolled: 1-line block ×3, first 2 shown]
	ds_read_b128 v[1:4], v70 offset:1296
	v_add_f64 v[21:22], v[21:22], v[47:48]
	v_add_f64 v[13:14], v[13:14], v[43:44]
	s_waitcnt vmcnt(58) lgkmcnt(1)
	v_mul_f64 v[47:48], v[7:8], v[59:60]
	s_waitcnt vmcnt(56)
	v_fma_f64 v[55:56], v[9:10], v[61:62], -v[54:55]
	v_mul_f64 v[43:44], v[5:6], v[59:60]
	v_add_f64 v[21:22], v[21:22], v[39:40]
	v_fma_f64 v[39:40], v[11:12], v[61:62], v[124:125]
	v_add_f64 v[13:14], v[13:14], v[35:36]
	s_clause 0x4
	buffer_load_dword v36, off, s[0:3], 0 offset:604
	buffer_load_dword v59, off, s[0:3], 0 offset:616
	;; [unrolled: 1-line block ×5, first 2 shown]
	s_waitcnt vmcnt(57) lgkmcnt(0)
	v_mul_f64 v[124:125], v[1:2], v[63:64]
	v_mul_f64 v[62:63], v[3:4], v[63:64]
	s_waitcnt vmcnt(56)
	v_fma_f64 v[47:48], v[5:6], v[49:50], -v[47:48]
	ds_read_b128 v[9:12], v70 offset:1312
	v_fma_f64 v[43:44], v[7:8], v[49:50], v[43:44]
	v_add_f64 v[21:22], v[21:22], v[55:56]
	v_add_f64 v[13:14], v[13:14], v[39:40]
	s_clause 0x2
	buffer_load_dword v60, off, s[0:3], 0 offset:620
	buffer_load_dword v40, off, s[0:3], 0 offset:596
	buffer_load_dword v39, off, s[0:3], 0 offset:592
	ds_read_b128 v[5:8], v70 offset:1328
	s_waitcnt vmcnt(58) lgkmcnt(1)
	v_mul_f64 v[55:56], v[11:12], v[65:66]
	s_waitcnt vmcnt(56)
	v_fma_f64 v[63:64], v[1:2], v[67:68], -v[62:63]
	v_mul_f64 v[49:50], v[9:10], v[65:66]
	v_add_f64 v[21:22], v[21:22], v[47:48]
	v_fma_f64 v[47:48], v[3:4], v[67:68], v[124:125]
	v_add_f64 v[13:14], v[13:14], v[43:44]
	s_clause 0x4
	buffer_load_dword v44, off, s[0:3], 0 offset:636
	buffer_load_dword v65, off, s[0:3], 0 offset:648
	;; [unrolled: 1-line block ×5, first 2 shown]
	s_waitcnt vmcnt(57) lgkmcnt(0)
	v_mul_f64 v[124:125], v[5:6], v[109:110]
	v_mul_f64 v[109:110], v[7:8], v[109:110]
	s_waitcnt vmcnt(56)
	v_fma_f64 v[55:56], v[9:10], v[57:58], -v[55:56]
	ds_read_b128 v[1:4], v70 offset:1344
	v_fma_f64 v[49:50], v[11:12], v[57:58], v[49:50]
	v_add_f64 v[21:22], v[21:22], v[63:64]
	v_add_f64 v[13:14], v[13:14], v[47:48]
	s_clause 0x2
	buffer_load_dword v66, off, s[0:3], 0 offset:652
	buffer_load_dword v48, off, s[0:3], 0 offset:628
	;; [unrolled: 1-line block ×3, first 2 shown]
	ds_read_b128 v[9:12], v70 offset:1360
	s_waitcnt vmcnt(58) lgkmcnt(1)
	v_mul_f64 v[63:64], v[3:4], v[111:112]
	v_mul_f64 v[57:58], v[1:2], v[111:112]
	s_waitcnt vmcnt(56)
	v_fma_f64 v[109:110], v[5:6], v[17:18], -v[109:110]
	v_fma_f64 v[17:18], v[7:8], v[17:18], v[124:125]
	v_add_f64 v[21:22], v[21:22], v[55:56]
	v_add_f64 v[13:14], v[13:14], v[49:50]
	s_clause 0x4
	buffer_load_dword v50, off, s[0:3], 0 offset:668
	buffer_load_dword v55, off, s[0:3], 0 offset:680
	;; [unrolled: 1-line block ×5, first 2 shown]
	ds_read_b128 v[5:8], v70 offset:1376
	s_waitcnt vmcnt(57) lgkmcnt(1)
	v_mul_f64 v[124:125], v[9:10], v[15:16]
	v_mul_f64 v[15:16], v[11:12], v[15:16]
	s_waitcnt vmcnt(56)
	v_fma_f64 v[63:64], v[1:2], v[113:114], -v[63:64]
	v_fma_f64 v[57:58], v[3:4], v[113:114], v[57:58]
	v_add_f64 v[21:22], v[21:22], v[109:110]
	v_add_f64 v[13:14], v[13:14], v[17:18]
	s_clause 0x2
	buffer_load_dword v56, off, s[0:3], 0 offset:684
	buffer_load_dword v18, off, s[0:3], 0 offset:660
	;; [unrolled: 1-line block ×3, first 2 shown]
	s_waitcnt vmcnt(58) lgkmcnt(0)
	v_mul_f64 v[113:114], v[7:8], v[115:116]
	ds_read_b128 v[1:4], v70 offset:1392
	v_mul_f64 v[109:110], v[5:6], v[115:116]
	s_waitcnt vmcnt(56)
	v_fma_f64 v[15:16], v[9:10], v[107:108], -v[15:16]
	v_add_f64 v[21:22], v[21:22], v[63:64]
	v_fma_f64 v[63:64], v[11:12], v[107:108], v[124:125]
	v_add_f64 v[13:14], v[13:14], v[57:58]
	s_clause 0x4
	buffer_load_dword v58, off, s[0:3], 0 offset:700
	buffer_load_dword v107, off, s[0:3], 0 offset:712
	;; [unrolled: 1-line block ×5, first 2 shown]
	ds_read_b128 v[9:12], v70 offset:1408
	s_waitcnt vmcnt(57) lgkmcnt(1)
	v_mul_f64 v[124:125], v[1:2], v[33:34]
	v_mul_f64 v[33:34], v[3:4], v[33:34]
	s_waitcnt vmcnt(56)
	v_fma_f64 v[113:114], v[5:6], v[120:121], -v[113:114]
	v_add_f64 v[15:16], v[21:22], v[15:16]
	v_fma_f64 v[21:22], v[7:8], v[120:121], v[109:110]
	v_add_f64 v[13:14], v[13:14], v[63:64]
	s_clause 0x2
	buffer_load_dword v108, off, s[0:3], 0 offset:716
	buffer_load_dword v64, off, s[0:3], 0 offset:692
	;; [unrolled: 1-line block ×3, first 2 shown]
	ds_read_b128 v[5:8], v70 offset:1424
	s_waitcnt vmcnt(58) lgkmcnt(1)
	v_mul_f64 v[109:110], v[9:10], v[105:106]
	v_mul_f64 v[105:106], v[11:12], v[105:106]
	s_waitcnt vmcnt(56)
	v_fma_f64 v[33:34], v[1:2], v[27:28], -v[33:34]
	v_fma_f64 v[27:28], v[3:4], v[27:28], v[124:125]
	v_add_f64 v[15:16], v[15:16], v[113:114]
	v_add_f64 v[13:14], v[13:14], v[21:22]
	s_clause 0x4
	buffer_load_dword v22, off, s[0:3], 0 offset:732
	buffer_load_dword v113, off, s[0:3], 0 offset:744
	;; [unrolled: 1-line block ×5, first 2 shown]
	ds_read_b128 v[1:4], v70 offset:1440
	s_waitcnt vmcnt(57) lgkmcnt(1)
	v_mul_f64 v[120:121], v[5:6], v[19:20]
	v_mul_f64 v[19:20], v[7:8], v[19:20]
	s_waitcnt vmcnt(56)
	v_fma_f64 v[105:106], v[9:10], v[122:123], -v[105:106]
	v_add_f64 v[15:16], v[15:16], v[33:34]
	v_fma_f64 v[33:34], v[11:12], v[122:123], v[109:110]
	v_add_f64 v[13:14], v[13:14], v[27:28]
	s_clause 0x2
	buffer_load_dword v114, off, s[0:3], 0 offset:748
	buffer_load_dword v28, off, s[0:3], 0 offset:724
	;; [unrolled: 1-line block ×3, first 2 shown]
	ds_read_b128 v[9:12], v70 offset:1456
	s_waitcnt vmcnt(58) lgkmcnt(1)
	v_mul_f64 v[109:110], v[1:2], v[37:38]
	v_mul_f64 v[37:38], v[3:4], v[37:38]
	s_waitcnt vmcnt(56)
	v_fma_f64 v[19:20], v[5:6], v[25:26], -v[19:20]
	v_fma_f64 v[25:26], v[7:8], v[25:26], v[120:121]
	v_add_f64 v[15:16], v[15:16], v[105:106]
	v_add_f64 v[13:14], v[13:14], v[33:34]
	s_clause 0x4
	buffer_load_dword v34, off, s[0:3], 0 offset:764
	buffer_load_dword v105, off, s[0:3], 0 offset:776
	;; [unrolled: 1-line block ×5, first 2 shown]
	ds_read_b128 v[5:8], v70 offset:1472
	s_waitcnt vmcnt(57) lgkmcnt(1)
	v_mul_f64 v[122:123], v[9:10], v[23:24]
	v_mul_f64 v[23:24], v[11:12], v[23:24]
	s_waitcnt vmcnt(56)
	v_fma_f64 v[37:38], v[1:2], v[117:118], -v[37:38]
	v_add_f64 v[15:16], v[15:16], v[19:20]
	v_fma_f64 v[19:20], v[3:4], v[117:118], v[109:110]
	v_add_f64 v[13:14], v[13:14], v[25:26]
	s_clause 0x2
	buffer_load_dword v106, off, s[0:3], 0 offset:780
	buffer_load_dword v26, off, s[0:3], 0 offset:756
	;; [unrolled: 1-line block ×3, first 2 shown]
	s_waitcnt vmcnt(58) lgkmcnt(0)
	v_mul_f64 v[109:110], v[5:6], v[45:46]
	v_mul_f64 v[45:46], v[7:8], v[45:46]
	ds_read_b128 v[1:4], v70 offset:1488
	s_waitcnt vmcnt(56)
	v_fma_f64 v[23:24], v[9:10], v[31:32], -v[23:24]
	v_fma_f64 v[31:32], v[11:12], v[31:32], v[122:123]
	v_add_f64 v[15:16], v[15:16], v[37:38]
	v_add_f64 v[13:14], v[13:14], v[19:20]
	s_clause 0x4
	buffer_load_dword v20, off, s[0:3], 0 offset:796
	buffer_load_dword v37, off, s[0:3], 0 offset:808
	;; [unrolled: 1-line block ×5, first 2 shown]
	ds_read_b128 v[9:12], v70 offset:1504
	s_waitcnt vmcnt(57) lgkmcnt(1)
	v_mul_f64 v[123:124], v[1:2], v[29:30]
	v_mul_f64 v[29:30], v[3:4], v[29:30]
	s_waitcnt vmcnt(56)
	v_fma_f64 v[45:46], v[5:6], v[71:72], -v[45:46]
	v_add_f64 v[15:16], v[15:16], v[23:24]
	v_fma_f64 v[23:24], v[7:8], v[71:72], v[109:110]
	v_add_f64 v[13:14], v[13:14], v[31:32]
	s_clause 0x2
	buffer_load_dword v38, off, s[0:3], 0 offset:812
	buffer_load_dword v32, off, s[0:3], 0 offset:788
	;; [unrolled: 1-line block ×3, first 2 shown]
	s_waitcnt vmcnt(58) lgkmcnt(0)
	v_mul_f64 v[71:72], v[9:10], v[51:52]
	v_mul_f64 v[51:52], v[11:12], v[51:52]
	ds_read_b128 v[5:8], v70 offset:1520
	s_waitcnt vmcnt(56)
	v_fma_f64 v[29:30], v[1:2], v[41:42], -v[29:30]
	v_fma_f64 v[41:42], v[3:4], v[41:42], v[123:124]
	v_add_f64 v[15:16], v[15:16], v[45:46]
	v_add_f64 v[13:14], v[13:14], v[23:24]
	s_clause 0x4
	buffer_load_dword v24, off, s[0:3], 0 offset:828
	buffer_load_dword v45, off, s[0:3], 0 offset:840
	buffer_load_dword v109, off, s[0:3], 0 offset:832
	buffer_load_dword v23, off, s[0:3], 0 offset:824
	buffer_load_dword v118, off, s[0:3], 0 offset:804
	ds_read_b128 v[1:4], v70 offset:1536
	s_waitcnt vmcnt(57) lgkmcnt(1)
	v_mul_f64 v[123:124], v[5:6], v[35:36]
	v_mul_f64 v[35:36], v[7:8], v[35:36]
	s_waitcnt vmcnt(56)
	v_fma_f64 v[51:52], v[9:10], v[53:54], -v[51:52]
	v_add_f64 v[15:16], v[15:16], v[29:30]
	v_fma_f64 v[29:30], v[11:12], v[53:54], v[71:72]
	v_add_f64 v[13:14], v[13:14], v[41:42]
	s_clause 0x2
	buffer_load_dword v46, off, s[0:3], 0 offset:844
	buffer_load_dword v42, off, s[0:3], 0 offset:820
	buffer_load_dword v41, off, s[0:3], 0 offset:816
	ds_read_b128 v[9:12], v70 offset:1552
	s_waitcnt vmcnt(58) lgkmcnt(1)
	v_mul_f64 v[53:54], v[1:2], v[59:60]
	v_mul_f64 v[59:60], v[3:4], v[59:60]
	s_waitcnt vmcnt(56)
	v_fma_f64 v[35:36], v[5:6], v[39:40], -v[35:36]
	v_fma_f64 v[39:40], v[7:8], v[39:40], v[123:124]
	v_add_f64 v[15:16], v[15:16], v[51:52]
	v_add_f64 v[13:14], v[13:14], v[29:30]
	s_clause 0x4
	buffer_load_dword v30, off, s[0:3], 0 offset:860
	buffer_load_dword v51, off, s[0:3], 0 offset:872
	buffer_load_dword v71, off, s[0:3], 0 offset:864
	buffer_load_dword v29, off, s[0:3], 0 offset:856
	buffer_load_dword v110, off, s[0:3], 0 offset:836
	ds_read_b128 v[5:8], v70 offset:1568
	s_waitcnt vmcnt(57) lgkmcnt(1)
	v_mul_f64 v[123:124], v[9:10], v[43:44]
	v_mul_f64 v[43:44], v[11:12], v[43:44]
	s_waitcnt vmcnt(56)
	v_fma_f64 v[59:60], v[1:2], v[61:62], -v[59:60]
	v_add_f64 v[15:16], v[15:16], v[35:36]
	v_fma_f64 v[35:36], v[3:4], v[61:62], v[53:54]
	v_add_f64 v[13:14], v[13:14], v[39:40]
	s_clause 0x2
	buffer_load_dword v52, off, s[0:3], 0 offset:876
	buffer_load_dword v40, off, s[0:3], 0 offset:852
	buffer_load_dword v39, off, s[0:3], 0 offset:848
	ds_read_b128 v[1:4], v70 offset:1584
	s_waitcnt vmcnt(58) lgkmcnt(1)
	v_mul_f64 v[61:62], v[7:8], v[65:66]
	v_mul_f64 v[53:54], v[5:6], v[65:66]
	;; [unrolled: 28-line block ×4, first 2 shown]
	s_waitcnt vmcnt(56)
	v_fma_f64 v[57:58], v[5:6], v[63:64], -v[57:58]
	v_add_f64 v[15:16], v[15:16], v[55:56]
	v_fma_f64 v[55:56], v[7:8], v[63:64], v[123:124]
	v_add_f64 v[13:14], v[13:14], v[49:50]
	s_clause 0x2
	buffer_load_dword v50, off, s[0:3], 0 offset:956
	buffer_load_dword v49, off, s[0:3], 0 offset:952
	;; [unrolled: 1-line block ×3, first 2 shown]
	ds_read_b128 v[5:8], v70 offset:1664
	s_waitcnt vmcnt(55) lgkmcnt(1)
	v_mul_f64 v[63:64], v[9:10], v[21:22]
	v_mul_f64 v[21:22], v[11:12], v[21:22]
	s_waitcnt vmcnt(54)
	v_fma_f64 v[107:108], v[1:2], v[115:116], -v[107:108]
	v_fma_f64 v[53:54], v[3:4], v[115:116], v[53:54]
	v_add_f64 v[15:16], v[15:16], v[57:58]
	v_add_f64 v[13:14], v[13:14], v[55:56]
	s_clause 0x1
	buffer_load_dword v56, off, s[0:3], 0 offset:948
	buffer_load_dword v55, off, s[0:3], 0 offset:944
	ds_read_b128 v[1:4], v70 offset:1680
	s_waitcnt vmcnt(55) lgkmcnt(1)
	v_mul_f64 v[111:112], v[7:8], v[113:114]
	v_mul_f64 v[57:58], v[5:6], v[113:114]
	s_waitcnt vmcnt(53)
	v_fma_f64 v[21:22], v[9:10], v[27:28], -v[21:22]
	v_fma_f64 v[27:28], v[11:12], v[27:28], v[63:64]
	ds_read_b128 v[9:12], v70 offset:1696
	v_add_f64 v[15:16], v[15:16], v[107:108]
	v_add_f64 v[13:14], v[13:14], v[53:54]
	s_waitcnt vmcnt(49) lgkmcnt(1)
	v_mul_f64 v[53:54], v[1:2], v[33:34]
	v_mul_f64 v[33:34], v[3:4], v[33:34]
	s_waitcnt vmcnt(48)
	v_fma_f64 v[63:64], v[5:6], v[119:120], -v[111:112]
	v_add_f64 v[15:16], v[15:16], v[21:22]
	v_fma_f64 v[21:22], v[7:8], v[119:120], v[57:58]
	v_add_f64 v[13:14], v[13:14], v[27:28]
	s_clause 0x3
	buffer_load_dword v27, off, s[0:3], 0 offset:144
	buffer_load_dword v28, off, s[0:3], 0 offset:148
	;; [unrolled: 1-line block ×4, first 2 shown]
	ds_read_b128 v[5:8], v70 offset:1712
	s_waitcnt vmcnt(51) lgkmcnt(1)
	v_mul_f64 v[107:108], v[9:10], v[105:106]
	v_mul_f64 v[105:106], v[11:12], v[105:106]
	s_waitcnt vmcnt(49)
	v_fma_f64 v[33:34], v[1:2], v[25:26], -v[33:34]
	v_fma_f64 v[25:26], v[3:4], v[25:26], v[53:54]
	ds_read_b128 v[1:4], v70 offset:1728
	v_add_f64 v[15:16], v[15:16], v[63:64]
	v_add_f64 v[13:14], v[13:14], v[21:22]
	s_waitcnt vmcnt(45) lgkmcnt(1)
	v_mul_f64 v[21:22], v[5:6], v[19:20]
	v_mul_f64 v[19:20], v[7:8], v[19:20]
	s_waitcnt vmcnt(44)
	v_fma_f64 v[53:54], v[9:10], v[121:122], -v[105:106]
	v_add_f64 v[15:16], v[15:16], v[33:34]
	v_fma_f64 v[33:34], v[11:12], v[121:122], v[107:108]
	v_add_f64 v[13:14], v[13:14], v[25:26]
	ds_read_b128 v[9:12], v70 offset:1744
	s_waitcnt vmcnt(43) lgkmcnt(1)
	v_mul_f64 v[25:26], v[1:2], v[37:38]
	v_mul_f64 v[37:38], v[3:4], v[37:38]
	s_waitcnt vmcnt(41)
	v_fma_f64 v[19:20], v[5:6], v[31:32], -v[19:20]
	v_fma_f64 v[21:22], v[7:8], v[31:32], v[21:22]
	ds_read_b128 v[5:8], v70 offset:1760
	v_add_f64 v[15:16], v[15:16], v[53:54]
	v_add_f64 v[13:14], v[13:14], v[33:34]
	s_waitcnt vmcnt(37) lgkmcnt(1)
	v_mul_f64 v[31:32], v[9:10], v[23:24]
	v_mul_f64 v[23:24], v[11:12], v[23:24]
	s_waitcnt vmcnt(36)
	v_fma_f64 v[33:34], v[1:2], v[117:118], -v[37:38]
	v_add_f64 v[15:16], v[15:16], v[19:20]
	v_fma_f64 v[19:20], v[3:4], v[117:118], v[25:26]
	v_add_f64 v[13:14], v[13:14], v[21:22]
	ds_read_b128 v[1:4], v70 offset:1776
	s_waitcnt vmcnt(35) lgkmcnt(1)
	v_mul_f64 v[25:26], v[7:8], v[45:46]
	v_mul_f64 v[21:22], v[5:6], v[45:46]
	s_waitcnt vmcnt(33)
	v_fma_f64 v[23:24], v[9:10], v[41:42], -v[23:24]
	v_fma_f64 v[31:32], v[11:12], v[41:42], v[31:32]
	ds_read_b128 v[9:12], v70 offset:1792
	v_add_f64 v[15:16], v[15:16], v[33:34]
	v_add_f64 v[13:14], v[13:14], v[19:20]
	s_waitcnt vmcnt(29) lgkmcnt(1)
	v_mul_f64 v[19:20], v[1:2], v[29:30]
	v_mul_f64 v[29:30], v[3:4], v[29:30]
	s_waitcnt vmcnt(28)
	v_fma_f64 v[25:26], v[5:6], v[109:110], -v[25:26]
	v_fma_f64 v[21:22], v[7:8], v[109:110], v[21:22]
	ds_read_b128 v[5:8], v70 offset:1808
	v_add_f64 v[15:16], v[15:16], v[23:24]
	v_add_f64 v[13:14], v[13:14], v[31:32]
	s_waitcnt vmcnt(27) lgkmcnt(1)
	v_mul_f64 v[31:32], v[11:12], v[51:52]
	v_mul_f64 v[23:24], v[9:10], v[51:52]
	s_waitcnt vmcnt(25)
	v_fma_f64 v[29:30], v[1:2], v[39:40], -v[29:30]
	v_fma_f64 v[19:20], v[3:4], v[39:40], v[19:20]
	ds_read_b128 v[1:4], v70 offset:1824
	v_add_f64 v[15:16], v[15:16], v[25:26]
	v_add_f64 v[13:14], v[13:14], v[21:22]
	s_waitcnt vmcnt(21) lgkmcnt(1)
	v_mul_f64 v[25:26], v[7:8], v[35:36]
	s_waitcnt vmcnt(20)
	v_fma_f64 v[31:32], v[9:10], v[71:72], -v[31:32]
	v_mul_f64 v[21:22], v[5:6], v[35:36]
	v_fma_f64 v[23:24], v[11:12], v[71:72], v[23:24]
	ds_read_b128 v[9:12], v70 offset:1840
	v_add_f64 v[15:16], v[15:16], v[29:30]
	v_add_f64 v[13:14], v[13:14], v[19:20]
	s_waitcnt vmcnt(19) lgkmcnt(1)
	v_mul_f64 v[29:30], v[3:4], v[59:60]
	v_mul_f64 v[19:20], v[1:2], v[59:60]
	s_waitcnt vmcnt(17)
	v_fma_f64 v[25:26], v[5:6], v[47:48], -v[25:26]
	v_fma_f64 v[21:22], v[7:8], v[47:48], v[21:22]
	ds_read_b128 v[5:8], v70 offset:1856
	v_add_f64 v[15:16], v[15:16], v[31:32]
	v_add_f64 v[13:14], v[13:14], v[23:24]
	s_waitcnt vmcnt(13) lgkmcnt(1)
	v_mul_f64 v[31:32], v[11:12], v[43:44]
	s_waitcnt vmcnt(12)
	v_fma_f64 v[29:30], v[1:2], v[65:66], -v[29:30]
	v_mul_f64 v[23:24], v[9:10], v[43:44]
	v_fma_f64 v[19:20], v[3:4], v[65:66], v[19:20]
	ds_read_b128 v[1:4], v70 offset:1872
	v_add_f64 v[15:16], v[15:16], v[25:26]
	v_add_f64 v[13:14], v[13:14], v[21:22]
	s_waitcnt vmcnt(11) lgkmcnt(1)
	v_mul_f64 v[25:26], v[7:8], v[61:62]
	v_mul_f64 v[21:22], v[5:6], v[61:62]
	s_waitcnt vmcnt(9)
	v_fma_f64 v[9:10], v[9:10], v[17:18], -v[31:32]
	v_fma_f64 v[11:12], v[11:12], v[17:18], v[23:24]
	v_add_f64 v[15:16], v[15:16], v[29:30]
	v_add_f64 v[13:14], v[13:14], v[19:20]
	s_waitcnt vmcnt(7) lgkmcnt(0)
	v_mul_f64 v[19:20], v[3:4], v[49:50]
	s_waitcnt vmcnt(6)
	v_fma_f64 v[5:6], v[5:6], v[67:68], -v[25:26]
	v_mul_f64 v[17:18], v[1:2], v[49:50]
	v_fma_f64 v[7:8], v[7:8], v[67:68], v[21:22]
	v_add_f64 v[9:10], v[15:16], v[9:10]
	v_add_f64 v[11:12], v[13:14], v[11:12]
	s_waitcnt vmcnt(4)
	v_fma_f64 v[1:2], v[1:2], v[55:56], -v[19:20]
	v_fma_f64 v[3:4], v[3:4], v[55:56], v[17:18]
	v_add_f64 v[5:6], v[9:10], v[5:6]
	v_add_f64 v[7:8], v[11:12], v[7:8]
	;; [unrolled: 1-line block ×4, first 2 shown]
	s_waitcnt vmcnt(2)
	v_add_f64 v[1:2], v[27:28], -v[1:2]
	s_waitcnt vmcnt(0)
	v_add_f64 v[3:4], v[57:58], -v[3:4]
	buffer_store_dword v2, off, s[0:3], 0 offset:148
	buffer_store_dword v1, off, s[0:3], 0 offset:144
	;; [unrolled: 1-line block ×4, first 2 shown]
	v_cmpx_lt_u32_e32 7, v0
	s_cbranch_execz .LBB58_353
; %bb.352:
	v_mov_b32_e32 v4, s64
	v_mov_b32_e32 v5, 0
	s_clause 0x3
	buffer_load_dword v1, v4, s[0:3], 0 offen
	buffer_load_dword v2, v4, s[0:3], 0 offen offset:4
	buffer_load_dword v3, v4, s[0:3], 0 offen offset:8
	;; [unrolled: 1-line block ×3, first 2 shown]
	buffer_store_dword v5, off, s[0:3], 0 offset:128
	buffer_store_dword v5, off, s[0:3], 0 offset:132
	;; [unrolled: 1-line block ×4, first 2 shown]
	s_waitcnt vmcnt(0)
	ds_write_b128 v69, v[1:4]
.LBB58_353:
	s_or_b32 exec_lo, exec_lo, s4
	s_waitcnt lgkmcnt(0)
	s_waitcnt_vscnt null, 0x0
	s_barrier
	buffer_gl0_inv
	s_clause 0x37
	buffer_load_dword v17, off, s[0:3], 0 offset:152
	buffer_load_dword v18, off, s[0:3], 0 offset:156
	;; [unrolled: 1-line block ×56, first 2 shown]
	v_mov_b32_e32 v70, 0
	s_mov_b32 s4, exec_lo
	ds_read_b128 v[5:8], v70 offset:1072
	s_clause 0x2
	buffer_load_dword v66, off, s[0:3], 0 offset:380
	buffer_load_dword v68, off, s[0:3], 0 offset:356
	;; [unrolled: 1-line block ×3, first 2 shown]
	ds_read_b128 v[1:4], v70 offset:1088
	s_clause 0x4
	buffer_load_dword v110, off, s[0:3], 0 offset:396
	buffer_load_dword v111, off, s[0:3], 0 offset:408
	;; [unrolled: 1-line block ×5, first 2 shown]
	ds_read_b128 v[105:108], v70 offset:1104
	s_waitcnt vmcnt(62) lgkmcnt(2)
	v_mul_f64 v[71:72], v[7:8], v[17:18]
	v_mul_f64 v[17:18], v[5:6], v[17:18]
	s_waitcnt vmcnt(60) lgkmcnt(1)
	v_mul_f64 v[114:115], v[3:4], v[13:14]
	v_mul_f64 v[13:14], v[1:2], v[13:14]
	;; [unrolled: 3-line block ×3, first 2 shown]
	v_fma_f64 v[71:72], v[5:6], v[15:16], -v[71:72]
	v_fma_f64 v[15:16], v[7:8], v[15:16], v[17:18]
	s_clause 0x2
	buffer_load_dword v112, off, s[0:3], 0 offset:412
	buffer_load_dword v18, off, s[0:3], 0 offset:388
	;; [unrolled: 1-line block ×3, first 2 shown]
	s_waitcnt vmcnt(57)
	v_fma_f64 v[118:119], v[1:2], v[9:10], -v[114:115]
	ds_read_b128 v[5:8], v70 offset:1120
	v_fma_f64 v[9:10], v[3:4], v[9:10], v[13:14]
	s_waitcnt vmcnt(51)
	v_fma_f64 v[105:106], v[105:106], v[33:34], -v[11:12]
	v_fma_f64 v[33:34], v[107:108], v[33:34], v[116:117]
	v_add_f64 v[71:72], v[71:72], 0
	v_add_f64 v[13:14], v[15:16], 0
	s_clause 0x4
	buffer_load_dword v16, off, s[0:3], 0 offset:428
	buffer_load_dword v115, off, s[0:3], 0 offset:440
	buffer_load_dword v120, off, s[0:3], 0 offset:432
	buffer_load_dword v15, off, s[0:3], 0 offset:424
	buffer_load_dword v114, off, s[0:3], 0 offset:404
	s_waitcnt lgkmcnt(0)
	v_mul_f64 v[121:122], v[5:6], v[21:22]
	v_mul_f64 v[21:22], v[7:8], v[21:22]
	ds_read_b128 v[1:4], v70 offset:1136
	s_clause 0x2
	buffer_load_dword v116, off, s[0:3], 0 offset:444
	buffer_load_dword v108, off, s[0:3], 0 offset:420
	;; [unrolled: 1-line block ×3, first 2 shown]
	v_add_f64 v[71:72], v[71:72], v[118:119]
	v_add_f64 v[13:14], v[13:14], v[9:10]
	ds_read_b128 v[9:12], v70 offset:1152
	s_waitcnt vmcnt(58) lgkmcnt(1)
	v_mul_f64 v[117:118], v[1:2], v[25:26]
	v_mul_f64 v[25:26], v[3:4], v[25:26]
	s_waitcnt vmcnt(56)
	v_fma_f64 v[21:22], v[5:6], v[27:28], -v[21:22]
	v_fma_f64 v[27:28], v[7:8], v[27:28], v[121:122]
	s_waitcnt vmcnt(52) lgkmcnt(0)
	v_mul_f64 v[123:124], v[9:10], v[29:30]
	v_add_f64 v[71:72], v[71:72], v[105:106]
	v_add_f64 v[13:14], v[13:14], v[33:34]
	s_clause 0x4
	buffer_load_dword v34, off, s[0:3], 0 offset:460
	buffer_load_dword v105, off, s[0:3], 0 offset:472
	;; [unrolled: 1-line block ×5, first 2 shown]
	v_mul_f64 v[29:30], v[11:12], v[29:30]
	s_waitcnt vmcnt(56)
	v_fma_f64 v[25:26], v[1:2], v[19:20], -v[25:26]
	ds_read_b128 v[5:8], v70 offset:1168
	v_fma_f64 v[19:20], v[3:4], v[19:20], v[117:118]
	v_add_f64 v[21:22], v[71:72], v[21:22]
	v_add_f64 v[13:14], v[13:14], v[27:28]
	s_clause 0x2
	buffer_load_dword v106, off, s[0:3], 0 offset:476
	buffer_load_dword v28, off, s[0:3], 0 offset:452
	;; [unrolled: 1-line block ×3, first 2 shown]
	s_waitcnt vmcnt(58) lgkmcnt(0)
	v_mul_f64 v[71:72], v[5:6], v[35:36]
	v_mul_f64 v[35:36], v[7:8], v[35:36]
	s_waitcnt vmcnt(56)
	v_fma_f64 v[29:30], v[9:10], v[37:38], -v[29:30]
	ds_read_b128 v[1:4], v70 offset:1184
	v_add_f64 v[21:22], v[21:22], v[25:26]
	v_fma_f64 v[25:26], v[11:12], v[37:38], v[123:124]
	v_add_f64 v[13:14], v[13:14], v[19:20]
	s_clause 0x4
	buffer_load_dword v20, off, s[0:3], 0 offset:492
	buffer_load_dword v37, off, s[0:3], 0 offset:504
	;; [unrolled: 1-line block ×5, first 2 shown]
	s_waitcnt vmcnt(57) lgkmcnt(0)
	v_mul_f64 v[118:119], v[1:2], v[39:40]
	v_mul_f64 v[39:40], v[3:4], v[39:40]
	s_waitcnt vmcnt(56)
	v_fma_f64 v[35:36], v[5:6], v[23:24], -v[35:36]
	ds_read_b128 v[9:12], v70 offset:1200
	v_fma_f64 v[23:24], v[7:8], v[23:24], v[71:72]
	v_add_f64 v[21:22], v[21:22], v[29:30]
	v_add_f64 v[13:14], v[13:14], v[25:26]
	s_clause 0x2
	buffer_load_dword v38, off, s[0:3], 0 offset:508
	buffer_load_dword v26, off, s[0:3], 0 offset:484
	;; [unrolled: 1-line block ×3, first 2 shown]
	ds_read_b128 v[5:8], v70 offset:1216
	s_waitcnt vmcnt(58) lgkmcnt(1)
	v_mul_f64 v[29:30], v[9:10], v[43:44]
	v_mul_f64 v[43:44], v[11:12], v[43:44]
	s_waitcnt vmcnt(56)
	v_fma_f64 v[39:40], v[1:2], v[45:46], -v[39:40]
	v_add_f64 v[21:22], v[21:22], v[35:36]
	v_fma_f64 v[35:36], v[3:4], v[45:46], v[118:119]
	v_add_f64 v[13:14], v[13:14], v[23:24]
	s_clause 0x4
	buffer_load_dword v24, off, s[0:3], 0 offset:524
	buffer_load_dword v45, off, s[0:3], 0 offset:536
	;; [unrolled: 1-line block ×5, first 2 shown]
	s_waitcnt vmcnt(57) lgkmcnt(0)
	v_mul_f64 v[124:125], v[5:6], v[47:48]
	v_mul_f64 v[47:48], v[7:8], v[47:48]
	s_waitcnt vmcnt(56)
	v_fma_f64 v[43:44], v[9:10], v[31:32], -v[43:44]
	ds_read_b128 v[1:4], v70 offset:1232
	v_fma_f64 v[29:30], v[11:12], v[31:32], v[29:30]
	s_clause 0x2
	buffer_load_dword v46, off, s[0:3], 0 offset:540
	buffer_load_dword v32, off, s[0:3], 0 offset:516
	;; [unrolled: 1-line block ×3, first 2 shown]
	ds_read_b128 v[9:12], v70 offset:1248
	v_add_f64 v[21:22], v[21:22], v[39:40]
	v_add_f64 v[13:14], v[13:14], v[35:36]
	s_waitcnt vmcnt(58) lgkmcnt(1)
	v_mul_f64 v[39:40], v[3:4], v[51:52]
	s_waitcnt vmcnt(56)
	v_fma_f64 v[47:48], v[5:6], v[53:54], -v[47:48]
	v_mul_f64 v[35:36], v[1:2], v[51:52]
	v_add_f64 v[21:22], v[21:22], v[43:44]
	v_fma_f64 v[43:44], v[7:8], v[53:54], v[124:125]
	v_add_f64 v[13:14], v[13:14], v[29:30]
	s_clause 0x4
	buffer_load_dword v30, off, s[0:3], 0 offset:556
	buffer_load_dword v51, off, s[0:3], 0 offset:568
	;; [unrolled: 1-line block ×5, first 2 shown]
	s_waitcnt vmcnt(57) lgkmcnt(0)
	v_mul_f64 v[124:125], v[9:10], v[55:56]
	v_mul_f64 v[54:55], v[11:12], v[55:56]
	s_waitcnt vmcnt(56)
	v_fma_f64 v[39:40], v[1:2], v[41:42], -v[39:40]
	ds_read_b128 v[5:8], v70 offset:1264
	v_fma_f64 v[35:36], v[3:4], v[41:42], v[35:36]
	s_clause 0x2
	buffer_load_dword v52, off, s[0:3], 0 offset:572
	buffer_load_dword v42, off, s[0:3], 0 offset:548
	;; [unrolled: 1-line block ×3, first 2 shown]
	ds_read_b128 v[1:4], v70 offset:1280
	v_add_f64 v[21:22], v[21:22], v[47:48]
	v_add_f64 v[13:14], v[13:14], v[43:44]
	s_waitcnt vmcnt(58) lgkmcnt(1)
	v_mul_f64 v[47:48], v[7:8], v[59:60]
	s_waitcnt vmcnt(56)
	v_fma_f64 v[55:56], v[9:10], v[61:62], -v[54:55]
	v_mul_f64 v[43:44], v[5:6], v[59:60]
	v_add_f64 v[21:22], v[21:22], v[39:40]
	v_fma_f64 v[39:40], v[11:12], v[61:62], v[124:125]
	v_add_f64 v[13:14], v[13:14], v[35:36]
	s_clause 0x4
	buffer_load_dword v36, off, s[0:3], 0 offset:588
	buffer_load_dword v59, off, s[0:3], 0 offset:600
	;; [unrolled: 1-line block ×5, first 2 shown]
	s_waitcnt vmcnt(57) lgkmcnt(0)
	v_mul_f64 v[124:125], v[1:2], v[63:64]
	v_mul_f64 v[62:63], v[3:4], v[63:64]
	s_waitcnt vmcnt(56)
	v_fma_f64 v[47:48], v[5:6], v[49:50], -v[47:48]
	ds_read_b128 v[9:12], v70 offset:1296
	v_fma_f64 v[43:44], v[7:8], v[49:50], v[43:44]
	v_add_f64 v[21:22], v[21:22], v[55:56]
	v_add_f64 v[13:14], v[13:14], v[39:40]
	s_clause 0x2
	buffer_load_dword v60, off, s[0:3], 0 offset:604
	buffer_load_dword v40, off, s[0:3], 0 offset:580
	;; [unrolled: 1-line block ×3, first 2 shown]
	ds_read_b128 v[5:8], v70 offset:1312
	s_waitcnt vmcnt(58) lgkmcnt(1)
	v_mul_f64 v[55:56], v[11:12], v[65:66]
	s_waitcnt vmcnt(56)
	v_fma_f64 v[63:64], v[1:2], v[67:68], -v[62:63]
	v_mul_f64 v[49:50], v[9:10], v[65:66]
	v_add_f64 v[21:22], v[21:22], v[47:48]
	v_fma_f64 v[47:48], v[3:4], v[67:68], v[124:125]
	v_add_f64 v[13:14], v[13:14], v[43:44]
	s_clause 0x4
	buffer_load_dword v44, off, s[0:3], 0 offset:620
	buffer_load_dword v65, off, s[0:3], 0 offset:632
	;; [unrolled: 1-line block ×5, first 2 shown]
	s_waitcnt vmcnt(57) lgkmcnt(0)
	v_mul_f64 v[124:125], v[5:6], v[109:110]
	v_mul_f64 v[109:110], v[7:8], v[109:110]
	s_waitcnt vmcnt(56)
	v_fma_f64 v[55:56], v[9:10], v[57:58], -v[55:56]
	ds_read_b128 v[1:4], v70 offset:1328
	v_fma_f64 v[49:50], v[11:12], v[57:58], v[49:50]
	v_add_f64 v[21:22], v[21:22], v[63:64]
	v_add_f64 v[13:14], v[13:14], v[47:48]
	s_clause 0x2
	buffer_load_dword v66, off, s[0:3], 0 offset:636
	buffer_load_dword v48, off, s[0:3], 0 offset:612
	;; [unrolled: 1-line block ×3, first 2 shown]
	ds_read_b128 v[9:12], v70 offset:1344
	s_waitcnt vmcnt(58) lgkmcnt(1)
	v_mul_f64 v[63:64], v[3:4], v[111:112]
	v_mul_f64 v[57:58], v[1:2], v[111:112]
	s_waitcnt vmcnt(56)
	v_fma_f64 v[109:110], v[5:6], v[17:18], -v[109:110]
	v_fma_f64 v[17:18], v[7:8], v[17:18], v[124:125]
	v_add_f64 v[21:22], v[21:22], v[55:56]
	v_add_f64 v[13:14], v[13:14], v[49:50]
	s_clause 0x4
	buffer_load_dword v50, off, s[0:3], 0 offset:652
	buffer_load_dword v55, off, s[0:3], 0 offset:664
	;; [unrolled: 1-line block ×5, first 2 shown]
	ds_read_b128 v[5:8], v70 offset:1360
	s_waitcnt vmcnt(57) lgkmcnt(1)
	v_mul_f64 v[124:125], v[9:10], v[15:16]
	v_mul_f64 v[15:16], v[11:12], v[15:16]
	s_waitcnt vmcnt(56)
	v_fma_f64 v[63:64], v[1:2], v[113:114], -v[63:64]
	v_fma_f64 v[57:58], v[3:4], v[113:114], v[57:58]
	v_add_f64 v[21:22], v[21:22], v[109:110]
	v_add_f64 v[13:14], v[13:14], v[17:18]
	s_clause 0x2
	buffer_load_dword v56, off, s[0:3], 0 offset:668
	buffer_load_dword v18, off, s[0:3], 0 offset:644
	;; [unrolled: 1-line block ×3, first 2 shown]
	s_waitcnt vmcnt(58) lgkmcnt(0)
	v_mul_f64 v[113:114], v[7:8], v[115:116]
	ds_read_b128 v[1:4], v70 offset:1376
	v_mul_f64 v[109:110], v[5:6], v[115:116]
	s_waitcnt vmcnt(56)
	v_fma_f64 v[15:16], v[9:10], v[107:108], -v[15:16]
	v_add_f64 v[21:22], v[21:22], v[63:64]
	v_fma_f64 v[63:64], v[11:12], v[107:108], v[124:125]
	v_add_f64 v[13:14], v[13:14], v[57:58]
	s_clause 0x4
	buffer_load_dword v58, off, s[0:3], 0 offset:684
	buffer_load_dword v107, off, s[0:3], 0 offset:696
	;; [unrolled: 1-line block ×5, first 2 shown]
	ds_read_b128 v[9:12], v70 offset:1392
	s_waitcnt vmcnt(57) lgkmcnt(1)
	v_mul_f64 v[124:125], v[1:2], v[33:34]
	v_mul_f64 v[33:34], v[3:4], v[33:34]
	s_waitcnt vmcnt(56)
	v_fma_f64 v[113:114], v[5:6], v[120:121], -v[113:114]
	v_add_f64 v[15:16], v[21:22], v[15:16]
	v_fma_f64 v[21:22], v[7:8], v[120:121], v[109:110]
	v_add_f64 v[13:14], v[13:14], v[63:64]
	s_clause 0x2
	buffer_load_dword v108, off, s[0:3], 0 offset:700
	buffer_load_dword v64, off, s[0:3], 0 offset:676
	;; [unrolled: 1-line block ×3, first 2 shown]
	ds_read_b128 v[5:8], v70 offset:1408
	s_waitcnt vmcnt(58) lgkmcnt(1)
	v_mul_f64 v[109:110], v[9:10], v[105:106]
	v_mul_f64 v[105:106], v[11:12], v[105:106]
	s_waitcnt vmcnt(56)
	v_fma_f64 v[33:34], v[1:2], v[27:28], -v[33:34]
	v_fma_f64 v[27:28], v[3:4], v[27:28], v[124:125]
	v_add_f64 v[15:16], v[15:16], v[113:114]
	v_add_f64 v[13:14], v[13:14], v[21:22]
	s_clause 0x4
	buffer_load_dword v22, off, s[0:3], 0 offset:716
	buffer_load_dword v113, off, s[0:3], 0 offset:728
	;; [unrolled: 1-line block ×5, first 2 shown]
	ds_read_b128 v[1:4], v70 offset:1424
	s_waitcnt vmcnt(57) lgkmcnt(1)
	v_mul_f64 v[120:121], v[5:6], v[19:20]
	v_mul_f64 v[19:20], v[7:8], v[19:20]
	s_waitcnt vmcnt(56)
	v_fma_f64 v[105:106], v[9:10], v[122:123], -v[105:106]
	v_add_f64 v[15:16], v[15:16], v[33:34]
	v_fma_f64 v[33:34], v[11:12], v[122:123], v[109:110]
	v_add_f64 v[13:14], v[13:14], v[27:28]
	s_clause 0x2
	buffer_load_dword v114, off, s[0:3], 0 offset:732
	buffer_load_dword v28, off, s[0:3], 0 offset:708
	;; [unrolled: 1-line block ×3, first 2 shown]
	ds_read_b128 v[9:12], v70 offset:1440
	s_waitcnt vmcnt(58) lgkmcnt(1)
	v_mul_f64 v[109:110], v[1:2], v[37:38]
	v_mul_f64 v[37:38], v[3:4], v[37:38]
	s_waitcnt vmcnt(56)
	v_fma_f64 v[19:20], v[5:6], v[25:26], -v[19:20]
	v_fma_f64 v[25:26], v[7:8], v[25:26], v[120:121]
	v_add_f64 v[15:16], v[15:16], v[105:106]
	v_add_f64 v[13:14], v[13:14], v[33:34]
	s_clause 0x4
	buffer_load_dword v34, off, s[0:3], 0 offset:748
	buffer_load_dword v105, off, s[0:3], 0 offset:760
	buffer_load_dword v121, off, s[0:3], 0 offset:752
	buffer_load_dword v33, off, s[0:3], 0 offset:744
	buffer_load_dword v120, off, s[0:3], 0 offset:724
	ds_read_b128 v[5:8], v70 offset:1456
	s_waitcnt vmcnt(57) lgkmcnt(1)
	v_mul_f64 v[122:123], v[9:10], v[23:24]
	v_mul_f64 v[23:24], v[11:12], v[23:24]
	s_waitcnt vmcnt(56)
	v_fma_f64 v[37:38], v[1:2], v[117:118], -v[37:38]
	v_add_f64 v[15:16], v[15:16], v[19:20]
	v_fma_f64 v[19:20], v[3:4], v[117:118], v[109:110]
	v_add_f64 v[13:14], v[13:14], v[25:26]
	s_clause 0x2
	buffer_load_dword v106, off, s[0:3], 0 offset:764
	buffer_load_dword v26, off, s[0:3], 0 offset:740
	;; [unrolled: 1-line block ×3, first 2 shown]
	s_waitcnt vmcnt(58) lgkmcnt(0)
	v_mul_f64 v[109:110], v[5:6], v[45:46]
	v_mul_f64 v[45:46], v[7:8], v[45:46]
	ds_read_b128 v[1:4], v70 offset:1472
	s_waitcnt vmcnt(56)
	v_fma_f64 v[23:24], v[9:10], v[31:32], -v[23:24]
	v_fma_f64 v[31:32], v[11:12], v[31:32], v[122:123]
	v_add_f64 v[15:16], v[15:16], v[37:38]
	v_add_f64 v[13:14], v[13:14], v[19:20]
	s_clause 0x4
	buffer_load_dword v20, off, s[0:3], 0 offset:780
	buffer_load_dword v37, off, s[0:3], 0 offset:792
	;; [unrolled: 1-line block ×5, first 2 shown]
	ds_read_b128 v[9:12], v70 offset:1488
	s_waitcnt vmcnt(57) lgkmcnt(1)
	v_mul_f64 v[123:124], v[1:2], v[29:30]
	v_mul_f64 v[29:30], v[3:4], v[29:30]
	s_waitcnt vmcnt(56)
	v_fma_f64 v[45:46], v[5:6], v[71:72], -v[45:46]
	v_add_f64 v[15:16], v[15:16], v[23:24]
	v_fma_f64 v[23:24], v[7:8], v[71:72], v[109:110]
	v_add_f64 v[13:14], v[13:14], v[31:32]
	s_clause 0x2
	buffer_load_dword v38, off, s[0:3], 0 offset:796
	buffer_load_dword v32, off, s[0:3], 0 offset:772
	;; [unrolled: 1-line block ×3, first 2 shown]
	s_waitcnt vmcnt(58) lgkmcnt(0)
	v_mul_f64 v[71:72], v[9:10], v[51:52]
	v_mul_f64 v[51:52], v[11:12], v[51:52]
	ds_read_b128 v[5:8], v70 offset:1504
	s_waitcnt vmcnt(56)
	v_fma_f64 v[29:30], v[1:2], v[41:42], -v[29:30]
	v_fma_f64 v[41:42], v[3:4], v[41:42], v[123:124]
	v_add_f64 v[15:16], v[15:16], v[45:46]
	v_add_f64 v[13:14], v[13:14], v[23:24]
	s_clause 0x4
	buffer_load_dword v24, off, s[0:3], 0 offset:812
	buffer_load_dword v45, off, s[0:3], 0 offset:824
	buffer_load_dword v109, off, s[0:3], 0 offset:816
	buffer_load_dword v23, off, s[0:3], 0 offset:808
	buffer_load_dword v118, off, s[0:3], 0 offset:788
	ds_read_b128 v[1:4], v70 offset:1520
	s_waitcnt vmcnt(57) lgkmcnt(1)
	v_mul_f64 v[123:124], v[5:6], v[35:36]
	v_mul_f64 v[35:36], v[7:8], v[35:36]
	s_waitcnt vmcnt(56)
	v_fma_f64 v[51:52], v[9:10], v[53:54], -v[51:52]
	v_add_f64 v[15:16], v[15:16], v[29:30]
	v_fma_f64 v[29:30], v[11:12], v[53:54], v[71:72]
	v_add_f64 v[13:14], v[13:14], v[41:42]
	s_clause 0x2
	buffer_load_dword v46, off, s[0:3], 0 offset:828
	buffer_load_dword v42, off, s[0:3], 0 offset:804
	buffer_load_dword v41, off, s[0:3], 0 offset:800
	ds_read_b128 v[9:12], v70 offset:1536
	s_waitcnt vmcnt(58) lgkmcnt(1)
	v_mul_f64 v[53:54], v[1:2], v[59:60]
	v_mul_f64 v[59:60], v[3:4], v[59:60]
	s_waitcnt vmcnt(56)
	v_fma_f64 v[35:36], v[5:6], v[39:40], -v[35:36]
	v_fma_f64 v[39:40], v[7:8], v[39:40], v[123:124]
	v_add_f64 v[15:16], v[15:16], v[51:52]
	v_add_f64 v[13:14], v[13:14], v[29:30]
	s_clause 0x4
	buffer_load_dword v30, off, s[0:3], 0 offset:844
	buffer_load_dword v51, off, s[0:3], 0 offset:856
	buffer_load_dword v71, off, s[0:3], 0 offset:848
	buffer_load_dword v29, off, s[0:3], 0 offset:840
	buffer_load_dword v110, off, s[0:3], 0 offset:820
	ds_read_b128 v[5:8], v70 offset:1552
	s_waitcnt vmcnt(57) lgkmcnt(1)
	v_mul_f64 v[123:124], v[9:10], v[43:44]
	v_mul_f64 v[43:44], v[11:12], v[43:44]
	s_waitcnt vmcnt(56)
	v_fma_f64 v[59:60], v[1:2], v[61:62], -v[59:60]
	v_add_f64 v[15:16], v[15:16], v[35:36]
	v_fma_f64 v[35:36], v[3:4], v[61:62], v[53:54]
	v_add_f64 v[13:14], v[13:14], v[39:40]
	s_clause 0x2
	buffer_load_dword v52, off, s[0:3], 0 offset:860
	buffer_load_dword v40, off, s[0:3], 0 offset:836
	buffer_load_dword v39, off, s[0:3], 0 offset:832
	ds_read_b128 v[1:4], v70 offset:1568
	s_waitcnt vmcnt(58) lgkmcnt(1)
	v_mul_f64 v[61:62], v[7:8], v[65:66]
	v_mul_f64 v[53:54], v[5:6], v[65:66]
	;; [unrolled: 28-line block ×4, first 2 shown]
	s_waitcnt vmcnt(56)
	v_fma_f64 v[57:58], v[5:6], v[63:64], -v[57:58]
	v_add_f64 v[15:16], v[15:16], v[55:56]
	v_fma_f64 v[55:56], v[7:8], v[63:64], v[123:124]
	v_add_f64 v[13:14], v[13:14], v[49:50]
	s_clause 0x4
	buffer_load_dword v50, off, s[0:3], 0 offset:940
	buffer_load_dword v63, off, s[0:3], 0 offset:952
	buffer_load_dword v111, off, s[0:3], 0 offset:944
	buffer_load_dword v49, off, s[0:3], 0 offset:936
	buffer_load_dword v68, off, s[0:3], 0 offset:916
	ds_read_b128 v[5:8], v70 offset:1648
	s_waitcnt vmcnt(57) lgkmcnt(1)
	v_mul_f64 v[123:124], v[9:10], v[21:22]
	v_mul_f64 v[21:22], v[11:12], v[21:22]
	s_waitcnt vmcnt(56)
	v_fma_f64 v[107:108], v[1:2], v[115:116], -v[107:108]
	v_fma_f64 v[53:54], v[3:4], v[115:116], v[53:54]
	v_add_f64 v[15:16], v[15:16], v[57:58]
	v_add_f64 v[13:14], v[13:14], v[55:56]
	s_clause 0x2
	buffer_load_dword v64, off, s[0:3], 0 offset:956
	buffer_load_dword v56, off, s[0:3], 0 offset:932
	;; [unrolled: 1-line block ×3, first 2 shown]
	ds_read_b128 v[1:4], v70 offset:1664
	buffer_load_dword v112, off, s[0:3], 0 offset:948
	s_waitcnt vmcnt(59) lgkmcnt(1)
	v_mul_f64 v[57:58], v[5:6], v[113:114]
	v_mul_f64 v[113:114], v[7:8], v[113:114]
	s_waitcnt vmcnt(57)
	v_fma_f64 v[21:22], v[9:10], v[27:28], -v[21:22]
	v_fma_f64 v[27:28], v[11:12], v[27:28], v[123:124]
	ds_read_b128 v[9:12], v70 offset:1680
	v_add_f64 v[15:16], v[15:16], v[107:108]
	v_add_f64 v[13:14], v[13:14], v[53:54]
	s_waitcnt vmcnt(53) lgkmcnt(1)
	v_mul_f64 v[53:54], v[1:2], v[33:34]
	v_mul_f64 v[33:34], v[3:4], v[33:34]
	s_waitcnt vmcnt(52)
	v_fma_f64 v[107:108], v[5:6], v[119:120], -v[113:114]
	v_add_f64 v[15:16], v[15:16], v[21:22]
	v_fma_f64 v[21:22], v[7:8], v[119:120], v[57:58]
	v_add_f64 v[13:14], v[13:14], v[27:28]
	ds_read_b128 v[5:8], v70 offset:1696
	s_waitcnt vmcnt(51) lgkmcnt(1)
	v_mul_f64 v[57:58], v[11:12], v[105:106]
	v_mul_f64 v[27:28], v[9:10], v[105:106]
	s_waitcnt vmcnt(49)
	v_fma_f64 v[33:34], v[1:2], v[25:26], -v[33:34]
	v_fma_f64 v[25:26], v[3:4], v[25:26], v[53:54]
	v_add_f64 v[15:16], v[15:16], v[107:108]
	v_add_f64 v[13:14], v[13:14], v[21:22]
	s_clause 0x3
	buffer_load_dword v21, off, s[0:3], 0 offset:128
	buffer_load_dword v22, off, s[0:3], 0 offset:132
	;; [unrolled: 1-line block ×4, first 2 shown]
	ds_read_b128 v[1:4], v70 offset:1712
	s_waitcnt vmcnt(49) lgkmcnt(1)
	v_mul_f64 v[105:106], v[5:6], v[19:20]
	v_mul_f64 v[19:20], v[7:8], v[19:20]
	s_waitcnt vmcnt(48)
	v_fma_f64 v[57:58], v[9:10], v[121:122], -v[57:58]
	v_fma_f64 v[27:28], v[11:12], v[121:122], v[27:28]
	ds_read_b128 v[9:12], v70 offset:1728
	v_add_f64 v[15:16], v[15:16], v[33:34]
	v_add_f64 v[13:14], v[13:14], v[25:26]
	s_waitcnt vmcnt(47) lgkmcnt(1)
	v_mul_f64 v[33:34], v[3:4], v[37:38]
	v_mul_f64 v[25:26], v[1:2], v[37:38]
	s_waitcnt vmcnt(45)
	v_fma_f64 v[19:20], v[5:6], v[31:32], -v[19:20]
	v_fma_f64 v[31:32], v[7:8], v[31:32], v[105:106]
	ds_read_b128 v[5:8], v70 offset:1744
	v_add_f64 v[15:16], v[15:16], v[57:58]
	v_add_f64 v[13:14], v[13:14], v[27:28]
	s_waitcnt vmcnt(41) lgkmcnt(1)
	v_mul_f64 v[27:28], v[9:10], v[23:24]
	v_mul_f64 v[23:24], v[11:12], v[23:24]
	s_waitcnt vmcnt(40)
	v_fma_f64 v[33:34], v[1:2], v[117:118], -v[33:34]
	v_add_f64 v[15:16], v[15:16], v[19:20]
	v_fma_f64 v[19:20], v[3:4], v[117:118], v[25:26]
	v_add_f64 v[13:14], v[13:14], v[31:32]
	ds_read_b128 v[1:4], v70 offset:1760
	s_waitcnt vmcnt(39) lgkmcnt(1)
	v_mul_f64 v[31:32], v[7:8], v[45:46]
	v_mul_f64 v[25:26], v[5:6], v[45:46]
	s_waitcnt vmcnt(37)
	v_fma_f64 v[23:24], v[9:10], v[41:42], -v[23:24]
	v_fma_f64 v[27:28], v[11:12], v[41:42], v[27:28]
	ds_read_b128 v[9:12], v70 offset:1776
	v_add_f64 v[15:16], v[15:16], v[33:34]
	v_add_f64 v[13:14], v[13:14], v[19:20]
	s_waitcnt vmcnt(33) lgkmcnt(1)
	v_mul_f64 v[19:20], v[1:2], v[29:30]
	v_mul_f64 v[29:30], v[3:4], v[29:30]
	s_waitcnt vmcnt(32)
	v_fma_f64 v[31:32], v[5:6], v[109:110], -v[31:32]
	v_add_f64 v[15:16], v[15:16], v[23:24]
	v_fma_f64 v[23:24], v[7:8], v[109:110], v[25:26]
	v_add_f64 v[13:14], v[13:14], v[27:28]
	ds_read_b128 v[5:8], v70 offset:1792
	s_waitcnt vmcnt(31) lgkmcnt(1)
	v_mul_f64 v[27:28], v[11:12], v[51:52]
	v_mul_f64 v[25:26], v[9:10], v[51:52]
	s_waitcnt vmcnt(29)
	v_fma_f64 v[29:30], v[1:2], v[39:40], -v[29:30]
	v_fma_f64 v[19:20], v[3:4], v[39:40], v[19:20]
	ds_read_b128 v[1:4], v70 offset:1808
	v_add_f64 v[15:16], v[15:16], v[31:32]
	v_add_f64 v[13:14], v[13:14], v[23:24]
	s_waitcnt vmcnt(25) lgkmcnt(1)
	v_mul_f64 v[31:32], v[7:8], v[35:36]
	s_waitcnt vmcnt(24)
	v_fma_f64 v[27:28], v[9:10], v[71:72], -v[27:28]
	v_mul_f64 v[23:24], v[5:6], v[35:36]
	v_fma_f64 v[25:26], v[11:12], v[71:72], v[25:26]
	ds_read_b128 v[9:12], v70 offset:1824
	v_add_f64 v[15:16], v[15:16], v[29:30]
	v_add_f64 v[13:14], v[13:14], v[19:20]
	s_waitcnt vmcnt(23) lgkmcnt(1)
	v_mul_f64 v[29:30], v[3:4], v[59:60]
	v_mul_f64 v[19:20], v[1:2], v[59:60]
	s_waitcnt vmcnt(21)
	v_fma_f64 v[31:32], v[5:6], v[47:48], -v[31:32]
	v_fma_f64 v[23:24], v[7:8], v[47:48], v[23:24]
	ds_read_b128 v[5:8], v70 offset:1840
	v_add_f64 v[15:16], v[15:16], v[27:28]
	v_add_f64 v[13:14], v[13:14], v[25:26]
	s_waitcnt vmcnt(17) lgkmcnt(1)
	v_mul_f64 v[27:28], v[11:12], v[43:44]
	s_waitcnt vmcnt(16)
	v_fma_f64 v[29:30], v[1:2], v[65:66], -v[29:30]
	v_mul_f64 v[25:26], v[9:10], v[43:44]
	v_fma_f64 v[19:20], v[3:4], v[65:66], v[19:20]
	ds_read_b128 v[1:4], v70 offset:1856
	v_add_f64 v[15:16], v[15:16], v[31:32]
	v_add_f64 v[13:14], v[13:14], v[23:24]
	s_waitcnt vmcnt(15) lgkmcnt(1)
	v_mul_f64 v[31:32], v[7:8], v[61:62]
	v_mul_f64 v[23:24], v[5:6], v[61:62]
	s_waitcnt vmcnt(13)
	v_fma_f64 v[27:28], v[9:10], v[17:18], -v[27:28]
	v_fma_f64 v[17:18], v[11:12], v[17:18], v[25:26]
	ds_read_b128 v[9:12], v70 offset:1872
	v_add_f64 v[15:16], v[15:16], v[29:30]
	v_add_f64 v[13:14], v[13:14], v[19:20]
	s_waitcnt vmcnt(9) lgkmcnt(1)
	v_mul_f64 v[25:26], v[3:4], v[49:50]
	s_waitcnt vmcnt(8)
	v_fma_f64 v[5:6], v[5:6], v[67:68], -v[31:32]
	v_mul_f64 v[19:20], v[1:2], v[49:50]
	v_fma_f64 v[7:8], v[7:8], v[67:68], v[23:24]
	v_add_f64 v[15:16], v[15:16], v[27:28]
	v_add_f64 v[13:14], v[13:14], v[17:18]
	s_waitcnt vmcnt(7) lgkmcnt(0)
	v_mul_f64 v[23:24], v[11:12], v[63:64]
	v_mul_f64 v[17:18], v[9:10], v[63:64]
	s_waitcnt vmcnt(5)
	v_fma_f64 v[1:2], v[1:2], v[55:56], -v[25:26]
	v_fma_f64 v[3:4], v[3:4], v[55:56], v[19:20]
	v_add_f64 v[5:6], v[15:16], v[5:6]
	v_add_f64 v[7:8], v[13:14], v[7:8]
	s_waitcnt vmcnt(4)
	v_fma_f64 v[9:10], v[9:10], v[111:112], -v[23:24]
	v_add_f64 v[1:2], v[5:6], v[1:2]
	v_fma_f64 v[5:6], v[11:12], v[111:112], v[17:18]
	v_add_f64 v[3:4], v[7:8], v[3:4]
	v_add_f64 v[1:2], v[1:2], v[9:10]
	;; [unrolled: 1-line block ×3, first 2 shown]
	s_waitcnt vmcnt(2)
	v_add_f64 v[1:2], v[21:22], -v[1:2]
	s_waitcnt vmcnt(0)
	v_add_f64 v[3:4], v[53:54], -v[3:4]
	buffer_store_dword v2, off, s[0:3], 0 offset:132
	buffer_store_dword v1, off, s[0:3], 0 offset:128
	;; [unrolled: 1-line block ×4, first 2 shown]
	v_cmpx_lt_u32_e32 6, v0
	s_cbranch_execz .LBB58_355
; %bb.354:
	v_mov_b32_e32 v4, s65
	s_clause 0x3
	buffer_load_dword v1, v4, s[0:3], 0 offen
	buffer_load_dword v2, v4, s[0:3], 0 offen offset:4
	buffer_load_dword v3, v4, s[0:3], 0 offen offset:8
	;; [unrolled: 1-line block ×3, first 2 shown]
	buffer_store_dword v70, off, s[0:3], 0 offset:112
	buffer_store_dword v70, off, s[0:3], 0 offset:116
	;; [unrolled: 1-line block ×4, first 2 shown]
	s_waitcnt vmcnt(0)
	ds_write_b128 v69, v[1:4]
.LBB58_355:
	s_or_b32 exec_lo, exec_lo, s4
	s_waitcnt lgkmcnt(0)
	s_waitcnt_vscnt null, 0x0
	s_barrier
	buffer_gl0_inv
	s_clause 0x37
	buffer_load_dword v17, off, s[0:3], 0 offset:136
	buffer_load_dword v18, off, s[0:3], 0 offset:140
	;; [unrolled: 1-line block ×56, first 2 shown]
	ds_read_b128 v[5:8], v70 offset:1056
	s_clause 0x2
	buffer_load_dword v66, off, s[0:3], 0 offset:364
	buffer_load_dword v68, off, s[0:3], 0 offset:340
	;; [unrolled: 1-line block ×3, first 2 shown]
	ds_read_b128 v[1:4], v70 offset:1072
	s_clause 0x4
	buffer_load_dword v110, off, s[0:3], 0 offset:380
	buffer_load_dword v111, off, s[0:3], 0 offset:392
	;; [unrolled: 1-line block ×5, first 2 shown]
	ds_read_b128 v[105:108], v70 offset:1088
	s_mov_b32 s4, exec_lo
	s_waitcnt vmcnt(62) lgkmcnt(2)
	v_mul_f64 v[71:72], v[7:8], v[17:18]
	v_mul_f64 v[17:18], v[5:6], v[17:18]
	s_waitcnt vmcnt(60) lgkmcnt(1)
	v_mul_f64 v[114:115], v[3:4], v[13:14]
	v_mul_f64 v[13:14], v[1:2], v[13:14]
	;; [unrolled: 3-line block ×3, first 2 shown]
	v_fma_f64 v[71:72], v[5:6], v[15:16], -v[71:72]
	v_fma_f64 v[15:16], v[7:8], v[15:16], v[17:18]
	s_clause 0x2
	buffer_load_dword v112, off, s[0:3], 0 offset:396
	buffer_load_dword v18, off, s[0:3], 0 offset:372
	;; [unrolled: 1-line block ×3, first 2 shown]
	s_waitcnt vmcnt(57)
	v_fma_f64 v[118:119], v[1:2], v[9:10], -v[114:115]
	ds_read_b128 v[5:8], v70 offset:1104
	v_fma_f64 v[9:10], v[3:4], v[9:10], v[13:14]
	s_waitcnt vmcnt(51)
	v_fma_f64 v[105:106], v[105:106], v[33:34], -v[11:12]
	v_fma_f64 v[33:34], v[107:108], v[33:34], v[116:117]
	v_add_f64 v[71:72], v[71:72], 0
	v_add_f64 v[13:14], v[15:16], 0
	s_clause 0x4
	buffer_load_dword v16, off, s[0:3], 0 offset:412
	buffer_load_dword v115, off, s[0:3], 0 offset:424
	;; [unrolled: 1-line block ×5, first 2 shown]
	s_waitcnt lgkmcnt(0)
	v_mul_f64 v[121:122], v[5:6], v[21:22]
	v_mul_f64 v[21:22], v[7:8], v[21:22]
	ds_read_b128 v[1:4], v70 offset:1120
	s_clause 0x2
	buffer_load_dword v116, off, s[0:3], 0 offset:428
	buffer_load_dword v108, off, s[0:3], 0 offset:404
	;; [unrolled: 1-line block ×3, first 2 shown]
	v_add_f64 v[71:72], v[71:72], v[118:119]
	v_add_f64 v[13:14], v[13:14], v[9:10]
	ds_read_b128 v[9:12], v70 offset:1136
	s_waitcnt vmcnt(58) lgkmcnt(1)
	v_mul_f64 v[117:118], v[1:2], v[25:26]
	v_mul_f64 v[25:26], v[3:4], v[25:26]
	s_waitcnt vmcnt(56)
	v_fma_f64 v[21:22], v[5:6], v[27:28], -v[21:22]
	v_fma_f64 v[27:28], v[7:8], v[27:28], v[121:122]
	s_waitcnt vmcnt(52) lgkmcnt(0)
	v_mul_f64 v[123:124], v[9:10], v[29:30]
	v_add_f64 v[71:72], v[71:72], v[105:106]
	v_add_f64 v[13:14], v[13:14], v[33:34]
	s_clause 0x4
	buffer_load_dword v34, off, s[0:3], 0 offset:444
	buffer_load_dword v105, off, s[0:3], 0 offset:456
	;; [unrolled: 1-line block ×5, first 2 shown]
	v_mul_f64 v[29:30], v[11:12], v[29:30]
	s_waitcnt vmcnt(56)
	v_fma_f64 v[25:26], v[1:2], v[19:20], -v[25:26]
	ds_read_b128 v[5:8], v70 offset:1152
	v_fma_f64 v[19:20], v[3:4], v[19:20], v[117:118]
	v_add_f64 v[21:22], v[71:72], v[21:22]
	v_add_f64 v[13:14], v[13:14], v[27:28]
	s_clause 0x2
	buffer_load_dword v106, off, s[0:3], 0 offset:460
	buffer_load_dword v28, off, s[0:3], 0 offset:436
	;; [unrolled: 1-line block ×3, first 2 shown]
	s_waitcnt vmcnt(58) lgkmcnt(0)
	v_mul_f64 v[71:72], v[5:6], v[35:36]
	v_mul_f64 v[35:36], v[7:8], v[35:36]
	s_waitcnt vmcnt(56)
	v_fma_f64 v[29:30], v[9:10], v[37:38], -v[29:30]
	ds_read_b128 v[1:4], v70 offset:1168
	v_add_f64 v[21:22], v[21:22], v[25:26]
	v_fma_f64 v[25:26], v[11:12], v[37:38], v[123:124]
	v_add_f64 v[13:14], v[13:14], v[19:20]
	s_clause 0x4
	buffer_load_dword v20, off, s[0:3], 0 offset:476
	buffer_load_dword v37, off, s[0:3], 0 offset:488
	;; [unrolled: 1-line block ×5, first 2 shown]
	s_waitcnt vmcnt(57) lgkmcnt(0)
	v_mul_f64 v[118:119], v[1:2], v[39:40]
	v_mul_f64 v[39:40], v[3:4], v[39:40]
	s_waitcnt vmcnt(56)
	v_fma_f64 v[35:36], v[5:6], v[23:24], -v[35:36]
	ds_read_b128 v[9:12], v70 offset:1184
	v_fma_f64 v[23:24], v[7:8], v[23:24], v[71:72]
	v_add_f64 v[21:22], v[21:22], v[29:30]
	v_add_f64 v[13:14], v[13:14], v[25:26]
	s_clause 0x2
	buffer_load_dword v38, off, s[0:3], 0 offset:492
	buffer_load_dword v26, off, s[0:3], 0 offset:468
	buffer_load_dword v25, off, s[0:3], 0 offset:464
	ds_read_b128 v[5:8], v70 offset:1200
	s_waitcnt vmcnt(58) lgkmcnt(1)
	v_mul_f64 v[29:30], v[9:10], v[43:44]
	v_mul_f64 v[43:44], v[11:12], v[43:44]
	s_waitcnt vmcnt(56)
	v_fma_f64 v[39:40], v[1:2], v[45:46], -v[39:40]
	v_add_f64 v[21:22], v[21:22], v[35:36]
	v_fma_f64 v[35:36], v[3:4], v[45:46], v[118:119]
	v_add_f64 v[13:14], v[13:14], v[23:24]
	s_clause 0x4
	buffer_load_dword v24, off, s[0:3], 0 offset:508
	buffer_load_dword v45, off, s[0:3], 0 offset:520
	;; [unrolled: 1-line block ×5, first 2 shown]
	s_waitcnt vmcnt(57) lgkmcnt(0)
	v_mul_f64 v[124:125], v[5:6], v[47:48]
	v_mul_f64 v[47:48], v[7:8], v[47:48]
	s_waitcnt vmcnt(56)
	v_fma_f64 v[43:44], v[9:10], v[31:32], -v[43:44]
	ds_read_b128 v[1:4], v70 offset:1216
	v_fma_f64 v[29:30], v[11:12], v[31:32], v[29:30]
	s_clause 0x2
	buffer_load_dword v46, off, s[0:3], 0 offset:524
	buffer_load_dword v32, off, s[0:3], 0 offset:500
	;; [unrolled: 1-line block ×3, first 2 shown]
	ds_read_b128 v[9:12], v70 offset:1232
	v_add_f64 v[21:22], v[21:22], v[39:40]
	v_add_f64 v[13:14], v[13:14], v[35:36]
	s_waitcnt vmcnt(58) lgkmcnt(1)
	v_mul_f64 v[39:40], v[3:4], v[51:52]
	s_waitcnt vmcnt(56)
	v_fma_f64 v[47:48], v[5:6], v[53:54], -v[47:48]
	v_mul_f64 v[35:36], v[1:2], v[51:52]
	v_add_f64 v[21:22], v[21:22], v[43:44]
	v_fma_f64 v[43:44], v[7:8], v[53:54], v[124:125]
	v_add_f64 v[13:14], v[13:14], v[29:30]
	s_clause 0x4
	buffer_load_dword v30, off, s[0:3], 0 offset:540
	buffer_load_dword v51, off, s[0:3], 0 offset:552
	;; [unrolled: 1-line block ×5, first 2 shown]
	s_waitcnt vmcnt(57) lgkmcnt(0)
	v_mul_f64 v[124:125], v[9:10], v[55:56]
	v_mul_f64 v[54:55], v[11:12], v[55:56]
	s_waitcnt vmcnt(56)
	v_fma_f64 v[39:40], v[1:2], v[41:42], -v[39:40]
	ds_read_b128 v[5:8], v70 offset:1248
	v_fma_f64 v[35:36], v[3:4], v[41:42], v[35:36]
	s_clause 0x2
	buffer_load_dword v52, off, s[0:3], 0 offset:556
	buffer_load_dword v42, off, s[0:3], 0 offset:532
	buffer_load_dword v41, off, s[0:3], 0 offset:528
	ds_read_b128 v[1:4], v70 offset:1264
	v_add_f64 v[21:22], v[21:22], v[47:48]
	v_add_f64 v[13:14], v[13:14], v[43:44]
	s_waitcnt vmcnt(58) lgkmcnt(1)
	v_mul_f64 v[47:48], v[7:8], v[59:60]
	s_waitcnt vmcnt(56)
	v_fma_f64 v[55:56], v[9:10], v[61:62], -v[54:55]
	v_mul_f64 v[43:44], v[5:6], v[59:60]
	v_add_f64 v[21:22], v[21:22], v[39:40]
	v_fma_f64 v[39:40], v[11:12], v[61:62], v[124:125]
	v_add_f64 v[13:14], v[13:14], v[35:36]
	s_clause 0x4
	buffer_load_dword v36, off, s[0:3], 0 offset:572
	buffer_load_dword v59, off, s[0:3], 0 offset:584
	;; [unrolled: 1-line block ×5, first 2 shown]
	s_waitcnt vmcnt(57) lgkmcnt(0)
	v_mul_f64 v[124:125], v[1:2], v[63:64]
	v_mul_f64 v[62:63], v[3:4], v[63:64]
	s_waitcnt vmcnt(56)
	v_fma_f64 v[47:48], v[5:6], v[49:50], -v[47:48]
	ds_read_b128 v[9:12], v70 offset:1280
	v_fma_f64 v[43:44], v[7:8], v[49:50], v[43:44]
	v_add_f64 v[21:22], v[21:22], v[55:56]
	v_add_f64 v[13:14], v[13:14], v[39:40]
	s_clause 0x2
	buffer_load_dword v60, off, s[0:3], 0 offset:588
	buffer_load_dword v40, off, s[0:3], 0 offset:564
	;; [unrolled: 1-line block ×3, first 2 shown]
	ds_read_b128 v[5:8], v70 offset:1296
	s_waitcnt vmcnt(58) lgkmcnt(1)
	v_mul_f64 v[55:56], v[11:12], v[65:66]
	s_waitcnt vmcnt(56)
	v_fma_f64 v[63:64], v[1:2], v[67:68], -v[62:63]
	v_mul_f64 v[49:50], v[9:10], v[65:66]
	v_add_f64 v[21:22], v[21:22], v[47:48]
	v_fma_f64 v[47:48], v[3:4], v[67:68], v[124:125]
	v_add_f64 v[13:14], v[13:14], v[43:44]
	s_clause 0x4
	buffer_load_dword v44, off, s[0:3], 0 offset:604
	buffer_load_dword v65, off, s[0:3], 0 offset:616
	;; [unrolled: 1-line block ×5, first 2 shown]
	s_waitcnt vmcnt(57) lgkmcnt(0)
	v_mul_f64 v[124:125], v[5:6], v[109:110]
	v_mul_f64 v[109:110], v[7:8], v[109:110]
	s_waitcnt vmcnt(56)
	v_fma_f64 v[55:56], v[9:10], v[57:58], -v[55:56]
	ds_read_b128 v[1:4], v70 offset:1312
	v_fma_f64 v[49:50], v[11:12], v[57:58], v[49:50]
	v_add_f64 v[21:22], v[21:22], v[63:64]
	v_add_f64 v[13:14], v[13:14], v[47:48]
	s_clause 0x2
	buffer_load_dword v66, off, s[0:3], 0 offset:620
	buffer_load_dword v48, off, s[0:3], 0 offset:596
	;; [unrolled: 1-line block ×3, first 2 shown]
	ds_read_b128 v[9:12], v70 offset:1328
	s_waitcnt vmcnt(58) lgkmcnt(1)
	v_mul_f64 v[63:64], v[3:4], v[111:112]
	v_mul_f64 v[57:58], v[1:2], v[111:112]
	s_waitcnt vmcnt(56)
	v_fma_f64 v[109:110], v[5:6], v[17:18], -v[109:110]
	v_fma_f64 v[17:18], v[7:8], v[17:18], v[124:125]
	v_add_f64 v[21:22], v[21:22], v[55:56]
	v_add_f64 v[13:14], v[13:14], v[49:50]
	s_clause 0x4
	buffer_load_dword v50, off, s[0:3], 0 offset:636
	buffer_load_dword v55, off, s[0:3], 0 offset:648
	;; [unrolled: 1-line block ×5, first 2 shown]
	ds_read_b128 v[5:8], v70 offset:1344
	s_waitcnt vmcnt(57) lgkmcnt(1)
	v_mul_f64 v[124:125], v[9:10], v[15:16]
	v_mul_f64 v[15:16], v[11:12], v[15:16]
	s_waitcnt vmcnt(56)
	v_fma_f64 v[63:64], v[1:2], v[113:114], -v[63:64]
	v_fma_f64 v[57:58], v[3:4], v[113:114], v[57:58]
	v_add_f64 v[21:22], v[21:22], v[109:110]
	v_add_f64 v[13:14], v[13:14], v[17:18]
	s_clause 0x2
	buffer_load_dword v56, off, s[0:3], 0 offset:652
	buffer_load_dword v18, off, s[0:3], 0 offset:628
	;; [unrolled: 1-line block ×3, first 2 shown]
	s_waitcnt vmcnt(58) lgkmcnt(0)
	v_mul_f64 v[113:114], v[7:8], v[115:116]
	ds_read_b128 v[1:4], v70 offset:1360
	v_mul_f64 v[109:110], v[5:6], v[115:116]
	s_waitcnt vmcnt(56)
	v_fma_f64 v[15:16], v[9:10], v[107:108], -v[15:16]
	v_add_f64 v[21:22], v[21:22], v[63:64]
	v_fma_f64 v[63:64], v[11:12], v[107:108], v[124:125]
	v_add_f64 v[13:14], v[13:14], v[57:58]
	s_clause 0x4
	buffer_load_dword v58, off, s[0:3], 0 offset:668
	buffer_load_dword v107, off, s[0:3], 0 offset:680
	;; [unrolled: 1-line block ×5, first 2 shown]
	ds_read_b128 v[9:12], v70 offset:1376
	s_waitcnt vmcnt(57) lgkmcnt(1)
	v_mul_f64 v[124:125], v[1:2], v[33:34]
	v_mul_f64 v[33:34], v[3:4], v[33:34]
	s_waitcnt vmcnt(56)
	v_fma_f64 v[113:114], v[5:6], v[120:121], -v[113:114]
	v_add_f64 v[15:16], v[21:22], v[15:16]
	v_fma_f64 v[21:22], v[7:8], v[120:121], v[109:110]
	v_add_f64 v[13:14], v[13:14], v[63:64]
	s_clause 0x2
	buffer_load_dword v108, off, s[0:3], 0 offset:684
	buffer_load_dword v64, off, s[0:3], 0 offset:660
	;; [unrolled: 1-line block ×3, first 2 shown]
	ds_read_b128 v[5:8], v70 offset:1392
	s_waitcnt vmcnt(58) lgkmcnt(1)
	v_mul_f64 v[109:110], v[9:10], v[105:106]
	v_mul_f64 v[105:106], v[11:12], v[105:106]
	s_waitcnt vmcnt(56)
	v_fma_f64 v[33:34], v[1:2], v[27:28], -v[33:34]
	v_fma_f64 v[27:28], v[3:4], v[27:28], v[124:125]
	v_add_f64 v[15:16], v[15:16], v[113:114]
	v_add_f64 v[13:14], v[13:14], v[21:22]
	s_clause 0x4
	buffer_load_dword v22, off, s[0:3], 0 offset:700
	buffer_load_dword v113, off, s[0:3], 0 offset:712
	;; [unrolled: 1-line block ×5, first 2 shown]
	ds_read_b128 v[1:4], v70 offset:1408
	s_waitcnt vmcnt(57) lgkmcnt(1)
	v_mul_f64 v[120:121], v[5:6], v[19:20]
	v_mul_f64 v[19:20], v[7:8], v[19:20]
	s_waitcnt vmcnt(56)
	v_fma_f64 v[105:106], v[9:10], v[122:123], -v[105:106]
	v_add_f64 v[15:16], v[15:16], v[33:34]
	v_fma_f64 v[33:34], v[11:12], v[122:123], v[109:110]
	v_add_f64 v[13:14], v[13:14], v[27:28]
	s_clause 0x2
	buffer_load_dword v114, off, s[0:3], 0 offset:716
	buffer_load_dword v28, off, s[0:3], 0 offset:692
	;; [unrolled: 1-line block ×3, first 2 shown]
	ds_read_b128 v[9:12], v70 offset:1424
	s_waitcnt vmcnt(58) lgkmcnt(1)
	v_mul_f64 v[109:110], v[1:2], v[37:38]
	v_mul_f64 v[37:38], v[3:4], v[37:38]
	s_waitcnt vmcnt(56)
	v_fma_f64 v[19:20], v[5:6], v[25:26], -v[19:20]
	v_fma_f64 v[25:26], v[7:8], v[25:26], v[120:121]
	v_add_f64 v[15:16], v[15:16], v[105:106]
	v_add_f64 v[13:14], v[13:14], v[33:34]
	s_clause 0x4
	buffer_load_dword v34, off, s[0:3], 0 offset:732
	buffer_load_dword v105, off, s[0:3], 0 offset:744
	;; [unrolled: 1-line block ×5, first 2 shown]
	ds_read_b128 v[5:8], v70 offset:1440
	s_waitcnt vmcnt(57) lgkmcnt(1)
	v_mul_f64 v[122:123], v[9:10], v[23:24]
	v_mul_f64 v[23:24], v[11:12], v[23:24]
	s_waitcnt vmcnt(56)
	v_fma_f64 v[37:38], v[1:2], v[117:118], -v[37:38]
	v_add_f64 v[15:16], v[15:16], v[19:20]
	v_fma_f64 v[19:20], v[3:4], v[117:118], v[109:110]
	v_add_f64 v[13:14], v[13:14], v[25:26]
	s_clause 0x2
	buffer_load_dword v106, off, s[0:3], 0 offset:748
	buffer_load_dword v26, off, s[0:3], 0 offset:724
	;; [unrolled: 1-line block ×3, first 2 shown]
	s_waitcnt vmcnt(58) lgkmcnt(0)
	v_mul_f64 v[109:110], v[5:6], v[45:46]
	v_mul_f64 v[45:46], v[7:8], v[45:46]
	ds_read_b128 v[1:4], v70 offset:1456
	s_waitcnt vmcnt(56)
	v_fma_f64 v[23:24], v[9:10], v[31:32], -v[23:24]
	v_fma_f64 v[31:32], v[11:12], v[31:32], v[122:123]
	v_add_f64 v[15:16], v[15:16], v[37:38]
	v_add_f64 v[13:14], v[13:14], v[19:20]
	s_clause 0x4
	buffer_load_dword v20, off, s[0:3], 0 offset:764
	buffer_load_dword v37, off, s[0:3], 0 offset:776
	;; [unrolled: 1-line block ×5, first 2 shown]
	ds_read_b128 v[9:12], v70 offset:1472
	s_waitcnt vmcnt(57) lgkmcnt(1)
	v_mul_f64 v[123:124], v[1:2], v[29:30]
	v_mul_f64 v[29:30], v[3:4], v[29:30]
	s_waitcnt vmcnt(56)
	v_fma_f64 v[45:46], v[5:6], v[71:72], -v[45:46]
	v_add_f64 v[15:16], v[15:16], v[23:24]
	v_fma_f64 v[23:24], v[7:8], v[71:72], v[109:110]
	v_add_f64 v[13:14], v[13:14], v[31:32]
	s_clause 0x2
	buffer_load_dword v38, off, s[0:3], 0 offset:780
	buffer_load_dword v32, off, s[0:3], 0 offset:756
	;; [unrolled: 1-line block ×3, first 2 shown]
	s_waitcnt vmcnt(58) lgkmcnt(0)
	v_mul_f64 v[71:72], v[9:10], v[51:52]
	v_mul_f64 v[51:52], v[11:12], v[51:52]
	ds_read_b128 v[5:8], v70 offset:1488
	s_waitcnt vmcnt(56)
	v_fma_f64 v[29:30], v[1:2], v[41:42], -v[29:30]
	v_fma_f64 v[41:42], v[3:4], v[41:42], v[123:124]
	v_add_f64 v[15:16], v[15:16], v[45:46]
	v_add_f64 v[13:14], v[13:14], v[23:24]
	s_clause 0x4
	buffer_load_dword v24, off, s[0:3], 0 offset:796
	buffer_load_dword v45, off, s[0:3], 0 offset:808
	buffer_load_dword v109, off, s[0:3], 0 offset:800
	buffer_load_dword v23, off, s[0:3], 0 offset:792
	buffer_load_dword v118, off, s[0:3], 0 offset:772
	ds_read_b128 v[1:4], v70 offset:1504
	s_waitcnt vmcnt(57) lgkmcnt(1)
	v_mul_f64 v[123:124], v[5:6], v[35:36]
	v_mul_f64 v[35:36], v[7:8], v[35:36]
	s_waitcnt vmcnt(56)
	v_fma_f64 v[51:52], v[9:10], v[53:54], -v[51:52]
	v_add_f64 v[15:16], v[15:16], v[29:30]
	v_fma_f64 v[29:30], v[11:12], v[53:54], v[71:72]
	v_add_f64 v[13:14], v[13:14], v[41:42]
	s_clause 0x2
	buffer_load_dword v46, off, s[0:3], 0 offset:812
	buffer_load_dword v42, off, s[0:3], 0 offset:788
	buffer_load_dword v41, off, s[0:3], 0 offset:784
	ds_read_b128 v[9:12], v70 offset:1520
	s_waitcnt vmcnt(58) lgkmcnt(1)
	v_mul_f64 v[53:54], v[1:2], v[59:60]
	v_mul_f64 v[59:60], v[3:4], v[59:60]
	s_waitcnt vmcnt(56)
	v_fma_f64 v[35:36], v[5:6], v[39:40], -v[35:36]
	v_fma_f64 v[39:40], v[7:8], v[39:40], v[123:124]
	v_add_f64 v[15:16], v[15:16], v[51:52]
	v_add_f64 v[13:14], v[13:14], v[29:30]
	s_clause 0x4
	buffer_load_dword v30, off, s[0:3], 0 offset:828
	buffer_load_dword v51, off, s[0:3], 0 offset:840
	buffer_load_dword v71, off, s[0:3], 0 offset:832
	buffer_load_dword v29, off, s[0:3], 0 offset:824
	buffer_load_dword v110, off, s[0:3], 0 offset:804
	ds_read_b128 v[5:8], v70 offset:1536
	s_waitcnt vmcnt(57) lgkmcnt(1)
	v_mul_f64 v[123:124], v[9:10], v[43:44]
	v_mul_f64 v[43:44], v[11:12], v[43:44]
	s_waitcnt vmcnt(56)
	v_fma_f64 v[59:60], v[1:2], v[61:62], -v[59:60]
	v_add_f64 v[15:16], v[15:16], v[35:36]
	v_fma_f64 v[35:36], v[3:4], v[61:62], v[53:54]
	v_add_f64 v[13:14], v[13:14], v[39:40]
	s_clause 0x2
	buffer_load_dword v52, off, s[0:3], 0 offset:844
	buffer_load_dword v40, off, s[0:3], 0 offset:820
	buffer_load_dword v39, off, s[0:3], 0 offset:816
	ds_read_b128 v[1:4], v70 offset:1552
	s_waitcnt vmcnt(58) lgkmcnt(1)
	v_mul_f64 v[61:62], v[7:8], v[65:66]
	v_mul_f64 v[53:54], v[5:6], v[65:66]
	;; [unrolled: 28-line block ×4, first 2 shown]
	s_waitcnt vmcnt(56)
	v_fma_f64 v[57:58], v[5:6], v[63:64], -v[57:58]
	v_add_f64 v[15:16], v[15:16], v[55:56]
	v_fma_f64 v[55:56], v[7:8], v[63:64], v[123:124]
	v_add_f64 v[13:14], v[13:14], v[49:50]
	s_clause 0x4
	buffer_load_dword v50, off, s[0:3], 0 offset:924
	buffer_load_dword v63, off, s[0:3], 0 offset:936
	;; [unrolled: 1-line block ×5, first 2 shown]
	ds_read_b128 v[5:8], v70 offset:1632
	s_waitcnt vmcnt(57) lgkmcnt(1)
	v_mul_f64 v[123:124], v[9:10], v[21:22]
	v_mul_f64 v[21:22], v[11:12], v[21:22]
	s_waitcnt vmcnt(56)
	v_fma_f64 v[107:108], v[1:2], v[115:116], -v[107:108]
	v_fma_f64 v[53:54], v[3:4], v[115:116], v[53:54]
	v_add_f64 v[15:16], v[15:16], v[57:58]
	v_add_f64 v[13:14], v[13:14], v[55:56]
	s_clause 0x2
	buffer_load_dword v64, off, s[0:3], 0 offset:940
	buffer_load_dword v56, off, s[0:3], 0 offset:916
	;; [unrolled: 1-line block ×3, first 2 shown]
	ds_read_b128 v[1:4], v70 offset:1648
	s_waitcnt vmcnt(58) lgkmcnt(1)
	v_mul_f64 v[57:58], v[5:6], v[113:114]
	v_mul_f64 v[113:114], v[7:8], v[113:114]
	s_waitcnt vmcnt(56)
	v_fma_f64 v[21:22], v[9:10], v[27:28], -v[21:22]
	v_fma_f64 v[27:28], v[11:12], v[27:28], v[123:124]
	v_add_f64 v[15:16], v[15:16], v[107:108]
	v_add_f64 v[13:14], v[13:14], v[53:54]
	s_clause 0x2
	buffer_load_dword v54, off, s[0:3], 0 offset:956
	buffer_load_dword v53, off, s[0:3], 0 offset:952
	;; [unrolled: 1-line block ×3, first 2 shown]
	ds_read_b128 v[9:12], v70 offset:1664
	s_waitcnt vmcnt(55) lgkmcnt(1)
	v_mul_f64 v[107:108], v[1:2], v[33:34]
	v_mul_f64 v[33:34], v[3:4], v[33:34]
	s_waitcnt vmcnt(54)
	v_fma_f64 v[113:114], v[5:6], v[119:120], -v[113:114]
	v_add_f64 v[15:16], v[15:16], v[21:22]
	v_fma_f64 v[21:22], v[7:8], v[119:120], v[57:58]
	v_add_f64 v[13:14], v[13:14], v[27:28]
	s_clause 0x1
	buffer_load_dword v28, off, s[0:3], 0 offset:948
	buffer_load_dword v27, off, s[0:3], 0 offset:944
	ds_read_b128 v[5:8], v70 offset:1680
	s_waitcnt vmcnt(55) lgkmcnt(1)
	v_mul_f64 v[57:58], v[9:10], v[105:106]
	v_mul_f64 v[105:106], v[11:12], v[105:106]
	s_waitcnt vmcnt(53)
	v_fma_f64 v[33:34], v[1:2], v[25:26], -v[33:34]
	v_fma_f64 v[25:26], v[3:4], v[25:26], v[107:108]
	ds_read_b128 v[1:4], v70 offset:1696
	v_add_f64 v[15:16], v[15:16], v[113:114]
	v_add_f64 v[13:14], v[13:14], v[21:22]
	s_waitcnt vmcnt(49) lgkmcnt(1)
	v_mul_f64 v[21:22], v[5:6], v[19:20]
	v_mul_f64 v[19:20], v[7:8], v[19:20]
	s_waitcnt vmcnt(48)
	v_fma_f64 v[105:106], v[9:10], v[121:122], -v[105:106]
	v_add_f64 v[15:16], v[15:16], v[33:34]
	v_fma_f64 v[33:34], v[11:12], v[121:122], v[57:58]
	v_add_f64 v[13:14], v[13:14], v[25:26]
	s_clause 0x3
	buffer_load_dword v25, off, s[0:3], 0 offset:112
	buffer_load_dword v26, off, s[0:3], 0 offset:116
	;; [unrolled: 1-line block ×4, first 2 shown]
	ds_read_b128 v[9:12], v70 offset:1712
	s_waitcnt vmcnt(51) lgkmcnt(1)
	v_mul_f64 v[107:108], v[1:2], v[37:38]
	v_mul_f64 v[37:38], v[3:4], v[37:38]
	s_waitcnt vmcnt(49)
	v_fma_f64 v[19:20], v[5:6], v[31:32], -v[19:20]
	v_fma_f64 v[21:22], v[7:8], v[31:32], v[21:22]
	ds_read_b128 v[5:8], v70 offset:1728
	v_add_f64 v[15:16], v[15:16], v[105:106]
	v_add_f64 v[13:14], v[13:14], v[33:34]
	s_waitcnt vmcnt(45) lgkmcnt(1)
	v_mul_f64 v[31:32], v[9:10], v[23:24]
	v_mul_f64 v[23:24], v[11:12], v[23:24]
	s_waitcnt vmcnt(44)
	v_fma_f64 v[33:34], v[1:2], v[117:118], -v[37:38]
	v_add_f64 v[15:16], v[15:16], v[19:20]
	v_fma_f64 v[19:20], v[3:4], v[117:118], v[107:108]
	v_add_f64 v[13:14], v[13:14], v[21:22]
	ds_read_b128 v[1:4], v70 offset:1744
	s_waitcnt vmcnt(43) lgkmcnt(1)
	v_mul_f64 v[37:38], v[7:8], v[45:46]
	v_mul_f64 v[21:22], v[5:6], v[45:46]
	s_waitcnt vmcnt(41)
	v_fma_f64 v[23:24], v[9:10], v[41:42], -v[23:24]
	v_fma_f64 v[31:32], v[11:12], v[41:42], v[31:32]
	ds_read_b128 v[9:12], v70 offset:1760
	v_add_f64 v[15:16], v[15:16], v[33:34]
	v_add_f64 v[13:14], v[13:14], v[19:20]
	s_waitcnt vmcnt(37) lgkmcnt(1)
	v_mul_f64 v[19:20], v[1:2], v[29:30]
	v_mul_f64 v[29:30], v[3:4], v[29:30]
	s_waitcnt vmcnt(36)
	v_fma_f64 v[33:34], v[5:6], v[109:110], -v[37:38]
	v_fma_f64 v[21:22], v[7:8], v[109:110], v[21:22]
	ds_read_b128 v[5:8], v70 offset:1776
	v_add_f64 v[15:16], v[15:16], v[23:24]
	v_add_f64 v[13:14], v[13:14], v[31:32]
	;; [unrolled: 9-line block ×3, first 2 shown]
	s_waitcnt vmcnt(29) lgkmcnt(1)
	v_mul_f64 v[33:34], v[7:8], v[35:36]
	s_waitcnt vmcnt(28)
	v_fma_f64 v[31:32], v[9:10], v[71:72], -v[31:32]
	v_mul_f64 v[21:22], v[5:6], v[35:36]
	v_fma_f64 v[23:24], v[11:12], v[71:72], v[23:24]
	ds_read_b128 v[9:12], v70 offset:1808
	v_add_f64 v[15:16], v[15:16], v[29:30]
	v_add_f64 v[13:14], v[13:14], v[19:20]
	s_waitcnt vmcnt(27) lgkmcnt(1)
	v_mul_f64 v[29:30], v[3:4], v[59:60]
	v_mul_f64 v[19:20], v[1:2], v[59:60]
	s_waitcnt vmcnt(25)
	v_fma_f64 v[33:34], v[5:6], v[47:48], -v[33:34]
	v_fma_f64 v[21:22], v[7:8], v[47:48], v[21:22]
	ds_read_b128 v[5:8], v70 offset:1824
	v_add_f64 v[15:16], v[15:16], v[31:32]
	v_add_f64 v[13:14], v[13:14], v[23:24]
	s_waitcnt vmcnt(21) lgkmcnt(1)
	v_mul_f64 v[31:32], v[11:12], v[43:44]
	s_waitcnt vmcnt(20)
	v_fma_f64 v[29:30], v[1:2], v[65:66], -v[29:30]
	v_mul_f64 v[23:24], v[9:10], v[43:44]
	v_fma_f64 v[19:20], v[3:4], v[65:66], v[19:20]
	ds_read_b128 v[1:4], v70 offset:1840
	v_add_f64 v[15:16], v[15:16], v[33:34]
	v_add_f64 v[13:14], v[13:14], v[21:22]
	s_waitcnt vmcnt(19) lgkmcnt(1)
	v_mul_f64 v[33:34], v[7:8], v[61:62]
	v_mul_f64 v[21:22], v[5:6], v[61:62]
	s_waitcnt vmcnt(17)
	v_fma_f64 v[31:32], v[9:10], v[17:18], -v[31:32]
	v_fma_f64 v[17:18], v[11:12], v[17:18], v[23:24]
	ds_read_b128 v[9:12], v70 offset:1856
	v_add_f64 v[15:16], v[15:16], v[29:30]
	v_add_f64 v[13:14], v[13:14], v[19:20]
	s_waitcnt vmcnt(13) lgkmcnt(1)
	v_mul_f64 v[23:24], v[3:4], v[49:50]
	s_waitcnt vmcnt(12)
	v_fma_f64 v[29:30], v[5:6], v[67:68], -v[33:34]
	v_mul_f64 v[19:20], v[1:2], v[49:50]
	v_fma_f64 v[21:22], v[7:8], v[67:68], v[21:22]
	ds_read_b128 v[5:8], v70 offset:1872
	v_add_f64 v[15:16], v[15:16], v[31:32]
	v_add_f64 v[13:14], v[13:14], v[17:18]
	s_waitcnt vmcnt(11) lgkmcnt(1)
	v_mul_f64 v[31:32], v[11:12], v[63:64]
	v_mul_f64 v[17:18], v[9:10], v[63:64]
	s_waitcnt vmcnt(9)
	v_fma_f64 v[1:2], v[1:2], v[55:56], -v[23:24]
	v_fma_f64 v[3:4], v[3:4], v[55:56], v[19:20]
	v_add_f64 v[15:16], v[15:16], v[29:30]
	v_add_f64 v[13:14], v[13:14], v[21:22]
	s_waitcnt vmcnt(7) lgkmcnt(0)
	v_mul_f64 v[21:22], v[7:8], v[53:54]
	s_waitcnt vmcnt(6)
	v_fma_f64 v[9:10], v[9:10], v[111:112], -v[31:32]
	v_mul_f64 v[19:20], v[5:6], v[53:54]
	v_fma_f64 v[11:12], v[11:12], v[111:112], v[17:18]
	v_add_f64 v[1:2], v[15:16], v[1:2]
	v_add_f64 v[3:4], v[13:14], v[3:4]
	s_waitcnt vmcnt(4)
	v_fma_f64 v[5:6], v[5:6], v[27:28], -v[21:22]
	v_fma_f64 v[7:8], v[7:8], v[27:28], v[19:20]
	v_add_f64 v[1:2], v[1:2], v[9:10]
	v_add_f64 v[3:4], v[3:4], v[11:12]
	;; [unrolled: 1-line block ×4, first 2 shown]
	s_waitcnt vmcnt(2)
	v_add_f64 v[1:2], v[25:26], -v[1:2]
	s_waitcnt vmcnt(0)
	v_add_f64 v[3:4], v[57:58], -v[3:4]
	buffer_store_dword v2, off, s[0:3], 0 offset:116
	buffer_store_dword v1, off, s[0:3], 0 offset:112
	;; [unrolled: 1-line block ×4, first 2 shown]
	v_cmpx_lt_u32_e32 5, v0
	s_cbranch_execz .LBB58_357
; %bb.356:
	v_mov_b32_e32 v4, s66
	v_mov_b32_e32 v5, 0
	s_clause 0x3
	buffer_load_dword v1, v4, s[0:3], 0 offen
	buffer_load_dword v2, v4, s[0:3], 0 offen offset:4
	buffer_load_dword v3, v4, s[0:3], 0 offen offset:8
	;; [unrolled: 1-line block ×3, first 2 shown]
	buffer_store_dword v5, off, s[0:3], 0 offset:96
	buffer_store_dword v5, off, s[0:3], 0 offset:100
	;; [unrolled: 1-line block ×4, first 2 shown]
	s_waitcnt vmcnt(0)
	ds_write_b128 v69, v[1:4]
.LBB58_357:
	s_or_b32 exec_lo, exec_lo, s4
	s_waitcnt lgkmcnt(0)
	s_waitcnt_vscnt null, 0x0
	s_barrier
	buffer_gl0_inv
	s_clause 0x37
	buffer_load_dword v17, off, s[0:3], 0 offset:120
	buffer_load_dword v18, off, s[0:3], 0 offset:124
	;; [unrolled: 1-line block ×56, first 2 shown]
	v_mov_b32_e32 v70, 0
	s_mov_b32 s4, exec_lo
	ds_read_b128 v[5:8], v70 offset:1040
	s_clause 0x2
	buffer_load_dword v66, off, s[0:3], 0 offset:348
	buffer_load_dword v68, off, s[0:3], 0 offset:324
	;; [unrolled: 1-line block ×3, first 2 shown]
	ds_read_b128 v[1:4], v70 offset:1056
	s_clause 0x4
	buffer_load_dword v110, off, s[0:3], 0 offset:364
	buffer_load_dword v111, off, s[0:3], 0 offset:376
	;; [unrolled: 1-line block ×5, first 2 shown]
	ds_read_b128 v[105:108], v70 offset:1072
	s_waitcnt vmcnt(62) lgkmcnt(2)
	v_mul_f64 v[71:72], v[7:8], v[17:18]
	v_mul_f64 v[17:18], v[5:6], v[17:18]
	s_waitcnt vmcnt(60) lgkmcnt(1)
	v_mul_f64 v[114:115], v[3:4], v[13:14]
	v_mul_f64 v[13:14], v[1:2], v[13:14]
	;; [unrolled: 3-line block ×3, first 2 shown]
	v_fma_f64 v[71:72], v[5:6], v[15:16], -v[71:72]
	v_fma_f64 v[15:16], v[7:8], v[15:16], v[17:18]
	s_clause 0x2
	buffer_load_dword v112, off, s[0:3], 0 offset:380
	buffer_load_dword v18, off, s[0:3], 0 offset:356
	;; [unrolled: 1-line block ×3, first 2 shown]
	s_waitcnt vmcnt(57)
	v_fma_f64 v[118:119], v[1:2], v[9:10], -v[114:115]
	ds_read_b128 v[5:8], v70 offset:1088
	v_fma_f64 v[9:10], v[3:4], v[9:10], v[13:14]
	s_waitcnt vmcnt(51)
	v_fma_f64 v[105:106], v[105:106], v[33:34], -v[11:12]
	v_fma_f64 v[33:34], v[107:108], v[33:34], v[116:117]
	v_add_f64 v[71:72], v[71:72], 0
	v_add_f64 v[13:14], v[15:16], 0
	s_clause 0x4
	buffer_load_dword v16, off, s[0:3], 0 offset:396
	buffer_load_dword v115, off, s[0:3], 0 offset:408
	;; [unrolled: 1-line block ×5, first 2 shown]
	s_waitcnt lgkmcnt(0)
	v_mul_f64 v[121:122], v[5:6], v[21:22]
	v_mul_f64 v[21:22], v[7:8], v[21:22]
	ds_read_b128 v[1:4], v70 offset:1104
	s_clause 0x2
	buffer_load_dword v116, off, s[0:3], 0 offset:412
	buffer_load_dword v108, off, s[0:3], 0 offset:388
	;; [unrolled: 1-line block ×3, first 2 shown]
	v_add_f64 v[71:72], v[71:72], v[118:119]
	v_add_f64 v[13:14], v[13:14], v[9:10]
	ds_read_b128 v[9:12], v70 offset:1120
	s_waitcnt vmcnt(58) lgkmcnt(1)
	v_mul_f64 v[117:118], v[1:2], v[25:26]
	v_mul_f64 v[25:26], v[3:4], v[25:26]
	s_waitcnt vmcnt(56)
	v_fma_f64 v[21:22], v[5:6], v[27:28], -v[21:22]
	v_fma_f64 v[27:28], v[7:8], v[27:28], v[121:122]
	s_waitcnt vmcnt(52) lgkmcnt(0)
	v_mul_f64 v[123:124], v[9:10], v[29:30]
	v_add_f64 v[71:72], v[71:72], v[105:106]
	v_add_f64 v[13:14], v[13:14], v[33:34]
	s_clause 0x4
	buffer_load_dword v34, off, s[0:3], 0 offset:428
	buffer_load_dword v105, off, s[0:3], 0 offset:440
	;; [unrolled: 1-line block ×5, first 2 shown]
	v_mul_f64 v[29:30], v[11:12], v[29:30]
	s_waitcnt vmcnt(56)
	v_fma_f64 v[25:26], v[1:2], v[19:20], -v[25:26]
	ds_read_b128 v[5:8], v70 offset:1136
	v_fma_f64 v[19:20], v[3:4], v[19:20], v[117:118]
	v_add_f64 v[21:22], v[71:72], v[21:22]
	v_add_f64 v[13:14], v[13:14], v[27:28]
	s_clause 0x2
	buffer_load_dword v106, off, s[0:3], 0 offset:444
	buffer_load_dword v28, off, s[0:3], 0 offset:420
	;; [unrolled: 1-line block ×3, first 2 shown]
	s_waitcnt vmcnt(58) lgkmcnt(0)
	v_mul_f64 v[71:72], v[5:6], v[35:36]
	v_mul_f64 v[35:36], v[7:8], v[35:36]
	s_waitcnt vmcnt(56)
	v_fma_f64 v[29:30], v[9:10], v[37:38], -v[29:30]
	ds_read_b128 v[1:4], v70 offset:1152
	v_add_f64 v[21:22], v[21:22], v[25:26]
	v_fma_f64 v[25:26], v[11:12], v[37:38], v[123:124]
	v_add_f64 v[13:14], v[13:14], v[19:20]
	s_clause 0x4
	buffer_load_dword v20, off, s[0:3], 0 offset:460
	buffer_load_dword v37, off, s[0:3], 0 offset:472
	;; [unrolled: 1-line block ×5, first 2 shown]
	s_waitcnt vmcnt(57) lgkmcnt(0)
	v_mul_f64 v[118:119], v[1:2], v[39:40]
	v_mul_f64 v[39:40], v[3:4], v[39:40]
	s_waitcnt vmcnt(56)
	v_fma_f64 v[35:36], v[5:6], v[23:24], -v[35:36]
	ds_read_b128 v[9:12], v70 offset:1168
	v_fma_f64 v[23:24], v[7:8], v[23:24], v[71:72]
	v_add_f64 v[21:22], v[21:22], v[29:30]
	v_add_f64 v[13:14], v[13:14], v[25:26]
	s_clause 0x2
	buffer_load_dword v38, off, s[0:3], 0 offset:476
	buffer_load_dword v26, off, s[0:3], 0 offset:452
	;; [unrolled: 1-line block ×3, first 2 shown]
	ds_read_b128 v[5:8], v70 offset:1184
	s_waitcnt vmcnt(58) lgkmcnt(1)
	v_mul_f64 v[29:30], v[9:10], v[43:44]
	v_mul_f64 v[43:44], v[11:12], v[43:44]
	s_waitcnt vmcnt(56)
	v_fma_f64 v[39:40], v[1:2], v[45:46], -v[39:40]
	v_add_f64 v[21:22], v[21:22], v[35:36]
	v_fma_f64 v[35:36], v[3:4], v[45:46], v[118:119]
	v_add_f64 v[13:14], v[13:14], v[23:24]
	s_clause 0x4
	buffer_load_dword v24, off, s[0:3], 0 offset:492
	buffer_load_dword v45, off, s[0:3], 0 offset:504
	;; [unrolled: 1-line block ×5, first 2 shown]
	s_waitcnt vmcnt(57) lgkmcnt(0)
	v_mul_f64 v[124:125], v[5:6], v[47:48]
	v_mul_f64 v[47:48], v[7:8], v[47:48]
	s_waitcnt vmcnt(56)
	v_fma_f64 v[43:44], v[9:10], v[31:32], -v[43:44]
	ds_read_b128 v[1:4], v70 offset:1200
	v_fma_f64 v[29:30], v[11:12], v[31:32], v[29:30]
	s_clause 0x2
	buffer_load_dword v46, off, s[0:3], 0 offset:508
	buffer_load_dword v32, off, s[0:3], 0 offset:484
	;; [unrolled: 1-line block ×3, first 2 shown]
	ds_read_b128 v[9:12], v70 offset:1216
	v_add_f64 v[21:22], v[21:22], v[39:40]
	v_add_f64 v[13:14], v[13:14], v[35:36]
	s_waitcnt vmcnt(58) lgkmcnt(1)
	v_mul_f64 v[39:40], v[3:4], v[51:52]
	s_waitcnt vmcnt(56)
	v_fma_f64 v[47:48], v[5:6], v[53:54], -v[47:48]
	v_mul_f64 v[35:36], v[1:2], v[51:52]
	v_add_f64 v[21:22], v[21:22], v[43:44]
	v_fma_f64 v[43:44], v[7:8], v[53:54], v[124:125]
	v_add_f64 v[13:14], v[13:14], v[29:30]
	s_clause 0x4
	buffer_load_dword v30, off, s[0:3], 0 offset:524
	buffer_load_dword v51, off, s[0:3], 0 offset:536
	buffer_load_dword v53, off, s[0:3], 0 offset:528
	buffer_load_dword v29, off, s[0:3], 0 offset:520
	buffer_load_dword v72, off, s[0:3], 0 offset:500
	s_waitcnt vmcnt(57) lgkmcnt(0)
	v_mul_f64 v[124:125], v[9:10], v[55:56]
	v_mul_f64 v[54:55], v[11:12], v[55:56]
	s_waitcnt vmcnt(56)
	v_fma_f64 v[39:40], v[1:2], v[41:42], -v[39:40]
	ds_read_b128 v[5:8], v70 offset:1232
	v_fma_f64 v[35:36], v[3:4], v[41:42], v[35:36]
	s_clause 0x2
	buffer_load_dword v52, off, s[0:3], 0 offset:540
	buffer_load_dword v42, off, s[0:3], 0 offset:516
	;; [unrolled: 1-line block ×3, first 2 shown]
	ds_read_b128 v[1:4], v70 offset:1248
	v_add_f64 v[21:22], v[21:22], v[47:48]
	v_add_f64 v[13:14], v[13:14], v[43:44]
	s_waitcnt vmcnt(58) lgkmcnt(1)
	v_mul_f64 v[47:48], v[7:8], v[59:60]
	s_waitcnt vmcnt(56)
	v_fma_f64 v[55:56], v[9:10], v[61:62], -v[54:55]
	v_mul_f64 v[43:44], v[5:6], v[59:60]
	v_add_f64 v[21:22], v[21:22], v[39:40]
	v_fma_f64 v[39:40], v[11:12], v[61:62], v[124:125]
	v_add_f64 v[13:14], v[13:14], v[35:36]
	s_clause 0x4
	buffer_load_dword v36, off, s[0:3], 0 offset:556
	buffer_load_dword v59, off, s[0:3], 0 offset:568
	;; [unrolled: 1-line block ×5, first 2 shown]
	s_waitcnt vmcnt(57) lgkmcnt(0)
	v_mul_f64 v[124:125], v[1:2], v[63:64]
	v_mul_f64 v[62:63], v[3:4], v[63:64]
	s_waitcnt vmcnt(56)
	v_fma_f64 v[47:48], v[5:6], v[49:50], -v[47:48]
	ds_read_b128 v[9:12], v70 offset:1264
	v_fma_f64 v[43:44], v[7:8], v[49:50], v[43:44]
	v_add_f64 v[21:22], v[21:22], v[55:56]
	v_add_f64 v[13:14], v[13:14], v[39:40]
	s_clause 0x2
	buffer_load_dword v60, off, s[0:3], 0 offset:572
	buffer_load_dword v40, off, s[0:3], 0 offset:548
	;; [unrolled: 1-line block ×3, first 2 shown]
	ds_read_b128 v[5:8], v70 offset:1280
	s_waitcnt vmcnt(58) lgkmcnt(1)
	v_mul_f64 v[55:56], v[11:12], v[65:66]
	s_waitcnt vmcnt(56)
	v_fma_f64 v[63:64], v[1:2], v[67:68], -v[62:63]
	v_mul_f64 v[49:50], v[9:10], v[65:66]
	v_add_f64 v[21:22], v[21:22], v[47:48]
	v_fma_f64 v[47:48], v[3:4], v[67:68], v[124:125]
	v_add_f64 v[13:14], v[13:14], v[43:44]
	s_clause 0x4
	buffer_load_dword v44, off, s[0:3], 0 offset:588
	buffer_load_dword v65, off, s[0:3], 0 offset:600
	;; [unrolled: 1-line block ×5, first 2 shown]
	s_waitcnt vmcnt(57) lgkmcnt(0)
	v_mul_f64 v[124:125], v[5:6], v[109:110]
	v_mul_f64 v[109:110], v[7:8], v[109:110]
	s_waitcnt vmcnt(56)
	v_fma_f64 v[55:56], v[9:10], v[57:58], -v[55:56]
	ds_read_b128 v[1:4], v70 offset:1296
	v_fma_f64 v[49:50], v[11:12], v[57:58], v[49:50]
	v_add_f64 v[21:22], v[21:22], v[63:64]
	v_add_f64 v[13:14], v[13:14], v[47:48]
	s_clause 0x2
	buffer_load_dword v66, off, s[0:3], 0 offset:604
	buffer_load_dword v48, off, s[0:3], 0 offset:580
	;; [unrolled: 1-line block ×3, first 2 shown]
	ds_read_b128 v[9:12], v70 offset:1312
	s_waitcnt vmcnt(58) lgkmcnt(1)
	v_mul_f64 v[63:64], v[3:4], v[111:112]
	v_mul_f64 v[57:58], v[1:2], v[111:112]
	s_waitcnt vmcnt(56)
	v_fma_f64 v[109:110], v[5:6], v[17:18], -v[109:110]
	v_fma_f64 v[17:18], v[7:8], v[17:18], v[124:125]
	v_add_f64 v[21:22], v[21:22], v[55:56]
	v_add_f64 v[13:14], v[13:14], v[49:50]
	s_clause 0x4
	buffer_load_dword v50, off, s[0:3], 0 offset:620
	buffer_load_dword v55, off, s[0:3], 0 offset:632
	;; [unrolled: 1-line block ×5, first 2 shown]
	ds_read_b128 v[5:8], v70 offset:1328
	s_waitcnt vmcnt(57) lgkmcnt(1)
	v_mul_f64 v[124:125], v[9:10], v[15:16]
	v_mul_f64 v[15:16], v[11:12], v[15:16]
	s_waitcnt vmcnt(56)
	v_fma_f64 v[63:64], v[1:2], v[113:114], -v[63:64]
	v_fma_f64 v[57:58], v[3:4], v[113:114], v[57:58]
	v_add_f64 v[21:22], v[21:22], v[109:110]
	v_add_f64 v[13:14], v[13:14], v[17:18]
	s_clause 0x2
	buffer_load_dword v56, off, s[0:3], 0 offset:636
	buffer_load_dword v18, off, s[0:3], 0 offset:612
	buffer_load_dword v17, off, s[0:3], 0 offset:608
	s_waitcnt vmcnt(58) lgkmcnt(0)
	v_mul_f64 v[113:114], v[7:8], v[115:116]
	ds_read_b128 v[1:4], v70 offset:1344
	v_mul_f64 v[109:110], v[5:6], v[115:116]
	s_waitcnt vmcnt(56)
	v_fma_f64 v[15:16], v[9:10], v[107:108], -v[15:16]
	v_add_f64 v[21:22], v[21:22], v[63:64]
	v_fma_f64 v[63:64], v[11:12], v[107:108], v[124:125]
	v_add_f64 v[13:14], v[13:14], v[57:58]
	s_clause 0x4
	buffer_load_dword v58, off, s[0:3], 0 offset:652
	buffer_load_dword v107, off, s[0:3], 0 offset:664
	;; [unrolled: 1-line block ×5, first 2 shown]
	ds_read_b128 v[9:12], v70 offset:1360
	s_waitcnt vmcnt(57) lgkmcnt(1)
	v_mul_f64 v[124:125], v[1:2], v[33:34]
	v_mul_f64 v[33:34], v[3:4], v[33:34]
	s_waitcnt vmcnt(56)
	v_fma_f64 v[113:114], v[5:6], v[120:121], -v[113:114]
	v_add_f64 v[15:16], v[21:22], v[15:16]
	v_fma_f64 v[21:22], v[7:8], v[120:121], v[109:110]
	v_add_f64 v[13:14], v[13:14], v[63:64]
	s_clause 0x2
	buffer_load_dword v108, off, s[0:3], 0 offset:668
	buffer_load_dword v64, off, s[0:3], 0 offset:644
	;; [unrolled: 1-line block ×3, first 2 shown]
	ds_read_b128 v[5:8], v70 offset:1376
	s_waitcnt vmcnt(58) lgkmcnt(1)
	v_mul_f64 v[109:110], v[9:10], v[105:106]
	v_mul_f64 v[105:106], v[11:12], v[105:106]
	s_waitcnt vmcnt(56)
	v_fma_f64 v[33:34], v[1:2], v[27:28], -v[33:34]
	v_fma_f64 v[27:28], v[3:4], v[27:28], v[124:125]
	v_add_f64 v[15:16], v[15:16], v[113:114]
	v_add_f64 v[13:14], v[13:14], v[21:22]
	s_clause 0x4
	buffer_load_dword v22, off, s[0:3], 0 offset:684
	buffer_load_dword v113, off, s[0:3], 0 offset:696
	;; [unrolled: 1-line block ×5, first 2 shown]
	ds_read_b128 v[1:4], v70 offset:1392
	s_waitcnt vmcnt(57) lgkmcnt(1)
	v_mul_f64 v[120:121], v[5:6], v[19:20]
	v_mul_f64 v[19:20], v[7:8], v[19:20]
	s_waitcnt vmcnt(56)
	v_fma_f64 v[105:106], v[9:10], v[122:123], -v[105:106]
	v_add_f64 v[15:16], v[15:16], v[33:34]
	v_fma_f64 v[33:34], v[11:12], v[122:123], v[109:110]
	v_add_f64 v[13:14], v[13:14], v[27:28]
	s_clause 0x2
	buffer_load_dword v114, off, s[0:3], 0 offset:700
	buffer_load_dword v28, off, s[0:3], 0 offset:676
	;; [unrolled: 1-line block ×3, first 2 shown]
	ds_read_b128 v[9:12], v70 offset:1408
	s_waitcnt vmcnt(58) lgkmcnt(1)
	v_mul_f64 v[109:110], v[1:2], v[37:38]
	v_mul_f64 v[37:38], v[3:4], v[37:38]
	s_waitcnt vmcnt(56)
	v_fma_f64 v[19:20], v[5:6], v[25:26], -v[19:20]
	v_fma_f64 v[25:26], v[7:8], v[25:26], v[120:121]
	v_add_f64 v[15:16], v[15:16], v[105:106]
	v_add_f64 v[13:14], v[13:14], v[33:34]
	s_clause 0x4
	buffer_load_dword v34, off, s[0:3], 0 offset:716
	buffer_load_dword v105, off, s[0:3], 0 offset:728
	;; [unrolled: 1-line block ×5, first 2 shown]
	ds_read_b128 v[5:8], v70 offset:1424
	s_waitcnt vmcnt(57) lgkmcnt(1)
	v_mul_f64 v[122:123], v[9:10], v[23:24]
	v_mul_f64 v[23:24], v[11:12], v[23:24]
	s_waitcnt vmcnt(56)
	v_fma_f64 v[37:38], v[1:2], v[117:118], -v[37:38]
	v_add_f64 v[15:16], v[15:16], v[19:20]
	v_fma_f64 v[19:20], v[3:4], v[117:118], v[109:110]
	v_add_f64 v[13:14], v[13:14], v[25:26]
	s_clause 0x2
	buffer_load_dword v106, off, s[0:3], 0 offset:732
	buffer_load_dword v26, off, s[0:3], 0 offset:708
	buffer_load_dword v25, off, s[0:3], 0 offset:704
	s_waitcnt vmcnt(58) lgkmcnt(0)
	v_mul_f64 v[109:110], v[5:6], v[45:46]
	v_mul_f64 v[45:46], v[7:8], v[45:46]
	ds_read_b128 v[1:4], v70 offset:1440
	s_waitcnt vmcnt(56)
	v_fma_f64 v[23:24], v[9:10], v[31:32], -v[23:24]
	v_fma_f64 v[31:32], v[11:12], v[31:32], v[122:123]
	v_add_f64 v[15:16], v[15:16], v[37:38]
	v_add_f64 v[13:14], v[13:14], v[19:20]
	s_clause 0x4
	buffer_load_dword v20, off, s[0:3], 0 offset:748
	buffer_load_dword v37, off, s[0:3], 0 offset:760
	;; [unrolled: 1-line block ×5, first 2 shown]
	ds_read_b128 v[9:12], v70 offset:1456
	s_waitcnt vmcnt(57) lgkmcnt(1)
	v_mul_f64 v[123:124], v[1:2], v[29:30]
	v_mul_f64 v[29:30], v[3:4], v[29:30]
	s_waitcnt vmcnt(56)
	v_fma_f64 v[45:46], v[5:6], v[71:72], -v[45:46]
	v_add_f64 v[15:16], v[15:16], v[23:24]
	v_fma_f64 v[23:24], v[7:8], v[71:72], v[109:110]
	v_add_f64 v[13:14], v[13:14], v[31:32]
	s_clause 0x2
	buffer_load_dword v38, off, s[0:3], 0 offset:764
	buffer_load_dword v32, off, s[0:3], 0 offset:740
	;; [unrolled: 1-line block ×3, first 2 shown]
	s_waitcnt vmcnt(58) lgkmcnt(0)
	v_mul_f64 v[71:72], v[9:10], v[51:52]
	v_mul_f64 v[51:52], v[11:12], v[51:52]
	ds_read_b128 v[5:8], v70 offset:1472
	s_waitcnt vmcnt(56)
	v_fma_f64 v[29:30], v[1:2], v[41:42], -v[29:30]
	v_fma_f64 v[41:42], v[3:4], v[41:42], v[123:124]
	v_add_f64 v[15:16], v[15:16], v[45:46]
	v_add_f64 v[13:14], v[13:14], v[23:24]
	s_clause 0x4
	buffer_load_dword v24, off, s[0:3], 0 offset:780
	buffer_load_dword v45, off, s[0:3], 0 offset:792
	buffer_load_dword v109, off, s[0:3], 0 offset:784
	buffer_load_dword v23, off, s[0:3], 0 offset:776
	buffer_load_dword v118, off, s[0:3], 0 offset:756
	ds_read_b128 v[1:4], v70 offset:1488
	s_waitcnt vmcnt(57) lgkmcnt(1)
	v_mul_f64 v[123:124], v[5:6], v[35:36]
	v_mul_f64 v[35:36], v[7:8], v[35:36]
	s_waitcnt vmcnt(56)
	v_fma_f64 v[51:52], v[9:10], v[53:54], -v[51:52]
	v_add_f64 v[15:16], v[15:16], v[29:30]
	v_fma_f64 v[29:30], v[11:12], v[53:54], v[71:72]
	v_add_f64 v[13:14], v[13:14], v[41:42]
	s_clause 0x2
	buffer_load_dword v46, off, s[0:3], 0 offset:796
	buffer_load_dword v42, off, s[0:3], 0 offset:772
	buffer_load_dword v41, off, s[0:3], 0 offset:768
	ds_read_b128 v[9:12], v70 offset:1504
	s_waitcnt vmcnt(58) lgkmcnt(1)
	v_mul_f64 v[53:54], v[1:2], v[59:60]
	v_mul_f64 v[59:60], v[3:4], v[59:60]
	s_waitcnt vmcnt(56)
	v_fma_f64 v[35:36], v[5:6], v[39:40], -v[35:36]
	v_fma_f64 v[39:40], v[7:8], v[39:40], v[123:124]
	v_add_f64 v[15:16], v[15:16], v[51:52]
	v_add_f64 v[13:14], v[13:14], v[29:30]
	s_clause 0x4
	buffer_load_dword v30, off, s[0:3], 0 offset:812
	buffer_load_dword v51, off, s[0:3], 0 offset:824
	buffer_load_dword v71, off, s[0:3], 0 offset:816
	buffer_load_dword v29, off, s[0:3], 0 offset:808
	buffer_load_dword v110, off, s[0:3], 0 offset:788
	ds_read_b128 v[5:8], v70 offset:1520
	s_waitcnt vmcnt(57) lgkmcnt(1)
	v_mul_f64 v[123:124], v[9:10], v[43:44]
	v_mul_f64 v[43:44], v[11:12], v[43:44]
	s_waitcnt vmcnt(56)
	v_fma_f64 v[59:60], v[1:2], v[61:62], -v[59:60]
	v_add_f64 v[15:16], v[15:16], v[35:36]
	v_fma_f64 v[35:36], v[3:4], v[61:62], v[53:54]
	v_add_f64 v[13:14], v[13:14], v[39:40]
	s_clause 0x2
	buffer_load_dword v52, off, s[0:3], 0 offset:828
	buffer_load_dword v40, off, s[0:3], 0 offset:804
	buffer_load_dword v39, off, s[0:3], 0 offset:800
	ds_read_b128 v[1:4], v70 offset:1536
	s_waitcnt vmcnt(58) lgkmcnt(1)
	v_mul_f64 v[61:62], v[7:8], v[65:66]
	v_mul_f64 v[53:54], v[5:6], v[65:66]
	;; [unrolled: 28-line block ×4, first 2 shown]
	s_waitcnt vmcnt(56)
	v_fma_f64 v[57:58], v[5:6], v[63:64], -v[57:58]
	v_add_f64 v[15:16], v[15:16], v[55:56]
	v_fma_f64 v[55:56], v[7:8], v[63:64], v[123:124]
	v_add_f64 v[13:14], v[13:14], v[49:50]
	s_clause 0x4
	buffer_load_dword v50, off, s[0:3], 0 offset:908
	buffer_load_dword v63, off, s[0:3], 0 offset:920
	;; [unrolled: 1-line block ×5, first 2 shown]
	ds_read_b128 v[5:8], v70 offset:1616
	s_waitcnt vmcnt(57) lgkmcnt(1)
	v_mul_f64 v[123:124], v[9:10], v[21:22]
	v_mul_f64 v[21:22], v[11:12], v[21:22]
	s_waitcnt vmcnt(56)
	v_fma_f64 v[107:108], v[1:2], v[115:116], -v[107:108]
	v_fma_f64 v[53:54], v[3:4], v[115:116], v[53:54]
	v_add_f64 v[15:16], v[15:16], v[57:58]
	v_add_f64 v[13:14], v[13:14], v[55:56]
	s_clause 0x2
	buffer_load_dword v64, off, s[0:3], 0 offset:924
	buffer_load_dword v56, off, s[0:3], 0 offset:900
	;; [unrolled: 1-line block ×3, first 2 shown]
	ds_read_b128 v[1:4], v70 offset:1632
	s_waitcnt vmcnt(58) lgkmcnt(1)
	v_mul_f64 v[57:58], v[5:6], v[113:114]
	v_mul_f64 v[113:114], v[7:8], v[113:114]
	s_waitcnt vmcnt(56)
	v_fma_f64 v[21:22], v[9:10], v[27:28], -v[21:22]
	v_fma_f64 v[27:28], v[11:12], v[27:28], v[123:124]
	v_add_f64 v[15:16], v[15:16], v[107:108]
	v_add_f64 v[13:14], v[13:14], v[53:54]
	s_clause 0x4
	buffer_load_dword v54, off, s[0:3], 0 offset:940
	buffer_load_dword v107, off, s[0:3], 0 offset:952
	;; [unrolled: 1-line block ×5, first 2 shown]
	ds_read_b128 v[9:12], v70 offset:1648
	s_waitcnt vmcnt(57) lgkmcnt(1)
	v_mul_f64 v[123:124], v[1:2], v[33:34]
	v_mul_f64 v[33:34], v[3:4], v[33:34]
	s_waitcnt vmcnt(56)
	v_fma_f64 v[113:114], v[5:6], v[119:120], -v[113:114]
	v_add_f64 v[15:16], v[15:16], v[21:22]
	v_fma_f64 v[21:22], v[7:8], v[119:120], v[57:58]
	v_add_f64 v[13:14], v[13:14], v[27:28]
	s_clause 0x2
	buffer_load_dword v108, off, s[0:3], 0 offset:956
	buffer_load_dword v28, off, s[0:3], 0 offset:932
	;; [unrolled: 1-line block ×3, first 2 shown]
	ds_read_b128 v[5:8], v70 offset:1664
	buffer_load_dword v116, off, s[0:3], 0 offset:948
	s_waitcnt vmcnt(59) lgkmcnt(1)
	v_mul_f64 v[57:58], v[9:10], v[105:106]
	v_mul_f64 v[105:106], v[11:12], v[105:106]
	s_waitcnt vmcnt(57)
	v_fma_f64 v[33:34], v[1:2], v[25:26], -v[33:34]
	v_fma_f64 v[25:26], v[3:4], v[25:26], v[123:124]
	ds_read_b128 v[1:4], v70 offset:1680
	v_add_f64 v[15:16], v[15:16], v[113:114]
	v_add_f64 v[13:14], v[13:14], v[21:22]
	s_waitcnt vmcnt(53) lgkmcnt(1)
	v_mul_f64 v[21:22], v[5:6], v[19:20]
	v_mul_f64 v[19:20], v[7:8], v[19:20]
	s_waitcnt vmcnt(52)
	v_fma_f64 v[105:106], v[9:10], v[121:122], -v[105:106]
	v_add_f64 v[15:16], v[15:16], v[33:34]
	v_fma_f64 v[33:34], v[11:12], v[121:122], v[57:58]
	v_add_f64 v[13:14], v[13:14], v[25:26]
	ds_read_b128 v[9:12], v70 offset:1696
	s_waitcnt vmcnt(51) lgkmcnt(1)
	v_mul_f64 v[25:26], v[1:2], v[37:38]
	v_mul_f64 v[37:38], v[3:4], v[37:38]
	s_waitcnt vmcnt(49)
	v_fma_f64 v[19:20], v[5:6], v[31:32], -v[19:20]
	v_fma_f64 v[21:22], v[7:8], v[31:32], v[21:22]
	v_add_f64 v[15:16], v[15:16], v[105:106]
	v_add_f64 v[13:14], v[13:14], v[33:34]
	s_clause 0x3
	buffer_load_dword v31, off, s[0:3], 0 offset:96
	buffer_load_dword v32, off, s[0:3], 0 offset:100
	;; [unrolled: 1-line block ×4, first 2 shown]
	ds_read_b128 v[5:8], v70 offset:1712
	s_waitcnt vmcnt(49) lgkmcnt(1)
	v_mul_f64 v[57:58], v[9:10], v[23:24]
	v_mul_f64 v[23:24], v[11:12], v[23:24]
	s_waitcnt vmcnt(48)
	v_fma_f64 v[37:38], v[1:2], v[117:118], -v[37:38]
	v_add_f64 v[15:16], v[15:16], v[19:20]
	v_fma_f64 v[19:20], v[3:4], v[117:118], v[25:26]
	v_add_f64 v[13:14], v[13:14], v[21:22]
	ds_read_b128 v[1:4], v70 offset:1728
	s_waitcnt vmcnt(47) lgkmcnt(1)
	v_mul_f64 v[25:26], v[7:8], v[45:46]
	v_mul_f64 v[21:22], v[5:6], v[45:46]
	s_waitcnt vmcnt(45)
	v_fma_f64 v[23:24], v[9:10], v[41:42], -v[23:24]
	v_add_f64 v[15:16], v[15:16], v[37:38]
	v_fma_f64 v[37:38], v[11:12], v[41:42], v[57:58]
	v_add_f64 v[13:14], v[13:14], v[19:20]
	ds_read_b128 v[9:12], v70 offset:1744
	s_waitcnt vmcnt(41) lgkmcnt(1)
	v_mul_f64 v[19:20], v[1:2], v[29:30]
	v_mul_f64 v[29:30], v[3:4], v[29:30]
	s_waitcnt vmcnt(40)
	v_fma_f64 v[25:26], v[5:6], v[109:110], -v[25:26]
	v_fma_f64 v[21:22], v[7:8], v[109:110], v[21:22]
	ds_read_b128 v[5:8], v70 offset:1760
	v_add_f64 v[15:16], v[15:16], v[23:24]
	v_add_f64 v[13:14], v[13:14], v[37:38]
	s_waitcnt vmcnt(39) lgkmcnt(1)
	v_mul_f64 v[37:38], v[11:12], v[51:52]
	v_mul_f64 v[23:24], v[9:10], v[51:52]
	s_waitcnt vmcnt(37)
	v_fma_f64 v[29:30], v[1:2], v[39:40], -v[29:30]
	v_fma_f64 v[19:20], v[3:4], v[39:40], v[19:20]
	ds_read_b128 v[1:4], v70 offset:1776
	v_add_f64 v[15:16], v[15:16], v[25:26]
	v_add_f64 v[13:14], v[13:14], v[21:22]
	;; [unrolled: 9-line block ×4, first 2 shown]
	s_waitcnt vmcnt(25) lgkmcnt(1)
	v_mul_f64 v[35:36], v[11:12], v[43:44]
	s_waitcnt vmcnt(24)
	v_fma_f64 v[29:30], v[1:2], v[65:66], -v[29:30]
	v_mul_f64 v[23:24], v[9:10], v[43:44]
	v_fma_f64 v[19:20], v[3:4], v[65:66], v[19:20]
	ds_read_b128 v[1:4], v70 offset:1824
	v_add_f64 v[15:16], v[15:16], v[25:26]
	v_add_f64 v[13:14], v[13:14], v[21:22]
	s_waitcnt vmcnt(23) lgkmcnt(1)
	v_mul_f64 v[25:26], v[7:8], v[61:62]
	v_mul_f64 v[21:22], v[5:6], v[61:62]
	s_waitcnt vmcnt(21)
	v_fma_f64 v[35:36], v[9:10], v[17:18], -v[35:36]
	v_fma_f64 v[17:18], v[11:12], v[17:18], v[23:24]
	ds_read_b128 v[9:12], v70 offset:1840
	v_add_f64 v[15:16], v[15:16], v[29:30]
	v_add_f64 v[13:14], v[13:14], v[19:20]
	s_waitcnt vmcnt(17) lgkmcnt(1)
	v_mul_f64 v[23:24], v[3:4], v[49:50]
	s_waitcnt vmcnt(16)
	v_fma_f64 v[25:26], v[5:6], v[67:68], -v[25:26]
	v_mul_f64 v[19:20], v[1:2], v[49:50]
	v_fma_f64 v[21:22], v[7:8], v[67:68], v[21:22]
	ds_read_b128 v[5:8], v70 offset:1856
	v_add_f64 v[15:16], v[15:16], v[35:36]
	v_add_f64 v[13:14], v[13:14], v[17:18]
	s_waitcnt vmcnt(15) lgkmcnt(1)
	v_mul_f64 v[29:30], v[11:12], v[63:64]
	v_mul_f64 v[17:18], v[9:10], v[63:64]
	s_waitcnt vmcnt(13)
	v_fma_f64 v[23:24], v[1:2], v[55:56], -v[23:24]
	v_fma_f64 v[19:20], v[3:4], v[55:56], v[19:20]
	ds_read_b128 v[1:4], v70 offset:1872
	v_add_f64 v[15:16], v[15:16], v[25:26]
	v_add_f64 v[13:14], v[13:14], v[21:22]
	s_waitcnt vmcnt(9) lgkmcnt(1)
	v_mul_f64 v[25:26], v[7:8], v[53:54]
	s_waitcnt vmcnt(8)
	v_fma_f64 v[9:10], v[9:10], v[111:112], -v[29:30]
	v_mul_f64 v[21:22], v[5:6], v[53:54]
	v_fma_f64 v[11:12], v[11:12], v[111:112], v[17:18]
	v_add_f64 v[15:16], v[15:16], v[23:24]
	v_add_f64 v[13:14], v[13:14], v[19:20]
	s_waitcnt vmcnt(7) lgkmcnt(0)
	v_mul_f64 v[19:20], v[3:4], v[107:108]
	v_mul_f64 v[17:18], v[1:2], v[107:108]
	s_waitcnt vmcnt(5)
	v_fma_f64 v[5:6], v[5:6], v[27:28], -v[25:26]
	v_fma_f64 v[7:8], v[7:8], v[27:28], v[21:22]
	v_add_f64 v[9:10], v[15:16], v[9:10]
	v_add_f64 v[11:12], v[13:14], v[11:12]
	s_waitcnt vmcnt(4)
	v_fma_f64 v[1:2], v[1:2], v[115:116], -v[19:20]
	v_fma_f64 v[3:4], v[3:4], v[115:116], v[17:18]
	v_add_f64 v[5:6], v[9:10], v[5:6]
	v_add_f64 v[7:8], v[11:12], v[7:8]
	;; [unrolled: 1-line block ×4, first 2 shown]
	s_waitcnt vmcnt(2)
	v_add_f64 v[1:2], v[31:32], -v[1:2]
	s_waitcnt vmcnt(0)
	v_add_f64 v[3:4], v[33:34], -v[3:4]
	buffer_store_dword v2, off, s[0:3], 0 offset:100
	buffer_store_dword v1, off, s[0:3], 0 offset:96
	;; [unrolled: 1-line block ×4, first 2 shown]
	v_cmpx_lt_u32_e32 4, v0
	s_cbranch_execz .LBB58_359
; %bb.358:
	v_mov_b32_e32 v4, s67
	s_clause 0x3
	buffer_load_dword v1, v4, s[0:3], 0 offen
	buffer_load_dword v2, v4, s[0:3], 0 offen offset:4
	buffer_load_dword v3, v4, s[0:3], 0 offen offset:8
	;; [unrolled: 1-line block ×3, first 2 shown]
	buffer_store_dword v70, off, s[0:3], 0 offset:80
	buffer_store_dword v70, off, s[0:3], 0 offset:84
	;; [unrolled: 1-line block ×4, first 2 shown]
	s_waitcnt vmcnt(0)
	ds_write_b128 v69, v[1:4]
.LBB58_359:
	s_or_b32 exec_lo, exec_lo, s4
	s_waitcnt lgkmcnt(0)
	s_waitcnt_vscnt null, 0x0
	s_barrier
	buffer_gl0_inv
	s_clause 0x37
	buffer_load_dword v17, off, s[0:3], 0 offset:104
	buffer_load_dword v18, off, s[0:3], 0 offset:108
	;; [unrolled: 1-line block ×56, first 2 shown]
	ds_read_b128 v[5:8], v70 offset:1024
	s_clause 0x2
	buffer_load_dword v66, off, s[0:3], 0 offset:332
	buffer_load_dword v68, off, s[0:3], 0 offset:308
	;; [unrolled: 1-line block ×3, first 2 shown]
	ds_read_b128 v[1:4], v70 offset:1040
	s_clause 0x4
	buffer_load_dword v110, off, s[0:3], 0 offset:348
	buffer_load_dword v111, off, s[0:3], 0 offset:360
	;; [unrolled: 1-line block ×5, first 2 shown]
	ds_read_b128 v[105:108], v70 offset:1056
	s_mov_b32 s4, exec_lo
	s_waitcnt vmcnt(62) lgkmcnt(2)
	v_mul_f64 v[71:72], v[7:8], v[17:18]
	v_mul_f64 v[17:18], v[5:6], v[17:18]
	s_waitcnt vmcnt(60) lgkmcnt(1)
	v_mul_f64 v[114:115], v[3:4], v[13:14]
	v_mul_f64 v[13:14], v[1:2], v[13:14]
	;; [unrolled: 3-line block ×3, first 2 shown]
	v_fma_f64 v[71:72], v[5:6], v[15:16], -v[71:72]
	v_fma_f64 v[15:16], v[7:8], v[15:16], v[17:18]
	s_clause 0x2
	buffer_load_dword v112, off, s[0:3], 0 offset:364
	buffer_load_dword v18, off, s[0:3], 0 offset:340
	;; [unrolled: 1-line block ×3, first 2 shown]
	s_waitcnt vmcnt(57)
	v_fma_f64 v[118:119], v[1:2], v[9:10], -v[114:115]
	ds_read_b128 v[5:8], v70 offset:1072
	v_fma_f64 v[9:10], v[3:4], v[9:10], v[13:14]
	s_waitcnt vmcnt(51)
	v_fma_f64 v[105:106], v[105:106], v[33:34], -v[11:12]
	v_fma_f64 v[33:34], v[107:108], v[33:34], v[116:117]
	v_add_f64 v[71:72], v[71:72], 0
	v_add_f64 v[13:14], v[15:16], 0
	s_clause 0x4
	buffer_load_dword v16, off, s[0:3], 0 offset:380
	buffer_load_dword v115, off, s[0:3], 0 offset:392
	;; [unrolled: 1-line block ×5, first 2 shown]
	s_waitcnt lgkmcnt(0)
	v_mul_f64 v[121:122], v[5:6], v[21:22]
	v_mul_f64 v[21:22], v[7:8], v[21:22]
	ds_read_b128 v[1:4], v70 offset:1088
	s_clause 0x2
	buffer_load_dword v116, off, s[0:3], 0 offset:396
	buffer_load_dword v108, off, s[0:3], 0 offset:372
	;; [unrolled: 1-line block ×3, first 2 shown]
	v_add_f64 v[71:72], v[71:72], v[118:119]
	v_add_f64 v[13:14], v[13:14], v[9:10]
	ds_read_b128 v[9:12], v70 offset:1104
	s_waitcnt vmcnt(58) lgkmcnt(1)
	v_mul_f64 v[117:118], v[1:2], v[25:26]
	v_mul_f64 v[25:26], v[3:4], v[25:26]
	s_waitcnt vmcnt(56)
	v_fma_f64 v[21:22], v[5:6], v[27:28], -v[21:22]
	v_fma_f64 v[27:28], v[7:8], v[27:28], v[121:122]
	s_waitcnt vmcnt(52) lgkmcnt(0)
	v_mul_f64 v[123:124], v[9:10], v[29:30]
	v_add_f64 v[71:72], v[71:72], v[105:106]
	v_add_f64 v[13:14], v[13:14], v[33:34]
	s_clause 0x4
	buffer_load_dword v34, off, s[0:3], 0 offset:412
	buffer_load_dword v105, off, s[0:3], 0 offset:424
	;; [unrolled: 1-line block ×5, first 2 shown]
	v_mul_f64 v[29:30], v[11:12], v[29:30]
	s_waitcnt vmcnt(56)
	v_fma_f64 v[25:26], v[1:2], v[19:20], -v[25:26]
	ds_read_b128 v[5:8], v70 offset:1120
	v_fma_f64 v[19:20], v[3:4], v[19:20], v[117:118]
	v_add_f64 v[21:22], v[71:72], v[21:22]
	v_add_f64 v[13:14], v[13:14], v[27:28]
	s_clause 0x2
	buffer_load_dword v106, off, s[0:3], 0 offset:428
	buffer_load_dword v28, off, s[0:3], 0 offset:404
	;; [unrolled: 1-line block ×3, first 2 shown]
	s_waitcnt vmcnt(58) lgkmcnt(0)
	v_mul_f64 v[71:72], v[5:6], v[35:36]
	v_mul_f64 v[35:36], v[7:8], v[35:36]
	s_waitcnt vmcnt(56)
	v_fma_f64 v[29:30], v[9:10], v[37:38], -v[29:30]
	ds_read_b128 v[1:4], v70 offset:1136
	v_add_f64 v[21:22], v[21:22], v[25:26]
	v_fma_f64 v[25:26], v[11:12], v[37:38], v[123:124]
	v_add_f64 v[13:14], v[13:14], v[19:20]
	s_clause 0x4
	buffer_load_dword v20, off, s[0:3], 0 offset:444
	buffer_load_dword v37, off, s[0:3], 0 offset:456
	buffer_load_dword v117, off, s[0:3], 0 offset:448
	buffer_load_dword v19, off, s[0:3], 0 offset:440
	buffer_load_dword v123, off, s[0:3], 0 offset:420
	s_waitcnt vmcnt(57) lgkmcnt(0)
	v_mul_f64 v[118:119], v[1:2], v[39:40]
	v_mul_f64 v[39:40], v[3:4], v[39:40]
	s_waitcnt vmcnt(56)
	v_fma_f64 v[35:36], v[5:6], v[23:24], -v[35:36]
	ds_read_b128 v[9:12], v70 offset:1152
	v_fma_f64 v[23:24], v[7:8], v[23:24], v[71:72]
	v_add_f64 v[21:22], v[21:22], v[29:30]
	v_add_f64 v[13:14], v[13:14], v[25:26]
	s_clause 0x2
	buffer_load_dword v38, off, s[0:3], 0 offset:460
	buffer_load_dword v26, off, s[0:3], 0 offset:436
	;; [unrolled: 1-line block ×3, first 2 shown]
	ds_read_b128 v[5:8], v70 offset:1168
	s_waitcnt vmcnt(58) lgkmcnt(1)
	v_mul_f64 v[29:30], v[9:10], v[43:44]
	v_mul_f64 v[43:44], v[11:12], v[43:44]
	s_waitcnt vmcnt(56)
	v_fma_f64 v[39:40], v[1:2], v[45:46], -v[39:40]
	v_add_f64 v[21:22], v[21:22], v[35:36]
	v_fma_f64 v[35:36], v[3:4], v[45:46], v[118:119]
	v_add_f64 v[13:14], v[13:14], v[23:24]
	s_clause 0x4
	buffer_load_dword v24, off, s[0:3], 0 offset:476
	buffer_load_dword v45, off, s[0:3], 0 offset:488
	;; [unrolled: 1-line block ×5, first 2 shown]
	s_waitcnt vmcnt(57) lgkmcnt(0)
	v_mul_f64 v[124:125], v[5:6], v[47:48]
	v_mul_f64 v[47:48], v[7:8], v[47:48]
	s_waitcnt vmcnt(56)
	v_fma_f64 v[43:44], v[9:10], v[31:32], -v[43:44]
	ds_read_b128 v[1:4], v70 offset:1184
	v_fma_f64 v[29:30], v[11:12], v[31:32], v[29:30]
	s_clause 0x2
	buffer_load_dword v46, off, s[0:3], 0 offset:492
	buffer_load_dword v32, off, s[0:3], 0 offset:468
	;; [unrolled: 1-line block ×3, first 2 shown]
	ds_read_b128 v[9:12], v70 offset:1200
	v_add_f64 v[21:22], v[21:22], v[39:40]
	v_add_f64 v[13:14], v[13:14], v[35:36]
	s_waitcnt vmcnt(58) lgkmcnt(1)
	v_mul_f64 v[39:40], v[3:4], v[51:52]
	s_waitcnt vmcnt(56)
	v_fma_f64 v[47:48], v[5:6], v[53:54], -v[47:48]
	v_mul_f64 v[35:36], v[1:2], v[51:52]
	v_add_f64 v[21:22], v[21:22], v[43:44]
	v_fma_f64 v[43:44], v[7:8], v[53:54], v[124:125]
	v_add_f64 v[13:14], v[13:14], v[29:30]
	s_clause 0x4
	buffer_load_dword v30, off, s[0:3], 0 offset:508
	buffer_load_dword v51, off, s[0:3], 0 offset:520
	;; [unrolled: 1-line block ×5, first 2 shown]
	s_waitcnt vmcnt(57) lgkmcnt(0)
	v_mul_f64 v[124:125], v[9:10], v[55:56]
	v_mul_f64 v[54:55], v[11:12], v[55:56]
	s_waitcnt vmcnt(56)
	v_fma_f64 v[39:40], v[1:2], v[41:42], -v[39:40]
	ds_read_b128 v[5:8], v70 offset:1216
	v_fma_f64 v[35:36], v[3:4], v[41:42], v[35:36]
	s_clause 0x2
	buffer_load_dword v52, off, s[0:3], 0 offset:524
	buffer_load_dword v42, off, s[0:3], 0 offset:500
	;; [unrolled: 1-line block ×3, first 2 shown]
	ds_read_b128 v[1:4], v70 offset:1232
	v_add_f64 v[21:22], v[21:22], v[47:48]
	v_add_f64 v[13:14], v[13:14], v[43:44]
	s_waitcnt vmcnt(58) lgkmcnt(1)
	v_mul_f64 v[47:48], v[7:8], v[59:60]
	s_waitcnt vmcnt(56)
	v_fma_f64 v[55:56], v[9:10], v[61:62], -v[54:55]
	v_mul_f64 v[43:44], v[5:6], v[59:60]
	v_add_f64 v[21:22], v[21:22], v[39:40]
	v_fma_f64 v[39:40], v[11:12], v[61:62], v[124:125]
	v_add_f64 v[13:14], v[13:14], v[35:36]
	s_clause 0x4
	buffer_load_dword v36, off, s[0:3], 0 offset:540
	buffer_load_dword v59, off, s[0:3], 0 offset:552
	;; [unrolled: 1-line block ×5, first 2 shown]
	s_waitcnt vmcnt(57) lgkmcnt(0)
	v_mul_f64 v[124:125], v[1:2], v[63:64]
	v_mul_f64 v[62:63], v[3:4], v[63:64]
	s_waitcnt vmcnt(56)
	v_fma_f64 v[47:48], v[5:6], v[49:50], -v[47:48]
	ds_read_b128 v[9:12], v70 offset:1248
	v_fma_f64 v[43:44], v[7:8], v[49:50], v[43:44]
	v_add_f64 v[21:22], v[21:22], v[55:56]
	v_add_f64 v[13:14], v[13:14], v[39:40]
	s_clause 0x2
	buffer_load_dword v60, off, s[0:3], 0 offset:556
	buffer_load_dword v40, off, s[0:3], 0 offset:532
	;; [unrolled: 1-line block ×3, first 2 shown]
	ds_read_b128 v[5:8], v70 offset:1264
	s_waitcnt vmcnt(58) lgkmcnt(1)
	v_mul_f64 v[55:56], v[11:12], v[65:66]
	s_waitcnt vmcnt(56)
	v_fma_f64 v[63:64], v[1:2], v[67:68], -v[62:63]
	v_mul_f64 v[49:50], v[9:10], v[65:66]
	v_add_f64 v[21:22], v[21:22], v[47:48]
	v_fma_f64 v[47:48], v[3:4], v[67:68], v[124:125]
	v_add_f64 v[13:14], v[13:14], v[43:44]
	s_clause 0x4
	buffer_load_dword v44, off, s[0:3], 0 offset:572
	buffer_load_dword v65, off, s[0:3], 0 offset:584
	;; [unrolled: 1-line block ×5, first 2 shown]
	s_waitcnt vmcnt(57) lgkmcnt(0)
	v_mul_f64 v[124:125], v[5:6], v[109:110]
	v_mul_f64 v[109:110], v[7:8], v[109:110]
	s_waitcnt vmcnt(56)
	v_fma_f64 v[55:56], v[9:10], v[57:58], -v[55:56]
	ds_read_b128 v[1:4], v70 offset:1280
	v_fma_f64 v[49:50], v[11:12], v[57:58], v[49:50]
	v_add_f64 v[21:22], v[21:22], v[63:64]
	v_add_f64 v[13:14], v[13:14], v[47:48]
	s_clause 0x2
	buffer_load_dword v66, off, s[0:3], 0 offset:588
	buffer_load_dword v48, off, s[0:3], 0 offset:564
	;; [unrolled: 1-line block ×3, first 2 shown]
	ds_read_b128 v[9:12], v70 offset:1296
	s_waitcnt vmcnt(58) lgkmcnt(1)
	v_mul_f64 v[63:64], v[3:4], v[111:112]
	v_mul_f64 v[57:58], v[1:2], v[111:112]
	s_waitcnt vmcnt(56)
	v_fma_f64 v[109:110], v[5:6], v[17:18], -v[109:110]
	v_fma_f64 v[17:18], v[7:8], v[17:18], v[124:125]
	v_add_f64 v[21:22], v[21:22], v[55:56]
	v_add_f64 v[13:14], v[13:14], v[49:50]
	s_clause 0x4
	buffer_load_dword v50, off, s[0:3], 0 offset:604
	buffer_load_dword v55, off, s[0:3], 0 offset:616
	;; [unrolled: 1-line block ×5, first 2 shown]
	ds_read_b128 v[5:8], v70 offset:1312
	s_waitcnt vmcnt(57) lgkmcnt(1)
	v_mul_f64 v[124:125], v[9:10], v[15:16]
	v_mul_f64 v[15:16], v[11:12], v[15:16]
	s_waitcnt vmcnt(56)
	v_fma_f64 v[63:64], v[1:2], v[113:114], -v[63:64]
	v_fma_f64 v[57:58], v[3:4], v[113:114], v[57:58]
	v_add_f64 v[21:22], v[21:22], v[109:110]
	v_add_f64 v[13:14], v[13:14], v[17:18]
	s_clause 0x2
	buffer_load_dword v56, off, s[0:3], 0 offset:620
	buffer_load_dword v18, off, s[0:3], 0 offset:596
	;; [unrolled: 1-line block ×3, first 2 shown]
	s_waitcnt vmcnt(58) lgkmcnt(0)
	v_mul_f64 v[113:114], v[7:8], v[115:116]
	ds_read_b128 v[1:4], v70 offset:1328
	v_mul_f64 v[109:110], v[5:6], v[115:116]
	s_waitcnt vmcnt(56)
	v_fma_f64 v[15:16], v[9:10], v[107:108], -v[15:16]
	v_add_f64 v[21:22], v[21:22], v[63:64]
	v_fma_f64 v[63:64], v[11:12], v[107:108], v[124:125]
	v_add_f64 v[13:14], v[13:14], v[57:58]
	s_clause 0x4
	buffer_load_dword v58, off, s[0:3], 0 offset:636
	buffer_load_dword v107, off, s[0:3], 0 offset:648
	;; [unrolled: 1-line block ×5, first 2 shown]
	ds_read_b128 v[9:12], v70 offset:1344
	s_waitcnt vmcnt(57) lgkmcnt(1)
	v_mul_f64 v[124:125], v[1:2], v[33:34]
	v_mul_f64 v[33:34], v[3:4], v[33:34]
	s_waitcnt vmcnt(56)
	v_fma_f64 v[113:114], v[5:6], v[120:121], -v[113:114]
	v_add_f64 v[15:16], v[21:22], v[15:16]
	v_fma_f64 v[21:22], v[7:8], v[120:121], v[109:110]
	v_add_f64 v[13:14], v[13:14], v[63:64]
	s_clause 0x2
	buffer_load_dword v108, off, s[0:3], 0 offset:652
	buffer_load_dword v64, off, s[0:3], 0 offset:628
	;; [unrolled: 1-line block ×3, first 2 shown]
	ds_read_b128 v[5:8], v70 offset:1360
	s_waitcnt vmcnt(58) lgkmcnt(1)
	v_mul_f64 v[109:110], v[9:10], v[105:106]
	v_mul_f64 v[105:106], v[11:12], v[105:106]
	s_waitcnt vmcnt(56)
	v_fma_f64 v[33:34], v[1:2], v[27:28], -v[33:34]
	v_fma_f64 v[27:28], v[3:4], v[27:28], v[124:125]
	v_add_f64 v[15:16], v[15:16], v[113:114]
	v_add_f64 v[13:14], v[13:14], v[21:22]
	s_clause 0x4
	buffer_load_dword v22, off, s[0:3], 0 offset:668
	buffer_load_dword v113, off, s[0:3], 0 offset:680
	buffer_load_dword v119, off, s[0:3], 0 offset:672
	buffer_load_dword v21, off, s[0:3], 0 offset:664
	buffer_load_dword v116, off, s[0:3], 0 offset:644
	ds_read_b128 v[1:4], v70 offset:1376
	s_waitcnt vmcnt(57) lgkmcnt(1)
	v_mul_f64 v[120:121], v[5:6], v[19:20]
	v_mul_f64 v[19:20], v[7:8], v[19:20]
	s_waitcnt vmcnt(56)
	v_fma_f64 v[105:106], v[9:10], v[122:123], -v[105:106]
	v_add_f64 v[15:16], v[15:16], v[33:34]
	v_fma_f64 v[33:34], v[11:12], v[122:123], v[109:110]
	v_add_f64 v[13:14], v[13:14], v[27:28]
	s_clause 0x2
	buffer_load_dword v114, off, s[0:3], 0 offset:684
	buffer_load_dword v28, off, s[0:3], 0 offset:660
	;; [unrolled: 1-line block ×3, first 2 shown]
	ds_read_b128 v[9:12], v70 offset:1392
	s_waitcnt vmcnt(58) lgkmcnt(1)
	v_mul_f64 v[109:110], v[1:2], v[37:38]
	v_mul_f64 v[37:38], v[3:4], v[37:38]
	s_waitcnt vmcnt(56)
	v_fma_f64 v[19:20], v[5:6], v[25:26], -v[19:20]
	v_fma_f64 v[25:26], v[7:8], v[25:26], v[120:121]
	v_add_f64 v[15:16], v[15:16], v[105:106]
	v_add_f64 v[13:14], v[13:14], v[33:34]
	s_clause 0x4
	buffer_load_dword v34, off, s[0:3], 0 offset:700
	buffer_load_dword v105, off, s[0:3], 0 offset:712
	;; [unrolled: 1-line block ×5, first 2 shown]
	ds_read_b128 v[5:8], v70 offset:1408
	s_waitcnt vmcnt(57) lgkmcnt(1)
	v_mul_f64 v[122:123], v[9:10], v[23:24]
	v_mul_f64 v[23:24], v[11:12], v[23:24]
	s_waitcnt vmcnt(56)
	v_fma_f64 v[37:38], v[1:2], v[117:118], -v[37:38]
	v_add_f64 v[15:16], v[15:16], v[19:20]
	v_fma_f64 v[19:20], v[3:4], v[117:118], v[109:110]
	v_add_f64 v[13:14], v[13:14], v[25:26]
	s_clause 0x2
	buffer_load_dword v106, off, s[0:3], 0 offset:716
	buffer_load_dword v26, off, s[0:3], 0 offset:692
	;; [unrolled: 1-line block ×3, first 2 shown]
	s_waitcnt vmcnt(58) lgkmcnt(0)
	v_mul_f64 v[109:110], v[5:6], v[45:46]
	v_mul_f64 v[45:46], v[7:8], v[45:46]
	ds_read_b128 v[1:4], v70 offset:1424
	s_waitcnt vmcnt(56)
	v_fma_f64 v[23:24], v[9:10], v[31:32], -v[23:24]
	v_fma_f64 v[31:32], v[11:12], v[31:32], v[122:123]
	v_add_f64 v[15:16], v[15:16], v[37:38]
	v_add_f64 v[13:14], v[13:14], v[19:20]
	s_clause 0x4
	buffer_load_dword v20, off, s[0:3], 0 offset:732
	buffer_load_dword v37, off, s[0:3], 0 offset:744
	;; [unrolled: 1-line block ×5, first 2 shown]
	ds_read_b128 v[9:12], v70 offset:1440
	s_waitcnt vmcnt(57) lgkmcnt(1)
	v_mul_f64 v[123:124], v[1:2], v[29:30]
	v_mul_f64 v[29:30], v[3:4], v[29:30]
	s_waitcnt vmcnt(56)
	v_fma_f64 v[45:46], v[5:6], v[71:72], -v[45:46]
	v_add_f64 v[15:16], v[15:16], v[23:24]
	v_fma_f64 v[23:24], v[7:8], v[71:72], v[109:110]
	v_add_f64 v[13:14], v[13:14], v[31:32]
	s_clause 0x2
	buffer_load_dword v38, off, s[0:3], 0 offset:748
	buffer_load_dword v32, off, s[0:3], 0 offset:724
	buffer_load_dword v31, off, s[0:3], 0 offset:720
	s_waitcnt vmcnt(58) lgkmcnt(0)
	v_mul_f64 v[71:72], v[9:10], v[51:52]
	v_mul_f64 v[51:52], v[11:12], v[51:52]
	ds_read_b128 v[5:8], v70 offset:1456
	s_waitcnt vmcnt(56)
	v_fma_f64 v[29:30], v[1:2], v[41:42], -v[29:30]
	v_fma_f64 v[41:42], v[3:4], v[41:42], v[123:124]
	v_add_f64 v[15:16], v[15:16], v[45:46]
	v_add_f64 v[13:14], v[13:14], v[23:24]
	s_clause 0x4
	buffer_load_dword v24, off, s[0:3], 0 offset:764
	buffer_load_dword v45, off, s[0:3], 0 offset:776
	buffer_load_dword v109, off, s[0:3], 0 offset:768
	buffer_load_dword v23, off, s[0:3], 0 offset:760
	buffer_load_dword v118, off, s[0:3], 0 offset:740
	ds_read_b128 v[1:4], v70 offset:1472
	s_waitcnt vmcnt(57) lgkmcnt(1)
	v_mul_f64 v[123:124], v[5:6], v[35:36]
	v_mul_f64 v[35:36], v[7:8], v[35:36]
	s_waitcnt vmcnt(56)
	v_fma_f64 v[51:52], v[9:10], v[53:54], -v[51:52]
	v_add_f64 v[15:16], v[15:16], v[29:30]
	v_fma_f64 v[29:30], v[11:12], v[53:54], v[71:72]
	v_add_f64 v[13:14], v[13:14], v[41:42]
	s_clause 0x2
	buffer_load_dword v46, off, s[0:3], 0 offset:780
	buffer_load_dword v42, off, s[0:3], 0 offset:756
	buffer_load_dword v41, off, s[0:3], 0 offset:752
	ds_read_b128 v[9:12], v70 offset:1488
	s_waitcnt vmcnt(58) lgkmcnt(1)
	v_mul_f64 v[53:54], v[1:2], v[59:60]
	v_mul_f64 v[59:60], v[3:4], v[59:60]
	s_waitcnt vmcnt(56)
	v_fma_f64 v[35:36], v[5:6], v[39:40], -v[35:36]
	v_fma_f64 v[39:40], v[7:8], v[39:40], v[123:124]
	v_add_f64 v[15:16], v[15:16], v[51:52]
	v_add_f64 v[13:14], v[13:14], v[29:30]
	s_clause 0x4
	buffer_load_dword v30, off, s[0:3], 0 offset:796
	buffer_load_dword v51, off, s[0:3], 0 offset:808
	buffer_load_dword v71, off, s[0:3], 0 offset:800
	buffer_load_dword v29, off, s[0:3], 0 offset:792
	buffer_load_dword v110, off, s[0:3], 0 offset:772
	ds_read_b128 v[5:8], v70 offset:1504
	s_waitcnt vmcnt(57) lgkmcnt(1)
	v_mul_f64 v[123:124], v[9:10], v[43:44]
	v_mul_f64 v[43:44], v[11:12], v[43:44]
	s_waitcnt vmcnt(56)
	v_fma_f64 v[59:60], v[1:2], v[61:62], -v[59:60]
	v_add_f64 v[15:16], v[15:16], v[35:36]
	v_fma_f64 v[35:36], v[3:4], v[61:62], v[53:54]
	v_add_f64 v[13:14], v[13:14], v[39:40]
	s_clause 0x2
	buffer_load_dword v52, off, s[0:3], 0 offset:812
	buffer_load_dword v40, off, s[0:3], 0 offset:788
	buffer_load_dword v39, off, s[0:3], 0 offset:784
	ds_read_b128 v[1:4], v70 offset:1520
	s_waitcnt vmcnt(58) lgkmcnt(1)
	v_mul_f64 v[61:62], v[7:8], v[65:66]
	v_mul_f64 v[53:54], v[5:6], v[65:66]
	;; [unrolled: 28-line block ×4, first 2 shown]
	s_waitcnt vmcnt(56)
	v_fma_f64 v[57:58], v[5:6], v[63:64], -v[57:58]
	v_add_f64 v[15:16], v[15:16], v[55:56]
	v_fma_f64 v[55:56], v[7:8], v[63:64], v[123:124]
	v_add_f64 v[13:14], v[13:14], v[49:50]
	s_clause 0x4
	buffer_load_dword v50, off, s[0:3], 0 offset:892
	buffer_load_dword v63, off, s[0:3], 0 offset:904
	;; [unrolled: 1-line block ×5, first 2 shown]
	ds_read_b128 v[5:8], v70 offset:1600
	s_waitcnt vmcnt(57) lgkmcnt(1)
	v_mul_f64 v[123:124], v[9:10], v[21:22]
	v_mul_f64 v[21:22], v[11:12], v[21:22]
	s_waitcnt vmcnt(56)
	v_fma_f64 v[107:108], v[1:2], v[115:116], -v[107:108]
	v_fma_f64 v[53:54], v[3:4], v[115:116], v[53:54]
	v_add_f64 v[15:16], v[15:16], v[57:58]
	v_add_f64 v[13:14], v[13:14], v[55:56]
	s_clause 0x2
	buffer_load_dword v64, off, s[0:3], 0 offset:908
	buffer_load_dword v56, off, s[0:3], 0 offset:884
	;; [unrolled: 1-line block ×3, first 2 shown]
	ds_read_b128 v[1:4], v70 offset:1616
	s_waitcnt vmcnt(58) lgkmcnt(1)
	v_mul_f64 v[57:58], v[5:6], v[113:114]
	v_mul_f64 v[113:114], v[7:8], v[113:114]
	s_waitcnt vmcnt(56)
	v_fma_f64 v[21:22], v[9:10], v[27:28], -v[21:22]
	v_fma_f64 v[27:28], v[11:12], v[27:28], v[123:124]
	v_add_f64 v[15:16], v[15:16], v[107:108]
	v_add_f64 v[13:14], v[13:14], v[53:54]
	s_clause 0x4
	buffer_load_dword v54, off, s[0:3], 0 offset:924
	buffer_load_dword v107, off, s[0:3], 0 offset:936
	;; [unrolled: 1-line block ×5, first 2 shown]
	ds_read_b128 v[9:12], v70 offset:1632
	s_waitcnt vmcnt(57) lgkmcnt(1)
	v_mul_f64 v[123:124], v[1:2], v[33:34]
	v_mul_f64 v[33:34], v[3:4], v[33:34]
	s_waitcnt vmcnt(56)
	v_fma_f64 v[113:114], v[5:6], v[119:120], -v[113:114]
	v_add_f64 v[15:16], v[15:16], v[21:22]
	v_fma_f64 v[21:22], v[7:8], v[119:120], v[57:58]
	v_add_f64 v[13:14], v[13:14], v[27:28]
	s_clause 0x2
	buffer_load_dword v108, off, s[0:3], 0 offset:940
	buffer_load_dword v28, off, s[0:3], 0 offset:916
	;; [unrolled: 1-line block ×3, first 2 shown]
	ds_read_b128 v[5:8], v70 offset:1648
	s_waitcnt vmcnt(58) lgkmcnt(1)
	v_mul_f64 v[57:58], v[9:10], v[105:106]
	v_mul_f64 v[105:106], v[11:12], v[105:106]
	s_waitcnt vmcnt(56)
	v_fma_f64 v[33:34], v[1:2], v[25:26], -v[33:34]
	v_fma_f64 v[25:26], v[3:4], v[25:26], v[123:124]
	v_add_f64 v[15:16], v[15:16], v[113:114]
	v_add_f64 v[13:14], v[13:14], v[21:22]
	s_clause 0x2
	buffer_load_dword v22, off, s[0:3], 0 offset:956
	buffer_load_dword v21, off, s[0:3], 0 offset:952
	;; [unrolled: 1-line block ×3, first 2 shown]
	ds_read_b128 v[1:4], v70 offset:1664
	s_waitcnt vmcnt(55) lgkmcnt(1)
	v_mul_f64 v[113:114], v[5:6], v[19:20]
	v_mul_f64 v[19:20], v[7:8], v[19:20]
	s_waitcnt vmcnt(54)
	v_fma_f64 v[105:106], v[9:10], v[121:122], -v[105:106]
	v_add_f64 v[15:16], v[15:16], v[33:34]
	v_fma_f64 v[33:34], v[11:12], v[121:122], v[57:58]
	v_add_f64 v[13:14], v[13:14], v[25:26]
	s_clause 0x1
	buffer_load_dword v26, off, s[0:3], 0 offset:948
	buffer_load_dword v25, off, s[0:3], 0 offset:944
	ds_read_b128 v[9:12], v70 offset:1680
	s_waitcnt vmcnt(55) lgkmcnt(1)
	v_mul_f64 v[57:58], v[1:2], v[37:38]
	v_mul_f64 v[37:38], v[3:4], v[37:38]
	s_waitcnt vmcnt(53)
	v_fma_f64 v[19:20], v[5:6], v[31:32], -v[19:20]
	v_fma_f64 v[31:32], v[7:8], v[31:32], v[113:114]
	ds_read_b128 v[5:8], v70 offset:1696
	v_add_f64 v[15:16], v[15:16], v[105:106]
	v_add_f64 v[13:14], v[13:14], v[33:34]
	s_waitcnt vmcnt(49) lgkmcnt(1)
	v_mul_f64 v[33:34], v[9:10], v[23:24]
	v_mul_f64 v[23:24], v[11:12], v[23:24]
	s_waitcnt vmcnt(48)
	v_fma_f64 v[37:38], v[1:2], v[117:118], -v[37:38]
	v_add_f64 v[15:16], v[15:16], v[19:20]
	v_fma_f64 v[19:20], v[3:4], v[117:118], v[57:58]
	v_add_f64 v[13:14], v[13:14], v[31:32]
	s_clause 0x3
	buffer_load_dword v31, off, s[0:3], 0 offset:80
	buffer_load_dword v32, off, s[0:3], 0 offset:84
	;; [unrolled: 1-line block ×4, first 2 shown]
	ds_read_b128 v[1:4], v70 offset:1712
	s_waitcnt vmcnt(51) lgkmcnt(1)
	v_mul_f64 v[105:106], v[5:6], v[45:46]
	v_mul_f64 v[45:46], v[7:8], v[45:46]
	s_waitcnt vmcnt(49)
	v_fma_f64 v[23:24], v[9:10], v[41:42], -v[23:24]
	v_fma_f64 v[33:34], v[11:12], v[41:42], v[33:34]
	ds_read_b128 v[9:12], v70 offset:1728
	v_add_f64 v[15:16], v[15:16], v[37:38]
	v_add_f64 v[13:14], v[13:14], v[19:20]
	s_waitcnt vmcnt(45) lgkmcnt(1)
	v_mul_f64 v[19:20], v[1:2], v[29:30]
	v_mul_f64 v[29:30], v[3:4], v[29:30]
	s_waitcnt vmcnt(44)
	v_fma_f64 v[37:38], v[5:6], v[109:110], -v[45:46]
	v_add_f64 v[15:16], v[15:16], v[23:24]
	v_fma_f64 v[23:24], v[7:8], v[109:110], v[105:106]
	v_add_f64 v[13:14], v[13:14], v[33:34]
	ds_read_b128 v[5:8], v70 offset:1744
	s_waitcnt vmcnt(43) lgkmcnt(1)
	v_mul_f64 v[41:42], v[11:12], v[51:52]
	v_mul_f64 v[33:34], v[9:10], v[51:52]
	s_waitcnt vmcnt(41)
	v_fma_f64 v[29:30], v[1:2], v[39:40], -v[29:30]
	v_fma_f64 v[19:20], v[3:4], v[39:40], v[19:20]
	ds_read_b128 v[1:4], v70 offset:1760
	v_add_f64 v[15:16], v[15:16], v[37:38]
	v_add_f64 v[13:14], v[13:14], v[23:24]
	s_waitcnt vmcnt(37) lgkmcnt(1)
	v_mul_f64 v[23:24], v[5:6], v[35:36]
	v_mul_f64 v[35:36], v[7:8], v[35:36]
	s_waitcnt vmcnt(36)
	v_fma_f64 v[37:38], v[9:10], v[71:72], -v[41:42]
	v_add_f64 v[15:16], v[15:16], v[29:30]
	v_fma_f64 v[29:30], v[11:12], v[71:72], v[33:34]
	v_add_f64 v[13:14], v[13:14], v[19:20]
	ds_read_b128 v[9:12], v70 offset:1776
	s_waitcnt vmcnt(35) lgkmcnt(1)
	v_mul_f64 v[33:34], v[3:4], v[59:60]
	v_mul_f64 v[19:20], v[1:2], v[59:60]
	s_waitcnt vmcnt(33)
	v_fma_f64 v[35:36], v[5:6], v[47:48], -v[35:36]
	v_fma_f64 v[23:24], v[7:8], v[47:48], v[23:24]
	ds_read_b128 v[5:8], v70 offset:1792
	v_add_f64 v[15:16], v[15:16], v[37:38]
	v_add_f64 v[13:14], v[13:14], v[29:30]
	s_waitcnt vmcnt(29) lgkmcnt(1)
	v_mul_f64 v[37:38], v[11:12], v[43:44]
	s_waitcnt vmcnt(28)
	v_fma_f64 v[33:34], v[1:2], v[65:66], -v[33:34]
	v_mul_f64 v[29:30], v[9:10], v[43:44]
	v_fma_f64 v[19:20], v[3:4], v[65:66], v[19:20]
	ds_read_b128 v[1:4], v70 offset:1808
	v_add_f64 v[15:16], v[15:16], v[35:36]
	v_add_f64 v[13:14], v[13:14], v[23:24]
	s_waitcnt vmcnt(27) lgkmcnt(1)
	v_mul_f64 v[35:36], v[7:8], v[61:62]
	v_mul_f64 v[23:24], v[5:6], v[61:62]
	s_waitcnt vmcnt(25)
	v_fma_f64 v[37:38], v[9:10], v[17:18], -v[37:38]
	v_fma_f64 v[17:18], v[11:12], v[17:18], v[29:30]
	ds_read_b128 v[9:12], v70 offset:1824
	v_add_f64 v[15:16], v[15:16], v[33:34]
	v_add_f64 v[13:14], v[13:14], v[19:20]
	s_waitcnt vmcnt(21) lgkmcnt(1)
	v_mul_f64 v[29:30], v[3:4], v[49:50]
	s_waitcnt vmcnt(20)
	v_fma_f64 v[33:34], v[5:6], v[67:68], -v[35:36]
	v_mul_f64 v[19:20], v[1:2], v[49:50]
	v_fma_f64 v[23:24], v[7:8], v[67:68], v[23:24]
	ds_read_b128 v[5:8], v70 offset:1840
	v_add_f64 v[15:16], v[15:16], v[37:38]
	v_add_f64 v[13:14], v[13:14], v[17:18]
	;; [unrolled: 18-line block ×3, first 2 shown]
	s_waitcnt vmcnt(11) lgkmcnt(1)
	v_mul_f64 v[29:30], v[3:4], v[107:108]
	v_mul_f64 v[19:20], v[1:2], v[107:108]
	s_waitcnt vmcnt(9)
	v_fma_f64 v[5:6], v[5:6], v[27:28], -v[33:34]
	v_fma_f64 v[7:8], v[7:8], v[27:28], v[23:24]
	v_add_f64 v[15:16], v[15:16], v[35:36]
	v_add_f64 v[13:14], v[13:14], v[17:18]
	s_waitcnt vmcnt(7) lgkmcnt(0)
	v_mul_f64 v[17:18], v[9:10], v[21:22]
	v_mul_f64 v[21:22], v[11:12], v[21:22]
	s_waitcnt vmcnt(6)
	v_fma_f64 v[1:2], v[1:2], v[115:116], -v[29:30]
	v_fma_f64 v[3:4], v[3:4], v[115:116], v[19:20]
	v_add_f64 v[5:6], v[15:16], v[5:6]
	v_add_f64 v[7:8], v[13:14], v[7:8]
	s_waitcnt vmcnt(4)
	v_fma_f64 v[9:10], v[9:10], v[25:26], -v[21:22]
	v_add_f64 v[1:2], v[5:6], v[1:2]
	v_fma_f64 v[5:6], v[11:12], v[25:26], v[17:18]
	v_add_f64 v[3:4], v[7:8], v[3:4]
	v_add_f64 v[1:2], v[1:2], v[9:10]
	;; [unrolled: 1-line block ×3, first 2 shown]
	s_waitcnt vmcnt(2)
	v_add_f64 v[1:2], v[31:32], -v[1:2]
	s_waitcnt vmcnt(0)
	v_add_f64 v[3:4], v[57:58], -v[3:4]
	buffer_store_dword v2, off, s[0:3], 0 offset:84
	buffer_store_dword v1, off, s[0:3], 0 offset:80
	;; [unrolled: 1-line block ×4, first 2 shown]
	v_cmpx_lt_u32_e32 3, v0
	s_cbranch_execz .LBB58_361
; %bb.360:
	v_mov_b32_e32 v4, s68
	v_mov_b32_e32 v5, 0
	s_clause 0x3
	buffer_load_dword v1, v4, s[0:3], 0 offen
	buffer_load_dword v2, v4, s[0:3], 0 offen offset:4
	buffer_load_dword v3, v4, s[0:3], 0 offen offset:8
	;; [unrolled: 1-line block ×3, first 2 shown]
	buffer_store_dword v5, off, s[0:3], 0 offset:64
	buffer_store_dword v5, off, s[0:3], 0 offset:68
	;; [unrolled: 1-line block ×4, first 2 shown]
	s_waitcnt vmcnt(0)
	ds_write_b128 v69, v[1:4]
.LBB58_361:
	s_or_b32 exec_lo, exec_lo, s4
	s_waitcnt lgkmcnt(0)
	s_waitcnt_vscnt null, 0x0
	s_barrier
	buffer_gl0_inv
	s_clause 0x37
	buffer_load_dword v17, off, s[0:3], 0 offset:88
	buffer_load_dword v18, off, s[0:3], 0 offset:92
	;; [unrolled: 1-line block ×56, first 2 shown]
	v_mov_b32_e32 v70, 0
	s_mov_b32 s4, exec_lo
	ds_read_b128 v[5:8], v70 offset:1008
	s_clause 0x2
	buffer_load_dword v66, off, s[0:3], 0 offset:316
	buffer_load_dword v68, off, s[0:3], 0 offset:292
	;; [unrolled: 1-line block ×3, first 2 shown]
	ds_read_b128 v[1:4], v70 offset:1024
	s_clause 0x4
	buffer_load_dword v110, off, s[0:3], 0 offset:332
	buffer_load_dword v111, off, s[0:3], 0 offset:344
	;; [unrolled: 1-line block ×5, first 2 shown]
	ds_read_b128 v[105:108], v70 offset:1040
	s_waitcnt vmcnt(62) lgkmcnt(2)
	v_mul_f64 v[71:72], v[7:8], v[17:18]
	v_mul_f64 v[17:18], v[5:6], v[17:18]
	s_waitcnt vmcnt(60) lgkmcnt(1)
	v_mul_f64 v[114:115], v[3:4], v[13:14]
	v_mul_f64 v[13:14], v[1:2], v[13:14]
	;; [unrolled: 3-line block ×3, first 2 shown]
	v_fma_f64 v[71:72], v[5:6], v[15:16], -v[71:72]
	v_fma_f64 v[15:16], v[7:8], v[15:16], v[17:18]
	s_clause 0x2
	buffer_load_dword v112, off, s[0:3], 0 offset:348
	buffer_load_dword v18, off, s[0:3], 0 offset:324
	buffer_load_dword v17, off, s[0:3], 0 offset:320
	s_waitcnt vmcnt(57)
	v_fma_f64 v[118:119], v[1:2], v[9:10], -v[114:115]
	ds_read_b128 v[5:8], v70 offset:1056
	v_fma_f64 v[9:10], v[3:4], v[9:10], v[13:14]
	s_waitcnt vmcnt(51)
	v_fma_f64 v[105:106], v[105:106], v[33:34], -v[11:12]
	v_fma_f64 v[33:34], v[107:108], v[33:34], v[116:117]
	v_add_f64 v[71:72], v[71:72], 0
	v_add_f64 v[13:14], v[15:16], 0
	s_clause 0x4
	buffer_load_dword v16, off, s[0:3], 0 offset:364
	buffer_load_dword v115, off, s[0:3], 0 offset:376
	;; [unrolled: 1-line block ×5, first 2 shown]
	s_waitcnt lgkmcnt(0)
	v_mul_f64 v[121:122], v[5:6], v[21:22]
	v_mul_f64 v[21:22], v[7:8], v[21:22]
	ds_read_b128 v[1:4], v70 offset:1072
	s_clause 0x2
	buffer_load_dword v116, off, s[0:3], 0 offset:380
	buffer_load_dword v108, off, s[0:3], 0 offset:356
	;; [unrolled: 1-line block ×3, first 2 shown]
	v_add_f64 v[71:72], v[71:72], v[118:119]
	v_add_f64 v[13:14], v[13:14], v[9:10]
	ds_read_b128 v[9:12], v70 offset:1088
	s_waitcnt vmcnt(58) lgkmcnt(1)
	v_mul_f64 v[117:118], v[1:2], v[25:26]
	v_mul_f64 v[25:26], v[3:4], v[25:26]
	s_waitcnt vmcnt(56)
	v_fma_f64 v[21:22], v[5:6], v[27:28], -v[21:22]
	v_fma_f64 v[27:28], v[7:8], v[27:28], v[121:122]
	s_waitcnt vmcnt(52) lgkmcnt(0)
	v_mul_f64 v[123:124], v[9:10], v[29:30]
	v_add_f64 v[71:72], v[71:72], v[105:106]
	v_add_f64 v[13:14], v[13:14], v[33:34]
	s_clause 0x4
	buffer_load_dword v34, off, s[0:3], 0 offset:396
	buffer_load_dword v105, off, s[0:3], 0 offset:408
	;; [unrolled: 1-line block ×5, first 2 shown]
	v_mul_f64 v[29:30], v[11:12], v[29:30]
	s_waitcnt vmcnt(56)
	v_fma_f64 v[25:26], v[1:2], v[19:20], -v[25:26]
	ds_read_b128 v[5:8], v70 offset:1104
	v_fma_f64 v[19:20], v[3:4], v[19:20], v[117:118]
	v_add_f64 v[21:22], v[71:72], v[21:22]
	v_add_f64 v[13:14], v[13:14], v[27:28]
	s_clause 0x2
	buffer_load_dword v106, off, s[0:3], 0 offset:412
	buffer_load_dword v28, off, s[0:3], 0 offset:388
	;; [unrolled: 1-line block ×3, first 2 shown]
	s_waitcnt vmcnt(58) lgkmcnt(0)
	v_mul_f64 v[71:72], v[5:6], v[35:36]
	v_mul_f64 v[35:36], v[7:8], v[35:36]
	s_waitcnt vmcnt(56)
	v_fma_f64 v[29:30], v[9:10], v[37:38], -v[29:30]
	ds_read_b128 v[1:4], v70 offset:1120
	v_add_f64 v[21:22], v[21:22], v[25:26]
	v_fma_f64 v[25:26], v[11:12], v[37:38], v[123:124]
	v_add_f64 v[13:14], v[13:14], v[19:20]
	s_clause 0x4
	buffer_load_dword v20, off, s[0:3], 0 offset:428
	buffer_load_dword v37, off, s[0:3], 0 offset:440
	;; [unrolled: 1-line block ×5, first 2 shown]
	s_waitcnt vmcnt(57) lgkmcnt(0)
	v_mul_f64 v[118:119], v[1:2], v[39:40]
	v_mul_f64 v[39:40], v[3:4], v[39:40]
	s_waitcnt vmcnt(56)
	v_fma_f64 v[35:36], v[5:6], v[23:24], -v[35:36]
	ds_read_b128 v[9:12], v70 offset:1136
	v_fma_f64 v[23:24], v[7:8], v[23:24], v[71:72]
	v_add_f64 v[21:22], v[21:22], v[29:30]
	v_add_f64 v[13:14], v[13:14], v[25:26]
	s_clause 0x2
	buffer_load_dword v38, off, s[0:3], 0 offset:444
	buffer_load_dword v26, off, s[0:3], 0 offset:420
	;; [unrolled: 1-line block ×3, first 2 shown]
	ds_read_b128 v[5:8], v70 offset:1152
	s_waitcnt vmcnt(58) lgkmcnt(1)
	v_mul_f64 v[29:30], v[9:10], v[43:44]
	v_mul_f64 v[43:44], v[11:12], v[43:44]
	s_waitcnt vmcnt(56)
	v_fma_f64 v[39:40], v[1:2], v[45:46], -v[39:40]
	v_add_f64 v[21:22], v[21:22], v[35:36]
	v_fma_f64 v[35:36], v[3:4], v[45:46], v[118:119]
	v_add_f64 v[13:14], v[13:14], v[23:24]
	s_clause 0x4
	buffer_load_dword v24, off, s[0:3], 0 offset:460
	buffer_load_dword v45, off, s[0:3], 0 offset:472
	;; [unrolled: 1-line block ×5, first 2 shown]
	s_waitcnt vmcnt(57) lgkmcnt(0)
	v_mul_f64 v[124:125], v[5:6], v[47:48]
	v_mul_f64 v[47:48], v[7:8], v[47:48]
	s_waitcnt vmcnt(56)
	v_fma_f64 v[43:44], v[9:10], v[31:32], -v[43:44]
	ds_read_b128 v[1:4], v70 offset:1168
	v_fma_f64 v[29:30], v[11:12], v[31:32], v[29:30]
	s_clause 0x2
	buffer_load_dword v46, off, s[0:3], 0 offset:476
	buffer_load_dword v32, off, s[0:3], 0 offset:452
	;; [unrolled: 1-line block ×3, first 2 shown]
	ds_read_b128 v[9:12], v70 offset:1184
	v_add_f64 v[21:22], v[21:22], v[39:40]
	v_add_f64 v[13:14], v[13:14], v[35:36]
	s_waitcnt vmcnt(58) lgkmcnt(1)
	v_mul_f64 v[39:40], v[3:4], v[51:52]
	s_waitcnt vmcnt(56)
	v_fma_f64 v[47:48], v[5:6], v[53:54], -v[47:48]
	v_mul_f64 v[35:36], v[1:2], v[51:52]
	v_add_f64 v[21:22], v[21:22], v[43:44]
	v_fma_f64 v[43:44], v[7:8], v[53:54], v[124:125]
	v_add_f64 v[13:14], v[13:14], v[29:30]
	s_clause 0x4
	buffer_load_dword v30, off, s[0:3], 0 offset:492
	buffer_load_dword v51, off, s[0:3], 0 offset:504
	;; [unrolled: 1-line block ×5, first 2 shown]
	s_waitcnt vmcnt(57) lgkmcnt(0)
	v_mul_f64 v[124:125], v[9:10], v[55:56]
	v_mul_f64 v[54:55], v[11:12], v[55:56]
	s_waitcnt vmcnt(56)
	v_fma_f64 v[39:40], v[1:2], v[41:42], -v[39:40]
	ds_read_b128 v[5:8], v70 offset:1200
	v_fma_f64 v[35:36], v[3:4], v[41:42], v[35:36]
	s_clause 0x2
	buffer_load_dword v52, off, s[0:3], 0 offset:508
	buffer_load_dword v42, off, s[0:3], 0 offset:484
	buffer_load_dword v41, off, s[0:3], 0 offset:480
	ds_read_b128 v[1:4], v70 offset:1216
	v_add_f64 v[21:22], v[21:22], v[47:48]
	v_add_f64 v[13:14], v[13:14], v[43:44]
	s_waitcnt vmcnt(58) lgkmcnt(1)
	v_mul_f64 v[47:48], v[7:8], v[59:60]
	s_waitcnt vmcnt(56)
	v_fma_f64 v[55:56], v[9:10], v[61:62], -v[54:55]
	v_mul_f64 v[43:44], v[5:6], v[59:60]
	v_add_f64 v[21:22], v[21:22], v[39:40]
	v_fma_f64 v[39:40], v[11:12], v[61:62], v[124:125]
	v_add_f64 v[13:14], v[13:14], v[35:36]
	s_clause 0x4
	buffer_load_dword v36, off, s[0:3], 0 offset:524
	buffer_load_dword v59, off, s[0:3], 0 offset:536
	;; [unrolled: 1-line block ×5, first 2 shown]
	s_waitcnt vmcnt(57) lgkmcnt(0)
	v_mul_f64 v[124:125], v[1:2], v[63:64]
	v_mul_f64 v[62:63], v[3:4], v[63:64]
	s_waitcnt vmcnt(56)
	v_fma_f64 v[47:48], v[5:6], v[49:50], -v[47:48]
	ds_read_b128 v[9:12], v70 offset:1232
	v_fma_f64 v[43:44], v[7:8], v[49:50], v[43:44]
	v_add_f64 v[21:22], v[21:22], v[55:56]
	v_add_f64 v[13:14], v[13:14], v[39:40]
	s_clause 0x2
	buffer_load_dword v60, off, s[0:3], 0 offset:540
	buffer_load_dword v40, off, s[0:3], 0 offset:516
	;; [unrolled: 1-line block ×3, first 2 shown]
	ds_read_b128 v[5:8], v70 offset:1248
	s_waitcnt vmcnt(58) lgkmcnt(1)
	v_mul_f64 v[55:56], v[11:12], v[65:66]
	s_waitcnt vmcnt(56)
	v_fma_f64 v[63:64], v[1:2], v[67:68], -v[62:63]
	v_mul_f64 v[49:50], v[9:10], v[65:66]
	v_add_f64 v[21:22], v[21:22], v[47:48]
	v_fma_f64 v[47:48], v[3:4], v[67:68], v[124:125]
	v_add_f64 v[13:14], v[13:14], v[43:44]
	s_clause 0x4
	buffer_load_dword v44, off, s[0:3], 0 offset:556
	buffer_load_dword v65, off, s[0:3], 0 offset:568
	;; [unrolled: 1-line block ×5, first 2 shown]
	s_waitcnt vmcnt(57) lgkmcnt(0)
	v_mul_f64 v[124:125], v[5:6], v[109:110]
	v_mul_f64 v[109:110], v[7:8], v[109:110]
	s_waitcnt vmcnt(56)
	v_fma_f64 v[55:56], v[9:10], v[57:58], -v[55:56]
	ds_read_b128 v[1:4], v70 offset:1264
	v_fma_f64 v[49:50], v[11:12], v[57:58], v[49:50]
	v_add_f64 v[21:22], v[21:22], v[63:64]
	v_add_f64 v[13:14], v[13:14], v[47:48]
	s_clause 0x2
	buffer_load_dword v66, off, s[0:3], 0 offset:572
	buffer_load_dword v48, off, s[0:3], 0 offset:548
	;; [unrolled: 1-line block ×3, first 2 shown]
	ds_read_b128 v[9:12], v70 offset:1280
	s_waitcnt vmcnt(58) lgkmcnt(1)
	v_mul_f64 v[63:64], v[3:4], v[111:112]
	v_mul_f64 v[57:58], v[1:2], v[111:112]
	s_waitcnt vmcnt(56)
	v_fma_f64 v[109:110], v[5:6], v[17:18], -v[109:110]
	v_fma_f64 v[17:18], v[7:8], v[17:18], v[124:125]
	v_add_f64 v[21:22], v[21:22], v[55:56]
	v_add_f64 v[13:14], v[13:14], v[49:50]
	s_clause 0x4
	buffer_load_dword v50, off, s[0:3], 0 offset:588
	buffer_load_dword v55, off, s[0:3], 0 offset:600
	;; [unrolled: 1-line block ×5, first 2 shown]
	ds_read_b128 v[5:8], v70 offset:1296
	s_waitcnt vmcnt(57) lgkmcnt(1)
	v_mul_f64 v[124:125], v[9:10], v[15:16]
	v_mul_f64 v[15:16], v[11:12], v[15:16]
	s_waitcnt vmcnt(56)
	v_fma_f64 v[63:64], v[1:2], v[113:114], -v[63:64]
	v_fma_f64 v[57:58], v[3:4], v[113:114], v[57:58]
	v_add_f64 v[21:22], v[21:22], v[109:110]
	v_add_f64 v[13:14], v[13:14], v[17:18]
	s_clause 0x2
	buffer_load_dword v56, off, s[0:3], 0 offset:604
	buffer_load_dword v18, off, s[0:3], 0 offset:580
	;; [unrolled: 1-line block ×3, first 2 shown]
	s_waitcnt vmcnt(58) lgkmcnt(0)
	v_mul_f64 v[113:114], v[7:8], v[115:116]
	ds_read_b128 v[1:4], v70 offset:1312
	v_mul_f64 v[109:110], v[5:6], v[115:116]
	s_waitcnt vmcnt(56)
	v_fma_f64 v[15:16], v[9:10], v[107:108], -v[15:16]
	v_add_f64 v[21:22], v[21:22], v[63:64]
	v_fma_f64 v[63:64], v[11:12], v[107:108], v[124:125]
	v_add_f64 v[13:14], v[13:14], v[57:58]
	s_clause 0x4
	buffer_load_dword v58, off, s[0:3], 0 offset:620
	buffer_load_dword v107, off, s[0:3], 0 offset:632
	;; [unrolled: 1-line block ×5, first 2 shown]
	ds_read_b128 v[9:12], v70 offset:1328
	s_waitcnt vmcnt(57) lgkmcnt(1)
	v_mul_f64 v[124:125], v[1:2], v[33:34]
	v_mul_f64 v[33:34], v[3:4], v[33:34]
	s_waitcnt vmcnt(56)
	v_fma_f64 v[113:114], v[5:6], v[120:121], -v[113:114]
	v_add_f64 v[15:16], v[21:22], v[15:16]
	v_fma_f64 v[21:22], v[7:8], v[120:121], v[109:110]
	v_add_f64 v[13:14], v[13:14], v[63:64]
	s_clause 0x2
	buffer_load_dword v108, off, s[0:3], 0 offset:636
	buffer_load_dword v64, off, s[0:3], 0 offset:612
	;; [unrolled: 1-line block ×3, first 2 shown]
	ds_read_b128 v[5:8], v70 offset:1344
	s_waitcnt vmcnt(58) lgkmcnt(1)
	v_mul_f64 v[109:110], v[9:10], v[105:106]
	v_mul_f64 v[105:106], v[11:12], v[105:106]
	s_waitcnt vmcnt(56)
	v_fma_f64 v[33:34], v[1:2], v[27:28], -v[33:34]
	v_fma_f64 v[27:28], v[3:4], v[27:28], v[124:125]
	v_add_f64 v[15:16], v[15:16], v[113:114]
	v_add_f64 v[13:14], v[13:14], v[21:22]
	s_clause 0x4
	buffer_load_dword v22, off, s[0:3], 0 offset:652
	buffer_load_dword v113, off, s[0:3], 0 offset:664
	;; [unrolled: 1-line block ×5, first 2 shown]
	ds_read_b128 v[1:4], v70 offset:1360
	s_waitcnt vmcnt(57) lgkmcnt(1)
	v_mul_f64 v[120:121], v[5:6], v[19:20]
	v_mul_f64 v[19:20], v[7:8], v[19:20]
	s_waitcnt vmcnt(56)
	v_fma_f64 v[105:106], v[9:10], v[122:123], -v[105:106]
	v_add_f64 v[15:16], v[15:16], v[33:34]
	v_fma_f64 v[33:34], v[11:12], v[122:123], v[109:110]
	v_add_f64 v[13:14], v[13:14], v[27:28]
	s_clause 0x2
	buffer_load_dword v114, off, s[0:3], 0 offset:668
	buffer_load_dword v28, off, s[0:3], 0 offset:644
	buffer_load_dword v27, off, s[0:3], 0 offset:640
	ds_read_b128 v[9:12], v70 offset:1376
	s_waitcnt vmcnt(58) lgkmcnt(1)
	v_mul_f64 v[109:110], v[1:2], v[37:38]
	v_mul_f64 v[37:38], v[3:4], v[37:38]
	s_waitcnt vmcnt(56)
	v_fma_f64 v[19:20], v[5:6], v[25:26], -v[19:20]
	v_fma_f64 v[25:26], v[7:8], v[25:26], v[120:121]
	v_add_f64 v[15:16], v[15:16], v[105:106]
	v_add_f64 v[13:14], v[13:14], v[33:34]
	s_clause 0x4
	buffer_load_dword v34, off, s[0:3], 0 offset:684
	buffer_load_dword v105, off, s[0:3], 0 offset:696
	;; [unrolled: 1-line block ×5, first 2 shown]
	ds_read_b128 v[5:8], v70 offset:1392
	s_waitcnt vmcnt(57) lgkmcnt(1)
	v_mul_f64 v[122:123], v[9:10], v[23:24]
	v_mul_f64 v[23:24], v[11:12], v[23:24]
	s_waitcnt vmcnt(56)
	v_fma_f64 v[37:38], v[1:2], v[117:118], -v[37:38]
	v_add_f64 v[15:16], v[15:16], v[19:20]
	v_fma_f64 v[19:20], v[3:4], v[117:118], v[109:110]
	v_add_f64 v[13:14], v[13:14], v[25:26]
	s_clause 0x2
	buffer_load_dword v106, off, s[0:3], 0 offset:700
	buffer_load_dword v26, off, s[0:3], 0 offset:676
	;; [unrolled: 1-line block ×3, first 2 shown]
	s_waitcnt vmcnt(58) lgkmcnt(0)
	v_mul_f64 v[109:110], v[5:6], v[45:46]
	v_mul_f64 v[45:46], v[7:8], v[45:46]
	ds_read_b128 v[1:4], v70 offset:1408
	s_waitcnt vmcnt(56)
	v_fma_f64 v[23:24], v[9:10], v[31:32], -v[23:24]
	v_fma_f64 v[31:32], v[11:12], v[31:32], v[122:123]
	v_add_f64 v[15:16], v[15:16], v[37:38]
	v_add_f64 v[13:14], v[13:14], v[19:20]
	s_clause 0x4
	buffer_load_dword v20, off, s[0:3], 0 offset:716
	buffer_load_dword v37, off, s[0:3], 0 offset:728
	;; [unrolled: 1-line block ×5, first 2 shown]
	ds_read_b128 v[9:12], v70 offset:1424
	s_waitcnt vmcnt(57) lgkmcnt(1)
	v_mul_f64 v[123:124], v[1:2], v[29:30]
	v_mul_f64 v[29:30], v[3:4], v[29:30]
	s_waitcnt vmcnt(56)
	v_fma_f64 v[45:46], v[5:6], v[71:72], -v[45:46]
	v_add_f64 v[15:16], v[15:16], v[23:24]
	v_fma_f64 v[23:24], v[7:8], v[71:72], v[109:110]
	v_add_f64 v[13:14], v[13:14], v[31:32]
	s_clause 0x2
	buffer_load_dword v38, off, s[0:3], 0 offset:732
	buffer_load_dword v32, off, s[0:3], 0 offset:708
	;; [unrolled: 1-line block ×3, first 2 shown]
	s_waitcnt vmcnt(58) lgkmcnt(0)
	v_mul_f64 v[71:72], v[9:10], v[51:52]
	v_mul_f64 v[51:52], v[11:12], v[51:52]
	ds_read_b128 v[5:8], v70 offset:1440
	s_waitcnt vmcnt(56)
	v_fma_f64 v[29:30], v[1:2], v[41:42], -v[29:30]
	v_fma_f64 v[41:42], v[3:4], v[41:42], v[123:124]
	v_add_f64 v[15:16], v[15:16], v[45:46]
	v_add_f64 v[13:14], v[13:14], v[23:24]
	s_clause 0x4
	buffer_load_dword v24, off, s[0:3], 0 offset:748
	buffer_load_dword v45, off, s[0:3], 0 offset:760
	buffer_load_dword v109, off, s[0:3], 0 offset:752
	buffer_load_dword v23, off, s[0:3], 0 offset:744
	buffer_load_dword v118, off, s[0:3], 0 offset:724
	ds_read_b128 v[1:4], v70 offset:1456
	s_waitcnt vmcnt(57) lgkmcnt(1)
	v_mul_f64 v[123:124], v[5:6], v[35:36]
	v_mul_f64 v[35:36], v[7:8], v[35:36]
	s_waitcnt vmcnt(56)
	v_fma_f64 v[51:52], v[9:10], v[53:54], -v[51:52]
	v_add_f64 v[15:16], v[15:16], v[29:30]
	v_fma_f64 v[29:30], v[11:12], v[53:54], v[71:72]
	v_add_f64 v[13:14], v[13:14], v[41:42]
	s_clause 0x2
	buffer_load_dword v46, off, s[0:3], 0 offset:764
	buffer_load_dword v42, off, s[0:3], 0 offset:740
	buffer_load_dword v41, off, s[0:3], 0 offset:736
	ds_read_b128 v[9:12], v70 offset:1472
	s_waitcnt vmcnt(58) lgkmcnt(1)
	v_mul_f64 v[53:54], v[1:2], v[59:60]
	v_mul_f64 v[59:60], v[3:4], v[59:60]
	s_waitcnt vmcnt(56)
	v_fma_f64 v[35:36], v[5:6], v[39:40], -v[35:36]
	v_fma_f64 v[39:40], v[7:8], v[39:40], v[123:124]
	v_add_f64 v[15:16], v[15:16], v[51:52]
	v_add_f64 v[13:14], v[13:14], v[29:30]
	s_clause 0x4
	buffer_load_dword v30, off, s[0:3], 0 offset:780
	buffer_load_dword v51, off, s[0:3], 0 offset:792
	buffer_load_dword v71, off, s[0:3], 0 offset:784
	buffer_load_dword v29, off, s[0:3], 0 offset:776
	buffer_load_dword v110, off, s[0:3], 0 offset:756
	ds_read_b128 v[5:8], v70 offset:1488
	s_waitcnt vmcnt(57) lgkmcnt(1)
	v_mul_f64 v[123:124], v[9:10], v[43:44]
	v_mul_f64 v[43:44], v[11:12], v[43:44]
	s_waitcnt vmcnt(56)
	v_fma_f64 v[59:60], v[1:2], v[61:62], -v[59:60]
	v_add_f64 v[15:16], v[15:16], v[35:36]
	v_fma_f64 v[35:36], v[3:4], v[61:62], v[53:54]
	v_add_f64 v[13:14], v[13:14], v[39:40]
	s_clause 0x2
	buffer_load_dword v52, off, s[0:3], 0 offset:796
	buffer_load_dword v40, off, s[0:3], 0 offset:772
	buffer_load_dword v39, off, s[0:3], 0 offset:768
	ds_read_b128 v[1:4], v70 offset:1504
	s_waitcnt vmcnt(58) lgkmcnt(1)
	v_mul_f64 v[61:62], v[7:8], v[65:66]
	v_mul_f64 v[53:54], v[5:6], v[65:66]
	;; [unrolled: 28-line block ×4, first 2 shown]
	s_waitcnt vmcnt(56)
	v_fma_f64 v[57:58], v[5:6], v[63:64], -v[57:58]
	v_add_f64 v[15:16], v[15:16], v[55:56]
	v_fma_f64 v[55:56], v[7:8], v[63:64], v[123:124]
	v_add_f64 v[13:14], v[13:14], v[49:50]
	s_clause 0x4
	buffer_load_dword v50, off, s[0:3], 0 offset:876
	buffer_load_dword v63, off, s[0:3], 0 offset:888
	;; [unrolled: 1-line block ×5, first 2 shown]
	ds_read_b128 v[5:8], v70 offset:1584
	s_waitcnt vmcnt(57) lgkmcnt(1)
	v_mul_f64 v[123:124], v[9:10], v[21:22]
	v_mul_f64 v[21:22], v[11:12], v[21:22]
	s_waitcnt vmcnt(56)
	v_fma_f64 v[107:108], v[1:2], v[115:116], -v[107:108]
	v_fma_f64 v[53:54], v[3:4], v[115:116], v[53:54]
	v_add_f64 v[15:16], v[15:16], v[57:58]
	v_add_f64 v[13:14], v[13:14], v[55:56]
	s_clause 0x2
	buffer_load_dword v64, off, s[0:3], 0 offset:892
	buffer_load_dword v56, off, s[0:3], 0 offset:868
	;; [unrolled: 1-line block ×3, first 2 shown]
	ds_read_b128 v[1:4], v70 offset:1600
	s_waitcnt vmcnt(58) lgkmcnt(1)
	v_mul_f64 v[57:58], v[5:6], v[113:114]
	v_mul_f64 v[113:114], v[7:8], v[113:114]
	s_waitcnt vmcnt(56)
	v_fma_f64 v[21:22], v[9:10], v[27:28], -v[21:22]
	v_fma_f64 v[27:28], v[11:12], v[27:28], v[123:124]
	v_add_f64 v[15:16], v[15:16], v[107:108]
	v_add_f64 v[13:14], v[13:14], v[53:54]
	s_clause 0x4
	buffer_load_dword v54, off, s[0:3], 0 offset:908
	buffer_load_dword v107, off, s[0:3], 0 offset:920
	;; [unrolled: 1-line block ×5, first 2 shown]
	ds_read_b128 v[9:12], v70 offset:1616
	s_waitcnt vmcnt(57) lgkmcnt(1)
	v_mul_f64 v[123:124], v[1:2], v[33:34]
	v_mul_f64 v[33:34], v[3:4], v[33:34]
	s_waitcnt vmcnt(56)
	v_fma_f64 v[113:114], v[5:6], v[119:120], -v[113:114]
	v_add_f64 v[15:16], v[15:16], v[21:22]
	v_fma_f64 v[21:22], v[7:8], v[119:120], v[57:58]
	v_add_f64 v[13:14], v[13:14], v[27:28]
	s_clause 0x2
	buffer_load_dword v108, off, s[0:3], 0 offset:924
	buffer_load_dword v28, off, s[0:3], 0 offset:900
	;; [unrolled: 1-line block ×3, first 2 shown]
	ds_read_b128 v[5:8], v70 offset:1632
	s_waitcnt vmcnt(58) lgkmcnt(1)
	v_mul_f64 v[57:58], v[9:10], v[105:106]
	v_mul_f64 v[105:106], v[11:12], v[105:106]
	s_waitcnt vmcnt(56)
	v_fma_f64 v[33:34], v[1:2], v[25:26], -v[33:34]
	v_fma_f64 v[25:26], v[3:4], v[25:26], v[123:124]
	v_add_f64 v[15:16], v[15:16], v[113:114]
	v_add_f64 v[13:14], v[13:14], v[21:22]
	s_clause 0x4
	buffer_load_dword v22, off, s[0:3], 0 offset:940
	buffer_load_dword v113, off, s[0:3], 0 offset:952
	;; [unrolled: 1-line block ×5, first 2 shown]
	ds_read_b128 v[1:4], v70 offset:1648
	s_waitcnt vmcnt(57) lgkmcnt(1)
	v_mul_f64 v[123:124], v[5:6], v[19:20]
	v_mul_f64 v[19:20], v[7:8], v[19:20]
	s_waitcnt vmcnt(56)
	v_fma_f64 v[105:106], v[9:10], v[121:122], -v[105:106]
	v_add_f64 v[15:16], v[15:16], v[33:34]
	v_fma_f64 v[33:34], v[11:12], v[121:122], v[57:58]
	v_add_f64 v[13:14], v[13:14], v[25:26]
	s_clause 0x2
	buffer_load_dword v114, off, s[0:3], 0 offset:956
	buffer_load_dword v26, off, s[0:3], 0 offset:932
	;; [unrolled: 1-line block ×3, first 2 shown]
	ds_read_b128 v[9:12], v70 offset:1664
	buffer_load_dword v120, off, s[0:3], 0 offset:948
	s_waitcnt vmcnt(59) lgkmcnt(1)
	v_mul_f64 v[57:58], v[1:2], v[37:38]
	v_mul_f64 v[37:38], v[3:4], v[37:38]
	s_waitcnt vmcnt(57)
	v_fma_f64 v[19:20], v[5:6], v[31:32], -v[19:20]
	v_fma_f64 v[31:32], v[7:8], v[31:32], v[123:124]
	ds_read_b128 v[5:8], v70 offset:1680
	v_add_f64 v[15:16], v[15:16], v[105:106]
	v_add_f64 v[13:14], v[13:14], v[33:34]
	s_waitcnt vmcnt(53) lgkmcnt(1)
	v_mul_f64 v[33:34], v[9:10], v[23:24]
	v_mul_f64 v[23:24], v[11:12], v[23:24]
	s_waitcnt vmcnt(52)
	v_fma_f64 v[37:38], v[1:2], v[117:118], -v[37:38]
	v_add_f64 v[15:16], v[15:16], v[19:20]
	v_fma_f64 v[19:20], v[3:4], v[117:118], v[57:58]
	v_add_f64 v[13:14], v[13:14], v[31:32]
	ds_read_b128 v[1:4], v70 offset:1696
	s_waitcnt vmcnt(51) lgkmcnt(1)
	v_mul_f64 v[31:32], v[5:6], v[45:46]
	v_mul_f64 v[45:46], v[7:8], v[45:46]
	s_waitcnt vmcnt(49)
	v_fma_f64 v[23:24], v[9:10], v[41:42], -v[23:24]
	v_fma_f64 v[33:34], v[11:12], v[41:42], v[33:34]
	v_add_f64 v[15:16], v[15:16], v[37:38]
	v_add_f64 v[13:14], v[13:14], v[19:20]
	s_clause 0x3
	buffer_load_dword v19, off, s[0:3], 0 offset:64
	buffer_load_dword v20, off, s[0:3], 0 offset:68
	;; [unrolled: 1-line block ×4, first 2 shown]
	ds_read_b128 v[9:12], v70 offset:1712
	s_waitcnt vmcnt(49) lgkmcnt(1)
	v_mul_f64 v[41:42], v[1:2], v[29:30]
	v_mul_f64 v[29:30], v[3:4], v[29:30]
	s_waitcnt vmcnt(48)
	v_fma_f64 v[45:46], v[5:6], v[109:110], -v[45:46]
	v_add_f64 v[15:16], v[15:16], v[23:24]
	v_fma_f64 v[23:24], v[7:8], v[109:110], v[31:32]
	v_add_f64 v[13:14], v[13:14], v[33:34]
	ds_read_b128 v[5:8], v70 offset:1728
	s_waitcnt vmcnt(47) lgkmcnt(1)
	v_mul_f64 v[33:34], v[11:12], v[51:52]
	v_mul_f64 v[31:32], v[9:10], v[51:52]
	s_waitcnt vmcnt(45)
	v_fma_f64 v[29:30], v[1:2], v[39:40], -v[29:30]
	v_fma_f64 v[39:40], v[3:4], v[39:40], v[41:42]
	ds_read_b128 v[1:4], v70 offset:1744
	v_add_f64 v[15:16], v[15:16], v[45:46]
	v_add_f64 v[13:14], v[13:14], v[23:24]
	s_waitcnt vmcnt(41) lgkmcnt(1)
	v_mul_f64 v[23:24], v[5:6], v[35:36]
	v_mul_f64 v[35:36], v[7:8], v[35:36]
	s_waitcnt vmcnt(40)
	v_fma_f64 v[33:34], v[9:10], v[71:72], -v[33:34]
	v_add_f64 v[15:16], v[15:16], v[29:30]
	v_fma_f64 v[29:30], v[11:12], v[71:72], v[31:32]
	v_add_f64 v[13:14], v[13:14], v[39:40]
	ds_read_b128 v[9:12], v70 offset:1760
	s_waitcnt vmcnt(39) lgkmcnt(1)
	v_mul_f64 v[39:40], v[3:4], v[59:60]
	v_mul_f64 v[31:32], v[1:2], v[59:60]
	s_waitcnt vmcnt(37)
	v_fma_f64 v[35:36], v[5:6], v[47:48], -v[35:36]
	v_fma_f64 v[23:24], v[7:8], v[47:48], v[23:24]
	ds_read_b128 v[5:8], v70 offset:1776
	v_add_f64 v[15:16], v[15:16], v[33:34]
	v_add_f64 v[13:14], v[13:14], v[29:30]
	s_waitcnt vmcnt(33) lgkmcnt(1)
	v_mul_f64 v[33:34], v[11:12], v[43:44]
	s_waitcnt vmcnt(32)
	v_fma_f64 v[39:40], v[1:2], v[65:66], -v[39:40]
	v_mul_f64 v[29:30], v[9:10], v[43:44]
	v_fma_f64 v[31:32], v[3:4], v[65:66], v[31:32]
	ds_read_b128 v[1:4], v70 offset:1792
	v_add_f64 v[15:16], v[15:16], v[35:36]
	v_add_f64 v[13:14], v[13:14], v[23:24]
	s_waitcnt vmcnt(31) lgkmcnt(1)
	v_mul_f64 v[35:36], v[7:8], v[61:62]
	v_mul_f64 v[23:24], v[5:6], v[61:62]
	s_waitcnt vmcnt(29)
	v_fma_f64 v[33:34], v[9:10], v[17:18], -v[33:34]
	v_fma_f64 v[17:18], v[11:12], v[17:18], v[29:30]
	ds_read_b128 v[9:12], v70 offset:1808
	v_add_f64 v[15:16], v[15:16], v[39:40]
	v_add_f64 v[13:14], v[13:14], v[31:32]
	s_waitcnt vmcnt(25) lgkmcnt(1)
	v_mul_f64 v[31:32], v[3:4], v[49:50]
	s_waitcnt vmcnt(24)
	v_fma_f64 v[35:36], v[5:6], v[67:68], -v[35:36]
	v_mul_f64 v[29:30], v[1:2], v[49:50]
	v_fma_f64 v[23:24], v[7:8], v[67:68], v[23:24]
	ds_read_b128 v[5:8], v70 offset:1824
	v_add_f64 v[15:16], v[15:16], v[33:34]
	v_add_f64 v[13:14], v[13:14], v[17:18]
	;; [unrolled: 18-line block ×3, first 2 shown]
	s_waitcnt vmcnt(15) lgkmcnt(1)
	v_mul_f64 v[31:32], v[3:4], v[107:108]
	v_mul_f64 v[29:30], v[1:2], v[107:108]
	s_waitcnt vmcnt(13)
	v_fma_f64 v[35:36], v[5:6], v[27:28], -v[35:36]
	v_fma_f64 v[23:24], v[7:8], v[27:28], v[23:24]
	ds_read_b128 v[5:8], v70 offset:1872
	v_add_f64 v[15:16], v[15:16], v[33:34]
	v_add_f64 v[13:14], v[13:14], v[17:18]
	s_waitcnt vmcnt(9) lgkmcnt(1)
	v_mul_f64 v[17:18], v[9:10], v[21:22]
	v_mul_f64 v[21:22], v[11:12], v[21:22]
	s_waitcnt vmcnt(8)
	v_fma_f64 v[1:2], v[1:2], v[115:116], -v[31:32]
	v_fma_f64 v[3:4], v[3:4], v[115:116], v[29:30]
	v_add_f64 v[15:16], v[15:16], v[35:36]
	v_add_f64 v[13:14], v[13:14], v[23:24]
	s_waitcnt vmcnt(7) lgkmcnt(0)
	v_mul_f64 v[27:28], v[7:8], v[113:114]
	v_mul_f64 v[23:24], v[5:6], v[113:114]
	s_waitcnt vmcnt(5)
	v_fma_f64 v[9:10], v[9:10], v[25:26], -v[21:22]
	v_fma_f64 v[11:12], v[11:12], v[25:26], v[17:18]
	v_add_f64 v[1:2], v[15:16], v[1:2]
	v_add_f64 v[3:4], v[13:14], v[3:4]
	s_waitcnt vmcnt(4)
	v_fma_f64 v[5:6], v[5:6], v[119:120], -v[27:28]
	v_fma_f64 v[7:8], v[7:8], v[119:120], v[23:24]
	v_add_f64 v[1:2], v[1:2], v[9:10]
	v_add_f64 v[3:4], v[3:4], v[11:12]
	;; [unrolled: 1-line block ×4, first 2 shown]
	s_waitcnt vmcnt(2)
	v_add_f64 v[1:2], v[19:20], -v[1:2]
	s_waitcnt vmcnt(0)
	v_add_f64 v[3:4], v[37:38], -v[3:4]
	buffer_store_dword v2, off, s[0:3], 0 offset:68
	buffer_store_dword v1, off, s[0:3], 0 offset:64
	;; [unrolled: 1-line block ×4, first 2 shown]
	v_cmpx_lt_u32_e32 2, v0
	s_cbranch_execz .LBB58_363
; %bb.362:
	v_mov_b32_e32 v4, s69
	s_clause 0x3
	buffer_load_dword v1, v4, s[0:3], 0 offen
	buffer_load_dword v2, v4, s[0:3], 0 offen offset:4
	buffer_load_dword v3, v4, s[0:3], 0 offen offset:8
	;; [unrolled: 1-line block ×3, first 2 shown]
	buffer_store_dword v70, off, s[0:3], 0 offset:48
	buffer_store_dword v70, off, s[0:3], 0 offset:52
	;; [unrolled: 1-line block ×4, first 2 shown]
	s_waitcnt vmcnt(0)
	ds_write_b128 v69, v[1:4]
.LBB58_363:
	s_or_b32 exec_lo, exec_lo, s4
	s_waitcnt lgkmcnt(0)
	s_waitcnt_vscnt null, 0x0
	s_barrier
	buffer_gl0_inv
	s_clause 0x37
	buffer_load_dword v17, off, s[0:3], 0 offset:72
	buffer_load_dword v18, off, s[0:3], 0 offset:76
	;; [unrolled: 1-line block ×56, first 2 shown]
	ds_read_b128 v[5:8], v70 offset:992
	s_clause 0x2
	buffer_load_dword v66, off, s[0:3], 0 offset:300
	buffer_load_dword v68, off, s[0:3], 0 offset:276
	;; [unrolled: 1-line block ×3, first 2 shown]
	ds_read_b128 v[1:4], v70 offset:1008
	s_clause 0x4
	buffer_load_dword v110, off, s[0:3], 0 offset:316
	buffer_load_dword v111, off, s[0:3], 0 offset:328
	;; [unrolled: 1-line block ×5, first 2 shown]
	ds_read_b128 v[105:108], v70 offset:1024
	s_mov_b32 s4, exec_lo
	s_waitcnt vmcnt(62) lgkmcnt(2)
	v_mul_f64 v[71:72], v[7:8], v[17:18]
	v_mul_f64 v[17:18], v[5:6], v[17:18]
	s_waitcnt vmcnt(60) lgkmcnt(1)
	v_mul_f64 v[114:115], v[3:4], v[13:14]
	v_mul_f64 v[13:14], v[1:2], v[13:14]
	;; [unrolled: 3-line block ×3, first 2 shown]
	v_fma_f64 v[71:72], v[5:6], v[15:16], -v[71:72]
	v_fma_f64 v[15:16], v[7:8], v[15:16], v[17:18]
	s_clause 0x2
	buffer_load_dword v112, off, s[0:3], 0 offset:332
	buffer_load_dword v18, off, s[0:3], 0 offset:308
	;; [unrolled: 1-line block ×3, first 2 shown]
	s_waitcnt vmcnt(57)
	v_fma_f64 v[118:119], v[1:2], v[9:10], -v[114:115]
	ds_read_b128 v[5:8], v70 offset:1040
	v_fma_f64 v[9:10], v[3:4], v[9:10], v[13:14]
	s_waitcnt vmcnt(51)
	v_fma_f64 v[105:106], v[105:106], v[33:34], -v[11:12]
	v_fma_f64 v[33:34], v[107:108], v[33:34], v[116:117]
	v_add_f64 v[71:72], v[71:72], 0
	v_add_f64 v[13:14], v[15:16], 0
	s_clause 0x4
	buffer_load_dword v16, off, s[0:3], 0 offset:348
	buffer_load_dword v115, off, s[0:3], 0 offset:360
	;; [unrolled: 1-line block ×5, first 2 shown]
	s_waitcnt lgkmcnt(0)
	v_mul_f64 v[121:122], v[5:6], v[21:22]
	v_mul_f64 v[21:22], v[7:8], v[21:22]
	ds_read_b128 v[1:4], v70 offset:1056
	s_clause 0x2
	buffer_load_dword v116, off, s[0:3], 0 offset:364
	buffer_load_dword v108, off, s[0:3], 0 offset:340
	;; [unrolled: 1-line block ×3, first 2 shown]
	v_add_f64 v[71:72], v[71:72], v[118:119]
	v_add_f64 v[13:14], v[13:14], v[9:10]
	ds_read_b128 v[9:12], v70 offset:1072
	s_waitcnt vmcnt(58) lgkmcnt(1)
	v_mul_f64 v[117:118], v[1:2], v[25:26]
	v_mul_f64 v[25:26], v[3:4], v[25:26]
	s_waitcnt vmcnt(56)
	v_fma_f64 v[21:22], v[5:6], v[27:28], -v[21:22]
	v_fma_f64 v[27:28], v[7:8], v[27:28], v[121:122]
	s_waitcnt vmcnt(52) lgkmcnt(0)
	v_mul_f64 v[123:124], v[9:10], v[29:30]
	v_add_f64 v[71:72], v[71:72], v[105:106]
	v_add_f64 v[13:14], v[13:14], v[33:34]
	s_clause 0x4
	buffer_load_dword v34, off, s[0:3], 0 offset:380
	buffer_load_dword v105, off, s[0:3], 0 offset:392
	;; [unrolled: 1-line block ×5, first 2 shown]
	v_mul_f64 v[29:30], v[11:12], v[29:30]
	s_waitcnt vmcnt(56)
	v_fma_f64 v[25:26], v[1:2], v[19:20], -v[25:26]
	ds_read_b128 v[5:8], v70 offset:1088
	v_fma_f64 v[19:20], v[3:4], v[19:20], v[117:118]
	v_add_f64 v[21:22], v[71:72], v[21:22]
	v_add_f64 v[13:14], v[13:14], v[27:28]
	s_clause 0x2
	buffer_load_dword v106, off, s[0:3], 0 offset:396
	buffer_load_dword v28, off, s[0:3], 0 offset:372
	;; [unrolled: 1-line block ×3, first 2 shown]
	s_waitcnt vmcnt(58) lgkmcnt(0)
	v_mul_f64 v[71:72], v[5:6], v[35:36]
	v_mul_f64 v[35:36], v[7:8], v[35:36]
	s_waitcnt vmcnt(56)
	v_fma_f64 v[29:30], v[9:10], v[37:38], -v[29:30]
	ds_read_b128 v[1:4], v70 offset:1104
	v_add_f64 v[21:22], v[21:22], v[25:26]
	v_fma_f64 v[25:26], v[11:12], v[37:38], v[123:124]
	v_add_f64 v[13:14], v[13:14], v[19:20]
	s_clause 0x4
	buffer_load_dword v20, off, s[0:3], 0 offset:412
	buffer_load_dword v37, off, s[0:3], 0 offset:424
	;; [unrolled: 1-line block ×5, first 2 shown]
	s_waitcnt vmcnt(57) lgkmcnt(0)
	v_mul_f64 v[118:119], v[1:2], v[39:40]
	v_mul_f64 v[39:40], v[3:4], v[39:40]
	s_waitcnt vmcnt(56)
	v_fma_f64 v[35:36], v[5:6], v[23:24], -v[35:36]
	ds_read_b128 v[9:12], v70 offset:1120
	v_fma_f64 v[23:24], v[7:8], v[23:24], v[71:72]
	v_add_f64 v[21:22], v[21:22], v[29:30]
	v_add_f64 v[13:14], v[13:14], v[25:26]
	s_clause 0x2
	buffer_load_dword v38, off, s[0:3], 0 offset:428
	buffer_load_dword v26, off, s[0:3], 0 offset:404
	;; [unrolled: 1-line block ×3, first 2 shown]
	ds_read_b128 v[5:8], v70 offset:1136
	s_waitcnt vmcnt(58) lgkmcnt(1)
	v_mul_f64 v[29:30], v[9:10], v[43:44]
	v_mul_f64 v[43:44], v[11:12], v[43:44]
	s_waitcnt vmcnt(56)
	v_fma_f64 v[39:40], v[1:2], v[45:46], -v[39:40]
	v_add_f64 v[21:22], v[21:22], v[35:36]
	v_fma_f64 v[35:36], v[3:4], v[45:46], v[118:119]
	v_add_f64 v[13:14], v[13:14], v[23:24]
	s_clause 0x4
	buffer_load_dword v24, off, s[0:3], 0 offset:444
	buffer_load_dword v45, off, s[0:3], 0 offset:456
	;; [unrolled: 1-line block ×5, first 2 shown]
	s_waitcnt vmcnt(57) lgkmcnt(0)
	v_mul_f64 v[124:125], v[5:6], v[47:48]
	v_mul_f64 v[47:48], v[7:8], v[47:48]
	s_waitcnt vmcnt(56)
	v_fma_f64 v[43:44], v[9:10], v[31:32], -v[43:44]
	ds_read_b128 v[1:4], v70 offset:1152
	v_fma_f64 v[29:30], v[11:12], v[31:32], v[29:30]
	s_clause 0x2
	buffer_load_dword v46, off, s[0:3], 0 offset:460
	buffer_load_dword v32, off, s[0:3], 0 offset:436
	;; [unrolled: 1-line block ×3, first 2 shown]
	ds_read_b128 v[9:12], v70 offset:1168
	v_add_f64 v[21:22], v[21:22], v[39:40]
	v_add_f64 v[13:14], v[13:14], v[35:36]
	s_waitcnt vmcnt(58) lgkmcnt(1)
	v_mul_f64 v[39:40], v[3:4], v[51:52]
	s_waitcnt vmcnt(56)
	v_fma_f64 v[47:48], v[5:6], v[53:54], -v[47:48]
	v_mul_f64 v[35:36], v[1:2], v[51:52]
	v_add_f64 v[21:22], v[21:22], v[43:44]
	v_fma_f64 v[43:44], v[7:8], v[53:54], v[124:125]
	v_add_f64 v[13:14], v[13:14], v[29:30]
	s_clause 0x4
	buffer_load_dword v30, off, s[0:3], 0 offset:476
	buffer_load_dword v51, off, s[0:3], 0 offset:488
	;; [unrolled: 1-line block ×5, first 2 shown]
	s_waitcnt vmcnt(57) lgkmcnt(0)
	v_mul_f64 v[124:125], v[9:10], v[55:56]
	v_mul_f64 v[54:55], v[11:12], v[55:56]
	s_waitcnt vmcnt(56)
	v_fma_f64 v[39:40], v[1:2], v[41:42], -v[39:40]
	ds_read_b128 v[5:8], v70 offset:1184
	v_fma_f64 v[35:36], v[3:4], v[41:42], v[35:36]
	s_clause 0x2
	buffer_load_dword v52, off, s[0:3], 0 offset:492
	buffer_load_dword v42, off, s[0:3], 0 offset:468
	;; [unrolled: 1-line block ×3, first 2 shown]
	ds_read_b128 v[1:4], v70 offset:1200
	v_add_f64 v[21:22], v[21:22], v[47:48]
	v_add_f64 v[13:14], v[13:14], v[43:44]
	s_waitcnt vmcnt(58) lgkmcnt(1)
	v_mul_f64 v[47:48], v[7:8], v[59:60]
	s_waitcnt vmcnt(56)
	v_fma_f64 v[55:56], v[9:10], v[61:62], -v[54:55]
	v_mul_f64 v[43:44], v[5:6], v[59:60]
	v_add_f64 v[21:22], v[21:22], v[39:40]
	v_fma_f64 v[39:40], v[11:12], v[61:62], v[124:125]
	v_add_f64 v[13:14], v[13:14], v[35:36]
	s_clause 0x4
	buffer_load_dword v36, off, s[0:3], 0 offset:508
	buffer_load_dword v59, off, s[0:3], 0 offset:520
	;; [unrolled: 1-line block ×5, first 2 shown]
	s_waitcnt vmcnt(57) lgkmcnt(0)
	v_mul_f64 v[124:125], v[1:2], v[63:64]
	v_mul_f64 v[62:63], v[3:4], v[63:64]
	s_waitcnt vmcnt(56)
	v_fma_f64 v[47:48], v[5:6], v[49:50], -v[47:48]
	ds_read_b128 v[9:12], v70 offset:1216
	v_fma_f64 v[43:44], v[7:8], v[49:50], v[43:44]
	v_add_f64 v[21:22], v[21:22], v[55:56]
	v_add_f64 v[13:14], v[13:14], v[39:40]
	s_clause 0x2
	buffer_load_dword v60, off, s[0:3], 0 offset:524
	buffer_load_dword v40, off, s[0:3], 0 offset:500
	;; [unrolled: 1-line block ×3, first 2 shown]
	ds_read_b128 v[5:8], v70 offset:1232
	s_waitcnt vmcnt(58) lgkmcnt(1)
	v_mul_f64 v[55:56], v[11:12], v[65:66]
	s_waitcnt vmcnt(56)
	v_fma_f64 v[63:64], v[1:2], v[67:68], -v[62:63]
	v_mul_f64 v[49:50], v[9:10], v[65:66]
	v_add_f64 v[21:22], v[21:22], v[47:48]
	v_fma_f64 v[47:48], v[3:4], v[67:68], v[124:125]
	v_add_f64 v[13:14], v[13:14], v[43:44]
	s_clause 0x4
	buffer_load_dword v44, off, s[0:3], 0 offset:540
	buffer_load_dword v65, off, s[0:3], 0 offset:552
	;; [unrolled: 1-line block ×5, first 2 shown]
	s_waitcnt vmcnt(57) lgkmcnt(0)
	v_mul_f64 v[124:125], v[5:6], v[109:110]
	v_mul_f64 v[109:110], v[7:8], v[109:110]
	s_waitcnt vmcnt(56)
	v_fma_f64 v[55:56], v[9:10], v[57:58], -v[55:56]
	ds_read_b128 v[1:4], v70 offset:1248
	v_fma_f64 v[49:50], v[11:12], v[57:58], v[49:50]
	v_add_f64 v[21:22], v[21:22], v[63:64]
	v_add_f64 v[13:14], v[13:14], v[47:48]
	s_clause 0x2
	buffer_load_dword v66, off, s[0:3], 0 offset:556
	buffer_load_dword v48, off, s[0:3], 0 offset:532
	;; [unrolled: 1-line block ×3, first 2 shown]
	ds_read_b128 v[9:12], v70 offset:1264
	s_waitcnt vmcnt(58) lgkmcnt(1)
	v_mul_f64 v[63:64], v[3:4], v[111:112]
	v_mul_f64 v[57:58], v[1:2], v[111:112]
	s_waitcnt vmcnt(56)
	v_fma_f64 v[109:110], v[5:6], v[17:18], -v[109:110]
	v_fma_f64 v[17:18], v[7:8], v[17:18], v[124:125]
	v_add_f64 v[21:22], v[21:22], v[55:56]
	v_add_f64 v[13:14], v[13:14], v[49:50]
	s_clause 0x4
	buffer_load_dword v50, off, s[0:3], 0 offset:572
	buffer_load_dword v55, off, s[0:3], 0 offset:584
	;; [unrolled: 1-line block ×5, first 2 shown]
	ds_read_b128 v[5:8], v70 offset:1280
	s_waitcnt vmcnt(57) lgkmcnt(1)
	v_mul_f64 v[124:125], v[9:10], v[15:16]
	v_mul_f64 v[15:16], v[11:12], v[15:16]
	s_waitcnt vmcnt(56)
	v_fma_f64 v[63:64], v[1:2], v[113:114], -v[63:64]
	v_fma_f64 v[57:58], v[3:4], v[113:114], v[57:58]
	v_add_f64 v[21:22], v[21:22], v[109:110]
	v_add_f64 v[13:14], v[13:14], v[17:18]
	s_clause 0x2
	buffer_load_dword v56, off, s[0:3], 0 offset:588
	buffer_load_dword v18, off, s[0:3], 0 offset:564
	;; [unrolled: 1-line block ×3, first 2 shown]
	s_waitcnt vmcnt(58) lgkmcnt(0)
	v_mul_f64 v[113:114], v[7:8], v[115:116]
	ds_read_b128 v[1:4], v70 offset:1296
	v_mul_f64 v[109:110], v[5:6], v[115:116]
	s_waitcnt vmcnt(56)
	v_fma_f64 v[15:16], v[9:10], v[107:108], -v[15:16]
	v_add_f64 v[21:22], v[21:22], v[63:64]
	v_fma_f64 v[63:64], v[11:12], v[107:108], v[124:125]
	v_add_f64 v[13:14], v[13:14], v[57:58]
	s_clause 0x4
	buffer_load_dword v58, off, s[0:3], 0 offset:604
	buffer_load_dword v107, off, s[0:3], 0 offset:616
	;; [unrolled: 1-line block ×5, first 2 shown]
	ds_read_b128 v[9:12], v70 offset:1312
	s_waitcnt vmcnt(57) lgkmcnt(1)
	v_mul_f64 v[124:125], v[1:2], v[33:34]
	v_mul_f64 v[33:34], v[3:4], v[33:34]
	s_waitcnt vmcnt(56)
	v_fma_f64 v[113:114], v[5:6], v[120:121], -v[113:114]
	v_add_f64 v[15:16], v[21:22], v[15:16]
	v_fma_f64 v[21:22], v[7:8], v[120:121], v[109:110]
	v_add_f64 v[13:14], v[13:14], v[63:64]
	s_clause 0x2
	buffer_load_dword v108, off, s[0:3], 0 offset:620
	buffer_load_dword v64, off, s[0:3], 0 offset:596
	;; [unrolled: 1-line block ×3, first 2 shown]
	ds_read_b128 v[5:8], v70 offset:1328
	s_waitcnt vmcnt(58) lgkmcnt(1)
	v_mul_f64 v[109:110], v[9:10], v[105:106]
	v_mul_f64 v[105:106], v[11:12], v[105:106]
	s_waitcnt vmcnt(56)
	v_fma_f64 v[33:34], v[1:2], v[27:28], -v[33:34]
	v_fma_f64 v[27:28], v[3:4], v[27:28], v[124:125]
	v_add_f64 v[15:16], v[15:16], v[113:114]
	v_add_f64 v[13:14], v[13:14], v[21:22]
	s_clause 0x4
	buffer_load_dword v22, off, s[0:3], 0 offset:636
	buffer_load_dword v113, off, s[0:3], 0 offset:648
	;; [unrolled: 1-line block ×5, first 2 shown]
	ds_read_b128 v[1:4], v70 offset:1344
	s_waitcnt vmcnt(57) lgkmcnt(1)
	v_mul_f64 v[120:121], v[5:6], v[19:20]
	v_mul_f64 v[19:20], v[7:8], v[19:20]
	s_waitcnt vmcnt(56)
	v_fma_f64 v[105:106], v[9:10], v[122:123], -v[105:106]
	v_add_f64 v[15:16], v[15:16], v[33:34]
	v_fma_f64 v[33:34], v[11:12], v[122:123], v[109:110]
	v_add_f64 v[13:14], v[13:14], v[27:28]
	s_clause 0x2
	buffer_load_dword v114, off, s[0:3], 0 offset:652
	buffer_load_dword v28, off, s[0:3], 0 offset:628
	;; [unrolled: 1-line block ×3, first 2 shown]
	ds_read_b128 v[9:12], v70 offset:1360
	s_waitcnt vmcnt(58) lgkmcnt(1)
	v_mul_f64 v[109:110], v[1:2], v[37:38]
	v_mul_f64 v[37:38], v[3:4], v[37:38]
	s_waitcnt vmcnt(56)
	v_fma_f64 v[19:20], v[5:6], v[25:26], -v[19:20]
	v_fma_f64 v[25:26], v[7:8], v[25:26], v[120:121]
	v_add_f64 v[15:16], v[15:16], v[105:106]
	v_add_f64 v[13:14], v[13:14], v[33:34]
	s_clause 0x4
	buffer_load_dword v34, off, s[0:3], 0 offset:668
	buffer_load_dword v105, off, s[0:3], 0 offset:680
	;; [unrolled: 1-line block ×5, first 2 shown]
	ds_read_b128 v[5:8], v70 offset:1376
	s_waitcnt vmcnt(57) lgkmcnt(1)
	v_mul_f64 v[122:123], v[9:10], v[23:24]
	v_mul_f64 v[23:24], v[11:12], v[23:24]
	s_waitcnt vmcnt(56)
	v_fma_f64 v[37:38], v[1:2], v[117:118], -v[37:38]
	v_add_f64 v[15:16], v[15:16], v[19:20]
	v_fma_f64 v[19:20], v[3:4], v[117:118], v[109:110]
	v_add_f64 v[13:14], v[13:14], v[25:26]
	s_clause 0x2
	buffer_load_dword v106, off, s[0:3], 0 offset:684
	buffer_load_dword v26, off, s[0:3], 0 offset:660
	;; [unrolled: 1-line block ×3, first 2 shown]
	s_waitcnt vmcnt(58) lgkmcnt(0)
	v_mul_f64 v[109:110], v[5:6], v[45:46]
	v_mul_f64 v[45:46], v[7:8], v[45:46]
	ds_read_b128 v[1:4], v70 offset:1392
	s_waitcnt vmcnt(56)
	v_fma_f64 v[23:24], v[9:10], v[31:32], -v[23:24]
	v_fma_f64 v[31:32], v[11:12], v[31:32], v[122:123]
	v_add_f64 v[15:16], v[15:16], v[37:38]
	v_add_f64 v[13:14], v[13:14], v[19:20]
	s_clause 0x4
	buffer_load_dword v20, off, s[0:3], 0 offset:700
	buffer_load_dword v37, off, s[0:3], 0 offset:712
	;; [unrolled: 1-line block ×5, first 2 shown]
	ds_read_b128 v[9:12], v70 offset:1408
	s_waitcnt vmcnt(57) lgkmcnt(1)
	v_mul_f64 v[123:124], v[1:2], v[29:30]
	v_mul_f64 v[29:30], v[3:4], v[29:30]
	s_waitcnt vmcnt(56)
	v_fma_f64 v[45:46], v[5:6], v[71:72], -v[45:46]
	v_add_f64 v[15:16], v[15:16], v[23:24]
	v_fma_f64 v[23:24], v[7:8], v[71:72], v[109:110]
	v_add_f64 v[13:14], v[13:14], v[31:32]
	s_clause 0x2
	buffer_load_dword v38, off, s[0:3], 0 offset:716
	buffer_load_dword v32, off, s[0:3], 0 offset:692
	;; [unrolled: 1-line block ×3, first 2 shown]
	s_waitcnt vmcnt(58) lgkmcnt(0)
	v_mul_f64 v[71:72], v[9:10], v[51:52]
	v_mul_f64 v[51:52], v[11:12], v[51:52]
	ds_read_b128 v[5:8], v70 offset:1424
	s_waitcnt vmcnt(56)
	v_fma_f64 v[29:30], v[1:2], v[41:42], -v[29:30]
	v_fma_f64 v[41:42], v[3:4], v[41:42], v[123:124]
	v_add_f64 v[15:16], v[15:16], v[45:46]
	v_add_f64 v[13:14], v[13:14], v[23:24]
	s_clause 0x4
	buffer_load_dword v24, off, s[0:3], 0 offset:732
	buffer_load_dword v45, off, s[0:3], 0 offset:744
	buffer_load_dword v109, off, s[0:3], 0 offset:736
	buffer_load_dword v23, off, s[0:3], 0 offset:728
	buffer_load_dword v118, off, s[0:3], 0 offset:708
	ds_read_b128 v[1:4], v70 offset:1440
	s_waitcnt vmcnt(57) lgkmcnt(1)
	v_mul_f64 v[123:124], v[5:6], v[35:36]
	v_mul_f64 v[35:36], v[7:8], v[35:36]
	s_waitcnt vmcnt(56)
	v_fma_f64 v[51:52], v[9:10], v[53:54], -v[51:52]
	v_add_f64 v[15:16], v[15:16], v[29:30]
	v_fma_f64 v[29:30], v[11:12], v[53:54], v[71:72]
	v_add_f64 v[13:14], v[13:14], v[41:42]
	s_clause 0x2
	buffer_load_dword v46, off, s[0:3], 0 offset:748
	buffer_load_dword v42, off, s[0:3], 0 offset:724
	buffer_load_dword v41, off, s[0:3], 0 offset:720
	ds_read_b128 v[9:12], v70 offset:1456
	s_waitcnt vmcnt(58) lgkmcnt(1)
	v_mul_f64 v[53:54], v[1:2], v[59:60]
	v_mul_f64 v[59:60], v[3:4], v[59:60]
	s_waitcnt vmcnt(56)
	v_fma_f64 v[35:36], v[5:6], v[39:40], -v[35:36]
	v_fma_f64 v[39:40], v[7:8], v[39:40], v[123:124]
	v_add_f64 v[15:16], v[15:16], v[51:52]
	v_add_f64 v[13:14], v[13:14], v[29:30]
	s_clause 0x4
	buffer_load_dword v30, off, s[0:3], 0 offset:764
	buffer_load_dword v51, off, s[0:3], 0 offset:776
	buffer_load_dword v71, off, s[0:3], 0 offset:768
	buffer_load_dword v29, off, s[0:3], 0 offset:760
	buffer_load_dword v110, off, s[0:3], 0 offset:740
	ds_read_b128 v[5:8], v70 offset:1472
	s_waitcnt vmcnt(57) lgkmcnt(1)
	v_mul_f64 v[123:124], v[9:10], v[43:44]
	v_mul_f64 v[43:44], v[11:12], v[43:44]
	s_waitcnt vmcnt(56)
	v_fma_f64 v[59:60], v[1:2], v[61:62], -v[59:60]
	v_add_f64 v[15:16], v[15:16], v[35:36]
	v_fma_f64 v[35:36], v[3:4], v[61:62], v[53:54]
	v_add_f64 v[13:14], v[13:14], v[39:40]
	s_clause 0x2
	buffer_load_dword v52, off, s[0:3], 0 offset:780
	buffer_load_dword v40, off, s[0:3], 0 offset:756
	buffer_load_dword v39, off, s[0:3], 0 offset:752
	ds_read_b128 v[1:4], v70 offset:1488
	s_waitcnt vmcnt(58) lgkmcnt(1)
	v_mul_f64 v[61:62], v[7:8], v[65:66]
	v_mul_f64 v[53:54], v[5:6], v[65:66]
	;; [unrolled: 28-line block ×4, first 2 shown]
	s_waitcnt vmcnt(56)
	v_fma_f64 v[57:58], v[5:6], v[63:64], -v[57:58]
	v_add_f64 v[15:16], v[15:16], v[55:56]
	v_fma_f64 v[55:56], v[7:8], v[63:64], v[123:124]
	v_add_f64 v[13:14], v[13:14], v[49:50]
	s_clause 0x4
	buffer_load_dword v50, off, s[0:3], 0 offset:860
	buffer_load_dword v63, off, s[0:3], 0 offset:872
	;; [unrolled: 1-line block ×5, first 2 shown]
	ds_read_b128 v[5:8], v70 offset:1568
	s_waitcnt vmcnt(57) lgkmcnt(1)
	v_mul_f64 v[123:124], v[9:10], v[21:22]
	v_mul_f64 v[21:22], v[11:12], v[21:22]
	s_waitcnt vmcnt(56)
	v_fma_f64 v[107:108], v[1:2], v[115:116], -v[107:108]
	v_fma_f64 v[53:54], v[3:4], v[115:116], v[53:54]
	v_add_f64 v[15:16], v[15:16], v[57:58]
	v_add_f64 v[13:14], v[13:14], v[55:56]
	s_clause 0x2
	buffer_load_dword v64, off, s[0:3], 0 offset:876
	buffer_load_dword v56, off, s[0:3], 0 offset:852
	;; [unrolled: 1-line block ×3, first 2 shown]
	ds_read_b128 v[1:4], v70 offset:1584
	s_waitcnt vmcnt(58) lgkmcnt(1)
	v_mul_f64 v[57:58], v[5:6], v[113:114]
	v_mul_f64 v[113:114], v[7:8], v[113:114]
	s_waitcnt vmcnt(56)
	v_fma_f64 v[21:22], v[9:10], v[27:28], -v[21:22]
	v_fma_f64 v[27:28], v[11:12], v[27:28], v[123:124]
	v_add_f64 v[15:16], v[15:16], v[107:108]
	v_add_f64 v[13:14], v[13:14], v[53:54]
	s_clause 0x4
	buffer_load_dword v54, off, s[0:3], 0 offset:892
	buffer_load_dword v107, off, s[0:3], 0 offset:904
	;; [unrolled: 1-line block ×5, first 2 shown]
	ds_read_b128 v[9:12], v70 offset:1600
	s_waitcnt vmcnt(57) lgkmcnt(1)
	v_mul_f64 v[123:124], v[1:2], v[33:34]
	v_mul_f64 v[33:34], v[3:4], v[33:34]
	s_waitcnt vmcnt(56)
	v_fma_f64 v[113:114], v[5:6], v[119:120], -v[113:114]
	v_add_f64 v[15:16], v[15:16], v[21:22]
	v_fma_f64 v[21:22], v[7:8], v[119:120], v[57:58]
	v_add_f64 v[13:14], v[13:14], v[27:28]
	s_clause 0x2
	buffer_load_dword v108, off, s[0:3], 0 offset:908
	buffer_load_dword v28, off, s[0:3], 0 offset:884
	;; [unrolled: 1-line block ×3, first 2 shown]
	ds_read_b128 v[5:8], v70 offset:1616
	s_waitcnt vmcnt(58) lgkmcnt(1)
	v_mul_f64 v[57:58], v[9:10], v[105:106]
	v_mul_f64 v[105:106], v[11:12], v[105:106]
	s_waitcnt vmcnt(56)
	v_fma_f64 v[33:34], v[1:2], v[25:26], -v[33:34]
	v_fma_f64 v[25:26], v[3:4], v[25:26], v[123:124]
	v_add_f64 v[15:16], v[15:16], v[113:114]
	v_add_f64 v[13:14], v[13:14], v[21:22]
	s_clause 0x4
	buffer_load_dword v22, off, s[0:3], 0 offset:924
	buffer_load_dword v113, off, s[0:3], 0 offset:936
	;; [unrolled: 1-line block ×5, first 2 shown]
	ds_read_b128 v[1:4], v70 offset:1632
	s_waitcnt vmcnt(57) lgkmcnt(1)
	v_mul_f64 v[123:124], v[5:6], v[19:20]
	v_mul_f64 v[19:20], v[7:8], v[19:20]
	s_waitcnt vmcnt(56)
	v_fma_f64 v[105:106], v[9:10], v[121:122], -v[105:106]
	v_add_f64 v[15:16], v[15:16], v[33:34]
	v_fma_f64 v[33:34], v[11:12], v[121:122], v[57:58]
	v_add_f64 v[13:14], v[13:14], v[25:26]
	s_clause 0x2
	buffer_load_dword v114, off, s[0:3], 0 offset:940
	buffer_load_dword v26, off, s[0:3], 0 offset:916
	;; [unrolled: 1-line block ×3, first 2 shown]
	ds_read_b128 v[9:12], v70 offset:1648
	s_waitcnt vmcnt(58) lgkmcnt(1)
	v_mul_f64 v[57:58], v[1:2], v[37:38]
	v_mul_f64 v[37:38], v[3:4], v[37:38]
	s_waitcnt vmcnt(56)
	v_fma_f64 v[19:20], v[5:6], v[31:32], -v[19:20]
	v_fma_f64 v[31:32], v[7:8], v[31:32], v[123:124]
	v_add_f64 v[15:16], v[15:16], v[105:106]
	v_add_f64 v[13:14], v[13:14], v[33:34]
	s_clause 0x2
	buffer_load_dword v34, off, s[0:3], 0 offset:956
	buffer_load_dword v33, off, s[0:3], 0 offset:952
	;; [unrolled: 1-line block ×3, first 2 shown]
	ds_read_b128 v[5:8], v70 offset:1664
	s_waitcnt vmcnt(55) lgkmcnt(1)
	v_mul_f64 v[105:106], v[9:10], v[23:24]
	v_mul_f64 v[23:24], v[11:12], v[23:24]
	s_waitcnt vmcnt(54)
	v_fma_f64 v[37:38], v[1:2], v[117:118], -v[37:38]
	v_add_f64 v[15:16], v[15:16], v[19:20]
	v_fma_f64 v[19:20], v[3:4], v[117:118], v[57:58]
	v_add_f64 v[13:14], v[13:14], v[31:32]
	s_clause 0x1
	buffer_load_dword v32, off, s[0:3], 0 offset:948
	buffer_load_dword v31, off, s[0:3], 0 offset:944
	ds_read_b128 v[1:4], v70 offset:1680
	s_waitcnt vmcnt(55) lgkmcnt(1)
	v_mul_f64 v[57:58], v[5:6], v[45:46]
	v_mul_f64 v[45:46], v[7:8], v[45:46]
	s_waitcnt vmcnt(53)
	v_fma_f64 v[23:24], v[9:10], v[41:42], -v[23:24]
	v_add_f64 v[15:16], v[15:16], v[37:38]
	v_fma_f64 v[37:38], v[11:12], v[41:42], v[105:106]
	v_add_f64 v[13:14], v[13:14], v[19:20]
	ds_read_b128 v[9:12], v70 offset:1696
	s_waitcnt vmcnt(49) lgkmcnt(1)
	v_mul_f64 v[19:20], v[1:2], v[29:30]
	v_mul_f64 v[29:30], v[3:4], v[29:30]
	s_waitcnt vmcnt(48)
	v_fma_f64 v[41:42], v[5:6], v[109:110], -v[45:46]
	v_add_f64 v[15:16], v[15:16], v[23:24]
	v_fma_f64 v[23:24], v[7:8], v[109:110], v[57:58]
	v_add_f64 v[13:14], v[13:14], v[37:38]
	s_clause 0x3
	buffer_load_dword v37, off, s[0:3], 0 offset:48
	buffer_load_dword v38, off, s[0:3], 0 offset:52
	;; [unrolled: 1-line block ×4, first 2 shown]
	ds_read_b128 v[5:8], v70 offset:1712
	s_waitcnt vmcnt(51) lgkmcnt(1)
	v_mul_f64 v[57:58], v[9:10], v[51:52]
	v_mul_f64 v[51:52], v[11:12], v[51:52]
	s_waitcnt vmcnt(49)
	v_fma_f64 v[29:30], v[1:2], v[39:40], -v[29:30]
	v_fma_f64 v[19:20], v[3:4], v[39:40], v[19:20]
	ds_read_b128 v[1:4], v70 offset:1728
	v_add_f64 v[15:16], v[15:16], v[41:42]
	v_add_f64 v[13:14], v[13:14], v[23:24]
	s_waitcnt vmcnt(45) lgkmcnt(1)
	v_mul_f64 v[23:24], v[5:6], v[35:36]
	v_mul_f64 v[35:36], v[7:8], v[35:36]
	s_waitcnt vmcnt(44)
	v_fma_f64 v[39:40], v[9:10], v[71:72], -v[51:52]
	v_add_f64 v[15:16], v[15:16], v[29:30]
	v_fma_f64 v[29:30], v[11:12], v[71:72], v[57:58]
	v_add_f64 v[13:14], v[13:14], v[19:20]
	ds_read_b128 v[9:12], v70 offset:1744
	s_waitcnt vmcnt(43) lgkmcnt(1)
	v_mul_f64 v[41:42], v[3:4], v[59:60]
	v_mul_f64 v[19:20], v[1:2], v[59:60]
	s_waitcnt vmcnt(41)
	v_fma_f64 v[35:36], v[5:6], v[47:48], -v[35:36]
	v_fma_f64 v[23:24], v[7:8], v[47:48], v[23:24]
	ds_read_b128 v[5:8], v70 offset:1760
	v_add_f64 v[15:16], v[15:16], v[39:40]
	v_add_f64 v[13:14], v[13:14], v[29:30]
	s_waitcnt vmcnt(37) lgkmcnt(1)
	v_mul_f64 v[39:40], v[11:12], v[43:44]
	s_waitcnt vmcnt(36)
	v_fma_f64 v[41:42], v[1:2], v[65:66], -v[41:42]
	v_mul_f64 v[29:30], v[9:10], v[43:44]
	v_fma_f64 v[19:20], v[3:4], v[65:66], v[19:20]
	ds_read_b128 v[1:4], v70 offset:1776
	v_add_f64 v[15:16], v[15:16], v[35:36]
	v_add_f64 v[13:14], v[13:14], v[23:24]
	s_waitcnt vmcnt(35) lgkmcnt(1)
	v_mul_f64 v[35:36], v[7:8], v[61:62]
	v_mul_f64 v[23:24], v[5:6], v[61:62]
	s_waitcnt vmcnt(33)
	v_fma_f64 v[39:40], v[9:10], v[17:18], -v[39:40]
	v_fma_f64 v[17:18], v[11:12], v[17:18], v[29:30]
	ds_read_b128 v[9:12], v70 offset:1792
	v_add_f64 v[15:16], v[15:16], v[41:42]
	v_add_f64 v[13:14], v[13:14], v[19:20]
	s_waitcnt vmcnt(29) lgkmcnt(1)
	v_mul_f64 v[29:30], v[3:4], v[49:50]
	s_waitcnt vmcnt(28)
	v_fma_f64 v[35:36], v[5:6], v[67:68], -v[35:36]
	v_mul_f64 v[19:20], v[1:2], v[49:50]
	v_fma_f64 v[23:24], v[7:8], v[67:68], v[23:24]
	ds_read_b128 v[5:8], v70 offset:1808
	v_add_f64 v[15:16], v[15:16], v[39:40]
	v_add_f64 v[13:14], v[13:14], v[17:18]
	s_waitcnt vmcnt(27) lgkmcnt(1)
	v_mul_f64 v[39:40], v[11:12], v[63:64]
	v_mul_f64 v[17:18], v[9:10], v[63:64]
	s_waitcnt vmcnt(25)
	v_fma_f64 v[29:30], v[1:2], v[55:56], -v[29:30]
	v_fma_f64 v[19:20], v[3:4], v[55:56], v[19:20]
	ds_read_b128 v[1:4], v70 offset:1824
	v_add_f64 v[15:16], v[15:16], v[35:36]
	v_add_f64 v[13:14], v[13:14], v[23:24]
	s_waitcnt vmcnt(21) lgkmcnt(1)
	v_mul_f64 v[35:36], v[7:8], v[53:54]
	s_waitcnt vmcnt(20)
	v_fma_f64 v[39:40], v[9:10], v[111:112], -v[39:40]
	v_mul_f64 v[23:24], v[5:6], v[53:54]
	v_fma_f64 v[17:18], v[11:12], v[111:112], v[17:18]
	ds_read_b128 v[9:12], v70 offset:1840
	v_add_f64 v[15:16], v[15:16], v[29:30]
	v_add_f64 v[13:14], v[13:14], v[19:20]
	s_waitcnt vmcnt(19) lgkmcnt(1)
	v_mul_f64 v[29:30], v[3:4], v[107:108]
	v_mul_f64 v[19:20], v[1:2], v[107:108]
	s_waitcnt vmcnt(17)
	v_fma_f64 v[35:36], v[5:6], v[27:28], -v[35:36]
	v_fma_f64 v[23:24], v[7:8], v[27:28], v[23:24]
	ds_read_b128 v[5:8], v70 offset:1856
	v_add_f64 v[15:16], v[15:16], v[39:40]
	v_add_f64 v[13:14], v[13:14], v[17:18]
	s_waitcnt vmcnt(13) lgkmcnt(1)
	v_mul_f64 v[17:18], v[9:10], v[21:22]
	v_mul_f64 v[21:22], v[11:12], v[21:22]
	s_waitcnt vmcnt(12)
	v_fma_f64 v[27:28], v[1:2], v[115:116], -v[29:30]
	v_fma_f64 v[19:20], v[3:4], v[115:116], v[19:20]
	ds_read_b128 v[1:4], v70 offset:1872
	v_add_f64 v[15:16], v[15:16], v[35:36]
	v_add_f64 v[13:14], v[13:14], v[23:24]
	s_waitcnt vmcnt(11) lgkmcnt(1)
	v_mul_f64 v[29:30], v[7:8], v[113:114]
	v_mul_f64 v[23:24], v[5:6], v[113:114]
	s_waitcnt vmcnt(9)
	v_fma_f64 v[9:10], v[9:10], v[25:26], -v[21:22]
	v_fma_f64 v[11:12], v[11:12], v[25:26], v[17:18]
	v_add_f64 v[15:16], v[15:16], v[27:28]
	v_add_f64 v[13:14], v[13:14], v[19:20]
	s_waitcnt vmcnt(7) lgkmcnt(0)
	v_mul_f64 v[19:20], v[3:4], v[33:34]
	s_waitcnt vmcnt(6)
	v_fma_f64 v[5:6], v[5:6], v[119:120], -v[29:30]
	v_mul_f64 v[17:18], v[1:2], v[33:34]
	v_fma_f64 v[7:8], v[7:8], v[119:120], v[23:24]
	v_add_f64 v[9:10], v[15:16], v[9:10]
	v_add_f64 v[11:12], v[13:14], v[11:12]
	s_waitcnt vmcnt(4)
	v_fma_f64 v[1:2], v[1:2], v[31:32], -v[19:20]
	v_fma_f64 v[3:4], v[3:4], v[31:32], v[17:18]
	v_add_f64 v[5:6], v[9:10], v[5:6]
	v_add_f64 v[7:8], v[11:12], v[7:8]
	;; [unrolled: 1-line block ×4, first 2 shown]
	s_waitcnt vmcnt(2)
	v_add_f64 v[1:2], v[37:38], -v[1:2]
	s_waitcnt vmcnt(0)
	v_add_f64 v[3:4], v[45:46], -v[3:4]
	buffer_store_dword v2, off, s[0:3], 0 offset:52
	buffer_store_dword v1, off, s[0:3], 0 offset:48
	;; [unrolled: 1-line block ×4, first 2 shown]
	v_cmpx_lt_u32_e32 1, v0
	s_cbranch_execz .LBB58_365
; %bb.364:
	v_mov_b32_e32 v4, s70
	v_mov_b32_e32 v5, 0
	s_clause 0x3
	buffer_load_dword v1, v4, s[0:3], 0 offen
	buffer_load_dword v2, v4, s[0:3], 0 offen offset:4
	buffer_load_dword v3, v4, s[0:3], 0 offen offset:8
	;; [unrolled: 1-line block ×3, first 2 shown]
	buffer_store_dword v5, off, s[0:3], 0 offset:32
	buffer_store_dword v5, off, s[0:3], 0 offset:36
	;; [unrolled: 1-line block ×4, first 2 shown]
	s_waitcnt vmcnt(0)
	ds_write_b128 v69, v[1:4]
.LBB58_365:
	s_or_b32 exec_lo, exec_lo, s4
	s_waitcnt lgkmcnt(0)
	s_waitcnt_vscnt null, 0x0
	s_barrier
	buffer_gl0_inv
	s_clause 0x37
	buffer_load_dword v17, off, s[0:3], 0 offset:56
	buffer_load_dword v18, off, s[0:3], 0 offset:60
	;; [unrolled: 1-line block ×56, first 2 shown]
	v_mov_b32_e32 v70, 0
	s_mov_b32 s4, exec_lo
	ds_read_b128 v[5:8], v70 offset:976
	s_clause 0x2
	buffer_load_dword v66, off, s[0:3], 0 offset:284
	buffer_load_dword v68, off, s[0:3], 0 offset:260
	buffer_load_dword v67, off, s[0:3], 0 offset:256
	ds_read_b128 v[1:4], v70 offset:992
	s_clause 0x4
	buffer_load_dword v110, off, s[0:3], 0 offset:300
	buffer_load_dword v111, off, s[0:3], 0 offset:312
	;; [unrolled: 1-line block ×5, first 2 shown]
	ds_read_b128 v[105:108], v70 offset:1008
	s_waitcnt vmcnt(62) lgkmcnt(2)
	v_mul_f64 v[71:72], v[7:8], v[17:18]
	v_mul_f64 v[17:18], v[5:6], v[17:18]
	s_waitcnt vmcnt(60) lgkmcnt(1)
	v_mul_f64 v[114:115], v[3:4], v[13:14]
	v_mul_f64 v[13:14], v[1:2], v[13:14]
	;; [unrolled: 3-line block ×3, first 2 shown]
	v_fma_f64 v[71:72], v[5:6], v[15:16], -v[71:72]
	v_fma_f64 v[15:16], v[7:8], v[15:16], v[17:18]
	s_clause 0x2
	buffer_load_dword v112, off, s[0:3], 0 offset:316
	buffer_load_dword v18, off, s[0:3], 0 offset:292
	;; [unrolled: 1-line block ×3, first 2 shown]
	s_waitcnt vmcnt(57)
	v_fma_f64 v[118:119], v[1:2], v[9:10], -v[114:115]
	ds_read_b128 v[5:8], v70 offset:1024
	v_fma_f64 v[9:10], v[3:4], v[9:10], v[13:14]
	s_waitcnt vmcnt(51)
	v_fma_f64 v[105:106], v[105:106], v[33:34], -v[11:12]
	v_fma_f64 v[33:34], v[107:108], v[33:34], v[116:117]
	v_add_f64 v[71:72], v[71:72], 0
	v_add_f64 v[13:14], v[15:16], 0
	s_clause 0x4
	buffer_load_dword v16, off, s[0:3], 0 offset:332
	buffer_load_dword v115, off, s[0:3], 0 offset:344
	buffer_load_dword v120, off, s[0:3], 0 offset:336
	buffer_load_dword v15, off, s[0:3], 0 offset:328
	buffer_load_dword v114, off, s[0:3], 0 offset:308
	s_waitcnt lgkmcnt(0)
	v_mul_f64 v[121:122], v[5:6], v[21:22]
	v_mul_f64 v[21:22], v[7:8], v[21:22]
	ds_read_b128 v[1:4], v70 offset:1040
	s_clause 0x2
	buffer_load_dword v116, off, s[0:3], 0 offset:348
	buffer_load_dword v108, off, s[0:3], 0 offset:324
	;; [unrolled: 1-line block ×3, first 2 shown]
	v_add_f64 v[71:72], v[71:72], v[118:119]
	v_add_f64 v[13:14], v[13:14], v[9:10]
	ds_read_b128 v[9:12], v70 offset:1056
	s_waitcnt vmcnt(58) lgkmcnt(1)
	v_mul_f64 v[117:118], v[1:2], v[25:26]
	v_mul_f64 v[25:26], v[3:4], v[25:26]
	s_waitcnt vmcnt(56)
	v_fma_f64 v[21:22], v[5:6], v[27:28], -v[21:22]
	v_fma_f64 v[27:28], v[7:8], v[27:28], v[121:122]
	s_waitcnt vmcnt(52) lgkmcnt(0)
	v_mul_f64 v[123:124], v[9:10], v[29:30]
	v_add_f64 v[71:72], v[71:72], v[105:106]
	v_add_f64 v[13:14], v[13:14], v[33:34]
	s_clause 0x4
	buffer_load_dword v34, off, s[0:3], 0 offset:364
	buffer_load_dword v105, off, s[0:3], 0 offset:376
	;; [unrolled: 1-line block ×5, first 2 shown]
	v_mul_f64 v[29:30], v[11:12], v[29:30]
	s_waitcnt vmcnt(56)
	v_fma_f64 v[25:26], v[1:2], v[19:20], -v[25:26]
	ds_read_b128 v[5:8], v70 offset:1072
	v_fma_f64 v[19:20], v[3:4], v[19:20], v[117:118]
	v_add_f64 v[21:22], v[71:72], v[21:22]
	v_add_f64 v[13:14], v[13:14], v[27:28]
	s_clause 0x2
	buffer_load_dword v106, off, s[0:3], 0 offset:380
	buffer_load_dword v28, off, s[0:3], 0 offset:356
	;; [unrolled: 1-line block ×3, first 2 shown]
	s_waitcnt vmcnt(58) lgkmcnt(0)
	v_mul_f64 v[71:72], v[5:6], v[35:36]
	v_mul_f64 v[35:36], v[7:8], v[35:36]
	s_waitcnt vmcnt(56)
	v_fma_f64 v[29:30], v[9:10], v[37:38], -v[29:30]
	ds_read_b128 v[1:4], v70 offset:1088
	v_add_f64 v[21:22], v[21:22], v[25:26]
	v_fma_f64 v[25:26], v[11:12], v[37:38], v[123:124]
	v_add_f64 v[13:14], v[13:14], v[19:20]
	s_clause 0x4
	buffer_load_dword v20, off, s[0:3], 0 offset:396
	buffer_load_dword v37, off, s[0:3], 0 offset:408
	;; [unrolled: 1-line block ×5, first 2 shown]
	s_waitcnt vmcnt(57) lgkmcnt(0)
	v_mul_f64 v[118:119], v[1:2], v[39:40]
	v_mul_f64 v[39:40], v[3:4], v[39:40]
	s_waitcnt vmcnt(56)
	v_fma_f64 v[35:36], v[5:6], v[23:24], -v[35:36]
	ds_read_b128 v[9:12], v70 offset:1104
	v_fma_f64 v[23:24], v[7:8], v[23:24], v[71:72]
	v_add_f64 v[21:22], v[21:22], v[29:30]
	v_add_f64 v[13:14], v[13:14], v[25:26]
	s_clause 0x2
	buffer_load_dword v38, off, s[0:3], 0 offset:412
	buffer_load_dword v26, off, s[0:3], 0 offset:388
	;; [unrolled: 1-line block ×3, first 2 shown]
	ds_read_b128 v[5:8], v70 offset:1120
	s_waitcnt vmcnt(58) lgkmcnt(1)
	v_mul_f64 v[29:30], v[9:10], v[43:44]
	v_mul_f64 v[43:44], v[11:12], v[43:44]
	s_waitcnt vmcnt(56)
	v_fma_f64 v[39:40], v[1:2], v[45:46], -v[39:40]
	v_add_f64 v[21:22], v[21:22], v[35:36]
	v_fma_f64 v[35:36], v[3:4], v[45:46], v[118:119]
	v_add_f64 v[13:14], v[13:14], v[23:24]
	s_clause 0x4
	buffer_load_dword v24, off, s[0:3], 0 offset:428
	buffer_load_dword v45, off, s[0:3], 0 offset:440
	;; [unrolled: 1-line block ×5, first 2 shown]
	s_waitcnt vmcnt(57) lgkmcnt(0)
	v_mul_f64 v[124:125], v[5:6], v[47:48]
	v_mul_f64 v[47:48], v[7:8], v[47:48]
	s_waitcnt vmcnt(56)
	v_fma_f64 v[43:44], v[9:10], v[31:32], -v[43:44]
	ds_read_b128 v[1:4], v70 offset:1136
	v_fma_f64 v[29:30], v[11:12], v[31:32], v[29:30]
	s_clause 0x2
	buffer_load_dword v46, off, s[0:3], 0 offset:444
	buffer_load_dword v32, off, s[0:3], 0 offset:420
	;; [unrolled: 1-line block ×3, first 2 shown]
	ds_read_b128 v[9:12], v70 offset:1152
	v_add_f64 v[21:22], v[21:22], v[39:40]
	v_add_f64 v[13:14], v[13:14], v[35:36]
	s_waitcnt vmcnt(58) lgkmcnt(1)
	v_mul_f64 v[39:40], v[3:4], v[51:52]
	s_waitcnt vmcnt(56)
	v_fma_f64 v[47:48], v[5:6], v[53:54], -v[47:48]
	v_mul_f64 v[35:36], v[1:2], v[51:52]
	v_add_f64 v[21:22], v[21:22], v[43:44]
	v_fma_f64 v[43:44], v[7:8], v[53:54], v[124:125]
	v_add_f64 v[13:14], v[13:14], v[29:30]
	s_clause 0x4
	buffer_load_dword v30, off, s[0:3], 0 offset:460
	buffer_load_dword v51, off, s[0:3], 0 offset:472
	;; [unrolled: 1-line block ×5, first 2 shown]
	s_waitcnt vmcnt(57) lgkmcnt(0)
	v_mul_f64 v[124:125], v[9:10], v[55:56]
	v_mul_f64 v[54:55], v[11:12], v[55:56]
	s_waitcnt vmcnt(56)
	v_fma_f64 v[39:40], v[1:2], v[41:42], -v[39:40]
	ds_read_b128 v[5:8], v70 offset:1168
	v_fma_f64 v[35:36], v[3:4], v[41:42], v[35:36]
	s_clause 0x2
	buffer_load_dword v52, off, s[0:3], 0 offset:476
	buffer_load_dword v42, off, s[0:3], 0 offset:452
	buffer_load_dword v41, off, s[0:3], 0 offset:448
	ds_read_b128 v[1:4], v70 offset:1184
	v_add_f64 v[21:22], v[21:22], v[47:48]
	v_add_f64 v[13:14], v[13:14], v[43:44]
	s_waitcnt vmcnt(58) lgkmcnt(1)
	v_mul_f64 v[47:48], v[7:8], v[59:60]
	s_waitcnt vmcnt(56)
	v_fma_f64 v[55:56], v[9:10], v[61:62], -v[54:55]
	v_mul_f64 v[43:44], v[5:6], v[59:60]
	v_add_f64 v[21:22], v[21:22], v[39:40]
	v_fma_f64 v[39:40], v[11:12], v[61:62], v[124:125]
	v_add_f64 v[13:14], v[13:14], v[35:36]
	s_clause 0x4
	buffer_load_dword v36, off, s[0:3], 0 offset:492
	buffer_load_dword v59, off, s[0:3], 0 offset:504
	buffer_load_dword v61, off, s[0:3], 0 offset:496
	buffer_load_dword v35, off, s[0:3], 0 offset:488
	buffer_load_dword v54, off, s[0:3], 0 offset:468
	s_waitcnt vmcnt(57) lgkmcnt(0)
	v_mul_f64 v[124:125], v[1:2], v[63:64]
	v_mul_f64 v[62:63], v[3:4], v[63:64]
	s_waitcnt vmcnt(56)
	v_fma_f64 v[47:48], v[5:6], v[49:50], -v[47:48]
	ds_read_b128 v[9:12], v70 offset:1200
	v_fma_f64 v[43:44], v[7:8], v[49:50], v[43:44]
	v_add_f64 v[21:22], v[21:22], v[55:56]
	v_add_f64 v[13:14], v[13:14], v[39:40]
	s_clause 0x2
	buffer_load_dword v60, off, s[0:3], 0 offset:508
	buffer_load_dword v40, off, s[0:3], 0 offset:484
	buffer_load_dword v39, off, s[0:3], 0 offset:480
	ds_read_b128 v[5:8], v70 offset:1216
	s_waitcnt vmcnt(58) lgkmcnt(1)
	v_mul_f64 v[55:56], v[11:12], v[65:66]
	s_waitcnt vmcnt(56)
	v_fma_f64 v[63:64], v[1:2], v[67:68], -v[62:63]
	v_mul_f64 v[49:50], v[9:10], v[65:66]
	v_add_f64 v[21:22], v[21:22], v[47:48]
	v_fma_f64 v[47:48], v[3:4], v[67:68], v[124:125]
	v_add_f64 v[13:14], v[13:14], v[43:44]
	s_clause 0x4
	buffer_load_dword v44, off, s[0:3], 0 offset:524
	buffer_load_dword v65, off, s[0:3], 0 offset:536
	;; [unrolled: 1-line block ×5, first 2 shown]
	s_waitcnt vmcnt(57) lgkmcnt(0)
	v_mul_f64 v[124:125], v[5:6], v[109:110]
	v_mul_f64 v[109:110], v[7:8], v[109:110]
	s_waitcnt vmcnt(56)
	v_fma_f64 v[55:56], v[9:10], v[57:58], -v[55:56]
	ds_read_b128 v[1:4], v70 offset:1232
	v_fma_f64 v[49:50], v[11:12], v[57:58], v[49:50]
	v_add_f64 v[21:22], v[21:22], v[63:64]
	v_add_f64 v[13:14], v[13:14], v[47:48]
	s_clause 0x2
	buffer_load_dword v66, off, s[0:3], 0 offset:540
	buffer_load_dword v48, off, s[0:3], 0 offset:516
	;; [unrolled: 1-line block ×3, first 2 shown]
	ds_read_b128 v[9:12], v70 offset:1248
	s_waitcnt vmcnt(58) lgkmcnt(1)
	v_mul_f64 v[63:64], v[3:4], v[111:112]
	v_mul_f64 v[57:58], v[1:2], v[111:112]
	s_waitcnt vmcnt(56)
	v_fma_f64 v[109:110], v[5:6], v[17:18], -v[109:110]
	v_fma_f64 v[17:18], v[7:8], v[17:18], v[124:125]
	v_add_f64 v[21:22], v[21:22], v[55:56]
	v_add_f64 v[13:14], v[13:14], v[49:50]
	s_clause 0x4
	buffer_load_dword v50, off, s[0:3], 0 offset:556
	buffer_load_dword v55, off, s[0:3], 0 offset:568
	;; [unrolled: 1-line block ×5, first 2 shown]
	ds_read_b128 v[5:8], v70 offset:1264
	s_waitcnt vmcnt(57) lgkmcnt(1)
	v_mul_f64 v[124:125], v[9:10], v[15:16]
	v_mul_f64 v[15:16], v[11:12], v[15:16]
	s_waitcnt vmcnt(56)
	v_fma_f64 v[63:64], v[1:2], v[113:114], -v[63:64]
	v_fma_f64 v[57:58], v[3:4], v[113:114], v[57:58]
	v_add_f64 v[21:22], v[21:22], v[109:110]
	v_add_f64 v[13:14], v[13:14], v[17:18]
	s_clause 0x2
	buffer_load_dword v56, off, s[0:3], 0 offset:572
	buffer_load_dword v18, off, s[0:3], 0 offset:548
	buffer_load_dword v17, off, s[0:3], 0 offset:544
	s_waitcnt vmcnt(58) lgkmcnt(0)
	v_mul_f64 v[113:114], v[7:8], v[115:116]
	ds_read_b128 v[1:4], v70 offset:1280
	v_mul_f64 v[109:110], v[5:6], v[115:116]
	s_waitcnt vmcnt(56)
	v_fma_f64 v[15:16], v[9:10], v[107:108], -v[15:16]
	v_add_f64 v[21:22], v[21:22], v[63:64]
	v_fma_f64 v[63:64], v[11:12], v[107:108], v[124:125]
	v_add_f64 v[13:14], v[13:14], v[57:58]
	s_clause 0x4
	buffer_load_dword v58, off, s[0:3], 0 offset:588
	buffer_load_dword v107, off, s[0:3], 0 offset:600
	;; [unrolled: 1-line block ×5, first 2 shown]
	ds_read_b128 v[9:12], v70 offset:1296
	s_waitcnt vmcnt(57) lgkmcnt(1)
	v_mul_f64 v[124:125], v[1:2], v[33:34]
	v_mul_f64 v[33:34], v[3:4], v[33:34]
	s_waitcnt vmcnt(56)
	v_fma_f64 v[113:114], v[5:6], v[120:121], -v[113:114]
	v_add_f64 v[15:16], v[21:22], v[15:16]
	v_fma_f64 v[21:22], v[7:8], v[120:121], v[109:110]
	v_add_f64 v[13:14], v[13:14], v[63:64]
	s_clause 0x2
	buffer_load_dword v108, off, s[0:3], 0 offset:604
	buffer_load_dword v64, off, s[0:3], 0 offset:580
	;; [unrolled: 1-line block ×3, first 2 shown]
	ds_read_b128 v[5:8], v70 offset:1312
	s_waitcnt vmcnt(58) lgkmcnt(1)
	v_mul_f64 v[109:110], v[9:10], v[105:106]
	v_mul_f64 v[105:106], v[11:12], v[105:106]
	s_waitcnt vmcnt(56)
	v_fma_f64 v[33:34], v[1:2], v[27:28], -v[33:34]
	v_fma_f64 v[27:28], v[3:4], v[27:28], v[124:125]
	v_add_f64 v[15:16], v[15:16], v[113:114]
	v_add_f64 v[13:14], v[13:14], v[21:22]
	s_clause 0x4
	buffer_load_dword v22, off, s[0:3], 0 offset:620
	buffer_load_dword v113, off, s[0:3], 0 offset:632
	;; [unrolled: 1-line block ×5, first 2 shown]
	ds_read_b128 v[1:4], v70 offset:1328
	s_waitcnt vmcnt(57) lgkmcnt(1)
	v_mul_f64 v[120:121], v[5:6], v[19:20]
	v_mul_f64 v[19:20], v[7:8], v[19:20]
	s_waitcnt vmcnt(56)
	v_fma_f64 v[105:106], v[9:10], v[122:123], -v[105:106]
	v_add_f64 v[15:16], v[15:16], v[33:34]
	v_fma_f64 v[33:34], v[11:12], v[122:123], v[109:110]
	v_add_f64 v[13:14], v[13:14], v[27:28]
	s_clause 0x2
	buffer_load_dword v114, off, s[0:3], 0 offset:636
	buffer_load_dword v28, off, s[0:3], 0 offset:612
	;; [unrolled: 1-line block ×3, first 2 shown]
	ds_read_b128 v[9:12], v70 offset:1344
	s_waitcnt vmcnt(58) lgkmcnt(1)
	v_mul_f64 v[109:110], v[1:2], v[37:38]
	v_mul_f64 v[37:38], v[3:4], v[37:38]
	s_waitcnt vmcnt(56)
	v_fma_f64 v[19:20], v[5:6], v[25:26], -v[19:20]
	v_fma_f64 v[25:26], v[7:8], v[25:26], v[120:121]
	v_add_f64 v[15:16], v[15:16], v[105:106]
	v_add_f64 v[13:14], v[13:14], v[33:34]
	s_clause 0x4
	buffer_load_dword v34, off, s[0:3], 0 offset:652
	buffer_load_dword v105, off, s[0:3], 0 offset:664
	;; [unrolled: 1-line block ×5, first 2 shown]
	ds_read_b128 v[5:8], v70 offset:1360
	s_waitcnt vmcnt(57) lgkmcnt(1)
	v_mul_f64 v[122:123], v[9:10], v[23:24]
	v_mul_f64 v[23:24], v[11:12], v[23:24]
	s_waitcnt vmcnt(56)
	v_fma_f64 v[37:38], v[1:2], v[117:118], -v[37:38]
	v_add_f64 v[15:16], v[15:16], v[19:20]
	v_fma_f64 v[19:20], v[3:4], v[117:118], v[109:110]
	v_add_f64 v[13:14], v[13:14], v[25:26]
	s_clause 0x2
	buffer_load_dword v106, off, s[0:3], 0 offset:668
	buffer_load_dword v26, off, s[0:3], 0 offset:644
	;; [unrolled: 1-line block ×3, first 2 shown]
	s_waitcnt vmcnt(58) lgkmcnt(0)
	v_mul_f64 v[109:110], v[5:6], v[45:46]
	v_mul_f64 v[45:46], v[7:8], v[45:46]
	ds_read_b128 v[1:4], v70 offset:1376
	s_waitcnt vmcnt(56)
	v_fma_f64 v[23:24], v[9:10], v[31:32], -v[23:24]
	v_fma_f64 v[31:32], v[11:12], v[31:32], v[122:123]
	v_add_f64 v[15:16], v[15:16], v[37:38]
	v_add_f64 v[13:14], v[13:14], v[19:20]
	s_clause 0x4
	buffer_load_dword v20, off, s[0:3], 0 offset:684
	buffer_load_dword v37, off, s[0:3], 0 offset:696
	;; [unrolled: 1-line block ×5, first 2 shown]
	ds_read_b128 v[9:12], v70 offset:1392
	s_waitcnt vmcnt(57) lgkmcnt(1)
	v_mul_f64 v[123:124], v[1:2], v[29:30]
	v_mul_f64 v[29:30], v[3:4], v[29:30]
	s_waitcnt vmcnt(56)
	v_fma_f64 v[45:46], v[5:6], v[71:72], -v[45:46]
	v_add_f64 v[15:16], v[15:16], v[23:24]
	v_fma_f64 v[23:24], v[7:8], v[71:72], v[109:110]
	v_add_f64 v[13:14], v[13:14], v[31:32]
	s_clause 0x2
	buffer_load_dword v38, off, s[0:3], 0 offset:700
	buffer_load_dword v32, off, s[0:3], 0 offset:676
	;; [unrolled: 1-line block ×3, first 2 shown]
	s_waitcnt vmcnt(58) lgkmcnt(0)
	v_mul_f64 v[71:72], v[9:10], v[51:52]
	v_mul_f64 v[51:52], v[11:12], v[51:52]
	ds_read_b128 v[5:8], v70 offset:1408
	s_waitcnt vmcnt(56)
	v_fma_f64 v[29:30], v[1:2], v[41:42], -v[29:30]
	v_fma_f64 v[41:42], v[3:4], v[41:42], v[123:124]
	v_add_f64 v[15:16], v[15:16], v[45:46]
	v_add_f64 v[13:14], v[13:14], v[23:24]
	s_clause 0x4
	buffer_load_dword v24, off, s[0:3], 0 offset:716
	buffer_load_dword v45, off, s[0:3], 0 offset:728
	buffer_load_dword v109, off, s[0:3], 0 offset:720
	buffer_load_dword v23, off, s[0:3], 0 offset:712
	buffer_load_dword v118, off, s[0:3], 0 offset:692
	ds_read_b128 v[1:4], v70 offset:1424
	s_waitcnt vmcnt(57) lgkmcnt(1)
	v_mul_f64 v[123:124], v[5:6], v[35:36]
	v_mul_f64 v[35:36], v[7:8], v[35:36]
	s_waitcnt vmcnt(56)
	v_fma_f64 v[51:52], v[9:10], v[53:54], -v[51:52]
	v_add_f64 v[15:16], v[15:16], v[29:30]
	v_fma_f64 v[29:30], v[11:12], v[53:54], v[71:72]
	v_add_f64 v[13:14], v[13:14], v[41:42]
	s_clause 0x2
	buffer_load_dword v46, off, s[0:3], 0 offset:732
	buffer_load_dword v42, off, s[0:3], 0 offset:708
	buffer_load_dword v41, off, s[0:3], 0 offset:704
	ds_read_b128 v[9:12], v70 offset:1440
	s_waitcnt vmcnt(58) lgkmcnt(1)
	v_mul_f64 v[53:54], v[1:2], v[59:60]
	v_mul_f64 v[59:60], v[3:4], v[59:60]
	s_waitcnt vmcnt(56)
	v_fma_f64 v[35:36], v[5:6], v[39:40], -v[35:36]
	v_fma_f64 v[39:40], v[7:8], v[39:40], v[123:124]
	v_add_f64 v[15:16], v[15:16], v[51:52]
	v_add_f64 v[13:14], v[13:14], v[29:30]
	s_clause 0x4
	buffer_load_dword v30, off, s[0:3], 0 offset:748
	buffer_load_dword v51, off, s[0:3], 0 offset:760
	buffer_load_dword v71, off, s[0:3], 0 offset:752
	buffer_load_dword v29, off, s[0:3], 0 offset:744
	buffer_load_dword v110, off, s[0:3], 0 offset:724
	ds_read_b128 v[5:8], v70 offset:1456
	s_waitcnt vmcnt(57) lgkmcnt(1)
	v_mul_f64 v[123:124], v[9:10], v[43:44]
	v_mul_f64 v[43:44], v[11:12], v[43:44]
	s_waitcnt vmcnt(56)
	v_fma_f64 v[59:60], v[1:2], v[61:62], -v[59:60]
	v_add_f64 v[15:16], v[15:16], v[35:36]
	v_fma_f64 v[35:36], v[3:4], v[61:62], v[53:54]
	v_add_f64 v[13:14], v[13:14], v[39:40]
	s_clause 0x2
	buffer_load_dword v52, off, s[0:3], 0 offset:764
	buffer_load_dword v40, off, s[0:3], 0 offset:740
	buffer_load_dword v39, off, s[0:3], 0 offset:736
	ds_read_b128 v[1:4], v70 offset:1472
	s_waitcnt vmcnt(58) lgkmcnt(1)
	v_mul_f64 v[61:62], v[7:8], v[65:66]
	v_mul_f64 v[53:54], v[5:6], v[65:66]
	;; [unrolled: 28-line block ×4, first 2 shown]
	s_waitcnt vmcnt(56)
	v_fma_f64 v[57:58], v[5:6], v[63:64], -v[57:58]
	v_add_f64 v[15:16], v[15:16], v[55:56]
	v_fma_f64 v[55:56], v[7:8], v[63:64], v[123:124]
	v_add_f64 v[13:14], v[13:14], v[49:50]
	s_clause 0x4
	buffer_load_dword v50, off, s[0:3], 0 offset:844
	buffer_load_dword v63, off, s[0:3], 0 offset:856
	;; [unrolled: 1-line block ×5, first 2 shown]
	ds_read_b128 v[5:8], v70 offset:1552
	s_waitcnt vmcnt(57) lgkmcnt(1)
	v_mul_f64 v[123:124], v[9:10], v[21:22]
	v_mul_f64 v[21:22], v[11:12], v[21:22]
	s_waitcnt vmcnt(56)
	v_fma_f64 v[107:108], v[1:2], v[115:116], -v[107:108]
	v_fma_f64 v[53:54], v[3:4], v[115:116], v[53:54]
	v_add_f64 v[15:16], v[15:16], v[57:58]
	v_add_f64 v[13:14], v[13:14], v[55:56]
	s_clause 0x2
	buffer_load_dword v64, off, s[0:3], 0 offset:860
	buffer_load_dword v56, off, s[0:3], 0 offset:836
	buffer_load_dword v55, off, s[0:3], 0 offset:832
	ds_read_b128 v[1:4], v70 offset:1568
	s_waitcnt vmcnt(58) lgkmcnt(1)
	v_mul_f64 v[57:58], v[5:6], v[113:114]
	v_mul_f64 v[113:114], v[7:8], v[113:114]
	s_waitcnt vmcnt(56)
	v_fma_f64 v[21:22], v[9:10], v[27:28], -v[21:22]
	v_fma_f64 v[27:28], v[11:12], v[27:28], v[123:124]
	v_add_f64 v[15:16], v[15:16], v[107:108]
	v_add_f64 v[13:14], v[13:14], v[53:54]
	s_clause 0x4
	buffer_load_dword v54, off, s[0:3], 0 offset:876
	buffer_load_dword v107, off, s[0:3], 0 offset:888
	buffer_load_dword v115, off, s[0:3], 0 offset:880
	buffer_load_dword v53, off, s[0:3], 0 offset:872
	buffer_load_dword v112, off, s[0:3], 0 offset:852
	ds_read_b128 v[9:12], v70 offset:1584
	s_waitcnt vmcnt(57) lgkmcnt(1)
	v_mul_f64 v[123:124], v[1:2], v[33:34]
	v_mul_f64 v[33:34], v[3:4], v[33:34]
	s_waitcnt vmcnt(56)
	v_fma_f64 v[113:114], v[5:6], v[119:120], -v[113:114]
	v_add_f64 v[15:16], v[15:16], v[21:22]
	v_fma_f64 v[21:22], v[7:8], v[119:120], v[57:58]
	v_add_f64 v[13:14], v[13:14], v[27:28]
	s_clause 0x2
	buffer_load_dword v108, off, s[0:3], 0 offset:892
	buffer_load_dword v28, off, s[0:3], 0 offset:868
	buffer_load_dword v27, off, s[0:3], 0 offset:864
	ds_read_b128 v[5:8], v70 offset:1600
	s_waitcnt vmcnt(58) lgkmcnt(1)
	v_mul_f64 v[57:58], v[9:10], v[105:106]
	v_mul_f64 v[105:106], v[11:12], v[105:106]
	s_waitcnt vmcnt(56)
	v_fma_f64 v[33:34], v[1:2], v[25:26], -v[33:34]
	v_fma_f64 v[25:26], v[3:4], v[25:26], v[123:124]
	v_add_f64 v[15:16], v[15:16], v[113:114]
	v_add_f64 v[13:14], v[13:14], v[21:22]
	s_clause 0x4
	buffer_load_dword v22, off, s[0:3], 0 offset:908
	buffer_load_dword v113, off, s[0:3], 0 offset:920
	buffer_load_dword v119, off, s[0:3], 0 offset:912
	buffer_load_dword v21, off, s[0:3], 0 offset:904
	buffer_load_dword v116, off, s[0:3], 0 offset:884
	ds_read_b128 v[1:4], v70 offset:1616
	s_waitcnt vmcnt(57) lgkmcnt(1)
	v_mul_f64 v[123:124], v[5:6], v[19:20]
	v_mul_f64 v[19:20], v[7:8], v[19:20]
	s_waitcnt vmcnt(56)
	v_fma_f64 v[105:106], v[9:10], v[121:122], -v[105:106]
	v_add_f64 v[15:16], v[15:16], v[33:34]
	v_fma_f64 v[33:34], v[11:12], v[121:122], v[57:58]
	;; [unrolled: 28-line block ×3, first 2 shown]
	v_add_f64 v[13:14], v[13:14], v[31:32]
	s_clause 0x2
	buffer_load_dword v106, off, s[0:3], 0 offset:956
	buffer_load_dword v32, off, s[0:3], 0 offset:932
	;; [unrolled: 1-line block ×3, first 2 shown]
	ds_read_b128 v[1:4], v70 offset:1664
	s_waitcnt vmcnt(58) lgkmcnt(1)
	v_mul_f64 v[57:58], v[5:6], v[45:46]
	v_mul_f64 v[45:46], v[7:8], v[45:46]
	s_waitcnt vmcnt(56)
	v_fma_f64 v[23:24], v[9:10], v[41:42], -v[23:24]
	v_add_f64 v[15:16], v[15:16], v[37:38]
	v_fma_f64 v[37:38], v[11:12], v[41:42], v[122:123]
	v_add_f64 v[13:14], v[13:14], v[19:20]
	buffer_load_dword v122, off, s[0:3], 0 offset:948
	ds_read_b128 v[9:12], v70 offset:1680
	s_waitcnt vmcnt(53) lgkmcnt(1)
	v_mul_f64 v[19:20], v[1:2], v[29:30]
	v_mul_f64 v[29:30], v[3:4], v[29:30]
	s_waitcnt vmcnt(52)
	v_fma_f64 v[41:42], v[5:6], v[109:110], -v[45:46]
	v_add_f64 v[15:16], v[15:16], v[23:24]
	v_fma_f64 v[23:24], v[7:8], v[109:110], v[57:58]
	v_add_f64 v[13:14], v[13:14], v[37:38]
	ds_read_b128 v[5:8], v70 offset:1696
	s_waitcnt vmcnt(51) lgkmcnt(1)
	v_mul_f64 v[45:46], v[11:12], v[51:52]
	v_mul_f64 v[37:38], v[9:10], v[51:52]
	s_waitcnt vmcnt(49)
	v_fma_f64 v[29:30], v[1:2], v[39:40], -v[29:30]
	v_fma_f64 v[19:20], v[3:4], v[39:40], v[19:20]
	v_add_f64 v[15:16], v[15:16], v[41:42]
	v_add_f64 v[13:14], v[13:14], v[23:24]
	s_clause 0x3
	buffer_load_dword v23, off, s[0:3], 0 offset:32
	buffer_load_dword v24, off, s[0:3], 0 offset:36
	;; [unrolled: 1-line block ×4, first 2 shown]
	ds_read_b128 v[1:4], v70 offset:1712
	s_waitcnt vmcnt(49) lgkmcnt(1)
	v_mul_f64 v[41:42], v[5:6], v[35:36]
	v_mul_f64 v[35:36], v[7:8], v[35:36]
	s_waitcnt vmcnt(48)
	v_fma_f64 v[45:46], v[9:10], v[71:72], -v[45:46]
	v_add_f64 v[15:16], v[15:16], v[29:30]
	v_fma_f64 v[29:30], v[11:12], v[71:72], v[37:38]
	v_add_f64 v[13:14], v[13:14], v[19:20]
	ds_read_b128 v[9:12], v70 offset:1728
	s_waitcnt vmcnt(47) lgkmcnt(1)
	v_mul_f64 v[37:38], v[3:4], v[59:60]
	v_mul_f64 v[19:20], v[1:2], v[59:60]
	s_waitcnt vmcnt(45)
	v_fma_f64 v[35:36], v[5:6], v[47:48], -v[35:36]
	v_fma_f64 v[41:42], v[7:8], v[47:48], v[41:42]
	ds_read_b128 v[5:8], v70 offset:1744
	v_add_f64 v[15:16], v[15:16], v[45:46]
	v_add_f64 v[13:14], v[13:14], v[29:30]
	s_waitcnt vmcnt(41) lgkmcnt(1)
	v_mul_f64 v[29:30], v[9:10], v[43:44]
	v_mul_f64 v[43:44], v[11:12], v[43:44]
	s_waitcnt vmcnt(40)
	v_fma_f64 v[37:38], v[1:2], v[65:66], -v[37:38]
	v_fma_f64 v[19:20], v[3:4], v[65:66], v[19:20]
	ds_read_b128 v[1:4], v70 offset:1760
	v_add_f64 v[15:16], v[15:16], v[35:36]
	v_add_f64 v[13:14], v[13:14], v[41:42]
	;; [unrolled: 9-line block ×3, first 2 shown]
	s_waitcnt vmcnt(33) lgkmcnt(1)
	v_mul_f64 v[29:30], v[3:4], v[49:50]
	s_waitcnt vmcnt(32)
	v_fma_f64 v[37:38], v[5:6], v[67:68], -v[41:42]
	v_mul_f64 v[19:20], v[1:2], v[49:50]
	v_fma_f64 v[35:36], v[7:8], v[67:68], v[35:36]
	ds_read_b128 v[5:8], v70 offset:1792
	v_add_f64 v[15:16], v[15:16], v[43:44]
	v_add_f64 v[13:14], v[13:14], v[17:18]
	s_waitcnt vmcnt(31) lgkmcnt(1)
	v_mul_f64 v[41:42], v[11:12], v[63:64]
	v_mul_f64 v[17:18], v[9:10], v[63:64]
	s_waitcnt vmcnt(29)
	v_fma_f64 v[29:30], v[1:2], v[55:56], -v[29:30]
	v_fma_f64 v[19:20], v[3:4], v[55:56], v[19:20]
	ds_read_b128 v[1:4], v70 offset:1808
	v_add_f64 v[15:16], v[15:16], v[37:38]
	v_add_f64 v[13:14], v[13:14], v[35:36]
	s_waitcnt vmcnt(25) lgkmcnt(1)
	v_mul_f64 v[37:38], v[7:8], v[53:54]
	s_waitcnt vmcnt(24)
	v_fma_f64 v[41:42], v[9:10], v[111:112], -v[41:42]
	v_mul_f64 v[35:36], v[5:6], v[53:54]
	v_fma_f64 v[17:18], v[11:12], v[111:112], v[17:18]
	ds_read_b128 v[9:12], v70 offset:1824
	v_add_f64 v[15:16], v[15:16], v[29:30]
	v_add_f64 v[13:14], v[13:14], v[19:20]
	s_waitcnt vmcnt(23) lgkmcnt(1)
	v_mul_f64 v[29:30], v[3:4], v[107:108]
	v_mul_f64 v[19:20], v[1:2], v[107:108]
	s_waitcnt vmcnt(21)
	v_fma_f64 v[37:38], v[5:6], v[27:28], -v[37:38]
	v_fma_f64 v[27:28], v[7:8], v[27:28], v[35:36]
	ds_read_b128 v[5:8], v70 offset:1840
	v_add_f64 v[15:16], v[15:16], v[41:42]
	v_add_f64 v[13:14], v[13:14], v[17:18]
	s_waitcnt vmcnt(17) lgkmcnt(1)
	v_mul_f64 v[17:18], v[9:10], v[21:22]
	v_mul_f64 v[21:22], v[11:12], v[21:22]
	s_waitcnt vmcnt(16)
	v_fma_f64 v[29:30], v[1:2], v[115:116], -v[29:30]
	;; [unrolled: 9-line block ×3, first 2 shown]
	v_fma_f64 v[17:18], v[11:12], v[25:26], v[17:18]
	ds_read_b128 v[9:12], v70 offset:1872
	v_add_f64 v[15:16], v[15:16], v[29:30]
	v_add_f64 v[13:14], v[13:14], v[19:20]
	s_waitcnt vmcnt(9) lgkmcnt(1)
	v_mul_f64 v[25:26], v[3:4], v[33:34]
	s_waitcnt vmcnt(8)
	v_fma_f64 v[5:6], v[5:6], v[119:120], -v[35:36]
	v_mul_f64 v[19:20], v[1:2], v[33:34]
	v_fma_f64 v[7:8], v[7:8], v[119:120], v[27:28]
	v_add_f64 v[15:16], v[15:16], v[21:22]
	v_add_f64 v[13:14], v[13:14], v[17:18]
	s_waitcnt vmcnt(7) lgkmcnt(0)
	v_mul_f64 v[21:22], v[11:12], v[105:106]
	v_mul_f64 v[17:18], v[9:10], v[105:106]
	s_waitcnt vmcnt(5)
	v_fma_f64 v[1:2], v[1:2], v[31:32], -v[25:26]
	v_fma_f64 v[3:4], v[3:4], v[31:32], v[19:20]
	v_add_f64 v[5:6], v[15:16], v[5:6]
	v_add_f64 v[7:8], v[13:14], v[7:8]
	s_waitcnt vmcnt(4)
	v_fma_f64 v[9:10], v[9:10], v[121:122], -v[21:22]
	v_add_f64 v[1:2], v[5:6], v[1:2]
	v_fma_f64 v[5:6], v[11:12], v[121:122], v[17:18]
	v_add_f64 v[3:4], v[7:8], v[3:4]
	v_add_f64 v[1:2], v[1:2], v[9:10]
	;; [unrolled: 1-line block ×3, first 2 shown]
	s_waitcnt vmcnt(2)
	v_add_f64 v[1:2], v[23:24], -v[1:2]
	s_waitcnt vmcnt(0)
	v_add_f64 v[3:4], v[39:40], -v[3:4]
	buffer_store_dword v2, off, s[0:3], 0 offset:36
	buffer_store_dword v1, off, s[0:3], 0 offset:32
	;; [unrolled: 1-line block ×4, first 2 shown]
	v_cmpx_ne_u32_e32 0, v0
	s_cbranch_execz .LBB58_367
; %bb.366:
	s_clause 0x3
	buffer_load_dword v0, off, s[0:3], 0 offset:16
	buffer_load_dword v1, off, s[0:3], 0 offset:20
	;; [unrolled: 1-line block ×4, first 2 shown]
	buffer_store_dword v70, off, s[0:3], 0 offset:16
	buffer_store_dword v70, off, s[0:3], 0 offset:20
	;; [unrolled: 1-line block ×4, first 2 shown]
	s_waitcnt vmcnt(0)
	ds_write_b128 v69, v[0:3]
.LBB58_367:
	s_or_b32 exec_lo, exec_lo, s4
	buffer_store_dword v103, off, s[0:3], 0 offset:984 ; 4-byte Folded Spill
	buffer_store_dword v104, off, s[0:3], 0 offset:988 ; 4-byte Folded Spill
	;; [unrolled: 1-line block ×8, first 2 shown]
	s_waitcnt lgkmcnt(0)
	s_waitcnt_vscnt null, 0x0
	s_barrier
	buffer_gl0_inv
	s_clause 0x37
	buffer_load_dword v16, off, s[0:3], 0 offset:40
	buffer_load_dword v17, off, s[0:3], 0 offset:44
	;; [unrolled: 1-line block ×56, first 2 shown]
	ds_read_b128 v[4:7], v70 offset:960
	s_clause 0x2
	buffer_load_dword v65, off, s[0:3], 0 offset:268
	buffer_load_dword v67, off, s[0:3], 0 offset:244
	;; [unrolled: 1-line block ×3, first 2 shown]
	ds_read_b128 v[0:3], v70 offset:976
	s_clause 0x4
	buffer_load_dword v72, off, s[0:3], 0 offset:284
	buffer_load_dword v109, off, s[0:3], 0 offset:296
	;; [unrolled: 1-line block ×5, first 2 shown]
	ds_read_b128 v[105:108], v70 offset:992
	v_mov_b32_e32 v102, v94
	v_mov_b32_e32 v104, v96
	v_mov_b32_e32 v101, v93
	v_mov_b32_e32 v100, v92
	v_mov_b32_e32 v94, v86
	v_mov_b32_e32 v103, v95
	v_mov_b32_e32 v99, v91
	v_mov_b32_e32 v98, v90
	v_mov_b32_e32 v96, v88
	v_mov_b32_e32 v93, v85
	v_mov_b32_e32 v92, v84
	v_mov_b32_e32 v86, v74
	v_mov_b32_e32 v97, v89
	v_mov_b32_e32 v95, v87
	v_mov_b32_e32 v91, v83
	v_mov_b32_e32 v90, v82
	v_mov_b32_e32 v88, v76
	v_mov_b32_e32 v85, v73
	v_mov_b32_e32 v83, v241
	v_mov_b32_e32 v73, v239
	v_mov_b32_e32 v89, v81
	v_mov_b32_e32 v87, v75
	v_mov_b32_e32 v84, v242
	v_mov_b32_e32 v82, v80
	v_mov_b32_e32 v75, v77
	v_mov_b32_e32 v74, v240
	v_mov_b32_e32 v241, v238
	v_mov_b32_e32 v81, v79
	v_mov_b32_e32 v76, v78
	v_mov_b32_e32 v240, v237
	v_mov_b32_e32 v79, v235
	v_mov_b32_e32 v77, v233
	v_mov_b32_e32 v239, v232
	v_mov_b32_e32 v80, v236
	v_mov_b32_e32 v78, v234
	v_mov_b32_e32 v238, v231
	v_mov_b32_e32 v237, v230
	v_mov_b32_e32 v235, v228
	v_mov_b32_e32 v233, v226
	v_mov_b32_e32 v236, v229
	v_mov_b32_e32 v234, v227
	v_mov_b32_e32 v232, v225
	v_mov_b32_e32 v231, v224
	v_mov_b32_e32 v229, v222
	v_mov_b32_e32 v227, v220
	v_mov_b32_e32 v230, v223
	v_mov_b32_e32 v228, v221
	v_mov_b32_e32 v226, v219
	v_mov_b32_e32 v225, v218
	v_mov_b32_e32 v223, v216
	v_mov_b32_e32 v221, v214
	v_mov_b32_e32 v224, v217
	v_mov_b32_e32 v222, v215
	v_mov_b32_e32 v220, v213
	v_mov_b32_e32 v219, v212
	v_mov_b32_e32 v217, v210
	v_mov_b32_e32 v215, v208
	v_mov_b32_e32 v218, v211
	v_mov_b32_e32 v216, v209
	v_mov_b32_e32 v214, v207
	v_mov_b32_e32 v213, v206
	v_mov_b32_e32 v211, v204
	v_mov_b32_e32 v209, v202
	v_mov_b32_e32 v212, v205
	v_mov_b32_e32 v210, v203
	v_mov_b32_e32 v208, v201
	v_mov_b32_e32 v207, v200
	v_mov_b32_e32 v205, v198
	v_mov_b32_e32 v203, v196
	v_mov_b32_e32 v206, v199
	v_mov_b32_e32 v204, v197
	v_mov_b32_e32 v202, v195
	v_mov_b32_e32 v201, v194
	v_mov_b32_e32 v199, v192
	v_mov_b32_e32 v197, v190
	v_mov_b32_e32 v200, v193
	v_mov_b32_e32 v198, v191
	v_mov_b32_e32 v196, v189
	v_mov_b32_e32 v195, v188
	v_mov_b32_e32 v193, v186
	v_mov_b32_e32 v191, v184
	v_mov_b32_e32 v134, v181
	v_mov_b32_e32 v194, v187
	v_mov_b32_e32 v192, v185
	v_mov_b32_e32 v190, v183
	v_mov_b32_e32 v135, v182
	s_and_b32 vcc_lo, exec_lo, s71
	s_waitcnt vmcnt(62) lgkmcnt(2)
	v_mul_f64 v[68:69], v[6:7], v[16:17]
	v_mul_f64 v[16:17], v[4:5], v[16:17]
	s_waitcnt vmcnt(60) lgkmcnt(1)
	v_mul_f64 v[112:113], v[2:3], v[12:13]
	v_mul_f64 v[12:13], v[0:1], v[12:13]
	;; [unrolled: 3-line block ×3, first 2 shown]
	v_fma_f64 v[68:69], v[4:5], v[14:15], -v[68:69]
	v_fma_f64 v[14:15], v[6:7], v[14:15], v[16:17]
	s_clause 0x2
	buffer_load_dword v110, off, s[0:3], 0 offset:300
	buffer_load_dword v17, off, s[0:3], 0 offset:276
	;; [unrolled: 1-line block ×3, first 2 shown]
	s_waitcnt vmcnt(57)
	v_fma_f64 v[116:117], v[0:1], v[8:9], -v[112:113]
	ds_read_b128 v[4:7], v70 offset:1008
	v_fma_f64 v[8:9], v[2:3], v[8:9], v[12:13]
	s_waitcnt vmcnt(51)
	v_fma_f64 v[105:106], v[105:106], v[32:33], -v[10:11]
	v_fma_f64 v[32:33], v[107:108], v[32:33], v[114:115]
	v_add_f64 v[68:69], v[68:69], 0
	v_add_f64 v[12:13], v[14:15], 0
	s_clause 0x4
	buffer_load_dword v15, off, s[0:3], 0 offset:316
	buffer_load_dword v113, off, s[0:3], 0 offset:328
	;; [unrolled: 1-line block ×5, first 2 shown]
	s_waitcnt lgkmcnt(0)
	v_mul_f64 v[119:120], v[4:5], v[20:21]
	v_mul_f64 v[20:21], v[6:7], v[20:21]
	ds_read_b128 v[0:3], v70 offset:1024
	s_clause 0x2
	buffer_load_dword v114, off, s[0:3], 0 offset:332
	buffer_load_dword v108, off, s[0:3], 0 offset:308
	;; [unrolled: 1-line block ×3, first 2 shown]
	v_add_f64 v[68:69], v[68:69], v[116:117]
	v_add_f64 v[12:13], v[12:13], v[8:9]
	ds_read_b128 v[8:11], v70 offset:1040
	s_waitcnt vmcnt(58) lgkmcnt(1)
	v_mul_f64 v[115:116], v[0:1], v[24:25]
	v_mul_f64 v[24:25], v[2:3], v[24:25]
	s_waitcnt vmcnt(56)
	v_fma_f64 v[20:21], v[4:5], v[26:27], -v[20:21]
	v_fma_f64 v[26:27], v[6:7], v[26:27], v[119:120]
	s_waitcnt vmcnt(52) lgkmcnt(0)
	v_mul_f64 v[121:122], v[8:9], v[28:29]
	v_add_f64 v[68:69], v[68:69], v[105:106]
	v_add_f64 v[12:13], v[12:13], v[32:33]
	s_clause 0x4
	buffer_load_dword v33, off, s[0:3], 0 offset:348
	buffer_load_dword v105, off, s[0:3], 0 offset:360
	;; [unrolled: 1-line block ×5, first 2 shown]
	v_mul_f64 v[28:29], v[10:11], v[28:29]
	s_waitcnt vmcnt(56)
	v_fma_f64 v[24:25], v[0:1], v[18:19], -v[24:25]
	ds_read_b128 v[4:7], v70 offset:1056
	v_fma_f64 v[18:19], v[2:3], v[18:19], v[115:116]
	v_add_f64 v[20:21], v[68:69], v[20:21]
	v_add_f64 v[12:13], v[12:13], v[26:27]
	s_clause 0x2
	buffer_load_dword v106, off, s[0:3], 0 offset:364
	buffer_load_dword v27, off, s[0:3], 0 offset:340
	;; [unrolled: 1-line block ×3, first 2 shown]
	s_waitcnt vmcnt(58) lgkmcnt(0)
	v_mul_f64 v[68:69], v[4:5], v[34:35]
	v_mul_f64 v[34:35], v[6:7], v[34:35]
	s_waitcnt vmcnt(56)
	v_fma_f64 v[28:29], v[8:9], v[36:37], -v[28:29]
	ds_read_b128 v[0:3], v70 offset:1072
	v_add_f64 v[20:21], v[20:21], v[24:25]
	v_fma_f64 v[24:25], v[10:11], v[36:37], v[121:122]
	v_add_f64 v[12:13], v[12:13], v[18:19]
	s_clause 0x4
	buffer_load_dword v19, off, s[0:3], 0 offset:380
	buffer_load_dword v36, off, s[0:3], 0 offset:392
	;; [unrolled: 1-line block ×5, first 2 shown]
	s_waitcnt vmcnt(57) lgkmcnt(0)
	v_mul_f64 v[116:117], v[0:1], v[38:39]
	v_mul_f64 v[38:39], v[2:3], v[38:39]
	s_waitcnt vmcnt(56)
	v_fma_f64 v[34:35], v[4:5], v[22:23], -v[34:35]
	ds_read_b128 v[8:11], v70 offset:1088
	v_fma_f64 v[22:23], v[6:7], v[22:23], v[68:69]
	v_add_f64 v[20:21], v[20:21], v[28:29]
	v_add_f64 v[12:13], v[12:13], v[24:25]
	s_clause 0x2
	buffer_load_dword v37, off, s[0:3], 0 offset:396
	buffer_load_dword v25, off, s[0:3], 0 offset:372
	;; [unrolled: 1-line block ×3, first 2 shown]
	ds_read_b128 v[4:7], v70 offset:1104
	s_waitcnt vmcnt(58) lgkmcnt(1)
	v_mul_f64 v[28:29], v[8:9], v[42:43]
	v_mul_f64 v[42:43], v[10:11], v[42:43]
	s_waitcnt vmcnt(56)
	v_fma_f64 v[38:39], v[0:1], v[44:45], -v[38:39]
	v_add_f64 v[20:21], v[20:21], v[34:35]
	v_fma_f64 v[34:35], v[2:3], v[44:45], v[116:117]
	v_add_f64 v[12:13], v[12:13], v[22:23]
	s_clause 0x4
	buffer_load_dword v23, off, s[0:3], 0 offset:412
	buffer_load_dword v44, off, s[0:3], 0 offset:424
	buffer_load_dword v68, off, s[0:3], 0 offset:416
	buffer_load_dword v22, off, s[0:3], 0 offset:408
	buffer_load_dword v116, off, s[0:3], 0 offset:388
	s_waitcnt vmcnt(57) lgkmcnt(0)
	v_mul_f64 v[122:123], v[4:5], v[46:47]
	v_mul_f64 v[46:47], v[6:7], v[46:47]
	s_waitcnt vmcnt(56)
	v_fma_f64 v[42:43], v[8:9], v[30:31], -v[42:43]
	ds_read_b128 v[0:3], v70 offset:1120
	v_fma_f64 v[28:29], v[10:11], v[30:31], v[28:29]
	s_clause 0x2
	buffer_load_dword v45, off, s[0:3], 0 offset:428
	buffer_load_dword v31, off, s[0:3], 0 offset:404
	;; [unrolled: 1-line block ×3, first 2 shown]
	ds_read_b128 v[8:11], v70 offset:1136
	v_add_f64 v[20:21], v[20:21], v[38:39]
	v_add_f64 v[12:13], v[12:13], v[34:35]
	s_waitcnt vmcnt(58) lgkmcnt(1)
	v_mul_f64 v[38:39], v[2:3], v[50:51]
	s_waitcnt vmcnt(56)
	v_fma_f64 v[46:47], v[4:5], v[52:53], -v[46:47]
	v_mul_f64 v[34:35], v[0:1], v[50:51]
	v_add_f64 v[20:21], v[20:21], v[42:43]
	v_fma_f64 v[42:43], v[6:7], v[52:53], v[122:123]
	v_add_f64 v[12:13], v[12:13], v[28:29]
	s_clause 0x4
	buffer_load_dword v29, off, s[0:3], 0 offset:444
	buffer_load_dword v50, off, s[0:3], 0 offset:456
	buffer_load_dword v52, off, s[0:3], 0 offset:448
	buffer_load_dword v28, off, s[0:3], 0 offset:440
	buffer_load_dword v69, off, s[0:3], 0 offset:420
	s_waitcnt vmcnt(57) lgkmcnt(0)
	v_mul_f64 v[122:123], v[8:9], v[54:55]
	v_mul_f64 v[53:54], v[10:11], v[54:55]
	s_waitcnt vmcnt(56)
	v_fma_f64 v[38:39], v[0:1], v[40:41], -v[38:39]
	ds_read_b128 v[4:7], v70 offset:1152
	v_fma_f64 v[34:35], v[2:3], v[40:41], v[34:35]
	s_clause 0x2
	buffer_load_dword v51, off, s[0:3], 0 offset:460
	buffer_load_dword v41, off, s[0:3], 0 offset:436
	;; [unrolled: 1-line block ×3, first 2 shown]
	ds_read_b128 v[0:3], v70 offset:1168
	v_add_f64 v[20:21], v[20:21], v[46:47]
	v_add_f64 v[12:13], v[12:13], v[42:43]
	s_waitcnt vmcnt(58) lgkmcnt(1)
	v_mul_f64 v[46:47], v[6:7], v[58:59]
	s_waitcnt vmcnt(56)
	v_fma_f64 v[54:55], v[8:9], v[60:61], -v[53:54]
	v_mul_f64 v[42:43], v[4:5], v[58:59]
	v_add_f64 v[20:21], v[20:21], v[38:39]
	v_fma_f64 v[38:39], v[10:11], v[60:61], v[122:123]
	v_add_f64 v[12:13], v[12:13], v[34:35]
	s_clause 0x4
	buffer_load_dword v35, off, s[0:3], 0 offset:476
	buffer_load_dword v58, off, s[0:3], 0 offset:488
	;; [unrolled: 1-line block ×5, first 2 shown]
	s_waitcnt vmcnt(57) lgkmcnt(0)
	v_mul_f64 v[122:123], v[0:1], v[62:63]
	v_mul_f64 v[61:62], v[2:3], v[62:63]
	s_waitcnt vmcnt(56)
	v_fma_f64 v[46:47], v[4:5], v[48:49], -v[46:47]
	ds_read_b128 v[8:11], v70 offset:1184
	v_fma_f64 v[42:43], v[6:7], v[48:49], v[42:43]
	v_add_f64 v[20:21], v[20:21], v[54:55]
	v_add_f64 v[12:13], v[12:13], v[38:39]
	s_clause 0x2
	buffer_load_dword v59, off, s[0:3], 0 offset:492
	buffer_load_dword v39, off, s[0:3], 0 offset:468
	;; [unrolled: 1-line block ×3, first 2 shown]
	ds_read_b128 v[4:7], v70 offset:1200
	s_waitcnt vmcnt(58) lgkmcnt(1)
	v_mul_f64 v[54:55], v[10:11], v[64:65]
	s_waitcnt vmcnt(56)
	v_fma_f64 v[62:63], v[0:1], v[66:67], -v[61:62]
	v_mul_f64 v[48:49], v[8:9], v[64:65]
	v_add_f64 v[20:21], v[20:21], v[46:47]
	v_fma_f64 v[46:47], v[2:3], v[66:67], v[122:123]
	v_add_f64 v[12:13], v[12:13], v[42:43]
	s_clause 0x4
	buffer_load_dword v43, off, s[0:3], 0 offset:508
	buffer_load_dword v64, off, s[0:3], 0 offset:520
	;; [unrolled: 1-line block ×5, first 2 shown]
	s_waitcnt vmcnt(57) lgkmcnt(0)
	v_mul_f64 v[122:123], v[4:5], v[71:72]
	v_mul_f64 v[71:72], v[6:7], v[71:72]
	s_waitcnt vmcnt(56)
	v_fma_f64 v[54:55], v[8:9], v[56:57], -v[54:55]
	ds_read_b128 v[0:3], v70 offset:1216
	v_fma_f64 v[48:49], v[10:11], v[56:57], v[48:49]
	v_add_f64 v[20:21], v[20:21], v[62:63]
	v_add_f64 v[12:13], v[12:13], v[46:47]
	s_clause 0x2
	buffer_load_dword v65, off, s[0:3], 0 offset:524
	buffer_load_dword v47, off, s[0:3], 0 offset:500
	;; [unrolled: 1-line block ×3, first 2 shown]
	ds_read_b128 v[8:11], v70 offset:1232
	s_waitcnt vmcnt(58) lgkmcnt(1)
	v_mul_f64 v[62:63], v[2:3], v[109:110]
	v_mul_f64 v[56:57], v[0:1], v[109:110]
	s_waitcnt vmcnt(56)
	v_fma_f64 v[71:72], v[4:5], v[16:17], -v[71:72]
	v_fma_f64 v[16:17], v[6:7], v[16:17], v[122:123]
	v_add_f64 v[20:21], v[20:21], v[54:55]
	v_add_f64 v[12:13], v[12:13], v[48:49]
	s_clause 0x4
	buffer_load_dword v49, off, s[0:3], 0 offset:540
	buffer_load_dword v54, off, s[0:3], 0 offset:552
	;; [unrolled: 1-line block ×5, first 2 shown]
	ds_read_b128 v[4:7], v70 offset:1248
	s_waitcnt vmcnt(57) lgkmcnt(1)
	v_mul_f64 v[122:123], v[8:9], v[14:15]
	v_mul_f64 v[14:15], v[10:11], v[14:15]
	s_waitcnt vmcnt(56)
	v_fma_f64 v[62:63], v[0:1], v[111:112], -v[62:63]
	v_fma_f64 v[56:57], v[2:3], v[111:112], v[56:57]
	v_add_f64 v[20:21], v[20:21], v[71:72]
	v_add_f64 v[12:13], v[12:13], v[16:17]
	s_clause 0x2
	buffer_load_dword v55, off, s[0:3], 0 offset:556
	buffer_load_dword v17, off, s[0:3], 0 offset:532
	;; [unrolled: 1-line block ×3, first 2 shown]
	s_waitcnt vmcnt(58) lgkmcnt(0)
	v_mul_f64 v[111:112], v[6:7], v[113:114]
	ds_read_b128 v[0:3], v70 offset:1264
	v_mul_f64 v[71:72], v[4:5], v[113:114]
	s_waitcnt vmcnt(56)
	v_fma_f64 v[14:15], v[8:9], v[107:108], -v[14:15]
	v_add_f64 v[20:21], v[20:21], v[62:63]
	v_fma_f64 v[62:63], v[10:11], v[107:108], v[122:123]
	v_add_f64 v[12:13], v[12:13], v[56:57]
	s_clause 0x4
	buffer_load_dword v57, off, s[0:3], 0 offset:572
	buffer_load_dword v107, off, s[0:3], 0 offset:584
	;; [unrolled: 1-line block ×5, first 2 shown]
	ds_read_b128 v[8:11], v70 offset:1280
	s_waitcnt vmcnt(57) lgkmcnt(1)
	v_mul_f64 v[122:123], v[0:1], v[32:33]
	v_mul_f64 v[32:33], v[2:3], v[32:33]
	s_waitcnt vmcnt(56)
	v_fma_f64 v[111:112], v[4:5], v[118:119], -v[111:112]
	v_add_f64 v[14:15], v[20:21], v[14:15]
	v_fma_f64 v[20:21], v[6:7], v[118:119], v[71:72]
	v_add_f64 v[12:13], v[12:13], v[62:63]
	s_clause 0x2
	buffer_load_dword v108, off, s[0:3], 0 offset:588
	buffer_load_dword v63, off, s[0:3], 0 offset:564
	buffer_load_dword v62, off, s[0:3], 0 offset:560
	ds_read_b128 v[4:7], v70 offset:1296
	s_waitcnt vmcnt(58) lgkmcnt(1)
	v_mul_f64 v[71:72], v[8:9], v[105:106]
	v_mul_f64 v[105:106], v[10:11], v[105:106]
	s_waitcnt vmcnt(56)
	v_fma_f64 v[32:33], v[0:1], v[26:27], -v[32:33]
	v_fma_f64 v[26:27], v[2:3], v[26:27], v[122:123]
	v_add_f64 v[14:15], v[14:15], v[111:112]
	v_add_f64 v[12:13], v[12:13], v[20:21]
	s_clause 0x4
	buffer_load_dword v21, off, s[0:3], 0 offset:604
	buffer_load_dword v111, off, s[0:3], 0 offset:616
	;; [unrolled: 1-line block ×5, first 2 shown]
	ds_read_b128 v[0:3], v70 offset:1312
	s_waitcnt vmcnt(57) lgkmcnt(1)
	v_mul_f64 v[118:119], v[4:5], v[18:19]
	v_mul_f64 v[18:19], v[6:7], v[18:19]
	s_waitcnt vmcnt(56)
	v_fma_f64 v[105:106], v[8:9], v[120:121], -v[105:106]
	v_add_f64 v[14:15], v[14:15], v[32:33]
	v_fma_f64 v[32:33], v[10:11], v[120:121], v[71:72]
	v_add_f64 v[12:13], v[12:13], v[26:27]
	s_clause 0x2
	buffer_load_dword v112, off, s[0:3], 0 offset:620
	buffer_load_dword v27, off, s[0:3], 0 offset:596
	;; [unrolled: 1-line block ×3, first 2 shown]
	ds_read_b128 v[8:11], v70 offset:1328
	s_waitcnt vmcnt(58) lgkmcnt(1)
	v_mul_f64 v[71:72], v[0:1], v[36:37]
	v_mul_f64 v[36:37], v[2:3], v[36:37]
	s_waitcnt vmcnt(56)
	v_fma_f64 v[18:19], v[4:5], v[24:25], -v[18:19]
	v_fma_f64 v[24:25], v[6:7], v[24:25], v[118:119]
	v_add_f64 v[14:15], v[14:15], v[105:106]
	v_add_f64 v[12:13], v[12:13], v[32:33]
	s_clause 0x4
	buffer_load_dword v33, off, s[0:3], 0 offset:636
	buffer_load_dword v105, off, s[0:3], 0 offset:648
	buffer_load_dword v119, off, s[0:3], 0 offset:640
	buffer_load_dword v32, off, s[0:3], 0 offset:632
	buffer_load_dword v118, off, s[0:3], 0 offset:612
	ds_read_b128 v[4:7], v70 offset:1344
	s_waitcnt vmcnt(57) lgkmcnt(1)
	v_mul_f64 v[120:121], v[8:9], v[22:23]
	v_mul_f64 v[22:23], v[10:11], v[22:23]
	s_waitcnt vmcnt(56)
	v_fma_f64 v[36:37], v[0:1], v[115:116], -v[36:37]
	v_add_f64 v[14:15], v[14:15], v[18:19]
	v_fma_f64 v[18:19], v[2:3], v[115:116], v[71:72]
	v_add_f64 v[12:13], v[12:13], v[24:25]
	s_clause 0x2
	buffer_load_dword v106, off, s[0:3], 0 offset:652
	buffer_load_dword v25, off, s[0:3], 0 offset:628
	;; [unrolled: 1-line block ×3, first 2 shown]
	s_waitcnt vmcnt(58) lgkmcnt(0)
	v_mul_f64 v[71:72], v[4:5], v[44:45]
	v_mul_f64 v[44:45], v[6:7], v[44:45]
	ds_read_b128 v[0:3], v70 offset:1360
	s_waitcnt vmcnt(56)
	v_fma_f64 v[22:23], v[8:9], v[30:31], -v[22:23]
	v_fma_f64 v[30:31], v[10:11], v[30:31], v[120:121]
	v_add_f64 v[14:15], v[14:15], v[36:37]
	v_add_f64 v[12:13], v[12:13], v[18:19]
	s_clause 0x4
	buffer_load_dword v19, off, s[0:3], 0 offset:668
	buffer_load_dword v36, off, s[0:3], 0 offset:680
	;; [unrolled: 1-line block ×5, first 2 shown]
	ds_read_b128 v[8:11], v70 offset:1376
	s_waitcnt vmcnt(57) lgkmcnt(1)
	v_mul_f64 v[121:122], v[0:1], v[28:29]
	v_mul_f64 v[28:29], v[2:3], v[28:29]
	s_waitcnt vmcnt(56)
	v_fma_f64 v[44:45], v[4:5], v[68:69], -v[44:45]
	v_add_f64 v[14:15], v[14:15], v[22:23]
	v_fma_f64 v[22:23], v[6:7], v[68:69], v[71:72]
	v_add_f64 v[12:13], v[12:13], v[30:31]
	s_clause 0x2
	buffer_load_dword v37, off, s[0:3], 0 offset:684
	buffer_load_dword v31, off, s[0:3], 0 offset:660
	;; [unrolled: 1-line block ×3, first 2 shown]
	s_waitcnt vmcnt(58) lgkmcnt(0)
	v_mul_f64 v[68:69], v[8:9], v[50:51]
	v_mul_f64 v[50:51], v[10:11], v[50:51]
	ds_read_b128 v[4:7], v70 offset:1392
	s_waitcnt vmcnt(56)
	v_fma_f64 v[28:29], v[0:1], v[40:41], -v[28:29]
	v_fma_f64 v[40:41], v[2:3], v[40:41], v[121:122]
	v_add_f64 v[14:15], v[14:15], v[44:45]
	v_add_f64 v[12:13], v[12:13], v[22:23]
	s_clause 0x4
	buffer_load_dword v23, off, s[0:3], 0 offset:700
	buffer_load_dword v44, off, s[0:3], 0 offset:712
	buffer_load_dword v71, off, s[0:3], 0 offset:704
	buffer_load_dword v22, off, s[0:3], 0 offset:696
	buffer_load_dword v116, off, s[0:3], 0 offset:676
	ds_read_b128 v[0:3], v70 offset:1408
	s_waitcnt vmcnt(57) lgkmcnt(1)
	v_mul_f64 v[121:122], v[4:5], v[34:35]
	v_mul_f64 v[34:35], v[6:7], v[34:35]
	s_waitcnt vmcnt(56)
	v_fma_f64 v[50:51], v[8:9], v[52:53], -v[50:51]
	v_add_f64 v[14:15], v[14:15], v[28:29]
	v_fma_f64 v[28:29], v[10:11], v[52:53], v[68:69]
	v_add_f64 v[12:13], v[12:13], v[40:41]
	s_clause 0x2
	buffer_load_dword v45, off, s[0:3], 0 offset:716
	buffer_load_dword v41, off, s[0:3], 0 offset:692
	buffer_load_dword v40, off, s[0:3], 0 offset:688
	ds_read_b128 v[8:11], v70 offset:1424
	s_waitcnt vmcnt(58) lgkmcnt(1)
	v_mul_f64 v[52:53], v[0:1], v[58:59]
	v_mul_f64 v[58:59], v[2:3], v[58:59]
	s_waitcnt vmcnt(56)
	v_fma_f64 v[34:35], v[4:5], v[38:39], -v[34:35]
	v_fma_f64 v[38:39], v[6:7], v[38:39], v[121:122]
	v_add_f64 v[14:15], v[14:15], v[50:51]
	v_add_f64 v[12:13], v[12:13], v[28:29]
	s_clause 0x4
	buffer_load_dword v29, off, s[0:3], 0 offset:732
	buffer_load_dword v50, off, s[0:3], 0 offset:744
	buffer_load_dword v68, off, s[0:3], 0 offset:736
	buffer_load_dword v28, off, s[0:3], 0 offset:728
	buffer_load_dword v72, off, s[0:3], 0 offset:708
	ds_read_b128 v[4:7], v70 offset:1440
	s_waitcnt vmcnt(57) lgkmcnt(1)
	v_mul_f64 v[121:122], v[8:9], v[42:43]
	v_mul_f64 v[42:43], v[10:11], v[42:43]
	s_waitcnt vmcnt(56)
	v_fma_f64 v[58:59], v[0:1], v[60:61], -v[58:59]
	v_add_f64 v[14:15], v[14:15], v[34:35]
	v_fma_f64 v[34:35], v[2:3], v[60:61], v[52:53]
	v_add_f64 v[12:13], v[12:13], v[38:39]
	s_clause 0x2
	buffer_load_dword v51, off, s[0:3], 0 offset:748
	buffer_load_dword v39, off, s[0:3], 0 offset:724
	buffer_load_dword v38, off, s[0:3], 0 offset:720
	ds_read_b128 v[0:3], v70 offset:1456
	s_waitcnt vmcnt(58) lgkmcnt(1)
	v_mul_f64 v[60:61], v[6:7], v[64:65]
	v_mul_f64 v[52:53], v[4:5], v[64:65]
	;; [unrolled: 28-line block ×4, first 2 shown]
	s_waitcnt vmcnt(56)
	v_fma_f64 v[56:57], v[4:5], v[62:63], -v[56:57]
	v_add_f64 v[14:15], v[14:15], v[54:55]
	v_fma_f64 v[54:55], v[6:7], v[62:63], v[121:122]
	v_add_f64 v[12:13], v[12:13], v[48:49]
	s_clause 0x4
	buffer_load_dword v49, off, s[0:3], 0 offset:828
	buffer_load_dword v62, off, s[0:3], 0 offset:840
	;; [unrolled: 1-line block ×5, first 2 shown]
	ds_read_b128 v[4:7], v70 offset:1536
	s_waitcnt vmcnt(57) lgkmcnt(1)
	v_mul_f64 v[121:122], v[8:9], v[20:21]
	v_mul_f64 v[20:21], v[10:11], v[20:21]
	s_waitcnt vmcnt(56)
	v_fma_f64 v[107:108], v[0:1], v[113:114], -v[107:108]
	v_fma_f64 v[52:53], v[2:3], v[113:114], v[52:53]
	v_add_f64 v[14:15], v[14:15], v[56:57]
	v_add_f64 v[12:13], v[12:13], v[54:55]
	s_clause 0x2
	buffer_load_dword v63, off, s[0:3], 0 offset:844
	buffer_load_dword v55, off, s[0:3], 0 offset:820
	buffer_load_dword v54, off, s[0:3], 0 offset:816
	ds_read_b128 v[0:3], v70 offset:1552
	s_waitcnt vmcnt(58) lgkmcnt(1)
	v_mul_f64 v[56:57], v[4:5], v[111:112]
	v_mul_f64 v[111:112], v[6:7], v[111:112]
	s_waitcnt vmcnt(56)
	v_fma_f64 v[20:21], v[8:9], v[26:27], -v[20:21]
	v_fma_f64 v[26:27], v[10:11], v[26:27], v[121:122]
	v_add_f64 v[14:15], v[14:15], v[107:108]
	v_add_f64 v[12:13], v[12:13], v[52:53]
	s_clause 0x4
	buffer_load_dword v53, off, s[0:3], 0 offset:860
	buffer_load_dword v107, off, s[0:3], 0 offset:872
	buffer_load_dword v113, off, s[0:3], 0 offset:864
	buffer_load_dword v52, off, s[0:3], 0 offset:856
	buffer_load_dword v110, off, s[0:3], 0 offset:836
	ds_read_b128 v[8:11], v70 offset:1568
	s_waitcnt vmcnt(57) lgkmcnt(1)
	v_mul_f64 v[121:122], v[0:1], v[32:33]
	v_mul_f64 v[32:33], v[2:3], v[32:33]
	s_waitcnt vmcnt(56)
	v_fma_f64 v[111:112], v[4:5], v[117:118], -v[111:112]
	v_add_f64 v[14:15], v[14:15], v[20:21]
	v_fma_f64 v[20:21], v[6:7], v[117:118], v[56:57]
	v_add_f64 v[12:13], v[12:13], v[26:27]
	s_clause 0x2
	buffer_load_dword v108, off, s[0:3], 0 offset:876
	buffer_load_dword v27, off, s[0:3], 0 offset:852
	buffer_load_dword v26, off, s[0:3], 0 offset:848
	ds_read_b128 v[4:7], v70 offset:1584
	s_waitcnt vmcnt(58) lgkmcnt(1)
	v_mul_f64 v[56:57], v[8:9], v[105:106]
	v_mul_f64 v[105:106], v[10:11], v[105:106]
	s_waitcnt vmcnt(56)
	v_fma_f64 v[32:33], v[0:1], v[24:25], -v[32:33]
	v_fma_f64 v[24:25], v[2:3], v[24:25], v[121:122]
	v_add_f64 v[14:15], v[14:15], v[111:112]
	v_add_f64 v[12:13], v[12:13], v[20:21]
	s_clause 0x4
	buffer_load_dword v21, off, s[0:3], 0 offset:892
	buffer_load_dword v111, off, s[0:3], 0 offset:904
	buffer_load_dword v117, off, s[0:3], 0 offset:896
	buffer_load_dword v20, off, s[0:3], 0 offset:888
	buffer_load_dword v114, off, s[0:3], 0 offset:868
	ds_read_b128 v[0:3], v70 offset:1600
	s_waitcnt vmcnt(57) lgkmcnt(1)
	v_mul_f64 v[121:122], v[4:5], v[18:19]
	v_mul_f64 v[18:19], v[6:7], v[18:19]
	s_waitcnt vmcnt(56)
	v_fma_f64 v[105:106], v[8:9], v[119:120], -v[105:106]
	v_add_f64 v[14:15], v[14:15], v[32:33]
	v_fma_f64 v[32:33], v[10:11], v[119:120], v[56:57]
	;; [unrolled: 28-line block ×3, first 2 shown]
	v_add_f64 v[12:13], v[12:13], v[30:31]
	s_clause 0x2
	buffer_load_dword v106, off, s[0:3], 0 offset:940
	buffer_load_dword v31, off, s[0:3], 0 offset:916
	;; [unrolled: 1-line block ×3, first 2 shown]
	ds_read_b128 v[0:3], v70 offset:1648
	s_waitcnt vmcnt(58) lgkmcnt(1)
	v_mul_f64 v[56:57], v[4:5], v[44:45]
	v_mul_f64 v[44:45], v[6:7], v[44:45]
	s_waitcnt vmcnt(56)
	v_fma_f64 v[22:23], v[8:9], v[40:41], -v[22:23]
	v_add_f64 v[14:15], v[14:15], v[36:37]
	v_fma_f64 v[36:37], v[10:11], v[40:41], v[120:121]
	v_add_f64 v[12:13], v[12:13], v[18:19]
	s_clause 0x2
	buffer_load_dword v19, off, s[0:3], 0 offset:956
	buffer_load_dword v18, off, s[0:3], 0 offset:952
	;; [unrolled: 1-line block ×3, first 2 shown]
	ds_read_b128 v[8:11], v70 offset:1664
	s_waitcnt vmcnt(55) lgkmcnt(1)
	v_mul_f64 v[40:41], v[0:1], v[28:29]
	v_mul_f64 v[28:29], v[2:3], v[28:29]
	s_waitcnt vmcnt(54)
	v_fma_f64 v[44:45], v[4:5], v[71:72], -v[44:45]
	v_add_f64 v[14:15], v[14:15], v[22:23]
	v_fma_f64 v[22:23], v[6:7], v[71:72], v[56:57]
	v_add_f64 v[12:13], v[12:13], v[36:37]
	s_clause 0x1
	buffer_load_dword v37, off, s[0:3], 0 offset:948
	buffer_load_dword v36, off, s[0:3], 0 offset:944
	ds_read_b128 v[4:7], v70 offset:1680
	s_waitcnt vmcnt(55) lgkmcnt(1)
	v_mul_f64 v[56:57], v[8:9], v[50:51]
	v_mul_f64 v[50:51], v[10:11], v[50:51]
	s_waitcnt vmcnt(53)
	v_fma_f64 v[28:29], v[0:1], v[38:39], -v[28:29]
	v_fma_f64 v[38:39], v[2:3], v[38:39], v[40:41]
	ds_read_b128 v[0:3], v70 offset:1696
	v_add_f64 v[14:15], v[14:15], v[44:45]
	v_add_f64 v[12:13], v[12:13], v[22:23]
	s_waitcnt vmcnt(49) lgkmcnt(1)
	v_mul_f64 v[22:23], v[4:5], v[34:35]
	v_mul_f64 v[34:35], v[6:7], v[34:35]
	s_waitcnt vmcnt(48)
	v_fma_f64 v[40:41], v[8:9], v[68:69], -v[50:51]
	v_add_f64 v[14:15], v[14:15], v[28:29]
	v_fma_f64 v[28:29], v[10:11], v[68:69], v[56:57]
	v_add_f64 v[12:13], v[12:13], v[38:39]
	s_clause 0x3
	buffer_load_dword v38, off, s[0:3], 0 offset:16
	buffer_load_dword v39, off, s[0:3], 0 offset:20
	;; [unrolled: 1-line block ×4, first 2 shown]
	ds_read_b128 v[8:11], v70 offset:1712
	s_waitcnt vmcnt(51) lgkmcnt(1)
	v_mul_f64 v[56:57], v[2:3], v[58:59]
	v_mul_f64 v[50:51], v[0:1], v[58:59]
	s_waitcnt vmcnt(49)
	v_fma_f64 v[34:35], v[4:5], v[46:47], -v[34:35]
	v_fma_f64 v[22:23], v[6:7], v[46:47], v[22:23]
	ds_read_b128 v[4:7], v70 offset:1728
	v_add_f64 v[14:15], v[14:15], v[40:41]
	v_add_f64 v[12:13], v[12:13], v[28:29]
	s_waitcnt vmcnt(45) lgkmcnt(1)
	v_mul_f64 v[28:29], v[8:9], v[42:43]
	v_mul_f64 v[40:41], v[10:11], v[42:43]
	s_waitcnt vmcnt(44)
	v_fma_f64 v[42:43], v[0:1], v[64:65], -v[56:57]
	v_add_f64 v[14:15], v[14:15], v[34:35]
	v_fma_f64 v[34:35], v[2:3], v[64:65], v[50:51]
	v_add_f64 v[12:13], v[12:13], v[22:23]
	ds_read_b128 v[0:3], v70 offset:1744
	s_waitcnt vmcnt(43) lgkmcnt(1)
	v_mul_f64 v[46:47], v[6:7], v[60:61]
	v_mul_f64 v[22:23], v[4:5], v[60:61]
	s_waitcnt vmcnt(41)
	v_fma_f64 v[40:41], v[8:9], v[16:17], -v[40:41]
	v_fma_f64 v[16:17], v[10:11], v[16:17], v[28:29]
	ds_read_b128 v[8:11], v70 offset:1760
	v_add_f64 v[14:15], v[14:15], v[42:43]
	v_add_f64 v[12:13], v[12:13], v[34:35]
	s_waitcnt vmcnt(37) lgkmcnt(1)
	v_mul_f64 v[34:35], v[2:3], v[48:49]
	s_waitcnt vmcnt(36)
	v_fma_f64 v[42:43], v[4:5], v[66:67], -v[46:47]
	v_mul_f64 v[28:29], v[0:1], v[48:49]
	v_fma_f64 v[22:23], v[6:7], v[66:67], v[22:23]
	ds_read_b128 v[4:7], v70 offset:1776
	v_add_f64 v[14:15], v[14:15], v[40:41]
	v_add_f64 v[12:13], v[12:13], v[16:17]
	s_waitcnt vmcnt(35) lgkmcnt(1)
	v_mul_f64 v[40:41], v[10:11], v[62:63]
	v_mul_f64 v[16:17], v[8:9], v[62:63]
	s_waitcnt vmcnt(33)
	v_fma_f64 v[34:35], v[0:1], v[54:55], -v[34:35]
	v_fma_f64 v[28:29], v[2:3], v[54:55], v[28:29]
	ds_read_b128 v[0:3], v70 offset:1792
	v_add_f64 v[14:15], v[14:15], v[42:43]
	v_add_f64 v[12:13], v[12:13], v[22:23]
	s_waitcnt vmcnt(29) lgkmcnt(1)
	v_mul_f64 v[42:43], v[6:7], v[52:53]
	s_waitcnt vmcnt(28)
	v_fma_f64 v[40:41], v[8:9], v[109:110], -v[40:41]
	v_mul_f64 v[22:23], v[4:5], v[52:53]
	v_fma_f64 v[16:17], v[10:11], v[109:110], v[16:17]
	ds_read_b128 v[8:11], v70 offset:1808
	v_add_f64 v[14:15], v[14:15], v[34:35]
	v_add_f64 v[12:13], v[12:13], v[28:29]
	s_waitcnt vmcnt(27) lgkmcnt(1)
	v_mul_f64 v[34:35], v[2:3], v[107:108]
	v_mul_f64 v[28:29], v[0:1], v[107:108]
	s_waitcnt vmcnt(25)
	v_fma_f64 v[42:43], v[4:5], v[26:27], -v[42:43]
	v_fma_f64 v[22:23], v[6:7], v[26:27], v[22:23]
	ds_read_b128 v[4:7], v70 offset:1824
	v_add_f64 v[14:15], v[14:15], v[40:41]
	v_add_f64 v[12:13], v[12:13], v[16:17]
	s_waitcnt vmcnt(21) lgkmcnt(1)
	v_mul_f64 v[16:17], v[8:9], v[20:21]
	v_mul_f64 v[20:21], v[10:11], v[20:21]
	s_waitcnt vmcnt(20)
	v_fma_f64 v[26:27], v[0:1], v[113:114], -v[34:35]
	;; [unrolled: 9-line block ×3, first 2 shown]
	v_fma_f64 v[16:17], v[10:11], v[24:25], v[16:17]
	ds_read_b128 v[8:11], v70 offset:1856
	v_add_f64 v[14:15], v[14:15], v[26:27]
	v_add_f64 v[12:13], v[12:13], v[28:29]
	s_waitcnt vmcnt(13) lgkmcnt(1)
	v_mul_f64 v[26:27], v[2:3], v[32:33]
	s_waitcnt vmcnt(12)
	v_fma_f64 v[28:29], v[4:5], v[117:118], -v[34:35]
	v_mul_f64 v[24:25], v[0:1], v[32:33]
	v_add_f64 v[14:15], v[14:15], v[20:21]
	v_fma_f64 v[20:21], v[6:7], v[117:118], v[22:23]
	v_add_f64 v[12:13], v[12:13], v[16:17]
	ds_read_b128 v[4:7], v70 offset:1872
	s_waitcnt vmcnt(11) lgkmcnt(1)
	v_mul_f64 v[22:23], v[10:11], v[105:106]
	v_mul_f64 v[16:17], v[8:9], v[105:106]
	s_waitcnt vmcnt(9)
	v_fma_f64 v[0:1], v[0:1], v[30:31], -v[26:27]
	v_fma_f64 v[2:3], v[2:3], v[30:31], v[24:25]
	v_add_f64 v[14:15], v[14:15], v[28:29]
	v_add_f64 v[12:13], v[12:13], v[20:21]
	s_waitcnt vmcnt(7) lgkmcnt(0)
	v_mul_f64 v[20:21], v[4:5], v[18:19]
	v_mul_f64 v[18:19], v[6:7], v[18:19]
	s_waitcnt vmcnt(6)
	v_fma_f64 v[8:9], v[8:9], v[119:120], -v[22:23]
	v_fma_f64 v[10:11], v[10:11], v[119:120], v[16:17]
	v_add_f64 v[0:1], v[14:15], v[0:1]
	v_add_f64 v[2:3], v[12:13], v[2:3]
	s_waitcnt vmcnt(4)
	v_fma_f64 v[4:5], v[4:5], v[36:37], -v[18:19]
	v_fma_f64 v[6:7], v[6:7], v[36:37], v[20:21]
	v_add_f64 v[0:1], v[0:1], v[8:9]
	v_add_f64 v[2:3], v[2:3], v[10:11]
	v_add_f64 v[0:1], v[0:1], v[4:5]
	v_add_f64 v[2:3], v[2:3], v[6:7]
	s_waitcnt vmcnt(2)
	v_add_f64 v[0:1], v[38:39], -v[0:1]
	s_waitcnt vmcnt(0)
	v_add_f64 v[2:3], v[44:45], -v[2:3]
	buffer_store_dword v1, off, s[0:3], 0 offset:20
	buffer_store_dword v0, off, s[0:3], 0 offset:16
	;; [unrolled: 1-line block ×4, first 2 shown]
	s_cbranch_vccz .LBB58_484
; %bb.368:
	v_mov_b32_e32 v0, 0
	global_load_dword v1, v0, s[20:21] offset:228
	s_waitcnt vmcnt(0)
	v_add_nc_u32_e32 v1, -1, v1
	v_cmp_ne_u32_e32 vcc_lo, 57, v1
	s_cbranch_vccz .LBB58_370
; %bb.369:
	v_lshlrev_b32_e32 v1, 4, v1
	v_mov_b32_e32 v2, s9
	v_add_nc_u32_e32 v1, 16, v1
	s_clause 0x7
	buffer_load_dword v3, v1, s[0:3], 0 offen
	buffer_load_dword v4, v1, s[0:3], 0 offen offset:4
	buffer_load_dword v5, v1, s[0:3], 0 offen offset:8
	;; [unrolled: 1-line block ×6, first 2 shown]
	buffer_load_dword v10, v2, s[0:3], 0 offen
	s_waitcnt vmcnt(7)
	buffer_store_dword v3, v2, s[0:3], 0 offen
	s_waitcnt vmcnt(6)
	buffer_store_dword v4, v2, s[0:3], 0 offen offset:4
	s_waitcnt vmcnt(5)
	buffer_store_dword v5, v2, s[0:3], 0 offen offset:8
	;; [unrolled: 2-line block ×6, first 2 shown]
	s_waitcnt vmcnt(0)
	buffer_store_dword v10, v1, s[0:3], 0 offen
.LBB58_370:
	global_load_dword v0, v0, s[20:21] offset:224
	s_waitcnt vmcnt(0)
	v_add_nc_u32_e32 v0, -1, v0
	v_cmp_eq_u32_e32 vcc_lo, 56, v0
	s_cbranch_vccnz .LBB58_372
; %bb.371:
	v_lshlrev_b32_e32 v0, 4, v0
	v_mov_b32_e32 v1, s12
	v_add_nc_u32_e32 v0, 16, v0
	s_clause 0x7
	buffer_load_dword v2, v0, s[0:3], 0 offen
	buffer_load_dword v3, v0, s[0:3], 0 offen offset:4
	buffer_load_dword v4, v0, s[0:3], 0 offen offset:8
	;; [unrolled: 1-line block ×6, first 2 shown]
	buffer_load_dword v9, v1, s[0:3], 0 offen
	s_waitcnt vmcnt(7)
	buffer_store_dword v2, v1, s[0:3], 0 offen
	s_waitcnt vmcnt(6)
	buffer_store_dword v3, v1, s[0:3], 0 offen offset:4
	s_waitcnt vmcnt(5)
	buffer_store_dword v4, v1, s[0:3], 0 offen offset:8
	;; [unrolled: 2-line block ×6, first 2 shown]
	s_waitcnt vmcnt(0)
	buffer_store_dword v9, v0, s[0:3], 0 offen
.LBB58_372:
	v_mov_b32_e32 v0, 0
	global_load_dword v1, v0, s[20:21] offset:220
	s_waitcnt vmcnt(0)
	v_add_nc_u32_e32 v1, -1, v1
	v_cmp_eq_u32_e32 vcc_lo, 55, v1
	s_cbranch_vccnz .LBB58_374
; %bb.373:
	v_lshlrev_b32_e32 v1, 4, v1
	v_mov_b32_e32 v2, s13
	v_add_nc_u32_e32 v1, 16, v1
	s_clause 0x7
	buffer_load_dword v3, v1, s[0:3], 0 offen
	buffer_load_dword v4, v1, s[0:3], 0 offen offset:4
	buffer_load_dword v5, v1, s[0:3], 0 offen offset:8
	;; [unrolled: 1-line block ×6, first 2 shown]
	buffer_load_dword v10, v2, s[0:3], 0 offen
	s_waitcnt vmcnt(7)
	buffer_store_dword v3, v2, s[0:3], 0 offen
	s_waitcnt vmcnt(6)
	buffer_store_dword v4, v2, s[0:3], 0 offen offset:4
	s_waitcnt vmcnt(5)
	buffer_store_dword v5, v2, s[0:3], 0 offen offset:8
	;; [unrolled: 2-line block ×6, first 2 shown]
	s_waitcnt vmcnt(0)
	buffer_store_dword v10, v1, s[0:3], 0 offen
.LBB58_374:
	global_load_dword v0, v0, s[20:21] offset:216
	s_waitcnt vmcnt(0)
	v_add_nc_u32_e32 v0, -1, v0
	v_cmp_eq_u32_e32 vcc_lo, 54, v0
	s_cbranch_vccnz .LBB58_376
; %bb.375:
	v_lshlrev_b32_e32 v0, 4, v0
	v_mov_b32_e32 v1, s14
	v_add_nc_u32_e32 v0, 16, v0
	s_clause 0x7
	buffer_load_dword v2, v0, s[0:3], 0 offen
	buffer_load_dword v3, v0, s[0:3], 0 offen offset:4
	buffer_load_dword v4, v0, s[0:3], 0 offen offset:8
	;; [unrolled: 1-line block ×6, first 2 shown]
	buffer_load_dword v9, v1, s[0:3], 0 offen
	s_waitcnt vmcnt(7)
	buffer_store_dword v2, v1, s[0:3], 0 offen
	s_waitcnt vmcnt(6)
	buffer_store_dword v3, v1, s[0:3], 0 offen offset:4
	s_waitcnt vmcnt(5)
	buffer_store_dword v4, v1, s[0:3], 0 offen offset:8
	s_waitcnt vmcnt(4)
	buffer_store_dword v5, v1, s[0:3], 0 offen offset:12
	s_waitcnt vmcnt(3)
	buffer_store_dword v6, v0, s[0:3], 0 offen offset:12
	s_waitcnt vmcnt(2)
	buffer_store_dword v7, v0, s[0:3], 0 offen offset:8
	s_waitcnt vmcnt(1)
	buffer_store_dword v8, v0, s[0:3], 0 offen offset:4
	s_waitcnt vmcnt(0)
	buffer_store_dword v9, v0, s[0:3], 0 offen
.LBB58_376:
	v_mov_b32_e32 v0, 0
	global_load_dword v1, v0, s[20:21] offset:212
	s_waitcnt vmcnt(0)
	v_add_nc_u32_e32 v1, -1, v1
	v_cmp_eq_u32_e32 vcc_lo, 53, v1
	s_cbranch_vccnz .LBB58_378
; %bb.377:
	v_lshlrev_b32_e32 v1, 4, v1
	v_mov_b32_e32 v2, s15
	v_add_nc_u32_e32 v1, 16, v1
	s_clause 0x7
	buffer_load_dword v3, v1, s[0:3], 0 offen
	buffer_load_dword v4, v1, s[0:3], 0 offen offset:4
	buffer_load_dword v5, v1, s[0:3], 0 offen offset:8
	;; [unrolled: 1-line block ×6, first 2 shown]
	buffer_load_dword v10, v2, s[0:3], 0 offen
	s_waitcnt vmcnt(7)
	buffer_store_dword v3, v2, s[0:3], 0 offen
	s_waitcnt vmcnt(6)
	buffer_store_dword v4, v2, s[0:3], 0 offen offset:4
	s_waitcnt vmcnt(5)
	buffer_store_dword v5, v2, s[0:3], 0 offen offset:8
	;; [unrolled: 2-line block ×6, first 2 shown]
	s_waitcnt vmcnt(0)
	buffer_store_dword v10, v1, s[0:3], 0 offen
.LBB58_378:
	global_load_dword v0, v0, s[20:21] offset:208
	s_waitcnt vmcnt(0)
	v_add_nc_u32_e32 v0, -1, v0
	v_cmp_eq_u32_e32 vcc_lo, 52, v0
	s_cbranch_vccnz .LBB58_380
; %bb.379:
	v_lshlrev_b32_e32 v0, 4, v0
	v_mov_b32_e32 v1, s16
	v_add_nc_u32_e32 v0, 16, v0
	s_clause 0x7
	buffer_load_dword v2, v0, s[0:3], 0 offen
	buffer_load_dword v3, v0, s[0:3], 0 offen offset:4
	buffer_load_dword v4, v0, s[0:3], 0 offen offset:8
	;; [unrolled: 1-line block ×6, first 2 shown]
	buffer_load_dword v9, v1, s[0:3], 0 offen
	s_waitcnt vmcnt(7)
	buffer_store_dword v2, v1, s[0:3], 0 offen
	s_waitcnt vmcnt(6)
	buffer_store_dword v3, v1, s[0:3], 0 offen offset:4
	s_waitcnt vmcnt(5)
	buffer_store_dword v4, v1, s[0:3], 0 offen offset:8
	;; [unrolled: 2-line block ×6, first 2 shown]
	s_waitcnt vmcnt(0)
	buffer_store_dword v9, v0, s[0:3], 0 offen
.LBB58_380:
	v_mov_b32_e32 v0, 0
	global_load_dword v1, v0, s[20:21] offset:204
	s_waitcnt vmcnt(0)
	v_add_nc_u32_e32 v1, -1, v1
	v_cmp_eq_u32_e32 vcc_lo, 51, v1
	s_cbranch_vccnz .LBB58_382
; %bb.381:
	v_lshlrev_b32_e32 v1, 4, v1
	v_mov_b32_e32 v2, s17
	v_add_nc_u32_e32 v1, 16, v1
	s_clause 0x7
	buffer_load_dword v3, v1, s[0:3], 0 offen
	buffer_load_dword v4, v1, s[0:3], 0 offen offset:4
	buffer_load_dword v5, v1, s[0:3], 0 offen offset:8
	;; [unrolled: 1-line block ×6, first 2 shown]
	buffer_load_dword v10, v2, s[0:3], 0 offen
	s_waitcnt vmcnt(7)
	buffer_store_dword v3, v2, s[0:3], 0 offen
	s_waitcnt vmcnt(6)
	buffer_store_dword v4, v2, s[0:3], 0 offen offset:4
	s_waitcnt vmcnt(5)
	buffer_store_dword v5, v2, s[0:3], 0 offen offset:8
	;; [unrolled: 2-line block ×6, first 2 shown]
	s_waitcnt vmcnt(0)
	buffer_store_dword v10, v1, s[0:3], 0 offen
.LBB58_382:
	global_load_dword v0, v0, s[20:21] offset:200
	s_waitcnt vmcnt(0)
	v_add_nc_u32_e32 v0, -1, v0
	v_cmp_eq_u32_e32 vcc_lo, 50, v0
	s_cbranch_vccnz .LBB58_384
; %bb.383:
	v_lshlrev_b32_e32 v0, 4, v0
	v_mov_b32_e32 v1, s18
	v_add_nc_u32_e32 v0, 16, v0
	s_clause 0x7
	buffer_load_dword v2, v0, s[0:3], 0 offen
	buffer_load_dword v3, v0, s[0:3], 0 offen offset:4
	buffer_load_dword v4, v0, s[0:3], 0 offen offset:8
	;; [unrolled: 1-line block ×6, first 2 shown]
	buffer_load_dword v9, v1, s[0:3], 0 offen
	s_waitcnt vmcnt(7)
	buffer_store_dword v2, v1, s[0:3], 0 offen
	s_waitcnt vmcnt(6)
	buffer_store_dword v3, v1, s[0:3], 0 offen offset:4
	s_waitcnt vmcnt(5)
	buffer_store_dword v4, v1, s[0:3], 0 offen offset:8
	;; [unrolled: 2-line block ×6, first 2 shown]
	s_waitcnt vmcnt(0)
	buffer_store_dword v9, v0, s[0:3], 0 offen
.LBB58_384:
	v_mov_b32_e32 v0, 0
	global_load_dword v1, v0, s[20:21] offset:196
	s_waitcnt vmcnt(0)
	v_add_nc_u32_e32 v1, -1, v1
	v_cmp_eq_u32_e32 vcc_lo, 49, v1
	s_cbranch_vccnz .LBB58_386
; %bb.385:
	v_lshlrev_b32_e32 v1, 4, v1
	v_mov_b32_e32 v2, s19
	v_add_nc_u32_e32 v1, 16, v1
	s_clause 0x7
	buffer_load_dword v3, v1, s[0:3], 0 offen
	buffer_load_dword v4, v1, s[0:3], 0 offen offset:4
	buffer_load_dword v5, v1, s[0:3], 0 offen offset:8
	;; [unrolled: 1-line block ×6, first 2 shown]
	buffer_load_dword v10, v2, s[0:3], 0 offen
	s_waitcnt vmcnt(7)
	buffer_store_dword v3, v2, s[0:3], 0 offen
	s_waitcnt vmcnt(6)
	buffer_store_dword v4, v2, s[0:3], 0 offen offset:4
	s_waitcnt vmcnt(5)
	buffer_store_dword v5, v2, s[0:3], 0 offen offset:8
	;; [unrolled: 2-line block ×6, first 2 shown]
	s_waitcnt vmcnt(0)
	buffer_store_dword v10, v1, s[0:3], 0 offen
.LBB58_386:
	global_load_dword v0, v0, s[20:21] offset:192
	s_waitcnt vmcnt(0)
	v_add_nc_u32_e32 v0, -1, v0
	v_cmp_eq_u32_e32 vcc_lo, 48, v0
	s_cbranch_vccnz .LBB58_388
; %bb.387:
	v_lshlrev_b32_e32 v0, 4, v0
	v_mov_b32_e32 v1, s22
	v_add_nc_u32_e32 v0, 16, v0
	s_clause 0x7
	buffer_load_dword v2, v0, s[0:3], 0 offen
	buffer_load_dword v3, v0, s[0:3], 0 offen offset:4
	buffer_load_dword v4, v0, s[0:3], 0 offen offset:8
	;; [unrolled: 1-line block ×6, first 2 shown]
	buffer_load_dword v9, v1, s[0:3], 0 offen
	s_waitcnt vmcnt(7)
	buffer_store_dword v2, v1, s[0:3], 0 offen
	s_waitcnt vmcnt(6)
	buffer_store_dword v3, v1, s[0:3], 0 offen offset:4
	s_waitcnt vmcnt(5)
	buffer_store_dword v4, v1, s[0:3], 0 offen offset:8
	;; [unrolled: 2-line block ×6, first 2 shown]
	s_waitcnt vmcnt(0)
	buffer_store_dword v9, v0, s[0:3], 0 offen
.LBB58_388:
	v_mov_b32_e32 v0, 0
	global_load_dword v1, v0, s[20:21] offset:188
	s_waitcnt vmcnt(0)
	v_add_nc_u32_e32 v1, -1, v1
	v_cmp_eq_u32_e32 vcc_lo, 47, v1
	s_cbranch_vccnz .LBB58_390
; %bb.389:
	v_lshlrev_b32_e32 v1, 4, v1
	v_mov_b32_e32 v2, s23
	v_add_nc_u32_e32 v1, 16, v1
	s_clause 0x7
	buffer_load_dword v3, v1, s[0:3], 0 offen
	buffer_load_dword v4, v1, s[0:3], 0 offen offset:4
	buffer_load_dword v5, v1, s[0:3], 0 offen offset:8
	buffer_load_dword v6, v1, s[0:3], 0 offen offset:12
	buffer_load_dword v7, v2, s[0:3], 0 offen offset:12
	buffer_load_dword v8, v2, s[0:3], 0 offen offset:8
	buffer_load_dword v9, v2, s[0:3], 0 offen offset:4
	buffer_load_dword v10, v2, s[0:3], 0 offen
	s_waitcnt vmcnt(7)
	buffer_store_dword v3, v2, s[0:3], 0 offen
	s_waitcnt vmcnt(6)
	buffer_store_dword v4, v2, s[0:3], 0 offen offset:4
	s_waitcnt vmcnt(5)
	buffer_store_dword v5, v2, s[0:3], 0 offen offset:8
	;; [unrolled: 2-line block ×6, first 2 shown]
	s_waitcnt vmcnt(0)
	buffer_store_dword v10, v1, s[0:3], 0 offen
.LBB58_390:
	global_load_dword v0, v0, s[20:21] offset:184
	s_waitcnt vmcnt(0)
	v_add_nc_u32_e32 v0, -1, v0
	v_cmp_eq_u32_e32 vcc_lo, 46, v0
	s_cbranch_vccnz .LBB58_392
; %bb.391:
	v_lshlrev_b32_e32 v0, 4, v0
	v_mov_b32_e32 v1, s24
	v_add_nc_u32_e32 v0, 16, v0
	s_clause 0x7
	buffer_load_dword v2, v0, s[0:3], 0 offen
	buffer_load_dword v3, v0, s[0:3], 0 offen offset:4
	buffer_load_dword v4, v0, s[0:3], 0 offen offset:8
	;; [unrolled: 1-line block ×6, first 2 shown]
	buffer_load_dword v9, v1, s[0:3], 0 offen
	s_waitcnt vmcnt(7)
	buffer_store_dword v2, v1, s[0:3], 0 offen
	s_waitcnt vmcnt(6)
	buffer_store_dword v3, v1, s[0:3], 0 offen offset:4
	s_waitcnt vmcnt(5)
	buffer_store_dword v4, v1, s[0:3], 0 offen offset:8
	;; [unrolled: 2-line block ×6, first 2 shown]
	s_waitcnt vmcnt(0)
	buffer_store_dword v9, v0, s[0:3], 0 offen
.LBB58_392:
	v_mov_b32_e32 v0, 0
	global_load_dword v1, v0, s[20:21] offset:180
	s_waitcnt vmcnt(0)
	v_add_nc_u32_e32 v1, -1, v1
	v_cmp_eq_u32_e32 vcc_lo, 45, v1
	s_cbranch_vccnz .LBB58_394
; %bb.393:
	v_lshlrev_b32_e32 v1, 4, v1
	v_mov_b32_e32 v2, s25
	v_add_nc_u32_e32 v1, 16, v1
	s_clause 0x7
	buffer_load_dword v3, v1, s[0:3], 0 offen
	buffer_load_dword v4, v1, s[0:3], 0 offen offset:4
	buffer_load_dword v5, v1, s[0:3], 0 offen offset:8
	;; [unrolled: 1-line block ×6, first 2 shown]
	buffer_load_dword v10, v2, s[0:3], 0 offen
	s_waitcnt vmcnt(7)
	buffer_store_dword v3, v2, s[0:3], 0 offen
	s_waitcnt vmcnt(6)
	buffer_store_dword v4, v2, s[0:3], 0 offen offset:4
	s_waitcnt vmcnt(5)
	buffer_store_dword v5, v2, s[0:3], 0 offen offset:8
	;; [unrolled: 2-line block ×6, first 2 shown]
	s_waitcnt vmcnt(0)
	buffer_store_dword v10, v1, s[0:3], 0 offen
.LBB58_394:
	global_load_dword v0, v0, s[20:21] offset:176
	s_waitcnt vmcnt(0)
	v_add_nc_u32_e32 v0, -1, v0
	v_cmp_eq_u32_e32 vcc_lo, 44, v0
	s_cbranch_vccnz .LBB58_396
; %bb.395:
	v_lshlrev_b32_e32 v0, 4, v0
	v_mov_b32_e32 v1, s26
	v_add_nc_u32_e32 v0, 16, v0
	s_clause 0x7
	buffer_load_dword v2, v0, s[0:3], 0 offen
	buffer_load_dword v3, v0, s[0:3], 0 offen offset:4
	buffer_load_dword v4, v0, s[0:3], 0 offen offset:8
	;; [unrolled: 1-line block ×6, first 2 shown]
	buffer_load_dword v9, v1, s[0:3], 0 offen
	s_waitcnt vmcnt(7)
	buffer_store_dword v2, v1, s[0:3], 0 offen
	s_waitcnt vmcnt(6)
	buffer_store_dword v3, v1, s[0:3], 0 offen offset:4
	s_waitcnt vmcnt(5)
	buffer_store_dword v4, v1, s[0:3], 0 offen offset:8
	;; [unrolled: 2-line block ×6, first 2 shown]
	s_waitcnt vmcnt(0)
	buffer_store_dword v9, v0, s[0:3], 0 offen
.LBB58_396:
	v_mov_b32_e32 v0, 0
	global_load_dword v1, v0, s[20:21] offset:172
	s_waitcnt vmcnt(0)
	v_add_nc_u32_e32 v1, -1, v1
	v_cmp_eq_u32_e32 vcc_lo, 43, v1
	s_cbranch_vccnz .LBB58_398
; %bb.397:
	v_lshlrev_b32_e32 v1, 4, v1
	v_mov_b32_e32 v2, s27
	v_add_nc_u32_e32 v1, 16, v1
	s_clause 0x7
	buffer_load_dword v3, v1, s[0:3], 0 offen
	buffer_load_dword v4, v1, s[0:3], 0 offen offset:4
	buffer_load_dword v5, v1, s[0:3], 0 offen offset:8
	;; [unrolled: 1-line block ×6, first 2 shown]
	buffer_load_dword v10, v2, s[0:3], 0 offen
	s_waitcnt vmcnt(7)
	buffer_store_dword v3, v2, s[0:3], 0 offen
	s_waitcnt vmcnt(6)
	buffer_store_dword v4, v2, s[0:3], 0 offen offset:4
	s_waitcnt vmcnt(5)
	buffer_store_dword v5, v2, s[0:3], 0 offen offset:8
	;; [unrolled: 2-line block ×6, first 2 shown]
	s_waitcnt vmcnt(0)
	buffer_store_dword v10, v1, s[0:3], 0 offen
.LBB58_398:
	global_load_dword v0, v0, s[20:21] offset:168
	s_waitcnt vmcnt(0)
	v_add_nc_u32_e32 v0, -1, v0
	v_cmp_eq_u32_e32 vcc_lo, 42, v0
	s_cbranch_vccnz .LBB58_400
; %bb.399:
	v_lshlrev_b32_e32 v0, 4, v0
	v_mov_b32_e32 v1, s28
	v_add_nc_u32_e32 v0, 16, v0
	s_clause 0x7
	buffer_load_dword v2, v0, s[0:3], 0 offen
	buffer_load_dword v3, v0, s[0:3], 0 offen offset:4
	buffer_load_dword v4, v0, s[0:3], 0 offen offset:8
	;; [unrolled: 1-line block ×6, first 2 shown]
	buffer_load_dword v9, v1, s[0:3], 0 offen
	s_waitcnt vmcnt(7)
	buffer_store_dword v2, v1, s[0:3], 0 offen
	s_waitcnt vmcnt(6)
	buffer_store_dword v3, v1, s[0:3], 0 offen offset:4
	s_waitcnt vmcnt(5)
	buffer_store_dword v4, v1, s[0:3], 0 offen offset:8
	s_waitcnt vmcnt(4)
	buffer_store_dword v5, v1, s[0:3], 0 offen offset:12
	s_waitcnt vmcnt(3)
	buffer_store_dword v6, v0, s[0:3], 0 offen offset:12
	s_waitcnt vmcnt(2)
	buffer_store_dword v7, v0, s[0:3], 0 offen offset:8
	s_waitcnt vmcnt(1)
	buffer_store_dword v8, v0, s[0:3], 0 offen offset:4
	s_waitcnt vmcnt(0)
	buffer_store_dword v9, v0, s[0:3], 0 offen
.LBB58_400:
	v_mov_b32_e32 v0, 0
	global_load_dword v1, v0, s[20:21] offset:164
	s_waitcnt vmcnt(0)
	v_add_nc_u32_e32 v1, -1, v1
	v_cmp_eq_u32_e32 vcc_lo, 41, v1
	s_cbranch_vccnz .LBB58_402
; %bb.401:
	v_lshlrev_b32_e32 v1, 4, v1
	v_mov_b32_e32 v2, s29
	v_add_nc_u32_e32 v1, 16, v1
	s_clause 0x7
	buffer_load_dword v3, v1, s[0:3], 0 offen
	buffer_load_dword v4, v1, s[0:3], 0 offen offset:4
	buffer_load_dword v5, v1, s[0:3], 0 offen offset:8
	;; [unrolled: 1-line block ×6, first 2 shown]
	buffer_load_dword v10, v2, s[0:3], 0 offen
	s_waitcnt vmcnt(7)
	buffer_store_dword v3, v2, s[0:3], 0 offen
	s_waitcnt vmcnt(6)
	buffer_store_dword v4, v2, s[0:3], 0 offen offset:4
	s_waitcnt vmcnt(5)
	buffer_store_dword v5, v2, s[0:3], 0 offen offset:8
	;; [unrolled: 2-line block ×6, first 2 shown]
	s_waitcnt vmcnt(0)
	buffer_store_dword v10, v1, s[0:3], 0 offen
.LBB58_402:
	global_load_dword v0, v0, s[20:21] offset:160
	s_waitcnt vmcnt(0)
	v_add_nc_u32_e32 v0, -1, v0
	v_cmp_eq_u32_e32 vcc_lo, 40, v0
	s_cbranch_vccnz .LBB58_404
; %bb.403:
	v_lshlrev_b32_e32 v0, 4, v0
	v_mov_b32_e32 v1, s30
	v_add_nc_u32_e32 v0, 16, v0
	s_clause 0x7
	buffer_load_dword v2, v0, s[0:3], 0 offen
	buffer_load_dword v3, v0, s[0:3], 0 offen offset:4
	buffer_load_dword v4, v0, s[0:3], 0 offen offset:8
	;; [unrolled: 1-line block ×6, first 2 shown]
	buffer_load_dword v9, v1, s[0:3], 0 offen
	s_waitcnt vmcnt(7)
	buffer_store_dword v2, v1, s[0:3], 0 offen
	s_waitcnt vmcnt(6)
	buffer_store_dword v3, v1, s[0:3], 0 offen offset:4
	s_waitcnt vmcnt(5)
	buffer_store_dword v4, v1, s[0:3], 0 offen offset:8
	;; [unrolled: 2-line block ×6, first 2 shown]
	s_waitcnt vmcnt(0)
	buffer_store_dword v9, v0, s[0:3], 0 offen
.LBB58_404:
	v_mov_b32_e32 v0, 0
	global_load_dword v1, v0, s[20:21] offset:156
	s_waitcnt vmcnt(0)
	v_add_nc_u32_e32 v1, -1, v1
	v_cmp_eq_u32_e32 vcc_lo, 39, v1
	s_cbranch_vccnz .LBB58_406
; %bb.405:
	v_lshlrev_b32_e32 v1, 4, v1
	v_mov_b32_e32 v2, s31
	v_add_nc_u32_e32 v1, 16, v1
	s_clause 0x7
	buffer_load_dword v3, v1, s[0:3], 0 offen
	buffer_load_dword v4, v1, s[0:3], 0 offen offset:4
	buffer_load_dword v5, v1, s[0:3], 0 offen offset:8
	buffer_load_dword v6, v1, s[0:3], 0 offen offset:12
	buffer_load_dword v7, v2, s[0:3], 0 offen offset:12
	buffer_load_dword v8, v2, s[0:3], 0 offen offset:8
	buffer_load_dword v9, v2, s[0:3], 0 offen offset:4
	buffer_load_dword v10, v2, s[0:3], 0 offen
	s_waitcnt vmcnt(7)
	buffer_store_dword v3, v2, s[0:3], 0 offen
	s_waitcnt vmcnt(6)
	buffer_store_dword v4, v2, s[0:3], 0 offen offset:4
	s_waitcnt vmcnt(5)
	buffer_store_dword v5, v2, s[0:3], 0 offen offset:8
	;; [unrolled: 2-line block ×6, first 2 shown]
	s_waitcnt vmcnt(0)
	buffer_store_dword v10, v1, s[0:3], 0 offen
.LBB58_406:
	global_load_dword v0, v0, s[20:21] offset:152
	s_waitcnt vmcnt(0)
	v_add_nc_u32_e32 v0, -1, v0
	v_cmp_eq_u32_e32 vcc_lo, 38, v0
	s_cbranch_vccnz .LBB58_408
; %bb.407:
	v_lshlrev_b32_e32 v0, 4, v0
	v_mov_b32_e32 v1, s33
	v_add_nc_u32_e32 v0, 16, v0
	s_clause 0x7
	buffer_load_dword v2, v0, s[0:3], 0 offen
	buffer_load_dword v3, v0, s[0:3], 0 offen offset:4
	buffer_load_dword v4, v0, s[0:3], 0 offen offset:8
	buffer_load_dword v5, v0, s[0:3], 0 offen offset:12
	buffer_load_dword v6, v1, s[0:3], 0 offen offset:12
	buffer_load_dword v7, v1, s[0:3], 0 offen offset:8
	buffer_load_dword v8, v1, s[0:3], 0 offen offset:4
	buffer_load_dword v9, v1, s[0:3], 0 offen
	s_waitcnt vmcnt(7)
	buffer_store_dword v2, v1, s[0:3], 0 offen
	s_waitcnt vmcnt(6)
	buffer_store_dword v3, v1, s[0:3], 0 offen offset:4
	s_waitcnt vmcnt(5)
	buffer_store_dword v4, v1, s[0:3], 0 offen offset:8
	s_waitcnt vmcnt(4)
	buffer_store_dword v5, v1, s[0:3], 0 offen offset:12
	s_waitcnt vmcnt(3)
	buffer_store_dword v6, v0, s[0:3], 0 offen offset:12
	s_waitcnt vmcnt(2)
	buffer_store_dword v7, v0, s[0:3], 0 offen offset:8
	s_waitcnt vmcnt(1)
	buffer_store_dword v8, v0, s[0:3], 0 offen offset:4
	s_waitcnt vmcnt(0)
	buffer_store_dword v9, v0, s[0:3], 0 offen
.LBB58_408:
	v_mov_b32_e32 v0, 0
	global_load_dword v1, v0, s[20:21] offset:148
	s_waitcnt vmcnt(0)
	v_add_nc_u32_e32 v1, -1, v1
	v_cmp_eq_u32_e32 vcc_lo, 37, v1
	s_cbranch_vccnz .LBB58_410
; %bb.409:
	v_lshlrev_b32_e32 v1, 4, v1
	v_mov_b32_e32 v2, s34
	v_add_nc_u32_e32 v1, 16, v1
	s_clause 0x7
	buffer_load_dword v3, v1, s[0:3], 0 offen
	buffer_load_dword v4, v1, s[0:3], 0 offen offset:4
	buffer_load_dword v5, v1, s[0:3], 0 offen offset:8
	;; [unrolled: 1-line block ×6, first 2 shown]
	buffer_load_dword v10, v2, s[0:3], 0 offen
	s_waitcnt vmcnt(7)
	buffer_store_dword v3, v2, s[0:3], 0 offen
	s_waitcnt vmcnt(6)
	buffer_store_dword v4, v2, s[0:3], 0 offen offset:4
	s_waitcnt vmcnt(5)
	buffer_store_dword v5, v2, s[0:3], 0 offen offset:8
	s_waitcnt vmcnt(4)
	buffer_store_dword v6, v2, s[0:3], 0 offen offset:12
	s_waitcnt vmcnt(3)
	buffer_store_dword v7, v1, s[0:3], 0 offen offset:12
	s_waitcnt vmcnt(2)
	buffer_store_dword v8, v1, s[0:3], 0 offen offset:8
	s_waitcnt vmcnt(1)
	buffer_store_dword v9, v1, s[0:3], 0 offen offset:4
	s_waitcnt vmcnt(0)
	buffer_store_dword v10, v1, s[0:3], 0 offen
.LBB58_410:
	global_load_dword v0, v0, s[20:21] offset:144
	s_waitcnt vmcnt(0)
	v_add_nc_u32_e32 v0, -1, v0
	v_cmp_eq_u32_e32 vcc_lo, 36, v0
	s_cbranch_vccnz .LBB58_412
; %bb.411:
	v_lshlrev_b32_e32 v0, 4, v0
	v_mov_b32_e32 v1, s35
	v_add_nc_u32_e32 v0, 16, v0
	s_clause 0x7
	buffer_load_dword v2, v0, s[0:3], 0 offen
	buffer_load_dword v3, v0, s[0:3], 0 offen offset:4
	buffer_load_dword v4, v0, s[0:3], 0 offen offset:8
	buffer_load_dword v5, v0, s[0:3], 0 offen offset:12
	buffer_load_dword v6, v1, s[0:3], 0 offen offset:12
	buffer_load_dword v7, v1, s[0:3], 0 offen offset:8
	buffer_load_dword v8, v1, s[0:3], 0 offen offset:4
	buffer_load_dword v9, v1, s[0:3], 0 offen
	s_waitcnt vmcnt(7)
	buffer_store_dword v2, v1, s[0:3], 0 offen
	s_waitcnt vmcnt(6)
	buffer_store_dword v3, v1, s[0:3], 0 offen offset:4
	s_waitcnt vmcnt(5)
	buffer_store_dword v4, v1, s[0:3], 0 offen offset:8
	s_waitcnt vmcnt(4)
	buffer_store_dword v5, v1, s[0:3], 0 offen offset:12
	s_waitcnt vmcnt(3)
	buffer_store_dword v6, v0, s[0:3], 0 offen offset:12
	s_waitcnt vmcnt(2)
	buffer_store_dword v7, v0, s[0:3], 0 offen offset:8
	s_waitcnt vmcnt(1)
	buffer_store_dword v8, v0, s[0:3], 0 offen offset:4
	s_waitcnt vmcnt(0)
	buffer_store_dword v9, v0, s[0:3], 0 offen
.LBB58_412:
	v_mov_b32_e32 v0, 0
	global_load_dword v1, v0, s[20:21] offset:140
	s_waitcnt vmcnt(0)
	v_add_nc_u32_e32 v1, -1, v1
	v_cmp_eq_u32_e32 vcc_lo, 35, v1
	s_cbranch_vccnz .LBB58_414
; %bb.413:
	v_lshlrev_b32_e32 v1, 4, v1
	v_mov_b32_e32 v2, s36
	v_add_nc_u32_e32 v1, 16, v1
	s_clause 0x7
	buffer_load_dword v3, v1, s[0:3], 0 offen
	buffer_load_dword v4, v1, s[0:3], 0 offen offset:4
	buffer_load_dword v5, v1, s[0:3], 0 offen offset:8
	;; [unrolled: 1-line block ×6, first 2 shown]
	buffer_load_dword v10, v2, s[0:3], 0 offen
	s_waitcnt vmcnt(7)
	buffer_store_dword v3, v2, s[0:3], 0 offen
	s_waitcnt vmcnt(6)
	buffer_store_dword v4, v2, s[0:3], 0 offen offset:4
	s_waitcnt vmcnt(5)
	buffer_store_dword v5, v2, s[0:3], 0 offen offset:8
	;; [unrolled: 2-line block ×6, first 2 shown]
	s_waitcnt vmcnt(0)
	buffer_store_dword v10, v1, s[0:3], 0 offen
.LBB58_414:
	global_load_dword v0, v0, s[20:21] offset:136
	s_waitcnt vmcnt(0)
	v_add_nc_u32_e32 v0, -1, v0
	v_cmp_eq_u32_e32 vcc_lo, 34, v0
	s_cbranch_vccnz .LBB58_416
; %bb.415:
	v_lshlrev_b32_e32 v0, 4, v0
	v_mov_b32_e32 v1, s37
	v_add_nc_u32_e32 v0, 16, v0
	s_clause 0x7
	buffer_load_dword v2, v0, s[0:3], 0 offen
	buffer_load_dword v3, v0, s[0:3], 0 offen offset:4
	buffer_load_dword v4, v0, s[0:3], 0 offen offset:8
	buffer_load_dword v5, v0, s[0:3], 0 offen offset:12
	buffer_load_dword v6, v1, s[0:3], 0 offen offset:12
	buffer_load_dword v7, v1, s[0:3], 0 offen offset:8
	buffer_load_dword v8, v1, s[0:3], 0 offen offset:4
	buffer_load_dword v9, v1, s[0:3], 0 offen
	s_waitcnt vmcnt(7)
	buffer_store_dword v2, v1, s[0:3], 0 offen
	s_waitcnt vmcnt(6)
	buffer_store_dword v3, v1, s[0:3], 0 offen offset:4
	s_waitcnt vmcnt(5)
	buffer_store_dword v4, v1, s[0:3], 0 offen offset:8
	s_waitcnt vmcnt(4)
	buffer_store_dword v5, v1, s[0:3], 0 offen offset:12
	s_waitcnt vmcnt(3)
	buffer_store_dword v6, v0, s[0:3], 0 offen offset:12
	s_waitcnt vmcnt(2)
	buffer_store_dword v7, v0, s[0:3], 0 offen offset:8
	s_waitcnt vmcnt(1)
	buffer_store_dword v8, v0, s[0:3], 0 offen offset:4
	s_waitcnt vmcnt(0)
	buffer_store_dword v9, v0, s[0:3], 0 offen
.LBB58_416:
	v_mov_b32_e32 v0, 0
	global_load_dword v1, v0, s[20:21] offset:132
	s_waitcnt vmcnt(0)
	v_add_nc_u32_e32 v1, -1, v1
	v_cmp_eq_u32_e32 vcc_lo, 33, v1
	s_cbranch_vccnz .LBB58_418
; %bb.417:
	v_lshlrev_b32_e32 v1, 4, v1
	v_mov_b32_e32 v2, s38
	v_add_nc_u32_e32 v1, 16, v1
	s_clause 0x7
	buffer_load_dword v3, v1, s[0:3], 0 offen
	buffer_load_dword v4, v1, s[0:3], 0 offen offset:4
	buffer_load_dword v5, v1, s[0:3], 0 offen offset:8
	;; [unrolled: 1-line block ×6, first 2 shown]
	buffer_load_dword v10, v2, s[0:3], 0 offen
	s_waitcnt vmcnt(7)
	buffer_store_dword v3, v2, s[0:3], 0 offen
	s_waitcnt vmcnt(6)
	buffer_store_dword v4, v2, s[0:3], 0 offen offset:4
	s_waitcnt vmcnt(5)
	buffer_store_dword v5, v2, s[0:3], 0 offen offset:8
	;; [unrolled: 2-line block ×6, first 2 shown]
	s_waitcnt vmcnt(0)
	buffer_store_dword v10, v1, s[0:3], 0 offen
.LBB58_418:
	global_load_dword v0, v0, s[20:21] offset:128
	s_waitcnt vmcnt(0)
	v_add_nc_u32_e32 v0, -1, v0
	v_cmp_eq_u32_e32 vcc_lo, 32, v0
	s_cbranch_vccnz .LBB58_420
; %bb.419:
	v_lshlrev_b32_e32 v0, 4, v0
	v_mov_b32_e32 v1, s39
	v_add_nc_u32_e32 v0, 16, v0
	s_clause 0x7
	buffer_load_dword v2, v0, s[0:3], 0 offen
	buffer_load_dword v3, v0, s[0:3], 0 offen offset:4
	buffer_load_dword v4, v0, s[0:3], 0 offen offset:8
	buffer_load_dword v5, v0, s[0:3], 0 offen offset:12
	buffer_load_dword v6, v1, s[0:3], 0 offen offset:12
	buffer_load_dword v7, v1, s[0:3], 0 offen offset:8
	buffer_load_dword v8, v1, s[0:3], 0 offen offset:4
	buffer_load_dword v9, v1, s[0:3], 0 offen
	s_waitcnt vmcnt(7)
	buffer_store_dword v2, v1, s[0:3], 0 offen
	s_waitcnt vmcnt(6)
	buffer_store_dword v3, v1, s[0:3], 0 offen offset:4
	s_waitcnt vmcnt(5)
	buffer_store_dword v4, v1, s[0:3], 0 offen offset:8
	;; [unrolled: 2-line block ×6, first 2 shown]
	s_waitcnt vmcnt(0)
	buffer_store_dword v9, v0, s[0:3], 0 offen
.LBB58_420:
	v_mov_b32_e32 v0, 0
	global_load_dword v1, v0, s[20:21] offset:124
	s_waitcnt vmcnt(0)
	v_add_nc_u32_e32 v1, -1, v1
	v_cmp_eq_u32_e32 vcc_lo, 31, v1
	s_cbranch_vccnz .LBB58_422
; %bb.421:
	v_lshlrev_b32_e32 v1, 4, v1
	v_mov_b32_e32 v2, s40
	v_add_nc_u32_e32 v1, 16, v1
	s_clause 0x7
	buffer_load_dword v3, v1, s[0:3], 0 offen
	buffer_load_dword v4, v1, s[0:3], 0 offen offset:4
	buffer_load_dword v5, v1, s[0:3], 0 offen offset:8
	;; [unrolled: 1-line block ×6, first 2 shown]
	buffer_load_dword v10, v2, s[0:3], 0 offen
	s_waitcnt vmcnt(7)
	buffer_store_dword v3, v2, s[0:3], 0 offen
	s_waitcnt vmcnt(6)
	buffer_store_dword v4, v2, s[0:3], 0 offen offset:4
	s_waitcnt vmcnt(5)
	buffer_store_dword v5, v2, s[0:3], 0 offen offset:8
	;; [unrolled: 2-line block ×6, first 2 shown]
	s_waitcnt vmcnt(0)
	buffer_store_dword v10, v1, s[0:3], 0 offen
.LBB58_422:
	global_load_dword v0, v0, s[20:21] offset:120
	s_waitcnt vmcnt(0)
	v_add_nc_u32_e32 v0, -1, v0
	v_cmp_eq_u32_e32 vcc_lo, 30, v0
	s_cbranch_vccnz .LBB58_424
; %bb.423:
	v_lshlrev_b32_e32 v0, 4, v0
	v_mov_b32_e32 v1, s41
	v_add_nc_u32_e32 v0, 16, v0
	s_clause 0x7
	buffer_load_dword v2, v0, s[0:3], 0 offen
	buffer_load_dword v3, v0, s[0:3], 0 offen offset:4
	buffer_load_dword v4, v0, s[0:3], 0 offen offset:8
	;; [unrolled: 1-line block ×6, first 2 shown]
	buffer_load_dword v9, v1, s[0:3], 0 offen
	s_waitcnt vmcnt(7)
	buffer_store_dword v2, v1, s[0:3], 0 offen
	s_waitcnt vmcnt(6)
	buffer_store_dword v3, v1, s[0:3], 0 offen offset:4
	s_waitcnt vmcnt(5)
	buffer_store_dword v4, v1, s[0:3], 0 offen offset:8
	;; [unrolled: 2-line block ×6, first 2 shown]
	s_waitcnt vmcnt(0)
	buffer_store_dword v9, v0, s[0:3], 0 offen
.LBB58_424:
	v_mov_b32_e32 v0, 0
	global_load_dword v1, v0, s[20:21] offset:116
	s_waitcnt vmcnt(0)
	v_add_nc_u32_e32 v1, -1, v1
	v_cmp_eq_u32_e32 vcc_lo, 29, v1
	s_cbranch_vccnz .LBB58_426
; %bb.425:
	v_lshlrev_b32_e32 v1, 4, v1
	v_mov_b32_e32 v2, s42
	v_add_nc_u32_e32 v1, 16, v1
	s_clause 0x7
	buffer_load_dword v3, v1, s[0:3], 0 offen
	buffer_load_dword v4, v1, s[0:3], 0 offen offset:4
	buffer_load_dword v5, v1, s[0:3], 0 offen offset:8
	;; [unrolled: 1-line block ×6, first 2 shown]
	buffer_load_dword v10, v2, s[0:3], 0 offen
	s_waitcnt vmcnt(7)
	buffer_store_dword v3, v2, s[0:3], 0 offen
	s_waitcnt vmcnt(6)
	buffer_store_dword v4, v2, s[0:3], 0 offen offset:4
	s_waitcnt vmcnt(5)
	buffer_store_dword v5, v2, s[0:3], 0 offen offset:8
	;; [unrolled: 2-line block ×6, first 2 shown]
	s_waitcnt vmcnt(0)
	buffer_store_dword v10, v1, s[0:3], 0 offen
.LBB58_426:
	global_load_dword v0, v0, s[20:21] offset:112
	s_waitcnt vmcnt(0)
	v_add_nc_u32_e32 v0, -1, v0
	v_cmp_eq_u32_e32 vcc_lo, 28, v0
	s_cbranch_vccnz .LBB58_428
; %bb.427:
	v_lshlrev_b32_e32 v0, 4, v0
	v_mov_b32_e32 v1, s43
	v_add_nc_u32_e32 v0, 16, v0
	s_clause 0x7
	buffer_load_dword v2, v0, s[0:3], 0 offen
	buffer_load_dword v3, v0, s[0:3], 0 offen offset:4
	buffer_load_dword v4, v0, s[0:3], 0 offen offset:8
	;; [unrolled: 1-line block ×6, first 2 shown]
	buffer_load_dword v9, v1, s[0:3], 0 offen
	s_waitcnt vmcnt(7)
	buffer_store_dword v2, v1, s[0:3], 0 offen
	s_waitcnt vmcnt(6)
	buffer_store_dword v3, v1, s[0:3], 0 offen offset:4
	s_waitcnt vmcnt(5)
	buffer_store_dword v4, v1, s[0:3], 0 offen offset:8
	;; [unrolled: 2-line block ×6, first 2 shown]
	s_waitcnt vmcnt(0)
	buffer_store_dword v9, v0, s[0:3], 0 offen
.LBB58_428:
	v_mov_b32_e32 v0, 0
	global_load_dword v1, v0, s[20:21] offset:108
	s_waitcnt vmcnt(0)
	v_add_nc_u32_e32 v1, -1, v1
	v_cmp_eq_u32_e32 vcc_lo, 27, v1
	s_cbranch_vccnz .LBB58_430
; %bb.429:
	v_lshlrev_b32_e32 v1, 4, v1
	v_mov_b32_e32 v2, s44
	v_add_nc_u32_e32 v1, 16, v1
	s_clause 0x7
	buffer_load_dword v3, v1, s[0:3], 0 offen
	buffer_load_dword v4, v1, s[0:3], 0 offen offset:4
	buffer_load_dword v5, v1, s[0:3], 0 offen offset:8
	;; [unrolled: 1-line block ×6, first 2 shown]
	buffer_load_dword v10, v2, s[0:3], 0 offen
	s_waitcnt vmcnt(7)
	buffer_store_dword v3, v2, s[0:3], 0 offen
	s_waitcnt vmcnt(6)
	buffer_store_dword v4, v2, s[0:3], 0 offen offset:4
	s_waitcnt vmcnt(5)
	buffer_store_dword v5, v2, s[0:3], 0 offen offset:8
	;; [unrolled: 2-line block ×6, first 2 shown]
	s_waitcnt vmcnt(0)
	buffer_store_dword v10, v1, s[0:3], 0 offen
.LBB58_430:
	global_load_dword v0, v0, s[20:21] offset:104
	s_waitcnt vmcnt(0)
	v_add_nc_u32_e32 v0, -1, v0
	v_cmp_eq_u32_e32 vcc_lo, 26, v0
	s_cbranch_vccnz .LBB58_432
; %bb.431:
	v_lshlrev_b32_e32 v0, 4, v0
	v_mov_b32_e32 v1, s45
	v_add_nc_u32_e32 v0, 16, v0
	s_clause 0x7
	buffer_load_dword v2, v0, s[0:3], 0 offen
	buffer_load_dword v3, v0, s[0:3], 0 offen offset:4
	buffer_load_dword v4, v0, s[0:3], 0 offen offset:8
	;; [unrolled: 1-line block ×6, first 2 shown]
	buffer_load_dword v9, v1, s[0:3], 0 offen
	s_waitcnt vmcnt(7)
	buffer_store_dword v2, v1, s[0:3], 0 offen
	s_waitcnt vmcnt(6)
	buffer_store_dword v3, v1, s[0:3], 0 offen offset:4
	s_waitcnt vmcnt(5)
	buffer_store_dword v4, v1, s[0:3], 0 offen offset:8
	;; [unrolled: 2-line block ×6, first 2 shown]
	s_waitcnt vmcnt(0)
	buffer_store_dword v9, v0, s[0:3], 0 offen
.LBB58_432:
	v_mov_b32_e32 v0, 0
	global_load_dword v1, v0, s[20:21] offset:100
	s_waitcnt vmcnt(0)
	v_add_nc_u32_e32 v1, -1, v1
	v_cmp_eq_u32_e32 vcc_lo, 25, v1
	s_cbranch_vccnz .LBB58_434
; %bb.433:
	v_lshlrev_b32_e32 v1, 4, v1
	v_mov_b32_e32 v2, s46
	v_add_nc_u32_e32 v1, 16, v1
	s_clause 0x7
	buffer_load_dword v3, v1, s[0:3], 0 offen
	buffer_load_dword v4, v1, s[0:3], 0 offen offset:4
	buffer_load_dword v5, v1, s[0:3], 0 offen offset:8
	;; [unrolled: 1-line block ×6, first 2 shown]
	buffer_load_dword v10, v2, s[0:3], 0 offen
	s_waitcnt vmcnt(7)
	buffer_store_dword v3, v2, s[0:3], 0 offen
	s_waitcnt vmcnt(6)
	buffer_store_dword v4, v2, s[0:3], 0 offen offset:4
	s_waitcnt vmcnt(5)
	buffer_store_dword v5, v2, s[0:3], 0 offen offset:8
	;; [unrolled: 2-line block ×6, first 2 shown]
	s_waitcnt vmcnt(0)
	buffer_store_dword v10, v1, s[0:3], 0 offen
.LBB58_434:
	global_load_dword v0, v0, s[20:21] offset:96
	s_waitcnt vmcnt(0)
	v_add_nc_u32_e32 v0, -1, v0
	v_cmp_eq_u32_e32 vcc_lo, 24, v0
	s_cbranch_vccnz .LBB58_436
; %bb.435:
	v_lshlrev_b32_e32 v0, 4, v0
	v_mov_b32_e32 v1, s47
	v_add_nc_u32_e32 v0, 16, v0
	s_clause 0x7
	buffer_load_dword v2, v0, s[0:3], 0 offen
	buffer_load_dword v3, v0, s[0:3], 0 offen offset:4
	buffer_load_dword v4, v0, s[0:3], 0 offen offset:8
	;; [unrolled: 1-line block ×6, first 2 shown]
	buffer_load_dword v9, v1, s[0:3], 0 offen
	s_waitcnt vmcnt(7)
	buffer_store_dword v2, v1, s[0:3], 0 offen
	s_waitcnt vmcnt(6)
	buffer_store_dword v3, v1, s[0:3], 0 offen offset:4
	s_waitcnt vmcnt(5)
	buffer_store_dword v4, v1, s[0:3], 0 offen offset:8
	;; [unrolled: 2-line block ×6, first 2 shown]
	s_waitcnt vmcnt(0)
	buffer_store_dword v9, v0, s[0:3], 0 offen
.LBB58_436:
	v_mov_b32_e32 v0, 0
	global_load_dword v1, v0, s[20:21] offset:92
	s_waitcnt vmcnt(0)
	v_add_nc_u32_e32 v1, -1, v1
	v_cmp_eq_u32_e32 vcc_lo, 23, v1
	s_cbranch_vccnz .LBB58_438
; %bb.437:
	v_lshlrev_b32_e32 v1, 4, v1
	v_mov_b32_e32 v2, s48
	v_add_nc_u32_e32 v1, 16, v1
	s_clause 0x7
	buffer_load_dword v3, v1, s[0:3], 0 offen
	buffer_load_dword v4, v1, s[0:3], 0 offen offset:4
	buffer_load_dword v5, v1, s[0:3], 0 offen offset:8
	buffer_load_dword v6, v1, s[0:3], 0 offen offset:12
	buffer_load_dword v7, v2, s[0:3], 0 offen offset:12
	buffer_load_dword v8, v2, s[0:3], 0 offen offset:8
	buffer_load_dword v9, v2, s[0:3], 0 offen offset:4
	buffer_load_dword v10, v2, s[0:3], 0 offen
	s_waitcnt vmcnt(7)
	buffer_store_dword v3, v2, s[0:3], 0 offen
	s_waitcnt vmcnt(6)
	buffer_store_dword v4, v2, s[0:3], 0 offen offset:4
	s_waitcnt vmcnt(5)
	buffer_store_dword v5, v2, s[0:3], 0 offen offset:8
	;; [unrolled: 2-line block ×6, first 2 shown]
	s_waitcnt vmcnt(0)
	buffer_store_dword v10, v1, s[0:3], 0 offen
.LBB58_438:
	global_load_dword v0, v0, s[20:21] offset:88
	s_waitcnt vmcnt(0)
	v_add_nc_u32_e32 v0, -1, v0
	v_cmp_eq_u32_e32 vcc_lo, 22, v0
	s_cbranch_vccnz .LBB58_440
; %bb.439:
	v_lshlrev_b32_e32 v0, 4, v0
	v_mov_b32_e32 v1, s50
	v_add_nc_u32_e32 v0, 16, v0
	s_clause 0x7
	buffer_load_dword v2, v0, s[0:3], 0 offen
	buffer_load_dword v3, v0, s[0:3], 0 offen offset:4
	buffer_load_dword v4, v0, s[0:3], 0 offen offset:8
	;; [unrolled: 1-line block ×6, first 2 shown]
	buffer_load_dword v9, v1, s[0:3], 0 offen
	s_waitcnt vmcnt(7)
	buffer_store_dword v2, v1, s[0:3], 0 offen
	s_waitcnt vmcnt(6)
	buffer_store_dword v3, v1, s[0:3], 0 offen offset:4
	s_waitcnt vmcnt(5)
	buffer_store_dword v4, v1, s[0:3], 0 offen offset:8
	;; [unrolled: 2-line block ×6, first 2 shown]
	s_waitcnt vmcnt(0)
	buffer_store_dword v9, v0, s[0:3], 0 offen
.LBB58_440:
	v_mov_b32_e32 v0, 0
	global_load_dword v1, v0, s[20:21] offset:84
	s_waitcnt vmcnt(0)
	v_add_nc_u32_e32 v1, -1, v1
	v_cmp_eq_u32_e32 vcc_lo, 21, v1
	s_cbranch_vccnz .LBB58_442
; %bb.441:
	v_lshlrev_b32_e32 v1, 4, v1
	v_mov_b32_e32 v2, s52
	v_add_nc_u32_e32 v1, 16, v1
	s_clause 0x7
	buffer_load_dword v3, v1, s[0:3], 0 offen
	buffer_load_dword v4, v1, s[0:3], 0 offen offset:4
	buffer_load_dword v5, v1, s[0:3], 0 offen offset:8
	;; [unrolled: 1-line block ×6, first 2 shown]
	buffer_load_dword v10, v2, s[0:3], 0 offen
	s_waitcnt vmcnt(7)
	buffer_store_dword v3, v2, s[0:3], 0 offen
	s_waitcnt vmcnt(6)
	buffer_store_dword v4, v2, s[0:3], 0 offen offset:4
	s_waitcnt vmcnt(5)
	buffer_store_dword v5, v2, s[0:3], 0 offen offset:8
	;; [unrolled: 2-line block ×6, first 2 shown]
	s_waitcnt vmcnt(0)
	buffer_store_dword v10, v1, s[0:3], 0 offen
.LBB58_442:
	global_load_dword v0, v0, s[20:21] offset:80
	s_waitcnt vmcnt(0)
	v_add_nc_u32_e32 v0, -1, v0
	v_cmp_eq_u32_e32 vcc_lo, 20, v0
	s_cbranch_vccnz .LBB58_444
; %bb.443:
	v_lshlrev_b32_e32 v0, 4, v0
	v_mov_b32_e32 v1, s54
	v_add_nc_u32_e32 v0, 16, v0
	s_clause 0x7
	buffer_load_dword v2, v0, s[0:3], 0 offen
	buffer_load_dword v3, v0, s[0:3], 0 offen offset:4
	buffer_load_dword v4, v0, s[0:3], 0 offen offset:8
	buffer_load_dword v5, v0, s[0:3], 0 offen offset:12
	buffer_load_dword v6, v1, s[0:3], 0 offen offset:12
	buffer_load_dword v7, v1, s[0:3], 0 offen offset:8
	buffer_load_dword v8, v1, s[0:3], 0 offen offset:4
	buffer_load_dword v9, v1, s[0:3], 0 offen
	s_waitcnt vmcnt(7)
	buffer_store_dword v2, v1, s[0:3], 0 offen
	s_waitcnt vmcnt(6)
	buffer_store_dword v3, v1, s[0:3], 0 offen offset:4
	s_waitcnt vmcnt(5)
	buffer_store_dword v4, v1, s[0:3], 0 offen offset:8
	;; [unrolled: 2-line block ×6, first 2 shown]
	s_waitcnt vmcnt(0)
	buffer_store_dword v9, v0, s[0:3], 0 offen
.LBB58_444:
	v_mov_b32_e32 v0, 0
	global_load_dword v1, v0, s[20:21] offset:76
	s_waitcnt vmcnt(0)
	v_add_nc_u32_e32 v1, -1, v1
	v_cmp_eq_u32_e32 vcc_lo, 19, v1
	s_cbranch_vccnz .LBB58_446
; %bb.445:
	v_lshlrev_b32_e32 v1, 4, v1
	v_mov_b32_e32 v2, s60
	v_add_nc_u32_e32 v1, 16, v1
	s_clause 0x7
	buffer_load_dword v3, v1, s[0:3], 0 offen
	buffer_load_dword v4, v1, s[0:3], 0 offen offset:4
	buffer_load_dword v5, v1, s[0:3], 0 offen offset:8
	buffer_load_dword v6, v1, s[0:3], 0 offen offset:12
	buffer_load_dword v7, v2, s[0:3], 0 offen offset:12
	buffer_load_dword v8, v2, s[0:3], 0 offen offset:8
	buffer_load_dword v9, v2, s[0:3], 0 offen offset:4
	buffer_load_dword v10, v2, s[0:3], 0 offen
	s_waitcnt vmcnt(7)
	buffer_store_dword v3, v2, s[0:3], 0 offen
	s_waitcnt vmcnt(6)
	buffer_store_dword v4, v2, s[0:3], 0 offen offset:4
	s_waitcnt vmcnt(5)
	buffer_store_dword v5, v2, s[0:3], 0 offen offset:8
	;; [unrolled: 2-line block ×6, first 2 shown]
	s_waitcnt vmcnt(0)
	buffer_store_dword v10, v1, s[0:3], 0 offen
.LBB58_446:
	global_load_dword v0, v0, s[20:21] offset:72
	s_waitcnt vmcnt(0)
	v_add_nc_u32_e32 v0, -1, v0
	v_cmp_eq_u32_e32 vcc_lo, 18, v0
	s_cbranch_vccnz .LBB58_448
; %bb.447:
	v_lshlrev_b32_e32 v0, 4, v0
	v_mov_b32_e32 v1, s49
	v_add_nc_u32_e32 v0, 16, v0
	s_clause 0x7
	buffer_load_dword v2, v0, s[0:3], 0 offen
	buffer_load_dword v3, v0, s[0:3], 0 offen offset:4
	buffer_load_dword v4, v0, s[0:3], 0 offen offset:8
	;; [unrolled: 1-line block ×6, first 2 shown]
	buffer_load_dword v9, v1, s[0:3], 0 offen
	s_waitcnt vmcnt(7)
	buffer_store_dword v2, v1, s[0:3], 0 offen
	s_waitcnt vmcnt(6)
	buffer_store_dword v3, v1, s[0:3], 0 offen offset:4
	s_waitcnt vmcnt(5)
	buffer_store_dword v4, v1, s[0:3], 0 offen offset:8
	;; [unrolled: 2-line block ×6, first 2 shown]
	s_waitcnt vmcnt(0)
	buffer_store_dword v9, v0, s[0:3], 0 offen
.LBB58_448:
	v_mov_b32_e32 v0, 0
	global_load_dword v1, v0, s[20:21] offset:68
	s_waitcnt vmcnt(0)
	v_add_nc_u32_e32 v1, -1, v1
	v_cmp_eq_u32_e32 vcc_lo, 17, v1
	s_cbranch_vccnz .LBB58_450
; %bb.449:
	v_lshlrev_b32_e32 v1, 4, v1
	v_mov_b32_e32 v2, s51
	v_add_nc_u32_e32 v1, 16, v1
	s_clause 0x7
	buffer_load_dword v3, v1, s[0:3], 0 offen
	buffer_load_dword v4, v1, s[0:3], 0 offen offset:4
	buffer_load_dword v5, v1, s[0:3], 0 offen offset:8
	;; [unrolled: 1-line block ×6, first 2 shown]
	buffer_load_dword v10, v2, s[0:3], 0 offen
	s_waitcnt vmcnt(7)
	buffer_store_dword v3, v2, s[0:3], 0 offen
	s_waitcnt vmcnt(6)
	buffer_store_dword v4, v2, s[0:3], 0 offen offset:4
	s_waitcnt vmcnt(5)
	buffer_store_dword v5, v2, s[0:3], 0 offen offset:8
	;; [unrolled: 2-line block ×6, first 2 shown]
	s_waitcnt vmcnt(0)
	buffer_store_dword v10, v1, s[0:3], 0 offen
.LBB58_450:
	global_load_dword v0, v0, s[20:21] offset:64
	s_waitcnt vmcnt(0)
	v_add_nc_u32_e32 v0, -1, v0
	v_cmp_eq_u32_e32 vcc_lo, 16, v0
	s_cbranch_vccnz .LBB58_452
; %bb.451:
	v_lshlrev_b32_e32 v0, 4, v0
	v_mov_b32_e32 v1, s53
	v_add_nc_u32_e32 v0, 16, v0
	s_clause 0x7
	buffer_load_dword v2, v0, s[0:3], 0 offen
	buffer_load_dword v3, v0, s[0:3], 0 offen offset:4
	buffer_load_dword v4, v0, s[0:3], 0 offen offset:8
	;; [unrolled: 1-line block ×6, first 2 shown]
	buffer_load_dword v9, v1, s[0:3], 0 offen
	s_waitcnt vmcnt(7)
	buffer_store_dword v2, v1, s[0:3], 0 offen
	s_waitcnt vmcnt(6)
	buffer_store_dword v3, v1, s[0:3], 0 offen offset:4
	s_waitcnt vmcnt(5)
	buffer_store_dword v4, v1, s[0:3], 0 offen offset:8
	;; [unrolled: 2-line block ×6, first 2 shown]
	s_waitcnt vmcnt(0)
	buffer_store_dword v9, v0, s[0:3], 0 offen
.LBB58_452:
	v_mov_b32_e32 v0, 0
	global_load_dword v1, v0, s[20:21] offset:60
	s_waitcnt vmcnt(0)
	v_add_nc_u32_e32 v1, -1, v1
	v_cmp_eq_u32_e32 vcc_lo, 15, v1
	s_cbranch_vccnz .LBB58_454
; %bb.453:
	v_lshlrev_b32_e32 v1, 4, v1
	v_mov_b32_e32 v2, s55
	v_add_nc_u32_e32 v1, 16, v1
	s_clause 0x7
	buffer_load_dword v3, v1, s[0:3], 0 offen
	buffer_load_dword v4, v1, s[0:3], 0 offen offset:4
	buffer_load_dword v5, v1, s[0:3], 0 offen offset:8
	;; [unrolled: 1-line block ×6, first 2 shown]
	buffer_load_dword v10, v2, s[0:3], 0 offen
	s_waitcnt vmcnt(7)
	buffer_store_dword v3, v2, s[0:3], 0 offen
	s_waitcnt vmcnt(6)
	buffer_store_dword v4, v2, s[0:3], 0 offen offset:4
	s_waitcnt vmcnt(5)
	buffer_store_dword v5, v2, s[0:3], 0 offen offset:8
	;; [unrolled: 2-line block ×6, first 2 shown]
	s_waitcnt vmcnt(0)
	buffer_store_dword v10, v1, s[0:3], 0 offen
.LBB58_454:
	global_load_dword v0, v0, s[20:21] offset:56
	s_waitcnt vmcnt(0)
	v_add_nc_u32_e32 v0, -1, v0
	v_cmp_eq_u32_e32 vcc_lo, 14, v0
	s_cbranch_vccnz .LBB58_456
; %bb.455:
	v_lshlrev_b32_e32 v0, 4, v0
	v_mov_b32_e32 v1, s56
	v_add_nc_u32_e32 v0, 16, v0
	s_clause 0x7
	buffer_load_dword v2, v0, s[0:3], 0 offen
	buffer_load_dword v3, v0, s[0:3], 0 offen offset:4
	buffer_load_dword v4, v0, s[0:3], 0 offen offset:8
	;; [unrolled: 1-line block ×6, first 2 shown]
	buffer_load_dword v9, v1, s[0:3], 0 offen
	s_waitcnt vmcnt(7)
	buffer_store_dword v2, v1, s[0:3], 0 offen
	s_waitcnt vmcnt(6)
	buffer_store_dword v3, v1, s[0:3], 0 offen offset:4
	s_waitcnt vmcnt(5)
	buffer_store_dword v4, v1, s[0:3], 0 offen offset:8
	;; [unrolled: 2-line block ×6, first 2 shown]
	s_waitcnt vmcnt(0)
	buffer_store_dword v9, v0, s[0:3], 0 offen
.LBB58_456:
	v_mov_b32_e32 v0, 0
	global_load_dword v1, v0, s[20:21] offset:52
	s_waitcnt vmcnt(0)
	v_add_nc_u32_e32 v1, -1, v1
	v_cmp_eq_u32_e32 vcc_lo, 13, v1
	s_cbranch_vccnz .LBB58_458
; %bb.457:
	v_lshlrev_b32_e32 v1, 4, v1
	v_mov_b32_e32 v2, s57
	v_add_nc_u32_e32 v1, 16, v1
	s_clause 0x7
	buffer_load_dword v3, v1, s[0:3], 0 offen
	buffer_load_dword v4, v1, s[0:3], 0 offen offset:4
	buffer_load_dword v5, v1, s[0:3], 0 offen offset:8
	buffer_load_dword v6, v1, s[0:3], 0 offen offset:12
	buffer_load_dword v7, v2, s[0:3], 0 offen offset:12
	buffer_load_dword v8, v2, s[0:3], 0 offen offset:8
	buffer_load_dword v9, v2, s[0:3], 0 offen offset:4
	buffer_load_dword v10, v2, s[0:3], 0 offen
	s_waitcnt vmcnt(7)
	buffer_store_dword v3, v2, s[0:3], 0 offen
	s_waitcnt vmcnt(6)
	buffer_store_dword v4, v2, s[0:3], 0 offen offset:4
	s_waitcnt vmcnt(5)
	buffer_store_dword v5, v2, s[0:3], 0 offen offset:8
	;; [unrolled: 2-line block ×6, first 2 shown]
	s_waitcnt vmcnt(0)
	buffer_store_dword v10, v1, s[0:3], 0 offen
.LBB58_458:
	global_load_dword v0, v0, s[20:21] offset:48
	s_waitcnt vmcnt(0)
	v_add_nc_u32_e32 v0, -1, v0
	v_cmp_eq_u32_e32 vcc_lo, 12, v0
	s_cbranch_vccnz .LBB58_460
; %bb.459:
	v_lshlrev_b32_e32 v0, 4, v0
	v_mov_b32_e32 v1, s58
	v_add_nc_u32_e32 v0, 16, v0
	s_clause 0x7
	buffer_load_dword v2, v0, s[0:3], 0 offen
	buffer_load_dword v3, v0, s[0:3], 0 offen offset:4
	buffer_load_dword v4, v0, s[0:3], 0 offen offset:8
	;; [unrolled: 1-line block ×6, first 2 shown]
	buffer_load_dword v9, v1, s[0:3], 0 offen
	s_waitcnt vmcnt(7)
	buffer_store_dword v2, v1, s[0:3], 0 offen
	s_waitcnt vmcnt(6)
	buffer_store_dword v3, v1, s[0:3], 0 offen offset:4
	s_waitcnt vmcnt(5)
	buffer_store_dword v4, v1, s[0:3], 0 offen offset:8
	;; [unrolled: 2-line block ×6, first 2 shown]
	s_waitcnt vmcnt(0)
	buffer_store_dword v9, v0, s[0:3], 0 offen
.LBB58_460:
	v_mov_b32_e32 v0, 0
	global_load_dword v1, v0, s[20:21] offset:44
	s_waitcnt vmcnt(0)
	v_add_nc_u32_e32 v1, -1, v1
	v_cmp_eq_u32_e32 vcc_lo, 11, v1
	s_cbranch_vccnz .LBB58_462
; %bb.461:
	v_lshlrev_b32_e32 v1, 4, v1
	v_mov_b32_e32 v2, s59
	v_add_nc_u32_e32 v1, 16, v1
	s_clause 0x7
	buffer_load_dword v3, v1, s[0:3], 0 offen
	buffer_load_dword v4, v1, s[0:3], 0 offen offset:4
	buffer_load_dword v5, v1, s[0:3], 0 offen offset:8
	;; [unrolled: 1-line block ×6, first 2 shown]
	buffer_load_dword v10, v2, s[0:3], 0 offen
	s_waitcnt vmcnt(7)
	buffer_store_dword v3, v2, s[0:3], 0 offen
	s_waitcnt vmcnt(6)
	buffer_store_dword v4, v2, s[0:3], 0 offen offset:4
	s_waitcnt vmcnt(5)
	buffer_store_dword v5, v2, s[0:3], 0 offen offset:8
	;; [unrolled: 2-line block ×6, first 2 shown]
	s_waitcnt vmcnt(0)
	buffer_store_dword v10, v1, s[0:3], 0 offen
.LBB58_462:
	global_load_dword v0, v0, s[20:21] offset:40
	s_waitcnt vmcnt(0)
	v_add_nc_u32_e32 v0, -1, v0
	v_cmp_eq_u32_e32 vcc_lo, 10, v0
	s_cbranch_vccnz .LBB58_464
; %bb.463:
	v_lshlrev_b32_e32 v0, 4, v0
	v_mov_b32_e32 v1, s61
	v_add_nc_u32_e32 v0, 16, v0
	s_clause 0x7
	buffer_load_dword v2, v0, s[0:3], 0 offen
	buffer_load_dword v3, v0, s[0:3], 0 offen offset:4
	buffer_load_dword v4, v0, s[0:3], 0 offen offset:8
	;; [unrolled: 1-line block ×6, first 2 shown]
	buffer_load_dword v9, v1, s[0:3], 0 offen
	s_waitcnt vmcnt(7)
	buffer_store_dword v2, v1, s[0:3], 0 offen
	s_waitcnt vmcnt(6)
	buffer_store_dword v3, v1, s[0:3], 0 offen offset:4
	s_waitcnt vmcnt(5)
	buffer_store_dword v4, v1, s[0:3], 0 offen offset:8
	;; [unrolled: 2-line block ×6, first 2 shown]
	s_waitcnt vmcnt(0)
	buffer_store_dword v9, v0, s[0:3], 0 offen
.LBB58_464:
	v_mov_b32_e32 v0, 0
	global_load_dword v1, v0, s[20:21] offset:36
	s_waitcnt vmcnt(0)
	v_add_nc_u32_e32 v1, -1, v1
	v_cmp_eq_u32_e32 vcc_lo, 9, v1
	s_cbranch_vccnz .LBB58_466
; %bb.465:
	v_lshlrev_b32_e32 v1, 4, v1
	v_mov_b32_e32 v2, s62
	v_add_nc_u32_e32 v1, 16, v1
	s_clause 0x7
	buffer_load_dword v3, v1, s[0:3], 0 offen
	buffer_load_dword v4, v1, s[0:3], 0 offen offset:4
	buffer_load_dword v5, v1, s[0:3], 0 offen offset:8
	;; [unrolled: 1-line block ×6, first 2 shown]
	buffer_load_dword v10, v2, s[0:3], 0 offen
	s_waitcnt vmcnt(7)
	buffer_store_dword v3, v2, s[0:3], 0 offen
	s_waitcnt vmcnt(6)
	buffer_store_dword v4, v2, s[0:3], 0 offen offset:4
	s_waitcnt vmcnt(5)
	buffer_store_dword v5, v2, s[0:3], 0 offen offset:8
	;; [unrolled: 2-line block ×6, first 2 shown]
	s_waitcnt vmcnt(0)
	buffer_store_dword v10, v1, s[0:3], 0 offen
.LBB58_466:
	global_load_dword v0, v0, s[20:21] offset:32
	s_waitcnt vmcnt(0)
	v_add_nc_u32_e32 v0, -1, v0
	v_cmp_eq_u32_e32 vcc_lo, 8, v0
	s_cbranch_vccnz .LBB58_468
; %bb.467:
	v_lshlrev_b32_e32 v0, 4, v0
	v_mov_b32_e32 v1, s63
	v_add_nc_u32_e32 v0, 16, v0
	s_clause 0x7
	buffer_load_dword v2, v0, s[0:3], 0 offen
	buffer_load_dword v3, v0, s[0:3], 0 offen offset:4
	buffer_load_dword v4, v0, s[0:3], 0 offen offset:8
	;; [unrolled: 1-line block ×6, first 2 shown]
	buffer_load_dword v9, v1, s[0:3], 0 offen
	s_waitcnt vmcnt(7)
	buffer_store_dword v2, v1, s[0:3], 0 offen
	s_waitcnt vmcnt(6)
	buffer_store_dword v3, v1, s[0:3], 0 offen offset:4
	s_waitcnt vmcnt(5)
	buffer_store_dword v4, v1, s[0:3], 0 offen offset:8
	;; [unrolled: 2-line block ×6, first 2 shown]
	s_waitcnt vmcnt(0)
	buffer_store_dword v9, v0, s[0:3], 0 offen
.LBB58_468:
	v_mov_b32_e32 v0, 0
	global_load_dword v1, v0, s[20:21] offset:28
	s_waitcnt vmcnt(0)
	v_add_nc_u32_e32 v1, -1, v1
	v_cmp_eq_u32_e32 vcc_lo, 7, v1
	s_cbranch_vccnz .LBB58_470
; %bb.469:
	v_lshlrev_b32_e32 v1, 4, v1
	v_mov_b32_e32 v2, s64
	v_add_nc_u32_e32 v1, 16, v1
	s_clause 0x7
	buffer_load_dword v3, v1, s[0:3], 0 offen
	buffer_load_dword v4, v1, s[0:3], 0 offen offset:4
	buffer_load_dword v5, v1, s[0:3], 0 offen offset:8
	;; [unrolled: 1-line block ×6, first 2 shown]
	buffer_load_dword v10, v2, s[0:3], 0 offen
	s_waitcnt vmcnt(7)
	buffer_store_dword v3, v2, s[0:3], 0 offen
	s_waitcnt vmcnt(6)
	buffer_store_dword v4, v2, s[0:3], 0 offen offset:4
	s_waitcnt vmcnt(5)
	buffer_store_dword v5, v2, s[0:3], 0 offen offset:8
	;; [unrolled: 2-line block ×6, first 2 shown]
	s_waitcnt vmcnt(0)
	buffer_store_dword v10, v1, s[0:3], 0 offen
.LBB58_470:
	global_load_dword v0, v0, s[20:21] offset:24
	s_waitcnt vmcnt(0)
	v_add_nc_u32_e32 v0, -1, v0
	v_cmp_eq_u32_e32 vcc_lo, 6, v0
	s_cbranch_vccnz .LBB58_472
; %bb.471:
	v_lshlrev_b32_e32 v0, 4, v0
	v_mov_b32_e32 v1, s65
	v_add_nc_u32_e32 v0, 16, v0
	s_clause 0x7
	buffer_load_dword v2, v0, s[0:3], 0 offen
	buffer_load_dword v3, v0, s[0:3], 0 offen offset:4
	buffer_load_dword v4, v0, s[0:3], 0 offen offset:8
	buffer_load_dword v5, v0, s[0:3], 0 offen offset:12
	buffer_load_dword v6, v1, s[0:3], 0 offen offset:12
	buffer_load_dword v7, v1, s[0:3], 0 offen offset:8
	buffer_load_dword v8, v1, s[0:3], 0 offen offset:4
	buffer_load_dword v9, v1, s[0:3], 0 offen
	s_waitcnt vmcnt(7)
	buffer_store_dword v2, v1, s[0:3], 0 offen
	s_waitcnt vmcnt(6)
	buffer_store_dword v3, v1, s[0:3], 0 offen offset:4
	s_waitcnt vmcnt(5)
	buffer_store_dword v4, v1, s[0:3], 0 offen offset:8
	;; [unrolled: 2-line block ×6, first 2 shown]
	s_waitcnt vmcnt(0)
	buffer_store_dword v9, v0, s[0:3], 0 offen
.LBB58_472:
	v_mov_b32_e32 v0, 0
	global_load_dword v1, v0, s[20:21] offset:20
	s_waitcnt vmcnt(0)
	v_add_nc_u32_e32 v1, -1, v1
	v_cmp_eq_u32_e32 vcc_lo, 5, v1
	s_cbranch_vccnz .LBB58_474
; %bb.473:
	v_lshlrev_b32_e32 v1, 4, v1
	v_mov_b32_e32 v2, s66
	v_add_nc_u32_e32 v1, 16, v1
	s_clause 0x7
	buffer_load_dword v3, v1, s[0:3], 0 offen
	buffer_load_dword v4, v1, s[0:3], 0 offen offset:4
	buffer_load_dword v5, v1, s[0:3], 0 offen offset:8
	;; [unrolled: 1-line block ×6, first 2 shown]
	buffer_load_dword v10, v2, s[0:3], 0 offen
	s_waitcnt vmcnt(7)
	buffer_store_dword v3, v2, s[0:3], 0 offen
	s_waitcnt vmcnt(6)
	buffer_store_dword v4, v2, s[0:3], 0 offen offset:4
	s_waitcnt vmcnt(5)
	buffer_store_dword v5, v2, s[0:3], 0 offen offset:8
	;; [unrolled: 2-line block ×6, first 2 shown]
	s_waitcnt vmcnt(0)
	buffer_store_dword v10, v1, s[0:3], 0 offen
.LBB58_474:
	global_load_dword v0, v0, s[20:21] offset:16
	s_waitcnt vmcnt(0)
	v_add_nc_u32_e32 v0, -1, v0
	v_cmp_eq_u32_e32 vcc_lo, 4, v0
	s_cbranch_vccnz .LBB58_476
; %bb.475:
	v_lshlrev_b32_e32 v0, 4, v0
	v_mov_b32_e32 v1, s67
	v_add_nc_u32_e32 v0, 16, v0
	s_clause 0x7
	buffer_load_dword v2, v0, s[0:3], 0 offen
	buffer_load_dword v3, v0, s[0:3], 0 offen offset:4
	buffer_load_dword v4, v0, s[0:3], 0 offen offset:8
	;; [unrolled: 1-line block ×6, first 2 shown]
	buffer_load_dword v9, v1, s[0:3], 0 offen
	s_waitcnt vmcnt(7)
	buffer_store_dword v2, v1, s[0:3], 0 offen
	s_waitcnt vmcnt(6)
	buffer_store_dword v3, v1, s[0:3], 0 offen offset:4
	s_waitcnt vmcnt(5)
	buffer_store_dword v4, v1, s[0:3], 0 offen offset:8
	;; [unrolled: 2-line block ×6, first 2 shown]
	s_waitcnt vmcnt(0)
	buffer_store_dword v9, v0, s[0:3], 0 offen
.LBB58_476:
	v_mov_b32_e32 v0, 0
	global_load_dword v1, v0, s[20:21] offset:12
	s_waitcnt vmcnt(0)
	v_add_nc_u32_e32 v1, -1, v1
	v_cmp_eq_u32_e32 vcc_lo, 3, v1
	s_cbranch_vccnz .LBB58_478
; %bb.477:
	v_lshlrev_b32_e32 v1, 4, v1
	v_mov_b32_e32 v2, s68
	v_add_nc_u32_e32 v1, 16, v1
	s_clause 0x7
	buffer_load_dword v3, v1, s[0:3], 0 offen
	buffer_load_dword v4, v1, s[0:3], 0 offen offset:4
	buffer_load_dword v5, v1, s[0:3], 0 offen offset:8
	;; [unrolled: 1-line block ×6, first 2 shown]
	buffer_load_dword v10, v2, s[0:3], 0 offen
	s_waitcnt vmcnt(7)
	buffer_store_dword v3, v2, s[0:3], 0 offen
	s_waitcnt vmcnt(6)
	buffer_store_dword v4, v2, s[0:3], 0 offen offset:4
	s_waitcnt vmcnt(5)
	buffer_store_dword v5, v2, s[0:3], 0 offen offset:8
	s_waitcnt vmcnt(4)
	buffer_store_dword v6, v2, s[0:3], 0 offen offset:12
	s_waitcnt vmcnt(3)
	buffer_store_dword v7, v1, s[0:3], 0 offen offset:12
	s_waitcnt vmcnt(2)
	buffer_store_dword v8, v1, s[0:3], 0 offen offset:8
	s_waitcnt vmcnt(1)
	buffer_store_dword v9, v1, s[0:3], 0 offen offset:4
	s_waitcnt vmcnt(0)
	buffer_store_dword v10, v1, s[0:3], 0 offen
.LBB58_478:
	global_load_dword v0, v0, s[20:21] offset:8
	s_waitcnt vmcnt(0)
	v_add_nc_u32_e32 v0, -1, v0
	v_cmp_eq_u32_e32 vcc_lo, 2, v0
	s_cbranch_vccnz .LBB58_480
; %bb.479:
	v_lshlrev_b32_e32 v0, 4, v0
	v_mov_b32_e32 v1, s69
	v_add_nc_u32_e32 v0, 16, v0
	s_clause 0x7
	buffer_load_dword v2, v0, s[0:3], 0 offen
	buffer_load_dword v3, v0, s[0:3], 0 offen offset:4
	buffer_load_dword v4, v0, s[0:3], 0 offen offset:8
	;; [unrolled: 1-line block ×6, first 2 shown]
	buffer_load_dword v9, v1, s[0:3], 0 offen
	s_waitcnt vmcnt(7)
	buffer_store_dword v2, v1, s[0:3], 0 offen
	s_waitcnt vmcnt(6)
	buffer_store_dword v3, v1, s[0:3], 0 offen offset:4
	s_waitcnt vmcnt(5)
	buffer_store_dword v4, v1, s[0:3], 0 offen offset:8
	;; [unrolled: 2-line block ×6, first 2 shown]
	s_waitcnt vmcnt(0)
	buffer_store_dword v9, v0, s[0:3], 0 offen
.LBB58_480:
	v_mov_b32_e32 v0, 0
	global_load_dword v1, v0, s[20:21] offset:4
	s_waitcnt vmcnt(0)
	v_add_nc_u32_e32 v1, -1, v1
	v_cmp_eq_u32_e32 vcc_lo, 1, v1
	s_cbranch_vccnz .LBB58_482
; %bb.481:
	v_lshlrev_b32_e32 v1, 4, v1
	v_mov_b32_e32 v2, s70
	v_add_nc_u32_e32 v1, 16, v1
	s_clause 0x7
	buffer_load_dword v3, v1, s[0:3], 0 offen
	buffer_load_dword v4, v1, s[0:3], 0 offen offset:4
	buffer_load_dword v5, v1, s[0:3], 0 offen offset:8
	buffer_load_dword v6, v1, s[0:3], 0 offen offset:12
	buffer_load_dword v7, v2, s[0:3], 0 offen offset:12
	buffer_load_dword v8, v2, s[0:3], 0 offen offset:8
	buffer_load_dword v9, v2, s[0:3], 0 offen offset:4
	buffer_load_dword v10, v2, s[0:3], 0 offen
	s_waitcnt vmcnt(7)
	buffer_store_dword v3, v2, s[0:3], 0 offen
	s_waitcnt vmcnt(6)
	buffer_store_dword v4, v2, s[0:3], 0 offen offset:4
	s_waitcnt vmcnt(5)
	buffer_store_dword v5, v2, s[0:3], 0 offen offset:8
	;; [unrolled: 2-line block ×6, first 2 shown]
	s_waitcnt vmcnt(0)
	buffer_store_dword v10, v1, s[0:3], 0 offen
.LBB58_482:
	global_load_dword v0, v0, s[20:21]
	s_waitcnt vmcnt(0)
	v_add_nc_u32_e32 v0, -1, v0
	v_cmp_eq_u32_e32 vcc_lo, 0, v0
	s_cbranch_vccnz .LBB58_484
; %bb.483:
	v_lshlrev_b32_e32 v0, 4, v0
	v_add_nc_u32_e32 v0, 16, v0
	s_clause 0x7
	buffer_load_dword v1, v0, s[0:3], 0 offen
	buffer_load_dword v2, v0, s[0:3], 0 offen offset:4
	buffer_load_dword v3, v0, s[0:3], 0 offen offset:8
	;; [unrolled: 1-line block ×3, first 2 shown]
	buffer_load_dword v5, off, s[0:3], 0 offset:28
	buffer_load_dword v6, off, s[0:3], 0 offset:24
	;; [unrolled: 1-line block ×4, first 2 shown]
	s_waitcnt vmcnt(7)
	buffer_store_dword v1, off, s[0:3], 0 offset:16
	s_waitcnt vmcnt(6)
	buffer_store_dword v2, off, s[0:3], 0 offset:20
	;; [unrolled: 2-line block ×4, first 2 shown]
	s_waitcnt vmcnt(3)
	buffer_store_dword v5, v0, s[0:3], 0 offen offset:12
	s_waitcnt vmcnt(2)
	buffer_store_dword v6, v0, s[0:3], 0 offen offset:8
	;; [unrolled: 2-line block ×3, first 2 shown]
	s_waitcnt vmcnt(0)
	buffer_store_dword v8, v0, s[0:3], 0 offen
.LBB58_484:
	v_mov_b32_e32 v7, s70
	v_mov_b32_e32 v11, s69
	;; [unrolled: 1-line block ×4, first 2 shown]
	s_clause 0x3
	buffer_load_dword v0, off, s[0:3], 0 offset:16
	buffer_load_dword v1, off, s[0:3], 0 offset:20
	;; [unrolled: 1-line block ×4, first 2 shown]
	v_mov_b32_e32 v23, s66
	s_clause 0x3
	buffer_load_dword v4, v7, s[0:3], 0 offen
	buffer_load_dword v5, v7, s[0:3], 0 offen offset:4
	buffer_load_dword v6, v7, s[0:3], 0 offen offset:8
	buffer_load_dword v7, v7, s[0:3], 0 offen offset:12
	v_mov_b32_e32 v27, s65
	s_clause 0x3
	buffer_load_dword v8, v11, s[0:3], 0 offen
	buffer_load_dword v9, v11, s[0:3], 0 offen offset:4
	buffer_load_dword v10, v11, s[0:3], 0 offen offset:8
	buffer_load_dword v11, v11, s[0:3], 0 offen offset:12
	;; [unrolled: 6-line block ×10, first 2 shown]
	buffer_load_dword v44, v47, s[0:3], 0 offen
	buffer_load_dword v45, v47, s[0:3], 0 offen offset:4
	buffer_load_dword v46, v47, s[0:3], 0 offen offset:8
	buffer_load_dword v47, v47, s[0:3], 0 offen offset:12
	buffer_load_dword v48, v51, s[0:3], 0 offen
	buffer_load_dword v49, v51, s[0:3], 0 offen offset:4
	buffer_load_dword v50, v51, s[0:3], 0 offen offset:8
	buffer_load_dword v51, v51, s[0:3], 0 offen offset:12
	;; [unrolled: 4-line block ×3, first 2 shown]
	v_mov_b32_e32 v63, s55
	s_clause 0x7
	buffer_load_dword v56, v59, s[0:3], 0 offen
	buffer_load_dword v57, v59, s[0:3], 0 offen offset:4
	buffer_load_dword v58, v59, s[0:3], 0 offen offset:8
	;; [unrolled: 1-line block ×3, first 2 shown]
	buffer_load_dword v60, v63, s[0:3], 0 offen
	buffer_load_dword v61, v63, s[0:3], 0 offen offset:4
	buffer_load_dword v62, v63, s[0:3], 0 offen offset:8
	;; [unrolled: 1-line block ×3, first 2 shown]
	v_mov_b32_e32 v67, s53
	v_mov_b32_e32 v71, s51
	v_mov_b32_e32 v129, s47
	v_mov_b32_e32 v133, s45
	v_mov_b32_e32 v137, s43
	v_mov_b32_e32 v72, s49
	v_mov_b32_e32 v112, s60
	v_mov_b32_e32 v116, s54
	v_mov_b32_e32 v120, s52
	v_mov_b32_e32 v124, s50
	v_mov_b32_e32 v128, s48
	v_mov_b32_e32 v141, s41
	s_clause 0x3
	buffer_load_dword v64, v67, s[0:3], 0 offen
	buffer_load_dword v65, v67, s[0:3], 0 offen offset:4
	buffer_load_dword v66, v67, s[0:3], 0 offen offset:8
	;; [unrolled: 1-line block ×3, first 2 shown]
	v_mov_b32_e32 v132, s46
	v_mov_b32_e32 v145, s39
	s_clause 0x1b
	buffer_load_dword v68, v71, s[0:3], 0 offen
	buffer_load_dword v69, v71, s[0:3], 0 offen offset:4
	buffer_load_dword v70, v71, s[0:3], 0 offen offset:8
	buffer_load_dword v71, v71, s[0:3], 0 offen offset:12
	buffer_load_dword v105, v72, s[0:3], 0 offen
	buffer_load_dword v106, v72, s[0:3], 0 offen offset:4
	buffer_load_dword v107, v72, s[0:3], 0 offen offset:8
	buffer_load_dword v108, v72, s[0:3], 0 offen offset:12
	;; [unrolled: 4-line block ×7, first 2 shown]
	v_mov_b32_e32 v136, s44
	v_mov_b32_e32 v149, s37
	;; [unrolled: 1-line block ×29, first 2 shown]
	s_waitcnt vmcnt(62)
	global_store_dwordx4 v[157:158], v[0:3], off
	s_clause 0x7
	buffer_load_dword v0, v129, s[0:3], 0 offen
	buffer_load_dword v1, v129, s[0:3], 0 offen offset:4
	buffer_load_dword v2, v129, s[0:3], 0 offen offset:8
	buffer_load_dword v3, v129, s[0:3], 0 offen offset:12
	buffer_load_dword v129, v132, s[0:3], 0 offen
	buffer_load_dword v130, v132, s[0:3], 0 offen offset:4
	buffer_load_dword v131, v132, s[0:3], 0 offen offset:8
	buffer_load_dword v132, v132, s[0:3], 0 offen offset:12
	global_store_dwordx4 v[134:135], v[4:7], off
	s_clause 0x7
	buffer_load_dword v4, v133, s[0:3], 0 offen
	buffer_load_dword v5, v133, s[0:3], 0 offen offset:4
	buffer_load_dword v6, v133, s[0:3], 0 offen offset:8
	buffer_load_dword v7, v133, s[0:3], 0 offen offset:12
	buffer_load_dword v133, v136, s[0:3], 0 offen
	buffer_load_dword v134, v136, s[0:3], 0 offen offset:4
	buffer_load_dword v135, v136, s[0:3], 0 offen offset:8
	buffer_load_dword v136, v136, s[0:3], 0 offen offset:12
	global_store_dwordx4 v[161:162], v[8:11], off
	s_clause 0x7
	buffer_load_dword v8, v137, s[0:3], 0 offen
	buffer_load_dword v9, v137, s[0:3], 0 offen offset:4
	buffer_load_dword v10, v137, s[0:3], 0 offen offset:8
	buffer_load_dword v11, v137, s[0:3], 0 offen offset:12
	buffer_load_dword v137, v140, s[0:3], 0 offen
	buffer_load_dword v138, v140, s[0:3], 0 offen offset:4
	buffer_load_dword v139, v140, s[0:3], 0 offen offset:8
	buffer_load_dword v140, v140, s[0:3], 0 offen offset:12
	global_store_dwordx4 v[163:164], v[12:15], off
	s_clause 0x7
	buffer_load_dword v12, v141, s[0:3], 0 offen
	buffer_load_dword v13, v141, s[0:3], 0 offen offset:4
	buffer_load_dword v14, v141, s[0:3], 0 offen offset:8
	buffer_load_dword v15, v141, s[0:3], 0 offen offset:12
	buffer_load_dword v141, v144, s[0:3], 0 offen
	buffer_load_dword v142, v144, s[0:3], 0 offen offset:4
	buffer_load_dword v143, v144, s[0:3], 0 offen offset:8
	buffer_load_dword v144, v144, s[0:3], 0 offen offset:12
	global_store_dwordx4 v[165:166], v[16:19], off
	s_clause 0x7
	buffer_load_dword v16, v145, s[0:3], 0 offen
	buffer_load_dword v17, v145, s[0:3], 0 offen offset:4
	buffer_load_dword v18, v145, s[0:3], 0 offen offset:8
	buffer_load_dword v19, v145, s[0:3], 0 offen offset:12
	buffer_load_dword v145, v148, s[0:3], 0 offen
	buffer_load_dword v146, v148, s[0:3], 0 offen offset:4
	buffer_load_dword v147, v148, s[0:3], 0 offen offset:8
	buffer_load_dword v148, v148, s[0:3], 0 offen offset:12
	global_store_dwordx4 v[167:168], v[20:23], off
	s_clause 0x7
	buffer_load_dword v20, v149, s[0:3], 0 offen
	buffer_load_dword v21, v149, s[0:3], 0 offen offset:4
	buffer_load_dword v22, v149, s[0:3], 0 offen offset:8
	buffer_load_dword v23, v149, s[0:3], 0 offen offset:12
	buffer_load_dword v149, v152, s[0:3], 0 offen
	buffer_load_dword v150, v152, s[0:3], 0 offen offset:4
	buffer_load_dword v151, v152, s[0:3], 0 offen offset:8
	buffer_load_dword v152, v152, s[0:3], 0 offen offset:12
	global_store_dwordx4 v[159:160], v[24:27], off
	s_clause 0x7
	buffer_load_dword v24, v153, s[0:3], 0 offen
	buffer_load_dword v25, v153, s[0:3], 0 offen offset:4
	buffer_load_dword v26, v153, s[0:3], 0 offen offset:8
	buffer_load_dword v27, v153, s[0:3], 0 offen offset:12
	buffer_load_dword v153, v156, s[0:3], 0 offen
	buffer_load_dword v154, v156, s[0:3], 0 offen offset:4
	buffer_load_dword v155, v156, s[0:3], 0 offen offset:8
	buffer_load_dword v156, v156, s[0:3], 0 offen offset:12
	global_store_dwordx4 v[171:172], v[28:31], off
	s_clause 0x7
	buffer_load_dword v28, v243, s[0:3], 0 offen
	buffer_load_dword v29, v243, s[0:3], 0 offen offset:4
	buffer_load_dword v30, v243, s[0:3], 0 offen offset:8
	buffer_load_dword v31, v243, s[0:3], 0 offen offset:12
	buffer_load_dword v157, v244, s[0:3], 0 offen
	buffer_load_dword v158, v244, s[0:3], 0 offen offset:4
	buffer_load_dword v159, v244, s[0:3], 0 offen offset:8
	buffer_load_dword v160, v244, s[0:3], 0 offen offset:12
	s_waitcnt vmcnt(62)
	global_store_dwordx4 v[173:174], v[32:35], off
	s_clause 0x7
	buffer_load_dword v32, v245, s[0:3], 0 offen
	buffer_load_dword v33, v245, s[0:3], 0 offen offset:4
	buffer_load_dword v34, v245, s[0:3], 0 offen offset:8
	buffer_load_dword v35, v245, s[0:3], 0 offen offset:12
	buffer_load_dword v161, v246, s[0:3], 0 offen
	buffer_load_dword v162, v246, s[0:3], 0 offen offset:4
	buffer_load_dword v163, v246, s[0:3], 0 offen offset:8
	buffer_load_dword v164, v246, s[0:3], 0 offen offset:12
	global_store_dwordx4 v[175:176], v[36:39], off
	s_clause 0x7
	buffer_load_dword v36, v247, s[0:3], 0 offen
	buffer_load_dword v37, v247, s[0:3], 0 offen offset:4
	buffer_load_dword v38, v247, s[0:3], 0 offen offset:8
	buffer_load_dword v39, v247, s[0:3], 0 offen offset:12
	buffer_load_dword v165, v248, s[0:3], 0 offen
	buffer_load_dword v166, v248, s[0:3], 0 offen offset:4
	buffer_load_dword v167, v248, s[0:3], 0 offen offset:8
	buffer_load_dword v168, v248, s[0:3], 0 offen offset:12
	;; [unrolled: 10-line block ×9, first 2 shown]
	buffer_load_dword v251, v189, s[0:3], 0 offen
	buffer_load_dword v252, v189, s[0:3], 0 offen offset:4
	buffer_load_dword v253, v189, s[0:3], 0 offen offset:8
	;; [unrolled: 1-line block ×3, first 2 shown]
	global_store_dwordx4 v[198:199], v[68:71], off
	global_store_dwordx4 v[200:201], v[105:108], off
	;; [unrolled: 1-line block ×7, first 2 shown]
	s_waitcnt vmcnt(62)
	global_store_dwordx4 v[212:213], v[0:3], off
	global_store_dwordx4 v[214:215], v[129:132], off
	;; [unrolled: 1-line block ×19, first 2 shown]
	s_waitcnt vmcnt(60)
	global_store_dwordx4 v[81:82], v[165:168], off
	s_waitcnt vmcnt(56)
	global_store_dwordx4 v[83:84], v[40:43], off
	;; [unrolled: 2-line block ×12, first 2 shown]
	s_clause 0x1
	buffer_load_dword v0, off, s[0:3], 0 offset:960
	buffer_load_dword v1, off, s[0:3], 0 offset:964
	s_waitcnt vmcnt(0)
	global_store_dwordx4 v[0:1], v[247:250], off
	s_clause 0x1
	buffer_load_dword v0, off, s[0:3], 0 offset:968
	buffer_load_dword v1, off, s[0:3], 0 offset:972
	s_waitcnt vmcnt(0)
	global_store_dwordx4 v[0:1], v[64:67], off
	;; [unrolled: 5-line block ×4, first 2 shown]
	s_endpgm
	.section	.rodata,"a",@progbits
	.p2align	6, 0x0
	.amdhsa_kernel _ZN9rocsolver6v33100L18getri_kernel_smallILi59E19rocblas_complex_numIdEPS3_EEvT1_iilPiilS6_bb
		.amdhsa_group_segment_fixed_size 1896
		.amdhsa_private_segment_fixed_size 1008
		.amdhsa_kernarg_size 60
		.amdhsa_user_sgpr_count 6
		.amdhsa_user_sgpr_private_segment_buffer 1
		.amdhsa_user_sgpr_dispatch_ptr 0
		.amdhsa_user_sgpr_queue_ptr 0
		.amdhsa_user_sgpr_kernarg_segment_ptr 1
		.amdhsa_user_sgpr_dispatch_id 0
		.amdhsa_user_sgpr_flat_scratch_init 0
		.amdhsa_user_sgpr_private_segment_size 0
		.amdhsa_wavefront_size32 1
		.amdhsa_uses_dynamic_stack 0
		.amdhsa_system_sgpr_private_segment_wavefront_offset 1
		.amdhsa_system_sgpr_workgroup_id_x 1
		.amdhsa_system_sgpr_workgroup_id_y 0
		.amdhsa_system_sgpr_workgroup_id_z 0
		.amdhsa_system_sgpr_workgroup_info 0
		.amdhsa_system_vgpr_workitem_id 0
		.amdhsa_next_free_vgpr 256
		.amdhsa_next_free_sgpr 75
		.amdhsa_reserve_vcc 1
		.amdhsa_reserve_flat_scratch 0
		.amdhsa_float_round_mode_32 0
		.amdhsa_float_round_mode_16_64 0
		.amdhsa_float_denorm_mode_32 3
		.amdhsa_float_denorm_mode_16_64 3
		.amdhsa_dx10_clamp 1
		.amdhsa_ieee_mode 1
		.amdhsa_fp16_overflow 0
		.amdhsa_workgroup_processor_mode 1
		.amdhsa_memory_ordered 1
		.amdhsa_forward_progress 1
		.amdhsa_shared_vgpr_count 0
		.amdhsa_exception_fp_ieee_invalid_op 0
		.amdhsa_exception_fp_denorm_src 0
		.amdhsa_exception_fp_ieee_div_zero 0
		.amdhsa_exception_fp_ieee_overflow 0
		.amdhsa_exception_fp_ieee_underflow 0
		.amdhsa_exception_fp_ieee_inexact 0
		.amdhsa_exception_int_div_zero 0
	.end_amdhsa_kernel
	.section	.text._ZN9rocsolver6v33100L18getri_kernel_smallILi59E19rocblas_complex_numIdEPS3_EEvT1_iilPiilS6_bb,"axG",@progbits,_ZN9rocsolver6v33100L18getri_kernel_smallILi59E19rocblas_complex_numIdEPS3_EEvT1_iilPiilS6_bb,comdat
.Lfunc_end58:
	.size	_ZN9rocsolver6v33100L18getri_kernel_smallILi59E19rocblas_complex_numIdEPS3_EEvT1_iilPiilS6_bb, .Lfunc_end58-_ZN9rocsolver6v33100L18getri_kernel_smallILi59E19rocblas_complex_numIdEPS3_EEvT1_iilPiilS6_bb
                                        ; -- End function
	.set _ZN9rocsolver6v33100L18getri_kernel_smallILi59E19rocblas_complex_numIdEPS3_EEvT1_iilPiilS6_bb.num_vgpr, 256
	.set _ZN9rocsolver6v33100L18getri_kernel_smallILi59E19rocblas_complex_numIdEPS3_EEvT1_iilPiilS6_bb.num_agpr, 0
	.set _ZN9rocsolver6v33100L18getri_kernel_smallILi59E19rocblas_complex_numIdEPS3_EEvT1_iilPiilS6_bb.numbered_sgpr, 75
	.set _ZN9rocsolver6v33100L18getri_kernel_smallILi59E19rocblas_complex_numIdEPS3_EEvT1_iilPiilS6_bb.num_named_barrier, 0
	.set _ZN9rocsolver6v33100L18getri_kernel_smallILi59E19rocblas_complex_numIdEPS3_EEvT1_iilPiilS6_bb.private_seg_size, 1008
	.set _ZN9rocsolver6v33100L18getri_kernel_smallILi59E19rocblas_complex_numIdEPS3_EEvT1_iilPiilS6_bb.uses_vcc, 1
	.set _ZN9rocsolver6v33100L18getri_kernel_smallILi59E19rocblas_complex_numIdEPS3_EEvT1_iilPiilS6_bb.uses_flat_scratch, 0
	.set _ZN9rocsolver6v33100L18getri_kernel_smallILi59E19rocblas_complex_numIdEPS3_EEvT1_iilPiilS6_bb.has_dyn_sized_stack, 0
	.set _ZN9rocsolver6v33100L18getri_kernel_smallILi59E19rocblas_complex_numIdEPS3_EEvT1_iilPiilS6_bb.has_recursion, 0
	.set _ZN9rocsolver6v33100L18getri_kernel_smallILi59E19rocblas_complex_numIdEPS3_EEvT1_iilPiilS6_bb.has_indirect_call, 0
	.section	.AMDGPU.csdata,"",@progbits
; Kernel info:
; codeLenInByte = 224164
; TotalNumSgprs: 77
; NumVgprs: 256
; ScratchSize: 1008
; MemoryBound: 0
; FloatMode: 240
; IeeeMode: 1
; LDSByteSize: 1896 bytes/workgroup (compile time only)
; SGPRBlocks: 0
; VGPRBlocks: 31
; NumSGPRsForWavesPerEU: 77
; NumVGPRsForWavesPerEU: 256
; Occupancy: 4
; WaveLimiterHint : 1
; COMPUTE_PGM_RSRC2:SCRATCH_EN: 1
; COMPUTE_PGM_RSRC2:USER_SGPR: 6
; COMPUTE_PGM_RSRC2:TRAP_HANDLER: 0
; COMPUTE_PGM_RSRC2:TGID_X_EN: 1
; COMPUTE_PGM_RSRC2:TGID_Y_EN: 0
; COMPUTE_PGM_RSRC2:TGID_Z_EN: 0
; COMPUTE_PGM_RSRC2:TIDIG_COMP_CNT: 0
	.section	.text._ZN9rocsolver6v33100L18getri_kernel_smallILi60E19rocblas_complex_numIdEPS3_EEvT1_iilPiilS6_bb,"axG",@progbits,_ZN9rocsolver6v33100L18getri_kernel_smallILi60E19rocblas_complex_numIdEPS3_EEvT1_iilPiilS6_bb,comdat
	.globl	_ZN9rocsolver6v33100L18getri_kernel_smallILi60E19rocblas_complex_numIdEPS3_EEvT1_iilPiilS6_bb ; -- Begin function _ZN9rocsolver6v33100L18getri_kernel_smallILi60E19rocblas_complex_numIdEPS3_EEvT1_iilPiilS6_bb
	.p2align	8
	.type	_ZN9rocsolver6v33100L18getri_kernel_smallILi60E19rocblas_complex_numIdEPS3_EEvT1_iilPiilS6_bb,@function
_ZN9rocsolver6v33100L18getri_kernel_smallILi60E19rocblas_complex_numIdEPS3_EEvT1_iilPiilS6_bb: ; @_ZN9rocsolver6v33100L18getri_kernel_smallILi60E19rocblas_complex_numIdEPS3_EEvT1_iilPiilS6_bb
; %bb.0:
	s_add_u32 s0, s0, s7
	s_addc_u32 s1, s1, 0
	s_mov_b32 s7, exec_lo
	v_cmpx_gt_u32_e32 60, v0
	s_cbranch_execz .LBB59_254
; %bb.1:
	s_clause 0x2
	s_load_dword s7, s[4:5], 0x38
	s_load_dwordx4 s[16:19], s[4:5], 0x10
	s_load_dwordx4 s[8:11], s[4:5], 0x28
                                        ; implicit-def: $sgpr20_sgpr21
	s_waitcnt lgkmcnt(0)
	s_bitcmp1_b32 s7, 8
	s_cselect_b32 s72, -1, 0
	s_bfe_u32 s12, s7, 0x10008
	s_ashr_i32 s7, s6, 31
	s_cmp_eq_u32 s12, 0
	s_cbranch_scc1 .LBB59_3
; %bb.2:
	s_load_dword s12, s[4:5], 0x20
	s_mul_i32 s13, s8, s7
	s_mul_hi_u32 s14, s8, s6
	s_mul_i32 s9, s9, s6
	s_add_i32 s13, s14, s13
	s_mul_i32 s8, s8, s6
	s_add_i32 s9, s13, s9
	s_lshl_b64 s[8:9], s[8:9], 2
	s_waitcnt lgkmcnt(0)
	s_ashr_i32 s13, s12, 31
	s_add_u32 s14, s18, s8
	s_addc_u32 s15, s19, s9
	s_lshl_b64 s[8:9], s[12:13], 2
	s_add_u32 s20, s14, s8
	s_addc_u32 s21, s15, s9
.LBB59_3:
	s_clause 0x1
	s_load_dwordx4 s[12:15], s[4:5], 0x0
	s_load_dword s73, s[4:5], 0x38
	s_mul_i32 s4, s16, s7
	s_mul_hi_u32 s5, s16, s6
	s_mul_i32 s8, s17, s6
	s_add_i32 s5, s5, s4
	s_mul_i32 s4, s16, s6
	s_add_i32 s5, s5, s8
	v_lshlrev_b32_e32 v247, 4, v0
	s_lshl_b64 s[4:5], s[4:5], 4
	s_mov_b32 s71, 32
	s_mov_b32 s69, 48
	;; [unrolled: 1-line block ×3, first 2 shown]
	s_movk_i32 s67, 0x50
	s_waitcnt lgkmcnt(0)
	v_add3_u32 v5, s15, s15, v0
	s_ashr_i32 s9, s14, 31
	s_mov_b32 s8, s14
	s_add_u32 s12, s12, s4
	s_addc_u32 s13, s13, s5
	v_add_nc_u32_e32 v7, s15, v5
	s_lshl_b64 s[4:5], s[8:9], 4
	v_ashrrev_i32_e32 v6, 31, v5
	s_add_u32 s4, s12, s4
	s_addc_u32 s5, s13, s5
	v_add_nc_u32_e32 v9, s15, v7
	v_add_co_u32 v161, s12, s4, v247
	s_mov_b32 s8, s15
	s_ashr_i32 s9, s15, 31
	v_lshlrev_b64 v[5:6], 4, v[5:6]
	v_ashrrev_i32_e32 v8, 31, v7
	v_add_co_ci_u32_e64 v162, null, s5, 0, s12
	s_lshl_b64 s[8:9], s[8:9], 4
	v_ashrrev_i32_e32 v10, 31, v9
	v_add_nc_u32_e32 v11, s15, v9
	v_add_co_u32 v182, vcc_lo, v161, s8
	v_lshlrev_b64 v[7:8], 4, v[7:8]
	v_add_co_ci_u32_e64 v183, null, s9, v162, vcc_lo
	v_add_co_u32 v186, vcc_lo, s4, v5
	v_add_co_ci_u32_e64 v187, null, s5, v6, vcc_lo
	v_lshlrev_b64 v[5:6], 4, v[9:10]
	v_ashrrev_i32_e32 v12, 31, v11
	v_add_nc_u32_e32 v9, s15, v11
	v_add_co_u32 v163, vcc_lo, s4, v7
	v_add_co_ci_u32_e64 v164, null, s5, v8, vcc_lo
	v_lshlrev_b64 v[7:8], 4, v[11:12]
	v_ashrrev_i32_e32 v10, 31, v9
	v_add_nc_u32_e32 v11, s15, v9
	;; [unrolled: 5-line block ×10, first 2 shown]
	v_add_co_u32 v184, vcc_lo, s4, v5
	v_add_co_ci_u32_e64 v185, null, s5, v6, vcc_lo
	v_lshlrev_b64 v[5:6], 4, v[9:10]
	v_add_nc_u32_e32 v9, s15, v11
	v_ashrrev_i32_e32 v12, 31, v11
	v_add_co_u32 v196, vcc_lo, s4, v7
	v_add_co_ci_u32_e64 v197, null, s5, v8, vcc_lo
	v_ashrrev_i32_e32 v10, 31, v9
	v_lshlrev_b64 v[7:8], 4, v[11:12]
	v_add_co_u32 v191, vcc_lo, s4, v5
	v_add_co_ci_u32_e64 v192, null, s5, v6, vcc_lo
	v_lshlrev_b64 v[5:6], 4, v[9:10]
	v_add_co_u32 v193, vcc_lo, s4, v7
	v_add_co_ci_u32_e64 v194, null, s5, v8, vcc_lo
	s_clause 0x1
	global_load_dwordx4 v[1:4], v247, s[4:5]
	global_load_dwordx4 v[53:56], v[163:164], off
	v_add_co_u32 v13, vcc_lo, s4, v5
	v_add_co_ci_u32_e64 v14, null, s5, v6, vcc_lo
	s_clause 0xd
	global_load_dwordx4 v[89:92], v[182:183], off
	global_load_dwordx4 v[41:44], v[186:187], off
	;; [unrolled: 1-line block ×14, first 2 shown]
	buffer_store_dword v13, off, s[0:3], 0 offset:976 ; 4-byte Folded Spill
	buffer_store_dword v14, off, s[0:3], 0 offset:980 ; 4-byte Folded Spill
	v_add_nc_u32_e32 v11, s15, v9
	s_movk_i32 s8, 0x110
	s_add_i32 s59, s8, 16
	s_movk_i32 s8, 0x130
	v_ashrrev_i32_e32 v12, 31, v11
	v_add_nc_u32_e32 v9, s15, v11
	s_add_i32 s55, s8, 16
	s_movk_i32 s8, 0x150
	v_lshlrev_b64 v[7:8], 4, v[11:12]
	v_add_nc_u32_e32 v11, s15, v9
	v_ashrrev_i32_e32 v10, 31, v9
	s_add_i32 s51, s8, 16
	s_movk_i32 s8, 0x170
	v_ashrrev_i32_e32 v12, 31, v11
	v_lshlrev_b64 v[5:6], 4, v[9:10]
	v_add_co_u32 v200, vcc_lo, s4, v7
	v_add_co_ci_u32_e64 v201, null, s5, v8, vcc_lo
	v_lshlrev_b64 v[7:8], 4, v[11:12]
	v_add_co_u32 v202, vcc_lo, s4, v5
	v_add_co_ci_u32_e64 v203, null, s5, v6, vcc_lo
	v_add_nc_u32_e32 v9, s15, v11
	v_add_co_u32 v15, vcc_lo, s4, v7
	v_add_co_ci_u32_e64 v16, null, s5, v8, vcc_lo
	global_load_dwordx4 v[101:104], v[202:203], off
	v_ashrrev_i32_e32 v10, 31, v9
	v_add_nc_u32_e32 v11, s15, v9
	s_add_i32 s49, s8, 16
	s_movk_i32 s8, 0x190
	global_load_dwordx4 v[105:108], v[200:201], off
	v_lshlrev_b64 v[5:6], 4, v[9:10]
	v_ashrrev_i32_e32 v12, 31, v11
	v_add_nc_u32_e32 v9, s15, v11
	s_add_i32 s47, s8, 16
	s_movk_i32 s8, 0x1b0
	v_add_co_u32 v17, vcc_lo, s4, v5
	v_add_co_ci_u32_e64 v18, null, s5, v6, vcc_lo
	v_lshlrev_b64 v[7:8], 4, v[11:12]
	v_ashrrev_i32_e32 v10, 31, v9
	v_add_nc_u32_e32 v11, s15, v9
	s_add_i32 s45, s8, 16
	s_movk_i32 s8, 0x1d0
	v_lshlrev_b64 v[5:6], 4, v[9:10]
	v_add_co_u32 v9, vcc_lo, s4, v7
	v_add_co_ci_u32_e64 v10, null, s5, v8, vcc_lo
	v_ashrrev_i32_e32 v12, 31, v11
	v_add_co_u32 v205, vcc_lo, s4, v5
	v_add_nc_u32_e32 v5, s15, v11
	v_add_co_ci_u32_e64 v206, null, s5, v6, vcc_lo
	v_lshlrev_b64 v[7:8], 4, v[11:12]
	s_add_i32 s43, s8, 16
	v_ashrrev_i32_e32 v6, 31, v5
	s_movk_i32 s8, 0x1f0
	s_add_i32 s41, s8, 16
	v_add_co_u32 v207, vcc_lo, s4, v7
	v_add_nc_u32_e32 v7, s15, v5
	v_lshlrev_b64 v[5:6], 4, v[5:6]
	v_add_co_ci_u32_e64 v208, null, s5, v8, vcc_lo
	s_movk_i32 s8, 0x210
	v_ashrrev_i32_e32 v8, 31, v7
	s_add_i32 s39, s8, 16
	v_add_co_u32 v209, vcc_lo, s4, v5
	v_add_co_ci_u32_e64 v210, null, s5, v6, vcc_lo
	v_lshlrev_b64 v[5:6], 4, v[7:8]
	s_movk_i32 s8, 0x230
	s_add_i32 s37, s8, 16
	s_movk_i32 s8, 0x250
	v_add_co_u32 v211, vcc_lo, s4, v5
	v_add_co_ci_u32_e64 v212, null, s5, v6, vcc_lo
	s_add_i32 s35, s8, 16
	s_movk_i32 s8, 0x290
	s_add_i32 s30, s8, 16
	global_load_dwordx4 v[85:88], v[13:14], off
	buffer_store_dword v15, off, s[0:3], 0 offset:984 ; 4-byte Folded Spill
	buffer_store_dword v16, off, s[0:3], 0 offset:988 ; 4-byte Folded Spill
	global_load_dwordx4 v[129:132], v[15:16], off
	buffer_store_dword v17, off, s[0:3], 0 offset:992 ; 4-byte Folded Spill
	buffer_store_dword v18, off, s[0:3], 0 offset:996 ; 4-byte Folded Spill
	;; [unrolled: 3-line block ×3, first 2 shown]
	s_clause 0x1
	global_load_dwordx4 v[121:124], v[9:10], off
	global_load_dwordx4 v[117:120], v[205:206], off
	v_add_nc_u32_e32 v9, s15, v7
	s_clause 0x2
	global_load_dwordx4 v[145:148], v[207:208], off
	global_load_dwordx4 v[141:144], v[209:210], off
	;; [unrolled: 1-line block ×3, first 2 shown]
	v_add_nc_u32_e32 v11, s15, v9
	v_ashrrev_i32_e32 v10, 31, v9
	v_ashrrev_i32_e32 v12, 31, v11
	v_lshlrev_b64 v[7:8], 4, v[9:10]
	v_add_nc_u32_e32 v9, s15, v11
	v_lshlrev_b64 v[5:6], 4, v[11:12]
	v_add_co_u32 v213, vcc_lo, s4, v7
	v_add_co_ci_u32_e64 v214, null, s5, v8, vcc_lo
	v_add_co_u32 v215, vcc_lo, s4, v5
	v_add_co_ci_u32_e64 v216, null, s5, v6, vcc_lo
	s_clause 0x1
	global_load_dwordx4 v[149:152], v[213:214], off
	global_load_dwordx4 v[5:8], v[215:216], off
	v_add_nc_u32_e32 v11, s15, v9
	v_ashrrev_i32_e32 v10, 31, v9
	v_add_nc_u32_e32 v13, s15, v11
	v_ashrrev_i32_e32 v12, 31, v11
	v_lshlrev_b64 v[9:10], 4, v[9:10]
	v_add_nc_u32_e32 v15, s15, v13
	v_ashrrev_i32_e32 v14, 31, v13
	v_lshlrev_b64 v[17:18], 4, v[11:12]
	v_add_co_u32 v217, vcc_lo, s4, v9
	v_add_nc_u32_e32 v19, s15, v15
	v_ashrrev_i32_e32 v16, 31, v15
	v_lshlrev_b64 v[13:14], 4, v[13:14]
	v_add_co_ci_u32_e64 v218, null, s5, v10, vcc_lo
	v_add_nc_u32_e32 v31, s15, v19
	v_ashrrev_i32_e32 v20, 31, v19
	v_lshlrev_b64 v[29:30], 4, v[15:16]
	v_add_co_u32 v219, vcc_lo, s4, v17
	v_add_nc_u32_e32 v39, s15, v31
	v_ashrrev_i32_e32 v32, 31, v31
	v_lshlrev_b64 v[37:38], 4, v[19:20]
	v_add_co_ci_u32_e64 v220, null, s5, v18, vcc_lo
	v_add_nc_u32_e32 v95, s15, v39
	v_ashrrev_i32_e32 v40, 31, v39
	v_add_co_u32 v221, vcc_lo, s4, v13
	v_lshlrev_b64 v[93:94], 4, v[31:32]
	v_add_nc_u32_e32 v99, s15, v95
	v_ashrrev_i32_e32 v96, 31, v95
	v_add_co_ci_u32_e64 v222, null, s5, v14, vcc_lo
	v_add_co_u32 v223, vcc_lo, s4, v29
	v_add_nc_u32_e32 v111, s15, v99
	v_ashrrev_i32_e32 v100, 31, v99
	v_lshlrev_b64 v[97:98], 4, v[39:40]
	v_add_co_ci_u32_e64 v224, null, s5, v30, vcc_lo
	v_add_nc_u32_e32 v115, s15, v111
	v_ashrrev_i32_e32 v112, 31, v111
	v_add_co_u32 v225, vcc_lo, s4, v37
	v_lshlrev_b64 v[109:110], 4, v[95:96]
	v_add_nc_u32_e32 v135, s15, v115
	v_ashrrev_i32_e32 v116, 31, v115
	v_add_co_ci_u32_e64 v226, null, s5, v38, vcc_lo
	v_add_co_u32 v227, vcc_lo, s4, v93
	v_add_nc_u32_e32 v139, s15, v135
	v_lshlrev_b64 v[113:114], 4, v[99:100]
	v_ashrrev_i32_e32 v136, 31, v135
	v_add_co_ci_u32_e64 v228, null, s5, v94, vcc_lo
	v_add_nc_u32_e32 v159, s15, v139
	v_add_co_u32 v229, vcc_lo, s4, v97
	v_lshlrev_b64 v[133:134], 4, v[111:112]
	v_add_co_ci_u32_e64 v230, null, s5, v98, vcc_lo
	v_add_co_u32 v231, vcc_lo, s4, v109
	v_lshlrev_b64 v[137:138], 4, v[115:116]
	v_add_nc_u32_e32 v243, s15, v159
	v_ashrrev_i32_e32 v140, 31, v139
	v_add_co_ci_u32_e64 v232, null, s5, v110, vcc_lo
	v_add_co_u32 v233, vcc_lo, s4, v113
	v_lshlrev_b64 v[157:158], 4, v[135:136]
	v_add_co_ci_u32_e64 v234, null, s5, v114, vcc_lo
	v_add_co_u32 v235, vcc_lo, s4, v133
	v_ashrrev_i32_e32 v160, 31, v159
	v_add_nc_u32_e32 v245, s15, v243
	v_add_co_ci_u32_e64 v236, null, s5, v134, vcc_lo
	v_add_co_u32 v237, vcc_lo, s4, v137
	v_lshlrev_b64 v[241:242], 4, v[139:140]
	v_ashrrev_i32_e32 v244, 31, v243
	v_add_co_ci_u32_e64 v238, null, s5, v138, vcc_lo
	v_add_co_u32 v239, vcc_lo, s4, v157
	v_add_co_ci_u32_e64 v240, null, s5, v158, vcc_lo
	v_lshlrev_b64 v[157:158], 4, v[159:160]
	v_add_nc_u32_e32 v250, s15, v245
	v_add_co_u32 v241, vcc_lo, s4, v241
	v_lshlrev_b64 v[248:249], 4, v[243:244]
	v_add_co_ci_u32_e64 v242, null, s5, v242, vcc_lo
	v_ashrrev_i32_e32 v251, 31, v250
	v_add_nc_u32_e32 v252, s15, v250
	v_add_co_u32 v243, vcc_lo, s4, v157
	s_clause 0xa
	global_load_dwordx4 v[9:12], v[217:218], off
	global_load_dwordx4 v[17:20], v[219:220], off
	global_load_dwordx4 v[13:16], v[221:222], off
	global_load_dwordx4 v[37:40], v[223:224], off
	global_load_dwordx4 v[29:32], v[225:226], off
	global_load_dwordx4 v[97:100], v[227:228], off
	global_load_dwordx4 v[93:96], v[229:230], off
	global_load_dwordx4 v[113:116], v[231:232], off
	global_load_dwordx4 v[109:112], v[233:234], off
	global_load_dwordx4 v[137:140], v[235:236], off
	global_load_dwordx4 v[133:136], v[237:238], off
	s_waitcnt vmcnt(38)
	buffer_store_dword v4, off, s[0:3], 0 offset:28
	buffer_store_dword v3, off, s[0:3], 0 offset:24
	;; [unrolled: 1-line block ×4, first 2 shown]
	v_add_co_ci_u32_e64 v244, null, s5, v158, vcc_lo
	s_clause 0x1
	global_load_dwordx4 v[157:160], v[239:240], off
	global_load_dwordx4 v[1:4], v[241:242], off
	s_waitcnt vmcnt(38)
	buffer_store_dword v92, off, s[0:3], 0 offset:44
	buffer_store_dword v91, off, s[0:3], 0 offset:40
	;; [unrolled: 1-line block ×4, first 2 shown]
	v_add_co_u32 v89, vcc_lo, s4, v248
	v_add_co_ci_u32_e64 v90, null, s5, v249, vcc_lo
	v_lshlrev_b64 v[248:249], 4, v[250:251]
	v_add_nc_u32_e32 v250, s15, v252
	s_waitcnt vmcnt(37)
	buffer_store_dword v44, off, s[0:3], 0 offset:60
	buffer_store_dword v43, off, s[0:3], 0 offset:56
	;; [unrolled: 1-line block ×8, first 2 shown]
	s_clause 0x1
	global_load_dwordx4 v[41:44], v[243:244], off
	global_load_dwordx4 v[53:56], v[89:90], off
	s_waitcnt vmcnt(38)
	buffer_store_dword v60, off, s[0:3], 0 offset:92
	buffer_store_dword v59, off, s[0:3], 0 offset:88
	;; [unrolled: 1-line block ×4, first 2 shown]
	v_ashrrev_i32_e32 v246, 31, v245
	v_add_nc_u32_e32 v57, s15, v250
	v_ashrrev_i32_e32 v253, 31, v252
	v_ashrrev_i32_e32 v251, 31, v250
	s_waitcnt vmcnt(36)
	buffer_store_dword v24, off, s[0:3], 0 offset:108
	buffer_store_dword v23, off, s[0:3], 0 offset:104
	;; [unrolled: 1-line block ×4, first 2 shown]
	s_waitcnt vmcnt(35)
	buffer_store_dword v28, off, s[0:3], 0 offset:124
	buffer_store_dword v27, off, s[0:3], 0 offset:120
	buffer_store_dword v26, off, s[0:3], 0 offset:116
	buffer_store_dword v25, off, s[0:3], 0 offset:112
	buffer_store_dword v36, off, s[0:3], 0 offset:140
	buffer_store_dword v35, off, s[0:3], 0 offset:136
	buffer_store_dword v34, off, s[0:3], 0 offset:132
	buffer_store_dword v33, off, s[0:3], 0 offset:128
	s_waitcnt vmcnt(34)
	buffer_store_dword v48, off, s[0:3], 0 offset:156
	buffer_store_dword v47, off, s[0:3], 0 offset:152
	buffer_store_dword v46, off, s[0:3], 0 offset:148
	buffer_store_dword v45, off, s[0:3], 0 offset:144
	s_waitcnt vmcnt(33)
	buffer_store_dword v49, off, s[0:3], 0 offset:160
	buffer_store_dword v50, off, s[0:3], 0 offset:164
	buffer_store_dword v51, off, s[0:3], 0 offset:168
	buffer_store_dword v52, off, s[0:3], 0 offset:172
	;; [unrolled: 5-line block ×9, first 2 shown]
	buffer_store_dword v108, off, s[0:3], 0 offset:300
	buffer_store_dword v107, off, s[0:3], 0 offset:296
	;; [unrolled: 1-line block ×8, first 2 shown]
	s_waitcnt vmcnt(23)
	buffer_store_dword v132, off, s[0:3], 0 offset:332
	buffer_store_dword v131, off, s[0:3], 0 offset:328
	buffer_store_dword v130, off, s[0:3], 0 offset:324
	buffer_store_dword v129, off, s[0:3], 0 offset:320
	s_waitcnt vmcnt(22)
	buffer_store_dword v128, off, s[0:3], 0 offset:348
	buffer_store_dword v127, off, s[0:3], 0 offset:344
	buffer_store_dword v126, off, s[0:3], 0 offset:340
	buffer_store_dword v125, off, s[0:3], 0 offset:336
	;; [unrolled: 5-line block ×8, first 2 shown]
	s_waitcnt vmcnt(15)
	buffer_store_dword v8, off, s[0:3], 0 offset:460
	v_add_nc_u32_e32 v35, s15, v57
	v_lshlrev_b64 v[245:246], 4, v[245:246]
	v_lshlrev_b64 v[252:253], 4, v[252:253]
	;; [unrolled: 1-line block ×3, first 2 shown]
	v_ashrrev_i32_e32 v58, 31, v57
	v_add_nc_u32_e32 v49, s15, v35
	v_ashrrev_i32_e32 v36, 31, v35
	v_add_co_u32 v91, vcc_lo, s4, v245
	v_add_co_ci_u32_e64 v92, null, s5, v246, vcc_lo
	v_add_nc_u32_e32 v61, s15, v49
	v_add_co_u32 v245, vcc_lo, s4, v248
	v_add_co_ci_u32_e64 v246, null, s5, v249, vcc_lo
	v_ashrrev_i32_e32 v62, 31, v61
	v_add_co_u32 v72, vcc_lo, s4, v252
	v_ashrrev_i32_e32 v50, 31, v49
	v_add_co_ci_u32_e64 v73, null, s5, v253, vcc_lo
	v_lshlrev_b64 v[65:66], 4, v[61:62]
	v_add_nc_u32_e32 v61, s15, v61
	v_lshlrev_b64 v[45:46], 4, v[57:58]
	v_add_co_u32 v74, vcc_lo, s4, v33
	v_add_co_ci_u32_e64 v75, null, s5, v34, vcc_lo
	v_add_nc_u32_e32 v69, s15, v61
	v_lshlrev_b64 v[33:34], 4, v[35:36]
	v_ashrrev_i32_e32 v62, 31, v61
	v_lshlrev_b64 v[63:64], 4, v[49:50]
	v_add_co_u32 v76, vcc_lo, s4, v45
	v_add_nc_u32_e32 v86, s15, v69
	v_ashrrev_i32_e32 v70, 31, v69
	v_add_co_ci_u32_e64 v77, null, s5, v46, vcc_lo
	v_add_co_u32 v78, vcc_lo, s4, v33
	v_lshlrev_b64 v[84:85], 4, v[61:62]
	v_add_nc_u32_e32 v101, s15, v86
	v_add_co_ci_u32_e64 v79, null, s5, v34, vcc_lo
	v_add_co_u32 v80, vcc_lo, s4, v63
	v_lshlrev_b64 v[69:70], 4, v[69:70]
	v_ashrrev_i32_e32 v87, 31, v86
	v_add_co_ci_u32_e64 v81, null, s5, v64, vcc_lo
	v_add_co_u32 v82, vcc_lo, s4, v65
	v_ashrrev_i32_e32 v102, 31, v101
	v_add_co_ci_u32_e64 v83, null, s5, v66, vcc_lo
	v_add_co_u32 v84, vcc_lo, s4, v84
	v_add_co_ci_u32_e64 v85, null, s5, v85, vcc_lo
	v_lshlrev_b64 v[103:104], 4, v[86:87]
	v_add_co_u32 v86, vcc_lo, s4, v69
	v_add_nc_u32_e32 v105, s15, v101
	v_add_co_ci_u32_e64 v87, null, s5, v70, vcc_lo
	v_lshlrev_b64 v[69:70], 4, v[101:102]
	v_add_co_u32 v101, vcc_lo, s4, v103
	v_ashrrev_i32_e32 v106, 31, v105
	v_add_nc_u32_e32 v107, s15, v105
	v_add_co_ci_u32_e64 v102, null, s5, v104, vcc_lo
	v_add_co_u32 v103, vcc_lo, s4, v69
	v_add_co_ci_u32_e64 v104, null, s5, v70, vcc_lo
	v_lshlrev_b64 v[69:70], 4, v[105:106]
	v_add_nc_u32_e32 v119, s15, v107
	v_ashrrev_i32_e32 v108, 31, v107
	s_clause 0x5
	global_load_dwordx4 v[21:24], v[91:92], off
	global_load_dwordx4 v[25:28], v[245:246], off
	;; [unrolled: 1-line block ×6, first 2 shown]
	v_add_co_u32 v105, vcc_lo, s4, v69
	v_add_nc_u32_e32 v69, s15, v119
	v_lshlrev_b64 v[117:118], 4, v[107:108]
	v_ashrrev_i32_e32 v120, 31, v119
	v_add_co_ci_u32_e64 v106, null, s5, v70, vcc_lo
	v_add_nc_u32_e32 v121, s15, v69
	v_ashrrev_i32_e32 v70, 31, v69
	v_add_co_u32 v107, vcc_lo, s4, v117
	v_add_co_ci_u32_e64 v108, null, s5, v118, vcc_lo
	v_ashrrev_i32_e32 v122, 31, v121
	v_lshlrev_b64 v[117:118], 4, v[119:120]
	v_lshlrev_b64 v[69:70], 4, v[69:70]
	s_clause 0x3
	global_load_dwordx4 v[61:64], v[80:81], off
	global_load_dwordx4 v[65:68], v[82:83], off
	;; [unrolled: 1-line block ×4, first 2 shown]
	v_lshlrev_b64 v[119:120], 4, v[121:122]
	s_clause 0x1
	global_load_dwordx4 v[141:144], v[101:102], off
	global_load_dwordx4 v[145:148], v[103:104], off
	v_add_co_u32 v117, vcc_lo, s4, v117
	v_add_co_ci_u32_e64 v118, null, s5, v118, vcc_lo
	v_add_co_u32 v121, vcc_lo, s4, v69
	v_add_co_ci_u32_e64 v122, null, s5, v70, vcc_lo
	;; [unrolled: 2-line block ×3, first 2 shown]
	s_clause 0x3
	global_load_dwordx4 v[149:152], v[105:106], off
	global_load_dwordx4 v[153:156], v[107:108], off
	;; [unrolled: 1-line block ×4, first 2 shown]
	buffer_store_dword v7, off, s[0:3], 0 offset:456
	buffer_store_dword v6, off, s[0:3], 0 offset:452
	;; [unrolled: 1-line block ×3, first 2 shown]
	global_load_dwordx4 v[5:8], v[119:120], off
	s_movk_i32 s5, 0x60
	s_movk_i32 s4, 0x50
	s_add_i32 s65, s5, 16
	s_movk_i32 s5, 0x80
	s_add_i32 s66, s4, 16
	s_add_i32 s63, s5, 16
	s_movk_i32 s5, 0xa0
	s_movk_i32 s4, 0x70
	s_add_i32 s60, s5, 16
	s_movk_i32 s5, 0xc0
	s_add_i32 s64, s4, 16
	s_add_i32 s56, s5, 16
	s_movk_i32 s5, 0xe0
	s_movk_i32 s4, 0x90
	s_add_i32 s52, s5, 16
	s_movk_i32 s5, 0x100
	s_add_i32 s62, s4, 16
	s_add_i32 s61, s5, 16
	s_movk_i32 s5, 0x120
	s_movk_i32 s4, 0xb0
	s_add_i32 s57, s5, 16
	s_movk_i32 s5, 0x140
	s_add_i32 s58, s4, 16
	s_add_i32 s53, s5, 16
	s_movk_i32 s5, 0x160
	s_movk_i32 s4, 0xd0
	s_add_i32 s50, s5, 16
	s_movk_i32 s5, 0x180
	s_add_i32 s54, s4, 16
	s_add_i32 s48, s5, 16
	s_movk_i32 s5, 0x1a0
	s_movk_i32 s4, 0x2a0
	s_add_i32 s46, s5, 16
	s_movk_i32 s5, 0x1c0
	s_add_i32 s29, s4, 16
	s_add_i32 s44, s5, 16
	s_movk_i32 s5, 0x1e0
	s_movk_i32 s4, 0x280
	s_add_i32 s42, s5, 16
	s_movk_i32 s5, 0x200
	s_add_i32 s31, s4, 16
	s_add_i32 s40, s5, 16
	s_movk_i32 s5, 0x220
	s_movk_i32 s4, 0xf0
	s_add_i32 s38, s5, 16
	s_movk_i32 s5, 0x240
	s_add_i32 s70, s4, 16
	s_add_i32 s36, s5, 16
	s_movk_i32 s5, 0x260
	s_movk_i32 s4, 0x2c0
	s_add_i32 s34, s5, 16
	s_movk_i32 s5, 0x270
	s_add_i32 s27, s4, 16
	s_add_i32 s33, s5, 16
	s_movk_i32 s5, 0x2b0
	s_movk_i32 s4, 0x2e0
	s_add_i32 s28, s5, 16
	s_movk_i32 s5, 0x2d0
	s_add_i32 s25, s4, 16
	s_add_i32 s26, s5, 16
	s_movk_i32 s5, 0x2f0
	s_movk_i32 s4, 0x300
	s_add_i32 s24, s5, 16
	s_movk_i32 s5, 0x310
	s_add_i32 s23, s4, 16
	s_add_i32 s22, s5, 16
	s_movk_i32 s4, 0x320
	s_movk_i32 s5, 0x330
	s_add_i32 s19, s4, 16
	s_add_i32 s18, s5, 16
	s_movk_i32 s4, 0x340
	s_movk_i32 s5, 0x350
	s_add_i32 s17, s4, 16
	s_add_i32 s16, s5, 16
	;; [unrolled: 4-line block ×5, first 2 shown]
	s_bitcmp0_b32 s73, 0
	s_mov_b32 s5, -1
	s_waitcnt vmcnt(31)
	buffer_store_dword v12, off, s[0:3], 0 offset:476
	buffer_store_dword v11, off, s[0:3], 0 offset:472
	buffer_store_dword v10, off, s[0:3], 0 offset:468
	buffer_store_dword v9, off, s[0:3], 0 offset:464
	s_waitcnt vmcnt(30)
	buffer_store_dword v20, off, s[0:3], 0 offset:492
	buffer_store_dword v19, off, s[0:3], 0 offset:488
	buffer_store_dword v18, off, s[0:3], 0 offset:484
	buffer_store_dword v17, off, s[0:3], 0 offset:480
	;; [unrolled: 5-line block ×32, first 2 shown]
	s_cbranch_scc1 .LBB59_252
; %bb.4:
	v_cmp_eq_u32_e64 s4, 0, v0
	s_and_saveexec_b32 s5, s4
; %bb.5:
	v_mov_b32_e32 v1, 0
	ds_write_b32 v1, v1 offset:1920
; %bb.6:
	s_or_b32 exec_lo, exec_lo, s5
	v_lshl_add_u32 v11, v0, 4, 16
	s_waitcnt lgkmcnt(0)
	s_waitcnt_vscnt null, 0x0
	s_barrier
	buffer_gl0_inv
	s_clause 0x3
	buffer_load_dword v1, v11, s[0:3], 0 offen
	buffer_load_dword v2, v11, s[0:3], 0 offen offset:4
	buffer_load_dword v3, v11, s[0:3], 0 offen offset:8
	;; [unrolled: 1-line block ×3, first 2 shown]
	s_waitcnt vmcnt(2)
	v_cmp_eq_f64_e32 vcc_lo, 0, v[1:2]
	s_waitcnt vmcnt(0)
	v_cmp_eq_f64_e64 s5, 0, v[3:4]
	s_and_b32 s5, vcc_lo, s5
	s_and_saveexec_b32 s73, s5
	s_cbranch_execz .LBB59_10
; %bb.7:
	v_mov_b32_e32 v1, 0
	s_mov_b32 s74, 0
	ds_read_b32 v2, v1 offset:1920
	s_waitcnt lgkmcnt(0)
	v_readfirstlane_b32 s5, v2
	v_add_nc_u32_e32 v2, 1, v0
	s_cmp_eq_u32 s5, 0
	v_cmp_gt_i32_e32 vcc_lo, s5, v2
	s_cselect_b32 s75, -1, 0
	s_or_b32 s75, s75, vcc_lo
	s_and_b32 exec_lo, exec_lo, s75
	s_cbranch_execz .LBB59_10
; %bb.8:
	v_mov_b32_e32 v3, s5
.LBB59_9:                               ; =>This Inner Loop Header: Depth=1
	ds_cmpst_rtn_b32 v3, v1, v3, v2 offset:1920
	s_waitcnt lgkmcnt(0)
	v_cmp_ne_u32_e32 vcc_lo, 0, v3
	v_cmp_le_i32_e64 s5, v3, v2
	s_and_b32 s5, vcc_lo, s5
	s_and_b32 s5, exec_lo, s5
	s_or_b32 s74, s5, s74
	s_andn2_b32 exec_lo, exec_lo, s74
	s_cbranch_execnz .LBB59_9
.LBB59_10:
	s_or_b32 exec_lo, exec_lo, s73
	v_mov_b32_e32 v1, 0
	s_barrier
	buffer_gl0_inv
	ds_read_b32 v2, v1 offset:1920
	s_and_saveexec_b32 s5, s4
	s_cbranch_execz .LBB59_12
; %bb.11:
	s_lshl_b64 s[74:75], s[6:7], 2
	s_add_u32 s74, s10, s74
	s_addc_u32 s75, s11, s75
	s_waitcnt lgkmcnt(0)
	global_store_dword v1, v2, s[74:75]
.LBB59_12:
	s_or_b32 exec_lo, exec_lo, s5
	s_waitcnt lgkmcnt(0)
	v_cmp_ne_u32_e32 vcc_lo, 0, v2
	s_mov_b32 s5, 0
	s_cbranch_vccnz .LBB59_252
; %bb.13:
	s_clause 0x3
	buffer_load_dword v7, v11, s[0:3], 0 offen
	buffer_load_dword v8, v11, s[0:3], 0 offen offset:4
	buffer_load_dword v9, v11, s[0:3], 0 offen offset:8
	;; [unrolled: 1-line block ×3, first 2 shown]
                                        ; implicit-def: $vgpr5_vgpr6
                                        ; implicit-def: $vgpr3_vgpr4
	s_waitcnt vmcnt(0)
	v_cmp_ngt_f64_e64 s5, |v[7:8]|, |v[9:10]|
	s_and_saveexec_b32 s73, s5
	s_xor_b32 s5, exec_lo, s73
	s_cbranch_execz .LBB59_15
; %bb.14:
	v_div_scale_f64 v[1:2], null, v[9:10], v[9:10], v[7:8]
	v_div_scale_f64 v[12:13], vcc_lo, v[7:8], v[9:10], v[7:8]
	v_rcp_f64_e32 v[3:4], v[1:2]
	v_fma_f64 v[5:6], -v[1:2], v[3:4], 1.0
	v_fma_f64 v[3:4], v[3:4], v[5:6], v[3:4]
	v_fma_f64 v[5:6], -v[1:2], v[3:4], 1.0
	v_fma_f64 v[3:4], v[3:4], v[5:6], v[3:4]
	v_mul_f64 v[5:6], v[12:13], v[3:4]
	v_fma_f64 v[1:2], -v[1:2], v[5:6], v[12:13]
	v_div_fmas_f64 v[1:2], v[1:2], v[3:4], v[5:6]
	v_div_fixup_f64 v[1:2], v[1:2], v[9:10], v[7:8]
	v_fma_f64 v[3:4], v[7:8], v[1:2], v[9:10]
	v_div_scale_f64 v[5:6], null, v[3:4], v[3:4], 1.0
	v_div_scale_f64 v[12:13], vcc_lo, 1.0, v[3:4], 1.0
	v_rcp_f64_e32 v[7:8], v[5:6]
	v_fma_f64 v[9:10], -v[5:6], v[7:8], 1.0
	v_fma_f64 v[7:8], v[7:8], v[9:10], v[7:8]
	v_fma_f64 v[9:10], -v[5:6], v[7:8], 1.0
	v_fma_f64 v[7:8], v[7:8], v[9:10], v[7:8]
	v_mul_f64 v[9:10], v[12:13], v[7:8]
	v_fma_f64 v[5:6], -v[5:6], v[9:10], v[12:13]
	v_div_fmas_f64 v[5:6], v[5:6], v[7:8], v[9:10]
                                        ; implicit-def: $vgpr7_vgpr8
                                        ; implicit-def: $vgpr9_vgpr10
	v_div_fixup_f64 v[3:4], v[5:6], v[3:4], 1.0
	v_mul_f64 v[5:6], v[1:2], v[3:4]
	v_xor_b32_e32 v4, 0x80000000, v4
	v_xor_b32_e32 v2, 0x80000000, v6
	v_mov_b32_e32 v1, v5
.LBB59_15:
	s_andn2_saveexec_b32 s5, s5
	s_cbranch_execz .LBB59_17
; %bb.16:
	v_div_scale_f64 v[1:2], null, v[7:8], v[7:8], v[9:10]
	v_div_scale_f64 v[12:13], vcc_lo, v[9:10], v[7:8], v[9:10]
	v_rcp_f64_e32 v[3:4], v[1:2]
	v_fma_f64 v[5:6], -v[1:2], v[3:4], 1.0
	v_fma_f64 v[3:4], v[3:4], v[5:6], v[3:4]
	v_fma_f64 v[5:6], -v[1:2], v[3:4], 1.0
	v_fma_f64 v[3:4], v[3:4], v[5:6], v[3:4]
	v_mul_f64 v[5:6], v[12:13], v[3:4]
	v_fma_f64 v[1:2], -v[1:2], v[5:6], v[12:13]
	v_div_fmas_f64 v[1:2], v[1:2], v[3:4], v[5:6]
	v_div_fixup_f64 v[1:2], v[1:2], v[7:8], v[9:10]
	v_fma_f64 v[3:4], v[9:10], v[1:2], v[7:8]
	v_div_scale_f64 v[5:6], null, v[3:4], v[3:4], 1.0
	v_rcp_f64_e32 v[7:8], v[5:6]
	v_fma_f64 v[9:10], -v[5:6], v[7:8], 1.0
	v_fma_f64 v[7:8], v[7:8], v[9:10], v[7:8]
	v_fma_f64 v[9:10], -v[5:6], v[7:8], 1.0
	v_fma_f64 v[7:8], v[7:8], v[9:10], v[7:8]
	v_div_scale_f64 v[9:10], vcc_lo, 1.0, v[3:4], 1.0
	v_mul_f64 v[12:13], v[9:10], v[7:8]
	v_fma_f64 v[5:6], -v[5:6], v[12:13], v[9:10]
	v_div_fmas_f64 v[5:6], v[5:6], v[7:8], v[12:13]
	v_div_fixup_f64 v[5:6], v[5:6], v[3:4], 1.0
	v_mul_f64 v[3:4], v[1:2], -v[5:6]
	v_xor_b32_e32 v2, 0x80000000, v6
	v_mov_b32_e32 v1, v5
.LBB59_17:
	s_or_b32 exec_lo, exec_lo, s5
	v_mov_b32_e32 v10, s71
	buffer_store_dword v6, v11, s[0:3], 0 offen offset:4
	buffer_store_dword v5, v11, s[0:3], 0 offen
	buffer_store_dword v4, v11, s[0:3], 0 offen offset:12
	buffer_store_dword v3, v11, s[0:3], 0 offen offset:8
	v_xor_b32_e32 v4, 0x80000000, v4
	v_add_nc_u32_e32 v5, 0x3c0, v247
	s_clause 0x3
	buffer_load_dword v9, v10, s[0:3], 0 offen offset:12
	buffer_load_dword v8, v10, s[0:3], 0 offen offset:8
	;; [unrolled: 1-line block ×3, first 2 shown]
	buffer_load_dword v6, v10, s[0:3], 0 offen
	ds_write_b128 v247, v[1:4]
	s_waitcnt vmcnt(0)
	ds_write_b128 v247, v[6:9] offset:960
	s_waitcnt lgkmcnt(0)
	s_waitcnt_vscnt null, 0x0
	s_barrier
	buffer_gl0_inv
	s_and_saveexec_b32 s5, s4
	s_cbranch_execz .LBB59_19
; %bb.18:
	s_clause 0x3
	buffer_load_dword v12, v11, s[0:3], 0 offen offset:8
	buffer_load_dword v13, v11, s[0:3], 0 offen offset:12
	buffer_load_dword v14, v11, s[0:3], 0 offen
	buffer_load_dword v15, v11, s[0:3], 0 offen offset:4
	ds_read_b128 v[1:4], v5
	v_mov_b32_e32 v6, 0
	ds_read_b128 v[6:9], v6 offset:16
	s_waitcnt vmcnt(2) lgkmcnt(1)
	v_mul_f64 v[16:17], v[1:2], v[12:13]
	v_mul_f64 v[12:13], v[3:4], v[12:13]
	s_waitcnt vmcnt(0)
	v_fma_f64 v[3:4], v[3:4], v[14:15], v[16:17]
	v_fma_f64 v[1:2], v[1:2], v[14:15], -v[12:13]
	v_add_f64 v[3:4], v[3:4], 0
	v_add_f64 v[1:2], v[1:2], 0
	s_waitcnt lgkmcnt(0)
	v_mul_f64 v[12:13], v[3:4], v[8:9]
	v_mul_f64 v[8:9], v[1:2], v[8:9]
	v_fma_f64 v[1:2], v[1:2], v[6:7], -v[12:13]
	v_fma_f64 v[3:4], v[3:4], v[6:7], v[8:9]
	buffer_store_dword v1, off, s[0:3], 0 offset:32
	buffer_store_dword v2, off, s[0:3], 0 offset:36
	;; [unrolled: 1-line block ×4, first 2 shown]
.LBB59_19:
	s_or_b32 exec_lo, exec_lo, s5
	v_mov_b32_e32 v4, s69
	s_waitcnt_vscnt null, 0x0
	s_barrier
	buffer_gl0_inv
	s_mov_b32 s5, exec_lo
	s_clause 0x3
	buffer_load_dword v1, v4, s[0:3], 0 offen
	buffer_load_dword v2, v4, s[0:3], 0 offen offset:4
	buffer_load_dword v3, v4, s[0:3], 0 offen offset:8
	;; [unrolled: 1-line block ×3, first 2 shown]
	s_waitcnt vmcnt(0)
	ds_write_b128 v5, v[1:4]
	s_waitcnt lgkmcnt(0)
	s_barrier
	buffer_gl0_inv
	v_cmpx_gt_u32_e32 2, v0
	s_cbranch_execz .LBB59_23
; %bb.20:
	s_clause 0x3
	buffer_load_dword v6, v11, s[0:3], 0 offen offset:8
	buffer_load_dword v7, v11, s[0:3], 0 offen offset:12
	buffer_load_dword v8, v11, s[0:3], 0 offen
	buffer_load_dword v9, v11, s[0:3], 0 offen offset:4
	ds_read_b128 v[1:4], v5
	s_waitcnt vmcnt(2) lgkmcnt(0)
	v_mul_f64 v[10:11], v[3:4], v[6:7]
	v_mul_f64 v[6:7], v[1:2], v[6:7]
	s_waitcnt vmcnt(0)
	v_fma_f64 v[1:2], v[1:2], v[8:9], -v[10:11]
	v_fma_f64 v[3:4], v[3:4], v[8:9], v[6:7]
	v_add_f64 v[1:2], v[1:2], 0
	v_add_f64 v[3:4], v[3:4], 0
	s_and_saveexec_b32 s73, s4
	s_cbranch_execz .LBB59_22
; %bb.21:
	s_clause 0x3
	buffer_load_dword v10, off, s[0:3], 0 offset:40
	buffer_load_dword v11, off, s[0:3], 0 offset:44
	buffer_load_dword v12, off, s[0:3], 0 offset:32
	buffer_load_dword v13, off, s[0:3], 0 offset:36
	v_mov_b32_e32 v6, 0
	ds_read_b128 v[6:9], v6 offset:976
	s_waitcnt vmcnt(2) lgkmcnt(0)
	v_mul_f64 v[14:15], v[6:7], v[10:11]
	v_mul_f64 v[10:11], v[8:9], v[10:11]
	s_waitcnt vmcnt(0)
	v_fma_f64 v[8:9], v[8:9], v[12:13], v[14:15]
	v_fma_f64 v[6:7], v[6:7], v[12:13], -v[10:11]
	v_add_f64 v[3:4], v[3:4], v[8:9]
	v_add_f64 v[1:2], v[1:2], v[6:7]
.LBB59_22:
	s_or_b32 exec_lo, exec_lo, s73
	v_mov_b32_e32 v6, 0
	ds_read_b128 v[6:9], v6 offset:32
	s_waitcnt lgkmcnt(0)
	v_mul_f64 v[10:11], v[3:4], v[8:9]
	v_mul_f64 v[8:9], v[1:2], v[8:9]
	v_fma_f64 v[1:2], v[1:2], v[6:7], -v[10:11]
	v_fma_f64 v[3:4], v[3:4], v[6:7], v[8:9]
	buffer_store_dword v2, off, s[0:3], 0 offset:52
	buffer_store_dword v1, off, s[0:3], 0 offset:48
	;; [unrolled: 1-line block ×4, first 2 shown]
.LBB59_23:
	s_or_b32 exec_lo, exec_lo, s5
	v_mov_b32_e32 v4, s68
	s_waitcnt_vscnt null, 0x0
	s_barrier
	buffer_gl0_inv
	v_add_nc_u32_e32 v6, -1, v0
	s_clause 0x3
	buffer_load_dword v1, v4, s[0:3], 0 offen
	buffer_load_dword v2, v4, s[0:3], 0 offen offset:4
	buffer_load_dword v3, v4, s[0:3], 0 offen offset:8
	;; [unrolled: 1-line block ×3, first 2 shown]
	s_mov_b32 s4, exec_lo
	s_waitcnt vmcnt(0)
	ds_write_b128 v5, v[1:4]
	s_waitcnt lgkmcnt(0)
	s_barrier
	buffer_gl0_inv
	v_cmpx_gt_u32_e32 3, v0
	s_cbranch_execz .LBB59_27
; %bb.24:
	v_mov_b32_e32 v1, 0
	v_mov_b32_e32 v3, 0
	v_add_nc_u32_e32 v7, -1, v0
	v_add_nc_u32_e32 v8, 0x3c0, v247
	v_mov_b32_e32 v2, 0
	v_mov_b32_e32 v4, 0
	v_add_nc_u32_e32 v9, 16, v247
	s_mov_b32 s5, 0
	.p2align	6
.LBB59_25:                              ; =>This Inner Loop Header: Depth=1
	s_clause 0x3
	buffer_load_dword v14, v9, s[0:3], 0 offen offset:8
	buffer_load_dword v15, v9, s[0:3], 0 offen offset:12
	buffer_load_dword v16, v9, s[0:3], 0 offen
	buffer_load_dword v17, v9, s[0:3], 0 offen offset:4
	ds_read_b128 v[10:13], v8
	v_add_nc_u32_e32 v7, 1, v7
	v_add_nc_u32_e32 v8, 16, v8
	;; [unrolled: 1-line block ×3, first 2 shown]
	v_cmp_lt_u32_e32 vcc_lo, 1, v7
	s_or_b32 s5, vcc_lo, s5
	s_waitcnt vmcnt(2) lgkmcnt(0)
	v_mul_f64 v[18:19], v[12:13], v[14:15]
	v_mul_f64 v[14:15], v[10:11], v[14:15]
	s_waitcnt vmcnt(0)
	v_fma_f64 v[10:11], v[10:11], v[16:17], -v[18:19]
	v_fma_f64 v[12:13], v[12:13], v[16:17], v[14:15]
	v_add_f64 v[3:4], v[3:4], v[10:11]
	v_add_f64 v[1:2], v[1:2], v[12:13]
	s_andn2_b32 exec_lo, exec_lo, s5
	s_cbranch_execnz .LBB59_25
; %bb.26:
	s_or_b32 exec_lo, exec_lo, s5
	v_mov_b32_e32 v7, 0
	ds_read_b128 v[7:10], v7 offset:48
	s_waitcnt lgkmcnt(0)
	v_mul_f64 v[11:12], v[1:2], v[9:10]
	v_mul_f64 v[9:10], v[3:4], v[9:10]
	v_fma_f64 v[3:4], v[3:4], v[7:8], -v[11:12]
	v_fma_f64 v[1:2], v[1:2], v[7:8], v[9:10]
	buffer_store_dword v4, off, s[0:3], 0 offset:68
	buffer_store_dword v3, off, s[0:3], 0 offset:64
	;; [unrolled: 1-line block ×4, first 2 shown]
.LBB59_27:
	s_or_b32 exec_lo, exec_lo, s4
	v_mov_b32_e32 v4, s67
	s_waitcnt_vscnt null, 0x0
	s_barrier
	buffer_gl0_inv
	s_mov_b32 s4, exec_lo
	s_clause 0x3
	buffer_load_dword v1, v4, s[0:3], 0 offen
	buffer_load_dword v2, v4, s[0:3], 0 offen offset:4
	buffer_load_dword v3, v4, s[0:3], 0 offen offset:8
	;; [unrolled: 1-line block ×3, first 2 shown]
	s_waitcnt vmcnt(0)
	ds_write_b128 v5, v[1:4]
	s_waitcnt lgkmcnt(0)
	s_barrier
	buffer_gl0_inv
	v_cmpx_gt_u32_e32 4, v0
	s_cbranch_execz .LBB59_31
; %bb.28:
	v_mov_b32_e32 v1, 0
	v_mov_b32_e32 v3, 0
	v_add_nc_u32_e32 v7, -1, v0
	v_add_nc_u32_e32 v8, 0x3c0, v247
	v_mov_b32_e32 v2, 0
	v_mov_b32_e32 v4, 0
	v_add_nc_u32_e32 v9, 16, v247
	s_mov_b32 s5, 0
	.p2align	6
.LBB59_29:                              ; =>This Inner Loop Header: Depth=1
	s_clause 0x3
	buffer_load_dword v14, v9, s[0:3], 0 offen offset:8
	buffer_load_dword v15, v9, s[0:3], 0 offen offset:12
	buffer_load_dword v16, v9, s[0:3], 0 offen
	buffer_load_dword v17, v9, s[0:3], 0 offen offset:4
	ds_read_b128 v[10:13], v8
	v_add_nc_u32_e32 v7, 1, v7
	v_add_nc_u32_e32 v8, 16, v8
	;; [unrolled: 1-line block ×3, first 2 shown]
	v_cmp_lt_u32_e32 vcc_lo, 2, v7
	s_or_b32 s5, vcc_lo, s5
	s_waitcnt vmcnt(2) lgkmcnt(0)
	v_mul_f64 v[18:19], v[12:13], v[14:15]
	v_mul_f64 v[14:15], v[10:11], v[14:15]
	s_waitcnt vmcnt(0)
	v_fma_f64 v[10:11], v[10:11], v[16:17], -v[18:19]
	v_fma_f64 v[12:13], v[12:13], v[16:17], v[14:15]
	v_add_f64 v[3:4], v[3:4], v[10:11]
	v_add_f64 v[1:2], v[1:2], v[12:13]
	s_andn2_b32 exec_lo, exec_lo, s5
	s_cbranch_execnz .LBB59_29
; %bb.30:
	s_or_b32 exec_lo, exec_lo, s5
	v_mov_b32_e32 v7, 0
	ds_read_b128 v[7:10], v7 offset:64
	s_waitcnt lgkmcnt(0)
	v_mul_f64 v[11:12], v[1:2], v[9:10]
	v_mul_f64 v[9:10], v[3:4], v[9:10]
	v_fma_f64 v[3:4], v[3:4], v[7:8], -v[11:12]
	v_fma_f64 v[1:2], v[1:2], v[7:8], v[9:10]
	buffer_store_dword v4, off, s[0:3], 0 offset:84
	buffer_store_dword v3, off, s[0:3], 0 offset:80
	;; [unrolled: 1-line block ×4, first 2 shown]
.LBB59_31:
	s_or_b32 exec_lo, exec_lo, s4
	v_mov_b32_e32 v4, s66
	s_waitcnt_vscnt null, 0x0
	s_barrier
	buffer_gl0_inv
	s_mov_b32 s4, exec_lo
	s_clause 0x3
	buffer_load_dword v1, v4, s[0:3], 0 offen
	buffer_load_dword v2, v4, s[0:3], 0 offen offset:4
	buffer_load_dword v3, v4, s[0:3], 0 offen offset:8
	;; [unrolled: 1-line block ×3, first 2 shown]
	s_waitcnt vmcnt(0)
	ds_write_b128 v5, v[1:4]
	s_waitcnt lgkmcnt(0)
	s_barrier
	buffer_gl0_inv
	v_cmpx_gt_u32_e32 5, v0
	s_cbranch_execz .LBB59_35
; %bb.32:
	v_mov_b32_e32 v1, 0
	v_mov_b32_e32 v3, 0
	v_add_nc_u32_e32 v7, -1, v0
	v_add_nc_u32_e32 v8, 0x3c0, v247
	v_mov_b32_e32 v2, 0
	v_mov_b32_e32 v4, 0
	v_add_nc_u32_e32 v9, 16, v247
	s_mov_b32 s5, 0
	.p2align	6
.LBB59_33:                              ; =>This Inner Loop Header: Depth=1
	s_clause 0x3
	buffer_load_dword v14, v9, s[0:3], 0 offen offset:8
	buffer_load_dword v15, v9, s[0:3], 0 offen offset:12
	buffer_load_dword v16, v9, s[0:3], 0 offen
	buffer_load_dword v17, v9, s[0:3], 0 offen offset:4
	ds_read_b128 v[10:13], v8
	v_add_nc_u32_e32 v7, 1, v7
	v_add_nc_u32_e32 v8, 16, v8
	;; [unrolled: 1-line block ×3, first 2 shown]
	v_cmp_lt_u32_e32 vcc_lo, 3, v7
	s_or_b32 s5, vcc_lo, s5
	s_waitcnt vmcnt(2) lgkmcnt(0)
	v_mul_f64 v[18:19], v[12:13], v[14:15]
	v_mul_f64 v[14:15], v[10:11], v[14:15]
	s_waitcnt vmcnt(0)
	v_fma_f64 v[10:11], v[10:11], v[16:17], -v[18:19]
	v_fma_f64 v[12:13], v[12:13], v[16:17], v[14:15]
	v_add_f64 v[3:4], v[3:4], v[10:11]
	v_add_f64 v[1:2], v[1:2], v[12:13]
	s_andn2_b32 exec_lo, exec_lo, s5
	s_cbranch_execnz .LBB59_33
; %bb.34:
	s_or_b32 exec_lo, exec_lo, s5
	v_mov_b32_e32 v7, 0
	ds_read_b128 v[7:10], v7 offset:80
	s_waitcnt lgkmcnt(0)
	v_mul_f64 v[11:12], v[1:2], v[9:10]
	v_mul_f64 v[9:10], v[3:4], v[9:10]
	v_fma_f64 v[3:4], v[3:4], v[7:8], -v[11:12]
	v_fma_f64 v[1:2], v[1:2], v[7:8], v[9:10]
	buffer_store_dword v4, off, s[0:3], 0 offset:100
	buffer_store_dword v3, off, s[0:3], 0 offset:96
	;; [unrolled: 1-line block ×4, first 2 shown]
.LBB59_35:
	s_or_b32 exec_lo, exec_lo, s4
	v_mov_b32_e32 v4, s65
	s_waitcnt_vscnt null, 0x0
	s_barrier
	buffer_gl0_inv
	s_mov_b32 s4, exec_lo
	s_clause 0x3
	buffer_load_dword v1, v4, s[0:3], 0 offen
	buffer_load_dword v2, v4, s[0:3], 0 offen offset:4
	buffer_load_dword v3, v4, s[0:3], 0 offen offset:8
	;; [unrolled: 1-line block ×3, first 2 shown]
	s_waitcnt vmcnt(0)
	ds_write_b128 v5, v[1:4]
	s_waitcnt lgkmcnt(0)
	s_barrier
	buffer_gl0_inv
	v_cmpx_gt_u32_e32 6, v0
	s_cbranch_execz .LBB59_39
; %bb.36:
	v_mov_b32_e32 v1, 0
	v_mov_b32_e32 v3, 0
	v_add_nc_u32_e32 v7, -1, v0
	v_add_nc_u32_e32 v8, 0x3c0, v247
	v_mov_b32_e32 v2, 0
	v_mov_b32_e32 v4, 0
	v_add_nc_u32_e32 v9, 16, v247
	s_mov_b32 s5, 0
	.p2align	6
.LBB59_37:                              ; =>This Inner Loop Header: Depth=1
	s_clause 0x3
	buffer_load_dword v14, v9, s[0:3], 0 offen offset:8
	buffer_load_dword v15, v9, s[0:3], 0 offen offset:12
	buffer_load_dword v16, v9, s[0:3], 0 offen
	buffer_load_dword v17, v9, s[0:3], 0 offen offset:4
	ds_read_b128 v[10:13], v8
	v_add_nc_u32_e32 v7, 1, v7
	v_add_nc_u32_e32 v8, 16, v8
	;; [unrolled: 1-line block ×3, first 2 shown]
	v_cmp_lt_u32_e32 vcc_lo, 4, v7
	s_or_b32 s5, vcc_lo, s5
	s_waitcnt vmcnt(2) lgkmcnt(0)
	v_mul_f64 v[18:19], v[12:13], v[14:15]
	v_mul_f64 v[14:15], v[10:11], v[14:15]
	s_waitcnt vmcnt(0)
	v_fma_f64 v[10:11], v[10:11], v[16:17], -v[18:19]
	v_fma_f64 v[12:13], v[12:13], v[16:17], v[14:15]
	v_add_f64 v[3:4], v[3:4], v[10:11]
	v_add_f64 v[1:2], v[1:2], v[12:13]
	s_andn2_b32 exec_lo, exec_lo, s5
	s_cbranch_execnz .LBB59_37
; %bb.38:
	s_or_b32 exec_lo, exec_lo, s5
	v_mov_b32_e32 v7, 0
	ds_read_b128 v[7:10], v7 offset:96
	s_waitcnt lgkmcnt(0)
	v_mul_f64 v[11:12], v[1:2], v[9:10]
	v_mul_f64 v[9:10], v[3:4], v[9:10]
	v_fma_f64 v[3:4], v[3:4], v[7:8], -v[11:12]
	v_fma_f64 v[1:2], v[1:2], v[7:8], v[9:10]
	buffer_store_dword v4, off, s[0:3], 0 offset:116
	buffer_store_dword v3, off, s[0:3], 0 offset:112
	;; [unrolled: 1-line block ×4, first 2 shown]
.LBB59_39:
	s_or_b32 exec_lo, exec_lo, s4
	v_mov_b32_e32 v4, s64
	s_waitcnt_vscnt null, 0x0
	s_barrier
	buffer_gl0_inv
	s_mov_b32 s4, exec_lo
	s_clause 0x3
	buffer_load_dword v1, v4, s[0:3], 0 offen
	buffer_load_dword v2, v4, s[0:3], 0 offen offset:4
	buffer_load_dword v3, v4, s[0:3], 0 offen offset:8
	;; [unrolled: 1-line block ×3, first 2 shown]
	s_waitcnt vmcnt(0)
	ds_write_b128 v5, v[1:4]
	s_waitcnt lgkmcnt(0)
	s_barrier
	buffer_gl0_inv
	v_cmpx_gt_u32_e32 7, v0
	s_cbranch_execz .LBB59_43
; %bb.40:
	v_mov_b32_e32 v1, 0
	v_mov_b32_e32 v3, 0
	v_add_nc_u32_e32 v7, -1, v0
	v_add_nc_u32_e32 v8, 0x3c0, v247
	v_mov_b32_e32 v2, 0
	v_mov_b32_e32 v4, 0
	v_add_nc_u32_e32 v9, 16, v247
	s_mov_b32 s5, 0
	.p2align	6
.LBB59_41:                              ; =>This Inner Loop Header: Depth=1
	s_clause 0x3
	buffer_load_dword v14, v9, s[0:3], 0 offen offset:8
	buffer_load_dword v15, v9, s[0:3], 0 offen offset:12
	buffer_load_dword v16, v9, s[0:3], 0 offen
	buffer_load_dword v17, v9, s[0:3], 0 offen offset:4
	ds_read_b128 v[10:13], v8
	v_add_nc_u32_e32 v7, 1, v7
	v_add_nc_u32_e32 v8, 16, v8
	;; [unrolled: 1-line block ×3, first 2 shown]
	v_cmp_lt_u32_e32 vcc_lo, 5, v7
	s_or_b32 s5, vcc_lo, s5
	s_waitcnt vmcnt(2) lgkmcnt(0)
	v_mul_f64 v[18:19], v[12:13], v[14:15]
	v_mul_f64 v[14:15], v[10:11], v[14:15]
	s_waitcnt vmcnt(0)
	v_fma_f64 v[10:11], v[10:11], v[16:17], -v[18:19]
	v_fma_f64 v[12:13], v[12:13], v[16:17], v[14:15]
	v_add_f64 v[3:4], v[3:4], v[10:11]
	v_add_f64 v[1:2], v[1:2], v[12:13]
	s_andn2_b32 exec_lo, exec_lo, s5
	s_cbranch_execnz .LBB59_41
; %bb.42:
	s_or_b32 exec_lo, exec_lo, s5
	v_mov_b32_e32 v7, 0
	ds_read_b128 v[7:10], v7 offset:112
	s_waitcnt lgkmcnt(0)
	v_mul_f64 v[11:12], v[1:2], v[9:10]
	v_mul_f64 v[9:10], v[3:4], v[9:10]
	v_fma_f64 v[3:4], v[3:4], v[7:8], -v[11:12]
	v_fma_f64 v[1:2], v[1:2], v[7:8], v[9:10]
	buffer_store_dword v4, off, s[0:3], 0 offset:132
	buffer_store_dword v3, off, s[0:3], 0 offset:128
	;; [unrolled: 1-line block ×4, first 2 shown]
.LBB59_43:
	s_or_b32 exec_lo, exec_lo, s4
	v_mov_b32_e32 v4, s63
	s_waitcnt_vscnt null, 0x0
	s_barrier
	buffer_gl0_inv
	s_mov_b32 s4, exec_lo
	s_clause 0x3
	buffer_load_dword v1, v4, s[0:3], 0 offen
	buffer_load_dword v2, v4, s[0:3], 0 offen offset:4
	buffer_load_dword v3, v4, s[0:3], 0 offen offset:8
	;; [unrolled: 1-line block ×3, first 2 shown]
	s_waitcnt vmcnt(0)
	ds_write_b128 v5, v[1:4]
	s_waitcnt lgkmcnt(0)
	s_barrier
	buffer_gl0_inv
	v_cmpx_gt_u32_e32 8, v0
	s_cbranch_execz .LBB59_47
; %bb.44:
	v_mov_b32_e32 v1, 0
	v_mov_b32_e32 v3, 0
	v_add_nc_u32_e32 v7, -1, v0
	v_add_nc_u32_e32 v8, 0x3c0, v247
	v_mov_b32_e32 v2, 0
	v_mov_b32_e32 v4, 0
	v_add_nc_u32_e32 v9, 16, v247
	s_mov_b32 s5, 0
	.p2align	6
.LBB59_45:                              ; =>This Inner Loop Header: Depth=1
	s_clause 0x3
	buffer_load_dword v14, v9, s[0:3], 0 offen offset:8
	buffer_load_dword v15, v9, s[0:3], 0 offen offset:12
	buffer_load_dword v16, v9, s[0:3], 0 offen
	buffer_load_dword v17, v9, s[0:3], 0 offen offset:4
	ds_read_b128 v[10:13], v8
	v_add_nc_u32_e32 v7, 1, v7
	v_add_nc_u32_e32 v8, 16, v8
	;; [unrolled: 1-line block ×3, first 2 shown]
	v_cmp_lt_u32_e32 vcc_lo, 6, v7
	s_or_b32 s5, vcc_lo, s5
	s_waitcnt vmcnt(2) lgkmcnt(0)
	v_mul_f64 v[18:19], v[12:13], v[14:15]
	v_mul_f64 v[14:15], v[10:11], v[14:15]
	s_waitcnt vmcnt(0)
	v_fma_f64 v[10:11], v[10:11], v[16:17], -v[18:19]
	v_fma_f64 v[12:13], v[12:13], v[16:17], v[14:15]
	v_add_f64 v[3:4], v[3:4], v[10:11]
	v_add_f64 v[1:2], v[1:2], v[12:13]
	s_andn2_b32 exec_lo, exec_lo, s5
	s_cbranch_execnz .LBB59_45
; %bb.46:
	s_or_b32 exec_lo, exec_lo, s5
	v_mov_b32_e32 v7, 0
	ds_read_b128 v[7:10], v7 offset:128
	s_waitcnt lgkmcnt(0)
	v_mul_f64 v[11:12], v[1:2], v[9:10]
	v_mul_f64 v[9:10], v[3:4], v[9:10]
	v_fma_f64 v[3:4], v[3:4], v[7:8], -v[11:12]
	v_fma_f64 v[1:2], v[1:2], v[7:8], v[9:10]
	buffer_store_dword v4, off, s[0:3], 0 offset:148
	buffer_store_dword v3, off, s[0:3], 0 offset:144
	;; [unrolled: 1-line block ×4, first 2 shown]
.LBB59_47:
	s_or_b32 exec_lo, exec_lo, s4
	v_mov_b32_e32 v4, s62
	s_waitcnt_vscnt null, 0x0
	s_barrier
	buffer_gl0_inv
	s_mov_b32 s4, exec_lo
	s_clause 0x3
	buffer_load_dword v1, v4, s[0:3], 0 offen
	buffer_load_dword v2, v4, s[0:3], 0 offen offset:4
	buffer_load_dword v3, v4, s[0:3], 0 offen offset:8
	;; [unrolled: 1-line block ×3, first 2 shown]
	s_waitcnt vmcnt(0)
	ds_write_b128 v5, v[1:4]
	s_waitcnt lgkmcnt(0)
	s_barrier
	buffer_gl0_inv
	v_cmpx_gt_u32_e32 9, v0
	s_cbranch_execz .LBB59_51
; %bb.48:
	v_mov_b32_e32 v1, 0
	v_mov_b32_e32 v3, 0
	v_add_nc_u32_e32 v7, -1, v0
	v_add_nc_u32_e32 v8, 0x3c0, v247
	v_mov_b32_e32 v2, 0
	v_mov_b32_e32 v4, 0
	v_add_nc_u32_e32 v9, 16, v247
	s_mov_b32 s5, 0
	.p2align	6
.LBB59_49:                              ; =>This Inner Loop Header: Depth=1
	s_clause 0x3
	buffer_load_dword v14, v9, s[0:3], 0 offen offset:8
	buffer_load_dword v15, v9, s[0:3], 0 offen offset:12
	buffer_load_dword v16, v9, s[0:3], 0 offen
	buffer_load_dword v17, v9, s[0:3], 0 offen offset:4
	ds_read_b128 v[10:13], v8
	v_add_nc_u32_e32 v7, 1, v7
	v_add_nc_u32_e32 v8, 16, v8
	;; [unrolled: 1-line block ×3, first 2 shown]
	v_cmp_lt_u32_e32 vcc_lo, 7, v7
	s_or_b32 s5, vcc_lo, s5
	s_waitcnt vmcnt(2) lgkmcnt(0)
	v_mul_f64 v[18:19], v[12:13], v[14:15]
	v_mul_f64 v[14:15], v[10:11], v[14:15]
	s_waitcnt vmcnt(0)
	v_fma_f64 v[10:11], v[10:11], v[16:17], -v[18:19]
	v_fma_f64 v[12:13], v[12:13], v[16:17], v[14:15]
	v_add_f64 v[3:4], v[3:4], v[10:11]
	v_add_f64 v[1:2], v[1:2], v[12:13]
	s_andn2_b32 exec_lo, exec_lo, s5
	s_cbranch_execnz .LBB59_49
; %bb.50:
	s_or_b32 exec_lo, exec_lo, s5
	v_mov_b32_e32 v7, 0
	ds_read_b128 v[7:10], v7 offset:144
	s_waitcnt lgkmcnt(0)
	v_mul_f64 v[11:12], v[1:2], v[9:10]
	v_mul_f64 v[9:10], v[3:4], v[9:10]
	v_fma_f64 v[3:4], v[3:4], v[7:8], -v[11:12]
	v_fma_f64 v[1:2], v[1:2], v[7:8], v[9:10]
	buffer_store_dword v4, off, s[0:3], 0 offset:164
	buffer_store_dword v3, off, s[0:3], 0 offset:160
	;; [unrolled: 1-line block ×4, first 2 shown]
.LBB59_51:
	s_or_b32 exec_lo, exec_lo, s4
	v_mov_b32_e32 v4, s60
	s_waitcnt_vscnt null, 0x0
	s_barrier
	buffer_gl0_inv
	s_mov_b32 s4, exec_lo
	s_clause 0x3
	buffer_load_dword v1, v4, s[0:3], 0 offen
	buffer_load_dword v2, v4, s[0:3], 0 offen offset:4
	buffer_load_dword v3, v4, s[0:3], 0 offen offset:8
	;; [unrolled: 1-line block ×3, first 2 shown]
	s_waitcnt vmcnt(0)
	ds_write_b128 v5, v[1:4]
	s_waitcnt lgkmcnt(0)
	s_barrier
	buffer_gl0_inv
	v_cmpx_gt_u32_e32 10, v0
	s_cbranch_execz .LBB59_55
; %bb.52:
	v_mov_b32_e32 v1, 0
	v_mov_b32_e32 v3, 0
	v_add_nc_u32_e32 v7, -1, v0
	v_add_nc_u32_e32 v8, 0x3c0, v247
	v_mov_b32_e32 v2, 0
	v_mov_b32_e32 v4, 0
	v_add_nc_u32_e32 v9, 16, v247
	s_mov_b32 s5, 0
	.p2align	6
.LBB59_53:                              ; =>This Inner Loop Header: Depth=1
	s_clause 0x3
	buffer_load_dword v14, v9, s[0:3], 0 offen offset:8
	buffer_load_dword v15, v9, s[0:3], 0 offen offset:12
	buffer_load_dword v16, v9, s[0:3], 0 offen
	buffer_load_dword v17, v9, s[0:3], 0 offen offset:4
	ds_read_b128 v[10:13], v8
	v_add_nc_u32_e32 v7, 1, v7
	v_add_nc_u32_e32 v8, 16, v8
	;; [unrolled: 1-line block ×3, first 2 shown]
	v_cmp_lt_u32_e32 vcc_lo, 8, v7
	s_or_b32 s5, vcc_lo, s5
	s_waitcnt vmcnt(2) lgkmcnt(0)
	v_mul_f64 v[18:19], v[12:13], v[14:15]
	v_mul_f64 v[14:15], v[10:11], v[14:15]
	s_waitcnt vmcnt(0)
	v_fma_f64 v[10:11], v[10:11], v[16:17], -v[18:19]
	v_fma_f64 v[12:13], v[12:13], v[16:17], v[14:15]
	v_add_f64 v[3:4], v[3:4], v[10:11]
	v_add_f64 v[1:2], v[1:2], v[12:13]
	s_andn2_b32 exec_lo, exec_lo, s5
	s_cbranch_execnz .LBB59_53
; %bb.54:
	s_or_b32 exec_lo, exec_lo, s5
	v_mov_b32_e32 v7, 0
	ds_read_b128 v[7:10], v7 offset:160
	s_waitcnt lgkmcnt(0)
	v_mul_f64 v[11:12], v[1:2], v[9:10]
	v_mul_f64 v[9:10], v[3:4], v[9:10]
	v_fma_f64 v[3:4], v[3:4], v[7:8], -v[11:12]
	v_fma_f64 v[1:2], v[1:2], v[7:8], v[9:10]
	buffer_store_dword v4, off, s[0:3], 0 offset:180
	buffer_store_dword v3, off, s[0:3], 0 offset:176
	buffer_store_dword v2, off, s[0:3], 0 offset:188
	buffer_store_dword v1, off, s[0:3], 0 offset:184
.LBB59_55:
	s_or_b32 exec_lo, exec_lo, s4
	v_mov_b32_e32 v4, s58
	s_waitcnt_vscnt null, 0x0
	s_barrier
	buffer_gl0_inv
	s_mov_b32 s4, exec_lo
	s_clause 0x3
	buffer_load_dword v1, v4, s[0:3], 0 offen
	buffer_load_dword v2, v4, s[0:3], 0 offen offset:4
	buffer_load_dword v3, v4, s[0:3], 0 offen offset:8
	;; [unrolled: 1-line block ×3, first 2 shown]
	s_waitcnt vmcnt(0)
	ds_write_b128 v5, v[1:4]
	s_waitcnt lgkmcnt(0)
	s_barrier
	buffer_gl0_inv
	v_cmpx_gt_u32_e32 11, v0
	s_cbranch_execz .LBB59_59
; %bb.56:
	v_mov_b32_e32 v1, 0
	v_mov_b32_e32 v3, 0
	v_add_nc_u32_e32 v7, -1, v0
	v_add_nc_u32_e32 v8, 0x3c0, v247
	v_mov_b32_e32 v2, 0
	v_mov_b32_e32 v4, 0
	v_add_nc_u32_e32 v9, 16, v247
	s_mov_b32 s5, 0
	.p2align	6
.LBB59_57:                              ; =>This Inner Loop Header: Depth=1
	s_clause 0x3
	buffer_load_dword v14, v9, s[0:3], 0 offen offset:8
	buffer_load_dword v15, v9, s[0:3], 0 offen offset:12
	buffer_load_dword v16, v9, s[0:3], 0 offen
	buffer_load_dword v17, v9, s[0:3], 0 offen offset:4
	ds_read_b128 v[10:13], v8
	v_add_nc_u32_e32 v7, 1, v7
	v_add_nc_u32_e32 v8, 16, v8
	v_add_nc_u32_e32 v9, 16, v9
	v_cmp_lt_u32_e32 vcc_lo, 9, v7
	s_or_b32 s5, vcc_lo, s5
	s_waitcnt vmcnt(2) lgkmcnt(0)
	v_mul_f64 v[18:19], v[12:13], v[14:15]
	v_mul_f64 v[14:15], v[10:11], v[14:15]
	s_waitcnt vmcnt(0)
	v_fma_f64 v[10:11], v[10:11], v[16:17], -v[18:19]
	v_fma_f64 v[12:13], v[12:13], v[16:17], v[14:15]
	v_add_f64 v[3:4], v[3:4], v[10:11]
	v_add_f64 v[1:2], v[1:2], v[12:13]
	s_andn2_b32 exec_lo, exec_lo, s5
	s_cbranch_execnz .LBB59_57
; %bb.58:
	s_or_b32 exec_lo, exec_lo, s5
	v_mov_b32_e32 v7, 0
	ds_read_b128 v[7:10], v7 offset:176
	s_waitcnt lgkmcnt(0)
	v_mul_f64 v[11:12], v[1:2], v[9:10]
	v_mul_f64 v[9:10], v[3:4], v[9:10]
	v_fma_f64 v[3:4], v[3:4], v[7:8], -v[11:12]
	v_fma_f64 v[1:2], v[1:2], v[7:8], v[9:10]
	buffer_store_dword v4, off, s[0:3], 0 offset:196
	buffer_store_dword v3, off, s[0:3], 0 offset:192
	;; [unrolled: 1-line block ×4, first 2 shown]
.LBB59_59:
	s_or_b32 exec_lo, exec_lo, s4
	v_mov_b32_e32 v4, s56
	s_waitcnt_vscnt null, 0x0
	s_barrier
	buffer_gl0_inv
	s_mov_b32 s4, exec_lo
	s_clause 0x3
	buffer_load_dword v1, v4, s[0:3], 0 offen
	buffer_load_dword v2, v4, s[0:3], 0 offen offset:4
	buffer_load_dword v3, v4, s[0:3], 0 offen offset:8
	buffer_load_dword v4, v4, s[0:3], 0 offen offset:12
	s_waitcnt vmcnt(0)
	ds_write_b128 v5, v[1:4]
	s_waitcnt lgkmcnt(0)
	s_barrier
	buffer_gl0_inv
	v_cmpx_gt_u32_e32 12, v0
	s_cbranch_execz .LBB59_63
; %bb.60:
	v_mov_b32_e32 v1, 0
	v_mov_b32_e32 v3, 0
	v_add_nc_u32_e32 v7, -1, v0
	v_add_nc_u32_e32 v8, 0x3c0, v247
	v_mov_b32_e32 v2, 0
	v_mov_b32_e32 v4, 0
	v_add_nc_u32_e32 v9, 16, v247
	s_mov_b32 s5, 0
	.p2align	6
.LBB59_61:                              ; =>This Inner Loop Header: Depth=1
	s_clause 0x3
	buffer_load_dword v14, v9, s[0:3], 0 offen offset:8
	buffer_load_dword v15, v9, s[0:3], 0 offen offset:12
	buffer_load_dword v16, v9, s[0:3], 0 offen
	buffer_load_dword v17, v9, s[0:3], 0 offen offset:4
	ds_read_b128 v[10:13], v8
	v_add_nc_u32_e32 v7, 1, v7
	v_add_nc_u32_e32 v8, 16, v8
	;; [unrolled: 1-line block ×3, first 2 shown]
	v_cmp_lt_u32_e32 vcc_lo, 10, v7
	s_or_b32 s5, vcc_lo, s5
	s_waitcnt vmcnt(2) lgkmcnt(0)
	v_mul_f64 v[18:19], v[12:13], v[14:15]
	v_mul_f64 v[14:15], v[10:11], v[14:15]
	s_waitcnt vmcnt(0)
	v_fma_f64 v[10:11], v[10:11], v[16:17], -v[18:19]
	v_fma_f64 v[12:13], v[12:13], v[16:17], v[14:15]
	v_add_f64 v[3:4], v[3:4], v[10:11]
	v_add_f64 v[1:2], v[1:2], v[12:13]
	s_andn2_b32 exec_lo, exec_lo, s5
	s_cbranch_execnz .LBB59_61
; %bb.62:
	s_or_b32 exec_lo, exec_lo, s5
	v_mov_b32_e32 v7, 0
	ds_read_b128 v[7:10], v7 offset:192
	s_waitcnt lgkmcnt(0)
	v_mul_f64 v[11:12], v[1:2], v[9:10]
	v_mul_f64 v[9:10], v[3:4], v[9:10]
	v_fma_f64 v[3:4], v[3:4], v[7:8], -v[11:12]
	v_fma_f64 v[1:2], v[1:2], v[7:8], v[9:10]
	buffer_store_dword v4, off, s[0:3], 0 offset:212
	buffer_store_dword v3, off, s[0:3], 0 offset:208
	buffer_store_dword v2, off, s[0:3], 0 offset:220
	buffer_store_dword v1, off, s[0:3], 0 offset:216
.LBB59_63:
	s_or_b32 exec_lo, exec_lo, s4
	v_mov_b32_e32 v4, s54
	s_waitcnt_vscnt null, 0x0
	s_barrier
	buffer_gl0_inv
	s_mov_b32 s4, exec_lo
	s_clause 0x3
	buffer_load_dword v1, v4, s[0:3], 0 offen
	buffer_load_dword v2, v4, s[0:3], 0 offen offset:4
	buffer_load_dword v3, v4, s[0:3], 0 offen offset:8
	;; [unrolled: 1-line block ×3, first 2 shown]
	s_waitcnt vmcnt(0)
	ds_write_b128 v5, v[1:4]
	s_waitcnt lgkmcnt(0)
	s_barrier
	buffer_gl0_inv
	v_cmpx_gt_u32_e32 13, v0
	s_cbranch_execz .LBB59_67
; %bb.64:
	v_mov_b32_e32 v1, 0
	v_mov_b32_e32 v3, 0
	v_add_nc_u32_e32 v7, -1, v0
	v_add_nc_u32_e32 v8, 0x3c0, v247
	v_mov_b32_e32 v2, 0
	v_mov_b32_e32 v4, 0
	v_add_nc_u32_e32 v9, 16, v247
	s_mov_b32 s5, 0
	.p2align	6
.LBB59_65:                              ; =>This Inner Loop Header: Depth=1
	s_clause 0x3
	buffer_load_dword v14, v9, s[0:3], 0 offen offset:8
	buffer_load_dword v15, v9, s[0:3], 0 offen offset:12
	buffer_load_dword v16, v9, s[0:3], 0 offen
	buffer_load_dword v17, v9, s[0:3], 0 offen offset:4
	ds_read_b128 v[10:13], v8
	v_add_nc_u32_e32 v7, 1, v7
	v_add_nc_u32_e32 v8, 16, v8
	;; [unrolled: 1-line block ×3, first 2 shown]
	v_cmp_lt_u32_e32 vcc_lo, 11, v7
	s_or_b32 s5, vcc_lo, s5
	s_waitcnt vmcnt(2) lgkmcnt(0)
	v_mul_f64 v[18:19], v[12:13], v[14:15]
	v_mul_f64 v[14:15], v[10:11], v[14:15]
	s_waitcnt vmcnt(0)
	v_fma_f64 v[10:11], v[10:11], v[16:17], -v[18:19]
	v_fma_f64 v[12:13], v[12:13], v[16:17], v[14:15]
	v_add_f64 v[3:4], v[3:4], v[10:11]
	v_add_f64 v[1:2], v[1:2], v[12:13]
	s_andn2_b32 exec_lo, exec_lo, s5
	s_cbranch_execnz .LBB59_65
; %bb.66:
	s_or_b32 exec_lo, exec_lo, s5
	v_mov_b32_e32 v7, 0
	ds_read_b128 v[7:10], v7 offset:208
	s_waitcnt lgkmcnt(0)
	v_mul_f64 v[11:12], v[1:2], v[9:10]
	v_mul_f64 v[9:10], v[3:4], v[9:10]
	v_fma_f64 v[3:4], v[3:4], v[7:8], -v[11:12]
	v_fma_f64 v[1:2], v[1:2], v[7:8], v[9:10]
	buffer_store_dword v4, off, s[0:3], 0 offset:228
	buffer_store_dword v3, off, s[0:3], 0 offset:224
	;; [unrolled: 1-line block ×4, first 2 shown]
.LBB59_67:
	s_or_b32 exec_lo, exec_lo, s4
	v_mov_b32_e32 v4, s52
	s_waitcnt_vscnt null, 0x0
	s_barrier
	buffer_gl0_inv
	s_mov_b32 s4, exec_lo
	s_clause 0x3
	buffer_load_dword v1, v4, s[0:3], 0 offen
	buffer_load_dword v2, v4, s[0:3], 0 offen offset:4
	buffer_load_dword v3, v4, s[0:3], 0 offen offset:8
	;; [unrolled: 1-line block ×3, first 2 shown]
	s_waitcnt vmcnt(0)
	ds_write_b128 v5, v[1:4]
	s_waitcnt lgkmcnt(0)
	s_barrier
	buffer_gl0_inv
	v_cmpx_gt_u32_e32 14, v0
	s_cbranch_execz .LBB59_71
; %bb.68:
	v_mov_b32_e32 v1, 0
	v_mov_b32_e32 v3, 0
	v_add_nc_u32_e32 v7, -1, v0
	v_add_nc_u32_e32 v8, 0x3c0, v247
	v_mov_b32_e32 v2, 0
	v_mov_b32_e32 v4, 0
	v_add_nc_u32_e32 v9, 16, v247
	s_mov_b32 s5, 0
	.p2align	6
.LBB59_69:                              ; =>This Inner Loop Header: Depth=1
	s_clause 0x3
	buffer_load_dword v14, v9, s[0:3], 0 offen offset:8
	buffer_load_dword v15, v9, s[0:3], 0 offen offset:12
	buffer_load_dword v16, v9, s[0:3], 0 offen
	buffer_load_dword v17, v9, s[0:3], 0 offen offset:4
	ds_read_b128 v[10:13], v8
	v_add_nc_u32_e32 v7, 1, v7
	v_add_nc_u32_e32 v8, 16, v8
	;; [unrolled: 1-line block ×3, first 2 shown]
	v_cmp_lt_u32_e32 vcc_lo, 12, v7
	s_or_b32 s5, vcc_lo, s5
	s_waitcnt vmcnt(2) lgkmcnt(0)
	v_mul_f64 v[18:19], v[12:13], v[14:15]
	v_mul_f64 v[14:15], v[10:11], v[14:15]
	s_waitcnt vmcnt(0)
	v_fma_f64 v[10:11], v[10:11], v[16:17], -v[18:19]
	v_fma_f64 v[12:13], v[12:13], v[16:17], v[14:15]
	v_add_f64 v[3:4], v[3:4], v[10:11]
	v_add_f64 v[1:2], v[1:2], v[12:13]
	s_andn2_b32 exec_lo, exec_lo, s5
	s_cbranch_execnz .LBB59_69
; %bb.70:
	s_or_b32 exec_lo, exec_lo, s5
	v_mov_b32_e32 v7, 0
	ds_read_b128 v[7:10], v7 offset:224
	s_waitcnt lgkmcnt(0)
	v_mul_f64 v[11:12], v[1:2], v[9:10]
	v_mul_f64 v[9:10], v[3:4], v[9:10]
	v_fma_f64 v[3:4], v[3:4], v[7:8], -v[11:12]
	v_fma_f64 v[1:2], v[1:2], v[7:8], v[9:10]
	buffer_store_dword v4, off, s[0:3], 0 offset:244
	buffer_store_dword v3, off, s[0:3], 0 offset:240
	;; [unrolled: 1-line block ×4, first 2 shown]
.LBB59_71:
	s_or_b32 exec_lo, exec_lo, s4
	v_mov_b32_e32 v4, s70
	s_waitcnt_vscnt null, 0x0
	s_barrier
	buffer_gl0_inv
	s_mov_b32 s4, exec_lo
	s_clause 0x3
	buffer_load_dword v1, v4, s[0:3], 0 offen
	buffer_load_dword v2, v4, s[0:3], 0 offen offset:4
	buffer_load_dword v3, v4, s[0:3], 0 offen offset:8
	;; [unrolled: 1-line block ×3, first 2 shown]
	s_waitcnt vmcnt(0)
	ds_write_b128 v5, v[1:4]
	s_waitcnt lgkmcnt(0)
	s_barrier
	buffer_gl0_inv
	v_cmpx_gt_u32_e32 15, v0
	s_cbranch_execz .LBB59_75
; %bb.72:
	v_mov_b32_e32 v1, 0
	v_mov_b32_e32 v3, 0
	v_add_nc_u32_e32 v7, -1, v0
	v_add_nc_u32_e32 v8, 0x3c0, v247
	v_mov_b32_e32 v2, 0
	v_mov_b32_e32 v4, 0
	v_add_nc_u32_e32 v9, 16, v247
	s_mov_b32 s5, 0
	.p2align	6
.LBB59_73:                              ; =>This Inner Loop Header: Depth=1
	s_clause 0x3
	buffer_load_dword v14, v9, s[0:3], 0 offen offset:8
	buffer_load_dword v15, v9, s[0:3], 0 offen offset:12
	buffer_load_dword v16, v9, s[0:3], 0 offen
	buffer_load_dword v17, v9, s[0:3], 0 offen offset:4
	ds_read_b128 v[10:13], v8
	v_add_nc_u32_e32 v7, 1, v7
	v_add_nc_u32_e32 v8, 16, v8
	;; [unrolled: 1-line block ×3, first 2 shown]
	v_cmp_lt_u32_e32 vcc_lo, 13, v7
	s_or_b32 s5, vcc_lo, s5
	s_waitcnt vmcnt(2) lgkmcnt(0)
	v_mul_f64 v[18:19], v[12:13], v[14:15]
	v_mul_f64 v[14:15], v[10:11], v[14:15]
	s_waitcnt vmcnt(0)
	v_fma_f64 v[10:11], v[10:11], v[16:17], -v[18:19]
	v_fma_f64 v[12:13], v[12:13], v[16:17], v[14:15]
	v_add_f64 v[3:4], v[3:4], v[10:11]
	v_add_f64 v[1:2], v[1:2], v[12:13]
	s_andn2_b32 exec_lo, exec_lo, s5
	s_cbranch_execnz .LBB59_73
; %bb.74:
	s_or_b32 exec_lo, exec_lo, s5
	v_mov_b32_e32 v7, 0
	ds_read_b128 v[7:10], v7 offset:240
	s_waitcnt lgkmcnt(0)
	v_mul_f64 v[11:12], v[1:2], v[9:10]
	v_mul_f64 v[9:10], v[3:4], v[9:10]
	v_fma_f64 v[3:4], v[3:4], v[7:8], -v[11:12]
	v_fma_f64 v[1:2], v[1:2], v[7:8], v[9:10]
	buffer_store_dword v4, off, s[0:3], 0 offset:260
	buffer_store_dword v3, off, s[0:3], 0 offset:256
	;; [unrolled: 1-line block ×4, first 2 shown]
.LBB59_75:
	s_or_b32 exec_lo, exec_lo, s4
	v_mov_b32_e32 v4, s61
	s_waitcnt_vscnt null, 0x0
	s_barrier
	buffer_gl0_inv
	s_mov_b32 s4, exec_lo
	s_clause 0x3
	buffer_load_dword v1, v4, s[0:3], 0 offen
	buffer_load_dword v2, v4, s[0:3], 0 offen offset:4
	buffer_load_dword v3, v4, s[0:3], 0 offen offset:8
	buffer_load_dword v4, v4, s[0:3], 0 offen offset:12
	s_waitcnt vmcnt(0)
	ds_write_b128 v5, v[1:4]
	s_waitcnt lgkmcnt(0)
	s_barrier
	buffer_gl0_inv
	v_cmpx_gt_u32_e32 16, v0
	s_cbranch_execz .LBB59_79
; %bb.76:
	v_mov_b32_e32 v1, 0
	v_mov_b32_e32 v3, 0
	v_add_nc_u32_e32 v7, -1, v0
	v_add_nc_u32_e32 v8, 0x3c0, v247
	v_mov_b32_e32 v2, 0
	v_mov_b32_e32 v4, 0
	v_add_nc_u32_e32 v9, 16, v247
	s_mov_b32 s5, 0
	.p2align	6
.LBB59_77:                              ; =>This Inner Loop Header: Depth=1
	s_clause 0x3
	buffer_load_dword v14, v9, s[0:3], 0 offen offset:8
	buffer_load_dword v15, v9, s[0:3], 0 offen offset:12
	buffer_load_dword v16, v9, s[0:3], 0 offen
	buffer_load_dword v17, v9, s[0:3], 0 offen offset:4
	ds_read_b128 v[10:13], v8
	v_add_nc_u32_e32 v7, 1, v7
	v_add_nc_u32_e32 v8, 16, v8
	;; [unrolled: 1-line block ×3, first 2 shown]
	v_cmp_lt_u32_e32 vcc_lo, 14, v7
	s_or_b32 s5, vcc_lo, s5
	s_waitcnt vmcnt(2) lgkmcnt(0)
	v_mul_f64 v[18:19], v[12:13], v[14:15]
	v_mul_f64 v[14:15], v[10:11], v[14:15]
	s_waitcnt vmcnt(0)
	v_fma_f64 v[10:11], v[10:11], v[16:17], -v[18:19]
	v_fma_f64 v[12:13], v[12:13], v[16:17], v[14:15]
	v_add_f64 v[3:4], v[3:4], v[10:11]
	v_add_f64 v[1:2], v[1:2], v[12:13]
	s_andn2_b32 exec_lo, exec_lo, s5
	s_cbranch_execnz .LBB59_77
; %bb.78:
	s_or_b32 exec_lo, exec_lo, s5
	v_mov_b32_e32 v7, 0
	ds_read_b128 v[7:10], v7 offset:256
	s_waitcnt lgkmcnt(0)
	v_mul_f64 v[11:12], v[1:2], v[9:10]
	v_mul_f64 v[9:10], v[3:4], v[9:10]
	v_fma_f64 v[3:4], v[3:4], v[7:8], -v[11:12]
	v_fma_f64 v[1:2], v[1:2], v[7:8], v[9:10]
	buffer_store_dword v4, off, s[0:3], 0 offset:276
	buffer_store_dword v3, off, s[0:3], 0 offset:272
	buffer_store_dword v2, off, s[0:3], 0 offset:284
	buffer_store_dword v1, off, s[0:3], 0 offset:280
.LBB59_79:
	s_or_b32 exec_lo, exec_lo, s4
	v_mov_b32_e32 v4, s59
	s_waitcnt_vscnt null, 0x0
	s_barrier
	buffer_gl0_inv
	s_mov_b32 s4, exec_lo
	s_clause 0x3
	buffer_load_dword v1, v4, s[0:3], 0 offen
	buffer_load_dword v2, v4, s[0:3], 0 offen offset:4
	buffer_load_dword v3, v4, s[0:3], 0 offen offset:8
	;; [unrolled: 1-line block ×3, first 2 shown]
	s_waitcnt vmcnt(0)
	ds_write_b128 v5, v[1:4]
	s_waitcnt lgkmcnt(0)
	s_barrier
	buffer_gl0_inv
	v_cmpx_gt_u32_e32 17, v0
	s_cbranch_execz .LBB59_83
; %bb.80:
	v_mov_b32_e32 v1, 0
	v_mov_b32_e32 v3, 0
	v_add_nc_u32_e32 v7, -1, v0
	v_add_nc_u32_e32 v8, 0x3c0, v247
	v_mov_b32_e32 v2, 0
	v_mov_b32_e32 v4, 0
	v_add_nc_u32_e32 v9, 16, v247
	s_mov_b32 s5, 0
	.p2align	6
.LBB59_81:                              ; =>This Inner Loop Header: Depth=1
	s_clause 0x3
	buffer_load_dword v14, v9, s[0:3], 0 offen offset:8
	buffer_load_dword v15, v9, s[0:3], 0 offen offset:12
	buffer_load_dword v16, v9, s[0:3], 0 offen
	buffer_load_dword v17, v9, s[0:3], 0 offen offset:4
	ds_read_b128 v[10:13], v8
	v_add_nc_u32_e32 v7, 1, v7
	v_add_nc_u32_e32 v8, 16, v8
	v_add_nc_u32_e32 v9, 16, v9
	v_cmp_lt_u32_e32 vcc_lo, 15, v7
	s_or_b32 s5, vcc_lo, s5
	s_waitcnt vmcnt(2) lgkmcnt(0)
	v_mul_f64 v[18:19], v[12:13], v[14:15]
	v_mul_f64 v[14:15], v[10:11], v[14:15]
	s_waitcnt vmcnt(0)
	v_fma_f64 v[10:11], v[10:11], v[16:17], -v[18:19]
	v_fma_f64 v[12:13], v[12:13], v[16:17], v[14:15]
	v_add_f64 v[3:4], v[3:4], v[10:11]
	v_add_f64 v[1:2], v[1:2], v[12:13]
	s_andn2_b32 exec_lo, exec_lo, s5
	s_cbranch_execnz .LBB59_81
; %bb.82:
	s_or_b32 exec_lo, exec_lo, s5
	v_mov_b32_e32 v7, 0
	ds_read_b128 v[7:10], v7 offset:272
	s_waitcnt lgkmcnt(0)
	v_mul_f64 v[11:12], v[1:2], v[9:10]
	v_mul_f64 v[9:10], v[3:4], v[9:10]
	v_fma_f64 v[3:4], v[3:4], v[7:8], -v[11:12]
	v_fma_f64 v[1:2], v[1:2], v[7:8], v[9:10]
	buffer_store_dword v4, off, s[0:3], 0 offset:292
	buffer_store_dword v3, off, s[0:3], 0 offset:288
	;; [unrolled: 1-line block ×4, first 2 shown]
.LBB59_83:
	s_or_b32 exec_lo, exec_lo, s4
	v_mov_b32_e32 v4, s57
	s_waitcnt_vscnt null, 0x0
	s_barrier
	buffer_gl0_inv
	s_mov_b32 s4, exec_lo
	s_clause 0x3
	buffer_load_dword v1, v4, s[0:3], 0 offen
	buffer_load_dword v2, v4, s[0:3], 0 offen offset:4
	buffer_load_dword v3, v4, s[0:3], 0 offen offset:8
	;; [unrolled: 1-line block ×3, first 2 shown]
	s_waitcnt vmcnt(0)
	ds_write_b128 v5, v[1:4]
	s_waitcnt lgkmcnt(0)
	s_barrier
	buffer_gl0_inv
	v_cmpx_gt_u32_e32 18, v0
	s_cbranch_execz .LBB59_87
; %bb.84:
	v_mov_b32_e32 v1, 0
	v_mov_b32_e32 v3, 0
	v_add_nc_u32_e32 v7, -1, v0
	v_add_nc_u32_e32 v8, 0x3c0, v247
	v_mov_b32_e32 v2, 0
	v_mov_b32_e32 v4, 0
	v_add_nc_u32_e32 v9, 16, v247
	s_mov_b32 s5, 0
	.p2align	6
.LBB59_85:                              ; =>This Inner Loop Header: Depth=1
	s_clause 0x3
	buffer_load_dword v14, v9, s[0:3], 0 offen offset:8
	buffer_load_dword v15, v9, s[0:3], 0 offen offset:12
	buffer_load_dword v16, v9, s[0:3], 0 offen
	buffer_load_dword v17, v9, s[0:3], 0 offen offset:4
	ds_read_b128 v[10:13], v8
	v_add_nc_u32_e32 v7, 1, v7
	v_add_nc_u32_e32 v8, 16, v8
	;; [unrolled: 1-line block ×3, first 2 shown]
	v_cmp_lt_u32_e32 vcc_lo, 16, v7
	s_or_b32 s5, vcc_lo, s5
	s_waitcnt vmcnt(2) lgkmcnt(0)
	v_mul_f64 v[18:19], v[12:13], v[14:15]
	v_mul_f64 v[14:15], v[10:11], v[14:15]
	s_waitcnt vmcnt(0)
	v_fma_f64 v[10:11], v[10:11], v[16:17], -v[18:19]
	v_fma_f64 v[12:13], v[12:13], v[16:17], v[14:15]
	v_add_f64 v[3:4], v[3:4], v[10:11]
	v_add_f64 v[1:2], v[1:2], v[12:13]
	s_andn2_b32 exec_lo, exec_lo, s5
	s_cbranch_execnz .LBB59_85
; %bb.86:
	s_or_b32 exec_lo, exec_lo, s5
	v_mov_b32_e32 v7, 0
	ds_read_b128 v[7:10], v7 offset:288
	s_waitcnt lgkmcnt(0)
	v_mul_f64 v[11:12], v[1:2], v[9:10]
	v_mul_f64 v[9:10], v[3:4], v[9:10]
	v_fma_f64 v[3:4], v[3:4], v[7:8], -v[11:12]
	v_fma_f64 v[1:2], v[1:2], v[7:8], v[9:10]
	buffer_store_dword v4, off, s[0:3], 0 offset:308
	buffer_store_dword v3, off, s[0:3], 0 offset:304
	;; [unrolled: 1-line block ×4, first 2 shown]
.LBB59_87:
	s_or_b32 exec_lo, exec_lo, s4
	v_mov_b32_e32 v4, s55
	s_waitcnt_vscnt null, 0x0
	s_barrier
	buffer_gl0_inv
	s_mov_b32 s4, exec_lo
	s_clause 0x3
	buffer_load_dword v1, v4, s[0:3], 0 offen
	buffer_load_dword v2, v4, s[0:3], 0 offen offset:4
	buffer_load_dword v3, v4, s[0:3], 0 offen offset:8
	;; [unrolled: 1-line block ×3, first 2 shown]
	s_waitcnt vmcnt(0)
	ds_write_b128 v5, v[1:4]
	s_waitcnt lgkmcnt(0)
	s_barrier
	buffer_gl0_inv
	v_cmpx_gt_u32_e32 19, v0
	s_cbranch_execz .LBB59_91
; %bb.88:
	v_mov_b32_e32 v1, 0
	v_mov_b32_e32 v3, 0
	v_add_nc_u32_e32 v7, -1, v0
	v_add_nc_u32_e32 v8, 0x3c0, v247
	v_mov_b32_e32 v2, 0
	v_mov_b32_e32 v4, 0
	v_add_nc_u32_e32 v9, 16, v247
	s_mov_b32 s5, 0
	.p2align	6
.LBB59_89:                              ; =>This Inner Loop Header: Depth=1
	s_clause 0x3
	buffer_load_dword v14, v9, s[0:3], 0 offen offset:8
	buffer_load_dword v15, v9, s[0:3], 0 offen offset:12
	buffer_load_dword v16, v9, s[0:3], 0 offen
	buffer_load_dword v17, v9, s[0:3], 0 offen offset:4
	ds_read_b128 v[10:13], v8
	v_add_nc_u32_e32 v7, 1, v7
	v_add_nc_u32_e32 v8, 16, v8
	;; [unrolled: 1-line block ×3, first 2 shown]
	v_cmp_lt_u32_e32 vcc_lo, 17, v7
	s_or_b32 s5, vcc_lo, s5
	s_waitcnt vmcnt(2) lgkmcnt(0)
	v_mul_f64 v[18:19], v[12:13], v[14:15]
	v_mul_f64 v[14:15], v[10:11], v[14:15]
	s_waitcnt vmcnt(0)
	v_fma_f64 v[10:11], v[10:11], v[16:17], -v[18:19]
	v_fma_f64 v[12:13], v[12:13], v[16:17], v[14:15]
	v_add_f64 v[3:4], v[3:4], v[10:11]
	v_add_f64 v[1:2], v[1:2], v[12:13]
	s_andn2_b32 exec_lo, exec_lo, s5
	s_cbranch_execnz .LBB59_89
; %bb.90:
	s_or_b32 exec_lo, exec_lo, s5
	v_mov_b32_e32 v7, 0
	ds_read_b128 v[7:10], v7 offset:304
	s_waitcnt lgkmcnt(0)
	v_mul_f64 v[11:12], v[1:2], v[9:10]
	v_mul_f64 v[9:10], v[3:4], v[9:10]
	v_fma_f64 v[3:4], v[3:4], v[7:8], -v[11:12]
	v_fma_f64 v[1:2], v[1:2], v[7:8], v[9:10]
	buffer_store_dword v4, off, s[0:3], 0 offset:324
	buffer_store_dword v3, off, s[0:3], 0 offset:320
	;; [unrolled: 1-line block ×4, first 2 shown]
.LBB59_91:
	s_or_b32 exec_lo, exec_lo, s4
	v_mov_b32_e32 v4, s53
	s_waitcnt_vscnt null, 0x0
	s_barrier
	buffer_gl0_inv
	s_mov_b32 s4, exec_lo
	s_clause 0x3
	buffer_load_dword v1, v4, s[0:3], 0 offen
	buffer_load_dword v2, v4, s[0:3], 0 offen offset:4
	buffer_load_dword v3, v4, s[0:3], 0 offen offset:8
	;; [unrolled: 1-line block ×3, first 2 shown]
	s_waitcnt vmcnt(0)
	ds_write_b128 v5, v[1:4]
	s_waitcnt lgkmcnt(0)
	s_barrier
	buffer_gl0_inv
	v_cmpx_gt_u32_e32 20, v0
	s_cbranch_execz .LBB59_95
; %bb.92:
	v_mov_b32_e32 v1, 0
	v_mov_b32_e32 v3, 0
	v_add_nc_u32_e32 v7, -1, v0
	v_add_nc_u32_e32 v8, 0x3c0, v247
	v_mov_b32_e32 v2, 0
	v_mov_b32_e32 v4, 0
	v_add_nc_u32_e32 v9, 16, v247
	s_mov_b32 s5, 0
	.p2align	6
.LBB59_93:                              ; =>This Inner Loop Header: Depth=1
	s_clause 0x3
	buffer_load_dword v14, v9, s[0:3], 0 offen offset:8
	buffer_load_dword v15, v9, s[0:3], 0 offen offset:12
	buffer_load_dword v16, v9, s[0:3], 0 offen
	buffer_load_dword v17, v9, s[0:3], 0 offen offset:4
	ds_read_b128 v[10:13], v8
	v_add_nc_u32_e32 v7, 1, v7
	v_add_nc_u32_e32 v8, 16, v8
	;; [unrolled: 1-line block ×3, first 2 shown]
	v_cmp_lt_u32_e32 vcc_lo, 18, v7
	s_or_b32 s5, vcc_lo, s5
	s_waitcnt vmcnt(2) lgkmcnt(0)
	v_mul_f64 v[18:19], v[12:13], v[14:15]
	v_mul_f64 v[14:15], v[10:11], v[14:15]
	s_waitcnt vmcnt(0)
	v_fma_f64 v[10:11], v[10:11], v[16:17], -v[18:19]
	v_fma_f64 v[12:13], v[12:13], v[16:17], v[14:15]
	v_add_f64 v[3:4], v[3:4], v[10:11]
	v_add_f64 v[1:2], v[1:2], v[12:13]
	s_andn2_b32 exec_lo, exec_lo, s5
	s_cbranch_execnz .LBB59_93
; %bb.94:
	s_or_b32 exec_lo, exec_lo, s5
	v_mov_b32_e32 v7, 0
	ds_read_b128 v[7:10], v7 offset:320
	s_waitcnt lgkmcnt(0)
	v_mul_f64 v[11:12], v[1:2], v[9:10]
	v_mul_f64 v[9:10], v[3:4], v[9:10]
	v_fma_f64 v[3:4], v[3:4], v[7:8], -v[11:12]
	v_fma_f64 v[1:2], v[1:2], v[7:8], v[9:10]
	buffer_store_dword v4, off, s[0:3], 0 offset:340
	buffer_store_dword v3, off, s[0:3], 0 offset:336
	;; [unrolled: 1-line block ×4, first 2 shown]
.LBB59_95:
	s_or_b32 exec_lo, exec_lo, s4
	v_mov_b32_e32 v4, s51
	s_waitcnt_vscnt null, 0x0
	s_barrier
	buffer_gl0_inv
	s_mov_b32 s4, exec_lo
	s_clause 0x3
	buffer_load_dword v1, v4, s[0:3], 0 offen
	buffer_load_dword v2, v4, s[0:3], 0 offen offset:4
	buffer_load_dword v3, v4, s[0:3], 0 offen offset:8
	;; [unrolled: 1-line block ×3, first 2 shown]
	s_waitcnt vmcnt(0)
	ds_write_b128 v5, v[1:4]
	s_waitcnt lgkmcnt(0)
	s_barrier
	buffer_gl0_inv
	v_cmpx_gt_u32_e32 21, v0
	s_cbranch_execz .LBB59_99
; %bb.96:
	v_mov_b32_e32 v1, 0
	v_mov_b32_e32 v3, 0
	v_add_nc_u32_e32 v7, -1, v0
	v_add_nc_u32_e32 v8, 0x3c0, v247
	v_mov_b32_e32 v2, 0
	v_mov_b32_e32 v4, 0
	v_add_nc_u32_e32 v9, 16, v247
	s_mov_b32 s5, 0
	.p2align	6
.LBB59_97:                              ; =>This Inner Loop Header: Depth=1
	s_clause 0x3
	buffer_load_dword v14, v9, s[0:3], 0 offen offset:8
	buffer_load_dword v15, v9, s[0:3], 0 offen offset:12
	buffer_load_dword v16, v9, s[0:3], 0 offen
	buffer_load_dword v17, v9, s[0:3], 0 offen offset:4
	ds_read_b128 v[10:13], v8
	v_add_nc_u32_e32 v7, 1, v7
	v_add_nc_u32_e32 v8, 16, v8
	;; [unrolled: 1-line block ×3, first 2 shown]
	v_cmp_lt_u32_e32 vcc_lo, 19, v7
	s_or_b32 s5, vcc_lo, s5
	s_waitcnt vmcnt(2) lgkmcnt(0)
	v_mul_f64 v[18:19], v[12:13], v[14:15]
	v_mul_f64 v[14:15], v[10:11], v[14:15]
	s_waitcnt vmcnt(0)
	v_fma_f64 v[10:11], v[10:11], v[16:17], -v[18:19]
	v_fma_f64 v[12:13], v[12:13], v[16:17], v[14:15]
	v_add_f64 v[3:4], v[3:4], v[10:11]
	v_add_f64 v[1:2], v[1:2], v[12:13]
	s_andn2_b32 exec_lo, exec_lo, s5
	s_cbranch_execnz .LBB59_97
; %bb.98:
	s_or_b32 exec_lo, exec_lo, s5
	v_mov_b32_e32 v7, 0
	ds_read_b128 v[7:10], v7 offset:336
	s_waitcnt lgkmcnt(0)
	v_mul_f64 v[11:12], v[1:2], v[9:10]
	v_mul_f64 v[9:10], v[3:4], v[9:10]
	v_fma_f64 v[3:4], v[3:4], v[7:8], -v[11:12]
	v_fma_f64 v[1:2], v[1:2], v[7:8], v[9:10]
	buffer_store_dword v4, off, s[0:3], 0 offset:356
	buffer_store_dword v3, off, s[0:3], 0 offset:352
	;; [unrolled: 1-line block ×4, first 2 shown]
.LBB59_99:
	s_or_b32 exec_lo, exec_lo, s4
	v_mov_b32_e32 v4, s50
	s_waitcnt_vscnt null, 0x0
	s_barrier
	buffer_gl0_inv
	s_mov_b32 s4, exec_lo
	s_clause 0x3
	buffer_load_dword v1, v4, s[0:3], 0 offen
	buffer_load_dword v2, v4, s[0:3], 0 offen offset:4
	buffer_load_dword v3, v4, s[0:3], 0 offen offset:8
	;; [unrolled: 1-line block ×3, first 2 shown]
	s_waitcnt vmcnt(0)
	ds_write_b128 v5, v[1:4]
	s_waitcnt lgkmcnt(0)
	s_barrier
	buffer_gl0_inv
	v_cmpx_gt_u32_e32 22, v0
	s_cbranch_execz .LBB59_103
; %bb.100:
	v_mov_b32_e32 v1, 0
	v_mov_b32_e32 v3, 0
	v_add_nc_u32_e32 v7, -1, v0
	v_add_nc_u32_e32 v8, 0x3c0, v247
	v_mov_b32_e32 v2, 0
	v_mov_b32_e32 v4, 0
	v_add_nc_u32_e32 v9, 16, v247
	s_mov_b32 s5, 0
	.p2align	6
.LBB59_101:                             ; =>This Inner Loop Header: Depth=1
	s_clause 0x3
	buffer_load_dword v14, v9, s[0:3], 0 offen offset:8
	buffer_load_dword v15, v9, s[0:3], 0 offen offset:12
	buffer_load_dword v16, v9, s[0:3], 0 offen
	buffer_load_dword v17, v9, s[0:3], 0 offen offset:4
	ds_read_b128 v[10:13], v8
	v_add_nc_u32_e32 v7, 1, v7
	v_add_nc_u32_e32 v8, 16, v8
	;; [unrolled: 1-line block ×3, first 2 shown]
	v_cmp_lt_u32_e32 vcc_lo, 20, v7
	s_or_b32 s5, vcc_lo, s5
	s_waitcnt vmcnt(2) lgkmcnt(0)
	v_mul_f64 v[18:19], v[12:13], v[14:15]
	v_mul_f64 v[14:15], v[10:11], v[14:15]
	s_waitcnt vmcnt(0)
	v_fma_f64 v[10:11], v[10:11], v[16:17], -v[18:19]
	v_fma_f64 v[12:13], v[12:13], v[16:17], v[14:15]
	v_add_f64 v[3:4], v[3:4], v[10:11]
	v_add_f64 v[1:2], v[1:2], v[12:13]
	s_andn2_b32 exec_lo, exec_lo, s5
	s_cbranch_execnz .LBB59_101
; %bb.102:
	s_or_b32 exec_lo, exec_lo, s5
	v_mov_b32_e32 v7, 0
	ds_read_b128 v[7:10], v7 offset:352
	s_waitcnt lgkmcnt(0)
	v_mul_f64 v[11:12], v[1:2], v[9:10]
	v_mul_f64 v[9:10], v[3:4], v[9:10]
	v_fma_f64 v[3:4], v[3:4], v[7:8], -v[11:12]
	v_fma_f64 v[1:2], v[1:2], v[7:8], v[9:10]
	buffer_store_dword v4, off, s[0:3], 0 offset:372
	buffer_store_dword v3, off, s[0:3], 0 offset:368
	;; [unrolled: 1-line block ×4, first 2 shown]
.LBB59_103:
	s_or_b32 exec_lo, exec_lo, s4
	v_mov_b32_e32 v4, s49
	s_waitcnt_vscnt null, 0x0
	s_barrier
	buffer_gl0_inv
	s_mov_b32 s4, exec_lo
	s_clause 0x3
	buffer_load_dword v1, v4, s[0:3], 0 offen
	buffer_load_dword v2, v4, s[0:3], 0 offen offset:4
	buffer_load_dword v3, v4, s[0:3], 0 offen offset:8
	;; [unrolled: 1-line block ×3, first 2 shown]
	s_waitcnt vmcnt(0)
	ds_write_b128 v5, v[1:4]
	s_waitcnt lgkmcnt(0)
	s_barrier
	buffer_gl0_inv
	v_cmpx_gt_u32_e32 23, v0
	s_cbranch_execz .LBB59_107
; %bb.104:
	v_mov_b32_e32 v1, 0
	v_mov_b32_e32 v3, 0
	v_add_nc_u32_e32 v7, -1, v0
	v_add_nc_u32_e32 v8, 0x3c0, v247
	v_mov_b32_e32 v2, 0
	v_mov_b32_e32 v4, 0
	v_add_nc_u32_e32 v9, 16, v247
	s_mov_b32 s5, 0
	.p2align	6
.LBB59_105:                             ; =>This Inner Loop Header: Depth=1
	s_clause 0x3
	buffer_load_dword v14, v9, s[0:3], 0 offen offset:8
	buffer_load_dword v15, v9, s[0:3], 0 offen offset:12
	buffer_load_dword v16, v9, s[0:3], 0 offen
	buffer_load_dword v17, v9, s[0:3], 0 offen offset:4
	ds_read_b128 v[10:13], v8
	v_add_nc_u32_e32 v7, 1, v7
	v_add_nc_u32_e32 v8, 16, v8
	;; [unrolled: 1-line block ×3, first 2 shown]
	v_cmp_lt_u32_e32 vcc_lo, 21, v7
	s_or_b32 s5, vcc_lo, s5
	s_waitcnt vmcnt(2) lgkmcnt(0)
	v_mul_f64 v[18:19], v[12:13], v[14:15]
	v_mul_f64 v[14:15], v[10:11], v[14:15]
	s_waitcnt vmcnt(0)
	v_fma_f64 v[10:11], v[10:11], v[16:17], -v[18:19]
	v_fma_f64 v[12:13], v[12:13], v[16:17], v[14:15]
	v_add_f64 v[3:4], v[3:4], v[10:11]
	v_add_f64 v[1:2], v[1:2], v[12:13]
	s_andn2_b32 exec_lo, exec_lo, s5
	s_cbranch_execnz .LBB59_105
; %bb.106:
	s_or_b32 exec_lo, exec_lo, s5
	v_mov_b32_e32 v7, 0
	ds_read_b128 v[7:10], v7 offset:368
	s_waitcnt lgkmcnt(0)
	v_mul_f64 v[11:12], v[1:2], v[9:10]
	v_mul_f64 v[9:10], v[3:4], v[9:10]
	v_fma_f64 v[3:4], v[3:4], v[7:8], -v[11:12]
	v_fma_f64 v[1:2], v[1:2], v[7:8], v[9:10]
	buffer_store_dword v4, off, s[0:3], 0 offset:388
	buffer_store_dword v3, off, s[0:3], 0 offset:384
	;; [unrolled: 1-line block ×4, first 2 shown]
.LBB59_107:
	s_or_b32 exec_lo, exec_lo, s4
	v_mov_b32_e32 v4, s48
	s_waitcnt_vscnt null, 0x0
	s_barrier
	buffer_gl0_inv
	s_mov_b32 s4, exec_lo
	s_clause 0x3
	buffer_load_dword v1, v4, s[0:3], 0 offen
	buffer_load_dword v2, v4, s[0:3], 0 offen offset:4
	buffer_load_dword v3, v4, s[0:3], 0 offen offset:8
	;; [unrolled: 1-line block ×3, first 2 shown]
	s_waitcnt vmcnt(0)
	ds_write_b128 v5, v[1:4]
	s_waitcnt lgkmcnt(0)
	s_barrier
	buffer_gl0_inv
	v_cmpx_gt_u32_e32 24, v0
	s_cbranch_execz .LBB59_111
; %bb.108:
	v_mov_b32_e32 v1, 0
	v_mov_b32_e32 v3, 0
	v_add_nc_u32_e32 v7, -1, v0
	v_add_nc_u32_e32 v8, 0x3c0, v247
	v_mov_b32_e32 v2, 0
	v_mov_b32_e32 v4, 0
	v_add_nc_u32_e32 v9, 16, v247
	s_mov_b32 s5, 0
	.p2align	6
.LBB59_109:                             ; =>This Inner Loop Header: Depth=1
	s_clause 0x3
	buffer_load_dword v14, v9, s[0:3], 0 offen offset:8
	buffer_load_dword v15, v9, s[0:3], 0 offen offset:12
	buffer_load_dword v16, v9, s[0:3], 0 offen
	buffer_load_dword v17, v9, s[0:3], 0 offen offset:4
	ds_read_b128 v[10:13], v8
	v_add_nc_u32_e32 v7, 1, v7
	v_add_nc_u32_e32 v8, 16, v8
	;; [unrolled: 1-line block ×3, first 2 shown]
	v_cmp_lt_u32_e32 vcc_lo, 22, v7
	s_or_b32 s5, vcc_lo, s5
	s_waitcnt vmcnt(2) lgkmcnt(0)
	v_mul_f64 v[18:19], v[12:13], v[14:15]
	v_mul_f64 v[14:15], v[10:11], v[14:15]
	s_waitcnt vmcnt(0)
	v_fma_f64 v[10:11], v[10:11], v[16:17], -v[18:19]
	v_fma_f64 v[12:13], v[12:13], v[16:17], v[14:15]
	v_add_f64 v[3:4], v[3:4], v[10:11]
	v_add_f64 v[1:2], v[1:2], v[12:13]
	s_andn2_b32 exec_lo, exec_lo, s5
	s_cbranch_execnz .LBB59_109
; %bb.110:
	s_or_b32 exec_lo, exec_lo, s5
	v_mov_b32_e32 v7, 0
	ds_read_b128 v[7:10], v7 offset:384
	s_waitcnt lgkmcnt(0)
	v_mul_f64 v[11:12], v[1:2], v[9:10]
	v_mul_f64 v[9:10], v[3:4], v[9:10]
	v_fma_f64 v[3:4], v[3:4], v[7:8], -v[11:12]
	v_fma_f64 v[1:2], v[1:2], v[7:8], v[9:10]
	buffer_store_dword v4, off, s[0:3], 0 offset:404
	buffer_store_dword v3, off, s[0:3], 0 offset:400
	;; [unrolled: 1-line block ×4, first 2 shown]
.LBB59_111:
	s_or_b32 exec_lo, exec_lo, s4
	v_mov_b32_e32 v4, s47
	s_waitcnt_vscnt null, 0x0
	s_barrier
	buffer_gl0_inv
	s_mov_b32 s4, exec_lo
	s_clause 0x3
	buffer_load_dword v1, v4, s[0:3], 0 offen
	buffer_load_dword v2, v4, s[0:3], 0 offen offset:4
	buffer_load_dword v3, v4, s[0:3], 0 offen offset:8
	;; [unrolled: 1-line block ×3, first 2 shown]
	s_waitcnt vmcnt(0)
	ds_write_b128 v5, v[1:4]
	s_waitcnt lgkmcnt(0)
	s_barrier
	buffer_gl0_inv
	v_cmpx_gt_u32_e32 25, v0
	s_cbranch_execz .LBB59_115
; %bb.112:
	v_mov_b32_e32 v1, 0
	v_mov_b32_e32 v3, 0
	v_add_nc_u32_e32 v7, -1, v0
	v_add_nc_u32_e32 v8, 0x3c0, v247
	v_mov_b32_e32 v2, 0
	v_mov_b32_e32 v4, 0
	v_add_nc_u32_e32 v9, 16, v247
	s_mov_b32 s5, 0
	.p2align	6
.LBB59_113:                             ; =>This Inner Loop Header: Depth=1
	s_clause 0x3
	buffer_load_dword v14, v9, s[0:3], 0 offen offset:8
	buffer_load_dword v15, v9, s[0:3], 0 offen offset:12
	buffer_load_dword v16, v9, s[0:3], 0 offen
	buffer_load_dword v17, v9, s[0:3], 0 offen offset:4
	ds_read_b128 v[10:13], v8
	v_add_nc_u32_e32 v7, 1, v7
	v_add_nc_u32_e32 v8, 16, v8
	;; [unrolled: 1-line block ×3, first 2 shown]
	v_cmp_lt_u32_e32 vcc_lo, 23, v7
	s_or_b32 s5, vcc_lo, s5
	s_waitcnt vmcnt(2) lgkmcnt(0)
	v_mul_f64 v[18:19], v[12:13], v[14:15]
	v_mul_f64 v[14:15], v[10:11], v[14:15]
	s_waitcnt vmcnt(0)
	v_fma_f64 v[10:11], v[10:11], v[16:17], -v[18:19]
	v_fma_f64 v[12:13], v[12:13], v[16:17], v[14:15]
	v_add_f64 v[3:4], v[3:4], v[10:11]
	v_add_f64 v[1:2], v[1:2], v[12:13]
	s_andn2_b32 exec_lo, exec_lo, s5
	s_cbranch_execnz .LBB59_113
; %bb.114:
	s_or_b32 exec_lo, exec_lo, s5
	v_mov_b32_e32 v7, 0
	ds_read_b128 v[7:10], v7 offset:400
	s_waitcnt lgkmcnt(0)
	v_mul_f64 v[11:12], v[1:2], v[9:10]
	v_mul_f64 v[9:10], v[3:4], v[9:10]
	v_fma_f64 v[3:4], v[3:4], v[7:8], -v[11:12]
	v_fma_f64 v[1:2], v[1:2], v[7:8], v[9:10]
	buffer_store_dword v4, off, s[0:3], 0 offset:420
	buffer_store_dword v3, off, s[0:3], 0 offset:416
	;; [unrolled: 1-line block ×4, first 2 shown]
.LBB59_115:
	s_or_b32 exec_lo, exec_lo, s4
	v_mov_b32_e32 v4, s46
	s_waitcnt_vscnt null, 0x0
	s_barrier
	buffer_gl0_inv
	s_mov_b32 s4, exec_lo
	s_clause 0x3
	buffer_load_dword v1, v4, s[0:3], 0 offen
	buffer_load_dword v2, v4, s[0:3], 0 offen offset:4
	buffer_load_dword v3, v4, s[0:3], 0 offen offset:8
	;; [unrolled: 1-line block ×3, first 2 shown]
	s_waitcnt vmcnt(0)
	ds_write_b128 v5, v[1:4]
	s_waitcnt lgkmcnt(0)
	s_barrier
	buffer_gl0_inv
	v_cmpx_gt_u32_e32 26, v0
	s_cbranch_execz .LBB59_119
; %bb.116:
	v_mov_b32_e32 v1, 0
	v_mov_b32_e32 v3, 0
	v_add_nc_u32_e32 v7, -1, v0
	v_add_nc_u32_e32 v8, 0x3c0, v247
	v_mov_b32_e32 v2, 0
	v_mov_b32_e32 v4, 0
	v_add_nc_u32_e32 v9, 16, v247
	s_mov_b32 s5, 0
	.p2align	6
.LBB59_117:                             ; =>This Inner Loop Header: Depth=1
	s_clause 0x3
	buffer_load_dword v14, v9, s[0:3], 0 offen offset:8
	buffer_load_dword v15, v9, s[0:3], 0 offen offset:12
	buffer_load_dword v16, v9, s[0:3], 0 offen
	buffer_load_dword v17, v9, s[0:3], 0 offen offset:4
	ds_read_b128 v[10:13], v8
	v_add_nc_u32_e32 v7, 1, v7
	v_add_nc_u32_e32 v8, 16, v8
	;; [unrolled: 1-line block ×3, first 2 shown]
	v_cmp_lt_u32_e32 vcc_lo, 24, v7
	s_or_b32 s5, vcc_lo, s5
	s_waitcnt vmcnt(2) lgkmcnt(0)
	v_mul_f64 v[18:19], v[12:13], v[14:15]
	v_mul_f64 v[14:15], v[10:11], v[14:15]
	s_waitcnt vmcnt(0)
	v_fma_f64 v[10:11], v[10:11], v[16:17], -v[18:19]
	v_fma_f64 v[12:13], v[12:13], v[16:17], v[14:15]
	v_add_f64 v[3:4], v[3:4], v[10:11]
	v_add_f64 v[1:2], v[1:2], v[12:13]
	s_andn2_b32 exec_lo, exec_lo, s5
	s_cbranch_execnz .LBB59_117
; %bb.118:
	s_or_b32 exec_lo, exec_lo, s5
	v_mov_b32_e32 v7, 0
	ds_read_b128 v[7:10], v7 offset:416
	s_waitcnt lgkmcnt(0)
	v_mul_f64 v[11:12], v[1:2], v[9:10]
	v_mul_f64 v[9:10], v[3:4], v[9:10]
	v_fma_f64 v[3:4], v[3:4], v[7:8], -v[11:12]
	v_fma_f64 v[1:2], v[1:2], v[7:8], v[9:10]
	buffer_store_dword v4, off, s[0:3], 0 offset:436
	buffer_store_dword v3, off, s[0:3], 0 offset:432
	;; [unrolled: 1-line block ×4, first 2 shown]
.LBB59_119:
	s_or_b32 exec_lo, exec_lo, s4
	v_mov_b32_e32 v4, s45
	s_waitcnt_vscnt null, 0x0
	s_barrier
	buffer_gl0_inv
	s_mov_b32 s4, exec_lo
	s_clause 0x3
	buffer_load_dword v1, v4, s[0:3], 0 offen
	buffer_load_dword v2, v4, s[0:3], 0 offen offset:4
	buffer_load_dword v3, v4, s[0:3], 0 offen offset:8
	;; [unrolled: 1-line block ×3, first 2 shown]
	s_waitcnt vmcnt(0)
	ds_write_b128 v5, v[1:4]
	s_waitcnt lgkmcnt(0)
	s_barrier
	buffer_gl0_inv
	v_cmpx_gt_u32_e32 27, v0
	s_cbranch_execz .LBB59_123
; %bb.120:
	v_mov_b32_e32 v1, 0
	v_mov_b32_e32 v3, 0
	v_add_nc_u32_e32 v7, -1, v0
	v_add_nc_u32_e32 v8, 0x3c0, v247
	v_mov_b32_e32 v2, 0
	v_mov_b32_e32 v4, 0
	v_add_nc_u32_e32 v9, 16, v247
	s_mov_b32 s5, 0
	.p2align	6
.LBB59_121:                             ; =>This Inner Loop Header: Depth=1
	s_clause 0x3
	buffer_load_dword v14, v9, s[0:3], 0 offen offset:8
	buffer_load_dword v15, v9, s[0:3], 0 offen offset:12
	buffer_load_dword v16, v9, s[0:3], 0 offen
	buffer_load_dword v17, v9, s[0:3], 0 offen offset:4
	ds_read_b128 v[10:13], v8
	v_add_nc_u32_e32 v7, 1, v7
	v_add_nc_u32_e32 v8, 16, v8
	;; [unrolled: 1-line block ×3, first 2 shown]
	v_cmp_lt_u32_e32 vcc_lo, 25, v7
	s_or_b32 s5, vcc_lo, s5
	s_waitcnt vmcnt(2) lgkmcnt(0)
	v_mul_f64 v[18:19], v[12:13], v[14:15]
	v_mul_f64 v[14:15], v[10:11], v[14:15]
	s_waitcnt vmcnt(0)
	v_fma_f64 v[10:11], v[10:11], v[16:17], -v[18:19]
	v_fma_f64 v[12:13], v[12:13], v[16:17], v[14:15]
	v_add_f64 v[3:4], v[3:4], v[10:11]
	v_add_f64 v[1:2], v[1:2], v[12:13]
	s_andn2_b32 exec_lo, exec_lo, s5
	s_cbranch_execnz .LBB59_121
; %bb.122:
	s_or_b32 exec_lo, exec_lo, s5
	v_mov_b32_e32 v7, 0
	ds_read_b128 v[7:10], v7 offset:432
	s_waitcnt lgkmcnt(0)
	v_mul_f64 v[11:12], v[1:2], v[9:10]
	v_mul_f64 v[9:10], v[3:4], v[9:10]
	v_fma_f64 v[3:4], v[3:4], v[7:8], -v[11:12]
	v_fma_f64 v[1:2], v[1:2], v[7:8], v[9:10]
	buffer_store_dword v4, off, s[0:3], 0 offset:452
	buffer_store_dword v3, off, s[0:3], 0 offset:448
	;; [unrolled: 1-line block ×4, first 2 shown]
.LBB59_123:
	s_or_b32 exec_lo, exec_lo, s4
	v_mov_b32_e32 v4, s44
	s_waitcnt_vscnt null, 0x0
	s_barrier
	buffer_gl0_inv
	s_mov_b32 s4, exec_lo
	s_clause 0x3
	buffer_load_dword v1, v4, s[0:3], 0 offen
	buffer_load_dword v2, v4, s[0:3], 0 offen offset:4
	buffer_load_dword v3, v4, s[0:3], 0 offen offset:8
	;; [unrolled: 1-line block ×3, first 2 shown]
	s_waitcnt vmcnt(0)
	ds_write_b128 v5, v[1:4]
	s_waitcnt lgkmcnt(0)
	s_barrier
	buffer_gl0_inv
	v_cmpx_gt_u32_e32 28, v0
	s_cbranch_execz .LBB59_127
; %bb.124:
	v_mov_b32_e32 v1, 0
	v_mov_b32_e32 v3, 0
	v_add_nc_u32_e32 v7, -1, v0
	v_add_nc_u32_e32 v8, 0x3c0, v247
	v_mov_b32_e32 v2, 0
	v_mov_b32_e32 v4, 0
	v_add_nc_u32_e32 v9, 16, v247
	s_mov_b32 s5, 0
	.p2align	6
.LBB59_125:                             ; =>This Inner Loop Header: Depth=1
	s_clause 0x3
	buffer_load_dword v14, v9, s[0:3], 0 offen offset:8
	buffer_load_dword v15, v9, s[0:3], 0 offen offset:12
	buffer_load_dword v16, v9, s[0:3], 0 offen
	buffer_load_dword v17, v9, s[0:3], 0 offen offset:4
	ds_read_b128 v[10:13], v8
	v_add_nc_u32_e32 v7, 1, v7
	v_add_nc_u32_e32 v8, 16, v8
	;; [unrolled: 1-line block ×3, first 2 shown]
	v_cmp_lt_u32_e32 vcc_lo, 26, v7
	s_or_b32 s5, vcc_lo, s5
	s_waitcnt vmcnt(2) lgkmcnt(0)
	v_mul_f64 v[18:19], v[12:13], v[14:15]
	v_mul_f64 v[14:15], v[10:11], v[14:15]
	s_waitcnt vmcnt(0)
	v_fma_f64 v[10:11], v[10:11], v[16:17], -v[18:19]
	v_fma_f64 v[12:13], v[12:13], v[16:17], v[14:15]
	v_add_f64 v[3:4], v[3:4], v[10:11]
	v_add_f64 v[1:2], v[1:2], v[12:13]
	s_andn2_b32 exec_lo, exec_lo, s5
	s_cbranch_execnz .LBB59_125
; %bb.126:
	s_or_b32 exec_lo, exec_lo, s5
	v_mov_b32_e32 v7, 0
	ds_read_b128 v[7:10], v7 offset:448
	s_waitcnt lgkmcnt(0)
	v_mul_f64 v[11:12], v[1:2], v[9:10]
	v_mul_f64 v[9:10], v[3:4], v[9:10]
	v_fma_f64 v[3:4], v[3:4], v[7:8], -v[11:12]
	v_fma_f64 v[1:2], v[1:2], v[7:8], v[9:10]
	buffer_store_dword v4, off, s[0:3], 0 offset:468
	buffer_store_dword v3, off, s[0:3], 0 offset:464
	;; [unrolled: 1-line block ×4, first 2 shown]
.LBB59_127:
	s_or_b32 exec_lo, exec_lo, s4
	v_mov_b32_e32 v4, s43
	s_waitcnt_vscnt null, 0x0
	s_barrier
	buffer_gl0_inv
	s_mov_b32 s4, exec_lo
	s_clause 0x3
	buffer_load_dword v1, v4, s[0:3], 0 offen
	buffer_load_dword v2, v4, s[0:3], 0 offen offset:4
	buffer_load_dword v3, v4, s[0:3], 0 offen offset:8
	;; [unrolled: 1-line block ×3, first 2 shown]
	s_waitcnt vmcnt(0)
	ds_write_b128 v5, v[1:4]
	s_waitcnt lgkmcnt(0)
	s_barrier
	buffer_gl0_inv
	v_cmpx_gt_u32_e32 29, v0
	s_cbranch_execz .LBB59_131
; %bb.128:
	v_mov_b32_e32 v1, 0
	v_mov_b32_e32 v3, 0
	v_add_nc_u32_e32 v7, -1, v0
	v_add_nc_u32_e32 v8, 0x3c0, v247
	v_mov_b32_e32 v2, 0
	v_mov_b32_e32 v4, 0
	v_add_nc_u32_e32 v9, 16, v247
	s_mov_b32 s5, 0
	.p2align	6
.LBB59_129:                             ; =>This Inner Loop Header: Depth=1
	s_clause 0x3
	buffer_load_dword v14, v9, s[0:3], 0 offen offset:8
	buffer_load_dword v15, v9, s[0:3], 0 offen offset:12
	buffer_load_dword v16, v9, s[0:3], 0 offen
	buffer_load_dword v17, v9, s[0:3], 0 offen offset:4
	ds_read_b128 v[10:13], v8
	v_add_nc_u32_e32 v7, 1, v7
	v_add_nc_u32_e32 v8, 16, v8
	;; [unrolled: 1-line block ×3, first 2 shown]
	v_cmp_lt_u32_e32 vcc_lo, 27, v7
	s_or_b32 s5, vcc_lo, s5
	s_waitcnt vmcnt(2) lgkmcnt(0)
	v_mul_f64 v[18:19], v[12:13], v[14:15]
	v_mul_f64 v[14:15], v[10:11], v[14:15]
	s_waitcnt vmcnt(0)
	v_fma_f64 v[10:11], v[10:11], v[16:17], -v[18:19]
	v_fma_f64 v[12:13], v[12:13], v[16:17], v[14:15]
	v_add_f64 v[3:4], v[3:4], v[10:11]
	v_add_f64 v[1:2], v[1:2], v[12:13]
	s_andn2_b32 exec_lo, exec_lo, s5
	s_cbranch_execnz .LBB59_129
; %bb.130:
	s_or_b32 exec_lo, exec_lo, s5
	v_mov_b32_e32 v7, 0
	ds_read_b128 v[7:10], v7 offset:464
	s_waitcnt lgkmcnt(0)
	v_mul_f64 v[11:12], v[1:2], v[9:10]
	v_mul_f64 v[9:10], v[3:4], v[9:10]
	v_fma_f64 v[3:4], v[3:4], v[7:8], -v[11:12]
	v_fma_f64 v[1:2], v[1:2], v[7:8], v[9:10]
	buffer_store_dword v4, off, s[0:3], 0 offset:484
	buffer_store_dword v3, off, s[0:3], 0 offset:480
	;; [unrolled: 1-line block ×4, first 2 shown]
.LBB59_131:
	s_or_b32 exec_lo, exec_lo, s4
	v_mov_b32_e32 v4, s42
	s_waitcnt_vscnt null, 0x0
	s_barrier
	buffer_gl0_inv
	s_mov_b32 s4, exec_lo
	s_clause 0x3
	buffer_load_dword v1, v4, s[0:3], 0 offen
	buffer_load_dword v2, v4, s[0:3], 0 offen offset:4
	buffer_load_dword v3, v4, s[0:3], 0 offen offset:8
	;; [unrolled: 1-line block ×3, first 2 shown]
	s_waitcnt vmcnt(0)
	ds_write_b128 v5, v[1:4]
	s_waitcnt lgkmcnt(0)
	s_barrier
	buffer_gl0_inv
	v_cmpx_gt_u32_e32 30, v0
	s_cbranch_execz .LBB59_135
; %bb.132:
	v_mov_b32_e32 v1, 0
	v_mov_b32_e32 v3, 0
	v_add_nc_u32_e32 v7, -1, v0
	v_add_nc_u32_e32 v8, 0x3c0, v247
	v_mov_b32_e32 v2, 0
	v_mov_b32_e32 v4, 0
	v_add_nc_u32_e32 v9, 16, v247
	s_mov_b32 s5, 0
	.p2align	6
.LBB59_133:                             ; =>This Inner Loop Header: Depth=1
	s_clause 0x3
	buffer_load_dword v14, v9, s[0:3], 0 offen offset:8
	buffer_load_dword v15, v9, s[0:3], 0 offen offset:12
	buffer_load_dword v16, v9, s[0:3], 0 offen
	buffer_load_dword v17, v9, s[0:3], 0 offen offset:4
	ds_read_b128 v[10:13], v8
	v_add_nc_u32_e32 v7, 1, v7
	v_add_nc_u32_e32 v8, 16, v8
	v_add_nc_u32_e32 v9, 16, v9
	v_cmp_lt_u32_e32 vcc_lo, 28, v7
	s_or_b32 s5, vcc_lo, s5
	s_waitcnt vmcnt(2) lgkmcnt(0)
	v_mul_f64 v[18:19], v[12:13], v[14:15]
	v_mul_f64 v[14:15], v[10:11], v[14:15]
	s_waitcnt vmcnt(0)
	v_fma_f64 v[10:11], v[10:11], v[16:17], -v[18:19]
	v_fma_f64 v[12:13], v[12:13], v[16:17], v[14:15]
	v_add_f64 v[3:4], v[3:4], v[10:11]
	v_add_f64 v[1:2], v[1:2], v[12:13]
	s_andn2_b32 exec_lo, exec_lo, s5
	s_cbranch_execnz .LBB59_133
; %bb.134:
	s_or_b32 exec_lo, exec_lo, s5
	v_mov_b32_e32 v7, 0
	ds_read_b128 v[7:10], v7 offset:480
	s_waitcnt lgkmcnt(0)
	v_mul_f64 v[11:12], v[1:2], v[9:10]
	v_mul_f64 v[9:10], v[3:4], v[9:10]
	v_fma_f64 v[3:4], v[3:4], v[7:8], -v[11:12]
	v_fma_f64 v[1:2], v[1:2], v[7:8], v[9:10]
	buffer_store_dword v4, off, s[0:3], 0 offset:500
	buffer_store_dword v3, off, s[0:3], 0 offset:496
	;; [unrolled: 1-line block ×4, first 2 shown]
.LBB59_135:
	s_or_b32 exec_lo, exec_lo, s4
	v_mov_b32_e32 v4, s41
	s_waitcnt_vscnt null, 0x0
	s_barrier
	buffer_gl0_inv
	s_mov_b32 s4, exec_lo
	s_clause 0x3
	buffer_load_dword v1, v4, s[0:3], 0 offen
	buffer_load_dword v2, v4, s[0:3], 0 offen offset:4
	buffer_load_dword v3, v4, s[0:3], 0 offen offset:8
	;; [unrolled: 1-line block ×3, first 2 shown]
	s_waitcnt vmcnt(0)
	ds_write_b128 v5, v[1:4]
	s_waitcnt lgkmcnt(0)
	s_barrier
	buffer_gl0_inv
	v_cmpx_gt_u32_e32 31, v0
	s_cbranch_execz .LBB59_139
; %bb.136:
	v_mov_b32_e32 v1, 0
	v_mov_b32_e32 v3, 0
	v_add_nc_u32_e32 v7, -1, v0
	v_add_nc_u32_e32 v8, 0x3c0, v247
	v_mov_b32_e32 v2, 0
	v_mov_b32_e32 v4, 0
	v_add_nc_u32_e32 v9, 16, v247
	s_mov_b32 s5, 0
	.p2align	6
.LBB59_137:                             ; =>This Inner Loop Header: Depth=1
	s_clause 0x3
	buffer_load_dword v14, v9, s[0:3], 0 offen offset:8
	buffer_load_dword v15, v9, s[0:3], 0 offen offset:12
	buffer_load_dword v16, v9, s[0:3], 0 offen
	buffer_load_dword v17, v9, s[0:3], 0 offen offset:4
	ds_read_b128 v[10:13], v8
	v_add_nc_u32_e32 v7, 1, v7
	v_add_nc_u32_e32 v8, 16, v8
	;; [unrolled: 1-line block ×3, first 2 shown]
	v_cmp_lt_u32_e32 vcc_lo, 29, v7
	s_or_b32 s5, vcc_lo, s5
	s_waitcnt vmcnt(2) lgkmcnt(0)
	v_mul_f64 v[18:19], v[12:13], v[14:15]
	v_mul_f64 v[14:15], v[10:11], v[14:15]
	s_waitcnt vmcnt(0)
	v_fma_f64 v[10:11], v[10:11], v[16:17], -v[18:19]
	v_fma_f64 v[12:13], v[12:13], v[16:17], v[14:15]
	v_add_f64 v[3:4], v[3:4], v[10:11]
	v_add_f64 v[1:2], v[1:2], v[12:13]
	s_andn2_b32 exec_lo, exec_lo, s5
	s_cbranch_execnz .LBB59_137
; %bb.138:
	s_or_b32 exec_lo, exec_lo, s5
	v_mov_b32_e32 v7, 0
	ds_read_b128 v[7:10], v7 offset:496
	s_waitcnt lgkmcnt(0)
	v_mul_f64 v[11:12], v[1:2], v[9:10]
	v_mul_f64 v[9:10], v[3:4], v[9:10]
	v_fma_f64 v[3:4], v[3:4], v[7:8], -v[11:12]
	v_fma_f64 v[1:2], v[1:2], v[7:8], v[9:10]
	buffer_store_dword v4, off, s[0:3], 0 offset:516
	buffer_store_dword v3, off, s[0:3], 0 offset:512
	;; [unrolled: 1-line block ×4, first 2 shown]
.LBB59_139:
	s_or_b32 exec_lo, exec_lo, s4
	v_mov_b32_e32 v4, s40
	s_waitcnt_vscnt null, 0x0
	s_barrier
	buffer_gl0_inv
	s_mov_b32 s4, exec_lo
	s_clause 0x3
	buffer_load_dword v1, v4, s[0:3], 0 offen
	buffer_load_dword v2, v4, s[0:3], 0 offen offset:4
	buffer_load_dword v3, v4, s[0:3], 0 offen offset:8
	buffer_load_dword v4, v4, s[0:3], 0 offen offset:12
	s_waitcnt vmcnt(0)
	ds_write_b128 v5, v[1:4]
	s_waitcnt lgkmcnt(0)
	s_barrier
	buffer_gl0_inv
	v_cmpx_gt_u32_e32 32, v0
	s_cbranch_execz .LBB59_143
; %bb.140:
	v_mov_b32_e32 v1, 0
	v_mov_b32_e32 v3, 0
	v_add_nc_u32_e32 v7, -1, v0
	v_add_nc_u32_e32 v8, 0x3c0, v247
	v_mov_b32_e32 v2, 0
	v_mov_b32_e32 v4, 0
	v_add_nc_u32_e32 v9, 16, v247
	s_mov_b32 s5, 0
	.p2align	6
.LBB59_141:                             ; =>This Inner Loop Header: Depth=1
	s_clause 0x3
	buffer_load_dword v14, v9, s[0:3], 0 offen offset:8
	buffer_load_dword v15, v9, s[0:3], 0 offen offset:12
	buffer_load_dword v16, v9, s[0:3], 0 offen
	buffer_load_dword v17, v9, s[0:3], 0 offen offset:4
	ds_read_b128 v[10:13], v8
	v_add_nc_u32_e32 v7, 1, v7
	v_add_nc_u32_e32 v8, 16, v8
	;; [unrolled: 1-line block ×3, first 2 shown]
	v_cmp_lt_u32_e32 vcc_lo, 30, v7
	s_or_b32 s5, vcc_lo, s5
	s_waitcnt vmcnt(2) lgkmcnt(0)
	v_mul_f64 v[18:19], v[12:13], v[14:15]
	v_mul_f64 v[14:15], v[10:11], v[14:15]
	s_waitcnt vmcnt(0)
	v_fma_f64 v[10:11], v[10:11], v[16:17], -v[18:19]
	v_fma_f64 v[12:13], v[12:13], v[16:17], v[14:15]
	v_add_f64 v[3:4], v[3:4], v[10:11]
	v_add_f64 v[1:2], v[1:2], v[12:13]
	s_andn2_b32 exec_lo, exec_lo, s5
	s_cbranch_execnz .LBB59_141
; %bb.142:
	s_or_b32 exec_lo, exec_lo, s5
	v_mov_b32_e32 v7, 0
	ds_read_b128 v[7:10], v7 offset:512
	s_waitcnt lgkmcnt(0)
	v_mul_f64 v[11:12], v[1:2], v[9:10]
	v_mul_f64 v[9:10], v[3:4], v[9:10]
	v_fma_f64 v[3:4], v[3:4], v[7:8], -v[11:12]
	v_fma_f64 v[1:2], v[1:2], v[7:8], v[9:10]
	buffer_store_dword v4, off, s[0:3], 0 offset:532
	buffer_store_dword v3, off, s[0:3], 0 offset:528
	;; [unrolled: 1-line block ×4, first 2 shown]
.LBB59_143:
	s_or_b32 exec_lo, exec_lo, s4
	v_mov_b32_e32 v4, s39
	s_waitcnt_vscnt null, 0x0
	s_barrier
	buffer_gl0_inv
	s_mov_b32 s4, exec_lo
	s_clause 0x3
	buffer_load_dword v1, v4, s[0:3], 0 offen
	buffer_load_dword v2, v4, s[0:3], 0 offen offset:4
	buffer_load_dword v3, v4, s[0:3], 0 offen offset:8
	;; [unrolled: 1-line block ×3, first 2 shown]
	s_waitcnt vmcnt(0)
	ds_write_b128 v5, v[1:4]
	s_waitcnt lgkmcnt(0)
	s_barrier
	buffer_gl0_inv
	v_cmpx_gt_u32_e32 33, v0
	s_cbranch_execz .LBB59_147
; %bb.144:
	v_mov_b32_e32 v1, 0
	v_mov_b32_e32 v3, 0
	v_add_nc_u32_e32 v7, -1, v0
	v_add_nc_u32_e32 v8, 0x3c0, v247
	v_mov_b32_e32 v2, 0
	v_mov_b32_e32 v4, 0
	v_add_nc_u32_e32 v9, 16, v247
	s_mov_b32 s5, 0
	.p2align	6
.LBB59_145:                             ; =>This Inner Loop Header: Depth=1
	s_clause 0x3
	buffer_load_dword v14, v9, s[0:3], 0 offen offset:8
	buffer_load_dword v15, v9, s[0:3], 0 offen offset:12
	buffer_load_dword v16, v9, s[0:3], 0 offen
	buffer_load_dword v17, v9, s[0:3], 0 offen offset:4
	ds_read_b128 v[10:13], v8
	v_add_nc_u32_e32 v7, 1, v7
	v_add_nc_u32_e32 v8, 16, v8
	;; [unrolled: 1-line block ×3, first 2 shown]
	v_cmp_lt_u32_e32 vcc_lo, 31, v7
	s_or_b32 s5, vcc_lo, s5
	s_waitcnt vmcnt(2) lgkmcnt(0)
	v_mul_f64 v[18:19], v[12:13], v[14:15]
	v_mul_f64 v[14:15], v[10:11], v[14:15]
	s_waitcnt vmcnt(0)
	v_fma_f64 v[10:11], v[10:11], v[16:17], -v[18:19]
	v_fma_f64 v[12:13], v[12:13], v[16:17], v[14:15]
	v_add_f64 v[3:4], v[3:4], v[10:11]
	v_add_f64 v[1:2], v[1:2], v[12:13]
	s_andn2_b32 exec_lo, exec_lo, s5
	s_cbranch_execnz .LBB59_145
; %bb.146:
	s_or_b32 exec_lo, exec_lo, s5
	v_mov_b32_e32 v7, 0
	ds_read_b128 v[7:10], v7 offset:528
	s_waitcnt lgkmcnt(0)
	v_mul_f64 v[11:12], v[1:2], v[9:10]
	v_mul_f64 v[9:10], v[3:4], v[9:10]
	v_fma_f64 v[3:4], v[3:4], v[7:8], -v[11:12]
	v_fma_f64 v[1:2], v[1:2], v[7:8], v[9:10]
	buffer_store_dword v4, off, s[0:3], 0 offset:548
	buffer_store_dword v3, off, s[0:3], 0 offset:544
	;; [unrolled: 1-line block ×4, first 2 shown]
.LBB59_147:
	s_or_b32 exec_lo, exec_lo, s4
	v_mov_b32_e32 v4, s38
	s_waitcnt_vscnt null, 0x0
	s_barrier
	buffer_gl0_inv
	s_mov_b32 s4, exec_lo
	s_clause 0x3
	buffer_load_dword v1, v4, s[0:3], 0 offen
	buffer_load_dword v2, v4, s[0:3], 0 offen offset:4
	buffer_load_dword v3, v4, s[0:3], 0 offen offset:8
	;; [unrolled: 1-line block ×3, first 2 shown]
	s_waitcnt vmcnt(0)
	ds_write_b128 v5, v[1:4]
	s_waitcnt lgkmcnt(0)
	s_barrier
	buffer_gl0_inv
	v_cmpx_gt_u32_e32 34, v0
	s_cbranch_execz .LBB59_151
; %bb.148:
	v_mov_b32_e32 v1, 0
	v_mov_b32_e32 v3, 0
	v_add_nc_u32_e32 v7, -1, v0
	v_add_nc_u32_e32 v8, 0x3c0, v247
	v_mov_b32_e32 v2, 0
	v_mov_b32_e32 v4, 0
	v_add_nc_u32_e32 v9, 16, v247
	s_mov_b32 s5, 0
	.p2align	6
.LBB59_149:                             ; =>This Inner Loop Header: Depth=1
	s_clause 0x3
	buffer_load_dword v14, v9, s[0:3], 0 offen offset:8
	buffer_load_dword v15, v9, s[0:3], 0 offen offset:12
	buffer_load_dword v16, v9, s[0:3], 0 offen
	buffer_load_dword v17, v9, s[0:3], 0 offen offset:4
	ds_read_b128 v[10:13], v8
	v_add_nc_u32_e32 v7, 1, v7
	v_add_nc_u32_e32 v8, 16, v8
	;; [unrolled: 1-line block ×3, first 2 shown]
	v_cmp_lt_u32_e32 vcc_lo, 32, v7
	s_or_b32 s5, vcc_lo, s5
	s_waitcnt vmcnt(2) lgkmcnt(0)
	v_mul_f64 v[18:19], v[12:13], v[14:15]
	v_mul_f64 v[14:15], v[10:11], v[14:15]
	s_waitcnt vmcnt(0)
	v_fma_f64 v[10:11], v[10:11], v[16:17], -v[18:19]
	v_fma_f64 v[12:13], v[12:13], v[16:17], v[14:15]
	v_add_f64 v[3:4], v[3:4], v[10:11]
	v_add_f64 v[1:2], v[1:2], v[12:13]
	s_andn2_b32 exec_lo, exec_lo, s5
	s_cbranch_execnz .LBB59_149
; %bb.150:
	s_or_b32 exec_lo, exec_lo, s5
	v_mov_b32_e32 v7, 0
	ds_read_b128 v[7:10], v7 offset:544
	s_waitcnt lgkmcnt(0)
	v_mul_f64 v[11:12], v[1:2], v[9:10]
	v_mul_f64 v[9:10], v[3:4], v[9:10]
	v_fma_f64 v[3:4], v[3:4], v[7:8], -v[11:12]
	v_fma_f64 v[1:2], v[1:2], v[7:8], v[9:10]
	buffer_store_dword v4, off, s[0:3], 0 offset:564
	buffer_store_dword v3, off, s[0:3], 0 offset:560
	;; [unrolled: 1-line block ×4, first 2 shown]
.LBB59_151:
	s_or_b32 exec_lo, exec_lo, s4
	v_mov_b32_e32 v4, s37
	s_waitcnt_vscnt null, 0x0
	s_barrier
	buffer_gl0_inv
	s_mov_b32 s4, exec_lo
	s_clause 0x3
	buffer_load_dword v1, v4, s[0:3], 0 offen
	buffer_load_dword v2, v4, s[0:3], 0 offen offset:4
	buffer_load_dword v3, v4, s[0:3], 0 offen offset:8
	;; [unrolled: 1-line block ×3, first 2 shown]
	s_waitcnt vmcnt(0)
	ds_write_b128 v5, v[1:4]
	s_waitcnt lgkmcnt(0)
	s_barrier
	buffer_gl0_inv
	v_cmpx_gt_u32_e32 35, v0
	s_cbranch_execz .LBB59_155
; %bb.152:
	v_mov_b32_e32 v1, 0
	v_mov_b32_e32 v3, 0
	v_add_nc_u32_e32 v7, -1, v0
	v_add_nc_u32_e32 v8, 0x3c0, v247
	v_mov_b32_e32 v2, 0
	v_mov_b32_e32 v4, 0
	v_add_nc_u32_e32 v9, 16, v247
	s_mov_b32 s5, 0
	.p2align	6
.LBB59_153:                             ; =>This Inner Loop Header: Depth=1
	s_clause 0x3
	buffer_load_dword v14, v9, s[0:3], 0 offen offset:8
	buffer_load_dword v15, v9, s[0:3], 0 offen offset:12
	buffer_load_dword v16, v9, s[0:3], 0 offen
	buffer_load_dword v17, v9, s[0:3], 0 offen offset:4
	ds_read_b128 v[10:13], v8
	v_add_nc_u32_e32 v7, 1, v7
	v_add_nc_u32_e32 v8, 16, v8
	v_add_nc_u32_e32 v9, 16, v9
	v_cmp_lt_u32_e32 vcc_lo, 33, v7
	s_or_b32 s5, vcc_lo, s5
	s_waitcnt vmcnt(2) lgkmcnt(0)
	v_mul_f64 v[18:19], v[12:13], v[14:15]
	v_mul_f64 v[14:15], v[10:11], v[14:15]
	s_waitcnt vmcnt(0)
	v_fma_f64 v[10:11], v[10:11], v[16:17], -v[18:19]
	v_fma_f64 v[12:13], v[12:13], v[16:17], v[14:15]
	v_add_f64 v[3:4], v[3:4], v[10:11]
	v_add_f64 v[1:2], v[1:2], v[12:13]
	s_andn2_b32 exec_lo, exec_lo, s5
	s_cbranch_execnz .LBB59_153
; %bb.154:
	s_or_b32 exec_lo, exec_lo, s5
	v_mov_b32_e32 v7, 0
	ds_read_b128 v[7:10], v7 offset:560
	s_waitcnt lgkmcnt(0)
	v_mul_f64 v[11:12], v[1:2], v[9:10]
	v_mul_f64 v[9:10], v[3:4], v[9:10]
	v_fma_f64 v[3:4], v[3:4], v[7:8], -v[11:12]
	v_fma_f64 v[1:2], v[1:2], v[7:8], v[9:10]
	buffer_store_dword v4, off, s[0:3], 0 offset:580
	buffer_store_dword v3, off, s[0:3], 0 offset:576
	;; [unrolled: 1-line block ×4, first 2 shown]
.LBB59_155:
	s_or_b32 exec_lo, exec_lo, s4
	v_mov_b32_e32 v4, s36
	s_waitcnt_vscnt null, 0x0
	s_barrier
	buffer_gl0_inv
	s_mov_b32 s4, exec_lo
	s_clause 0x3
	buffer_load_dword v1, v4, s[0:3], 0 offen
	buffer_load_dword v2, v4, s[0:3], 0 offen offset:4
	buffer_load_dword v3, v4, s[0:3], 0 offen offset:8
	buffer_load_dword v4, v4, s[0:3], 0 offen offset:12
	s_waitcnt vmcnt(0)
	ds_write_b128 v5, v[1:4]
	s_waitcnt lgkmcnt(0)
	s_barrier
	buffer_gl0_inv
	v_cmpx_gt_u32_e32 36, v0
	s_cbranch_execz .LBB59_159
; %bb.156:
	v_mov_b32_e32 v1, 0
	v_mov_b32_e32 v3, 0
	v_add_nc_u32_e32 v7, -1, v0
	v_add_nc_u32_e32 v8, 0x3c0, v247
	v_mov_b32_e32 v2, 0
	v_mov_b32_e32 v4, 0
	v_add_nc_u32_e32 v9, 16, v247
	s_mov_b32 s5, 0
	.p2align	6
.LBB59_157:                             ; =>This Inner Loop Header: Depth=1
	s_clause 0x3
	buffer_load_dword v14, v9, s[0:3], 0 offen offset:8
	buffer_load_dword v15, v9, s[0:3], 0 offen offset:12
	buffer_load_dword v16, v9, s[0:3], 0 offen
	buffer_load_dword v17, v9, s[0:3], 0 offen offset:4
	ds_read_b128 v[10:13], v8
	v_add_nc_u32_e32 v7, 1, v7
	v_add_nc_u32_e32 v8, 16, v8
	v_add_nc_u32_e32 v9, 16, v9
	v_cmp_lt_u32_e32 vcc_lo, 34, v7
	s_or_b32 s5, vcc_lo, s5
	s_waitcnt vmcnt(2) lgkmcnt(0)
	v_mul_f64 v[18:19], v[12:13], v[14:15]
	v_mul_f64 v[14:15], v[10:11], v[14:15]
	s_waitcnt vmcnt(0)
	v_fma_f64 v[10:11], v[10:11], v[16:17], -v[18:19]
	v_fma_f64 v[12:13], v[12:13], v[16:17], v[14:15]
	v_add_f64 v[3:4], v[3:4], v[10:11]
	v_add_f64 v[1:2], v[1:2], v[12:13]
	s_andn2_b32 exec_lo, exec_lo, s5
	s_cbranch_execnz .LBB59_157
; %bb.158:
	s_or_b32 exec_lo, exec_lo, s5
	v_mov_b32_e32 v7, 0
	ds_read_b128 v[7:10], v7 offset:576
	s_waitcnt lgkmcnt(0)
	v_mul_f64 v[11:12], v[1:2], v[9:10]
	v_mul_f64 v[9:10], v[3:4], v[9:10]
	v_fma_f64 v[3:4], v[3:4], v[7:8], -v[11:12]
	v_fma_f64 v[1:2], v[1:2], v[7:8], v[9:10]
	buffer_store_dword v4, off, s[0:3], 0 offset:596
	buffer_store_dword v3, off, s[0:3], 0 offset:592
	buffer_store_dword v2, off, s[0:3], 0 offset:604
	buffer_store_dword v1, off, s[0:3], 0 offset:600
.LBB59_159:
	s_or_b32 exec_lo, exec_lo, s4
	v_mov_b32_e32 v4, s35
	s_waitcnt_vscnt null, 0x0
	s_barrier
	buffer_gl0_inv
	s_mov_b32 s4, exec_lo
	s_clause 0x3
	buffer_load_dword v1, v4, s[0:3], 0 offen
	buffer_load_dword v2, v4, s[0:3], 0 offen offset:4
	buffer_load_dword v3, v4, s[0:3], 0 offen offset:8
	;; [unrolled: 1-line block ×3, first 2 shown]
	s_waitcnt vmcnt(0)
	ds_write_b128 v5, v[1:4]
	s_waitcnt lgkmcnt(0)
	s_barrier
	buffer_gl0_inv
	v_cmpx_gt_u32_e32 37, v0
	s_cbranch_execz .LBB59_163
; %bb.160:
	v_mov_b32_e32 v1, 0
	v_mov_b32_e32 v3, 0
	v_add_nc_u32_e32 v7, -1, v0
	v_add_nc_u32_e32 v8, 0x3c0, v247
	v_mov_b32_e32 v2, 0
	v_mov_b32_e32 v4, 0
	v_add_nc_u32_e32 v9, 16, v247
	s_mov_b32 s5, 0
	.p2align	6
.LBB59_161:                             ; =>This Inner Loop Header: Depth=1
	s_clause 0x3
	buffer_load_dword v14, v9, s[0:3], 0 offen offset:8
	buffer_load_dword v15, v9, s[0:3], 0 offen offset:12
	buffer_load_dword v16, v9, s[0:3], 0 offen
	buffer_load_dword v17, v9, s[0:3], 0 offen offset:4
	ds_read_b128 v[10:13], v8
	v_add_nc_u32_e32 v7, 1, v7
	v_add_nc_u32_e32 v8, 16, v8
	v_add_nc_u32_e32 v9, 16, v9
	v_cmp_lt_u32_e32 vcc_lo, 35, v7
	s_or_b32 s5, vcc_lo, s5
	s_waitcnt vmcnt(2) lgkmcnt(0)
	v_mul_f64 v[18:19], v[12:13], v[14:15]
	v_mul_f64 v[14:15], v[10:11], v[14:15]
	s_waitcnt vmcnt(0)
	v_fma_f64 v[10:11], v[10:11], v[16:17], -v[18:19]
	v_fma_f64 v[12:13], v[12:13], v[16:17], v[14:15]
	v_add_f64 v[3:4], v[3:4], v[10:11]
	v_add_f64 v[1:2], v[1:2], v[12:13]
	s_andn2_b32 exec_lo, exec_lo, s5
	s_cbranch_execnz .LBB59_161
; %bb.162:
	s_or_b32 exec_lo, exec_lo, s5
	v_mov_b32_e32 v7, 0
	ds_read_b128 v[7:10], v7 offset:592
	s_waitcnt lgkmcnt(0)
	v_mul_f64 v[11:12], v[1:2], v[9:10]
	v_mul_f64 v[9:10], v[3:4], v[9:10]
	v_fma_f64 v[3:4], v[3:4], v[7:8], -v[11:12]
	v_fma_f64 v[1:2], v[1:2], v[7:8], v[9:10]
	buffer_store_dword v4, off, s[0:3], 0 offset:612
	buffer_store_dword v3, off, s[0:3], 0 offset:608
	buffer_store_dword v2, off, s[0:3], 0 offset:620
	buffer_store_dword v1, off, s[0:3], 0 offset:616
.LBB59_163:
	s_or_b32 exec_lo, exec_lo, s4
	v_mov_b32_e32 v4, s34
	s_waitcnt_vscnt null, 0x0
	s_barrier
	buffer_gl0_inv
	s_mov_b32 s4, exec_lo
	s_clause 0x3
	buffer_load_dword v1, v4, s[0:3], 0 offen
	buffer_load_dword v2, v4, s[0:3], 0 offen offset:4
	buffer_load_dword v3, v4, s[0:3], 0 offen offset:8
	;; [unrolled: 1-line block ×3, first 2 shown]
	s_waitcnt vmcnt(0)
	ds_write_b128 v5, v[1:4]
	s_waitcnt lgkmcnt(0)
	s_barrier
	buffer_gl0_inv
	v_cmpx_gt_u32_e32 38, v0
	s_cbranch_execz .LBB59_167
; %bb.164:
	v_mov_b32_e32 v1, 0
	v_mov_b32_e32 v3, 0
	v_add_nc_u32_e32 v7, -1, v0
	v_add_nc_u32_e32 v8, 0x3c0, v247
	v_mov_b32_e32 v2, 0
	v_mov_b32_e32 v4, 0
	v_add_nc_u32_e32 v9, 16, v247
	s_mov_b32 s5, 0
	.p2align	6
.LBB59_165:                             ; =>This Inner Loop Header: Depth=1
	s_clause 0x3
	buffer_load_dword v14, v9, s[0:3], 0 offen offset:8
	buffer_load_dword v15, v9, s[0:3], 0 offen offset:12
	buffer_load_dword v16, v9, s[0:3], 0 offen
	buffer_load_dword v17, v9, s[0:3], 0 offen offset:4
	ds_read_b128 v[10:13], v8
	v_add_nc_u32_e32 v7, 1, v7
	v_add_nc_u32_e32 v8, 16, v8
	;; [unrolled: 1-line block ×3, first 2 shown]
	v_cmp_lt_u32_e32 vcc_lo, 36, v7
	s_or_b32 s5, vcc_lo, s5
	s_waitcnt vmcnt(2) lgkmcnt(0)
	v_mul_f64 v[18:19], v[12:13], v[14:15]
	v_mul_f64 v[14:15], v[10:11], v[14:15]
	s_waitcnt vmcnt(0)
	v_fma_f64 v[10:11], v[10:11], v[16:17], -v[18:19]
	v_fma_f64 v[12:13], v[12:13], v[16:17], v[14:15]
	v_add_f64 v[3:4], v[3:4], v[10:11]
	v_add_f64 v[1:2], v[1:2], v[12:13]
	s_andn2_b32 exec_lo, exec_lo, s5
	s_cbranch_execnz .LBB59_165
; %bb.166:
	s_or_b32 exec_lo, exec_lo, s5
	v_mov_b32_e32 v7, 0
	ds_read_b128 v[7:10], v7 offset:608
	s_waitcnt lgkmcnt(0)
	v_mul_f64 v[11:12], v[1:2], v[9:10]
	v_mul_f64 v[9:10], v[3:4], v[9:10]
	v_fma_f64 v[3:4], v[3:4], v[7:8], -v[11:12]
	v_fma_f64 v[1:2], v[1:2], v[7:8], v[9:10]
	buffer_store_dword v4, off, s[0:3], 0 offset:628
	buffer_store_dword v3, off, s[0:3], 0 offset:624
	;; [unrolled: 1-line block ×4, first 2 shown]
.LBB59_167:
	s_or_b32 exec_lo, exec_lo, s4
	v_mov_b32_e32 v4, s33
	s_waitcnt_vscnt null, 0x0
	s_barrier
	buffer_gl0_inv
	s_mov_b32 s4, exec_lo
	s_clause 0x3
	buffer_load_dword v1, v4, s[0:3], 0 offen
	buffer_load_dword v2, v4, s[0:3], 0 offen offset:4
	buffer_load_dword v3, v4, s[0:3], 0 offen offset:8
	;; [unrolled: 1-line block ×3, first 2 shown]
	s_waitcnt vmcnt(0)
	ds_write_b128 v5, v[1:4]
	s_waitcnt lgkmcnt(0)
	s_barrier
	buffer_gl0_inv
	v_cmpx_gt_u32_e32 39, v0
	s_cbranch_execz .LBB59_171
; %bb.168:
	v_mov_b32_e32 v1, 0
	v_mov_b32_e32 v3, 0
	v_add_nc_u32_e32 v7, -1, v0
	v_add_nc_u32_e32 v8, 0x3c0, v247
	v_mov_b32_e32 v2, 0
	v_mov_b32_e32 v4, 0
	v_add_nc_u32_e32 v9, 16, v247
	s_mov_b32 s5, 0
	.p2align	6
.LBB59_169:                             ; =>This Inner Loop Header: Depth=1
	s_clause 0x3
	buffer_load_dword v14, v9, s[0:3], 0 offen offset:8
	buffer_load_dword v15, v9, s[0:3], 0 offen offset:12
	buffer_load_dword v16, v9, s[0:3], 0 offen
	buffer_load_dword v17, v9, s[0:3], 0 offen offset:4
	ds_read_b128 v[10:13], v8
	v_add_nc_u32_e32 v7, 1, v7
	v_add_nc_u32_e32 v8, 16, v8
	;; [unrolled: 1-line block ×3, first 2 shown]
	v_cmp_lt_u32_e32 vcc_lo, 37, v7
	s_or_b32 s5, vcc_lo, s5
	s_waitcnt vmcnt(2) lgkmcnt(0)
	v_mul_f64 v[18:19], v[12:13], v[14:15]
	v_mul_f64 v[14:15], v[10:11], v[14:15]
	s_waitcnt vmcnt(0)
	v_fma_f64 v[10:11], v[10:11], v[16:17], -v[18:19]
	v_fma_f64 v[12:13], v[12:13], v[16:17], v[14:15]
	v_add_f64 v[3:4], v[3:4], v[10:11]
	v_add_f64 v[1:2], v[1:2], v[12:13]
	s_andn2_b32 exec_lo, exec_lo, s5
	s_cbranch_execnz .LBB59_169
; %bb.170:
	s_or_b32 exec_lo, exec_lo, s5
	v_mov_b32_e32 v7, 0
	ds_read_b128 v[7:10], v7 offset:624
	s_waitcnt lgkmcnt(0)
	v_mul_f64 v[11:12], v[1:2], v[9:10]
	v_mul_f64 v[9:10], v[3:4], v[9:10]
	v_fma_f64 v[3:4], v[3:4], v[7:8], -v[11:12]
	v_fma_f64 v[1:2], v[1:2], v[7:8], v[9:10]
	buffer_store_dword v4, off, s[0:3], 0 offset:644
	buffer_store_dword v3, off, s[0:3], 0 offset:640
	;; [unrolled: 1-line block ×4, first 2 shown]
.LBB59_171:
	s_or_b32 exec_lo, exec_lo, s4
	v_mov_b32_e32 v4, s31
	s_waitcnt_vscnt null, 0x0
	s_barrier
	buffer_gl0_inv
	s_mov_b32 s4, exec_lo
	s_clause 0x3
	buffer_load_dword v1, v4, s[0:3], 0 offen
	buffer_load_dword v2, v4, s[0:3], 0 offen offset:4
	buffer_load_dword v3, v4, s[0:3], 0 offen offset:8
	buffer_load_dword v4, v4, s[0:3], 0 offen offset:12
	s_waitcnt vmcnt(0)
	ds_write_b128 v5, v[1:4]
	s_waitcnt lgkmcnt(0)
	s_barrier
	buffer_gl0_inv
	v_cmpx_gt_u32_e32 40, v0
	s_cbranch_execz .LBB59_175
; %bb.172:
	v_mov_b32_e32 v1, 0
	v_mov_b32_e32 v3, 0
	v_add_nc_u32_e32 v7, -1, v0
	v_add_nc_u32_e32 v8, 0x3c0, v247
	v_mov_b32_e32 v2, 0
	v_mov_b32_e32 v4, 0
	v_add_nc_u32_e32 v9, 16, v247
	s_mov_b32 s5, 0
	.p2align	6
.LBB59_173:                             ; =>This Inner Loop Header: Depth=1
	s_clause 0x3
	buffer_load_dword v14, v9, s[0:3], 0 offen offset:8
	buffer_load_dword v15, v9, s[0:3], 0 offen offset:12
	buffer_load_dword v16, v9, s[0:3], 0 offen
	buffer_load_dword v17, v9, s[0:3], 0 offen offset:4
	ds_read_b128 v[10:13], v8
	v_add_nc_u32_e32 v7, 1, v7
	v_add_nc_u32_e32 v8, 16, v8
	;; [unrolled: 1-line block ×3, first 2 shown]
	v_cmp_lt_u32_e32 vcc_lo, 38, v7
	s_or_b32 s5, vcc_lo, s5
	s_waitcnt vmcnt(2) lgkmcnt(0)
	v_mul_f64 v[18:19], v[12:13], v[14:15]
	v_mul_f64 v[14:15], v[10:11], v[14:15]
	s_waitcnt vmcnt(0)
	v_fma_f64 v[10:11], v[10:11], v[16:17], -v[18:19]
	v_fma_f64 v[12:13], v[12:13], v[16:17], v[14:15]
	v_add_f64 v[3:4], v[3:4], v[10:11]
	v_add_f64 v[1:2], v[1:2], v[12:13]
	s_andn2_b32 exec_lo, exec_lo, s5
	s_cbranch_execnz .LBB59_173
; %bb.174:
	s_or_b32 exec_lo, exec_lo, s5
	v_mov_b32_e32 v7, 0
	ds_read_b128 v[7:10], v7 offset:640
	s_waitcnt lgkmcnt(0)
	v_mul_f64 v[11:12], v[1:2], v[9:10]
	v_mul_f64 v[9:10], v[3:4], v[9:10]
	v_fma_f64 v[3:4], v[3:4], v[7:8], -v[11:12]
	v_fma_f64 v[1:2], v[1:2], v[7:8], v[9:10]
	buffer_store_dword v4, off, s[0:3], 0 offset:660
	buffer_store_dword v3, off, s[0:3], 0 offset:656
	;; [unrolled: 1-line block ×4, first 2 shown]
.LBB59_175:
	s_or_b32 exec_lo, exec_lo, s4
	v_mov_b32_e32 v4, s30
	s_waitcnt_vscnt null, 0x0
	s_barrier
	buffer_gl0_inv
	s_mov_b32 s4, exec_lo
	s_clause 0x3
	buffer_load_dword v1, v4, s[0:3], 0 offen
	buffer_load_dword v2, v4, s[0:3], 0 offen offset:4
	buffer_load_dword v3, v4, s[0:3], 0 offen offset:8
	;; [unrolled: 1-line block ×3, first 2 shown]
	s_waitcnt vmcnt(0)
	ds_write_b128 v5, v[1:4]
	s_waitcnt lgkmcnt(0)
	s_barrier
	buffer_gl0_inv
	v_cmpx_gt_u32_e32 41, v0
	s_cbranch_execz .LBB59_179
; %bb.176:
	v_mov_b32_e32 v1, 0
	v_mov_b32_e32 v3, 0
	v_add_nc_u32_e32 v7, -1, v0
	v_add_nc_u32_e32 v8, 0x3c0, v247
	v_mov_b32_e32 v2, 0
	v_mov_b32_e32 v4, 0
	v_add_nc_u32_e32 v9, 16, v247
	s_mov_b32 s5, 0
	.p2align	6
.LBB59_177:                             ; =>This Inner Loop Header: Depth=1
	s_clause 0x3
	buffer_load_dword v14, v9, s[0:3], 0 offen offset:8
	buffer_load_dword v15, v9, s[0:3], 0 offen offset:12
	buffer_load_dword v16, v9, s[0:3], 0 offen
	buffer_load_dword v17, v9, s[0:3], 0 offen offset:4
	ds_read_b128 v[10:13], v8
	v_add_nc_u32_e32 v7, 1, v7
	v_add_nc_u32_e32 v8, 16, v8
	;; [unrolled: 1-line block ×3, first 2 shown]
	v_cmp_lt_u32_e32 vcc_lo, 39, v7
	s_or_b32 s5, vcc_lo, s5
	s_waitcnt vmcnt(2) lgkmcnt(0)
	v_mul_f64 v[18:19], v[12:13], v[14:15]
	v_mul_f64 v[14:15], v[10:11], v[14:15]
	s_waitcnt vmcnt(0)
	v_fma_f64 v[10:11], v[10:11], v[16:17], -v[18:19]
	v_fma_f64 v[12:13], v[12:13], v[16:17], v[14:15]
	v_add_f64 v[3:4], v[3:4], v[10:11]
	v_add_f64 v[1:2], v[1:2], v[12:13]
	s_andn2_b32 exec_lo, exec_lo, s5
	s_cbranch_execnz .LBB59_177
; %bb.178:
	s_or_b32 exec_lo, exec_lo, s5
	v_mov_b32_e32 v7, 0
	ds_read_b128 v[7:10], v7 offset:656
	s_waitcnt lgkmcnt(0)
	v_mul_f64 v[11:12], v[1:2], v[9:10]
	v_mul_f64 v[9:10], v[3:4], v[9:10]
	v_fma_f64 v[3:4], v[3:4], v[7:8], -v[11:12]
	v_fma_f64 v[1:2], v[1:2], v[7:8], v[9:10]
	buffer_store_dword v4, off, s[0:3], 0 offset:676
	buffer_store_dword v3, off, s[0:3], 0 offset:672
	;; [unrolled: 1-line block ×4, first 2 shown]
.LBB59_179:
	s_or_b32 exec_lo, exec_lo, s4
	v_mov_b32_e32 v4, s29
	s_waitcnt_vscnt null, 0x0
	s_barrier
	buffer_gl0_inv
	s_mov_b32 s4, exec_lo
	s_clause 0x3
	buffer_load_dword v1, v4, s[0:3], 0 offen
	buffer_load_dword v2, v4, s[0:3], 0 offen offset:4
	buffer_load_dword v3, v4, s[0:3], 0 offen offset:8
	;; [unrolled: 1-line block ×3, first 2 shown]
	s_waitcnt vmcnt(0)
	ds_write_b128 v5, v[1:4]
	s_waitcnt lgkmcnt(0)
	s_barrier
	buffer_gl0_inv
	v_cmpx_gt_u32_e32 42, v0
	s_cbranch_execz .LBB59_183
; %bb.180:
	v_mov_b32_e32 v1, 0
	v_mov_b32_e32 v3, 0
	v_add_nc_u32_e32 v7, -1, v0
	v_add_nc_u32_e32 v8, 0x3c0, v247
	v_mov_b32_e32 v2, 0
	v_mov_b32_e32 v4, 0
	v_add_nc_u32_e32 v9, 16, v247
	s_mov_b32 s5, 0
	.p2align	6
.LBB59_181:                             ; =>This Inner Loop Header: Depth=1
	s_clause 0x3
	buffer_load_dword v14, v9, s[0:3], 0 offen offset:8
	buffer_load_dword v15, v9, s[0:3], 0 offen offset:12
	buffer_load_dword v16, v9, s[0:3], 0 offen
	buffer_load_dword v17, v9, s[0:3], 0 offen offset:4
	ds_read_b128 v[10:13], v8
	v_add_nc_u32_e32 v7, 1, v7
	v_add_nc_u32_e32 v8, 16, v8
	;; [unrolled: 1-line block ×3, first 2 shown]
	v_cmp_lt_u32_e32 vcc_lo, 40, v7
	s_or_b32 s5, vcc_lo, s5
	s_waitcnt vmcnt(2) lgkmcnt(0)
	v_mul_f64 v[18:19], v[12:13], v[14:15]
	v_mul_f64 v[14:15], v[10:11], v[14:15]
	s_waitcnt vmcnt(0)
	v_fma_f64 v[10:11], v[10:11], v[16:17], -v[18:19]
	v_fma_f64 v[12:13], v[12:13], v[16:17], v[14:15]
	v_add_f64 v[3:4], v[3:4], v[10:11]
	v_add_f64 v[1:2], v[1:2], v[12:13]
	s_andn2_b32 exec_lo, exec_lo, s5
	s_cbranch_execnz .LBB59_181
; %bb.182:
	s_or_b32 exec_lo, exec_lo, s5
	v_mov_b32_e32 v7, 0
	ds_read_b128 v[7:10], v7 offset:672
	s_waitcnt lgkmcnt(0)
	v_mul_f64 v[11:12], v[1:2], v[9:10]
	v_mul_f64 v[9:10], v[3:4], v[9:10]
	v_fma_f64 v[3:4], v[3:4], v[7:8], -v[11:12]
	v_fma_f64 v[1:2], v[1:2], v[7:8], v[9:10]
	buffer_store_dword v4, off, s[0:3], 0 offset:692
	buffer_store_dword v3, off, s[0:3], 0 offset:688
	;; [unrolled: 1-line block ×4, first 2 shown]
.LBB59_183:
	s_or_b32 exec_lo, exec_lo, s4
	v_mov_b32_e32 v4, s28
	s_waitcnt_vscnt null, 0x0
	s_barrier
	buffer_gl0_inv
	s_mov_b32 s4, exec_lo
	s_clause 0x3
	buffer_load_dword v1, v4, s[0:3], 0 offen
	buffer_load_dword v2, v4, s[0:3], 0 offen offset:4
	buffer_load_dword v3, v4, s[0:3], 0 offen offset:8
	buffer_load_dword v4, v4, s[0:3], 0 offen offset:12
	s_waitcnt vmcnt(0)
	ds_write_b128 v5, v[1:4]
	s_waitcnt lgkmcnt(0)
	s_barrier
	buffer_gl0_inv
	v_cmpx_gt_u32_e32 43, v0
	s_cbranch_execz .LBB59_187
; %bb.184:
	v_mov_b32_e32 v1, 0
	v_mov_b32_e32 v3, 0
	v_add_nc_u32_e32 v7, -1, v0
	v_add_nc_u32_e32 v8, 0x3c0, v247
	v_mov_b32_e32 v2, 0
	v_mov_b32_e32 v4, 0
	v_add_nc_u32_e32 v9, 16, v247
	s_mov_b32 s5, 0
	.p2align	6
.LBB59_185:                             ; =>This Inner Loop Header: Depth=1
	s_clause 0x3
	buffer_load_dword v14, v9, s[0:3], 0 offen offset:8
	buffer_load_dword v15, v9, s[0:3], 0 offen offset:12
	buffer_load_dword v16, v9, s[0:3], 0 offen
	buffer_load_dword v17, v9, s[0:3], 0 offen offset:4
	ds_read_b128 v[10:13], v8
	v_add_nc_u32_e32 v7, 1, v7
	v_add_nc_u32_e32 v8, 16, v8
	v_add_nc_u32_e32 v9, 16, v9
	v_cmp_lt_u32_e32 vcc_lo, 41, v7
	s_or_b32 s5, vcc_lo, s5
	s_waitcnt vmcnt(2) lgkmcnt(0)
	v_mul_f64 v[18:19], v[12:13], v[14:15]
	v_mul_f64 v[14:15], v[10:11], v[14:15]
	s_waitcnt vmcnt(0)
	v_fma_f64 v[10:11], v[10:11], v[16:17], -v[18:19]
	v_fma_f64 v[12:13], v[12:13], v[16:17], v[14:15]
	v_add_f64 v[3:4], v[3:4], v[10:11]
	v_add_f64 v[1:2], v[1:2], v[12:13]
	s_andn2_b32 exec_lo, exec_lo, s5
	s_cbranch_execnz .LBB59_185
; %bb.186:
	s_or_b32 exec_lo, exec_lo, s5
	v_mov_b32_e32 v7, 0
	ds_read_b128 v[7:10], v7 offset:688
	s_waitcnt lgkmcnt(0)
	v_mul_f64 v[11:12], v[1:2], v[9:10]
	v_mul_f64 v[9:10], v[3:4], v[9:10]
	v_fma_f64 v[3:4], v[3:4], v[7:8], -v[11:12]
	v_fma_f64 v[1:2], v[1:2], v[7:8], v[9:10]
	buffer_store_dword v4, off, s[0:3], 0 offset:708
	buffer_store_dword v3, off, s[0:3], 0 offset:704
	;; [unrolled: 1-line block ×4, first 2 shown]
.LBB59_187:
	s_or_b32 exec_lo, exec_lo, s4
	v_mov_b32_e32 v4, s27
	s_waitcnt_vscnt null, 0x0
	s_barrier
	buffer_gl0_inv
	s_mov_b32 s4, exec_lo
	s_clause 0x3
	buffer_load_dword v1, v4, s[0:3], 0 offen
	buffer_load_dword v2, v4, s[0:3], 0 offen offset:4
	buffer_load_dword v3, v4, s[0:3], 0 offen offset:8
	buffer_load_dword v4, v4, s[0:3], 0 offen offset:12
	s_waitcnt vmcnt(0)
	ds_write_b128 v5, v[1:4]
	s_waitcnt lgkmcnt(0)
	s_barrier
	buffer_gl0_inv
	v_cmpx_gt_u32_e32 44, v0
	s_cbranch_execz .LBB59_191
; %bb.188:
	v_mov_b32_e32 v1, 0
	v_mov_b32_e32 v3, 0
	v_add_nc_u32_e32 v7, -1, v0
	v_add_nc_u32_e32 v8, 0x3c0, v247
	v_mov_b32_e32 v2, 0
	v_mov_b32_e32 v4, 0
	v_add_nc_u32_e32 v9, 16, v247
	s_mov_b32 s5, 0
	.p2align	6
.LBB59_189:                             ; =>This Inner Loop Header: Depth=1
	s_clause 0x3
	buffer_load_dword v14, v9, s[0:3], 0 offen offset:8
	buffer_load_dword v15, v9, s[0:3], 0 offen offset:12
	buffer_load_dword v16, v9, s[0:3], 0 offen
	buffer_load_dword v17, v9, s[0:3], 0 offen offset:4
	ds_read_b128 v[10:13], v8
	v_add_nc_u32_e32 v7, 1, v7
	v_add_nc_u32_e32 v8, 16, v8
	;; [unrolled: 1-line block ×3, first 2 shown]
	v_cmp_lt_u32_e32 vcc_lo, 42, v7
	s_or_b32 s5, vcc_lo, s5
	s_waitcnt vmcnt(2) lgkmcnt(0)
	v_mul_f64 v[18:19], v[12:13], v[14:15]
	v_mul_f64 v[14:15], v[10:11], v[14:15]
	s_waitcnt vmcnt(0)
	v_fma_f64 v[10:11], v[10:11], v[16:17], -v[18:19]
	v_fma_f64 v[12:13], v[12:13], v[16:17], v[14:15]
	v_add_f64 v[3:4], v[3:4], v[10:11]
	v_add_f64 v[1:2], v[1:2], v[12:13]
	s_andn2_b32 exec_lo, exec_lo, s5
	s_cbranch_execnz .LBB59_189
; %bb.190:
	s_or_b32 exec_lo, exec_lo, s5
	v_mov_b32_e32 v7, 0
	ds_read_b128 v[7:10], v7 offset:704
	s_waitcnt lgkmcnt(0)
	v_mul_f64 v[11:12], v[1:2], v[9:10]
	v_mul_f64 v[9:10], v[3:4], v[9:10]
	v_fma_f64 v[3:4], v[3:4], v[7:8], -v[11:12]
	v_fma_f64 v[1:2], v[1:2], v[7:8], v[9:10]
	buffer_store_dword v4, off, s[0:3], 0 offset:724
	buffer_store_dword v3, off, s[0:3], 0 offset:720
	;; [unrolled: 1-line block ×4, first 2 shown]
.LBB59_191:
	s_or_b32 exec_lo, exec_lo, s4
	v_mov_b32_e32 v4, s26
	s_waitcnt_vscnt null, 0x0
	s_barrier
	buffer_gl0_inv
	s_mov_b32 s4, exec_lo
	s_clause 0x3
	buffer_load_dword v1, v4, s[0:3], 0 offen
	buffer_load_dword v2, v4, s[0:3], 0 offen offset:4
	buffer_load_dword v3, v4, s[0:3], 0 offen offset:8
	;; [unrolled: 1-line block ×3, first 2 shown]
	s_waitcnt vmcnt(0)
	ds_write_b128 v5, v[1:4]
	s_waitcnt lgkmcnt(0)
	s_barrier
	buffer_gl0_inv
	v_cmpx_gt_u32_e32 45, v0
	s_cbranch_execz .LBB59_195
; %bb.192:
	v_mov_b32_e32 v1, 0
	v_mov_b32_e32 v3, 0
	v_add_nc_u32_e32 v7, -1, v0
	v_add_nc_u32_e32 v8, 0x3c0, v247
	v_mov_b32_e32 v2, 0
	v_mov_b32_e32 v4, 0
	v_add_nc_u32_e32 v9, 16, v247
	s_mov_b32 s5, 0
	.p2align	6
.LBB59_193:                             ; =>This Inner Loop Header: Depth=1
	s_clause 0x3
	buffer_load_dword v14, v9, s[0:3], 0 offen offset:8
	buffer_load_dword v15, v9, s[0:3], 0 offen offset:12
	buffer_load_dword v16, v9, s[0:3], 0 offen
	buffer_load_dword v17, v9, s[0:3], 0 offen offset:4
	ds_read_b128 v[10:13], v8
	v_add_nc_u32_e32 v7, 1, v7
	v_add_nc_u32_e32 v8, 16, v8
	;; [unrolled: 1-line block ×3, first 2 shown]
	v_cmp_lt_u32_e32 vcc_lo, 43, v7
	s_or_b32 s5, vcc_lo, s5
	s_waitcnt vmcnt(2) lgkmcnt(0)
	v_mul_f64 v[18:19], v[12:13], v[14:15]
	v_mul_f64 v[14:15], v[10:11], v[14:15]
	s_waitcnt vmcnt(0)
	v_fma_f64 v[10:11], v[10:11], v[16:17], -v[18:19]
	v_fma_f64 v[12:13], v[12:13], v[16:17], v[14:15]
	v_add_f64 v[3:4], v[3:4], v[10:11]
	v_add_f64 v[1:2], v[1:2], v[12:13]
	s_andn2_b32 exec_lo, exec_lo, s5
	s_cbranch_execnz .LBB59_193
; %bb.194:
	s_or_b32 exec_lo, exec_lo, s5
	v_mov_b32_e32 v7, 0
	ds_read_b128 v[7:10], v7 offset:720
	s_waitcnt lgkmcnt(0)
	v_mul_f64 v[11:12], v[1:2], v[9:10]
	v_mul_f64 v[9:10], v[3:4], v[9:10]
	v_fma_f64 v[3:4], v[3:4], v[7:8], -v[11:12]
	v_fma_f64 v[1:2], v[1:2], v[7:8], v[9:10]
	buffer_store_dword v4, off, s[0:3], 0 offset:740
	buffer_store_dword v3, off, s[0:3], 0 offset:736
	;; [unrolled: 1-line block ×4, first 2 shown]
.LBB59_195:
	s_or_b32 exec_lo, exec_lo, s4
	v_mov_b32_e32 v4, s25
	s_waitcnt_vscnt null, 0x0
	s_barrier
	buffer_gl0_inv
	s_mov_b32 s4, exec_lo
	s_clause 0x3
	buffer_load_dword v1, v4, s[0:3], 0 offen
	buffer_load_dword v2, v4, s[0:3], 0 offen offset:4
	buffer_load_dword v3, v4, s[0:3], 0 offen offset:8
	;; [unrolled: 1-line block ×3, first 2 shown]
	s_waitcnt vmcnt(0)
	ds_write_b128 v5, v[1:4]
	s_waitcnt lgkmcnt(0)
	s_barrier
	buffer_gl0_inv
	v_cmpx_gt_u32_e32 46, v0
	s_cbranch_execz .LBB59_199
; %bb.196:
	v_mov_b32_e32 v1, 0
	v_mov_b32_e32 v3, 0
	v_add_nc_u32_e32 v7, -1, v0
	v_add_nc_u32_e32 v8, 0x3c0, v247
	v_mov_b32_e32 v2, 0
	v_mov_b32_e32 v4, 0
	v_add_nc_u32_e32 v9, 16, v247
	s_mov_b32 s5, 0
	.p2align	6
.LBB59_197:                             ; =>This Inner Loop Header: Depth=1
	s_clause 0x3
	buffer_load_dword v14, v9, s[0:3], 0 offen offset:8
	buffer_load_dword v15, v9, s[0:3], 0 offen offset:12
	buffer_load_dword v16, v9, s[0:3], 0 offen
	buffer_load_dword v17, v9, s[0:3], 0 offen offset:4
	ds_read_b128 v[10:13], v8
	v_add_nc_u32_e32 v7, 1, v7
	v_add_nc_u32_e32 v8, 16, v8
	;; [unrolled: 1-line block ×3, first 2 shown]
	v_cmp_lt_u32_e32 vcc_lo, 44, v7
	s_or_b32 s5, vcc_lo, s5
	s_waitcnt vmcnt(2) lgkmcnt(0)
	v_mul_f64 v[18:19], v[12:13], v[14:15]
	v_mul_f64 v[14:15], v[10:11], v[14:15]
	s_waitcnt vmcnt(0)
	v_fma_f64 v[10:11], v[10:11], v[16:17], -v[18:19]
	v_fma_f64 v[12:13], v[12:13], v[16:17], v[14:15]
	v_add_f64 v[3:4], v[3:4], v[10:11]
	v_add_f64 v[1:2], v[1:2], v[12:13]
	s_andn2_b32 exec_lo, exec_lo, s5
	s_cbranch_execnz .LBB59_197
; %bb.198:
	s_or_b32 exec_lo, exec_lo, s5
	v_mov_b32_e32 v7, 0
	ds_read_b128 v[7:10], v7 offset:736
	s_waitcnt lgkmcnt(0)
	v_mul_f64 v[11:12], v[1:2], v[9:10]
	v_mul_f64 v[9:10], v[3:4], v[9:10]
	v_fma_f64 v[3:4], v[3:4], v[7:8], -v[11:12]
	v_fma_f64 v[1:2], v[1:2], v[7:8], v[9:10]
	buffer_store_dword v4, off, s[0:3], 0 offset:756
	buffer_store_dword v3, off, s[0:3], 0 offset:752
	;; [unrolled: 1-line block ×4, first 2 shown]
.LBB59_199:
	s_or_b32 exec_lo, exec_lo, s4
	v_mov_b32_e32 v4, s24
	s_waitcnt_vscnt null, 0x0
	s_barrier
	buffer_gl0_inv
	s_mov_b32 s4, exec_lo
	s_clause 0x3
	buffer_load_dword v1, v4, s[0:3], 0 offen
	buffer_load_dword v2, v4, s[0:3], 0 offen offset:4
	buffer_load_dword v3, v4, s[0:3], 0 offen offset:8
	buffer_load_dword v4, v4, s[0:3], 0 offen offset:12
	s_waitcnt vmcnt(0)
	ds_write_b128 v5, v[1:4]
	s_waitcnt lgkmcnt(0)
	s_barrier
	buffer_gl0_inv
	v_cmpx_gt_u32_e32 47, v0
	s_cbranch_execz .LBB59_203
; %bb.200:
	v_mov_b32_e32 v1, 0
	v_mov_b32_e32 v3, 0
	v_add_nc_u32_e32 v7, -1, v0
	v_add_nc_u32_e32 v8, 0x3c0, v247
	v_mov_b32_e32 v2, 0
	v_mov_b32_e32 v4, 0
	v_add_nc_u32_e32 v9, 16, v247
	s_mov_b32 s5, 0
	.p2align	6
.LBB59_201:                             ; =>This Inner Loop Header: Depth=1
	s_clause 0x3
	buffer_load_dword v14, v9, s[0:3], 0 offen offset:8
	buffer_load_dword v15, v9, s[0:3], 0 offen offset:12
	buffer_load_dword v16, v9, s[0:3], 0 offen
	buffer_load_dword v17, v9, s[0:3], 0 offen offset:4
	ds_read_b128 v[10:13], v8
	v_add_nc_u32_e32 v7, 1, v7
	v_add_nc_u32_e32 v8, 16, v8
	;; [unrolled: 1-line block ×3, first 2 shown]
	v_cmp_lt_u32_e32 vcc_lo, 45, v7
	s_or_b32 s5, vcc_lo, s5
	s_waitcnt vmcnt(2) lgkmcnt(0)
	v_mul_f64 v[18:19], v[12:13], v[14:15]
	v_mul_f64 v[14:15], v[10:11], v[14:15]
	s_waitcnt vmcnt(0)
	v_fma_f64 v[10:11], v[10:11], v[16:17], -v[18:19]
	v_fma_f64 v[12:13], v[12:13], v[16:17], v[14:15]
	v_add_f64 v[3:4], v[3:4], v[10:11]
	v_add_f64 v[1:2], v[1:2], v[12:13]
	s_andn2_b32 exec_lo, exec_lo, s5
	s_cbranch_execnz .LBB59_201
; %bb.202:
	s_or_b32 exec_lo, exec_lo, s5
	v_mov_b32_e32 v7, 0
	ds_read_b128 v[7:10], v7 offset:752
	s_waitcnt lgkmcnt(0)
	v_mul_f64 v[11:12], v[1:2], v[9:10]
	v_mul_f64 v[9:10], v[3:4], v[9:10]
	v_fma_f64 v[3:4], v[3:4], v[7:8], -v[11:12]
	v_fma_f64 v[1:2], v[1:2], v[7:8], v[9:10]
	buffer_store_dword v4, off, s[0:3], 0 offset:772
	buffer_store_dword v3, off, s[0:3], 0 offset:768
	;; [unrolled: 1-line block ×4, first 2 shown]
.LBB59_203:
	s_or_b32 exec_lo, exec_lo, s4
	v_mov_b32_e32 v4, s23
	s_waitcnt_vscnt null, 0x0
	s_barrier
	buffer_gl0_inv
	s_mov_b32 s4, exec_lo
	s_clause 0x3
	buffer_load_dword v1, v4, s[0:3], 0 offen
	buffer_load_dword v2, v4, s[0:3], 0 offen offset:4
	buffer_load_dword v3, v4, s[0:3], 0 offen offset:8
	;; [unrolled: 1-line block ×3, first 2 shown]
	s_waitcnt vmcnt(0)
	ds_write_b128 v5, v[1:4]
	s_waitcnt lgkmcnt(0)
	s_barrier
	buffer_gl0_inv
	v_cmpx_gt_u32_e32 48, v0
	s_cbranch_execz .LBB59_207
; %bb.204:
	v_mov_b32_e32 v1, 0
	v_mov_b32_e32 v3, 0
	v_add_nc_u32_e32 v7, -1, v0
	v_add_nc_u32_e32 v8, 0x3c0, v247
	v_mov_b32_e32 v2, 0
	v_mov_b32_e32 v4, 0
	v_add_nc_u32_e32 v9, 16, v247
	s_mov_b32 s5, 0
	.p2align	6
.LBB59_205:                             ; =>This Inner Loop Header: Depth=1
	s_clause 0x3
	buffer_load_dword v14, v9, s[0:3], 0 offen offset:8
	buffer_load_dword v15, v9, s[0:3], 0 offen offset:12
	buffer_load_dword v16, v9, s[0:3], 0 offen
	buffer_load_dword v17, v9, s[0:3], 0 offen offset:4
	ds_read_b128 v[10:13], v8
	v_add_nc_u32_e32 v7, 1, v7
	v_add_nc_u32_e32 v8, 16, v8
	;; [unrolled: 1-line block ×3, first 2 shown]
	v_cmp_lt_u32_e32 vcc_lo, 46, v7
	s_or_b32 s5, vcc_lo, s5
	s_waitcnt vmcnt(2) lgkmcnt(0)
	v_mul_f64 v[18:19], v[12:13], v[14:15]
	v_mul_f64 v[14:15], v[10:11], v[14:15]
	s_waitcnt vmcnt(0)
	v_fma_f64 v[10:11], v[10:11], v[16:17], -v[18:19]
	v_fma_f64 v[12:13], v[12:13], v[16:17], v[14:15]
	v_add_f64 v[3:4], v[3:4], v[10:11]
	v_add_f64 v[1:2], v[1:2], v[12:13]
	s_andn2_b32 exec_lo, exec_lo, s5
	s_cbranch_execnz .LBB59_205
; %bb.206:
	s_or_b32 exec_lo, exec_lo, s5
	v_mov_b32_e32 v7, 0
	ds_read_b128 v[7:10], v7 offset:768
	s_waitcnt lgkmcnt(0)
	v_mul_f64 v[11:12], v[1:2], v[9:10]
	v_mul_f64 v[9:10], v[3:4], v[9:10]
	v_fma_f64 v[3:4], v[3:4], v[7:8], -v[11:12]
	v_fma_f64 v[1:2], v[1:2], v[7:8], v[9:10]
	buffer_store_dword v4, off, s[0:3], 0 offset:788
	buffer_store_dword v3, off, s[0:3], 0 offset:784
	;; [unrolled: 1-line block ×4, first 2 shown]
.LBB59_207:
	s_or_b32 exec_lo, exec_lo, s4
	v_mov_b32_e32 v4, s22
	s_waitcnt_vscnt null, 0x0
	s_barrier
	buffer_gl0_inv
	s_mov_b32 s4, exec_lo
	s_clause 0x3
	buffer_load_dword v1, v4, s[0:3], 0 offen
	buffer_load_dword v2, v4, s[0:3], 0 offen offset:4
	buffer_load_dword v3, v4, s[0:3], 0 offen offset:8
	;; [unrolled: 1-line block ×3, first 2 shown]
	s_waitcnt vmcnt(0)
	ds_write_b128 v5, v[1:4]
	s_waitcnt lgkmcnt(0)
	s_barrier
	buffer_gl0_inv
	v_cmpx_gt_u32_e32 49, v0
	s_cbranch_execz .LBB59_211
; %bb.208:
	v_mov_b32_e32 v1, 0
	v_mov_b32_e32 v3, 0
	v_add_nc_u32_e32 v7, -1, v0
	v_add_nc_u32_e32 v8, 0x3c0, v247
	v_mov_b32_e32 v2, 0
	v_mov_b32_e32 v4, 0
	v_add_nc_u32_e32 v9, 16, v247
	s_mov_b32 s5, 0
	.p2align	6
.LBB59_209:                             ; =>This Inner Loop Header: Depth=1
	s_clause 0x3
	buffer_load_dword v14, v9, s[0:3], 0 offen offset:8
	buffer_load_dword v15, v9, s[0:3], 0 offen offset:12
	buffer_load_dword v16, v9, s[0:3], 0 offen
	buffer_load_dword v17, v9, s[0:3], 0 offen offset:4
	ds_read_b128 v[10:13], v8
	v_add_nc_u32_e32 v7, 1, v7
	v_add_nc_u32_e32 v8, 16, v8
	;; [unrolled: 1-line block ×3, first 2 shown]
	v_cmp_lt_u32_e32 vcc_lo, 47, v7
	s_or_b32 s5, vcc_lo, s5
	s_waitcnt vmcnt(2) lgkmcnt(0)
	v_mul_f64 v[18:19], v[12:13], v[14:15]
	v_mul_f64 v[14:15], v[10:11], v[14:15]
	s_waitcnt vmcnt(0)
	v_fma_f64 v[10:11], v[10:11], v[16:17], -v[18:19]
	v_fma_f64 v[12:13], v[12:13], v[16:17], v[14:15]
	v_add_f64 v[3:4], v[3:4], v[10:11]
	v_add_f64 v[1:2], v[1:2], v[12:13]
	s_andn2_b32 exec_lo, exec_lo, s5
	s_cbranch_execnz .LBB59_209
; %bb.210:
	s_or_b32 exec_lo, exec_lo, s5
	v_mov_b32_e32 v7, 0
	ds_read_b128 v[7:10], v7 offset:784
	s_waitcnt lgkmcnt(0)
	v_mul_f64 v[11:12], v[1:2], v[9:10]
	v_mul_f64 v[9:10], v[3:4], v[9:10]
	v_fma_f64 v[3:4], v[3:4], v[7:8], -v[11:12]
	v_fma_f64 v[1:2], v[1:2], v[7:8], v[9:10]
	buffer_store_dword v4, off, s[0:3], 0 offset:804
	buffer_store_dword v3, off, s[0:3], 0 offset:800
	buffer_store_dword v2, off, s[0:3], 0 offset:812
	buffer_store_dword v1, off, s[0:3], 0 offset:808
.LBB59_211:
	s_or_b32 exec_lo, exec_lo, s4
	v_mov_b32_e32 v4, s19
	s_waitcnt_vscnt null, 0x0
	s_barrier
	buffer_gl0_inv
	s_mov_b32 s4, exec_lo
	s_clause 0x3
	buffer_load_dword v1, v4, s[0:3], 0 offen
	buffer_load_dword v2, v4, s[0:3], 0 offen offset:4
	buffer_load_dword v3, v4, s[0:3], 0 offen offset:8
	;; [unrolled: 1-line block ×3, first 2 shown]
	s_waitcnt vmcnt(0)
	ds_write_b128 v5, v[1:4]
	s_waitcnt lgkmcnt(0)
	s_barrier
	buffer_gl0_inv
	v_cmpx_gt_u32_e32 50, v0
	s_cbranch_execz .LBB59_215
; %bb.212:
	v_mov_b32_e32 v1, 0
	v_mov_b32_e32 v3, 0
	v_add_nc_u32_e32 v7, -1, v0
	v_add_nc_u32_e32 v8, 0x3c0, v247
	v_mov_b32_e32 v2, 0
	v_mov_b32_e32 v4, 0
	v_add_nc_u32_e32 v9, 16, v247
	s_mov_b32 s5, 0
	.p2align	6
.LBB59_213:                             ; =>This Inner Loop Header: Depth=1
	s_clause 0x3
	buffer_load_dword v14, v9, s[0:3], 0 offen offset:8
	buffer_load_dword v15, v9, s[0:3], 0 offen offset:12
	buffer_load_dword v16, v9, s[0:3], 0 offen
	buffer_load_dword v17, v9, s[0:3], 0 offen offset:4
	ds_read_b128 v[10:13], v8
	v_add_nc_u32_e32 v7, 1, v7
	v_add_nc_u32_e32 v8, 16, v8
	;; [unrolled: 1-line block ×3, first 2 shown]
	v_cmp_lt_u32_e32 vcc_lo, 48, v7
	s_or_b32 s5, vcc_lo, s5
	s_waitcnt vmcnt(2) lgkmcnt(0)
	v_mul_f64 v[18:19], v[12:13], v[14:15]
	v_mul_f64 v[14:15], v[10:11], v[14:15]
	s_waitcnt vmcnt(0)
	v_fma_f64 v[10:11], v[10:11], v[16:17], -v[18:19]
	v_fma_f64 v[12:13], v[12:13], v[16:17], v[14:15]
	v_add_f64 v[3:4], v[3:4], v[10:11]
	v_add_f64 v[1:2], v[1:2], v[12:13]
	s_andn2_b32 exec_lo, exec_lo, s5
	s_cbranch_execnz .LBB59_213
; %bb.214:
	s_or_b32 exec_lo, exec_lo, s5
	v_mov_b32_e32 v7, 0
	ds_read_b128 v[7:10], v7 offset:800
	s_waitcnt lgkmcnt(0)
	v_mul_f64 v[11:12], v[1:2], v[9:10]
	v_mul_f64 v[9:10], v[3:4], v[9:10]
	v_fma_f64 v[3:4], v[3:4], v[7:8], -v[11:12]
	v_fma_f64 v[1:2], v[1:2], v[7:8], v[9:10]
	buffer_store_dword v4, off, s[0:3], 0 offset:820
	buffer_store_dword v3, off, s[0:3], 0 offset:816
	;; [unrolled: 1-line block ×4, first 2 shown]
.LBB59_215:
	s_or_b32 exec_lo, exec_lo, s4
	v_mov_b32_e32 v4, s18
	s_waitcnt_vscnt null, 0x0
	s_barrier
	buffer_gl0_inv
	s_mov_b32 s4, exec_lo
	s_clause 0x3
	buffer_load_dword v1, v4, s[0:3], 0 offen
	buffer_load_dword v2, v4, s[0:3], 0 offen offset:4
	buffer_load_dword v3, v4, s[0:3], 0 offen offset:8
	;; [unrolled: 1-line block ×3, first 2 shown]
	s_waitcnt vmcnt(0)
	ds_write_b128 v5, v[1:4]
	s_waitcnt lgkmcnt(0)
	s_barrier
	buffer_gl0_inv
	v_cmpx_gt_u32_e32 51, v0
	s_cbranch_execz .LBB59_219
; %bb.216:
	v_mov_b32_e32 v1, 0
	v_mov_b32_e32 v3, 0
	v_add_nc_u32_e32 v7, -1, v0
	v_add_nc_u32_e32 v8, 0x3c0, v247
	v_mov_b32_e32 v2, 0
	v_mov_b32_e32 v4, 0
	v_add_nc_u32_e32 v9, 16, v247
	s_mov_b32 s5, 0
	.p2align	6
.LBB59_217:                             ; =>This Inner Loop Header: Depth=1
	s_clause 0x3
	buffer_load_dword v14, v9, s[0:3], 0 offen offset:8
	buffer_load_dword v15, v9, s[0:3], 0 offen offset:12
	buffer_load_dword v16, v9, s[0:3], 0 offen
	buffer_load_dword v17, v9, s[0:3], 0 offen offset:4
	ds_read_b128 v[10:13], v8
	v_add_nc_u32_e32 v7, 1, v7
	v_add_nc_u32_e32 v8, 16, v8
	;; [unrolled: 1-line block ×3, first 2 shown]
	v_cmp_lt_u32_e32 vcc_lo, 49, v7
	s_or_b32 s5, vcc_lo, s5
	s_waitcnt vmcnt(2) lgkmcnt(0)
	v_mul_f64 v[18:19], v[12:13], v[14:15]
	v_mul_f64 v[14:15], v[10:11], v[14:15]
	s_waitcnt vmcnt(0)
	v_fma_f64 v[10:11], v[10:11], v[16:17], -v[18:19]
	v_fma_f64 v[12:13], v[12:13], v[16:17], v[14:15]
	v_add_f64 v[3:4], v[3:4], v[10:11]
	v_add_f64 v[1:2], v[1:2], v[12:13]
	s_andn2_b32 exec_lo, exec_lo, s5
	s_cbranch_execnz .LBB59_217
; %bb.218:
	s_or_b32 exec_lo, exec_lo, s5
	v_mov_b32_e32 v7, 0
	ds_read_b128 v[7:10], v7 offset:816
	s_waitcnt lgkmcnt(0)
	v_mul_f64 v[11:12], v[1:2], v[9:10]
	v_mul_f64 v[9:10], v[3:4], v[9:10]
	v_fma_f64 v[3:4], v[3:4], v[7:8], -v[11:12]
	v_fma_f64 v[1:2], v[1:2], v[7:8], v[9:10]
	buffer_store_dword v4, off, s[0:3], 0 offset:836
	buffer_store_dword v3, off, s[0:3], 0 offset:832
	buffer_store_dword v2, off, s[0:3], 0 offset:844
	buffer_store_dword v1, off, s[0:3], 0 offset:840
.LBB59_219:
	s_or_b32 exec_lo, exec_lo, s4
	v_mov_b32_e32 v4, s17
	s_waitcnt_vscnt null, 0x0
	s_barrier
	buffer_gl0_inv
	s_mov_b32 s4, exec_lo
	s_clause 0x3
	buffer_load_dword v1, v4, s[0:3], 0 offen
	buffer_load_dword v2, v4, s[0:3], 0 offen offset:4
	buffer_load_dword v3, v4, s[0:3], 0 offen offset:8
	;; [unrolled: 1-line block ×3, first 2 shown]
	s_waitcnt vmcnt(0)
	ds_write_b128 v5, v[1:4]
	s_waitcnt lgkmcnt(0)
	s_barrier
	buffer_gl0_inv
	v_cmpx_gt_u32_e32 52, v0
	s_cbranch_execz .LBB59_223
; %bb.220:
	v_mov_b32_e32 v1, 0
	v_mov_b32_e32 v3, 0
	v_add_nc_u32_e32 v7, -1, v0
	v_add_nc_u32_e32 v8, 0x3c0, v247
	v_mov_b32_e32 v2, 0
	v_mov_b32_e32 v4, 0
	v_add_nc_u32_e32 v9, 16, v247
	s_mov_b32 s5, 0
	.p2align	6
.LBB59_221:                             ; =>This Inner Loop Header: Depth=1
	s_clause 0x3
	buffer_load_dword v14, v9, s[0:3], 0 offen offset:8
	buffer_load_dword v15, v9, s[0:3], 0 offen offset:12
	buffer_load_dword v16, v9, s[0:3], 0 offen
	buffer_load_dword v17, v9, s[0:3], 0 offen offset:4
	ds_read_b128 v[10:13], v8
	v_add_nc_u32_e32 v7, 1, v7
	v_add_nc_u32_e32 v8, 16, v8
	;; [unrolled: 1-line block ×3, first 2 shown]
	v_cmp_lt_u32_e32 vcc_lo, 50, v7
	s_or_b32 s5, vcc_lo, s5
	s_waitcnt vmcnt(2) lgkmcnt(0)
	v_mul_f64 v[18:19], v[12:13], v[14:15]
	v_mul_f64 v[14:15], v[10:11], v[14:15]
	s_waitcnt vmcnt(0)
	v_fma_f64 v[10:11], v[10:11], v[16:17], -v[18:19]
	v_fma_f64 v[12:13], v[12:13], v[16:17], v[14:15]
	v_add_f64 v[3:4], v[3:4], v[10:11]
	v_add_f64 v[1:2], v[1:2], v[12:13]
	s_andn2_b32 exec_lo, exec_lo, s5
	s_cbranch_execnz .LBB59_221
; %bb.222:
	s_or_b32 exec_lo, exec_lo, s5
	v_mov_b32_e32 v7, 0
	ds_read_b128 v[7:10], v7 offset:832
	s_waitcnt lgkmcnt(0)
	v_mul_f64 v[11:12], v[1:2], v[9:10]
	v_mul_f64 v[9:10], v[3:4], v[9:10]
	v_fma_f64 v[3:4], v[3:4], v[7:8], -v[11:12]
	v_fma_f64 v[1:2], v[1:2], v[7:8], v[9:10]
	buffer_store_dword v4, off, s[0:3], 0 offset:852
	buffer_store_dword v3, off, s[0:3], 0 offset:848
	;; [unrolled: 1-line block ×4, first 2 shown]
.LBB59_223:
	s_or_b32 exec_lo, exec_lo, s4
	v_mov_b32_e32 v4, s16
	s_waitcnt_vscnt null, 0x0
	s_barrier
	buffer_gl0_inv
	s_mov_b32 s4, exec_lo
	s_clause 0x3
	buffer_load_dword v1, v4, s[0:3], 0 offen
	buffer_load_dword v2, v4, s[0:3], 0 offen offset:4
	buffer_load_dword v3, v4, s[0:3], 0 offen offset:8
	buffer_load_dword v4, v4, s[0:3], 0 offen offset:12
	s_waitcnt vmcnt(0)
	ds_write_b128 v5, v[1:4]
	s_waitcnt lgkmcnt(0)
	s_barrier
	buffer_gl0_inv
	v_cmpx_gt_u32_e32 53, v0
	s_cbranch_execz .LBB59_227
; %bb.224:
	v_mov_b32_e32 v1, 0
	v_mov_b32_e32 v3, 0
	v_add_nc_u32_e32 v7, -1, v0
	v_add_nc_u32_e32 v8, 0x3c0, v247
	v_mov_b32_e32 v2, 0
	v_mov_b32_e32 v4, 0
	v_add_nc_u32_e32 v9, 16, v247
	s_mov_b32 s5, 0
	.p2align	6
.LBB59_225:                             ; =>This Inner Loop Header: Depth=1
	s_clause 0x3
	buffer_load_dword v14, v9, s[0:3], 0 offen offset:8
	buffer_load_dword v15, v9, s[0:3], 0 offen offset:12
	buffer_load_dword v16, v9, s[0:3], 0 offen
	buffer_load_dword v17, v9, s[0:3], 0 offen offset:4
	ds_read_b128 v[10:13], v8
	v_add_nc_u32_e32 v7, 1, v7
	v_add_nc_u32_e32 v8, 16, v8
	v_add_nc_u32_e32 v9, 16, v9
	v_cmp_lt_u32_e32 vcc_lo, 51, v7
	s_or_b32 s5, vcc_lo, s5
	s_waitcnt vmcnt(2) lgkmcnt(0)
	v_mul_f64 v[18:19], v[12:13], v[14:15]
	v_mul_f64 v[14:15], v[10:11], v[14:15]
	s_waitcnt vmcnt(0)
	v_fma_f64 v[10:11], v[10:11], v[16:17], -v[18:19]
	v_fma_f64 v[12:13], v[12:13], v[16:17], v[14:15]
	v_add_f64 v[3:4], v[3:4], v[10:11]
	v_add_f64 v[1:2], v[1:2], v[12:13]
	s_andn2_b32 exec_lo, exec_lo, s5
	s_cbranch_execnz .LBB59_225
; %bb.226:
	s_or_b32 exec_lo, exec_lo, s5
	v_mov_b32_e32 v7, 0
	ds_read_b128 v[7:10], v7 offset:848
	s_waitcnt lgkmcnt(0)
	v_mul_f64 v[11:12], v[1:2], v[9:10]
	v_mul_f64 v[9:10], v[3:4], v[9:10]
	v_fma_f64 v[3:4], v[3:4], v[7:8], -v[11:12]
	v_fma_f64 v[1:2], v[1:2], v[7:8], v[9:10]
	buffer_store_dword v4, off, s[0:3], 0 offset:868
	buffer_store_dword v3, off, s[0:3], 0 offset:864
	;; [unrolled: 1-line block ×4, first 2 shown]
.LBB59_227:
	s_or_b32 exec_lo, exec_lo, s4
	v_mov_b32_e32 v4, s15
	s_waitcnt_vscnt null, 0x0
	s_barrier
	buffer_gl0_inv
	s_mov_b32 s4, exec_lo
	s_clause 0x3
	buffer_load_dword v1, v4, s[0:3], 0 offen
	buffer_load_dword v2, v4, s[0:3], 0 offen offset:4
	buffer_load_dword v3, v4, s[0:3], 0 offen offset:8
	;; [unrolled: 1-line block ×3, first 2 shown]
	s_waitcnt vmcnt(0)
	ds_write_b128 v5, v[1:4]
	s_waitcnt lgkmcnt(0)
	s_barrier
	buffer_gl0_inv
	v_cmpx_gt_u32_e32 54, v0
	s_cbranch_execz .LBB59_231
; %bb.228:
	v_mov_b32_e32 v1, 0
	v_mov_b32_e32 v3, 0
	v_add_nc_u32_e32 v7, -1, v0
	v_add_nc_u32_e32 v8, 0x3c0, v247
	v_mov_b32_e32 v2, 0
	v_mov_b32_e32 v4, 0
	v_add_nc_u32_e32 v9, 16, v247
	s_mov_b32 s5, 0
	.p2align	6
.LBB59_229:                             ; =>This Inner Loop Header: Depth=1
	s_clause 0x3
	buffer_load_dword v14, v9, s[0:3], 0 offen offset:8
	buffer_load_dword v15, v9, s[0:3], 0 offen offset:12
	buffer_load_dword v16, v9, s[0:3], 0 offen
	buffer_load_dword v17, v9, s[0:3], 0 offen offset:4
	ds_read_b128 v[10:13], v8
	v_add_nc_u32_e32 v7, 1, v7
	v_add_nc_u32_e32 v8, 16, v8
	;; [unrolled: 1-line block ×3, first 2 shown]
	v_cmp_lt_u32_e32 vcc_lo, 52, v7
	s_or_b32 s5, vcc_lo, s5
	s_waitcnt vmcnt(2) lgkmcnt(0)
	v_mul_f64 v[18:19], v[12:13], v[14:15]
	v_mul_f64 v[14:15], v[10:11], v[14:15]
	s_waitcnt vmcnt(0)
	v_fma_f64 v[10:11], v[10:11], v[16:17], -v[18:19]
	v_fma_f64 v[12:13], v[12:13], v[16:17], v[14:15]
	v_add_f64 v[3:4], v[3:4], v[10:11]
	v_add_f64 v[1:2], v[1:2], v[12:13]
	s_andn2_b32 exec_lo, exec_lo, s5
	s_cbranch_execnz .LBB59_229
; %bb.230:
	s_or_b32 exec_lo, exec_lo, s5
	v_mov_b32_e32 v7, 0
	ds_read_b128 v[7:10], v7 offset:864
	s_waitcnt lgkmcnt(0)
	v_mul_f64 v[11:12], v[1:2], v[9:10]
	v_mul_f64 v[9:10], v[3:4], v[9:10]
	v_fma_f64 v[3:4], v[3:4], v[7:8], -v[11:12]
	v_fma_f64 v[1:2], v[1:2], v[7:8], v[9:10]
	buffer_store_dword v4, off, s[0:3], 0 offset:884
	buffer_store_dword v3, off, s[0:3], 0 offset:880
	;; [unrolled: 1-line block ×4, first 2 shown]
.LBB59_231:
	s_or_b32 exec_lo, exec_lo, s4
	v_mov_b32_e32 v4, s14
	s_waitcnt_vscnt null, 0x0
	s_barrier
	buffer_gl0_inv
	s_mov_b32 s4, exec_lo
	s_clause 0x3
	buffer_load_dword v1, v4, s[0:3], 0 offen
	buffer_load_dword v2, v4, s[0:3], 0 offen offset:4
	buffer_load_dword v3, v4, s[0:3], 0 offen offset:8
	;; [unrolled: 1-line block ×3, first 2 shown]
	s_waitcnt vmcnt(0)
	ds_write_b128 v5, v[1:4]
	s_waitcnt lgkmcnt(0)
	s_barrier
	buffer_gl0_inv
	v_cmpx_gt_u32_e32 55, v0
	s_cbranch_execz .LBB59_235
; %bb.232:
	v_mov_b32_e32 v1, 0
	v_mov_b32_e32 v3, 0
	v_add_nc_u32_e32 v7, -1, v0
	v_add_nc_u32_e32 v8, 0x3c0, v247
	v_mov_b32_e32 v2, 0
	v_mov_b32_e32 v4, 0
	v_add_nc_u32_e32 v9, 16, v247
	s_mov_b32 s5, 0
	.p2align	6
.LBB59_233:                             ; =>This Inner Loop Header: Depth=1
	s_clause 0x3
	buffer_load_dword v14, v9, s[0:3], 0 offen offset:8
	buffer_load_dword v15, v9, s[0:3], 0 offen offset:12
	buffer_load_dword v16, v9, s[0:3], 0 offen
	buffer_load_dword v17, v9, s[0:3], 0 offen offset:4
	ds_read_b128 v[10:13], v8
	v_add_nc_u32_e32 v7, 1, v7
	v_add_nc_u32_e32 v8, 16, v8
	;; [unrolled: 1-line block ×3, first 2 shown]
	v_cmp_lt_u32_e32 vcc_lo, 53, v7
	s_or_b32 s5, vcc_lo, s5
	s_waitcnt vmcnt(2) lgkmcnt(0)
	v_mul_f64 v[18:19], v[12:13], v[14:15]
	v_mul_f64 v[14:15], v[10:11], v[14:15]
	s_waitcnt vmcnt(0)
	v_fma_f64 v[10:11], v[10:11], v[16:17], -v[18:19]
	v_fma_f64 v[12:13], v[12:13], v[16:17], v[14:15]
	v_add_f64 v[3:4], v[3:4], v[10:11]
	v_add_f64 v[1:2], v[1:2], v[12:13]
	s_andn2_b32 exec_lo, exec_lo, s5
	s_cbranch_execnz .LBB59_233
; %bb.234:
	s_or_b32 exec_lo, exec_lo, s5
	v_mov_b32_e32 v7, 0
	ds_read_b128 v[7:10], v7 offset:880
	s_waitcnt lgkmcnt(0)
	v_mul_f64 v[11:12], v[1:2], v[9:10]
	v_mul_f64 v[9:10], v[3:4], v[9:10]
	v_fma_f64 v[3:4], v[3:4], v[7:8], -v[11:12]
	v_fma_f64 v[1:2], v[1:2], v[7:8], v[9:10]
	buffer_store_dword v4, off, s[0:3], 0 offset:900
	buffer_store_dword v3, off, s[0:3], 0 offset:896
	;; [unrolled: 1-line block ×4, first 2 shown]
.LBB59_235:
	s_or_b32 exec_lo, exec_lo, s4
	v_mov_b32_e32 v4, s13
	s_waitcnt_vscnt null, 0x0
	s_barrier
	buffer_gl0_inv
	s_mov_b32 s4, exec_lo
	s_clause 0x3
	buffer_load_dword v1, v4, s[0:3], 0 offen
	buffer_load_dword v2, v4, s[0:3], 0 offen offset:4
	buffer_load_dword v3, v4, s[0:3], 0 offen offset:8
	buffer_load_dword v4, v4, s[0:3], 0 offen offset:12
	s_waitcnt vmcnt(0)
	ds_write_b128 v5, v[1:4]
	s_waitcnt lgkmcnt(0)
	s_barrier
	buffer_gl0_inv
	v_cmpx_gt_u32_e32 56, v0
	s_cbranch_execz .LBB59_239
; %bb.236:
	v_mov_b32_e32 v1, 0
	v_mov_b32_e32 v3, 0
	v_add_nc_u32_e32 v7, -1, v0
	v_add_nc_u32_e32 v8, 0x3c0, v247
	v_mov_b32_e32 v2, 0
	v_mov_b32_e32 v4, 0
	v_add_nc_u32_e32 v9, 16, v247
	s_mov_b32 s5, 0
	.p2align	6
.LBB59_237:                             ; =>This Inner Loop Header: Depth=1
	s_clause 0x3
	buffer_load_dword v14, v9, s[0:3], 0 offen offset:8
	buffer_load_dword v15, v9, s[0:3], 0 offen offset:12
	buffer_load_dword v16, v9, s[0:3], 0 offen
	buffer_load_dword v17, v9, s[0:3], 0 offen offset:4
	ds_read_b128 v[10:13], v8
	v_add_nc_u32_e32 v7, 1, v7
	v_add_nc_u32_e32 v8, 16, v8
	;; [unrolled: 1-line block ×3, first 2 shown]
	v_cmp_lt_u32_e32 vcc_lo, 54, v7
	s_or_b32 s5, vcc_lo, s5
	s_waitcnt vmcnt(2) lgkmcnt(0)
	v_mul_f64 v[18:19], v[12:13], v[14:15]
	v_mul_f64 v[14:15], v[10:11], v[14:15]
	s_waitcnt vmcnt(0)
	v_fma_f64 v[10:11], v[10:11], v[16:17], -v[18:19]
	v_fma_f64 v[12:13], v[12:13], v[16:17], v[14:15]
	v_add_f64 v[3:4], v[3:4], v[10:11]
	v_add_f64 v[1:2], v[1:2], v[12:13]
	s_andn2_b32 exec_lo, exec_lo, s5
	s_cbranch_execnz .LBB59_237
; %bb.238:
	s_or_b32 exec_lo, exec_lo, s5
	v_mov_b32_e32 v7, 0
	ds_read_b128 v[7:10], v7 offset:896
	s_waitcnt lgkmcnt(0)
	v_mul_f64 v[11:12], v[1:2], v[9:10]
	v_mul_f64 v[9:10], v[3:4], v[9:10]
	v_fma_f64 v[3:4], v[3:4], v[7:8], -v[11:12]
	v_fma_f64 v[1:2], v[1:2], v[7:8], v[9:10]
	buffer_store_dword v4, off, s[0:3], 0 offset:916
	buffer_store_dword v3, off, s[0:3], 0 offset:912
	;; [unrolled: 1-line block ×4, first 2 shown]
.LBB59_239:
	s_or_b32 exec_lo, exec_lo, s4
	v_mov_b32_e32 v4, s12
	s_waitcnt_vscnt null, 0x0
	s_barrier
	buffer_gl0_inv
	s_mov_b32 s4, exec_lo
	s_clause 0x3
	buffer_load_dword v1, v4, s[0:3], 0 offen
	buffer_load_dword v2, v4, s[0:3], 0 offen offset:4
	buffer_load_dword v3, v4, s[0:3], 0 offen offset:8
	;; [unrolled: 1-line block ×3, first 2 shown]
	s_waitcnt vmcnt(0)
	ds_write_b128 v5, v[1:4]
	s_waitcnt lgkmcnt(0)
	s_barrier
	buffer_gl0_inv
	v_cmpx_gt_u32_e32 57, v0
	s_cbranch_execz .LBB59_243
; %bb.240:
	v_mov_b32_e32 v1, 0
	v_mov_b32_e32 v3, 0
	v_add_nc_u32_e32 v7, -1, v0
	v_add_nc_u32_e32 v8, 0x3c0, v247
	v_mov_b32_e32 v2, 0
	v_mov_b32_e32 v4, 0
	v_add_nc_u32_e32 v9, 16, v247
	s_mov_b32 s5, 0
	.p2align	6
.LBB59_241:                             ; =>This Inner Loop Header: Depth=1
	s_clause 0x3
	buffer_load_dword v14, v9, s[0:3], 0 offen offset:8
	buffer_load_dword v15, v9, s[0:3], 0 offen offset:12
	buffer_load_dword v16, v9, s[0:3], 0 offen
	buffer_load_dword v17, v9, s[0:3], 0 offen offset:4
	ds_read_b128 v[10:13], v8
	v_add_nc_u32_e32 v7, 1, v7
	v_add_nc_u32_e32 v8, 16, v8
	;; [unrolled: 1-line block ×3, first 2 shown]
	v_cmp_lt_u32_e32 vcc_lo, 55, v7
	s_or_b32 s5, vcc_lo, s5
	s_waitcnt vmcnt(2) lgkmcnt(0)
	v_mul_f64 v[18:19], v[12:13], v[14:15]
	v_mul_f64 v[14:15], v[10:11], v[14:15]
	s_waitcnt vmcnt(0)
	v_fma_f64 v[10:11], v[10:11], v[16:17], -v[18:19]
	v_fma_f64 v[12:13], v[12:13], v[16:17], v[14:15]
	v_add_f64 v[3:4], v[3:4], v[10:11]
	v_add_f64 v[1:2], v[1:2], v[12:13]
	s_andn2_b32 exec_lo, exec_lo, s5
	s_cbranch_execnz .LBB59_241
; %bb.242:
	s_or_b32 exec_lo, exec_lo, s5
	v_mov_b32_e32 v7, 0
	ds_read_b128 v[7:10], v7 offset:912
	s_waitcnt lgkmcnt(0)
	v_mul_f64 v[11:12], v[1:2], v[9:10]
	v_mul_f64 v[9:10], v[3:4], v[9:10]
	v_fma_f64 v[3:4], v[3:4], v[7:8], -v[11:12]
	v_fma_f64 v[1:2], v[1:2], v[7:8], v[9:10]
	buffer_store_dword v4, off, s[0:3], 0 offset:932
	buffer_store_dword v3, off, s[0:3], 0 offset:928
	buffer_store_dword v2, off, s[0:3], 0 offset:940
	buffer_store_dword v1, off, s[0:3], 0 offset:936
.LBB59_243:
	s_or_b32 exec_lo, exec_lo, s4
	v_mov_b32_e32 v4, s9
	s_waitcnt_vscnt null, 0x0
	s_barrier
	buffer_gl0_inv
	s_mov_b32 s4, exec_lo
	s_clause 0x3
	buffer_load_dword v1, v4, s[0:3], 0 offen
	buffer_load_dword v2, v4, s[0:3], 0 offen offset:4
	buffer_load_dword v3, v4, s[0:3], 0 offen offset:8
	buffer_load_dword v4, v4, s[0:3], 0 offen offset:12
	s_waitcnt vmcnt(0)
	ds_write_b128 v5, v[1:4]
	s_waitcnt lgkmcnt(0)
	s_barrier
	buffer_gl0_inv
	v_cmpx_gt_u32_e32 58, v0
	s_cbranch_execz .LBB59_247
; %bb.244:
	v_mov_b32_e32 v1, 0
	v_mov_b32_e32 v3, 0
	v_add_nc_u32_e32 v7, -1, v0
	v_add_nc_u32_e32 v8, 0x3c0, v247
	v_mov_b32_e32 v2, 0
	v_mov_b32_e32 v4, 0
	v_add_nc_u32_e32 v9, 16, v247
	s_mov_b32 s5, 0
	.p2align	6
.LBB59_245:                             ; =>This Inner Loop Header: Depth=1
	s_clause 0x3
	buffer_load_dword v14, v9, s[0:3], 0 offen offset:8
	buffer_load_dword v15, v9, s[0:3], 0 offen offset:12
	buffer_load_dword v16, v9, s[0:3], 0 offen
	buffer_load_dword v17, v9, s[0:3], 0 offen offset:4
	ds_read_b128 v[10:13], v8
	v_add_nc_u32_e32 v7, 1, v7
	v_add_nc_u32_e32 v8, 16, v8
	;; [unrolled: 1-line block ×3, first 2 shown]
	v_cmp_lt_u32_e32 vcc_lo, 56, v7
	s_or_b32 s5, vcc_lo, s5
	s_waitcnt vmcnt(2) lgkmcnt(0)
	v_mul_f64 v[18:19], v[12:13], v[14:15]
	v_mul_f64 v[14:15], v[10:11], v[14:15]
	s_waitcnt vmcnt(0)
	v_fma_f64 v[10:11], v[10:11], v[16:17], -v[18:19]
	v_fma_f64 v[12:13], v[12:13], v[16:17], v[14:15]
	v_add_f64 v[3:4], v[3:4], v[10:11]
	v_add_f64 v[1:2], v[1:2], v[12:13]
	s_andn2_b32 exec_lo, exec_lo, s5
	s_cbranch_execnz .LBB59_245
; %bb.246:
	s_or_b32 exec_lo, exec_lo, s5
	v_mov_b32_e32 v7, 0
	ds_read_b128 v[7:10], v7 offset:928
	s_waitcnt lgkmcnt(0)
	v_mul_f64 v[11:12], v[1:2], v[9:10]
	v_mul_f64 v[9:10], v[3:4], v[9:10]
	v_fma_f64 v[3:4], v[3:4], v[7:8], -v[11:12]
	v_fma_f64 v[1:2], v[1:2], v[7:8], v[9:10]
	buffer_store_dword v4, off, s[0:3], 0 offset:948
	buffer_store_dword v3, off, s[0:3], 0 offset:944
	;; [unrolled: 1-line block ×4, first 2 shown]
.LBB59_247:
	s_or_b32 exec_lo, exec_lo, s4
	v_mov_b32_e32 v4, s8
	s_waitcnt_vscnt null, 0x0
	s_barrier
	buffer_gl0_inv
	s_mov_b32 s4, exec_lo
	s_clause 0x3
	buffer_load_dword v1, v4, s[0:3], 0 offen
	buffer_load_dword v2, v4, s[0:3], 0 offen offset:4
	buffer_load_dword v3, v4, s[0:3], 0 offen offset:8
	;; [unrolled: 1-line block ×3, first 2 shown]
	s_waitcnt vmcnt(0)
	ds_write_b128 v5, v[1:4]
	s_waitcnt lgkmcnt(0)
	s_barrier
	buffer_gl0_inv
	v_cmpx_ne_u32_e32 59, v0
	s_cbranch_execz .LBB59_251
; %bb.248:
	v_mov_b32_e32 v1, 0
	v_mov_b32_e32 v3, 0
	;; [unrolled: 1-line block ×4, first 2 shown]
	v_add_nc_u32_e32 v7, 16, v247
	s_mov_b32 s5, 0
	.p2align	6
.LBB59_249:                             ; =>This Inner Loop Header: Depth=1
	s_clause 0x3
	buffer_load_dword v12, v7, s[0:3], 0 offen offset:8
	buffer_load_dword v13, v7, s[0:3], 0 offen offset:12
	buffer_load_dword v14, v7, s[0:3], 0 offen
	buffer_load_dword v15, v7, s[0:3], 0 offen offset:4
	ds_read_b128 v[8:11], v5
	v_add_nc_u32_e32 v6, 1, v6
	v_add_nc_u32_e32 v5, 16, v5
	;; [unrolled: 1-line block ×3, first 2 shown]
	v_cmp_lt_u32_e32 vcc_lo, 57, v6
	s_or_b32 s5, vcc_lo, s5
	s_waitcnt vmcnt(2) lgkmcnt(0)
	v_mul_f64 v[16:17], v[10:11], v[12:13]
	v_mul_f64 v[12:13], v[8:9], v[12:13]
	s_waitcnt vmcnt(0)
	v_fma_f64 v[8:9], v[8:9], v[14:15], -v[16:17]
	v_fma_f64 v[10:11], v[10:11], v[14:15], v[12:13]
	v_add_f64 v[3:4], v[3:4], v[8:9]
	v_add_f64 v[1:2], v[1:2], v[10:11]
	s_andn2_b32 exec_lo, exec_lo, s5
	s_cbranch_execnz .LBB59_249
; %bb.250:
	s_or_b32 exec_lo, exec_lo, s5
	v_mov_b32_e32 v5, 0
	ds_read_b128 v[5:8], v5 offset:944
	s_waitcnt lgkmcnt(0)
	v_mul_f64 v[9:10], v[1:2], v[7:8]
	v_mul_f64 v[7:8], v[3:4], v[7:8]
	v_fma_f64 v[3:4], v[3:4], v[5:6], -v[9:10]
	v_fma_f64 v[1:2], v[1:2], v[5:6], v[7:8]
	buffer_store_dword v4, off, s[0:3], 0 offset:964
	buffer_store_dword v3, off, s[0:3], 0 offset:960
	buffer_store_dword v2, off, s[0:3], 0 offset:972
	buffer_store_dword v1, off, s[0:3], 0 offset:968
.LBB59_251:
	s_or_b32 exec_lo, exec_lo, s4
	s_mov_b32 s5, -1
	s_waitcnt_vscnt null, 0x0
	s_barrier
	buffer_gl0_inv
.LBB59_252:
	s_and_b32 vcc_lo, exec_lo, s5
	s_cbranch_vccz .LBB59_254
; %bb.253:
	s_lshl_b64 s[4:5], s[6:7], 2
	v_mov_b32_e32 v1, 0
	s_add_u32 s4, s10, s4
	s_addc_u32 s5, s11, s5
	global_load_dword v1, v1, s[4:5]
	s_waitcnt vmcnt(0)
	v_cmp_ne_u32_e32 vcc_lo, 0, v1
	s_cbranch_vccz .LBB59_255
.LBB59_254:
	s_endpgm
.LBB59_255:
	v_lshl_add_u32 v69, v0, 4, 0x3c0
	s_mov_b32 s4, exec_lo
	v_cmpx_eq_u32_e32 59, v0
	s_cbranch_execz .LBB59_257
; %bb.256:
	v_mov_b32_e32 v4, s9
	v_mov_b32_e32 v5, 0
	s_clause 0x3
	buffer_load_dword v1, v4, s[0:3], 0 offen
	buffer_load_dword v2, v4, s[0:3], 0 offen offset:4
	buffer_load_dword v3, v4, s[0:3], 0 offen offset:8
	;; [unrolled: 1-line block ×3, first 2 shown]
	buffer_store_dword v5, off, s[0:3], 0 offset:944
	buffer_store_dword v5, off, s[0:3], 0 offset:948
	;; [unrolled: 1-line block ×4, first 2 shown]
	s_waitcnt vmcnt(0)
	ds_write_b128 v69, v[1:4]
.LBB59_257:
	s_or_b32 exec_lo, exec_lo, s4
	s_waitcnt lgkmcnt(0)
	s_waitcnt_vscnt null, 0x0
	s_barrier
	buffer_gl0_inv
	s_clause 0x7
	buffer_load_dword v6, off, s[0:3], 0 offset:968
	buffer_load_dword v7, off, s[0:3], 0 offset:972
	;; [unrolled: 1-line block ×8, first 2 shown]
	v_mov_b32_e32 v1, 0
	s_mov_b32 s4, exec_lo
	ds_read_b128 v[2:5], v1 offset:1904
	s_waitcnt vmcnt(6) lgkmcnt(0)
	v_mul_f64 v[14:15], v[4:5], v[6:7]
	v_mul_f64 v[6:7], v[2:3], v[6:7]
	s_waitcnt vmcnt(4)
	v_fma_f64 v[2:3], v[2:3], v[8:9], -v[14:15]
	v_fma_f64 v[4:5], v[4:5], v[8:9], v[6:7]
	v_add_f64 v[2:3], v[2:3], 0
	v_add_f64 v[4:5], v[4:5], 0
	s_waitcnt vmcnt(2)
	v_add_f64 v[2:3], v[10:11], -v[2:3]
	s_waitcnt vmcnt(0)
	v_add_f64 v[4:5], v[12:13], -v[4:5]
	buffer_store_dword v2, off, s[0:3], 0 offset:944
	buffer_store_dword v3, off, s[0:3], 0 offset:948
	;; [unrolled: 1-line block ×4, first 2 shown]
	v_cmpx_lt_u32_e32 57, v0
	s_cbranch_execz .LBB59_259
; %bb.258:
	v_mov_b32_e32 v5, s12
	s_clause 0x3
	buffer_load_dword v2, v5, s[0:3], 0 offen
	buffer_load_dword v3, v5, s[0:3], 0 offen offset:4
	buffer_load_dword v4, v5, s[0:3], 0 offen offset:8
	;; [unrolled: 1-line block ×3, first 2 shown]
	buffer_store_dword v1, off, s[0:3], 0 offset:928
	buffer_store_dword v1, off, s[0:3], 0 offset:932
	;; [unrolled: 1-line block ×4, first 2 shown]
	s_waitcnt vmcnt(0)
	ds_write_b128 v69, v[2:5]
.LBB59_259:
	s_or_b32 exec_lo, exec_lo, s4
	s_waitcnt lgkmcnt(0)
	s_waitcnt_vscnt null, 0x0
	s_barrier
	buffer_gl0_inv
	s_clause 0xb
	buffer_load_dword v10, off, s[0:3], 0 offset:952
	buffer_load_dword v11, off, s[0:3], 0 offset:956
	buffer_load_dword v12, off, s[0:3], 0 offset:968
	buffer_load_dword v13, off, s[0:3], 0 offset:972
	buffer_load_dword v14, off, s[0:3], 0 offset:944
	buffer_load_dword v15, off, s[0:3], 0 offset:948
	buffer_load_dword v16, off, s[0:3], 0 offset:960
	buffer_load_dword v17, off, s[0:3], 0 offset:964
	buffer_load_dword v18, off, s[0:3], 0 offset:928
	buffer_load_dword v19, off, s[0:3], 0 offset:932
	buffer_load_dword v20, off, s[0:3], 0 offset:936
	buffer_load_dword v21, off, s[0:3], 0 offset:940
	ds_read_b128 v[2:5], v1 offset:1888
	ds_read_b128 v[6:9], v1 offset:1904
	s_mov_b32 s4, exec_lo
	s_waitcnt vmcnt(10) lgkmcnt(1)
	v_mul_f64 v[22:23], v[4:5], v[10:11]
	v_mul_f64 v[10:11], v[2:3], v[10:11]
	s_waitcnt vmcnt(8) lgkmcnt(0)
	v_mul_f64 v[24:25], v[8:9], v[12:13]
	v_mul_f64 v[12:13], v[6:7], v[12:13]
	s_waitcnt vmcnt(6)
	v_fma_f64 v[1:2], v[2:3], v[14:15], -v[22:23]
	v_fma_f64 v[3:4], v[4:5], v[14:15], v[10:11]
	s_waitcnt vmcnt(4)
	v_fma_f64 v[5:6], v[6:7], v[16:17], -v[24:25]
	v_fma_f64 v[7:8], v[8:9], v[16:17], v[12:13]
	v_add_f64 v[1:2], v[1:2], 0
	v_add_f64 v[3:4], v[3:4], 0
	;; [unrolled: 1-line block ×4, first 2 shown]
	s_waitcnt vmcnt(2)
	v_add_f64 v[1:2], v[18:19], -v[1:2]
	s_waitcnt vmcnt(0)
	v_add_f64 v[3:4], v[20:21], -v[3:4]
	buffer_store_dword v1, off, s[0:3], 0 offset:928
	buffer_store_dword v2, off, s[0:3], 0 offset:932
	;; [unrolled: 1-line block ×4, first 2 shown]
	v_cmpx_lt_u32_e32 56, v0
	s_cbranch_execz .LBB59_261
; %bb.260:
	v_mov_b32_e32 v4, s13
	v_mov_b32_e32 v5, 0
	s_clause 0x3
	buffer_load_dword v1, v4, s[0:3], 0 offen
	buffer_load_dword v2, v4, s[0:3], 0 offen offset:4
	buffer_load_dword v3, v4, s[0:3], 0 offen offset:8
	;; [unrolled: 1-line block ×3, first 2 shown]
	buffer_store_dword v5, off, s[0:3], 0 offset:912
	buffer_store_dword v5, off, s[0:3], 0 offset:916
	;; [unrolled: 1-line block ×4, first 2 shown]
	s_waitcnt vmcnt(0)
	ds_write_b128 v69, v[1:4]
.LBB59_261:
	s_or_b32 exec_lo, exec_lo, s4
	s_waitcnt lgkmcnt(0)
	s_waitcnt_vscnt null, 0x0
	s_barrier
	buffer_gl0_inv
	s_clause 0xf
	buffer_load_dword v10, off, s[0:3], 0 offset:936
	buffer_load_dword v11, off, s[0:3], 0 offset:940
	;; [unrolled: 1-line block ×16, first 2 shown]
	v_mov_b32_e32 v1, 0
	ds_read_b128 v[2:5], v1 offset:1872
	ds_read_b128 v[6:9], v1 offset:1888
	s_mov_b32 s4, exec_lo
	s_waitcnt vmcnt(14) lgkmcnt(1)
	v_mul_f64 v[28:29], v[4:5], v[10:11]
	v_mul_f64 v[30:31], v[2:3], v[10:11]
	s_waitcnt vmcnt(12) lgkmcnt(0)
	v_mul_f64 v[32:33], v[8:9], v[14:15]
	ds_read_b128 v[10:13], v1 offset:1904
	v_mul_f64 v[14:15], v[6:7], v[14:15]
	s_waitcnt vmcnt(10)
	v_fma_f64 v[2:3], v[2:3], v[16:17], -v[28:29]
	v_fma_f64 v[4:5], v[4:5], v[16:17], v[30:31]
	s_waitcnt vmcnt(8) lgkmcnt(0)
	v_mul_f64 v[16:17], v[10:11], v[18:19]
	v_mul_f64 v[18:19], v[12:13], v[18:19]
	s_waitcnt vmcnt(6)
	v_fma_f64 v[6:7], v[6:7], v[20:21], -v[32:33]
	v_fma_f64 v[8:9], v[8:9], v[20:21], v[14:15]
	v_add_f64 v[2:3], v[2:3], 0
	v_add_f64 v[4:5], v[4:5], 0
	s_waitcnt vmcnt(4)
	v_fma_f64 v[10:11], v[10:11], v[22:23], -v[18:19]
	v_add_f64 v[2:3], v[2:3], v[6:7]
	v_fma_f64 v[6:7], v[12:13], v[22:23], v[16:17]
	v_add_f64 v[4:5], v[4:5], v[8:9]
	v_add_f64 v[2:3], v[2:3], v[10:11]
	;; [unrolled: 1-line block ×3, first 2 shown]
	s_waitcnt vmcnt(2)
	v_add_f64 v[2:3], v[24:25], -v[2:3]
	s_waitcnt vmcnt(0)
	v_add_f64 v[4:5], v[26:27], -v[4:5]
	buffer_store_dword v2, off, s[0:3], 0 offset:912
	buffer_store_dword v3, off, s[0:3], 0 offset:916
	;; [unrolled: 1-line block ×4, first 2 shown]
	v_cmpx_lt_u32_e32 55, v0
	s_cbranch_execz .LBB59_263
; %bb.262:
	v_mov_b32_e32 v5, s14
	s_clause 0x3
	buffer_load_dword v2, v5, s[0:3], 0 offen
	buffer_load_dword v3, v5, s[0:3], 0 offen offset:4
	buffer_load_dword v4, v5, s[0:3], 0 offen offset:8
	;; [unrolled: 1-line block ×3, first 2 shown]
	buffer_store_dword v1, off, s[0:3], 0 offset:896
	buffer_store_dword v1, off, s[0:3], 0 offset:900
	;; [unrolled: 1-line block ×4, first 2 shown]
	s_waitcnt vmcnt(0)
	ds_write_b128 v69, v[2:5]
.LBB59_263:
	s_or_b32 exec_lo, exec_lo, s4
	s_waitcnt lgkmcnt(0)
	s_waitcnt_vscnt null, 0x0
	s_barrier
	buffer_gl0_inv
	s_clause 0x13
	buffer_load_dword v10, off, s[0:3], 0 offset:920
	buffer_load_dword v11, off, s[0:3], 0 offset:924
	;; [unrolled: 1-line block ×20, first 2 shown]
	ds_read_b128 v[2:5], v1 offset:1856
	ds_read_b128 v[6:9], v1 offset:1872
	s_mov_b32 s4, exec_lo
	s_waitcnt vmcnt(18) lgkmcnt(1)
	v_mul_f64 v[32:33], v[4:5], v[10:11]
	v_mul_f64 v[34:35], v[2:3], v[10:11]
	s_waitcnt vmcnt(16) lgkmcnt(0)
	v_mul_f64 v[36:37], v[8:9], v[14:15]
	ds_read_b128 v[10:13], v1 offset:1888
	v_mul_f64 v[14:15], v[6:7], v[14:15]
	s_waitcnt vmcnt(14)
	v_fma_f64 v[32:33], v[2:3], v[16:17], -v[32:33]
	v_fma_f64 v[16:17], v[4:5], v[16:17], v[34:35]
	s_waitcnt vmcnt(12) lgkmcnt(0)
	v_mul_f64 v[34:35], v[10:11], v[18:19]
	v_mul_f64 v[18:19], v[12:13], v[18:19]
	s_waitcnt vmcnt(10)
	v_fma_f64 v[5:6], v[6:7], v[20:21], -v[36:37]
	ds_read_b128 v[1:4], v1 offset:1904
	v_fma_f64 v[7:8], v[8:9], v[20:21], v[14:15]
	v_add_f64 v[32:33], v[32:33], 0
	v_add_f64 v[14:15], v[16:17], 0
	s_waitcnt vmcnt(8) lgkmcnt(0)
	v_mul_f64 v[20:21], v[3:4], v[22:23]
	s_waitcnt vmcnt(6)
	v_fma_f64 v[9:10], v[10:11], v[24:25], -v[18:19]
	v_mul_f64 v[16:17], v[1:2], v[22:23]
	v_fma_f64 v[11:12], v[12:13], v[24:25], v[34:35]
	v_add_f64 v[5:6], v[32:33], v[5:6]
	v_add_f64 v[7:8], v[14:15], v[7:8]
	s_waitcnt vmcnt(4)
	v_fma_f64 v[1:2], v[1:2], v[26:27], -v[20:21]
	v_fma_f64 v[3:4], v[3:4], v[26:27], v[16:17]
	v_add_f64 v[5:6], v[5:6], v[9:10]
	v_add_f64 v[7:8], v[7:8], v[11:12]
	;; [unrolled: 1-line block ×4, first 2 shown]
	s_waitcnt vmcnt(2)
	v_add_f64 v[1:2], v[28:29], -v[1:2]
	s_waitcnt vmcnt(0)
	v_add_f64 v[3:4], v[30:31], -v[3:4]
	buffer_store_dword v1, off, s[0:3], 0 offset:896
	buffer_store_dword v2, off, s[0:3], 0 offset:900
	;; [unrolled: 1-line block ×4, first 2 shown]
	v_cmpx_lt_u32_e32 54, v0
	s_cbranch_execz .LBB59_265
; %bb.264:
	v_mov_b32_e32 v4, s15
	v_mov_b32_e32 v5, 0
	s_clause 0x3
	buffer_load_dword v1, v4, s[0:3], 0 offen
	buffer_load_dword v2, v4, s[0:3], 0 offen offset:4
	buffer_load_dword v3, v4, s[0:3], 0 offen offset:8
	;; [unrolled: 1-line block ×3, first 2 shown]
	buffer_store_dword v5, off, s[0:3], 0 offset:880
	buffer_store_dword v5, off, s[0:3], 0 offset:884
	;; [unrolled: 1-line block ×4, first 2 shown]
	s_waitcnt vmcnt(0)
	ds_write_b128 v69, v[1:4]
.LBB59_265:
	s_or_b32 exec_lo, exec_lo, s4
	s_waitcnt lgkmcnt(0)
	s_waitcnt_vscnt null, 0x0
	s_barrier
	buffer_gl0_inv
	s_clause 0x17
	buffer_load_dword v10, off, s[0:3], 0 offset:904
	buffer_load_dword v11, off, s[0:3], 0 offset:908
	;; [unrolled: 1-line block ×24, first 2 shown]
	v_mov_b32_e32 v1, 0
	ds_read_b128 v[2:5], v1 offset:1840
	ds_read_b128 v[6:9], v1 offset:1856
	s_mov_b32 s4, exec_lo
	s_waitcnt vmcnt(22) lgkmcnt(1)
	v_mul_f64 v[36:37], v[4:5], v[10:11]
	v_mul_f64 v[38:39], v[2:3], v[10:11]
	s_waitcnt vmcnt(20) lgkmcnt(0)
	v_mul_f64 v[40:41], v[8:9], v[14:15]
	ds_read_b128 v[10:13], v1 offset:1872
	v_mul_f64 v[14:15], v[6:7], v[14:15]
	s_waitcnt vmcnt(18)
	v_fma_f64 v[36:37], v[2:3], v[16:17], -v[36:37]
	v_fma_f64 v[16:17], v[4:5], v[16:17], v[38:39]
	ds_read_b128 v[2:5], v1 offset:1888
	s_waitcnt vmcnt(16) lgkmcnt(1)
	v_mul_f64 v[38:39], v[10:11], v[18:19]
	v_mul_f64 v[18:19], v[12:13], v[18:19]
	s_waitcnt vmcnt(14)
	v_fma_f64 v[40:41], v[6:7], v[20:21], -v[40:41]
	v_fma_f64 v[14:15], v[8:9], v[20:21], v[14:15]
	ds_read_b128 v[6:9], v1 offset:1904
	s_waitcnt vmcnt(10) lgkmcnt(1)
	v_mul_f64 v[20:21], v[2:3], v[22:23]
	v_add_f64 v[36:37], v[36:37], 0
	v_add_f64 v[16:17], v[16:17], 0
	v_mul_f64 v[22:23], v[4:5], v[22:23]
	s_waitcnt vmcnt(8)
	v_fma_f64 v[10:11], v[10:11], v[28:29], -v[18:19]
	v_fma_f64 v[12:13], v[12:13], v[28:29], v[38:39]
	s_waitcnt vmcnt(5)
	v_fma_f64 v[4:5], v[4:5], v[30:31], v[20:21]
	v_add_f64 v[18:19], v[36:37], v[40:41]
	v_add_f64 v[14:15], v[16:17], v[14:15]
	s_waitcnt lgkmcnt(0)
	v_mul_f64 v[16:17], v[6:7], v[24:25]
	v_mul_f64 v[24:25], v[8:9], v[24:25]
	v_fma_f64 v[2:3], v[2:3], v[30:31], -v[22:23]
	v_add_f64 v[10:11], v[18:19], v[10:11]
	v_add_f64 v[12:13], v[14:15], v[12:13]
	s_waitcnt vmcnt(4)
	v_fma_f64 v[8:9], v[8:9], v[26:27], v[16:17]
	v_fma_f64 v[6:7], v[6:7], v[26:27], -v[24:25]
	v_add_f64 v[2:3], v[10:11], v[2:3]
	v_add_f64 v[4:5], v[12:13], v[4:5]
	;; [unrolled: 1-line block ×4, first 2 shown]
	s_waitcnt vmcnt(2)
	v_add_f64 v[2:3], v[32:33], -v[2:3]
	s_waitcnt vmcnt(0)
	v_add_f64 v[4:5], v[34:35], -v[4:5]
	buffer_store_dword v3, off, s[0:3], 0 offset:884
	buffer_store_dword v2, off, s[0:3], 0 offset:880
	;; [unrolled: 1-line block ×4, first 2 shown]
	v_cmpx_lt_u32_e32 53, v0
	s_cbranch_execz .LBB59_267
; %bb.266:
	v_mov_b32_e32 v5, s16
	s_clause 0x3
	buffer_load_dword v2, v5, s[0:3], 0 offen
	buffer_load_dword v3, v5, s[0:3], 0 offen offset:4
	buffer_load_dword v4, v5, s[0:3], 0 offen offset:8
	;; [unrolled: 1-line block ×3, first 2 shown]
	buffer_store_dword v1, off, s[0:3], 0 offset:864
	buffer_store_dword v1, off, s[0:3], 0 offset:868
	;; [unrolled: 1-line block ×4, first 2 shown]
	s_waitcnt vmcnt(0)
	ds_write_b128 v69, v[2:5]
.LBB59_267:
	s_or_b32 exec_lo, exec_lo, s4
	s_waitcnt lgkmcnt(0)
	s_waitcnt_vscnt null, 0x0
	s_barrier
	buffer_gl0_inv
	s_clause 0x1b
	buffer_load_dword v10, off, s[0:3], 0 offset:888
	buffer_load_dword v11, off, s[0:3], 0 offset:892
	;; [unrolled: 1-line block ×28, first 2 shown]
	ds_read_b128 v[2:5], v1 offset:1824
	ds_read_b128 v[6:9], v1 offset:1840
	s_mov_b32 s4, exec_lo
	s_waitcnt vmcnt(26) lgkmcnt(1)
	v_mul_f64 v[40:41], v[4:5], v[10:11]
	v_mul_f64 v[42:43], v[2:3], v[10:11]
	s_waitcnt vmcnt(24) lgkmcnt(0)
	v_mul_f64 v[44:45], v[8:9], v[14:15]
	ds_read_b128 v[10:13], v1 offset:1856
	v_mul_f64 v[14:15], v[6:7], v[14:15]
	s_waitcnt vmcnt(22)
	v_fma_f64 v[40:41], v[2:3], v[16:17], -v[40:41]
	v_fma_f64 v[16:17], v[4:5], v[16:17], v[42:43]
	ds_read_b128 v[2:5], v1 offset:1872
	s_waitcnt vmcnt(20) lgkmcnt(1)
	v_mul_f64 v[42:43], v[10:11], v[18:19]
	v_mul_f64 v[18:19], v[12:13], v[18:19]
	s_waitcnt vmcnt(18)
	v_fma_f64 v[44:45], v[6:7], v[20:21], -v[44:45]
	v_fma_f64 v[14:15], v[8:9], v[20:21], v[14:15]
	ds_read_b128 v[6:9], v1 offset:1888
	s_waitcnt vmcnt(14) lgkmcnt(1)
	v_mul_f64 v[20:21], v[2:3], v[22:23]
	v_add_f64 v[40:41], v[40:41], 0
	v_add_f64 v[16:17], v[16:17], 0
	v_mul_f64 v[22:23], v[4:5], v[22:23]
	s_waitcnt vmcnt(12)
	v_fma_f64 v[18:19], v[10:11], v[28:29], -v[18:19]
	v_fma_f64 v[28:29], v[12:13], v[28:29], v[42:43]
	ds_read_b128 v[10:13], v1 offset:1904
	v_add_f64 v[40:41], v[40:41], v[44:45]
	v_add_f64 v[14:15], v[16:17], v[14:15]
	s_waitcnt vmcnt(11) lgkmcnt(1)
	v_mul_f64 v[16:17], v[6:7], v[24:25]
	v_mul_f64 v[24:25], v[8:9], v[24:25]
	s_waitcnt vmcnt(9)
	v_fma_f64 v[1:2], v[2:3], v[30:31], -v[22:23]
	v_fma_f64 v[3:4], v[4:5], v[30:31], v[20:21]
	s_waitcnt vmcnt(7) lgkmcnt(0)
	v_mul_f64 v[22:23], v[12:13], v[32:33]
	v_mul_f64 v[20:21], v[10:11], v[32:33]
	v_add_f64 v[18:19], v[40:41], v[18:19]
	v_add_f64 v[14:15], v[14:15], v[28:29]
	s_waitcnt vmcnt(6)
	v_fma_f64 v[5:6], v[6:7], v[26:27], -v[24:25]
	v_fma_f64 v[7:8], v[8:9], v[26:27], v[16:17]
	s_waitcnt vmcnt(4)
	v_fma_f64 v[9:10], v[10:11], v[34:35], -v[22:23]
	v_add_f64 v[1:2], v[18:19], v[1:2]
	v_add_f64 v[3:4], v[14:15], v[3:4]
	;; [unrolled: 1-line block ×3, first 2 shown]
	v_fma_f64 v[5:6], v[12:13], v[34:35], v[20:21]
	v_add_f64 v[3:4], v[3:4], v[7:8]
	v_add_f64 v[1:2], v[1:2], v[9:10]
	;; [unrolled: 1-line block ×3, first 2 shown]
	s_waitcnt vmcnt(2)
	v_add_f64 v[1:2], v[36:37], -v[1:2]
	s_waitcnt vmcnt(0)
	v_add_f64 v[3:4], v[38:39], -v[3:4]
	buffer_store_dword v2, off, s[0:3], 0 offset:868
	buffer_store_dword v1, off, s[0:3], 0 offset:864
	;; [unrolled: 1-line block ×4, first 2 shown]
	v_cmpx_lt_u32_e32 52, v0
	s_cbranch_execz .LBB59_269
; %bb.268:
	v_mov_b32_e32 v4, s17
	v_mov_b32_e32 v5, 0
	s_clause 0x3
	buffer_load_dword v1, v4, s[0:3], 0 offen
	buffer_load_dword v2, v4, s[0:3], 0 offen offset:4
	buffer_load_dword v3, v4, s[0:3], 0 offen offset:8
	;; [unrolled: 1-line block ×3, first 2 shown]
	buffer_store_dword v5, off, s[0:3], 0 offset:848
	buffer_store_dword v5, off, s[0:3], 0 offset:852
	;; [unrolled: 1-line block ×4, first 2 shown]
	s_waitcnt vmcnt(0)
	ds_write_b128 v69, v[1:4]
.LBB59_269:
	s_or_b32 exec_lo, exec_lo, s4
	s_waitcnt lgkmcnt(0)
	s_waitcnt_vscnt null, 0x0
	s_barrier
	buffer_gl0_inv
	s_clause 0x1f
	buffer_load_dword v10, off, s[0:3], 0 offset:872
	buffer_load_dword v11, off, s[0:3], 0 offset:876
	;; [unrolled: 1-line block ×32, first 2 shown]
	v_mov_b32_e32 v1, 0
	ds_read_b128 v[2:5], v1 offset:1808
	ds_read_b128 v[6:9], v1 offset:1824
	s_mov_b32 s4, exec_lo
	s_waitcnt vmcnt(30) lgkmcnt(1)
	v_mul_f64 v[44:45], v[4:5], v[10:11]
	v_mul_f64 v[46:47], v[2:3], v[10:11]
	s_waitcnt vmcnt(28) lgkmcnt(0)
	v_mul_f64 v[48:49], v[8:9], v[14:15]
	ds_read_b128 v[10:13], v1 offset:1840
	v_mul_f64 v[14:15], v[6:7], v[14:15]
	s_waitcnt vmcnt(26)
	v_fma_f64 v[44:45], v[2:3], v[16:17], -v[44:45]
	v_fma_f64 v[16:17], v[4:5], v[16:17], v[46:47]
	ds_read_b128 v[2:5], v1 offset:1856
	s_waitcnt vmcnt(24) lgkmcnt(1)
	v_mul_f64 v[46:47], v[10:11], v[18:19]
	v_mul_f64 v[18:19], v[12:13], v[18:19]
	s_waitcnt vmcnt(22)
	v_fma_f64 v[48:49], v[6:7], v[20:21], -v[48:49]
	v_fma_f64 v[14:15], v[8:9], v[20:21], v[14:15]
	ds_read_b128 v[6:9], v1 offset:1872
	s_waitcnt vmcnt(18) lgkmcnt(1)
	v_mul_f64 v[20:21], v[2:3], v[22:23]
	v_add_f64 v[44:45], v[44:45], 0
	v_add_f64 v[16:17], v[16:17], 0
	v_mul_f64 v[22:23], v[4:5], v[22:23]
	s_waitcnt vmcnt(16)
	v_fma_f64 v[18:19], v[10:11], v[28:29], -v[18:19]
	v_fma_f64 v[28:29], v[12:13], v[28:29], v[46:47]
	ds_read_b128 v[10:13], v1 offset:1888
	s_waitcnt vmcnt(13)
	v_fma_f64 v[20:21], v[4:5], v[30:31], v[20:21]
	v_add_f64 v[44:45], v[44:45], v[48:49]
	v_add_f64 v[14:15], v[16:17], v[14:15]
	s_waitcnt lgkmcnt(1)
	v_mul_f64 v[16:17], v[6:7], v[24:25]
	v_mul_f64 v[24:25], v[8:9], v[24:25]
	v_fma_f64 v[22:23], v[2:3], v[30:31], -v[22:23]
	s_waitcnt vmcnt(9) lgkmcnt(0)
	v_mul_f64 v[30:31], v[12:13], v[32:33]
	ds_read_b128 v[2:5], v1 offset:1904
	v_add_f64 v[18:19], v[44:45], v[18:19]
	v_add_f64 v[14:15], v[14:15], v[28:29]
	v_mul_f64 v[28:29], v[10:11], v[32:33]
	s_waitcnt vmcnt(8)
	v_fma_f64 v[6:7], v[6:7], v[26:27], -v[24:25]
	v_fma_f64 v[8:9], v[8:9], v[26:27], v[16:17]
	s_waitcnt vmcnt(5)
	v_fma_f64 v[10:11], v[10:11], v[38:39], -v[30:31]
	s_waitcnt lgkmcnt(0)
	v_mul_f64 v[16:17], v[2:3], v[34:35]
	v_add_f64 v[18:19], v[18:19], v[22:23]
	v_add_f64 v[14:15], v[14:15], v[20:21]
	v_mul_f64 v[20:21], v[4:5], v[34:35]
	v_fma_f64 v[12:13], v[12:13], v[38:39], v[28:29]
	s_waitcnt vmcnt(4)
	v_fma_f64 v[4:5], v[4:5], v[36:37], v[16:17]
	v_add_f64 v[6:7], v[18:19], v[6:7]
	v_add_f64 v[8:9], v[14:15], v[8:9]
	v_fma_f64 v[2:3], v[2:3], v[36:37], -v[20:21]
	v_add_f64 v[6:7], v[6:7], v[10:11]
	v_add_f64 v[8:9], v[8:9], v[12:13]
	;; [unrolled: 1-line block ×4, first 2 shown]
	s_waitcnt vmcnt(2)
	v_add_f64 v[2:3], v[40:41], -v[2:3]
	s_waitcnt vmcnt(0)
	v_add_f64 v[4:5], v[42:43], -v[4:5]
	buffer_store_dword v3, off, s[0:3], 0 offset:852
	buffer_store_dword v2, off, s[0:3], 0 offset:848
	;; [unrolled: 1-line block ×4, first 2 shown]
	v_cmpx_lt_u32_e32 51, v0
	s_cbranch_execz .LBB59_271
; %bb.270:
	v_mov_b32_e32 v5, s18
	s_clause 0x3
	buffer_load_dword v2, v5, s[0:3], 0 offen
	buffer_load_dword v3, v5, s[0:3], 0 offen offset:4
	buffer_load_dword v4, v5, s[0:3], 0 offen offset:8
	;; [unrolled: 1-line block ×3, first 2 shown]
	buffer_store_dword v1, off, s[0:3], 0 offset:832
	buffer_store_dword v1, off, s[0:3], 0 offset:836
	;; [unrolled: 1-line block ×4, first 2 shown]
	s_waitcnt vmcnt(0)
	ds_write_b128 v69, v[2:5]
.LBB59_271:
	s_or_b32 exec_lo, exec_lo, s4
	s_waitcnt lgkmcnt(0)
	s_waitcnt_vscnt null, 0x0
	s_barrier
	buffer_gl0_inv
	s_clause 0x23
	buffer_load_dword v10, off, s[0:3], 0 offset:856
	buffer_load_dword v11, off, s[0:3], 0 offset:860
	;; [unrolled: 1-line block ×36, first 2 shown]
	ds_read_b128 v[2:5], v1 offset:1792
	ds_read_b128 v[6:9], v1 offset:1808
	s_mov_b32 s4, exec_lo
	s_waitcnt vmcnt(34) lgkmcnt(1)
	v_mul_f64 v[48:49], v[4:5], v[10:11]
	v_mul_f64 v[50:51], v[2:3], v[10:11]
	s_waitcnt vmcnt(32) lgkmcnt(0)
	v_mul_f64 v[52:53], v[8:9], v[14:15]
	ds_read_b128 v[10:13], v1 offset:1824
	v_mul_f64 v[14:15], v[6:7], v[14:15]
	s_waitcnt vmcnt(30)
	v_fma_f64 v[48:49], v[2:3], v[16:17], -v[48:49]
	v_fma_f64 v[16:17], v[4:5], v[16:17], v[50:51]
	ds_read_b128 v[2:5], v1 offset:1840
	s_waitcnt vmcnt(28) lgkmcnt(1)
	v_mul_f64 v[50:51], v[10:11], v[18:19]
	v_mul_f64 v[18:19], v[12:13], v[18:19]
	s_waitcnt vmcnt(26)
	v_fma_f64 v[52:53], v[6:7], v[20:21], -v[52:53]
	v_fma_f64 v[14:15], v[8:9], v[20:21], v[14:15]
	ds_read_b128 v[6:9], v1 offset:1856
	s_waitcnt vmcnt(22) lgkmcnt(1)
	v_mul_f64 v[20:21], v[2:3], v[22:23]
	v_add_f64 v[48:49], v[48:49], 0
	v_add_f64 v[16:17], v[16:17], 0
	v_mul_f64 v[22:23], v[4:5], v[22:23]
	s_waitcnt vmcnt(20)
	v_fma_f64 v[18:19], v[10:11], v[28:29], -v[18:19]
	v_fma_f64 v[28:29], v[12:13], v[28:29], v[50:51]
	ds_read_b128 v[10:13], v1 offset:1872
	s_waitcnt vmcnt(17)
	v_fma_f64 v[20:21], v[4:5], v[30:31], v[20:21]
	v_add_f64 v[48:49], v[48:49], v[52:53]
	v_add_f64 v[14:15], v[16:17], v[14:15]
	s_waitcnt lgkmcnt(1)
	v_mul_f64 v[16:17], v[6:7], v[24:25]
	v_mul_f64 v[24:25], v[8:9], v[24:25]
	v_fma_f64 v[22:23], v[2:3], v[30:31], -v[22:23]
	s_waitcnt vmcnt(13) lgkmcnt(0)
	v_mul_f64 v[30:31], v[12:13], v[32:33]
	ds_read_b128 v[2:5], v1 offset:1888
	v_add_f64 v[18:19], v[48:49], v[18:19]
	v_add_f64 v[14:15], v[14:15], v[28:29]
	v_mul_f64 v[28:29], v[10:11], v[32:33]
	s_waitcnt vmcnt(12)
	v_fma_f64 v[24:25], v[6:7], v[26:27], -v[24:25]
	v_fma_f64 v[16:17], v[8:9], v[26:27], v[16:17]
	ds_read_b128 v[6:9], v1 offset:1904
	s_waitcnt vmcnt(9)
	v_fma_f64 v[10:11], v[10:11], v[38:39], -v[30:31]
	v_add_f64 v[18:19], v[18:19], v[22:23]
	v_add_f64 v[14:15], v[14:15], v[20:21]
	s_waitcnt lgkmcnt(1)
	v_mul_f64 v[22:23], v[4:5], v[34:35]
	v_mul_f64 v[20:21], v[2:3], v[34:35]
	v_fma_f64 v[12:13], v[12:13], v[38:39], v[28:29]
	v_add_f64 v[18:19], v[18:19], v[24:25]
	v_add_f64 v[14:15], v[14:15], v[16:17]
	s_waitcnt vmcnt(7) lgkmcnt(0)
	v_mul_f64 v[24:25], v[8:9], v[40:41]
	s_waitcnt vmcnt(6)
	v_fma_f64 v[1:2], v[2:3], v[36:37], -v[22:23]
	v_mul_f64 v[16:17], v[6:7], v[40:41]
	v_fma_f64 v[3:4], v[4:5], v[36:37], v[20:21]
	v_add_f64 v[10:11], v[18:19], v[10:11]
	v_add_f64 v[12:13], v[14:15], v[12:13]
	s_waitcnt vmcnt(4)
	v_fma_f64 v[5:6], v[6:7], v[42:43], -v[24:25]
	v_fma_f64 v[7:8], v[8:9], v[42:43], v[16:17]
	v_add_f64 v[1:2], v[10:11], v[1:2]
	v_add_f64 v[3:4], v[12:13], v[3:4]
	;; [unrolled: 1-line block ×4, first 2 shown]
	s_waitcnt vmcnt(2)
	v_add_f64 v[1:2], v[44:45], -v[1:2]
	s_waitcnt vmcnt(0)
	v_add_f64 v[3:4], v[46:47], -v[3:4]
	buffer_store_dword v2, off, s[0:3], 0 offset:836
	buffer_store_dword v1, off, s[0:3], 0 offset:832
	;; [unrolled: 1-line block ×4, first 2 shown]
	v_cmpx_lt_u32_e32 50, v0
	s_cbranch_execz .LBB59_273
; %bb.272:
	v_mov_b32_e32 v4, s19
	v_mov_b32_e32 v5, 0
	s_clause 0x3
	buffer_load_dword v1, v4, s[0:3], 0 offen
	buffer_load_dword v2, v4, s[0:3], 0 offen offset:4
	buffer_load_dword v3, v4, s[0:3], 0 offen offset:8
	;; [unrolled: 1-line block ×3, first 2 shown]
	buffer_store_dword v5, off, s[0:3], 0 offset:816
	buffer_store_dword v5, off, s[0:3], 0 offset:820
	;; [unrolled: 1-line block ×4, first 2 shown]
	s_waitcnt vmcnt(0)
	ds_write_b128 v69, v[1:4]
.LBB59_273:
	s_or_b32 exec_lo, exec_lo, s4
	s_waitcnt lgkmcnt(0)
	s_waitcnt_vscnt null, 0x0
	s_barrier
	buffer_gl0_inv
	s_clause 0x27
	buffer_load_dword v10, off, s[0:3], 0 offset:840
	buffer_load_dword v11, off, s[0:3], 0 offset:844
	;; [unrolled: 1-line block ×40, first 2 shown]
	v_mov_b32_e32 v1, 0
	ds_read_b128 v[2:5], v1 offset:1776
	ds_read_b128 v[6:9], v1 offset:1792
	s_mov_b32 s4, exec_lo
	s_waitcnt vmcnt(38) lgkmcnt(1)
	v_mul_f64 v[52:53], v[4:5], v[10:11]
	v_mul_f64 v[54:55], v[2:3], v[10:11]
	s_waitcnt vmcnt(36) lgkmcnt(0)
	v_mul_f64 v[56:57], v[8:9], v[14:15]
	ds_read_b128 v[10:13], v1 offset:1808
	v_mul_f64 v[14:15], v[6:7], v[14:15]
	s_waitcnt vmcnt(34)
	v_fma_f64 v[52:53], v[2:3], v[16:17], -v[52:53]
	v_fma_f64 v[16:17], v[4:5], v[16:17], v[54:55]
	ds_read_b128 v[2:5], v1 offset:1824
	s_waitcnt vmcnt(32) lgkmcnt(1)
	v_mul_f64 v[54:55], v[10:11], v[18:19]
	v_mul_f64 v[18:19], v[12:13], v[18:19]
	s_waitcnt vmcnt(30)
	v_fma_f64 v[56:57], v[6:7], v[20:21], -v[56:57]
	v_fma_f64 v[14:15], v[8:9], v[20:21], v[14:15]
	ds_read_b128 v[6:9], v1 offset:1840
	s_waitcnt vmcnt(26) lgkmcnt(1)
	v_mul_f64 v[20:21], v[2:3], v[22:23]
	v_add_f64 v[52:53], v[52:53], 0
	v_add_f64 v[16:17], v[16:17], 0
	v_mul_f64 v[22:23], v[4:5], v[22:23]
	s_waitcnt vmcnt(24)
	v_fma_f64 v[18:19], v[10:11], v[28:29], -v[18:19]
	v_fma_f64 v[28:29], v[12:13], v[28:29], v[54:55]
	ds_read_b128 v[10:13], v1 offset:1856
	s_waitcnt vmcnt(21)
	v_fma_f64 v[20:21], v[4:5], v[30:31], v[20:21]
	v_add_f64 v[52:53], v[52:53], v[56:57]
	v_add_f64 v[14:15], v[16:17], v[14:15]
	s_waitcnt lgkmcnt(1)
	v_mul_f64 v[16:17], v[6:7], v[24:25]
	v_mul_f64 v[24:25], v[8:9], v[24:25]
	v_fma_f64 v[22:23], v[2:3], v[30:31], -v[22:23]
	s_waitcnt vmcnt(17) lgkmcnt(0)
	v_mul_f64 v[30:31], v[12:13], v[32:33]
	ds_read_b128 v[2:5], v1 offset:1872
	v_add_f64 v[18:19], v[52:53], v[18:19]
	v_add_f64 v[14:15], v[14:15], v[28:29]
	v_mul_f64 v[28:29], v[10:11], v[32:33]
	s_waitcnt vmcnt(16)
	v_fma_f64 v[24:25], v[6:7], v[26:27], -v[24:25]
	v_fma_f64 v[16:17], v[8:9], v[26:27], v[16:17]
	ds_read_b128 v[6:9], v1 offset:1888
	s_waitcnt vmcnt(13)
	v_fma_f64 v[26:27], v[10:11], v[38:39], -v[30:31]
	v_add_f64 v[18:19], v[18:19], v[22:23]
	v_add_f64 v[14:15], v[14:15], v[20:21]
	s_waitcnt lgkmcnt(1)
	v_mul_f64 v[22:23], v[4:5], v[34:35]
	v_mul_f64 v[20:21], v[2:3], v[34:35]
	v_add_f64 v[18:19], v[18:19], v[24:25]
	v_fma_f64 v[24:25], v[12:13], v[38:39], v[28:29]
	v_add_f64 v[14:15], v[14:15], v[16:17]
	s_waitcnt vmcnt(9) lgkmcnt(0)
	v_mul_f64 v[28:29], v[8:9], v[40:41]
	s_waitcnt vmcnt(8)
	v_fma_f64 v[2:3], v[2:3], v[36:37], -v[22:23]
	ds_read_b128 v[10:13], v1 offset:1904
	v_mul_f64 v[16:17], v[6:7], v[40:41]
	v_fma_f64 v[4:5], v[4:5], v[36:37], v[20:21]
	v_add_f64 v[18:19], v[18:19], v[26:27]
	v_add_f64 v[14:15], v[14:15], v[24:25]
	s_waitcnt vmcnt(7) lgkmcnt(0)
	v_mul_f64 v[22:23], v[12:13], v[42:43]
	s_waitcnt vmcnt(5)
	v_fma_f64 v[6:7], v[6:7], v[46:47], -v[28:29]
	v_mul_f64 v[20:21], v[10:11], v[42:43]
	v_fma_f64 v[8:9], v[8:9], v[46:47], v[16:17]
	v_add_f64 v[2:3], v[18:19], v[2:3]
	v_add_f64 v[4:5], v[14:15], v[4:5]
	s_waitcnt vmcnt(4)
	v_fma_f64 v[10:11], v[10:11], v[44:45], -v[22:23]
	v_add_f64 v[2:3], v[2:3], v[6:7]
	v_fma_f64 v[6:7], v[12:13], v[44:45], v[20:21]
	v_add_f64 v[4:5], v[4:5], v[8:9]
	v_add_f64 v[2:3], v[2:3], v[10:11]
	;; [unrolled: 1-line block ×3, first 2 shown]
	s_waitcnt vmcnt(2)
	v_add_f64 v[2:3], v[48:49], -v[2:3]
	s_waitcnt vmcnt(0)
	v_add_f64 v[4:5], v[50:51], -v[4:5]
	buffer_store_dword v3, off, s[0:3], 0 offset:820
	buffer_store_dword v2, off, s[0:3], 0 offset:816
	buffer_store_dword v5, off, s[0:3], 0 offset:828
	buffer_store_dword v4, off, s[0:3], 0 offset:824
	v_cmpx_lt_u32_e32 49, v0
	s_cbranch_execz .LBB59_275
; %bb.274:
	v_mov_b32_e32 v5, s22
	s_clause 0x3
	buffer_load_dword v2, v5, s[0:3], 0 offen
	buffer_load_dword v3, v5, s[0:3], 0 offen offset:4
	buffer_load_dword v4, v5, s[0:3], 0 offen offset:8
	;; [unrolled: 1-line block ×3, first 2 shown]
	buffer_store_dword v1, off, s[0:3], 0 offset:800
	buffer_store_dword v1, off, s[0:3], 0 offset:804
	;; [unrolled: 1-line block ×4, first 2 shown]
	s_waitcnt vmcnt(0)
	ds_write_b128 v69, v[2:5]
.LBB59_275:
	s_or_b32 exec_lo, exec_lo, s4
	s_waitcnt lgkmcnt(0)
	s_waitcnt_vscnt null, 0x0
	s_barrier
	buffer_gl0_inv
	s_clause 0x2b
	buffer_load_dword v10, off, s[0:3], 0 offset:824
	buffer_load_dword v11, off, s[0:3], 0 offset:828
	;; [unrolled: 1-line block ×44, first 2 shown]
	ds_read_b128 v[2:5], v1 offset:1760
	ds_read_b128 v[6:9], v1 offset:1776
	s_mov_b32 s4, exec_lo
	s_waitcnt vmcnt(42) lgkmcnt(1)
	v_mul_f64 v[56:57], v[4:5], v[10:11]
	v_mul_f64 v[58:59], v[2:3], v[10:11]
	s_waitcnt vmcnt(40) lgkmcnt(0)
	v_mul_f64 v[60:61], v[8:9], v[14:15]
	ds_read_b128 v[10:13], v1 offset:1792
	v_mul_f64 v[14:15], v[6:7], v[14:15]
	s_waitcnt vmcnt(38)
	v_fma_f64 v[56:57], v[2:3], v[16:17], -v[56:57]
	v_fma_f64 v[16:17], v[4:5], v[16:17], v[58:59]
	ds_read_b128 v[2:5], v1 offset:1808
	s_waitcnt vmcnt(36) lgkmcnt(1)
	v_mul_f64 v[58:59], v[10:11], v[18:19]
	v_mul_f64 v[18:19], v[12:13], v[18:19]
	s_waitcnt vmcnt(34)
	v_fma_f64 v[60:61], v[6:7], v[20:21], -v[60:61]
	v_fma_f64 v[14:15], v[8:9], v[20:21], v[14:15]
	ds_read_b128 v[6:9], v1 offset:1824
	s_waitcnt vmcnt(30) lgkmcnt(1)
	v_mul_f64 v[20:21], v[2:3], v[22:23]
	v_add_f64 v[56:57], v[56:57], 0
	v_add_f64 v[16:17], v[16:17], 0
	v_mul_f64 v[22:23], v[4:5], v[22:23]
	s_waitcnt vmcnt(28)
	v_fma_f64 v[18:19], v[10:11], v[28:29], -v[18:19]
	v_fma_f64 v[28:29], v[12:13], v[28:29], v[58:59]
	ds_read_b128 v[10:13], v1 offset:1840
	s_waitcnt vmcnt(25)
	v_fma_f64 v[20:21], v[4:5], v[30:31], v[20:21]
	v_add_f64 v[56:57], v[56:57], v[60:61]
	v_add_f64 v[14:15], v[16:17], v[14:15]
	s_waitcnt lgkmcnt(1)
	v_mul_f64 v[16:17], v[6:7], v[24:25]
	v_mul_f64 v[24:25], v[8:9], v[24:25]
	v_fma_f64 v[22:23], v[2:3], v[30:31], -v[22:23]
	s_waitcnt vmcnt(21) lgkmcnt(0)
	v_mul_f64 v[30:31], v[12:13], v[32:33]
	ds_read_b128 v[2:5], v1 offset:1856
	v_add_f64 v[18:19], v[56:57], v[18:19]
	v_add_f64 v[14:15], v[14:15], v[28:29]
	v_mul_f64 v[28:29], v[10:11], v[32:33]
	s_waitcnt vmcnt(20)
	v_fma_f64 v[24:25], v[6:7], v[26:27], -v[24:25]
	v_fma_f64 v[16:17], v[8:9], v[26:27], v[16:17]
	ds_read_b128 v[6:9], v1 offset:1872
	s_waitcnt vmcnt(17)
	v_fma_f64 v[26:27], v[10:11], v[38:39], -v[30:31]
	v_add_f64 v[18:19], v[18:19], v[22:23]
	v_add_f64 v[14:15], v[14:15], v[20:21]
	s_waitcnt lgkmcnt(1)
	v_mul_f64 v[22:23], v[4:5], v[34:35]
	v_mul_f64 v[20:21], v[2:3], v[34:35]
	v_add_f64 v[18:19], v[18:19], v[24:25]
	v_fma_f64 v[24:25], v[12:13], v[38:39], v[28:29]
	v_add_f64 v[14:15], v[14:15], v[16:17]
	s_waitcnt vmcnt(13) lgkmcnt(0)
	v_mul_f64 v[28:29], v[8:9], v[40:41]
	s_waitcnt vmcnt(12)
	v_fma_f64 v[22:23], v[2:3], v[36:37], -v[22:23]
	ds_read_b128 v[10:13], v1 offset:1888
	v_mul_f64 v[16:17], v[6:7], v[40:41]
	v_fma_f64 v[20:21], v[4:5], v[36:37], v[20:21]
	ds_read_b128 v[1:4], v1 offset:1904
	v_add_f64 v[18:19], v[18:19], v[26:27]
	v_add_f64 v[14:15], v[14:15], v[24:25]
	s_waitcnt vmcnt(11) lgkmcnt(1)
	v_mul_f64 v[26:27], v[12:13], v[42:43]
	s_waitcnt vmcnt(9)
	v_fma_f64 v[5:6], v[6:7], v[46:47], -v[28:29]
	v_mul_f64 v[24:25], v[10:11], v[42:43]
	v_fma_f64 v[7:8], v[8:9], v[46:47], v[16:17]
	s_waitcnt vmcnt(7) lgkmcnt(0)
	v_mul_f64 v[16:17], v[1:2], v[48:49]
	v_add_f64 v[18:19], v[18:19], v[22:23]
	v_add_f64 v[14:15], v[14:15], v[20:21]
	v_mul_f64 v[20:21], v[3:4], v[48:49]
	s_waitcnt vmcnt(6)
	v_fma_f64 v[9:10], v[10:11], v[44:45], -v[26:27]
	v_fma_f64 v[11:12], v[12:13], v[44:45], v[24:25]
	s_waitcnt vmcnt(4)
	v_fma_f64 v[3:4], v[3:4], v[50:51], v[16:17]
	v_add_f64 v[5:6], v[18:19], v[5:6]
	v_add_f64 v[7:8], v[14:15], v[7:8]
	v_fma_f64 v[1:2], v[1:2], v[50:51], -v[20:21]
	v_add_f64 v[5:6], v[5:6], v[9:10]
	v_add_f64 v[7:8], v[7:8], v[11:12]
	;; [unrolled: 1-line block ×4, first 2 shown]
	s_waitcnt vmcnt(2)
	v_add_f64 v[1:2], v[52:53], -v[1:2]
	s_waitcnt vmcnt(0)
	v_add_f64 v[3:4], v[54:55], -v[3:4]
	buffer_store_dword v2, off, s[0:3], 0 offset:804
	buffer_store_dword v1, off, s[0:3], 0 offset:800
	;; [unrolled: 1-line block ×4, first 2 shown]
	v_cmpx_lt_u32_e32 48, v0
	s_cbranch_execz .LBB59_277
; %bb.276:
	v_mov_b32_e32 v4, s23
	v_mov_b32_e32 v5, 0
	s_clause 0x3
	buffer_load_dword v1, v4, s[0:3], 0 offen
	buffer_load_dword v2, v4, s[0:3], 0 offen offset:4
	buffer_load_dword v3, v4, s[0:3], 0 offen offset:8
	;; [unrolled: 1-line block ×3, first 2 shown]
	buffer_store_dword v5, off, s[0:3], 0 offset:784
	buffer_store_dword v5, off, s[0:3], 0 offset:788
	;; [unrolled: 1-line block ×4, first 2 shown]
	s_waitcnt vmcnt(0)
	ds_write_b128 v69, v[1:4]
.LBB59_277:
	s_or_b32 exec_lo, exec_lo, s4
	s_waitcnt lgkmcnt(0)
	s_waitcnt_vscnt null, 0x0
	s_barrier
	buffer_gl0_inv
	s_clause 0x2f
	buffer_load_dword v10, off, s[0:3], 0 offset:808
	buffer_load_dword v11, off, s[0:3], 0 offset:812
	;; [unrolled: 1-line block ×48, first 2 shown]
	v_mov_b32_e32 v1, 0
	ds_read_b128 v[2:5], v1 offset:1744
	ds_read_b128 v[6:9], v1 offset:1760
	s_mov_b32 s4, exec_lo
	s_waitcnt vmcnt(46) lgkmcnt(1)
	v_mul_f64 v[60:61], v[4:5], v[10:11]
	v_mul_f64 v[62:63], v[2:3], v[10:11]
	s_waitcnt vmcnt(44) lgkmcnt(0)
	v_mul_f64 v[64:65], v[8:9], v[14:15]
	ds_read_b128 v[10:13], v1 offset:1776
	v_mul_f64 v[14:15], v[6:7], v[14:15]
	s_waitcnt vmcnt(42)
	v_fma_f64 v[60:61], v[2:3], v[16:17], -v[60:61]
	v_fma_f64 v[16:17], v[4:5], v[16:17], v[62:63]
	ds_read_b128 v[2:5], v1 offset:1792
	s_waitcnt vmcnt(40) lgkmcnt(1)
	v_mul_f64 v[62:63], v[10:11], v[18:19]
	v_mul_f64 v[18:19], v[12:13], v[18:19]
	s_waitcnt vmcnt(38)
	v_fma_f64 v[64:65], v[6:7], v[20:21], -v[64:65]
	v_fma_f64 v[14:15], v[8:9], v[20:21], v[14:15]
	ds_read_b128 v[6:9], v1 offset:1808
	s_waitcnt vmcnt(34) lgkmcnt(1)
	v_mul_f64 v[20:21], v[2:3], v[22:23]
	v_add_f64 v[60:61], v[60:61], 0
	v_add_f64 v[16:17], v[16:17], 0
	v_mul_f64 v[22:23], v[4:5], v[22:23]
	s_waitcnt vmcnt(32)
	v_fma_f64 v[18:19], v[10:11], v[28:29], -v[18:19]
	v_fma_f64 v[28:29], v[12:13], v[28:29], v[62:63]
	ds_read_b128 v[10:13], v1 offset:1824
	s_waitcnt vmcnt(29)
	v_fma_f64 v[20:21], v[4:5], v[30:31], v[20:21]
	v_add_f64 v[60:61], v[60:61], v[64:65]
	v_add_f64 v[14:15], v[16:17], v[14:15]
	s_waitcnt lgkmcnt(1)
	v_mul_f64 v[16:17], v[6:7], v[24:25]
	v_mul_f64 v[24:25], v[8:9], v[24:25]
	v_fma_f64 v[22:23], v[2:3], v[30:31], -v[22:23]
	s_waitcnt vmcnt(25) lgkmcnt(0)
	v_mul_f64 v[30:31], v[12:13], v[32:33]
	ds_read_b128 v[2:5], v1 offset:1840
	v_add_f64 v[18:19], v[60:61], v[18:19]
	v_add_f64 v[14:15], v[14:15], v[28:29]
	v_mul_f64 v[28:29], v[10:11], v[32:33]
	s_waitcnt vmcnt(24)
	v_fma_f64 v[24:25], v[6:7], v[26:27], -v[24:25]
	v_fma_f64 v[16:17], v[8:9], v[26:27], v[16:17]
	ds_read_b128 v[6:9], v1 offset:1856
	s_waitcnt vmcnt(21)
	v_fma_f64 v[26:27], v[10:11], v[38:39], -v[30:31]
	v_add_f64 v[18:19], v[18:19], v[22:23]
	v_add_f64 v[14:15], v[14:15], v[20:21]
	s_waitcnt lgkmcnt(1)
	v_mul_f64 v[22:23], v[4:5], v[34:35]
	v_mul_f64 v[20:21], v[2:3], v[34:35]
	v_add_f64 v[18:19], v[18:19], v[24:25]
	v_fma_f64 v[24:25], v[12:13], v[38:39], v[28:29]
	v_add_f64 v[14:15], v[14:15], v[16:17]
	s_waitcnt vmcnt(17) lgkmcnt(0)
	v_mul_f64 v[28:29], v[8:9], v[40:41]
	s_waitcnt vmcnt(16)
	v_fma_f64 v[22:23], v[2:3], v[36:37], -v[22:23]
	ds_read_b128 v[10:13], v1 offset:1872
	v_mul_f64 v[16:17], v[6:7], v[40:41]
	v_fma_f64 v[20:21], v[4:5], v[36:37], v[20:21]
	ds_read_b128 v[2:5], v1 offset:1888
	v_add_f64 v[18:19], v[18:19], v[26:27]
	v_add_f64 v[14:15], v[14:15], v[24:25]
	s_waitcnt vmcnt(15) lgkmcnt(1)
	v_mul_f64 v[26:27], v[12:13], v[42:43]
	s_waitcnt vmcnt(13)
	v_fma_f64 v[28:29], v[6:7], v[46:47], -v[28:29]
	v_mul_f64 v[24:25], v[10:11], v[42:43]
	v_fma_f64 v[16:17], v[8:9], v[46:47], v[16:17]
	ds_read_b128 v[6:9], v1 offset:1904
	v_add_f64 v[18:19], v[18:19], v[22:23]
	s_waitcnt vmcnt(9) lgkmcnt(1)
	v_mul_f64 v[22:23], v[4:5], v[48:49]
	v_add_f64 v[14:15], v[14:15], v[20:21]
	s_waitcnt vmcnt(8)
	v_fma_f64 v[10:11], v[10:11], v[44:45], -v[26:27]
	v_mul_f64 v[20:21], v[2:3], v[48:49]
	v_fma_f64 v[12:13], v[12:13], v[44:45], v[24:25]
	s_waitcnt vmcnt(7) lgkmcnt(0)
	v_mul_f64 v[24:25], v[8:9], v[50:51]
	v_add_f64 v[18:19], v[18:19], v[28:29]
	s_waitcnt vmcnt(5)
	v_fma_f64 v[2:3], v[2:3], v[54:55], -v[22:23]
	v_add_f64 v[14:15], v[14:15], v[16:17]
	v_mul_f64 v[16:17], v[6:7], v[50:51]
	v_fma_f64 v[4:5], v[4:5], v[54:55], v[20:21]
	s_waitcnt vmcnt(4)
	v_fma_f64 v[6:7], v[6:7], v[52:53], -v[24:25]
	v_add_f64 v[10:11], v[18:19], v[10:11]
	v_add_f64 v[12:13], v[14:15], v[12:13]
	v_fma_f64 v[8:9], v[8:9], v[52:53], v[16:17]
	v_add_f64 v[2:3], v[10:11], v[2:3]
	v_add_f64 v[4:5], v[12:13], v[4:5]
	v_add_f64 v[2:3], v[2:3], v[6:7]
	v_add_f64 v[4:5], v[4:5], v[8:9]
	s_waitcnt vmcnt(2)
	v_add_f64 v[2:3], v[56:57], -v[2:3]
	s_waitcnt vmcnt(0)
	v_add_f64 v[4:5], v[58:59], -v[4:5]
	buffer_store_dword v3, off, s[0:3], 0 offset:788
	buffer_store_dword v2, off, s[0:3], 0 offset:784
	;; [unrolled: 1-line block ×4, first 2 shown]
	v_cmpx_lt_u32_e32 47, v0
	s_cbranch_execz .LBB59_279
; %bb.278:
	v_mov_b32_e32 v5, s24
	s_clause 0x3
	buffer_load_dword v2, v5, s[0:3], 0 offen
	buffer_load_dword v3, v5, s[0:3], 0 offen offset:4
	buffer_load_dword v4, v5, s[0:3], 0 offen offset:8
	buffer_load_dword v5, v5, s[0:3], 0 offen offset:12
	buffer_store_dword v1, off, s[0:3], 0 offset:768
	buffer_store_dword v1, off, s[0:3], 0 offset:772
	;; [unrolled: 1-line block ×4, first 2 shown]
	s_waitcnt vmcnt(0)
	ds_write_b128 v69, v[2:5]
.LBB59_279:
	s_or_b32 exec_lo, exec_lo, s4
	s_waitcnt lgkmcnt(0)
	s_waitcnt_vscnt null, 0x0
	s_barrier
	buffer_gl0_inv
	s_clause 0x2f
	buffer_load_dword v10, off, s[0:3], 0 offset:792
	buffer_load_dword v11, off, s[0:3], 0 offset:796
	;; [unrolled: 1-line block ×48, first 2 shown]
	ds_read_b128 v[2:5], v1 offset:1728
	s_clause 0x3
	buffer_load_dword v60, off, s[0:3], 0 offset:768
	buffer_load_dword v61, off, s[0:3], 0 offset:772
	;; [unrolled: 1-line block ×4, first 2 shown]
	ds_read_b128 v[6:9], v1 offset:1744
	s_mov_b32 s4, exec_lo
	s_waitcnt vmcnt(50) lgkmcnt(1)
	v_mul_f64 v[64:65], v[4:5], v[10:11]
	v_mul_f64 v[66:67], v[2:3], v[10:11]
	ds_read_b128 v[10:13], v1 offset:1760
	s_waitcnt vmcnt(48) lgkmcnt(1)
	v_mul_f64 v[70:71], v[8:9], v[14:15]
	v_mul_f64 v[14:15], v[6:7], v[14:15]
	s_waitcnt vmcnt(46)
	v_fma_f64 v[64:65], v[2:3], v[16:17], -v[64:65]
	v_fma_f64 v[16:17], v[4:5], v[16:17], v[66:67]
	s_waitcnt vmcnt(44) lgkmcnt(0)
	v_mul_f64 v[66:67], v[10:11], v[18:19]
	v_mul_f64 v[18:19], v[12:13], v[18:19]
	s_waitcnt vmcnt(42)
	v_fma_f64 v[70:71], v[6:7], v[20:21], -v[70:71]
	ds_read_b128 v[2:5], v1 offset:1776
	v_fma_f64 v[14:15], v[8:9], v[20:21], v[14:15]
	ds_read_b128 v[6:9], v1 offset:1792
	v_add_f64 v[64:65], v[64:65], 0
	v_add_f64 v[16:17], v[16:17], 0
	s_waitcnt vmcnt(40) lgkmcnt(1)
	v_mul_f64 v[20:21], v[2:3], v[22:23]
	v_mul_f64 v[22:23], v[4:5], v[22:23]
	s_waitcnt vmcnt(38)
	v_fma_f64 v[18:19], v[10:11], v[24:25], -v[18:19]
	v_fma_f64 v[24:25], v[12:13], v[24:25], v[66:67]
	ds_read_b128 v[10:13], v1 offset:1808
	v_add_f64 v[64:65], v[64:65], v[70:71]
	v_add_f64 v[14:15], v[16:17], v[14:15]
	s_waitcnt vmcnt(36) lgkmcnt(1)
	v_mul_f64 v[16:17], v[6:7], v[26:27]
	v_mul_f64 v[26:27], v[8:9], v[26:27]
	s_waitcnt vmcnt(34)
	v_fma_f64 v[22:23], v[2:3], v[28:29], -v[22:23]
	v_fma_f64 v[20:21], v[4:5], v[28:29], v[20:21]
	ds_read_b128 v[2:5], v1 offset:1824
	s_waitcnt vmcnt(32) lgkmcnt(1)
	v_mul_f64 v[28:29], v[12:13], v[30:31]
	v_add_f64 v[18:19], v[64:65], v[18:19]
	v_add_f64 v[14:15], v[14:15], v[24:25]
	v_mul_f64 v[24:25], v[10:11], v[30:31]
	s_waitcnt vmcnt(30)
	v_fma_f64 v[26:27], v[6:7], v[32:33], -v[26:27]
	v_fma_f64 v[16:17], v[8:9], v[32:33], v[16:17]
	ds_read_b128 v[6:9], v1 offset:1840
	s_waitcnt vmcnt(26)
	v_fma_f64 v[28:29], v[10:11], v[36:37], -v[28:29]
	v_add_f64 v[18:19], v[18:19], v[22:23]
	v_add_f64 v[14:15], v[14:15], v[20:21]
	s_waitcnt lgkmcnt(1)
	v_mul_f64 v[22:23], v[4:5], v[34:35]
	v_mul_f64 v[20:21], v[2:3], v[34:35]
	v_fma_f64 v[24:25], v[12:13], v[36:37], v[24:25]
	ds_read_b128 v[10:13], v1 offset:1856
	v_add_f64 v[18:19], v[18:19], v[26:27]
	v_add_f64 v[14:15], v[14:15], v[16:17]
	s_waitcnt vmcnt(24) lgkmcnt(1)
	v_mul_f64 v[26:27], v[8:9], v[38:39]
	s_waitcnt vmcnt(22)
	v_fma_f64 v[22:23], v[2:3], v[40:41], -v[22:23]
	v_mul_f64 v[16:17], v[6:7], v[38:39]
	v_fma_f64 v[20:21], v[4:5], v[40:41], v[20:21]
	ds_read_b128 v[2:5], v1 offset:1872
	v_add_f64 v[18:19], v[18:19], v[28:29]
	v_add_f64 v[14:15], v[14:15], v[24:25]
	s_waitcnt vmcnt(20) lgkmcnt(1)
	v_mul_f64 v[28:29], v[12:13], v[42:43]
	s_waitcnt vmcnt(18)
	v_fma_f64 v[26:27], v[6:7], v[44:45], -v[26:27]
	;; [unrolled: 9-line block ×4, first 2 shown]
	v_mul_f64 v[16:17], v[6:7], v[50:51]
	v_fma_f64 v[3:4], v[4:5], v[52:53], v[20:21]
	s_waitcnt vmcnt(8) lgkmcnt(0)
	v_mul_f64 v[22:23], v[12:13], v[54:55]
	v_mul_f64 v[20:21], v[10:11], v[54:55]
	v_add_f64 v[18:19], v[18:19], v[28:29]
	v_add_f64 v[14:15], v[14:15], v[24:25]
	s_waitcnt vmcnt(6)
	v_fma_f64 v[5:6], v[6:7], v[56:57], -v[26:27]
	v_fma_f64 v[7:8], v[8:9], v[56:57], v[16:17]
	s_waitcnt vmcnt(4)
	v_fma_f64 v[9:10], v[10:11], v[58:59], -v[22:23]
	v_add_f64 v[1:2], v[18:19], v[1:2]
	v_add_f64 v[3:4], v[14:15], v[3:4]
	;; [unrolled: 1-line block ×3, first 2 shown]
	v_fma_f64 v[5:6], v[12:13], v[58:59], v[20:21]
	v_add_f64 v[3:4], v[3:4], v[7:8]
	v_add_f64 v[1:2], v[1:2], v[9:10]
	;; [unrolled: 1-line block ×3, first 2 shown]
	s_waitcnt vmcnt(2)
	v_add_f64 v[1:2], v[60:61], -v[1:2]
	s_waitcnt vmcnt(0)
	v_add_f64 v[3:4], v[62:63], -v[3:4]
	buffer_store_dword v2, off, s[0:3], 0 offset:772
	buffer_store_dword v1, off, s[0:3], 0 offset:768
	;; [unrolled: 1-line block ×4, first 2 shown]
	v_cmpx_lt_u32_e32 46, v0
	s_cbranch_execz .LBB59_281
; %bb.280:
	v_mov_b32_e32 v4, s25
	v_mov_b32_e32 v5, 0
	s_clause 0x3
	buffer_load_dword v1, v4, s[0:3], 0 offen
	buffer_load_dword v2, v4, s[0:3], 0 offen offset:4
	buffer_load_dword v3, v4, s[0:3], 0 offen offset:8
	buffer_load_dword v4, v4, s[0:3], 0 offen offset:12
	buffer_store_dword v5, off, s[0:3], 0 offset:752
	buffer_store_dword v5, off, s[0:3], 0 offset:756
	;; [unrolled: 1-line block ×4, first 2 shown]
	s_waitcnt vmcnt(0)
	ds_write_b128 v69, v[1:4]
.LBB59_281:
	s_or_b32 exec_lo, exec_lo, s4
	s_waitcnt lgkmcnt(0)
	s_waitcnt_vscnt null, 0x0
	s_barrier
	buffer_gl0_inv
	s_clause 0x33
	buffer_load_dword v10, off, s[0:3], 0 offset:776
	buffer_load_dword v11, off, s[0:3], 0 offset:780
	;; [unrolled: 1-line block ×52, first 2 shown]
	v_mov_b32_e32 v1, 0
	ds_read_b128 v[2:5], v1 offset:1712
	ds_read_b128 v[6:9], v1 offset:1728
	s_clause 0x3
	buffer_load_dword v70, off, s[0:3], 0 offset:752
	buffer_load_dword v71, off, s[0:3], 0 offset:756
	;; [unrolled: 1-line block ×4, first 2 shown]
	s_mov_b32 s4, exec_lo
	s_waitcnt vmcnt(54) lgkmcnt(1)
	v_mul_f64 v[64:65], v[4:5], v[10:11]
	v_mul_f64 v[66:67], v[2:3], v[10:11]
	s_waitcnt vmcnt(52) lgkmcnt(0)
	v_mul_f64 v[95:96], v[8:9], v[14:15]
	ds_read_b128 v[10:13], v1 offset:1744
	v_mul_f64 v[14:15], v[6:7], v[14:15]
	s_waitcnt vmcnt(50)
	v_fma_f64 v[64:65], v[2:3], v[16:17], -v[64:65]
	v_fma_f64 v[16:17], v[4:5], v[16:17], v[66:67]
	ds_read_b128 v[2:5], v1 offset:1760
	s_waitcnt vmcnt(48) lgkmcnt(1)
	v_mul_f64 v[66:67], v[10:11], v[18:19]
	v_mul_f64 v[18:19], v[12:13], v[18:19]
	s_waitcnt vmcnt(46)
	v_fma_f64 v[95:96], v[6:7], v[20:21], -v[95:96]
	v_fma_f64 v[14:15], v[8:9], v[20:21], v[14:15]
	ds_read_b128 v[6:9], v1 offset:1776
	s_waitcnt vmcnt(42) lgkmcnt(1)
	v_mul_f64 v[20:21], v[2:3], v[22:23]
	v_add_f64 v[64:65], v[64:65], 0
	v_add_f64 v[16:17], v[16:17], 0
	v_mul_f64 v[22:23], v[4:5], v[22:23]
	s_waitcnt vmcnt(40)
	v_fma_f64 v[18:19], v[10:11], v[28:29], -v[18:19]
	v_fma_f64 v[28:29], v[12:13], v[28:29], v[66:67]
	ds_read_b128 v[10:13], v1 offset:1792
	s_waitcnt vmcnt(37)
	v_fma_f64 v[20:21], v[4:5], v[30:31], v[20:21]
	v_add_f64 v[64:65], v[64:65], v[95:96]
	v_add_f64 v[14:15], v[16:17], v[14:15]
	s_waitcnt lgkmcnt(1)
	v_mul_f64 v[16:17], v[6:7], v[24:25]
	v_mul_f64 v[24:25], v[8:9], v[24:25]
	v_fma_f64 v[22:23], v[2:3], v[30:31], -v[22:23]
	s_waitcnt vmcnt(33) lgkmcnt(0)
	v_mul_f64 v[30:31], v[12:13], v[32:33]
	ds_read_b128 v[2:5], v1 offset:1808
	v_add_f64 v[18:19], v[64:65], v[18:19]
	v_add_f64 v[14:15], v[14:15], v[28:29]
	v_mul_f64 v[28:29], v[10:11], v[32:33]
	s_waitcnt vmcnt(32)
	v_fma_f64 v[24:25], v[6:7], v[26:27], -v[24:25]
	v_fma_f64 v[16:17], v[8:9], v[26:27], v[16:17]
	ds_read_b128 v[6:9], v1 offset:1824
	s_waitcnt vmcnt(29)
	v_fma_f64 v[26:27], v[10:11], v[38:39], -v[30:31]
	v_add_f64 v[18:19], v[18:19], v[22:23]
	v_add_f64 v[14:15], v[14:15], v[20:21]
	s_waitcnt lgkmcnt(1)
	v_mul_f64 v[22:23], v[4:5], v[34:35]
	v_mul_f64 v[20:21], v[2:3], v[34:35]
	v_add_f64 v[18:19], v[18:19], v[24:25]
	v_fma_f64 v[24:25], v[12:13], v[38:39], v[28:29]
	v_add_f64 v[14:15], v[14:15], v[16:17]
	s_waitcnt vmcnt(25) lgkmcnt(0)
	v_mul_f64 v[28:29], v[8:9], v[40:41]
	s_waitcnt vmcnt(24)
	v_fma_f64 v[22:23], v[2:3], v[36:37], -v[22:23]
	ds_read_b128 v[10:13], v1 offset:1840
	v_mul_f64 v[16:17], v[6:7], v[40:41]
	v_fma_f64 v[20:21], v[4:5], v[36:37], v[20:21]
	ds_read_b128 v[2:5], v1 offset:1856
	v_add_f64 v[18:19], v[18:19], v[26:27]
	v_add_f64 v[14:15], v[14:15], v[24:25]
	s_waitcnt vmcnt(23) lgkmcnt(1)
	v_mul_f64 v[26:27], v[12:13], v[42:43]
	s_waitcnt vmcnt(21)
	v_fma_f64 v[28:29], v[6:7], v[46:47], -v[28:29]
	v_mul_f64 v[24:25], v[10:11], v[42:43]
	v_fma_f64 v[16:17], v[8:9], v[46:47], v[16:17]
	ds_read_b128 v[6:9], v1 offset:1872
	v_add_f64 v[18:19], v[18:19], v[22:23]
	s_waitcnt vmcnt(17) lgkmcnt(1)
	v_mul_f64 v[22:23], v[4:5], v[48:49]
	v_add_f64 v[14:15], v[14:15], v[20:21]
	s_waitcnt vmcnt(16)
	v_fma_f64 v[26:27], v[10:11], v[44:45], -v[26:27]
	v_mul_f64 v[20:21], v[2:3], v[48:49]
	v_fma_f64 v[24:25], v[12:13], v[44:45], v[24:25]
	ds_read_b128 v[10:13], v1 offset:1888
	v_add_f64 v[18:19], v[18:19], v[28:29]
	s_waitcnt vmcnt(15) lgkmcnt(1)
	v_mul_f64 v[28:29], v[8:9], v[50:51]
	v_add_f64 v[14:15], v[14:15], v[16:17]
	;; [unrolled: 9-line block ×3, first 2 shown]
	s_waitcnt vmcnt(8)
	v_fma_f64 v[6:7], v[6:7], v[52:53], -v[28:29]
	v_mul_f64 v[24:25], v[10:11], v[56:57]
	v_fma_f64 v[8:9], v[8:9], v[52:53], v[16:17]
	s_waitcnt vmcnt(7) lgkmcnt(0)
	v_mul_f64 v[16:17], v[2:3], v[58:59]
	v_add_f64 v[18:19], v[18:19], v[22:23]
	s_waitcnt vmcnt(5)
	v_fma_f64 v[10:11], v[10:11], v[62:63], -v[26:27]
	v_add_f64 v[14:15], v[14:15], v[20:21]
	v_mul_f64 v[20:21], v[4:5], v[58:59]
	v_fma_f64 v[12:13], v[12:13], v[62:63], v[24:25]
	s_waitcnt vmcnt(4)
	v_fma_f64 v[4:5], v[4:5], v[60:61], v[16:17]
	v_add_f64 v[6:7], v[18:19], v[6:7]
	v_add_f64 v[8:9], v[14:15], v[8:9]
	v_fma_f64 v[2:3], v[2:3], v[60:61], -v[20:21]
	v_add_f64 v[6:7], v[6:7], v[10:11]
	v_add_f64 v[8:9], v[8:9], v[12:13]
	;; [unrolled: 1-line block ×4, first 2 shown]
	s_waitcnt vmcnt(2)
	v_add_f64 v[2:3], v[70:71], -v[2:3]
	s_waitcnt vmcnt(0)
	v_add_f64 v[4:5], v[93:94], -v[4:5]
	buffer_store_dword v3, off, s[0:3], 0 offset:756
	buffer_store_dword v2, off, s[0:3], 0 offset:752
	;; [unrolled: 1-line block ×4, first 2 shown]
	v_cmpx_lt_u32_e32 45, v0
	s_cbranch_execz .LBB59_283
; %bb.282:
	v_mov_b32_e32 v5, s26
	s_clause 0x3
	buffer_load_dword v2, v5, s[0:3], 0 offen
	buffer_load_dword v3, v5, s[0:3], 0 offen offset:4
	buffer_load_dword v4, v5, s[0:3], 0 offen offset:8
	;; [unrolled: 1-line block ×3, first 2 shown]
	buffer_store_dword v1, off, s[0:3], 0 offset:736
	buffer_store_dword v1, off, s[0:3], 0 offset:740
	;; [unrolled: 1-line block ×4, first 2 shown]
	s_waitcnt vmcnt(0)
	ds_write_b128 v69, v[2:5]
.LBB59_283:
	s_or_b32 exec_lo, exec_lo, s4
	s_waitcnt lgkmcnt(0)
	s_waitcnt_vscnt null, 0x0
	s_barrier
	buffer_gl0_inv
	s_clause 0x35
	buffer_load_dword v10, off, s[0:3], 0 offset:760
	buffer_load_dword v11, off, s[0:3], 0 offset:764
	;; [unrolled: 1-line block ×54, first 2 shown]
	ds_read_b128 v[2:5], v1 offset:1696
	s_clause 0x1
	buffer_load_dword v67, off, s[0:3], 0 offset:964
	buffer_load_dword v66, off, s[0:3], 0 offset:960
	ds_read_b128 v[6:9], v1 offset:1712
	s_mov_b32 s4, exec_lo
	s_waitcnt vmcnt(54) lgkmcnt(1)
	v_mul_f64 v[70:71], v[4:5], v[10:11]
	v_mul_f64 v[93:94], v[2:3], v[10:11]
	ds_read_b128 v[10:13], v1 offset:1728
	s_waitcnt vmcnt(52) lgkmcnt(1)
	v_mul_f64 v[95:96], v[8:9], v[14:15]
	v_mul_f64 v[14:15], v[6:7], v[14:15]
	s_waitcnt vmcnt(48) lgkmcnt(0)
	v_mul_f64 v[99:100], v[10:11], v[18:19]
	v_fma_f64 v[70:71], v[2:3], v[16:17], -v[70:71]
	v_fma_f64 v[16:17], v[4:5], v[16:17], v[93:94]
	s_clause 0x3
	buffer_load_dword v93, off, s[0:3], 0 offset:736
	buffer_load_dword v94, off, s[0:3], 0 offset:740
	;; [unrolled: 1-line block ×4, first 2 shown]
	v_mul_f64 v[18:19], v[12:13], v[18:19]
	s_waitcnt vmcnt(50)
	v_fma_f64 v[95:96], v[6:7], v[20:21], -v[95:96]
	ds_read_b128 v[2:5], v1 offset:1744
	v_fma_f64 v[14:15], v[8:9], v[20:21], v[14:15]
	ds_read_b128 v[6:9], v1 offset:1760
	v_add_f64 v[70:71], v[70:71], 0
	v_add_f64 v[16:17], v[16:17], 0
	s_waitcnt vmcnt(46) lgkmcnt(1)
	v_mul_f64 v[20:21], v[2:3], v[22:23]
	v_mul_f64 v[22:23], v[4:5], v[22:23]
	s_waitcnt vmcnt(44)
	v_fma_f64 v[18:19], v[10:11], v[28:29], -v[18:19]
	v_fma_f64 v[28:29], v[12:13], v[28:29], v[99:100]
	ds_read_b128 v[10:13], v1 offset:1776
	v_add_f64 v[70:71], v[70:71], v[95:96]
	v_add_f64 v[14:15], v[16:17], v[14:15]
	s_waitcnt vmcnt(43) lgkmcnt(1)
	v_mul_f64 v[16:17], v[6:7], v[24:25]
	v_mul_f64 v[24:25], v[8:9], v[24:25]
	s_waitcnt vmcnt(41)
	v_fma_f64 v[22:23], v[2:3], v[30:31], -v[22:23]
	v_fma_f64 v[20:21], v[4:5], v[30:31], v[20:21]
	ds_read_b128 v[2:5], v1 offset:1792
	s_waitcnt vmcnt(37) lgkmcnt(1)
	v_mul_f64 v[30:31], v[12:13], v[32:33]
	v_add_f64 v[18:19], v[70:71], v[18:19]
	v_add_f64 v[14:15], v[14:15], v[28:29]
	v_mul_f64 v[28:29], v[10:11], v[32:33]
	s_waitcnt vmcnt(36)
	v_fma_f64 v[24:25], v[6:7], v[26:27], -v[24:25]
	v_fma_f64 v[16:17], v[8:9], v[26:27], v[16:17]
	ds_read_b128 v[6:9], v1 offset:1808
	s_waitcnt vmcnt(33)
	v_fma_f64 v[26:27], v[10:11], v[38:39], -v[30:31]
	v_add_f64 v[18:19], v[18:19], v[22:23]
	v_add_f64 v[14:15], v[14:15], v[20:21]
	s_waitcnt lgkmcnt(1)
	v_mul_f64 v[22:23], v[4:5], v[34:35]
	v_mul_f64 v[20:21], v[2:3], v[34:35]
	v_add_f64 v[18:19], v[18:19], v[24:25]
	v_fma_f64 v[24:25], v[12:13], v[38:39], v[28:29]
	v_add_f64 v[14:15], v[14:15], v[16:17]
	ds_read_b128 v[10:13], v1 offset:1824
	s_waitcnt vmcnt(29) lgkmcnt(1)
	v_mul_f64 v[28:29], v[8:9], v[40:41]
	s_waitcnt vmcnt(28)
	v_fma_f64 v[22:23], v[2:3], v[36:37], -v[22:23]
	v_mul_f64 v[16:17], v[6:7], v[40:41]
	v_fma_f64 v[20:21], v[4:5], v[36:37], v[20:21]
	ds_read_b128 v[2:5], v1 offset:1840
	v_add_f64 v[18:19], v[18:19], v[26:27]
	s_waitcnt vmcnt(27) lgkmcnt(1)
	v_mul_f64 v[26:27], v[12:13], v[42:43]
	v_add_f64 v[14:15], v[14:15], v[24:25]
	v_mul_f64 v[24:25], v[10:11], v[42:43]
	s_waitcnt vmcnt(25)
	v_fma_f64 v[28:29], v[6:7], v[46:47], -v[28:29]
	v_fma_f64 v[16:17], v[8:9], v[46:47], v[16:17]
	ds_read_b128 v[6:9], v1 offset:1856
	v_add_f64 v[18:19], v[18:19], v[22:23]
	s_waitcnt vmcnt(21) lgkmcnt(1)
	v_mul_f64 v[22:23], v[4:5], v[48:49]
	v_add_f64 v[14:15], v[14:15], v[20:21]
	s_waitcnt vmcnt(20)
	v_fma_f64 v[26:27], v[10:11], v[44:45], -v[26:27]
	v_mul_f64 v[20:21], v[2:3], v[48:49]
	v_fma_f64 v[24:25], v[12:13], v[44:45], v[24:25]
	ds_read_b128 v[10:13], v1 offset:1872
	v_add_f64 v[18:19], v[18:19], v[28:29]
	s_waitcnt vmcnt(19) lgkmcnt(1)
	v_mul_f64 v[28:29], v[8:9], v[50:51]
	v_add_f64 v[14:15], v[14:15], v[16:17]
	s_waitcnt vmcnt(17)
	v_fma_f64 v[22:23], v[2:3], v[54:55], -v[22:23]
	v_mul_f64 v[16:17], v[6:7], v[50:51]
	;; [unrolled: 9-line block ×4, first 2 shown]
	v_fma_f64 v[12:13], v[12:13], v[62:63], v[24:25]
	s_waitcnt vmcnt(7) lgkmcnt(0)
	v_mul_f64 v[24:25], v[8:9], v[64:65]
	v_add_f64 v[18:19], v[18:19], v[28:29]
	s_waitcnt vmcnt(6)
	v_fma_f64 v[1:2], v[2:3], v[60:61], -v[22:23]
	v_add_f64 v[14:15], v[14:15], v[16:17]
	v_mul_f64 v[16:17], v[6:7], v[64:65]
	v_fma_f64 v[3:4], v[4:5], v[60:61], v[20:21]
	s_waitcnt vmcnt(4)
	v_fma_f64 v[5:6], v[6:7], v[66:67], -v[24:25]
	v_add_f64 v[10:11], v[18:19], v[10:11]
	v_add_f64 v[12:13], v[14:15], v[12:13]
	v_fma_f64 v[7:8], v[8:9], v[66:67], v[16:17]
	v_add_f64 v[1:2], v[10:11], v[1:2]
	v_add_f64 v[3:4], v[12:13], v[3:4]
	v_add_f64 v[1:2], v[1:2], v[5:6]
	v_add_f64 v[3:4], v[3:4], v[7:8]
	s_waitcnt vmcnt(2)
	v_add_f64 v[1:2], v[93:94], -v[1:2]
	s_waitcnt vmcnt(0)
	v_add_f64 v[3:4], v[97:98], -v[3:4]
	buffer_store_dword v2, off, s[0:3], 0 offset:740
	buffer_store_dword v1, off, s[0:3], 0 offset:736
	;; [unrolled: 1-line block ×4, first 2 shown]
	v_cmpx_lt_u32_e32 44, v0
	s_cbranch_execz .LBB59_285
; %bb.284:
	v_mov_b32_e32 v4, s27
	v_mov_b32_e32 v5, 0
	s_clause 0x3
	buffer_load_dword v1, v4, s[0:3], 0 offen
	buffer_load_dword v2, v4, s[0:3], 0 offen offset:4
	buffer_load_dword v3, v4, s[0:3], 0 offen offset:8
	;; [unrolled: 1-line block ×3, first 2 shown]
	buffer_store_dword v5, off, s[0:3], 0 offset:720
	buffer_store_dword v5, off, s[0:3], 0 offset:724
	;; [unrolled: 1-line block ×4, first 2 shown]
	s_waitcnt vmcnt(0)
	ds_write_b128 v69, v[1:4]
.LBB59_285:
	s_or_b32 exec_lo, exec_lo, s4
	s_waitcnt lgkmcnt(0)
	s_waitcnt_vscnt null, 0x0
	s_barrier
	buffer_gl0_inv
	s_clause 0x37
	buffer_load_dword v10, off, s[0:3], 0 offset:744
	buffer_load_dword v11, off, s[0:3], 0 offset:748
	;; [unrolled: 1-line block ×56, first 2 shown]
	v_mov_b32_e32 v1, 0
	s_mov_b32 s4, exec_lo
	ds_read_b128 v[2:5], v1 offset:1680
	s_clause 0x2
	buffer_load_dword v67, off, s[0:3], 0 offset:972
	buffer_load_dword v94, off, s[0:3], 0 offset:948
	;; [unrolled: 1-line block ×3, first 2 shown]
	ds_read_b128 v[6:9], v1 offset:1696
	buffer_load_dword v71, off, s[0:3], 0 offset:964
	s_waitcnt vmcnt(58) lgkmcnt(1)
	v_mul_f64 v[95:96], v[4:5], v[10:11]
	v_mul_f64 v[97:98], v[2:3], v[10:11]
	ds_read_b128 v[10:13], v1 offset:1712
	s_waitcnt vmcnt(56) lgkmcnt(1)
	v_mul_f64 v[99:100], v[8:9], v[14:15]
	v_mul_f64 v[14:15], v[6:7], v[14:15]
	s_waitcnt vmcnt(54)
	v_fma_f64 v[95:96], v[2:3], v[16:17], -v[95:96]
	v_fma_f64 v[16:17], v[4:5], v[16:17], v[97:98]
	s_waitcnt vmcnt(52) lgkmcnt(0)
	v_mul_f64 v[97:98], v[10:11], v[18:19]
	v_mul_f64 v[18:19], v[12:13], v[18:19]
	s_waitcnt vmcnt(50)
	v_fma_f64 v[99:100], v[6:7], v[20:21], -v[99:100]
	ds_read_b128 v[2:5], v1 offset:1728
	v_fma_f64 v[14:15], v[8:9], v[20:21], v[14:15]
	s_clause 0x3
	buffer_load_dword v20, off, s[0:3], 0 offset:720
	buffer_load_dword v21, off, s[0:3], 0 offset:724
	buffer_load_dword v109, off, s[0:3], 0 offset:728
	buffer_load_dword v110, off, s[0:3], 0 offset:732
	ds_read_b128 v[6:9], v1 offset:1744
	v_add_f64 v[95:96], v[95:96], 0
	v_add_f64 v[16:17], v[16:17], 0
	s_waitcnt vmcnt(50) lgkmcnt(1)
	v_mul_f64 v[111:112], v[2:3], v[22:23]
	v_mul_f64 v[22:23], v[4:5], v[22:23]
	s_waitcnt vmcnt(48)
	v_fma_f64 v[18:19], v[10:11], v[28:29], -v[18:19]
	v_fma_f64 v[28:29], v[12:13], v[28:29], v[97:98]
	ds_read_b128 v[10:13], v1 offset:1760
	v_add_f64 v[95:96], v[95:96], v[99:100]
	v_add_f64 v[14:15], v[16:17], v[14:15]
	s_waitcnt vmcnt(47) lgkmcnt(1)
	v_mul_f64 v[16:17], v[6:7], v[24:25]
	v_mul_f64 v[24:25], v[8:9], v[24:25]
	s_waitcnt vmcnt(45)
	v_fma_f64 v[22:23], v[2:3], v[30:31], -v[22:23]
	v_fma_f64 v[30:31], v[4:5], v[30:31], v[111:112]
	;; [unrolled: 9-line block ×3, first 2 shown]
	ds_read_b128 v[6:9], v1 offset:1792
	s_waitcnt vmcnt(39) lgkmcnt(1)
	v_mul_f64 v[26:27], v[4:5], v[34:35]
	v_add_f64 v[18:19], v[18:19], v[22:23]
	v_add_f64 v[14:15], v[14:15], v[30:31]
	v_mul_f64 v[22:23], v[2:3], v[34:35]
	s_waitcnt vmcnt(37)
	v_fma_f64 v[30:31], v[10:11], v[38:39], -v[32:33]
	s_waitcnt vmcnt(32)
	v_fma_f64 v[26:27], v[2:3], v[36:37], -v[26:27]
	v_add_f64 v[18:19], v[18:19], v[24:25]
	v_fma_f64 v[24:25], v[12:13], v[38:39], v[28:29]
	v_add_f64 v[14:15], v[14:15], v[16:17]
	s_waitcnt lgkmcnt(0)
	v_mul_f64 v[28:29], v[8:9], v[40:41]
	ds_read_b128 v[10:13], v1 offset:1808
	v_mul_f64 v[16:17], v[6:7], v[40:41]
	v_fma_f64 v[22:23], v[4:5], v[36:37], v[22:23]
	ds_read_b128 v[2:5], v1 offset:1824
	v_add_f64 v[18:19], v[18:19], v[30:31]
	v_add_f64 v[14:15], v[14:15], v[24:25]
	s_waitcnt vmcnt(31) lgkmcnt(1)
	v_mul_f64 v[30:31], v[12:13], v[42:43]
	s_waitcnt vmcnt(29)
	v_fma_f64 v[28:29], v[6:7], v[46:47], -v[28:29]
	v_mul_f64 v[24:25], v[10:11], v[42:43]
	v_fma_f64 v[16:17], v[8:9], v[46:47], v[16:17]
	ds_read_b128 v[6:9], v1 offset:1840
	v_add_f64 v[18:19], v[18:19], v[26:27]
	s_waitcnt vmcnt(25) lgkmcnt(1)
	v_mul_f64 v[26:27], v[4:5], v[48:49]
	v_add_f64 v[14:15], v[14:15], v[22:23]
	s_waitcnt vmcnt(24)
	v_fma_f64 v[30:31], v[10:11], v[44:45], -v[30:31]
	v_mul_f64 v[22:23], v[2:3], v[48:49]
	v_fma_f64 v[24:25], v[12:13], v[44:45], v[24:25]
	ds_read_b128 v[10:13], v1 offset:1856
	v_add_f64 v[18:19], v[18:19], v[28:29]
	s_waitcnt vmcnt(23) lgkmcnt(1)
	v_mul_f64 v[28:29], v[8:9], v[50:51]
	v_add_f64 v[14:15], v[14:15], v[16:17]
	;; [unrolled: 9-line block ×5, first 2 shown]
	s_waitcnt vmcnt(8)
	v_fma_f64 v[2:3], v[2:3], v[60:61], -v[26:27]
	v_mul_f64 v[16:17], v[6:7], v[64:65]
	v_fma_f64 v[4:5], v[4:5], v[60:61], v[22:23]
	s_waitcnt vmcnt(7) lgkmcnt(0)
	v_mul_f64 v[22:23], v[10:11], v[66:67]
	v_add_f64 v[18:19], v[18:19], v[30:31]
	s_waitcnt vmcnt(5)
	v_fma_f64 v[6:7], v[6:7], v[93:94], -v[28:29]
	v_add_f64 v[14:15], v[14:15], v[24:25]
	v_mul_f64 v[24:25], v[12:13], v[66:67]
	v_fma_f64 v[8:9], v[8:9], v[93:94], v[16:17]
	v_add_f64 v[2:3], v[18:19], v[2:3]
	v_add_f64 v[4:5], v[14:15], v[4:5]
	s_waitcnt vmcnt(4)
	v_fma_f64 v[10:11], v[10:11], v[70:71], -v[24:25]
	v_add_f64 v[2:3], v[2:3], v[6:7]
	v_fma_f64 v[6:7], v[12:13], v[70:71], v[22:23]
	v_add_f64 v[4:5], v[4:5], v[8:9]
	v_add_f64 v[2:3], v[2:3], v[10:11]
	;; [unrolled: 1-line block ×3, first 2 shown]
	s_waitcnt vmcnt(2)
	v_add_f64 v[2:3], v[20:21], -v[2:3]
	s_waitcnt vmcnt(0)
	v_add_f64 v[4:5], v[109:110], -v[4:5]
	buffer_store_dword v3, off, s[0:3], 0 offset:724
	buffer_store_dword v2, off, s[0:3], 0 offset:720
	;; [unrolled: 1-line block ×4, first 2 shown]
	v_cmpx_lt_u32_e32 43, v0
	s_cbranch_execz .LBB59_287
; %bb.286:
	v_mov_b32_e32 v5, s28
	s_clause 0x3
	buffer_load_dword v2, v5, s[0:3], 0 offen
	buffer_load_dword v3, v5, s[0:3], 0 offen offset:4
	buffer_load_dword v4, v5, s[0:3], 0 offen offset:8
	;; [unrolled: 1-line block ×3, first 2 shown]
	buffer_store_dword v1, off, s[0:3], 0 offset:704
	buffer_store_dword v1, off, s[0:3], 0 offset:708
	;; [unrolled: 1-line block ×4, first 2 shown]
	s_waitcnt vmcnt(0)
	ds_write_b128 v69, v[2:5]
.LBB59_287:
	s_or_b32 exec_lo, exec_lo, s4
	s_waitcnt lgkmcnt(0)
	s_waitcnt_vscnt null, 0x0
	s_barrier
	buffer_gl0_inv
	s_clause 0x37
	buffer_load_dword v10, off, s[0:3], 0 offset:728
	buffer_load_dword v11, off, s[0:3], 0 offset:732
	;; [unrolled: 1-line block ×56, first 2 shown]
	ds_read_b128 v[2:5], v1 offset:1664
	s_clause 0x2
	buffer_load_dword v67, off, s[0:3], 0 offset:956
	buffer_load_dword v94, off, s[0:3], 0 offset:932
	;; [unrolled: 1-line block ×3, first 2 shown]
	ds_read_b128 v[6:9], v1 offset:1680
	s_clause 0x2
	buffer_load_dword v100, off, s[0:3], 0 offset:972
	buffer_load_dword v99, off, s[0:3], 0 offset:968
	;; [unrolled: 1-line block ×3, first 2 shown]
	s_mov_b32 s4, exec_lo
	s_waitcnt vmcnt(60) lgkmcnt(1)
	v_mul_f64 v[95:96], v[4:5], v[10:11]
	v_mul_f64 v[97:98], v[2:3], v[10:11]
	s_waitcnt vmcnt(58) lgkmcnt(0)
	v_mul_f64 v[109:110], v[8:9], v[14:15]
	ds_read_b128 v[10:13], v1 offset:1696
	v_mul_f64 v[14:15], v[6:7], v[14:15]
	s_waitcnt vmcnt(56)
	v_fma_f64 v[95:96], v[2:3], v[16:17], -v[95:96]
	v_fma_f64 v[16:17], v[4:5], v[16:17], v[97:98]
	s_clause 0x1
	buffer_load_dword v98, off, s[0:3], 0 offset:964
	buffer_load_dword v97, off, s[0:3], 0 offset:960
	s_waitcnt vmcnt(56) lgkmcnt(0)
	v_mul_f64 v[111:112], v[10:11], v[18:19]
	v_mul_f64 v[18:19], v[12:13], v[18:19]
	s_waitcnt vmcnt(54)
	v_fma_f64 v[109:110], v[6:7], v[20:21], -v[109:110]
	ds_read_b128 v[2:5], v1 offset:1712
	v_fma_f64 v[14:15], v[8:9], v[20:21], v[14:15]
	ds_read_b128 v[6:9], v1 offset:1728
	v_add_f64 v[95:96], v[95:96], 0
	v_add_f64 v[16:17], v[16:17], 0
	s_waitcnt vmcnt(50) lgkmcnt(1)
	v_mul_f64 v[20:21], v[2:3], v[22:23]
	v_mul_f64 v[22:23], v[4:5], v[22:23]
	s_waitcnt vmcnt(48)
	v_fma_f64 v[18:19], v[10:11], v[28:29], -v[18:19]
	v_fma_f64 v[28:29], v[12:13], v[28:29], v[111:112]
	s_waitcnt vmcnt(47) lgkmcnt(0)
	v_mul_f64 v[111:112], v[6:7], v[24:25]
	v_mul_f64 v[24:25], v[8:9], v[24:25]
	v_add_f64 v[95:96], v[95:96], v[109:110]
	v_add_f64 v[14:15], v[16:17], v[14:15]
	s_clause 0x3
	buffer_load_dword v16, off, s[0:3], 0 offset:704
	buffer_load_dword v17, off, s[0:3], 0 offset:708
	;; [unrolled: 1-line block ×4, first 2 shown]
	ds_read_b128 v[10:13], v1 offset:1744
	s_waitcnt vmcnt(49)
	v_fma_f64 v[20:21], v[4:5], v[30:31], v[20:21]
	v_fma_f64 v[22:23], v[2:3], v[30:31], -v[22:23]
	ds_read_b128 v[2:5], v1 offset:1760
	s_waitcnt vmcnt(44)
	v_fma_f64 v[24:25], v[6:7], v[26:27], -v[24:25]
	v_add_f64 v[18:19], v[95:96], v[18:19]
	v_add_f64 v[14:15], v[14:15], v[28:29]
	s_waitcnt lgkmcnt(1)
	v_mul_f64 v[30:31], v[12:13], v[32:33]
	v_mul_f64 v[28:29], v[10:11], v[32:33]
	v_add_f64 v[18:19], v[18:19], v[22:23]
	v_fma_f64 v[22:23], v[8:9], v[26:27], v[111:112]
	v_add_f64 v[14:15], v[14:15], v[20:21]
	s_waitcnt vmcnt(43) lgkmcnt(0)
	v_mul_f64 v[26:27], v[4:5], v[34:35]
	s_waitcnt vmcnt(41)
	v_fma_f64 v[30:31], v[10:11], v[38:39], -v[30:31]
	ds_read_b128 v[6:9], v1 offset:1776
	v_mul_f64 v[20:21], v[2:3], v[34:35]
	v_add_f64 v[18:19], v[18:19], v[24:25]
	v_fma_f64 v[24:25], v[12:13], v[38:39], v[28:29]
	v_add_f64 v[14:15], v[14:15], v[22:23]
	ds_read_b128 v[10:13], v1 offset:1792
	s_waitcnt vmcnt(37) lgkmcnt(1)
	v_mul_f64 v[28:29], v[8:9], v[40:41]
	s_waitcnt vmcnt(36)
	v_fma_f64 v[26:27], v[2:3], v[36:37], -v[26:27]
	v_mul_f64 v[22:23], v[6:7], v[40:41]
	v_fma_f64 v[20:21], v[4:5], v[36:37], v[20:21]
	ds_read_b128 v[2:5], v1 offset:1808
	v_add_f64 v[18:19], v[18:19], v[30:31]
	s_waitcnt vmcnt(35) lgkmcnt(1)
	v_mul_f64 v[30:31], v[12:13], v[42:43]
	v_add_f64 v[14:15], v[14:15], v[24:25]
	v_mul_f64 v[24:25], v[10:11], v[42:43]
	s_waitcnt vmcnt(33)
	v_fma_f64 v[28:29], v[6:7], v[46:47], -v[28:29]
	v_fma_f64 v[22:23], v[8:9], v[46:47], v[22:23]
	ds_read_b128 v[6:9], v1 offset:1824
	v_add_f64 v[18:19], v[18:19], v[26:27]
	s_waitcnt vmcnt(29) lgkmcnt(1)
	v_mul_f64 v[26:27], v[4:5], v[48:49]
	v_add_f64 v[14:15], v[14:15], v[20:21]
	s_waitcnt vmcnt(28)
	v_fma_f64 v[30:31], v[10:11], v[44:45], -v[30:31]
	v_mul_f64 v[20:21], v[2:3], v[48:49]
	v_fma_f64 v[24:25], v[12:13], v[44:45], v[24:25]
	ds_read_b128 v[10:13], v1 offset:1840
	v_add_f64 v[18:19], v[18:19], v[28:29]
	s_waitcnt vmcnt(27) lgkmcnt(1)
	v_mul_f64 v[28:29], v[8:9], v[50:51]
	v_add_f64 v[14:15], v[14:15], v[22:23]
	s_waitcnt vmcnt(25)
	v_fma_f64 v[26:27], v[2:3], v[54:55], -v[26:27]
	v_mul_f64 v[22:23], v[6:7], v[50:51]
	;; [unrolled: 9-line block ×6, first 2 shown]
	v_fma_f64 v[7:8], v[8:9], v[93:94], v[22:23]
	s_waitcnt vmcnt(7) lgkmcnt(0)
	v_mul_f64 v[22:23], v[3:4], v[99:100]
	v_add_f64 v[18:19], v[18:19], v[26:27]
	s_waitcnt vmcnt(6)
	v_fma_f64 v[9:10], v[10:11], v[70:71], -v[30:31]
	v_add_f64 v[14:15], v[14:15], v[20:21]
	v_mul_f64 v[20:21], v[1:2], v[99:100]
	v_fma_f64 v[11:12], v[12:13], v[70:71], v[24:25]
	v_add_f64 v[5:6], v[18:19], v[5:6]
	v_add_f64 v[7:8], v[14:15], v[7:8]
	s_waitcnt vmcnt(4)
	v_fma_f64 v[1:2], v[1:2], v[97:98], -v[22:23]
	v_fma_f64 v[3:4], v[3:4], v[97:98], v[20:21]
	v_add_f64 v[5:6], v[5:6], v[9:10]
	v_add_f64 v[7:8], v[7:8], v[11:12]
	;; [unrolled: 1-line block ×4, first 2 shown]
	s_waitcnt vmcnt(2)
	v_add_f64 v[1:2], v[16:17], -v[1:2]
	s_waitcnt vmcnt(0)
	v_add_f64 v[3:4], v[109:110], -v[3:4]
	buffer_store_dword v2, off, s[0:3], 0 offset:708
	buffer_store_dword v1, off, s[0:3], 0 offset:704
	;; [unrolled: 1-line block ×4, first 2 shown]
	v_cmpx_lt_u32_e32 42, v0
	s_cbranch_execz .LBB59_289
; %bb.288:
	v_mov_b32_e32 v4, s29
	v_mov_b32_e32 v5, 0
	s_clause 0x3
	buffer_load_dword v1, v4, s[0:3], 0 offen
	buffer_load_dword v2, v4, s[0:3], 0 offen offset:4
	buffer_load_dword v3, v4, s[0:3], 0 offen offset:8
	;; [unrolled: 1-line block ×3, first 2 shown]
	buffer_store_dword v5, off, s[0:3], 0 offset:688
	buffer_store_dword v5, off, s[0:3], 0 offset:692
	;; [unrolled: 1-line block ×4, first 2 shown]
	s_waitcnt vmcnt(0)
	ds_write_b128 v69, v[1:4]
.LBB59_289:
	s_or_b32 exec_lo, exec_lo, s4
	s_waitcnt lgkmcnt(0)
	s_waitcnt_vscnt null, 0x0
	s_barrier
	buffer_gl0_inv
	s_clause 0x37
	buffer_load_dword v10, off, s[0:3], 0 offset:712
	buffer_load_dword v11, off, s[0:3], 0 offset:716
	;; [unrolled: 1-line block ×56, first 2 shown]
	v_mov_b32_e32 v1, 0
	s_mov_b32 s4, exec_lo
	ds_read_b128 v[2:5], v1 offset:1648
	s_clause 0x2
	buffer_load_dword v67, off, s[0:3], 0 offset:940
	buffer_load_dword v94, off, s[0:3], 0 offset:916
	buffer_load_dword v93, off, s[0:3], 0 offset:912
	ds_read_b128 v[6:9], v1 offset:1664
	s_clause 0x4
	buffer_load_dword v100, off, s[0:3], 0 offset:956
	buffer_load_dword v109, off, s[0:3], 0 offset:968
	;; [unrolled: 1-line block ×5, first 2 shown]
	s_waitcnt vmcnt(62) lgkmcnt(1)
	v_mul_f64 v[95:96], v[4:5], v[10:11]
	v_mul_f64 v[97:98], v[2:3], v[10:11]
	s_waitcnt vmcnt(60) lgkmcnt(0)
	v_mul_f64 v[112:113], v[8:9], v[14:15]
	ds_read_b128 v[10:13], v1 offset:1680
	v_mul_f64 v[14:15], v[6:7], v[14:15]
	s_waitcnt vmcnt(58)
	v_fma_f64 v[95:96], v[2:3], v[16:17], -v[95:96]
	v_fma_f64 v[16:17], v[4:5], v[16:17], v[97:98]
	s_clause 0x2
	buffer_load_dword v110, off, s[0:3], 0 offset:972
	buffer_load_dword v98, off, s[0:3], 0 offset:948
	buffer_load_dword v97, off, s[0:3], 0 offset:944
	s_waitcnt vmcnt(59) lgkmcnt(0)
	v_mul_f64 v[114:115], v[10:11], v[18:19]
	v_mul_f64 v[18:19], v[12:13], v[18:19]
	s_waitcnt vmcnt(57)
	v_fma_f64 v[123:124], v[6:7], v[20:21], -v[112:113]
	ds_read_b128 v[2:5], v1 offset:1696
	v_fma_f64 v[14:15], v[8:9], v[20:21], v[14:15]
	buffer_load_dword v112, off, s[0:3], 0 offset:964
	ds_read_b128 v[6:9], v1 offset:1712
	v_add_f64 v[95:96], v[95:96], 0
	v_add_f64 v[16:17], v[16:17], 0
	s_waitcnt vmcnt(54) lgkmcnt(1)
	v_mul_f64 v[20:21], v[2:3], v[22:23]
	v_mul_f64 v[22:23], v[4:5], v[22:23]
	s_waitcnt vmcnt(52)
	v_fma_f64 v[18:19], v[10:11], v[28:29], -v[18:19]
	v_fma_f64 v[28:29], v[12:13], v[28:29], v[114:115]
	ds_read_b128 v[10:13], v1 offset:1728
	v_add_f64 v[95:96], v[95:96], v[123:124]
	v_add_f64 v[14:15], v[16:17], v[14:15]
	s_waitcnt vmcnt(51) lgkmcnt(1)
	v_mul_f64 v[16:17], v[6:7], v[24:25]
	v_mul_f64 v[24:25], v[8:9], v[24:25]
	s_waitcnt vmcnt(49)
	v_fma_f64 v[20:21], v[4:5], v[30:31], v[20:21]
	v_fma_f64 v[22:23], v[2:3], v[30:31], -v[22:23]
	v_add_f64 v[18:19], v[95:96], v[18:19]
	v_add_f64 v[14:15], v[14:15], v[28:29]
	s_clause 0x3
	buffer_load_dword v28, off, s[0:3], 0 offset:688
	buffer_load_dword v29, off, s[0:3], 0 offset:692
	;; [unrolled: 1-line block ×4, first 2 shown]
	s_waitcnt vmcnt(49) lgkmcnt(0)
	v_mul_f64 v[95:96], v[10:11], v[32:33]
	v_mul_f64 v[32:33], v[12:13], v[32:33]
	s_waitcnt vmcnt(48)
	v_fma_f64 v[24:25], v[6:7], v[26:27], -v[24:25]
	ds_read_b128 v[2:5], v1 offset:1744
	v_fma_f64 v[16:17], v[8:9], v[26:27], v[16:17]
	ds_read_b128 v[6:9], v1 offset:1760
	v_add_f64 v[18:19], v[18:19], v[22:23]
	v_add_f64 v[14:15], v[14:15], v[20:21]
	s_waitcnt vmcnt(47) lgkmcnt(1)
	v_mul_f64 v[22:23], v[4:5], v[34:35]
	s_waitcnt vmcnt(45)
	v_fma_f64 v[26:27], v[10:11], v[38:39], -v[32:33]
	v_mul_f64 v[20:21], v[2:3], v[34:35]
	s_waitcnt vmcnt(41) lgkmcnt(0)
	v_mul_f64 v[32:33], v[8:9], v[40:41]
	v_add_f64 v[18:19], v[18:19], v[24:25]
	v_fma_f64 v[24:25], v[12:13], v[38:39], v[95:96]
	v_add_f64 v[14:15], v[14:15], v[16:17]
	ds_read_b128 v[10:13], v1 offset:1776
	s_waitcnt vmcnt(40)
	v_fma_f64 v[22:23], v[2:3], v[36:37], -v[22:23]
	v_mul_f64 v[16:17], v[6:7], v[40:41]
	v_fma_f64 v[20:21], v[4:5], v[36:37], v[20:21]
	ds_read_b128 v[2:5], v1 offset:1792
	s_waitcnt vmcnt(37)
	v_fma_f64 v[32:33], v[6:7], v[46:47], -v[32:33]
	v_add_f64 v[18:19], v[18:19], v[26:27]
	s_waitcnt lgkmcnt(1)
	v_mul_f64 v[26:27], v[12:13], v[42:43]
	v_add_f64 v[14:15], v[14:15], v[24:25]
	v_mul_f64 v[24:25], v[10:11], v[42:43]
	v_fma_f64 v[16:17], v[8:9], v[46:47], v[16:17]
	ds_read_b128 v[6:9], v1 offset:1808
	v_add_f64 v[18:19], v[18:19], v[22:23]
	s_waitcnt vmcnt(33) lgkmcnt(1)
	v_mul_f64 v[22:23], v[4:5], v[48:49]
	v_add_f64 v[14:15], v[14:15], v[20:21]
	s_waitcnt vmcnt(32)
	v_fma_f64 v[26:27], v[10:11], v[44:45], -v[26:27]
	v_mul_f64 v[20:21], v[2:3], v[48:49]
	v_fma_f64 v[24:25], v[12:13], v[44:45], v[24:25]
	ds_read_b128 v[10:13], v1 offset:1824
	v_add_f64 v[18:19], v[18:19], v[32:33]
	s_waitcnt vmcnt(31) lgkmcnt(1)
	v_mul_f64 v[32:33], v[8:9], v[50:51]
	v_add_f64 v[14:15], v[14:15], v[16:17]
	s_waitcnt vmcnt(29)
	v_fma_f64 v[22:23], v[2:3], v[54:55], -v[22:23]
	;; [unrolled: 9-line block ×7, first 2 shown]
	v_mul_f64 v[20:21], v[2:3], v[99:100]
	v_fma_f64 v[12:13], v[12:13], v[70:71], v[24:25]
	v_add_f64 v[18:19], v[18:19], v[32:33]
	v_add_f64 v[14:15], v[14:15], v[16:17]
	s_waitcnt vmcnt(7) lgkmcnt(0)
	v_mul_f64 v[24:25], v[8:9], v[109:110]
	v_mul_f64 v[16:17], v[6:7], v[109:110]
	s_waitcnt vmcnt(5)
	v_fma_f64 v[2:3], v[2:3], v[97:98], -v[22:23]
	v_fma_f64 v[4:5], v[4:5], v[97:98], v[20:21]
	v_add_f64 v[10:11], v[18:19], v[10:11]
	v_add_f64 v[12:13], v[14:15], v[12:13]
	s_waitcnt vmcnt(4)
	v_fma_f64 v[6:7], v[6:7], v[111:112], -v[24:25]
	v_fma_f64 v[8:9], v[8:9], v[111:112], v[16:17]
	v_add_f64 v[2:3], v[10:11], v[2:3]
	v_add_f64 v[4:5], v[12:13], v[4:5]
	;; [unrolled: 1-line block ×4, first 2 shown]
	s_waitcnt vmcnt(2)
	v_add_f64 v[2:3], v[28:29], -v[2:3]
	s_waitcnt vmcnt(0)
	v_add_f64 v[4:5], v[30:31], -v[4:5]
	buffer_store_dword v3, off, s[0:3], 0 offset:692
	buffer_store_dword v2, off, s[0:3], 0 offset:688
	;; [unrolled: 1-line block ×4, first 2 shown]
	v_cmpx_lt_u32_e32 41, v0
	s_cbranch_execz .LBB59_291
; %bb.290:
	v_mov_b32_e32 v5, s30
	s_clause 0x3
	buffer_load_dword v2, v5, s[0:3], 0 offen
	buffer_load_dword v3, v5, s[0:3], 0 offen offset:4
	buffer_load_dword v4, v5, s[0:3], 0 offen offset:8
	;; [unrolled: 1-line block ×3, first 2 shown]
	buffer_store_dword v1, off, s[0:3], 0 offset:672
	buffer_store_dword v1, off, s[0:3], 0 offset:676
	;; [unrolled: 1-line block ×4, first 2 shown]
	s_waitcnt vmcnt(0)
	ds_write_b128 v69, v[2:5]
.LBB59_291:
	s_or_b32 exec_lo, exec_lo, s4
	s_waitcnt lgkmcnt(0)
	s_waitcnt_vscnt null, 0x0
	s_barrier
	buffer_gl0_inv
	s_clause 0x37
	buffer_load_dword v10, off, s[0:3], 0 offset:696
	buffer_load_dword v11, off, s[0:3], 0 offset:700
	;; [unrolled: 1-line block ×56, first 2 shown]
	ds_read_b128 v[2:5], v1 offset:1632
	s_clause 0x2
	buffer_load_dword v67, off, s[0:3], 0 offset:924
	buffer_load_dword v94, off, s[0:3], 0 offset:900
	;; [unrolled: 1-line block ×3, first 2 shown]
	ds_read_b128 v[6:9], v1 offset:1648
	s_clause 0x4
	buffer_load_dword v100, off, s[0:3], 0 offset:940
	buffer_load_dword v109, off, s[0:3], 0 offset:952
	;; [unrolled: 1-line block ×5, first 2 shown]
	s_mov_b32 s4, exec_lo
	s_waitcnt vmcnt(62) lgkmcnt(1)
	v_mul_f64 v[95:96], v[4:5], v[10:11]
	v_mul_f64 v[97:98], v[2:3], v[10:11]
	s_waitcnt vmcnt(60) lgkmcnt(0)
	v_mul_f64 v[112:113], v[8:9], v[14:15]
	ds_read_b128 v[10:13], v1 offset:1664
	v_mul_f64 v[14:15], v[6:7], v[14:15]
	s_waitcnt vmcnt(58)
	v_fma_f64 v[95:96], v[2:3], v[16:17], -v[95:96]
	v_fma_f64 v[16:17], v[4:5], v[16:17], v[97:98]
	s_clause 0x2
	buffer_load_dword v110, off, s[0:3], 0 offset:956
	buffer_load_dword v98, off, s[0:3], 0 offset:932
	;; [unrolled: 1-line block ×3, first 2 shown]
	s_waitcnt vmcnt(59) lgkmcnt(0)
	v_mul_f64 v[114:115], v[10:11], v[18:19]
	v_mul_f64 v[18:19], v[12:13], v[18:19]
	s_waitcnt vmcnt(57)
	v_fma_f64 v[123:124], v[6:7], v[20:21], -v[112:113]
	ds_read_b128 v[2:5], v1 offset:1680
	v_fma_f64 v[14:15], v[8:9], v[20:21], v[14:15]
	s_clause 0x2
	buffer_load_dword v21, off, s[0:3], 0 offset:972
	buffer_load_dword v20, off, s[0:3], 0 offset:968
	;; [unrolled: 1-line block ×3, first 2 shown]
	ds_read_b128 v[6:9], v1 offset:1696
	v_add_f64 v[95:96], v[95:96], 0
	v_add_f64 v[16:17], v[16:17], 0
	s_waitcnt vmcnt(56) lgkmcnt(1)
	v_mul_f64 v[125:126], v[2:3], v[22:23]
	v_mul_f64 v[22:23], v[4:5], v[22:23]
	s_waitcnt vmcnt(54)
	v_fma_f64 v[18:19], v[10:11], v[28:29], -v[18:19]
	v_fma_f64 v[28:29], v[12:13], v[28:29], v[114:115]
	s_waitcnt vmcnt(53) lgkmcnt(0)
	v_mul_f64 v[113:114], v[6:7], v[24:25]
	v_mul_f64 v[24:25], v[8:9], v[24:25]
	v_add_f64 v[95:96], v[95:96], v[123:124]
	v_add_f64 v[14:15], v[16:17], v[14:15]
	s_clause 0x1
	buffer_load_dword v17, off, s[0:3], 0 offset:964
	buffer_load_dword v16, off, s[0:3], 0 offset:960
	ds_read_b128 v[10:13], v1 offset:1712
	s_waitcnt vmcnt(53)
	v_fma_f64 v[22:23], v[2:3], v[30:31], -v[22:23]
	v_fma_f64 v[30:31], v[4:5], v[30:31], v[125:126]
	ds_read_b128 v[2:5], v1 offset:1728
	s_waitcnt vmcnt(48)
	v_fma_f64 v[24:25], v[6:7], v[26:27], -v[24:25]
	v_add_f64 v[18:19], v[95:96], v[18:19]
	v_add_f64 v[14:15], v[14:15], v[28:29]
	s_waitcnt lgkmcnt(1)
	v_mul_f64 v[28:29], v[10:11], v[32:33]
	v_mul_f64 v[32:33], v[12:13], v[32:33]
	s_waitcnt vmcnt(47) lgkmcnt(0)
	v_mul_f64 v[95:96], v[2:3], v[34:35]
	v_mul_f64 v[34:35], v[4:5], v[34:35]
	v_add_f64 v[18:19], v[18:19], v[22:23]
	v_fma_f64 v[22:23], v[8:9], v[26:27], v[113:114]
	v_add_f64 v[14:15], v[14:15], v[30:31]
	s_clause 0x3
	buffer_load_dword v26, off, s[0:3], 0 offset:672
	buffer_load_dword v27, off, s[0:3], 0 offset:676
	buffer_load_dword v30, off, s[0:3], 0 offset:680
	buffer_load_dword v31, off, s[0:3], 0 offset:684
	s_waitcnt vmcnt(49)
	v_fma_f64 v[32:33], v[10:11], v[38:39], -v[32:33]
	ds_read_b128 v[6:9], v1 offset:1744
	s_waitcnt vmcnt(44)
	v_fma_f64 v[34:35], v[2:3], v[36:37], -v[34:35]
	v_add_f64 v[18:19], v[18:19], v[24:25]
	v_fma_f64 v[24:25], v[12:13], v[38:39], v[28:29]
	v_add_f64 v[14:15], v[14:15], v[22:23]
	ds_read_b128 v[10:13], v1 offset:1760
	s_waitcnt lgkmcnt(1)
	v_mul_f64 v[28:29], v[8:9], v[40:41]
	v_mul_f64 v[22:23], v[6:7], v[40:41]
	v_add_f64 v[18:19], v[18:19], v[32:33]
	v_fma_f64 v[32:33], v[4:5], v[36:37], v[95:96]
	v_add_f64 v[14:15], v[14:15], v[24:25]
	s_waitcnt vmcnt(43) lgkmcnt(0)
	v_mul_f64 v[36:37], v[12:13], v[42:43]
	s_waitcnt vmcnt(41)
	v_fma_f64 v[28:29], v[6:7], v[46:47], -v[28:29]
	ds_read_b128 v[2:5], v1 offset:1776
	v_mul_f64 v[24:25], v[10:11], v[42:43]
	v_fma_f64 v[22:23], v[8:9], v[46:47], v[22:23]
	ds_read_b128 v[6:9], v1 offset:1792
	v_add_f64 v[18:19], v[18:19], v[34:35]
	v_add_f64 v[14:15], v[14:15], v[32:33]
	s_waitcnt vmcnt(37) lgkmcnt(1)
	v_mul_f64 v[34:35], v[4:5], v[48:49]
	s_waitcnt vmcnt(36)
	v_fma_f64 v[36:37], v[10:11], v[44:45], -v[36:37]
	v_mul_f64 v[32:33], v[2:3], v[48:49]
	v_fma_f64 v[24:25], v[12:13], v[44:45], v[24:25]
	ds_read_b128 v[10:13], v1 offset:1808
	v_add_f64 v[18:19], v[18:19], v[28:29]
	s_waitcnt vmcnt(35) lgkmcnt(1)
	v_mul_f64 v[28:29], v[8:9], v[50:51]
	v_add_f64 v[14:15], v[14:15], v[22:23]
	s_waitcnt vmcnt(33)
	v_fma_f64 v[34:35], v[2:3], v[54:55], -v[34:35]
	v_mul_f64 v[22:23], v[6:7], v[50:51]
	v_fma_f64 v[32:33], v[4:5], v[54:55], v[32:33]
	ds_read_b128 v[2:5], v1 offset:1824
	v_add_f64 v[18:19], v[18:19], v[36:37]
	s_waitcnt vmcnt(29) lgkmcnt(1)
	v_mul_f64 v[36:37], v[12:13], v[56:57]
	v_add_f64 v[14:15], v[14:15], v[24:25]
	;; [unrolled: 9-line block ×6, first 2 shown]
	s_waitcnt vmcnt(12)
	v_fma_f64 v[36:37], v[10:11], v[70:71], -v[36:37]
	v_mul_f64 v[32:33], v[2:3], v[99:100]
	v_fma_f64 v[24:25], v[12:13], v[70:71], v[24:25]
	ds_read_b128 v[10:13], v1 offset:1904
	v_add_f64 v[18:19], v[18:19], v[28:29]
	v_add_f64 v[14:15], v[14:15], v[22:23]
	s_waitcnt vmcnt(11) lgkmcnt(1)
	v_mul_f64 v[28:29], v[8:9], v[109:110]
	v_mul_f64 v[22:23], v[6:7], v[109:110]
	s_waitcnt vmcnt(9)
	v_fma_f64 v[1:2], v[2:3], v[97:98], -v[34:35]
	v_fma_f64 v[3:4], v[4:5], v[97:98], v[32:33]
	v_add_f64 v[18:19], v[18:19], v[36:37]
	v_add_f64 v[14:15], v[14:15], v[24:25]
	s_waitcnt vmcnt(7) lgkmcnt(0)
	v_mul_f64 v[24:25], v[10:11], v[20:21]
	v_mul_f64 v[20:21], v[12:13], v[20:21]
	s_waitcnt vmcnt(6)
	v_fma_f64 v[5:6], v[6:7], v[111:112], -v[28:29]
	v_fma_f64 v[7:8], v[8:9], v[111:112], v[22:23]
	v_add_f64 v[1:2], v[18:19], v[1:2]
	v_add_f64 v[3:4], v[14:15], v[3:4]
	s_waitcnt vmcnt(4)
	v_fma_f64 v[9:10], v[10:11], v[16:17], -v[20:21]
	v_add_f64 v[1:2], v[1:2], v[5:6]
	v_fma_f64 v[5:6], v[12:13], v[16:17], v[24:25]
	v_add_f64 v[3:4], v[3:4], v[7:8]
	v_add_f64 v[1:2], v[1:2], v[9:10]
	;; [unrolled: 1-line block ×3, first 2 shown]
	s_waitcnt vmcnt(2)
	v_add_f64 v[1:2], v[26:27], -v[1:2]
	s_waitcnt vmcnt(0)
	v_add_f64 v[3:4], v[30:31], -v[3:4]
	buffer_store_dword v2, off, s[0:3], 0 offset:676
	buffer_store_dword v1, off, s[0:3], 0 offset:672
	;; [unrolled: 1-line block ×4, first 2 shown]
	v_cmpx_lt_u32_e32 40, v0
	s_cbranch_execz .LBB59_293
; %bb.292:
	v_mov_b32_e32 v4, s31
	v_mov_b32_e32 v5, 0
	s_clause 0x3
	buffer_load_dword v1, v4, s[0:3], 0 offen
	buffer_load_dword v2, v4, s[0:3], 0 offen offset:4
	buffer_load_dword v3, v4, s[0:3], 0 offen offset:8
	;; [unrolled: 1-line block ×3, first 2 shown]
	buffer_store_dword v5, off, s[0:3], 0 offset:656
	buffer_store_dword v5, off, s[0:3], 0 offset:660
	;; [unrolled: 1-line block ×4, first 2 shown]
	s_waitcnt vmcnt(0)
	ds_write_b128 v69, v[1:4]
.LBB59_293:
	s_or_b32 exec_lo, exec_lo, s4
	s_waitcnt lgkmcnt(0)
	s_waitcnt_vscnt null, 0x0
	s_barrier
	buffer_gl0_inv
	s_clause 0x37
	buffer_load_dword v10, off, s[0:3], 0 offset:680
	buffer_load_dword v11, off, s[0:3], 0 offset:684
	;; [unrolled: 1-line block ×56, first 2 shown]
	v_mov_b32_e32 v1, 0
	s_mov_b32 s4, exec_lo
	ds_read_b128 v[2:5], v1 offset:1616
	s_clause 0x2
	buffer_load_dword v67, off, s[0:3], 0 offset:908
	buffer_load_dword v94, off, s[0:3], 0 offset:884
	;; [unrolled: 1-line block ×3, first 2 shown]
	ds_read_b128 v[6:9], v1 offset:1632
	s_clause 0x4
	buffer_load_dword v100, off, s[0:3], 0 offset:924
	buffer_load_dword v109, off, s[0:3], 0 offset:936
	;; [unrolled: 1-line block ×5, first 2 shown]
	s_waitcnt vmcnt(62) lgkmcnt(1)
	v_mul_f64 v[95:96], v[4:5], v[10:11]
	v_mul_f64 v[97:98], v[2:3], v[10:11]
	s_waitcnt vmcnt(60) lgkmcnt(0)
	v_mul_f64 v[112:113], v[8:9], v[14:15]
	ds_read_b128 v[10:13], v1 offset:1648
	v_mul_f64 v[14:15], v[6:7], v[14:15]
	s_waitcnt vmcnt(58)
	v_fma_f64 v[95:96], v[2:3], v[16:17], -v[95:96]
	v_fma_f64 v[16:17], v[4:5], v[16:17], v[97:98]
	s_clause 0x2
	buffer_load_dword v110, off, s[0:3], 0 offset:940
	buffer_load_dword v98, off, s[0:3], 0 offset:916
	;; [unrolled: 1-line block ×3, first 2 shown]
	s_waitcnt vmcnt(59) lgkmcnt(0)
	v_mul_f64 v[114:115], v[10:11], v[18:19]
	v_mul_f64 v[18:19], v[12:13], v[18:19]
	s_waitcnt vmcnt(57)
	v_fma_f64 v[123:124], v[6:7], v[20:21], -v[112:113]
	ds_read_b128 v[2:5], v1 offset:1664
	v_fma_f64 v[14:15], v[8:9], v[20:21], v[14:15]
	s_clause 0x4
	buffer_load_dword v21, off, s[0:3], 0 offset:956
	buffer_load_dword v113, off, s[0:3], 0 offset:968
	;; [unrolled: 1-line block ×5, first 2 shown]
	ds_read_b128 v[6:9], v1 offset:1680
	v_add_f64 v[95:96], v[95:96], 0
	v_add_f64 v[16:17], v[16:17], 0
	s_waitcnt vmcnt(58) lgkmcnt(1)
	v_mul_f64 v[126:127], v[2:3], v[22:23]
	v_mul_f64 v[22:23], v[4:5], v[22:23]
	s_waitcnt vmcnt(56)
	v_fma_f64 v[18:19], v[10:11], v[28:29], -v[18:19]
	v_fma_f64 v[28:29], v[12:13], v[28:29], v[114:115]
	s_waitcnt vmcnt(55) lgkmcnt(0)
	v_mul_f64 v[115:116], v[6:7], v[24:25]
	v_mul_f64 v[24:25], v[8:9], v[24:25]
	v_add_f64 v[95:96], v[95:96], v[123:124]
	v_add_f64 v[14:15], v[16:17], v[14:15]
	s_clause 0x2
	buffer_load_dword v114, off, s[0:3], 0 offset:972
	buffer_load_dword v17, off, s[0:3], 0 offset:948
	;; [unrolled: 1-line block ×3, first 2 shown]
	ds_read_b128 v[10:13], v1 offset:1696
	s_waitcnt vmcnt(56)
	v_fma_f64 v[22:23], v[2:3], v[30:31], -v[22:23]
	v_fma_f64 v[30:31], v[4:5], v[30:31], v[126:127]
	buffer_load_dword v126, off, s[0:3], 0 offset:964
	ds_read_b128 v[2:5], v1 offset:1712
	s_waitcnt vmcnt(52)
	v_fma_f64 v[24:25], v[6:7], v[26:27], -v[24:25]
	v_add_f64 v[18:19], v[95:96], v[18:19]
	v_add_f64 v[14:15], v[14:15], v[28:29]
	s_waitcnt lgkmcnt(1)
	v_mul_f64 v[28:29], v[10:11], v[32:33]
	v_mul_f64 v[32:33], v[12:13], v[32:33]
	v_add_f64 v[18:19], v[18:19], v[22:23]
	v_fma_f64 v[22:23], v[8:9], v[26:27], v[115:116]
	v_add_f64 v[14:15], v[14:15], v[30:31]
	s_waitcnt vmcnt(51) lgkmcnt(0)
	v_mul_f64 v[30:31], v[4:5], v[34:35]
	s_waitcnt vmcnt(49)
	v_fma_f64 v[32:33], v[10:11], v[38:39], -v[32:33]
	ds_read_b128 v[6:9], v1 offset:1728
	v_mul_f64 v[26:27], v[2:3], v[34:35]
	v_add_f64 v[18:19], v[18:19], v[24:25]
	v_fma_f64 v[24:25], v[12:13], v[38:39], v[28:29]
	v_add_f64 v[14:15], v[14:15], v[22:23]
	s_clause 0x3
	buffer_load_dword v22, off, s[0:3], 0 offset:656
	buffer_load_dword v23, off, s[0:3], 0 offset:660
	;; [unrolled: 1-line block ×4, first 2 shown]
	s_waitcnt vmcnt(49) lgkmcnt(0)
	v_mul_f64 v[38:39], v[8:9], v[40:41]
	s_waitcnt vmcnt(48)
	v_fma_f64 v[30:31], v[2:3], v[36:37], -v[30:31]
	ds_read_b128 v[10:13], v1 offset:1744
	v_mul_f64 v[34:35], v[6:7], v[40:41]
	v_fma_f64 v[26:27], v[4:5], v[36:37], v[26:27]
	ds_read_b128 v[2:5], v1 offset:1760
	v_add_f64 v[18:19], v[18:19], v[32:33]
	v_add_f64 v[14:15], v[14:15], v[24:25]
	s_waitcnt vmcnt(47) lgkmcnt(1)
	v_mul_f64 v[32:33], v[12:13], v[42:43]
	s_waitcnt vmcnt(45)
	v_fma_f64 v[36:37], v[6:7], v[46:47], -v[38:39]
	v_mul_f64 v[24:25], v[10:11], v[42:43]
	v_add_f64 v[18:19], v[18:19], v[30:31]
	v_fma_f64 v[30:31], v[8:9], v[46:47], v[34:35]
	v_add_f64 v[14:15], v[14:15], v[26:27]
	s_waitcnt vmcnt(41) lgkmcnt(0)
	v_mul_f64 v[34:35], v[4:5], v[48:49]
	s_waitcnt vmcnt(40)
	v_fma_f64 v[32:33], v[10:11], v[44:45], -v[32:33]
	ds_read_b128 v[6:9], v1 offset:1776
	v_mul_f64 v[26:27], v[2:3], v[48:49]
	v_fma_f64 v[24:25], v[12:13], v[44:45], v[24:25]
	ds_read_b128 v[10:13], v1 offset:1792
	v_add_f64 v[18:19], v[18:19], v[36:37]
	v_add_f64 v[14:15], v[14:15], v[30:31]
	s_waitcnt vmcnt(39) lgkmcnt(1)
	v_mul_f64 v[36:37], v[8:9], v[50:51]
	s_waitcnt vmcnt(37)
	v_fma_f64 v[34:35], v[2:3], v[54:55], -v[34:35]
	v_mul_f64 v[30:31], v[6:7], v[50:51]
	v_fma_f64 v[26:27], v[4:5], v[54:55], v[26:27]
	ds_read_b128 v[2:5], v1 offset:1808
	v_add_f64 v[18:19], v[18:19], v[32:33]
	s_waitcnt vmcnt(33) lgkmcnt(1)
	v_mul_f64 v[32:33], v[12:13], v[56:57]
	v_add_f64 v[14:15], v[14:15], v[24:25]
	s_waitcnt vmcnt(32)
	v_fma_f64 v[36:37], v[6:7], v[52:53], -v[36:37]
	v_mul_f64 v[24:25], v[10:11], v[56:57]
	v_fma_f64 v[30:31], v[8:9], v[52:53], v[30:31]
	ds_read_b128 v[6:9], v1 offset:1824
	v_add_f64 v[18:19], v[18:19], v[34:35]
	s_waitcnt vmcnt(31) lgkmcnt(1)
	v_mul_f64 v[34:35], v[4:5], v[58:59]
	v_add_f64 v[14:15], v[14:15], v[26:27]
	;; [unrolled: 9-line block ×5, first 2 shown]
	s_waitcnt vmcnt(16)
	v_fma_f64 v[32:33], v[10:11], v[70:71], -v[32:33]
	v_mul_f64 v[26:27], v[2:3], v[99:100]
	v_fma_f64 v[24:25], v[12:13], v[70:71], v[24:25]
	ds_read_b128 v[10:13], v1 offset:1888
	v_add_f64 v[18:19], v[18:19], v[36:37]
	v_add_f64 v[14:15], v[14:15], v[30:31]
	s_waitcnt vmcnt(15) lgkmcnt(1)
	v_mul_f64 v[36:37], v[8:9], v[109:110]
	v_mul_f64 v[30:31], v[6:7], v[109:110]
	s_waitcnt vmcnt(13)
	v_fma_f64 v[34:35], v[2:3], v[97:98], -v[34:35]
	v_fma_f64 v[26:27], v[4:5], v[97:98], v[26:27]
	ds_read_b128 v[2:5], v1 offset:1904
	v_add_f64 v[18:19], v[18:19], v[32:33]
	v_add_f64 v[14:15], v[14:15], v[24:25]
	s_waitcnt vmcnt(9) lgkmcnt(1)
	v_mul_f64 v[24:25], v[10:11], v[20:21]
	v_mul_f64 v[20:21], v[12:13], v[20:21]
	s_waitcnt vmcnt(8)
	v_fma_f64 v[6:7], v[6:7], v[111:112], -v[36:37]
	v_fma_f64 v[8:9], v[8:9], v[111:112], v[30:31]
	v_add_f64 v[18:19], v[18:19], v[34:35]
	v_add_f64 v[14:15], v[14:15], v[26:27]
	s_waitcnt vmcnt(7) lgkmcnt(0)
	v_mul_f64 v[30:31], v[4:5], v[113:114]
	v_mul_f64 v[26:27], v[2:3], v[113:114]
	s_waitcnt vmcnt(5)
	v_fma_f64 v[10:11], v[10:11], v[16:17], -v[20:21]
	v_fma_f64 v[12:13], v[12:13], v[16:17], v[24:25]
	v_add_f64 v[6:7], v[18:19], v[6:7]
	v_add_f64 v[8:9], v[14:15], v[8:9]
	s_waitcnt vmcnt(4)
	v_fma_f64 v[2:3], v[2:3], v[125:126], -v[30:31]
	v_fma_f64 v[4:5], v[4:5], v[125:126], v[26:27]
	v_add_f64 v[6:7], v[6:7], v[10:11]
	v_add_f64 v[8:9], v[8:9], v[12:13]
	;; [unrolled: 1-line block ×4, first 2 shown]
	s_waitcnt vmcnt(2)
	v_add_f64 v[2:3], v[22:23], -v[2:3]
	s_waitcnt vmcnt(0)
	v_add_f64 v[4:5], v[28:29], -v[4:5]
	buffer_store_dword v3, off, s[0:3], 0 offset:660
	buffer_store_dword v2, off, s[0:3], 0 offset:656
	;; [unrolled: 1-line block ×4, first 2 shown]
	v_cmpx_lt_u32_e32 39, v0
	s_cbranch_execz .LBB59_295
; %bb.294:
	v_mov_b32_e32 v5, s33
	s_clause 0x3
	buffer_load_dword v2, v5, s[0:3], 0 offen
	buffer_load_dword v3, v5, s[0:3], 0 offen offset:4
	buffer_load_dword v4, v5, s[0:3], 0 offen offset:8
	;; [unrolled: 1-line block ×3, first 2 shown]
	buffer_store_dword v1, off, s[0:3], 0 offset:640
	buffer_store_dword v1, off, s[0:3], 0 offset:644
	;; [unrolled: 1-line block ×4, first 2 shown]
	s_waitcnt vmcnt(0)
	ds_write_b128 v69, v[2:5]
.LBB59_295:
	s_or_b32 exec_lo, exec_lo, s4
	s_waitcnt lgkmcnt(0)
	s_waitcnt_vscnt null, 0x0
	s_barrier
	buffer_gl0_inv
	s_clause 0x37
	buffer_load_dword v10, off, s[0:3], 0 offset:664
	buffer_load_dword v11, off, s[0:3], 0 offset:668
	buffer_load_dword v14, off, s[0:3], 0 offset:680
	buffer_load_dword v15, off, s[0:3], 0 offset:684
	buffer_load_dword v16, off, s[0:3], 0 offset:656
	buffer_load_dword v17, off, s[0:3], 0 offset:660
	buffer_load_dword v18, off, s[0:3], 0 offset:696
	buffer_load_dword v19, off, s[0:3], 0 offset:700
	buffer_load_dword v20, off, s[0:3], 0 offset:672
	buffer_load_dword v21, off, s[0:3], 0 offset:676
	buffer_load_dword v23, off, s[0:3], 0 offset:716
	buffer_load_dword v24, off, s[0:3], 0 offset:728
	buffer_load_dword v26, off, s[0:3], 0 offset:720
	buffer_load_dword v22, off, s[0:3], 0 offset:712
	buffer_load_dword v28, off, s[0:3], 0 offset:688
	buffer_load_dword v29, off, s[0:3], 0 offset:692
	buffer_load_dword v25, off, s[0:3], 0 offset:732
	buffer_load_dword v31, off, s[0:3], 0 offset:708
	buffer_load_dword v30, off, s[0:3], 0 offset:704
	buffer_load_dword v33, off, s[0:3], 0 offset:748
	buffer_load_dword v34, off, s[0:3], 0 offset:760
	buffer_load_dword v36, off, s[0:3], 0 offset:752
	buffer_load_dword v32, off, s[0:3], 0 offset:744
	buffer_load_dword v27, off, s[0:3], 0 offset:724
	buffer_load_dword v35, off, s[0:3], 0 offset:764
	buffer_load_dword v39, off, s[0:3], 0 offset:740
	buffer_load_dword v38, off, s[0:3], 0 offset:736
	buffer_load_dword v41, off, s[0:3], 0 offset:780
	buffer_load_dword v42, off, s[0:3], 0 offset:792
	buffer_load_dword v44, off, s[0:3], 0 offset:784
	buffer_load_dword v40, off, s[0:3], 0 offset:776
	buffer_load_dword v37, off, s[0:3], 0 offset:756
	buffer_load_dword v43, off, s[0:3], 0 offset:796
	buffer_load_dword v47, off, s[0:3], 0 offset:772
	buffer_load_dword v46, off, s[0:3], 0 offset:768
	buffer_load_dword v49, off, s[0:3], 0 offset:812
	buffer_load_dword v50, off, s[0:3], 0 offset:824
	buffer_load_dword v52, off, s[0:3], 0 offset:816
	buffer_load_dword v48, off, s[0:3], 0 offset:808
	buffer_load_dword v45, off, s[0:3], 0 offset:788
	buffer_load_dword v51, off, s[0:3], 0 offset:828
	buffer_load_dword v55, off, s[0:3], 0 offset:804
	buffer_load_dword v54, off, s[0:3], 0 offset:800
	buffer_load_dword v57, off, s[0:3], 0 offset:844
	buffer_load_dword v58, off, s[0:3], 0 offset:856
	buffer_load_dword v60, off, s[0:3], 0 offset:848
	buffer_load_dword v56, off, s[0:3], 0 offset:840
	buffer_load_dword v53, off, s[0:3], 0 offset:820
	buffer_load_dword v59, off, s[0:3], 0 offset:860
	buffer_load_dword v63, off, s[0:3], 0 offset:836
	buffer_load_dword v62, off, s[0:3], 0 offset:832
	buffer_load_dword v65, off, s[0:3], 0 offset:876
	buffer_load_dword v66, off, s[0:3], 0 offset:888
	buffer_load_dword v70, off, s[0:3], 0 offset:880
	buffer_load_dword v64, off, s[0:3], 0 offset:872
	buffer_load_dword v61, off, s[0:3], 0 offset:852
	ds_read_b128 v[2:5], v1 offset:1600
	s_clause 0x2
	buffer_load_dword v67, off, s[0:3], 0 offset:892
	buffer_load_dword v94, off, s[0:3], 0 offset:868
	;; [unrolled: 1-line block ×3, first 2 shown]
	ds_read_b128 v[6:9], v1 offset:1616
	s_clause 0x4
	buffer_load_dword v100, off, s[0:3], 0 offset:908
	buffer_load_dword v109, off, s[0:3], 0 offset:920
	;; [unrolled: 1-line block ×5, first 2 shown]
	s_mov_b32 s4, exec_lo
	s_waitcnt vmcnt(62) lgkmcnt(1)
	v_mul_f64 v[95:96], v[4:5], v[10:11]
	v_mul_f64 v[97:98], v[2:3], v[10:11]
	s_waitcnt vmcnt(60) lgkmcnt(0)
	v_mul_f64 v[112:113], v[8:9], v[14:15]
	ds_read_b128 v[10:13], v1 offset:1632
	v_mul_f64 v[14:15], v[6:7], v[14:15]
	s_waitcnt vmcnt(58)
	v_fma_f64 v[95:96], v[2:3], v[16:17], -v[95:96]
	v_fma_f64 v[16:17], v[4:5], v[16:17], v[97:98]
	s_clause 0x2
	buffer_load_dword v110, off, s[0:3], 0 offset:924
	buffer_load_dword v98, off, s[0:3], 0 offset:900
	;; [unrolled: 1-line block ×3, first 2 shown]
	s_waitcnt vmcnt(59) lgkmcnt(0)
	v_mul_f64 v[114:115], v[10:11], v[18:19]
	v_mul_f64 v[18:19], v[12:13], v[18:19]
	s_waitcnt vmcnt(57)
	v_fma_f64 v[123:124], v[6:7], v[20:21], -v[112:113]
	ds_read_b128 v[2:5], v1 offset:1648
	v_fma_f64 v[14:15], v[8:9], v[20:21], v[14:15]
	s_clause 0x4
	buffer_load_dword v21, off, s[0:3], 0 offset:940
	buffer_load_dword v113, off, s[0:3], 0 offset:952
	;; [unrolled: 1-line block ×5, first 2 shown]
	ds_read_b128 v[6:9], v1 offset:1664
	v_add_f64 v[95:96], v[95:96], 0
	v_add_f64 v[16:17], v[16:17], 0
	s_waitcnt vmcnt(58) lgkmcnt(1)
	v_mul_f64 v[126:127], v[2:3], v[22:23]
	v_mul_f64 v[22:23], v[4:5], v[22:23]
	s_waitcnt vmcnt(56)
	v_fma_f64 v[18:19], v[10:11], v[28:29], -v[18:19]
	v_fma_f64 v[28:29], v[12:13], v[28:29], v[114:115]
	s_waitcnt vmcnt(55) lgkmcnt(0)
	v_mul_f64 v[115:116], v[6:7], v[24:25]
	v_mul_f64 v[24:25], v[8:9], v[24:25]
	v_add_f64 v[95:96], v[95:96], v[123:124]
	v_add_f64 v[14:15], v[16:17], v[14:15]
	s_clause 0x2
	buffer_load_dword v114, off, s[0:3], 0 offset:956
	buffer_load_dword v17, off, s[0:3], 0 offset:932
	;; [unrolled: 1-line block ×3, first 2 shown]
	ds_read_b128 v[10:13], v1 offset:1680
	s_waitcnt vmcnt(56)
	v_fma_f64 v[22:23], v[2:3], v[30:31], -v[22:23]
	v_fma_f64 v[30:31], v[4:5], v[30:31], v[126:127]
	s_waitcnt vmcnt(51)
	v_fma_f64 v[24:25], v[6:7], v[26:27], -v[24:25]
	v_add_f64 v[18:19], v[95:96], v[18:19]
	v_add_f64 v[14:15], v[14:15], v[28:29]
	s_clause 0x2
	buffer_load_dword v29, off, s[0:3], 0 offset:972
	buffer_load_dword v28, off, s[0:3], 0 offset:968
	;; [unrolled: 1-line block ×3, first 2 shown]
	s_waitcnt lgkmcnt(0)
	v_mul_f64 v[95:96], v[10:11], v[32:33]
	v_mul_f64 v[32:33], v[12:13], v[32:33]
	ds_read_b128 v[2:5], v1 offset:1696
	v_add_f64 v[18:19], v[18:19], v[22:23]
	v_fma_f64 v[22:23], v[8:9], v[26:27], v[115:116]
	v_add_f64 v[14:15], v[14:15], v[30:31]
	s_clause 0x1
	buffer_load_dword v27, off, s[0:3], 0 offset:964
	buffer_load_dword v26, off, s[0:3], 0 offset:960
	s_waitcnt vmcnt(55) lgkmcnt(0)
	v_mul_f64 v[30:31], v[2:3], v[34:35]
	v_mul_f64 v[34:35], v[4:5], v[34:35]
	s_waitcnt vmcnt(53)
	v_fma_f64 v[32:33], v[10:11], v[38:39], -v[32:33]
	ds_read_b128 v[6:9], v1 offset:1712
	v_add_f64 v[18:19], v[18:19], v[24:25]
	v_fma_f64 v[24:25], v[12:13], v[38:39], v[95:96]
	v_add_f64 v[14:15], v[14:15], v[22:23]
	ds_read_b128 v[10:13], v1 offset:1728
	s_waitcnt vmcnt(48)
	v_fma_f64 v[30:31], v[4:5], v[36:37], v[30:31]
	s_waitcnt lgkmcnt(1)
	v_mul_f64 v[38:39], v[8:9], v[40:41]
	v_fma_f64 v[34:35], v[2:3], v[36:37], -v[34:35]
	v_mul_f64 v[22:23], v[6:7], v[40:41]
	v_add_f64 v[18:19], v[18:19], v[32:33]
	s_waitcnt vmcnt(47) lgkmcnt(0)
	v_mul_f64 v[40:41], v[12:13], v[42:43]
	v_add_f64 v[14:15], v[14:15], v[24:25]
	s_clause 0x3
	buffer_load_dword v24, off, s[0:3], 0 offset:640
	buffer_load_dword v25, off, s[0:3], 0 offset:644
	;; [unrolled: 1-line block ×4, first 2 shown]
	ds_read_b128 v[2:5], v1 offset:1744
	s_waitcnt vmcnt(49)
	v_fma_f64 v[38:39], v[6:7], v[46:47], -v[38:39]
	v_mul_f64 v[36:37], v[10:11], v[42:43]
	v_fma_f64 v[22:23], v[8:9], v[46:47], v[22:23]
	ds_read_b128 v[6:9], v1 offset:1760
	v_add_f64 v[18:19], v[18:19], v[34:35]
	s_waitcnt vmcnt(44)
	v_fma_f64 v[40:41], v[10:11], v[44:45], -v[40:41]
	v_add_f64 v[14:15], v[14:15], v[30:31]
	s_waitcnt lgkmcnt(1)
	v_mul_f64 v[34:35], v[4:5], v[48:49]
	v_mul_f64 v[30:31], v[2:3], v[48:49]
	v_fma_f64 v[36:37], v[12:13], v[44:45], v[36:37]
	ds_read_b128 v[10:13], v1 offset:1776
	v_add_f64 v[18:19], v[18:19], v[38:39]
	s_waitcnt vmcnt(43) lgkmcnt(1)
	v_mul_f64 v[38:39], v[8:9], v[50:51]
	v_add_f64 v[14:15], v[14:15], v[22:23]
	s_waitcnt vmcnt(41)
	v_fma_f64 v[34:35], v[2:3], v[54:55], -v[34:35]
	v_mul_f64 v[22:23], v[6:7], v[50:51]
	v_fma_f64 v[30:31], v[4:5], v[54:55], v[30:31]
	ds_read_b128 v[2:5], v1 offset:1792
	v_add_f64 v[18:19], v[18:19], v[40:41]
	s_waitcnt vmcnt(37) lgkmcnt(1)
	v_mul_f64 v[40:41], v[12:13], v[56:57]
	v_add_f64 v[14:15], v[14:15], v[36:37]
	s_waitcnt vmcnt(36)
	v_fma_f64 v[38:39], v[6:7], v[52:53], -v[38:39]
	;; [unrolled: 9-line block ×6, first 2 shown]
	v_mul_f64 v[30:31], v[2:3], v[99:100]
	v_fma_f64 v[36:37], v[12:13], v[70:71], v[36:37]
	ds_read_b128 v[10:13], v1 offset:1872
	v_add_f64 v[18:19], v[18:19], v[38:39]
	v_add_f64 v[14:15], v[14:15], v[22:23]
	s_waitcnt vmcnt(19) lgkmcnt(1)
	v_mul_f64 v[38:39], v[8:9], v[109:110]
	v_mul_f64 v[22:23], v[6:7], v[109:110]
	s_waitcnt vmcnt(17)
	v_fma_f64 v[34:35], v[2:3], v[97:98], -v[34:35]
	v_fma_f64 v[30:31], v[4:5], v[97:98], v[30:31]
	ds_read_b128 v[2:5], v1 offset:1888
	v_add_f64 v[18:19], v[18:19], v[40:41]
	v_add_f64 v[14:15], v[14:15], v[36:37]
	s_waitcnt vmcnt(13) lgkmcnt(1)
	v_mul_f64 v[36:37], v[10:11], v[20:21]
	v_mul_f64 v[20:21], v[12:13], v[20:21]
	s_waitcnt vmcnt(12)
	v_fma_f64 v[38:39], v[6:7], v[111:112], -v[38:39]
	;; [unrolled: 9-line block ×3, first 2 shown]
	v_fma_f64 v[12:13], v[12:13], v[16:17], v[36:37]
	v_add_f64 v[18:19], v[18:19], v[38:39]
	v_add_f64 v[14:15], v[14:15], v[22:23]
	s_waitcnt vmcnt(7) lgkmcnt(0)
	v_mul_f64 v[20:21], v[8:9], v[28:29]
	s_waitcnt vmcnt(6)
	v_fma_f64 v[1:2], v[2:3], v[125:126], -v[34:35]
	v_mul_f64 v[16:17], v[6:7], v[28:29]
	v_fma_f64 v[3:4], v[4:5], v[125:126], v[30:31]
	v_add_f64 v[10:11], v[18:19], v[10:11]
	v_add_f64 v[12:13], v[14:15], v[12:13]
	s_waitcnt vmcnt(4)
	v_fma_f64 v[5:6], v[6:7], v[26:27], -v[20:21]
	v_fma_f64 v[7:8], v[8:9], v[26:27], v[16:17]
	v_add_f64 v[1:2], v[10:11], v[1:2]
	v_add_f64 v[3:4], v[12:13], v[3:4]
	;; [unrolled: 1-line block ×4, first 2 shown]
	s_waitcnt vmcnt(2)
	v_add_f64 v[1:2], v[24:25], -v[1:2]
	s_waitcnt vmcnt(0)
	v_add_f64 v[3:4], v[32:33], -v[3:4]
	buffer_store_dword v2, off, s[0:3], 0 offset:644
	buffer_store_dword v1, off, s[0:3], 0 offset:640
	;; [unrolled: 1-line block ×4, first 2 shown]
	v_cmpx_lt_u32_e32 38, v0
	s_cbranch_execz .LBB59_297
; %bb.296:
	v_mov_b32_e32 v4, s34
	v_mov_b32_e32 v5, 0
	s_clause 0x3
	buffer_load_dword v1, v4, s[0:3], 0 offen
	buffer_load_dword v2, v4, s[0:3], 0 offen offset:4
	buffer_load_dword v3, v4, s[0:3], 0 offen offset:8
	;; [unrolled: 1-line block ×3, first 2 shown]
	buffer_store_dword v5, off, s[0:3], 0 offset:624
	buffer_store_dword v5, off, s[0:3], 0 offset:628
	;; [unrolled: 1-line block ×4, first 2 shown]
	s_waitcnt vmcnt(0)
	ds_write_b128 v69, v[1:4]
.LBB59_297:
	s_or_b32 exec_lo, exec_lo, s4
	s_waitcnt lgkmcnt(0)
	s_waitcnt_vscnt null, 0x0
	s_barrier
	buffer_gl0_inv
	s_clause 0x37
	buffer_load_dword v10, off, s[0:3], 0 offset:648
	buffer_load_dword v11, off, s[0:3], 0 offset:652
	;; [unrolled: 1-line block ×56, first 2 shown]
	v_mov_b32_e32 v1, 0
	s_mov_b32 s4, exec_lo
	ds_read_b128 v[2:5], v1 offset:1584
	s_clause 0x2
	buffer_load_dword v67, off, s[0:3], 0 offset:876
	buffer_load_dword v94, off, s[0:3], 0 offset:852
	;; [unrolled: 1-line block ×3, first 2 shown]
	ds_read_b128 v[6:9], v1 offset:1600
	s_clause 0x4
	buffer_load_dword v100, off, s[0:3], 0 offset:892
	buffer_load_dword v109, off, s[0:3], 0 offset:904
	;; [unrolled: 1-line block ×5, first 2 shown]
	s_waitcnt vmcnt(62) lgkmcnt(1)
	v_mul_f64 v[95:96], v[4:5], v[10:11]
	v_mul_f64 v[97:98], v[2:3], v[10:11]
	s_waitcnt vmcnt(60) lgkmcnt(0)
	v_mul_f64 v[112:113], v[8:9], v[14:15]
	ds_read_b128 v[10:13], v1 offset:1616
	v_mul_f64 v[14:15], v[6:7], v[14:15]
	s_waitcnt vmcnt(58)
	v_fma_f64 v[95:96], v[2:3], v[16:17], -v[95:96]
	v_fma_f64 v[16:17], v[4:5], v[16:17], v[97:98]
	s_clause 0x2
	buffer_load_dword v110, off, s[0:3], 0 offset:908
	buffer_load_dword v98, off, s[0:3], 0 offset:884
	;; [unrolled: 1-line block ×3, first 2 shown]
	s_waitcnt vmcnt(59) lgkmcnt(0)
	v_mul_f64 v[114:115], v[10:11], v[18:19]
	v_mul_f64 v[18:19], v[12:13], v[18:19]
	s_waitcnt vmcnt(57)
	v_fma_f64 v[123:124], v[6:7], v[20:21], -v[112:113]
	ds_read_b128 v[2:5], v1 offset:1632
	v_fma_f64 v[14:15], v[8:9], v[20:21], v[14:15]
	s_clause 0x4
	buffer_load_dword v21, off, s[0:3], 0 offset:924
	buffer_load_dword v113, off, s[0:3], 0 offset:936
	;; [unrolled: 1-line block ×5, first 2 shown]
	ds_read_b128 v[6:9], v1 offset:1648
	v_add_f64 v[95:96], v[95:96], 0
	v_add_f64 v[16:17], v[16:17], 0
	s_waitcnt vmcnt(58) lgkmcnt(1)
	v_mul_f64 v[126:127], v[2:3], v[22:23]
	v_mul_f64 v[22:23], v[4:5], v[22:23]
	s_waitcnt vmcnt(56)
	v_fma_f64 v[18:19], v[10:11], v[28:29], -v[18:19]
	v_fma_f64 v[28:29], v[12:13], v[28:29], v[114:115]
	s_waitcnt vmcnt(55) lgkmcnt(0)
	v_mul_f64 v[115:116], v[6:7], v[24:25]
	v_mul_f64 v[24:25], v[8:9], v[24:25]
	v_add_f64 v[95:96], v[95:96], v[123:124]
	v_add_f64 v[14:15], v[16:17], v[14:15]
	s_clause 0x2
	buffer_load_dword v114, off, s[0:3], 0 offset:940
	buffer_load_dword v17, off, s[0:3], 0 offset:916
	;; [unrolled: 1-line block ×3, first 2 shown]
	ds_read_b128 v[10:13], v1 offset:1664
	s_waitcnt vmcnt(56)
	v_fma_f64 v[22:23], v[2:3], v[30:31], -v[22:23]
	v_fma_f64 v[30:31], v[4:5], v[30:31], v[126:127]
	s_waitcnt vmcnt(51)
	v_fma_f64 v[24:25], v[6:7], v[26:27], -v[24:25]
	v_add_f64 v[18:19], v[95:96], v[18:19]
	v_add_f64 v[14:15], v[14:15], v[28:29]
	s_clause 0x4
	buffer_load_dword v29, off, s[0:3], 0 offset:956
	buffer_load_dword v95, off, s[0:3], 0 offset:968
	;; [unrolled: 1-line block ×5, first 2 shown]
	s_waitcnt lgkmcnt(0)
	v_mul_f64 v[127:128], v[10:11], v[32:33]
	v_mul_f64 v[32:33], v[12:13], v[32:33]
	ds_read_b128 v[2:5], v1 offset:1680
	v_add_f64 v[18:19], v[18:19], v[22:23]
	v_fma_f64 v[22:23], v[8:9], v[26:27], v[115:116]
	v_add_f64 v[14:15], v[14:15], v[30:31]
	s_clause 0x2
	buffer_load_dword v96, off, s[0:3], 0 offset:972
	buffer_load_dword v27, off, s[0:3], 0 offset:948
	buffer_load_dword v26, off, s[0:3], 0 offset:944
	s_waitcnt vmcnt(58) lgkmcnt(0)
	v_mul_f64 v[30:31], v[2:3], v[34:35]
	v_mul_f64 v[34:35], v[4:5], v[34:35]
	s_waitcnt vmcnt(56)
	v_fma_f64 v[32:33], v[10:11], v[38:39], -v[32:33]
	ds_read_b128 v[6:9], v1 offset:1696
	buffer_load_dword v124, off, s[0:3], 0 offset:964
	v_add_f64 v[18:19], v[18:19], v[24:25]
	v_fma_f64 v[24:25], v[12:13], v[38:39], v[127:128]
	v_add_f64 v[14:15], v[14:15], v[22:23]
	ds_read_b128 v[10:13], v1 offset:1712
	s_waitcnt vmcnt(52)
	v_fma_f64 v[30:31], v[4:5], v[36:37], v[30:31]
	s_waitcnt lgkmcnt(1)
	v_mul_f64 v[38:39], v[8:9], v[40:41]
	v_fma_f64 v[34:35], v[2:3], v[36:37], -v[34:35]
	v_mul_f64 v[22:23], v[6:7], v[40:41]
	ds_read_b128 v[2:5], v1 offset:1728
	v_add_f64 v[18:19], v[18:19], v[32:33]
	s_waitcnt vmcnt(51) lgkmcnt(1)
	v_mul_f64 v[32:33], v[12:13], v[42:43]
	v_add_f64 v[14:15], v[14:15], v[24:25]
	v_mul_f64 v[24:25], v[10:11], v[42:43]
	s_waitcnt vmcnt(49)
	v_fma_f64 v[36:37], v[6:7], v[46:47], -v[38:39]
	s_waitcnt vmcnt(45) lgkmcnt(0)
	v_mul_f64 v[40:41], v[4:5], v[48:49]
	v_fma_f64 v[22:23], v[8:9], v[46:47], v[22:23]
	v_mul_f64 v[38:39], v[2:3], v[48:49]
	v_add_f64 v[18:19], v[18:19], v[34:35]
	s_waitcnt vmcnt(44)
	v_fma_f64 v[32:33], v[10:11], v[44:45], -v[32:33]
	v_add_f64 v[14:15], v[14:15], v[30:31]
	s_clause 0x3
	buffer_load_dword v30, off, s[0:3], 0 offset:624
	buffer_load_dword v31, off, s[0:3], 0 offset:628
	;; [unrolled: 1-line block ×4, first 2 shown]
	ds_read_b128 v[6:9], v1 offset:1744
	v_fma_f64 v[24:25], v[12:13], v[44:45], v[24:25]
	ds_read_b128 v[10:13], v1 offset:1760
	s_waitcnt vmcnt(45)
	v_fma_f64 v[40:41], v[2:3], v[54:55], -v[40:41]
	v_add_f64 v[18:19], v[18:19], v[36:37]
	v_add_f64 v[14:15], v[14:15], v[22:23]
	s_waitcnt lgkmcnt(1)
	v_mul_f64 v[36:37], v[8:9], v[50:51]
	v_mul_f64 v[22:23], v[6:7], v[50:51]
	v_add_f64 v[18:19], v[18:19], v[32:33]
	v_fma_f64 v[32:33], v[4:5], v[54:55], v[38:39]
	v_add_f64 v[14:15], v[14:15], v[24:25]
	s_waitcnt vmcnt(41) lgkmcnt(0)
	v_mul_f64 v[38:39], v[12:13], v[56:57]
	s_waitcnt vmcnt(40)
	v_fma_f64 v[36:37], v[6:7], v[52:53], -v[36:37]
	ds_read_b128 v[2:5], v1 offset:1776
	v_mul_f64 v[24:25], v[10:11], v[56:57]
	v_fma_f64 v[22:23], v[8:9], v[52:53], v[22:23]
	ds_read_b128 v[6:9], v1 offset:1792
	v_add_f64 v[18:19], v[18:19], v[40:41]
	v_add_f64 v[14:15], v[14:15], v[32:33]
	s_waitcnt vmcnt(39) lgkmcnt(1)
	v_mul_f64 v[40:41], v[4:5], v[58:59]
	s_waitcnt vmcnt(37)
	v_fma_f64 v[38:39], v[10:11], v[62:63], -v[38:39]
	v_mul_f64 v[32:33], v[2:3], v[58:59]
	v_fma_f64 v[24:25], v[12:13], v[62:63], v[24:25]
	ds_read_b128 v[10:13], v1 offset:1808
	v_add_f64 v[18:19], v[18:19], v[36:37]
	s_waitcnt vmcnt(33) lgkmcnt(1)
	v_mul_f64 v[36:37], v[8:9], v[64:65]
	v_add_f64 v[14:15], v[14:15], v[22:23]
	s_waitcnt vmcnt(32)
	v_fma_f64 v[40:41], v[2:3], v[60:61], -v[40:41]
	v_mul_f64 v[22:23], v[6:7], v[64:65]
	v_fma_f64 v[32:33], v[4:5], v[60:61], v[32:33]
	ds_read_b128 v[2:5], v1 offset:1824
	v_add_f64 v[18:19], v[18:19], v[38:39]
	s_waitcnt vmcnt(31) lgkmcnt(1)
	v_mul_f64 v[38:39], v[12:13], v[66:67]
	v_add_f64 v[14:15], v[14:15], v[24:25]
	;; [unrolled: 9-line block ×3, first 2 shown]
	s_waitcnt vmcnt(24)
	v_fma_f64 v[38:39], v[10:11], v[70:71], -v[38:39]
	v_mul_f64 v[32:33], v[2:3], v[99:100]
	v_fma_f64 v[24:25], v[12:13], v[70:71], v[24:25]
	ds_read_b128 v[10:13], v1 offset:1856
	v_add_f64 v[18:19], v[18:19], v[36:37]
	v_add_f64 v[14:15], v[14:15], v[22:23]
	s_waitcnt vmcnt(23) lgkmcnt(1)
	v_mul_f64 v[36:37], v[8:9], v[109:110]
	v_mul_f64 v[22:23], v[6:7], v[109:110]
	s_waitcnt vmcnt(21)
	v_fma_f64 v[40:41], v[2:3], v[97:98], -v[40:41]
	v_fma_f64 v[32:33], v[4:5], v[97:98], v[32:33]
	ds_read_b128 v[2:5], v1 offset:1872
	v_add_f64 v[18:19], v[18:19], v[38:39]
	v_add_f64 v[14:15], v[14:15], v[24:25]
	s_waitcnt vmcnt(17) lgkmcnt(1)
	v_mul_f64 v[24:25], v[10:11], v[20:21]
	v_mul_f64 v[20:21], v[12:13], v[20:21]
	s_waitcnt vmcnt(16)
	v_fma_f64 v[36:37], v[6:7], v[111:112], -v[36:37]
	;; [unrolled: 9-line block ×3, first 2 shown]
	v_fma_f64 v[16:17], v[12:13], v[16:17], v[24:25]
	ds_read_b128 v[10:13], v1 offset:1904
	v_add_f64 v[18:19], v[18:19], v[36:37]
	v_add_f64 v[14:15], v[14:15], v[22:23]
	s_waitcnt vmcnt(9) lgkmcnt(1)
	v_mul_f64 v[24:25], v[8:9], v[28:29]
	s_waitcnt vmcnt(8)
	v_fma_f64 v[2:3], v[2:3], v[125:126], -v[38:39]
	v_mul_f64 v[22:23], v[6:7], v[28:29]
	v_fma_f64 v[4:5], v[4:5], v[125:126], v[32:33]
	v_add_f64 v[18:19], v[18:19], v[20:21]
	v_add_f64 v[14:15], v[14:15], v[16:17]
	s_waitcnt vmcnt(7) lgkmcnt(0)
	v_mul_f64 v[20:21], v[12:13], v[95:96]
	v_mul_f64 v[16:17], v[10:11], v[95:96]
	s_waitcnt vmcnt(5)
	v_fma_f64 v[6:7], v[6:7], v[26:27], -v[24:25]
	v_fma_f64 v[8:9], v[8:9], v[26:27], v[22:23]
	v_add_f64 v[2:3], v[18:19], v[2:3]
	v_add_f64 v[4:5], v[14:15], v[4:5]
	s_waitcnt vmcnt(4)
	v_fma_f64 v[10:11], v[10:11], v[123:124], -v[20:21]
	v_add_f64 v[2:3], v[2:3], v[6:7]
	v_fma_f64 v[6:7], v[12:13], v[123:124], v[16:17]
	v_add_f64 v[4:5], v[4:5], v[8:9]
	v_add_f64 v[2:3], v[2:3], v[10:11]
	;; [unrolled: 1-line block ×3, first 2 shown]
	s_waitcnt vmcnt(2)
	v_add_f64 v[2:3], v[30:31], -v[2:3]
	s_waitcnt vmcnt(0)
	v_add_f64 v[4:5], v[34:35], -v[4:5]
	buffer_store_dword v3, off, s[0:3], 0 offset:628
	buffer_store_dword v2, off, s[0:3], 0 offset:624
	;; [unrolled: 1-line block ×4, first 2 shown]
	v_cmpx_lt_u32_e32 37, v0
	s_cbranch_execz .LBB59_299
; %bb.298:
	v_mov_b32_e32 v5, s35
	s_clause 0x3
	buffer_load_dword v2, v5, s[0:3], 0 offen
	buffer_load_dword v3, v5, s[0:3], 0 offen offset:4
	buffer_load_dword v4, v5, s[0:3], 0 offen offset:8
	;; [unrolled: 1-line block ×3, first 2 shown]
	buffer_store_dword v1, off, s[0:3], 0 offset:608
	buffer_store_dword v1, off, s[0:3], 0 offset:612
	;; [unrolled: 1-line block ×4, first 2 shown]
	s_waitcnt vmcnt(0)
	ds_write_b128 v69, v[2:5]
.LBB59_299:
	s_or_b32 exec_lo, exec_lo, s4
	s_waitcnt lgkmcnt(0)
	s_waitcnt_vscnt null, 0x0
	s_barrier
	buffer_gl0_inv
	s_clause 0x37
	buffer_load_dword v10, off, s[0:3], 0 offset:632
	buffer_load_dword v11, off, s[0:3], 0 offset:636
	;; [unrolled: 1-line block ×56, first 2 shown]
	ds_read_b128 v[2:5], v1 offset:1568
	s_clause 0x2
	buffer_load_dword v67, off, s[0:3], 0 offset:860
	buffer_load_dword v94, off, s[0:3], 0 offset:836
	;; [unrolled: 1-line block ×3, first 2 shown]
	ds_read_b128 v[6:9], v1 offset:1584
	s_clause 0x4
	buffer_load_dword v100, off, s[0:3], 0 offset:876
	buffer_load_dword v109, off, s[0:3], 0 offset:888
	;; [unrolled: 1-line block ×5, first 2 shown]
	s_mov_b32 s4, exec_lo
	s_waitcnt vmcnt(62) lgkmcnt(1)
	v_mul_f64 v[95:96], v[4:5], v[10:11]
	v_mul_f64 v[97:98], v[2:3], v[10:11]
	s_waitcnt vmcnt(60) lgkmcnt(0)
	v_mul_f64 v[112:113], v[8:9], v[14:15]
	ds_read_b128 v[10:13], v1 offset:1600
	v_mul_f64 v[14:15], v[6:7], v[14:15]
	s_waitcnt vmcnt(58)
	v_fma_f64 v[95:96], v[2:3], v[16:17], -v[95:96]
	v_fma_f64 v[16:17], v[4:5], v[16:17], v[97:98]
	s_clause 0x2
	buffer_load_dword v110, off, s[0:3], 0 offset:892
	buffer_load_dword v98, off, s[0:3], 0 offset:868
	;; [unrolled: 1-line block ×3, first 2 shown]
	s_waitcnt vmcnt(59) lgkmcnt(0)
	v_mul_f64 v[114:115], v[10:11], v[18:19]
	v_mul_f64 v[18:19], v[12:13], v[18:19]
	s_waitcnt vmcnt(57)
	v_fma_f64 v[123:124], v[6:7], v[20:21], -v[112:113]
	ds_read_b128 v[2:5], v1 offset:1616
	v_fma_f64 v[14:15], v[8:9], v[20:21], v[14:15]
	s_clause 0x4
	buffer_load_dword v21, off, s[0:3], 0 offset:908
	buffer_load_dword v113, off, s[0:3], 0 offset:920
	;; [unrolled: 1-line block ×5, first 2 shown]
	ds_read_b128 v[6:9], v1 offset:1632
	v_add_f64 v[95:96], v[95:96], 0
	v_add_f64 v[16:17], v[16:17], 0
	s_waitcnt vmcnt(58) lgkmcnt(1)
	v_mul_f64 v[126:127], v[2:3], v[22:23]
	v_mul_f64 v[22:23], v[4:5], v[22:23]
	s_waitcnt vmcnt(56)
	v_fma_f64 v[18:19], v[10:11], v[28:29], -v[18:19]
	v_fma_f64 v[28:29], v[12:13], v[28:29], v[114:115]
	s_waitcnt vmcnt(55) lgkmcnt(0)
	v_mul_f64 v[115:116], v[6:7], v[24:25]
	v_mul_f64 v[24:25], v[8:9], v[24:25]
	v_add_f64 v[95:96], v[95:96], v[123:124]
	v_add_f64 v[14:15], v[16:17], v[14:15]
	s_clause 0x2
	buffer_load_dword v114, off, s[0:3], 0 offset:924
	buffer_load_dword v17, off, s[0:3], 0 offset:900
	;; [unrolled: 1-line block ×3, first 2 shown]
	ds_read_b128 v[10:13], v1 offset:1648
	s_waitcnt vmcnt(56)
	v_fma_f64 v[22:23], v[2:3], v[30:31], -v[22:23]
	v_fma_f64 v[30:31], v[4:5], v[30:31], v[126:127]
	s_waitcnt vmcnt(51)
	v_fma_f64 v[24:25], v[6:7], v[26:27], -v[24:25]
	v_add_f64 v[18:19], v[95:96], v[18:19]
	v_add_f64 v[14:15], v[14:15], v[28:29]
	s_clause 0x4
	buffer_load_dword v29, off, s[0:3], 0 offset:940
	buffer_load_dword v95, off, s[0:3], 0 offset:952
	;; [unrolled: 1-line block ×5, first 2 shown]
	s_waitcnt lgkmcnt(0)
	v_mul_f64 v[127:128], v[10:11], v[32:33]
	v_mul_f64 v[32:33], v[12:13], v[32:33]
	ds_read_b128 v[2:5], v1 offset:1664
	v_add_f64 v[18:19], v[18:19], v[22:23]
	v_fma_f64 v[22:23], v[8:9], v[26:27], v[115:116]
	v_add_f64 v[14:15], v[14:15], v[30:31]
	s_clause 0x2
	buffer_load_dword v96, off, s[0:3], 0 offset:956
	buffer_load_dword v27, off, s[0:3], 0 offset:932
	;; [unrolled: 1-line block ×3, first 2 shown]
	s_waitcnt vmcnt(58) lgkmcnt(0)
	v_mul_f64 v[30:31], v[2:3], v[34:35]
	v_mul_f64 v[34:35], v[4:5], v[34:35]
	s_waitcnt vmcnt(56)
	v_fma_f64 v[32:33], v[10:11], v[38:39], -v[32:33]
	ds_read_b128 v[6:9], v1 offset:1680
	v_add_f64 v[18:19], v[18:19], v[24:25]
	v_fma_f64 v[24:25], v[12:13], v[38:39], v[127:128]
	v_add_f64 v[14:15], v[14:15], v[22:23]
	s_clause 0x2
	buffer_load_dword v23, off, s[0:3], 0 offset:972
	buffer_load_dword v22, off, s[0:3], 0 offset:968
	;; [unrolled: 1-line block ×3, first 2 shown]
	ds_read_b128 v[10:13], v1 offset:1696
	s_waitcnt vmcnt(55) lgkmcnt(1)
	v_mul_f64 v[38:39], v[6:7], v[40:41]
	v_mul_f64 v[40:41], v[8:9], v[40:41]
	s_waitcnt vmcnt(54)
	v_fma_f64 v[34:35], v[2:3], v[36:37], -v[34:35]
	v_fma_f64 v[30:31], v[4:5], v[36:37], v[30:31]
	v_add_f64 v[18:19], v[18:19], v[32:33]
	v_add_f64 v[14:15], v[14:15], v[24:25]
	s_clause 0x1
	buffer_load_dword v25, off, s[0:3], 0 offset:964
	buffer_load_dword v24, off, s[0:3], 0 offset:960
	s_waitcnt vmcnt(55) lgkmcnt(0)
	v_mul_f64 v[36:37], v[12:13], v[42:43]
	ds_read_b128 v[2:5], v1 offset:1712
	s_waitcnt vmcnt(53)
	v_fma_f64 v[40:41], v[6:7], v[46:47], -v[40:41]
	v_mul_f64 v[32:33], v[10:11], v[42:43]
	v_add_f64 v[18:19], v[18:19], v[34:35]
	v_fma_f64 v[34:35], v[8:9], v[46:47], v[38:39]
	v_add_f64 v[14:15], v[14:15], v[30:31]
	ds_read_b128 v[6:9], v1 offset:1728
	s_waitcnt vmcnt(49) lgkmcnt(1)
	v_mul_f64 v[38:39], v[4:5], v[48:49]
	s_waitcnt vmcnt(48)
	v_fma_f64 v[36:37], v[10:11], v[44:45], -v[36:37]
	v_mul_f64 v[30:31], v[2:3], v[48:49]
	v_fma_f64 v[32:33], v[12:13], v[44:45], v[32:33]
	v_add_f64 v[18:19], v[18:19], v[40:41]
	s_waitcnt vmcnt(47) lgkmcnt(0)
	v_mul_f64 v[44:45], v[8:9], v[50:51]
	v_add_f64 v[14:15], v[14:15], v[34:35]
	s_clause 0x3
	buffer_load_dword v34, off, s[0:3], 0 offset:608
	buffer_load_dword v35, off, s[0:3], 0 offset:612
	;; [unrolled: 1-line block ×4, first 2 shown]
	s_waitcnt vmcnt(49)
	v_fma_f64 v[38:39], v[2:3], v[54:55], -v[38:39]
	ds_read_b128 v[10:13], v1 offset:1744
	v_mul_f64 v[42:43], v[6:7], v[50:51]
	v_fma_f64 v[30:31], v[4:5], v[54:55], v[30:31]
	ds_read_b128 v[2:5], v1 offset:1760
	v_add_f64 v[18:19], v[18:19], v[36:37]
	s_waitcnt vmcnt(44)
	v_fma_f64 v[44:45], v[6:7], v[52:53], -v[44:45]
	v_add_f64 v[14:15], v[14:15], v[32:33]
	s_waitcnt lgkmcnt(1)
	v_mul_f64 v[36:37], v[12:13], v[56:57]
	v_mul_f64 v[32:33], v[10:11], v[56:57]
	v_add_f64 v[18:19], v[18:19], v[38:39]
	v_fma_f64 v[38:39], v[8:9], v[52:53], v[42:43]
	v_add_f64 v[14:15], v[14:15], v[30:31]
	s_waitcnt vmcnt(43) lgkmcnt(0)
	v_mul_f64 v[42:43], v[4:5], v[58:59]
	s_waitcnt vmcnt(41)
	v_fma_f64 v[36:37], v[10:11], v[62:63], -v[36:37]
	ds_read_b128 v[6:9], v1 offset:1776
	v_mul_f64 v[30:31], v[2:3], v[58:59]
	v_fma_f64 v[32:33], v[12:13], v[62:63], v[32:33]
	ds_read_b128 v[10:13], v1 offset:1792
	v_add_f64 v[18:19], v[18:19], v[44:45]
	v_add_f64 v[14:15], v[14:15], v[38:39]
	s_waitcnt vmcnt(37) lgkmcnt(1)
	v_mul_f64 v[44:45], v[8:9], v[64:65]
	s_waitcnt vmcnt(36)
	v_fma_f64 v[42:43], v[2:3], v[60:61], -v[42:43]
	v_mul_f64 v[38:39], v[6:7], v[64:65]
	v_fma_f64 v[30:31], v[4:5], v[60:61], v[30:31]
	ds_read_b128 v[2:5], v1 offset:1808
	v_add_f64 v[18:19], v[18:19], v[36:37]
	s_waitcnt vmcnt(35) lgkmcnt(1)
	v_mul_f64 v[36:37], v[12:13], v[66:67]
	v_add_f64 v[14:15], v[14:15], v[32:33]
	s_waitcnt vmcnt(33)
	v_fma_f64 v[44:45], v[6:7], v[93:94], -v[44:45]
	v_mul_f64 v[32:33], v[10:11], v[66:67]
	v_fma_f64 v[38:39], v[8:9], v[93:94], v[38:39]
	ds_read_b128 v[6:9], v1 offset:1824
	v_add_f64 v[18:19], v[18:19], v[42:43]
	s_waitcnt vmcnt(29) lgkmcnt(1)
	v_mul_f64 v[42:43], v[4:5], v[99:100]
	v_add_f64 v[14:15], v[14:15], v[30:31]
	s_waitcnt vmcnt(28)
	v_fma_f64 v[36:37], v[10:11], v[70:71], -v[36:37]
	v_mul_f64 v[30:31], v[2:3], v[99:100]
	v_fma_f64 v[32:33], v[12:13], v[70:71], v[32:33]
	ds_read_b128 v[10:13], v1 offset:1840
	v_add_f64 v[18:19], v[18:19], v[44:45]
	v_add_f64 v[14:15], v[14:15], v[38:39]
	s_waitcnt vmcnt(27) lgkmcnt(1)
	v_mul_f64 v[44:45], v[8:9], v[109:110]
	v_mul_f64 v[38:39], v[6:7], v[109:110]
	s_waitcnt vmcnt(25)
	v_fma_f64 v[42:43], v[2:3], v[97:98], -v[42:43]
	v_fma_f64 v[30:31], v[4:5], v[97:98], v[30:31]
	ds_read_b128 v[2:5], v1 offset:1856
	v_add_f64 v[18:19], v[18:19], v[36:37]
	v_add_f64 v[14:15], v[14:15], v[32:33]
	s_waitcnt vmcnt(21) lgkmcnt(1)
	v_mul_f64 v[32:33], v[10:11], v[20:21]
	v_mul_f64 v[20:21], v[12:13], v[20:21]
	s_waitcnt vmcnt(20)
	v_fma_f64 v[36:37], v[6:7], v[111:112], -v[44:45]
	;; [unrolled: 9-line block ×4, first 2 shown]
	v_add_f64 v[18:19], v[18:19], v[20:21]
	v_fma_f64 v[20:21], v[4:5], v[125:126], v[30:31]
	v_add_f64 v[14:15], v[14:15], v[16:17]
	ds_read_b128 v[1:4], v1 offset:1904
	s_waitcnt vmcnt(11) lgkmcnt(1)
	v_mul_f64 v[30:31], v[12:13], v[95:96]
	v_mul_f64 v[16:17], v[10:11], v[95:96]
	s_waitcnt vmcnt(9)
	v_fma_f64 v[5:6], v[6:7], v[26:27], -v[28:29]
	v_fma_f64 v[7:8], v[8:9], v[26:27], v[32:33]
	v_add_f64 v[18:19], v[18:19], v[36:37]
	v_add_f64 v[14:15], v[14:15], v[20:21]
	s_waitcnt vmcnt(7) lgkmcnt(0)
	v_mul_f64 v[20:21], v[1:2], v[22:23]
	v_mul_f64 v[22:23], v[3:4], v[22:23]
	s_waitcnt vmcnt(6)
	v_fma_f64 v[9:10], v[10:11], v[123:124], -v[30:31]
	v_fma_f64 v[11:12], v[12:13], v[123:124], v[16:17]
	v_add_f64 v[5:6], v[18:19], v[5:6]
	v_add_f64 v[7:8], v[14:15], v[7:8]
	s_waitcnt vmcnt(4)
	v_fma_f64 v[1:2], v[1:2], v[24:25], -v[22:23]
	v_fma_f64 v[3:4], v[3:4], v[24:25], v[20:21]
	v_add_f64 v[5:6], v[5:6], v[9:10]
	v_add_f64 v[7:8], v[7:8], v[11:12]
	;; [unrolled: 1-line block ×4, first 2 shown]
	s_waitcnt vmcnt(2)
	v_add_f64 v[1:2], v[34:35], -v[1:2]
	s_waitcnt vmcnt(0)
	v_add_f64 v[3:4], v[40:41], -v[3:4]
	buffer_store_dword v2, off, s[0:3], 0 offset:612
	buffer_store_dword v1, off, s[0:3], 0 offset:608
	;; [unrolled: 1-line block ×4, first 2 shown]
	v_cmpx_lt_u32_e32 36, v0
	s_cbranch_execz .LBB59_301
; %bb.300:
	v_mov_b32_e32 v4, s36
	v_mov_b32_e32 v5, 0
	s_clause 0x3
	buffer_load_dword v1, v4, s[0:3], 0 offen
	buffer_load_dword v2, v4, s[0:3], 0 offen offset:4
	buffer_load_dword v3, v4, s[0:3], 0 offen offset:8
	;; [unrolled: 1-line block ×3, first 2 shown]
	buffer_store_dword v5, off, s[0:3], 0 offset:592
	buffer_store_dword v5, off, s[0:3], 0 offset:596
	;; [unrolled: 1-line block ×4, first 2 shown]
	s_waitcnt vmcnt(0)
	ds_write_b128 v69, v[1:4]
.LBB59_301:
	s_or_b32 exec_lo, exec_lo, s4
	s_waitcnt lgkmcnt(0)
	s_waitcnt_vscnt null, 0x0
	s_barrier
	buffer_gl0_inv
	s_clause 0x37
	buffer_load_dword v10, off, s[0:3], 0 offset:616
	buffer_load_dword v11, off, s[0:3], 0 offset:620
	;; [unrolled: 1-line block ×56, first 2 shown]
	v_mov_b32_e32 v1, 0
	s_mov_b32 s4, exec_lo
	ds_read_b128 v[2:5], v1 offset:1552
	s_clause 0x2
	buffer_load_dword v67, off, s[0:3], 0 offset:844
	buffer_load_dword v94, off, s[0:3], 0 offset:820
	;; [unrolled: 1-line block ×3, first 2 shown]
	ds_read_b128 v[6:9], v1 offset:1568
	s_clause 0x4
	buffer_load_dword v100, off, s[0:3], 0 offset:860
	buffer_load_dword v109, off, s[0:3], 0 offset:872
	;; [unrolled: 1-line block ×5, first 2 shown]
	s_waitcnt vmcnt(62) lgkmcnt(1)
	v_mul_f64 v[95:96], v[4:5], v[10:11]
	v_mul_f64 v[97:98], v[2:3], v[10:11]
	s_waitcnt vmcnt(60) lgkmcnt(0)
	v_mul_f64 v[112:113], v[8:9], v[14:15]
	ds_read_b128 v[10:13], v1 offset:1584
	v_mul_f64 v[14:15], v[6:7], v[14:15]
	s_waitcnt vmcnt(58)
	v_fma_f64 v[95:96], v[2:3], v[16:17], -v[95:96]
	v_fma_f64 v[16:17], v[4:5], v[16:17], v[97:98]
	s_clause 0x2
	buffer_load_dword v110, off, s[0:3], 0 offset:876
	buffer_load_dword v98, off, s[0:3], 0 offset:852
	;; [unrolled: 1-line block ×3, first 2 shown]
	s_waitcnt vmcnt(59) lgkmcnt(0)
	v_mul_f64 v[114:115], v[10:11], v[18:19]
	v_mul_f64 v[18:19], v[12:13], v[18:19]
	s_waitcnt vmcnt(57)
	v_fma_f64 v[123:124], v[6:7], v[20:21], -v[112:113]
	ds_read_b128 v[2:5], v1 offset:1600
	v_fma_f64 v[14:15], v[8:9], v[20:21], v[14:15]
	s_clause 0x4
	buffer_load_dword v21, off, s[0:3], 0 offset:892
	buffer_load_dword v113, off, s[0:3], 0 offset:904
	;; [unrolled: 1-line block ×5, first 2 shown]
	ds_read_b128 v[6:9], v1 offset:1616
	v_add_f64 v[95:96], v[95:96], 0
	v_add_f64 v[16:17], v[16:17], 0
	s_waitcnt vmcnt(58) lgkmcnt(1)
	v_mul_f64 v[126:127], v[2:3], v[22:23]
	v_mul_f64 v[22:23], v[4:5], v[22:23]
	s_waitcnt vmcnt(56)
	v_fma_f64 v[18:19], v[10:11], v[28:29], -v[18:19]
	v_fma_f64 v[28:29], v[12:13], v[28:29], v[114:115]
	s_waitcnt vmcnt(55) lgkmcnt(0)
	v_mul_f64 v[115:116], v[6:7], v[24:25]
	v_mul_f64 v[24:25], v[8:9], v[24:25]
	v_add_f64 v[95:96], v[95:96], v[123:124]
	v_add_f64 v[14:15], v[16:17], v[14:15]
	s_clause 0x2
	buffer_load_dword v114, off, s[0:3], 0 offset:908
	buffer_load_dword v17, off, s[0:3], 0 offset:884
	;; [unrolled: 1-line block ×3, first 2 shown]
	ds_read_b128 v[10:13], v1 offset:1632
	s_waitcnt vmcnt(56)
	v_fma_f64 v[22:23], v[2:3], v[30:31], -v[22:23]
	v_fma_f64 v[30:31], v[4:5], v[30:31], v[126:127]
	s_waitcnt vmcnt(51)
	v_fma_f64 v[24:25], v[6:7], v[26:27], -v[24:25]
	v_add_f64 v[18:19], v[95:96], v[18:19]
	v_add_f64 v[14:15], v[14:15], v[28:29]
	s_clause 0x4
	buffer_load_dword v29, off, s[0:3], 0 offset:924
	buffer_load_dword v95, off, s[0:3], 0 offset:936
	;; [unrolled: 1-line block ×5, first 2 shown]
	s_waitcnt lgkmcnt(0)
	v_mul_f64 v[127:128], v[10:11], v[32:33]
	v_mul_f64 v[32:33], v[12:13], v[32:33]
	ds_read_b128 v[2:5], v1 offset:1648
	v_add_f64 v[18:19], v[18:19], v[22:23]
	v_fma_f64 v[22:23], v[8:9], v[26:27], v[115:116]
	v_add_f64 v[14:15], v[14:15], v[30:31]
	s_clause 0x2
	buffer_load_dword v96, off, s[0:3], 0 offset:940
	buffer_load_dword v27, off, s[0:3], 0 offset:916
	;; [unrolled: 1-line block ×3, first 2 shown]
	s_waitcnt vmcnt(58) lgkmcnt(0)
	v_mul_f64 v[30:31], v[2:3], v[34:35]
	v_mul_f64 v[34:35], v[4:5], v[34:35]
	s_waitcnt vmcnt(56)
	v_fma_f64 v[32:33], v[10:11], v[38:39], -v[32:33]
	ds_read_b128 v[6:9], v1 offset:1664
	v_add_f64 v[18:19], v[18:19], v[24:25]
	v_fma_f64 v[24:25], v[12:13], v[38:39], v[127:128]
	v_add_f64 v[14:15], v[14:15], v[22:23]
	s_clause 0x4
	buffer_load_dword v23, off, s[0:3], 0 offset:956
	buffer_load_dword v38, off, s[0:3], 0 offset:968
	;; [unrolled: 1-line block ×5, first 2 shown]
	ds_read_b128 v[10:13], v1 offset:1680
	s_waitcnt vmcnt(57) lgkmcnt(1)
	v_mul_f64 v[127:128], v[6:7], v[40:41]
	v_mul_f64 v[40:41], v[8:9], v[40:41]
	s_waitcnt vmcnt(56)
	v_fma_f64 v[34:35], v[2:3], v[36:37], -v[34:35]
	v_fma_f64 v[30:31], v[4:5], v[36:37], v[30:31]
	v_add_f64 v[18:19], v[18:19], v[32:33]
	v_add_f64 v[14:15], v[14:15], v[24:25]
	s_clause 0x2
	buffer_load_dword v39, off, s[0:3], 0 offset:972
	buffer_load_dword v25, off, s[0:3], 0 offset:948
	;; [unrolled: 1-line block ×3, first 2 shown]
	s_waitcnt vmcnt(58) lgkmcnt(0)
	v_mul_f64 v[36:37], v[12:13], v[42:43]
	ds_read_b128 v[2:5], v1 offset:1696
	s_waitcnt vmcnt(56)
	v_fma_f64 v[40:41], v[6:7], v[46:47], -v[40:41]
	v_mul_f64 v[32:33], v[10:11], v[42:43]
	buffer_load_dword v116, off, s[0:3], 0 offset:964
	v_add_f64 v[18:19], v[18:19], v[34:35]
	v_fma_f64 v[34:35], v[8:9], v[46:47], v[127:128]
	v_add_f64 v[14:15], v[14:15], v[30:31]
	ds_read_b128 v[6:9], v1 offset:1712
	s_waitcnt vmcnt(53) lgkmcnt(1)
	v_mul_f64 v[42:43], v[4:5], v[48:49]
	s_waitcnt vmcnt(52)
	v_fma_f64 v[36:37], v[10:11], v[44:45], -v[36:37]
	v_mul_f64 v[30:31], v[2:3], v[48:49]
	v_fma_f64 v[32:33], v[12:13], v[44:45], v[32:33]
	ds_read_b128 v[10:13], v1 offset:1728
	v_add_f64 v[18:19], v[18:19], v[40:41]
	s_waitcnt vmcnt(51) lgkmcnt(1)
	v_mul_f64 v[40:41], v[8:9], v[50:51]
	v_add_f64 v[14:15], v[14:15], v[34:35]
	v_mul_f64 v[34:35], v[6:7], v[50:51]
	s_waitcnt vmcnt(49)
	v_fma_f64 v[42:43], v[2:3], v[54:55], -v[42:43]
	v_fma_f64 v[30:31], v[4:5], v[54:55], v[30:31]
	s_waitcnt vmcnt(45) lgkmcnt(0)
	v_mul_f64 v[46:47], v[12:13], v[56:57]
	v_mul_f64 v[44:45], v[10:11], v[56:57]
	v_add_f64 v[18:19], v[18:19], v[36:37]
	s_waitcnt vmcnt(44)
	v_fma_f64 v[40:41], v[6:7], v[52:53], -v[40:41]
	v_add_f64 v[14:15], v[14:15], v[32:33]
	s_clause 0x3
	buffer_load_dword v32, off, s[0:3], 0 offset:592
	buffer_load_dword v33, off, s[0:3], 0 offset:596
	;; [unrolled: 1-line block ×4, first 2 shown]
	ds_read_b128 v[2:5], v1 offset:1744
	v_fma_f64 v[34:35], v[8:9], v[52:53], v[34:35]
	ds_read_b128 v[6:9], v1 offset:1760
	s_waitcnt vmcnt(45)
	v_fma_f64 v[46:47], v[10:11], v[62:63], -v[46:47]
	v_add_f64 v[18:19], v[18:19], v[42:43]
	v_add_f64 v[14:15], v[14:15], v[30:31]
	s_waitcnt lgkmcnt(1)
	v_mul_f64 v[42:43], v[4:5], v[58:59]
	v_mul_f64 v[30:31], v[2:3], v[58:59]
	v_add_f64 v[18:19], v[18:19], v[40:41]
	v_fma_f64 v[40:41], v[12:13], v[62:63], v[44:45]
	v_add_f64 v[14:15], v[14:15], v[34:35]
	s_waitcnt vmcnt(41) lgkmcnt(0)
	v_mul_f64 v[44:45], v[8:9], v[64:65]
	s_waitcnt vmcnt(40)
	v_fma_f64 v[42:43], v[2:3], v[60:61], -v[42:43]
	ds_read_b128 v[10:13], v1 offset:1776
	v_mul_f64 v[34:35], v[6:7], v[64:65]
	v_fma_f64 v[30:31], v[4:5], v[60:61], v[30:31]
	ds_read_b128 v[2:5], v1 offset:1792
	v_add_f64 v[18:19], v[18:19], v[46:47]
	v_add_f64 v[14:15], v[14:15], v[40:41]
	s_waitcnt vmcnt(39) lgkmcnt(1)
	v_mul_f64 v[46:47], v[12:13], v[66:67]
	s_waitcnt vmcnt(37)
	v_fma_f64 v[44:45], v[6:7], v[93:94], -v[44:45]
	v_mul_f64 v[40:41], v[10:11], v[66:67]
	v_fma_f64 v[34:35], v[8:9], v[93:94], v[34:35]
	ds_read_b128 v[6:9], v1 offset:1808
	v_add_f64 v[18:19], v[18:19], v[42:43]
	s_waitcnt vmcnt(33) lgkmcnt(1)
	v_mul_f64 v[42:43], v[4:5], v[99:100]
	v_add_f64 v[14:15], v[14:15], v[30:31]
	s_waitcnt vmcnt(32)
	v_fma_f64 v[46:47], v[10:11], v[70:71], -v[46:47]
	v_mul_f64 v[30:31], v[2:3], v[99:100]
	v_fma_f64 v[40:41], v[12:13], v[70:71], v[40:41]
	ds_read_b128 v[10:13], v1 offset:1824
	v_add_f64 v[18:19], v[18:19], v[44:45]
	v_add_f64 v[14:15], v[14:15], v[34:35]
	s_waitcnt vmcnt(31) lgkmcnt(1)
	v_mul_f64 v[44:45], v[8:9], v[109:110]
	v_mul_f64 v[34:35], v[6:7], v[109:110]
	s_waitcnt vmcnt(29)
	v_fma_f64 v[42:43], v[2:3], v[97:98], -v[42:43]
	v_fma_f64 v[30:31], v[4:5], v[97:98], v[30:31]
	ds_read_b128 v[2:5], v1 offset:1840
	v_add_f64 v[18:19], v[18:19], v[46:47]
	v_add_f64 v[14:15], v[14:15], v[40:41]
	s_waitcnt vmcnt(25) lgkmcnt(1)
	v_mul_f64 v[40:41], v[10:11], v[20:21]
	v_mul_f64 v[20:21], v[12:13], v[20:21]
	s_waitcnt vmcnt(24)
	v_fma_f64 v[44:45], v[6:7], v[111:112], -v[44:45]
	;; [unrolled: 9-line block ×4, first 2 shown]
	v_add_f64 v[18:19], v[18:19], v[20:21]
	v_fma_f64 v[20:21], v[4:5], v[125:126], v[30:31]
	v_add_f64 v[14:15], v[14:15], v[16:17]
	ds_read_b128 v[2:5], v1 offset:1888
	s_waitcnt vmcnt(15) lgkmcnt(1)
	v_mul_f64 v[30:31], v[12:13], v[95:96]
	v_mul_f64 v[16:17], v[10:11], v[95:96]
	s_waitcnt vmcnt(13)
	v_fma_f64 v[28:29], v[6:7], v[26:27], -v[28:29]
	v_fma_f64 v[26:27], v[8:9], v[26:27], v[34:35]
	ds_read_b128 v[6:9], v1 offset:1904
	v_add_f64 v[18:19], v[18:19], v[40:41]
	v_add_f64 v[14:15], v[14:15], v[20:21]
	s_waitcnt vmcnt(9) lgkmcnt(1)
	v_mul_f64 v[20:21], v[2:3], v[22:23]
	v_mul_f64 v[22:23], v[4:5], v[22:23]
	s_waitcnt vmcnt(8)
	v_fma_f64 v[10:11], v[10:11], v[123:124], -v[30:31]
	v_fma_f64 v[12:13], v[12:13], v[123:124], v[16:17]
	v_add_f64 v[18:19], v[18:19], v[28:29]
	v_add_f64 v[14:15], v[14:15], v[26:27]
	s_waitcnt vmcnt(7) lgkmcnt(0)
	v_mul_f64 v[26:27], v[8:9], v[38:39]
	v_mul_f64 v[16:17], v[6:7], v[38:39]
	s_waitcnt vmcnt(5)
	v_fma_f64 v[2:3], v[2:3], v[24:25], -v[22:23]
	v_fma_f64 v[4:5], v[4:5], v[24:25], v[20:21]
	v_add_f64 v[10:11], v[18:19], v[10:11]
	v_add_f64 v[12:13], v[14:15], v[12:13]
	s_waitcnt vmcnt(4)
	v_fma_f64 v[6:7], v[6:7], v[115:116], -v[26:27]
	v_fma_f64 v[8:9], v[8:9], v[115:116], v[16:17]
	v_add_f64 v[2:3], v[10:11], v[2:3]
	v_add_f64 v[4:5], v[12:13], v[4:5]
	v_add_f64 v[2:3], v[2:3], v[6:7]
	v_add_f64 v[4:5], v[4:5], v[8:9]
	s_waitcnt vmcnt(2)
	v_add_f64 v[2:3], v[32:33], -v[2:3]
	s_waitcnt vmcnt(0)
	v_add_f64 v[4:5], v[36:37], -v[4:5]
	buffer_store_dword v3, off, s[0:3], 0 offset:596
	buffer_store_dword v2, off, s[0:3], 0 offset:592
	;; [unrolled: 1-line block ×4, first 2 shown]
	v_cmpx_lt_u32_e32 35, v0
	s_cbranch_execz .LBB59_303
; %bb.302:
	v_mov_b32_e32 v5, s37
	s_clause 0x3
	buffer_load_dword v2, v5, s[0:3], 0 offen
	buffer_load_dword v3, v5, s[0:3], 0 offen offset:4
	buffer_load_dword v4, v5, s[0:3], 0 offen offset:8
	;; [unrolled: 1-line block ×3, first 2 shown]
	buffer_store_dword v1, off, s[0:3], 0 offset:576
	buffer_store_dword v1, off, s[0:3], 0 offset:580
	;; [unrolled: 1-line block ×4, first 2 shown]
	s_waitcnt vmcnt(0)
	ds_write_b128 v69, v[2:5]
.LBB59_303:
	s_or_b32 exec_lo, exec_lo, s4
	s_waitcnt lgkmcnt(0)
	s_waitcnt_vscnt null, 0x0
	s_barrier
	buffer_gl0_inv
	s_clause 0x37
	buffer_load_dword v10, off, s[0:3], 0 offset:600
	buffer_load_dword v11, off, s[0:3], 0 offset:604
	;; [unrolled: 1-line block ×56, first 2 shown]
	ds_read_b128 v[2:5], v1 offset:1536
	s_clause 0x2
	buffer_load_dword v67, off, s[0:3], 0 offset:828
	buffer_load_dword v94, off, s[0:3], 0 offset:804
	;; [unrolled: 1-line block ×3, first 2 shown]
	ds_read_b128 v[6:9], v1 offset:1552
	s_clause 0x4
	buffer_load_dword v100, off, s[0:3], 0 offset:844
	buffer_load_dword v109, off, s[0:3], 0 offset:856
	;; [unrolled: 1-line block ×5, first 2 shown]
	s_mov_b32 s4, exec_lo
	s_waitcnt vmcnt(62) lgkmcnt(1)
	v_mul_f64 v[95:96], v[4:5], v[10:11]
	v_mul_f64 v[97:98], v[2:3], v[10:11]
	s_waitcnt vmcnt(60) lgkmcnt(0)
	v_mul_f64 v[112:113], v[8:9], v[14:15]
	ds_read_b128 v[10:13], v1 offset:1568
	v_mul_f64 v[14:15], v[6:7], v[14:15]
	s_waitcnt vmcnt(58)
	v_fma_f64 v[95:96], v[2:3], v[16:17], -v[95:96]
	v_fma_f64 v[16:17], v[4:5], v[16:17], v[97:98]
	s_clause 0x2
	buffer_load_dword v110, off, s[0:3], 0 offset:860
	buffer_load_dword v98, off, s[0:3], 0 offset:836
	;; [unrolled: 1-line block ×3, first 2 shown]
	s_waitcnt vmcnt(59) lgkmcnt(0)
	v_mul_f64 v[114:115], v[10:11], v[18:19]
	v_mul_f64 v[18:19], v[12:13], v[18:19]
	s_waitcnt vmcnt(57)
	v_fma_f64 v[123:124], v[6:7], v[20:21], -v[112:113]
	ds_read_b128 v[2:5], v1 offset:1584
	v_fma_f64 v[14:15], v[8:9], v[20:21], v[14:15]
	s_clause 0x4
	buffer_load_dword v21, off, s[0:3], 0 offset:876
	buffer_load_dword v113, off, s[0:3], 0 offset:888
	;; [unrolled: 1-line block ×5, first 2 shown]
	ds_read_b128 v[6:9], v1 offset:1600
	v_add_f64 v[95:96], v[95:96], 0
	v_add_f64 v[16:17], v[16:17], 0
	s_waitcnt vmcnt(58) lgkmcnt(1)
	v_mul_f64 v[126:127], v[2:3], v[22:23]
	v_mul_f64 v[22:23], v[4:5], v[22:23]
	s_waitcnt vmcnt(56)
	v_fma_f64 v[18:19], v[10:11], v[28:29], -v[18:19]
	v_fma_f64 v[28:29], v[12:13], v[28:29], v[114:115]
	s_waitcnt vmcnt(55) lgkmcnt(0)
	v_mul_f64 v[115:116], v[6:7], v[24:25]
	v_mul_f64 v[24:25], v[8:9], v[24:25]
	v_add_f64 v[95:96], v[95:96], v[123:124]
	v_add_f64 v[14:15], v[16:17], v[14:15]
	s_clause 0x2
	buffer_load_dword v114, off, s[0:3], 0 offset:892
	buffer_load_dword v17, off, s[0:3], 0 offset:868
	;; [unrolled: 1-line block ×3, first 2 shown]
	ds_read_b128 v[10:13], v1 offset:1616
	s_waitcnt vmcnt(56)
	v_fma_f64 v[22:23], v[2:3], v[30:31], -v[22:23]
	v_fma_f64 v[30:31], v[4:5], v[30:31], v[126:127]
	s_waitcnt vmcnt(51)
	v_fma_f64 v[24:25], v[6:7], v[26:27], -v[24:25]
	v_add_f64 v[18:19], v[95:96], v[18:19]
	v_add_f64 v[14:15], v[14:15], v[28:29]
	s_clause 0x4
	buffer_load_dword v29, off, s[0:3], 0 offset:908
	buffer_load_dword v95, off, s[0:3], 0 offset:920
	;; [unrolled: 1-line block ×5, first 2 shown]
	s_waitcnt lgkmcnt(0)
	v_mul_f64 v[127:128], v[10:11], v[32:33]
	v_mul_f64 v[32:33], v[12:13], v[32:33]
	ds_read_b128 v[2:5], v1 offset:1632
	v_add_f64 v[18:19], v[18:19], v[22:23]
	v_fma_f64 v[22:23], v[8:9], v[26:27], v[115:116]
	v_add_f64 v[14:15], v[14:15], v[30:31]
	s_clause 0x2
	buffer_load_dword v96, off, s[0:3], 0 offset:924
	buffer_load_dword v27, off, s[0:3], 0 offset:900
	;; [unrolled: 1-line block ×3, first 2 shown]
	s_waitcnt vmcnt(58) lgkmcnt(0)
	v_mul_f64 v[30:31], v[2:3], v[34:35]
	v_mul_f64 v[34:35], v[4:5], v[34:35]
	s_waitcnt vmcnt(56)
	v_fma_f64 v[32:33], v[10:11], v[38:39], -v[32:33]
	ds_read_b128 v[6:9], v1 offset:1648
	v_add_f64 v[18:19], v[18:19], v[24:25]
	v_fma_f64 v[24:25], v[12:13], v[38:39], v[127:128]
	v_add_f64 v[14:15], v[14:15], v[22:23]
	s_clause 0x4
	buffer_load_dword v23, off, s[0:3], 0 offset:940
	buffer_load_dword v38, off, s[0:3], 0 offset:952
	;; [unrolled: 1-line block ×5, first 2 shown]
	ds_read_b128 v[10:13], v1 offset:1664
	s_waitcnt vmcnt(57) lgkmcnt(1)
	v_mul_f64 v[127:128], v[6:7], v[40:41]
	v_mul_f64 v[40:41], v[8:9], v[40:41]
	s_waitcnt vmcnt(56)
	v_fma_f64 v[34:35], v[2:3], v[36:37], -v[34:35]
	v_fma_f64 v[30:31], v[4:5], v[36:37], v[30:31]
	v_add_f64 v[18:19], v[18:19], v[32:33]
	v_add_f64 v[14:15], v[14:15], v[24:25]
	s_clause 0x2
	buffer_load_dword v39, off, s[0:3], 0 offset:956
	buffer_load_dword v25, off, s[0:3], 0 offset:932
	;; [unrolled: 1-line block ×3, first 2 shown]
	s_waitcnt vmcnt(58) lgkmcnt(0)
	v_mul_f64 v[36:37], v[12:13], v[42:43]
	ds_read_b128 v[2:5], v1 offset:1680
	s_waitcnt vmcnt(56)
	v_fma_f64 v[40:41], v[6:7], v[46:47], -v[40:41]
	v_mul_f64 v[32:33], v[10:11], v[42:43]
	v_add_f64 v[18:19], v[18:19], v[34:35]
	v_fma_f64 v[34:35], v[8:9], v[46:47], v[127:128]
	v_add_f64 v[14:15], v[14:15], v[30:31]
	s_clause 0x2
	buffer_load_dword v31, off, s[0:3], 0 offset:972
	buffer_load_dword v30, off, s[0:3], 0 offset:968
	;; [unrolled: 1-line block ×3, first 2 shown]
	s_waitcnt vmcnt(55) lgkmcnt(0)
	v_mul_f64 v[46:47], v[4:5], v[48:49]
	s_waitcnt vmcnt(54)
	v_fma_f64 v[36:37], v[10:11], v[44:45], -v[36:37]
	ds_read_b128 v[6:9], v1 offset:1696
	v_mul_f64 v[42:43], v[2:3], v[48:49]
	v_fma_f64 v[32:33], v[12:13], v[44:45], v[32:33]
	v_add_f64 v[18:19], v[18:19], v[40:41]
	v_add_f64 v[14:15], v[14:15], v[34:35]
	s_clause 0x1
	buffer_load_dword v35, off, s[0:3], 0 offset:964
	buffer_load_dword v34, off, s[0:3], 0 offset:960
	s_waitcnt vmcnt(55) lgkmcnt(0)
	v_mul_f64 v[44:45], v[8:9], v[50:51]
	s_waitcnt vmcnt(53)
	v_fma_f64 v[46:47], v[2:3], v[54:55], -v[46:47]
	ds_read_b128 v[10:13], v1 offset:1712
	v_mul_f64 v[40:41], v[6:7], v[50:51]
	v_add_f64 v[18:19], v[18:19], v[36:37]
	v_fma_f64 v[36:37], v[4:5], v[54:55], v[42:43]
	v_add_f64 v[14:15], v[14:15], v[32:33]
	ds_read_b128 v[2:5], v1 offset:1728
	s_waitcnt vmcnt(49) lgkmcnt(1)
	v_mul_f64 v[42:43], v[12:13], v[56:57]
	s_waitcnt vmcnt(48)
	v_fma_f64 v[44:45], v[6:7], v[52:53], -v[44:45]
	v_mul_f64 v[32:33], v[10:11], v[56:57]
	v_fma_f64 v[40:41], v[8:9], v[52:53], v[40:41]
	v_add_f64 v[18:19], v[18:19], v[46:47]
	s_waitcnt vmcnt(47) lgkmcnt(0)
	v_mul_f64 v[50:51], v[4:5], v[58:59]
	v_add_f64 v[14:15], v[14:15], v[36:37]
	s_clause 0x3
	buffer_load_dword v36, off, s[0:3], 0 offset:576
	buffer_load_dword v37, off, s[0:3], 0 offset:580
	;; [unrolled: 1-line block ×4, first 2 shown]
	s_waitcnt vmcnt(49)
	v_fma_f64 v[42:43], v[10:11], v[62:63], -v[42:43]
	ds_read_b128 v[6:9], v1 offset:1744
	v_mul_f64 v[48:49], v[2:3], v[58:59]
	v_fma_f64 v[32:33], v[12:13], v[62:63], v[32:33]
	ds_read_b128 v[10:13], v1 offset:1760
	v_add_f64 v[18:19], v[18:19], v[44:45]
	s_waitcnt vmcnt(44)
	v_fma_f64 v[50:51], v[2:3], v[60:61], -v[50:51]
	v_add_f64 v[14:15], v[14:15], v[40:41]
	s_waitcnt lgkmcnt(1)
	v_mul_f64 v[44:45], v[8:9], v[64:65]
	v_mul_f64 v[40:41], v[6:7], v[64:65]
	v_add_f64 v[18:19], v[18:19], v[42:43]
	v_fma_f64 v[42:43], v[4:5], v[60:61], v[48:49]
	v_add_f64 v[14:15], v[14:15], v[32:33]
	s_waitcnt vmcnt(43) lgkmcnt(0)
	v_mul_f64 v[48:49], v[12:13], v[66:67]
	s_waitcnt vmcnt(41)
	v_fma_f64 v[44:45], v[6:7], v[93:94], -v[44:45]
	ds_read_b128 v[2:5], v1 offset:1776
	v_mul_f64 v[32:33], v[10:11], v[66:67]
	v_fma_f64 v[40:41], v[8:9], v[93:94], v[40:41]
	ds_read_b128 v[6:9], v1 offset:1792
	v_add_f64 v[18:19], v[18:19], v[50:51]
	v_add_f64 v[14:15], v[14:15], v[42:43]
	s_waitcnt vmcnt(37) lgkmcnt(1)
	v_mul_f64 v[50:51], v[4:5], v[99:100]
	s_waitcnt vmcnt(36)
	v_fma_f64 v[48:49], v[10:11], v[70:71], -v[48:49]
	v_mul_f64 v[42:43], v[2:3], v[99:100]
	v_fma_f64 v[32:33], v[12:13], v[70:71], v[32:33]
	ds_read_b128 v[10:13], v1 offset:1808
	v_add_f64 v[18:19], v[18:19], v[44:45]
	v_add_f64 v[14:15], v[14:15], v[40:41]
	s_waitcnt vmcnt(35) lgkmcnt(1)
	v_mul_f64 v[44:45], v[8:9], v[109:110]
	v_mul_f64 v[40:41], v[6:7], v[109:110]
	s_waitcnt vmcnt(33)
	v_fma_f64 v[50:51], v[2:3], v[97:98], -v[50:51]
	v_fma_f64 v[42:43], v[4:5], v[97:98], v[42:43]
	ds_read_b128 v[2:5], v1 offset:1824
	v_add_f64 v[18:19], v[18:19], v[48:49]
	v_add_f64 v[14:15], v[14:15], v[32:33]
	s_waitcnt vmcnt(29) lgkmcnt(1)
	v_mul_f64 v[32:33], v[10:11], v[20:21]
	v_mul_f64 v[20:21], v[12:13], v[20:21]
	s_waitcnt vmcnt(28)
	v_fma_f64 v[44:45], v[6:7], v[111:112], -v[44:45]
	;; [unrolled: 9-line block ×4, first 2 shown]
	v_add_f64 v[18:19], v[18:19], v[20:21]
	v_fma_f64 v[20:21], v[4:5], v[125:126], v[42:43]
	v_add_f64 v[14:15], v[14:15], v[16:17]
	ds_read_b128 v[2:5], v1 offset:1872
	s_waitcnt vmcnt(19) lgkmcnt(1)
	v_mul_f64 v[42:43], v[12:13], v[95:96]
	v_mul_f64 v[16:17], v[10:11], v[95:96]
	s_waitcnt vmcnt(17)
	v_fma_f64 v[28:29], v[6:7], v[26:27], -v[28:29]
	v_fma_f64 v[26:27], v[8:9], v[26:27], v[32:33]
	ds_read_b128 v[6:9], v1 offset:1888
	v_add_f64 v[18:19], v[18:19], v[40:41]
	v_add_f64 v[14:15], v[14:15], v[20:21]
	s_waitcnt vmcnt(13) lgkmcnt(1)
	v_mul_f64 v[20:21], v[2:3], v[22:23]
	v_mul_f64 v[22:23], v[4:5], v[22:23]
	s_waitcnt vmcnt(12)
	v_fma_f64 v[32:33], v[10:11], v[123:124], -v[42:43]
	v_fma_f64 v[16:17], v[12:13], v[123:124], v[16:17]
	ds_read_b128 v[10:13], v1 offset:1904
	v_add_f64 v[18:19], v[18:19], v[28:29]
	v_add_f64 v[14:15], v[14:15], v[26:27]
	s_waitcnt vmcnt(11) lgkmcnt(1)
	v_mul_f64 v[28:29], v[8:9], v[38:39]
	v_mul_f64 v[26:27], v[6:7], v[38:39]
	s_waitcnt vmcnt(9)
	v_fma_f64 v[1:2], v[2:3], v[24:25], -v[22:23]
	v_fma_f64 v[3:4], v[4:5], v[24:25], v[20:21]
	v_add_f64 v[18:19], v[18:19], v[32:33]
	v_add_f64 v[14:15], v[14:15], v[16:17]
	s_waitcnt vmcnt(7) lgkmcnt(0)
	v_mul_f64 v[20:21], v[12:13], v[30:31]
	s_waitcnt vmcnt(6)
	v_fma_f64 v[5:6], v[6:7], v[115:116], -v[28:29]
	v_mul_f64 v[16:17], v[10:11], v[30:31]
	v_fma_f64 v[7:8], v[8:9], v[115:116], v[26:27]
	v_add_f64 v[1:2], v[18:19], v[1:2]
	v_add_f64 v[3:4], v[14:15], v[3:4]
	s_waitcnt vmcnt(4)
	v_fma_f64 v[9:10], v[10:11], v[34:35], -v[20:21]
	v_add_f64 v[1:2], v[1:2], v[5:6]
	v_fma_f64 v[5:6], v[12:13], v[34:35], v[16:17]
	v_add_f64 v[3:4], v[3:4], v[7:8]
	v_add_f64 v[1:2], v[1:2], v[9:10]
	;; [unrolled: 1-line block ×3, first 2 shown]
	s_waitcnt vmcnt(2)
	v_add_f64 v[1:2], v[36:37], -v[1:2]
	s_waitcnt vmcnt(0)
	v_add_f64 v[3:4], v[46:47], -v[3:4]
	buffer_store_dword v2, off, s[0:3], 0 offset:580
	buffer_store_dword v1, off, s[0:3], 0 offset:576
	;; [unrolled: 1-line block ×4, first 2 shown]
	v_cmpx_lt_u32_e32 34, v0
	s_cbranch_execz .LBB59_305
; %bb.304:
	v_mov_b32_e32 v4, s38
	v_mov_b32_e32 v5, 0
	s_clause 0x3
	buffer_load_dword v1, v4, s[0:3], 0 offen
	buffer_load_dword v2, v4, s[0:3], 0 offen offset:4
	buffer_load_dword v3, v4, s[0:3], 0 offen offset:8
	;; [unrolled: 1-line block ×3, first 2 shown]
	buffer_store_dword v5, off, s[0:3], 0 offset:560
	buffer_store_dword v5, off, s[0:3], 0 offset:564
	buffer_store_dword v5, off, s[0:3], 0 offset:568
	buffer_store_dword v5, off, s[0:3], 0 offset:572
	s_waitcnt vmcnt(0)
	ds_write_b128 v69, v[1:4]
.LBB59_305:
	s_or_b32 exec_lo, exec_lo, s4
	s_waitcnt lgkmcnt(0)
	s_waitcnt_vscnt null, 0x0
	s_barrier
	buffer_gl0_inv
	s_clause 0x37
	buffer_load_dword v10, off, s[0:3], 0 offset:584
	buffer_load_dword v11, off, s[0:3], 0 offset:588
	;; [unrolled: 1-line block ×56, first 2 shown]
	v_mov_b32_e32 v1, 0
	s_mov_b32 s4, exec_lo
	ds_read_b128 v[2:5], v1 offset:1520
	s_clause 0x2
	buffer_load_dword v67, off, s[0:3], 0 offset:812
	buffer_load_dword v94, off, s[0:3], 0 offset:788
	;; [unrolled: 1-line block ×3, first 2 shown]
	ds_read_b128 v[6:9], v1 offset:1536
	s_clause 0x4
	buffer_load_dword v100, off, s[0:3], 0 offset:828
	buffer_load_dword v109, off, s[0:3], 0 offset:840
	;; [unrolled: 1-line block ×5, first 2 shown]
	s_waitcnt vmcnt(62) lgkmcnt(1)
	v_mul_f64 v[95:96], v[4:5], v[10:11]
	v_mul_f64 v[97:98], v[2:3], v[10:11]
	s_waitcnt vmcnt(60) lgkmcnt(0)
	v_mul_f64 v[112:113], v[8:9], v[14:15]
	ds_read_b128 v[10:13], v1 offset:1552
	v_mul_f64 v[14:15], v[6:7], v[14:15]
	s_waitcnt vmcnt(58)
	v_fma_f64 v[95:96], v[2:3], v[16:17], -v[95:96]
	v_fma_f64 v[16:17], v[4:5], v[16:17], v[97:98]
	s_clause 0x2
	buffer_load_dword v110, off, s[0:3], 0 offset:844
	buffer_load_dword v98, off, s[0:3], 0 offset:820
	;; [unrolled: 1-line block ×3, first 2 shown]
	s_waitcnt vmcnt(59) lgkmcnt(0)
	v_mul_f64 v[114:115], v[10:11], v[18:19]
	v_mul_f64 v[18:19], v[12:13], v[18:19]
	s_waitcnt vmcnt(57)
	v_fma_f64 v[123:124], v[6:7], v[20:21], -v[112:113]
	ds_read_b128 v[2:5], v1 offset:1568
	v_fma_f64 v[14:15], v[8:9], v[20:21], v[14:15]
	s_clause 0x4
	buffer_load_dword v21, off, s[0:3], 0 offset:860
	buffer_load_dword v113, off, s[0:3], 0 offset:872
	buffer_load_dword v125, off, s[0:3], 0 offset:864
	buffer_load_dword v20, off, s[0:3], 0 offset:856
	buffer_load_dword v112, off, s[0:3], 0 offset:836
	ds_read_b128 v[6:9], v1 offset:1584
	v_add_f64 v[95:96], v[95:96], 0
	v_add_f64 v[16:17], v[16:17], 0
	s_waitcnt vmcnt(58) lgkmcnt(1)
	v_mul_f64 v[126:127], v[2:3], v[22:23]
	v_mul_f64 v[22:23], v[4:5], v[22:23]
	s_waitcnt vmcnt(56)
	v_fma_f64 v[18:19], v[10:11], v[28:29], -v[18:19]
	v_fma_f64 v[28:29], v[12:13], v[28:29], v[114:115]
	s_waitcnt vmcnt(55) lgkmcnt(0)
	v_mul_f64 v[115:116], v[6:7], v[24:25]
	v_mul_f64 v[24:25], v[8:9], v[24:25]
	v_add_f64 v[95:96], v[95:96], v[123:124]
	v_add_f64 v[14:15], v[16:17], v[14:15]
	s_clause 0x2
	buffer_load_dword v114, off, s[0:3], 0 offset:876
	buffer_load_dword v17, off, s[0:3], 0 offset:852
	;; [unrolled: 1-line block ×3, first 2 shown]
	ds_read_b128 v[10:13], v1 offset:1600
	s_waitcnt vmcnt(56)
	v_fma_f64 v[22:23], v[2:3], v[30:31], -v[22:23]
	v_fma_f64 v[30:31], v[4:5], v[30:31], v[126:127]
	s_waitcnt vmcnt(51)
	v_fma_f64 v[24:25], v[6:7], v[26:27], -v[24:25]
	v_add_f64 v[18:19], v[95:96], v[18:19]
	v_add_f64 v[14:15], v[14:15], v[28:29]
	s_clause 0x4
	buffer_load_dword v29, off, s[0:3], 0 offset:892
	buffer_load_dword v95, off, s[0:3], 0 offset:904
	;; [unrolled: 1-line block ×5, first 2 shown]
	s_waitcnt lgkmcnt(0)
	v_mul_f64 v[127:128], v[10:11], v[32:33]
	v_mul_f64 v[32:33], v[12:13], v[32:33]
	ds_read_b128 v[2:5], v1 offset:1616
	v_add_f64 v[18:19], v[18:19], v[22:23]
	v_fma_f64 v[22:23], v[8:9], v[26:27], v[115:116]
	v_add_f64 v[14:15], v[14:15], v[30:31]
	s_clause 0x2
	buffer_load_dword v96, off, s[0:3], 0 offset:908
	buffer_load_dword v27, off, s[0:3], 0 offset:884
	buffer_load_dword v26, off, s[0:3], 0 offset:880
	s_waitcnt vmcnt(58) lgkmcnt(0)
	v_mul_f64 v[30:31], v[2:3], v[34:35]
	v_mul_f64 v[34:35], v[4:5], v[34:35]
	s_waitcnt vmcnt(56)
	v_fma_f64 v[32:33], v[10:11], v[38:39], -v[32:33]
	ds_read_b128 v[6:9], v1 offset:1632
	v_add_f64 v[18:19], v[18:19], v[24:25]
	v_fma_f64 v[24:25], v[12:13], v[38:39], v[127:128]
	v_add_f64 v[14:15], v[14:15], v[22:23]
	s_clause 0x4
	buffer_load_dword v23, off, s[0:3], 0 offset:924
	buffer_load_dword v38, off, s[0:3], 0 offset:936
	buffer_load_dword v115, off, s[0:3], 0 offset:928
	buffer_load_dword v22, off, s[0:3], 0 offset:920
	buffer_load_dword v124, off, s[0:3], 0 offset:900
	ds_read_b128 v[10:13], v1 offset:1648
	s_waitcnt vmcnt(57) lgkmcnt(1)
	v_mul_f64 v[127:128], v[6:7], v[40:41]
	v_mul_f64 v[40:41], v[8:9], v[40:41]
	s_waitcnt vmcnt(56)
	v_fma_f64 v[34:35], v[2:3], v[36:37], -v[34:35]
	v_fma_f64 v[30:31], v[4:5], v[36:37], v[30:31]
	v_add_f64 v[18:19], v[18:19], v[32:33]
	v_add_f64 v[14:15], v[14:15], v[24:25]
	s_clause 0x2
	buffer_load_dword v39, off, s[0:3], 0 offset:940
	buffer_load_dword v25, off, s[0:3], 0 offset:916
	;; [unrolled: 1-line block ×3, first 2 shown]
	s_waitcnt vmcnt(58) lgkmcnt(0)
	v_mul_f64 v[36:37], v[12:13], v[42:43]
	ds_read_b128 v[2:5], v1 offset:1664
	s_waitcnt vmcnt(56)
	v_fma_f64 v[40:41], v[6:7], v[46:47], -v[40:41]
	v_mul_f64 v[32:33], v[10:11], v[42:43]
	v_add_f64 v[18:19], v[18:19], v[34:35]
	v_fma_f64 v[34:35], v[8:9], v[46:47], v[127:128]
	v_add_f64 v[14:15], v[14:15], v[30:31]
	s_clause 0x4
	buffer_load_dword v31, off, s[0:3], 0 offset:956
	buffer_load_dword v42, off, s[0:3], 0 offset:968
	;; [unrolled: 1-line block ×5, first 2 shown]
	s_waitcnt vmcnt(57) lgkmcnt(0)
	v_mul_f64 v[127:128], v[2:3], v[48:49]
	v_mul_f64 v[47:48], v[4:5], v[48:49]
	s_waitcnt vmcnt(56)
	v_fma_f64 v[36:37], v[10:11], v[44:45], -v[36:37]
	ds_read_b128 v[6:9], v1 offset:1680
	v_fma_f64 v[32:33], v[12:13], v[44:45], v[32:33]
	v_add_f64 v[18:19], v[18:19], v[40:41]
	v_add_f64 v[14:15], v[14:15], v[34:35]
	s_clause 0x2
	buffer_load_dword v43, off, s[0:3], 0 offset:972
	buffer_load_dword v35, off, s[0:3], 0 offset:948
	;; [unrolled: 1-line block ×3, first 2 shown]
	ds_read_b128 v[10:13], v1 offset:1696
	s_waitcnt vmcnt(58) lgkmcnt(1)
	v_mul_f64 v[44:45], v[8:9], v[50:51]
	s_waitcnt vmcnt(56)
	v_fma_f64 v[48:49], v[2:3], v[54:55], -v[47:48]
	v_mul_f64 v[40:41], v[6:7], v[50:51]
	buffer_load_dword v47, off, s[0:3], 0 offset:964
	v_add_f64 v[18:19], v[18:19], v[36:37]
	v_fma_f64 v[36:37], v[4:5], v[54:55], v[127:128]
	v_add_f64 v[14:15], v[14:15], v[32:33]
	ds_read_b128 v[2:5], v1 offset:1712
	s_waitcnt vmcnt(53) lgkmcnt(1)
	v_mul_f64 v[50:51], v[12:13], v[56:57]
	s_waitcnt vmcnt(52)
	v_fma_f64 v[44:45], v[6:7], v[52:53], -v[44:45]
	v_mul_f64 v[32:33], v[10:11], v[56:57]
	v_fma_f64 v[40:41], v[8:9], v[52:53], v[40:41]
	ds_read_b128 v[6:9], v1 offset:1728
	v_add_f64 v[18:19], v[18:19], v[48:49]
	s_waitcnt vmcnt(51) lgkmcnt(1)
	v_mul_f64 v[48:49], v[4:5], v[58:59]
	v_add_f64 v[14:15], v[14:15], v[36:37]
	v_mul_f64 v[36:37], v[2:3], v[58:59]
	s_waitcnt vmcnt(49)
	v_fma_f64 v[50:51], v[10:11], v[62:63], -v[50:51]
	v_fma_f64 v[32:33], v[12:13], v[62:63], v[32:33]
	s_waitcnt vmcnt(45) lgkmcnt(0)
	v_mul_f64 v[54:55], v[8:9], v[64:65]
	v_mul_f64 v[52:53], v[6:7], v[64:65]
	v_add_f64 v[18:19], v[18:19], v[44:45]
	s_waitcnt vmcnt(44)
	v_fma_f64 v[48:49], v[2:3], v[60:61], -v[48:49]
	v_add_f64 v[14:15], v[14:15], v[40:41]
	s_clause 0x3
	buffer_load_dword v40, off, s[0:3], 0 offset:560
	buffer_load_dword v41, off, s[0:3], 0 offset:564
	;; [unrolled: 1-line block ×4, first 2 shown]
	ds_read_b128 v[10:13], v1 offset:1744
	v_fma_f64 v[36:37], v[4:5], v[60:61], v[36:37]
	ds_read_b128 v[2:5], v1 offset:1760
	s_waitcnt vmcnt(45)
	v_fma_f64 v[54:55], v[6:7], v[93:94], -v[54:55]
	v_add_f64 v[18:19], v[18:19], v[50:51]
	v_add_f64 v[14:15], v[14:15], v[32:33]
	s_waitcnt lgkmcnt(1)
	v_mul_f64 v[50:51], v[12:13], v[66:67]
	v_mul_f64 v[32:33], v[10:11], v[66:67]
	v_add_f64 v[18:19], v[18:19], v[48:49]
	v_fma_f64 v[48:49], v[8:9], v[93:94], v[52:53]
	v_add_f64 v[14:15], v[14:15], v[36:37]
	s_waitcnt vmcnt(41) lgkmcnt(0)
	v_mul_f64 v[52:53], v[4:5], v[99:100]
	s_waitcnt vmcnt(40)
	v_fma_f64 v[50:51], v[10:11], v[70:71], -v[50:51]
	ds_read_b128 v[6:9], v1 offset:1776
	v_mul_f64 v[36:37], v[2:3], v[99:100]
	v_fma_f64 v[32:33], v[12:13], v[70:71], v[32:33]
	ds_read_b128 v[10:13], v1 offset:1792
	v_add_f64 v[18:19], v[18:19], v[54:55]
	v_add_f64 v[14:15], v[14:15], v[48:49]
	s_waitcnt vmcnt(39) lgkmcnt(1)
	v_mul_f64 v[54:55], v[8:9], v[109:110]
	v_mul_f64 v[48:49], v[6:7], v[109:110]
	s_waitcnt vmcnt(37)
	v_fma_f64 v[52:53], v[2:3], v[97:98], -v[52:53]
	v_fma_f64 v[36:37], v[4:5], v[97:98], v[36:37]
	ds_read_b128 v[2:5], v1 offset:1808
	v_add_f64 v[18:19], v[18:19], v[50:51]
	v_add_f64 v[14:15], v[14:15], v[32:33]
	s_waitcnt vmcnt(33) lgkmcnt(1)
	v_mul_f64 v[32:33], v[10:11], v[20:21]
	v_mul_f64 v[20:21], v[12:13], v[20:21]
	s_waitcnt vmcnt(32)
	v_fma_f64 v[50:51], v[6:7], v[111:112], -v[54:55]
	;; [unrolled: 9-line block ×4, first 2 shown]
	v_add_f64 v[18:19], v[18:19], v[20:21]
	v_fma_f64 v[20:21], v[4:5], v[125:126], v[36:37]
	v_add_f64 v[14:15], v[14:15], v[16:17]
	ds_read_b128 v[2:5], v1 offset:1856
	s_waitcnt vmcnt(23) lgkmcnt(1)
	v_mul_f64 v[36:37], v[12:13], v[95:96]
	v_mul_f64 v[16:17], v[10:11], v[95:96]
	s_waitcnt vmcnt(21)
	v_fma_f64 v[28:29], v[6:7], v[26:27], -v[28:29]
	v_fma_f64 v[26:27], v[8:9], v[26:27], v[32:33]
	ds_read_b128 v[6:9], v1 offset:1872
	v_add_f64 v[18:19], v[18:19], v[48:49]
	v_add_f64 v[14:15], v[14:15], v[20:21]
	s_waitcnt vmcnt(17) lgkmcnt(1)
	v_mul_f64 v[20:21], v[2:3], v[22:23]
	v_mul_f64 v[22:23], v[4:5], v[22:23]
	s_waitcnt vmcnt(16)
	v_fma_f64 v[32:33], v[10:11], v[123:124], -v[36:37]
	v_fma_f64 v[16:17], v[12:13], v[123:124], v[16:17]
	ds_read_b128 v[10:13], v1 offset:1888
	v_add_f64 v[18:19], v[18:19], v[28:29]
	v_add_f64 v[14:15], v[14:15], v[26:27]
	;; [unrolled: 9-line block ×3, first 2 shown]
	s_waitcnt vmcnt(9) lgkmcnt(1)
	v_mul_f64 v[24:25], v[12:13], v[30:31]
	s_waitcnt vmcnt(8)
	v_fma_f64 v[6:7], v[6:7], v[115:116], -v[28:29]
	v_mul_f64 v[16:17], v[10:11], v[30:31]
	v_fma_f64 v[8:9], v[8:9], v[115:116], v[26:27]
	v_add_f64 v[18:19], v[18:19], v[22:23]
	v_add_f64 v[14:15], v[14:15], v[20:21]
	s_waitcnt vmcnt(7) lgkmcnt(0)
	v_mul_f64 v[22:23], v[4:5], v[42:43]
	v_mul_f64 v[20:21], v[2:3], v[42:43]
	s_waitcnt vmcnt(5)
	v_fma_f64 v[10:11], v[10:11], v[34:35], -v[24:25]
	v_fma_f64 v[12:13], v[12:13], v[34:35], v[16:17]
	v_add_f64 v[6:7], v[18:19], v[6:7]
	v_add_f64 v[8:9], v[14:15], v[8:9]
	s_waitcnt vmcnt(4)
	v_fma_f64 v[2:3], v[2:3], v[46:47], -v[22:23]
	v_fma_f64 v[4:5], v[4:5], v[46:47], v[20:21]
	v_add_f64 v[6:7], v[6:7], v[10:11]
	v_add_f64 v[8:9], v[8:9], v[12:13]
	;; [unrolled: 1-line block ×4, first 2 shown]
	s_waitcnt vmcnt(2)
	v_add_f64 v[2:3], v[40:41], -v[2:3]
	s_waitcnt vmcnt(0)
	v_add_f64 v[4:5], v[44:45], -v[4:5]
	buffer_store_dword v3, off, s[0:3], 0 offset:564
	buffer_store_dword v2, off, s[0:3], 0 offset:560
	;; [unrolled: 1-line block ×4, first 2 shown]
	v_cmpx_lt_u32_e32 33, v0
	s_cbranch_execz .LBB59_307
; %bb.306:
	v_mov_b32_e32 v5, s39
	s_clause 0x3
	buffer_load_dword v2, v5, s[0:3], 0 offen
	buffer_load_dword v3, v5, s[0:3], 0 offen offset:4
	buffer_load_dword v4, v5, s[0:3], 0 offen offset:8
	;; [unrolled: 1-line block ×3, first 2 shown]
	buffer_store_dword v1, off, s[0:3], 0 offset:544
	buffer_store_dword v1, off, s[0:3], 0 offset:548
	;; [unrolled: 1-line block ×4, first 2 shown]
	s_waitcnt vmcnt(0)
	ds_write_b128 v69, v[2:5]
.LBB59_307:
	s_or_b32 exec_lo, exec_lo, s4
	s_waitcnt lgkmcnt(0)
	s_waitcnt_vscnt null, 0x0
	s_barrier
	buffer_gl0_inv
	s_clause 0x37
	buffer_load_dword v10, off, s[0:3], 0 offset:568
	buffer_load_dword v11, off, s[0:3], 0 offset:572
	;; [unrolled: 1-line block ×56, first 2 shown]
	ds_read_b128 v[2:5], v1 offset:1504
	s_clause 0x2
	buffer_load_dword v67, off, s[0:3], 0 offset:796
	buffer_load_dword v94, off, s[0:3], 0 offset:772
	;; [unrolled: 1-line block ×3, first 2 shown]
	ds_read_b128 v[6:9], v1 offset:1520
	s_clause 0x4
	buffer_load_dword v100, off, s[0:3], 0 offset:812
	buffer_load_dword v109, off, s[0:3], 0 offset:824
	;; [unrolled: 1-line block ×5, first 2 shown]
	s_mov_b32 s4, exec_lo
	s_waitcnt vmcnt(62) lgkmcnt(1)
	v_mul_f64 v[95:96], v[4:5], v[10:11]
	v_mul_f64 v[97:98], v[2:3], v[10:11]
	s_waitcnt vmcnt(60) lgkmcnt(0)
	v_mul_f64 v[112:113], v[8:9], v[14:15]
	ds_read_b128 v[10:13], v1 offset:1536
	v_mul_f64 v[14:15], v[6:7], v[14:15]
	s_waitcnt vmcnt(58)
	v_fma_f64 v[95:96], v[2:3], v[16:17], -v[95:96]
	v_fma_f64 v[16:17], v[4:5], v[16:17], v[97:98]
	s_clause 0x2
	buffer_load_dword v110, off, s[0:3], 0 offset:828
	buffer_load_dword v98, off, s[0:3], 0 offset:804
	;; [unrolled: 1-line block ×3, first 2 shown]
	s_waitcnt vmcnt(59) lgkmcnt(0)
	v_mul_f64 v[114:115], v[10:11], v[18:19]
	v_mul_f64 v[18:19], v[12:13], v[18:19]
	s_waitcnt vmcnt(57)
	v_fma_f64 v[123:124], v[6:7], v[20:21], -v[112:113]
	ds_read_b128 v[2:5], v1 offset:1552
	v_fma_f64 v[14:15], v[8:9], v[20:21], v[14:15]
	s_clause 0x4
	buffer_load_dword v21, off, s[0:3], 0 offset:844
	buffer_load_dword v113, off, s[0:3], 0 offset:856
	;; [unrolled: 1-line block ×5, first 2 shown]
	ds_read_b128 v[6:9], v1 offset:1568
	v_add_f64 v[95:96], v[95:96], 0
	v_add_f64 v[16:17], v[16:17], 0
	s_waitcnt vmcnt(58) lgkmcnt(1)
	v_mul_f64 v[126:127], v[2:3], v[22:23]
	v_mul_f64 v[22:23], v[4:5], v[22:23]
	s_waitcnt vmcnt(56)
	v_fma_f64 v[18:19], v[10:11], v[28:29], -v[18:19]
	v_fma_f64 v[28:29], v[12:13], v[28:29], v[114:115]
	s_waitcnt vmcnt(55) lgkmcnt(0)
	v_mul_f64 v[115:116], v[6:7], v[24:25]
	v_mul_f64 v[24:25], v[8:9], v[24:25]
	v_add_f64 v[95:96], v[95:96], v[123:124]
	v_add_f64 v[14:15], v[16:17], v[14:15]
	s_clause 0x2
	buffer_load_dword v114, off, s[0:3], 0 offset:860
	buffer_load_dword v17, off, s[0:3], 0 offset:836
	buffer_load_dword v16, off, s[0:3], 0 offset:832
	ds_read_b128 v[10:13], v1 offset:1584
	s_waitcnt vmcnt(56)
	v_fma_f64 v[22:23], v[2:3], v[30:31], -v[22:23]
	v_fma_f64 v[30:31], v[4:5], v[30:31], v[126:127]
	s_waitcnt vmcnt(51)
	v_fma_f64 v[24:25], v[6:7], v[26:27], -v[24:25]
	v_add_f64 v[18:19], v[95:96], v[18:19]
	v_add_f64 v[14:15], v[14:15], v[28:29]
	s_clause 0x4
	buffer_load_dword v29, off, s[0:3], 0 offset:876
	buffer_load_dword v95, off, s[0:3], 0 offset:888
	;; [unrolled: 1-line block ×5, first 2 shown]
	s_waitcnt lgkmcnt(0)
	v_mul_f64 v[127:128], v[10:11], v[32:33]
	v_mul_f64 v[32:33], v[12:13], v[32:33]
	ds_read_b128 v[2:5], v1 offset:1600
	v_add_f64 v[18:19], v[18:19], v[22:23]
	v_fma_f64 v[22:23], v[8:9], v[26:27], v[115:116]
	v_add_f64 v[14:15], v[14:15], v[30:31]
	s_clause 0x2
	buffer_load_dword v96, off, s[0:3], 0 offset:892
	buffer_load_dword v27, off, s[0:3], 0 offset:868
	;; [unrolled: 1-line block ×3, first 2 shown]
	s_waitcnt vmcnt(58) lgkmcnt(0)
	v_mul_f64 v[30:31], v[2:3], v[34:35]
	v_mul_f64 v[34:35], v[4:5], v[34:35]
	s_waitcnt vmcnt(56)
	v_fma_f64 v[32:33], v[10:11], v[38:39], -v[32:33]
	ds_read_b128 v[6:9], v1 offset:1616
	v_add_f64 v[18:19], v[18:19], v[24:25]
	v_fma_f64 v[24:25], v[12:13], v[38:39], v[127:128]
	v_add_f64 v[14:15], v[14:15], v[22:23]
	s_clause 0x4
	buffer_load_dword v23, off, s[0:3], 0 offset:908
	buffer_load_dword v38, off, s[0:3], 0 offset:920
	;; [unrolled: 1-line block ×5, first 2 shown]
	ds_read_b128 v[10:13], v1 offset:1632
	s_waitcnt vmcnt(57) lgkmcnt(1)
	v_mul_f64 v[127:128], v[6:7], v[40:41]
	v_mul_f64 v[40:41], v[8:9], v[40:41]
	s_waitcnt vmcnt(56)
	v_fma_f64 v[34:35], v[2:3], v[36:37], -v[34:35]
	v_fma_f64 v[30:31], v[4:5], v[36:37], v[30:31]
	v_add_f64 v[18:19], v[18:19], v[32:33]
	v_add_f64 v[14:15], v[14:15], v[24:25]
	s_clause 0x2
	buffer_load_dword v39, off, s[0:3], 0 offset:924
	buffer_load_dword v25, off, s[0:3], 0 offset:900
	;; [unrolled: 1-line block ×3, first 2 shown]
	s_waitcnt vmcnt(58) lgkmcnt(0)
	v_mul_f64 v[36:37], v[12:13], v[42:43]
	ds_read_b128 v[2:5], v1 offset:1648
	s_waitcnt vmcnt(56)
	v_fma_f64 v[40:41], v[6:7], v[46:47], -v[40:41]
	v_mul_f64 v[32:33], v[10:11], v[42:43]
	v_add_f64 v[18:19], v[18:19], v[34:35]
	v_fma_f64 v[34:35], v[8:9], v[46:47], v[127:128]
	v_add_f64 v[14:15], v[14:15], v[30:31]
	s_clause 0x4
	buffer_load_dword v31, off, s[0:3], 0 offset:940
	buffer_load_dword v42, off, s[0:3], 0 offset:952
	;; [unrolled: 1-line block ×5, first 2 shown]
	s_waitcnt vmcnt(57) lgkmcnt(0)
	v_mul_f64 v[127:128], v[2:3], v[48:49]
	v_mul_f64 v[47:48], v[4:5], v[48:49]
	s_waitcnt vmcnt(56)
	v_fma_f64 v[36:37], v[10:11], v[44:45], -v[36:37]
	ds_read_b128 v[6:9], v1 offset:1664
	v_fma_f64 v[32:33], v[12:13], v[44:45], v[32:33]
	v_add_f64 v[18:19], v[18:19], v[40:41]
	v_add_f64 v[14:15], v[14:15], v[34:35]
	s_clause 0x2
	buffer_load_dword v43, off, s[0:3], 0 offset:956
	buffer_load_dword v35, off, s[0:3], 0 offset:932
	;; [unrolled: 1-line block ×3, first 2 shown]
	ds_read_b128 v[10:13], v1 offset:1680
	s_waitcnt vmcnt(58) lgkmcnt(1)
	v_mul_f64 v[44:45], v[8:9], v[50:51]
	s_waitcnt vmcnt(56)
	v_fma_f64 v[48:49], v[2:3], v[54:55], -v[47:48]
	v_mul_f64 v[40:41], v[6:7], v[50:51]
	v_add_f64 v[18:19], v[18:19], v[36:37]
	v_fma_f64 v[36:37], v[4:5], v[54:55], v[127:128]
	v_add_f64 v[14:15], v[14:15], v[32:33]
	s_clause 0x2
	buffer_load_dword v33, off, s[0:3], 0 offset:972
	buffer_load_dword v32, off, s[0:3], 0 offset:968
	;; [unrolled: 1-line block ×3, first 2 shown]
	s_waitcnt vmcnt(55) lgkmcnt(0)
	v_mul_f64 v[54:55], v[12:13], v[56:57]
	s_waitcnt vmcnt(54)
	v_fma_f64 v[44:45], v[6:7], v[52:53], -v[44:45]
	ds_read_b128 v[2:5], v1 offset:1696
	v_mul_f64 v[50:51], v[10:11], v[56:57]
	v_fma_f64 v[40:41], v[8:9], v[52:53], v[40:41]
	v_add_f64 v[18:19], v[18:19], v[48:49]
	v_add_f64 v[14:15], v[14:15], v[36:37]
	s_clause 0x1
	buffer_load_dword v37, off, s[0:3], 0 offset:964
	buffer_load_dword v36, off, s[0:3], 0 offset:960
	s_waitcnt vmcnt(55) lgkmcnt(0)
	v_mul_f64 v[52:53], v[4:5], v[58:59]
	s_waitcnt vmcnt(53)
	v_fma_f64 v[54:55], v[10:11], v[62:63], -v[54:55]
	ds_read_b128 v[6:9], v1 offset:1712
	v_mul_f64 v[48:49], v[2:3], v[58:59]
	v_add_f64 v[18:19], v[18:19], v[44:45]
	v_fma_f64 v[44:45], v[12:13], v[62:63], v[50:51]
	v_add_f64 v[14:15], v[14:15], v[40:41]
	ds_read_b128 v[10:13], v1 offset:1728
	s_waitcnt vmcnt(49) lgkmcnt(1)
	v_mul_f64 v[50:51], v[8:9], v[64:65]
	s_waitcnt vmcnt(48)
	v_fma_f64 v[52:53], v[2:3], v[60:61], -v[52:53]
	v_mul_f64 v[40:41], v[6:7], v[64:65]
	v_fma_f64 v[48:49], v[4:5], v[60:61], v[48:49]
	v_add_f64 v[18:19], v[18:19], v[54:55]
	s_waitcnt vmcnt(47) lgkmcnt(0)
	v_mul_f64 v[58:59], v[12:13], v[66:67]
	v_add_f64 v[14:15], v[14:15], v[44:45]
	s_clause 0x3
	buffer_load_dword v44, off, s[0:3], 0 offset:544
	buffer_load_dword v45, off, s[0:3], 0 offset:548
	;; [unrolled: 1-line block ×4, first 2 shown]
	s_waitcnt vmcnt(49)
	v_fma_f64 v[50:51], v[6:7], v[93:94], -v[50:51]
	ds_read_b128 v[2:5], v1 offset:1744
	v_mul_f64 v[56:57], v[10:11], v[66:67]
	v_fma_f64 v[40:41], v[8:9], v[93:94], v[40:41]
	ds_read_b128 v[6:9], v1 offset:1760
	v_add_f64 v[18:19], v[18:19], v[52:53]
	s_waitcnt vmcnt(44)
	v_fma_f64 v[58:59], v[10:11], v[70:71], -v[58:59]
	v_add_f64 v[14:15], v[14:15], v[48:49]
	s_waitcnt lgkmcnt(1)
	v_mul_f64 v[52:53], v[4:5], v[99:100]
	v_mul_f64 v[48:49], v[2:3], v[99:100]
	v_add_f64 v[18:19], v[18:19], v[50:51]
	v_fma_f64 v[50:51], v[12:13], v[70:71], v[56:57]
	v_add_f64 v[14:15], v[14:15], v[40:41]
	ds_read_b128 v[10:13], v1 offset:1776
	s_waitcnt vmcnt(43) lgkmcnt(1)
	v_mul_f64 v[56:57], v[8:9], v[109:110]
	v_mul_f64 v[40:41], v[6:7], v[109:110]
	s_waitcnt vmcnt(41)
	v_fma_f64 v[52:53], v[2:3], v[97:98], -v[52:53]
	v_fma_f64 v[48:49], v[4:5], v[97:98], v[48:49]
	ds_read_b128 v[2:5], v1 offset:1792
	v_add_f64 v[18:19], v[18:19], v[58:59]
	v_add_f64 v[14:15], v[14:15], v[50:51]
	s_waitcnt vmcnt(37) lgkmcnt(1)
	v_mul_f64 v[50:51], v[10:11], v[20:21]
	v_mul_f64 v[20:21], v[12:13], v[20:21]
	s_waitcnt vmcnt(36)
	v_fma_f64 v[56:57], v[6:7], v[111:112], -v[56:57]
	v_fma_f64 v[40:41], v[8:9], v[111:112], v[40:41]
	ds_read_b128 v[6:9], v1 offset:1808
	v_add_f64 v[18:19], v[18:19], v[52:53]
	v_add_f64 v[14:15], v[14:15], v[48:49]
	s_waitcnt vmcnt(35) lgkmcnt(1)
	v_mul_f64 v[52:53], v[4:5], v[113:114]
	v_mul_f64 v[48:49], v[2:3], v[113:114]
	s_waitcnt vmcnt(33)
	v_fma_f64 v[20:21], v[10:11], v[16:17], -v[20:21]
	v_fma_f64 v[16:17], v[12:13], v[16:17], v[50:51]
	ds_read_b128 v[10:13], v1 offset:1824
	v_add_f64 v[18:19], v[18:19], v[56:57]
	v_add_f64 v[14:15], v[14:15], v[40:41]
	s_waitcnt vmcnt(29) lgkmcnt(1)
	v_mul_f64 v[40:41], v[6:7], v[28:29]
	v_mul_f64 v[28:29], v[8:9], v[28:29]
	s_waitcnt vmcnt(28)
	v_fma_f64 v[50:51], v[2:3], v[125:126], -v[52:53]
	v_add_f64 v[18:19], v[18:19], v[20:21]
	v_fma_f64 v[20:21], v[4:5], v[125:126], v[48:49]
	v_add_f64 v[14:15], v[14:15], v[16:17]
	ds_read_b128 v[2:5], v1 offset:1840
	s_waitcnt vmcnt(27) lgkmcnt(1)
	v_mul_f64 v[48:49], v[12:13], v[95:96]
	v_mul_f64 v[16:17], v[10:11], v[95:96]
	s_waitcnt vmcnt(25)
	v_fma_f64 v[28:29], v[6:7], v[26:27], -v[28:29]
	v_fma_f64 v[26:27], v[8:9], v[26:27], v[40:41]
	ds_read_b128 v[6:9], v1 offset:1856
	v_add_f64 v[18:19], v[18:19], v[50:51]
	v_add_f64 v[14:15], v[14:15], v[20:21]
	s_waitcnt vmcnt(21) lgkmcnt(1)
	v_mul_f64 v[20:21], v[2:3], v[22:23]
	v_mul_f64 v[22:23], v[4:5], v[22:23]
	s_waitcnt vmcnt(20)
	v_fma_f64 v[40:41], v[10:11], v[123:124], -v[48:49]
	v_fma_f64 v[16:17], v[12:13], v[123:124], v[16:17]
	ds_read_b128 v[10:13], v1 offset:1872
	v_add_f64 v[18:19], v[18:19], v[28:29]
	v_add_f64 v[14:15], v[14:15], v[26:27]
	;; [unrolled: 9-line block ×3, first 2 shown]
	s_waitcnt vmcnt(13) lgkmcnt(1)
	v_mul_f64 v[24:25], v[12:13], v[30:31]
	s_waitcnt vmcnt(12)
	v_fma_f64 v[28:29], v[6:7], v[115:116], -v[28:29]
	v_mul_f64 v[16:17], v[10:11], v[30:31]
	v_add_f64 v[18:19], v[18:19], v[22:23]
	v_fma_f64 v[22:23], v[8:9], v[115:116], v[26:27]
	v_add_f64 v[14:15], v[14:15], v[20:21]
	ds_read_b128 v[6:9], v1 offset:1904
	s_waitcnt vmcnt(11) lgkmcnt(1)
	v_mul_f64 v[26:27], v[4:5], v[42:43]
	v_mul_f64 v[20:21], v[2:3], v[42:43]
	s_waitcnt vmcnt(9)
	v_fma_f64 v[10:11], v[10:11], v[34:35], -v[24:25]
	v_fma_f64 v[12:13], v[12:13], v[34:35], v[16:17]
	v_add_f64 v[18:19], v[18:19], v[28:29]
	v_add_f64 v[14:15], v[14:15], v[22:23]
	s_waitcnt vmcnt(7) lgkmcnt(0)
	v_mul_f64 v[22:23], v[8:9], v[32:33]
	s_waitcnt vmcnt(6)
	v_fma_f64 v[1:2], v[2:3], v[46:47], -v[26:27]
	v_mul_f64 v[16:17], v[6:7], v[32:33]
	v_fma_f64 v[3:4], v[4:5], v[46:47], v[20:21]
	v_add_f64 v[10:11], v[18:19], v[10:11]
	v_add_f64 v[12:13], v[14:15], v[12:13]
	s_waitcnt vmcnt(4)
	v_fma_f64 v[5:6], v[6:7], v[36:37], -v[22:23]
	v_fma_f64 v[7:8], v[8:9], v[36:37], v[16:17]
	v_add_f64 v[1:2], v[10:11], v[1:2]
	v_add_f64 v[3:4], v[12:13], v[3:4]
	v_add_f64 v[1:2], v[1:2], v[5:6]
	v_add_f64 v[3:4], v[3:4], v[7:8]
	s_waitcnt vmcnt(2)
	v_add_f64 v[1:2], v[44:45], -v[1:2]
	s_waitcnt vmcnt(0)
	v_add_f64 v[3:4], v[54:55], -v[3:4]
	buffer_store_dword v2, off, s[0:3], 0 offset:548
	buffer_store_dword v1, off, s[0:3], 0 offset:544
	;; [unrolled: 1-line block ×4, first 2 shown]
	v_cmpx_lt_u32_e32 32, v0
	s_cbranch_execz .LBB59_309
; %bb.308:
	v_mov_b32_e32 v4, s40
	v_mov_b32_e32 v5, 0
	s_clause 0x3
	buffer_load_dword v1, v4, s[0:3], 0 offen
	buffer_load_dword v2, v4, s[0:3], 0 offen offset:4
	buffer_load_dword v3, v4, s[0:3], 0 offen offset:8
	;; [unrolled: 1-line block ×3, first 2 shown]
	buffer_store_dword v5, off, s[0:3], 0 offset:528
	buffer_store_dword v5, off, s[0:3], 0 offset:532
	;; [unrolled: 1-line block ×4, first 2 shown]
	s_waitcnt vmcnt(0)
	ds_write_b128 v69, v[1:4]
.LBB59_309:
	s_or_b32 exec_lo, exec_lo, s4
	s_waitcnt lgkmcnt(0)
	s_waitcnt_vscnt null, 0x0
	s_barrier
	buffer_gl0_inv
	s_clause 0x37
	buffer_load_dword v10, off, s[0:3], 0 offset:552
	buffer_load_dword v11, off, s[0:3], 0 offset:556
	;; [unrolled: 1-line block ×56, first 2 shown]
	v_mov_b32_e32 v1, 0
	s_mov_b32 s4, exec_lo
	ds_read_b128 v[2:5], v1 offset:1488
	s_clause 0x2
	buffer_load_dword v67, off, s[0:3], 0 offset:780
	buffer_load_dword v94, off, s[0:3], 0 offset:756
	;; [unrolled: 1-line block ×3, first 2 shown]
	ds_read_b128 v[6:9], v1 offset:1504
	s_clause 0x4
	buffer_load_dword v100, off, s[0:3], 0 offset:796
	buffer_load_dword v109, off, s[0:3], 0 offset:808
	;; [unrolled: 1-line block ×5, first 2 shown]
	s_waitcnt vmcnt(62) lgkmcnt(1)
	v_mul_f64 v[95:96], v[4:5], v[10:11]
	v_mul_f64 v[97:98], v[2:3], v[10:11]
	s_waitcnt vmcnt(60) lgkmcnt(0)
	v_mul_f64 v[112:113], v[8:9], v[14:15]
	ds_read_b128 v[10:13], v1 offset:1520
	v_mul_f64 v[14:15], v[6:7], v[14:15]
	s_waitcnt vmcnt(58)
	v_fma_f64 v[95:96], v[2:3], v[16:17], -v[95:96]
	v_fma_f64 v[16:17], v[4:5], v[16:17], v[97:98]
	s_clause 0x2
	buffer_load_dword v110, off, s[0:3], 0 offset:812
	buffer_load_dword v98, off, s[0:3], 0 offset:788
	;; [unrolled: 1-line block ×3, first 2 shown]
	s_waitcnt vmcnt(59) lgkmcnt(0)
	v_mul_f64 v[114:115], v[10:11], v[18:19]
	v_mul_f64 v[18:19], v[12:13], v[18:19]
	s_waitcnt vmcnt(57)
	v_fma_f64 v[123:124], v[6:7], v[20:21], -v[112:113]
	ds_read_b128 v[2:5], v1 offset:1536
	v_fma_f64 v[14:15], v[8:9], v[20:21], v[14:15]
	s_clause 0x4
	buffer_load_dword v21, off, s[0:3], 0 offset:828
	buffer_load_dword v113, off, s[0:3], 0 offset:840
	;; [unrolled: 1-line block ×5, first 2 shown]
	ds_read_b128 v[6:9], v1 offset:1552
	v_add_f64 v[95:96], v[95:96], 0
	v_add_f64 v[16:17], v[16:17], 0
	s_waitcnt vmcnt(58) lgkmcnt(1)
	v_mul_f64 v[126:127], v[2:3], v[22:23]
	v_mul_f64 v[22:23], v[4:5], v[22:23]
	s_waitcnt vmcnt(56)
	v_fma_f64 v[18:19], v[10:11], v[28:29], -v[18:19]
	v_fma_f64 v[28:29], v[12:13], v[28:29], v[114:115]
	s_waitcnt vmcnt(55) lgkmcnt(0)
	v_mul_f64 v[115:116], v[6:7], v[24:25]
	v_mul_f64 v[24:25], v[8:9], v[24:25]
	v_add_f64 v[95:96], v[95:96], v[123:124]
	v_add_f64 v[14:15], v[16:17], v[14:15]
	s_clause 0x2
	buffer_load_dword v114, off, s[0:3], 0 offset:844
	buffer_load_dword v17, off, s[0:3], 0 offset:820
	;; [unrolled: 1-line block ×3, first 2 shown]
	ds_read_b128 v[10:13], v1 offset:1568
	s_waitcnt vmcnt(56)
	v_fma_f64 v[22:23], v[2:3], v[30:31], -v[22:23]
	v_fma_f64 v[30:31], v[4:5], v[30:31], v[126:127]
	s_waitcnt vmcnt(51)
	v_fma_f64 v[24:25], v[6:7], v[26:27], -v[24:25]
	v_add_f64 v[18:19], v[95:96], v[18:19]
	v_add_f64 v[14:15], v[14:15], v[28:29]
	s_clause 0x4
	buffer_load_dword v29, off, s[0:3], 0 offset:860
	buffer_load_dword v95, off, s[0:3], 0 offset:872
	;; [unrolled: 1-line block ×5, first 2 shown]
	s_waitcnt lgkmcnt(0)
	v_mul_f64 v[127:128], v[10:11], v[32:33]
	v_mul_f64 v[32:33], v[12:13], v[32:33]
	ds_read_b128 v[2:5], v1 offset:1584
	v_add_f64 v[18:19], v[18:19], v[22:23]
	v_fma_f64 v[22:23], v[8:9], v[26:27], v[115:116]
	v_add_f64 v[14:15], v[14:15], v[30:31]
	s_clause 0x2
	buffer_load_dword v96, off, s[0:3], 0 offset:876
	buffer_load_dword v27, off, s[0:3], 0 offset:852
	;; [unrolled: 1-line block ×3, first 2 shown]
	s_waitcnt vmcnt(58) lgkmcnt(0)
	v_mul_f64 v[30:31], v[2:3], v[34:35]
	v_mul_f64 v[34:35], v[4:5], v[34:35]
	s_waitcnt vmcnt(56)
	v_fma_f64 v[32:33], v[10:11], v[38:39], -v[32:33]
	ds_read_b128 v[6:9], v1 offset:1600
	v_add_f64 v[18:19], v[18:19], v[24:25]
	v_fma_f64 v[24:25], v[12:13], v[38:39], v[127:128]
	v_add_f64 v[14:15], v[14:15], v[22:23]
	s_clause 0x4
	buffer_load_dword v23, off, s[0:3], 0 offset:892
	buffer_load_dword v38, off, s[0:3], 0 offset:904
	;; [unrolled: 1-line block ×5, first 2 shown]
	ds_read_b128 v[10:13], v1 offset:1616
	s_waitcnt vmcnt(57) lgkmcnt(1)
	v_mul_f64 v[127:128], v[6:7], v[40:41]
	v_mul_f64 v[40:41], v[8:9], v[40:41]
	s_waitcnt vmcnt(56)
	v_fma_f64 v[34:35], v[2:3], v[36:37], -v[34:35]
	v_fma_f64 v[30:31], v[4:5], v[36:37], v[30:31]
	v_add_f64 v[18:19], v[18:19], v[32:33]
	v_add_f64 v[14:15], v[14:15], v[24:25]
	s_clause 0x2
	buffer_load_dword v39, off, s[0:3], 0 offset:908
	buffer_load_dword v25, off, s[0:3], 0 offset:884
	;; [unrolled: 1-line block ×3, first 2 shown]
	s_waitcnt vmcnt(58) lgkmcnt(0)
	v_mul_f64 v[36:37], v[12:13], v[42:43]
	ds_read_b128 v[2:5], v1 offset:1632
	s_waitcnt vmcnt(56)
	v_fma_f64 v[40:41], v[6:7], v[46:47], -v[40:41]
	v_mul_f64 v[32:33], v[10:11], v[42:43]
	v_add_f64 v[18:19], v[18:19], v[34:35]
	v_fma_f64 v[34:35], v[8:9], v[46:47], v[127:128]
	v_add_f64 v[14:15], v[14:15], v[30:31]
	s_clause 0x4
	buffer_load_dword v31, off, s[0:3], 0 offset:924
	buffer_load_dword v42, off, s[0:3], 0 offset:936
	;; [unrolled: 1-line block ×5, first 2 shown]
	s_waitcnt vmcnt(57) lgkmcnt(0)
	v_mul_f64 v[127:128], v[2:3], v[48:49]
	v_mul_f64 v[47:48], v[4:5], v[48:49]
	s_waitcnt vmcnt(56)
	v_fma_f64 v[36:37], v[10:11], v[44:45], -v[36:37]
	ds_read_b128 v[6:9], v1 offset:1648
	v_fma_f64 v[32:33], v[12:13], v[44:45], v[32:33]
	v_add_f64 v[18:19], v[18:19], v[40:41]
	v_add_f64 v[14:15], v[14:15], v[34:35]
	s_clause 0x2
	buffer_load_dword v43, off, s[0:3], 0 offset:940
	buffer_load_dword v35, off, s[0:3], 0 offset:916
	;; [unrolled: 1-line block ×3, first 2 shown]
	ds_read_b128 v[10:13], v1 offset:1664
	s_waitcnt vmcnt(58) lgkmcnt(1)
	v_mul_f64 v[44:45], v[8:9], v[50:51]
	s_waitcnt vmcnt(56)
	v_fma_f64 v[48:49], v[2:3], v[54:55], -v[47:48]
	v_mul_f64 v[40:41], v[6:7], v[50:51]
	v_add_f64 v[18:19], v[18:19], v[36:37]
	v_fma_f64 v[36:37], v[4:5], v[54:55], v[127:128]
	v_add_f64 v[14:15], v[14:15], v[32:33]
	s_clause 0x4
	buffer_load_dword v33, off, s[0:3], 0 offset:956
	buffer_load_dword v50, off, s[0:3], 0 offset:968
	;; [unrolled: 1-line block ×5, first 2 shown]
	s_waitcnt vmcnt(57) lgkmcnt(0)
	v_mul_f64 v[127:128], v[10:11], v[56:57]
	v_mul_f64 v[55:56], v[12:13], v[56:57]
	s_waitcnt vmcnt(56)
	v_fma_f64 v[44:45], v[6:7], v[52:53], -v[44:45]
	ds_read_b128 v[2:5], v1 offset:1680
	v_fma_f64 v[40:41], v[8:9], v[52:53], v[40:41]
	v_add_f64 v[18:19], v[18:19], v[48:49]
	v_add_f64 v[14:15], v[14:15], v[36:37]
	s_clause 0x2
	buffer_load_dword v51, off, s[0:3], 0 offset:972
	buffer_load_dword v37, off, s[0:3], 0 offset:948
	;; [unrolled: 1-line block ×3, first 2 shown]
	ds_read_b128 v[6:9], v1 offset:1696
	s_waitcnt vmcnt(58) lgkmcnt(1)
	v_mul_f64 v[52:53], v[4:5], v[58:59]
	s_waitcnt vmcnt(56)
	v_fma_f64 v[56:57], v[10:11], v[62:63], -v[55:56]
	v_mul_f64 v[48:49], v[2:3], v[58:59]
	buffer_load_dword v55, off, s[0:3], 0 offset:964
	v_add_f64 v[18:19], v[18:19], v[44:45]
	v_fma_f64 v[44:45], v[12:13], v[62:63], v[127:128]
	v_add_f64 v[14:15], v[14:15], v[40:41]
	ds_read_b128 v[10:13], v1 offset:1712
	s_waitcnt vmcnt(53) lgkmcnt(1)
	v_mul_f64 v[58:59], v[8:9], v[64:65]
	s_waitcnt vmcnt(52)
	v_fma_f64 v[52:53], v[2:3], v[60:61], -v[52:53]
	v_mul_f64 v[40:41], v[6:7], v[64:65]
	v_fma_f64 v[48:49], v[4:5], v[60:61], v[48:49]
	ds_read_b128 v[2:5], v1 offset:1728
	v_add_f64 v[18:19], v[18:19], v[56:57]
	s_waitcnt vmcnt(51) lgkmcnt(1)
	v_mul_f64 v[56:57], v[12:13], v[66:67]
	v_add_f64 v[14:15], v[14:15], v[44:45]
	v_mul_f64 v[44:45], v[10:11], v[66:67]
	s_waitcnt vmcnt(49)
	v_fma_f64 v[58:59], v[6:7], v[93:94], -v[58:59]
	v_fma_f64 v[40:41], v[8:9], v[93:94], v[40:41]
	s_waitcnt vmcnt(45) lgkmcnt(0)
	v_mul_f64 v[62:63], v[4:5], v[99:100]
	v_mul_f64 v[60:61], v[2:3], v[99:100]
	v_add_f64 v[18:19], v[18:19], v[52:53]
	s_waitcnt vmcnt(44)
	v_fma_f64 v[56:57], v[10:11], v[70:71], -v[56:57]
	v_add_f64 v[14:15], v[14:15], v[48:49]
	s_clause 0x3
	buffer_load_dword v48, off, s[0:3], 0 offset:528
	buffer_load_dword v49, off, s[0:3], 0 offset:532
	;; [unrolled: 1-line block ×4, first 2 shown]
	ds_read_b128 v[6:9], v1 offset:1744
	v_fma_f64 v[44:45], v[12:13], v[70:71], v[44:45]
	ds_read_b128 v[10:13], v1 offset:1760
	v_add_f64 v[18:19], v[18:19], v[58:59]
	v_add_f64 v[14:15], v[14:15], v[40:41]
	s_waitcnt vmcnt(47) lgkmcnt(1)
	v_mul_f64 v[58:59], v[8:9], v[109:110]
	v_mul_f64 v[40:41], v[6:7], v[109:110]
	s_waitcnt vmcnt(45)
	v_fma_f64 v[62:63], v[2:3], v[97:98], -v[62:63]
	v_add_f64 v[18:19], v[18:19], v[56:57]
	v_fma_f64 v[56:57], v[4:5], v[97:98], v[60:61]
	v_add_f64 v[14:15], v[14:15], v[44:45]
	s_waitcnt vmcnt(41) lgkmcnt(0)
	v_mul_f64 v[44:45], v[10:11], v[20:21]
	v_mul_f64 v[20:21], v[12:13], v[20:21]
	ds_read_b128 v[2:5], v1 offset:1776
	s_waitcnt vmcnt(40)
	v_fma_f64 v[58:59], v[6:7], v[111:112], -v[58:59]
	v_fma_f64 v[40:41], v[8:9], v[111:112], v[40:41]
	ds_read_b128 v[6:9], v1 offset:1792
	v_add_f64 v[18:19], v[18:19], v[62:63]
	v_add_f64 v[14:15], v[14:15], v[56:57]
	s_waitcnt vmcnt(39) lgkmcnt(1)
	v_mul_f64 v[60:61], v[4:5], v[113:114]
	v_mul_f64 v[56:57], v[2:3], v[113:114]
	s_waitcnt vmcnt(37)
	v_fma_f64 v[20:21], v[10:11], v[16:17], -v[20:21]
	v_fma_f64 v[16:17], v[12:13], v[16:17], v[44:45]
	ds_read_b128 v[10:13], v1 offset:1808
	v_add_f64 v[18:19], v[18:19], v[58:59]
	v_add_f64 v[14:15], v[14:15], v[40:41]
	s_waitcnt vmcnt(33) lgkmcnt(1)
	v_mul_f64 v[40:41], v[6:7], v[28:29]
	v_mul_f64 v[28:29], v[8:9], v[28:29]
	s_waitcnt vmcnt(32)
	v_fma_f64 v[44:45], v[2:3], v[125:126], -v[60:61]
	v_add_f64 v[18:19], v[18:19], v[20:21]
	v_fma_f64 v[20:21], v[4:5], v[125:126], v[56:57]
	v_add_f64 v[14:15], v[14:15], v[16:17]
	ds_read_b128 v[2:5], v1 offset:1824
	s_waitcnt vmcnt(31) lgkmcnt(1)
	v_mul_f64 v[56:57], v[12:13], v[95:96]
	v_mul_f64 v[16:17], v[10:11], v[95:96]
	s_waitcnt vmcnt(29)
	v_fma_f64 v[28:29], v[6:7], v[26:27], -v[28:29]
	v_fma_f64 v[26:27], v[8:9], v[26:27], v[40:41]
	ds_read_b128 v[6:9], v1 offset:1840
	v_add_f64 v[18:19], v[18:19], v[44:45]
	v_add_f64 v[14:15], v[14:15], v[20:21]
	s_waitcnt vmcnt(25) lgkmcnt(1)
	v_mul_f64 v[20:21], v[2:3], v[22:23]
	v_mul_f64 v[22:23], v[4:5], v[22:23]
	s_waitcnt vmcnt(24)
	v_fma_f64 v[40:41], v[10:11], v[123:124], -v[56:57]
	v_fma_f64 v[16:17], v[12:13], v[123:124], v[16:17]
	ds_read_b128 v[10:13], v1 offset:1856
	v_add_f64 v[18:19], v[18:19], v[28:29]
	v_add_f64 v[14:15], v[14:15], v[26:27]
	s_waitcnt vmcnt(23) lgkmcnt(1)
	v_mul_f64 v[28:29], v[8:9], v[38:39]
	v_mul_f64 v[26:27], v[6:7], v[38:39]
	s_waitcnt vmcnt(21)
	v_fma_f64 v[22:23], v[2:3], v[24:25], -v[22:23]
	v_fma_f64 v[20:21], v[4:5], v[24:25], v[20:21]
	ds_read_b128 v[2:5], v1 offset:1872
	v_add_f64 v[18:19], v[18:19], v[40:41]
	v_add_f64 v[14:15], v[14:15], v[16:17]
	s_waitcnt vmcnt(17) lgkmcnt(1)
	v_mul_f64 v[24:25], v[12:13], v[30:31]
	s_waitcnt vmcnt(16)
	v_fma_f64 v[28:29], v[6:7], v[115:116], -v[28:29]
	v_mul_f64 v[16:17], v[10:11], v[30:31]
	v_add_f64 v[18:19], v[18:19], v[22:23]
	v_fma_f64 v[22:23], v[8:9], v[115:116], v[26:27]
	v_add_f64 v[14:15], v[14:15], v[20:21]
	ds_read_b128 v[6:9], v1 offset:1888
	s_waitcnt vmcnt(15) lgkmcnt(1)
	v_mul_f64 v[26:27], v[4:5], v[42:43]
	v_mul_f64 v[20:21], v[2:3], v[42:43]
	s_waitcnt vmcnt(13)
	v_fma_f64 v[24:25], v[10:11], v[34:35], -v[24:25]
	v_fma_f64 v[16:17], v[12:13], v[34:35], v[16:17]
	ds_read_b128 v[10:13], v1 offset:1904
	v_add_f64 v[18:19], v[18:19], v[28:29]
	v_add_f64 v[14:15], v[14:15], v[22:23]
	s_waitcnt vmcnt(9) lgkmcnt(1)
	v_mul_f64 v[28:29], v[8:9], v[32:33]
	s_waitcnt vmcnt(8)
	v_fma_f64 v[2:3], v[2:3], v[46:47], -v[26:27]
	v_mul_f64 v[22:23], v[6:7], v[32:33]
	v_fma_f64 v[4:5], v[4:5], v[46:47], v[20:21]
	v_add_f64 v[18:19], v[18:19], v[24:25]
	v_add_f64 v[14:15], v[14:15], v[16:17]
	s_waitcnt vmcnt(7) lgkmcnt(0)
	v_mul_f64 v[20:21], v[12:13], v[50:51]
	v_mul_f64 v[16:17], v[10:11], v[50:51]
	s_waitcnt vmcnt(5)
	v_fma_f64 v[6:7], v[6:7], v[36:37], -v[28:29]
	v_fma_f64 v[8:9], v[8:9], v[36:37], v[22:23]
	v_add_f64 v[2:3], v[18:19], v[2:3]
	v_add_f64 v[4:5], v[14:15], v[4:5]
	s_waitcnt vmcnt(4)
	v_fma_f64 v[10:11], v[10:11], v[54:55], -v[20:21]
	v_add_f64 v[2:3], v[2:3], v[6:7]
	v_fma_f64 v[6:7], v[12:13], v[54:55], v[16:17]
	v_add_f64 v[4:5], v[4:5], v[8:9]
	v_add_f64 v[2:3], v[2:3], v[10:11]
	;; [unrolled: 1-line block ×3, first 2 shown]
	s_waitcnt vmcnt(2)
	v_add_f64 v[2:3], v[48:49], -v[2:3]
	s_waitcnt vmcnt(0)
	v_add_f64 v[4:5], v[52:53], -v[4:5]
	buffer_store_dword v3, off, s[0:3], 0 offset:532
	buffer_store_dword v2, off, s[0:3], 0 offset:528
	buffer_store_dword v5, off, s[0:3], 0 offset:540
	buffer_store_dword v4, off, s[0:3], 0 offset:536
	v_cmpx_lt_u32_e32 31, v0
	s_cbranch_execz .LBB59_311
; %bb.310:
	v_mov_b32_e32 v5, s41
	s_clause 0x3
	buffer_load_dword v2, v5, s[0:3], 0 offen
	buffer_load_dword v3, v5, s[0:3], 0 offen offset:4
	buffer_load_dword v4, v5, s[0:3], 0 offen offset:8
	buffer_load_dword v5, v5, s[0:3], 0 offen offset:12
	buffer_store_dword v1, off, s[0:3], 0 offset:512
	buffer_store_dword v1, off, s[0:3], 0 offset:516
	;; [unrolled: 1-line block ×4, first 2 shown]
	s_waitcnt vmcnt(0)
	ds_write_b128 v69, v[2:5]
.LBB59_311:
	s_or_b32 exec_lo, exec_lo, s4
	s_waitcnt lgkmcnt(0)
	s_waitcnt_vscnt null, 0x0
	s_barrier
	buffer_gl0_inv
	s_clause 0x37
	buffer_load_dword v10, off, s[0:3], 0 offset:536
	buffer_load_dword v11, off, s[0:3], 0 offset:540
	buffer_load_dword v14, off, s[0:3], 0 offset:552
	buffer_load_dword v15, off, s[0:3], 0 offset:556
	buffer_load_dword v16, off, s[0:3], 0 offset:528
	buffer_load_dword v17, off, s[0:3], 0 offset:532
	buffer_load_dword v18, off, s[0:3], 0 offset:568
	buffer_load_dword v19, off, s[0:3], 0 offset:572
	buffer_load_dword v20, off, s[0:3], 0 offset:544
	buffer_load_dword v21, off, s[0:3], 0 offset:548
	buffer_load_dword v23, off, s[0:3], 0 offset:588
	buffer_load_dword v24, off, s[0:3], 0 offset:600
	buffer_load_dword v26, off, s[0:3], 0 offset:592
	buffer_load_dword v22, off, s[0:3], 0 offset:584
	buffer_load_dword v28, off, s[0:3], 0 offset:560
	buffer_load_dword v29, off, s[0:3], 0 offset:564
	buffer_load_dword v25, off, s[0:3], 0 offset:604
	buffer_load_dword v31, off, s[0:3], 0 offset:580
	buffer_load_dword v30, off, s[0:3], 0 offset:576
	buffer_load_dword v33, off, s[0:3], 0 offset:620
	buffer_load_dword v34, off, s[0:3], 0 offset:632
	buffer_load_dword v36, off, s[0:3], 0 offset:624
	buffer_load_dword v32, off, s[0:3], 0 offset:616
	buffer_load_dword v27, off, s[0:3], 0 offset:596
	buffer_load_dword v35, off, s[0:3], 0 offset:636
	buffer_load_dword v39, off, s[0:3], 0 offset:612
	buffer_load_dword v38, off, s[0:3], 0 offset:608
	buffer_load_dword v41, off, s[0:3], 0 offset:652
	buffer_load_dword v42, off, s[0:3], 0 offset:664
	buffer_load_dword v44, off, s[0:3], 0 offset:656
	buffer_load_dword v40, off, s[0:3], 0 offset:648
	buffer_load_dword v37, off, s[0:3], 0 offset:628
	buffer_load_dword v43, off, s[0:3], 0 offset:668
	buffer_load_dword v47, off, s[0:3], 0 offset:644
	buffer_load_dword v46, off, s[0:3], 0 offset:640
	buffer_load_dword v49, off, s[0:3], 0 offset:684
	buffer_load_dword v50, off, s[0:3], 0 offset:696
	buffer_load_dword v52, off, s[0:3], 0 offset:688
	buffer_load_dword v48, off, s[0:3], 0 offset:680
	buffer_load_dword v45, off, s[0:3], 0 offset:660
	buffer_load_dword v51, off, s[0:3], 0 offset:700
	buffer_load_dword v55, off, s[0:3], 0 offset:676
	buffer_load_dword v54, off, s[0:3], 0 offset:672
	buffer_load_dword v57, off, s[0:3], 0 offset:716
	buffer_load_dword v58, off, s[0:3], 0 offset:728
	buffer_load_dword v60, off, s[0:3], 0 offset:720
	buffer_load_dword v56, off, s[0:3], 0 offset:712
	buffer_load_dword v53, off, s[0:3], 0 offset:692
	buffer_load_dword v59, off, s[0:3], 0 offset:732
	buffer_load_dword v63, off, s[0:3], 0 offset:708
	buffer_load_dword v62, off, s[0:3], 0 offset:704
	buffer_load_dword v65, off, s[0:3], 0 offset:748
	buffer_load_dword v66, off, s[0:3], 0 offset:760
	buffer_load_dword v70, off, s[0:3], 0 offset:752
	buffer_load_dword v64, off, s[0:3], 0 offset:744
	buffer_load_dword v61, off, s[0:3], 0 offset:724
	ds_read_b128 v[2:5], v1 offset:1472
	s_clause 0x2
	buffer_load_dword v67, off, s[0:3], 0 offset:764
	buffer_load_dword v94, off, s[0:3], 0 offset:740
	;; [unrolled: 1-line block ×3, first 2 shown]
	ds_read_b128 v[6:9], v1 offset:1488
	s_clause 0x4
	buffer_load_dword v100, off, s[0:3], 0 offset:780
	buffer_load_dword v109, off, s[0:3], 0 offset:792
	;; [unrolled: 1-line block ×5, first 2 shown]
	s_mov_b32 s4, exec_lo
	s_waitcnt vmcnt(62) lgkmcnt(1)
	v_mul_f64 v[95:96], v[4:5], v[10:11]
	v_mul_f64 v[97:98], v[2:3], v[10:11]
	s_waitcnt vmcnt(60) lgkmcnt(0)
	v_mul_f64 v[112:113], v[8:9], v[14:15]
	ds_read_b128 v[10:13], v1 offset:1504
	v_mul_f64 v[14:15], v[6:7], v[14:15]
	s_waitcnt vmcnt(58)
	v_fma_f64 v[95:96], v[2:3], v[16:17], -v[95:96]
	v_fma_f64 v[16:17], v[4:5], v[16:17], v[97:98]
	s_clause 0x2
	buffer_load_dword v110, off, s[0:3], 0 offset:796
	buffer_load_dword v98, off, s[0:3], 0 offset:772
	buffer_load_dword v97, off, s[0:3], 0 offset:768
	s_waitcnt vmcnt(59) lgkmcnt(0)
	v_mul_f64 v[114:115], v[10:11], v[18:19]
	v_mul_f64 v[18:19], v[12:13], v[18:19]
	s_waitcnt vmcnt(57)
	v_fma_f64 v[123:124], v[6:7], v[20:21], -v[112:113]
	ds_read_b128 v[2:5], v1 offset:1520
	v_fma_f64 v[14:15], v[8:9], v[20:21], v[14:15]
	s_clause 0x4
	buffer_load_dword v21, off, s[0:3], 0 offset:812
	buffer_load_dword v113, off, s[0:3], 0 offset:824
	;; [unrolled: 1-line block ×5, first 2 shown]
	ds_read_b128 v[6:9], v1 offset:1536
	v_add_f64 v[95:96], v[95:96], 0
	v_add_f64 v[16:17], v[16:17], 0
	s_waitcnt vmcnt(58) lgkmcnt(1)
	v_mul_f64 v[126:127], v[2:3], v[22:23]
	v_mul_f64 v[22:23], v[4:5], v[22:23]
	s_waitcnt vmcnt(56)
	v_fma_f64 v[18:19], v[10:11], v[28:29], -v[18:19]
	v_fma_f64 v[28:29], v[12:13], v[28:29], v[114:115]
	s_waitcnt vmcnt(55) lgkmcnt(0)
	v_mul_f64 v[115:116], v[6:7], v[24:25]
	v_mul_f64 v[24:25], v[8:9], v[24:25]
	v_add_f64 v[95:96], v[95:96], v[123:124]
	v_add_f64 v[14:15], v[16:17], v[14:15]
	s_clause 0x2
	buffer_load_dword v114, off, s[0:3], 0 offset:828
	buffer_load_dword v17, off, s[0:3], 0 offset:804
	;; [unrolled: 1-line block ×3, first 2 shown]
	ds_read_b128 v[10:13], v1 offset:1552
	s_waitcnt vmcnt(56)
	v_fma_f64 v[22:23], v[2:3], v[30:31], -v[22:23]
	v_fma_f64 v[30:31], v[4:5], v[30:31], v[126:127]
	s_waitcnt vmcnt(51)
	v_fma_f64 v[24:25], v[6:7], v[26:27], -v[24:25]
	v_add_f64 v[18:19], v[95:96], v[18:19]
	v_add_f64 v[14:15], v[14:15], v[28:29]
	s_clause 0x4
	buffer_load_dword v29, off, s[0:3], 0 offset:844
	buffer_load_dword v95, off, s[0:3], 0 offset:856
	;; [unrolled: 1-line block ×5, first 2 shown]
	s_waitcnt lgkmcnt(0)
	v_mul_f64 v[127:128], v[10:11], v[32:33]
	v_mul_f64 v[32:33], v[12:13], v[32:33]
	ds_read_b128 v[2:5], v1 offset:1568
	v_add_f64 v[18:19], v[18:19], v[22:23]
	v_fma_f64 v[22:23], v[8:9], v[26:27], v[115:116]
	v_add_f64 v[14:15], v[14:15], v[30:31]
	s_clause 0x2
	buffer_load_dword v96, off, s[0:3], 0 offset:860
	buffer_load_dword v27, off, s[0:3], 0 offset:836
	;; [unrolled: 1-line block ×3, first 2 shown]
	s_waitcnt vmcnt(58) lgkmcnt(0)
	v_mul_f64 v[30:31], v[2:3], v[34:35]
	v_mul_f64 v[34:35], v[4:5], v[34:35]
	s_waitcnt vmcnt(56)
	v_fma_f64 v[32:33], v[10:11], v[38:39], -v[32:33]
	ds_read_b128 v[6:9], v1 offset:1584
	v_add_f64 v[18:19], v[18:19], v[24:25]
	v_fma_f64 v[24:25], v[12:13], v[38:39], v[127:128]
	v_add_f64 v[14:15], v[14:15], v[22:23]
	s_clause 0x4
	buffer_load_dword v23, off, s[0:3], 0 offset:876
	buffer_load_dword v38, off, s[0:3], 0 offset:888
	;; [unrolled: 1-line block ×5, first 2 shown]
	ds_read_b128 v[10:13], v1 offset:1600
	s_waitcnt vmcnt(57) lgkmcnt(1)
	v_mul_f64 v[127:128], v[6:7], v[40:41]
	v_mul_f64 v[40:41], v[8:9], v[40:41]
	s_waitcnt vmcnt(56)
	v_fma_f64 v[34:35], v[2:3], v[36:37], -v[34:35]
	v_fma_f64 v[30:31], v[4:5], v[36:37], v[30:31]
	v_add_f64 v[18:19], v[18:19], v[32:33]
	v_add_f64 v[14:15], v[14:15], v[24:25]
	s_clause 0x2
	buffer_load_dword v39, off, s[0:3], 0 offset:892
	buffer_load_dword v25, off, s[0:3], 0 offset:868
	;; [unrolled: 1-line block ×3, first 2 shown]
	s_waitcnt vmcnt(58) lgkmcnt(0)
	v_mul_f64 v[36:37], v[12:13], v[42:43]
	ds_read_b128 v[2:5], v1 offset:1616
	s_waitcnt vmcnt(56)
	v_fma_f64 v[40:41], v[6:7], v[46:47], -v[40:41]
	v_mul_f64 v[32:33], v[10:11], v[42:43]
	v_add_f64 v[18:19], v[18:19], v[34:35]
	v_fma_f64 v[34:35], v[8:9], v[46:47], v[127:128]
	v_add_f64 v[14:15], v[14:15], v[30:31]
	s_clause 0x4
	buffer_load_dword v31, off, s[0:3], 0 offset:908
	buffer_load_dword v42, off, s[0:3], 0 offset:920
	;; [unrolled: 1-line block ×5, first 2 shown]
	s_waitcnt vmcnt(57) lgkmcnt(0)
	v_mul_f64 v[127:128], v[2:3], v[48:49]
	v_mul_f64 v[47:48], v[4:5], v[48:49]
	s_waitcnt vmcnt(56)
	v_fma_f64 v[36:37], v[10:11], v[44:45], -v[36:37]
	ds_read_b128 v[6:9], v1 offset:1632
	v_fma_f64 v[32:33], v[12:13], v[44:45], v[32:33]
	v_add_f64 v[18:19], v[18:19], v[40:41]
	v_add_f64 v[14:15], v[14:15], v[34:35]
	s_clause 0x2
	buffer_load_dword v43, off, s[0:3], 0 offset:924
	buffer_load_dword v35, off, s[0:3], 0 offset:900
	;; [unrolled: 1-line block ×3, first 2 shown]
	ds_read_b128 v[10:13], v1 offset:1648
	s_waitcnt vmcnt(58) lgkmcnt(1)
	v_mul_f64 v[44:45], v[8:9], v[50:51]
	s_waitcnt vmcnt(56)
	v_fma_f64 v[48:49], v[2:3], v[54:55], -v[47:48]
	v_mul_f64 v[40:41], v[6:7], v[50:51]
	v_add_f64 v[18:19], v[18:19], v[36:37]
	v_fma_f64 v[36:37], v[4:5], v[54:55], v[127:128]
	v_add_f64 v[14:15], v[14:15], v[32:33]
	s_clause 0x4
	buffer_load_dword v33, off, s[0:3], 0 offset:940
	buffer_load_dword v50, off, s[0:3], 0 offset:952
	;; [unrolled: 1-line block ×5, first 2 shown]
	s_waitcnt vmcnt(57) lgkmcnt(0)
	v_mul_f64 v[127:128], v[10:11], v[56:57]
	v_mul_f64 v[55:56], v[12:13], v[56:57]
	s_waitcnt vmcnt(56)
	v_fma_f64 v[44:45], v[6:7], v[52:53], -v[44:45]
	ds_read_b128 v[2:5], v1 offset:1664
	v_fma_f64 v[40:41], v[8:9], v[52:53], v[40:41]
	v_add_f64 v[18:19], v[18:19], v[48:49]
	v_add_f64 v[14:15], v[14:15], v[36:37]
	s_clause 0x2
	buffer_load_dword v51, off, s[0:3], 0 offset:956
	buffer_load_dword v37, off, s[0:3], 0 offset:932
	;; [unrolled: 1-line block ×3, first 2 shown]
	ds_read_b128 v[6:9], v1 offset:1680
	s_waitcnt vmcnt(58) lgkmcnt(1)
	v_mul_f64 v[52:53], v[4:5], v[58:59]
	s_waitcnt vmcnt(56)
	v_fma_f64 v[56:57], v[10:11], v[62:63], -v[55:56]
	v_mul_f64 v[48:49], v[2:3], v[58:59]
	v_add_f64 v[18:19], v[18:19], v[44:45]
	v_fma_f64 v[44:45], v[12:13], v[62:63], v[127:128]
	v_add_f64 v[14:15], v[14:15], v[40:41]
	s_clause 0x2
	buffer_load_dword v41, off, s[0:3], 0 offset:972
	buffer_load_dword v40, off, s[0:3], 0 offset:968
	;; [unrolled: 1-line block ×3, first 2 shown]
	s_waitcnt vmcnt(55) lgkmcnt(0)
	v_mul_f64 v[62:63], v[8:9], v[64:65]
	s_waitcnt vmcnt(54)
	v_fma_f64 v[52:53], v[2:3], v[60:61], -v[52:53]
	ds_read_b128 v[10:13], v1 offset:1696
	v_mul_f64 v[58:59], v[6:7], v[64:65]
	v_fma_f64 v[48:49], v[4:5], v[60:61], v[48:49]
	v_add_f64 v[18:19], v[18:19], v[56:57]
	v_add_f64 v[14:15], v[14:15], v[44:45]
	s_clause 0x1
	buffer_load_dword v45, off, s[0:3], 0 offset:964
	buffer_load_dword v44, off, s[0:3], 0 offset:960
	s_waitcnt vmcnt(55) lgkmcnt(0)
	v_mul_f64 v[60:61], v[12:13], v[66:67]
	s_waitcnt vmcnt(53)
	v_fma_f64 v[62:63], v[6:7], v[93:94], -v[62:63]
	ds_read_b128 v[2:5], v1 offset:1712
	v_mul_f64 v[56:57], v[10:11], v[66:67]
	v_add_f64 v[18:19], v[18:19], v[52:53]
	v_fma_f64 v[52:53], v[8:9], v[93:94], v[58:59]
	v_add_f64 v[14:15], v[14:15], v[48:49]
	ds_read_b128 v[6:9], v1 offset:1728
	s_waitcnt vmcnt(49) lgkmcnt(1)
	v_mul_f64 v[58:59], v[4:5], v[99:100]
	s_waitcnt vmcnt(48)
	v_fma_f64 v[60:61], v[10:11], v[70:71], -v[60:61]
	v_mul_f64 v[48:49], v[2:3], v[99:100]
	v_fma_f64 v[56:57], v[12:13], v[70:71], v[56:57]
	v_add_f64 v[18:19], v[18:19], v[62:63]
	v_add_f64 v[14:15], v[14:15], v[52:53]
	s_clause 0x3
	buffer_load_dword v52, off, s[0:3], 0 offset:512
	buffer_load_dword v53, off, s[0:3], 0 offset:516
	;; [unrolled: 1-line block ×4, first 2 shown]
	ds_read_b128 v[10:13], v1 offset:1744
	s_waitcnt vmcnt(51) lgkmcnt(1)
	v_mul_f64 v[66:67], v[8:9], v[109:110]
	v_mul_f64 v[64:65], v[6:7], v[109:110]
	s_waitcnt vmcnt(49)
	v_fma_f64 v[58:59], v[2:3], v[97:98], -v[58:59]
	v_fma_f64 v[48:49], v[4:5], v[97:98], v[48:49]
	ds_read_b128 v[2:5], v1 offset:1760
	v_add_f64 v[18:19], v[18:19], v[60:61]
	v_add_f64 v[14:15], v[14:15], v[56:57]
	s_waitcnt vmcnt(45) lgkmcnt(1)
	v_mul_f64 v[56:57], v[10:11], v[20:21]
	v_mul_f64 v[20:21], v[12:13], v[20:21]
	s_waitcnt vmcnt(44)
	v_fma_f64 v[60:61], v[6:7], v[111:112], -v[66:67]
	v_add_f64 v[18:19], v[18:19], v[58:59]
	v_fma_f64 v[58:59], v[8:9], v[111:112], v[64:65]
	v_add_f64 v[14:15], v[14:15], v[48:49]
	ds_read_b128 v[6:9], v1 offset:1776
	s_waitcnt vmcnt(43) lgkmcnt(1)
	v_mul_f64 v[64:65], v[4:5], v[113:114]
	v_mul_f64 v[48:49], v[2:3], v[113:114]
	s_waitcnt vmcnt(41)
	v_fma_f64 v[20:21], v[10:11], v[16:17], -v[20:21]
	v_fma_f64 v[16:17], v[12:13], v[16:17], v[56:57]
	ds_read_b128 v[10:13], v1 offset:1792
	v_add_f64 v[18:19], v[18:19], v[60:61]
	v_add_f64 v[14:15], v[14:15], v[58:59]
	s_waitcnt vmcnt(37) lgkmcnt(1)
	v_mul_f64 v[56:57], v[6:7], v[28:29]
	v_mul_f64 v[28:29], v[8:9], v[28:29]
	s_waitcnt vmcnt(36)
	v_fma_f64 v[58:59], v[2:3], v[125:126], -v[64:65]
	v_add_f64 v[18:19], v[18:19], v[20:21]
	v_fma_f64 v[20:21], v[4:5], v[125:126], v[48:49]
	v_add_f64 v[14:15], v[14:15], v[16:17]
	ds_read_b128 v[2:5], v1 offset:1808
	s_waitcnt vmcnt(35) lgkmcnt(1)
	v_mul_f64 v[48:49], v[12:13], v[95:96]
	v_mul_f64 v[16:17], v[10:11], v[95:96]
	s_waitcnt vmcnt(33)
	v_fma_f64 v[28:29], v[6:7], v[26:27], -v[28:29]
	v_fma_f64 v[26:27], v[8:9], v[26:27], v[56:57]
	ds_read_b128 v[6:9], v1 offset:1824
	v_add_f64 v[18:19], v[18:19], v[58:59]
	v_add_f64 v[14:15], v[14:15], v[20:21]
	s_waitcnt vmcnt(29) lgkmcnt(1)
	v_mul_f64 v[20:21], v[2:3], v[22:23]
	v_mul_f64 v[22:23], v[4:5], v[22:23]
	s_waitcnt vmcnt(28)
	v_fma_f64 v[48:49], v[10:11], v[123:124], -v[48:49]
	v_fma_f64 v[16:17], v[12:13], v[123:124], v[16:17]
	ds_read_b128 v[10:13], v1 offset:1840
	v_add_f64 v[18:19], v[18:19], v[28:29]
	v_add_f64 v[14:15], v[14:15], v[26:27]
	;; [unrolled: 9-line block ×3, first 2 shown]
	s_waitcnt vmcnt(21) lgkmcnt(1)
	v_mul_f64 v[24:25], v[12:13], v[30:31]
	s_waitcnt vmcnt(20)
	v_fma_f64 v[28:29], v[6:7], v[115:116], -v[28:29]
	v_mul_f64 v[16:17], v[10:11], v[30:31]
	v_add_f64 v[18:19], v[18:19], v[22:23]
	v_fma_f64 v[22:23], v[8:9], v[115:116], v[26:27]
	v_add_f64 v[14:15], v[14:15], v[20:21]
	ds_read_b128 v[6:9], v1 offset:1872
	s_waitcnt vmcnt(19) lgkmcnt(1)
	v_mul_f64 v[26:27], v[4:5], v[42:43]
	v_mul_f64 v[20:21], v[2:3], v[42:43]
	s_waitcnt vmcnt(17)
	v_fma_f64 v[24:25], v[10:11], v[34:35], -v[24:25]
	v_fma_f64 v[16:17], v[12:13], v[34:35], v[16:17]
	ds_read_b128 v[10:13], v1 offset:1888
	v_add_f64 v[18:19], v[18:19], v[28:29]
	v_add_f64 v[14:15], v[14:15], v[22:23]
	s_waitcnt vmcnt(13) lgkmcnt(1)
	v_mul_f64 v[28:29], v[8:9], v[32:33]
	s_waitcnt vmcnt(12)
	v_fma_f64 v[26:27], v[2:3], v[46:47], -v[26:27]
	v_mul_f64 v[22:23], v[6:7], v[32:33]
	v_fma_f64 v[20:21], v[4:5], v[46:47], v[20:21]
	ds_read_b128 v[1:4], v1 offset:1904
	v_add_f64 v[18:19], v[18:19], v[24:25]
	v_add_f64 v[14:15], v[14:15], v[16:17]
	s_waitcnt vmcnt(11) lgkmcnt(1)
	v_mul_f64 v[24:25], v[12:13], v[50:51]
	v_mul_f64 v[16:17], v[10:11], v[50:51]
	s_waitcnt vmcnt(9)
	v_fma_f64 v[5:6], v[6:7], v[36:37], -v[28:29]
	v_fma_f64 v[7:8], v[8:9], v[36:37], v[22:23]
	v_add_f64 v[18:19], v[18:19], v[26:27]
	v_add_f64 v[14:15], v[14:15], v[20:21]
	s_waitcnt vmcnt(7) lgkmcnt(0)
	v_mul_f64 v[22:23], v[3:4], v[40:41]
	s_waitcnt vmcnt(6)
	v_fma_f64 v[9:10], v[10:11], v[54:55], -v[24:25]
	v_mul_f64 v[20:21], v[1:2], v[40:41]
	v_fma_f64 v[11:12], v[12:13], v[54:55], v[16:17]
	v_add_f64 v[5:6], v[18:19], v[5:6]
	v_add_f64 v[7:8], v[14:15], v[7:8]
	s_waitcnt vmcnt(4)
	v_fma_f64 v[1:2], v[1:2], v[44:45], -v[22:23]
	v_fma_f64 v[3:4], v[3:4], v[44:45], v[20:21]
	v_add_f64 v[5:6], v[5:6], v[9:10]
	v_add_f64 v[7:8], v[7:8], v[11:12]
	;; [unrolled: 1-line block ×4, first 2 shown]
	s_waitcnt vmcnt(2)
	v_add_f64 v[1:2], v[52:53], -v[1:2]
	s_waitcnt vmcnt(0)
	v_add_f64 v[3:4], v[62:63], -v[3:4]
	buffer_store_dword v2, off, s[0:3], 0 offset:516
	buffer_store_dword v1, off, s[0:3], 0 offset:512
	;; [unrolled: 1-line block ×4, first 2 shown]
	v_cmpx_lt_u32_e32 30, v0
	s_cbranch_execz .LBB59_313
; %bb.312:
	v_mov_b32_e32 v4, s42
	v_mov_b32_e32 v5, 0
	s_clause 0x3
	buffer_load_dword v1, v4, s[0:3], 0 offen
	buffer_load_dword v2, v4, s[0:3], 0 offen offset:4
	buffer_load_dword v3, v4, s[0:3], 0 offen offset:8
	;; [unrolled: 1-line block ×3, first 2 shown]
	buffer_store_dword v5, off, s[0:3], 0 offset:496
	buffer_store_dword v5, off, s[0:3], 0 offset:500
	;; [unrolled: 1-line block ×4, first 2 shown]
	s_waitcnt vmcnt(0)
	ds_write_b128 v69, v[1:4]
.LBB59_313:
	s_or_b32 exec_lo, exec_lo, s4
	s_waitcnt lgkmcnt(0)
	s_waitcnt_vscnt null, 0x0
	s_barrier
	buffer_gl0_inv
	s_clause 0x37
	buffer_load_dword v9, off, s[0:3], 0 offset:520
	buffer_load_dword v10, off, s[0:3], 0 offset:524
	;; [unrolled: 1-line block ×56, first 2 shown]
	v_mov_b32_e32 v11, 0
	s_mov_b32 s4, exec_lo
	ds_read_b128 v[5:8], v11 offset:1456
	s_clause 0x2
	buffer_load_dword v71, off, s[0:3], 0 offset:748
	buffer_load_dword v96, off, s[0:3], 0 offset:724
	;; [unrolled: 1-line block ×3, first 2 shown]
	ds_read_b128 v[12:15], v11 offset:1472
	s_clause 0x4
	buffer_load_dword v100, off, s[0:3], 0 offset:764
	buffer_load_dword v109, off, s[0:3], 0 offset:776
	;; [unrolled: 1-line block ×5, first 2 shown]
	ds_read_b128 v[16:19], v11 offset:1488
	s_waitcnt vmcnt(62) lgkmcnt(2)
	v_mul_f64 v[97:98], v[7:8], v[9:10]
	v_mul_f64 v[9:10], v[5:6], v[9:10]
	s_waitcnt vmcnt(60) lgkmcnt(1)
	v_mul_f64 v[112:113], v[14:15], v[20:21]
	v_mul_f64 v[20:21], v[12:13], v[20:21]
	;; [unrolled: 3-line block ×3, first 2 shown]
	v_fma_f64 v[97:98], v[5:6], v[22:23], -v[97:98]
	v_fma_f64 v[9:10], v[7:8], v[22:23], v[9:10]
	s_clause 0x2
	buffer_load_dword v110, off, s[0:3], 0 offset:780
	buffer_load_dword v23, off, s[0:3], 0 offset:756
	;; [unrolled: 1-line block ×3, first 2 shown]
	s_waitcnt vmcnt(57)
	v_fma_f64 v[12:13], v[12:13], v[1:2], -v[112:113]
	ds_read_b128 v[5:8], v11 offset:1504
	v_fma_f64 v[14:15], v[14:15], v[1:2], v[20:21]
	s_clause 0x4
	buffer_load_dword v21, off, s[0:3], 0 offset:796
	buffer_load_dword v113, off, s[0:3], 0 offset:808
	;; [unrolled: 1-line block ×5, first 2 shown]
	s_waitcnt vmcnt(56)
	v_fma_f64 v[16:17], v[16:17], v[30:31], -v[123:124]
	ds_read_b128 v[1:4], v11 offset:1520
	v_fma_f64 v[18:19], v[18:19], v[30:31], v[114:115]
	s_clause 0x2
	buffer_load_dword v114, off, s[0:3], 0 offset:812
	buffer_load_dword v31, off, s[0:3], 0 offset:788
	;; [unrolled: 1-line block ×3, first 2 shown]
	v_add_f64 v[97:98], v[97:98], 0
	v_add_f64 v[9:10], v[9:10], 0
	s_waitcnt lgkmcnt(1)
	v_mul_f64 v[126:127], v[5:6], v[24:25]
	v_mul_f64 v[24:25], v[7:8], v[24:25]
	s_waitcnt vmcnt(58) lgkmcnt(0)
	v_mul_f64 v[115:116], v[1:2], v[26:27]
	v_mul_f64 v[26:27], v[3:4], v[26:27]
	v_add_f64 v[97:98], v[97:98], v[12:13]
	v_add_f64 v[9:10], v[9:10], v[14:15]
	ds_read_b128 v[12:15], v11 offset:1536
	s_waitcnt vmcnt(56)
	v_fma_f64 v[24:25], v[5:6], v[32:33], -v[24:25]
	v_fma_f64 v[32:33], v[7:8], v[32:33], v[126:127]
	s_waitcnt vmcnt(51)
	v_fma_f64 v[26:27], v[1:2], v[28:29], -v[26:27]
	s_waitcnt lgkmcnt(0)
	v_mul_f64 v[127:128], v[12:13], v[34:35]
	v_add_f64 v[16:17], v[97:98], v[16:17]
	v_add_f64 v[9:10], v[9:10], v[18:19]
	s_clause 0x4
	buffer_load_dword v19, off, s[0:3], 0 offset:828
	buffer_load_dword v97, off, s[0:3], 0 offset:840
	;; [unrolled: 1-line block ×5, first 2 shown]
	v_mul_f64 v[34:35], v[14:15], v[34:35]
	ds_read_b128 v[5:8], v11 offset:1552
	v_add_f64 v[16:17], v[16:17], v[24:25]
	v_fma_f64 v[24:25], v[3:4], v[28:29], v[115:116]
	v_add_f64 v[9:10], v[9:10], v[32:33]
	s_clause 0x2
	buffer_load_dword v98, off, s[0:3], 0 offset:844
	buffer_load_dword v29, off, s[0:3], 0 offset:820
	;; [unrolled: 1-line block ×3, first 2 shown]
	s_waitcnt vmcnt(58) lgkmcnt(0)
	v_mul_f64 v[32:33], v[5:6], v[36:37]
	v_mul_f64 v[36:37], v[7:8], v[36:37]
	s_waitcnt vmcnt(56)
	v_fma_f64 v[34:35], v[12:13], v[40:41], -v[34:35]
	ds_read_b128 v[1:4], v11 offset:1568
	v_add_f64 v[16:17], v[16:17], v[26:27]
	v_fma_f64 v[26:27], v[14:15], v[40:41], v[127:128]
	v_add_f64 v[9:10], v[9:10], v[24:25]
	s_clause 0x4
	buffer_load_dword v25, off, s[0:3], 0 offset:860
	buffer_load_dword v40, off, s[0:3], 0 offset:872
	buffer_load_dword v115, off, s[0:3], 0 offset:864
	buffer_load_dword v24, off, s[0:3], 0 offset:856
	buffer_load_dword v124, off, s[0:3], 0 offset:836
	ds_read_b128 v[12:15], v11 offset:1584
	s_waitcnt vmcnt(57) lgkmcnt(1)
	v_mul_f64 v[127:128], v[1:2], v[42:43]
	v_mul_f64 v[42:43], v[3:4], v[42:43]
	s_waitcnt vmcnt(56)
	v_fma_f64 v[36:37], v[5:6], v[38:39], -v[36:37]
	v_fma_f64 v[32:33], v[7:8], v[38:39], v[32:33]
	v_add_f64 v[16:17], v[16:17], v[34:35]
	v_add_f64 v[9:10], v[9:10], v[26:27]
	s_clause 0x2
	buffer_load_dword v41, off, s[0:3], 0 offset:876
	buffer_load_dword v27, off, s[0:3], 0 offset:852
	;; [unrolled: 1-line block ×3, first 2 shown]
	s_waitcnt vmcnt(58) lgkmcnt(0)
	v_mul_f64 v[38:39], v[14:15], v[44:45]
	ds_read_b128 v[5:8], v11 offset:1600
	s_waitcnt vmcnt(56)
	v_fma_f64 v[42:43], v[1:2], v[48:49], -v[42:43]
	v_mul_f64 v[34:35], v[12:13], v[44:45]
	v_add_f64 v[16:17], v[16:17], v[36:37]
	v_fma_f64 v[36:37], v[3:4], v[48:49], v[127:128]
	v_add_f64 v[9:10], v[9:10], v[32:33]
	s_clause 0x4
	buffer_load_dword v33, off, s[0:3], 0 offset:892
	buffer_load_dword v44, off, s[0:3], 0 offset:904
	buffer_load_dword v48, off, s[0:3], 0 offset:896
	buffer_load_dword v32, off, s[0:3], 0 offset:888
	buffer_load_dword v116, off, s[0:3], 0 offset:868
	s_waitcnt vmcnt(57) lgkmcnt(0)
	v_mul_f64 v[127:128], v[5:6], v[50:51]
	v_mul_f64 v[49:50], v[7:8], v[50:51]
	s_waitcnt vmcnt(56)
	v_fma_f64 v[38:39], v[12:13], v[46:47], -v[38:39]
	ds_read_b128 v[1:4], v11 offset:1616
	v_fma_f64 v[34:35], v[14:15], v[46:47], v[34:35]
	v_add_f64 v[16:17], v[16:17], v[42:43]
	v_add_f64 v[9:10], v[9:10], v[36:37]
	s_clause 0x2
	buffer_load_dword v45, off, s[0:3], 0 offset:908
	buffer_load_dword v37, off, s[0:3], 0 offset:884
	buffer_load_dword v36, off, s[0:3], 0 offset:880
	ds_read_b128 v[12:15], v11 offset:1632
	s_waitcnt vmcnt(58) lgkmcnt(1)
	v_mul_f64 v[46:47], v[3:4], v[52:53]
	s_waitcnt vmcnt(56)
	v_fma_f64 v[50:51], v[5:6], v[56:57], -v[49:50]
	v_mul_f64 v[42:43], v[1:2], v[52:53]
	v_add_f64 v[16:17], v[16:17], v[38:39]
	v_fma_f64 v[38:39], v[7:8], v[56:57], v[127:128]
	v_add_f64 v[9:10], v[9:10], v[34:35]
	s_clause 0x4
	buffer_load_dword v35, off, s[0:3], 0 offset:924
	buffer_load_dword v52, off, s[0:3], 0 offset:936
	buffer_load_dword v56, off, s[0:3], 0 offset:928
	buffer_load_dword v34, off, s[0:3], 0 offset:920
	buffer_load_dword v49, off, s[0:3], 0 offset:900
	s_waitcnt vmcnt(57) lgkmcnt(0)
	v_mul_f64 v[127:128], v[12:13], v[58:59]
	v_mul_f64 v[57:58], v[14:15], v[58:59]
	s_waitcnt vmcnt(56)
	v_fma_f64 v[46:47], v[1:2], v[54:55], -v[46:47]
	ds_read_b128 v[5:8], v11 offset:1648
	v_fma_f64 v[42:43], v[3:4], v[54:55], v[42:43]
	v_add_f64 v[16:17], v[16:17], v[50:51]
	v_add_f64 v[9:10], v[9:10], v[38:39]
	s_clause 0x2
	buffer_load_dword v53, off, s[0:3], 0 offset:940
	buffer_load_dword v39, off, s[0:3], 0 offset:916
	buffer_load_dword v38, off, s[0:3], 0 offset:912
	ds_read_b128 v[1:4], v11 offset:1664
	s_waitcnt vmcnt(58) lgkmcnt(1)
	v_mul_f64 v[54:55], v[7:8], v[60:61]
	;; [unrolled: 28-line block ×3, first 2 shown]
	s_waitcnt vmcnt(56)
	v_fma_f64 v[66:67], v[1:2], v[95:96], -v[65:66]
	v_mul_f64 v[58:59], v[12:13], v[70:71]
	buffer_load_dword v65, off, s[0:3], 0 offset:964
	v_add_f64 v[16:17], v[16:17], v[54:55]
	v_fma_f64 v[54:55], v[3:4], v[95:96], v[127:128]
	v_add_f64 v[9:10], v[9:10], v[50:51]
	ds_read_b128 v[1:4], v11 offset:1712
	s_waitcnt vmcnt(53) lgkmcnt(1)
	v_mul_f64 v[70:71], v[7:8], v[99:100]
	s_waitcnt vmcnt(52)
	v_fma_f64 v[62:63], v[12:13], v[93:94], -v[62:63]
	v_mul_f64 v[50:51], v[5:6], v[99:100]
	v_fma_f64 v[58:59], v[14:15], v[93:94], v[58:59]
	ds_read_b128 v[12:15], v11 offset:1728
	v_add_f64 v[16:17], v[16:17], v[66:67]
	v_add_f64 v[9:10], v[9:10], v[54:55]
	s_waitcnt vmcnt(51) lgkmcnt(1)
	v_mul_f64 v[66:67], v[3:4], v[109:110]
	v_mul_f64 v[54:55], v[1:2], v[109:110]
	s_waitcnt vmcnt(49)
	v_fma_f64 v[70:71], v[5:6], v[22:23], -v[70:71]
	v_fma_f64 v[22:23], v[7:8], v[22:23], v[50:51]
	v_add_f64 v[16:17], v[16:17], v[62:63]
	s_waitcnt vmcnt(45) lgkmcnt(0)
	v_mul_f64 v[62:63], v[12:13], v[20:21]
	v_add_f64 v[9:10], v[9:10], v[58:59]
	s_clause 0x3
	buffer_load_dword v50, off, s[0:3], 0 offset:496
	buffer_load_dword v51, off, s[0:3], 0 offset:500
	;; [unrolled: 1-line block ×4, first 2 shown]
	v_mul_f64 v[20:21], v[14:15], v[20:21]
	ds_read_b128 v[5:8], v11 offset:1744
	s_waitcnt vmcnt(48)
	v_fma_f64 v[66:67], v[1:2], v[111:112], -v[66:67]
	v_fma_f64 v[54:55], v[3:4], v[111:112], v[54:55]
	ds_read_b128 v[1:4], v11 offset:1760
	v_add_f64 v[16:17], v[16:17], v[70:71]
	v_add_f64 v[9:10], v[9:10], v[22:23]
	s_waitcnt vmcnt(47) lgkmcnt(1)
	v_mul_f64 v[70:71], v[7:8], v[113:114]
	s_waitcnt vmcnt(45)
	v_fma_f64 v[20:21], v[12:13], v[30:31], -v[20:21]
	v_mul_f64 v[22:23], v[5:6], v[113:114]
	v_fma_f64 v[30:31], v[14:15], v[30:31], v[62:63]
	ds_read_b128 v[12:15], v11 offset:1776
	v_add_f64 v[16:17], v[16:17], v[66:67]
	v_add_f64 v[9:10], v[9:10], v[54:55]
	s_waitcnt vmcnt(41) lgkmcnt(1)
	v_mul_f64 v[54:55], v[1:2], v[18:19]
	v_mul_f64 v[18:19], v[3:4], v[18:19]
	s_waitcnt vmcnt(40)
	v_fma_f64 v[62:63], v[5:6], v[125:126], -v[70:71]
	v_add_f64 v[16:17], v[16:17], v[20:21]
	v_fma_f64 v[20:21], v[7:8], v[125:126], v[22:23]
	v_add_f64 v[9:10], v[9:10], v[30:31]
	ds_read_b128 v[5:8], v11 offset:1792
	s_waitcnt vmcnt(39) lgkmcnt(1)
	v_mul_f64 v[30:31], v[14:15], v[97:98]
	v_mul_f64 v[22:23], v[12:13], v[97:98]
	s_waitcnt vmcnt(37)
	v_fma_f64 v[18:19], v[1:2], v[28:29], -v[18:19]
	v_fma_f64 v[28:29], v[3:4], v[28:29], v[54:55]
	ds_read_b128 v[1:4], v11 offset:1808
	v_add_f64 v[16:17], v[16:17], v[62:63]
	v_add_f64 v[9:10], v[9:10], v[20:21]
	s_waitcnt vmcnt(33) lgkmcnt(1)
	v_mul_f64 v[20:21], v[5:6], v[24:25]
	v_mul_f64 v[24:25], v[7:8], v[24:25]
	s_waitcnt vmcnt(32)
	v_fma_f64 v[30:31], v[12:13], v[123:124], -v[30:31]
	v_add_f64 v[16:17], v[16:17], v[18:19]
	v_fma_f64 v[18:19], v[14:15], v[123:124], v[22:23]
	v_add_f64 v[9:10], v[9:10], v[28:29]
	ds_read_b128 v[12:15], v11 offset:1824
	s_waitcnt vmcnt(31) lgkmcnt(1)
	v_mul_f64 v[28:29], v[3:4], v[40:41]
	v_mul_f64 v[22:23], v[1:2], v[40:41]
	s_waitcnt vmcnt(29)
	v_fma_f64 v[24:25], v[5:6], v[26:27], -v[24:25]
	v_fma_f64 v[20:21], v[7:8], v[26:27], v[20:21]
	ds_read_b128 v[5:8], v11 offset:1840
	v_add_f64 v[16:17], v[16:17], v[30:31]
	v_add_f64 v[9:10], v[9:10], v[18:19]
	s_waitcnt vmcnt(25) lgkmcnt(1)
	v_mul_f64 v[26:27], v[14:15], v[32:33]
	s_waitcnt vmcnt(24)
	v_fma_f64 v[28:29], v[1:2], v[115:116], -v[28:29]
	v_mul_f64 v[18:19], v[12:13], v[32:33]
	v_fma_f64 v[22:23], v[3:4], v[115:116], v[22:23]
	ds_read_b128 v[1:4], v11 offset:1856
	v_add_f64 v[16:17], v[16:17], v[24:25]
	v_add_f64 v[9:10], v[9:10], v[20:21]
	s_waitcnt vmcnt(23) lgkmcnt(1)
	v_mul_f64 v[24:25], v[7:8], v[44:45]
	v_mul_f64 v[20:21], v[5:6], v[44:45]
	s_waitcnt vmcnt(21)
	v_fma_f64 v[26:27], v[12:13], v[36:37], -v[26:27]
	v_fma_f64 v[18:19], v[14:15], v[36:37], v[18:19]
	ds_read_b128 v[12:15], v11 offset:1872
	v_add_f64 v[16:17], v[16:17], v[28:29]
	v_add_f64 v[9:10], v[9:10], v[22:23]
	s_waitcnt vmcnt(17) lgkmcnt(1)
	v_mul_f64 v[28:29], v[3:4], v[34:35]
	s_waitcnt vmcnt(16)
	v_fma_f64 v[24:25], v[5:6], v[48:49], -v[24:25]
	v_mul_f64 v[22:23], v[1:2], v[34:35]
	v_fma_f64 v[20:21], v[7:8], v[48:49], v[20:21]
	ds_read_b128 v[5:8], v11 offset:1888
	v_add_f64 v[16:17], v[16:17], v[26:27]
	v_add_f64 v[9:10], v[9:10], v[18:19]
	s_waitcnt vmcnt(15) lgkmcnt(1)
	v_mul_f64 v[26:27], v[14:15], v[52:53]
	v_mul_f64 v[18:19], v[12:13], v[52:53]
	s_waitcnt vmcnt(13)
	v_fma_f64 v[28:29], v[1:2], v[38:39], -v[28:29]
	v_fma_f64 v[22:23], v[3:4], v[38:39], v[22:23]
	ds_read_b128 v[1:4], v11 offset:1904
	v_add_f64 v[16:17], v[16:17], v[24:25]
	v_add_f64 v[9:10], v[9:10], v[20:21]
	s_waitcnt vmcnt(9) lgkmcnt(1)
	v_mul_f64 v[24:25], v[7:8], v[42:43]
	s_waitcnt vmcnt(8)
	v_fma_f64 v[12:13], v[12:13], v[56:57], -v[26:27]
	v_mul_f64 v[20:21], v[5:6], v[42:43]
	v_fma_f64 v[14:15], v[14:15], v[56:57], v[18:19]
	v_add_f64 v[16:17], v[16:17], v[28:29]
	v_add_f64 v[9:10], v[9:10], v[22:23]
	s_waitcnt vmcnt(7) lgkmcnt(0)
	v_mul_f64 v[22:23], v[3:4], v[60:61]
	v_mul_f64 v[18:19], v[1:2], v[60:61]
	s_waitcnt vmcnt(5)
	v_fma_f64 v[5:6], v[5:6], v[46:47], -v[24:25]
	v_fma_f64 v[7:8], v[7:8], v[46:47], v[20:21]
	v_add_f64 v[12:13], v[16:17], v[12:13]
	v_add_f64 v[9:10], v[9:10], v[14:15]
	s_waitcnt vmcnt(4)
	v_fma_f64 v[1:2], v[1:2], v[64:65], -v[22:23]
	v_fma_f64 v[3:4], v[3:4], v[64:65], v[18:19]
	v_add_f64 v[5:6], v[12:13], v[5:6]
	v_add_f64 v[7:8], v[9:10], v[7:8]
	;; [unrolled: 1-line block ×4, first 2 shown]
	s_waitcnt vmcnt(2)
	v_add_f64 v[1:2], v[50:51], -v[1:2]
	s_waitcnt vmcnt(0)
	v_add_f64 v[3:4], v[58:59], -v[3:4]
	buffer_store_dword v2, off, s[0:3], 0 offset:500
	buffer_store_dword v1, off, s[0:3], 0 offset:496
	;; [unrolled: 1-line block ×4, first 2 shown]
	v_cmpx_lt_u32_e32 29, v0
	s_cbranch_execz .LBB59_315
; %bb.314:
	v_mov_b32_e32 v4, s43
	s_clause 0x3
	buffer_load_dword v1, v4, s[0:3], 0 offen
	buffer_load_dword v2, v4, s[0:3], 0 offen offset:4
	buffer_load_dword v3, v4, s[0:3], 0 offen offset:8
	;; [unrolled: 1-line block ×3, first 2 shown]
	buffer_store_dword v11, off, s[0:3], 0 offset:480
	buffer_store_dword v11, off, s[0:3], 0 offset:484
	;; [unrolled: 1-line block ×4, first 2 shown]
	s_waitcnt vmcnt(0)
	ds_write_b128 v69, v[1:4]
.LBB59_315:
	s_or_b32 exec_lo, exec_lo, s4
	s_waitcnt lgkmcnt(0)
	s_waitcnt_vscnt null, 0x0
	s_barrier
	buffer_gl0_inv
	s_clause 0x37
	buffer_load_dword v9, off, s[0:3], 0 offset:504
	buffer_load_dword v10, off, s[0:3], 0 offset:508
	;; [unrolled: 1-line block ×56, first 2 shown]
	ds_read_b128 v[12:15], v11 offset:1440
	s_clause 0x2
	buffer_load_dword v71, off, s[0:3], 0 offset:732
	buffer_load_dword v96, off, s[0:3], 0 offset:708
	buffer_load_dword v95, off, s[0:3], 0 offset:704
	ds_read_b128 v[16:19], v11 offset:1456
	s_clause 0x4
	buffer_load_dword v100, off, s[0:3], 0 offset:748
	buffer_load_dword v109, off, s[0:3], 0 offset:760
	;; [unrolled: 1-line block ×5, first 2 shown]
	ds_read_b128 v[20:23], v11 offset:1472
	s_clause 0x2
	buffer_load_dword v110, off, s[0:3], 0 offset:764
	buffer_load_dword v115, off, s[0:3], 0 offset:740
	;; [unrolled: 1-line block ×3, first 2 shown]
	s_mov_b32 s4, exec_lo
	s_waitcnt vmcnt(62) lgkmcnt(2)
	v_mul_f64 v[97:98], v[14:15], v[9:10]
	v_mul_f64 v[9:10], v[12:13], v[9:10]
	s_waitcnt lgkmcnt(1)
	v_mul_f64 v[112:113], v[18:19], v[5:6]
	s_waitcnt vmcnt(59) lgkmcnt(0)
	v_mul_f64 v[123:124], v[22:23], v[3:4]
	v_fma_f64 v[12:13], v[12:13], v[7:8], -v[97:98]
	v_mul_f64 v[97:98], v[16:17], v[5:6]
	v_fma_f64 v[9:10], v[14:15], v[7:8], v[9:10]
	s_waitcnt vmcnt(57)
	v_fma_f64 v[16:17], v[16:17], v[1:2], -v[112:113]
	ds_read_b128 v[5:8], v11 offset:1488
	v_mul_f64 v[14:15], v[20:21], v[3:4]
	s_waitcnt vmcnt(51)
	v_fma_f64 v[20:21], v[20:21], v[30:31], -v[123:124]
	v_add_f64 v[12:13], v[12:13], 0
	v_fma_f64 v[18:19], v[18:19], v[1:2], v[97:98]
	v_add_f64 v[9:10], v[9:10], 0
	s_clause 0x4
	buffer_load_dword v98, off, s[0:3], 0 offset:780
	buffer_load_dword v125, off, s[0:3], 0 offset:792
	;; [unrolled: 1-line block ×5, first 2 shown]
	s_waitcnt lgkmcnt(0)
	v_mul_f64 v[128:129], v[5:6], v[24:25]
	v_mul_f64 v[24:25], v[7:8], v[24:25]
	ds_read_b128 v[1:4], v11 offset:1504
	v_fma_f64 v[22:23], v[22:23], v[30:31], v[14:15]
	v_add_f64 v[16:17], v[12:13], v[16:17]
	v_add_f64 v[9:10], v[9:10], v[18:19]
	s_clause 0x2
	buffer_load_dword v126, off, s[0:3], 0 offset:796
	buffer_load_dword v19, off, s[0:3], 0 offset:772
	;; [unrolled: 1-line block ×3, first 2 shown]
	s_waitcnt vmcnt(58) lgkmcnt(0)
	v_mul_f64 v[30:31], v[1:2], v[26:27]
	v_mul_f64 v[26:27], v[3:4], v[26:27]
	s_waitcnt vmcnt(56)
	v_fma_f64 v[24:25], v[5:6], v[32:33], -v[24:25]
	ds_read_b128 v[12:15], v11 offset:1520
	v_add_f64 v[16:17], v[16:17], v[20:21]
	v_fma_f64 v[20:21], v[7:8], v[32:33], v[128:129]
	v_add_f64 v[9:10], v[9:10], v[22:23]
	s_clause 0x4
	buffer_load_dword v23, off, s[0:3], 0 offset:812
	buffer_load_dword v32, off, s[0:3], 0 offset:824
	;; [unrolled: 1-line block ×5, first 2 shown]
	ds_read_b128 v[5:8], v11 offset:1536
	s_waitcnt vmcnt(57) lgkmcnt(1)
	v_mul_f64 v[129:130], v[12:13], v[34:35]
	v_mul_f64 v[34:35], v[14:15], v[34:35]
	s_waitcnt vmcnt(56)
	v_fma_f64 v[26:27], v[1:2], v[28:29], -v[26:27]
	v_add_f64 v[16:17], v[16:17], v[24:25]
	v_fma_f64 v[24:25], v[3:4], v[28:29], v[30:31]
	v_add_f64 v[9:10], v[9:10], v[20:21]
	s_clause 0x2
	buffer_load_dword v33, off, s[0:3], 0 offset:828
	buffer_load_dword v21, off, s[0:3], 0 offset:804
	;; [unrolled: 1-line block ×3, first 2 shown]
	s_waitcnt vmcnt(58) lgkmcnt(0)
	v_mul_f64 v[30:31], v[7:8], v[36:37]
	ds_read_b128 v[1:4], v11 offset:1552
	s_waitcnt vmcnt(56)
	v_fma_f64 v[34:35], v[12:13], v[40:41], -v[34:35]
	v_mul_f64 v[28:29], v[5:6], v[36:37]
	v_add_f64 v[16:17], v[16:17], v[26:27]
	v_fma_f64 v[26:27], v[14:15], v[40:41], v[129:130]
	v_add_f64 v[9:10], v[9:10], v[24:25]
	s_clause 0x4
	buffer_load_dword v25, off, s[0:3], 0 offset:844
	buffer_load_dword v36, off, s[0:3], 0 offset:856
	buffer_load_dword v40, off, s[0:3], 0 offset:848
	buffer_load_dword v24, off, s[0:3], 0 offset:840
	buffer_load_dword v124, off, s[0:3], 0 offset:820
	s_waitcnt vmcnt(57) lgkmcnt(0)
	v_mul_f64 v[129:130], v[1:2], v[42:43]
	v_mul_f64 v[41:42], v[3:4], v[42:43]
	s_waitcnt vmcnt(56)
	v_fma_f64 v[30:31], v[5:6], v[38:39], -v[30:31]
	ds_read_b128 v[12:15], v11 offset:1568
	v_fma_f64 v[28:29], v[7:8], v[38:39], v[28:29]
	v_add_f64 v[16:17], v[16:17], v[34:35]
	v_add_f64 v[9:10], v[9:10], v[26:27]
	s_clause 0x2
	buffer_load_dword v37, off, s[0:3], 0 offset:860
	buffer_load_dword v27, off, s[0:3], 0 offset:836
	buffer_load_dword v26, off, s[0:3], 0 offset:832
	ds_read_b128 v[5:8], v11 offset:1584
	s_waitcnt vmcnt(58) lgkmcnt(1)
	v_mul_f64 v[38:39], v[14:15], v[44:45]
	s_waitcnt vmcnt(56)
	v_fma_f64 v[42:43], v[1:2], v[48:49], -v[41:42]
	v_mul_f64 v[34:35], v[12:13], v[44:45]
	v_add_f64 v[16:17], v[16:17], v[30:31]
	v_fma_f64 v[30:31], v[3:4], v[48:49], v[129:130]
	v_add_f64 v[9:10], v[9:10], v[28:29]
	s_clause 0x4
	buffer_load_dword v29, off, s[0:3], 0 offset:876
	buffer_load_dword v44, off, s[0:3], 0 offset:888
	buffer_load_dword v48, off, s[0:3], 0 offset:880
	buffer_load_dword v28, off, s[0:3], 0 offset:872
	buffer_load_dword v41, off, s[0:3], 0 offset:852
	s_waitcnt vmcnt(57) lgkmcnt(0)
	v_mul_f64 v[129:130], v[5:6], v[50:51]
	v_mul_f64 v[49:50], v[7:8], v[50:51]
	s_waitcnt vmcnt(56)
	v_fma_f64 v[38:39], v[12:13], v[46:47], -v[38:39]
	ds_read_b128 v[1:4], v11 offset:1600
	v_fma_f64 v[34:35], v[14:15], v[46:47], v[34:35]
	v_add_f64 v[16:17], v[16:17], v[42:43]
	v_add_f64 v[9:10], v[9:10], v[30:31]
	s_clause 0x2
	buffer_load_dword v45, off, s[0:3], 0 offset:892
	buffer_load_dword v31, off, s[0:3], 0 offset:868
	buffer_load_dword v30, off, s[0:3], 0 offset:864
	ds_read_b128 v[12:15], v11 offset:1616
	s_waitcnt vmcnt(58) lgkmcnt(1)
	v_mul_f64 v[46:47], v[3:4], v[52:53]
	;; [unrolled: 28-line block ×4, first 2 shown]
	s_waitcnt vmcnt(56)
	v_fma_f64 v[66:67], v[1:2], v[95:96], -v[65:66]
	v_mul_f64 v[58:59], v[12:13], v[70:71]
	v_add_f64 v[16:17], v[16:17], v[54:55]
	v_fma_f64 v[54:55], v[3:4], v[95:96], v[129:130]
	v_add_f64 v[9:10], v[9:10], v[50:51]
	s_clause 0x2
	buffer_load_dword v51, off, s[0:3], 0 offset:972
	buffer_load_dword v50, off, s[0:3], 0 offset:968
	;; [unrolled: 1-line block ×3, first 2 shown]
	s_waitcnt vmcnt(55) lgkmcnt(0)
	v_mul_f64 v[95:96], v[7:8], v[99:100]
	s_waitcnt vmcnt(54)
	v_fma_f64 v[62:63], v[12:13], v[93:94], -v[62:63]
	ds_read_b128 v[1:4], v11 offset:1696
	v_mul_f64 v[70:71], v[5:6], v[99:100]
	v_fma_f64 v[58:59], v[14:15], v[93:94], v[58:59]
	v_add_f64 v[16:17], v[16:17], v[66:67]
	v_add_f64 v[9:10], v[9:10], v[54:55]
	s_clause 0x1
	buffer_load_dword v55, off, s[0:3], 0 offset:964
	buffer_load_dword v54, off, s[0:3], 0 offset:960
	s_waitcnt vmcnt(55) lgkmcnt(0)
	v_mul_f64 v[93:94], v[3:4], v[109:110]
	s_waitcnt vmcnt(53)
	v_fma_f64 v[95:96], v[5:6], v[114:115], -v[95:96]
	ds_read_b128 v[12:15], v11 offset:1712
	v_mul_f64 v[66:67], v[1:2], v[109:110]
	v_add_f64 v[16:17], v[16:17], v[62:63]
	v_fma_f64 v[62:63], v[7:8], v[114:115], v[70:71]
	v_add_f64 v[9:10], v[9:10], v[58:59]
	ds_read_b128 v[5:8], v11 offset:1728
	s_waitcnt vmcnt(49) lgkmcnt(1)
	v_mul_f64 v[70:71], v[14:15], v[97:98]
	s_waitcnt vmcnt(48)
	v_fma_f64 v[93:94], v[1:2], v[111:112], -v[93:94]
	v_mul_f64 v[58:59], v[12:13], v[97:98]
	v_fma_f64 v[66:67], v[3:4], v[111:112], v[66:67]
	v_add_f64 v[16:17], v[16:17], v[95:96]
	v_add_f64 v[9:10], v[9:10], v[62:63]
	s_clause 0x3
	buffer_load_dword v62, off, s[0:3], 0 offset:480
	buffer_load_dword v63, off, s[0:3], 0 offset:484
	;; [unrolled: 1-line block ×4, first 2 shown]
	ds_read_b128 v[1:4], v11 offset:1744
	s_waitcnt vmcnt(51) lgkmcnt(1)
	v_mul_f64 v[99:100], v[7:8], v[125:126]
	v_mul_f64 v[97:98], v[5:6], v[125:126]
	s_waitcnt vmcnt(49)
	v_fma_f64 v[70:71], v[12:13], v[18:19], -v[70:71]
	v_fma_f64 v[18:19], v[14:15], v[18:19], v[58:59]
	ds_read_b128 v[12:15], v11 offset:1760
	v_add_f64 v[16:17], v[16:17], v[93:94]
	v_add_f64 v[9:10], v[9:10], v[66:67]
	s_waitcnt vmcnt(45) lgkmcnt(1)
	v_mul_f64 v[58:59], v[1:2], v[22:23]
	v_mul_f64 v[22:23], v[3:4], v[22:23]
	s_waitcnt vmcnt(44)
	v_fma_f64 v[66:67], v[5:6], v[127:128], -v[99:100]
	v_add_f64 v[16:17], v[16:17], v[70:71]
	v_fma_f64 v[70:71], v[7:8], v[127:128], v[97:98]
	v_add_f64 v[9:10], v[9:10], v[18:19]
	ds_read_b128 v[5:8], v11 offset:1776
	s_waitcnt vmcnt(43) lgkmcnt(1)
	v_mul_f64 v[18:19], v[12:13], v[32:33]
	v_mul_f64 v[32:33], v[14:15], v[32:33]
	s_waitcnt vmcnt(41)
	v_fma_f64 v[22:23], v[1:2], v[20:21], -v[22:23]
	v_fma_f64 v[20:21], v[3:4], v[20:21], v[58:59]
	ds_read_b128 v[1:4], v11 offset:1792
	v_add_f64 v[16:17], v[16:17], v[66:67]
	v_add_f64 v[9:10], v[9:10], v[70:71]
	s_waitcnt vmcnt(37) lgkmcnt(1)
	v_mul_f64 v[58:59], v[5:6], v[24:25]
	v_mul_f64 v[24:25], v[7:8], v[24:25]
	s_waitcnt vmcnt(36)
	v_fma_f64 v[32:33], v[12:13], v[123:124], -v[32:33]
	v_fma_f64 v[18:19], v[14:15], v[123:124], v[18:19]
	ds_read_b128 v[12:15], v11 offset:1808
	v_add_f64 v[16:17], v[16:17], v[22:23]
	v_add_f64 v[9:10], v[9:10], v[20:21]
	;; [unrolled: 9-line block ×5, first 2 shown]
	s_waitcnt vmcnt(21) lgkmcnt(1)
	v_mul_f64 v[22:23], v[3:4], v[34:35]
	s_waitcnt vmcnt(20)
	v_fma_f64 v[26:27], v[5:6], v[48:49], -v[26:27]
	v_mul_f64 v[20:21], v[1:2], v[34:35]
	v_fma_f64 v[24:25], v[7:8], v[48:49], v[24:25]
	ds_read_b128 v[5:8], v11 offset:1872
	v_add_f64 v[16:17], v[16:17], v[28:29]
	v_add_f64 v[9:10], v[9:10], v[18:19]
	s_waitcnt vmcnt(19) lgkmcnt(1)
	v_mul_f64 v[28:29], v[14:15], v[52:53]
	v_mul_f64 v[18:19], v[12:13], v[52:53]
	s_waitcnt vmcnt(17)
	v_fma_f64 v[22:23], v[1:2], v[38:39], -v[22:23]
	v_fma_f64 v[20:21], v[3:4], v[38:39], v[20:21]
	ds_read_b128 v[1:4], v11 offset:1888
	v_add_f64 v[16:17], v[16:17], v[26:27]
	v_add_f64 v[9:10], v[9:10], v[24:25]
	s_waitcnt vmcnt(13) lgkmcnt(1)
	v_mul_f64 v[26:27], v[7:8], v[42:43]
	s_waitcnt vmcnt(12)
	v_fma_f64 v[28:29], v[12:13], v[56:57], -v[28:29]
	v_mul_f64 v[24:25], v[5:6], v[42:43]
	v_fma_f64 v[13:14], v[14:15], v[56:57], v[18:19]
	v_add_f64 v[16:17], v[16:17], v[22:23]
	v_add_f64 v[18:19], v[9:10], v[20:21]
	ds_read_b128 v[9:12], v11 offset:1904
	s_waitcnt vmcnt(11) lgkmcnt(1)
	v_mul_f64 v[22:23], v[3:4], v[60:61]
	v_mul_f64 v[20:21], v[1:2], v[60:61]
	s_waitcnt vmcnt(9)
	v_fma_f64 v[5:6], v[5:6], v[46:47], -v[26:27]
	v_fma_f64 v[7:8], v[7:8], v[46:47], v[24:25]
	v_add_f64 v[15:16], v[16:17], v[28:29]
	v_add_f64 v[13:14], v[18:19], v[13:14]
	s_waitcnt vmcnt(7) lgkmcnt(0)
	v_mul_f64 v[24:25], v[11:12], v[50:51]
	s_waitcnt vmcnt(6)
	v_fma_f64 v[1:2], v[1:2], v[64:65], -v[22:23]
	v_mul_f64 v[17:18], v[9:10], v[50:51]
	v_fma_f64 v[3:4], v[3:4], v[64:65], v[20:21]
	v_add_f64 v[5:6], v[15:16], v[5:6]
	v_add_f64 v[7:8], v[13:14], v[7:8]
	s_waitcnt vmcnt(4)
	v_fma_f64 v[9:10], v[9:10], v[54:55], -v[24:25]
	v_add_f64 v[1:2], v[5:6], v[1:2]
	v_fma_f64 v[5:6], v[11:12], v[54:55], v[17:18]
	v_add_f64 v[3:4], v[7:8], v[3:4]
	v_add_f64 v[1:2], v[1:2], v[9:10]
	;; [unrolled: 1-line block ×3, first 2 shown]
	s_waitcnt vmcnt(2)
	v_add_f64 v[1:2], v[62:63], -v[1:2]
	s_waitcnt vmcnt(0)
	v_add_f64 v[3:4], v[95:96], -v[3:4]
	buffer_store_dword v2, off, s[0:3], 0 offset:484
	buffer_store_dword v1, off, s[0:3], 0 offset:480
	;; [unrolled: 1-line block ×4, first 2 shown]
	v_cmpx_lt_u32_e32 28, v0
	s_cbranch_execz .LBB59_317
; %bb.316:
	v_mov_b32_e32 v4, s44
	v_mov_b32_e32 v5, 0
	s_clause 0x3
	buffer_load_dword v1, v4, s[0:3], 0 offen
	buffer_load_dword v2, v4, s[0:3], 0 offen offset:4
	buffer_load_dword v3, v4, s[0:3], 0 offen offset:8
	;; [unrolled: 1-line block ×3, first 2 shown]
	buffer_store_dword v5, off, s[0:3], 0 offset:464
	buffer_store_dword v5, off, s[0:3], 0 offset:468
	;; [unrolled: 1-line block ×4, first 2 shown]
	s_waitcnt vmcnt(0)
	ds_write_b128 v69, v[1:4]
.LBB59_317:
	s_or_b32 exec_lo, exec_lo, s4
	s_waitcnt lgkmcnt(0)
	s_waitcnt_vscnt null, 0x0
	s_barrier
	buffer_gl0_inv
	s_clause 0x37
	buffer_load_dword v9, off, s[0:3], 0 offset:488
	buffer_load_dword v10, off, s[0:3], 0 offset:492
	;; [unrolled: 1-line block ×56, first 2 shown]
	v_mov_b32_e32 v29, 0
	s_mov_b32 s4, exec_lo
	ds_read_b128 v[17:20], v29 offset:1424
	s_clause 0x2
	buffer_load_dword v71, off, s[0:3], 0 offset:716
	buffer_load_dword v96, off, s[0:3], 0 offset:692
	;; [unrolled: 1-line block ×3, first 2 shown]
	ds_read_b128 v[21:24], v29 offset:1440
	s_clause 0x4
	buffer_load_dword v100, off, s[0:3], 0 offset:732
	buffer_load_dword v109, off, s[0:3], 0 offset:744
	;; [unrolled: 1-line block ×5, first 2 shown]
	ds_read_b128 v[25:28], v29 offset:1456
	s_clause 0x2
	buffer_load_dword v110, off, s[0:3], 0 offset:748
	buffer_load_dword v115, off, s[0:3], 0 offset:724
	;; [unrolled: 1-line block ×3, first 2 shown]
	s_waitcnt vmcnt(62) lgkmcnt(2)
	v_mul_f64 v[97:98], v[19:20], v[9:10]
	v_mul_f64 v[9:10], v[17:18], v[9:10]
	s_waitcnt lgkmcnt(1)
	v_mul_f64 v[112:113], v[23:24], v[5:6]
	s_waitcnt vmcnt(59) lgkmcnt(0)
	v_mul_f64 v[123:124], v[27:28], v[3:4]
	v_fma_f64 v[17:18], v[17:18], v[7:8], -v[97:98]
	v_mul_f64 v[97:98], v[21:22], v[5:6]
	v_fma_f64 v[9:10], v[19:20], v[7:8], v[9:10]
	s_waitcnt vmcnt(57)
	v_fma_f64 v[21:22], v[21:22], v[1:2], -v[112:113]
	ds_read_b128 v[5:8], v29 offset:1472
	v_mul_f64 v[19:20], v[25:26], v[3:4]
	s_waitcnt vmcnt(51)
	v_fma_f64 v[25:26], v[25:26], v[32:33], -v[123:124]
	v_add_f64 v[17:18], v[17:18], 0
	v_fma_f64 v[23:24], v[23:24], v[1:2], v[97:98]
	v_add_f64 v[9:10], v[9:10], 0
	s_clause 0x4
	buffer_load_dword v98, off, s[0:3], 0 offset:764
	buffer_load_dword v125, off, s[0:3], 0 offset:776
	;; [unrolled: 1-line block ×5, first 2 shown]
	s_waitcnt lgkmcnt(0)
	v_mul_f64 v[128:129], v[5:6], v[13:14]
	v_mul_f64 v[13:14], v[7:8], v[13:14]
	ds_read_b128 v[1:4], v29 offset:1488
	v_fma_f64 v[27:28], v[27:28], v[32:33], v[19:20]
	v_add_f64 v[21:22], v[17:18], v[21:22]
	v_add_f64 v[9:10], v[9:10], v[23:24]
	s_clause 0x2
	buffer_load_dword v126, off, s[0:3], 0 offset:780
	buffer_load_dword v24, off, s[0:3], 0 offset:756
	;; [unrolled: 1-line block ×3, first 2 shown]
	s_waitcnt vmcnt(58) lgkmcnt(0)
	v_mul_f64 v[32:33], v[1:2], v[30:31]
	v_mul_f64 v[30:31], v[3:4], v[30:31]
	s_waitcnt vmcnt(56)
	v_fma_f64 v[13:14], v[5:6], v[34:35], -v[13:14]
	ds_read_b128 v[17:20], v29 offset:1504
	v_add_f64 v[21:22], v[21:22], v[25:26]
	v_fma_f64 v[25:26], v[7:8], v[34:35], v[128:129]
	v_add_f64 v[9:10], v[9:10], v[27:28]
	s_clause 0x4
	buffer_load_dword v28, off, s[0:3], 0 offset:796
	buffer_load_dword v34, off, s[0:3], 0 offset:808
	;; [unrolled: 1-line block ×5, first 2 shown]
	ds_read_b128 v[5:8], v29 offset:1520
	s_waitcnt vmcnt(57) lgkmcnt(1)
	v_mul_f64 v[129:130], v[17:18], v[36:37]
	v_mul_f64 v[36:37], v[19:20], v[36:37]
	s_waitcnt vmcnt(56)
	v_fma_f64 v[30:31], v[1:2], v[11:12], -v[30:31]
	v_fma_f64 v[11:12], v[3:4], v[11:12], v[32:33]
	v_add_f64 v[13:14], v[21:22], v[13:14]
	s_clause 0x2
	buffer_load_dword v35, off, s[0:3], 0 offset:812
	buffer_load_dword v22, off, s[0:3], 0 offset:788
	;; [unrolled: 1-line block ×3, first 2 shown]
	v_add_f64 v[9:10], v[9:10], v[25:26]
	s_waitcnt vmcnt(58) lgkmcnt(0)
	v_mul_f64 v[32:33], v[7:8], v[38:39]
	ds_read_b128 v[1:4], v29 offset:1536
	v_mul_f64 v[25:26], v[5:6], v[38:39]
	s_waitcnt vmcnt(56)
	v_fma_f64 v[17:18], v[17:18], v[40:41], -v[36:37]
	v_fma_f64 v[19:20], v[19:20], v[40:41], v[129:130]
	s_clause 0x4
	buffer_load_dword v37, off, s[0:3], 0 offset:828
	buffer_load_dword v38, off, s[0:3], 0 offset:840
	;; [unrolled: 1-line block ×5, first 2 shown]
	v_add_f64 v[13:14], v[13:14], v[30:31]
	v_add_f64 v[30:31], v[9:10], v[11:12]
	s_waitcnt vmcnt(57) lgkmcnt(0)
	v_mul_f64 v[129:130], v[1:2], v[42:43]
	v_mul_f64 v[41:42], v[3:4], v[42:43]
	s_waitcnt vmcnt(56)
	v_fma_f64 v[32:33], v[5:6], v[15:16], -v[32:33]
	ds_read_b128 v[9:12], v29 offset:1552
	v_fma_f64 v[15:16], v[7:8], v[15:16], v[25:26]
	v_add_f64 v[13:14], v[13:14], v[17:18]
	v_add_f64 v[17:18], v[30:31], v[19:20]
	s_clause 0x2
	buffer_load_dword v39, off, s[0:3], 0 offset:844
	buffer_load_dword v20, off, s[0:3], 0 offset:820
	;; [unrolled: 1-line block ×3, first 2 shown]
	s_waitcnt vmcnt(58) lgkmcnt(0)
	v_mul_f64 v[30:31], v[11:12], v[44:45]
	s_waitcnt vmcnt(56)
	v_fma_f64 v[42:43], v[1:2], v[48:49], -v[41:42]
	ds_read_b128 v[5:8], v29 offset:1568
	v_mul_f64 v[25:26], v[9:10], v[44:45]
	v_add_f64 v[13:14], v[13:14], v[32:33]
	v_fma_f64 v[32:33], v[3:4], v[48:49], v[129:130]
	v_add_f64 v[15:16], v[17:18], v[15:16]
	s_clause 0x4
	buffer_load_dword v18, off, s[0:3], 0 offset:860
	buffer_load_dword v44, off, s[0:3], 0 offset:872
	buffer_load_dword v48, off, s[0:3], 0 offset:864
	buffer_load_dword v17, off, s[0:3], 0 offset:856
	buffer_load_dword v41, off, s[0:3], 0 offset:836
	s_waitcnt vmcnt(57) lgkmcnt(0)
	v_mul_f64 v[129:130], v[5:6], v[50:51]
	v_mul_f64 v[49:50], v[7:8], v[50:51]
	s_waitcnt vmcnt(56)
	v_fma_f64 v[30:31], v[9:10], v[46:47], -v[30:31]
	ds_read_b128 v[1:4], v29 offset:1584
	v_fma_f64 v[25:26], v[11:12], v[46:47], v[25:26]
	v_add_f64 v[13:14], v[13:14], v[42:43]
	v_add_f64 v[15:16], v[15:16], v[32:33]
	s_clause 0x2
	buffer_load_dword v45, off, s[0:3], 0 offset:876
	buffer_load_dword v33, off, s[0:3], 0 offset:852
	buffer_load_dword v32, off, s[0:3], 0 offset:848
	ds_read_b128 v[9:12], v29 offset:1600
	s_waitcnt vmcnt(58) lgkmcnt(1)
	v_mul_f64 v[46:47], v[3:4], v[52:53]
	s_waitcnt vmcnt(56)
	v_fma_f64 v[50:51], v[5:6], v[56:57], -v[49:50]
	v_mul_f64 v[42:43], v[1:2], v[52:53]
	v_add_f64 v[13:14], v[13:14], v[30:31]
	v_fma_f64 v[30:31], v[7:8], v[56:57], v[129:130]
	v_add_f64 v[15:16], v[15:16], v[25:26]
	s_clause 0x4
	buffer_load_dword v26, off, s[0:3], 0 offset:892
	buffer_load_dword v52, off, s[0:3], 0 offset:904
	buffer_load_dword v56, off, s[0:3], 0 offset:896
	buffer_load_dword v25, off, s[0:3], 0 offset:888
	buffer_load_dword v49, off, s[0:3], 0 offset:868
	s_waitcnt vmcnt(57) lgkmcnt(0)
	v_mul_f64 v[129:130], v[9:10], v[58:59]
	v_mul_f64 v[57:58], v[11:12], v[58:59]
	s_waitcnt vmcnt(56)
	v_fma_f64 v[46:47], v[1:2], v[54:55], -v[46:47]
	ds_read_b128 v[5:8], v29 offset:1616
	v_fma_f64 v[42:43], v[3:4], v[54:55], v[42:43]
	v_add_f64 v[13:14], v[13:14], v[50:51]
	v_add_f64 v[15:16], v[15:16], v[30:31]
	s_clause 0x2
	buffer_load_dword v53, off, s[0:3], 0 offset:908
	buffer_load_dword v31, off, s[0:3], 0 offset:884
	buffer_load_dword v30, off, s[0:3], 0 offset:880
	ds_read_b128 v[1:4], v29 offset:1632
	s_waitcnt vmcnt(58) lgkmcnt(1)
	v_mul_f64 v[54:55], v[7:8], v[60:61]
	s_waitcnt vmcnt(56)
	v_fma_f64 v[58:59], v[9:10], v[64:65], -v[57:58]
	;; [unrolled: 28-line block ×4, first 2 shown]
	v_mul_f64 v[66:67], v[1:2], v[109:110]
	buffer_load_dword v96, off, s[0:3], 0 offset:964
	v_add_f64 v[13:14], v[13:14], v[62:63]
	v_fma_f64 v[62:63], v[7:8], v[114:115], v[129:130]
	v_add_f64 v[15:16], v[15:16], v[58:59]
	ds_read_b128 v[5:8], v29 offset:1712
	s_waitcnt vmcnt(53) lgkmcnt(1)
	v_mul_f64 v[58:59], v[9:10], v[97:98]
	v_mul_f64 v[97:98], v[11:12], v[97:98]
	s_waitcnt vmcnt(52)
	v_fma_f64 v[93:94], v[1:2], v[111:112], -v[93:94]
	v_fma_f64 v[66:67], v[3:4], v[111:112], v[66:67]
	ds_read_b128 v[1:4], v29 offset:1728
	v_add_f64 v[13:14], v[13:14], v[99:100]
	v_add_f64 v[15:16], v[15:16], v[62:63]
	s_waitcnt vmcnt(51) lgkmcnt(1)
	v_mul_f64 v[99:100], v[7:8], v[125:126]
	v_mul_f64 v[62:63], v[5:6], v[125:126]
	s_waitcnt vmcnt(49)
	v_fma_f64 v[97:98], v[9:10], v[23:24], -v[97:98]
	v_fma_f64 v[23:24], v[11:12], v[23:24], v[58:59]
	v_add_f64 v[13:14], v[13:14], v[93:94]
	v_add_f64 v[15:16], v[15:16], v[66:67]
	s_clause 0x3
	buffer_load_dword v58, off, s[0:3], 0 offset:464
	buffer_load_dword v59, off, s[0:3], 0 offset:468
	;; [unrolled: 1-line block ×4, first 2 shown]
	ds_read_b128 v[9:12], v29 offset:1744
	s_waitcnt vmcnt(49) lgkmcnt(1)
	v_mul_f64 v[93:94], v[1:2], v[27:28]
	v_mul_f64 v[27:28], v[3:4], v[27:28]
	s_waitcnt vmcnt(48)
	v_fma_f64 v[99:100], v[5:6], v[127:128], -v[99:100]
	v_fma_f64 v[62:63], v[7:8], v[127:128], v[62:63]
	ds_read_b128 v[5:8], v29 offset:1760
	v_add_f64 v[13:14], v[13:14], v[97:98]
	v_add_f64 v[15:16], v[15:16], v[23:24]
	s_waitcnt vmcnt(47) lgkmcnt(1)
	v_mul_f64 v[23:24], v[9:10], v[34:35]
	v_mul_f64 v[34:35], v[11:12], v[34:35]
	s_waitcnt vmcnt(45)
	v_fma_f64 v[27:28], v[1:2], v[21:22], -v[27:28]
	v_fma_f64 v[21:22], v[3:4], v[21:22], v[93:94]
	ds_read_b128 v[1:4], v29 offset:1776
	v_add_f64 v[13:14], v[13:14], v[99:100]
	v_add_f64 v[15:16], v[15:16], v[62:63]
	s_waitcnt vmcnt(41) lgkmcnt(1)
	v_mul_f64 v[62:63], v[5:6], v[36:37]
	v_mul_f64 v[36:37], v[7:8], v[36:37]
	s_waitcnt vmcnt(40)
	v_fma_f64 v[23:24], v[11:12], v[123:124], v[23:24]
	v_fma_f64 v[34:35], v[9:10], v[123:124], -v[34:35]
	ds_read_b128 v[9:12], v29 offset:1792
	v_add_f64 v[13:14], v[13:14], v[27:28]
	v_add_f64 v[15:16], v[15:16], v[21:22]
	s_waitcnt vmcnt(39) lgkmcnt(1)
	v_mul_f64 v[27:28], v[3:4], v[38:39]
	v_mul_f64 v[21:22], v[1:2], v[38:39]
	s_waitcnt vmcnt(37)
	v_fma_f64 v[36:37], v[5:6], v[19:20], -v[36:37]
	v_fma_f64 v[19:20], v[7:8], v[19:20], v[62:63]
	ds_read_b128 v[5:8], v29 offset:1808
	v_add_f64 v[13:14], v[13:14], v[34:35]
	v_add_f64 v[15:16], v[15:16], v[23:24]
	s_waitcnt vmcnt(33) lgkmcnt(1)
	v_mul_f64 v[23:24], v[9:10], v[17:18]
	v_mul_f64 v[17:18], v[11:12], v[17:18]
	s_waitcnt vmcnt(32)
	v_fma_f64 v[27:28], v[1:2], v[40:41], -v[27:28]
	v_fma_f64 v[21:22], v[3:4], v[40:41], v[21:22]
	;; [unrolled: 9-line block ×3, first 2 shown]
	ds_read_b128 v[9:12], v29 offset:1840
	v_add_f64 v[13:14], v[13:14], v[27:28]
	v_add_f64 v[15:16], v[15:16], v[21:22]
	s_waitcnt vmcnt(25) lgkmcnt(1)
	v_mul_f64 v[21:22], v[1:2], v[25:26]
	v_mul_f64 v[25:26], v[3:4], v[25:26]
	s_waitcnt vmcnt(24)
	v_fma_f64 v[27:28], v[5:6], v[48:49], -v[34:35]
	v_add_f64 v[13:14], v[13:14], v[17:18]
	v_fma_f64 v[17:18], v[7:8], v[48:49], v[19:20]
	v_add_f64 v[15:16], v[15:16], v[23:24]
	ds_read_b128 v[5:8], v29 offset:1856
	s_waitcnt vmcnt(23) lgkmcnt(1)
	v_mul_f64 v[23:24], v[11:12], v[52:53]
	v_mul_f64 v[19:20], v[9:10], v[52:53]
	s_waitcnt vmcnt(21)
	v_fma_f64 v[25:26], v[1:2], v[30:31], -v[25:26]
	v_fma_f64 v[21:22], v[3:4], v[30:31], v[21:22]
	ds_read_b128 v[1:4], v29 offset:1872
	v_add_f64 v[13:14], v[13:14], v[27:28]
	v_add_f64 v[15:16], v[15:16], v[17:18]
	s_waitcnt vmcnt(17) lgkmcnt(1)
	v_mul_f64 v[27:28], v[7:8], v[42:43]
	s_waitcnt vmcnt(16)
	v_fma_f64 v[23:24], v[9:10], v[56:57], -v[23:24]
	v_mul_f64 v[17:18], v[5:6], v[42:43]
	v_fma_f64 v[19:20], v[11:12], v[56:57], v[19:20]
	ds_read_b128 v[9:12], v29 offset:1888
	v_add_f64 v[13:14], v[13:14], v[25:26]
	v_add_f64 v[15:16], v[15:16], v[21:22]
	s_waitcnt vmcnt(15) lgkmcnt(1)
	v_mul_f64 v[25:26], v[3:4], v[60:61]
	v_mul_f64 v[21:22], v[1:2], v[60:61]
	s_waitcnt vmcnt(13)
	v_fma_f64 v[27:28], v[5:6], v[46:47], -v[27:28]
	v_fma_f64 v[17:18], v[7:8], v[46:47], v[17:18]
	ds_read_b128 v[5:8], v29 offset:1904
	v_add_f64 v[13:14], v[13:14], v[23:24]
	v_add_f64 v[15:16], v[15:16], v[19:20]
	s_waitcnt vmcnt(9) lgkmcnt(1)
	v_mul_f64 v[23:24], v[11:12], v[50:51]
	s_waitcnt vmcnt(8)
	v_fma_f64 v[1:2], v[1:2], v[64:65], -v[25:26]
	v_mul_f64 v[19:20], v[9:10], v[50:51]
	v_fma_f64 v[3:4], v[3:4], v[64:65], v[21:22]
	v_add_f64 v[13:14], v[13:14], v[27:28]
	v_add_f64 v[15:16], v[15:16], v[17:18]
	s_waitcnt vmcnt(7) lgkmcnt(0)
	v_mul_f64 v[21:22], v[7:8], v[70:71]
	v_mul_f64 v[17:18], v[5:6], v[70:71]
	s_waitcnt vmcnt(5)
	v_fma_f64 v[9:10], v[9:10], v[54:55], -v[23:24]
	v_fma_f64 v[11:12], v[11:12], v[54:55], v[19:20]
	v_add_f64 v[1:2], v[13:14], v[1:2]
	v_add_f64 v[3:4], v[15:16], v[3:4]
	s_waitcnt vmcnt(4)
	v_fma_f64 v[5:6], v[5:6], v[95:96], -v[21:22]
	v_fma_f64 v[7:8], v[7:8], v[95:96], v[17:18]
	v_add_f64 v[1:2], v[1:2], v[9:10]
	v_add_f64 v[3:4], v[3:4], v[11:12]
	;; [unrolled: 1-line block ×4, first 2 shown]
	s_waitcnt vmcnt(2)
	v_add_f64 v[1:2], v[58:59], -v[1:2]
	s_waitcnt vmcnt(0)
	v_add_f64 v[3:4], v[66:67], -v[3:4]
	buffer_store_dword v2, off, s[0:3], 0 offset:468
	buffer_store_dword v1, off, s[0:3], 0 offset:464
	;; [unrolled: 1-line block ×4, first 2 shown]
	v_cmpx_lt_u32_e32 27, v0
	s_cbranch_execz .LBB59_319
; %bb.318:
	v_mov_b32_e32 v4, s45
	s_clause 0x3
	buffer_load_dword v1, v4, s[0:3], 0 offen
	buffer_load_dword v2, v4, s[0:3], 0 offen offset:4
	buffer_load_dword v3, v4, s[0:3], 0 offen offset:8
	;; [unrolled: 1-line block ×3, first 2 shown]
	buffer_store_dword v29, off, s[0:3], 0 offset:448
	buffer_store_dword v29, off, s[0:3], 0 offset:452
	;; [unrolled: 1-line block ×4, first 2 shown]
	s_waitcnt vmcnt(0)
	ds_write_b128 v69, v[1:4]
.LBB59_319:
	s_or_b32 exec_lo, exec_lo, s4
	s_waitcnt lgkmcnt(0)
	s_waitcnt_vscnt null, 0x0
	s_barrier
	buffer_gl0_inv
	s_clause 0x37
	buffer_load_dword v9, off, s[0:3], 0 offset:472
	buffer_load_dword v10, off, s[0:3], 0 offset:476
	;; [unrolled: 1-line block ×56, first 2 shown]
	ds_read_b128 v[30:33], v29 offset:1408
	s_clause 0x2
	buffer_load_dword v71, off, s[0:3], 0 offset:700
	buffer_load_dword v96, off, s[0:3], 0 offset:676
	;; [unrolled: 1-line block ×3, first 2 shown]
	ds_read_b128 v[34:37], v29 offset:1424
	s_clause 0x4
	buffer_load_dword v100, off, s[0:3], 0 offset:716
	buffer_load_dword v109, off, s[0:3], 0 offset:728
	;; [unrolled: 1-line block ×5, first 2 shown]
	ds_read_b128 v[38:41], v29 offset:1440
	s_clause 0x2
	buffer_load_dword v110, off, s[0:3], 0 offset:732
	buffer_load_dword v115, off, s[0:3], 0 offset:708
	;; [unrolled: 1-line block ×3, first 2 shown]
	s_mov_b32 s4, exec_lo
	s_waitcnt vmcnt(62) lgkmcnt(2)
	v_mul_f64 v[97:98], v[32:33], v[9:10]
	v_mul_f64 v[9:10], v[30:31], v[9:10]
	s_waitcnt lgkmcnt(1)
	v_mul_f64 v[112:113], v[36:37], v[5:6]
	s_waitcnt vmcnt(59) lgkmcnt(0)
	v_mul_f64 v[123:124], v[40:41], v[3:4]
	v_fma_f64 v[30:31], v[30:31], v[7:8], -v[97:98]
	v_mul_f64 v[97:98], v[34:35], v[5:6]
	v_fma_f64 v[9:10], v[32:33], v[7:8], v[9:10]
	s_waitcnt vmcnt(57)
	v_fma_f64 v[34:35], v[34:35], v[1:2], -v[112:113]
	ds_read_b128 v[5:8], v29 offset:1456
	v_mul_f64 v[32:33], v[38:39], v[3:4]
	s_waitcnt vmcnt(51)
	v_fma_f64 v[38:39], v[38:39], v[25:26], -v[123:124]
	v_add_f64 v[30:31], v[30:31], 0
	v_fma_f64 v[36:37], v[36:37], v[1:2], v[97:98]
	v_add_f64 v[9:10], v[9:10], 0
	s_clause 0x4
	buffer_load_dword v98, off, s[0:3], 0 offset:748
	buffer_load_dword v125, off, s[0:3], 0 offset:760
	buffer_load_dword v127, off, s[0:3], 0 offset:752
	buffer_load_dword v97, off, s[0:3], 0 offset:744
	buffer_load_dword v112, off, s[0:3], 0 offset:724
	s_waitcnt lgkmcnt(0)
	v_mul_f64 v[128:129], v[5:6], v[13:14]
	v_mul_f64 v[13:14], v[7:8], v[13:14]
	ds_read_b128 v[1:4], v29 offset:1472
	v_fma_f64 v[25:26], v[40:41], v[25:26], v[32:33]
	v_add_f64 v[34:35], v[30:31], v[34:35]
	v_add_f64 v[9:10], v[9:10], v[36:37]
	s_clause 0x2
	buffer_load_dword v126, off, s[0:3], 0 offset:764
	buffer_load_dword v37, off, s[0:3], 0 offset:740
	;; [unrolled: 1-line block ×3, first 2 shown]
	s_waitcnt vmcnt(58) lgkmcnt(0)
	v_mul_f64 v[40:41], v[1:2], v[17:18]
	v_mul_f64 v[17:18], v[3:4], v[17:18]
	s_waitcnt vmcnt(56)
	v_fma_f64 v[13:14], v[5:6], v[19:20], -v[13:14]
	ds_read_b128 v[30:33], v29 offset:1488
	v_fma_f64 v[19:20], v[7:8], v[19:20], v[128:129]
	v_add_f64 v[34:35], v[34:35], v[38:39]
	v_add_f64 v[9:10], v[9:10], v[25:26]
	s_clause 0x4
	buffer_load_dword v26, off, s[0:3], 0 offset:780
	buffer_load_dword v38, off, s[0:3], 0 offset:792
	;; [unrolled: 1-line block ×5, first 2 shown]
	ds_read_b128 v[5:8], v29 offset:1504
	s_waitcnt vmcnt(57) lgkmcnt(1)
	v_mul_f64 v[129:130], v[30:31], v[21:22]
	v_mul_f64 v[21:22], v[32:33], v[21:22]
	s_waitcnt vmcnt(56)
	v_fma_f64 v[17:18], v[1:2], v[11:12], -v[17:18]
	v_fma_f64 v[11:12], v[3:4], v[11:12], v[40:41]
	v_add_f64 v[13:14], v[34:35], v[13:14]
	v_add_f64 v[9:10], v[9:10], v[19:20]
	s_clause 0x2
	buffer_load_dword v39, off, s[0:3], 0 offset:796
	buffer_load_dword v20, off, s[0:3], 0 offset:772
	;; [unrolled: 1-line block ×3, first 2 shown]
	s_waitcnt vmcnt(58) lgkmcnt(0)
	v_mul_f64 v[34:35], v[5:6], v[27:28]
	v_mul_f64 v[27:28], v[7:8], v[27:28]
	s_waitcnt vmcnt(56)
	v_fma_f64 v[21:22], v[30:31], v[42:43], -v[21:22]
	ds_read_b128 v[1:4], v29 offset:1520
	v_add_f64 v[13:14], v[13:14], v[17:18]
	v_fma_f64 v[17:18], v[32:33], v[42:43], v[129:130]
	v_add_f64 v[30:31], v[9:10], v[11:12]
	s_clause 0x4
	buffer_load_dword v33, off, s[0:3], 0 offset:812
	buffer_load_dword v40, off, s[0:3], 0 offset:824
	;; [unrolled: 1-line block ×5, first 2 shown]
	ds_read_b128 v[9:12], v29 offset:1536
	s_waitcnt vmcnt(57) lgkmcnt(1)
	v_mul_f64 v[129:130], v[1:2], v[44:45]
	v_mul_f64 v[43:44], v[3:4], v[44:45]
	s_waitcnt vmcnt(56)
	v_fma_f64 v[27:28], v[5:6], v[15:16], -v[27:28]
	v_fma_f64 v[15:16], v[7:8], v[15:16], v[34:35]
	v_add_f64 v[13:14], v[13:14], v[21:22]
	s_clause 0x2
	buffer_load_dword v41, off, s[0:3], 0 offset:828
	buffer_load_dword v22, off, s[0:3], 0 offset:804
	;; [unrolled: 1-line block ×3, first 2 shown]
	v_add_f64 v[17:18], v[30:31], v[17:18]
	s_waitcnt vmcnt(58) lgkmcnt(0)
	v_mul_f64 v[34:35], v[11:12], v[46:47]
	ds_read_b128 v[5:8], v29 offset:1552
	v_mul_f64 v[30:31], v[9:10], v[46:47]
	s_waitcnt vmcnt(56)
	v_fma_f64 v[44:45], v[1:2], v[48:49], -v[43:44]
	v_add_f64 v[13:14], v[13:14], v[27:28]
	v_fma_f64 v[27:28], v[3:4], v[48:49], v[129:130]
	v_add_f64 v[15:16], v[17:18], v[15:16]
	s_clause 0x4
	buffer_load_dword v18, off, s[0:3], 0 offset:844
	buffer_load_dword v46, off, s[0:3], 0 offset:856
	buffer_load_dword v48, off, s[0:3], 0 offset:848
	buffer_load_dword v17, off, s[0:3], 0 offset:840
	buffer_load_dword v43, off, s[0:3], 0 offset:820
	s_waitcnt vmcnt(57) lgkmcnt(0)
	v_mul_f64 v[129:130], v[5:6], v[50:51]
	v_mul_f64 v[49:50], v[7:8], v[50:51]
	s_waitcnt vmcnt(56)
	v_fma_f64 v[34:35], v[9:10], v[23:24], -v[34:35]
	ds_read_b128 v[1:4], v29 offset:1568
	v_fma_f64 v[23:24], v[11:12], v[23:24], v[30:31]
	v_add_f64 v[13:14], v[13:14], v[44:45]
	v_add_f64 v[15:16], v[15:16], v[27:28]
	s_clause 0x2
	buffer_load_dword v47, off, s[0:3], 0 offset:860
	buffer_load_dword v28, off, s[0:3], 0 offset:836
	buffer_load_dword v27, off, s[0:3], 0 offset:832
	ds_read_b128 v[9:12], v29 offset:1584
	s_waitcnt vmcnt(58) lgkmcnt(1)
	v_mul_f64 v[44:45], v[3:4], v[52:53]
	s_waitcnt vmcnt(56)
	v_fma_f64 v[50:51], v[5:6], v[56:57], -v[49:50]
	v_mul_f64 v[30:31], v[1:2], v[52:53]
	v_add_f64 v[13:14], v[13:14], v[34:35]
	v_fma_f64 v[34:35], v[7:8], v[56:57], v[129:130]
	v_add_f64 v[15:16], v[15:16], v[23:24]
	s_clause 0x4
	buffer_load_dword v24, off, s[0:3], 0 offset:876
	buffer_load_dword v52, off, s[0:3], 0 offset:888
	buffer_load_dword v56, off, s[0:3], 0 offset:880
	buffer_load_dword v23, off, s[0:3], 0 offset:872
	buffer_load_dword v49, off, s[0:3], 0 offset:852
	s_waitcnt vmcnt(57) lgkmcnt(0)
	v_mul_f64 v[129:130], v[9:10], v[58:59]
	v_mul_f64 v[57:58], v[11:12], v[58:59]
	s_waitcnt vmcnt(56)
	v_fma_f64 v[44:45], v[1:2], v[54:55], -v[44:45]
	ds_read_b128 v[5:8], v29 offset:1600
	v_fma_f64 v[30:31], v[3:4], v[54:55], v[30:31]
	v_add_f64 v[13:14], v[13:14], v[50:51]
	v_add_f64 v[15:16], v[15:16], v[34:35]
	s_clause 0x2
	buffer_load_dword v53, off, s[0:3], 0 offset:892
	buffer_load_dword v35, off, s[0:3], 0 offset:868
	buffer_load_dword v34, off, s[0:3], 0 offset:864
	ds_read_b128 v[1:4], v29 offset:1616
	s_waitcnt vmcnt(58) lgkmcnt(1)
	v_mul_f64 v[54:55], v[7:8], v[60:61]
	s_waitcnt vmcnt(56)
	v_fma_f64 v[58:59], v[9:10], v[64:65], -v[57:58]
	v_mul_f64 v[50:51], v[5:6], v[60:61]
	;; [unrolled: 28-line block ×4, first 2 shown]
	v_add_f64 v[13:14], v[13:14], v[62:63]
	v_fma_f64 v[62:63], v[7:8], v[114:115], v[129:130]
	v_add_f64 v[15:16], v[15:16], v[58:59]
	s_clause 0x2
	buffer_load_dword v59, off, s[0:3], 0 offset:972
	buffer_load_dword v58, off, s[0:3], 0 offset:968
	;; [unrolled: 1-line block ×3, first 2 shown]
	ds_read_b128 v[5:8], v29 offset:1696
	s_waitcnt vmcnt(55) lgkmcnt(1)
	v_mul_f64 v[109:110], v[9:10], v[97:98]
	v_mul_f64 v[97:98], v[11:12], v[97:98]
	s_waitcnt vmcnt(54)
	v_fma_f64 v[93:94], v[1:2], v[111:112], -v[93:94]
	v_fma_f64 v[66:67], v[3:4], v[111:112], v[66:67]
	v_add_f64 v[13:14], v[13:14], v[99:100]
	v_add_f64 v[15:16], v[15:16], v[62:63]
	s_clause 0x1
	buffer_load_dword v63, off, s[0:3], 0 offset:964
	buffer_load_dword v62, off, s[0:3], 0 offset:960
	ds_read_b128 v[1:4], v29 offset:1712
	s_waitcnt vmcnt(55) lgkmcnt(1)
	v_mul_f64 v[111:112], v[7:8], v[125:126]
	v_mul_f64 v[99:100], v[5:6], v[125:126]
	s_waitcnt vmcnt(53)
	v_fma_f64 v[97:98], v[9:10], v[36:37], -v[97:98]
	v_fma_f64 v[36:37], v[11:12], v[36:37], v[109:110]
	ds_read_b128 v[9:12], v29 offset:1728
	v_add_f64 v[13:14], v[13:14], v[93:94]
	v_add_f64 v[15:16], v[15:16], v[66:67]
	s_waitcnt vmcnt(49) lgkmcnt(1)
	v_mul_f64 v[66:67], v[1:2], v[25:26]
	v_mul_f64 v[25:26], v[3:4], v[25:26]
	s_waitcnt vmcnt(48)
	v_fma_f64 v[93:94], v[5:6], v[127:128], -v[111:112]
	v_add_f64 v[13:14], v[13:14], v[97:98]
	v_fma_f64 v[97:98], v[7:8], v[127:128], v[99:100]
	v_add_f64 v[15:16], v[15:16], v[36:37]
	s_clause 0x3
	buffer_load_dword v36, off, s[0:3], 0 offset:448
	buffer_load_dword v37, off, s[0:3], 0 offset:452
	;; [unrolled: 1-line block ×4, first 2 shown]
	ds_read_b128 v[5:8], v29 offset:1744
	s_waitcnt vmcnt(51) lgkmcnt(1)
	v_mul_f64 v[109:110], v[9:10], v[38:39]
	v_mul_f64 v[38:39], v[11:12], v[38:39]
	s_waitcnt vmcnt(49)
	v_fma_f64 v[25:26], v[1:2], v[19:20], -v[25:26]
	v_fma_f64 v[19:20], v[3:4], v[19:20], v[66:67]
	ds_read_b128 v[1:4], v29 offset:1760
	v_add_f64 v[13:14], v[13:14], v[93:94]
	v_add_f64 v[15:16], v[15:16], v[97:98]
	s_waitcnt vmcnt(45) lgkmcnt(1)
	v_mul_f64 v[66:67], v[5:6], v[32:33]
	v_mul_f64 v[32:33], v[7:8], v[32:33]
	s_waitcnt vmcnt(44)
	v_fma_f64 v[38:39], v[9:10], v[123:124], -v[38:39]
	v_add_f64 v[13:14], v[13:14], v[25:26]
	v_fma_f64 v[25:26], v[11:12], v[123:124], v[109:110]
	v_add_f64 v[15:16], v[15:16], v[19:20]
	ds_read_b128 v[9:12], v29 offset:1776
	s_waitcnt vmcnt(43) lgkmcnt(1)
	v_mul_f64 v[19:20], v[1:2], v[40:41]
	v_mul_f64 v[40:41], v[3:4], v[40:41]
	s_waitcnt vmcnt(41)
	v_fma_f64 v[32:33], v[5:6], v[21:22], -v[32:33]
	v_fma_f64 v[21:22], v[7:8], v[21:22], v[66:67]
	ds_read_b128 v[5:8], v29 offset:1792
	v_add_f64 v[13:14], v[13:14], v[38:39]
	v_add_f64 v[15:16], v[15:16], v[25:26]
	s_waitcnt vmcnt(37) lgkmcnt(1)
	v_mul_f64 v[25:26], v[9:10], v[17:18]
	v_mul_f64 v[17:18], v[11:12], v[17:18]
	s_waitcnt vmcnt(36)
	v_fma_f64 v[38:39], v[1:2], v[42:43], -v[40:41]
	v_fma_f64 v[19:20], v[3:4], v[42:43], v[19:20]
	ds_read_b128 v[1:4], v29 offset:1808
	v_add_f64 v[13:14], v[13:14], v[32:33]
	v_add_f64 v[15:16], v[15:16], v[21:22]
	;; [unrolled: 9-line block ×3, first 2 shown]
	s_waitcnt vmcnt(29) lgkmcnt(1)
	v_mul_f64 v[19:20], v[1:2], v[23:24]
	v_mul_f64 v[23:24], v[3:4], v[23:24]
	s_waitcnt vmcnt(28)
	v_fma_f64 v[27:28], v[5:6], v[48:49], -v[32:33]
	v_add_f64 v[13:14], v[13:14], v[17:18]
	v_fma_f64 v[17:18], v[7:8], v[48:49], v[21:22]
	v_add_f64 v[15:16], v[15:16], v[25:26]
	ds_read_b128 v[5:8], v29 offset:1840
	s_waitcnt vmcnt(27) lgkmcnt(1)
	v_mul_f64 v[25:26], v[11:12], v[52:53]
	v_mul_f64 v[21:22], v[9:10], v[52:53]
	s_waitcnt vmcnt(25)
	v_fma_f64 v[23:24], v[1:2], v[34:35], -v[23:24]
	v_fma_f64 v[19:20], v[3:4], v[34:35], v[19:20]
	ds_read_b128 v[1:4], v29 offset:1856
	v_add_f64 v[13:14], v[13:14], v[27:28]
	v_add_f64 v[15:16], v[15:16], v[17:18]
	s_waitcnt vmcnt(21) lgkmcnt(1)
	v_mul_f64 v[27:28], v[7:8], v[30:31]
	s_waitcnt vmcnt(20)
	v_fma_f64 v[25:26], v[9:10], v[56:57], -v[25:26]
	v_mul_f64 v[17:18], v[5:6], v[30:31]
	v_fma_f64 v[21:22], v[11:12], v[56:57], v[21:22]
	ds_read_b128 v[9:12], v29 offset:1872
	v_add_f64 v[13:14], v[13:14], v[23:24]
	v_add_f64 v[15:16], v[15:16], v[19:20]
	s_waitcnt vmcnt(19) lgkmcnt(1)
	v_mul_f64 v[23:24], v[3:4], v[60:61]
	v_mul_f64 v[19:20], v[1:2], v[60:61]
	s_waitcnt vmcnt(17)
	v_fma_f64 v[27:28], v[5:6], v[44:45], -v[27:28]
	v_fma_f64 v[17:18], v[7:8], v[44:45], v[17:18]
	ds_read_b128 v[5:8], v29 offset:1888
	v_add_f64 v[13:14], v[13:14], v[25:26]
	v_add_f64 v[15:16], v[15:16], v[21:22]
	s_waitcnt vmcnt(13) lgkmcnt(1)
	v_mul_f64 v[25:26], v[11:12], v[50:51]
	s_waitcnt vmcnt(12)
	v_fma_f64 v[23:24], v[1:2], v[64:65], -v[23:24]
	v_mul_f64 v[21:22], v[9:10], v[50:51]
	v_fma_f64 v[19:20], v[3:4], v[64:65], v[19:20]
	ds_read_b128 v[1:4], v29 offset:1904
	v_add_f64 v[13:14], v[13:14], v[27:28]
	v_add_f64 v[15:16], v[15:16], v[17:18]
	s_waitcnt vmcnt(11) lgkmcnt(1)
	v_mul_f64 v[27:28], v[7:8], v[70:71]
	v_mul_f64 v[17:18], v[5:6], v[70:71]
	s_waitcnt vmcnt(9)
	v_fma_f64 v[9:10], v[9:10], v[54:55], -v[25:26]
	v_fma_f64 v[11:12], v[11:12], v[54:55], v[21:22]
	v_add_f64 v[13:14], v[13:14], v[23:24]
	v_add_f64 v[15:16], v[15:16], v[19:20]
	s_waitcnt vmcnt(7) lgkmcnt(0)
	v_mul_f64 v[21:22], v[3:4], v[58:59]
	s_waitcnt vmcnt(6)
	v_fma_f64 v[5:6], v[5:6], v[95:96], -v[27:28]
	v_mul_f64 v[19:20], v[1:2], v[58:59]
	v_fma_f64 v[7:8], v[7:8], v[95:96], v[17:18]
	v_add_f64 v[9:10], v[13:14], v[9:10]
	v_add_f64 v[11:12], v[15:16], v[11:12]
	s_waitcnt vmcnt(4)
	v_fma_f64 v[1:2], v[1:2], v[62:63], -v[21:22]
	v_fma_f64 v[3:4], v[3:4], v[62:63], v[19:20]
	v_add_f64 v[5:6], v[9:10], v[5:6]
	v_add_f64 v[7:8], v[11:12], v[7:8]
	;; [unrolled: 1-line block ×4, first 2 shown]
	s_waitcnt vmcnt(2)
	v_add_f64 v[1:2], v[36:37], -v[1:2]
	s_waitcnt vmcnt(0)
	v_add_f64 v[3:4], v[99:100], -v[3:4]
	buffer_store_dword v2, off, s[0:3], 0 offset:452
	buffer_store_dword v1, off, s[0:3], 0 offset:448
	buffer_store_dword v4, off, s[0:3], 0 offset:460
	buffer_store_dword v3, off, s[0:3], 0 offset:456
	v_cmpx_lt_u32_e32 26, v0
	s_cbranch_execz .LBB59_321
; %bb.320:
	v_mov_b32_e32 v4, s46
	v_mov_b32_e32 v5, 0
	s_clause 0x3
	buffer_load_dword v1, v4, s[0:3], 0 offen
	buffer_load_dword v2, v4, s[0:3], 0 offen offset:4
	buffer_load_dword v3, v4, s[0:3], 0 offen offset:8
	;; [unrolled: 1-line block ×3, first 2 shown]
	buffer_store_dword v5, off, s[0:3], 0 offset:432
	buffer_store_dword v5, off, s[0:3], 0 offset:436
	buffer_store_dword v5, off, s[0:3], 0 offset:440
	buffer_store_dword v5, off, s[0:3], 0 offset:444
	s_waitcnt vmcnt(0)
	ds_write_b128 v69, v[1:4]
.LBB59_321:
	s_or_b32 exec_lo, exec_lo, s4
	s_waitcnt lgkmcnt(0)
	s_waitcnt_vscnt null, 0x0
	s_barrier
	buffer_gl0_inv
	s_clause 0x37
	buffer_load_dword v9, off, s[0:3], 0 offset:456
	buffer_load_dword v10, off, s[0:3], 0 offset:460
	;; [unrolled: 1-line block ×56, first 2 shown]
	v_mov_b32_e32 v51, 0
	s_mov_b32 s4, exec_lo
	ds_read_b128 v[39:42], v51 offset:1392
	s_clause 0x2
	buffer_load_dword v71, off, s[0:3], 0 offset:684
	buffer_load_dword v96, off, s[0:3], 0 offset:660
	;; [unrolled: 1-line block ×3, first 2 shown]
	ds_read_b128 v[43:46], v51 offset:1408
	s_clause 0x4
	buffer_load_dword v100, off, s[0:3], 0 offset:700
	buffer_load_dword v109, off, s[0:3], 0 offset:712
	;; [unrolled: 1-line block ×5, first 2 shown]
	ds_read_b128 v[47:50], v51 offset:1424
	s_clause 0x2
	buffer_load_dword v110, off, s[0:3], 0 offset:716
	buffer_load_dword v115, off, s[0:3], 0 offset:692
	;; [unrolled: 1-line block ×3, first 2 shown]
	s_waitcnt vmcnt(62) lgkmcnt(2)
	v_mul_f64 v[97:98], v[41:42], v[9:10]
	v_mul_f64 v[9:10], v[39:40], v[9:10]
	s_waitcnt lgkmcnt(1)
	v_mul_f64 v[112:113], v[45:46], v[5:6]
	s_waitcnt vmcnt(59) lgkmcnt(0)
	v_mul_f64 v[123:124], v[49:50], v[3:4]
	v_fma_f64 v[39:40], v[39:40], v[7:8], -v[97:98]
	v_mul_f64 v[97:98], v[43:44], v[5:6]
	v_fma_f64 v[9:10], v[41:42], v[7:8], v[9:10]
	s_waitcnt vmcnt(57)
	v_fma_f64 v[43:44], v[43:44], v[1:2], -v[112:113]
	ds_read_b128 v[5:8], v51 offset:1440
	v_mul_f64 v[41:42], v[47:48], v[3:4]
	s_waitcnt vmcnt(51)
	v_fma_f64 v[47:48], v[47:48], v[25:26], -v[123:124]
	v_add_f64 v[39:40], v[39:40], 0
	v_fma_f64 v[45:46], v[45:46], v[1:2], v[97:98]
	v_add_f64 v[9:10], v[9:10], 0
	s_clause 0x4
	buffer_load_dword v98, off, s[0:3], 0 offset:732
	buffer_load_dword v125, off, s[0:3], 0 offset:744
	;; [unrolled: 1-line block ×5, first 2 shown]
	s_waitcnt lgkmcnt(0)
	v_mul_f64 v[128:129], v[5:6], v[13:14]
	v_mul_f64 v[13:14], v[7:8], v[13:14]
	ds_read_b128 v[1:4], v51 offset:1456
	v_fma_f64 v[25:26], v[49:50], v[25:26], v[41:42]
	v_add_f64 v[43:44], v[39:40], v[43:44]
	v_add_f64 v[9:10], v[9:10], v[45:46]
	s_clause 0x2
	buffer_load_dword v126, off, s[0:3], 0 offset:748
	buffer_load_dword v46, off, s[0:3], 0 offset:724
	;; [unrolled: 1-line block ×3, first 2 shown]
	s_waitcnt vmcnt(58) lgkmcnt(0)
	v_mul_f64 v[49:50], v[1:2], v[17:18]
	v_mul_f64 v[17:18], v[3:4], v[17:18]
	s_waitcnt vmcnt(56)
	v_fma_f64 v[13:14], v[5:6], v[19:20], -v[13:14]
	ds_read_b128 v[39:42], v51 offset:1472
	v_fma_f64 v[19:20], v[7:8], v[19:20], v[128:129]
	v_add_f64 v[43:44], v[43:44], v[47:48]
	v_add_f64 v[9:10], v[9:10], v[25:26]
	s_clause 0x4
	buffer_load_dword v26, off, s[0:3], 0 offset:764
	buffer_load_dword v47, off, s[0:3], 0 offset:776
	;; [unrolled: 1-line block ×5, first 2 shown]
	ds_read_b128 v[5:8], v51 offset:1488
	s_waitcnt vmcnt(57) lgkmcnt(1)
	v_mul_f64 v[129:130], v[39:40], v[21:22]
	v_mul_f64 v[21:22], v[41:42], v[21:22]
	s_waitcnt vmcnt(56)
	v_fma_f64 v[17:18], v[1:2], v[11:12], -v[17:18]
	v_fma_f64 v[11:12], v[3:4], v[11:12], v[49:50]
	v_add_f64 v[13:14], v[43:44], v[13:14]
	v_add_f64 v[9:10], v[9:10], v[19:20]
	s_clause 0x2
	buffer_load_dword v48, off, s[0:3], 0 offset:780
	buffer_load_dword v20, off, s[0:3], 0 offset:756
	;; [unrolled: 1-line block ×3, first 2 shown]
	s_waitcnt vmcnt(58) lgkmcnt(0)
	v_mul_f64 v[43:44], v[5:6], v[27:28]
	v_mul_f64 v[27:28], v[7:8], v[27:28]
	s_waitcnt vmcnt(56)
	v_fma_f64 v[21:22], v[39:40], v[29:30], -v[21:22]
	ds_read_b128 v[1:4], v51 offset:1504
	v_add_f64 v[13:14], v[13:14], v[17:18]
	v_fma_f64 v[17:18], v[41:42], v[29:30], v[129:130]
	v_add_f64 v[29:30], v[9:10], v[11:12]
	s_clause 0x4
	buffer_load_dword v40, off, s[0:3], 0 offset:796
	buffer_load_dword v41, off, s[0:3], 0 offset:808
	;; [unrolled: 1-line block ×5, first 2 shown]
	ds_read_b128 v[9:12], v51 offset:1520
	s_waitcnt vmcnt(57) lgkmcnt(1)
	v_mul_f64 v[129:130], v[1:2], v[31:32]
	v_mul_f64 v[31:32], v[3:4], v[31:32]
	s_waitcnt vmcnt(56)
	v_fma_f64 v[27:28], v[5:6], v[15:16], -v[27:28]
	v_fma_f64 v[15:16], v[7:8], v[15:16], v[43:44]
	v_add_f64 v[13:14], v[13:14], v[21:22]
	s_clause 0x2
	buffer_load_dword v42, off, s[0:3], 0 offset:812
	buffer_load_dword v22, off, s[0:3], 0 offset:788
	;; [unrolled: 1-line block ×3, first 2 shown]
	v_add_f64 v[17:18], v[29:30], v[17:18]
	s_waitcnt vmcnt(58) lgkmcnt(0)
	v_mul_f64 v[29:30], v[9:10], v[35:36]
	v_mul_f64 v[35:36], v[11:12], v[35:36]
	ds_read_b128 v[5:8], v51 offset:1536
	s_waitcnt vmcnt(56)
	v_fma_f64 v[31:32], v[1:2], v[37:38], -v[31:32]
	v_add_f64 v[13:14], v[13:14], v[27:28]
	v_fma_f64 v[27:28], v[3:4], v[37:38], v[129:130]
	v_add_f64 v[15:16], v[17:18], v[15:16]
	s_clause 0x4
	buffer_load_dword v18, off, s[0:3], 0 offset:828
	buffer_load_dword v37, off, s[0:3], 0 offset:840
	;; [unrolled: 1-line block ×5, first 2 shown]
	s_waitcnt vmcnt(57) lgkmcnt(0)
	v_mul_f64 v[129:130], v[5:6], v[52:53]
	v_mul_f64 v[52:53], v[7:8], v[52:53]
	s_waitcnt vmcnt(56)
	v_fma_f64 v[35:36], v[9:10], v[23:24], -v[35:36]
	ds_read_b128 v[1:4], v51 offset:1552
	v_fma_f64 v[23:24], v[11:12], v[23:24], v[29:30]
	v_add_f64 v[13:14], v[13:14], v[31:32]
	v_add_f64 v[15:16], v[15:16], v[27:28]
	s_clause 0x2
	buffer_load_dword v38, off, s[0:3], 0 offset:844
	buffer_load_dword v28, off, s[0:3], 0 offset:820
	;; [unrolled: 1-line block ×3, first 2 shown]
	ds_read_b128 v[9:12], v51 offset:1568
	s_waitcnt vmcnt(58) lgkmcnt(1)
	v_mul_f64 v[31:32], v[3:4], v[54:55]
	s_waitcnt vmcnt(56)
	v_fma_f64 v[52:53], v[5:6], v[56:57], -v[52:53]
	v_mul_f64 v[29:30], v[1:2], v[54:55]
	v_add_f64 v[13:14], v[13:14], v[35:36]
	v_fma_f64 v[35:36], v[7:8], v[56:57], v[129:130]
	v_add_f64 v[15:16], v[15:16], v[23:24]
	s_clause 0x4
	buffer_load_dword v24, off, s[0:3], 0 offset:860
	buffer_load_dword v54, off, s[0:3], 0 offset:872
	;; [unrolled: 1-line block ×5, first 2 shown]
	s_waitcnt vmcnt(57) lgkmcnt(0)
	v_mul_f64 v[129:130], v[9:10], v[58:59]
	v_mul_f64 v[57:58], v[11:12], v[58:59]
	s_waitcnt vmcnt(56)
	v_fma_f64 v[31:32], v[1:2], v[33:34], -v[31:32]
	ds_read_b128 v[5:8], v51 offset:1584
	v_fma_f64 v[29:30], v[3:4], v[33:34], v[29:30]
	s_clause 0x2
	buffer_load_dword v55, off, s[0:3], 0 offset:876
	buffer_load_dword v34, off, s[0:3], 0 offset:852
	;; [unrolled: 1-line block ×3, first 2 shown]
	ds_read_b128 v[1:4], v51 offset:1600
	v_add_f64 v[13:14], v[13:14], v[52:53]
	v_add_f64 v[15:16], v[15:16], v[35:36]
	s_waitcnt vmcnt(58) lgkmcnt(1)
	v_mul_f64 v[52:53], v[7:8], v[60:61]
	s_waitcnt vmcnt(56)
	v_fma_f64 v[58:59], v[9:10], v[64:65], -v[57:58]
	v_mul_f64 v[35:36], v[5:6], v[60:61]
	v_add_f64 v[13:14], v[13:14], v[31:32]
	v_fma_f64 v[31:32], v[11:12], v[64:65], v[129:130]
	v_add_f64 v[15:16], v[15:16], v[29:30]
	s_clause 0x4
	buffer_load_dword v30, off, s[0:3], 0 offset:892
	buffer_load_dword v60, off, s[0:3], 0 offset:904
	;; [unrolled: 1-line block ×5, first 2 shown]
	s_waitcnt vmcnt(57) lgkmcnt(0)
	v_mul_f64 v[129:130], v[1:2], v[66:67]
	v_mul_f64 v[65:66], v[3:4], v[66:67]
	s_waitcnt vmcnt(56)
	v_fma_f64 v[52:53], v[5:6], v[62:63], -v[52:53]
	ds_read_b128 v[9:12], v51 offset:1616
	v_fma_f64 v[35:36], v[7:8], v[62:63], v[35:36]
	v_add_f64 v[13:14], v[13:14], v[58:59]
	v_add_f64 v[15:16], v[15:16], v[31:32]
	s_clause 0x2
	buffer_load_dword v61, off, s[0:3], 0 offset:908
	buffer_load_dword v32, off, s[0:3], 0 offset:884
	;; [unrolled: 1-line block ×3, first 2 shown]
	ds_read_b128 v[5:8], v51 offset:1632
	s_waitcnt vmcnt(58) lgkmcnt(1)
	v_mul_f64 v[62:63], v[11:12], v[70:71]
	s_waitcnt vmcnt(56)
	v_fma_f64 v[66:67], v[1:2], v[95:96], -v[65:66]
	v_mul_f64 v[58:59], v[9:10], v[70:71]
	v_add_f64 v[13:14], v[13:14], v[52:53]
	v_fma_f64 v[52:53], v[3:4], v[95:96], v[129:130]
	v_add_f64 v[15:16], v[15:16], v[35:36]
	s_clause 0x4
	buffer_load_dword v36, off, s[0:3], 0 offset:924
	buffer_load_dword v70, off, s[0:3], 0 offset:936
	;; [unrolled: 1-line block ×5, first 2 shown]
	s_waitcnt vmcnt(57) lgkmcnt(0)
	v_mul_f64 v[129:130], v[5:6], v[99:100]
	v_mul_f64 v[99:100], v[7:8], v[99:100]
	s_waitcnt vmcnt(56)
	v_fma_f64 v[62:63], v[9:10], v[93:94], -v[62:63]
	ds_read_b128 v[1:4], v51 offset:1648
	v_fma_f64 v[58:59], v[11:12], v[93:94], v[58:59]
	v_add_f64 v[13:14], v[13:14], v[66:67]
	v_add_f64 v[15:16], v[15:16], v[52:53]
	s_clause 0x2
	buffer_load_dword v71, off, s[0:3], 0 offset:940
	buffer_load_dword v53, off, s[0:3], 0 offset:916
	;; [unrolled: 1-line block ×3, first 2 shown]
	ds_read_b128 v[9:12], v51 offset:1664
	s_waitcnt vmcnt(58) lgkmcnt(1)
	v_mul_f64 v[93:94], v[3:4], v[109:110]
	s_waitcnt vmcnt(56)
	v_fma_f64 v[99:100], v[5:6], v[114:115], -v[99:100]
	v_mul_f64 v[66:67], v[1:2], v[109:110]
	v_add_f64 v[13:14], v[13:14], v[62:63]
	v_fma_f64 v[62:63], v[7:8], v[114:115], v[129:130]
	v_add_f64 v[15:16], v[15:16], v[58:59]
	s_clause 0x4
	buffer_load_dword v59, off, s[0:3], 0 offset:956
	buffer_load_dword v109, off, s[0:3], 0 offset:968
	;; [unrolled: 1-line block ×5, first 2 shown]
	ds_read_b128 v[5:8], v51 offset:1680
	s_waitcnt vmcnt(57) lgkmcnt(1)
	v_mul_f64 v[114:115], v[9:10], v[97:98]
	v_mul_f64 v[97:98], v[11:12], v[97:98]
	s_waitcnt vmcnt(56)
	v_fma_f64 v[93:94], v[1:2], v[111:112], -v[93:94]
	v_fma_f64 v[66:67], v[3:4], v[111:112], v[66:67]
	v_add_f64 v[13:14], v[13:14], v[99:100]
	v_add_f64 v[15:16], v[15:16], v[62:63]
	s_clause 0x2
	buffer_load_dword v110, off, s[0:3], 0 offset:972
	buffer_load_dword v63, off, s[0:3], 0 offset:948
	;; [unrolled: 1-line block ×3, first 2 shown]
	ds_read_b128 v[1:4], v51 offset:1696
	s_waitcnt vmcnt(58) lgkmcnt(1)
	v_mul_f64 v[111:112], v[7:8], v[125:126]
	v_mul_f64 v[99:100], v[5:6], v[125:126]
	s_waitcnt vmcnt(56)
	v_fma_f64 v[97:98], v[9:10], v[45:46], -v[97:98]
	v_fma_f64 v[45:46], v[11:12], v[45:46], v[114:115]
	buffer_load_dword v114, off, s[0:3], 0 offset:964
	ds_read_b128 v[9:12], v51 offset:1712
	v_add_f64 v[13:14], v[13:14], v[93:94]
	v_add_f64 v[15:16], v[15:16], v[66:67]
	s_waitcnt vmcnt(53) lgkmcnt(1)
	v_mul_f64 v[66:67], v[1:2], v[25:26]
	v_mul_f64 v[25:26], v[3:4], v[25:26]
	s_waitcnt vmcnt(52)
	v_fma_f64 v[93:94], v[5:6], v[127:128], -v[111:112]
	v_add_f64 v[13:14], v[13:14], v[97:98]
	v_fma_f64 v[97:98], v[7:8], v[127:128], v[99:100]
	v_add_f64 v[15:16], v[15:16], v[45:46]
	ds_read_b128 v[5:8], v51 offset:1728
	s_waitcnt vmcnt(51) lgkmcnt(1)
	v_mul_f64 v[45:46], v[9:10], v[47:48]
	v_mul_f64 v[47:48], v[11:12], v[47:48]
	s_waitcnt vmcnt(49)
	v_fma_f64 v[25:26], v[1:2], v[19:20], -v[25:26]
	v_fma_f64 v[19:20], v[3:4], v[19:20], v[66:67]
	v_add_f64 v[13:14], v[13:14], v[93:94]
	s_clause 0x3
	buffer_load_dword v66, off, s[0:3], 0 offset:432
	buffer_load_dword v67, off, s[0:3], 0 offset:436
	;; [unrolled: 1-line block ×4, first 2 shown]
	v_add_f64 v[15:16], v[15:16], v[97:98]
	ds_read_b128 v[1:4], v51 offset:1744
	s_waitcnt vmcnt(49) lgkmcnt(1)
	v_mul_f64 v[97:98], v[5:6], v[39:40]
	v_mul_f64 v[39:40], v[7:8], v[39:40]
	s_waitcnt vmcnt(48)
	v_fma_f64 v[47:48], v[9:10], v[123:124], -v[47:48]
	v_add_f64 v[13:14], v[13:14], v[25:26]
	v_fma_f64 v[25:26], v[11:12], v[123:124], v[45:46]
	v_add_f64 v[15:16], v[15:16], v[19:20]
	ds_read_b128 v[9:12], v51 offset:1760
	s_waitcnt vmcnt(47) lgkmcnt(1)
	v_mul_f64 v[19:20], v[1:2], v[41:42]
	v_mul_f64 v[41:42], v[3:4], v[41:42]
	s_waitcnt vmcnt(45)
	v_fma_f64 v[39:40], v[5:6], v[21:22], -v[39:40]
	v_fma_f64 v[21:22], v[7:8], v[21:22], v[97:98]
	ds_read_b128 v[5:8], v51 offset:1776
	v_add_f64 v[13:14], v[13:14], v[47:48]
	v_add_f64 v[15:16], v[15:16], v[25:26]
	s_waitcnt vmcnt(41) lgkmcnt(1)
	v_mul_f64 v[25:26], v[9:10], v[17:18]
	v_mul_f64 v[17:18], v[11:12], v[17:18]
	s_waitcnt vmcnt(40)
	v_fma_f64 v[41:42], v[1:2], v[49:50], -v[41:42]
	v_fma_f64 v[19:20], v[3:4], v[49:50], v[19:20]
	ds_read_b128 v[1:4], v51 offset:1792
	v_add_f64 v[13:14], v[13:14], v[39:40]
	v_add_f64 v[15:16], v[15:16], v[21:22]
	;; [unrolled: 9-line block ×3, first 2 shown]
	s_waitcnt vmcnt(33) lgkmcnt(1)
	v_mul_f64 v[19:20], v[1:2], v[23:24]
	v_mul_f64 v[23:24], v[3:4], v[23:24]
	s_waitcnt vmcnt(32)
	v_fma_f64 v[27:28], v[5:6], v[43:44], -v[37:38]
	v_add_f64 v[13:14], v[13:14], v[17:18]
	v_fma_f64 v[17:18], v[7:8], v[43:44], v[21:22]
	v_add_f64 v[15:16], v[15:16], v[25:26]
	ds_read_b128 v[5:8], v51 offset:1824
	s_waitcnt vmcnt(31) lgkmcnt(1)
	v_mul_f64 v[25:26], v[11:12], v[54:55]
	v_mul_f64 v[21:22], v[9:10], v[54:55]
	s_waitcnt vmcnt(29)
	v_fma_f64 v[19:20], v[3:4], v[33:34], v[19:20]
	v_fma_f64 v[23:24], v[1:2], v[33:34], -v[23:24]
	ds_read_b128 v[1:4], v51 offset:1840
	v_add_f64 v[13:14], v[13:14], v[27:28]
	v_add_f64 v[15:16], v[15:16], v[17:18]
	s_waitcnt vmcnt(25) lgkmcnt(1)
	v_mul_f64 v[27:28], v[7:8], v[29:30]
	s_waitcnt vmcnt(24)
	v_fma_f64 v[25:26], v[9:10], v[56:57], -v[25:26]
	v_mul_f64 v[17:18], v[5:6], v[29:30]
	v_fma_f64 v[21:22], v[11:12], v[56:57], v[21:22]
	ds_read_b128 v[9:12], v51 offset:1856
	v_add_f64 v[13:14], v[13:14], v[23:24]
	v_add_f64 v[15:16], v[15:16], v[19:20]
	s_waitcnt vmcnt(23) lgkmcnt(1)
	v_mul_f64 v[23:24], v[3:4], v[60:61]
	v_mul_f64 v[19:20], v[1:2], v[60:61]
	s_waitcnt vmcnt(21)
	v_fma_f64 v[27:28], v[5:6], v[31:32], -v[27:28]
	v_fma_f64 v[17:18], v[7:8], v[31:32], v[17:18]
	ds_read_b128 v[5:8], v51 offset:1872
	v_add_f64 v[13:14], v[13:14], v[25:26]
	v_add_f64 v[15:16], v[15:16], v[21:22]
	s_waitcnt vmcnt(17) lgkmcnt(1)
	v_mul_f64 v[25:26], v[11:12], v[35:36]
	s_waitcnt vmcnt(16)
	v_fma_f64 v[23:24], v[1:2], v[64:65], -v[23:24]
	v_mul_f64 v[21:22], v[9:10], v[35:36]
	v_fma_f64 v[19:20], v[3:4], v[64:65], v[19:20]
	ds_read_b128 v[1:4], v51 offset:1888
	v_add_f64 v[13:14], v[13:14], v[27:28]
	v_add_f64 v[15:16], v[15:16], v[17:18]
	s_waitcnt vmcnt(15) lgkmcnt(1)
	v_mul_f64 v[27:28], v[7:8], v[70:71]
	v_mul_f64 v[17:18], v[5:6], v[70:71]
	s_waitcnt vmcnt(13)
	v_fma_f64 v[25:26], v[9:10], v[52:53], -v[25:26]
	v_fma_f64 v[21:22], v[11:12], v[52:53], v[21:22]
	ds_read_b128 v[9:12], v51 offset:1904
	v_add_f64 v[13:14], v[13:14], v[23:24]
	v_add_f64 v[15:16], v[15:16], v[19:20]
	s_waitcnt vmcnt(9) lgkmcnt(1)
	v_mul_f64 v[23:24], v[3:4], v[58:59]
	s_waitcnt vmcnt(8)
	v_fma_f64 v[5:6], v[5:6], v[95:96], -v[27:28]
	v_mul_f64 v[19:20], v[1:2], v[58:59]
	v_fma_f64 v[7:8], v[7:8], v[95:96], v[17:18]
	v_add_f64 v[13:14], v[13:14], v[25:26]
	v_add_f64 v[15:16], v[15:16], v[21:22]
	s_waitcnt vmcnt(7) lgkmcnt(0)
	v_mul_f64 v[21:22], v[11:12], v[109:110]
	v_mul_f64 v[17:18], v[9:10], v[109:110]
	s_waitcnt vmcnt(5)
	v_fma_f64 v[1:2], v[1:2], v[62:63], -v[23:24]
	v_fma_f64 v[3:4], v[3:4], v[62:63], v[19:20]
	v_add_f64 v[5:6], v[13:14], v[5:6]
	v_add_f64 v[7:8], v[15:16], v[7:8]
	s_waitcnt vmcnt(4)
	v_fma_f64 v[9:10], v[9:10], v[113:114], -v[21:22]
	v_add_f64 v[1:2], v[5:6], v[1:2]
	v_fma_f64 v[5:6], v[11:12], v[113:114], v[17:18]
	v_add_f64 v[3:4], v[7:8], v[3:4]
	v_add_f64 v[1:2], v[1:2], v[9:10]
	;; [unrolled: 1-line block ×3, first 2 shown]
	s_waitcnt vmcnt(2)
	v_add_f64 v[1:2], v[66:67], -v[1:2]
	s_waitcnt vmcnt(0)
	v_add_f64 v[3:4], v[93:94], -v[3:4]
	buffer_store_dword v2, off, s[0:3], 0 offset:436
	buffer_store_dword v1, off, s[0:3], 0 offset:432
	buffer_store_dword v4, off, s[0:3], 0 offset:444
	buffer_store_dword v3, off, s[0:3], 0 offset:440
	v_cmpx_lt_u32_e32 25, v0
	s_cbranch_execz .LBB59_323
; %bb.322:
	v_mov_b32_e32 v4, s47
	s_clause 0x3
	buffer_load_dword v1, v4, s[0:3], 0 offen
	buffer_load_dword v2, v4, s[0:3], 0 offen offset:4
	buffer_load_dword v3, v4, s[0:3], 0 offen offset:8
	;; [unrolled: 1-line block ×3, first 2 shown]
	buffer_store_dword v51, off, s[0:3], 0 offset:416
	buffer_store_dword v51, off, s[0:3], 0 offset:420
	;; [unrolled: 1-line block ×4, first 2 shown]
	s_waitcnt vmcnt(0)
	ds_write_b128 v69, v[1:4]
.LBB59_323:
	s_or_b32 exec_lo, exec_lo, s4
	s_waitcnt lgkmcnt(0)
	s_waitcnt_vscnt null, 0x0
	s_barrier
	buffer_gl0_inv
	s_clause 0x37
	buffer_load_dword v9, off, s[0:3], 0 offset:440
	buffer_load_dword v10, off, s[0:3], 0 offset:444
	;; [unrolled: 1-line block ×56, first 2 shown]
	ds_read_b128 v[52:55], v51 offset:1376
	s_clause 0x2
	buffer_load_dword v94, off, s[0:3], 0 offset:668
	buffer_load_dword v96, off, s[0:3], 0 offset:644
	buffer_load_dword v95, off, s[0:3], 0 offset:640
	ds_read_b128 v[56:59], v51 offset:1392
	s_clause 0x4
	buffer_load_dword v100, off, s[0:3], 0 offset:684
	buffer_load_dword v109, off, s[0:3], 0 offset:696
	;; [unrolled: 1-line block ×5, first 2 shown]
	ds_read_b128 v[60:63], v51 offset:1408
	s_clause 0x2
	buffer_load_dword v110, off, s[0:3], 0 offset:700
	buffer_load_dword v115, off, s[0:3], 0 offset:676
	;; [unrolled: 1-line block ×3, first 2 shown]
	s_mov_b32 s4, exec_lo
	s_waitcnt vmcnt(62) lgkmcnt(2)
	v_mul_f64 v[97:98], v[54:55], v[9:10]
	v_mul_f64 v[9:10], v[52:53], v[9:10]
	s_waitcnt lgkmcnt(1)
	v_mul_f64 v[112:113], v[58:59], v[5:6]
	s_waitcnt vmcnt(59) lgkmcnt(0)
	v_mul_f64 v[123:124], v[62:63], v[3:4]
	v_fma_f64 v[52:53], v[52:53], v[7:8], -v[97:98]
	v_mul_f64 v[97:98], v[56:57], v[5:6]
	v_fma_f64 v[9:10], v[54:55], v[7:8], v[9:10]
	s_waitcnt vmcnt(57)
	v_fma_f64 v[56:57], v[56:57], v[1:2], -v[112:113]
	ds_read_b128 v[5:8], v51 offset:1424
	v_mul_f64 v[54:55], v[60:61], v[3:4]
	s_waitcnt vmcnt(51)
	v_fma_f64 v[60:61], v[60:61], v[25:26], -v[123:124]
	v_add_f64 v[52:53], v[52:53], 0
	v_fma_f64 v[58:59], v[58:59], v[1:2], v[97:98]
	v_add_f64 v[9:10], v[9:10], 0
	s_clause 0x4
	buffer_load_dword v98, off, s[0:3], 0 offset:716
	buffer_load_dword v125, off, s[0:3], 0 offset:728
	buffer_load_dword v127, off, s[0:3], 0 offset:720
	buffer_load_dword v97, off, s[0:3], 0 offset:712
	buffer_load_dword v112, off, s[0:3], 0 offset:692
	s_waitcnt lgkmcnt(0)
	v_mul_f64 v[128:129], v[5:6], v[13:14]
	v_mul_f64 v[13:14], v[7:8], v[13:14]
	ds_read_b128 v[1:4], v51 offset:1440
	v_fma_f64 v[25:26], v[62:63], v[25:26], v[54:55]
	v_add_f64 v[56:57], v[52:53], v[56:57]
	v_add_f64 v[9:10], v[9:10], v[58:59]
	s_clause 0x2
	buffer_load_dword v126, off, s[0:3], 0 offset:732
	buffer_load_dword v59, off, s[0:3], 0 offset:708
	;; [unrolled: 1-line block ×3, first 2 shown]
	s_waitcnt vmcnt(58) lgkmcnt(0)
	v_mul_f64 v[62:63], v[1:2], v[17:18]
	v_mul_f64 v[17:18], v[3:4], v[17:18]
	s_waitcnt vmcnt(56)
	v_fma_f64 v[13:14], v[5:6], v[19:20], -v[13:14]
	ds_read_b128 v[52:55], v51 offset:1456
	v_fma_f64 v[19:20], v[7:8], v[19:20], v[128:129]
	v_add_f64 v[56:57], v[56:57], v[60:61]
	v_add_f64 v[9:10], v[9:10], v[25:26]
	s_clause 0x4
	buffer_load_dword v26, off, s[0:3], 0 offset:748
	buffer_load_dword v60, off, s[0:3], 0 offset:760
	buffer_load_dword v123, off, s[0:3], 0 offset:752
	buffer_load_dword v25, off, s[0:3], 0 offset:744
	buffer_load_dword v128, off, s[0:3], 0 offset:724
	ds_read_b128 v[5:8], v51 offset:1472
	s_waitcnt vmcnt(57) lgkmcnt(1)
	v_mul_f64 v[129:130], v[52:53], v[21:22]
	v_mul_f64 v[21:22], v[54:55], v[21:22]
	s_waitcnt vmcnt(56)
	v_fma_f64 v[17:18], v[1:2], v[11:12], -v[17:18]
	v_fma_f64 v[11:12], v[3:4], v[11:12], v[62:63]
	v_add_f64 v[13:14], v[56:57], v[13:14]
	v_add_f64 v[9:10], v[9:10], v[19:20]
	s_clause 0x2
	buffer_load_dword v61, off, s[0:3], 0 offset:764
	buffer_load_dword v20, off, s[0:3], 0 offset:740
	;; [unrolled: 1-line block ×3, first 2 shown]
	s_waitcnt vmcnt(58) lgkmcnt(0)
	v_mul_f64 v[56:57], v[5:6], v[27:28]
	v_mul_f64 v[27:28], v[7:8], v[27:28]
	s_waitcnt vmcnt(56)
	v_fma_f64 v[21:22], v[52:53], v[29:30], -v[21:22]
	ds_read_b128 v[1:4], v51 offset:1488
	v_add_f64 v[13:14], v[13:14], v[17:18]
	v_fma_f64 v[17:18], v[54:55], v[29:30], v[129:130]
	v_add_f64 v[29:30], v[9:10], v[11:12]
	s_clause 0x4
	buffer_load_dword v53, off, s[0:3], 0 offset:780
	buffer_load_dword v54, off, s[0:3], 0 offset:792
	;; [unrolled: 1-line block ×5, first 2 shown]
	ds_read_b128 v[9:12], v51 offset:1504
	s_waitcnt vmcnt(57) lgkmcnt(1)
	v_mul_f64 v[129:130], v[1:2], v[31:32]
	v_mul_f64 v[31:32], v[3:4], v[31:32]
	s_waitcnt vmcnt(56)
	v_fma_f64 v[27:28], v[5:6], v[15:16], -v[27:28]
	v_fma_f64 v[15:16], v[7:8], v[15:16], v[56:57]
	v_add_f64 v[13:14], v[13:14], v[21:22]
	s_clause 0x2
	buffer_load_dword v55, off, s[0:3], 0 offset:796
	buffer_load_dword v22, off, s[0:3], 0 offset:772
	;; [unrolled: 1-line block ×3, first 2 shown]
	v_add_f64 v[17:18], v[29:30], v[17:18]
	s_waitcnt vmcnt(58) lgkmcnt(0)
	v_mul_f64 v[29:30], v[9:10], v[35:36]
	v_mul_f64 v[35:36], v[11:12], v[35:36]
	ds_read_b128 v[5:8], v51 offset:1520
	s_waitcnt vmcnt(56)
	v_fma_f64 v[31:32], v[1:2], v[37:38], -v[31:32]
	v_add_f64 v[13:14], v[13:14], v[27:28]
	v_fma_f64 v[27:28], v[3:4], v[37:38], v[129:130]
	v_add_f64 v[15:16], v[17:18], v[15:16]
	s_clause 0x4
	buffer_load_dword v18, off, s[0:3], 0 offset:812
	buffer_load_dword v37, off, s[0:3], 0 offset:824
	;; [unrolled: 1-line block ×5, first 2 shown]
	s_waitcnt vmcnt(57) lgkmcnt(0)
	v_mul_f64 v[129:130], v[5:6], v[39:40]
	v_mul_f64 v[39:40], v[7:8], v[39:40]
	s_waitcnt vmcnt(56)
	v_fma_f64 v[35:36], v[9:10], v[23:24], -v[35:36]
	ds_read_b128 v[1:4], v51 offset:1536
	v_fma_f64 v[23:24], v[11:12], v[23:24], v[29:30]
	v_add_f64 v[13:14], v[13:14], v[31:32]
	v_add_f64 v[15:16], v[15:16], v[27:28]
	s_clause 0x2
	buffer_load_dword v38, off, s[0:3], 0 offset:828
	buffer_load_dword v28, off, s[0:3], 0 offset:804
	buffer_load_dword v27, off, s[0:3], 0 offset:800
	ds_read_b128 v[9:12], v51 offset:1552
	s_waitcnt vmcnt(58) lgkmcnt(1)
	v_mul_f64 v[31:32], v[3:4], v[43:44]
	s_waitcnt vmcnt(56)
	v_fma_f64 v[39:40], v[5:6], v[45:46], -v[39:40]
	v_mul_f64 v[29:30], v[1:2], v[43:44]
	v_add_f64 v[13:14], v[13:14], v[35:36]
	v_fma_f64 v[35:36], v[7:8], v[45:46], v[129:130]
	v_add_f64 v[15:16], v[15:16], v[23:24]
	s_clause 0x4
	buffer_load_dword v24, off, s[0:3], 0 offset:844
	buffer_load_dword v43, off, s[0:3], 0 offset:856
	;; [unrolled: 1-line block ×5, first 2 shown]
	s_waitcnt vmcnt(57) lgkmcnt(0)
	v_mul_f64 v[129:130], v[9:10], v[47:48]
	v_mul_f64 v[46:47], v[11:12], v[47:48]
	s_waitcnt vmcnt(56)
	v_fma_f64 v[31:32], v[1:2], v[33:34], -v[31:32]
	ds_read_b128 v[5:8], v51 offset:1568
	v_fma_f64 v[29:30], v[3:4], v[33:34], v[29:30]
	s_clause 0x2
	buffer_load_dword v44, off, s[0:3], 0 offset:860
	buffer_load_dword v34, off, s[0:3], 0 offset:836
	;; [unrolled: 1-line block ×3, first 2 shown]
	ds_read_b128 v[1:4], v51 offset:1584
	v_add_f64 v[13:14], v[13:14], v[39:40]
	v_add_f64 v[15:16], v[15:16], v[35:36]
	s_waitcnt vmcnt(58) lgkmcnt(1)
	v_mul_f64 v[39:40], v[7:8], v[64:65]
	s_waitcnt vmcnt(56)
	v_fma_f64 v[47:48], v[9:10], v[66:67], -v[46:47]
	v_mul_f64 v[35:36], v[5:6], v[64:65]
	v_add_f64 v[13:14], v[13:14], v[31:32]
	v_fma_f64 v[31:32], v[11:12], v[66:67], v[129:130]
	v_add_f64 v[15:16], v[15:16], v[29:30]
	s_clause 0x4
	buffer_load_dword v30, off, s[0:3], 0 offset:876
	buffer_load_dword v64, off, s[0:3], 0 offset:888
	;; [unrolled: 1-line block ×5, first 2 shown]
	s_waitcnt vmcnt(57) lgkmcnt(0)
	v_mul_f64 v[67:68], v[1:2], v[70:71]
	v_mul_f64 v[70:71], v[3:4], v[70:71]
	s_waitcnt vmcnt(56)
	v_fma_f64 v[39:40], v[5:6], v[41:42], -v[39:40]
	ds_read_b128 v[9:12], v51 offset:1600
	v_fma_f64 v[35:36], v[7:8], v[41:42], v[35:36]
	v_add_f64 v[13:14], v[13:14], v[47:48]
	v_add_f64 v[15:16], v[15:16], v[31:32]
	s_clause 0x2
	buffer_load_dword v65, off, s[0:3], 0 offset:892
	buffer_load_dword v32, off, s[0:3], 0 offset:868
	;; [unrolled: 1-line block ×3, first 2 shown]
	ds_read_b128 v[5:8], v51 offset:1616
	s_waitcnt vmcnt(58) lgkmcnt(1)
	v_mul_f64 v[47:48], v[11:12], v[93:94]
	s_waitcnt vmcnt(56)
	v_fma_f64 v[70:71], v[1:2], v[95:96], -v[70:71]
	v_mul_f64 v[41:42], v[9:10], v[93:94]
	v_add_f64 v[13:14], v[13:14], v[39:40]
	v_fma_f64 v[39:40], v[3:4], v[95:96], v[67:68]
	v_add_f64 v[15:16], v[15:16], v[35:36]
	s_clause 0x4
	buffer_load_dword v36, off, s[0:3], 0 offset:908
	buffer_load_dword v93, off, s[0:3], 0 offset:920
	;; [unrolled: 1-line block ×5, first 2 shown]
	s_waitcnt vmcnt(57) lgkmcnt(0)
	v_mul_f64 v[129:130], v[5:6], v[99:100]
	v_mul_f64 v[99:100], v[7:8], v[99:100]
	s_waitcnt vmcnt(56)
	v_fma_f64 v[47:48], v[9:10], v[49:50], -v[47:48]
	ds_read_b128 v[1:4], v51 offset:1632
	v_fma_f64 v[41:42], v[11:12], v[49:50], v[41:42]
	v_add_f64 v[13:14], v[13:14], v[70:71]
	v_add_f64 v[15:16], v[15:16], v[39:40]
	s_clause 0x2
	buffer_load_dword v94, off, s[0:3], 0 offset:924
	buffer_load_dword v40, off, s[0:3], 0 offset:900
	;; [unrolled: 1-line block ×3, first 2 shown]
	ds_read_b128 v[9:12], v51 offset:1648
	s_waitcnt vmcnt(58) lgkmcnt(1)
	v_mul_f64 v[70:71], v[3:4], v[109:110]
	s_waitcnt vmcnt(56)
	v_fma_f64 v[99:100], v[5:6], v[114:115], -v[99:100]
	v_mul_f64 v[49:50], v[1:2], v[109:110]
	v_add_f64 v[13:14], v[13:14], v[47:48]
	v_fma_f64 v[47:48], v[7:8], v[114:115], v[129:130]
	v_add_f64 v[15:16], v[15:16], v[41:42]
	s_clause 0x4
	buffer_load_dword v42, off, s[0:3], 0 offset:940
	buffer_load_dword v109, off, s[0:3], 0 offset:952
	;; [unrolled: 1-line block ×5, first 2 shown]
	ds_read_b128 v[5:8], v51 offset:1664
	s_waitcnt vmcnt(57) lgkmcnt(1)
	v_mul_f64 v[114:115], v[9:10], v[97:98]
	v_mul_f64 v[97:98], v[11:12], v[97:98]
	s_waitcnt vmcnt(56)
	v_fma_f64 v[70:71], v[1:2], v[111:112], -v[70:71]
	v_fma_f64 v[49:50], v[3:4], v[111:112], v[49:50]
	v_add_f64 v[13:14], v[13:14], v[99:100]
	v_add_f64 v[15:16], v[15:16], v[47:48]
	s_clause 0x2
	buffer_load_dword v110, off, s[0:3], 0 offset:956
	buffer_load_dword v48, off, s[0:3], 0 offset:932
	;; [unrolled: 1-line block ×3, first 2 shown]
	ds_read_b128 v[1:4], v51 offset:1680
	s_waitcnt vmcnt(58) lgkmcnt(1)
	v_mul_f64 v[111:112], v[7:8], v[125:126]
	v_mul_f64 v[99:100], v[5:6], v[125:126]
	s_waitcnt vmcnt(56)
	v_fma_f64 v[97:98], v[9:10], v[58:59], -v[97:98]
	v_fma_f64 v[58:59], v[11:12], v[58:59], v[114:115]
	v_add_f64 v[13:14], v[13:14], v[70:71]
	v_add_f64 v[15:16], v[15:16], v[49:50]
	s_clause 0x2
	buffer_load_dword v50, off, s[0:3], 0 offset:972
	buffer_load_dword v49, off, s[0:3], 0 offset:968
	;; [unrolled: 1-line block ×3, first 2 shown]
	ds_read_b128 v[9:12], v51 offset:1696
	s_waitcnt vmcnt(55) lgkmcnt(1)
	v_mul_f64 v[70:71], v[1:2], v[25:26]
	v_mul_f64 v[25:26], v[3:4], v[25:26]
	s_waitcnt vmcnt(54)
	v_fma_f64 v[111:112], v[5:6], v[127:128], -v[111:112]
	v_add_f64 v[13:14], v[13:14], v[97:98]
	v_fma_f64 v[97:98], v[7:8], v[127:128], v[99:100]
	v_add_f64 v[15:16], v[15:16], v[58:59]
	s_clause 0x1
	buffer_load_dword v59, off, s[0:3], 0 offset:964
	buffer_load_dword v58, off, s[0:3], 0 offset:960
	ds_read_b128 v[5:8], v51 offset:1712
	s_waitcnt vmcnt(55) lgkmcnt(1)
	v_mul_f64 v[99:100], v[9:10], v[60:61]
	v_mul_f64 v[60:61], v[11:12], v[60:61]
	s_waitcnt vmcnt(53)
	v_fma_f64 v[25:26], v[1:2], v[19:20], -v[25:26]
	v_fma_f64 v[19:20], v[3:4], v[19:20], v[70:71]
	ds_read_b128 v[1:4], v51 offset:1728
	v_add_f64 v[13:14], v[13:14], v[111:112]
	v_add_f64 v[15:16], v[15:16], v[97:98]
	s_waitcnt vmcnt(49) lgkmcnt(1)
	v_mul_f64 v[70:71], v[5:6], v[52:53]
	v_mul_f64 v[52:53], v[7:8], v[52:53]
	s_waitcnt vmcnt(48)
	v_fma_f64 v[60:61], v[9:10], v[123:124], -v[60:61]
	v_add_f64 v[13:14], v[13:14], v[25:26]
	v_fma_f64 v[25:26], v[11:12], v[123:124], v[99:100]
	v_add_f64 v[15:16], v[15:16], v[19:20]
	s_clause 0x3
	buffer_load_dword v19, off, s[0:3], 0 offset:416
	buffer_load_dword v20, off, s[0:3], 0 offset:420
	;; [unrolled: 1-line block ×4, first 2 shown]
	ds_read_b128 v[9:12], v51 offset:1744
	s_waitcnt vmcnt(51) lgkmcnt(1)
	v_mul_f64 v[99:100], v[1:2], v[54:55]
	v_mul_f64 v[54:55], v[3:4], v[54:55]
	s_waitcnt vmcnt(49)
	v_fma_f64 v[52:53], v[5:6], v[21:22], -v[52:53]
	v_fma_f64 v[21:22], v[7:8], v[21:22], v[70:71]
	ds_read_b128 v[5:8], v51 offset:1760
	v_add_f64 v[13:14], v[13:14], v[60:61]
	v_add_f64 v[15:16], v[15:16], v[25:26]
	s_waitcnt vmcnt(45) lgkmcnt(1)
	v_mul_f64 v[25:26], v[9:10], v[17:18]
	v_mul_f64 v[17:18], v[11:12], v[17:18]
	s_waitcnt vmcnt(44)
	v_fma_f64 v[54:55], v[1:2], v[62:63], -v[54:55]
	v_add_f64 v[13:14], v[13:14], v[52:53]
	v_fma_f64 v[52:53], v[3:4], v[62:63], v[99:100]
	v_add_f64 v[15:16], v[15:16], v[21:22]
	ds_read_b128 v[1:4], v51 offset:1776
	s_waitcnt vmcnt(43) lgkmcnt(1)
	v_mul_f64 v[21:22], v[5:6], v[37:38]
	v_mul_f64 v[37:38], v[7:8], v[37:38]
	s_waitcnt vmcnt(41)
	v_fma_f64 v[17:18], v[9:10], v[27:28], -v[17:18]
	v_fma_f64 v[25:26], v[11:12], v[27:28], v[25:26]
	ds_read_b128 v[9:12], v51 offset:1792
	v_add_f64 v[13:14], v[13:14], v[54:55]
	v_add_f64 v[15:16], v[15:16], v[52:53]
	s_waitcnt vmcnt(37) lgkmcnt(1)
	v_mul_f64 v[27:28], v[1:2], v[23:24]
	v_mul_f64 v[23:24], v[3:4], v[23:24]
	s_waitcnt vmcnt(36)
	v_fma_f64 v[37:38], v[5:6], v[56:57], -v[37:38]
	v_add_f64 v[13:14], v[13:14], v[17:18]
	v_fma_f64 v[17:18], v[7:8], v[56:57], v[21:22]
	v_add_f64 v[15:16], v[15:16], v[25:26]
	s_waitcnt vmcnt(35) lgkmcnt(0)
	v_mul_f64 v[25:26], v[11:12], v[43:44]
	ds_read_b128 v[5:8], v51 offset:1808
	v_mul_f64 v[21:22], v[9:10], v[43:44]
	s_waitcnt vmcnt(33)
	v_fma_f64 v[27:28], v[3:4], v[33:34], v[27:28]
	v_fma_f64 v[23:24], v[1:2], v[33:34], -v[23:24]
	ds_read_b128 v[1:4], v51 offset:1824
	v_add_f64 v[13:14], v[13:14], v[37:38]
	v_add_f64 v[15:16], v[15:16], v[17:18]
	s_waitcnt vmcnt(29) lgkmcnt(1)
	v_mul_f64 v[17:18], v[5:6], v[29:30]
	v_mul_f64 v[29:30], v[7:8], v[29:30]
	s_waitcnt vmcnt(28)
	v_fma_f64 v[25:26], v[9:10], v[45:46], -v[25:26]
	v_fma_f64 v[21:22], v[11:12], v[45:46], v[21:22]
	ds_read_b128 v[9:12], v51 offset:1840
	v_add_f64 v[13:14], v[13:14], v[23:24]
	v_add_f64 v[15:16], v[15:16], v[27:28]
	s_waitcnt vmcnt(27) lgkmcnt(1)
	v_mul_f64 v[27:28], v[3:4], v[64:65]
	v_mul_f64 v[23:24], v[1:2], v[64:65]
	s_waitcnt vmcnt(25)
	v_fma_f64 v[29:30], v[5:6], v[31:32], -v[29:30]
	v_fma_f64 v[17:18], v[7:8], v[31:32], v[17:18]
	ds_read_b128 v[5:8], v51 offset:1856
	v_add_f64 v[13:14], v[13:14], v[25:26]
	v_add_f64 v[15:16], v[15:16], v[21:22]
	s_waitcnt vmcnt(21) lgkmcnt(1)
	v_mul_f64 v[25:26], v[11:12], v[35:36]
	s_waitcnt vmcnt(20)
	v_fma_f64 v[27:28], v[1:2], v[66:67], -v[27:28]
	v_mul_f64 v[21:22], v[9:10], v[35:36]
	v_fma_f64 v[23:24], v[3:4], v[66:67], v[23:24]
	ds_read_b128 v[1:4], v51 offset:1872
	v_add_f64 v[13:14], v[13:14], v[29:30]
	v_add_f64 v[15:16], v[15:16], v[17:18]
	s_waitcnt vmcnt(19) lgkmcnt(1)
	v_mul_f64 v[29:30], v[7:8], v[93:94]
	v_mul_f64 v[17:18], v[5:6], v[93:94]
	s_waitcnt vmcnt(17)
	v_fma_f64 v[25:26], v[9:10], v[39:40], -v[25:26]
	v_fma_f64 v[21:22], v[11:12], v[39:40], v[21:22]
	ds_read_b128 v[9:12], v51 offset:1888
	v_add_f64 v[13:14], v[13:14], v[27:28]
	v_add_f64 v[15:16], v[15:16], v[23:24]
	s_waitcnt vmcnt(13) lgkmcnt(1)
	v_mul_f64 v[27:28], v[3:4], v[41:42]
	s_waitcnt vmcnt(12)
	v_fma_f64 v[29:30], v[5:6], v[95:96], -v[29:30]
	v_mul_f64 v[23:24], v[1:2], v[41:42]
	v_fma_f64 v[17:18], v[7:8], v[95:96], v[17:18]
	ds_read_b128 v[5:8], v51 offset:1904
	v_add_f64 v[13:14], v[13:14], v[25:26]
	v_add_f64 v[15:16], v[15:16], v[21:22]
	s_waitcnt vmcnt(11) lgkmcnt(1)
	v_mul_f64 v[25:26], v[11:12], v[109:110]
	v_mul_f64 v[21:22], v[9:10], v[109:110]
	s_waitcnt vmcnt(9)
	v_fma_f64 v[1:2], v[1:2], v[47:48], -v[27:28]
	v_fma_f64 v[3:4], v[3:4], v[47:48], v[23:24]
	v_add_f64 v[13:14], v[13:14], v[29:30]
	v_add_f64 v[15:16], v[15:16], v[17:18]
	s_waitcnt vmcnt(7) lgkmcnt(0)
	v_mul_f64 v[23:24], v[7:8], v[49:50]
	s_waitcnt vmcnt(6)
	v_fma_f64 v[9:10], v[9:10], v[113:114], -v[25:26]
	v_mul_f64 v[17:18], v[5:6], v[49:50]
	v_fma_f64 v[11:12], v[11:12], v[113:114], v[21:22]
	v_add_f64 v[1:2], v[13:14], v[1:2]
	v_add_f64 v[3:4], v[15:16], v[3:4]
	s_waitcnt vmcnt(4)
	v_fma_f64 v[5:6], v[5:6], v[58:59], -v[23:24]
	v_fma_f64 v[7:8], v[7:8], v[58:59], v[17:18]
	v_add_f64 v[1:2], v[1:2], v[9:10]
	v_add_f64 v[3:4], v[3:4], v[11:12]
	;; [unrolled: 1-line block ×4, first 2 shown]
	s_waitcnt vmcnt(2)
	v_add_f64 v[1:2], v[19:20], -v[1:2]
	s_waitcnt vmcnt(0)
	v_add_f64 v[3:4], v[97:98], -v[3:4]
	buffer_store_dword v2, off, s[0:3], 0 offset:420
	buffer_store_dword v1, off, s[0:3], 0 offset:416
	;; [unrolled: 1-line block ×4, first 2 shown]
	v_cmpx_lt_u32_e32 24, v0
	s_cbranch_execz .LBB59_325
; %bb.324:
	v_mov_b32_e32 v4, s48
	v_mov_b32_e32 v5, 0
	s_clause 0x3
	buffer_load_dword v1, v4, s[0:3], 0 offen
	buffer_load_dword v2, v4, s[0:3], 0 offen offset:4
	buffer_load_dword v3, v4, s[0:3], 0 offen offset:8
	;; [unrolled: 1-line block ×3, first 2 shown]
	buffer_store_dword v5, off, s[0:3], 0 offset:400
	buffer_store_dword v5, off, s[0:3], 0 offset:404
	;; [unrolled: 1-line block ×4, first 2 shown]
	s_waitcnt vmcnt(0)
	ds_write_b128 v69, v[1:4]
.LBB59_325:
	s_or_b32 exec_lo, exec_lo, s4
	s_waitcnt lgkmcnt(0)
	s_waitcnt_vscnt null, 0x0
	s_barrier
	buffer_gl0_inv
	s_clause 0x37
	buffer_load_dword v9, off, s[0:3], 0 offset:424
	buffer_load_dword v10, off, s[0:3], 0 offset:428
	buffer_load_dword v5, off, s[0:3], 0 offset:440
	buffer_load_dword v6, off, s[0:3], 0 offset:444
	buffer_load_dword v7, off, s[0:3], 0 offset:416
	buffer_load_dword v8, off, s[0:3], 0 offset:420
	buffer_load_dword v3, off, s[0:3], 0 offset:456
	buffer_load_dword v4, off, s[0:3], 0 offset:460
	buffer_load_dword v1, off, s[0:3], 0 offset:432
	buffer_load_dword v2, off, s[0:3], 0 offset:436
	buffer_load_dword v14, off, s[0:3], 0 offset:476
	buffer_load_dword v17, off, s[0:3], 0 offset:488
	buffer_load_dword v11, off, s[0:3], 0 offset:480
	buffer_load_dword v13, off, s[0:3], 0 offset:472
	buffer_load_dword v25, off, s[0:3], 0 offset:448
	buffer_load_dword v26, off, s[0:3], 0 offset:452
	buffer_load_dword v18, off, s[0:3], 0 offset:492
	buffer_load_dword v20, off, s[0:3], 0 offset:468
	buffer_load_dword v19, off, s[0:3], 0 offset:464
	buffer_load_dword v22, off, s[0:3], 0 offset:508
	buffer_load_dword v27, off, s[0:3], 0 offset:520
	buffer_load_dword v15, off, s[0:3], 0 offset:512
	buffer_load_dword v21, off, s[0:3], 0 offset:504
	buffer_load_dword v12, off, s[0:3], 0 offset:484
	buffer_load_dword v28, off, s[0:3], 0 offset:524
	buffer_load_dword v30, off, s[0:3], 0 offset:500
	buffer_load_dword v29, off, s[0:3], 0 offset:496
	buffer_load_dword v32, off, s[0:3], 0 offset:540
	buffer_load_dword v35, off, s[0:3], 0 offset:552
	buffer_load_dword v23, off, s[0:3], 0 offset:544
	buffer_load_dword v31, off, s[0:3], 0 offset:536
	buffer_load_dword v16, off, s[0:3], 0 offset:516
	buffer_load_dword v36, off, s[0:3], 0 offset:556
	buffer_load_dword v38, off, s[0:3], 0 offset:532
	buffer_load_dword v37, off, s[0:3], 0 offset:528
	buffer_load_dword v40, off, s[0:3], 0 offset:572
	buffer_load_dword v43, off, s[0:3], 0 offset:584
	buffer_load_dword v33, off, s[0:3], 0 offset:576
	buffer_load_dword v39, off, s[0:3], 0 offset:568
	buffer_load_dword v24, off, s[0:3], 0 offset:548
	buffer_load_dword v44, off, s[0:3], 0 offset:588
	buffer_load_dword v46, off, s[0:3], 0 offset:564
	buffer_load_dword v45, off, s[0:3], 0 offset:560
	buffer_load_dword v48, off, s[0:3], 0 offset:604
	buffer_load_dword v51, off, s[0:3], 0 offset:616
	buffer_load_dword v41, off, s[0:3], 0 offset:608
	buffer_load_dword v47, off, s[0:3], 0 offset:600
	buffer_load_dword v34, off, s[0:3], 0 offset:580
	buffer_load_dword v52, off, s[0:3], 0 offset:620
	buffer_load_dword v54, off, s[0:3], 0 offset:596
	buffer_load_dword v53, off, s[0:3], 0 offset:592
	buffer_load_dword v56, off, s[0:3], 0 offset:636
	buffer_load_dword v57, off, s[0:3], 0 offset:648
	buffer_load_dword v49, off, s[0:3], 0 offset:640
	buffer_load_dword v55, off, s[0:3], 0 offset:632
	buffer_load_dword v42, off, s[0:3], 0 offset:612
	v_mov_b32_e32 v61, 0
	s_mov_b32 s4, exec_lo
	ds_read_b128 v[62:65], v61 offset:1360
	s_clause 0x2
	buffer_load_dword v58, off, s[0:3], 0 offset:652
	buffer_load_dword v60, off, s[0:3], 0 offset:628
	;; [unrolled: 1-line block ×3, first 2 shown]
	ds_read_b128 v[93:96], v61 offset:1376
	s_clause 0x4
	buffer_load_dword v71, off, s[0:3], 0 offset:668
	buffer_load_dword v109, off, s[0:3], 0 offset:680
	;; [unrolled: 1-line block ×5, first 2 shown]
	ds_read_b128 v[97:100], v61 offset:1392
	s_clause 0x2
	buffer_load_dword v110, off, s[0:3], 0 offset:684
	buffer_load_dword v115, off, s[0:3], 0 offset:660
	;; [unrolled: 1-line block ×3, first 2 shown]
	s_waitcnt vmcnt(62) lgkmcnt(2)
	v_mul_f64 v[66:67], v[64:65], v[9:10]
	v_mul_f64 v[9:10], v[62:63], v[9:10]
	s_waitcnt lgkmcnt(1)
	v_mul_f64 v[112:113], v[95:96], v[5:6]
	s_waitcnt vmcnt(59) lgkmcnt(0)
	v_mul_f64 v[123:124], v[99:100], v[3:4]
	v_fma_f64 v[62:63], v[62:63], v[7:8], -v[66:67]
	v_mul_f64 v[66:67], v[93:94], v[5:6]
	v_fma_f64 v[9:10], v[64:65], v[7:8], v[9:10]
	s_waitcnt vmcnt(57)
	v_fma_f64 v[93:94], v[93:94], v[1:2], -v[112:113]
	ds_read_b128 v[5:8], v61 offset:1408
	v_mul_f64 v[64:65], v[97:98], v[3:4]
	s_waitcnt vmcnt(51)
	v_fma_f64 v[97:98], v[97:98], v[25:26], -v[123:124]
	v_add_f64 v[62:63], v[62:63], 0
	v_fma_f64 v[66:67], v[95:96], v[1:2], v[66:67]
	v_add_f64 v[9:10], v[9:10], 0
	s_clause 0x4
	buffer_load_dword v96, off, s[0:3], 0 offset:700
	buffer_load_dword v125, off, s[0:3], 0 offset:712
	;; [unrolled: 1-line block ×5, first 2 shown]
	s_waitcnt lgkmcnt(0)
	v_mul_f64 v[128:129], v[5:6], v[13:14]
	v_mul_f64 v[13:14], v[7:8], v[13:14]
	ds_read_b128 v[1:4], v61 offset:1424
	v_fma_f64 v[25:26], v[99:100], v[25:26], v[64:65]
	v_add_f64 v[93:94], v[62:63], v[93:94]
	v_add_f64 v[9:10], v[9:10], v[66:67]
	s_clause 0x2
	buffer_load_dword v126, off, s[0:3], 0 offset:716
	buffer_load_dword v67, off, s[0:3], 0 offset:692
	;; [unrolled: 1-line block ×3, first 2 shown]
	s_waitcnt vmcnt(58) lgkmcnt(0)
	v_mul_f64 v[99:100], v[1:2], v[17:18]
	v_mul_f64 v[17:18], v[3:4], v[17:18]
	s_waitcnt vmcnt(56)
	v_fma_f64 v[13:14], v[5:6], v[19:20], -v[13:14]
	ds_read_b128 v[62:65], v61 offset:1440
	v_fma_f64 v[19:20], v[7:8], v[19:20], v[128:129]
	v_add_f64 v[93:94], v[93:94], v[97:98]
	v_add_f64 v[9:10], v[9:10], v[25:26]
	s_clause 0x4
	buffer_load_dword v26, off, s[0:3], 0 offset:732
	buffer_load_dword v97, off, s[0:3], 0 offset:744
	;; [unrolled: 1-line block ×5, first 2 shown]
	ds_read_b128 v[5:8], v61 offset:1456
	s_waitcnt vmcnt(57) lgkmcnt(1)
	v_mul_f64 v[129:130], v[62:63], v[21:22]
	v_mul_f64 v[21:22], v[64:65], v[21:22]
	s_waitcnt vmcnt(56)
	v_fma_f64 v[17:18], v[1:2], v[11:12], -v[17:18]
	v_fma_f64 v[11:12], v[3:4], v[11:12], v[99:100]
	v_add_f64 v[13:14], v[93:94], v[13:14]
	v_add_f64 v[9:10], v[9:10], v[19:20]
	s_clause 0x2
	buffer_load_dword v98, off, s[0:3], 0 offset:748
	buffer_load_dword v20, off, s[0:3], 0 offset:724
	;; [unrolled: 1-line block ×3, first 2 shown]
	s_waitcnt vmcnt(58) lgkmcnt(0)
	v_mul_f64 v[93:94], v[5:6], v[27:28]
	v_mul_f64 v[27:28], v[7:8], v[27:28]
	s_waitcnt vmcnt(56)
	v_fma_f64 v[21:22], v[62:63], v[29:30], -v[21:22]
	ds_read_b128 v[1:4], v61 offset:1472
	v_add_f64 v[13:14], v[13:14], v[17:18]
	v_fma_f64 v[17:18], v[64:65], v[29:30], v[129:130]
	v_add_f64 v[29:30], v[9:10], v[11:12]
	s_clause 0x4
	buffer_load_dword v63, off, s[0:3], 0 offset:764
	buffer_load_dword v64, off, s[0:3], 0 offset:776
	;; [unrolled: 1-line block ×5, first 2 shown]
	ds_read_b128 v[9:12], v61 offset:1488
	s_waitcnt vmcnt(57) lgkmcnt(1)
	v_mul_f64 v[129:130], v[1:2], v[31:32]
	v_mul_f64 v[31:32], v[3:4], v[31:32]
	s_waitcnt vmcnt(56)
	v_fma_f64 v[27:28], v[5:6], v[15:16], -v[27:28]
	v_fma_f64 v[15:16], v[7:8], v[15:16], v[93:94]
	v_add_f64 v[13:14], v[13:14], v[21:22]
	s_clause 0x2
	buffer_load_dword v65, off, s[0:3], 0 offset:780
	buffer_load_dword v22, off, s[0:3], 0 offset:756
	buffer_load_dword v21, off, s[0:3], 0 offset:752
	v_add_f64 v[17:18], v[29:30], v[17:18]
	s_waitcnt vmcnt(58) lgkmcnt(0)
	v_mul_f64 v[29:30], v[9:10], v[35:36]
	v_mul_f64 v[35:36], v[11:12], v[35:36]
	ds_read_b128 v[5:8], v61 offset:1504
	s_waitcnt vmcnt(56)
	v_fma_f64 v[31:32], v[1:2], v[37:38], -v[31:32]
	v_add_f64 v[13:14], v[13:14], v[27:28]
	v_fma_f64 v[27:28], v[3:4], v[37:38], v[129:130]
	v_add_f64 v[15:16], v[17:18], v[15:16]
	s_clause 0x4
	buffer_load_dword v18, off, s[0:3], 0 offset:796
	buffer_load_dword v37, off, s[0:3], 0 offset:808
	;; [unrolled: 1-line block ×5, first 2 shown]
	s_waitcnt vmcnt(57) lgkmcnt(0)
	v_mul_f64 v[129:130], v[5:6], v[39:40]
	v_mul_f64 v[39:40], v[7:8], v[39:40]
	s_waitcnt vmcnt(56)
	v_fma_f64 v[35:36], v[9:10], v[23:24], -v[35:36]
	ds_read_b128 v[1:4], v61 offset:1520
	v_fma_f64 v[23:24], v[11:12], v[23:24], v[29:30]
	v_add_f64 v[13:14], v[13:14], v[31:32]
	v_add_f64 v[15:16], v[15:16], v[27:28]
	s_clause 0x2
	buffer_load_dword v38, off, s[0:3], 0 offset:812
	buffer_load_dword v28, off, s[0:3], 0 offset:788
	;; [unrolled: 1-line block ×3, first 2 shown]
	ds_read_b128 v[9:12], v61 offset:1536
	s_waitcnt vmcnt(58) lgkmcnt(1)
	v_mul_f64 v[31:32], v[3:4], v[43:44]
	s_waitcnt vmcnt(56)
	v_fma_f64 v[39:40], v[5:6], v[45:46], -v[39:40]
	v_mul_f64 v[29:30], v[1:2], v[43:44]
	v_add_f64 v[13:14], v[13:14], v[35:36]
	v_fma_f64 v[35:36], v[7:8], v[45:46], v[129:130]
	v_add_f64 v[15:16], v[15:16], v[23:24]
	s_clause 0x4
	buffer_load_dword v24, off, s[0:3], 0 offset:828
	buffer_load_dword v43, off, s[0:3], 0 offset:840
	;; [unrolled: 1-line block ×5, first 2 shown]
	s_waitcnt vmcnt(57) lgkmcnt(0)
	v_mul_f64 v[129:130], v[9:10], v[47:48]
	v_mul_f64 v[46:47], v[11:12], v[47:48]
	s_waitcnt vmcnt(56)
	v_fma_f64 v[31:32], v[1:2], v[33:34], -v[31:32]
	ds_read_b128 v[5:8], v61 offset:1552
	v_fma_f64 v[29:30], v[3:4], v[33:34], v[29:30]
	s_clause 0x2
	buffer_load_dword v44, off, s[0:3], 0 offset:844
	buffer_load_dword v34, off, s[0:3], 0 offset:820
	;; [unrolled: 1-line block ×3, first 2 shown]
	ds_read_b128 v[1:4], v61 offset:1568
	v_add_f64 v[13:14], v[13:14], v[39:40]
	v_add_f64 v[15:16], v[15:16], v[35:36]
	s_waitcnt vmcnt(58) lgkmcnt(1)
	v_mul_f64 v[39:40], v[7:8], v[51:52]
	s_waitcnt vmcnt(56)
	v_fma_f64 v[47:48], v[9:10], v[53:54], -v[46:47]
	v_mul_f64 v[35:36], v[5:6], v[51:52]
	v_add_f64 v[13:14], v[13:14], v[31:32]
	v_fma_f64 v[31:32], v[11:12], v[53:54], v[129:130]
	v_add_f64 v[15:16], v[15:16], v[29:30]
	s_clause 0x4
	buffer_load_dword v30, off, s[0:3], 0 offset:860
	buffer_load_dword v51, off, s[0:3], 0 offset:872
	;; [unrolled: 1-line block ×5, first 2 shown]
	s_waitcnt vmcnt(57) lgkmcnt(0)
	v_mul_f64 v[129:130], v[1:2], v[55:56]
	v_mul_f64 v[54:55], v[3:4], v[55:56]
	s_waitcnt vmcnt(56)
	v_fma_f64 v[39:40], v[5:6], v[41:42], -v[39:40]
	ds_read_b128 v[9:12], v61 offset:1584
	v_fma_f64 v[35:36], v[7:8], v[41:42], v[35:36]
	v_add_f64 v[13:14], v[13:14], v[47:48]
	v_add_f64 v[15:16], v[15:16], v[31:32]
	s_clause 0x2
	buffer_load_dword v52, off, s[0:3], 0 offset:876
	buffer_load_dword v32, off, s[0:3], 0 offset:852
	;; [unrolled: 1-line block ×3, first 2 shown]
	ds_read_b128 v[5:8], v61 offset:1600
	s_waitcnt vmcnt(58) lgkmcnt(1)
	v_mul_f64 v[47:48], v[11:12], v[57:58]
	s_waitcnt vmcnt(56)
	v_fma_f64 v[55:56], v[1:2], v[59:60], -v[54:55]
	v_mul_f64 v[41:42], v[9:10], v[57:58]
	v_add_f64 v[13:14], v[13:14], v[39:40]
	v_fma_f64 v[39:40], v[3:4], v[59:60], v[129:130]
	v_add_f64 v[15:16], v[15:16], v[35:36]
	s_clause 0x4
	buffer_load_dword v36, off, s[0:3], 0 offset:892
	buffer_load_dword v57, off, s[0:3], 0 offset:904
	;; [unrolled: 1-line block ×5, first 2 shown]
	s_waitcnt vmcnt(57) lgkmcnt(0)
	v_mul_f64 v[129:130], v[5:6], v[70:71]
	v_mul_f64 v[70:71], v[7:8], v[70:71]
	s_waitcnt vmcnt(56)
	v_fma_f64 v[47:48], v[9:10], v[49:50], -v[47:48]
	ds_read_b128 v[1:4], v61 offset:1616
	v_fma_f64 v[41:42], v[11:12], v[49:50], v[41:42]
	v_add_f64 v[13:14], v[13:14], v[55:56]
	v_add_f64 v[15:16], v[15:16], v[39:40]
	s_clause 0x2
	buffer_load_dword v58, off, s[0:3], 0 offset:908
	buffer_load_dword v40, off, s[0:3], 0 offset:884
	;; [unrolled: 1-line block ×3, first 2 shown]
	ds_read_b128 v[9:12], v61 offset:1632
	s_waitcnt vmcnt(58) lgkmcnt(1)
	v_mul_f64 v[55:56], v[3:4], v[109:110]
	s_waitcnt vmcnt(56)
	v_fma_f64 v[70:71], v[5:6], v[114:115], -v[70:71]
	v_mul_f64 v[49:50], v[1:2], v[109:110]
	v_add_f64 v[13:14], v[13:14], v[47:48]
	v_fma_f64 v[47:48], v[7:8], v[114:115], v[129:130]
	v_add_f64 v[15:16], v[15:16], v[41:42]
	s_clause 0x4
	buffer_load_dword v42, off, s[0:3], 0 offset:924
	buffer_load_dword v109, off, s[0:3], 0 offset:936
	;; [unrolled: 1-line block ×5, first 2 shown]
	ds_read_b128 v[5:8], v61 offset:1648
	s_waitcnt vmcnt(57) lgkmcnt(1)
	v_mul_f64 v[114:115], v[9:10], v[95:96]
	v_mul_f64 v[95:96], v[11:12], v[95:96]
	s_waitcnt vmcnt(56)
	v_fma_f64 v[55:56], v[1:2], v[111:112], -v[55:56]
	v_fma_f64 v[49:50], v[3:4], v[111:112], v[49:50]
	v_add_f64 v[13:14], v[13:14], v[70:71]
	v_add_f64 v[15:16], v[15:16], v[47:48]
	s_clause 0x2
	buffer_load_dword v110, off, s[0:3], 0 offset:940
	buffer_load_dword v48, off, s[0:3], 0 offset:916
	;; [unrolled: 1-line block ×3, first 2 shown]
	ds_read_b128 v[1:4], v61 offset:1664
	s_waitcnt vmcnt(58) lgkmcnt(1)
	v_mul_f64 v[111:112], v[7:8], v[125:126]
	v_mul_f64 v[70:71], v[5:6], v[125:126]
	s_waitcnt vmcnt(56)
	v_fma_f64 v[95:96], v[9:10], v[66:67], -v[95:96]
	v_add_f64 v[13:14], v[13:14], v[55:56]
	v_fma_f64 v[55:56], v[11:12], v[66:67], v[114:115]
	v_add_f64 v[15:16], v[15:16], v[49:50]
	s_clause 0x4
	buffer_load_dword v50, off, s[0:3], 0 offset:956
	buffer_load_dword v66, off, s[0:3], 0 offset:968
	;; [unrolled: 1-line block ×5, first 2 shown]
	ds_read_b128 v[9:12], v61 offset:1680
	s_waitcnt vmcnt(57) lgkmcnt(1)
	v_mul_f64 v[125:126], v[1:2], v[25:26]
	v_mul_f64 v[25:26], v[3:4], v[25:26]
	s_waitcnt vmcnt(56)
	v_fma_f64 v[111:112], v[5:6], v[127:128], -v[111:112]
	v_fma_f64 v[70:71], v[7:8], v[127:128], v[70:71]
	v_add_f64 v[13:14], v[13:14], v[95:96]
	v_add_f64 v[15:16], v[15:16], v[55:56]
	s_clause 0x2
	buffer_load_dword v67, off, s[0:3], 0 offset:972
	buffer_load_dword v56, off, s[0:3], 0 offset:948
	;; [unrolled: 1-line block ×3, first 2 shown]
	ds_read_b128 v[5:8], v61 offset:1696
	buffer_load_dword v116, off, s[0:3], 0 offset:964
	s_waitcnt vmcnt(59) lgkmcnt(1)
	v_mul_f64 v[95:96], v[9:10], v[97:98]
	v_mul_f64 v[97:98], v[11:12], v[97:98]
	s_waitcnt vmcnt(57)
	v_fma_f64 v[25:26], v[1:2], v[19:20], -v[25:26]
	v_fma_f64 v[19:20], v[3:4], v[19:20], v[125:126]
	ds_read_b128 v[1:4], v61 offset:1712
	v_add_f64 v[13:14], v[13:14], v[111:112]
	v_add_f64 v[15:16], v[15:16], v[70:71]
	s_waitcnt vmcnt(53) lgkmcnt(1)
	v_mul_f64 v[70:71], v[5:6], v[62:63]
	v_mul_f64 v[62:63], v[7:8], v[62:63]
	s_waitcnt vmcnt(52)
	v_fma_f64 v[97:98], v[9:10], v[123:124], -v[97:98]
	v_add_f64 v[13:14], v[13:14], v[25:26]
	v_fma_f64 v[25:26], v[11:12], v[123:124], v[95:96]
	v_add_f64 v[15:16], v[15:16], v[19:20]
	ds_read_b128 v[9:12], v61 offset:1728
	s_waitcnt vmcnt(51) lgkmcnt(1)
	v_mul_f64 v[19:20], v[1:2], v[64:65]
	v_mul_f64 v[64:65], v[3:4], v[64:65]
	s_waitcnt vmcnt(49)
	v_fma_f64 v[62:63], v[5:6], v[21:22], -v[62:63]
	v_fma_f64 v[21:22], v[7:8], v[21:22], v[70:71]
	v_add_f64 v[13:14], v[13:14], v[97:98]
	v_add_f64 v[15:16], v[15:16], v[25:26]
	s_clause 0x3
	buffer_load_dword v25, off, s[0:3], 0 offset:400
	buffer_load_dword v26, off, s[0:3], 0 offset:404
	;; [unrolled: 1-line block ×4, first 2 shown]
	ds_read_b128 v[5:8], v61 offset:1744
	s_waitcnt vmcnt(49) lgkmcnt(1)
	v_mul_f64 v[95:96], v[9:10], v[17:18]
	v_mul_f64 v[17:18], v[11:12], v[17:18]
	s_waitcnt vmcnt(48)
	v_fma_f64 v[64:65], v[1:2], v[99:100], -v[64:65]
	v_fma_f64 v[19:20], v[3:4], v[99:100], v[19:20]
	ds_read_b128 v[1:4], v61 offset:1760
	v_add_f64 v[13:14], v[13:14], v[62:63]
	v_add_f64 v[15:16], v[15:16], v[21:22]
	s_waitcnt vmcnt(47) lgkmcnt(1)
	v_mul_f64 v[21:22], v[5:6], v[37:38]
	v_mul_f64 v[37:38], v[7:8], v[37:38]
	s_waitcnt vmcnt(45)
	v_fma_f64 v[17:18], v[9:10], v[27:28], -v[17:18]
	v_fma_f64 v[27:28], v[11:12], v[27:28], v[95:96]
	ds_read_b128 v[9:12], v61 offset:1776
	v_add_f64 v[13:14], v[13:14], v[64:65]
	v_add_f64 v[15:16], v[15:16], v[19:20]
	s_waitcnt vmcnt(41) lgkmcnt(1)
	v_mul_f64 v[19:20], v[1:2], v[23:24]
	v_mul_f64 v[23:24], v[3:4], v[23:24]
	s_waitcnt vmcnt(40)
	v_fma_f64 v[37:38], v[5:6], v[93:94], -v[37:38]
	v_add_f64 v[13:14], v[13:14], v[17:18]
	v_fma_f64 v[17:18], v[7:8], v[93:94], v[21:22]
	v_add_f64 v[15:16], v[15:16], v[27:28]
	ds_read_b128 v[5:8], v61 offset:1792
	s_waitcnt vmcnt(39) lgkmcnt(1)
	v_mul_f64 v[27:28], v[11:12], v[43:44]
	v_mul_f64 v[21:22], v[9:10], v[43:44]
	s_waitcnt vmcnt(37)
	v_fma_f64 v[19:20], v[3:4], v[33:34], v[19:20]
	v_fma_f64 v[23:24], v[1:2], v[33:34], -v[23:24]
	ds_read_b128 v[1:4], v61 offset:1808
	v_add_f64 v[13:14], v[13:14], v[37:38]
	v_add_f64 v[15:16], v[15:16], v[17:18]
	s_waitcnt vmcnt(33) lgkmcnt(1)
	v_mul_f64 v[17:18], v[5:6], v[29:30]
	v_mul_f64 v[29:30], v[7:8], v[29:30]
	s_waitcnt vmcnt(32)
	v_fma_f64 v[27:28], v[9:10], v[45:46], -v[27:28]
	v_fma_f64 v[21:22], v[11:12], v[45:46], v[21:22]
	ds_read_b128 v[9:12], v61 offset:1824
	v_add_f64 v[13:14], v[13:14], v[23:24]
	v_add_f64 v[15:16], v[15:16], v[19:20]
	s_waitcnt vmcnt(31) lgkmcnt(1)
	v_mul_f64 v[23:24], v[3:4], v[51:52]
	v_mul_f64 v[19:20], v[1:2], v[51:52]
	s_waitcnt vmcnt(29)
	v_fma_f64 v[29:30], v[5:6], v[31:32], -v[29:30]
	v_fma_f64 v[17:18], v[7:8], v[31:32], v[17:18]
	ds_read_b128 v[5:8], v61 offset:1840
	v_add_f64 v[13:14], v[13:14], v[27:28]
	v_add_f64 v[15:16], v[15:16], v[21:22]
	s_waitcnt vmcnt(25) lgkmcnt(1)
	v_mul_f64 v[27:28], v[11:12], v[35:36]
	s_waitcnt vmcnt(24)
	v_fma_f64 v[23:24], v[1:2], v[53:54], -v[23:24]
	v_mul_f64 v[21:22], v[9:10], v[35:36]
	v_fma_f64 v[19:20], v[3:4], v[53:54], v[19:20]
	ds_read_b128 v[1:4], v61 offset:1856
	v_add_f64 v[13:14], v[13:14], v[29:30]
	v_add_f64 v[15:16], v[15:16], v[17:18]
	s_waitcnt vmcnt(23) lgkmcnt(1)
	v_mul_f64 v[29:30], v[7:8], v[57:58]
	v_mul_f64 v[17:18], v[5:6], v[57:58]
	s_waitcnt vmcnt(21)
	v_fma_f64 v[27:28], v[9:10], v[39:40], -v[27:28]
	v_fma_f64 v[21:22], v[11:12], v[39:40], v[21:22]
	ds_read_b128 v[9:12], v61 offset:1872
	v_add_f64 v[13:14], v[13:14], v[23:24]
	v_add_f64 v[15:16], v[15:16], v[19:20]
	s_waitcnt vmcnt(17) lgkmcnt(1)
	v_mul_f64 v[23:24], v[3:4], v[41:42]
	s_waitcnt vmcnt(16)
	v_fma_f64 v[29:30], v[5:6], v[59:60], -v[29:30]
	v_mul_f64 v[19:20], v[1:2], v[41:42]
	;; [unrolled: 18-line block ×3, first 2 shown]
	v_fma_f64 v[11:12], v[11:12], v[113:114], v[21:22]
	v_add_f64 v[13:14], v[13:14], v[23:24]
	v_add_f64 v[15:16], v[15:16], v[19:20]
	s_waitcnt vmcnt(7) lgkmcnt(0)
	v_mul_f64 v[21:22], v[3:4], v[66:67]
	v_mul_f64 v[19:20], v[1:2], v[66:67]
	s_waitcnt vmcnt(5)
	v_fma_f64 v[5:6], v[5:6], v[55:56], -v[29:30]
	v_fma_f64 v[7:8], v[7:8], v[55:56], v[17:18]
	v_add_f64 v[9:10], v[13:14], v[9:10]
	v_add_f64 v[11:12], v[15:16], v[11:12]
	s_waitcnt vmcnt(4)
	v_fma_f64 v[1:2], v[1:2], v[115:116], -v[21:22]
	v_fma_f64 v[3:4], v[3:4], v[115:116], v[19:20]
	v_add_f64 v[5:6], v[9:10], v[5:6]
	v_add_f64 v[7:8], v[11:12], v[7:8]
	;; [unrolled: 1-line block ×4, first 2 shown]
	s_waitcnt vmcnt(2)
	v_add_f64 v[1:2], v[25:26], -v[1:2]
	s_waitcnt vmcnt(0)
	v_add_f64 v[3:4], v[70:71], -v[3:4]
	buffer_store_dword v2, off, s[0:3], 0 offset:404
	buffer_store_dword v1, off, s[0:3], 0 offset:400
	buffer_store_dword v4, off, s[0:3], 0 offset:412
	buffer_store_dword v3, off, s[0:3], 0 offset:408
	v_cmpx_lt_u32_e32 23, v0
	s_cbranch_execz .LBB59_327
; %bb.326:
	v_mov_b32_e32 v4, s49
	s_clause 0x3
	buffer_load_dword v1, v4, s[0:3], 0 offen
	buffer_load_dword v2, v4, s[0:3], 0 offen offset:4
	buffer_load_dword v3, v4, s[0:3], 0 offen offset:8
	buffer_load_dword v4, v4, s[0:3], 0 offen offset:12
	buffer_store_dword v61, off, s[0:3], 0 offset:384
	buffer_store_dword v61, off, s[0:3], 0 offset:388
	;; [unrolled: 1-line block ×4, first 2 shown]
	s_waitcnt vmcnt(0)
	ds_write_b128 v69, v[1:4]
.LBB59_327:
	s_or_b32 exec_lo, exec_lo, s4
	s_waitcnt lgkmcnt(0)
	s_waitcnt_vscnt null, 0x0
	s_barrier
	buffer_gl0_inv
	s_clause 0x37
	buffer_load_dword v9, off, s[0:3], 0 offset:408
	buffer_load_dword v10, off, s[0:3], 0 offset:412
	;; [unrolled: 1-line block ×56, first 2 shown]
	ds_read_b128 v[62:65], v61 offset:1344
	s_clause 0x2
	buffer_load_dword v58, off, s[0:3], 0 offset:636
	buffer_load_dword v60, off, s[0:3], 0 offset:612
	;; [unrolled: 1-line block ×3, first 2 shown]
	ds_read_b128 v[93:96], v61 offset:1360
	s_clause 0x4
	buffer_load_dword v71, off, s[0:3], 0 offset:652
	buffer_load_dword v109, off, s[0:3], 0 offset:664
	buffer_load_dword v111, off, s[0:3], 0 offset:656
	buffer_load_dword v70, off, s[0:3], 0 offset:648
	buffer_load_dword v50, off, s[0:3], 0 offset:628
	ds_read_b128 v[97:100], v61 offset:1376
	s_clause 0x2
	buffer_load_dword v110, off, s[0:3], 0 offset:668
	buffer_load_dword v115, off, s[0:3], 0 offset:644
	;; [unrolled: 1-line block ×3, first 2 shown]
	s_mov_b32 s4, exec_lo
	s_waitcnt vmcnt(62) lgkmcnt(2)
	v_mul_f64 v[66:67], v[64:65], v[9:10]
	v_mul_f64 v[9:10], v[62:63], v[9:10]
	s_waitcnt lgkmcnt(1)
	v_mul_f64 v[112:113], v[95:96], v[5:6]
	s_waitcnt vmcnt(59) lgkmcnt(0)
	v_mul_f64 v[123:124], v[99:100], v[3:4]
	v_fma_f64 v[62:63], v[62:63], v[7:8], -v[66:67]
	v_mul_f64 v[66:67], v[93:94], v[5:6]
	v_fma_f64 v[9:10], v[64:65], v[7:8], v[9:10]
	s_waitcnt vmcnt(57)
	v_fma_f64 v[93:94], v[93:94], v[1:2], -v[112:113]
	ds_read_b128 v[5:8], v61 offset:1392
	v_mul_f64 v[64:65], v[97:98], v[3:4]
	s_waitcnt vmcnt(51)
	v_fma_f64 v[97:98], v[97:98], v[25:26], -v[123:124]
	v_add_f64 v[62:63], v[62:63], 0
	v_fma_f64 v[66:67], v[95:96], v[1:2], v[66:67]
	v_add_f64 v[9:10], v[9:10], 0
	s_clause 0x4
	buffer_load_dword v96, off, s[0:3], 0 offset:684
	buffer_load_dword v125, off, s[0:3], 0 offset:696
	;; [unrolled: 1-line block ×5, first 2 shown]
	s_waitcnt lgkmcnt(0)
	v_mul_f64 v[128:129], v[5:6], v[13:14]
	v_mul_f64 v[13:14], v[7:8], v[13:14]
	ds_read_b128 v[1:4], v61 offset:1408
	v_fma_f64 v[25:26], v[99:100], v[25:26], v[64:65]
	v_add_f64 v[93:94], v[62:63], v[93:94]
	v_add_f64 v[9:10], v[9:10], v[66:67]
	s_clause 0x2
	buffer_load_dword v126, off, s[0:3], 0 offset:700
	buffer_load_dword v67, off, s[0:3], 0 offset:676
	;; [unrolled: 1-line block ×3, first 2 shown]
	s_waitcnt vmcnt(58) lgkmcnt(0)
	v_mul_f64 v[99:100], v[1:2], v[17:18]
	v_mul_f64 v[17:18], v[3:4], v[17:18]
	s_waitcnt vmcnt(56)
	v_fma_f64 v[13:14], v[5:6], v[19:20], -v[13:14]
	ds_read_b128 v[62:65], v61 offset:1424
	v_fma_f64 v[19:20], v[7:8], v[19:20], v[128:129]
	v_add_f64 v[93:94], v[93:94], v[97:98]
	v_add_f64 v[9:10], v[9:10], v[25:26]
	s_clause 0x4
	buffer_load_dword v26, off, s[0:3], 0 offset:716
	buffer_load_dword v97, off, s[0:3], 0 offset:728
	;; [unrolled: 1-line block ×5, first 2 shown]
	ds_read_b128 v[5:8], v61 offset:1440
	s_waitcnt vmcnt(57) lgkmcnt(1)
	v_mul_f64 v[129:130], v[62:63], v[21:22]
	v_mul_f64 v[21:22], v[64:65], v[21:22]
	s_waitcnt vmcnt(56)
	v_fma_f64 v[17:18], v[1:2], v[11:12], -v[17:18]
	v_fma_f64 v[11:12], v[3:4], v[11:12], v[99:100]
	v_add_f64 v[13:14], v[93:94], v[13:14]
	v_add_f64 v[9:10], v[9:10], v[19:20]
	s_clause 0x2
	buffer_load_dword v98, off, s[0:3], 0 offset:732
	buffer_load_dword v20, off, s[0:3], 0 offset:708
	;; [unrolled: 1-line block ×3, first 2 shown]
	s_waitcnt vmcnt(58) lgkmcnt(0)
	v_mul_f64 v[93:94], v[5:6], v[27:28]
	v_mul_f64 v[27:28], v[7:8], v[27:28]
	s_waitcnt vmcnt(56)
	v_fma_f64 v[21:22], v[62:63], v[29:30], -v[21:22]
	ds_read_b128 v[1:4], v61 offset:1456
	v_add_f64 v[13:14], v[13:14], v[17:18]
	v_fma_f64 v[17:18], v[64:65], v[29:30], v[129:130]
	v_add_f64 v[29:30], v[9:10], v[11:12]
	s_clause 0x4
	buffer_load_dword v63, off, s[0:3], 0 offset:748
	buffer_load_dword v64, off, s[0:3], 0 offset:760
	buffer_load_dword v99, off, s[0:3], 0 offset:752
	buffer_load_dword v62, off, s[0:3], 0 offset:744
	buffer_load_dword v124, off, s[0:3], 0 offset:724
	ds_read_b128 v[9:12], v61 offset:1472
	s_waitcnt vmcnt(57) lgkmcnt(1)
	v_mul_f64 v[129:130], v[1:2], v[31:32]
	v_mul_f64 v[31:32], v[3:4], v[31:32]
	s_waitcnt vmcnt(56)
	v_fma_f64 v[27:28], v[5:6], v[15:16], -v[27:28]
	v_fma_f64 v[15:16], v[7:8], v[15:16], v[93:94]
	v_add_f64 v[13:14], v[13:14], v[21:22]
	s_clause 0x2
	buffer_load_dword v65, off, s[0:3], 0 offset:764
	buffer_load_dword v22, off, s[0:3], 0 offset:740
	buffer_load_dword v21, off, s[0:3], 0 offset:736
	v_add_f64 v[17:18], v[29:30], v[17:18]
	s_waitcnt vmcnt(58) lgkmcnt(0)
	v_mul_f64 v[29:30], v[9:10], v[35:36]
	v_mul_f64 v[35:36], v[11:12], v[35:36]
	ds_read_b128 v[5:8], v61 offset:1488
	s_waitcnt vmcnt(56)
	v_fma_f64 v[31:32], v[1:2], v[37:38], -v[31:32]
	v_add_f64 v[13:14], v[13:14], v[27:28]
	v_fma_f64 v[27:28], v[3:4], v[37:38], v[129:130]
	v_add_f64 v[15:16], v[17:18], v[15:16]
	s_clause 0x4
	buffer_load_dword v18, off, s[0:3], 0 offset:780
	buffer_load_dword v37, off, s[0:3], 0 offset:792
	;; [unrolled: 1-line block ×5, first 2 shown]
	s_waitcnt vmcnt(57) lgkmcnt(0)
	v_mul_f64 v[129:130], v[5:6], v[39:40]
	v_mul_f64 v[39:40], v[7:8], v[39:40]
	s_waitcnt vmcnt(56)
	v_fma_f64 v[35:36], v[9:10], v[23:24], -v[35:36]
	ds_read_b128 v[1:4], v61 offset:1504
	v_fma_f64 v[23:24], v[11:12], v[23:24], v[29:30]
	v_add_f64 v[13:14], v[13:14], v[31:32]
	v_add_f64 v[15:16], v[15:16], v[27:28]
	s_clause 0x2
	buffer_load_dword v38, off, s[0:3], 0 offset:796
	buffer_load_dword v28, off, s[0:3], 0 offset:772
	;; [unrolled: 1-line block ×3, first 2 shown]
	ds_read_b128 v[9:12], v61 offset:1520
	s_waitcnt vmcnt(58) lgkmcnt(1)
	v_mul_f64 v[31:32], v[3:4], v[43:44]
	s_waitcnt vmcnt(56)
	v_fma_f64 v[39:40], v[5:6], v[45:46], -v[39:40]
	v_mul_f64 v[29:30], v[1:2], v[43:44]
	v_add_f64 v[13:14], v[13:14], v[35:36]
	v_fma_f64 v[35:36], v[7:8], v[45:46], v[129:130]
	v_add_f64 v[15:16], v[15:16], v[23:24]
	s_clause 0x4
	buffer_load_dword v24, off, s[0:3], 0 offset:812
	buffer_load_dword v43, off, s[0:3], 0 offset:824
	buffer_load_dword v45, off, s[0:3], 0 offset:816
	buffer_load_dword v23, off, s[0:3], 0 offset:808
	buffer_load_dword v94, off, s[0:3], 0 offset:788
	s_waitcnt vmcnt(57) lgkmcnt(0)
	v_mul_f64 v[129:130], v[9:10], v[47:48]
	v_mul_f64 v[46:47], v[11:12], v[47:48]
	s_waitcnt vmcnt(56)
	v_fma_f64 v[31:32], v[1:2], v[33:34], -v[31:32]
	ds_read_b128 v[5:8], v61 offset:1536
	v_fma_f64 v[29:30], v[3:4], v[33:34], v[29:30]
	s_clause 0x2
	buffer_load_dword v44, off, s[0:3], 0 offset:828
	buffer_load_dword v34, off, s[0:3], 0 offset:804
	;; [unrolled: 1-line block ×3, first 2 shown]
	ds_read_b128 v[1:4], v61 offset:1552
	v_add_f64 v[13:14], v[13:14], v[39:40]
	v_add_f64 v[15:16], v[15:16], v[35:36]
	s_waitcnt vmcnt(58) lgkmcnt(1)
	v_mul_f64 v[39:40], v[7:8], v[51:52]
	s_waitcnt vmcnt(56)
	v_fma_f64 v[47:48], v[9:10], v[53:54], -v[46:47]
	v_mul_f64 v[35:36], v[5:6], v[51:52]
	v_add_f64 v[13:14], v[13:14], v[31:32]
	v_fma_f64 v[31:32], v[11:12], v[53:54], v[129:130]
	v_add_f64 v[15:16], v[15:16], v[29:30]
	s_clause 0x4
	buffer_load_dword v30, off, s[0:3], 0 offset:844
	buffer_load_dword v51, off, s[0:3], 0 offset:856
	;; [unrolled: 1-line block ×5, first 2 shown]
	s_waitcnt vmcnt(57) lgkmcnt(0)
	v_mul_f64 v[129:130], v[1:2], v[55:56]
	v_mul_f64 v[54:55], v[3:4], v[55:56]
	s_waitcnt vmcnt(56)
	v_fma_f64 v[39:40], v[5:6], v[41:42], -v[39:40]
	ds_read_b128 v[9:12], v61 offset:1568
	v_fma_f64 v[35:36], v[7:8], v[41:42], v[35:36]
	v_add_f64 v[13:14], v[13:14], v[47:48]
	v_add_f64 v[15:16], v[15:16], v[31:32]
	s_clause 0x2
	buffer_load_dword v52, off, s[0:3], 0 offset:860
	buffer_load_dword v32, off, s[0:3], 0 offset:836
	;; [unrolled: 1-line block ×3, first 2 shown]
	ds_read_b128 v[5:8], v61 offset:1584
	s_waitcnt vmcnt(58) lgkmcnt(1)
	v_mul_f64 v[47:48], v[11:12], v[57:58]
	s_waitcnt vmcnt(56)
	v_fma_f64 v[55:56], v[1:2], v[59:60], -v[54:55]
	v_mul_f64 v[41:42], v[9:10], v[57:58]
	v_add_f64 v[13:14], v[13:14], v[39:40]
	v_fma_f64 v[39:40], v[3:4], v[59:60], v[129:130]
	v_add_f64 v[15:16], v[15:16], v[35:36]
	s_clause 0x4
	buffer_load_dword v36, off, s[0:3], 0 offset:876
	buffer_load_dword v57, off, s[0:3], 0 offset:888
	;; [unrolled: 1-line block ×5, first 2 shown]
	s_waitcnt vmcnt(57) lgkmcnt(0)
	v_mul_f64 v[129:130], v[5:6], v[70:71]
	v_mul_f64 v[70:71], v[7:8], v[70:71]
	s_waitcnt vmcnt(56)
	v_fma_f64 v[47:48], v[9:10], v[49:50], -v[47:48]
	ds_read_b128 v[1:4], v61 offset:1600
	v_fma_f64 v[41:42], v[11:12], v[49:50], v[41:42]
	v_add_f64 v[13:14], v[13:14], v[55:56]
	v_add_f64 v[15:16], v[15:16], v[39:40]
	s_clause 0x2
	buffer_load_dword v58, off, s[0:3], 0 offset:892
	buffer_load_dword v40, off, s[0:3], 0 offset:868
	;; [unrolled: 1-line block ×3, first 2 shown]
	ds_read_b128 v[9:12], v61 offset:1616
	s_waitcnt vmcnt(58) lgkmcnt(1)
	v_mul_f64 v[55:56], v[3:4], v[109:110]
	s_waitcnt vmcnt(56)
	v_fma_f64 v[70:71], v[5:6], v[114:115], -v[70:71]
	v_mul_f64 v[49:50], v[1:2], v[109:110]
	v_add_f64 v[13:14], v[13:14], v[47:48]
	v_fma_f64 v[47:48], v[7:8], v[114:115], v[129:130]
	v_add_f64 v[15:16], v[15:16], v[41:42]
	s_clause 0x4
	buffer_load_dword v42, off, s[0:3], 0 offset:908
	buffer_load_dword v109, off, s[0:3], 0 offset:920
	;; [unrolled: 1-line block ×5, first 2 shown]
	ds_read_b128 v[5:8], v61 offset:1632
	s_waitcnt vmcnt(57) lgkmcnt(1)
	v_mul_f64 v[114:115], v[9:10], v[95:96]
	v_mul_f64 v[95:96], v[11:12], v[95:96]
	s_waitcnt vmcnt(56)
	v_fma_f64 v[55:56], v[1:2], v[111:112], -v[55:56]
	v_fma_f64 v[49:50], v[3:4], v[111:112], v[49:50]
	v_add_f64 v[13:14], v[13:14], v[70:71]
	v_add_f64 v[15:16], v[15:16], v[47:48]
	s_clause 0x2
	buffer_load_dword v110, off, s[0:3], 0 offset:924
	buffer_load_dword v48, off, s[0:3], 0 offset:900
	buffer_load_dword v47, off, s[0:3], 0 offset:896
	ds_read_b128 v[1:4], v61 offset:1648
	s_waitcnt vmcnt(58) lgkmcnt(1)
	v_mul_f64 v[111:112], v[7:8], v[125:126]
	v_mul_f64 v[70:71], v[5:6], v[125:126]
	s_waitcnt vmcnt(56)
	v_fma_f64 v[95:96], v[9:10], v[66:67], -v[95:96]
	v_add_f64 v[13:14], v[13:14], v[55:56]
	v_fma_f64 v[55:56], v[11:12], v[66:67], v[114:115]
	v_add_f64 v[15:16], v[15:16], v[49:50]
	s_clause 0x4
	buffer_load_dword v50, off, s[0:3], 0 offset:940
	buffer_load_dword v66, off, s[0:3], 0 offset:952
	;; [unrolled: 1-line block ×5, first 2 shown]
	ds_read_b128 v[9:12], v61 offset:1664
	s_waitcnt vmcnt(57) lgkmcnt(1)
	v_mul_f64 v[125:126], v[1:2], v[25:26]
	v_mul_f64 v[25:26], v[3:4], v[25:26]
	s_waitcnt vmcnt(56)
	v_fma_f64 v[111:112], v[5:6], v[127:128], -v[111:112]
	v_fma_f64 v[70:71], v[7:8], v[127:128], v[70:71]
	v_add_f64 v[13:14], v[13:14], v[95:96]
	v_add_f64 v[15:16], v[15:16], v[55:56]
	s_clause 0x2
	buffer_load_dword v67, off, s[0:3], 0 offset:956
	buffer_load_dword v56, off, s[0:3], 0 offset:932
	;; [unrolled: 1-line block ×3, first 2 shown]
	ds_read_b128 v[5:8], v61 offset:1680
	s_waitcnt vmcnt(58) lgkmcnt(1)
	v_mul_f64 v[95:96], v[9:10], v[97:98]
	v_mul_f64 v[97:98], v[11:12], v[97:98]
	s_waitcnt vmcnt(56)
	v_fma_f64 v[25:26], v[1:2], v[19:20], -v[25:26]
	v_fma_f64 v[19:20], v[3:4], v[19:20], v[125:126]
	v_add_f64 v[13:14], v[13:14], v[111:112]
	v_add_f64 v[15:16], v[15:16], v[70:71]
	s_clause 0x2
	buffer_load_dword v71, off, s[0:3], 0 offset:972
	buffer_load_dword v70, off, s[0:3], 0 offset:968
	;; [unrolled: 1-line block ×3, first 2 shown]
	ds_read_b128 v[1:4], v61 offset:1696
	s_waitcnt vmcnt(55) lgkmcnt(1)
	v_mul_f64 v[111:112], v[5:6], v[62:63]
	v_mul_f64 v[62:63], v[7:8], v[62:63]
	s_waitcnt vmcnt(54)
	v_fma_f64 v[97:98], v[9:10], v[123:124], -v[97:98]
	v_add_f64 v[13:14], v[13:14], v[25:26]
	v_fma_f64 v[25:26], v[11:12], v[123:124], v[95:96]
	v_add_f64 v[15:16], v[15:16], v[19:20]
	s_clause 0x1
	buffer_load_dword v20, off, s[0:3], 0 offset:964
	buffer_load_dword v19, off, s[0:3], 0 offset:960
	ds_read_b128 v[9:12], v61 offset:1712
	s_waitcnt vmcnt(55) lgkmcnt(1)
	v_mul_f64 v[95:96], v[1:2], v[64:65]
	v_mul_f64 v[64:65], v[3:4], v[64:65]
	s_waitcnt vmcnt(53)
	v_fma_f64 v[62:63], v[5:6], v[21:22], -v[62:63]
	v_fma_f64 v[21:22], v[7:8], v[21:22], v[111:112]
	ds_read_b128 v[5:8], v61 offset:1728
	v_add_f64 v[13:14], v[13:14], v[97:98]
	v_add_f64 v[15:16], v[15:16], v[25:26]
	s_waitcnt vmcnt(49) lgkmcnt(1)
	v_mul_f64 v[25:26], v[9:10], v[17:18]
	v_mul_f64 v[17:18], v[11:12], v[17:18]
	s_waitcnt vmcnt(48)
	v_fma_f64 v[64:65], v[1:2], v[99:100], -v[64:65]
	v_add_f64 v[13:14], v[13:14], v[62:63]
	v_fma_f64 v[62:63], v[3:4], v[99:100], v[95:96]
	v_add_f64 v[15:16], v[15:16], v[21:22]
	s_clause 0x3
	buffer_load_dword v21, off, s[0:3], 0 offset:384
	buffer_load_dword v22, off, s[0:3], 0 offset:388
	;; [unrolled: 1-line block ×4, first 2 shown]
	ds_read_b128 v[1:4], v61 offset:1744
	s_waitcnt vmcnt(51) lgkmcnt(1)
	v_mul_f64 v[97:98], v[5:6], v[37:38]
	v_mul_f64 v[37:38], v[7:8], v[37:38]
	s_waitcnt vmcnt(49)
	v_fma_f64 v[17:18], v[9:10], v[27:28], -v[17:18]
	v_fma_f64 v[25:26], v[11:12], v[27:28], v[25:26]
	ds_read_b128 v[9:12], v61 offset:1760
	v_add_f64 v[13:14], v[13:14], v[64:65]
	v_add_f64 v[15:16], v[15:16], v[62:63]
	s_waitcnt vmcnt(45) lgkmcnt(1)
	v_mul_f64 v[27:28], v[1:2], v[23:24]
	v_mul_f64 v[23:24], v[3:4], v[23:24]
	s_waitcnt vmcnt(44)
	v_fma_f64 v[37:38], v[5:6], v[93:94], -v[37:38]
	v_add_f64 v[13:14], v[13:14], v[17:18]
	v_fma_f64 v[17:18], v[7:8], v[93:94], v[97:98]
	v_add_f64 v[15:16], v[15:16], v[25:26]
	s_waitcnt vmcnt(43) lgkmcnt(0)
	v_mul_f64 v[25:26], v[9:10], v[43:44]
	v_mul_f64 v[43:44], v[11:12], v[43:44]
	ds_read_b128 v[5:8], v61 offset:1776
	s_waitcnt vmcnt(41)
	v_fma_f64 v[27:28], v[3:4], v[33:34], v[27:28]
	v_fma_f64 v[23:24], v[1:2], v[33:34], -v[23:24]
	ds_read_b128 v[1:4], v61 offset:1792
	v_add_f64 v[13:14], v[13:14], v[37:38]
	v_add_f64 v[15:16], v[15:16], v[17:18]
	s_waitcnt vmcnt(37) lgkmcnt(1)
	v_mul_f64 v[17:18], v[5:6], v[29:30]
	v_mul_f64 v[29:30], v[7:8], v[29:30]
	s_waitcnt vmcnt(36)
	v_fma_f64 v[33:34], v[9:10], v[45:46], -v[43:44]
	v_add_f64 v[13:14], v[13:14], v[23:24]
	v_fma_f64 v[23:24], v[11:12], v[45:46], v[25:26]
	v_add_f64 v[15:16], v[15:16], v[27:28]
	ds_read_b128 v[9:12], v61 offset:1808
	s_waitcnt vmcnt(35) lgkmcnt(1)
	v_mul_f64 v[27:28], v[3:4], v[51:52]
	v_mul_f64 v[25:26], v[1:2], v[51:52]
	s_waitcnt vmcnt(33)
	v_fma_f64 v[29:30], v[5:6], v[31:32], -v[29:30]
	v_fma_f64 v[17:18], v[7:8], v[31:32], v[17:18]
	ds_read_b128 v[5:8], v61 offset:1824
	v_add_f64 v[13:14], v[13:14], v[33:34]
	v_add_f64 v[15:16], v[15:16], v[23:24]
	s_waitcnt vmcnt(29) lgkmcnt(1)
	v_mul_f64 v[31:32], v[11:12], v[35:36]
	s_waitcnt vmcnt(28)
	v_fma_f64 v[27:28], v[1:2], v[53:54], -v[27:28]
	v_mul_f64 v[23:24], v[9:10], v[35:36]
	v_fma_f64 v[25:26], v[3:4], v[53:54], v[25:26]
	ds_read_b128 v[1:4], v61 offset:1840
	v_add_f64 v[13:14], v[13:14], v[29:30]
	v_add_f64 v[15:16], v[15:16], v[17:18]
	s_waitcnt vmcnt(27) lgkmcnt(1)
	v_mul_f64 v[29:30], v[7:8], v[57:58]
	v_mul_f64 v[17:18], v[5:6], v[57:58]
	s_waitcnt vmcnt(25)
	v_fma_f64 v[31:32], v[9:10], v[39:40], -v[31:32]
	v_fma_f64 v[23:24], v[11:12], v[39:40], v[23:24]
	ds_read_b128 v[9:12], v61 offset:1856
	v_add_f64 v[13:14], v[13:14], v[27:28]
	v_add_f64 v[15:16], v[15:16], v[25:26]
	s_waitcnt vmcnt(21) lgkmcnt(1)
	v_mul_f64 v[27:28], v[3:4], v[41:42]
	s_waitcnt vmcnt(20)
	v_fma_f64 v[29:30], v[5:6], v[59:60], -v[29:30]
	v_mul_f64 v[25:26], v[1:2], v[41:42]
	v_fma_f64 v[17:18], v[7:8], v[59:60], v[17:18]
	ds_read_b128 v[5:8], v61 offset:1872
	v_add_f64 v[13:14], v[13:14], v[31:32]
	v_add_f64 v[15:16], v[15:16], v[23:24]
	;; [unrolled: 18-line block ×3, first 2 shown]
	s_waitcnt vmcnt(11) lgkmcnt(1)
	v_mul_f64 v[27:28], v[3:4], v[66:67]
	v_mul_f64 v[25:26], v[1:2], v[66:67]
	s_waitcnt vmcnt(9)
	v_fma_f64 v[5:6], v[5:6], v[55:56], -v[29:30]
	v_fma_f64 v[7:8], v[7:8], v[55:56], v[17:18]
	v_add_f64 v[13:14], v[13:14], v[31:32]
	v_add_f64 v[15:16], v[15:16], v[23:24]
	s_waitcnt vmcnt(7) lgkmcnt(0)
	v_mul_f64 v[23:24], v[11:12], v[70:71]
	s_waitcnt vmcnt(6)
	v_fma_f64 v[1:2], v[1:2], v[115:116], -v[27:28]
	v_mul_f64 v[17:18], v[9:10], v[70:71]
	v_fma_f64 v[3:4], v[3:4], v[115:116], v[25:26]
	v_add_f64 v[5:6], v[13:14], v[5:6]
	v_add_f64 v[7:8], v[15:16], v[7:8]
	s_waitcnt vmcnt(4)
	v_fma_f64 v[9:10], v[9:10], v[19:20], -v[23:24]
	v_add_f64 v[1:2], v[5:6], v[1:2]
	v_fma_f64 v[5:6], v[11:12], v[19:20], v[17:18]
	v_add_f64 v[3:4], v[7:8], v[3:4]
	v_add_f64 v[1:2], v[1:2], v[9:10]
	;; [unrolled: 1-line block ×3, first 2 shown]
	s_waitcnt vmcnt(2)
	v_add_f64 v[1:2], v[21:22], -v[1:2]
	s_waitcnt vmcnt(0)
	v_add_f64 v[3:4], v[95:96], -v[3:4]
	buffer_store_dword v2, off, s[0:3], 0 offset:388
	buffer_store_dword v1, off, s[0:3], 0 offset:384
	;; [unrolled: 1-line block ×4, first 2 shown]
	v_cmpx_lt_u32_e32 22, v0
	s_cbranch_execz .LBB59_329
; %bb.328:
	v_mov_b32_e32 v4, s50
	v_mov_b32_e32 v5, 0
	s_clause 0x3
	buffer_load_dword v1, v4, s[0:3], 0 offen
	buffer_load_dword v2, v4, s[0:3], 0 offen offset:4
	buffer_load_dword v3, v4, s[0:3], 0 offen offset:8
	;; [unrolled: 1-line block ×3, first 2 shown]
	buffer_store_dword v5, off, s[0:3], 0 offset:368
	buffer_store_dword v5, off, s[0:3], 0 offset:372
	;; [unrolled: 1-line block ×4, first 2 shown]
	s_waitcnt vmcnt(0)
	ds_write_b128 v69, v[1:4]
.LBB59_329:
	s_or_b32 exec_lo, exec_lo, s4
	s_waitcnt lgkmcnt(0)
	s_waitcnt_vscnt null, 0x0
	s_barrier
	buffer_gl0_inv
	s_clause 0x37
	buffer_load_dword v9, off, s[0:3], 0 offset:392
	buffer_load_dword v10, off, s[0:3], 0 offset:396
	;; [unrolled: 1-line block ×56, first 2 shown]
	v_mov_b32_e32 v61, 0
	s_mov_b32 s4, exec_lo
	ds_read_b128 v[62:65], v61 offset:1328
	s_clause 0x2
	buffer_load_dword v58, off, s[0:3], 0 offset:620
	buffer_load_dword v60, off, s[0:3], 0 offset:596
	;; [unrolled: 1-line block ×3, first 2 shown]
	ds_read_b128 v[93:96], v61 offset:1344
	s_clause 0x4
	buffer_load_dword v71, off, s[0:3], 0 offset:636
	buffer_load_dword v109, off, s[0:3], 0 offset:648
	;; [unrolled: 1-line block ×5, first 2 shown]
	ds_read_b128 v[97:100], v61 offset:1360
	s_clause 0x2
	buffer_load_dword v110, off, s[0:3], 0 offset:652
	buffer_load_dword v115, off, s[0:3], 0 offset:628
	;; [unrolled: 1-line block ×3, first 2 shown]
	s_waitcnt vmcnt(62) lgkmcnt(2)
	v_mul_f64 v[66:67], v[64:65], v[9:10]
	v_mul_f64 v[9:10], v[62:63], v[9:10]
	s_waitcnt lgkmcnt(1)
	v_mul_f64 v[112:113], v[95:96], v[5:6]
	s_waitcnt vmcnt(59) lgkmcnt(0)
	v_mul_f64 v[123:124], v[99:100], v[3:4]
	v_fma_f64 v[62:63], v[62:63], v[7:8], -v[66:67]
	v_mul_f64 v[66:67], v[93:94], v[5:6]
	v_fma_f64 v[9:10], v[64:65], v[7:8], v[9:10]
	s_waitcnt vmcnt(57)
	v_fma_f64 v[93:94], v[93:94], v[1:2], -v[112:113]
	ds_read_b128 v[5:8], v61 offset:1376
	v_mul_f64 v[64:65], v[97:98], v[3:4]
	s_waitcnt vmcnt(51)
	v_fma_f64 v[97:98], v[97:98], v[25:26], -v[123:124]
	v_add_f64 v[62:63], v[62:63], 0
	v_fma_f64 v[66:67], v[95:96], v[1:2], v[66:67]
	v_add_f64 v[9:10], v[9:10], 0
	s_clause 0x4
	buffer_load_dword v96, off, s[0:3], 0 offset:668
	buffer_load_dword v125, off, s[0:3], 0 offset:680
	;; [unrolled: 1-line block ×5, first 2 shown]
	s_waitcnt lgkmcnt(0)
	v_mul_f64 v[128:129], v[5:6], v[13:14]
	v_mul_f64 v[13:14], v[7:8], v[13:14]
	ds_read_b128 v[1:4], v61 offset:1392
	v_fma_f64 v[25:26], v[99:100], v[25:26], v[64:65]
	v_add_f64 v[93:94], v[62:63], v[93:94]
	v_add_f64 v[9:10], v[9:10], v[66:67]
	s_clause 0x2
	buffer_load_dword v126, off, s[0:3], 0 offset:684
	buffer_load_dword v67, off, s[0:3], 0 offset:660
	;; [unrolled: 1-line block ×3, first 2 shown]
	s_waitcnt vmcnt(58) lgkmcnt(0)
	v_mul_f64 v[99:100], v[1:2], v[17:18]
	v_mul_f64 v[17:18], v[3:4], v[17:18]
	s_waitcnt vmcnt(56)
	v_fma_f64 v[13:14], v[5:6], v[19:20], -v[13:14]
	ds_read_b128 v[62:65], v61 offset:1408
	v_fma_f64 v[19:20], v[7:8], v[19:20], v[128:129]
	v_add_f64 v[93:94], v[93:94], v[97:98]
	v_add_f64 v[9:10], v[9:10], v[25:26]
	s_clause 0x4
	buffer_load_dword v26, off, s[0:3], 0 offset:700
	buffer_load_dword v97, off, s[0:3], 0 offset:712
	;; [unrolled: 1-line block ×5, first 2 shown]
	ds_read_b128 v[5:8], v61 offset:1424
	s_waitcnt vmcnt(57) lgkmcnt(1)
	v_mul_f64 v[129:130], v[62:63], v[21:22]
	v_mul_f64 v[21:22], v[64:65], v[21:22]
	s_waitcnt vmcnt(56)
	v_fma_f64 v[17:18], v[1:2], v[11:12], -v[17:18]
	v_fma_f64 v[11:12], v[3:4], v[11:12], v[99:100]
	v_add_f64 v[13:14], v[93:94], v[13:14]
	v_add_f64 v[9:10], v[9:10], v[19:20]
	s_clause 0x2
	buffer_load_dword v98, off, s[0:3], 0 offset:716
	buffer_load_dword v20, off, s[0:3], 0 offset:692
	;; [unrolled: 1-line block ×3, first 2 shown]
	s_waitcnt vmcnt(58) lgkmcnt(0)
	v_mul_f64 v[93:94], v[5:6], v[27:28]
	v_mul_f64 v[27:28], v[7:8], v[27:28]
	s_waitcnt vmcnt(56)
	v_fma_f64 v[21:22], v[62:63], v[29:30], -v[21:22]
	ds_read_b128 v[1:4], v61 offset:1440
	v_add_f64 v[13:14], v[13:14], v[17:18]
	v_fma_f64 v[17:18], v[64:65], v[29:30], v[129:130]
	v_add_f64 v[29:30], v[9:10], v[11:12]
	s_clause 0x4
	buffer_load_dword v63, off, s[0:3], 0 offset:732
	buffer_load_dword v64, off, s[0:3], 0 offset:744
	;; [unrolled: 1-line block ×5, first 2 shown]
	ds_read_b128 v[9:12], v61 offset:1456
	s_waitcnt vmcnt(57) lgkmcnt(1)
	v_mul_f64 v[129:130], v[1:2], v[31:32]
	v_mul_f64 v[31:32], v[3:4], v[31:32]
	s_waitcnt vmcnt(56)
	v_fma_f64 v[27:28], v[5:6], v[15:16], -v[27:28]
	v_fma_f64 v[15:16], v[7:8], v[15:16], v[93:94]
	v_add_f64 v[13:14], v[13:14], v[21:22]
	s_clause 0x2
	buffer_load_dword v65, off, s[0:3], 0 offset:748
	buffer_load_dword v22, off, s[0:3], 0 offset:724
	;; [unrolled: 1-line block ×3, first 2 shown]
	v_add_f64 v[17:18], v[29:30], v[17:18]
	s_waitcnt vmcnt(58) lgkmcnt(0)
	v_mul_f64 v[29:30], v[9:10], v[35:36]
	v_mul_f64 v[35:36], v[11:12], v[35:36]
	ds_read_b128 v[5:8], v61 offset:1472
	s_waitcnt vmcnt(56)
	v_fma_f64 v[31:32], v[1:2], v[37:38], -v[31:32]
	v_add_f64 v[13:14], v[13:14], v[27:28]
	v_fma_f64 v[27:28], v[3:4], v[37:38], v[129:130]
	v_add_f64 v[15:16], v[17:18], v[15:16]
	s_clause 0x4
	buffer_load_dword v18, off, s[0:3], 0 offset:764
	buffer_load_dword v37, off, s[0:3], 0 offset:776
	;; [unrolled: 1-line block ×5, first 2 shown]
	s_waitcnt vmcnt(57) lgkmcnt(0)
	v_mul_f64 v[129:130], v[5:6], v[39:40]
	v_mul_f64 v[39:40], v[7:8], v[39:40]
	s_waitcnt vmcnt(56)
	v_fma_f64 v[35:36], v[9:10], v[23:24], -v[35:36]
	ds_read_b128 v[1:4], v61 offset:1488
	v_fma_f64 v[23:24], v[11:12], v[23:24], v[29:30]
	v_add_f64 v[13:14], v[13:14], v[31:32]
	v_add_f64 v[15:16], v[15:16], v[27:28]
	s_clause 0x2
	buffer_load_dword v38, off, s[0:3], 0 offset:780
	buffer_load_dword v28, off, s[0:3], 0 offset:756
	;; [unrolled: 1-line block ×3, first 2 shown]
	ds_read_b128 v[9:12], v61 offset:1504
	s_waitcnt vmcnt(58) lgkmcnt(1)
	v_mul_f64 v[31:32], v[3:4], v[43:44]
	s_waitcnt vmcnt(56)
	v_fma_f64 v[39:40], v[5:6], v[45:46], -v[39:40]
	v_mul_f64 v[29:30], v[1:2], v[43:44]
	v_add_f64 v[13:14], v[13:14], v[35:36]
	v_fma_f64 v[35:36], v[7:8], v[45:46], v[129:130]
	v_add_f64 v[15:16], v[15:16], v[23:24]
	s_clause 0x4
	buffer_load_dword v24, off, s[0:3], 0 offset:796
	buffer_load_dword v43, off, s[0:3], 0 offset:808
	buffer_load_dword v45, off, s[0:3], 0 offset:800
	buffer_load_dword v23, off, s[0:3], 0 offset:792
	buffer_load_dword v94, off, s[0:3], 0 offset:772
	s_waitcnt vmcnt(57) lgkmcnt(0)
	v_mul_f64 v[129:130], v[9:10], v[47:48]
	v_mul_f64 v[46:47], v[11:12], v[47:48]
	s_waitcnt vmcnt(56)
	v_fma_f64 v[31:32], v[1:2], v[33:34], -v[31:32]
	ds_read_b128 v[5:8], v61 offset:1520
	v_fma_f64 v[29:30], v[3:4], v[33:34], v[29:30]
	s_clause 0x2
	buffer_load_dword v44, off, s[0:3], 0 offset:812
	buffer_load_dword v34, off, s[0:3], 0 offset:788
	;; [unrolled: 1-line block ×3, first 2 shown]
	ds_read_b128 v[1:4], v61 offset:1536
	v_add_f64 v[13:14], v[13:14], v[39:40]
	v_add_f64 v[15:16], v[15:16], v[35:36]
	s_waitcnt vmcnt(58) lgkmcnt(1)
	v_mul_f64 v[39:40], v[7:8], v[51:52]
	s_waitcnt vmcnt(56)
	v_fma_f64 v[47:48], v[9:10], v[53:54], -v[46:47]
	v_mul_f64 v[35:36], v[5:6], v[51:52]
	v_add_f64 v[13:14], v[13:14], v[31:32]
	v_fma_f64 v[31:32], v[11:12], v[53:54], v[129:130]
	v_add_f64 v[15:16], v[15:16], v[29:30]
	s_clause 0x4
	buffer_load_dword v30, off, s[0:3], 0 offset:828
	buffer_load_dword v51, off, s[0:3], 0 offset:840
	;; [unrolled: 1-line block ×5, first 2 shown]
	s_waitcnt vmcnt(57) lgkmcnt(0)
	v_mul_f64 v[129:130], v[1:2], v[55:56]
	v_mul_f64 v[54:55], v[3:4], v[55:56]
	s_waitcnt vmcnt(56)
	v_fma_f64 v[39:40], v[5:6], v[41:42], -v[39:40]
	ds_read_b128 v[9:12], v61 offset:1552
	v_fma_f64 v[35:36], v[7:8], v[41:42], v[35:36]
	v_add_f64 v[13:14], v[13:14], v[47:48]
	v_add_f64 v[15:16], v[15:16], v[31:32]
	s_clause 0x2
	buffer_load_dword v52, off, s[0:3], 0 offset:844
	buffer_load_dword v32, off, s[0:3], 0 offset:820
	;; [unrolled: 1-line block ×3, first 2 shown]
	ds_read_b128 v[5:8], v61 offset:1568
	s_waitcnt vmcnt(58) lgkmcnt(1)
	v_mul_f64 v[47:48], v[11:12], v[57:58]
	s_waitcnt vmcnt(56)
	v_fma_f64 v[55:56], v[1:2], v[59:60], -v[54:55]
	v_mul_f64 v[41:42], v[9:10], v[57:58]
	v_add_f64 v[13:14], v[13:14], v[39:40]
	v_fma_f64 v[39:40], v[3:4], v[59:60], v[129:130]
	v_add_f64 v[15:16], v[15:16], v[35:36]
	s_clause 0x4
	buffer_load_dword v36, off, s[0:3], 0 offset:860
	buffer_load_dword v57, off, s[0:3], 0 offset:872
	;; [unrolled: 1-line block ×5, first 2 shown]
	s_waitcnt vmcnt(57) lgkmcnt(0)
	v_mul_f64 v[129:130], v[5:6], v[70:71]
	v_mul_f64 v[70:71], v[7:8], v[70:71]
	s_waitcnt vmcnt(56)
	v_fma_f64 v[47:48], v[9:10], v[49:50], -v[47:48]
	ds_read_b128 v[1:4], v61 offset:1584
	v_fma_f64 v[41:42], v[11:12], v[49:50], v[41:42]
	v_add_f64 v[13:14], v[13:14], v[55:56]
	v_add_f64 v[15:16], v[15:16], v[39:40]
	s_clause 0x2
	buffer_load_dword v58, off, s[0:3], 0 offset:876
	buffer_load_dword v40, off, s[0:3], 0 offset:852
	;; [unrolled: 1-line block ×3, first 2 shown]
	ds_read_b128 v[9:12], v61 offset:1600
	s_waitcnt vmcnt(58) lgkmcnt(1)
	v_mul_f64 v[55:56], v[3:4], v[109:110]
	s_waitcnt vmcnt(56)
	v_fma_f64 v[70:71], v[5:6], v[114:115], -v[70:71]
	v_mul_f64 v[49:50], v[1:2], v[109:110]
	v_add_f64 v[13:14], v[13:14], v[47:48]
	v_fma_f64 v[47:48], v[7:8], v[114:115], v[129:130]
	v_add_f64 v[15:16], v[15:16], v[41:42]
	s_clause 0x4
	buffer_load_dword v42, off, s[0:3], 0 offset:892
	buffer_load_dword v109, off, s[0:3], 0 offset:904
	;; [unrolled: 1-line block ×5, first 2 shown]
	ds_read_b128 v[5:8], v61 offset:1616
	s_waitcnt vmcnt(57) lgkmcnt(1)
	v_mul_f64 v[114:115], v[9:10], v[95:96]
	v_mul_f64 v[95:96], v[11:12], v[95:96]
	s_waitcnt vmcnt(56)
	v_fma_f64 v[55:56], v[1:2], v[111:112], -v[55:56]
	v_fma_f64 v[49:50], v[3:4], v[111:112], v[49:50]
	v_add_f64 v[13:14], v[13:14], v[70:71]
	v_add_f64 v[15:16], v[15:16], v[47:48]
	s_clause 0x2
	buffer_load_dword v110, off, s[0:3], 0 offset:908
	buffer_load_dword v48, off, s[0:3], 0 offset:884
	;; [unrolled: 1-line block ×3, first 2 shown]
	ds_read_b128 v[1:4], v61 offset:1632
	s_waitcnt vmcnt(58) lgkmcnt(1)
	v_mul_f64 v[111:112], v[7:8], v[125:126]
	v_mul_f64 v[70:71], v[5:6], v[125:126]
	s_waitcnt vmcnt(56)
	v_fma_f64 v[95:96], v[9:10], v[66:67], -v[95:96]
	v_add_f64 v[13:14], v[13:14], v[55:56]
	v_fma_f64 v[55:56], v[11:12], v[66:67], v[114:115]
	v_add_f64 v[15:16], v[15:16], v[49:50]
	s_clause 0x4
	buffer_load_dword v50, off, s[0:3], 0 offset:924
	buffer_load_dword v66, off, s[0:3], 0 offset:936
	;; [unrolled: 1-line block ×5, first 2 shown]
	ds_read_b128 v[9:12], v61 offset:1648
	s_waitcnt vmcnt(57) lgkmcnt(1)
	v_mul_f64 v[125:126], v[1:2], v[25:26]
	v_mul_f64 v[25:26], v[3:4], v[25:26]
	s_waitcnt vmcnt(56)
	v_fma_f64 v[111:112], v[5:6], v[127:128], -v[111:112]
	v_fma_f64 v[70:71], v[7:8], v[127:128], v[70:71]
	v_add_f64 v[13:14], v[13:14], v[95:96]
	v_add_f64 v[15:16], v[15:16], v[55:56]
	s_clause 0x2
	buffer_load_dword v67, off, s[0:3], 0 offset:940
	buffer_load_dword v56, off, s[0:3], 0 offset:916
	;; [unrolled: 1-line block ×3, first 2 shown]
	ds_read_b128 v[5:8], v61 offset:1664
	s_waitcnt vmcnt(58) lgkmcnt(1)
	v_mul_f64 v[95:96], v[9:10], v[97:98]
	v_mul_f64 v[97:98], v[11:12], v[97:98]
	s_waitcnt vmcnt(56)
	v_fma_f64 v[25:26], v[1:2], v[19:20], -v[25:26]
	v_fma_f64 v[19:20], v[3:4], v[19:20], v[125:126]
	v_add_f64 v[13:14], v[13:14], v[111:112]
	v_add_f64 v[15:16], v[15:16], v[70:71]
	s_clause 0x4
	buffer_load_dword v71, off, s[0:3], 0 offset:956
	buffer_load_dword v111, off, s[0:3], 0 offset:968
	;; [unrolled: 1-line block ×5, first 2 shown]
	ds_read_b128 v[1:4], v61 offset:1680
	s_waitcnt vmcnt(57) lgkmcnt(1)
	v_mul_f64 v[126:127], v[5:6], v[62:63]
	v_mul_f64 v[62:63], v[7:8], v[62:63]
	s_waitcnt vmcnt(56)
	v_fma_f64 v[97:98], v[9:10], v[123:124], -v[97:98]
	v_add_f64 v[13:14], v[13:14], v[25:26]
	v_fma_f64 v[25:26], v[11:12], v[123:124], v[95:96]
	v_add_f64 v[15:16], v[15:16], v[19:20]
	s_clause 0x2
	buffer_load_dword v112, off, s[0:3], 0 offset:972
	buffer_load_dword v20, off, s[0:3], 0 offset:948
	buffer_load_dword v19, off, s[0:3], 0 offset:944
	ds_read_b128 v[9:12], v61 offset:1696
	s_waitcnt vmcnt(58) lgkmcnt(1)
	v_mul_f64 v[95:96], v[1:2], v[64:65]
	v_mul_f64 v[64:65], v[3:4], v[64:65]
	s_waitcnt vmcnt(56)
	v_fma_f64 v[62:63], v[5:6], v[21:22], -v[62:63]
	v_fma_f64 v[21:22], v[7:8], v[21:22], v[126:127]
	buffer_load_dword v126, off, s[0:3], 0 offset:964
	ds_read_b128 v[5:8], v61 offset:1712
	v_add_f64 v[13:14], v[13:14], v[97:98]
	v_add_f64 v[15:16], v[15:16], v[25:26]
	s_waitcnt vmcnt(53) lgkmcnt(1)
	v_mul_f64 v[25:26], v[9:10], v[17:18]
	v_mul_f64 v[17:18], v[11:12], v[17:18]
	s_waitcnt vmcnt(52)
	v_fma_f64 v[64:65], v[1:2], v[99:100], -v[64:65]
	v_add_f64 v[13:14], v[13:14], v[62:63]
	v_fma_f64 v[62:63], v[3:4], v[99:100], v[95:96]
	v_add_f64 v[15:16], v[15:16], v[21:22]
	ds_read_b128 v[1:4], v61 offset:1728
	s_waitcnt vmcnt(51) lgkmcnt(1)
	v_mul_f64 v[21:22], v[5:6], v[37:38]
	v_mul_f64 v[37:38], v[7:8], v[37:38]
	s_waitcnt vmcnt(49)
	v_fma_f64 v[17:18], v[9:10], v[27:28], -v[17:18]
	v_fma_f64 v[25:26], v[11:12], v[27:28], v[25:26]
	v_add_f64 v[13:14], v[13:14], v[64:65]
	v_add_f64 v[15:16], v[15:16], v[62:63]
	s_clause 0x3
	buffer_load_dword v27, off, s[0:3], 0 offset:368
	buffer_load_dword v28, off, s[0:3], 0 offset:372
	;; [unrolled: 1-line block ×4, first 2 shown]
	ds_read_b128 v[9:12], v61 offset:1744
	s_waitcnt vmcnt(49) lgkmcnt(1)
	v_mul_f64 v[64:65], v[1:2], v[23:24]
	v_mul_f64 v[23:24], v[3:4], v[23:24]
	s_waitcnt vmcnt(48)
	v_fma_f64 v[37:38], v[5:6], v[93:94], -v[37:38]
	v_add_f64 v[13:14], v[13:14], v[17:18]
	v_fma_f64 v[17:18], v[7:8], v[93:94], v[21:22]
	v_add_f64 v[15:16], v[15:16], v[25:26]
	ds_read_b128 v[5:8], v61 offset:1760
	s_waitcnt vmcnt(47) lgkmcnt(1)
	v_mul_f64 v[25:26], v[11:12], v[43:44]
	v_mul_f64 v[21:22], v[9:10], v[43:44]
	s_waitcnt vmcnt(45)
	v_fma_f64 v[23:24], v[1:2], v[33:34], -v[23:24]
	v_fma_f64 v[33:34], v[3:4], v[33:34], v[64:65]
	ds_read_b128 v[1:4], v61 offset:1776
	v_add_f64 v[13:14], v[13:14], v[37:38]
	v_add_f64 v[15:16], v[15:16], v[17:18]
	s_waitcnt vmcnt(41) lgkmcnt(1)
	v_mul_f64 v[17:18], v[5:6], v[29:30]
	v_mul_f64 v[29:30], v[7:8], v[29:30]
	s_waitcnt vmcnt(40)
	v_fma_f64 v[25:26], v[9:10], v[45:46], -v[25:26]
	v_fma_f64 v[21:22], v[11:12], v[45:46], v[21:22]
	ds_read_b128 v[9:12], v61 offset:1792
	v_add_f64 v[13:14], v[13:14], v[23:24]
	v_add_f64 v[15:16], v[15:16], v[33:34]
	;; [unrolled: 9-line block ×3, first 2 shown]
	s_waitcnt vmcnt(33) lgkmcnt(1)
	v_mul_f64 v[25:26], v[11:12], v[35:36]
	s_waitcnt vmcnt(32)
	v_fma_f64 v[31:32], v[1:2], v[53:54], -v[33:34]
	v_mul_f64 v[21:22], v[9:10], v[35:36]
	v_fma_f64 v[23:24], v[3:4], v[53:54], v[23:24]
	ds_read_b128 v[1:4], v61 offset:1824
	v_add_f64 v[13:14], v[13:14], v[29:30]
	v_add_f64 v[15:16], v[15:16], v[17:18]
	s_waitcnt vmcnt(31) lgkmcnt(1)
	v_mul_f64 v[29:30], v[7:8], v[57:58]
	v_mul_f64 v[17:18], v[5:6], v[57:58]
	s_waitcnt vmcnt(29)
	v_fma_f64 v[25:26], v[9:10], v[39:40], -v[25:26]
	v_fma_f64 v[21:22], v[11:12], v[39:40], v[21:22]
	ds_read_b128 v[9:12], v61 offset:1840
	v_add_f64 v[13:14], v[13:14], v[31:32]
	v_add_f64 v[15:16], v[15:16], v[23:24]
	s_waitcnt vmcnt(25) lgkmcnt(1)
	v_mul_f64 v[31:32], v[3:4], v[41:42]
	s_waitcnt vmcnt(24)
	v_fma_f64 v[29:30], v[5:6], v[59:60], -v[29:30]
	v_mul_f64 v[23:24], v[1:2], v[41:42]
	v_fma_f64 v[17:18], v[7:8], v[59:60], v[17:18]
	ds_read_b128 v[5:8], v61 offset:1856
	v_add_f64 v[13:14], v[13:14], v[25:26]
	v_add_f64 v[15:16], v[15:16], v[21:22]
	s_waitcnt vmcnt(23) lgkmcnt(1)
	v_mul_f64 v[25:26], v[11:12], v[109:110]
	v_mul_f64 v[21:22], v[9:10], v[109:110]
	s_waitcnt vmcnt(21)
	v_fma_f64 v[31:32], v[1:2], v[47:48], -v[31:32]
	v_fma_f64 v[23:24], v[3:4], v[47:48], v[23:24]
	ds_read_b128 v[1:4], v61 offset:1872
	v_add_f64 v[13:14], v[13:14], v[29:30]
	v_add_f64 v[15:16], v[15:16], v[17:18]
	;; [unrolled: 18-line block ×3, first 2 shown]
	s_waitcnt vmcnt(9) lgkmcnt(1)
	v_mul_f64 v[25:26], v[11:12], v[70:71]
	s_waitcnt vmcnt(8)
	v_fma_f64 v[1:2], v[1:2], v[115:116], -v[31:32]
	v_mul_f64 v[21:22], v[9:10], v[70:71]
	v_fma_f64 v[3:4], v[3:4], v[115:116], v[23:24]
	v_add_f64 v[13:14], v[13:14], v[29:30]
	v_add_f64 v[15:16], v[15:16], v[17:18]
	s_waitcnt vmcnt(7) lgkmcnt(0)
	v_mul_f64 v[23:24], v[7:8], v[111:112]
	v_mul_f64 v[17:18], v[5:6], v[111:112]
	s_waitcnt vmcnt(5)
	v_fma_f64 v[9:10], v[9:10], v[19:20], -v[25:26]
	v_fma_f64 v[11:12], v[11:12], v[19:20], v[21:22]
	v_add_f64 v[1:2], v[13:14], v[1:2]
	v_add_f64 v[3:4], v[15:16], v[3:4]
	s_waitcnt vmcnt(4)
	v_fma_f64 v[5:6], v[5:6], v[125:126], -v[23:24]
	v_fma_f64 v[7:8], v[7:8], v[125:126], v[17:18]
	v_add_f64 v[1:2], v[1:2], v[9:10]
	v_add_f64 v[3:4], v[3:4], v[11:12]
	;; [unrolled: 1-line block ×4, first 2 shown]
	s_waitcnt vmcnt(2)
	v_add_f64 v[1:2], v[27:28], -v[1:2]
	s_waitcnt vmcnt(0)
	v_add_f64 v[3:4], v[62:63], -v[3:4]
	buffer_store_dword v2, off, s[0:3], 0 offset:372
	buffer_store_dword v1, off, s[0:3], 0 offset:368
	;; [unrolled: 1-line block ×4, first 2 shown]
	v_cmpx_lt_u32_e32 21, v0
	s_cbranch_execz .LBB59_331
; %bb.330:
	v_mov_b32_e32 v4, s51
	s_clause 0x3
	buffer_load_dword v1, v4, s[0:3], 0 offen
	buffer_load_dword v2, v4, s[0:3], 0 offen offset:4
	buffer_load_dword v3, v4, s[0:3], 0 offen offset:8
	;; [unrolled: 1-line block ×3, first 2 shown]
	buffer_store_dword v61, off, s[0:3], 0 offset:352
	buffer_store_dword v61, off, s[0:3], 0 offset:356
	;; [unrolled: 1-line block ×4, first 2 shown]
	s_waitcnt vmcnt(0)
	ds_write_b128 v69, v[1:4]
.LBB59_331:
	s_or_b32 exec_lo, exec_lo, s4
	s_waitcnt lgkmcnt(0)
	s_waitcnt_vscnt null, 0x0
	s_barrier
	buffer_gl0_inv
	s_clause 0x37
	buffer_load_dword v9, off, s[0:3], 0 offset:376
	buffer_load_dword v10, off, s[0:3], 0 offset:380
	;; [unrolled: 1-line block ×56, first 2 shown]
	ds_read_b128 v[62:65], v61 offset:1312
	s_clause 0x2
	buffer_load_dword v58, off, s[0:3], 0 offset:604
	buffer_load_dword v60, off, s[0:3], 0 offset:580
	;; [unrolled: 1-line block ×3, first 2 shown]
	ds_read_b128 v[93:96], v61 offset:1328
	s_clause 0x4
	buffer_load_dword v71, off, s[0:3], 0 offset:620
	buffer_load_dword v109, off, s[0:3], 0 offset:632
	;; [unrolled: 1-line block ×5, first 2 shown]
	ds_read_b128 v[97:100], v61 offset:1344
	s_clause 0x2
	buffer_load_dword v110, off, s[0:3], 0 offset:636
	buffer_load_dword v115, off, s[0:3], 0 offset:612
	;; [unrolled: 1-line block ×3, first 2 shown]
	s_mov_b32 s4, exec_lo
	s_waitcnt vmcnt(62) lgkmcnt(2)
	v_mul_f64 v[66:67], v[64:65], v[9:10]
	v_mul_f64 v[9:10], v[62:63], v[9:10]
	s_waitcnt lgkmcnt(1)
	v_mul_f64 v[112:113], v[95:96], v[5:6]
	s_waitcnt vmcnt(59) lgkmcnt(0)
	v_mul_f64 v[123:124], v[99:100], v[3:4]
	v_fma_f64 v[62:63], v[62:63], v[7:8], -v[66:67]
	v_mul_f64 v[66:67], v[93:94], v[5:6]
	v_fma_f64 v[9:10], v[64:65], v[7:8], v[9:10]
	s_waitcnt vmcnt(57)
	v_fma_f64 v[93:94], v[93:94], v[1:2], -v[112:113]
	ds_read_b128 v[5:8], v61 offset:1360
	v_mul_f64 v[64:65], v[97:98], v[3:4]
	s_waitcnt vmcnt(51)
	v_fma_f64 v[97:98], v[97:98], v[25:26], -v[123:124]
	v_add_f64 v[62:63], v[62:63], 0
	v_fma_f64 v[66:67], v[95:96], v[1:2], v[66:67]
	v_add_f64 v[9:10], v[9:10], 0
	s_clause 0x4
	buffer_load_dword v96, off, s[0:3], 0 offset:652
	buffer_load_dword v125, off, s[0:3], 0 offset:664
	;; [unrolled: 1-line block ×5, first 2 shown]
	s_waitcnt lgkmcnt(0)
	v_mul_f64 v[128:129], v[5:6], v[13:14]
	v_mul_f64 v[13:14], v[7:8], v[13:14]
	ds_read_b128 v[1:4], v61 offset:1376
	v_fma_f64 v[25:26], v[99:100], v[25:26], v[64:65]
	v_add_f64 v[93:94], v[62:63], v[93:94]
	v_add_f64 v[9:10], v[9:10], v[66:67]
	s_clause 0x2
	buffer_load_dword v126, off, s[0:3], 0 offset:668
	buffer_load_dword v67, off, s[0:3], 0 offset:644
	;; [unrolled: 1-line block ×3, first 2 shown]
	s_waitcnt vmcnt(58) lgkmcnt(0)
	v_mul_f64 v[99:100], v[1:2], v[17:18]
	v_mul_f64 v[17:18], v[3:4], v[17:18]
	s_waitcnt vmcnt(56)
	v_fma_f64 v[13:14], v[5:6], v[19:20], -v[13:14]
	ds_read_b128 v[62:65], v61 offset:1392
	v_fma_f64 v[19:20], v[7:8], v[19:20], v[128:129]
	v_add_f64 v[93:94], v[93:94], v[97:98]
	v_add_f64 v[9:10], v[9:10], v[25:26]
	s_clause 0x4
	buffer_load_dword v26, off, s[0:3], 0 offset:684
	buffer_load_dword v97, off, s[0:3], 0 offset:696
	;; [unrolled: 1-line block ×5, first 2 shown]
	ds_read_b128 v[5:8], v61 offset:1408
	s_waitcnt vmcnt(57) lgkmcnt(1)
	v_mul_f64 v[129:130], v[62:63], v[21:22]
	v_mul_f64 v[21:22], v[64:65], v[21:22]
	s_waitcnt vmcnt(56)
	v_fma_f64 v[17:18], v[1:2], v[11:12], -v[17:18]
	v_fma_f64 v[11:12], v[3:4], v[11:12], v[99:100]
	v_add_f64 v[13:14], v[93:94], v[13:14]
	v_add_f64 v[9:10], v[9:10], v[19:20]
	s_clause 0x2
	buffer_load_dword v98, off, s[0:3], 0 offset:700
	buffer_load_dword v20, off, s[0:3], 0 offset:676
	;; [unrolled: 1-line block ×3, first 2 shown]
	s_waitcnt vmcnt(58) lgkmcnt(0)
	v_mul_f64 v[93:94], v[5:6], v[27:28]
	v_mul_f64 v[27:28], v[7:8], v[27:28]
	s_waitcnt vmcnt(56)
	v_fma_f64 v[21:22], v[62:63], v[29:30], -v[21:22]
	ds_read_b128 v[1:4], v61 offset:1424
	v_add_f64 v[13:14], v[13:14], v[17:18]
	v_fma_f64 v[17:18], v[64:65], v[29:30], v[129:130]
	v_add_f64 v[29:30], v[9:10], v[11:12]
	s_clause 0x4
	buffer_load_dword v63, off, s[0:3], 0 offset:716
	buffer_load_dword v64, off, s[0:3], 0 offset:728
	;; [unrolled: 1-line block ×5, first 2 shown]
	ds_read_b128 v[9:12], v61 offset:1440
	s_waitcnt vmcnt(57) lgkmcnt(1)
	v_mul_f64 v[129:130], v[1:2], v[31:32]
	v_mul_f64 v[31:32], v[3:4], v[31:32]
	s_waitcnt vmcnt(56)
	v_fma_f64 v[27:28], v[5:6], v[15:16], -v[27:28]
	v_fma_f64 v[15:16], v[7:8], v[15:16], v[93:94]
	v_add_f64 v[13:14], v[13:14], v[21:22]
	s_clause 0x2
	buffer_load_dword v65, off, s[0:3], 0 offset:732
	buffer_load_dword v22, off, s[0:3], 0 offset:708
	;; [unrolled: 1-line block ×3, first 2 shown]
	v_add_f64 v[17:18], v[29:30], v[17:18]
	s_waitcnt vmcnt(58) lgkmcnt(0)
	v_mul_f64 v[29:30], v[9:10], v[35:36]
	v_mul_f64 v[35:36], v[11:12], v[35:36]
	ds_read_b128 v[5:8], v61 offset:1456
	s_waitcnt vmcnt(56)
	v_fma_f64 v[31:32], v[1:2], v[37:38], -v[31:32]
	v_add_f64 v[13:14], v[13:14], v[27:28]
	v_fma_f64 v[27:28], v[3:4], v[37:38], v[129:130]
	v_add_f64 v[15:16], v[17:18], v[15:16]
	s_clause 0x4
	buffer_load_dword v18, off, s[0:3], 0 offset:748
	buffer_load_dword v37, off, s[0:3], 0 offset:760
	;; [unrolled: 1-line block ×5, first 2 shown]
	s_waitcnt vmcnt(57) lgkmcnt(0)
	v_mul_f64 v[129:130], v[5:6], v[39:40]
	v_mul_f64 v[39:40], v[7:8], v[39:40]
	s_waitcnt vmcnt(56)
	v_fma_f64 v[35:36], v[9:10], v[23:24], -v[35:36]
	ds_read_b128 v[1:4], v61 offset:1472
	v_fma_f64 v[23:24], v[11:12], v[23:24], v[29:30]
	v_add_f64 v[13:14], v[13:14], v[31:32]
	v_add_f64 v[15:16], v[15:16], v[27:28]
	s_clause 0x2
	buffer_load_dword v38, off, s[0:3], 0 offset:764
	buffer_load_dword v28, off, s[0:3], 0 offset:740
	;; [unrolled: 1-line block ×3, first 2 shown]
	ds_read_b128 v[9:12], v61 offset:1488
	s_waitcnt vmcnt(58) lgkmcnt(1)
	v_mul_f64 v[31:32], v[3:4], v[43:44]
	s_waitcnt vmcnt(56)
	v_fma_f64 v[39:40], v[5:6], v[45:46], -v[39:40]
	v_mul_f64 v[29:30], v[1:2], v[43:44]
	v_add_f64 v[13:14], v[13:14], v[35:36]
	v_fma_f64 v[35:36], v[7:8], v[45:46], v[129:130]
	v_add_f64 v[15:16], v[15:16], v[23:24]
	s_clause 0x4
	buffer_load_dword v24, off, s[0:3], 0 offset:780
	buffer_load_dword v43, off, s[0:3], 0 offset:792
	;; [unrolled: 1-line block ×5, first 2 shown]
	s_waitcnt vmcnt(57) lgkmcnt(0)
	v_mul_f64 v[129:130], v[9:10], v[47:48]
	v_mul_f64 v[46:47], v[11:12], v[47:48]
	s_waitcnt vmcnt(56)
	v_fma_f64 v[31:32], v[1:2], v[33:34], -v[31:32]
	ds_read_b128 v[5:8], v61 offset:1504
	v_fma_f64 v[29:30], v[3:4], v[33:34], v[29:30]
	s_clause 0x2
	buffer_load_dword v44, off, s[0:3], 0 offset:796
	buffer_load_dword v34, off, s[0:3], 0 offset:772
	;; [unrolled: 1-line block ×3, first 2 shown]
	ds_read_b128 v[1:4], v61 offset:1520
	v_add_f64 v[13:14], v[13:14], v[39:40]
	v_add_f64 v[15:16], v[15:16], v[35:36]
	s_waitcnt vmcnt(58) lgkmcnt(1)
	v_mul_f64 v[39:40], v[7:8], v[51:52]
	s_waitcnt vmcnt(56)
	v_fma_f64 v[47:48], v[9:10], v[53:54], -v[46:47]
	v_mul_f64 v[35:36], v[5:6], v[51:52]
	v_add_f64 v[13:14], v[13:14], v[31:32]
	v_fma_f64 v[31:32], v[11:12], v[53:54], v[129:130]
	v_add_f64 v[15:16], v[15:16], v[29:30]
	s_clause 0x4
	buffer_load_dword v30, off, s[0:3], 0 offset:812
	buffer_load_dword v51, off, s[0:3], 0 offset:824
	buffer_load_dword v53, off, s[0:3], 0 offset:816
	buffer_load_dword v29, off, s[0:3], 0 offset:808
	buffer_load_dword v46, off, s[0:3], 0 offset:788
	s_waitcnt vmcnt(57) lgkmcnt(0)
	v_mul_f64 v[129:130], v[1:2], v[55:56]
	v_mul_f64 v[54:55], v[3:4], v[55:56]
	s_waitcnt vmcnt(56)
	v_fma_f64 v[39:40], v[5:6], v[41:42], -v[39:40]
	ds_read_b128 v[9:12], v61 offset:1536
	v_fma_f64 v[35:36], v[7:8], v[41:42], v[35:36]
	v_add_f64 v[13:14], v[13:14], v[47:48]
	v_add_f64 v[15:16], v[15:16], v[31:32]
	s_clause 0x2
	buffer_load_dword v52, off, s[0:3], 0 offset:828
	buffer_load_dword v32, off, s[0:3], 0 offset:804
	;; [unrolled: 1-line block ×3, first 2 shown]
	ds_read_b128 v[5:8], v61 offset:1552
	s_waitcnt vmcnt(58) lgkmcnt(1)
	v_mul_f64 v[47:48], v[11:12], v[57:58]
	s_waitcnt vmcnt(56)
	v_fma_f64 v[55:56], v[1:2], v[59:60], -v[54:55]
	v_mul_f64 v[41:42], v[9:10], v[57:58]
	v_add_f64 v[13:14], v[13:14], v[39:40]
	v_fma_f64 v[39:40], v[3:4], v[59:60], v[129:130]
	v_add_f64 v[15:16], v[15:16], v[35:36]
	s_clause 0x4
	buffer_load_dword v36, off, s[0:3], 0 offset:844
	buffer_load_dword v57, off, s[0:3], 0 offset:856
	;; [unrolled: 1-line block ×5, first 2 shown]
	s_waitcnt vmcnt(57) lgkmcnt(0)
	v_mul_f64 v[129:130], v[5:6], v[70:71]
	v_mul_f64 v[70:71], v[7:8], v[70:71]
	s_waitcnt vmcnt(56)
	v_fma_f64 v[47:48], v[9:10], v[49:50], -v[47:48]
	ds_read_b128 v[1:4], v61 offset:1568
	v_fma_f64 v[41:42], v[11:12], v[49:50], v[41:42]
	v_add_f64 v[13:14], v[13:14], v[55:56]
	v_add_f64 v[15:16], v[15:16], v[39:40]
	s_clause 0x2
	buffer_load_dword v58, off, s[0:3], 0 offset:860
	buffer_load_dword v40, off, s[0:3], 0 offset:836
	;; [unrolled: 1-line block ×3, first 2 shown]
	ds_read_b128 v[9:12], v61 offset:1584
	s_waitcnt vmcnt(58) lgkmcnt(1)
	v_mul_f64 v[55:56], v[3:4], v[109:110]
	s_waitcnt vmcnt(56)
	v_fma_f64 v[70:71], v[5:6], v[114:115], -v[70:71]
	v_mul_f64 v[49:50], v[1:2], v[109:110]
	v_add_f64 v[13:14], v[13:14], v[47:48]
	v_fma_f64 v[47:48], v[7:8], v[114:115], v[129:130]
	v_add_f64 v[15:16], v[15:16], v[41:42]
	s_clause 0x4
	buffer_load_dword v42, off, s[0:3], 0 offset:876
	buffer_load_dword v109, off, s[0:3], 0 offset:888
	;; [unrolled: 1-line block ×5, first 2 shown]
	ds_read_b128 v[5:8], v61 offset:1600
	s_waitcnt vmcnt(57) lgkmcnt(1)
	v_mul_f64 v[114:115], v[9:10], v[95:96]
	v_mul_f64 v[95:96], v[11:12], v[95:96]
	s_waitcnt vmcnt(56)
	v_fma_f64 v[55:56], v[1:2], v[111:112], -v[55:56]
	v_fma_f64 v[49:50], v[3:4], v[111:112], v[49:50]
	v_add_f64 v[13:14], v[13:14], v[70:71]
	v_add_f64 v[15:16], v[15:16], v[47:48]
	s_clause 0x2
	buffer_load_dword v110, off, s[0:3], 0 offset:892
	buffer_load_dword v48, off, s[0:3], 0 offset:868
	;; [unrolled: 1-line block ×3, first 2 shown]
	ds_read_b128 v[1:4], v61 offset:1616
	s_waitcnt vmcnt(58) lgkmcnt(1)
	v_mul_f64 v[111:112], v[7:8], v[125:126]
	v_mul_f64 v[70:71], v[5:6], v[125:126]
	s_waitcnt vmcnt(56)
	v_fma_f64 v[95:96], v[9:10], v[66:67], -v[95:96]
	v_add_f64 v[13:14], v[13:14], v[55:56]
	v_fma_f64 v[55:56], v[11:12], v[66:67], v[114:115]
	v_add_f64 v[15:16], v[15:16], v[49:50]
	s_clause 0x4
	buffer_load_dword v50, off, s[0:3], 0 offset:908
	buffer_load_dword v66, off, s[0:3], 0 offset:920
	;; [unrolled: 1-line block ×5, first 2 shown]
	ds_read_b128 v[9:12], v61 offset:1632
	s_waitcnt vmcnt(57) lgkmcnt(1)
	v_mul_f64 v[125:126], v[1:2], v[25:26]
	v_mul_f64 v[25:26], v[3:4], v[25:26]
	s_waitcnt vmcnt(56)
	v_fma_f64 v[111:112], v[5:6], v[127:128], -v[111:112]
	v_fma_f64 v[70:71], v[7:8], v[127:128], v[70:71]
	v_add_f64 v[13:14], v[13:14], v[95:96]
	v_add_f64 v[15:16], v[15:16], v[55:56]
	s_clause 0x2
	buffer_load_dword v67, off, s[0:3], 0 offset:924
	buffer_load_dword v56, off, s[0:3], 0 offset:900
	;; [unrolled: 1-line block ×3, first 2 shown]
	ds_read_b128 v[5:8], v61 offset:1648
	s_waitcnt vmcnt(58) lgkmcnt(1)
	v_mul_f64 v[95:96], v[9:10], v[97:98]
	v_mul_f64 v[97:98], v[11:12], v[97:98]
	s_waitcnt vmcnt(56)
	v_fma_f64 v[25:26], v[1:2], v[19:20], -v[25:26]
	v_fma_f64 v[19:20], v[3:4], v[19:20], v[125:126]
	v_add_f64 v[13:14], v[13:14], v[111:112]
	v_add_f64 v[15:16], v[15:16], v[70:71]
	s_clause 0x4
	buffer_load_dword v71, off, s[0:3], 0 offset:940
	buffer_load_dword v111, off, s[0:3], 0 offset:952
	buffer_load_dword v125, off, s[0:3], 0 offset:944
	buffer_load_dword v70, off, s[0:3], 0 offset:936
	buffer_load_dword v116, off, s[0:3], 0 offset:916
	ds_read_b128 v[1:4], v61 offset:1664
	s_waitcnt vmcnt(57) lgkmcnt(1)
	v_mul_f64 v[126:127], v[5:6], v[62:63]
	v_mul_f64 v[62:63], v[7:8], v[62:63]
	s_waitcnt vmcnt(56)
	v_fma_f64 v[97:98], v[9:10], v[123:124], -v[97:98]
	v_add_f64 v[13:14], v[13:14], v[25:26]
	v_fma_f64 v[25:26], v[11:12], v[123:124], v[95:96]
	v_add_f64 v[15:16], v[15:16], v[19:20]
	s_clause 0x2
	buffer_load_dword v112, off, s[0:3], 0 offset:956
	buffer_load_dword v20, off, s[0:3], 0 offset:932
	buffer_load_dword v19, off, s[0:3], 0 offset:928
	ds_read_b128 v[9:12], v61 offset:1680
	s_waitcnt vmcnt(58) lgkmcnt(1)
	v_mul_f64 v[95:96], v[1:2], v[64:65]
	v_mul_f64 v[64:65], v[3:4], v[64:65]
	s_waitcnt vmcnt(56)
	v_fma_f64 v[62:63], v[5:6], v[21:22], -v[62:63]
	v_fma_f64 v[21:22], v[7:8], v[21:22], v[126:127]
	v_add_f64 v[13:14], v[13:14], v[97:98]
	v_add_f64 v[15:16], v[15:16], v[25:26]
	s_clause 0x2
	buffer_load_dword v26, off, s[0:3], 0 offset:972
	buffer_load_dword v25, off, s[0:3], 0 offset:968
	;; [unrolled: 1-line block ×3, first 2 shown]
	ds_read_b128 v[5:8], v61 offset:1696
	s_waitcnt vmcnt(55) lgkmcnt(1)
	v_mul_f64 v[97:98], v[9:10], v[17:18]
	v_mul_f64 v[17:18], v[11:12], v[17:18]
	s_waitcnt vmcnt(54)
	v_fma_f64 v[64:65], v[1:2], v[99:100], -v[64:65]
	v_add_f64 v[13:14], v[13:14], v[62:63]
	v_fma_f64 v[62:63], v[3:4], v[99:100], v[95:96]
	v_add_f64 v[15:16], v[15:16], v[21:22]
	s_clause 0x1
	buffer_load_dword v22, off, s[0:3], 0 offset:964
	buffer_load_dword v21, off, s[0:3], 0 offset:960
	ds_read_b128 v[1:4], v61 offset:1712
	s_waitcnt vmcnt(55) lgkmcnt(1)
	v_mul_f64 v[95:96], v[5:6], v[37:38]
	v_mul_f64 v[37:38], v[7:8], v[37:38]
	s_waitcnt vmcnt(53)
	v_fma_f64 v[17:18], v[9:10], v[27:28], -v[17:18]
	v_fma_f64 v[27:28], v[11:12], v[27:28], v[97:98]
	ds_read_b128 v[9:12], v61 offset:1728
	v_add_f64 v[13:14], v[13:14], v[64:65]
	v_add_f64 v[15:16], v[15:16], v[62:63]
	s_waitcnt vmcnt(49) lgkmcnt(1)
	v_mul_f64 v[62:63], v[1:2], v[23:24]
	v_mul_f64 v[23:24], v[3:4], v[23:24]
	s_waitcnt vmcnt(48)
	v_fma_f64 v[37:38], v[5:6], v[93:94], -v[37:38]
	v_add_f64 v[13:14], v[13:14], v[17:18]
	v_fma_f64 v[17:18], v[7:8], v[93:94], v[95:96]
	v_add_f64 v[15:16], v[15:16], v[27:28]
	s_clause 0x3
	buffer_load_dword v27, off, s[0:3], 0 offset:352
	buffer_load_dword v28, off, s[0:3], 0 offset:356
	;; [unrolled: 1-line block ×4, first 2 shown]
	s_waitcnt vmcnt(51) lgkmcnt(0)
	v_mul_f64 v[93:94], v[9:10], v[43:44]
	v_mul_f64 v[43:44], v[11:12], v[43:44]
	ds_read_b128 v[5:8], v61 offset:1744
	s_waitcnt vmcnt(49)
	v_fma_f64 v[23:24], v[1:2], v[33:34], -v[23:24]
	v_fma_f64 v[33:34], v[3:4], v[33:34], v[62:63]
	ds_read_b128 v[1:4], v61 offset:1760
	v_add_f64 v[13:14], v[13:14], v[37:38]
	v_add_f64 v[15:16], v[15:16], v[17:18]
	s_waitcnt vmcnt(45) lgkmcnt(1)
	v_mul_f64 v[17:18], v[5:6], v[29:30]
	v_mul_f64 v[29:30], v[7:8], v[29:30]
	s_waitcnt vmcnt(44)
	v_fma_f64 v[37:38], v[9:10], v[45:46], -v[43:44]
	v_add_f64 v[13:14], v[13:14], v[23:24]
	v_fma_f64 v[23:24], v[11:12], v[45:46], v[93:94]
	v_add_f64 v[15:16], v[15:16], v[33:34]
	ds_read_b128 v[9:12], v61 offset:1776
	s_waitcnt vmcnt(43) lgkmcnt(1)
	v_mul_f64 v[43:44], v[3:4], v[51:52]
	v_mul_f64 v[33:34], v[1:2], v[51:52]
	s_waitcnt vmcnt(41)
	v_fma_f64 v[29:30], v[5:6], v[31:32], -v[29:30]
	v_fma_f64 v[17:18], v[7:8], v[31:32], v[17:18]
	ds_read_b128 v[5:8], v61 offset:1792
	v_add_f64 v[13:14], v[13:14], v[37:38]
	v_add_f64 v[15:16], v[15:16], v[23:24]
	s_waitcnt vmcnt(37) lgkmcnt(1)
	v_mul_f64 v[23:24], v[9:10], v[35:36]
	v_mul_f64 v[31:32], v[11:12], v[35:36]
	s_waitcnt vmcnt(36)
	v_fma_f64 v[35:36], v[1:2], v[53:54], -v[43:44]
	v_add_f64 v[13:14], v[13:14], v[29:30]
	v_fma_f64 v[29:30], v[3:4], v[53:54], v[33:34]
	v_add_f64 v[15:16], v[15:16], v[17:18]
	ds_read_b128 v[1:4], v61 offset:1808
	s_waitcnt vmcnt(35) lgkmcnt(1)
	v_mul_f64 v[33:34], v[7:8], v[57:58]
	v_mul_f64 v[17:18], v[5:6], v[57:58]
	s_waitcnt vmcnt(33)
	v_fma_f64 v[31:32], v[9:10], v[39:40], -v[31:32]
	v_fma_f64 v[23:24], v[11:12], v[39:40], v[23:24]
	ds_read_b128 v[9:12], v61 offset:1824
	v_add_f64 v[13:14], v[13:14], v[35:36]
	v_add_f64 v[15:16], v[15:16], v[29:30]
	s_waitcnt vmcnt(29) lgkmcnt(1)
	v_mul_f64 v[35:36], v[3:4], v[41:42]
	s_waitcnt vmcnt(28)
	v_fma_f64 v[33:34], v[5:6], v[59:60], -v[33:34]
	v_mul_f64 v[29:30], v[1:2], v[41:42]
	v_fma_f64 v[17:18], v[7:8], v[59:60], v[17:18]
	ds_read_b128 v[5:8], v61 offset:1840
	v_add_f64 v[13:14], v[13:14], v[31:32]
	v_add_f64 v[15:16], v[15:16], v[23:24]
	s_waitcnt vmcnt(27) lgkmcnt(1)
	v_mul_f64 v[31:32], v[11:12], v[109:110]
	v_mul_f64 v[23:24], v[9:10], v[109:110]
	s_waitcnt vmcnt(25)
	v_fma_f64 v[35:36], v[1:2], v[47:48], -v[35:36]
	v_fma_f64 v[29:30], v[3:4], v[47:48], v[29:30]
	ds_read_b128 v[1:4], v61 offset:1856
	v_add_f64 v[13:14], v[13:14], v[33:34]
	v_add_f64 v[15:16], v[15:16], v[17:18]
	s_waitcnt vmcnt(21) lgkmcnt(1)
	v_mul_f64 v[33:34], v[7:8], v[49:50]
	s_waitcnt vmcnt(20)
	v_fma_f64 v[31:32], v[9:10], v[113:114], -v[31:32]
	v_mul_f64 v[17:18], v[5:6], v[49:50]
	v_fma_f64 v[23:24], v[11:12], v[113:114], v[23:24]
	ds_read_b128 v[9:12], v61 offset:1872
	v_add_f64 v[13:14], v[13:14], v[35:36]
	v_add_f64 v[15:16], v[15:16], v[29:30]
	;; [unrolled: 18-line block ×3, first 2 shown]
	s_waitcnt vmcnt(11) lgkmcnt(1)
	v_mul_f64 v[33:34], v[7:8], v[111:112]
	v_mul_f64 v[17:18], v[5:6], v[111:112]
	s_waitcnt vmcnt(9)
	v_fma_f64 v[9:10], v[9:10], v[19:20], -v[31:32]
	v_fma_f64 v[11:12], v[11:12], v[19:20], v[23:24]
	v_add_f64 v[13:14], v[13:14], v[35:36]
	v_add_f64 v[15:16], v[15:16], v[29:30]
	s_waitcnt vmcnt(7) lgkmcnt(0)
	v_mul_f64 v[23:24], v[3:4], v[25:26]
	s_waitcnt vmcnt(6)
	v_fma_f64 v[5:6], v[5:6], v[125:126], -v[33:34]
	v_mul_f64 v[19:20], v[1:2], v[25:26]
	v_fma_f64 v[7:8], v[7:8], v[125:126], v[17:18]
	v_add_f64 v[9:10], v[13:14], v[9:10]
	v_add_f64 v[11:12], v[15:16], v[11:12]
	s_waitcnt vmcnt(4)
	v_fma_f64 v[1:2], v[1:2], v[21:22], -v[23:24]
	v_fma_f64 v[3:4], v[3:4], v[21:22], v[19:20]
	v_add_f64 v[5:6], v[9:10], v[5:6]
	v_add_f64 v[7:8], v[11:12], v[7:8]
	;; [unrolled: 1-line block ×4, first 2 shown]
	s_waitcnt vmcnt(2)
	v_add_f64 v[1:2], v[27:28], -v[1:2]
	s_waitcnt vmcnt(0)
	v_add_f64 v[3:4], v[64:65], -v[3:4]
	buffer_store_dword v2, off, s[0:3], 0 offset:356
	buffer_store_dword v1, off, s[0:3], 0 offset:352
	;; [unrolled: 1-line block ×4, first 2 shown]
	v_cmpx_lt_u32_e32 20, v0
	s_cbranch_execz .LBB59_333
; %bb.332:
	v_mov_b32_e32 v4, s53
	v_mov_b32_e32 v5, 0
	s_clause 0x3
	buffer_load_dword v1, v4, s[0:3], 0 offen
	buffer_load_dword v2, v4, s[0:3], 0 offen offset:4
	buffer_load_dword v3, v4, s[0:3], 0 offen offset:8
	;; [unrolled: 1-line block ×3, first 2 shown]
	buffer_store_dword v5, off, s[0:3], 0 offset:336
	buffer_store_dword v5, off, s[0:3], 0 offset:340
	;; [unrolled: 1-line block ×4, first 2 shown]
	s_waitcnt vmcnt(0)
	ds_write_b128 v69, v[1:4]
.LBB59_333:
	s_or_b32 exec_lo, exec_lo, s4
	s_waitcnt lgkmcnt(0)
	s_waitcnt_vscnt null, 0x0
	s_barrier
	buffer_gl0_inv
	s_clause 0x37
	buffer_load_dword v9, off, s[0:3], 0 offset:360
	buffer_load_dword v10, off, s[0:3], 0 offset:364
	buffer_load_dword v5, off, s[0:3], 0 offset:376
	buffer_load_dword v6, off, s[0:3], 0 offset:380
	buffer_load_dword v7, off, s[0:3], 0 offset:352
	buffer_load_dword v8, off, s[0:3], 0 offset:356
	buffer_load_dword v3, off, s[0:3], 0 offset:392
	buffer_load_dword v4, off, s[0:3], 0 offset:396
	buffer_load_dword v1, off, s[0:3], 0 offset:368
	buffer_load_dword v2, off, s[0:3], 0 offset:372
	buffer_load_dword v14, off, s[0:3], 0 offset:412
	buffer_load_dword v17, off, s[0:3], 0 offset:424
	buffer_load_dword v11, off, s[0:3], 0 offset:416
	buffer_load_dword v13, off, s[0:3], 0 offset:408
	buffer_load_dword v25, off, s[0:3], 0 offset:384
	buffer_load_dword v26, off, s[0:3], 0 offset:388
	buffer_load_dword v18, off, s[0:3], 0 offset:428
	buffer_load_dword v20, off, s[0:3], 0 offset:404
	buffer_load_dword v19, off, s[0:3], 0 offset:400
	buffer_load_dword v22, off, s[0:3], 0 offset:444
	buffer_load_dword v27, off, s[0:3], 0 offset:456
	buffer_load_dword v15, off, s[0:3], 0 offset:448
	buffer_load_dword v21, off, s[0:3], 0 offset:440
	buffer_load_dword v12, off, s[0:3], 0 offset:420
	buffer_load_dword v28, off, s[0:3], 0 offset:460
	buffer_load_dword v30, off, s[0:3], 0 offset:436
	buffer_load_dword v29, off, s[0:3], 0 offset:432
	buffer_load_dword v32, off, s[0:3], 0 offset:476
	buffer_load_dword v35, off, s[0:3], 0 offset:488
	buffer_load_dword v23, off, s[0:3], 0 offset:480
	buffer_load_dword v31, off, s[0:3], 0 offset:472
	buffer_load_dword v16, off, s[0:3], 0 offset:452
	buffer_load_dword v36, off, s[0:3], 0 offset:492
	buffer_load_dword v38, off, s[0:3], 0 offset:468
	buffer_load_dword v37, off, s[0:3], 0 offset:464
	buffer_load_dword v40, off, s[0:3], 0 offset:508
	buffer_load_dword v43, off, s[0:3], 0 offset:520
	buffer_load_dword v33, off, s[0:3], 0 offset:512
	buffer_load_dword v39, off, s[0:3], 0 offset:504
	buffer_load_dword v24, off, s[0:3], 0 offset:484
	buffer_load_dword v44, off, s[0:3], 0 offset:524
	buffer_load_dword v46, off, s[0:3], 0 offset:500
	buffer_load_dword v45, off, s[0:3], 0 offset:496
	buffer_load_dword v48, off, s[0:3], 0 offset:540
	buffer_load_dword v51, off, s[0:3], 0 offset:552
	buffer_load_dword v41, off, s[0:3], 0 offset:544
	buffer_load_dword v47, off, s[0:3], 0 offset:536
	buffer_load_dword v34, off, s[0:3], 0 offset:516
	buffer_load_dword v52, off, s[0:3], 0 offset:556
	buffer_load_dword v54, off, s[0:3], 0 offset:532
	buffer_load_dword v53, off, s[0:3], 0 offset:528
	buffer_load_dword v56, off, s[0:3], 0 offset:572
	buffer_load_dword v57, off, s[0:3], 0 offset:584
	buffer_load_dword v49, off, s[0:3], 0 offset:576
	buffer_load_dword v55, off, s[0:3], 0 offset:568
	buffer_load_dword v42, off, s[0:3], 0 offset:548
	v_mov_b32_e32 v61, 0
	s_mov_b32 s4, exec_lo
	ds_read_b128 v[62:65], v61 offset:1296
	s_clause 0x2
	buffer_load_dword v58, off, s[0:3], 0 offset:588
	buffer_load_dword v60, off, s[0:3], 0 offset:564
	;; [unrolled: 1-line block ×3, first 2 shown]
	ds_read_b128 v[93:96], v61 offset:1312
	s_clause 0x4
	buffer_load_dword v71, off, s[0:3], 0 offset:604
	buffer_load_dword v109, off, s[0:3], 0 offset:616
	;; [unrolled: 1-line block ×5, first 2 shown]
	ds_read_b128 v[97:100], v61 offset:1328
	s_clause 0x2
	buffer_load_dword v110, off, s[0:3], 0 offset:620
	buffer_load_dword v115, off, s[0:3], 0 offset:596
	;; [unrolled: 1-line block ×3, first 2 shown]
	s_waitcnt vmcnt(62) lgkmcnt(2)
	v_mul_f64 v[66:67], v[64:65], v[9:10]
	v_mul_f64 v[9:10], v[62:63], v[9:10]
	s_waitcnt lgkmcnt(1)
	v_mul_f64 v[112:113], v[95:96], v[5:6]
	s_waitcnt vmcnt(59) lgkmcnt(0)
	v_mul_f64 v[123:124], v[99:100], v[3:4]
	v_fma_f64 v[62:63], v[62:63], v[7:8], -v[66:67]
	v_mul_f64 v[66:67], v[93:94], v[5:6]
	v_fma_f64 v[9:10], v[64:65], v[7:8], v[9:10]
	s_waitcnt vmcnt(57)
	v_fma_f64 v[93:94], v[93:94], v[1:2], -v[112:113]
	ds_read_b128 v[5:8], v61 offset:1344
	v_mul_f64 v[64:65], v[97:98], v[3:4]
	s_waitcnt vmcnt(51)
	v_fma_f64 v[97:98], v[97:98], v[25:26], -v[123:124]
	v_add_f64 v[62:63], v[62:63], 0
	v_fma_f64 v[66:67], v[95:96], v[1:2], v[66:67]
	v_add_f64 v[9:10], v[9:10], 0
	s_clause 0x4
	buffer_load_dword v96, off, s[0:3], 0 offset:636
	buffer_load_dword v125, off, s[0:3], 0 offset:648
	;; [unrolled: 1-line block ×5, first 2 shown]
	s_waitcnt lgkmcnt(0)
	v_mul_f64 v[128:129], v[5:6], v[13:14]
	v_mul_f64 v[13:14], v[7:8], v[13:14]
	ds_read_b128 v[1:4], v61 offset:1360
	v_fma_f64 v[25:26], v[99:100], v[25:26], v[64:65]
	v_add_f64 v[93:94], v[62:63], v[93:94]
	v_add_f64 v[9:10], v[9:10], v[66:67]
	s_clause 0x2
	buffer_load_dword v126, off, s[0:3], 0 offset:652
	buffer_load_dword v67, off, s[0:3], 0 offset:628
	;; [unrolled: 1-line block ×3, first 2 shown]
	s_waitcnt vmcnt(58) lgkmcnt(0)
	v_mul_f64 v[99:100], v[1:2], v[17:18]
	v_mul_f64 v[17:18], v[3:4], v[17:18]
	s_waitcnt vmcnt(56)
	v_fma_f64 v[13:14], v[5:6], v[19:20], -v[13:14]
	ds_read_b128 v[62:65], v61 offset:1376
	v_fma_f64 v[19:20], v[7:8], v[19:20], v[128:129]
	v_add_f64 v[93:94], v[93:94], v[97:98]
	v_add_f64 v[9:10], v[9:10], v[25:26]
	s_clause 0x4
	buffer_load_dword v26, off, s[0:3], 0 offset:668
	buffer_load_dword v97, off, s[0:3], 0 offset:680
	;; [unrolled: 1-line block ×5, first 2 shown]
	ds_read_b128 v[5:8], v61 offset:1392
	s_waitcnt vmcnt(57) lgkmcnt(1)
	v_mul_f64 v[129:130], v[62:63], v[21:22]
	v_mul_f64 v[21:22], v[64:65], v[21:22]
	s_waitcnt vmcnt(56)
	v_fma_f64 v[17:18], v[1:2], v[11:12], -v[17:18]
	v_fma_f64 v[11:12], v[3:4], v[11:12], v[99:100]
	v_add_f64 v[13:14], v[93:94], v[13:14]
	v_add_f64 v[9:10], v[9:10], v[19:20]
	s_clause 0x2
	buffer_load_dword v98, off, s[0:3], 0 offset:684
	buffer_load_dword v20, off, s[0:3], 0 offset:660
	buffer_load_dword v19, off, s[0:3], 0 offset:656
	s_waitcnt vmcnt(58) lgkmcnt(0)
	v_mul_f64 v[93:94], v[5:6], v[27:28]
	v_mul_f64 v[27:28], v[7:8], v[27:28]
	s_waitcnt vmcnt(56)
	v_fma_f64 v[21:22], v[62:63], v[29:30], -v[21:22]
	ds_read_b128 v[1:4], v61 offset:1408
	v_add_f64 v[13:14], v[13:14], v[17:18]
	v_fma_f64 v[17:18], v[64:65], v[29:30], v[129:130]
	v_add_f64 v[29:30], v[9:10], v[11:12]
	s_clause 0x4
	buffer_load_dword v63, off, s[0:3], 0 offset:700
	buffer_load_dword v64, off, s[0:3], 0 offset:712
	;; [unrolled: 1-line block ×5, first 2 shown]
	ds_read_b128 v[9:12], v61 offset:1424
	s_waitcnt vmcnt(57) lgkmcnt(1)
	v_mul_f64 v[129:130], v[1:2], v[31:32]
	v_mul_f64 v[31:32], v[3:4], v[31:32]
	s_waitcnt vmcnt(56)
	v_fma_f64 v[27:28], v[5:6], v[15:16], -v[27:28]
	v_fma_f64 v[15:16], v[7:8], v[15:16], v[93:94]
	v_add_f64 v[13:14], v[13:14], v[21:22]
	s_clause 0x2
	buffer_load_dword v65, off, s[0:3], 0 offset:716
	buffer_load_dword v22, off, s[0:3], 0 offset:692
	;; [unrolled: 1-line block ×3, first 2 shown]
	v_add_f64 v[17:18], v[29:30], v[17:18]
	s_waitcnt vmcnt(58) lgkmcnt(0)
	v_mul_f64 v[29:30], v[9:10], v[35:36]
	v_mul_f64 v[35:36], v[11:12], v[35:36]
	ds_read_b128 v[5:8], v61 offset:1440
	s_waitcnt vmcnt(56)
	v_fma_f64 v[31:32], v[1:2], v[37:38], -v[31:32]
	v_add_f64 v[13:14], v[13:14], v[27:28]
	v_fma_f64 v[27:28], v[3:4], v[37:38], v[129:130]
	v_add_f64 v[15:16], v[17:18], v[15:16]
	s_clause 0x4
	buffer_load_dword v18, off, s[0:3], 0 offset:732
	buffer_load_dword v37, off, s[0:3], 0 offset:744
	;; [unrolled: 1-line block ×5, first 2 shown]
	s_waitcnt vmcnt(57) lgkmcnt(0)
	v_mul_f64 v[129:130], v[5:6], v[39:40]
	v_mul_f64 v[39:40], v[7:8], v[39:40]
	s_waitcnt vmcnt(56)
	v_fma_f64 v[35:36], v[9:10], v[23:24], -v[35:36]
	ds_read_b128 v[1:4], v61 offset:1456
	v_fma_f64 v[23:24], v[11:12], v[23:24], v[29:30]
	v_add_f64 v[13:14], v[13:14], v[31:32]
	v_add_f64 v[15:16], v[15:16], v[27:28]
	s_clause 0x2
	buffer_load_dword v38, off, s[0:3], 0 offset:748
	buffer_load_dword v28, off, s[0:3], 0 offset:724
	;; [unrolled: 1-line block ×3, first 2 shown]
	ds_read_b128 v[9:12], v61 offset:1472
	s_waitcnt vmcnt(58) lgkmcnt(1)
	v_mul_f64 v[31:32], v[3:4], v[43:44]
	s_waitcnt vmcnt(56)
	v_fma_f64 v[39:40], v[5:6], v[45:46], -v[39:40]
	v_mul_f64 v[29:30], v[1:2], v[43:44]
	v_add_f64 v[13:14], v[13:14], v[35:36]
	v_fma_f64 v[35:36], v[7:8], v[45:46], v[129:130]
	v_add_f64 v[15:16], v[15:16], v[23:24]
	s_clause 0x4
	buffer_load_dword v24, off, s[0:3], 0 offset:764
	buffer_load_dword v43, off, s[0:3], 0 offset:776
	buffer_load_dword v45, off, s[0:3], 0 offset:768
	buffer_load_dword v23, off, s[0:3], 0 offset:760
	buffer_load_dword v94, off, s[0:3], 0 offset:740
	s_waitcnt vmcnt(57) lgkmcnt(0)
	v_mul_f64 v[129:130], v[9:10], v[47:48]
	v_mul_f64 v[46:47], v[11:12], v[47:48]
	s_waitcnt vmcnt(56)
	v_fma_f64 v[31:32], v[1:2], v[33:34], -v[31:32]
	ds_read_b128 v[5:8], v61 offset:1488
	v_fma_f64 v[29:30], v[3:4], v[33:34], v[29:30]
	s_clause 0x2
	buffer_load_dword v44, off, s[0:3], 0 offset:780
	buffer_load_dword v34, off, s[0:3], 0 offset:756
	;; [unrolled: 1-line block ×3, first 2 shown]
	ds_read_b128 v[1:4], v61 offset:1504
	v_add_f64 v[13:14], v[13:14], v[39:40]
	v_add_f64 v[15:16], v[15:16], v[35:36]
	s_waitcnt vmcnt(58) lgkmcnt(1)
	v_mul_f64 v[39:40], v[7:8], v[51:52]
	s_waitcnt vmcnt(56)
	v_fma_f64 v[47:48], v[9:10], v[53:54], -v[46:47]
	v_mul_f64 v[35:36], v[5:6], v[51:52]
	v_add_f64 v[13:14], v[13:14], v[31:32]
	v_fma_f64 v[31:32], v[11:12], v[53:54], v[129:130]
	v_add_f64 v[15:16], v[15:16], v[29:30]
	s_clause 0x4
	buffer_load_dword v30, off, s[0:3], 0 offset:796
	buffer_load_dword v51, off, s[0:3], 0 offset:808
	;; [unrolled: 1-line block ×5, first 2 shown]
	s_waitcnt vmcnt(57) lgkmcnt(0)
	v_mul_f64 v[129:130], v[1:2], v[55:56]
	v_mul_f64 v[54:55], v[3:4], v[55:56]
	s_waitcnt vmcnt(56)
	v_fma_f64 v[39:40], v[5:6], v[41:42], -v[39:40]
	ds_read_b128 v[9:12], v61 offset:1520
	v_fma_f64 v[35:36], v[7:8], v[41:42], v[35:36]
	v_add_f64 v[13:14], v[13:14], v[47:48]
	v_add_f64 v[15:16], v[15:16], v[31:32]
	s_clause 0x2
	buffer_load_dword v52, off, s[0:3], 0 offset:812
	buffer_load_dword v32, off, s[0:3], 0 offset:788
	;; [unrolled: 1-line block ×3, first 2 shown]
	ds_read_b128 v[5:8], v61 offset:1536
	s_waitcnt vmcnt(58) lgkmcnt(1)
	v_mul_f64 v[47:48], v[11:12], v[57:58]
	s_waitcnt vmcnt(56)
	v_fma_f64 v[55:56], v[1:2], v[59:60], -v[54:55]
	v_mul_f64 v[41:42], v[9:10], v[57:58]
	v_add_f64 v[13:14], v[13:14], v[39:40]
	v_fma_f64 v[39:40], v[3:4], v[59:60], v[129:130]
	v_add_f64 v[15:16], v[15:16], v[35:36]
	s_clause 0x4
	buffer_load_dword v36, off, s[0:3], 0 offset:828
	buffer_load_dword v57, off, s[0:3], 0 offset:840
	;; [unrolled: 1-line block ×5, first 2 shown]
	s_waitcnt vmcnt(57) lgkmcnt(0)
	v_mul_f64 v[129:130], v[5:6], v[70:71]
	v_mul_f64 v[70:71], v[7:8], v[70:71]
	s_waitcnt vmcnt(56)
	v_fma_f64 v[47:48], v[9:10], v[49:50], -v[47:48]
	ds_read_b128 v[1:4], v61 offset:1552
	v_fma_f64 v[41:42], v[11:12], v[49:50], v[41:42]
	v_add_f64 v[13:14], v[13:14], v[55:56]
	v_add_f64 v[15:16], v[15:16], v[39:40]
	s_clause 0x2
	buffer_load_dword v58, off, s[0:3], 0 offset:844
	buffer_load_dword v40, off, s[0:3], 0 offset:820
	;; [unrolled: 1-line block ×3, first 2 shown]
	ds_read_b128 v[9:12], v61 offset:1568
	s_waitcnt vmcnt(58) lgkmcnt(1)
	v_mul_f64 v[55:56], v[3:4], v[109:110]
	s_waitcnt vmcnt(56)
	v_fma_f64 v[70:71], v[5:6], v[114:115], -v[70:71]
	v_mul_f64 v[49:50], v[1:2], v[109:110]
	v_add_f64 v[13:14], v[13:14], v[47:48]
	v_fma_f64 v[47:48], v[7:8], v[114:115], v[129:130]
	v_add_f64 v[15:16], v[15:16], v[41:42]
	s_clause 0x4
	buffer_load_dword v42, off, s[0:3], 0 offset:860
	buffer_load_dword v109, off, s[0:3], 0 offset:872
	;; [unrolled: 1-line block ×5, first 2 shown]
	ds_read_b128 v[5:8], v61 offset:1584
	s_waitcnt vmcnt(57) lgkmcnt(1)
	v_mul_f64 v[114:115], v[9:10], v[95:96]
	v_mul_f64 v[95:96], v[11:12], v[95:96]
	s_waitcnt vmcnt(56)
	v_fma_f64 v[55:56], v[1:2], v[111:112], -v[55:56]
	v_fma_f64 v[49:50], v[3:4], v[111:112], v[49:50]
	v_add_f64 v[13:14], v[13:14], v[70:71]
	v_add_f64 v[15:16], v[15:16], v[47:48]
	s_clause 0x2
	buffer_load_dword v110, off, s[0:3], 0 offset:876
	buffer_load_dword v48, off, s[0:3], 0 offset:852
	;; [unrolled: 1-line block ×3, first 2 shown]
	ds_read_b128 v[1:4], v61 offset:1600
	s_waitcnt vmcnt(58) lgkmcnt(1)
	v_mul_f64 v[111:112], v[7:8], v[125:126]
	v_mul_f64 v[70:71], v[5:6], v[125:126]
	s_waitcnt vmcnt(56)
	v_fma_f64 v[95:96], v[9:10], v[66:67], -v[95:96]
	v_add_f64 v[13:14], v[13:14], v[55:56]
	v_fma_f64 v[55:56], v[11:12], v[66:67], v[114:115]
	v_add_f64 v[15:16], v[15:16], v[49:50]
	s_clause 0x4
	buffer_load_dword v50, off, s[0:3], 0 offset:892
	buffer_load_dword v66, off, s[0:3], 0 offset:904
	;; [unrolled: 1-line block ×5, first 2 shown]
	ds_read_b128 v[9:12], v61 offset:1616
	s_waitcnt vmcnt(57) lgkmcnt(1)
	v_mul_f64 v[125:126], v[1:2], v[25:26]
	v_mul_f64 v[25:26], v[3:4], v[25:26]
	s_waitcnt vmcnt(56)
	v_fma_f64 v[111:112], v[5:6], v[127:128], -v[111:112]
	v_fma_f64 v[70:71], v[7:8], v[127:128], v[70:71]
	v_add_f64 v[13:14], v[13:14], v[95:96]
	v_add_f64 v[15:16], v[15:16], v[55:56]
	s_clause 0x2
	buffer_load_dword v67, off, s[0:3], 0 offset:908
	buffer_load_dword v56, off, s[0:3], 0 offset:884
	;; [unrolled: 1-line block ×3, first 2 shown]
	ds_read_b128 v[5:8], v61 offset:1632
	s_waitcnt vmcnt(58) lgkmcnt(1)
	v_mul_f64 v[95:96], v[9:10], v[97:98]
	v_mul_f64 v[97:98], v[11:12], v[97:98]
	s_waitcnt vmcnt(56)
	v_fma_f64 v[25:26], v[1:2], v[19:20], -v[25:26]
	v_fma_f64 v[19:20], v[3:4], v[19:20], v[125:126]
	v_add_f64 v[13:14], v[13:14], v[111:112]
	v_add_f64 v[15:16], v[15:16], v[70:71]
	s_clause 0x4
	buffer_load_dword v71, off, s[0:3], 0 offset:924
	buffer_load_dword v111, off, s[0:3], 0 offset:936
	;; [unrolled: 1-line block ×5, first 2 shown]
	ds_read_b128 v[1:4], v61 offset:1648
	s_waitcnt vmcnt(57) lgkmcnt(1)
	v_mul_f64 v[126:127], v[5:6], v[62:63]
	v_mul_f64 v[62:63], v[7:8], v[62:63]
	s_waitcnt vmcnt(56)
	v_fma_f64 v[97:98], v[9:10], v[123:124], -v[97:98]
	v_add_f64 v[13:14], v[13:14], v[25:26]
	v_fma_f64 v[25:26], v[11:12], v[123:124], v[95:96]
	v_add_f64 v[15:16], v[15:16], v[19:20]
	s_clause 0x2
	buffer_load_dword v112, off, s[0:3], 0 offset:940
	buffer_load_dword v20, off, s[0:3], 0 offset:916
	buffer_load_dword v19, off, s[0:3], 0 offset:912
	ds_read_b128 v[9:12], v61 offset:1664
	s_waitcnt vmcnt(58) lgkmcnt(1)
	v_mul_f64 v[95:96], v[1:2], v[64:65]
	v_mul_f64 v[64:65], v[3:4], v[64:65]
	s_waitcnt vmcnt(56)
	v_fma_f64 v[62:63], v[5:6], v[21:22], -v[62:63]
	v_fma_f64 v[21:22], v[7:8], v[21:22], v[126:127]
	v_add_f64 v[13:14], v[13:14], v[97:98]
	v_add_f64 v[15:16], v[15:16], v[25:26]
	s_clause 0x4
	buffer_load_dword v26, off, s[0:3], 0 offset:956
	buffer_load_dword v97, off, s[0:3], 0 offset:968
	;; [unrolled: 1-line block ×5, first 2 shown]
	ds_read_b128 v[5:8], v61 offset:1680
	s_waitcnt vmcnt(57) lgkmcnt(1)
	v_mul_f64 v[127:128], v[9:10], v[17:18]
	v_mul_f64 v[17:18], v[11:12], v[17:18]
	s_waitcnt vmcnt(56)
	v_fma_f64 v[64:65], v[1:2], v[99:100], -v[64:65]
	v_add_f64 v[13:14], v[13:14], v[62:63]
	v_fma_f64 v[62:63], v[3:4], v[99:100], v[95:96]
	v_add_f64 v[15:16], v[15:16], v[21:22]
	s_clause 0x2
	buffer_load_dword v98, off, s[0:3], 0 offset:972
	buffer_load_dword v22, off, s[0:3], 0 offset:948
	buffer_load_dword v21, off, s[0:3], 0 offset:944
	ds_read_b128 v[1:4], v61 offset:1696
	buffer_load_dword v124, off, s[0:3], 0 offset:964
	s_waitcnt vmcnt(59) lgkmcnt(1)
	v_mul_f64 v[95:96], v[5:6], v[37:38]
	v_mul_f64 v[37:38], v[7:8], v[37:38]
	s_waitcnt vmcnt(57)
	v_fma_f64 v[17:18], v[9:10], v[27:28], -v[17:18]
	v_fma_f64 v[27:28], v[11:12], v[27:28], v[127:128]
	ds_read_b128 v[9:12], v61 offset:1712
	v_add_f64 v[13:14], v[13:14], v[64:65]
	v_add_f64 v[15:16], v[15:16], v[62:63]
	s_waitcnt vmcnt(53) lgkmcnt(1)
	v_mul_f64 v[62:63], v[1:2], v[23:24]
	v_mul_f64 v[23:24], v[3:4], v[23:24]
	s_waitcnt vmcnt(52)
	v_fma_f64 v[37:38], v[5:6], v[93:94], -v[37:38]
	v_add_f64 v[13:14], v[13:14], v[17:18]
	v_fma_f64 v[17:18], v[7:8], v[93:94], v[95:96]
	v_add_f64 v[15:16], v[15:16], v[27:28]
	s_waitcnt vmcnt(51) lgkmcnt(0)
	v_mul_f64 v[27:28], v[9:10], v[43:44]
	v_mul_f64 v[43:44], v[11:12], v[43:44]
	ds_read_b128 v[5:8], v61 offset:1728
	s_waitcnt vmcnt(49)
	v_fma_f64 v[23:24], v[1:2], v[33:34], -v[23:24]
	v_fma_f64 v[33:34], v[3:4], v[33:34], v[62:63]
	v_add_f64 v[13:14], v[13:14], v[37:38]
	v_add_f64 v[15:16], v[15:16], v[17:18]
	s_clause 0x3
	buffer_load_dword v17, off, s[0:3], 0 offset:336
	buffer_load_dword v18, off, s[0:3], 0 offset:340
	;; [unrolled: 1-line block ×4, first 2 shown]
	ds_read_b128 v[1:4], v61 offset:1744
	s_waitcnt vmcnt(49) lgkmcnt(1)
	v_mul_f64 v[62:63], v[5:6], v[29:30]
	v_mul_f64 v[29:30], v[7:8], v[29:30]
	s_waitcnt vmcnt(48)
	v_fma_f64 v[43:44], v[9:10], v[45:46], -v[43:44]
	v_add_f64 v[13:14], v[13:14], v[23:24]
	v_fma_f64 v[23:24], v[11:12], v[45:46], v[27:28]
	v_add_f64 v[15:16], v[15:16], v[33:34]
	ds_read_b128 v[9:12], v61 offset:1760
	s_waitcnt vmcnt(47) lgkmcnt(1)
	v_mul_f64 v[33:34], v[3:4], v[51:52]
	v_mul_f64 v[27:28], v[1:2], v[51:52]
	s_waitcnt vmcnt(45)
	v_fma_f64 v[29:30], v[5:6], v[31:32], -v[29:30]
	v_fma_f64 v[31:32], v[7:8], v[31:32], v[62:63]
	ds_read_b128 v[5:8], v61 offset:1776
	v_add_f64 v[13:14], v[13:14], v[43:44]
	v_add_f64 v[15:16], v[15:16], v[23:24]
	s_waitcnt vmcnt(41) lgkmcnt(1)
	v_mul_f64 v[23:24], v[9:10], v[35:36]
	v_mul_f64 v[35:36], v[11:12], v[35:36]
	s_waitcnt vmcnt(40)
	v_fma_f64 v[33:34], v[1:2], v[53:54], -v[33:34]
	v_fma_f64 v[27:28], v[3:4], v[53:54], v[27:28]
	ds_read_b128 v[1:4], v61 offset:1792
	v_add_f64 v[13:14], v[13:14], v[29:30]
	v_add_f64 v[15:16], v[15:16], v[31:32]
	;; [unrolled: 9-line block ×3, first 2 shown]
	s_waitcnt vmcnt(33) lgkmcnt(1)
	v_mul_f64 v[33:34], v[3:4], v[41:42]
	s_waitcnt vmcnt(32)
	v_fma_f64 v[31:32], v[5:6], v[59:60], -v[31:32]
	v_mul_f64 v[27:28], v[1:2], v[41:42]
	v_fma_f64 v[29:30], v[7:8], v[59:60], v[29:30]
	ds_read_b128 v[5:8], v61 offset:1824
	v_add_f64 v[13:14], v[13:14], v[35:36]
	v_add_f64 v[15:16], v[15:16], v[23:24]
	s_waitcnt vmcnt(31) lgkmcnt(1)
	v_mul_f64 v[35:36], v[11:12], v[109:110]
	v_mul_f64 v[23:24], v[9:10], v[109:110]
	s_waitcnt vmcnt(29)
	v_fma_f64 v[33:34], v[1:2], v[47:48], -v[33:34]
	v_fma_f64 v[27:28], v[3:4], v[47:48], v[27:28]
	ds_read_b128 v[1:4], v61 offset:1840
	v_add_f64 v[13:14], v[13:14], v[31:32]
	v_add_f64 v[15:16], v[15:16], v[29:30]
	s_waitcnt vmcnt(25) lgkmcnt(1)
	v_mul_f64 v[31:32], v[7:8], v[49:50]
	s_waitcnt vmcnt(24)
	v_fma_f64 v[35:36], v[9:10], v[113:114], -v[35:36]
	v_mul_f64 v[29:30], v[5:6], v[49:50]
	v_fma_f64 v[23:24], v[11:12], v[113:114], v[23:24]
	ds_read_b128 v[9:12], v61 offset:1856
	v_add_f64 v[13:14], v[13:14], v[33:34]
	v_add_f64 v[15:16], v[15:16], v[27:28]
	s_waitcnt vmcnt(23) lgkmcnt(1)
	v_mul_f64 v[33:34], v[3:4], v[66:67]
	v_mul_f64 v[27:28], v[1:2], v[66:67]
	s_waitcnt vmcnt(21)
	v_fma_f64 v[31:32], v[5:6], v[55:56], -v[31:32]
	v_fma_f64 v[29:30], v[7:8], v[55:56], v[29:30]
	ds_read_b128 v[5:8], v61 offset:1872
	v_add_f64 v[13:14], v[13:14], v[35:36]
	v_add_f64 v[15:16], v[15:16], v[23:24]
	;; [unrolled: 18-line block ×3, first 2 shown]
	s_waitcnt vmcnt(9) lgkmcnt(1)
	v_mul_f64 v[23:24], v[1:2], v[25:26]
	v_mul_f64 v[25:26], v[3:4], v[25:26]
	s_waitcnt vmcnt(8)
	v_fma_f64 v[5:6], v[5:6], v[125:126], -v[31:32]
	v_fma_f64 v[7:8], v[7:8], v[125:126], v[29:30]
	v_add_f64 v[13:14], v[13:14], v[35:36]
	v_add_f64 v[15:16], v[15:16], v[19:20]
	s_waitcnt vmcnt(7) lgkmcnt(0)
	v_mul_f64 v[27:28], v[11:12], v[97:98]
	v_mul_f64 v[19:20], v[9:10], v[97:98]
	s_waitcnt vmcnt(5)
	v_fma_f64 v[1:2], v[1:2], v[21:22], -v[25:26]
	v_fma_f64 v[3:4], v[3:4], v[21:22], v[23:24]
	v_add_f64 v[5:6], v[13:14], v[5:6]
	v_add_f64 v[7:8], v[15:16], v[7:8]
	s_waitcnt vmcnt(4)
	v_fma_f64 v[9:10], v[9:10], v[123:124], -v[27:28]
	v_add_f64 v[1:2], v[5:6], v[1:2]
	v_fma_f64 v[5:6], v[11:12], v[123:124], v[19:20]
	v_add_f64 v[3:4], v[7:8], v[3:4]
	v_add_f64 v[1:2], v[1:2], v[9:10]
	;; [unrolled: 1-line block ×3, first 2 shown]
	s_waitcnt vmcnt(2)
	v_add_f64 v[1:2], v[17:18], -v[1:2]
	s_waitcnt vmcnt(0)
	v_add_f64 v[3:4], v[37:38], -v[3:4]
	buffer_store_dword v2, off, s[0:3], 0 offset:340
	buffer_store_dword v1, off, s[0:3], 0 offset:336
	;; [unrolled: 1-line block ×4, first 2 shown]
	v_cmpx_lt_u32_e32 19, v0
	s_cbranch_execz .LBB59_335
; %bb.334:
	v_mov_b32_e32 v4, s55
	s_clause 0x3
	buffer_load_dword v1, v4, s[0:3], 0 offen
	buffer_load_dword v2, v4, s[0:3], 0 offen offset:4
	buffer_load_dword v3, v4, s[0:3], 0 offen offset:8
	;; [unrolled: 1-line block ×3, first 2 shown]
	buffer_store_dword v61, off, s[0:3], 0 offset:320
	buffer_store_dword v61, off, s[0:3], 0 offset:324
	;; [unrolled: 1-line block ×4, first 2 shown]
	s_waitcnt vmcnt(0)
	ds_write_b128 v69, v[1:4]
.LBB59_335:
	s_or_b32 exec_lo, exec_lo, s4
	s_waitcnt lgkmcnt(0)
	s_waitcnt_vscnt null, 0x0
	s_barrier
	buffer_gl0_inv
	s_clause 0x37
	buffer_load_dword v9, off, s[0:3], 0 offset:344
	buffer_load_dword v10, off, s[0:3], 0 offset:348
	buffer_load_dword v5, off, s[0:3], 0 offset:360
	buffer_load_dword v6, off, s[0:3], 0 offset:364
	buffer_load_dword v7, off, s[0:3], 0 offset:336
	buffer_load_dword v8, off, s[0:3], 0 offset:340
	buffer_load_dword v3, off, s[0:3], 0 offset:376
	buffer_load_dword v4, off, s[0:3], 0 offset:380
	buffer_load_dword v1, off, s[0:3], 0 offset:352
	buffer_load_dword v2, off, s[0:3], 0 offset:356
	buffer_load_dword v14, off, s[0:3], 0 offset:396
	buffer_load_dword v17, off, s[0:3], 0 offset:408
	buffer_load_dword v11, off, s[0:3], 0 offset:400
	buffer_load_dword v13, off, s[0:3], 0 offset:392
	buffer_load_dword v25, off, s[0:3], 0 offset:368
	buffer_load_dword v26, off, s[0:3], 0 offset:372
	buffer_load_dword v18, off, s[0:3], 0 offset:412
	buffer_load_dword v20, off, s[0:3], 0 offset:388
	buffer_load_dword v19, off, s[0:3], 0 offset:384
	buffer_load_dword v22, off, s[0:3], 0 offset:428
	buffer_load_dword v27, off, s[0:3], 0 offset:440
	buffer_load_dword v15, off, s[0:3], 0 offset:432
	buffer_load_dword v21, off, s[0:3], 0 offset:424
	buffer_load_dword v12, off, s[0:3], 0 offset:404
	buffer_load_dword v28, off, s[0:3], 0 offset:444
	buffer_load_dword v30, off, s[0:3], 0 offset:420
	buffer_load_dword v29, off, s[0:3], 0 offset:416
	buffer_load_dword v32, off, s[0:3], 0 offset:460
	buffer_load_dword v35, off, s[0:3], 0 offset:472
	buffer_load_dword v23, off, s[0:3], 0 offset:464
	buffer_load_dword v31, off, s[0:3], 0 offset:456
	buffer_load_dword v16, off, s[0:3], 0 offset:436
	buffer_load_dword v36, off, s[0:3], 0 offset:476
	buffer_load_dword v38, off, s[0:3], 0 offset:452
	buffer_load_dword v37, off, s[0:3], 0 offset:448
	buffer_load_dword v40, off, s[0:3], 0 offset:492
	buffer_load_dword v43, off, s[0:3], 0 offset:504
	buffer_load_dword v33, off, s[0:3], 0 offset:496
	buffer_load_dword v39, off, s[0:3], 0 offset:488
	buffer_load_dword v24, off, s[0:3], 0 offset:468
	buffer_load_dword v44, off, s[0:3], 0 offset:508
	buffer_load_dword v46, off, s[0:3], 0 offset:484
	buffer_load_dword v45, off, s[0:3], 0 offset:480
	buffer_load_dword v48, off, s[0:3], 0 offset:524
	buffer_load_dword v51, off, s[0:3], 0 offset:536
	buffer_load_dword v41, off, s[0:3], 0 offset:528
	buffer_load_dword v47, off, s[0:3], 0 offset:520
	buffer_load_dword v34, off, s[0:3], 0 offset:500
	buffer_load_dword v52, off, s[0:3], 0 offset:540
	buffer_load_dword v54, off, s[0:3], 0 offset:516
	buffer_load_dword v53, off, s[0:3], 0 offset:512
	buffer_load_dword v56, off, s[0:3], 0 offset:556
	buffer_load_dword v57, off, s[0:3], 0 offset:568
	buffer_load_dword v49, off, s[0:3], 0 offset:560
	buffer_load_dword v55, off, s[0:3], 0 offset:552
	buffer_load_dword v42, off, s[0:3], 0 offset:532
	ds_read_b128 v[62:65], v61 offset:1280
	s_clause 0x2
	buffer_load_dword v58, off, s[0:3], 0 offset:572
	buffer_load_dword v60, off, s[0:3], 0 offset:548
	;; [unrolled: 1-line block ×3, first 2 shown]
	ds_read_b128 v[93:96], v61 offset:1296
	s_clause 0x4
	buffer_load_dword v71, off, s[0:3], 0 offset:588
	buffer_load_dword v109, off, s[0:3], 0 offset:600
	;; [unrolled: 1-line block ×5, first 2 shown]
	ds_read_b128 v[97:100], v61 offset:1312
	s_clause 0x2
	buffer_load_dword v110, off, s[0:3], 0 offset:604
	buffer_load_dword v115, off, s[0:3], 0 offset:580
	;; [unrolled: 1-line block ×3, first 2 shown]
	s_mov_b32 s4, exec_lo
	s_waitcnt vmcnt(62) lgkmcnt(2)
	v_mul_f64 v[66:67], v[64:65], v[9:10]
	v_mul_f64 v[9:10], v[62:63], v[9:10]
	s_waitcnt lgkmcnt(1)
	v_mul_f64 v[112:113], v[95:96], v[5:6]
	s_waitcnt vmcnt(59) lgkmcnt(0)
	v_mul_f64 v[123:124], v[99:100], v[3:4]
	v_fma_f64 v[62:63], v[62:63], v[7:8], -v[66:67]
	v_mul_f64 v[66:67], v[93:94], v[5:6]
	v_fma_f64 v[9:10], v[64:65], v[7:8], v[9:10]
	s_waitcnt vmcnt(57)
	v_fma_f64 v[93:94], v[93:94], v[1:2], -v[112:113]
	ds_read_b128 v[5:8], v61 offset:1328
	v_mul_f64 v[64:65], v[97:98], v[3:4]
	s_waitcnt vmcnt(51)
	v_fma_f64 v[97:98], v[97:98], v[25:26], -v[123:124]
	v_add_f64 v[62:63], v[62:63], 0
	v_fma_f64 v[66:67], v[95:96], v[1:2], v[66:67]
	v_add_f64 v[9:10], v[9:10], 0
	s_clause 0x4
	buffer_load_dword v96, off, s[0:3], 0 offset:620
	buffer_load_dword v125, off, s[0:3], 0 offset:632
	;; [unrolled: 1-line block ×5, first 2 shown]
	s_waitcnt lgkmcnt(0)
	v_mul_f64 v[128:129], v[5:6], v[13:14]
	v_mul_f64 v[13:14], v[7:8], v[13:14]
	ds_read_b128 v[1:4], v61 offset:1344
	v_fma_f64 v[25:26], v[99:100], v[25:26], v[64:65]
	v_add_f64 v[93:94], v[62:63], v[93:94]
	v_add_f64 v[9:10], v[9:10], v[66:67]
	s_clause 0x2
	buffer_load_dword v126, off, s[0:3], 0 offset:636
	buffer_load_dword v67, off, s[0:3], 0 offset:612
	;; [unrolled: 1-line block ×3, first 2 shown]
	s_waitcnt vmcnt(58) lgkmcnt(0)
	v_mul_f64 v[99:100], v[1:2], v[17:18]
	v_mul_f64 v[17:18], v[3:4], v[17:18]
	s_waitcnt vmcnt(56)
	v_fma_f64 v[13:14], v[5:6], v[19:20], -v[13:14]
	ds_read_b128 v[62:65], v61 offset:1360
	v_fma_f64 v[19:20], v[7:8], v[19:20], v[128:129]
	v_add_f64 v[93:94], v[93:94], v[97:98]
	v_add_f64 v[9:10], v[9:10], v[25:26]
	s_clause 0x4
	buffer_load_dword v26, off, s[0:3], 0 offset:652
	buffer_load_dword v97, off, s[0:3], 0 offset:664
	;; [unrolled: 1-line block ×5, first 2 shown]
	ds_read_b128 v[5:8], v61 offset:1376
	s_waitcnt vmcnt(57) lgkmcnt(1)
	v_mul_f64 v[129:130], v[62:63], v[21:22]
	v_mul_f64 v[21:22], v[64:65], v[21:22]
	s_waitcnt vmcnt(56)
	v_fma_f64 v[17:18], v[1:2], v[11:12], -v[17:18]
	v_fma_f64 v[11:12], v[3:4], v[11:12], v[99:100]
	v_add_f64 v[13:14], v[93:94], v[13:14]
	v_add_f64 v[9:10], v[9:10], v[19:20]
	s_clause 0x2
	buffer_load_dword v98, off, s[0:3], 0 offset:668
	buffer_load_dword v20, off, s[0:3], 0 offset:644
	;; [unrolled: 1-line block ×3, first 2 shown]
	s_waitcnt vmcnt(58) lgkmcnt(0)
	v_mul_f64 v[93:94], v[5:6], v[27:28]
	v_mul_f64 v[27:28], v[7:8], v[27:28]
	s_waitcnt vmcnt(56)
	v_fma_f64 v[21:22], v[62:63], v[29:30], -v[21:22]
	ds_read_b128 v[1:4], v61 offset:1392
	v_add_f64 v[13:14], v[13:14], v[17:18]
	v_fma_f64 v[17:18], v[64:65], v[29:30], v[129:130]
	v_add_f64 v[29:30], v[9:10], v[11:12]
	s_clause 0x4
	buffer_load_dword v63, off, s[0:3], 0 offset:684
	buffer_load_dword v64, off, s[0:3], 0 offset:696
	;; [unrolled: 1-line block ×5, first 2 shown]
	ds_read_b128 v[9:12], v61 offset:1408
	s_waitcnt vmcnt(57) lgkmcnt(1)
	v_mul_f64 v[129:130], v[1:2], v[31:32]
	v_mul_f64 v[31:32], v[3:4], v[31:32]
	s_waitcnt vmcnt(56)
	v_fma_f64 v[27:28], v[5:6], v[15:16], -v[27:28]
	v_fma_f64 v[15:16], v[7:8], v[15:16], v[93:94]
	v_add_f64 v[13:14], v[13:14], v[21:22]
	s_clause 0x2
	buffer_load_dword v65, off, s[0:3], 0 offset:700
	buffer_load_dword v22, off, s[0:3], 0 offset:676
	;; [unrolled: 1-line block ×3, first 2 shown]
	v_add_f64 v[17:18], v[29:30], v[17:18]
	s_waitcnt vmcnt(58) lgkmcnt(0)
	v_mul_f64 v[29:30], v[9:10], v[35:36]
	v_mul_f64 v[35:36], v[11:12], v[35:36]
	ds_read_b128 v[5:8], v61 offset:1424
	s_waitcnt vmcnt(56)
	v_fma_f64 v[31:32], v[1:2], v[37:38], -v[31:32]
	v_add_f64 v[13:14], v[13:14], v[27:28]
	v_fma_f64 v[27:28], v[3:4], v[37:38], v[129:130]
	v_add_f64 v[15:16], v[17:18], v[15:16]
	s_clause 0x4
	buffer_load_dword v18, off, s[0:3], 0 offset:716
	buffer_load_dword v37, off, s[0:3], 0 offset:728
	buffer_load_dword v93, off, s[0:3], 0 offset:720
	buffer_load_dword v17, off, s[0:3], 0 offset:712
	buffer_load_dword v100, off, s[0:3], 0 offset:692
	s_waitcnt vmcnt(57) lgkmcnt(0)
	v_mul_f64 v[129:130], v[5:6], v[39:40]
	v_mul_f64 v[39:40], v[7:8], v[39:40]
	s_waitcnt vmcnt(56)
	v_fma_f64 v[35:36], v[9:10], v[23:24], -v[35:36]
	ds_read_b128 v[1:4], v61 offset:1440
	v_fma_f64 v[23:24], v[11:12], v[23:24], v[29:30]
	v_add_f64 v[13:14], v[13:14], v[31:32]
	v_add_f64 v[15:16], v[15:16], v[27:28]
	s_clause 0x2
	buffer_load_dword v38, off, s[0:3], 0 offset:732
	buffer_load_dword v28, off, s[0:3], 0 offset:708
	buffer_load_dword v27, off, s[0:3], 0 offset:704
	ds_read_b128 v[9:12], v61 offset:1456
	s_waitcnt vmcnt(58) lgkmcnt(1)
	v_mul_f64 v[31:32], v[3:4], v[43:44]
	s_waitcnt vmcnt(56)
	v_fma_f64 v[39:40], v[5:6], v[45:46], -v[39:40]
	v_mul_f64 v[29:30], v[1:2], v[43:44]
	v_add_f64 v[13:14], v[13:14], v[35:36]
	v_fma_f64 v[35:36], v[7:8], v[45:46], v[129:130]
	v_add_f64 v[15:16], v[15:16], v[23:24]
	s_clause 0x4
	buffer_load_dword v24, off, s[0:3], 0 offset:748
	buffer_load_dword v43, off, s[0:3], 0 offset:760
	;; [unrolled: 1-line block ×5, first 2 shown]
	s_waitcnt vmcnt(57) lgkmcnt(0)
	v_mul_f64 v[129:130], v[9:10], v[47:48]
	v_mul_f64 v[46:47], v[11:12], v[47:48]
	s_waitcnt vmcnt(56)
	v_fma_f64 v[31:32], v[1:2], v[33:34], -v[31:32]
	ds_read_b128 v[5:8], v61 offset:1472
	v_fma_f64 v[29:30], v[3:4], v[33:34], v[29:30]
	s_clause 0x2
	buffer_load_dword v44, off, s[0:3], 0 offset:764
	buffer_load_dword v34, off, s[0:3], 0 offset:740
	;; [unrolled: 1-line block ×3, first 2 shown]
	ds_read_b128 v[1:4], v61 offset:1488
	v_add_f64 v[13:14], v[13:14], v[39:40]
	v_add_f64 v[15:16], v[15:16], v[35:36]
	s_waitcnt vmcnt(58) lgkmcnt(1)
	v_mul_f64 v[39:40], v[7:8], v[51:52]
	s_waitcnt vmcnt(56)
	v_fma_f64 v[47:48], v[9:10], v[53:54], -v[46:47]
	v_mul_f64 v[35:36], v[5:6], v[51:52]
	v_add_f64 v[13:14], v[13:14], v[31:32]
	v_fma_f64 v[31:32], v[11:12], v[53:54], v[129:130]
	v_add_f64 v[15:16], v[15:16], v[29:30]
	s_clause 0x4
	buffer_load_dword v30, off, s[0:3], 0 offset:780
	buffer_load_dword v51, off, s[0:3], 0 offset:792
	;; [unrolled: 1-line block ×5, first 2 shown]
	s_waitcnt vmcnt(57) lgkmcnt(0)
	v_mul_f64 v[129:130], v[1:2], v[55:56]
	v_mul_f64 v[54:55], v[3:4], v[55:56]
	s_waitcnt vmcnt(56)
	v_fma_f64 v[39:40], v[5:6], v[41:42], -v[39:40]
	ds_read_b128 v[9:12], v61 offset:1504
	v_fma_f64 v[35:36], v[7:8], v[41:42], v[35:36]
	v_add_f64 v[13:14], v[13:14], v[47:48]
	v_add_f64 v[15:16], v[15:16], v[31:32]
	s_clause 0x2
	buffer_load_dword v52, off, s[0:3], 0 offset:796
	buffer_load_dword v32, off, s[0:3], 0 offset:772
	;; [unrolled: 1-line block ×3, first 2 shown]
	ds_read_b128 v[5:8], v61 offset:1520
	s_waitcnt vmcnt(58) lgkmcnt(1)
	v_mul_f64 v[47:48], v[11:12], v[57:58]
	s_waitcnt vmcnt(56)
	v_fma_f64 v[55:56], v[1:2], v[59:60], -v[54:55]
	v_mul_f64 v[41:42], v[9:10], v[57:58]
	v_add_f64 v[13:14], v[13:14], v[39:40]
	v_fma_f64 v[39:40], v[3:4], v[59:60], v[129:130]
	v_add_f64 v[15:16], v[15:16], v[35:36]
	s_clause 0x4
	buffer_load_dword v36, off, s[0:3], 0 offset:812
	buffer_load_dword v57, off, s[0:3], 0 offset:824
	;; [unrolled: 1-line block ×5, first 2 shown]
	s_waitcnt vmcnt(57) lgkmcnt(0)
	v_mul_f64 v[129:130], v[5:6], v[70:71]
	v_mul_f64 v[70:71], v[7:8], v[70:71]
	s_waitcnt vmcnt(56)
	v_fma_f64 v[47:48], v[9:10], v[49:50], -v[47:48]
	ds_read_b128 v[1:4], v61 offset:1536
	v_fma_f64 v[41:42], v[11:12], v[49:50], v[41:42]
	v_add_f64 v[13:14], v[13:14], v[55:56]
	v_add_f64 v[15:16], v[15:16], v[39:40]
	s_clause 0x2
	buffer_load_dword v58, off, s[0:3], 0 offset:828
	buffer_load_dword v40, off, s[0:3], 0 offset:804
	buffer_load_dword v39, off, s[0:3], 0 offset:800
	ds_read_b128 v[9:12], v61 offset:1552
	s_waitcnt vmcnt(58) lgkmcnt(1)
	v_mul_f64 v[55:56], v[3:4], v[109:110]
	s_waitcnt vmcnt(56)
	v_fma_f64 v[70:71], v[5:6], v[114:115], -v[70:71]
	v_mul_f64 v[49:50], v[1:2], v[109:110]
	v_add_f64 v[13:14], v[13:14], v[47:48]
	v_fma_f64 v[47:48], v[7:8], v[114:115], v[129:130]
	v_add_f64 v[15:16], v[15:16], v[41:42]
	s_clause 0x4
	buffer_load_dword v42, off, s[0:3], 0 offset:844
	buffer_load_dword v109, off, s[0:3], 0 offset:856
	buffer_load_dword v113, off, s[0:3], 0 offset:848
	buffer_load_dword v41, off, s[0:3], 0 offset:840
	buffer_load_dword v60, off, s[0:3], 0 offset:820
	ds_read_b128 v[5:8], v61 offset:1568
	s_waitcnt vmcnt(57) lgkmcnt(1)
	v_mul_f64 v[114:115], v[9:10], v[95:96]
	v_mul_f64 v[95:96], v[11:12], v[95:96]
	s_waitcnt vmcnt(56)
	v_fma_f64 v[55:56], v[1:2], v[111:112], -v[55:56]
	v_fma_f64 v[49:50], v[3:4], v[111:112], v[49:50]
	v_add_f64 v[13:14], v[13:14], v[70:71]
	v_add_f64 v[15:16], v[15:16], v[47:48]
	s_clause 0x2
	buffer_load_dword v110, off, s[0:3], 0 offset:860
	buffer_load_dword v48, off, s[0:3], 0 offset:836
	;; [unrolled: 1-line block ×3, first 2 shown]
	ds_read_b128 v[1:4], v61 offset:1584
	s_waitcnt vmcnt(58) lgkmcnt(1)
	v_mul_f64 v[111:112], v[7:8], v[125:126]
	v_mul_f64 v[70:71], v[5:6], v[125:126]
	s_waitcnt vmcnt(56)
	v_fma_f64 v[95:96], v[9:10], v[66:67], -v[95:96]
	v_add_f64 v[13:14], v[13:14], v[55:56]
	v_fma_f64 v[55:56], v[11:12], v[66:67], v[114:115]
	v_add_f64 v[15:16], v[15:16], v[49:50]
	s_clause 0x4
	buffer_load_dword v50, off, s[0:3], 0 offset:876
	buffer_load_dword v66, off, s[0:3], 0 offset:888
	;; [unrolled: 1-line block ×5, first 2 shown]
	ds_read_b128 v[9:12], v61 offset:1600
	s_waitcnt vmcnt(57) lgkmcnt(1)
	v_mul_f64 v[125:126], v[1:2], v[25:26]
	v_mul_f64 v[25:26], v[3:4], v[25:26]
	s_waitcnt vmcnt(56)
	v_fma_f64 v[111:112], v[5:6], v[127:128], -v[111:112]
	v_fma_f64 v[70:71], v[7:8], v[127:128], v[70:71]
	v_add_f64 v[13:14], v[13:14], v[95:96]
	v_add_f64 v[15:16], v[15:16], v[55:56]
	s_clause 0x2
	buffer_load_dword v67, off, s[0:3], 0 offset:892
	buffer_load_dword v56, off, s[0:3], 0 offset:868
	;; [unrolled: 1-line block ×3, first 2 shown]
	ds_read_b128 v[5:8], v61 offset:1616
	s_waitcnt vmcnt(58) lgkmcnt(1)
	v_mul_f64 v[95:96], v[9:10], v[97:98]
	v_mul_f64 v[97:98], v[11:12], v[97:98]
	s_waitcnt vmcnt(56)
	v_fma_f64 v[25:26], v[1:2], v[19:20], -v[25:26]
	v_fma_f64 v[19:20], v[3:4], v[19:20], v[125:126]
	v_add_f64 v[13:14], v[13:14], v[111:112]
	v_add_f64 v[15:16], v[15:16], v[70:71]
	s_clause 0x4
	buffer_load_dword v71, off, s[0:3], 0 offset:908
	buffer_load_dword v111, off, s[0:3], 0 offset:920
	;; [unrolled: 1-line block ×5, first 2 shown]
	ds_read_b128 v[1:4], v61 offset:1632
	s_waitcnt vmcnt(57) lgkmcnt(1)
	v_mul_f64 v[126:127], v[5:6], v[62:63]
	v_mul_f64 v[62:63], v[7:8], v[62:63]
	s_waitcnt vmcnt(56)
	v_fma_f64 v[97:98], v[9:10], v[123:124], -v[97:98]
	v_add_f64 v[13:14], v[13:14], v[25:26]
	v_fma_f64 v[25:26], v[11:12], v[123:124], v[95:96]
	v_add_f64 v[15:16], v[15:16], v[19:20]
	s_clause 0x2
	buffer_load_dword v112, off, s[0:3], 0 offset:924
	buffer_load_dword v20, off, s[0:3], 0 offset:900
	;; [unrolled: 1-line block ×3, first 2 shown]
	ds_read_b128 v[9:12], v61 offset:1648
	s_waitcnt vmcnt(58) lgkmcnt(1)
	v_mul_f64 v[95:96], v[1:2], v[64:65]
	v_mul_f64 v[64:65], v[3:4], v[64:65]
	s_waitcnt vmcnt(56)
	v_fma_f64 v[62:63], v[5:6], v[21:22], -v[62:63]
	v_fma_f64 v[21:22], v[7:8], v[21:22], v[126:127]
	v_add_f64 v[13:14], v[13:14], v[97:98]
	v_add_f64 v[15:16], v[15:16], v[25:26]
	s_clause 0x4
	buffer_load_dword v26, off, s[0:3], 0 offset:940
	buffer_load_dword v97, off, s[0:3], 0 offset:952
	;; [unrolled: 1-line block ×5, first 2 shown]
	ds_read_b128 v[5:8], v61 offset:1664
	s_waitcnt vmcnt(57) lgkmcnt(1)
	v_mul_f64 v[127:128], v[9:10], v[17:18]
	v_mul_f64 v[17:18], v[11:12], v[17:18]
	s_waitcnt vmcnt(56)
	v_fma_f64 v[64:65], v[1:2], v[99:100], -v[64:65]
	v_add_f64 v[13:14], v[13:14], v[62:63]
	v_fma_f64 v[62:63], v[3:4], v[99:100], v[95:96]
	v_add_f64 v[15:16], v[15:16], v[21:22]
	s_clause 0x2
	buffer_load_dword v98, off, s[0:3], 0 offset:956
	buffer_load_dword v22, off, s[0:3], 0 offset:932
	;; [unrolled: 1-line block ×3, first 2 shown]
	ds_read_b128 v[1:4], v61 offset:1680
	s_waitcnt vmcnt(58) lgkmcnt(1)
	v_mul_f64 v[95:96], v[5:6], v[37:38]
	v_mul_f64 v[37:38], v[7:8], v[37:38]
	s_waitcnt vmcnt(56)
	v_fma_f64 v[17:18], v[9:10], v[27:28], -v[17:18]
	v_fma_f64 v[27:28], v[11:12], v[27:28], v[127:128]
	v_add_f64 v[13:14], v[13:14], v[64:65]
	v_add_f64 v[15:16], v[15:16], v[62:63]
	s_clause 0x2
	buffer_load_dword v63, off, s[0:3], 0 offset:972
	buffer_load_dword v62, off, s[0:3], 0 offset:968
	buffer_load_dword v124, off, s[0:3], 0 offset:948
	ds_read_b128 v[9:12], v61 offset:1696
	s_waitcnt vmcnt(55) lgkmcnt(1)
	v_mul_f64 v[64:65], v[1:2], v[23:24]
	v_mul_f64 v[23:24], v[3:4], v[23:24]
	s_waitcnt vmcnt(54)
	v_fma_f64 v[37:38], v[5:6], v[93:94], -v[37:38]
	v_add_f64 v[13:14], v[13:14], v[17:18]
	v_fma_f64 v[17:18], v[7:8], v[93:94], v[95:96]
	v_add_f64 v[15:16], v[15:16], v[27:28]
	s_clause 0x1
	buffer_load_dword v28, off, s[0:3], 0 offset:964
	buffer_load_dword v27, off, s[0:3], 0 offset:960
	s_waitcnt vmcnt(55) lgkmcnt(0)
	v_mul_f64 v[93:94], v[9:10], v[43:44]
	v_mul_f64 v[43:44], v[11:12], v[43:44]
	ds_read_b128 v[5:8], v61 offset:1712
	s_waitcnt vmcnt(53)
	v_fma_f64 v[23:24], v[1:2], v[33:34], -v[23:24]
	v_fma_f64 v[33:34], v[3:4], v[33:34], v[64:65]
	ds_read_b128 v[1:4], v61 offset:1728
	v_add_f64 v[13:14], v[13:14], v[37:38]
	v_add_f64 v[15:16], v[15:16], v[17:18]
	s_waitcnt vmcnt(49) lgkmcnt(1)
	v_mul_f64 v[17:18], v[5:6], v[29:30]
	v_mul_f64 v[29:30], v[7:8], v[29:30]
	s_waitcnt vmcnt(48)
	v_fma_f64 v[37:38], v[9:10], v[45:46], -v[43:44]
	v_add_f64 v[13:14], v[13:14], v[23:24]
	v_fma_f64 v[23:24], v[11:12], v[45:46], v[93:94]
	v_add_f64 v[15:16], v[15:16], v[33:34]
	s_clause 0x3
	buffer_load_dword v33, off, s[0:3], 0 offset:320
	buffer_load_dword v34, off, s[0:3], 0 offset:324
	buffer_load_dword v43, off, s[0:3], 0 offset:328
	buffer_load_dword v44, off, s[0:3], 0 offset:332
	ds_read_b128 v[9:12], v61 offset:1744
	s_waitcnt vmcnt(51) lgkmcnt(1)
	v_mul_f64 v[45:46], v[1:2], v[51:52]
	v_mul_f64 v[51:52], v[3:4], v[51:52]
	s_waitcnt vmcnt(49)
	v_fma_f64 v[29:30], v[5:6], v[31:32], -v[29:30]
	v_fma_f64 v[17:18], v[7:8], v[31:32], v[17:18]
	ds_read_b128 v[5:8], v61 offset:1760
	v_add_f64 v[13:14], v[13:14], v[37:38]
	v_add_f64 v[15:16], v[15:16], v[23:24]
	s_waitcnt vmcnt(45) lgkmcnt(1)
	v_mul_f64 v[23:24], v[9:10], v[35:36]
	v_mul_f64 v[31:32], v[11:12], v[35:36]
	s_waitcnt vmcnt(44)
	v_fma_f64 v[35:36], v[1:2], v[53:54], -v[51:52]
	v_add_f64 v[13:14], v[13:14], v[29:30]
	v_fma_f64 v[29:30], v[3:4], v[53:54], v[45:46]
	v_add_f64 v[15:16], v[15:16], v[17:18]
	ds_read_b128 v[1:4], v61 offset:1776
	s_waitcnt vmcnt(43) lgkmcnt(1)
	v_mul_f64 v[37:38], v[7:8], v[57:58]
	v_mul_f64 v[17:18], v[5:6], v[57:58]
	s_waitcnt vmcnt(41)
	v_fma_f64 v[31:32], v[9:10], v[39:40], -v[31:32]
	v_fma_f64 v[23:24], v[11:12], v[39:40], v[23:24]
	ds_read_b128 v[9:12], v61 offset:1792
	v_add_f64 v[13:14], v[13:14], v[35:36]
	v_add_f64 v[15:16], v[15:16], v[29:30]
	s_waitcnt vmcnt(37) lgkmcnt(1)
	v_mul_f64 v[35:36], v[3:4], v[41:42]
	s_waitcnt vmcnt(36)
	v_fma_f64 v[37:38], v[5:6], v[59:60], -v[37:38]
	v_mul_f64 v[29:30], v[1:2], v[41:42]
	v_fma_f64 v[17:18], v[7:8], v[59:60], v[17:18]
	ds_read_b128 v[5:8], v61 offset:1808
	v_add_f64 v[13:14], v[13:14], v[31:32]
	v_add_f64 v[15:16], v[15:16], v[23:24]
	s_waitcnt vmcnt(35) lgkmcnt(1)
	v_mul_f64 v[31:32], v[11:12], v[109:110]
	v_mul_f64 v[23:24], v[9:10], v[109:110]
	s_waitcnt vmcnt(33)
	v_fma_f64 v[35:36], v[1:2], v[47:48], -v[35:36]
	v_fma_f64 v[29:30], v[3:4], v[47:48], v[29:30]
	ds_read_b128 v[1:4], v61 offset:1824
	v_add_f64 v[13:14], v[13:14], v[37:38]
	v_add_f64 v[15:16], v[15:16], v[17:18]
	s_waitcnt vmcnt(29) lgkmcnt(1)
	v_mul_f64 v[37:38], v[7:8], v[49:50]
	s_waitcnt vmcnt(28)
	v_fma_f64 v[31:32], v[9:10], v[113:114], -v[31:32]
	v_mul_f64 v[17:18], v[5:6], v[49:50]
	v_fma_f64 v[23:24], v[11:12], v[113:114], v[23:24]
	ds_read_b128 v[9:12], v61 offset:1840
	v_add_f64 v[13:14], v[13:14], v[35:36]
	v_add_f64 v[15:16], v[15:16], v[29:30]
	;; [unrolled: 18-line block ×3, first 2 shown]
	s_waitcnt vmcnt(19) lgkmcnt(1)
	v_mul_f64 v[37:38], v[7:8], v[111:112]
	v_mul_f64 v[17:18], v[5:6], v[111:112]
	s_waitcnt vmcnt(17)
	v_fma_f64 v[31:32], v[9:10], v[19:20], -v[31:32]
	v_fma_f64 v[19:20], v[11:12], v[19:20], v[23:24]
	ds_read_b128 v[9:12], v61 offset:1888
	v_add_f64 v[13:14], v[13:14], v[35:36]
	v_add_f64 v[15:16], v[15:16], v[29:30]
	s_waitcnt vmcnt(13) lgkmcnt(1)
	v_mul_f64 v[23:24], v[1:2], v[25:26]
	v_mul_f64 v[25:26], v[3:4], v[25:26]
	s_waitcnt vmcnt(12)
	v_fma_f64 v[29:30], v[5:6], v[125:126], -v[37:38]
	v_fma_f64 v[17:18], v[7:8], v[125:126], v[17:18]
	ds_read_b128 v[5:8], v61 offset:1904
	v_add_f64 v[13:14], v[13:14], v[31:32]
	v_add_f64 v[15:16], v[15:16], v[19:20]
	s_waitcnt vmcnt(11) lgkmcnt(1)
	v_mul_f64 v[31:32], v[11:12], v[97:98]
	v_mul_f64 v[19:20], v[9:10], v[97:98]
	s_waitcnt vmcnt(9)
	v_fma_f64 v[1:2], v[1:2], v[21:22], -v[25:26]
	v_fma_f64 v[3:4], v[3:4], v[21:22], v[23:24]
	v_add_f64 v[13:14], v[13:14], v[29:30]
	v_add_f64 v[15:16], v[15:16], v[17:18]
	s_waitcnt vmcnt(7) lgkmcnt(0)
	v_mul_f64 v[21:22], v[7:8], v[62:63]
	s_waitcnt vmcnt(6)
	v_fma_f64 v[9:10], v[9:10], v[123:124], -v[31:32]
	v_mul_f64 v[17:18], v[5:6], v[62:63]
	v_fma_f64 v[11:12], v[11:12], v[123:124], v[19:20]
	v_add_f64 v[1:2], v[13:14], v[1:2]
	v_add_f64 v[3:4], v[15:16], v[3:4]
	s_waitcnt vmcnt(4)
	v_fma_f64 v[5:6], v[5:6], v[27:28], -v[21:22]
	v_fma_f64 v[7:8], v[7:8], v[27:28], v[17:18]
	v_add_f64 v[1:2], v[1:2], v[9:10]
	v_add_f64 v[3:4], v[3:4], v[11:12]
	;; [unrolled: 1-line block ×4, first 2 shown]
	s_waitcnt vmcnt(2)
	v_add_f64 v[1:2], v[33:34], -v[1:2]
	s_waitcnt vmcnt(0)
	v_add_f64 v[3:4], v[43:44], -v[3:4]
	buffer_store_dword v2, off, s[0:3], 0 offset:324
	buffer_store_dword v1, off, s[0:3], 0 offset:320
	;; [unrolled: 1-line block ×4, first 2 shown]
	v_cmpx_lt_u32_e32 18, v0
	s_cbranch_execz .LBB59_337
; %bb.336:
	v_mov_b32_e32 v4, s57
	v_mov_b32_e32 v5, 0
	s_clause 0x3
	buffer_load_dword v1, v4, s[0:3], 0 offen
	buffer_load_dword v2, v4, s[0:3], 0 offen offset:4
	buffer_load_dword v3, v4, s[0:3], 0 offen offset:8
	buffer_load_dword v4, v4, s[0:3], 0 offen offset:12
	buffer_store_dword v5, off, s[0:3], 0 offset:304
	buffer_store_dword v5, off, s[0:3], 0 offset:308
	;; [unrolled: 1-line block ×4, first 2 shown]
	s_waitcnt vmcnt(0)
	ds_write_b128 v69, v[1:4]
.LBB59_337:
	s_or_b32 exec_lo, exec_lo, s4
	s_waitcnt lgkmcnt(0)
	s_waitcnt_vscnt null, 0x0
	s_barrier
	buffer_gl0_inv
	s_clause 0x37
	buffer_load_dword v9, off, s[0:3], 0 offset:328
	buffer_load_dword v10, off, s[0:3], 0 offset:332
	;; [unrolled: 1-line block ×56, first 2 shown]
	v_mov_b32_e32 v61, 0
	s_mov_b32 s4, exec_lo
	ds_read_b128 v[62:65], v61 offset:1264
	s_clause 0x2
	buffer_load_dword v58, off, s[0:3], 0 offset:556
	buffer_load_dword v60, off, s[0:3], 0 offset:532
	;; [unrolled: 1-line block ×3, first 2 shown]
	ds_read_b128 v[93:96], v61 offset:1280
	s_clause 0x4
	buffer_load_dword v71, off, s[0:3], 0 offset:572
	buffer_load_dword v109, off, s[0:3], 0 offset:584
	;; [unrolled: 1-line block ×5, first 2 shown]
	ds_read_b128 v[97:100], v61 offset:1296
	s_clause 0x2
	buffer_load_dword v110, off, s[0:3], 0 offset:588
	buffer_load_dword v115, off, s[0:3], 0 offset:564
	;; [unrolled: 1-line block ×3, first 2 shown]
	s_waitcnt vmcnt(62) lgkmcnt(2)
	v_mul_f64 v[66:67], v[64:65], v[9:10]
	v_mul_f64 v[9:10], v[62:63], v[9:10]
	s_waitcnt lgkmcnt(1)
	v_mul_f64 v[112:113], v[95:96], v[5:6]
	s_waitcnt vmcnt(59) lgkmcnt(0)
	v_mul_f64 v[123:124], v[99:100], v[3:4]
	v_fma_f64 v[62:63], v[62:63], v[7:8], -v[66:67]
	v_mul_f64 v[66:67], v[93:94], v[5:6]
	v_fma_f64 v[9:10], v[64:65], v[7:8], v[9:10]
	s_waitcnt vmcnt(57)
	v_fma_f64 v[93:94], v[93:94], v[1:2], -v[112:113]
	ds_read_b128 v[5:8], v61 offset:1312
	v_mul_f64 v[64:65], v[97:98], v[3:4]
	s_waitcnt vmcnt(51)
	v_fma_f64 v[97:98], v[97:98], v[25:26], -v[123:124]
	v_add_f64 v[62:63], v[62:63], 0
	v_fma_f64 v[66:67], v[95:96], v[1:2], v[66:67]
	v_add_f64 v[9:10], v[9:10], 0
	s_clause 0x4
	buffer_load_dword v96, off, s[0:3], 0 offset:604
	buffer_load_dword v125, off, s[0:3], 0 offset:616
	;; [unrolled: 1-line block ×5, first 2 shown]
	s_waitcnt lgkmcnt(0)
	v_mul_f64 v[128:129], v[5:6], v[13:14]
	v_mul_f64 v[13:14], v[7:8], v[13:14]
	ds_read_b128 v[1:4], v61 offset:1328
	v_fma_f64 v[25:26], v[99:100], v[25:26], v[64:65]
	v_add_f64 v[93:94], v[62:63], v[93:94]
	v_add_f64 v[9:10], v[9:10], v[66:67]
	s_clause 0x2
	buffer_load_dword v126, off, s[0:3], 0 offset:620
	buffer_load_dword v67, off, s[0:3], 0 offset:596
	;; [unrolled: 1-line block ×3, first 2 shown]
	s_waitcnt vmcnt(58) lgkmcnt(0)
	v_mul_f64 v[99:100], v[1:2], v[17:18]
	v_mul_f64 v[17:18], v[3:4], v[17:18]
	s_waitcnt vmcnt(56)
	v_fma_f64 v[13:14], v[5:6], v[19:20], -v[13:14]
	ds_read_b128 v[62:65], v61 offset:1344
	v_fma_f64 v[19:20], v[7:8], v[19:20], v[128:129]
	v_add_f64 v[93:94], v[93:94], v[97:98]
	v_add_f64 v[9:10], v[9:10], v[25:26]
	s_clause 0x4
	buffer_load_dword v26, off, s[0:3], 0 offset:636
	buffer_load_dword v97, off, s[0:3], 0 offset:648
	;; [unrolled: 1-line block ×5, first 2 shown]
	ds_read_b128 v[5:8], v61 offset:1360
	s_waitcnt vmcnt(57) lgkmcnt(1)
	v_mul_f64 v[129:130], v[62:63], v[21:22]
	v_mul_f64 v[21:22], v[64:65], v[21:22]
	s_waitcnt vmcnt(56)
	v_fma_f64 v[17:18], v[1:2], v[11:12], -v[17:18]
	v_fma_f64 v[11:12], v[3:4], v[11:12], v[99:100]
	v_add_f64 v[13:14], v[93:94], v[13:14]
	v_add_f64 v[9:10], v[9:10], v[19:20]
	s_clause 0x2
	buffer_load_dword v98, off, s[0:3], 0 offset:652
	buffer_load_dword v20, off, s[0:3], 0 offset:628
	;; [unrolled: 1-line block ×3, first 2 shown]
	s_waitcnt vmcnt(58) lgkmcnt(0)
	v_mul_f64 v[93:94], v[5:6], v[27:28]
	v_mul_f64 v[27:28], v[7:8], v[27:28]
	s_waitcnt vmcnt(56)
	v_fma_f64 v[21:22], v[62:63], v[29:30], -v[21:22]
	ds_read_b128 v[1:4], v61 offset:1376
	v_add_f64 v[13:14], v[13:14], v[17:18]
	v_fma_f64 v[17:18], v[64:65], v[29:30], v[129:130]
	v_add_f64 v[29:30], v[9:10], v[11:12]
	s_clause 0x4
	buffer_load_dword v63, off, s[0:3], 0 offset:668
	buffer_load_dword v64, off, s[0:3], 0 offset:680
	;; [unrolled: 1-line block ×5, first 2 shown]
	ds_read_b128 v[9:12], v61 offset:1392
	s_waitcnt vmcnt(57) lgkmcnt(1)
	v_mul_f64 v[129:130], v[1:2], v[31:32]
	v_mul_f64 v[31:32], v[3:4], v[31:32]
	s_waitcnt vmcnt(56)
	v_fma_f64 v[27:28], v[5:6], v[15:16], -v[27:28]
	v_fma_f64 v[15:16], v[7:8], v[15:16], v[93:94]
	v_add_f64 v[13:14], v[13:14], v[21:22]
	s_clause 0x2
	buffer_load_dword v65, off, s[0:3], 0 offset:684
	buffer_load_dword v22, off, s[0:3], 0 offset:660
	;; [unrolled: 1-line block ×3, first 2 shown]
	v_add_f64 v[17:18], v[29:30], v[17:18]
	s_waitcnt vmcnt(58) lgkmcnt(0)
	v_mul_f64 v[29:30], v[9:10], v[35:36]
	v_mul_f64 v[35:36], v[11:12], v[35:36]
	ds_read_b128 v[5:8], v61 offset:1408
	s_waitcnt vmcnt(56)
	v_fma_f64 v[31:32], v[1:2], v[37:38], -v[31:32]
	v_add_f64 v[13:14], v[13:14], v[27:28]
	v_fma_f64 v[27:28], v[3:4], v[37:38], v[129:130]
	v_add_f64 v[15:16], v[17:18], v[15:16]
	s_clause 0x4
	buffer_load_dword v18, off, s[0:3], 0 offset:700
	buffer_load_dword v37, off, s[0:3], 0 offset:712
	;; [unrolled: 1-line block ×5, first 2 shown]
	s_waitcnt vmcnt(57) lgkmcnt(0)
	v_mul_f64 v[129:130], v[5:6], v[39:40]
	v_mul_f64 v[39:40], v[7:8], v[39:40]
	s_waitcnt vmcnt(56)
	v_fma_f64 v[35:36], v[9:10], v[23:24], -v[35:36]
	ds_read_b128 v[1:4], v61 offset:1424
	v_fma_f64 v[23:24], v[11:12], v[23:24], v[29:30]
	v_add_f64 v[13:14], v[13:14], v[31:32]
	v_add_f64 v[15:16], v[15:16], v[27:28]
	s_clause 0x2
	buffer_load_dword v38, off, s[0:3], 0 offset:716
	buffer_load_dword v28, off, s[0:3], 0 offset:692
	;; [unrolled: 1-line block ×3, first 2 shown]
	ds_read_b128 v[9:12], v61 offset:1440
	s_waitcnt vmcnt(58) lgkmcnt(1)
	v_mul_f64 v[31:32], v[3:4], v[43:44]
	s_waitcnt vmcnt(56)
	v_fma_f64 v[39:40], v[5:6], v[45:46], -v[39:40]
	v_mul_f64 v[29:30], v[1:2], v[43:44]
	v_add_f64 v[13:14], v[13:14], v[35:36]
	v_fma_f64 v[35:36], v[7:8], v[45:46], v[129:130]
	v_add_f64 v[15:16], v[15:16], v[23:24]
	s_clause 0x4
	buffer_load_dword v24, off, s[0:3], 0 offset:732
	buffer_load_dword v43, off, s[0:3], 0 offset:744
	;; [unrolled: 1-line block ×5, first 2 shown]
	s_waitcnt vmcnt(57) lgkmcnt(0)
	v_mul_f64 v[129:130], v[9:10], v[47:48]
	v_mul_f64 v[46:47], v[11:12], v[47:48]
	s_waitcnt vmcnt(56)
	v_fma_f64 v[31:32], v[1:2], v[33:34], -v[31:32]
	ds_read_b128 v[5:8], v61 offset:1456
	v_fma_f64 v[29:30], v[3:4], v[33:34], v[29:30]
	s_clause 0x2
	buffer_load_dword v44, off, s[0:3], 0 offset:748
	buffer_load_dword v34, off, s[0:3], 0 offset:724
	buffer_load_dword v33, off, s[0:3], 0 offset:720
	ds_read_b128 v[1:4], v61 offset:1472
	v_add_f64 v[13:14], v[13:14], v[39:40]
	v_add_f64 v[15:16], v[15:16], v[35:36]
	s_waitcnt vmcnt(58) lgkmcnt(1)
	v_mul_f64 v[39:40], v[7:8], v[51:52]
	s_waitcnt vmcnt(56)
	v_fma_f64 v[47:48], v[9:10], v[53:54], -v[46:47]
	v_mul_f64 v[35:36], v[5:6], v[51:52]
	v_add_f64 v[13:14], v[13:14], v[31:32]
	v_fma_f64 v[31:32], v[11:12], v[53:54], v[129:130]
	v_add_f64 v[15:16], v[15:16], v[29:30]
	s_clause 0x4
	buffer_load_dword v30, off, s[0:3], 0 offset:764
	buffer_load_dword v51, off, s[0:3], 0 offset:776
	;; [unrolled: 1-line block ×5, first 2 shown]
	s_waitcnt vmcnt(57) lgkmcnt(0)
	v_mul_f64 v[129:130], v[1:2], v[55:56]
	v_mul_f64 v[54:55], v[3:4], v[55:56]
	s_waitcnt vmcnt(56)
	v_fma_f64 v[39:40], v[5:6], v[41:42], -v[39:40]
	ds_read_b128 v[9:12], v61 offset:1488
	v_fma_f64 v[35:36], v[7:8], v[41:42], v[35:36]
	v_add_f64 v[13:14], v[13:14], v[47:48]
	v_add_f64 v[15:16], v[15:16], v[31:32]
	s_clause 0x2
	buffer_load_dword v52, off, s[0:3], 0 offset:780
	buffer_load_dword v32, off, s[0:3], 0 offset:756
	buffer_load_dword v31, off, s[0:3], 0 offset:752
	ds_read_b128 v[5:8], v61 offset:1504
	s_waitcnt vmcnt(58) lgkmcnt(1)
	v_mul_f64 v[47:48], v[11:12], v[57:58]
	s_waitcnt vmcnt(56)
	v_fma_f64 v[55:56], v[1:2], v[59:60], -v[54:55]
	v_mul_f64 v[41:42], v[9:10], v[57:58]
	v_add_f64 v[13:14], v[13:14], v[39:40]
	v_fma_f64 v[39:40], v[3:4], v[59:60], v[129:130]
	v_add_f64 v[15:16], v[15:16], v[35:36]
	s_clause 0x4
	buffer_load_dword v36, off, s[0:3], 0 offset:796
	buffer_load_dword v57, off, s[0:3], 0 offset:808
	;; [unrolled: 1-line block ×5, first 2 shown]
	s_waitcnt vmcnt(57) lgkmcnt(0)
	v_mul_f64 v[129:130], v[5:6], v[70:71]
	v_mul_f64 v[70:71], v[7:8], v[70:71]
	s_waitcnt vmcnt(56)
	v_fma_f64 v[47:48], v[9:10], v[49:50], -v[47:48]
	ds_read_b128 v[1:4], v61 offset:1520
	v_fma_f64 v[41:42], v[11:12], v[49:50], v[41:42]
	v_add_f64 v[13:14], v[13:14], v[55:56]
	v_add_f64 v[15:16], v[15:16], v[39:40]
	s_clause 0x2
	buffer_load_dword v58, off, s[0:3], 0 offset:812
	buffer_load_dword v40, off, s[0:3], 0 offset:788
	;; [unrolled: 1-line block ×3, first 2 shown]
	ds_read_b128 v[9:12], v61 offset:1536
	s_waitcnt vmcnt(58) lgkmcnt(1)
	v_mul_f64 v[55:56], v[3:4], v[109:110]
	s_waitcnt vmcnt(56)
	v_fma_f64 v[70:71], v[5:6], v[114:115], -v[70:71]
	v_mul_f64 v[49:50], v[1:2], v[109:110]
	v_add_f64 v[13:14], v[13:14], v[47:48]
	v_fma_f64 v[47:48], v[7:8], v[114:115], v[129:130]
	v_add_f64 v[15:16], v[15:16], v[41:42]
	s_clause 0x4
	buffer_load_dword v42, off, s[0:3], 0 offset:828
	buffer_load_dword v109, off, s[0:3], 0 offset:840
	;; [unrolled: 1-line block ×5, first 2 shown]
	ds_read_b128 v[5:8], v61 offset:1552
	s_waitcnt vmcnt(57) lgkmcnt(1)
	v_mul_f64 v[114:115], v[9:10], v[95:96]
	v_mul_f64 v[95:96], v[11:12], v[95:96]
	s_waitcnt vmcnt(56)
	v_fma_f64 v[55:56], v[1:2], v[111:112], -v[55:56]
	v_fma_f64 v[49:50], v[3:4], v[111:112], v[49:50]
	v_add_f64 v[13:14], v[13:14], v[70:71]
	v_add_f64 v[15:16], v[15:16], v[47:48]
	s_clause 0x2
	buffer_load_dword v110, off, s[0:3], 0 offset:844
	buffer_load_dword v48, off, s[0:3], 0 offset:820
	buffer_load_dword v47, off, s[0:3], 0 offset:816
	ds_read_b128 v[1:4], v61 offset:1568
	s_waitcnt vmcnt(58) lgkmcnt(1)
	v_mul_f64 v[111:112], v[7:8], v[125:126]
	v_mul_f64 v[70:71], v[5:6], v[125:126]
	s_waitcnt vmcnt(56)
	v_fma_f64 v[95:96], v[9:10], v[66:67], -v[95:96]
	v_add_f64 v[13:14], v[13:14], v[55:56]
	v_fma_f64 v[55:56], v[11:12], v[66:67], v[114:115]
	v_add_f64 v[15:16], v[15:16], v[49:50]
	s_clause 0x4
	buffer_load_dword v50, off, s[0:3], 0 offset:860
	buffer_load_dword v66, off, s[0:3], 0 offset:872
	;; [unrolled: 1-line block ×5, first 2 shown]
	ds_read_b128 v[9:12], v61 offset:1584
	s_waitcnt vmcnt(57) lgkmcnt(1)
	v_mul_f64 v[125:126], v[1:2], v[25:26]
	v_mul_f64 v[25:26], v[3:4], v[25:26]
	s_waitcnt vmcnt(56)
	v_fma_f64 v[111:112], v[5:6], v[127:128], -v[111:112]
	v_fma_f64 v[70:71], v[7:8], v[127:128], v[70:71]
	v_add_f64 v[13:14], v[13:14], v[95:96]
	v_add_f64 v[15:16], v[15:16], v[55:56]
	s_clause 0x2
	buffer_load_dword v67, off, s[0:3], 0 offset:876
	buffer_load_dword v56, off, s[0:3], 0 offset:852
	buffer_load_dword v55, off, s[0:3], 0 offset:848
	ds_read_b128 v[5:8], v61 offset:1600
	s_waitcnt vmcnt(58) lgkmcnt(1)
	v_mul_f64 v[95:96], v[9:10], v[97:98]
	v_mul_f64 v[97:98], v[11:12], v[97:98]
	s_waitcnt vmcnt(56)
	v_fma_f64 v[25:26], v[1:2], v[19:20], -v[25:26]
	v_fma_f64 v[19:20], v[3:4], v[19:20], v[125:126]
	v_add_f64 v[13:14], v[13:14], v[111:112]
	v_add_f64 v[15:16], v[15:16], v[70:71]
	s_clause 0x4
	buffer_load_dword v71, off, s[0:3], 0 offset:892
	buffer_load_dword v111, off, s[0:3], 0 offset:904
	buffer_load_dword v125, off, s[0:3], 0 offset:896
	buffer_load_dword v70, off, s[0:3], 0 offset:888
	buffer_load_dword v116, off, s[0:3], 0 offset:868
	ds_read_b128 v[1:4], v61 offset:1616
	s_waitcnt vmcnt(57) lgkmcnt(1)
	v_mul_f64 v[126:127], v[5:6], v[62:63]
	v_mul_f64 v[62:63], v[7:8], v[62:63]
	s_waitcnt vmcnt(56)
	v_fma_f64 v[97:98], v[9:10], v[123:124], -v[97:98]
	v_add_f64 v[13:14], v[13:14], v[25:26]
	v_fma_f64 v[25:26], v[11:12], v[123:124], v[95:96]
	v_add_f64 v[15:16], v[15:16], v[19:20]
	s_clause 0x2
	buffer_load_dword v112, off, s[0:3], 0 offset:908
	buffer_load_dword v20, off, s[0:3], 0 offset:884
	buffer_load_dword v19, off, s[0:3], 0 offset:880
	ds_read_b128 v[9:12], v61 offset:1632
	s_waitcnt vmcnt(58) lgkmcnt(1)
	v_mul_f64 v[95:96], v[1:2], v[64:65]
	v_mul_f64 v[64:65], v[3:4], v[64:65]
	s_waitcnt vmcnt(56)
	v_fma_f64 v[62:63], v[5:6], v[21:22], -v[62:63]
	v_fma_f64 v[21:22], v[7:8], v[21:22], v[126:127]
	v_add_f64 v[13:14], v[13:14], v[97:98]
	v_add_f64 v[15:16], v[15:16], v[25:26]
	s_clause 0x4
	buffer_load_dword v26, off, s[0:3], 0 offset:924
	buffer_load_dword v97, off, s[0:3], 0 offset:936
	buffer_load_dword v123, off, s[0:3], 0 offset:928
	buffer_load_dword v25, off, s[0:3], 0 offset:920
	buffer_load_dword v126, off, s[0:3], 0 offset:900
	ds_read_b128 v[5:8], v61 offset:1648
	s_waitcnt vmcnt(57) lgkmcnt(1)
	v_mul_f64 v[127:128], v[9:10], v[17:18]
	v_mul_f64 v[17:18], v[11:12], v[17:18]
	s_waitcnt vmcnt(56)
	v_fma_f64 v[64:65], v[1:2], v[99:100], -v[64:65]
	v_add_f64 v[13:14], v[13:14], v[62:63]
	v_fma_f64 v[62:63], v[3:4], v[99:100], v[95:96]
	;; [unrolled: 28-line block ×3, first 2 shown]
	v_add_f64 v[15:16], v[15:16], v[27:28]
	s_clause 0x2
	buffer_load_dword v65, off, s[0:3], 0 offset:972
	buffer_load_dword v28, off, s[0:3], 0 offset:948
	;; [unrolled: 1-line block ×3, first 2 shown]
	s_waitcnt vmcnt(58) lgkmcnt(0)
	v_mul_f64 v[93:94], v[9:10], v[43:44]
	v_mul_f64 v[43:44], v[11:12], v[43:44]
	ds_read_b128 v[5:8], v61 offset:1696
	buffer_load_dword v100, off, s[0:3], 0 offset:964
	s_waitcnt vmcnt(57)
	v_fma_f64 v[23:24], v[1:2], v[33:34], -v[23:24]
	v_fma_f64 v[33:34], v[3:4], v[33:34], v[127:128]
	ds_read_b128 v[1:4], v61 offset:1712
	v_add_f64 v[13:14], v[13:14], v[37:38]
	v_add_f64 v[15:16], v[15:16], v[17:18]
	s_waitcnt vmcnt(53) lgkmcnt(1)
	v_mul_f64 v[17:18], v[5:6], v[29:30]
	v_mul_f64 v[29:30], v[7:8], v[29:30]
	s_waitcnt vmcnt(52)
	v_fma_f64 v[37:38], v[9:10], v[45:46], -v[43:44]
	v_add_f64 v[13:14], v[13:14], v[23:24]
	v_fma_f64 v[23:24], v[11:12], v[45:46], v[93:94]
	v_add_f64 v[15:16], v[15:16], v[33:34]
	ds_read_b128 v[9:12], v61 offset:1728
	s_waitcnt vmcnt(51) lgkmcnt(1)
	v_mul_f64 v[43:44], v[3:4], v[51:52]
	v_mul_f64 v[33:34], v[1:2], v[51:52]
	s_waitcnt vmcnt(49)
	v_fma_f64 v[29:30], v[5:6], v[31:32], -v[29:30]
	v_fma_f64 v[17:18], v[7:8], v[31:32], v[17:18]
	v_add_f64 v[13:14], v[13:14], v[37:38]
	v_add_f64 v[15:16], v[15:16], v[23:24]
	s_clause 0x3
	buffer_load_dword v23, off, s[0:3], 0 offset:304
	buffer_load_dword v24, off, s[0:3], 0 offset:308
	;; [unrolled: 1-line block ×4, first 2 shown]
	ds_read_b128 v[5:8], v61 offset:1744
	s_waitcnt vmcnt(49) lgkmcnt(1)
	v_mul_f64 v[37:38], v[9:10], v[35:36]
	v_mul_f64 v[35:36], v[11:12], v[35:36]
	s_waitcnt vmcnt(48)
	v_fma_f64 v[43:44], v[1:2], v[53:54], -v[43:44]
	v_add_f64 v[13:14], v[13:14], v[29:30]
	v_fma_f64 v[29:30], v[3:4], v[53:54], v[33:34]
	v_add_f64 v[15:16], v[15:16], v[17:18]
	ds_read_b128 v[1:4], v61 offset:1760
	s_waitcnt vmcnt(47) lgkmcnt(1)
	v_mul_f64 v[33:34], v[7:8], v[57:58]
	v_mul_f64 v[17:18], v[5:6], v[57:58]
	s_waitcnt vmcnt(45)
	v_fma_f64 v[35:36], v[9:10], v[39:40], -v[35:36]
	v_fma_f64 v[37:38], v[11:12], v[39:40], v[37:38]
	ds_read_b128 v[9:12], v61 offset:1776
	v_add_f64 v[13:14], v[13:14], v[43:44]
	v_add_f64 v[15:16], v[15:16], v[29:30]
	s_waitcnt vmcnt(41) lgkmcnt(1)
	v_mul_f64 v[39:40], v[3:4], v[41:42]
	s_waitcnt vmcnt(40)
	v_fma_f64 v[33:34], v[5:6], v[59:60], -v[33:34]
	v_mul_f64 v[29:30], v[1:2], v[41:42]
	v_fma_f64 v[17:18], v[7:8], v[59:60], v[17:18]
	ds_read_b128 v[5:8], v61 offset:1792
	v_add_f64 v[13:14], v[13:14], v[35:36]
	v_add_f64 v[15:16], v[15:16], v[37:38]
	s_waitcnt vmcnt(39) lgkmcnt(1)
	v_mul_f64 v[37:38], v[11:12], v[109:110]
	v_mul_f64 v[35:36], v[9:10], v[109:110]
	s_waitcnt vmcnt(37)
	v_fma_f64 v[39:40], v[1:2], v[47:48], -v[39:40]
	v_fma_f64 v[29:30], v[3:4], v[47:48], v[29:30]
	ds_read_b128 v[1:4], v61 offset:1808
	v_add_f64 v[13:14], v[13:14], v[33:34]
	v_add_f64 v[15:16], v[15:16], v[17:18]
	s_waitcnt vmcnt(33) lgkmcnt(1)
	v_mul_f64 v[33:34], v[7:8], v[49:50]
	s_waitcnt vmcnt(32)
	v_fma_f64 v[37:38], v[9:10], v[113:114], -v[37:38]
	v_mul_f64 v[17:18], v[5:6], v[49:50]
	v_fma_f64 v[35:36], v[11:12], v[113:114], v[35:36]
	ds_read_b128 v[9:12], v61 offset:1824
	v_add_f64 v[13:14], v[13:14], v[39:40]
	v_add_f64 v[15:16], v[15:16], v[29:30]
	s_waitcnt vmcnt(31) lgkmcnt(1)
	v_mul_f64 v[39:40], v[3:4], v[66:67]
	v_mul_f64 v[29:30], v[1:2], v[66:67]
	s_waitcnt vmcnt(29)
	v_fma_f64 v[33:34], v[5:6], v[55:56], -v[33:34]
	v_fma_f64 v[17:18], v[7:8], v[55:56], v[17:18]
	ds_read_b128 v[5:8], v61 offset:1840
	v_add_f64 v[13:14], v[13:14], v[37:38]
	v_add_f64 v[15:16], v[15:16], v[35:36]
	s_waitcnt vmcnt(25) lgkmcnt(1)
	v_mul_f64 v[37:38], v[11:12], v[70:71]
	s_waitcnt vmcnt(24)
	v_fma_f64 v[39:40], v[1:2], v[115:116], -v[39:40]
	v_mul_f64 v[35:36], v[9:10], v[70:71]
	v_fma_f64 v[29:30], v[3:4], v[115:116], v[29:30]
	ds_read_b128 v[1:4], v61 offset:1856
	v_add_f64 v[13:14], v[13:14], v[33:34]
	v_add_f64 v[15:16], v[15:16], v[17:18]
	s_waitcnt vmcnt(23) lgkmcnt(1)
	v_mul_f64 v[33:34], v[7:8], v[111:112]
	v_mul_f64 v[17:18], v[5:6], v[111:112]
	s_waitcnt vmcnt(21)
	v_fma_f64 v[37:38], v[9:10], v[19:20], -v[37:38]
	v_fma_f64 v[19:20], v[11:12], v[19:20], v[35:36]
	ds_read_b128 v[9:12], v61 offset:1872
	v_add_f64 v[13:14], v[13:14], v[39:40]
	v_add_f64 v[15:16], v[15:16], v[29:30]
	s_waitcnt vmcnt(17) lgkmcnt(1)
	v_mul_f64 v[29:30], v[1:2], v[25:26]
	v_mul_f64 v[25:26], v[3:4], v[25:26]
	s_waitcnt vmcnt(16)
	v_fma_f64 v[33:34], v[5:6], v[125:126], -v[33:34]
	v_fma_f64 v[17:18], v[7:8], v[125:126], v[17:18]
	ds_read_b128 v[5:8], v61 offset:1888
	v_add_f64 v[13:14], v[13:14], v[37:38]
	v_add_f64 v[15:16], v[15:16], v[19:20]
	;; [unrolled: 9-line block ×3, first 2 shown]
	s_waitcnt vmcnt(9) lgkmcnt(1)
	v_mul_f64 v[29:30], v[7:8], v[62:63]
	s_waitcnt vmcnt(8)
	v_fma_f64 v[9:10], v[9:10], v[123:124], -v[35:36]
	v_mul_f64 v[17:18], v[5:6], v[62:63]
	v_fma_f64 v[11:12], v[11:12], v[123:124], v[19:20]
	v_add_f64 v[13:14], v[13:14], v[25:26]
	v_add_f64 v[15:16], v[15:16], v[21:22]
	s_waitcnt vmcnt(7) lgkmcnt(0)
	v_mul_f64 v[21:22], v[3:4], v[64:65]
	v_mul_f64 v[19:20], v[1:2], v[64:65]
	s_waitcnt vmcnt(5)
	v_fma_f64 v[5:6], v[5:6], v[27:28], -v[29:30]
	v_fma_f64 v[7:8], v[7:8], v[27:28], v[17:18]
	v_add_f64 v[9:10], v[13:14], v[9:10]
	v_add_f64 v[11:12], v[15:16], v[11:12]
	s_waitcnt vmcnt(4)
	v_fma_f64 v[1:2], v[1:2], v[99:100], -v[21:22]
	v_fma_f64 v[3:4], v[3:4], v[99:100], v[19:20]
	v_add_f64 v[5:6], v[9:10], v[5:6]
	v_add_f64 v[7:8], v[11:12], v[7:8]
	;; [unrolled: 1-line block ×4, first 2 shown]
	s_waitcnt vmcnt(2)
	v_add_f64 v[1:2], v[23:24], -v[1:2]
	s_waitcnt vmcnt(0)
	v_add_f64 v[3:4], v[31:32], -v[3:4]
	buffer_store_dword v2, off, s[0:3], 0 offset:308
	buffer_store_dword v1, off, s[0:3], 0 offset:304
	;; [unrolled: 1-line block ×4, first 2 shown]
	v_cmpx_lt_u32_e32 17, v0
	s_cbranch_execz .LBB59_339
; %bb.338:
	v_mov_b32_e32 v4, s59
	s_clause 0x3
	buffer_load_dword v1, v4, s[0:3], 0 offen
	buffer_load_dword v2, v4, s[0:3], 0 offen offset:4
	buffer_load_dword v3, v4, s[0:3], 0 offen offset:8
	;; [unrolled: 1-line block ×3, first 2 shown]
	buffer_store_dword v61, off, s[0:3], 0 offset:288
	buffer_store_dword v61, off, s[0:3], 0 offset:292
	;; [unrolled: 1-line block ×4, first 2 shown]
	s_waitcnt vmcnt(0)
	ds_write_b128 v69, v[1:4]
.LBB59_339:
	s_or_b32 exec_lo, exec_lo, s4
	s_waitcnt lgkmcnt(0)
	s_waitcnt_vscnt null, 0x0
	s_barrier
	buffer_gl0_inv
	s_clause 0x37
	buffer_load_dword v9, off, s[0:3], 0 offset:312
	buffer_load_dword v10, off, s[0:3], 0 offset:316
	;; [unrolled: 1-line block ×56, first 2 shown]
	ds_read_b128 v[62:65], v61 offset:1248
	s_clause 0x2
	buffer_load_dword v58, off, s[0:3], 0 offset:540
	buffer_load_dword v60, off, s[0:3], 0 offset:516
	;; [unrolled: 1-line block ×3, first 2 shown]
	ds_read_b128 v[93:96], v61 offset:1264
	s_clause 0x4
	buffer_load_dword v71, off, s[0:3], 0 offset:556
	buffer_load_dword v109, off, s[0:3], 0 offset:568
	;; [unrolled: 1-line block ×5, first 2 shown]
	ds_read_b128 v[97:100], v61 offset:1280
	s_clause 0x2
	buffer_load_dword v110, off, s[0:3], 0 offset:572
	buffer_load_dword v115, off, s[0:3], 0 offset:548
	;; [unrolled: 1-line block ×3, first 2 shown]
	s_mov_b32 s4, exec_lo
	s_waitcnt vmcnt(62) lgkmcnt(2)
	v_mul_f64 v[66:67], v[64:65], v[9:10]
	v_mul_f64 v[9:10], v[62:63], v[9:10]
	s_waitcnt lgkmcnt(1)
	v_mul_f64 v[112:113], v[95:96], v[5:6]
	s_waitcnt vmcnt(59) lgkmcnt(0)
	v_mul_f64 v[123:124], v[99:100], v[3:4]
	v_fma_f64 v[62:63], v[62:63], v[7:8], -v[66:67]
	v_mul_f64 v[66:67], v[93:94], v[5:6]
	v_fma_f64 v[9:10], v[64:65], v[7:8], v[9:10]
	s_waitcnt vmcnt(57)
	v_fma_f64 v[93:94], v[93:94], v[1:2], -v[112:113]
	ds_read_b128 v[5:8], v61 offset:1296
	v_mul_f64 v[64:65], v[97:98], v[3:4]
	s_waitcnt vmcnt(51)
	v_fma_f64 v[97:98], v[97:98], v[25:26], -v[123:124]
	v_add_f64 v[62:63], v[62:63], 0
	v_fma_f64 v[66:67], v[95:96], v[1:2], v[66:67]
	v_add_f64 v[9:10], v[9:10], 0
	s_clause 0x4
	buffer_load_dword v96, off, s[0:3], 0 offset:588
	buffer_load_dword v125, off, s[0:3], 0 offset:600
	buffer_load_dword v127, off, s[0:3], 0 offset:592
	buffer_load_dword v95, off, s[0:3], 0 offset:584
	buffer_load_dword v112, off, s[0:3], 0 offset:564
	s_waitcnt lgkmcnt(0)
	v_mul_f64 v[128:129], v[5:6], v[13:14]
	v_mul_f64 v[13:14], v[7:8], v[13:14]
	ds_read_b128 v[1:4], v61 offset:1312
	v_fma_f64 v[25:26], v[99:100], v[25:26], v[64:65]
	v_add_f64 v[93:94], v[62:63], v[93:94]
	v_add_f64 v[9:10], v[9:10], v[66:67]
	s_clause 0x2
	buffer_load_dword v126, off, s[0:3], 0 offset:604
	buffer_load_dword v67, off, s[0:3], 0 offset:580
	;; [unrolled: 1-line block ×3, first 2 shown]
	s_waitcnt vmcnt(58) lgkmcnt(0)
	v_mul_f64 v[99:100], v[1:2], v[17:18]
	v_mul_f64 v[17:18], v[3:4], v[17:18]
	s_waitcnt vmcnt(56)
	v_fma_f64 v[13:14], v[5:6], v[19:20], -v[13:14]
	ds_read_b128 v[62:65], v61 offset:1328
	v_fma_f64 v[19:20], v[7:8], v[19:20], v[128:129]
	v_add_f64 v[93:94], v[93:94], v[97:98]
	v_add_f64 v[9:10], v[9:10], v[25:26]
	s_clause 0x4
	buffer_load_dword v26, off, s[0:3], 0 offset:620
	buffer_load_dword v97, off, s[0:3], 0 offset:632
	;; [unrolled: 1-line block ×5, first 2 shown]
	ds_read_b128 v[5:8], v61 offset:1344
	s_waitcnt vmcnt(57) lgkmcnt(1)
	v_mul_f64 v[129:130], v[62:63], v[21:22]
	v_mul_f64 v[21:22], v[64:65], v[21:22]
	s_waitcnt vmcnt(56)
	v_fma_f64 v[17:18], v[1:2], v[11:12], -v[17:18]
	v_fma_f64 v[11:12], v[3:4], v[11:12], v[99:100]
	v_add_f64 v[13:14], v[93:94], v[13:14]
	v_add_f64 v[9:10], v[9:10], v[19:20]
	s_clause 0x2
	buffer_load_dword v98, off, s[0:3], 0 offset:636
	buffer_load_dword v20, off, s[0:3], 0 offset:612
	;; [unrolled: 1-line block ×3, first 2 shown]
	s_waitcnt vmcnt(58) lgkmcnt(0)
	v_mul_f64 v[93:94], v[5:6], v[27:28]
	v_mul_f64 v[27:28], v[7:8], v[27:28]
	s_waitcnt vmcnt(56)
	v_fma_f64 v[21:22], v[62:63], v[29:30], -v[21:22]
	ds_read_b128 v[1:4], v61 offset:1360
	v_add_f64 v[13:14], v[13:14], v[17:18]
	v_fma_f64 v[17:18], v[64:65], v[29:30], v[129:130]
	v_add_f64 v[29:30], v[9:10], v[11:12]
	s_clause 0x4
	buffer_load_dword v63, off, s[0:3], 0 offset:652
	buffer_load_dword v64, off, s[0:3], 0 offset:664
	;; [unrolled: 1-line block ×5, first 2 shown]
	ds_read_b128 v[9:12], v61 offset:1376
	s_waitcnt vmcnt(57) lgkmcnt(1)
	v_mul_f64 v[129:130], v[1:2], v[31:32]
	v_mul_f64 v[31:32], v[3:4], v[31:32]
	s_waitcnt vmcnt(56)
	v_fma_f64 v[27:28], v[5:6], v[15:16], -v[27:28]
	v_fma_f64 v[15:16], v[7:8], v[15:16], v[93:94]
	v_add_f64 v[13:14], v[13:14], v[21:22]
	s_clause 0x2
	buffer_load_dword v65, off, s[0:3], 0 offset:668
	buffer_load_dword v22, off, s[0:3], 0 offset:644
	;; [unrolled: 1-line block ×3, first 2 shown]
	v_add_f64 v[17:18], v[29:30], v[17:18]
	s_waitcnt vmcnt(58) lgkmcnt(0)
	v_mul_f64 v[29:30], v[9:10], v[35:36]
	v_mul_f64 v[35:36], v[11:12], v[35:36]
	ds_read_b128 v[5:8], v61 offset:1392
	s_waitcnt vmcnt(56)
	v_fma_f64 v[31:32], v[1:2], v[37:38], -v[31:32]
	v_add_f64 v[13:14], v[13:14], v[27:28]
	v_fma_f64 v[27:28], v[3:4], v[37:38], v[129:130]
	v_add_f64 v[15:16], v[17:18], v[15:16]
	s_clause 0x4
	buffer_load_dword v18, off, s[0:3], 0 offset:684
	buffer_load_dword v37, off, s[0:3], 0 offset:696
	;; [unrolled: 1-line block ×5, first 2 shown]
	s_waitcnt vmcnt(57) lgkmcnt(0)
	v_mul_f64 v[129:130], v[5:6], v[39:40]
	v_mul_f64 v[39:40], v[7:8], v[39:40]
	s_waitcnt vmcnt(56)
	v_fma_f64 v[35:36], v[9:10], v[23:24], -v[35:36]
	ds_read_b128 v[1:4], v61 offset:1408
	v_fma_f64 v[23:24], v[11:12], v[23:24], v[29:30]
	v_add_f64 v[13:14], v[13:14], v[31:32]
	v_add_f64 v[15:16], v[15:16], v[27:28]
	s_clause 0x2
	buffer_load_dword v38, off, s[0:3], 0 offset:700
	buffer_load_dword v28, off, s[0:3], 0 offset:676
	;; [unrolled: 1-line block ×3, first 2 shown]
	ds_read_b128 v[9:12], v61 offset:1424
	s_waitcnt vmcnt(58) lgkmcnt(1)
	v_mul_f64 v[31:32], v[3:4], v[43:44]
	s_waitcnt vmcnt(56)
	v_fma_f64 v[39:40], v[5:6], v[45:46], -v[39:40]
	v_mul_f64 v[29:30], v[1:2], v[43:44]
	v_add_f64 v[13:14], v[13:14], v[35:36]
	v_fma_f64 v[35:36], v[7:8], v[45:46], v[129:130]
	v_add_f64 v[15:16], v[15:16], v[23:24]
	s_clause 0x4
	buffer_load_dword v24, off, s[0:3], 0 offset:716
	buffer_load_dword v43, off, s[0:3], 0 offset:728
	buffer_load_dword v45, off, s[0:3], 0 offset:720
	buffer_load_dword v23, off, s[0:3], 0 offset:712
	buffer_load_dword v94, off, s[0:3], 0 offset:692
	s_waitcnt vmcnt(57) lgkmcnt(0)
	v_mul_f64 v[129:130], v[9:10], v[47:48]
	v_mul_f64 v[46:47], v[11:12], v[47:48]
	s_waitcnt vmcnt(56)
	v_fma_f64 v[31:32], v[1:2], v[33:34], -v[31:32]
	ds_read_b128 v[5:8], v61 offset:1440
	v_fma_f64 v[29:30], v[3:4], v[33:34], v[29:30]
	s_clause 0x2
	buffer_load_dword v44, off, s[0:3], 0 offset:732
	buffer_load_dword v34, off, s[0:3], 0 offset:708
	;; [unrolled: 1-line block ×3, first 2 shown]
	ds_read_b128 v[1:4], v61 offset:1456
	v_add_f64 v[13:14], v[13:14], v[39:40]
	v_add_f64 v[15:16], v[15:16], v[35:36]
	s_waitcnt vmcnt(58) lgkmcnt(1)
	v_mul_f64 v[39:40], v[7:8], v[51:52]
	s_waitcnt vmcnt(56)
	v_fma_f64 v[47:48], v[9:10], v[53:54], -v[46:47]
	v_mul_f64 v[35:36], v[5:6], v[51:52]
	v_add_f64 v[13:14], v[13:14], v[31:32]
	v_fma_f64 v[31:32], v[11:12], v[53:54], v[129:130]
	v_add_f64 v[15:16], v[15:16], v[29:30]
	s_clause 0x4
	buffer_load_dword v30, off, s[0:3], 0 offset:748
	buffer_load_dword v51, off, s[0:3], 0 offset:760
	;; [unrolled: 1-line block ×5, first 2 shown]
	s_waitcnt vmcnt(57) lgkmcnt(0)
	v_mul_f64 v[129:130], v[1:2], v[55:56]
	v_mul_f64 v[54:55], v[3:4], v[55:56]
	s_waitcnt vmcnt(56)
	v_fma_f64 v[39:40], v[5:6], v[41:42], -v[39:40]
	ds_read_b128 v[9:12], v61 offset:1472
	v_fma_f64 v[35:36], v[7:8], v[41:42], v[35:36]
	v_add_f64 v[13:14], v[13:14], v[47:48]
	v_add_f64 v[15:16], v[15:16], v[31:32]
	s_clause 0x2
	buffer_load_dword v52, off, s[0:3], 0 offset:764
	buffer_load_dword v32, off, s[0:3], 0 offset:740
	;; [unrolled: 1-line block ×3, first 2 shown]
	ds_read_b128 v[5:8], v61 offset:1488
	s_waitcnt vmcnt(58) lgkmcnt(1)
	v_mul_f64 v[47:48], v[11:12], v[57:58]
	s_waitcnt vmcnt(56)
	v_fma_f64 v[55:56], v[1:2], v[59:60], -v[54:55]
	v_mul_f64 v[41:42], v[9:10], v[57:58]
	v_add_f64 v[13:14], v[13:14], v[39:40]
	v_fma_f64 v[39:40], v[3:4], v[59:60], v[129:130]
	v_add_f64 v[15:16], v[15:16], v[35:36]
	s_clause 0x4
	buffer_load_dword v36, off, s[0:3], 0 offset:780
	buffer_load_dword v57, off, s[0:3], 0 offset:792
	;; [unrolled: 1-line block ×5, first 2 shown]
	s_waitcnt vmcnt(57) lgkmcnt(0)
	v_mul_f64 v[129:130], v[5:6], v[70:71]
	v_mul_f64 v[70:71], v[7:8], v[70:71]
	s_waitcnt vmcnt(56)
	v_fma_f64 v[47:48], v[9:10], v[49:50], -v[47:48]
	ds_read_b128 v[1:4], v61 offset:1504
	v_fma_f64 v[41:42], v[11:12], v[49:50], v[41:42]
	v_add_f64 v[13:14], v[13:14], v[55:56]
	v_add_f64 v[15:16], v[15:16], v[39:40]
	s_clause 0x2
	buffer_load_dword v58, off, s[0:3], 0 offset:796
	buffer_load_dword v40, off, s[0:3], 0 offset:772
	;; [unrolled: 1-line block ×3, first 2 shown]
	ds_read_b128 v[9:12], v61 offset:1520
	s_waitcnt vmcnt(58) lgkmcnt(1)
	v_mul_f64 v[55:56], v[3:4], v[109:110]
	s_waitcnt vmcnt(56)
	v_fma_f64 v[70:71], v[5:6], v[114:115], -v[70:71]
	v_mul_f64 v[49:50], v[1:2], v[109:110]
	v_add_f64 v[13:14], v[13:14], v[47:48]
	v_fma_f64 v[47:48], v[7:8], v[114:115], v[129:130]
	v_add_f64 v[15:16], v[15:16], v[41:42]
	s_clause 0x4
	buffer_load_dword v42, off, s[0:3], 0 offset:812
	buffer_load_dword v109, off, s[0:3], 0 offset:824
	;; [unrolled: 1-line block ×5, first 2 shown]
	ds_read_b128 v[5:8], v61 offset:1536
	s_waitcnt vmcnt(57) lgkmcnt(1)
	v_mul_f64 v[114:115], v[9:10], v[95:96]
	v_mul_f64 v[95:96], v[11:12], v[95:96]
	s_waitcnt vmcnt(56)
	v_fma_f64 v[55:56], v[1:2], v[111:112], -v[55:56]
	v_fma_f64 v[49:50], v[3:4], v[111:112], v[49:50]
	v_add_f64 v[13:14], v[13:14], v[70:71]
	v_add_f64 v[15:16], v[15:16], v[47:48]
	s_clause 0x2
	buffer_load_dword v110, off, s[0:3], 0 offset:828
	buffer_load_dword v48, off, s[0:3], 0 offset:804
	;; [unrolled: 1-line block ×3, first 2 shown]
	ds_read_b128 v[1:4], v61 offset:1552
	s_waitcnt vmcnt(58) lgkmcnt(1)
	v_mul_f64 v[111:112], v[7:8], v[125:126]
	v_mul_f64 v[70:71], v[5:6], v[125:126]
	s_waitcnt vmcnt(56)
	v_fma_f64 v[95:96], v[9:10], v[66:67], -v[95:96]
	v_add_f64 v[13:14], v[13:14], v[55:56]
	v_fma_f64 v[55:56], v[11:12], v[66:67], v[114:115]
	v_add_f64 v[15:16], v[15:16], v[49:50]
	s_clause 0x4
	buffer_load_dword v50, off, s[0:3], 0 offset:844
	buffer_load_dword v66, off, s[0:3], 0 offset:856
	;; [unrolled: 1-line block ×5, first 2 shown]
	ds_read_b128 v[9:12], v61 offset:1568
	s_waitcnt vmcnt(57) lgkmcnt(1)
	v_mul_f64 v[125:126], v[1:2], v[25:26]
	v_mul_f64 v[25:26], v[3:4], v[25:26]
	s_waitcnt vmcnt(56)
	v_fma_f64 v[111:112], v[5:6], v[127:128], -v[111:112]
	v_fma_f64 v[70:71], v[7:8], v[127:128], v[70:71]
	v_add_f64 v[13:14], v[13:14], v[95:96]
	v_add_f64 v[15:16], v[15:16], v[55:56]
	s_clause 0x2
	buffer_load_dword v67, off, s[0:3], 0 offset:860
	buffer_load_dword v56, off, s[0:3], 0 offset:836
	buffer_load_dword v55, off, s[0:3], 0 offset:832
	ds_read_b128 v[5:8], v61 offset:1584
	s_waitcnt vmcnt(58) lgkmcnt(1)
	v_mul_f64 v[95:96], v[9:10], v[97:98]
	v_mul_f64 v[97:98], v[11:12], v[97:98]
	s_waitcnt vmcnt(56)
	v_fma_f64 v[25:26], v[1:2], v[19:20], -v[25:26]
	v_fma_f64 v[19:20], v[3:4], v[19:20], v[125:126]
	v_add_f64 v[13:14], v[13:14], v[111:112]
	v_add_f64 v[15:16], v[15:16], v[70:71]
	s_clause 0x4
	buffer_load_dword v71, off, s[0:3], 0 offset:876
	buffer_load_dword v111, off, s[0:3], 0 offset:888
	buffer_load_dword v125, off, s[0:3], 0 offset:880
	buffer_load_dword v70, off, s[0:3], 0 offset:872
	buffer_load_dword v116, off, s[0:3], 0 offset:852
	ds_read_b128 v[1:4], v61 offset:1600
	s_waitcnt vmcnt(57) lgkmcnt(1)
	v_mul_f64 v[126:127], v[5:6], v[62:63]
	v_mul_f64 v[62:63], v[7:8], v[62:63]
	s_waitcnt vmcnt(56)
	v_fma_f64 v[97:98], v[9:10], v[123:124], -v[97:98]
	v_add_f64 v[13:14], v[13:14], v[25:26]
	v_fma_f64 v[25:26], v[11:12], v[123:124], v[95:96]
	v_add_f64 v[15:16], v[15:16], v[19:20]
	s_clause 0x2
	buffer_load_dword v112, off, s[0:3], 0 offset:892
	buffer_load_dword v20, off, s[0:3], 0 offset:868
	buffer_load_dword v19, off, s[0:3], 0 offset:864
	ds_read_b128 v[9:12], v61 offset:1616
	s_waitcnt vmcnt(58) lgkmcnt(1)
	v_mul_f64 v[95:96], v[1:2], v[64:65]
	v_mul_f64 v[64:65], v[3:4], v[64:65]
	s_waitcnt vmcnt(56)
	v_fma_f64 v[62:63], v[5:6], v[21:22], -v[62:63]
	v_fma_f64 v[21:22], v[7:8], v[21:22], v[126:127]
	v_add_f64 v[13:14], v[13:14], v[97:98]
	v_add_f64 v[15:16], v[15:16], v[25:26]
	s_clause 0x4
	buffer_load_dword v26, off, s[0:3], 0 offset:908
	buffer_load_dword v97, off, s[0:3], 0 offset:920
	buffer_load_dword v123, off, s[0:3], 0 offset:912
	buffer_load_dword v25, off, s[0:3], 0 offset:904
	buffer_load_dword v126, off, s[0:3], 0 offset:884
	ds_read_b128 v[5:8], v61 offset:1632
	s_waitcnt vmcnt(57) lgkmcnt(1)
	v_mul_f64 v[127:128], v[9:10], v[17:18]
	v_mul_f64 v[17:18], v[11:12], v[17:18]
	s_waitcnt vmcnt(56)
	v_fma_f64 v[64:65], v[1:2], v[99:100], -v[64:65]
	v_add_f64 v[13:14], v[13:14], v[62:63]
	v_fma_f64 v[62:63], v[3:4], v[99:100], v[95:96]
	;; [unrolled: 28-line block ×3, first 2 shown]
	v_add_f64 v[15:16], v[15:16], v[27:28]
	s_clause 0x2
	buffer_load_dword v65, off, s[0:3], 0 offset:956
	buffer_load_dword v28, off, s[0:3], 0 offset:932
	;; [unrolled: 1-line block ×3, first 2 shown]
	s_waitcnt vmcnt(58) lgkmcnt(0)
	v_mul_f64 v[93:94], v[9:10], v[43:44]
	v_mul_f64 v[43:44], v[11:12], v[43:44]
	ds_read_b128 v[5:8], v61 offset:1680
	s_waitcnt vmcnt(56)
	v_fma_f64 v[23:24], v[1:2], v[33:34], -v[23:24]
	v_fma_f64 v[33:34], v[3:4], v[33:34], v[127:128]
	v_add_f64 v[13:14], v[13:14], v[37:38]
	v_add_f64 v[15:16], v[15:16], v[17:18]
	s_clause 0x2
	buffer_load_dword v18, off, s[0:3], 0 offset:972
	buffer_load_dword v17, off, s[0:3], 0 offset:968
	;; [unrolled: 1-line block ×3, first 2 shown]
	ds_read_b128 v[1:4], v61 offset:1696
	s_waitcnt vmcnt(55) lgkmcnt(1)
	v_mul_f64 v[37:38], v[5:6], v[29:30]
	v_mul_f64 v[29:30], v[7:8], v[29:30]
	s_waitcnt vmcnt(54)
	v_fma_f64 v[43:44], v[9:10], v[45:46], -v[43:44]
	v_add_f64 v[13:14], v[13:14], v[23:24]
	v_fma_f64 v[23:24], v[11:12], v[45:46], v[93:94]
	v_add_f64 v[15:16], v[15:16], v[33:34]
	s_clause 0x1
	buffer_load_dword v34, off, s[0:3], 0 offset:964
	buffer_load_dword v33, off, s[0:3], 0 offset:960
	ds_read_b128 v[9:12], v61 offset:1712
	s_waitcnt vmcnt(55) lgkmcnt(1)
	v_mul_f64 v[45:46], v[1:2], v[51:52]
	v_mul_f64 v[51:52], v[3:4], v[51:52]
	s_waitcnt vmcnt(53)
	v_fma_f64 v[29:30], v[5:6], v[31:32], -v[29:30]
	v_fma_f64 v[31:32], v[7:8], v[31:32], v[37:38]
	ds_read_b128 v[5:8], v61 offset:1728
	v_add_f64 v[13:14], v[13:14], v[43:44]
	v_add_f64 v[15:16], v[15:16], v[23:24]
	s_waitcnt vmcnt(49) lgkmcnt(1)
	v_mul_f64 v[23:24], v[9:10], v[35:36]
	v_mul_f64 v[35:36], v[11:12], v[35:36]
	s_waitcnt vmcnt(48)
	v_fma_f64 v[37:38], v[1:2], v[53:54], -v[51:52]
	v_add_f64 v[13:14], v[13:14], v[29:30]
	v_fma_f64 v[29:30], v[3:4], v[53:54], v[45:46]
	v_add_f64 v[15:16], v[15:16], v[31:32]
	s_clause 0x3
	buffer_load_dword v31, off, s[0:3], 0 offset:288
	buffer_load_dword v32, off, s[0:3], 0 offset:292
	;; [unrolled: 1-line block ×4, first 2 shown]
	ds_read_b128 v[1:4], v61 offset:1744
	s_waitcnt vmcnt(51) lgkmcnt(1)
	v_mul_f64 v[51:52], v[7:8], v[57:58]
	v_mul_f64 v[45:46], v[5:6], v[57:58]
	s_waitcnt vmcnt(49)
	v_fma_f64 v[35:36], v[9:10], v[39:40], -v[35:36]
	v_fma_f64 v[23:24], v[11:12], v[39:40], v[23:24]
	ds_read_b128 v[9:12], v61 offset:1760
	v_add_f64 v[13:14], v[13:14], v[37:38]
	v_add_f64 v[15:16], v[15:16], v[29:30]
	s_waitcnt vmcnt(45) lgkmcnt(1)
	v_mul_f64 v[37:38], v[3:4], v[41:42]
	s_waitcnt vmcnt(44)
	v_fma_f64 v[39:40], v[5:6], v[59:60], -v[51:52]
	v_mul_f64 v[29:30], v[1:2], v[41:42]
	v_add_f64 v[13:14], v[13:14], v[35:36]
	v_fma_f64 v[35:36], v[7:8], v[59:60], v[45:46]
	v_add_f64 v[15:16], v[15:16], v[23:24]
	ds_read_b128 v[5:8], v61 offset:1776
	s_waitcnt vmcnt(43) lgkmcnt(1)
	v_mul_f64 v[41:42], v[11:12], v[109:110]
	v_mul_f64 v[23:24], v[9:10], v[109:110]
	s_waitcnt vmcnt(41)
	v_fma_f64 v[37:38], v[1:2], v[47:48], -v[37:38]
	v_fma_f64 v[29:30], v[3:4], v[47:48], v[29:30]
	ds_read_b128 v[1:4], v61 offset:1792
	v_add_f64 v[13:14], v[13:14], v[39:40]
	v_add_f64 v[15:16], v[15:16], v[35:36]
	s_waitcnt vmcnt(37) lgkmcnt(1)
	v_mul_f64 v[39:40], v[7:8], v[49:50]
	s_waitcnt vmcnt(36)
	v_fma_f64 v[41:42], v[9:10], v[113:114], -v[41:42]
	v_mul_f64 v[35:36], v[5:6], v[49:50]
	v_fma_f64 v[23:24], v[11:12], v[113:114], v[23:24]
	ds_read_b128 v[9:12], v61 offset:1808
	v_add_f64 v[13:14], v[13:14], v[37:38]
	v_add_f64 v[15:16], v[15:16], v[29:30]
	s_waitcnt vmcnt(35) lgkmcnt(1)
	v_mul_f64 v[37:38], v[3:4], v[66:67]
	v_mul_f64 v[29:30], v[1:2], v[66:67]
	s_waitcnt vmcnt(33)
	v_fma_f64 v[39:40], v[5:6], v[55:56], -v[39:40]
	v_fma_f64 v[35:36], v[7:8], v[55:56], v[35:36]
	ds_read_b128 v[5:8], v61 offset:1824
	v_add_f64 v[13:14], v[13:14], v[41:42]
	v_add_f64 v[15:16], v[15:16], v[23:24]
	s_waitcnt vmcnt(29) lgkmcnt(1)
	v_mul_f64 v[41:42], v[11:12], v[70:71]
	s_waitcnt vmcnt(28)
	v_fma_f64 v[37:38], v[1:2], v[115:116], -v[37:38]
	v_mul_f64 v[23:24], v[9:10], v[70:71]
	v_fma_f64 v[29:30], v[3:4], v[115:116], v[29:30]
	ds_read_b128 v[1:4], v61 offset:1840
	v_add_f64 v[13:14], v[13:14], v[39:40]
	v_add_f64 v[15:16], v[15:16], v[35:36]
	s_waitcnt vmcnt(27) lgkmcnt(1)
	v_mul_f64 v[39:40], v[7:8], v[111:112]
	v_mul_f64 v[35:36], v[5:6], v[111:112]
	s_waitcnt vmcnt(25)
	v_fma_f64 v[41:42], v[9:10], v[19:20], -v[41:42]
	v_fma_f64 v[19:20], v[11:12], v[19:20], v[23:24]
	ds_read_b128 v[9:12], v61 offset:1856
	v_add_f64 v[13:14], v[13:14], v[37:38]
	v_add_f64 v[15:16], v[15:16], v[29:30]
	s_waitcnt vmcnt(21) lgkmcnt(1)
	v_mul_f64 v[23:24], v[1:2], v[25:26]
	v_mul_f64 v[25:26], v[3:4], v[25:26]
	s_waitcnt vmcnt(20)
	v_fma_f64 v[29:30], v[5:6], v[125:126], -v[39:40]
	;; [unrolled: 9-line block ×3, first 2 shown]
	v_fma_f64 v[21:22], v[3:4], v[21:22], v[23:24]
	ds_read_b128 v[1:4], v61 offset:1888
	v_add_f64 v[13:14], v[13:14], v[29:30]
	v_add_f64 v[15:16], v[15:16], v[35:36]
	s_waitcnt vmcnt(13) lgkmcnt(1)
	v_mul_f64 v[29:30], v[7:8], v[62:63]
	s_waitcnt vmcnt(12)
	v_fma_f64 v[35:36], v[9:10], v[123:124], -v[37:38]
	v_mul_f64 v[23:24], v[5:6], v[62:63]
	v_fma_f64 v[19:20], v[11:12], v[123:124], v[19:20]
	ds_read_b128 v[9:12], v61 offset:1904
	v_add_f64 v[13:14], v[13:14], v[25:26]
	v_add_f64 v[15:16], v[15:16], v[21:22]
	s_waitcnt vmcnt(11) lgkmcnt(1)
	v_mul_f64 v[25:26], v[3:4], v[64:65]
	v_mul_f64 v[21:22], v[1:2], v[64:65]
	s_waitcnt vmcnt(9)
	v_fma_f64 v[5:6], v[5:6], v[27:28], -v[29:30]
	v_fma_f64 v[7:8], v[7:8], v[27:28], v[23:24]
	v_add_f64 v[13:14], v[13:14], v[35:36]
	v_add_f64 v[15:16], v[15:16], v[19:20]
	s_waitcnt vmcnt(7) lgkmcnt(0)
	v_mul_f64 v[19:20], v[9:10], v[17:18]
	v_mul_f64 v[17:18], v[11:12], v[17:18]
	s_waitcnt vmcnt(6)
	v_fma_f64 v[1:2], v[1:2], v[99:100], -v[25:26]
	v_fma_f64 v[3:4], v[3:4], v[99:100], v[21:22]
	v_add_f64 v[5:6], v[13:14], v[5:6]
	v_add_f64 v[7:8], v[15:16], v[7:8]
	s_waitcnt vmcnt(4)
	v_fma_f64 v[9:10], v[9:10], v[33:34], -v[17:18]
	v_add_f64 v[1:2], v[5:6], v[1:2]
	v_fma_f64 v[5:6], v[11:12], v[33:34], v[19:20]
	v_add_f64 v[3:4], v[7:8], v[3:4]
	v_add_f64 v[1:2], v[1:2], v[9:10]
	v_add_f64 v[3:4], v[3:4], v[5:6]
	s_waitcnt vmcnt(2)
	v_add_f64 v[1:2], v[31:32], -v[1:2]
	s_waitcnt vmcnt(0)
	v_add_f64 v[3:4], v[43:44], -v[3:4]
	buffer_store_dword v2, off, s[0:3], 0 offset:292
	buffer_store_dword v1, off, s[0:3], 0 offset:288
	;; [unrolled: 1-line block ×4, first 2 shown]
	v_cmpx_lt_u32_e32 16, v0
	s_cbranch_execz .LBB59_341
; %bb.340:
	v_mov_b32_e32 v4, s61
	v_mov_b32_e32 v5, 0
	s_clause 0x3
	buffer_load_dword v1, v4, s[0:3], 0 offen
	buffer_load_dword v2, v4, s[0:3], 0 offen offset:4
	buffer_load_dword v3, v4, s[0:3], 0 offen offset:8
	;; [unrolled: 1-line block ×3, first 2 shown]
	buffer_store_dword v5, off, s[0:3], 0 offset:272
	buffer_store_dword v5, off, s[0:3], 0 offset:276
	;; [unrolled: 1-line block ×4, first 2 shown]
	s_waitcnt vmcnt(0)
	ds_write_b128 v69, v[1:4]
.LBB59_341:
	s_or_b32 exec_lo, exec_lo, s4
	s_waitcnt lgkmcnt(0)
	s_waitcnt_vscnt null, 0x0
	s_barrier
	buffer_gl0_inv
	s_clause 0x37
	buffer_load_dword v9, off, s[0:3], 0 offset:296
	buffer_load_dword v10, off, s[0:3], 0 offset:300
	;; [unrolled: 1-line block ×56, first 2 shown]
	v_mov_b32_e32 v61, 0
	s_mov_b32 s4, exec_lo
	ds_read_b128 v[62:65], v61 offset:1232
	s_clause 0x2
	buffer_load_dword v58, off, s[0:3], 0 offset:524
	buffer_load_dword v60, off, s[0:3], 0 offset:500
	;; [unrolled: 1-line block ×3, first 2 shown]
	ds_read_b128 v[93:96], v61 offset:1248
	s_clause 0x4
	buffer_load_dword v71, off, s[0:3], 0 offset:540
	buffer_load_dword v109, off, s[0:3], 0 offset:552
	;; [unrolled: 1-line block ×5, first 2 shown]
	ds_read_b128 v[97:100], v61 offset:1264
	s_clause 0x2
	buffer_load_dword v110, off, s[0:3], 0 offset:556
	buffer_load_dword v115, off, s[0:3], 0 offset:532
	;; [unrolled: 1-line block ×3, first 2 shown]
	s_waitcnt vmcnt(62) lgkmcnt(2)
	v_mul_f64 v[66:67], v[64:65], v[9:10]
	v_mul_f64 v[9:10], v[62:63], v[9:10]
	s_waitcnt lgkmcnt(1)
	v_mul_f64 v[112:113], v[95:96], v[5:6]
	s_waitcnt vmcnt(59) lgkmcnt(0)
	v_mul_f64 v[123:124], v[99:100], v[3:4]
	v_fma_f64 v[62:63], v[62:63], v[7:8], -v[66:67]
	v_mul_f64 v[66:67], v[93:94], v[5:6]
	v_fma_f64 v[9:10], v[64:65], v[7:8], v[9:10]
	s_waitcnt vmcnt(57)
	v_fma_f64 v[93:94], v[93:94], v[1:2], -v[112:113]
	ds_read_b128 v[5:8], v61 offset:1280
	v_mul_f64 v[64:65], v[97:98], v[3:4]
	s_waitcnt vmcnt(51)
	v_fma_f64 v[97:98], v[97:98], v[25:26], -v[123:124]
	v_add_f64 v[62:63], v[62:63], 0
	v_fma_f64 v[66:67], v[95:96], v[1:2], v[66:67]
	v_add_f64 v[9:10], v[9:10], 0
	s_clause 0x4
	buffer_load_dword v96, off, s[0:3], 0 offset:572
	buffer_load_dword v125, off, s[0:3], 0 offset:584
	;; [unrolled: 1-line block ×5, first 2 shown]
	s_waitcnt lgkmcnt(0)
	v_mul_f64 v[128:129], v[5:6], v[13:14]
	v_mul_f64 v[13:14], v[7:8], v[13:14]
	ds_read_b128 v[1:4], v61 offset:1296
	v_fma_f64 v[25:26], v[99:100], v[25:26], v[64:65]
	v_add_f64 v[93:94], v[62:63], v[93:94]
	v_add_f64 v[9:10], v[9:10], v[66:67]
	s_clause 0x2
	buffer_load_dword v126, off, s[0:3], 0 offset:588
	buffer_load_dword v67, off, s[0:3], 0 offset:564
	;; [unrolled: 1-line block ×3, first 2 shown]
	s_waitcnt vmcnt(58) lgkmcnt(0)
	v_mul_f64 v[99:100], v[1:2], v[17:18]
	v_mul_f64 v[17:18], v[3:4], v[17:18]
	s_waitcnt vmcnt(56)
	v_fma_f64 v[13:14], v[5:6], v[19:20], -v[13:14]
	ds_read_b128 v[62:65], v61 offset:1312
	v_fma_f64 v[19:20], v[7:8], v[19:20], v[128:129]
	v_add_f64 v[93:94], v[93:94], v[97:98]
	v_add_f64 v[9:10], v[9:10], v[25:26]
	s_clause 0x4
	buffer_load_dword v26, off, s[0:3], 0 offset:604
	buffer_load_dword v97, off, s[0:3], 0 offset:616
	;; [unrolled: 1-line block ×5, first 2 shown]
	ds_read_b128 v[5:8], v61 offset:1328
	s_waitcnt vmcnt(57) lgkmcnt(1)
	v_mul_f64 v[129:130], v[62:63], v[21:22]
	v_mul_f64 v[21:22], v[64:65], v[21:22]
	s_waitcnt vmcnt(56)
	v_fma_f64 v[17:18], v[1:2], v[11:12], -v[17:18]
	v_fma_f64 v[11:12], v[3:4], v[11:12], v[99:100]
	v_add_f64 v[13:14], v[93:94], v[13:14]
	v_add_f64 v[9:10], v[9:10], v[19:20]
	s_clause 0x2
	buffer_load_dword v98, off, s[0:3], 0 offset:620
	buffer_load_dword v20, off, s[0:3], 0 offset:596
	;; [unrolled: 1-line block ×3, first 2 shown]
	s_waitcnt vmcnt(58) lgkmcnt(0)
	v_mul_f64 v[93:94], v[5:6], v[27:28]
	v_mul_f64 v[27:28], v[7:8], v[27:28]
	s_waitcnt vmcnt(56)
	v_fma_f64 v[21:22], v[62:63], v[29:30], -v[21:22]
	ds_read_b128 v[1:4], v61 offset:1344
	v_add_f64 v[13:14], v[13:14], v[17:18]
	v_fma_f64 v[17:18], v[64:65], v[29:30], v[129:130]
	v_add_f64 v[29:30], v[9:10], v[11:12]
	s_clause 0x4
	buffer_load_dword v63, off, s[0:3], 0 offset:636
	buffer_load_dword v64, off, s[0:3], 0 offset:648
	;; [unrolled: 1-line block ×5, first 2 shown]
	ds_read_b128 v[9:12], v61 offset:1360
	s_waitcnt vmcnt(57) lgkmcnt(1)
	v_mul_f64 v[129:130], v[1:2], v[31:32]
	v_mul_f64 v[31:32], v[3:4], v[31:32]
	s_waitcnt vmcnt(56)
	v_fma_f64 v[27:28], v[5:6], v[15:16], -v[27:28]
	v_fma_f64 v[15:16], v[7:8], v[15:16], v[93:94]
	v_add_f64 v[13:14], v[13:14], v[21:22]
	s_clause 0x2
	buffer_load_dword v65, off, s[0:3], 0 offset:652
	buffer_load_dword v22, off, s[0:3], 0 offset:628
	;; [unrolled: 1-line block ×3, first 2 shown]
	v_add_f64 v[17:18], v[29:30], v[17:18]
	s_waitcnt vmcnt(58) lgkmcnt(0)
	v_mul_f64 v[29:30], v[9:10], v[35:36]
	v_mul_f64 v[35:36], v[11:12], v[35:36]
	ds_read_b128 v[5:8], v61 offset:1376
	s_waitcnt vmcnt(56)
	v_fma_f64 v[31:32], v[1:2], v[37:38], -v[31:32]
	v_add_f64 v[13:14], v[13:14], v[27:28]
	v_fma_f64 v[27:28], v[3:4], v[37:38], v[129:130]
	v_add_f64 v[15:16], v[17:18], v[15:16]
	s_clause 0x4
	buffer_load_dword v18, off, s[0:3], 0 offset:668
	buffer_load_dword v37, off, s[0:3], 0 offset:680
	;; [unrolled: 1-line block ×5, first 2 shown]
	s_waitcnt vmcnt(57) lgkmcnt(0)
	v_mul_f64 v[129:130], v[5:6], v[39:40]
	v_mul_f64 v[39:40], v[7:8], v[39:40]
	s_waitcnt vmcnt(56)
	v_fma_f64 v[35:36], v[9:10], v[23:24], -v[35:36]
	ds_read_b128 v[1:4], v61 offset:1392
	v_fma_f64 v[23:24], v[11:12], v[23:24], v[29:30]
	v_add_f64 v[13:14], v[13:14], v[31:32]
	v_add_f64 v[15:16], v[15:16], v[27:28]
	s_clause 0x2
	buffer_load_dword v38, off, s[0:3], 0 offset:684
	buffer_load_dword v28, off, s[0:3], 0 offset:660
	;; [unrolled: 1-line block ×3, first 2 shown]
	ds_read_b128 v[9:12], v61 offset:1408
	s_waitcnt vmcnt(58) lgkmcnt(1)
	v_mul_f64 v[31:32], v[3:4], v[43:44]
	s_waitcnt vmcnt(56)
	v_fma_f64 v[39:40], v[5:6], v[45:46], -v[39:40]
	v_mul_f64 v[29:30], v[1:2], v[43:44]
	v_add_f64 v[13:14], v[13:14], v[35:36]
	v_fma_f64 v[35:36], v[7:8], v[45:46], v[129:130]
	v_add_f64 v[15:16], v[15:16], v[23:24]
	s_clause 0x4
	buffer_load_dword v24, off, s[0:3], 0 offset:700
	buffer_load_dword v43, off, s[0:3], 0 offset:712
	;; [unrolled: 1-line block ×5, first 2 shown]
	s_waitcnt vmcnt(57) lgkmcnt(0)
	v_mul_f64 v[129:130], v[9:10], v[47:48]
	v_mul_f64 v[46:47], v[11:12], v[47:48]
	s_waitcnt vmcnt(56)
	v_fma_f64 v[31:32], v[1:2], v[33:34], -v[31:32]
	ds_read_b128 v[5:8], v61 offset:1424
	v_fma_f64 v[29:30], v[3:4], v[33:34], v[29:30]
	s_clause 0x2
	buffer_load_dword v44, off, s[0:3], 0 offset:716
	buffer_load_dword v34, off, s[0:3], 0 offset:692
	;; [unrolled: 1-line block ×3, first 2 shown]
	ds_read_b128 v[1:4], v61 offset:1440
	v_add_f64 v[13:14], v[13:14], v[39:40]
	v_add_f64 v[15:16], v[15:16], v[35:36]
	s_waitcnt vmcnt(58) lgkmcnt(1)
	v_mul_f64 v[39:40], v[7:8], v[51:52]
	s_waitcnt vmcnt(56)
	v_fma_f64 v[47:48], v[9:10], v[53:54], -v[46:47]
	v_mul_f64 v[35:36], v[5:6], v[51:52]
	v_add_f64 v[13:14], v[13:14], v[31:32]
	v_fma_f64 v[31:32], v[11:12], v[53:54], v[129:130]
	v_add_f64 v[15:16], v[15:16], v[29:30]
	s_clause 0x4
	buffer_load_dword v30, off, s[0:3], 0 offset:732
	buffer_load_dword v51, off, s[0:3], 0 offset:744
	;; [unrolled: 1-line block ×5, first 2 shown]
	s_waitcnt vmcnt(57) lgkmcnt(0)
	v_mul_f64 v[129:130], v[1:2], v[55:56]
	v_mul_f64 v[54:55], v[3:4], v[55:56]
	s_waitcnt vmcnt(56)
	v_fma_f64 v[39:40], v[5:6], v[41:42], -v[39:40]
	ds_read_b128 v[9:12], v61 offset:1456
	v_fma_f64 v[35:36], v[7:8], v[41:42], v[35:36]
	v_add_f64 v[13:14], v[13:14], v[47:48]
	v_add_f64 v[15:16], v[15:16], v[31:32]
	s_clause 0x2
	buffer_load_dword v52, off, s[0:3], 0 offset:748
	buffer_load_dword v32, off, s[0:3], 0 offset:724
	;; [unrolled: 1-line block ×3, first 2 shown]
	ds_read_b128 v[5:8], v61 offset:1472
	s_waitcnt vmcnt(58) lgkmcnt(1)
	v_mul_f64 v[47:48], v[11:12], v[57:58]
	s_waitcnt vmcnt(56)
	v_fma_f64 v[55:56], v[1:2], v[59:60], -v[54:55]
	v_mul_f64 v[41:42], v[9:10], v[57:58]
	v_add_f64 v[13:14], v[13:14], v[39:40]
	v_fma_f64 v[39:40], v[3:4], v[59:60], v[129:130]
	v_add_f64 v[15:16], v[15:16], v[35:36]
	s_clause 0x4
	buffer_load_dword v36, off, s[0:3], 0 offset:764
	buffer_load_dword v57, off, s[0:3], 0 offset:776
	;; [unrolled: 1-line block ×5, first 2 shown]
	s_waitcnt vmcnt(57) lgkmcnt(0)
	v_mul_f64 v[129:130], v[5:6], v[70:71]
	v_mul_f64 v[70:71], v[7:8], v[70:71]
	s_waitcnt vmcnt(56)
	v_fma_f64 v[47:48], v[9:10], v[49:50], -v[47:48]
	ds_read_b128 v[1:4], v61 offset:1488
	v_fma_f64 v[41:42], v[11:12], v[49:50], v[41:42]
	v_add_f64 v[13:14], v[13:14], v[55:56]
	v_add_f64 v[15:16], v[15:16], v[39:40]
	s_clause 0x2
	buffer_load_dword v58, off, s[0:3], 0 offset:780
	buffer_load_dword v40, off, s[0:3], 0 offset:756
	;; [unrolled: 1-line block ×3, first 2 shown]
	ds_read_b128 v[9:12], v61 offset:1504
	s_waitcnt vmcnt(58) lgkmcnt(1)
	v_mul_f64 v[55:56], v[3:4], v[109:110]
	s_waitcnt vmcnt(56)
	v_fma_f64 v[70:71], v[5:6], v[114:115], -v[70:71]
	v_mul_f64 v[49:50], v[1:2], v[109:110]
	v_add_f64 v[13:14], v[13:14], v[47:48]
	v_fma_f64 v[47:48], v[7:8], v[114:115], v[129:130]
	v_add_f64 v[15:16], v[15:16], v[41:42]
	s_clause 0x4
	buffer_load_dword v42, off, s[0:3], 0 offset:796
	buffer_load_dword v109, off, s[0:3], 0 offset:808
	;; [unrolled: 1-line block ×5, first 2 shown]
	ds_read_b128 v[5:8], v61 offset:1520
	s_waitcnt vmcnt(57) lgkmcnt(1)
	v_mul_f64 v[114:115], v[9:10], v[95:96]
	v_mul_f64 v[95:96], v[11:12], v[95:96]
	s_waitcnt vmcnt(56)
	v_fma_f64 v[55:56], v[1:2], v[111:112], -v[55:56]
	v_fma_f64 v[49:50], v[3:4], v[111:112], v[49:50]
	v_add_f64 v[13:14], v[13:14], v[70:71]
	v_add_f64 v[15:16], v[15:16], v[47:48]
	s_clause 0x2
	buffer_load_dword v110, off, s[0:3], 0 offset:812
	buffer_load_dword v48, off, s[0:3], 0 offset:788
	buffer_load_dword v47, off, s[0:3], 0 offset:784
	ds_read_b128 v[1:4], v61 offset:1536
	s_waitcnt vmcnt(58) lgkmcnt(1)
	v_mul_f64 v[111:112], v[7:8], v[125:126]
	v_mul_f64 v[70:71], v[5:6], v[125:126]
	s_waitcnt vmcnt(56)
	v_fma_f64 v[95:96], v[9:10], v[66:67], -v[95:96]
	v_add_f64 v[13:14], v[13:14], v[55:56]
	v_fma_f64 v[55:56], v[11:12], v[66:67], v[114:115]
	v_add_f64 v[15:16], v[15:16], v[49:50]
	s_clause 0x4
	buffer_load_dword v50, off, s[0:3], 0 offset:828
	buffer_load_dword v66, off, s[0:3], 0 offset:840
	;; [unrolled: 1-line block ×5, first 2 shown]
	ds_read_b128 v[9:12], v61 offset:1552
	s_waitcnt vmcnt(57) lgkmcnt(1)
	v_mul_f64 v[125:126], v[1:2], v[25:26]
	v_mul_f64 v[25:26], v[3:4], v[25:26]
	s_waitcnt vmcnt(56)
	v_fma_f64 v[111:112], v[5:6], v[127:128], -v[111:112]
	v_fma_f64 v[70:71], v[7:8], v[127:128], v[70:71]
	v_add_f64 v[13:14], v[13:14], v[95:96]
	v_add_f64 v[15:16], v[15:16], v[55:56]
	s_clause 0x2
	buffer_load_dword v67, off, s[0:3], 0 offset:844
	buffer_load_dword v56, off, s[0:3], 0 offset:820
	buffer_load_dword v55, off, s[0:3], 0 offset:816
	ds_read_b128 v[5:8], v61 offset:1568
	s_waitcnt vmcnt(58) lgkmcnt(1)
	v_mul_f64 v[95:96], v[9:10], v[97:98]
	v_mul_f64 v[97:98], v[11:12], v[97:98]
	s_waitcnt vmcnt(56)
	v_fma_f64 v[25:26], v[1:2], v[19:20], -v[25:26]
	v_fma_f64 v[19:20], v[3:4], v[19:20], v[125:126]
	v_add_f64 v[13:14], v[13:14], v[111:112]
	v_add_f64 v[15:16], v[15:16], v[70:71]
	s_clause 0x4
	buffer_load_dword v71, off, s[0:3], 0 offset:860
	buffer_load_dword v111, off, s[0:3], 0 offset:872
	buffer_load_dword v125, off, s[0:3], 0 offset:864
	buffer_load_dword v70, off, s[0:3], 0 offset:856
	buffer_load_dword v116, off, s[0:3], 0 offset:836
	ds_read_b128 v[1:4], v61 offset:1584
	s_waitcnt vmcnt(57) lgkmcnt(1)
	v_mul_f64 v[126:127], v[5:6], v[62:63]
	v_mul_f64 v[62:63], v[7:8], v[62:63]
	s_waitcnt vmcnt(56)
	v_fma_f64 v[97:98], v[9:10], v[123:124], -v[97:98]
	v_add_f64 v[13:14], v[13:14], v[25:26]
	v_fma_f64 v[25:26], v[11:12], v[123:124], v[95:96]
	v_add_f64 v[15:16], v[15:16], v[19:20]
	s_clause 0x2
	buffer_load_dword v112, off, s[0:3], 0 offset:876
	buffer_load_dword v20, off, s[0:3], 0 offset:852
	buffer_load_dword v19, off, s[0:3], 0 offset:848
	ds_read_b128 v[9:12], v61 offset:1600
	s_waitcnt vmcnt(58) lgkmcnt(1)
	v_mul_f64 v[95:96], v[1:2], v[64:65]
	v_mul_f64 v[64:65], v[3:4], v[64:65]
	s_waitcnt vmcnt(56)
	v_fma_f64 v[62:63], v[5:6], v[21:22], -v[62:63]
	v_fma_f64 v[21:22], v[7:8], v[21:22], v[126:127]
	v_add_f64 v[13:14], v[13:14], v[97:98]
	v_add_f64 v[15:16], v[15:16], v[25:26]
	s_clause 0x4
	buffer_load_dword v26, off, s[0:3], 0 offset:892
	buffer_load_dword v97, off, s[0:3], 0 offset:904
	buffer_load_dword v123, off, s[0:3], 0 offset:896
	buffer_load_dword v25, off, s[0:3], 0 offset:888
	buffer_load_dword v126, off, s[0:3], 0 offset:868
	ds_read_b128 v[5:8], v61 offset:1616
	s_waitcnt vmcnt(57) lgkmcnt(1)
	v_mul_f64 v[127:128], v[9:10], v[17:18]
	v_mul_f64 v[17:18], v[11:12], v[17:18]
	s_waitcnt vmcnt(56)
	v_fma_f64 v[64:65], v[1:2], v[99:100], -v[64:65]
	v_add_f64 v[13:14], v[13:14], v[62:63]
	v_fma_f64 v[62:63], v[3:4], v[99:100], v[95:96]
	;; [unrolled: 28-line block ×3, first 2 shown]
	v_add_f64 v[15:16], v[15:16], v[27:28]
	s_clause 0x2
	buffer_load_dword v65, off, s[0:3], 0 offset:940
	buffer_load_dword v28, off, s[0:3], 0 offset:916
	;; [unrolled: 1-line block ×3, first 2 shown]
	s_waitcnt vmcnt(58) lgkmcnt(0)
	v_mul_f64 v[93:94], v[9:10], v[43:44]
	v_mul_f64 v[43:44], v[11:12], v[43:44]
	ds_read_b128 v[5:8], v61 offset:1664
	s_waitcnt vmcnt(56)
	v_fma_f64 v[23:24], v[1:2], v[33:34], -v[23:24]
	v_fma_f64 v[33:34], v[3:4], v[33:34], v[127:128]
	v_add_f64 v[13:14], v[13:14], v[37:38]
	v_add_f64 v[15:16], v[15:16], v[17:18]
	s_clause 0x4
	buffer_load_dword v18, off, s[0:3], 0 offset:956
	buffer_load_dword v37, off, s[0:3], 0 offset:968
	;; [unrolled: 1-line block ×5, first 2 shown]
	ds_read_b128 v[1:4], v61 offset:1680
	s_waitcnt vmcnt(57) lgkmcnt(1)
	v_mul_f64 v[127:128], v[5:6], v[29:30]
	v_mul_f64 v[29:30], v[7:8], v[29:30]
	s_waitcnt vmcnt(56)
	v_fma_f64 v[43:44], v[9:10], v[45:46], -v[43:44]
	v_add_f64 v[13:14], v[13:14], v[23:24]
	v_fma_f64 v[23:24], v[11:12], v[45:46], v[93:94]
	v_add_f64 v[15:16], v[15:16], v[33:34]
	s_clause 0x2
	buffer_load_dword v38, off, s[0:3], 0 offset:972
	buffer_load_dword v34, off, s[0:3], 0 offset:948
	;; [unrolled: 1-line block ×3, first 2 shown]
	ds_read_b128 v[9:12], v61 offset:1696
	buffer_load_dword v96, off, s[0:3], 0 offset:964
	s_waitcnt vmcnt(59) lgkmcnt(1)
	v_mul_f64 v[45:46], v[1:2], v[51:52]
	v_mul_f64 v[51:52], v[3:4], v[51:52]
	s_waitcnt vmcnt(57)
	v_fma_f64 v[29:30], v[5:6], v[31:32], -v[29:30]
	v_fma_f64 v[31:32], v[7:8], v[31:32], v[127:128]
	ds_read_b128 v[5:8], v61 offset:1712
	v_add_f64 v[13:14], v[13:14], v[43:44]
	v_add_f64 v[15:16], v[15:16], v[23:24]
	s_waitcnt vmcnt(53) lgkmcnt(1)
	v_mul_f64 v[23:24], v[9:10], v[35:36]
	v_mul_f64 v[35:36], v[11:12], v[35:36]
	s_waitcnt vmcnt(52)
	v_fma_f64 v[43:44], v[1:2], v[53:54], -v[51:52]
	v_add_f64 v[13:14], v[13:14], v[29:30]
	v_fma_f64 v[29:30], v[3:4], v[53:54], v[45:46]
	v_add_f64 v[15:16], v[15:16], v[31:32]
	ds_read_b128 v[1:4], v61 offset:1728
	s_waitcnt vmcnt(51) lgkmcnt(1)
	v_mul_f64 v[45:46], v[7:8], v[57:58]
	v_mul_f64 v[31:32], v[5:6], v[57:58]
	s_waitcnt vmcnt(49)
	v_fma_f64 v[35:36], v[9:10], v[39:40], -v[35:36]
	v_fma_f64 v[23:24], v[11:12], v[39:40], v[23:24]
	v_add_f64 v[13:14], v[13:14], v[43:44]
	v_add_f64 v[15:16], v[15:16], v[29:30]
	s_clause 0x3
	buffer_load_dword v29, off, s[0:3], 0 offset:272
	buffer_load_dword v30, off, s[0:3], 0 offset:276
	;; [unrolled: 1-line block ×4, first 2 shown]
	ds_read_b128 v[9:12], v61 offset:1744
	s_waitcnt vmcnt(49) lgkmcnt(1)
	v_mul_f64 v[43:44], v[1:2], v[41:42]
	v_mul_f64 v[41:42], v[3:4], v[41:42]
	s_waitcnt vmcnt(48)
	v_fma_f64 v[45:46], v[5:6], v[59:60], -v[45:46]
	v_fma_f64 v[31:32], v[7:8], v[59:60], v[31:32]
	ds_read_b128 v[5:8], v61 offset:1760
	v_add_f64 v[13:14], v[13:14], v[35:36]
	v_add_f64 v[15:16], v[15:16], v[23:24]
	s_waitcnt vmcnt(47) lgkmcnt(1)
	v_mul_f64 v[35:36], v[11:12], v[109:110]
	v_mul_f64 v[23:24], v[9:10], v[109:110]
	s_waitcnt vmcnt(45)
	v_fma_f64 v[41:42], v[1:2], v[47:48], -v[41:42]
	v_fma_f64 v[43:44], v[3:4], v[47:48], v[43:44]
	ds_read_b128 v[1:4], v61 offset:1776
	v_add_f64 v[13:14], v[13:14], v[45:46]
	v_add_f64 v[15:16], v[15:16], v[31:32]
	s_waitcnt vmcnt(41) lgkmcnt(1)
	v_mul_f64 v[45:46], v[7:8], v[49:50]
	s_waitcnt vmcnt(40)
	v_fma_f64 v[35:36], v[9:10], v[113:114], -v[35:36]
	v_mul_f64 v[31:32], v[5:6], v[49:50]
	v_fma_f64 v[23:24], v[11:12], v[113:114], v[23:24]
	ds_read_b128 v[9:12], v61 offset:1792
	v_add_f64 v[13:14], v[13:14], v[41:42]
	v_add_f64 v[15:16], v[15:16], v[43:44]
	s_waitcnt vmcnt(39) lgkmcnt(1)
	v_mul_f64 v[43:44], v[3:4], v[66:67]
	v_mul_f64 v[41:42], v[1:2], v[66:67]
	s_waitcnt vmcnt(37)
	v_fma_f64 v[45:46], v[5:6], v[55:56], -v[45:46]
	v_fma_f64 v[31:32], v[7:8], v[55:56], v[31:32]
	ds_read_b128 v[5:8], v61 offset:1808
	v_add_f64 v[13:14], v[13:14], v[35:36]
	v_add_f64 v[15:16], v[15:16], v[23:24]
	s_waitcnt vmcnt(33) lgkmcnt(1)
	v_mul_f64 v[35:36], v[11:12], v[70:71]
	s_waitcnt vmcnt(32)
	v_fma_f64 v[43:44], v[1:2], v[115:116], -v[43:44]
	v_mul_f64 v[23:24], v[9:10], v[70:71]
	v_fma_f64 v[41:42], v[3:4], v[115:116], v[41:42]
	ds_read_b128 v[1:4], v61 offset:1824
	v_add_f64 v[13:14], v[13:14], v[45:46]
	v_add_f64 v[15:16], v[15:16], v[31:32]
	s_waitcnt vmcnt(31) lgkmcnt(1)
	v_mul_f64 v[45:46], v[7:8], v[111:112]
	v_mul_f64 v[31:32], v[5:6], v[111:112]
	s_waitcnt vmcnt(29)
	v_fma_f64 v[35:36], v[9:10], v[19:20], -v[35:36]
	v_fma_f64 v[19:20], v[11:12], v[19:20], v[23:24]
	ds_read_b128 v[9:12], v61 offset:1840
	v_add_f64 v[13:14], v[13:14], v[43:44]
	v_add_f64 v[15:16], v[15:16], v[41:42]
	s_waitcnt vmcnt(25) lgkmcnt(1)
	v_mul_f64 v[23:24], v[1:2], v[25:26]
	v_mul_f64 v[25:26], v[3:4], v[25:26]
	s_waitcnt vmcnt(24)
	v_fma_f64 v[41:42], v[5:6], v[125:126], -v[45:46]
	;; [unrolled: 9-line block ×3, first 2 shown]
	v_fma_f64 v[21:22], v[3:4], v[21:22], v[23:24]
	ds_read_b128 v[1:4], v61 offset:1872
	v_add_f64 v[13:14], v[13:14], v[41:42]
	v_add_f64 v[15:16], v[15:16], v[31:32]
	s_waitcnt vmcnt(17) lgkmcnt(1)
	v_mul_f64 v[31:32], v[7:8], v[62:63]
	s_waitcnt vmcnt(16)
	v_fma_f64 v[35:36], v[9:10], v[123:124], -v[35:36]
	v_mul_f64 v[23:24], v[5:6], v[62:63]
	v_fma_f64 v[19:20], v[11:12], v[123:124], v[19:20]
	ds_read_b128 v[9:12], v61 offset:1888
	v_add_f64 v[13:14], v[13:14], v[25:26]
	v_add_f64 v[15:16], v[15:16], v[21:22]
	s_waitcnt vmcnt(15) lgkmcnt(1)
	v_mul_f64 v[25:26], v[3:4], v[64:65]
	v_mul_f64 v[21:22], v[1:2], v[64:65]
	s_waitcnt vmcnt(13)
	v_fma_f64 v[31:32], v[5:6], v[27:28], -v[31:32]
	v_fma_f64 v[23:24], v[7:8], v[27:28], v[23:24]
	ds_read_b128 v[5:8], v61 offset:1904
	v_add_f64 v[13:14], v[13:14], v[35:36]
	v_add_f64 v[15:16], v[15:16], v[19:20]
	s_waitcnt vmcnt(9) lgkmcnt(1)
	v_mul_f64 v[19:20], v[9:10], v[17:18]
	v_mul_f64 v[17:18], v[11:12], v[17:18]
	s_waitcnt vmcnt(8)
	v_fma_f64 v[1:2], v[1:2], v[99:100], -v[25:26]
	v_fma_f64 v[3:4], v[3:4], v[99:100], v[21:22]
	v_add_f64 v[13:14], v[13:14], v[31:32]
	v_add_f64 v[15:16], v[15:16], v[23:24]
	s_waitcnt vmcnt(7) lgkmcnt(0)
	v_mul_f64 v[23:24], v[7:8], v[37:38]
	v_mul_f64 v[21:22], v[5:6], v[37:38]
	s_waitcnt vmcnt(5)
	v_fma_f64 v[9:10], v[9:10], v[33:34], -v[17:18]
	v_fma_f64 v[11:12], v[11:12], v[33:34], v[19:20]
	v_add_f64 v[1:2], v[13:14], v[1:2]
	v_add_f64 v[3:4], v[15:16], v[3:4]
	s_waitcnt vmcnt(4)
	v_fma_f64 v[5:6], v[5:6], v[95:96], -v[23:24]
	v_fma_f64 v[7:8], v[7:8], v[95:96], v[21:22]
	v_add_f64 v[1:2], v[1:2], v[9:10]
	v_add_f64 v[3:4], v[3:4], v[11:12]
	;; [unrolled: 1-line block ×4, first 2 shown]
	s_waitcnt vmcnt(2)
	v_add_f64 v[1:2], v[29:30], -v[1:2]
	s_waitcnt vmcnt(0)
	v_add_f64 v[3:4], v[39:40], -v[3:4]
	buffer_store_dword v2, off, s[0:3], 0 offset:276
	buffer_store_dword v1, off, s[0:3], 0 offset:272
	;; [unrolled: 1-line block ×4, first 2 shown]
	v_cmpx_lt_u32_e32 15, v0
	s_cbranch_execz .LBB59_343
; %bb.342:
	v_mov_b32_e32 v4, s70
	s_clause 0x3
	buffer_load_dword v1, v4, s[0:3], 0 offen
	buffer_load_dword v2, v4, s[0:3], 0 offen offset:4
	buffer_load_dword v3, v4, s[0:3], 0 offen offset:8
	;; [unrolled: 1-line block ×3, first 2 shown]
	buffer_store_dword v61, off, s[0:3], 0 offset:256
	buffer_store_dword v61, off, s[0:3], 0 offset:260
	;; [unrolled: 1-line block ×4, first 2 shown]
	s_waitcnt vmcnt(0)
	ds_write_b128 v69, v[1:4]
.LBB59_343:
	s_or_b32 exec_lo, exec_lo, s4
	s_waitcnt lgkmcnt(0)
	s_waitcnt_vscnt null, 0x0
	s_barrier
	buffer_gl0_inv
	s_clause 0x37
	buffer_load_dword v9, off, s[0:3], 0 offset:280
	buffer_load_dword v10, off, s[0:3], 0 offset:284
	;; [unrolled: 1-line block ×56, first 2 shown]
	ds_read_b128 v[62:65], v61 offset:1216
	s_clause 0x2
	buffer_load_dword v58, off, s[0:3], 0 offset:508
	buffer_load_dword v60, off, s[0:3], 0 offset:484
	;; [unrolled: 1-line block ×3, first 2 shown]
	ds_read_b128 v[93:96], v61 offset:1232
	s_clause 0x4
	buffer_load_dword v71, off, s[0:3], 0 offset:524
	buffer_load_dword v109, off, s[0:3], 0 offset:536
	;; [unrolled: 1-line block ×5, first 2 shown]
	ds_read_b128 v[97:100], v61 offset:1248
	s_clause 0x2
	buffer_load_dword v110, off, s[0:3], 0 offset:540
	buffer_load_dword v115, off, s[0:3], 0 offset:516
	buffer_load_dword v114, off, s[0:3], 0 offset:512
	s_mov_b32 s4, exec_lo
	s_waitcnt vmcnt(62) lgkmcnt(2)
	v_mul_f64 v[66:67], v[64:65], v[9:10]
	v_mul_f64 v[9:10], v[62:63], v[9:10]
	s_waitcnt lgkmcnt(1)
	v_mul_f64 v[112:113], v[95:96], v[5:6]
	s_waitcnt vmcnt(59) lgkmcnt(0)
	v_mul_f64 v[123:124], v[99:100], v[3:4]
	v_fma_f64 v[62:63], v[62:63], v[7:8], -v[66:67]
	v_mul_f64 v[66:67], v[93:94], v[5:6]
	v_fma_f64 v[9:10], v[64:65], v[7:8], v[9:10]
	s_waitcnt vmcnt(57)
	v_fma_f64 v[93:94], v[93:94], v[1:2], -v[112:113]
	ds_read_b128 v[5:8], v61 offset:1264
	v_mul_f64 v[64:65], v[97:98], v[3:4]
	s_waitcnt vmcnt(51)
	v_fma_f64 v[97:98], v[97:98], v[25:26], -v[123:124]
	v_add_f64 v[62:63], v[62:63], 0
	v_fma_f64 v[66:67], v[95:96], v[1:2], v[66:67]
	v_add_f64 v[9:10], v[9:10], 0
	s_clause 0x4
	buffer_load_dword v96, off, s[0:3], 0 offset:556
	buffer_load_dword v125, off, s[0:3], 0 offset:568
	;; [unrolled: 1-line block ×5, first 2 shown]
	s_waitcnt lgkmcnt(0)
	v_mul_f64 v[128:129], v[5:6], v[13:14]
	v_mul_f64 v[13:14], v[7:8], v[13:14]
	ds_read_b128 v[1:4], v61 offset:1280
	v_fma_f64 v[25:26], v[99:100], v[25:26], v[64:65]
	v_add_f64 v[93:94], v[62:63], v[93:94]
	v_add_f64 v[9:10], v[9:10], v[66:67]
	s_clause 0x2
	buffer_load_dword v126, off, s[0:3], 0 offset:572
	buffer_load_dword v67, off, s[0:3], 0 offset:548
	;; [unrolled: 1-line block ×3, first 2 shown]
	s_waitcnt vmcnt(58) lgkmcnt(0)
	v_mul_f64 v[99:100], v[1:2], v[17:18]
	v_mul_f64 v[17:18], v[3:4], v[17:18]
	s_waitcnt vmcnt(56)
	v_fma_f64 v[13:14], v[5:6], v[19:20], -v[13:14]
	ds_read_b128 v[62:65], v61 offset:1296
	v_fma_f64 v[19:20], v[7:8], v[19:20], v[128:129]
	v_add_f64 v[93:94], v[93:94], v[97:98]
	v_add_f64 v[9:10], v[9:10], v[25:26]
	s_clause 0x4
	buffer_load_dword v26, off, s[0:3], 0 offset:588
	buffer_load_dword v97, off, s[0:3], 0 offset:600
	;; [unrolled: 1-line block ×5, first 2 shown]
	ds_read_b128 v[5:8], v61 offset:1312
	s_waitcnt vmcnt(57) lgkmcnt(1)
	v_mul_f64 v[129:130], v[62:63], v[21:22]
	v_mul_f64 v[21:22], v[64:65], v[21:22]
	s_waitcnt vmcnt(56)
	v_fma_f64 v[17:18], v[1:2], v[11:12], -v[17:18]
	v_fma_f64 v[11:12], v[3:4], v[11:12], v[99:100]
	v_add_f64 v[13:14], v[93:94], v[13:14]
	v_add_f64 v[9:10], v[9:10], v[19:20]
	s_clause 0x2
	buffer_load_dword v98, off, s[0:3], 0 offset:604
	buffer_load_dword v20, off, s[0:3], 0 offset:580
	buffer_load_dword v19, off, s[0:3], 0 offset:576
	s_waitcnt vmcnt(58) lgkmcnt(0)
	v_mul_f64 v[93:94], v[5:6], v[27:28]
	v_mul_f64 v[27:28], v[7:8], v[27:28]
	s_waitcnt vmcnt(56)
	v_fma_f64 v[21:22], v[62:63], v[29:30], -v[21:22]
	ds_read_b128 v[1:4], v61 offset:1328
	v_add_f64 v[13:14], v[13:14], v[17:18]
	v_fma_f64 v[17:18], v[64:65], v[29:30], v[129:130]
	v_add_f64 v[29:30], v[9:10], v[11:12]
	s_clause 0x4
	buffer_load_dword v63, off, s[0:3], 0 offset:620
	buffer_load_dword v64, off, s[0:3], 0 offset:632
	;; [unrolled: 1-line block ×5, first 2 shown]
	ds_read_b128 v[9:12], v61 offset:1344
	s_waitcnt vmcnt(57) lgkmcnt(1)
	v_mul_f64 v[129:130], v[1:2], v[31:32]
	v_mul_f64 v[31:32], v[3:4], v[31:32]
	s_waitcnt vmcnt(56)
	v_fma_f64 v[27:28], v[5:6], v[15:16], -v[27:28]
	v_fma_f64 v[15:16], v[7:8], v[15:16], v[93:94]
	v_add_f64 v[13:14], v[13:14], v[21:22]
	s_clause 0x2
	buffer_load_dword v65, off, s[0:3], 0 offset:636
	buffer_load_dword v22, off, s[0:3], 0 offset:612
	;; [unrolled: 1-line block ×3, first 2 shown]
	v_add_f64 v[17:18], v[29:30], v[17:18]
	s_waitcnt vmcnt(58) lgkmcnt(0)
	v_mul_f64 v[29:30], v[9:10], v[35:36]
	v_mul_f64 v[35:36], v[11:12], v[35:36]
	ds_read_b128 v[5:8], v61 offset:1360
	s_waitcnt vmcnt(56)
	v_fma_f64 v[31:32], v[1:2], v[37:38], -v[31:32]
	v_add_f64 v[13:14], v[13:14], v[27:28]
	v_fma_f64 v[27:28], v[3:4], v[37:38], v[129:130]
	v_add_f64 v[15:16], v[17:18], v[15:16]
	s_clause 0x4
	buffer_load_dword v18, off, s[0:3], 0 offset:652
	buffer_load_dword v37, off, s[0:3], 0 offset:664
	;; [unrolled: 1-line block ×5, first 2 shown]
	s_waitcnt vmcnt(57) lgkmcnt(0)
	v_mul_f64 v[129:130], v[5:6], v[39:40]
	v_mul_f64 v[39:40], v[7:8], v[39:40]
	s_waitcnt vmcnt(56)
	v_fma_f64 v[35:36], v[9:10], v[23:24], -v[35:36]
	ds_read_b128 v[1:4], v61 offset:1376
	v_fma_f64 v[23:24], v[11:12], v[23:24], v[29:30]
	v_add_f64 v[13:14], v[13:14], v[31:32]
	v_add_f64 v[15:16], v[15:16], v[27:28]
	s_clause 0x2
	buffer_load_dword v38, off, s[0:3], 0 offset:668
	buffer_load_dword v28, off, s[0:3], 0 offset:644
	;; [unrolled: 1-line block ×3, first 2 shown]
	ds_read_b128 v[9:12], v61 offset:1392
	s_waitcnt vmcnt(58) lgkmcnt(1)
	v_mul_f64 v[31:32], v[3:4], v[43:44]
	s_waitcnt vmcnt(56)
	v_fma_f64 v[39:40], v[5:6], v[45:46], -v[39:40]
	v_mul_f64 v[29:30], v[1:2], v[43:44]
	v_add_f64 v[13:14], v[13:14], v[35:36]
	v_fma_f64 v[35:36], v[7:8], v[45:46], v[129:130]
	v_add_f64 v[15:16], v[15:16], v[23:24]
	s_clause 0x4
	buffer_load_dword v24, off, s[0:3], 0 offset:684
	buffer_load_dword v43, off, s[0:3], 0 offset:696
	;; [unrolled: 1-line block ×5, first 2 shown]
	s_waitcnt vmcnt(57) lgkmcnt(0)
	v_mul_f64 v[129:130], v[9:10], v[47:48]
	v_mul_f64 v[46:47], v[11:12], v[47:48]
	s_waitcnt vmcnt(56)
	v_fma_f64 v[31:32], v[1:2], v[33:34], -v[31:32]
	ds_read_b128 v[5:8], v61 offset:1408
	v_fma_f64 v[29:30], v[3:4], v[33:34], v[29:30]
	s_clause 0x2
	buffer_load_dword v44, off, s[0:3], 0 offset:700
	buffer_load_dword v34, off, s[0:3], 0 offset:676
	buffer_load_dword v33, off, s[0:3], 0 offset:672
	ds_read_b128 v[1:4], v61 offset:1424
	v_add_f64 v[13:14], v[13:14], v[39:40]
	v_add_f64 v[15:16], v[15:16], v[35:36]
	s_waitcnt vmcnt(58) lgkmcnt(1)
	v_mul_f64 v[39:40], v[7:8], v[51:52]
	s_waitcnt vmcnt(56)
	v_fma_f64 v[47:48], v[9:10], v[53:54], -v[46:47]
	v_mul_f64 v[35:36], v[5:6], v[51:52]
	v_add_f64 v[13:14], v[13:14], v[31:32]
	v_fma_f64 v[31:32], v[11:12], v[53:54], v[129:130]
	v_add_f64 v[15:16], v[15:16], v[29:30]
	s_clause 0x4
	buffer_load_dword v30, off, s[0:3], 0 offset:716
	buffer_load_dword v51, off, s[0:3], 0 offset:728
	buffer_load_dword v53, off, s[0:3], 0 offset:720
	buffer_load_dword v29, off, s[0:3], 0 offset:712
	buffer_load_dword v46, off, s[0:3], 0 offset:692
	s_waitcnt vmcnt(57) lgkmcnt(0)
	v_mul_f64 v[129:130], v[1:2], v[55:56]
	v_mul_f64 v[54:55], v[3:4], v[55:56]
	s_waitcnt vmcnt(56)
	v_fma_f64 v[39:40], v[5:6], v[41:42], -v[39:40]
	ds_read_b128 v[9:12], v61 offset:1440
	v_fma_f64 v[35:36], v[7:8], v[41:42], v[35:36]
	v_add_f64 v[13:14], v[13:14], v[47:48]
	v_add_f64 v[15:16], v[15:16], v[31:32]
	s_clause 0x2
	buffer_load_dword v52, off, s[0:3], 0 offset:732
	buffer_load_dword v32, off, s[0:3], 0 offset:708
	;; [unrolled: 1-line block ×3, first 2 shown]
	ds_read_b128 v[5:8], v61 offset:1456
	s_waitcnt vmcnt(58) lgkmcnt(1)
	v_mul_f64 v[47:48], v[11:12], v[57:58]
	s_waitcnt vmcnt(56)
	v_fma_f64 v[55:56], v[1:2], v[59:60], -v[54:55]
	v_mul_f64 v[41:42], v[9:10], v[57:58]
	v_add_f64 v[13:14], v[13:14], v[39:40]
	v_fma_f64 v[39:40], v[3:4], v[59:60], v[129:130]
	v_add_f64 v[15:16], v[15:16], v[35:36]
	s_clause 0x4
	buffer_load_dword v36, off, s[0:3], 0 offset:748
	buffer_load_dword v57, off, s[0:3], 0 offset:760
	;; [unrolled: 1-line block ×5, first 2 shown]
	s_waitcnt vmcnt(57) lgkmcnt(0)
	v_mul_f64 v[129:130], v[5:6], v[70:71]
	v_mul_f64 v[70:71], v[7:8], v[70:71]
	s_waitcnt vmcnt(56)
	v_fma_f64 v[47:48], v[9:10], v[49:50], -v[47:48]
	ds_read_b128 v[1:4], v61 offset:1472
	v_fma_f64 v[41:42], v[11:12], v[49:50], v[41:42]
	v_add_f64 v[13:14], v[13:14], v[55:56]
	v_add_f64 v[15:16], v[15:16], v[39:40]
	s_clause 0x2
	buffer_load_dword v58, off, s[0:3], 0 offset:764
	buffer_load_dword v40, off, s[0:3], 0 offset:740
	;; [unrolled: 1-line block ×3, first 2 shown]
	ds_read_b128 v[9:12], v61 offset:1488
	s_waitcnt vmcnt(58) lgkmcnt(1)
	v_mul_f64 v[55:56], v[3:4], v[109:110]
	s_waitcnt vmcnt(56)
	v_fma_f64 v[70:71], v[5:6], v[114:115], -v[70:71]
	v_mul_f64 v[49:50], v[1:2], v[109:110]
	v_add_f64 v[13:14], v[13:14], v[47:48]
	v_fma_f64 v[47:48], v[7:8], v[114:115], v[129:130]
	v_add_f64 v[15:16], v[15:16], v[41:42]
	s_clause 0x4
	buffer_load_dword v42, off, s[0:3], 0 offset:780
	buffer_load_dword v109, off, s[0:3], 0 offset:792
	;; [unrolled: 1-line block ×5, first 2 shown]
	ds_read_b128 v[5:8], v61 offset:1504
	s_waitcnt vmcnt(57) lgkmcnt(1)
	v_mul_f64 v[114:115], v[9:10], v[95:96]
	v_mul_f64 v[95:96], v[11:12], v[95:96]
	s_waitcnt vmcnt(56)
	v_fma_f64 v[55:56], v[1:2], v[111:112], -v[55:56]
	v_fma_f64 v[49:50], v[3:4], v[111:112], v[49:50]
	v_add_f64 v[13:14], v[13:14], v[70:71]
	v_add_f64 v[15:16], v[15:16], v[47:48]
	s_clause 0x2
	buffer_load_dword v110, off, s[0:3], 0 offset:796
	buffer_load_dword v48, off, s[0:3], 0 offset:772
	;; [unrolled: 1-line block ×3, first 2 shown]
	ds_read_b128 v[1:4], v61 offset:1520
	s_waitcnt vmcnt(58) lgkmcnt(1)
	v_mul_f64 v[111:112], v[7:8], v[125:126]
	v_mul_f64 v[70:71], v[5:6], v[125:126]
	s_waitcnt vmcnt(56)
	v_fma_f64 v[95:96], v[9:10], v[66:67], -v[95:96]
	v_add_f64 v[13:14], v[13:14], v[55:56]
	v_fma_f64 v[55:56], v[11:12], v[66:67], v[114:115]
	v_add_f64 v[15:16], v[15:16], v[49:50]
	s_clause 0x4
	buffer_load_dword v50, off, s[0:3], 0 offset:812
	buffer_load_dword v66, off, s[0:3], 0 offset:824
	;; [unrolled: 1-line block ×5, first 2 shown]
	ds_read_b128 v[9:12], v61 offset:1536
	s_waitcnt vmcnt(57) lgkmcnt(1)
	v_mul_f64 v[125:126], v[1:2], v[25:26]
	v_mul_f64 v[25:26], v[3:4], v[25:26]
	s_waitcnt vmcnt(56)
	v_fma_f64 v[111:112], v[5:6], v[127:128], -v[111:112]
	v_fma_f64 v[70:71], v[7:8], v[127:128], v[70:71]
	v_add_f64 v[13:14], v[13:14], v[95:96]
	v_add_f64 v[15:16], v[15:16], v[55:56]
	s_clause 0x2
	buffer_load_dword v67, off, s[0:3], 0 offset:828
	buffer_load_dword v56, off, s[0:3], 0 offset:804
	buffer_load_dword v55, off, s[0:3], 0 offset:800
	ds_read_b128 v[5:8], v61 offset:1552
	s_waitcnt vmcnt(58) lgkmcnt(1)
	v_mul_f64 v[95:96], v[9:10], v[97:98]
	v_mul_f64 v[97:98], v[11:12], v[97:98]
	s_waitcnt vmcnt(56)
	v_fma_f64 v[25:26], v[1:2], v[19:20], -v[25:26]
	v_fma_f64 v[19:20], v[3:4], v[19:20], v[125:126]
	v_add_f64 v[13:14], v[13:14], v[111:112]
	v_add_f64 v[15:16], v[15:16], v[70:71]
	s_clause 0x4
	buffer_load_dword v71, off, s[0:3], 0 offset:844
	buffer_load_dword v111, off, s[0:3], 0 offset:856
	buffer_load_dword v125, off, s[0:3], 0 offset:848
	buffer_load_dword v70, off, s[0:3], 0 offset:840
	buffer_load_dword v116, off, s[0:3], 0 offset:820
	ds_read_b128 v[1:4], v61 offset:1568
	s_waitcnt vmcnt(57) lgkmcnt(1)
	v_mul_f64 v[126:127], v[5:6], v[62:63]
	v_mul_f64 v[62:63], v[7:8], v[62:63]
	s_waitcnt vmcnt(56)
	v_fma_f64 v[97:98], v[9:10], v[123:124], -v[97:98]
	v_add_f64 v[13:14], v[13:14], v[25:26]
	v_fma_f64 v[25:26], v[11:12], v[123:124], v[95:96]
	v_add_f64 v[15:16], v[15:16], v[19:20]
	s_clause 0x2
	buffer_load_dword v112, off, s[0:3], 0 offset:860
	buffer_load_dword v20, off, s[0:3], 0 offset:836
	buffer_load_dword v19, off, s[0:3], 0 offset:832
	ds_read_b128 v[9:12], v61 offset:1584
	s_waitcnt vmcnt(58) lgkmcnt(1)
	v_mul_f64 v[95:96], v[1:2], v[64:65]
	v_mul_f64 v[64:65], v[3:4], v[64:65]
	s_waitcnt vmcnt(56)
	v_fma_f64 v[62:63], v[5:6], v[21:22], -v[62:63]
	v_fma_f64 v[21:22], v[7:8], v[21:22], v[126:127]
	v_add_f64 v[13:14], v[13:14], v[97:98]
	v_add_f64 v[15:16], v[15:16], v[25:26]
	s_clause 0x4
	buffer_load_dword v26, off, s[0:3], 0 offset:876
	buffer_load_dword v97, off, s[0:3], 0 offset:888
	buffer_load_dword v123, off, s[0:3], 0 offset:880
	buffer_load_dword v25, off, s[0:3], 0 offset:872
	buffer_load_dword v126, off, s[0:3], 0 offset:852
	ds_read_b128 v[5:8], v61 offset:1600
	s_waitcnt vmcnt(57) lgkmcnt(1)
	v_mul_f64 v[127:128], v[9:10], v[17:18]
	v_mul_f64 v[17:18], v[11:12], v[17:18]
	s_waitcnt vmcnt(56)
	v_fma_f64 v[64:65], v[1:2], v[99:100], -v[64:65]
	v_add_f64 v[13:14], v[13:14], v[62:63]
	v_fma_f64 v[62:63], v[3:4], v[99:100], v[95:96]
	;; [unrolled: 28-line block ×3, first 2 shown]
	v_add_f64 v[15:16], v[15:16], v[27:28]
	s_clause 0x2
	buffer_load_dword v65, off, s[0:3], 0 offset:924
	buffer_load_dword v28, off, s[0:3], 0 offset:900
	;; [unrolled: 1-line block ×3, first 2 shown]
	s_waitcnt vmcnt(58) lgkmcnt(0)
	v_mul_f64 v[93:94], v[9:10], v[43:44]
	v_mul_f64 v[43:44], v[11:12], v[43:44]
	ds_read_b128 v[5:8], v61 offset:1648
	s_waitcnt vmcnt(56)
	v_fma_f64 v[23:24], v[1:2], v[33:34], -v[23:24]
	v_fma_f64 v[33:34], v[3:4], v[33:34], v[127:128]
	v_add_f64 v[13:14], v[13:14], v[37:38]
	v_add_f64 v[15:16], v[15:16], v[17:18]
	s_clause 0x4
	buffer_load_dword v18, off, s[0:3], 0 offset:940
	buffer_load_dword v37, off, s[0:3], 0 offset:952
	;; [unrolled: 1-line block ×5, first 2 shown]
	ds_read_b128 v[1:4], v61 offset:1664
	s_waitcnt vmcnt(57) lgkmcnt(1)
	v_mul_f64 v[127:128], v[5:6], v[29:30]
	v_mul_f64 v[29:30], v[7:8], v[29:30]
	s_waitcnt vmcnt(56)
	v_fma_f64 v[43:44], v[9:10], v[45:46], -v[43:44]
	v_add_f64 v[13:14], v[13:14], v[23:24]
	v_fma_f64 v[23:24], v[11:12], v[45:46], v[93:94]
	v_add_f64 v[15:16], v[15:16], v[33:34]
	s_clause 0x2
	buffer_load_dword v38, off, s[0:3], 0 offset:956
	buffer_load_dword v34, off, s[0:3], 0 offset:932
	;; [unrolled: 1-line block ×3, first 2 shown]
	ds_read_b128 v[9:12], v61 offset:1680
	s_waitcnt vmcnt(58) lgkmcnt(1)
	v_mul_f64 v[45:46], v[1:2], v[51:52]
	v_mul_f64 v[51:52], v[3:4], v[51:52]
	s_waitcnt vmcnt(56)
	v_fma_f64 v[29:30], v[5:6], v[31:32], -v[29:30]
	v_fma_f64 v[31:32], v[7:8], v[31:32], v[127:128]
	v_add_f64 v[13:14], v[13:14], v[43:44]
	v_add_f64 v[15:16], v[15:16], v[23:24]
	s_clause 0x2
	buffer_load_dword v24, off, s[0:3], 0 offset:972
	buffer_load_dword v23, off, s[0:3], 0 offset:968
	;; [unrolled: 1-line block ×3, first 2 shown]
	ds_read_b128 v[5:8], v61 offset:1696
	s_waitcnt vmcnt(55) lgkmcnt(1)
	v_mul_f64 v[43:44], v[9:10], v[35:36]
	v_mul_f64 v[35:36], v[11:12], v[35:36]
	s_waitcnt vmcnt(54)
	v_fma_f64 v[51:52], v[1:2], v[53:54], -v[51:52]
	v_add_f64 v[13:14], v[13:14], v[29:30]
	v_fma_f64 v[29:30], v[3:4], v[53:54], v[45:46]
	v_add_f64 v[15:16], v[15:16], v[31:32]
	s_clause 0x1
	buffer_load_dword v32, off, s[0:3], 0 offset:964
	buffer_load_dword v31, off, s[0:3], 0 offset:960
	ds_read_b128 v[1:4], v61 offset:1712
	s_waitcnt vmcnt(55) lgkmcnt(1)
	v_mul_f64 v[53:54], v[7:8], v[57:58]
	v_mul_f64 v[45:46], v[5:6], v[57:58]
	s_waitcnt vmcnt(53)
	v_fma_f64 v[35:36], v[9:10], v[39:40], -v[35:36]
	v_fma_f64 v[39:40], v[11:12], v[39:40], v[43:44]
	ds_read_b128 v[9:12], v61 offset:1728
	v_add_f64 v[13:14], v[13:14], v[51:52]
	v_add_f64 v[15:16], v[15:16], v[29:30]
	s_waitcnt vmcnt(49) lgkmcnt(1)
	v_mul_f64 v[29:30], v[1:2], v[41:42]
	v_mul_f64 v[41:42], v[3:4], v[41:42]
	s_waitcnt vmcnt(48)
	v_fma_f64 v[43:44], v[5:6], v[59:60], -v[53:54]
	v_add_f64 v[13:14], v[13:14], v[35:36]
	v_fma_f64 v[35:36], v[7:8], v[59:60], v[45:46]
	v_add_f64 v[15:16], v[15:16], v[39:40]
	s_clause 0x3
	buffer_load_dword v39, off, s[0:3], 0 offset:256
	buffer_load_dword v40, off, s[0:3], 0 offset:260
	;; [unrolled: 1-line block ×4, first 2 shown]
	ds_read_b128 v[5:8], v61 offset:1744
	s_waitcnt vmcnt(51) lgkmcnt(1)
	v_mul_f64 v[53:54], v[11:12], v[109:110]
	v_mul_f64 v[51:52], v[9:10], v[109:110]
	s_waitcnt vmcnt(49)
	v_fma_f64 v[41:42], v[1:2], v[47:48], -v[41:42]
	v_fma_f64 v[29:30], v[3:4], v[47:48], v[29:30]
	ds_read_b128 v[1:4], v61 offset:1760
	v_add_f64 v[13:14], v[13:14], v[43:44]
	v_add_f64 v[15:16], v[15:16], v[35:36]
	s_waitcnt vmcnt(45) lgkmcnt(1)
	v_mul_f64 v[43:44], v[7:8], v[49:50]
	s_waitcnt vmcnt(44)
	v_fma_f64 v[47:48], v[9:10], v[113:114], -v[53:54]
	v_mul_f64 v[35:36], v[5:6], v[49:50]
	v_add_f64 v[13:14], v[13:14], v[41:42]
	v_fma_f64 v[41:42], v[11:12], v[113:114], v[51:52]
	v_add_f64 v[15:16], v[15:16], v[29:30]
	ds_read_b128 v[9:12], v61 offset:1776
	s_waitcnt vmcnt(43) lgkmcnt(1)
	v_mul_f64 v[49:50], v[3:4], v[66:67]
	v_mul_f64 v[29:30], v[1:2], v[66:67]
	s_waitcnt vmcnt(41)
	v_fma_f64 v[43:44], v[5:6], v[55:56], -v[43:44]
	v_fma_f64 v[35:36], v[7:8], v[55:56], v[35:36]
	ds_read_b128 v[5:8], v61 offset:1792
	v_add_f64 v[13:14], v[13:14], v[47:48]
	v_add_f64 v[15:16], v[15:16], v[41:42]
	s_waitcnt vmcnt(37) lgkmcnt(1)
	v_mul_f64 v[47:48], v[11:12], v[70:71]
	s_waitcnt vmcnt(36)
	v_fma_f64 v[49:50], v[1:2], v[115:116], -v[49:50]
	v_mul_f64 v[41:42], v[9:10], v[70:71]
	v_fma_f64 v[29:30], v[3:4], v[115:116], v[29:30]
	ds_read_b128 v[1:4], v61 offset:1808
	v_add_f64 v[13:14], v[13:14], v[43:44]
	v_add_f64 v[15:16], v[15:16], v[35:36]
	s_waitcnt vmcnt(35) lgkmcnt(1)
	v_mul_f64 v[43:44], v[7:8], v[111:112]
	v_mul_f64 v[35:36], v[5:6], v[111:112]
	s_waitcnt vmcnt(33)
	v_fma_f64 v[47:48], v[9:10], v[19:20], -v[47:48]
	v_fma_f64 v[19:20], v[11:12], v[19:20], v[41:42]
	ds_read_b128 v[9:12], v61 offset:1824
	v_add_f64 v[13:14], v[13:14], v[49:50]
	v_add_f64 v[15:16], v[15:16], v[29:30]
	s_waitcnt vmcnt(29) lgkmcnt(1)
	v_mul_f64 v[29:30], v[1:2], v[25:26]
	v_mul_f64 v[25:26], v[3:4], v[25:26]
	s_waitcnt vmcnt(28)
	v_fma_f64 v[41:42], v[5:6], v[125:126], -v[43:44]
	;; [unrolled: 9-line block ×3, first 2 shown]
	v_fma_f64 v[21:22], v[3:4], v[21:22], v[29:30]
	ds_read_b128 v[1:4], v61 offset:1856
	v_add_f64 v[13:14], v[13:14], v[41:42]
	v_add_f64 v[15:16], v[15:16], v[35:36]
	s_waitcnt vmcnt(21) lgkmcnt(1)
	v_mul_f64 v[35:36], v[7:8], v[62:63]
	s_waitcnt vmcnt(20)
	v_fma_f64 v[41:42], v[9:10], v[123:124], -v[43:44]
	v_mul_f64 v[29:30], v[5:6], v[62:63]
	v_fma_f64 v[19:20], v[11:12], v[123:124], v[19:20]
	ds_read_b128 v[9:12], v61 offset:1872
	v_add_f64 v[13:14], v[13:14], v[25:26]
	v_add_f64 v[15:16], v[15:16], v[21:22]
	s_waitcnt vmcnt(19) lgkmcnt(1)
	v_mul_f64 v[25:26], v[3:4], v[64:65]
	v_mul_f64 v[21:22], v[1:2], v[64:65]
	s_waitcnt vmcnt(17)
	v_fma_f64 v[35:36], v[5:6], v[27:28], -v[35:36]
	v_fma_f64 v[27:28], v[7:8], v[27:28], v[29:30]
	ds_read_b128 v[5:8], v61 offset:1888
	v_add_f64 v[13:14], v[13:14], v[41:42]
	v_add_f64 v[15:16], v[15:16], v[19:20]
	s_waitcnt vmcnt(13) lgkmcnt(1)
	v_mul_f64 v[19:20], v[9:10], v[17:18]
	v_mul_f64 v[17:18], v[11:12], v[17:18]
	s_waitcnt vmcnt(12)
	v_fma_f64 v[25:26], v[1:2], v[99:100], -v[25:26]
	;; [unrolled: 9-line block ×3, first 2 shown]
	v_fma_f64 v[11:12], v[11:12], v[33:34], v[19:20]
	v_add_f64 v[13:14], v[13:14], v[25:26]
	v_add_f64 v[15:16], v[15:16], v[21:22]
	s_waitcnt vmcnt(7) lgkmcnt(0)
	v_mul_f64 v[19:20], v[3:4], v[23:24]
	s_waitcnt vmcnt(6)
	v_fma_f64 v[5:6], v[5:6], v[95:96], -v[29:30]
	v_mul_f64 v[17:18], v[1:2], v[23:24]
	v_fma_f64 v[7:8], v[7:8], v[95:96], v[27:28]
	v_add_f64 v[9:10], v[13:14], v[9:10]
	v_add_f64 v[11:12], v[15:16], v[11:12]
	s_waitcnt vmcnt(4)
	v_fma_f64 v[1:2], v[1:2], v[31:32], -v[19:20]
	v_fma_f64 v[3:4], v[3:4], v[31:32], v[17:18]
	v_add_f64 v[5:6], v[9:10], v[5:6]
	v_add_f64 v[7:8], v[11:12], v[7:8]
	;; [unrolled: 1-line block ×4, first 2 shown]
	s_waitcnt vmcnt(2)
	v_add_f64 v[1:2], v[39:40], -v[1:2]
	s_waitcnt vmcnt(0)
	v_add_f64 v[3:4], v[45:46], -v[3:4]
	buffer_store_dword v2, off, s[0:3], 0 offset:260
	buffer_store_dword v1, off, s[0:3], 0 offset:256
	;; [unrolled: 1-line block ×4, first 2 shown]
	v_cmpx_lt_u32_e32 14, v0
	s_cbranch_execz .LBB59_345
; %bb.344:
	v_mov_b32_e32 v4, s52
	v_mov_b32_e32 v5, 0
	s_clause 0x3
	buffer_load_dword v1, v4, s[0:3], 0 offen
	buffer_load_dword v2, v4, s[0:3], 0 offen offset:4
	buffer_load_dword v3, v4, s[0:3], 0 offen offset:8
	;; [unrolled: 1-line block ×3, first 2 shown]
	buffer_store_dword v5, off, s[0:3], 0 offset:240
	buffer_store_dword v5, off, s[0:3], 0 offset:244
	;; [unrolled: 1-line block ×4, first 2 shown]
	s_waitcnt vmcnt(0)
	ds_write_b128 v69, v[1:4]
.LBB59_345:
	s_or_b32 exec_lo, exec_lo, s4
	s_waitcnt lgkmcnt(0)
	s_waitcnt_vscnt null, 0x0
	s_barrier
	buffer_gl0_inv
	s_clause 0x37
	buffer_load_dword v13, off, s[0:3], 0 offset:264
	buffer_load_dword v14, off, s[0:3], 0 offset:268
	;; [unrolled: 1-line block ×56, first 2 shown]
	v_mov_b32_e32 v70, 0
	s_mov_b32 s4, exec_lo
	ds_read_b128 v[65:68], v70 offset:1200
	s_clause 0x2
	buffer_load_dword v62, off, s[0:3], 0 offset:492
	buffer_load_dword v64, off, s[0:3], 0 offset:468
	;; [unrolled: 1-line block ×3, first 2 shown]
	ds_read_b128 v[1:4], v70 offset:1216
	s_clause 0x4
	buffer_load_dword v100, off, s[0:3], 0 offset:508
	buffer_load_dword v109, off, s[0:3], 0 offset:520
	buffer_load_dword v111, off, s[0:3], 0 offset:512
	buffer_load_dword v99, off, s[0:3], 0 offset:504
	buffer_load_dword v54, off, s[0:3], 0 offset:484
	ds_read_b128 v[93:96], v70 offset:1232
	s_waitcnt vmcnt(62) lgkmcnt(2)
	v_mul_f64 v[97:98], v[67:68], v[13:14]
	v_mul_f64 v[13:14], v[65:66], v[13:14]
	s_waitcnt vmcnt(60) lgkmcnt(1)
	v_mul_f64 v[112:113], v[3:4], v[9:10]
	s_waitcnt vmcnt(56) lgkmcnt(0)
	v_mul_f64 v[114:115], v[93:94], v[7:8]
	v_mul_f64 v[7:8], v[95:96], v[7:8]
	v_fma_f64 v[65:66], v[65:66], v[11:12], -v[97:98]
	v_mul_f64 v[97:98], v[1:2], v[9:10]
	v_fma_f64 v[13:14], v[67:68], v[11:12], v[13:14]
	s_clause 0x2
	buffer_load_dword v110, off, s[0:3], 0 offset:524
	buffer_load_dword v68, off, s[0:3], 0 offset:500
	;; [unrolled: 1-line block ×3, first 2 shown]
	s_waitcnt vmcnt(57)
	v_fma_f64 v[123:124], v[1:2], v[5:6], -v[112:113]
	ds_read_b128 v[9:12], v70 offset:1248
	s_waitcnt vmcnt(51)
	v_fma_f64 v[93:94], v[93:94], v[29:30], -v[7:8]
	v_fma_f64 v[29:30], v[95:96], v[29:30], v[114:115]
	v_add_f64 v[65:66], v[65:66], 0
	v_fma_f64 v[5:6], v[3:4], v[5:6], v[97:98]
	v_add_f64 v[13:14], v[13:14], 0
	s_clause 0x4
	buffer_load_dword v98, off, s[0:3], 0 offset:540
	buffer_load_dword v113, off, s[0:3], 0 offset:552
	;; [unrolled: 1-line block ×5, first 2 shown]
	s_waitcnt lgkmcnt(0)
	v_mul_f64 v[126:127], v[9:10], v[17:18]
	v_mul_f64 v[17:18], v[11:12], v[17:18]
	ds_read_b128 v[1:4], v70 offset:1264
	s_clause 0x2
	buffer_load_dword v114, off, s[0:3], 0 offset:556
	buffer_load_dword v96, off, s[0:3], 0 offset:532
	;; [unrolled: 1-line block ×3, first 2 shown]
	v_add_f64 v[65:66], v[65:66], v[123:124]
	v_add_f64 v[13:14], v[13:14], v[5:6]
	ds_read_b128 v[5:8], v70 offset:1280
	s_waitcnt vmcnt(58) lgkmcnt(1)
	v_mul_f64 v[115:116], v[1:2], v[21:22]
	v_mul_f64 v[21:22], v[3:4], v[21:22]
	s_waitcnt vmcnt(56)
	v_fma_f64 v[17:18], v[9:10], v[23:24], -v[17:18]
	v_fma_f64 v[23:24], v[11:12], v[23:24], v[126:127]
	v_add_f64 v[65:66], v[65:66], v[93:94]
	s_waitcnt vmcnt(52) lgkmcnt(0)
	v_mul_f64 v[127:128], v[5:6], v[25:26]
	v_add_f64 v[13:14], v[13:14], v[29:30]
	s_clause 0x4
	buffer_load_dword v30, off, s[0:3], 0 offset:572
	buffer_load_dword v93, off, s[0:3], 0 offset:584
	;; [unrolled: 1-line block ×5, first 2 shown]
	v_mul_f64 v[25:26], v[7:8], v[25:26]
	s_waitcnt vmcnt(56)
	v_fma_f64 v[21:22], v[1:2], v[15:16], -v[21:22]
	ds_read_b128 v[9:12], v70 offset:1296
	v_fma_f64 v[15:16], v[3:4], v[15:16], v[115:116]
	v_add_f64 v[17:18], v[65:66], v[17:18]
	v_add_f64 v[13:14], v[13:14], v[23:24]
	s_clause 0x2
	buffer_load_dword v94, off, s[0:3], 0 offset:588
	buffer_load_dword v24, off, s[0:3], 0 offset:564
	buffer_load_dword v23, off, s[0:3], 0 offset:560
	s_waitcnt vmcnt(58) lgkmcnt(0)
	v_mul_f64 v[65:66], v[9:10], v[31:32]
	v_mul_f64 v[31:32], v[11:12], v[31:32]
	s_waitcnt vmcnt(56)
	v_fma_f64 v[25:26], v[5:6], v[33:34], -v[25:26]
	ds_read_b128 v[1:4], v70 offset:1312
	v_add_f64 v[17:18], v[17:18], v[21:22]
	v_fma_f64 v[21:22], v[7:8], v[33:34], v[127:128]
	v_add_f64 v[13:14], v[13:14], v[15:16]
	s_clause 0x4
	buffer_load_dword v16, off, s[0:3], 0 offset:604
	buffer_load_dword v33, off, s[0:3], 0 offset:616
	;; [unrolled: 1-line block ×5, first 2 shown]
	ds_read_b128 v[5:8], v70 offset:1328
	s_waitcnt vmcnt(57) lgkmcnt(1)
	v_mul_f64 v[127:128], v[1:2], v[35:36]
	v_mul_f64 v[35:36], v[3:4], v[35:36]
	s_waitcnt vmcnt(56)
	v_fma_f64 v[31:32], v[9:10], v[19:20], -v[31:32]
	v_fma_f64 v[19:20], v[11:12], v[19:20], v[65:66]
	v_add_f64 v[17:18], v[17:18], v[25:26]
	v_add_f64 v[13:14], v[13:14], v[21:22]
	s_clause 0x2
	buffer_load_dword v34, off, s[0:3], 0 offset:620
	buffer_load_dword v22, off, s[0:3], 0 offset:596
	;; [unrolled: 1-line block ×3, first 2 shown]
	s_waitcnt vmcnt(58) lgkmcnt(0)
	v_mul_f64 v[25:26], v[5:6], v[39:40]
	v_mul_f64 v[39:40], v[7:8], v[39:40]
	s_waitcnt vmcnt(56)
	v_fma_f64 v[35:36], v[1:2], v[41:42], -v[35:36]
	ds_read_b128 v[9:12], v70 offset:1344
	v_add_f64 v[17:18], v[17:18], v[31:32]
	v_fma_f64 v[31:32], v[3:4], v[41:42], v[127:128]
	v_add_f64 v[13:14], v[13:14], v[19:20]
	s_clause 0x4
	buffer_load_dword v20, off, s[0:3], 0 offset:636
	buffer_load_dword v41, off, s[0:3], 0 offset:648
	;; [unrolled: 1-line block ×5, first 2 shown]
	ds_read_b128 v[1:4], v70 offset:1360
	s_waitcnt vmcnt(57) lgkmcnt(1)
	v_mul_f64 v[127:128], v[9:10], v[43:44]
	v_mul_f64 v[43:44], v[11:12], v[43:44]
	s_waitcnt vmcnt(56)
	v_fma_f64 v[39:40], v[5:6], v[27:28], -v[39:40]
	v_fma_f64 v[25:26], v[7:8], v[27:28], v[25:26]
	s_clause 0x2
	buffer_load_dword v42, off, s[0:3], 0 offset:652
	buffer_load_dword v28, off, s[0:3], 0 offset:628
	;; [unrolled: 1-line block ×3, first 2 shown]
	ds_read_b128 v[5:8], v70 offset:1376
	v_add_f64 v[17:18], v[17:18], v[35:36]
	v_add_f64 v[13:14], v[13:14], v[31:32]
	s_waitcnt vmcnt(58) lgkmcnt(1)
	v_mul_f64 v[35:36], v[3:4], v[47:48]
	v_mul_f64 v[31:32], v[1:2], v[47:48]
	s_waitcnt vmcnt(56)
	v_fma_f64 v[43:44], v[9:10], v[49:50], -v[43:44]
	v_add_f64 v[17:18], v[17:18], v[39:40]
	v_fma_f64 v[39:40], v[11:12], v[49:50], v[127:128]
	v_add_f64 v[13:14], v[13:14], v[25:26]
	s_clause 0x4
	buffer_load_dword v26, off, s[0:3], 0 offset:668
	buffer_load_dword v47, off, s[0:3], 0 offset:680
	;; [unrolled: 1-line block ×5, first 2 shown]
	s_waitcnt vmcnt(57) lgkmcnt(0)
	v_mul_f64 v[127:128], v[5:6], v[51:52]
	v_mul_f64 v[50:51], v[7:8], v[51:52]
	s_waitcnt vmcnt(56)
	v_fma_f64 v[35:36], v[1:2], v[37:38], -v[35:36]
	ds_read_b128 v[9:12], v70 offset:1392
	v_fma_f64 v[31:32], v[3:4], v[37:38], v[31:32]
	s_clause 0x2
	buffer_load_dword v48, off, s[0:3], 0 offset:684
	buffer_load_dword v38, off, s[0:3], 0 offset:660
	;; [unrolled: 1-line block ×3, first 2 shown]
	ds_read_b128 v[1:4], v70 offset:1408
	v_add_f64 v[17:18], v[17:18], v[43:44]
	v_add_f64 v[13:14], v[13:14], v[39:40]
	s_waitcnt vmcnt(58) lgkmcnt(1)
	v_mul_f64 v[43:44], v[11:12], v[55:56]
	s_waitcnt vmcnt(56)
	v_fma_f64 v[51:52], v[5:6], v[57:58], -v[50:51]
	v_mul_f64 v[39:40], v[9:10], v[55:56]
	v_add_f64 v[17:18], v[17:18], v[35:36]
	v_fma_f64 v[35:36], v[7:8], v[57:58], v[127:128]
	v_add_f64 v[13:14], v[13:14], v[31:32]
	s_clause 0x4
	buffer_load_dword v32, off, s[0:3], 0 offset:700
	buffer_load_dword v55, off, s[0:3], 0 offset:712
	;; [unrolled: 1-line block ×5, first 2 shown]
	s_waitcnt vmcnt(57) lgkmcnt(0)
	v_mul_f64 v[127:128], v[1:2], v[59:60]
	v_mul_f64 v[58:59], v[3:4], v[59:60]
	s_waitcnt vmcnt(56)
	v_fma_f64 v[43:44], v[9:10], v[45:46], -v[43:44]
	ds_read_b128 v[5:8], v70 offset:1424
	v_fma_f64 v[39:40], v[11:12], v[45:46], v[39:40]
	v_add_f64 v[17:18], v[17:18], v[51:52]
	v_add_f64 v[13:14], v[13:14], v[35:36]
	s_clause 0x2
	buffer_load_dword v56, off, s[0:3], 0 offset:716
	buffer_load_dword v36, off, s[0:3], 0 offset:692
	;; [unrolled: 1-line block ×3, first 2 shown]
	ds_read_b128 v[9:12], v70 offset:1440
	s_waitcnt vmcnt(58) lgkmcnt(1)
	v_mul_f64 v[51:52], v[7:8], v[61:62]
	s_waitcnt vmcnt(56)
	v_fma_f64 v[59:60], v[1:2], v[63:64], -v[58:59]
	v_mul_f64 v[45:46], v[5:6], v[61:62]
	v_add_f64 v[17:18], v[17:18], v[43:44]
	v_fma_f64 v[43:44], v[3:4], v[63:64], v[127:128]
	v_add_f64 v[13:14], v[13:14], v[39:40]
	s_clause 0x4
	buffer_load_dword v40, off, s[0:3], 0 offset:732
	buffer_load_dword v61, off, s[0:3], 0 offset:744
	;; [unrolled: 1-line block ×5, first 2 shown]
	s_waitcnt vmcnt(57) lgkmcnt(0)
	v_mul_f64 v[127:128], v[9:10], v[99:100]
	v_mul_f64 v[99:100], v[11:12], v[99:100]
	s_waitcnt vmcnt(56)
	v_fma_f64 v[51:52], v[5:6], v[53:54], -v[51:52]
	ds_read_b128 v[1:4], v70 offset:1456
	v_fma_f64 v[45:46], v[7:8], v[53:54], v[45:46]
	v_add_f64 v[17:18], v[17:18], v[59:60]
	v_add_f64 v[13:14], v[13:14], v[43:44]
	s_clause 0x2
	buffer_load_dword v62, off, s[0:3], 0 offset:748
	buffer_load_dword v44, off, s[0:3], 0 offset:724
	;; [unrolled: 1-line block ×3, first 2 shown]
	ds_read_b128 v[5:8], v70 offset:1472
	s_waitcnt vmcnt(58) lgkmcnt(1)
	v_mul_f64 v[59:60], v[3:4], v[109:110]
	v_mul_f64 v[53:54], v[1:2], v[109:110]
	s_waitcnt vmcnt(56)
	v_fma_f64 v[99:100], v[9:10], v[67:68], -v[99:100]
	v_add_f64 v[17:18], v[17:18], v[51:52]
	v_fma_f64 v[51:52], v[11:12], v[67:68], v[127:128]
	v_add_f64 v[13:14], v[13:14], v[45:46]
	s_clause 0x4
	buffer_load_dword v46, off, s[0:3], 0 offset:764
	buffer_load_dword v67, off, s[0:3], 0 offset:776
	;; [unrolled: 1-line block ×5, first 2 shown]
	ds_read_b128 v[9:12], v70 offset:1488
	s_waitcnt vmcnt(57) lgkmcnt(1)
	v_mul_f64 v[127:128], v[5:6], v[97:98]
	v_mul_f64 v[97:98], v[7:8], v[97:98]
	s_waitcnt vmcnt(56)
	v_fma_f64 v[59:60], v[1:2], v[111:112], -v[59:60]
	v_fma_f64 v[53:54], v[3:4], v[111:112], v[53:54]
	v_add_f64 v[17:18], v[17:18], v[99:100]
	v_add_f64 v[13:14], v[13:14], v[51:52]
	s_clause 0x2
	buffer_load_dword v68, off, s[0:3], 0 offset:780
	buffer_load_dword v52, off, s[0:3], 0 offset:756
	buffer_load_dword v51, off, s[0:3], 0 offset:752
	s_waitcnt vmcnt(58) lgkmcnt(0)
	v_mul_f64 v[111:112], v[11:12], v[113:114]
	ds_read_b128 v[1:4], v70 offset:1504
	v_mul_f64 v[99:100], v[9:10], v[113:114]
	s_waitcnt vmcnt(56)
	v_fma_f64 v[97:98], v[5:6], v[95:96], -v[97:98]
	v_add_f64 v[17:18], v[17:18], v[59:60]
	v_fma_f64 v[59:60], v[7:8], v[95:96], v[127:128]
	v_add_f64 v[13:14], v[13:14], v[53:54]
	s_clause 0x4
	buffer_load_dword v54, off, s[0:3], 0 offset:796
	buffer_load_dword v95, off, s[0:3], 0 offset:808
	;; [unrolled: 1-line block ×5, first 2 shown]
	ds_read_b128 v[5:8], v70 offset:1520
	s_waitcnt vmcnt(57) lgkmcnt(1)
	v_mul_f64 v[127:128], v[1:2], v[29:30]
	v_mul_f64 v[29:30], v[3:4], v[29:30]
	s_waitcnt vmcnt(56)
	v_fma_f64 v[111:112], v[9:10], v[125:126], -v[111:112]
	v_add_f64 v[17:18], v[17:18], v[97:98]
	v_fma_f64 v[97:98], v[11:12], v[125:126], v[99:100]
	v_add_f64 v[13:14], v[13:14], v[59:60]
	s_clause 0x2
	buffer_load_dword v96, off, s[0:3], 0 offset:812
	buffer_load_dword v60, off, s[0:3], 0 offset:788
	;; [unrolled: 1-line block ×3, first 2 shown]
	ds_read_b128 v[9:12], v70 offset:1536
	s_waitcnt vmcnt(58) lgkmcnt(1)
	v_mul_f64 v[99:100], v[5:6], v[93:94]
	v_mul_f64 v[93:94], v[7:8], v[93:94]
	s_waitcnt vmcnt(56)
	v_fma_f64 v[29:30], v[1:2], v[23:24], -v[29:30]
	v_fma_f64 v[23:24], v[3:4], v[23:24], v[127:128]
	v_add_f64 v[17:18], v[17:18], v[111:112]
	v_add_f64 v[13:14], v[13:14], v[97:98]
	s_clause 0x4
	buffer_load_dword v98, off, s[0:3], 0 offset:828
	buffer_load_dword v111, off, s[0:3], 0 offset:840
	;; [unrolled: 1-line block ×5, first 2 shown]
	ds_read_b128 v[1:4], v70 offset:1552
	s_waitcnt vmcnt(57) lgkmcnt(1)
	v_mul_f64 v[126:127], v[9:10], v[15:16]
	v_mul_f64 v[15:16], v[11:12], v[15:16]
	s_waitcnt vmcnt(56)
	v_fma_f64 v[93:94], v[5:6], v[123:124], -v[93:94]
	v_add_f64 v[17:18], v[17:18], v[29:30]
	v_fma_f64 v[29:30], v[7:8], v[123:124], v[99:100]
	v_add_f64 v[13:14], v[13:14], v[23:24]
	s_clause 0x2
	buffer_load_dword v112, off, s[0:3], 0 offset:844
	buffer_load_dword v24, off, s[0:3], 0 offset:820
	;; [unrolled: 1-line block ×3, first 2 shown]
	ds_read_b128 v[5:8], v70 offset:1568
	s_waitcnt vmcnt(58) lgkmcnt(1)
	v_mul_f64 v[99:100], v[1:2], v[33:34]
	v_mul_f64 v[33:34], v[3:4], v[33:34]
	s_waitcnt vmcnt(56)
	v_fma_f64 v[15:16], v[9:10], v[21:22], -v[15:16]
	v_fma_f64 v[21:22], v[11:12], v[21:22], v[126:127]
	v_add_f64 v[17:18], v[17:18], v[93:94]
	v_add_f64 v[13:14], v[13:14], v[29:30]
	s_clause 0x4
	buffer_load_dword v30, off, s[0:3], 0 offset:860
	buffer_load_dword v93, off, s[0:3], 0 offset:872
	;; [unrolled: 1-line block ×5, first 2 shown]
	ds_read_b128 v[9:12], v70 offset:1584
	s_waitcnt vmcnt(57) lgkmcnt(1)
	v_mul_f64 v[127:128], v[5:6], v[19:20]
	v_mul_f64 v[19:20], v[7:8], v[19:20]
	s_waitcnt vmcnt(56)
	v_fma_f64 v[33:34], v[1:2], v[115:116], -v[33:34]
	v_add_f64 v[15:16], v[17:18], v[15:16]
	v_fma_f64 v[17:18], v[3:4], v[115:116], v[99:100]
	v_add_f64 v[13:14], v[13:14], v[21:22]
	s_clause 0x2
	buffer_load_dword v94, off, s[0:3], 0 offset:876
	buffer_load_dword v22, off, s[0:3], 0 offset:852
	;; [unrolled: 1-line block ×3, first 2 shown]
	s_waitcnt vmcnt(58) lgkmcnt(0)
	v_mul_f64 v[99:100], v[9:10], v[41:42]
	v_mul_f64 v[41:42], v[11:12], v[41:42]
	ds_read_b128 v[1:4], v70 offset:1600
	s_waitcnt vmcnt(56)
	v_fma_f64 v[19:20], v[5:6], v[27:28], -v[19:20]
	v_fma_f64 v[27:28], v[7:8], v[27:28], v[127:128]
	v_add_f64 v[15:16], v[15:16], v[33:34]
	v_add_f64 v[13:14], v[13:14], v[17:18]
	s_clause 0x4
	buffer_load_dword v18, off, s[0:3], 0 offset:892
	buffer_load_dword v33, off, s[0:3], 0 offset:904
	buffer_load_dword v115, off, s[0:3], 0 offset:896
	buffer_load_dword v17, off, s[0:3], 0 offset:888
	buffer_load_dword v124, off, s[0:3], 0 offset:868
	ds_read_b128 v[5:8], v70 offset:1616
	s_waitcnt vmcnt(57) lgkmcnt(1)
	v_mul_f64 v[127:128], v[1:2], v[25:26]
	v_mul_f64 v[25:26], v[3:4], v[25:26]
	s_waitcnt vmcnt(56)
	v_fma_f64 v[41:42], v[9:10], v[65:66], -v[41:42]
	v_add_f64 v[15:16], v[15:16], v[19:20]
	v_fma_f64 v[19:20], v[11:12], v[65:66], v[99:100]
	v_add_f64 v[13:14], v[13:14], v[27:28]
	s_clause 0x2
	buffer_load_dword v34, off, s[0:3], 0 offset:908
	buffer_load_dword v28, off, s[0:3], 0 offset:884
	;; [unrolled: 1-line block ×3, first 2 shown]
	s_waitcnt vmcnt(58) lgkmcnt(0)
	v_mul_f64 v[65:66], v[5:6], v[47:48]
	v_mul_f64 v[47:48], v[7:8], v[47:48]
	ds_read_b128 v[9:12], v70 offset:1632
	s_waitcnt vmcnt(56)
	v_fma_f64 v[25:26], v[1:2], v[37:38], -v[25:26]
	v_fma_f64 v[37:38], v[3:4], v[37:38], v[127:128]
	v_add_f64 v[15:16], v[15:16], v[41:42]
	v_add_f64 v[13:14], v[13:14], v[19:20]
	s_clause 0x4
	buffer_load_dword v20, off, s[0:3], 0 offset:924
	buffer_load_dword v41, off, s[0:3], 0 offset:936
	buffer_load_dword v99, off, s[0:3], 0 offset:928
	buffer_load_dword v19, off, s[0:3], 0 offset:920
	buffer_load_dword v116, off, s[0:3], 0 offset:900
	ds_read_b128 v[1:4], v70 offset:1648
	s_waitcnt vmcnt(57) lgkmcnt(1)
	v_mul_f64 v[127:128], v[9:10], v[31:32]
	v_mul_f64 v[31:32], v[11:12], v[31:32]
	s_waitcnt vmcnt(56)
	v_fma_f64 v[47:48], v[5:6], v[49:50], -v[47:48]
	v_add_f64 v[15:16], v[15:16], v[25:26]
	v_fma_f64 v[25:26], v[7:8], v[49:50], v[65:66]
	v_add_f64 v[13:14], v[13:14], v[37:38]
	s_clause 0x2
	buffer_load_dword v42, off, s[0:3], 0 offset:940
	buffer_load_dword v38, off, s[0:3], 0 offset:916
	;; [unrolled: 1-line block ×3, first 2 shown]
	ds_read_b128 v[5:8], v70 offset:1664
	s_waitcnt vmcnt(58) lgkmcnt(1)
	v_mul_f64 v[49:50], v[1:2], v[55:56]
	v_mul_f64 v[55:56], v[3:4], v[55:56]
	s_waitcnt vmcnt(56)
	v_fma_f64 v[31:32], v[9:10], v[35:36], -v[31:32]
	v_fma_f64 v[35:36], v[11:12], v[35:36], v[127:128]
	v_add_f64 v[15:16], v[15:16], v[47:48]
	v_add_f64 v[13:14], v[13:14], v[25:26]
	s_clause 0x4
	buffer_load_dword v26, off, s[0:3], 0 offset:956
	buffer_load_dword v47, off, s[0:3], 0 offset:968
	;; [unrolled: 1-line block ×5, first 2 shown]
	ds_read_b128 v[9:12], v70 offset:1680
	s_waitcnt vmcnt(57) lgkmcnt(1)
	v_mul_f64 v[127:128], v[5:6], v[39:40]
	v_mul_f64 v[39:40], v[7:8], v[39:40]
	s_waitcnt vmcnt(56)
	v_fma_f64 v[55:56], v[1:2], v[57:58], -v[55:56]
	v_add_f64 v[15:16], v[15:16], v[31:32]
	v_fma_f64 v[31:32], v[3:4], v[57:58], v[49:50]
	v_add_f64 v[13:14], v[13:14], v[35:36]
	s_clause 0x2
	buffer_load_dword v48, off, s[0:3], 0 offset:972
	buffer_load_dword v36, off, s[0:3], 0 offset:948
	buffer_load_dword v35, off, s[0:3], 0 offset:944
	ds_read_b128 v[1:4], v70 offset:1696
	buffer_load_dword v66, off, s[0:3], 0 offset:964
	s_waitcnt vmcnt(59) lgkmcnt(1)
	v_mul_f64 v[57:58], v[11:12], v[61:62]
	v_mul_f64 v[49:50], v[9:10], v[61:62]
	s_waitcnt vmcnt(57)
	v_fma_f64 v[39:40], v[5:6], v[43:44], -v[39:40]
	v_fma_f64 v[43:44], v[7:8], v[43:44], v[127:128]
	ds_read_b128 v[5:8], v70 offset:1712
	v_add_f64 v[15:16], v[15:16], v[55:56]
	v_add_f64 v[13:14], v[13:14], v[31:32]
	s_waitcnt vmcnt(53) lgkmcnt(1)
	v_mul_f64 v[31:32], v[1:2], v[45:46]
	v_mul_f64 v[45:46], v[3:4], v[45:46]
	s_waitcnt vmcnt(52)
	v_fma_f64 v[55:56], v[9:10], v[63:64], -v[57:58]
	v_add_f64 v[15:16], v[15:16], v[39:40]
	v_fma_f64 v[39:40], v[11:12], v[63:64], v[49:50]
	v_add_f64 v[13:14], v[13:14], v[43:44]
	ds_read_b128 v[9:12], v70 offset:1728
	s_waitcnt vmcnt(51) lgkmcnt(1)
	v_mul_f64 v[49:50], v[7:8], v[67:68]
	v_mul_f64 v[43:44], v[5:6], v[67:68]
	s_waitcnt vmcnt(49)
	v_fma_f64 v[45:46], v[1:2], v[51:52], -v[45:46]
	v_fma_f64 v[31:32], v[3:4], v[51:52], v[31:32]
	v_add_f64 v[15:16], v[15:16], v[55:56]
	v_add_f64 v[13:14], v[13:14], v[39:40]
	s_clause 0x3
	buffer_load_dword v39, off, s[0:3], 0 offset:240
	buffer_load_dword v40, off, s[0:3], 0 offset:244
	;; [unrolled: 1-line block ×4, first 2 shown]
	ds_read_b128 v[1:4], v70 offset:1744
	s_waitcnt vmcnt(49) lgkmcnt(1)
	v_mul_f64 v[55:56], v[9:10], v[53:54]
	v_mul_f64 v[53:54], v[11:12], v[53:54]
	s_waitcnt vmcnt(48)
	v_fma_f64 v[49:50], v[5:6], v[109:110], -v[49:50]
	v_fma_f64 v[43:44], v[7:8], v[109:110], v[43:44]
	ds_read_b128 v[5:8], v70 offset:1760
	v_add_f64 v[15:16], v[15:16], v[45:46]
	v_add_f64 v[13:14], v[13:14], v[31:32]
	s_waitcnt vmcnt(47) lgkmcnt(1)
	v_mul_f64 v[45:46], v[3:4], v[95:96]
	v_mul_f64 v[31:32], v[1:2], v[95:96]
	s_waitcnt vmcnt(45)
	v_fma_f64 v[53:54], v[9:10], v[59:60], -v[53:54]
	v_add_f64 v[15:16], v[15:16], v[49:50]
	v_fma_f64 v[49:50], v[11:12], v[59:60], v[55:56]
	v_add_f64 v[13:14], v[13:14], v[43:44]
	ds_read_b128 v[9:12], v70 offset:1776
	s_waitcnt vmcnt(41) lgkmcnt(1)
	v_mul_f64 v[55:56], v[7:8], v[97:98]
	s_waitcnt vmcnt(40)
	v_fma_f64 v[45:46], v[1:2], v[113:114], -v[45:46]
	v_mul_f64 v[43:44], v[5:6], v[97:98]
	v_fma_f64 v[31:32], v[3:4], v[113:114], v[31:32]
	ds_read_b128 v[1:4], v70 offset:1792
	v_add_f64 v[15:16], v[15:16], v[53:54]
	v_add_f64 v[13:14], v[13:14], v[49:50]
	s_waitcnt vmcnt(39) lgkmcnt(1)
	v_mul_f64 v[53:54], v[11:12], v[111:112]
	v_mul_f64 v[49:50], v[9:10], v[111:112]
	s_waitcnt vmcnt(37)
	v_fma_f64 v[55:56], v[5:6], v[23:24], -v[55:56]
	v_fma_f64 v[23:24], v[7:8], v[23:24], v[43:44]
	ds_read_b128 v[5:8], v70 offset:1808
	v_add_f64 v[15:16], v[15:16], v[45:46]
	v_add_f64 v[13:14], v[13:14], v[31:32]
	s_waitcnt vmcnt(33) lgkmcnt(1)
	v_mul_f64 v[31:32], v[1:2], v[29:30]
	v_mul_f64 v[29:30], v[3:4], v[29:30]
	s_waitcnt vmcnt(32)
	v_fma_f64 v[43:44], v[9:10], v[125:126], -v[53:54]
	;; [unrolled: 9-line block ×6, first 2 shown]
	v_add_f64 v[15:16], v[15:16], v[17:18]
	v_fma_f64 v[17:18], v[3:4], v[115:116], v[21:22]
	v_add_f64 v[13:14], v[13:14], v[27:28]
	ds_read_b128 v[1:4], v70 offset:1888
	s_waitcnt vmcnt(15) lgkmcnt(1)
	v_mul_f64 v[27:28], v[11:12], v[41:42]
	v_mul_f64 v[21:22], v[9:10], v[41:42]
	s_waitcnt vmcnt(13)
	v_fma_f64 v[19:20], v[5:6], v[37:38], -v[19:20]
	v_fma_f64 v[23:24], v[7:8], v[37:38], v[23:24]
	ds_read_b128 v[5:8], v70 offset:1904
	v_add_f64 v[15:16], v[15:16], v[29:30]
	v_add_f64 v[13:14], v[13:14], v[17:18]
	s_waitcnt vmcnt(9) lgkmcnt(1)
	v_mul_f64 v[17:18], v[1:2], v[25:26]
	v_mul_f64 v[25:26], v[3:4], v[25:26]
	s_waitcnt vmcnt(8)
	v_fma_f64 v[9:10], v[9:10], v[99:100], -v[27:28]
	v_fma_f64 v[11:12], v[11:12], v[99:100], v[21:22]
	v_add_f64 v[15:16], v[15:16], v[19:20]
	v_add_f64 v[13:14], v[13:14], v[23:24]
	s_waitcnt vmcnt(7) lgkmcnt(0)
	v_mul_f64 v[21:22], v[7:8], v[47:48]
	v_mul_f64 v[19:20], v[5:6], v[47:48]
	s_waitcnt vmcnt(5)
	v_fma_f64 v[1:2], v[1:2], v[35:36], -v[25:26]
	v_fma_f64 v[3:4], v[3:4], v[35:36], v[17:18]
	v_add_f64 v[9:10], v[15:16], v[9:10]
	v_add_f64 v[11:12], v[13:14], v[11:12]
	s_waitcnt vmcnt(4)
	v_fma_f64 v[5:6], v[5:6], v[65:66], -v[21:22]
	v_fma_f64 v[7:8], v[7:8], v[65:66], v[19:20]
	v_add_f64 v[1:2], v[9:10], v[1:2]
	v_add_f64 v[3:4], v[11:12], v[3:4]
	v_add_f64 v[1:2], v[1:2], v[5:6]
	v_add_f64 v[3:4], v[3:4], v[7:8]
	s_waitcnt vmcnt(2)
	v_add_f64 v[1:2], v[39:40], -v[1:2]
	s_waitcnt vmcnt(0)
	v_add_f64 v[3:4], v[51:52], -v[3:4]
	buffer_store_dword v2, off, s[0:3], 0 offset:244
	buffer_store_dword v1, off, s[0:3], 0 offset:240
	;; [unrolled: 1-line block ×4, first 2 shown]
	v_cmpx_lt_u32_e32 13, v0
	s_cbranch_execz .LBB59_347
; %bb.346:
	v_mov_b32_e32 v4, s54
	s_clause 0x3
	buffer_load_dword v1, v4, s[0:3], 0 offen
	buffer_load_dword v2, v4, s[0:3], 0 offen offset:4
	buffer_load_dword v3, v4, s[0:3], 0 offen offset:8
	;; [unrolled: 1-line block ×3, first 2 shown]
	buffer_store_dword v70, off, s[0:3], 0 offset:224
	buffer_store_dword v70, off, s[0:3], 0 offset:228
	;; [unrolled: 1-line block ×4, first 2 shown]
	s_waitcnt vmcnt(0)
	ds_write_b128 v69, v[1:4]
.LBB59_347:
	s_or_b32 exec_lo, exec_lo, s4
	s_waitcnt lgkmcnt(0)
	s_waitcnt_vscnt null, 0x0
	s_barrier
	buffer_gl0_inv
	s_clause 0x37
	buffer_load_dword v17, off, s[0:3], 0 offset:248
	buffer_load_dword v18, off, s[0:3], 0 offset:252
	;; [unrolled: 1-line block ×56, first 2 shown]
	ds_read_b128 v[5:8], v70 offset:1184
	s_clause 0x2
	buffer_load_dword v66, off, s[0:3], 0 offset:476
	buffer_load_dword v68, off, s[0:3], 0 offset:452
	;; [unrolled: 1-line block ×3, first 2 shown]
	ds_read_b128 v[1:4], v70 offset:1200
	s_clause 0x4
	buffer_load_dword v100, off, s[0:3], 0 offset:492
	buffer_load_dword v109, off, s[0:3], 0 offset:504
	;; [unrolled: 1-line block ×5, first 2 shown]
	ds_read_b128 v[93:96], v70 offset:1216
	s_mov_b32 s4, exec_lo
	s_waitcnt vmcnt(62) lgkmcnt(2)
	v_mul_f64 v[97:98], v[7:8], v[17:18]
	v_mul_f64 v[17:18], v[5:6], v[17:18]
	s_waitcnt vmcnt(60) lgkmcnt(1)
	v_mul_f64 v[112:113], v[3:4], v[13:14]
	v_mul_f64 v[13:14], v[1:2], v[13:14]
	;; [unrolled: 3-line block ×3, first 2 shown]
	v_fma_f64 v[97:98], v[5:6], v[15:16], -v[97:98]
	v_fma_f64 v[15:16], v[7:8], v[15:16], v[17:18]
	s_clause 0x2
	buffer_load_dword v110, off, s[0:3], 0 offset:508
	buffer_load_dword v18, off, s[0:3], 0 offset:484
	;; [unrolled: 1-line block ×3, first 2 shown]
	s_waitcnt vmcnt(57)
	v_fma_f64 v[123:124], v[1:2], v[9:10], -v[112:113]
	ds_read_b128 v[5:8], v70 offset:1232
	v_fma_f64 v[9:10], v[3:4], v[9:10], v[13:14]
	s_waitcnt vmcnt(51)
	v_fma_f64 v[93:94], v[93:94], v[33:34], -v[11:12]
	v_fma_f64 v[33:34], v[95:96], v[33:34], v[114:115]
	v_add_f64 v[97:98], v[97:98], 0
	v_add_f64 v[13:14], v[15:16], 0
	s_clause 0x4
	buffer_load_dword v16, off, s[0:3], 0 offset:524
	buffer_load_dword v113, off, s[0:3], 0 offset:536
	;; [unrolled: 1-line block ×5, first 2 shown]
	s_waitcnt lgkmcnt(0)
	v_mul_f64 v[126:127], v[5:6], v[21:22]
	v_mul_f64 v[21:22], v[7:8], v[21:22]
	ds_read_b128 v[1:4], v70 offset:1248
	s_clause 0x2
	buffer_load_dword v114, off, s[0:3], 0 offset:540
	buffer_load_dword v96, off, s[0:3], 0 offset:516
	;; [unrolled: 1-line block ×3, first 2 shown]
	v_add_f64 v[97:98], v[97:98], v[123:124]
	v_add_f64 v[13:14], v[13:14], v[9:10]
	ds_read_b128 v[9:12], v70 offset:1264
	s_waitcnt vmcnt(58) lgkmcnt(1)
	v_mul_f64 v[115:116], v[1:2], v[25:26]
	v_mul_f64 v[25:26], v[3:4], v[25:26]
	s_waitcnt vmcnt(56)
	v_fma_f64 v[21:22], v[5:6], v[27:28], -v[21:22]
	v_fma_f64 v[27:28], v[7:8], v[27:28], v[126:127]
	s_waitcnt vmcnt(52) lgkmcnt(0)
	v_mul_f64 v[127:128], v[9:10], v[29:30]
	v_add_f64 v[93:94], v[97:98], v[93:94]
	v_add_f64 v[13:14], v[13:14], v[33:34]
	s_clause 0x4
	buffer_load_dword v34, off, s[0:3], 0 offset:556
	buffer_load_dword v97, off, s[0:3], 0 offset:568
	;; [unrolled: 1-line block ×5, first 2 shown]
	v_mul_f64 v[29:30], v[11:12], v[29:30]
	s_waitcnt vmcnt(56)
	v_fma_f64 v[25:26], v[1:2], v[19:20], -v[25:26]
	ds_read_b128 v[5:8], v70 offset:1280
	v_fma_f64 v[19:20], v[3:4], v[19:20], v[115:116]
	v_add_f64 v[21:22], v[93:94], v[21:22]
	v_add_f64 v[13:14], v[13:14], v[27:28]
	s_clause 0x2
	buffer_load_dword v98, off, s[0:3], 0 offset:572
	buffer_load_dword v28, off, s[0:3], 0 offset:548
	buffer_load_dword v27, off, s[0:3], 0 offset:544
	s_waitcnt vmcnt(58) lgkmcnt(0)
	v_mul_f64 v[93:94], v[5:6], v[35:36]
	v_mul_f64 v[35:36], v[7:8], v[35:36]
	s_waitcnt vmcnt(56)
	v_fma_f64 v[29:30], v[9:10], v[37:38], -v[29:30]
	ds_read_b128 v[1:4], v70 offset:1296
	v_add_f64 v[21:22], v[21:22], v[25:26]
	v_fma_f64 v[25:26], v[11:12], v[37:38], v[127:128]
	v_add_f64 v[13:14], v[13:14], v[19:20]
	s_clause 0x4
	buffer_load_dword v20, off, s[0:3], 0 offset:588
	buffer_load_dword v37, off, s[0:3], 0 offset:600
	;; [unrolled: 1-line block ×5, first 2 shown]
	s_waitcnt vmcnt(57) lgkmcnt(0)
	v_mul_f64 v[127:128], v[1:2], v[39:40]
	v_mul_f64 v[39:40], v[3:4], v[39:40]
	s_waitcnt vmcnt(56)
	v_fma_f64 v[35:36], v[5:6], v[23:24], -v[35:36]
	ds_read_b128 v[9:12], v70 offset:1312
	v_fma_f64 v[23:24], v[7:8], v[23:24], v[93:94]
	v_add_f64 v[21:22], v[21:22], v[29:30]
	v_add_f64 v[13:14], v[13:14], v[25:26]
	s_clause 0x2
	buffer_load_dword v38, off, s[0:3], 0 offset:604
	buffer_load_dword v26, off, s[0:3], 0 offset:580
	;; [unrolled: 1-line block ×3, first 2 shown]
	ds_read_b128 v[5:8], v70 offset:1328
	s_waitcnt vmcnt(58) lgkmcnt(1)
	v_mul_f64 v[29:30], v[9:10], v[43:44]
	v_mul_f64 v[43:44], v[11:12], v[43:44]
	s_waitcnt vmcnt(56)
	v_fma_f64 v[39:40], v[1:2], v[45:46], -v[39:40]
	v_add_f64 v[21:22], v[21:22], v[35:36]
	v_fma_f64 v[35:36], v[3:4], v[45:46], v[127:128]
	v_add_f64 v[13:14], v[13:14], v[23:24]
	s_clause 0x4
	buffer_load_dword v24, off, s[0:3], 0 offset:620
	buffer_load_dword v45, off, s[0:3], 0 offset:632
	;; [unrolled: 1-line block ×5, first 2 shown]
	s_waitcnt vmcnt(57) lgkmcnt(0)
	v_mul_f64 v[127:128], v[5:6], v[47:48]
	v_mul_f64 v[47:48], v[7:8], v[47:48]
	s_waitcnt vmcnt(56)
	v_fma_f64 v[43:44], v[9:10], v[31:32], -v[43:44]
	ds_read_b128 v[1:4], v70 offset:1344
	v_fma_f64 v[29:30], v[11:12], v[31:32], v[29:30]
	s_clause 0x2
	buffer_load_dword v46, off, s[0:3], 0 offset:636
	buffer_load_dword v32, off, s[0:3], 0 offset:612
	buffer_load_dword v31, off, s[0:3], 0 offset:608
	ds_read_b128 v[9:12], v70 offset:1360
	v_add_f64 v[21:22], v[21:22], v[39:40]
	v_add_f64 v[13:14], v[13:14], v[35:36]
	s_waitcnt vmcnt(58) lgkmcnt(1)
	v_mul_f64 v[39:40], v[3:4], v[51:52]
	s_waitcnt vmcnt(56)
	v_fma_f64 v[47:48], v[5:6], v[53:54], -v[47:48]
	v_mul_f64 v[35:36], v[1:2], v[51:52]
	v_add_f64 v[21:22], v[21:22], v[43:44]
	v_fma_f64 v[43:44], v[7:8], v[53:54], v[127:128]
	v_add_f64 v[13:14], v[13:14], v[29:30]
	s_clause 0x4
	buffer_load_dword v30, off, s[0:3], 0 offset:652
	buffer_load_dword v51, off, s[0:3], 0 offset:664
	;; [unrolled: 1-line block ×5, first 2 shown]
	s_waitcnt vmcnt(57) lgkmcnt(0)
	v_mul_f64 v[127:128], v[9:10], v[55:56]
	v_mul_f64 v[54:55], v[11:12], v[55:56]
	s_waitcnt vmcnt(56)
	v_fma_f64 v[39:40], v[1:2], v[41:42], -v[39:40]
	ds_read_b128 v[5:8], v70 offset:1376
	v_fma_f64 v[35:36], v[3:4], v[41:42], v[35:36]
	s_clause 0x2
	buffer_load_dword v52, off, s[0:3], 0 offset:668
	buffer_load_dword v42, off, s[0:3], 0 offset:644
	;; [unrolled: 1-line block ×3, first 2 shown]
	ds_read_b128 v[1:4], v70 offset:1392
	v_add_f64 v[21:22], v[21:22], v[47:48]
	v_add_f64 v[13:14], v[13:14], v[43:44]
	s_waitcnt vmcnt(58) lgkmcnt(1)
	v_mul_f64 v[47:48], v[7:8], v[59:60]
	s_waitcnt vmcnt(56)
	v_fma_f64 v[55:56], v[9:10], v[61:62], -v[54:55]
	v_mul_f64 v[43:44], v[5:6], v[59:60]
	v_add_f64 v[21:22], v[21:22], v[39:40]
	v_fma_f64 v[39:40], v[11:12], v[61:62], v[127:128]
	v_add_f64 v[13:14], v[13:14], v[35:36]
	s_clause 0x4
	buffer_load_dword v36, off, s[0:3], 0 offset:684
	buffer_load_dword v59, off, s[0:3], 0 offset:696
	;; [unrolled: 1-line block ×5, first 2 shown]
	s_waitcnt vmcnt(57) lgkmcnt(0)
	v_mul_f64 v[127:128], v[1:2], v[63:64]
	v_mul_f64 v[62:63], v[3:4], v[63:64]
	s_waitcnt vmcnt(56)
	v_fma_f64 v[47:48], v[5:6], v[49:50], -v[47:48]
	ds_read_b128 v[9:12], v70 offset:1408
	v_fma_f64 v[43:44], v[7:8], v[49:50], v[43:44]
	v_add_f64 v[21:22], v[21:22], v[55:56]
	v_add_f64 v[13:14], v[13:14], v[39:40]
	s_clause 0x2
	buffer_load_dword v60, off, s[0:3], 0 offset:700
	buffer_load_dword v40, off, s[0:3], 0 offset:676
	;; [unrolled: 1-line block ×3, first 2 shown]
	ds_read_b128 v[5:8], v70 offset:1424
	s_waitcnt vmcnt(58) lgkmcnt(1)
	v_mul_f64 v[55:56], v[11:12], v[65:66]
	s_waitcnt vmcnt(56)
	v_fma_f64 v[63:64], v[1:2], v[67:68], -v[62:63]
	v_mul_f64 v[49:50], v[9:10], v[65:66]
	v_add_f64 v[21:22], v[21:22], v[47:48]
	v_fma_f64 v[47:48], v[3:4], v[67:68], v[127:128]
	v_add_f64 v[13:14], v[13:14], v[43:44]
	s_clause 0x4
	buffer_load_dword v44, off, s[0:3], 0 offset:716
	buffer_load_dword v65, off, s[0:3], 0 offset:728
	;; [unrolled: 1-line block ×5, first 2 shown]
	s_waitcnt vmcnt(57) lgkmcnt(0)
	v_mul_f64 v[127:128], v[5:6], v[99:100]
	v_mul_f64 v[99:100], v[7:8], v[99:100]
	s_waitcnt vmcnt(56)
	v_fma_f64 v[55:56], v[9:10], v[57:58], -v[55:56]
	ds_read_b128 v[1:4], v70 offset:1440
	v_fma_f64 v[49:50], v[11:12], v[57:58], v[49:50]
	v_add_f64 v[21:22], v[21:22], v[63:64]
	v_add_f64 v[13:14], v[13:14], v[47:48]
	s_clause 0x2
	buffer_load_dword v66, off, s[0:3], 0 offset:732
	buffer_load_dword v48, off, s[0:3], 0 offset:708
	buffer_load_dword v47, off, s[0:3], 0 offset:704
	ds_read_b128 v[9:12], v70 offset:1456
	s_waitcnt vmcnt(58) lgkmcnt(1)
	v_mul_f64 v[63:64], v[3:4], v[109:110]
	v_mul_f64 v[57:58], v[1:2], v[109:110]
	s_waitcnt vmcnt(56)
	v_fma_f64 v[99:100], v[5:6], v[17:18], -v[99:100]
	v_fma_f64 v[17:18], v[7:8], v[17:18], v[127:128]
	v_add_f64 v[21:22], v[21:22], v[55:56]
	v_add_f64 v[13:14], v[13:14], v[49:50]
	s_clause 0x4
	buffer_load_dword v50, off, s[0:3], 0 offset:748
	buffer_load_dword v55, off, s[0:3], 0 offset:760
	;; [unrolled: 1-line block ×5, first 2 shown]
	ds_read_b128 v[5:8], v70 offset:1472
	s_waitcnt vmcnt(57) lgkmcnt(1)
	v_mul_f64 v[127:128], v[9:10], v[15:16]
	v_mul_f64 v[15:16], v[11:12], v[15:16]
	s_waitcnt vmcnt(56)
	v_fma_f64 v[63:64], v[1:2], v[111:112], -v[63:64]
	v_fma_f64 v[57:58], v[3:4], v[111:112], v[57:58]
	v_add_f64 v[21:22], v[21:22], v[99:100]
	v_add_f64 v[13:14], v[13:14], v[17:18]
	s_clause 0x2
	buffer_load_dword v56, off, s[0:3], 0 offset:764
	buffer_load_dword v18, off, s[0:3], 0 offset:740
	buffer_load_dword v17, off, s[0:3], 0 offset:736
	s_waitcnt vmcnt(58) lgkmcnt(0)
	v_mul_f64 v[111:112], v[7:8], v[113:114]
	ds_read_b128 v[1:4], v70 offset:1488
	v_mul_f64 v[99:100], v[5:6], v[113:114]
	s_waitcnt vmcnt(56)
	v_fma_f64 v[15:16], v[9:10], v[95:96], -v[15:16]
	v_add_f64 v[21:22], v[21:22], v[63:64]
	v_fma_f64 v[63:64], v[11:12], v[95:96], v[127:128]
	v_add_f64 v[13:14], v[13:14], v[57:58]
	s_clause 0x4
	buffer_load_dword v58, off, s[0:3], 0 offset:780
	buffer_load_dword v95, off, s[0:3], 0 offset:792
	;; [unrolled: 1-line block ×5, first 2 shown]
	ds_read_b128 v[9:12], v70 offset:1504
	s_waitcnt vmcnt(57) lgkmcnt(1)
	v_mul_f64 v[127:128], v[1:2], v[33:34]
	v_mul_f64 v[33:34], v[3:4], v[33:34]
	s_waitcnt vmcnt(56)
	v_fma_f64 v[111:112], v[5:6], v[125:126], -v[111:112]
	v_add_f64 v[15:16], v[21:22], v[15:16]
	v_fma_f64 v[21:22], v[7:8], v[125:126], v[99:100]
	v_add_f64 v[13:14], v[13:14], v[63:64]
	s_clause 0x2
	buffer_load_dword v96, off, s[0:3], 0 offset:796
	buffer_load_dword v64, off, s[0:3], 0 offset:772
	;; [unrolled: 1-line block ×3, first 2 shown]
	ds_read_b128 v[5:8], v70 offset:1520
	s_waitcnt vmcnt(58) lgkmcnt(1)
	v_mul_f64 v[99:100], v[9:10], v[97:98]
	v_mul_f64 v[97:98], v[11:12], v[97:98]
	s_waitcnt vmcnt(56)
	v_fma_f64 v[33:34], v[1:2], v[27:28], -v[33:34]
	v_fma_f64 v[27:28], v[3:4], v[27:28], v[127:128]
	v_add_f64 v[15:16], v[15:16], v[111:112]
	v_add_f64 v[13:14], v[13:14], v[21:22]
	s_clause 0x4
	buffer_load_dword v22, off, s[0:3], 0 offset:812
	buffer_load_dword v111, off, s[0:3], 0 offset:824
	;; [unrolled: 1-line block ×5, first 2 shown]
	ds_read_b128 v[1:4], v70 offset:1536
	s_waitcnt vmcnt(57) lgkmcnt(1)
	v_mul_f64 v[126:127], v[5:6], v[19:20]
	v_mul_f64 v[19:20], v[7:8], v[19:20]
	s_waitcnt vmcnt(56)
	v_fma_f64 v[97:98], v[9:10], v[123:124], -v[97:98]
	v_add_f64 v[15:16], v[15:16], v[33:34]
	v_fma_f64 v[33:34], v[11:12], v[123:124], v[99:100]
	v_add_f64 v[13:14], v[13:14], v[27:28]
	s_clause 0x2
	buffer_load_dword v112, off, s[0:3], 0 offset:828
	buffer_load_dword v28, off, s[0:3], 0 offset:804
	;; [unrolled: 1-line block ×3, first 2 shown]
	ds_read_b128 v[9:12], v70 offset:1552
	s_waitcnt vmcnt(58) lgkmcnt(1)
	v_mul_f64 v[99:100], v[1:2], v[37:38]
	v_mul_f64 v[37:38], v[3:4], v[37:38]
	s_waitcnt vmcnt(56)
	v_fma_f64 v[19:20], v[5:6], v[25:26], -v[19:20]
	v_fma_f64 v[25:26], v[7:8], v[25:26], v[126:127]
	v_add_f64 v[15:16], v[15:16], v[97:98]
	v_add_f64 v[13:14], v[13:14], v[33:34]
	s_clause 0x4
	buffer_load_dword v34, off, s[0:3], 0 offset:844
	buffer_load_dword v97, off, s[0:3], 0 offset:856
	;; [unrolled: 1-line block ×5, first 2 shown]
	ds_read_b128 v[5:8], v70 offset:1568
	s_waitcnt vmcnt(57) lgkmcnt(1)
	v_mul_f64 v[127:128], v[9:10], v[23:24]
	v_mul_f64 v[23:24], v[11:12], v[23:24]
	s_waitcnt vmcnt(56)
	v_fma_f64 v[37:38], v[1:2], v[115:116], -v[37:38]
	v_add_f64 v[15:16], v[15:16], v[19:20]
	v_fma_f64 v[19:20], v[3:4], v[115:116], v[99:100]
	v_add_f64 v[13:14], v[13:14], v[25:26]
	s_clause 0x2
	buffer_load_dword v98, off, s[0:3], 0 offset:860
	buffer_load_dword v26, off, s[0:3], 0 offset:836
	buffer_load_dword v25, off, s[0:3], 0 offset:832
	s_waitcnt vmcnt(58) lgkmcnt(0)
	v_mul_f64 v[99:100], v[5:6], v[45:46]
	v_mul_f64 v[45:46], v[7:8], v[45:46]
	ds_read_b128 v[1:4], v70 offset:1584
	s_waitcnt vmcnt(56)
	v_fma_f64 v[23:24], v[9:10], v[31:32], -v[23:24]
	v_fma_f64 v[31:32], v[11:12], v[31:32], v[127:128]
	v_add_f64 v[15:16], v[15:16], v[37:38]
	v_add_f64 v[13:14], v[13:14], v[19:20]
	s_clause 0x4
	buffer_load_dword v20, off, s[0:3], 0 offset:876
	buffer_load_dword v37, off, s[0:3], 0 offset:888
	buffer_load_dword v115, off, s[0:3], 0 offset:880
	buffer_load_dword v19, off, s[0:3], 0 offset:872
	buffer_load_dword v124, off, s[0:3], 0 offset:852
	ds_read_b128 v[9:12], v70 offset:1600
	s_waitcnt vmcnt(57) lgkmcnt(1)
	v_mul_f64 v[127:128], v[1:2], v[29:30]
	v_mul_f64 v[29:30], v[3:4], v[29:30]
	s_waitcnt vmcnt(56)
	v_fma_f64 v[45:46], v[5:6], v[93:94], -v[45:46]
	v_add_f64 v[15:16], v[15:16], v[23:24]
	v_fma_f64 v[23:24], v[7:8], v[93:94], v[99:100]
	v_add_f64 v[13:14], v[13:14], v[31:32]
	s_clause 0x2
	buffer_load_dword v38, off, s[0:3], 0 offset:892
	buffer_load_dword v32, off, s[0:3], 0 offset:868
	buffer_load_dword v31, off, s[0:3], 0 offset:864
	s_waitcnt vmcnt(58) lgkmcnt(0)
	v_mul_f64 v[93:94], v[9:10], v[51:52]
	v_mul_f64 v[51:52], v[11:12], v[51:52]
	ds_read_b128 v[5:8], v70 offset:1616
	s_waitcnt vmcnt(56)
	v_fma_f64 v[29:30], v[1:2], v[41:42], -v[29:30]
	v_fma_f64 v[41:42], v[3:4], v[41:42], v[127:128]
	v_add_f64 v[15:16], v[15:16], v[45:46]
	v_add_f64 v[13:14], v[13:14], v[23:24]
	s_clause 0x4
	buffer_load_dword v24, off, s[0:3], 0 offset:908
	buffer_load_dword v45, off, s[0:3], 0 offset:920
	;; [unrolled: 1-line block ×5, first 2 shown]
	ds_read_b128 v[1:4], v70 offset:1632
	s_waitcnt vmcnt(57) lgkmcnt(1)
	v_mul_f64 v[127:128], v[5:6], v[35:36]
	v_mul_f64 v[35:36], v[7:8], v[35:36]
	s_waitcnt vmcnt(56)
	v_fma_f64 v[51:52], v[9:10], v[53:54], -v[51:52]
	v_add_f64 v[15:16], v[15:16], v[29:30]
	v_fma_f64 v[29:30], v[11:12], v[53:54], v[93:94]
	v_add_f64 v[13:14], v[13:14], v[41:42]
	s_clause 0x2
	buffer_load_dword v46, off, s[0:3], 0 offset:924
	buffer_load_dword v42, off, s[0:3], 0 offset:900
	;; [unrolled: 1-line block ×3, first 2 shown]
	ds_read_b128 v[9:12], v70 offset:1648
	s_waitcnt vmcnt(58) lgkmcnt(1)
	v_mul_f64 v[53:54], v[1:2], v[59:60]
	v_mul_f64 v[59:60], v[3:4], v[59:60]
	s_waitcnt vmcnt(56)
	v_fma_f64 v[35:36], v[5:6], v[39:40], -v[35:36]
	v_fma_f64 v[39:40], v[7:8], v[39:40], v[127:128]
	v_add_f64 v[15:16], v[15:16], v[51:52]
	v_add_f64 v[13:14], v[13:14], v[29:30]
	s_clause 0x4
	buffer_load_dword v30, off, s[0:3], 0 offset:940
	buffer_load_dword v51, off, s[0:3], 0 offset:952
	;; [unrolled: 1-line block ×5, first 2 shown]
	ds_read_b128 v[5:8], v70 offset:1664
	s_waitcnt vmcnt(57) lgkmcnt(1)
	v_mul_f64 v[127:128], v[9:10], v[43:44]
	v_mul_f64 v[43:44], v[11:12], v[43:44]
	s_waitcnt vmcnt(56)
	v_fma_f64 v[59:60], v[1:2], v[61:62], -v[59:60]
	v_add_f64 v[15:16], v[15:16], v[35:36]
	v_fma_f64 v[35:36], v[3:4], v[61:62], v[53:54]
	v_add_f64 v[13:14], v[13:14], v[39:40]
	s_clause 0x2
	buffer_load_dword v52, off, s[0:3], 0 offset:956
	buffer_load_dword v40, off, s[0:3], 0 offset:932
	;; [unrolled: 1-line block ×3, first 2 shown]
	ds_read_b128 v[1:4], v70 offset:1680
	s_waitcnt vmcnt(58) lgkmcnt(1)
	v_mul_f64 v[61:62], v[7:8], v[65:66]
	v_mul_f64 v[53:54], v[5:6], v[65:66]
	s_waitcnt vmcnt(56)
	v_fma_f64 v[43:44], v[9:10], v[47:48], -v[43:44]
	v_fma_f64 v[47:48], v[11:12], v[47:48], v[127:128]
	v_add_f64 v[15:16], v[15:16], v[59:60]
	v_add_f64 v[13:14], v[13:14], v[35:36]
	s_clause 0x2
	buffer_load_dword v36, off, s[0:3], 0 offset:972
	buffer_load_dword v35, off, s[0:3], 0 offset:968
	;; [unrolled: 1-line block ×3, first 2 shown]
	ds_read_b128 v[9:12], v70 offset:1696
	s_waitcnt vmcnt(55) lgkmcnt(1)
	v_mul_f64 v[59:60], v[1:2], v[49:50]
	v_mul_f64 v[49:50], v[3:4], v[49:50]
	s_waitcnt vmcnt(54)
	v_fma_f64 v[61:62], v[5:6], v[67:68], -v[61:62]
	v_add_f64 v[15:16], v[15:16], v[43:44]
	v_fma_f64 v[43:44], v[7:8], v[67:68], v[53:54]
	v_add_f64 v[13:14], v[13:14], v[47:48]
	s_clause 0x1
	buffer_load_dword v48, off, s[0:3], 0 offset:964
	buffer_load_dword v47, off, s[0:3], 0 offset:960
	ds_read_b128 v[5:8], v70 offset:1712
	s_waitcnt vmcnt(55) lgkmcnt(1)
	v_mul_f64 v[53:54], v[9:10], v[55:56]
	v_mul_f64 v[55:56], v[11:12], v[55:56]
	s_waitcnt vmcnt(53)
	v_fma_f64 v[49:50], v[1:2], v[17:18], -v[49:50]
	v_fma_f64 v[17:18], v[3:4], v[17:18], v[59:60]
	ds_read_b128 v[1:4], v70 offset:1728
	v_add_f64 v[15:16], v[15:16], v[61:62]
	v_add_f64 v[13:14], v[13:14], v[43:44]
	s_waitcnt vmcnt(49) lgkmcnt(1)
	v_mul_f64 v[43:44], v[5:6], v[57:58]
	v_mul_f64 v[57:58], v[7:8], v[57:58]
	s_waitcnt vmcnt(48)
	v_fma_f64 v[55:56], v[9:10], v[109:110], -v[55:56]
	v_add_f64 v[15:16], v[15:16], v[49:50]
	v_fma_f64 v[49:50], v[11:12], v[109:110], v[53:54]
	v_add_f64 v[13:14], v[13:14], v[17:18]
	s_clause 0x3
	buffer_load_dword v17, off, s[0:3], 0 offset:224
	buffer_load_dword v18, off, s[0:3], 0 offset:228
	;; [unrolled: 1-line block ×4, first 2 shown]
	ds_read_b128 v[9:12], v70 offset:1744
	s_waitcnt vmcnt(51) lgkmcnt(1)
	v_mul_f64 v[61:62], v[3:4], v[95:96]
	v_mul_f64 v[59:60], v[1:2], v[95:96]
	s_waitcnt vmcnt(49)
	v_fma_f64 v[57:58], v[5:6], v[63:64], -v[57:58]
	v_fma_f64 v[43:44], v[7:8], v[63:64], v[43:44]
	ds_read_b128 v[5:8], v70 offset:1760
	v_add_f64 v[15:16], v[15:16], v[55:56]
	v_add_f64 v[13:14], v[13:14], v[49:50]
	s_waitcnt vmcnt(45) lgkmcnt(1)
	v_mul_f64 v[49:50], v[9:10], v[21:22]
	v_mul_f64 v[21:22], v[11:12], v[21:22]
	s_waitcnt vmcnt(44)
	v_fma_f64 v[55:56], v[1:2], v[113:114], -v[61:62]
	v_add_f64 v[15:16], v[15:16], v[57:58]
	v_fma_f64 v[57:58], v[3:4], v[113:114], v[59:60]
	v_add_f64 v[13:14], v[13:14], v[43:44]
	ds_read_b128 v[1:4], v70 offset:1776
	s_waitcnt vmcnt(43) lgkmcnt(1)
	v_mul_f64 v[59:60], v[7:8], v[111:112]
	v_mul_f64 v[43:44], v[5:6], v[111:112]
	s_waitcnt vmcnt(41)
	v_fma_f64 v[21:22], v[9:10], v[27:28], -v[21:22]
	v_fma_f64 v[27:28], v[11:12], v[27:28], v[49:50]
	ds_read_b128 v[9:12], v70 offset:1792
	v_add_f64 v[15:16], v[15:16], v[55:56]
	v_add_f64 v[13:14], v[13:14], v[57:58]
	s_waitcnt vmcnt(37) lgkmcnt(1)
	v_mul_f64 v[49:50], v[1:2], v[33:34]
	v_mul_f64 v[33:34], v[3:4], v[33:34]
	s_waitcnt vmcnt(36)
	v_fma_f64 v[55:56], v[5:6], v[125:126], -v[59:60]
	v_add_f64 v[15:16], v[15:16], v[21:22]
	v_fma_f64 v[21:22], v[7:8], v[125:126], v[43:44]
	v_add_f64 v[13:14], v[13:14], v[27:28]
	ds_read_b128 v[5:8], v70 offset:1808
	s_waitcnt vmcnt(35) lgkmcnt(1)
	v_mul_f64 v[43:44], v[11:12], v[97:98]
	v_mul_f64 v[27:28], v[9:10], v[97:98]
	s_waitcnt vmcnt(33)
	v_fma_f64 v[33:34], v[1:2], v[25:26], -v[33:34]
	v_fma_f64 v[25:26], v[3:4], v[25:26], v[49:50]
	ds_read_b128 v[1:4], v70 offset:1824
	v_add_f64 v[15:16], v[15:16], v[55:56]
	v_add_f64 v[13:14], v[13:14], v[21:22]
	s_waitcnt vmcnt(29) lgkmcnt(1)
	v_mul_f64 v[21:22], v[5:6], v[19:20]
	v_mul_f64 v[19:20], v[7:8], v[19:20]
	s_waitcnt vmcnt(28)
	v_fma_f64 v[43:44], v[9:10], v[123:124], -v[43:44]
	v_fma_f64 v[27:28], v[11:12], v[123:124], v[27:28]
	ds_read_b128 v[9:12], v70 offset:1840
	v_add_f64 v[15:16], v[15:16], v[33:34]
	v_add_f64 v[13:14], v[13:14], v[25:26]
	;; [unrolled: 9-line block ×3, first 2 shown]
	s_waitcnt vmcnt(21) lgkmcnt(1)
	v_mul_f64 v[27:28], v[9:10], v[23:24]
	v_mul_f64 v[23:24], v[11:12], v[23:24]
	s_waitcnt vmcnt(20)
	v_fma_f64 v[31:32], v[1:2], v[115:116], -v[33:34]
	v_add_f64 v[15:16], v[15:16], v[19:20]
	v_fma_f64 v[19:20], v[3:4], v[115:116], v[25:26]
	v_add_f64 v[13:14], v[13:14], v[21:22]
	ds_read_b128 v[1:4], v70 offset:1872
	s_waitcnt vmcnt(19) lgkmcnt(1)
	v_mul_f64 v[25:26], v[7:8], v[45:46]
	v_mul_f64 v[21:22], v[5:6], v[45:46]
	s_waitcnt vmcnt(17)
	v_fma_f64 v[23:24], v[9:10], v[41:42], -v[23:24]
	v_fma_f64 v[27:28], v[11:12], v[41:42], v[27:28]
	ds_read_b128 v[9:12], v70 offset:1888
	v_add_f64 v[15:16], v[15:16], v[31:32]
	v_add_f64 v[13:14], v[13:14], v[19:20]
	s_waitcnt vmcnt(13) lgkmcnt(1)
	v_mul_f64 v[19:20], v[1:2], v[29:30]
	v_mul_f64 v[29:30], v[3:4], v[29:30]
	s_waitcnt vmcnt(12)
	v_fma_f64 v[25:26], v[5:6], v[99:100], -v[25:26]
	v_fma_f64 v[21:22], v[7:8], v[99:100], v[21:22]
	ds_read_b128 v[5:8], v70 offset:1904
	v_add_f64 v[15:16], v[15:16], v[23:24]
	v_add_f64 v[13:14], v[13:14], v[27:28]
	s_waitcnt vmcnt(11) lgkmcnt(1)
	v_mul_f64 v[27:28], v[11:12], v[51:52]
	v_mul_f64 v[23:24], v[9:10], v[51:52]
	s_waitcnt vmcnt(9)
	v_fma_f64 v[1:2], v[1:2], v[39:40], -v[29:30]
	v_fma_f64 v[3:4], v[3:4], v[39:40], v[19:20]
	v_add_f64 v[15:16], v[15:16], v[25:26]
	v_add_f64 v[13:14], v[13:14], v[21:22]
	s_waitcnt vmcnt(7) lgkmcnt(0)
	v_mul_f64 v[21:22], v[7:8], v[35:36]
	s_waitcnt vmcnt(6)
	v_fma_f64 v[9:10], v[9:10], v[93:94], -v[27:28]
	v_mul_f64 v[19:20], v[5:6], v[35:36]
	v_fma_f64 v[11:12], v[11:12], v[93:94], v[23:24]
	v_add_f64 v[1:2], v[15:16], v[1:2]
	v_add_f64 v[3:4], v[13:14], v[3:4]
	s_waitcnt vmcnt(4)
	v_fma_f64 v[5:6], v[5:6], v[47:48], -v[21:22]
	v_fma_f64 v[7:8], v[7:8], v[47:48], v[19:20]
	v_add_f64 v[1:2], v[1:2], v[9:10]
	v_add_f64 v[3:4], v[3:4], v[11:12]
	;; [unrolled: 1-line block ×4, first 2 shown]
	s_waitcnt vmcnt(2)
	v_add_f64 v[1:2], v[17:18], -v[1:2]
	s_waitcnt vmcnt(0)
	v_add_f64 v[3:4], v[53:54], -v[3:4]
	buffer_store_dword v2, off, s[0:3], 0 offset:228
	buffer_store_dword v1, off, s[0:3], 0 offset:224
	;; [unrolled: 1-line block ×4, first 2 shown]
	v_cmpx_lt_u32_e32 12, v0
	s_cbranch_execz .LBB59_349
; %bb.348:
	v_mov_b32_e32 v4, s56
	v_mov_b32_e32 v5, 0
	s_clause 0x3
	buffer_load_dword v1, v4, s[0:3], 0 offen
	buffer_load_dword v2, v4, s[0:3], 0 offen offset:4
	buffer_load_dword v3, v4, s[0:3], 0 offen offset:8
	;; [unrolled: 1-line block ×3, first 2 shown]
	buffer_store_dword v5, off, s[0:3], 0 offset:208
	buffer_store_dword v5, off, s[0:3], 0 offset:212
	;; [unrolled: 1-line block ×4, first 2 shown]
	s_waitcnt vmcnt(0)
	ds_write_b128 v69, v[1:4]
.LBB59_349:
	s_or_b32 exec_lo, exec_lo, s4
	s_waitcnt lgkmcnt(0)
	s_waitcnt_vscnt null, 0x0
	s_barrier
	buffer_gl0_inv
	s_clause 0x37
	buffer_load_dword v17, off, s[0:3], 0 offset:232
	buffer_load_dword v18, off, s[0:3], 0 offset:236
	buffer_load_dword v13, off, s[0:3], 0 offset:248
	buffer_load_dword v14, off, s[0:3], 0 offset:252
	buffer_load_dword v15, off, s[0:3], 0 offset:224
	buffer_load_dword v16, off, s[0:3], 0 offset:228
	buffer_load_dword v11, off, s[0:3], 0 offset:264
	buffer_load_dword v12, off, s[0:3], 0 offset:268
	buffer_load_dword v9, off, s[0:3], 0 offset:240
	buffer_load_dword v10, off, s[0:3], 0 offset:244
	buffer_load_dword v22, off, s[0:3], 0 offset:284
	buffer_load_dword v25, off, s[0:3], 0 offset:296
	buffer_load_dword v19, off, s[0:3], 0 offset:288
	buffer_load_dword v21, off, s[0:3], 0 offset:280
	buffer_load_dword v33, off, s[0:3], 0 offset:256
	buffer_load_dword v34, off, s[0:3], 0 offset:260
	buffer_load_dword v26, off, s[0:3], 0 offset:300
	buffer_load_dword v28, off, s[0:3], 0 offset:276
	buffer_load_dword v27, off, s[0:3], 0 offset:272
	buffer_load_dword v30, off, s[0:3], 0 offset:316
	buffer_load_dword v35, off, s[0:3], 0 offset:328
	buffer_load_dword v23, off, s[0:3], 0 offset:320
	buffer_load_dword v29, off, s[0:3], 0 offset:312
	buffer_load_dword v20, off, s[0:3], 0 offset:292
	buffer_load_dword v36, off, s[0:3], 0 offset:332
	buffer_load_dword v38, off, s[0:3], 0 offset:308
	buffer_load_dword v37, off, s[0:3], 0 offset:304
	buffer_load_dword v40, off, s[0:3], 0 offset:348
	buffer_load_dword v43, off, s[0:3], 0 offset:360
	buffer_load_dword v31, off, s[0:3], 0 offset:352
	buffer_load_dword v39, off, s[0:3], 0 offset:344
	buffer_load_dword v24, off, s[0:3], 0 offset:324
	buffer_load_dword v44, off, s[0:3], 0 offset:364
	buffer_load_dword v46, off, s[0:3], 0 offset:340
	buffer_load_dword v45, off, s[0:3], 0 offset:336
	buffer_load_dword v48, off, s[0:3], 0 offset:380
	buffer_load_dword v51, off, s[0:3], 0 offset:392
	buffer_load_dword v41, off, s[0:3], 0 offset:384
	buffer_load_dword v47, off, s[0:3], 0 offset:376
	buffer_load_dword v32, off, s[0:3], 0 offset:356
	buffer_load_dword v52, off, s[0:3], 0 offset:396
	buffer_load_dword v54, off, s[0:3], 0 offset:372
	buffer_load_dword v53, off, s[0:3], 0 offset:368
	buffer_load_dword v56, off, s[0:3], 0 offset:412
	buffer_load_dword v59, off, s[0:3], 0 offset:424
	buffer_load_dword v49, off, s[0:3], 0 offset:416
	buffer_load_dword v55, off, s[0:3], 0 offset:408
	buffer_load_dword v42, off, s[0:3], 0 offset:388
	buffer_load_dword v60, off, s[0:3], 0 offset:428
	buffer_load_dword v62, off, s[0:3], 0 offset:404
	buffer_load_dword v61, off, s[0:3], 0 offset:400
	buffer_load_dword v64, off, s[0:3], 0 offset:444
	buffer_load_dword v65, off, s[0:3], 0 offset:456
	buffer_load_dword v57, off, s[0:3], 0 offset:448
	buffer_load_dword v63, off, s[0:3], 0 offset:440
	buffer_load_dword v50, off, s[0:3], 0 offset:420
	v_mov_b32_e32 v70, 0
	s_mov_b32 s4, exec_lo
	ds_read_b128 v[5:8], v70 offset:1168
	s_clause 0x2
	buffer_load_dword v66, off, s[0:3], 0 offset:460
	buffer_load_dword v68, off, s[0:3], 0 offset:436
	;; [unrolled: 1-line block ×3, first 2 shown]
	ds_read_b128 v[1:4], v70 offset:1184
	s_clause 0x4
	buffer_load_dword v100, off, s[0:3], 0 offset:476
	buffer_load_dword v109, off, s[0:3], 0 offset:488
	;; [unrolled: 1-line block ×5, first 2 shown]
	ds_read_b128 v[93:96], v70 offset:1200
	s_waitcnt vmcnt(62) lgkmcnt(2)
	v_mul_f64 v[97:98], v[7:8], v[17:18]
	v_mul_f64 v[17:18], v[5:6], v[17:18]
	s_waitcnt vmcnt(60) lgkmcnt(1)
	v_mul_f64 v[112:113], v[3:4], v[13:14]
	v_mul_f64 v[13:14], v[1:2], v[13:14]
	;; [unrolled: 3-line block ×3, first 2 shown]
	v_fma_f64 v[97:98], v[5:6], v[15:16], -v[97:98]
	v_fma_f64 v[15:16], v[7:8], v[15:16], v[17:18]
	s_clause 0x2
	buffer_load_dword v110, off, s[0:3], 0 offset:492
	buffer_load_dword v18, off, s[0:3], 0 offset:468
	;; [unrolled: 1-line block ×3, first 2 shown]
	s_waitcnt vmcnt(57)
	v_fma_f64 v[123:124], v[1:2], v[9:10], -v[112:113]
	ds_read_b128 v[5:8], v70 offset:1216
	v_fma_f64 v[9:10], v[3:4], v[9:10], v[13:14]
	s_waitcnt vmcnt(51)
	v_fma_f64 v[93:94], v[93:94], v[33:34], -v[11:12]
	v_fma_f64 v[33:34], v[95:96], v[33:34], v[114:115]
	v_add_f64 v[97:98], v[97:98], 0
	v_add_f64 v[13:14], v[15:16], 0
	s_clause 0x4
	buffer_load_dword v16, off, s[0:3], 0 offset:508
	buffer_load_dword v113, off, s[0:3], 0 offset:520
	;; [unrolled: 1-line block ×5, first 2 shown]
	s_waitcnt lgkmcnt(0)
	v_mul_f64 v[126:127], v[5:6], v[21:22]
	v_mul_f64 v[21:22], v[7:8], v[21:22]
	ds_read_b128 v[1:4], v70 offset:1232
	s_clause 0x2
	buffer_load_dword v114, off, s[0:3], 0 offset:524
	buffer_load_dword v96, off, s[0:3], 0 offset:500
	;; [unrolled: 1-line block ×3, first 2 shown]
	v_add_f64 v[97:98], v[97:98], v[123:124]
	v_add_f64 v[13:14], v[13:14], v[9:10]
	ds_read_b128 v[9:12], v70 offset:1248
	s_waitcnt vmcnt(58) lgkmcnt(1)
	v_mul_f64 v[115:116], v[1:2], v[25:26]
	v_mul_f64 v[25:26], v[3:4], v[25:26]
	s_waitcnt vmcnt(56)
	v_fma_f64 v[21:22], v[5:6], v[27:28], -v[21:22]
	v_fma_f64 v[27:28], v[7:8], v[27:28], v[126:127]
	s_waitcnt vmcnt(52) lgkmcnt(0)
	v_mul_f64 v[127:128], v[9:10], v[29:30]
	v_add_f64 v[93:94], v[97:98], v[93:94]
	v_add_f64 v[13:14], v[13:14], v[33:34]
	s_clause 0x4
	buffer_load_dword v34, off, s[0:3], 0 offset:540
	buffer_load_dword v97, off, s[0:3], 0 offset:552
	;; [unrolled: 1-line block ×5, first 2 shown]
	v_mul_f64 v[29:30], v[11:12], v[29:30]
	s_waitcnt vmcnt(56)
	v_fma_f64 v[25:26], v[1:2], v[19:20], -v[25:26]
	ds_read_b128 v[5:8], v70 offset:1264
	v_fma_f64 v[19:20], v[3:4], v[19:20], v[115:116]
	v_add_f64 v[21:22], v[93:94], v[21:22]
	v_add_f64 v[13:14], v[13:14], v[27:28]
	s_clause 0x2
	buffer_load_dword v98, off, s[0:3], 0 offset:556
	buffer_load_dword v28, off, s[0:3], 0 offset:532
	;; [unrolled: 1-line block ×3, first 2 shown]
	s_waitcnt vmcnt(58) lgkmcnt(0)
	v_mul_f64 v[93:94], v[5:6], v[35:36]
	v_mul_f64 v[35:36], v[7:8], v[35:36]
	s_waitcnt vmcnt(56)
	v_fma_f64 v[29:30], v[9:10], v[37:38], -v[29:30]
	ds_read_b128 v[1:4], v70 offset:1280
	v_add_f64 v[21:22], v[21:22], v[25:26]
	v_fma_f64 v[25:26], v[11:12], v[37:38], v[127:128]
	v_add_f64 v[13:14], v[13:14], v[19:20]
	s_clause 0x4
	buffer_load_dword v20, off, s[0:3], 0 offset:572
	buffer_load_dword v37, off, s[0:3], 0 offset:584
	;; [unrolled: 1-line block ×5, first 2 shown]
	s_waitcnt vmcnt(57) lgkmcnt(0)
	v_mul_f64 v[127:128], v[1:2], v[39:40]
	v_mul_f64 v[39:40], v[3:4], v[39:40]
	s_waitcnt vmcnt(56)
	v_fma_f64 v[35:36], v[5:6], v[23:24], -v[35:36]
	ds_read_b128 v[9:12], v70 offset:1296
	v_fma_f64 v[23:24], v[7:8], v[23:24], v[93:94]
	v_add_f64 v[21:22], v[21:22], v[29:30]
	v_add_f64 v[13:14], v[13:14], v[25:26]
	s_clause 0x2
	buffer_load_dword v38, off, s[0:3], 0 offset:588
	buffer_load_dword v26, off, s[0:3], 0 offset:564
	;; [unrolled: 1-line block ×3, first 2 shown]
	ds_read_b128 v[5:8], v70 offset:1312
	s_waitcnt vmcnt(58) lgkmcnt(1)
	v_mul_f64 v[29:30], v[9:10], v[43:44]
	v_mul_f64 v[43:44], v[11:12], v[43:44]
	s_waitcnt vmcnt(56)
	v_fma_f64 v[39:40], v[1:2], v[45:46], -v[39:40]
	v_add_f64 v[21:22], v[21:22], v[35:36]
	v_fma_f64 v[35:36], v[3:4], v[45:46], v[127:128]
	v_add_f64 v[13:14], v[13:14], v[23:24]
	s_clause 0x4
	buffer_load_dword v24, off, s[0:3], 0 offset:604
	buffer_load_dword v45, off, s[0:3], 0 offset:616
	buffer_load_dword v93, off, s[0:3], 0 offset:608
	buffer_load_dword v23, off, s[0:3], 0 offset:600
	buffer_load_dword v116, off, s[0:3], 0 offset:580
	s_waitcnt vmcnt(57) lgkmcnt(0)
	v_mul_f64 v[127:128], v[5:6], v[47:48]
	v_mul_f64 v[47:48], v[7:8], v[47:48]
	s_waitcnt vmcnt(56)
	v_fma_f64 v[43:44], v[9:10], v[31:32], -v[43:44]
	ds_read_b128 v[1:4], v70 offset:1328
	v_fma_f64 v[29:30], v[11:12], v[31:32], v[29:30]
	s_clause 0x2
	buffer_load_dword v46, off, s[0:3], 0 offset:620
	buffer_load_dword v32, off, s[0:3], 0 offset:596
	;; [unrolled: 1-line block ×3, first 2 shown]
	ds_read_b128 v[9:12], v70 offset:1344
	v_add_f64 v[21:22], v[21:22], v[39:40]
	v_add_f64 v[13:14], v[13:14], v[35:36]
	s_waitcnt vmcnt(58) lgkmcnt(1)
	v_mul_f64 v[39:40], v[3:4], v[51:52]
	s_waitcnt vmcnt(56)
	v_fma_f64 v[47:48], v[5:6], v[53:54], -v[47:48]
	v_mul_f64 v[35:36], v[1:2], v[51:52]
	v_add_f64 v[21:22], v[21:22], v[43:44]
	v_fma_f64 v[43:44], v[7:8], v[53:54], v[127:128]
	v_add_f64 v[13:14], v[13:14], v[29:30]
	s_clause 0x4
	buffer_load_dword v30, off, s[0:3], 0 offset:636
	buffer_load_dword v51, off, s[0:3], 0 offset:648
	;; [unrolled: 1-line block ×5, first 2 shown]
	s_waitcnt vmcnt(57) lgkmcnt(0)
	v_mul_f64 v[127:128], v[9:10], v[55:56]
	v_mul_f64 v[54:55], v[11:12], v[55:56]
	s_waitcnt vmcnt(56)
	v_fma_f64 v[39:40], v[1:2], v[41:42], -v[39:40]
	ds_read_b128 v[5:8], v70 offset:1360
	v_fma_f64 v[35:36], v[3:4], v[41:42], v[35:36]
	s_clause 0x2
	buffer_load_dword v52, off, s[0:3], 0 offset:652
	buffer_load_dword v42, off, s[0:3], 0 offset:628
	;; [unrolled: 1-line block ×3, first 2 shown]
	ds_read_b128 v[1:4], v70 offset:1376
	v_add_f64 v[21:22], v[21:22], v[47:48]
	v_add_f64 v[13:14], v[13:14], v[43:44]
	s_waitcnt vmcnt(58) lgkmcnt(1)
	v_mul_f64 v[47:48], v[7:8], v[59:60]
	s_waitcnt vmcnt(56)
	v_fma_f64 v[55:56], v[9:10], v[61:62], -v[54:55]
	v_mul_f64 v[43:44], v[5:6], v[59:60]
	v_add_f64 v[21:22], v[21:22], v[39:40]
	v_fma_f64 v[39:40], v[11:12], v[61:62], v[127:128]
	v_add_f64 v[13:14], v[13:14], v[35:36]
	s_clause 0x4
	buffer_load_dword v36, off, s[0:3], 0 offset:668
	buffer_load_dword v59, off, s[0:3], 0 offset:680
	;; [unrolled: 1-line block ×5, first 2 shown]
	s_waitcnt vmcnt(57) lgkmcnt(0)
	v_mul_f64 v[127:128], v[1:2], v[63:64]
	v_mul_f64 v[62:63], v[3:4], v[63:64]
	s_waitcnt vmcnt(56)
	v_fma_f64 v[47:48], v[5:6], v[49:50], -v[47:48]
	ds_read_b128 v[9:12], v70 offset:1392
	v_fma_f64 v[43:44], v[7:8], v[49:50], v[43:44]
	v_add_f64 v[21:22], v[21:22], v[55:56]
	v_add_f64 v[13:14], v[13:14], v[39:40]
	s_clause 0x2
	buffer_load_dword v60, off, s[0:3], 0 offset:684
	buffer_load_dword v40, off, s[0:3], 0 offset:660
	;; [unrolled: 1-line block ×3, first 2 shown]
	ds_read_b128 v[5:8], v70 offset:1408
	s_waitcnt vmcnt(58) lgkmcnt(1)
	v_mul_f64 v[55:56], v[11:12], v[65:66]
	s_waitcnt vmcnt(56)
	v_fma_f64 v[63:64], v[1:2], v[67:68], -v[62:63]
	v_mul_f64 v[49:50], v[9:10], v[65:66]
	v_add_f64 v[21:22], v[21:22], v[47:48]
	v_fma_f64 v[47:48], v[3:4], v[67:68], v[127:128]
	v_add_f64 v[13:14], v[13:14], v[43:44]
	s_clause 0x4
	buffer_load_dword v44, off, s[0:3], 0 offset:700
	buffer_load_dword v65, off, s[0:3], 0 offset:712
	;; [unrolled: 1-line block ×5, first 2 shown]
	s_waitcnt vmcnt(57) lgkmcnt(0)
	v_mul_f64 v[127:128], v[5:6], v[99:100]
	v_mul_f64 v[99:100], v[7:8], v[99:100]
	s_waitcnt vmcnt(56)
	v_fma_f64 v[55:56], v[9:10], v[57:58], -v[55:56]
	ds_read_b128 v[1:4], v70 offset:1424
	v_fma_f64 v[49:50], v[11:12], v[57:58], v[49:50]
	v_add_f64 v[21:22], v[21:22], v[63:64]
	v_add_f64 v[13:14], v[13:14], v[47:48]
	s_clause 0x2
	buffer_load_dword v66, off, s[0:3], 0 offset:716
	buffer_load_dword v48, off, s[0:3], 0 offset:692
	buffer_load_dword v47, off, s[0:3], 0 offset:688
	ds_read_b128 v[9:12], v70 offset:1440
	s_waitcnt vmcnt(58) lgkmcnt(1)
	v_mul_f64 v[63:64], v[3:4], v[109:110]
	v_mul_f64 v[57:58], v[1:2], v[109:110]
	s_waitcnt vmcnt(56)
	v_fma_f64 v[99:100], v[5:6], v[17:18], -v[99:100]
	v_fma_f64 v[17:18], v[7:8], v[17:18], v[127:128]
	v_add_f64 v[21:22], v[21:22], v[55:56]
	v_add_f64 v[13:14], v[13:14], v[49:50]
	s_clause 0x4
	buffer_load_dword v50, off, s[0:3], 0 offset:732
	buffer_load_dword v55, off, s[0:3], 0 offset:744
	;; [unrolled: 1-line block ×5, first 2 shown]
	ds_read_b128 v[5:8], v70 offset:1456
	s_waitcnt vmcnt(57) lgkmcnt(1)
	v_mul_f64 v[127:128], v[9:10], v[15:16]
	v_mul_f64 v[15:16], v[11:12], v[15:16]
	s_waitcnt vmcnt(56)
	v_fma_f64 v[63:64], v[1:2], v[111:112], -v[63:64]
	v_fma_f64 v[57:58], v[3:4], v[111:112], v[57:58]
	v_add_f64 v[21:22], v[21:22], v[99:100]
	v_add_f64 v[13:14], v[13:14], v[17:18]
	s_clause 0x2
	buffer_load_dword v56, off, s[0:3], 0 offset:748
	buffer_load_dword v18, off, s[0:3], 0 offset:724
	;; [unrolled: 1-line block ×3, first 2 shown]
	s_waitcnt vmcnt(58) lgkmcnt(0)
	v_mul_f64 v[111:112], v[7:8], v[113:114]
	ds_read_b128 v[1:4], v70 offset:1472
	v_mul_f64 v[99:100], v[5:6], v[113:114]
	s_waitcnt vmcnt(56)
	v_fma_f64 v[15:16], v[9:10], v[95:96], -v[15:16]
	v_add_f64 v[21:22], v[21:22], v[63:64]
	v_fma_f64 v[63:64], v[11:12], v[95:96], v[127:128]
	v_add_f64 v[13:14], v[13:14], v[57:58]
	s_clause 0x4
	buffer_load_dword v58, off, s[0:3], 0 offset:764
	buffer_load_dword v95, off, s[0:3], 0 offset:776
	;; [unrolled: 1-line block ×5, first 2 shown]
	ds_read_b128 v[9:12], v70 offset:1488
	s_waitcnt vmcnt(57) lgkmcnt(1)
	v_mul_f64 v[127:128], v[1:2], v[33:34]
	v_mul_f64 v[33:34], v[3:4], v[33:34]
	s_waitcnt vmcnt(56)
	v_fma_f64 v[111:112], v[5:6], v[125:126], -v[111:112]
	v_add_f64 v[15:16], v[21:22], v[15:16]
	v_fma_f64 v[21:22], v[7:8], v[125:126], v[99:100]
	v_add_f64 v[13:14], v[13:14], v[63:64]
	s_clause 0x2
	buffer_load_dword v96, off, s[0:3], 0 offset:780
	buffer_load_dword v64, off, s[0:3], 0 offset:756
	;; [unrolled: 1-line block ×3, first 2 shown]
	ds_read_b128 v[5:8], v70 offset:1504
	s_waitcnt vmcnt(58) lgkmcnt(1)
	v_mul_f64 v[99:100], v[9:10], v[97:98]
	v_mul_f64 v[97:98], v[11:12], v[97:98]
	s_waitcnt vmcnt(56)
	v_fma_f64 v[33:34], v[1:2], v[27:28], -v[33:34]
	v_fma_f64 v[27:28], v[3:4], v[27:28], v[127:128]
	v_add_f64 v[15:16], v[15:16], v[111:112]
	v_add_f64 v[13:14], v[13:14], v[21:22]
	s_clause 0x4
	buffer_load_dword v22, off, s[0:3], 0 offset:796
	buffer_load_dword v111, off, s[0:3], 0 offset:808
	;; [unrolled: 1-line block ×5, first 2 shown]
	ds_read_b128 v[1:4], v70 offset:1520
	s_waitcnt vmcnt(57) lgkmcnt(1)
	v_mul_f64 v[126:127], v[5:6], v[19:20]
	v_mul_f64 v[19:20], v[7:8], v[19:20]
	s_waitcnt vmcnt(56)
	v_fma_f64 v[97:98], v[9:10], v[123:124], -v[97:98]
	v_add_f64 v[15:16], v[15:16], v[33:34]
	v_fma_f64 v[33:34], v[11:12], v[123:124], v[99:100]
	v_add_f64 v[13:14], v[13:14], v[27:28]
	s_clause 0x2
	buffer_load_dword v112, off, s[0:3], 0 offset:812
	buffer_load_dword v28, off, s[0:3], 0 offset:788
	;; [unrolled: 1-line block ×3, first 2 shown]
	ds_read_b128 v[9:12], v70 offset:1536
	s_waitcnt vmcnt(58) lgkmcnt(1)
	v_mul_f64 v[99:100], v[1:2], v[37:38]
	v_mul_f64 v[37:38], v[3:4], v[37:38]
	s_waitcnt vmcnt(56)
	v_fma_f64 v[19:20], v[5:6], v[25:26], -v[19:20]
	v_fma_f64 v[25:26], v[7:8], v[25:26], v[126:127]
	v_add_f64 v[15:16], v[15:16], v[97:98]
	v_add_f64 v[13:14], v[13:14], v[33:34]
	s_clause 0x4
	buffer_load_dword v34, off, s[0:3], 0 offset:828
	buffer_load_dword v97, off, s[0:3], 0 offset:840
	;; [unrolled: 1-line block ×5, first 2 shown]
	ds_read_b128 v[5:8], v70 offset:1552
	s_waitcnt vmcnt(57) lgkmcnt(1)
	v_mul_f64 v[127:128], v[9:10], v[23:24]
	v_mul_f64 v[23:24], v[11:12], v[23:24]
	s_waitcnt vmcnt(56)
	v_fma_f64 v[37:38], v[1:2], v[115:116], -v[37:38]
	v_add_f64 v[15:16], v[15:16], v[19:20]
	v_fma_f64 v[19:20], v[3:4], v[115:116], v[99:100]
	v_add_f64 v[13:14], v[13:14], v[25:26]
	s_clause 0x2
	buffer_load_dword v98, off, s[0:3], 0 offset:844
	buffer_load_dword v26, off, s[0:3], 0 offset:820
	buffer_load_dword v25, off, s[0:3], 0 offset:816
	s_waitcnt vmcnt(58) lgkmcnt(0)
	v_mul_f64 v[99:100], v[5:6], v[45:46]
	v_mul_f64 v[45:46], v[7:8], v[45:46]
	ds_read_b128 v[1:4], v70 offset:1568
	s_waitcnt vmcnt(56)
	v_fma_f64 v[23:24], v[9:10], v[31:32], -v[23:24]
	v_fma_f64 v[31:32], v[11:12], v[31:32], v[127:128]
	v_add_f64 v[15:16], v[15:16], v[37:38]
	v_add_f64 v[13:14], v[13:14], v[19:20]
	s_clause 0x4
	buffer_load_dword v20, off, s[0:3], 0 offset:860
	buffer_load_dword v37, off, s[0:3], 0 offset:872
	;; [unrolled: 1-line block ×5, first 2 shown]
	ds_read_b128 v[9:12], v70 offset:1584
	s_waitcnt vmcnt(57) lgkmcnt(1)
	v_mul_f64 v[127:128], v[1:2], v[29:30]
	v_mul_f64 v[29:30], v[3:4], v[29:30]
	s_waitcnt vmcnt(56)
	v_fma_f64 v[45:46], v[5:6], v[93:94], -v[45:46]
	v_add_f64 v[15:16], v[15:16], v[23:24]
	v_fma_f64 v[23:24], v[7:8], v[93:94], v[99:100]
	v_add_f64 v[13:14], v[13:14], v[31:32]
	s_clause 0x2
	buffer_load_dword v38, off, s[0:3], 0 offset:876
	buffer_load_dword v32, off, s[0:3], 0 offset:852
	;; [unrolled: 1-line block ×3, first 2 shown]
	s_waitcnt vmcnt(58) lgkmcnt(0)
	v_mul_f64 v[93:94], v[9:10], v[51:52]
	v_mul_f64 v[51:52], v[11:12], v[51:52]
	ds_read_b128 v[5:8], v70 offset:1600
	s_waitcnt vmcnt(56)
	v_fma_f64 v[29:30], v[1:2], v[41:42], -v[29:30]
	v_fma_f64 v[41:42], v[3:4], v[41:42], v[127:128]
	v_add_f64 v[15:16], v[15:16], v[45:46]
	v_add_f64 v[13:14], v[13:14], v[23:24]
	s_clause 0x4
	buffer_load_dword v24, off, s[0:3], 0 offset:892
	buffer_load_dword v45, off, s[0:3], 0 offset:904
	;; [unrolled: 1-line block ×5, first 2 shown]
	ds_read_b128 v[1:4], v70 offset:1616
	s_waitcnt vmcnt(57) lgkmcnt(1)
	v_mul_f64 v[127:128], v[5:6], v[35:36]
	v_mul_f64 v[35:36], v[7:8], v[35:36]
	s_waitcnt vmcnt(56)
	v_fma_f64 v[51:52], v[9:10], v[53:54], -v[51:52]
	v_add_f64 v[15:16], v[15:16], v[29:30]
	v_fma_f64 v[29:30], v[11:12], v[53:54], v[93:94]
	v_add_f64 v[13:14], v[13:14], v[41:42]
	s_clause 0x2
	buffer_load_dword v46, off, s[0:3], 0 offset:908
	buffer_load_dword v42, off, s[0:3], 0 offset:884
	;; [unrolled: 1-line block ×3, first 2 shown]
	ds_read_b128 v[9:12], v70 offset:1632
	s_waitcnt vmcnt(58) lgkmcnt(1)
	v_mul_f64 v[53:54], v[1:2], v[59:60]
	v_mul_f64 v[59:60], v[3:4], v[59:60]
	s_waitcnt vmcnt(56)
	v_fma_f64 v[35:36], v[5:6], v[39:40], -v[35:36]
	v_fma_f64 v[39:40], v[7:8], v[39:40], v[127:128]
	v_add_f64 v[15:16], v[15:16], v[51:52]
	v_add_f64 v[13:14], v[13:14], v[29:30]
	s_clause 0x4
	buffer_load_dword v30, off, s[0:3], 0 offset:924
	buffer_load_dword v51, off, s[0:3], 0 offset:936
	;; [unrolled: 1-line block ×5, first 2 shown]
	ds_read_b128 v[5:8], v70 offset:1648
	s_waitcnt vmcnt(57) lgkmcnt(1)
	v_mul_f64 v[127:128], v[9:10], v[43:44]
	v_mul_f64 v[43:44], v[11:12], v[43:44]
	s_waitcnt vmcnt(56)
	v_fma_f64 v[59:60], v[1:2], v[61:62], -v[59:60]
	v_add_f64 v[15:16], v[15:16], v[35:36]
	v_fma_f64 v[35:36], v[3:4], v[61:62], v[53:54]
	v_add_f64 v[13:14], v[13:14], v[39:40]
	s_clause 0x2
	buffer_load_dword v52, off, s[0:3], 0 offset:940
	buffer_load_dword v40, off, s[0:3], 0 offset:916
	;; [unrolled: 1-line block ×3, first 2 shown]
	ds_read_b128 v[1:4], v70 offset:1664
	s_waitcnt vmcnt(58) lgkmcnt(1)
	v_mul_f64 v[61:62], v[7:8], v[65:66]
	v_mul_f64 v[53:54], v[5:6], v[65:66]
	s_waitcnt vmcnt(56)
	v_fma_f64 v[43:44], v[9:10], v[47:48], -v[43:44]
	v_fma_f64 v[47:48], v[11:12], v[47:48], v[127:128]
	v_add_f64 v[15:16], v[15:16], v[59:60]
	v_add_f64 v[13:14], v[13:14], v[35:36]
	s_clause 0x4
	buffer_load_dword v36, off, s[0:3], 0 offset:956
	buffer_load_dword v59, off, s[0:3], 0 offset:968
	;; [unrolled: 1-line block ×5, first 2 shown]
	ds_read_b128 v[9:12], v70 offset:1680
	s_waitcnt vmcnt(57) lgkmcnt(1)
	v_mul_f64 v[127:128], v[1:2], v[49:50]
	v_mul_f64 v[49:50], v[3:4], v[49:50]
	s_waitcnt vmcnt(56)
	v_fma_f64 v[61:62], v[5:6], v[67:68], -v[61:62]
	v_add_f64 v[15:16], v[15:16], v[43:44]
	v_fma_f64 v[43:44], v[7:8], v[67:68], v[53:54]
	v_add_f64 v[13:14], v[13:14], v[47:48]
	s_clause 0x2
	buffer_load_dword v60, off, s[0:3], 0 offset:972
	buffer_load_dword v48, off, s[0:3], 0 offset:948
	;; [unrolled: 1-line block ×3, first 2 shown]
	ds_read_b128 v[5:8], v70 offset:1696
	buffer_load_dword v66, off, s[0:3], 0 offset:964
	s_waitcnt vmcnt(59) lgkmcnt(1)
	v_mul_f64 v[53:54], v[9:10], v[55:56]
	v_mul_f64 v[55:56], v[11:12], v[55:56]
	s_waitcnt vmcnt(57)
	v_fma_f64 v[49:50], v[1:2], v[17:18], -v[49:50]
	v_fma_f64 v[17:18], v[3:4], v[17:18], v[127:128]
	ds_read_b128 v[1:4], v70 offset:1712
	v_add_f64 v[15:16], v[15:16], v[61:62]
	v_add_f64 v[13:14], v[13:14], v[43:44]
	s_waitcnt vmcnt(53) lgkmcnt(1)
	v_mul_f64 v[43:44], v[5:6], v[57:58]
	v_mul_f64 v[57:58], v[7:8], v[57:58]
	s_waitcnt vmcnt(52)
	v_fma_f64 v[55:56], v[9:10], v[109:110], -v[55:56]
	v_add_f64 v[15:16], v[15:16], v[49:50]
	v_fma_f64 v[49:50], v[11:12], v[109:110], v[53:54]
	v_add_f64 v[13:14], v[13:14], v[17:18]
	ds_read_b128 v[9:12], v70 offset:1728
	s_waitcnt vmcnt(51) lgkmcnt(1)
	v_mul_f64 v[53:54], v[3:4], v[95:96]
	v_mul_f64 v[17:18], v[1:2], v[95:96]
	s_waitcnt vmcnt(49)
	v_fma_f64 v[57:58], v[5:6], v[63:64], -v[57:58]
	v_fma_f64 v[43:44], v[7:8], v[63:64], v[43:44]
	v_add_f64 v[15:16], v[15:16], v[55:56]
	v_add_f64 v[13:14], v[13:14], v[49:50]
	s_clause 0x3
	buffer_load_dword v49, off, s[0:3], 0 offset:208
	buffer_load_dword v50, off, s[0:3], 0 offset:212
	;; [unrolled: 1-line block ×4, first 2 shown]
	ds_read_b128 v[5:8], v70 offset:1744
	s_waitcnt vmcnt(49) lgkmcnt(1)
	v_mul_f64 v[61:62], v[9:10], v[21:22]
	v_mul_f64 v[21:22], v[11:12], v[21:22]
	s_waitcnt vmcnt(48)
	v_fma_f64 v[53:54], v[1:2], v[113:114], -v[53:54]
	v_fma_f64 v[17:18], v[3:4], v[113:114], v[17:18]
	ds_read_b128 v[1:4], v70 offset:1760
	v_add_f64 v[15:16], v[15:16], v[57:58]
	v_add_f64 v[13:14], v[13:14], v[43:44]
	s_waitcnt vmcnt(47) lgkmcnt(1)
	v_mul_f64 v[57:58], v[7:8], v[111:112]
	v_mul_f64 v[43:44], v[5:6], v[111:112]
	s_waitcnt vmcnt(45)
	v_fma_f64 v[21:22], v[9:10], v[27:28], -v[21:22]
	v_fma_f64 v[27:28], v[11:12], v[27:28], v[61:62]
	ds_read_b128 v[9:12], v70 offset:1776
	v_add_f64 v[15:16], v[15:16], v[53:54]
	v_add_f64 v[13:14], v[13:14], v[17:18]
	s_waitcnt vmcnt(41) lgkmcnt(1)
	v_mul_f64 v[17:18], v[1:2], v[33:34]
	v_mul_f64 v[33:34], v[3:4], v[33:34]
	s_waitcnt vmcnt(40)
	v_fma_f64 v[53:54], v[5:6], v[125:126], -v[57:58]
	v_add_f64 v[15:16], v[15:16], v[21:22]
	v_fma_f64 v[21:22], v[7:8], v[125:126], v[43:44]
	v_add_f64 v[13:14], v[13:14], v[27:28]
	ds_read_b128 v[5:8], v70 offset:1792
	s_waitcnt vmcnt(39) lgkmcnt(1)
	v_mul_f64 v[43:44], v[11:12], v[97:98]
	v_mul_f64 v[27:28], v[9:10], v[97:98]
	s_waitcnt vmcnt(37)
	v_fma_f64 v[33:34], v[1:2], v[25:26], -v[33:34]
	v_fma_f64 v[17:18], v[3:4], v[25:26], v[17:18]
	ds_read_b128 v[1:4], v70 offset:1808
	v_add_f64 v[15:16], v[15:16], v[53:54]
	v_add_f64 v[13:14], v[13:14], v[21:22]
	s_waitcnt vmcnt(33) lgkmcnt(1)
	v_mul_f64 v[21:22], v[5:6], v[19:20]
	v_mul_f64 v[19:20], v[7:8], v[19:20]
	s_waitcnt vmcnt(32)
	v_fma_f64 v[25:26], v[9:10], v[123:124], -v[43:44]
	v_fma_f64 v[27:28], v[11:12], v[123:124], v[27:28]
	ds_read_b128 v[9:12], v70 offset:1824
	v_add_f64 v[15:16], v[15:16], v[33:34]
	v_add_f64 v[13:14], v[13:14], v[17:18]
	;; [unrolled: 9-line block ×5, first 2 shown]
	s_waitcnt vmcnt(17) lgkmcnt(1)
	v_mul_f64 v[27:28], v[3:4], v[29:30]
	s_waitcnt vmcnt(16)
	v_fma_f64 v[21:22], v[5:6], v[99:100], -v[21:22]
	v_mul_f64 v[17:18], v[1:2], v[29:30]
	v_fma_f64 v[19:20], v[7:8], v[99:100], v[19:20]
	ds_read_b128 v[5:8], v70 offset:1888
	v_add_f64 v[15:16], v[15:16], v[23:24]
	v_add_f64 v[13:14], v[13:14], v[25:26]
	s_waitcnt vmcnt(15) lgkmcnt(1)
	v_mul_f64 v[25:26], v[11:12], v[51:52]
	v_mul_f64 v[23:24], v[9:10], v[51:52]
	s_waitcnt vmcnt(13)
	v_fma_f64 v[27:28], v[1:2], v[39:40], -v[27:28]
	v_fma_f64 v[17:18], v[3:4], v[39:40], v[17:18]
	ds_read_b128 v[1:4], v70 offset:1904
	v_add_f64 v[15:16], v[15:16], v[21:22]
	v_add_f64 v[13:14], v[13:14], v[19:20]
	s_waitcnt vmcnt(9) lgkmcnt(1)
	v_mul_f64 v[21:22], v[7:8], v[35:36]
	s_waitcnt vmcnt(8)
	v_fma_f64 v[9:10], v[9:10], v[93:94], -v[25:26]
	v_mul_f64 v[19:20], v[5:6], v[35:36]
	v_fma_f64 v[11:12], v[11:12], v[93:94], v[23:24]
	v_add_f64 v[15:16], v[15:16], v[27:28]
	v_add_f64 v[13:14], v[13:14], v[17:18]
	s_waitcnt vmcnt(7) lgkmcnt(0)
	v_mul_f64 v[23:24], v[3:4], v[59:60]
	v_mul_f64 v[17:18], v[1:2], v[59:60]
	s_waitcnt vmcnt(5)
	v_fma_f64 v[5:6], v[5:6], v[47:48], -v[21:22]
	v_fma_f64 v[7:8], v[7:8], v[47:48], v[19:20]
	v_add_f64 v[9:10], v[15:16], v[9:10]
	v_add_f64 v[11:12], v[13:14], v[11:12]
	s_waitcnt vmcnt(4)
	v_fma_f64 v[1:2], v[1:2], v[65:66], -v[23:24]
	v_fma_f64 v[3:4], v[3:4], v[65:66], v[17:18]
	v_add_f64 v[5:6], v[9:10], v[5:6]
	v_add_f64 v[7:8], v[11:12], v[7:8]
	;; [unrolled: 1-line block ×4, first 2 shown]
	s_waitcnt vmcnt(2)
	v_add_f64 v[1:2], v[49:50], -v[1:2]
	s_waitcnt vmcnt(0)
	v_add_f64 v[3:4], v[55:56], -v[3:4]
	buffer_store_dword v2, off, s[0:3], 0 offset:212
	buffer_store_dword v1, off, s[0:3], 0 offset:208
	;; [unrolled: 1-line block ×4, first 2 shown]
	v_cmpx_lt_u32_e32 11, v0
	s_cbranch_execz .LBB59_351
; %bb.350:
	v_mov_b32_e32 v4, s58
	s_clause 0x3
	buffer_load_dword v1, v4, s[0:3], 0 offen
	buffer_load_dword v2, v4, s[0:3], 0 offen offset:4
	buffer_load_dword v3, v4, s[0:3], 0 offen offset:8
	;; [unrolled: 1-line block ×3, first 2 shown]
	buffer_store_dword v70, off, s[0:3], 0 offset:192
	buffer_store_dword v70, off, s[0:3], 0 offset:196
	;; [unrolled: 1-line block ×4, first 2 shown]
	s_waitcnt vmcnt(0)
	ds_write_b128 v69, v[1:4]
.LBB59_351:
	s_or_b32 exec_lo, exec_lo, s4
	s_waitcnt lgkmcnt(0)
	s_waitcnt_vscnt null, 0x0
	s_barrier
	buffer_gl0_inv
	s_clause 0x37
	buffer_load_dword v17, off, s[0:3], 0 offset:216
	buffer_load_dword v18, off, s[0:3], 0 offset:220
	;; [unrolled: 1-line block ×56, first 2 shown]
	ds_read_b128 v[5:8], v70 offset:1152
	s_clause 0x2
	buffer_load_dword v66, off, s[0:3], 0 offset:444
	buffer_load_dword v68, off, s[0:3], 0 offset:420
	;; [unrolled: 1-line block ×3, first 2 shown]
	ds_read_b128 v[1:4], v70 offset:1168
	s_clause 0x4
	buffer_load_dword v100, off, s[0:3], 0 offset:460
	buffer_load_dword v109, off, s[0:3], 0 offset:472
	;; [unrolled: 1-line block ×5, first 2 shown]
	ds_read_b128 v[93:96], v70 offset:1184
	s_mov_b32 s4, exec_lo
	s_waitcnt vmcnt(62) lgkmcnt(2)
	v_mul_f64 v[97:98], v[7:8], v[17:18]
	v_mul_f64 v[17:18], v[5:6], v[17:18]
	s_waitcnt vmcnt(60) lgkmcnt(1)
	v_mul_f64 v[112:113], v[3:4], v[13:14]
	v_mul_f64 v[13:14], v[1:2], v[13:14]
	;; [unrolled: 3-line block ×3, first 2 shown]
	v_fma_f64 v[97:98], v[5:6], v[15:16], -v[97:98]
	v_fma_f64 v[15:16], v[7:8], v[15:16], v[17:18]
	s_clause 0x2
	buffer_load_dword v110, off, s[0:3], 0 offset:476
	buffer_load_dword v18, off, s[0:3], 0 offset:452
	;; [unrolled: 1-line block ×3, first 2 shown]
	s_waitcnt vmcnt(57)
	v_fma_f64 v[123:124], v[1:2], v[9:10], -v[112:113]
	ds_read_b128 v[5:8], v70 offset:1200
	v_fma_f64 v[9:10], v[3:4], v[9:10], v[13:14]
	s_waitcnt vmcnt(51)
	v_fma_f64 v[93:94], v[93:94], v[33:34], -v[11:12]
	v_fma_f64 v[33:34], v[95:96], v[33:34], v[114:115]
	v_add_f64 v[97:98], v[97:98], 0
	v_add_f64 v[13:14], v[15:16], 0
	s_clause 0x4
	buffer_load_dword v16, off, s[0:3], 0 offset:492
	buffer_load_dword v113, off, s[0:3], 0 offset:504
	;; [unrolled: 1-line block ×5, first 2 shown]
	s_waitcnt lgkmcnt(0)
	v_mul_f64 v[126:127], v[5:6], v[21:22]
	v_mul_f64 v[21:22], v[7:8], v[21:22]
	ds_read_b128 v[1:4], v70 offset:1216
	s_clause 0x2
	buffer_load_dword v114, off, s[0:3], 0 offset:508
	buffer_load_dword v96, off, s[0:3], 0 offset:484
	;; [unrolled: 1-line block ×3, first 2 shown]
	v_add_f64 v[97:98], v[97:98], v[123:124]
	v_add_f64 v[13:14], v[13:14], v[9:10]
	ds_read_b128 v[9:12], v70 offset:1232
	s_waitcnt vmcnt(58) lgkmcnt(1)
	v_mul_f64 v[115:116], v[1:2], v[25:26]
	v_mul_f64 v[25:26], v[3:4], v[25:26]
	s_waitcnt vmcnt(56)
	v_fma_f64 v[21:22], v[5:6], v[27:28], -v[21:22]
	v_fma_f64 v[27:28], v[7:8], v[27:28], v[126:127]
	s_waitcnt vmcnt(52) lgkmcnt(0)
	v_mul_f64 v[127:128], v[9:10], v[29:30]
	v_add_f64 v[93:94], v[97:98], v[93:94]
	v_add_f64 v[13:14], v[13:14], v[33:34]
	s_clause 0x4
	buffer_load_dword v34, off, s[0:3], 0 offset:524
	buffer_load_dword v97, off, s[0:3], 0 offset:536
	;; [unrolled: 1-line block ×5, first 2 shown]
	v_mul_f64 v[29:30], v[11:12], v[29:30]
	s_waitcnt vmcnt(56)
	v_fma_f64 v[25:26], v[1:2], v[19:20], -v[25:26]
	ds_read_b128 v[5:8], v70 offset:1248
	v_fma_f64 v[19:20], v[3:4], v[19:20], v[115:116]
	v_add_f64 v[21:22], v[93:94], v[21:22]
	v_add_f64 v[13:14], v[13:14], v[27:28]
	s_clause 0x2
	buffer_load_dword v98, off, s[0:3], 0 offset:540
	buffer_load_dword v28, off, s[0:3], 0 offset:516
	;; [unrolled: 1-line block ×3, first 2 shown]
	s_waitcnt vmcnt(58) lgkmcnt(0)
	v_mul_f64 v[93:94], v[5:6], v[35:36]
	v_mul_f64 v[35:36], v[7:8], v[35:36]
	s_waitcnt vmcnt(56)
	v_fma_f64 v[29:30], v[9:10], v[37:38], -v[29:30]
	ds_read_b128 v[1:4], v70 offset:1264
	v_add_f64 v[21:22], v[21:22], v[25:26]
	v_fma_f64 v[25:26], v[11:12], v[37:38], v[127:128]
	v_add_f64 v[13:14], v[13:14], v[19:20]
	s_clause 0x4
	buffer_load_dword v20, off, s[0:3], 0 offset:556
	buffer_load_dword v37, off, s[0:3], 0 offset:568
	;; [unrolled: 1-line block ×5, first 2 shown]
	s_waitcnt vmcnt(57) lgkmcnt(0)
	v_mul_f64 v[127:128], v[1:2], v[39:40]
	v_mul_f64 v[39:40], v[3:4], v[39:40]
	s_waitcnt vmcnt(56)
	v_fma_f64 v[35:36], v[5:6], v[23:24], -v[35:36]
	ds_read_b128 v[9:12], v70 offset:1280
	v_fma_f64 v[23:24], v[7:8], v[23:24], v[93:94]
	v_add_f64 v[21:22], v[21:22], v[29:30]
	v_add_f64 v[13:14], v[13:14], v[25:26]
	s_clause 0x2
	buffer_load_dword v38, off, s[0:3], 0 offset:572
	buffer_load_dword v26, off, s[0:3], 0 offset:548
	;; [unrolled: 1-line block ×3, first 2 shown]
	ds_read_b128 v[5:8], v70 offset:1296
	s_waitcnt vmcnt(58) lgkmcnt(1)
	v_mul_f64 v[29:30], v[9:10], v[43:44]
	v_mul_f64 v[43:44], v[11:12], v[43:44]
	s_waitcnt vmcnt(56)
	v_fma_f64 v[39:40], v[1:2], v[45:46], -v[39:40]
	v_add_f64 v[21:22], v[21:22], v[35:36]
	v_fma_f64 v[35:36], v[3:4], v[45:46], v[127:128]
	v_add_f64 v[13:14], v[13:14], v[23:24]
	s_clause 0x4
	buffer_load_dword v24, off, s[0:3], 0 offset:588
	buffer_load_dword v45, off, s[0:3], 0 offset:600
	;; [unrolled: 1-line block ×5, first 2 shown]
	s_waitcnt vmcnt(57) lgkmcnt(0)
	v_mul_f64 v[127:128], v[5:6], v[47:48]
	v_mul_f64 v[47:48], v[7:8], v[47:48]
	s_waitcnt vmcnt(56)
	v_fma_f64 v[43:44], v[9:10], v[31:32], -v[43:44]
	ds_read_b128 v[1:4], v70 offset:1312
	v_fma_f64 v[29:30], v[11:12], v[31:32], v[29:30]
	s_clause 0x2
	buffer_load_dword v46, off, s[0:3], 0 offset:604
	buffer_load_dword v32, off, s[0:3], 0 offset:580
	;; [unrolled: 1-line block ×3, first 2 shown]
	ds_read_b128 v[9:12], v70 offset:1328
	v_add_f64 v[21:22], v[21:22], v[39:40]
	v_add_f64 v[13:14], v[13:14], v[35:36]
	s_waitcnt vmcnt(58) lgkmcnt(1)
	v_mul_f64 v[39:40], v[3:4], v[51:52]
	s_waitcnt vmcnt(56)
	v_fma_f64 v[47:48], v[5:6], v[53:54], -v[47:48]
	v_mul_f64 v[35:36], v[1:2], v[51:52]
	v_add_f64 v[21:22], v[21:22], v[43:44]
	v_fma_f64 v[43:44], v[7:8], v[53:54], v[127:128]
	v_add_f64 v[13:14], v[13:14], v[29:30]
	s_clause 0x4
	buffer_load_dword v30, off, s[0:3], 0 offset:620
	buffer_load_dword v51, off, s[0:3], 0 offset:632
	;; [unrolled: 1-line block ×5, first 2 shown]
	s_waitcnt vmcnt(57) lgkmcnt(0)
	v_mul_f64 v[127:128], v[9:10], v[55:56]
	v_mul_f64 v[54:55], v[11:12], v[55:56]
	s_waitcnt vmcnt(56)
	v_fma_f64 v[39:40], v[1:2], v[41:42], -v[39:40]
	ds_read_b128 v[5:8], v70 offset:1344
	v_fma_f64 v[35:36], v[3:4], v[41:42], v[35:36]
	s_clause 0x2
	buffer_load_dword v52, off, s[0:3], 0 offset:636
	buffer_load_dword v42, off, s[0:3], 0 offset:612
	;; [unrolled: 1-line block ×3, first 2 shown]
	ds_read_b128 v[1:4], v70 offset:1360
	v_add_f64 v[21:22], v[21:22], v[47:48]
	v_add_f64 v[13:14], v[13:14], v[43:44]
	s_waitcnt vmcnt(58) lgkmcnt(1)
	v_mul_f64 v[47:48], v[7:8], v[59:60]
	s_waitcnt vmcnt(56)
	v_fma_f64 v[55:56], v[9:10], v[61:62], -v[54:55]
	v_mul_f64 v[43:44], v[5:6], v[59:60]
	v_add_f64 v[21:22], v[21:22], v[39:40]
	v_fma_f64 v[39:40], v[11:12], v[61:62], v[127:128]
	v_add_f64 v[13:14], v[13:14], v[35:36]
	s_clause 0x4
	buffer_load_dword v36, off, s[0:3], 0 offset:652
	buffer_load_dword v59, off, s[0:3], 0 offset:664
	;; [unrolled: 1-line block ×5, first 2 shown]
	s_waitcnt vmcnt(57) lgkmcnt(0)
	v_mul_f64 v[127:128], v[1:2], v[63:64]
	v_mul_f64 v[62:63], v[3:4], v[63:64]
	s_waitcnt vmcnt(56)
	v_fma_f64 v[47:48], v[5:6], v[49:50], -v[47:48]
	ds_read_b128 v[9:12], v70 offset:1376
	v_fma_f64 v[43:44], v[7:8], v[49:50], v[43:44]
	v_add_f64 v[21:22], v[21:22], v[55:56]
	v_add_f64 v[13:14], v[13:14], v[39:40]
	s_clause 0x2
	buffer_load_dword v60, off, s[0:3], 0 offset:668
	buffer_load_dword v40, off, s[0:3], 0 offset:644
	;; [unrolled: 1-line block ×3, first 2 shown]
	ds_read_b128 v[5:8], v70 offset:1392
	s_waitcnt vmcnt(58) lgkmcnt(1)
	v_mul_f64 v[55:56], v[11:12], v[65:66]
	s_waitcnt vmcnt(56)
	v_fma_f64 v[63:64], v[1:2], v[67:68], -v[62:63]
	v_mul_f64 v[49:50], v[9:10], v[65:66]
	v_add_f64 v[21:22], v[21:22], v[47:48]
	v_fma_f64 v[47:48], v[3:4], v[67:68], v[127:128]
	v_add_f64 v[13:14], v[13:14], v[43:44]
	s_clause 0x4
	buffer_load_dword v44, off, s[0:3], 0 offset:684
	buffer_load_dword v65, off, s[0:3], 0 offset:696
	;; [unrolled: 1-line block ×5, first 2 shown]
	s_waitcnt vmcnt(57) lgkmcnt(0)
	v_mul_f64 v[127:128], v[5:6], v[99:100]
	v_mul_f64 v[99:100], v[7:8], v[99:100]
	s_waitcnt vmcnt(56)
	v_fma_f64 v[55:56], v[9:10], v[57:58], -v[55:56]
	ds_read_b128 v[1:4], v70 offset:1408
	v_fma_f64 v[49:50], v[11:12], v[57:58], v[49:50]
	v_add_f64 v[21:22], v[21:22], v[63:64]
	v_add_f64 v[13:14], v[13:14], v[47:48]
	s_clause 0x2
	buffer_load_dword v66, off, s[0:3], 0 offset:700
	buffer_load_dword v48, off, s[0:3], 0 offset:676
	;; [unrolled: 1-line block ×3, first 2 shown]
	ds_read_b128 v[9:12], v70 offset:1424
	s_waitcnt vmcnt(58) lgkmcnt(1)
	v_mul_f64 v[63:64], v[3:4], v[109:110]
	v_mul_f64 v[57:58], v[1:2], v[109:110]
	s_waitcnt vmcnt(56)
	v_fma_f64 v[99:100], v[5:6], v[17:18], -v[99:100]
	v_fma_f64 v[17:18], v[7:8], v[17:18], v[127:128]
	v_add_f64 v[21:22], v[21:22], v[55:56]
	v_add_f64 v[13:14], v[13:14], v[49:50]
	s_clause 0x4
	buffer_load_dword v50, off, s[0:3], 0 offset:716
	buffer_load_dword v55, off, s[0:3], 0 offset:728
	;; [unrolled: 1-line block ×5, first 2 shown]
	ds_read_b128 v[5:8], v70 offset:1440
	s_waitcnt vmcnt(57) lgkmcnt(1)
	v_mul_f64 v[127:128], v[9:10], v[15:16]
	v_mul_f64 v[15:16], v[11:12], v[15:16]
	s_waitcnt vmcnt(56)
	v_fma_f64 v[63:64], v[1:2], v[111:112], -v[63:64]
	v_fma_f64 v[57:58], v[3:4], v[111:112], v[57:58]
	v_add_f64 v[21:22], v[21:22], v[99:100]
	v_add_f64 v[13:14], v[13:14], v[17:18]
	s_clause 0x2
	buffer_load_dword v56, off, s[0:3], 0 offset:732
	buffer_load_dword v18, off, s[0:3], 0 offset:708
	;; [unrolled: 1-line block ×3, first 2 shown]
	s_waitcnt vmcnt(58) lgkmcnt(0)
	v_mul_f64 v[111:112], v[7:8], v[113:114]
	ds_read_b128 v[1:4], v70 offset:1456
	v_mul_f64 v[99:100], v[5:6], v[113:114]
	s_waitcnt vmcnt(56)
	v_fma_f64 v[15:16], v[9:10], v[95:96], -v[15:16]
	v_add_f64 v[21:22], v[21:22], v[63:64]
	v_fma_f64 v[63:64], v[11:12], v[95:96], v[127:128]
	v_add_f64 v[13:14], v[13:14], v[57:58]
	s_clause 0x4
	buffer_load_dword v58, off, s[0:3], 0 offset:748
	buffer_load_dword v95, off, s[0:3], 0 offset:760
	;; [unrolled: 1-line block ×5, first 2 shown]
	ds_read_b128 v[9:12], v70 offset:1472
	s_waitcnt vmcnt(57) lgkmcnt(1)
	v_mul_f64 v[127:128], v[1:2], v[33:34]
	v_mul_f64 v[33:34], v[3:4], v[33:34]
	s_waitcnt vmcnt(56)
	v_fma_f64 v[111:112], v[5:6], v[125:126], -v[111:112]
	v_add_f64 v[15:16], v[21:22], v[15:16]
	v_fma_f64 v[21:22], v[7:8], v[125:126], v[99:100]
	v_add_f64 v[13:14], v[13:14], v[63:64]
	s_clause 0x2
	buffer_load_dword v96, off, s[0:3], 0 offset:764
	buffer_load_dword v64, off, s[0:3], 0 offset:740
	;; [unrolled: 1-line block ×3, first 2 shown]
	ds_read_b128 v[5:8], v70 offset:1488
	s_waitcnt vmcnt(58) lgkmcnt(1)
	v_mul_f64 v[99:100], v[9:10], v[97:98]
	v_mul_f64 v[97:98], v[11:12], v[97:98]
	s_waitcnt vmcnt(56)
	v_fma_f64 v[33:34], v[1:2], v[27:28], -v[33:34]
	v_fma_f64 v[27:28], v[3:4], v[27:28], v[127:128]
	v_add_f64 v[15:16], v[15:16], v[111:112]
	v_add_f64 v[13:14], v[13:14], v[21:22]
	s_clause 0x4
	buffer_load_dword v22, off, s[0:3], 0 offset:780
	buffer_load_dword v111, off, s[0:3], 0 offset:792
	;; [unrolled: 1-line block ×5, first 2 shown]
	ds_read_b128 v[1:4], v70 offset:1504
	s_waitcnt vmcnt(57) lgkmcnt(1)
	v_mul_f64 v[126:127], v[5:6], v[19:20]
	v_mul_f64 v[19:20], v[7:8], v[19:20]
	s_waitcnt vmcnt(56)
	v_fma_f64 v[97:98], v[9:10], v[123:124], -v[97:98]
	v_add_f64 v[15:16], v[15:16], v[33:34]
	v_fma_f64 v[33:34], v[11:12], v[123:124], v[99:100]
	v_add_f64 v[13:14], v[13:14], v[27:28]
	s_clause 0x2
	buffer_load_dword v112, off, s[0:3], 0 offset:796
	buffer_load_dword v28, off, s[0:3], 0 offset:772
	buffer_load_dword v27, off, s[0:3], 0 offset:768
	ds_read_b128 v[9:12], v70 offset:1520
	s_waitcnt vmcnt(58) lgkmcnt(1)
	v_mul_f64 v[99:100], v[1:2], v[37:38]
	v_mul_f64 v[37:38], v[3:4], v[37:38]
	s_waitcnt vmcnt(56)
	v_fma_f64 v[19:20], v[5:6], v[25:26], -v[19:20]
	v_fma_f64 v[25:26], v[7:8], v[25:26], v[126:127]
	v_add_f64 v[15:16], v[15:16], v[97:98]
	v_add_f64 v[13:14], v[13:14], v[33:34]
	s_clause 0x4
	buffer_load_dword v34, off, s[0:3], 0 offset:812
	buffer_load_dword v97, off, s[0:3], 0 offset:824
	;; [unrolled: 1-line block ×5, first 2 shown]
	ds_read_b128 v[5:8], v70 offset:1536
	s_waitcnt vmcnt(57) lgkmcnt(1)
	v_mul_f64 v[127:128], v[9:10], v[23:24]
	v_mul_f64 v[23:24], v[11:12], v[23:24]
	s_waitcnt vmcnt(56)
	v_fma_f64 v[37:38], v[1:2], v[115:116], -v[37:38]
	v_add_f64 v[15:16], v[15:16], v[19:20]
	v_fma_f64 v[19:20], v[3:4], v[115:116], v[99:100]
	v_add_f64 v[13:14], v[13:14], v[25:26]
	s_clause 0x2
	buffer_load_dword v98, off, s[0:3], 0 offset:828
	buffer_load_dword v26, off, s[0:3], 0 offset:804
	;; [unrolled: 1-line block ×3, first 2 shown]
	s_waitcnt vmcnt(58) lgkmcnt(0)
	v_mul_f64 v[99:100], v[5:6], v[45:46]
	v_mul_f64 v[45:46], v[7:8], v[45:46]
	ds_read_b128 v[1:4], v70 offset:1552
	s_waitcnt vmcnt(56)
	v_fma_f64 v[23:24], v[9:10], v[31:32], -v[23:24]
	v_fma_f64 v[31:32], v[11:12], v[31:32], v[127:128]
	v_add_f64 v[15:16], v[15:16], v[37:38]
	v_add_f64 v[13:14], v[13:14], v[19:20]
	s_clause 0x4
	buffer_load_dword v20, off, s[0:3], 0 offset:844
	buffer_load_dword v37, off, s[0:3], 0 offset:856
	;; [unrolled: 1-line block ×5, first 2 shown]
	ds_read_b128 v[9:12], v70 offset:1568
	s_waitcnt vmcnt(57) lgkmcnt(1)
	v_mul_f64 v[127:128], v[1:2], v[29:30]
	v_mul_f64 v[29:30], v[3:4], v[29:30]
	s_waitcnt vmcnt(56)
	v_fma_f64 v[45:46], v[5:6], v[93:94], -v[45:46]
	v_add_f64 v[15:16], v[15:16], v[23:24]
	v_fma_f64 v[23:24], v[7:8], v[93:94], v[99:100]
	v_add_f64 v[13:14], v[13:14], v[31:32]
	s_clause 0x2
	buffer_load_dword v38, off, s[0:3], 0 offset:860
	buffer_load_dword v32, off, s[0:3], 0 offset:836
	;; [unrolled: 1-line block ×3, first 2 shown]
	s_waitcnt vmcnt(58) lgkmcnt(0)
	v_mul_f64 v[93:94], v[9:10], v[51:52]
	v_mul_f64 v[51:52], v[11:12], v[51:52]
	ds_read_b128 v[5:8], v70 offset:1584
	s_waitcnt vmcnt(56)
	v_fma_f64 v[29:30], v[1:2], v[41:42], -v[29:30]
	v_fma_f64 v[41:42], v[3:4], v[41:42], v[127:128]
	v_add_f64 v[15:16], v[15:16], v[45:46]
	v_add_f64 v[13:14], v[13:14], v[23:24]
	s_clause 0x4
	buffer_load_dword v24, off, s[0:3], 0 offset:876
	buffer_load_dword v45, off, s[0:3], 0 offset:888
	buffer_load_dword v99, off, s[0:3], 0 offset:880
	buffer_load_dword v23, off, s[0:3], 0 offset:872
	buffer_load_dword v116, off, s[0:3], 0 offset:852
	ds_read_b128 v[1:4], v70 offset:1600
	s_waitcnt vmcnt(57) lgkmcnt(1)
	v_mul_f64 v[127:128], v[5:6], v[35:36]
	v_mul_f64 v[35:36], v[7:8], v[35:36]
	s_waitcnt vmcnt(56)
	v_fma_f64 v[51:52], v[9:10], v[53:54], -v[51:52]
	v_add_f64 v[15:16], v[15:16], v[29:30]
	v_fma_f64 v[29:30], v[11:12], v[53:54], v[93:94]
	v_add_f64 v[13:14], v[13:14], v[41:42]
	s_clause 0x2
	buffer_load_dword v46, off, s[0:3], 0 offset:892
	buffer_load_dword v42, off, s[0:3], 0 offset:868
	buffer_load_dword v41, off, s[0:3], 0 offset:864
	ds_read_b128 v[9:12], v70 offset:1616
	s_waitcnt vmcnt(58) lgkmcnt(1)
	v_mul_f64 v[53:54], v[1:2], v[59:60]
	v_mul_f64 v[59:60], v[3:4], v[59:60]
	s_waitcnt vmcnt(56)
	v_fma_f64 v[35:36], v[5:6], v[39:40], -v[35:36]
	v_fma_f64 v[39:40], v[7:8], v[39:40], v[127:128]
	v_add_f64 v[15:16], v[15:16], v[51:52]
	v_add_f64 v[13:14], v[13:14], v[29:30]
	s_clause 0x4
	buffer_load_dword v30, off, s[0:3], 0 offset:908
	buffer_load_dword v51, off, s[0:3], 0 offset:920
	buffer_load_dword v93, off, s[0:3], 0 offset:912
	buffer_load_dword v29, off, s[0:3], 0 offset:904
	buffer_load_dword v100, off, s[0:3], 0 offset:884
	ds_read_b128 v[5:8], v70 offset:1632
	s_waitcnt vmcnt(57) lgkmcnt(1)
	v_mul_f64 v[127:128], v[9:10], v[43:44]
	v_mul_f64 v[43:44], v[11:12], v[43:44]
	s_waitcnt vmcnt(56)
	v_fma_f64 v[59:60], v[1:2], v[61:62], -v[59:60]
	v_add_f64 v[15:16], v[15:16], v[35:36]
	v_fma_f64 v[35:36], v[3:4], v[61:62], v[53:54]
	v_add_f64 v[13:14], v[13:14], v[39:40]
	s_clause 0x2
	buffer_load_dword v52, off, s[0:3], 0 offset:924
	buffer_load_dword v40, off, s[0:3], 0 offset:900
	buffer_load_dword v39, off, s[0:3], 0 offset:896
	ds_read_b128 v[1:4], v70 offset:1648
	s_waitcnt vmcnt(58) lgkmcnt(1)
	v_mul_f64 v[61:62], v[7:8], v[65:66]
	v_mul_f64 v[53:54], v[5:6], v[65:66]
	s_waitcnt vmcnt(56)
	v_fma_f64 v[43:44], v[9:10], v[47:48], -v[43:44]
	v_fma_f64 v[47:48], v[11:12], v[47:48], v[127:128]
	v_add_f64 v[15:16], v[15:16], v[59:60]
	v_add_f64 v[13:14], v[13:14], v[35:36]
	s_clause 0x4
	buffer_load_dword v36, off, s[0:3], 0 offset:940
	buffer_load_dword v59, off, s[0:3], 0 offset:952
	buffer_load_dword v65, off, s[0:3], 0 offset:944
	buffer_load_dword v35, off, s[0:3], 0 offset:936
	buffer_load_dword v94, off, s[0:3], 0 offset:916
	ds_read_b128 v[9:12], v70 offset:1664
	s_waitcnt vmcnt(57) lgkmcnt(1)
	v_mul_f64 v[127:128], v[1:2], v[49:50]
	v_mul_f64 v[49:50], v[3:4], v[49:50]
	s_waitcnt vmcnt(56)
	v_fma_f64 v[61:62], v[5:6], v[67:68], -v[61:62]
	v_add_f64 v[15:16], v[15:16], v[43:44]
	v_fma_f64 v[43:44], v[7:8], v[67:68], v[53:54]
	v_add_f64 v[13:14], v[13:14], v[47:48]
	s_clause 0x2
	buffer_load_dword v60, off, s[0:3], 0 offset:956
	buffer_load_dword v48, off, s[0:3], 0 offset:932
	buffer_load_dword v47, off, s[0:3], 0 offset:928
	ds_read_b128 v[5:8], v70 offset:1680
	s_waitcnt vmcnt(58) lgkmcnt(1)
	v_mul_f64 v[53:54], v[9:10], v[55:56]
	v_mul_f64 v[55:56], v[11:12], v[55:56]
	s_waitcnt vmcnt(56)
	v_fma_f64 v[49:50], v[1:2], v[17:18], -v[49:50]
	v_fma_f64 v[17:18], v[3:4], v[17:18], v[127:128]
	v_add_f64 v[15:16], v[15:16], v[61:62]
	v_add_f64 v[13:14], v[13:14], v[43:44]
	s_clause 0x2
	buffer_load_dword v44, off, s[0:3], 0 offset:972
	buffer_load_dword v43, off, s[0:3], 0 offset:968
	;; [unrolled: 1-line block ×3, first 2 shown]
	ds_read_b128 v[1:4], v70 offset:1696
	s_waitcnt vmcnt(55) lgkmcnt(1)
	v_mul_f64 v[61:62], v[5:6], v[57:58]
	v_mul_f64 v[57:58], v[7:8], v[57:58]
	s_waitcnt vmcnt(54)
	v_fma_f64 v[55:56], v[9:10], v[109:110], -v[55:56]
	v_add_f64 v[15:16], v[15:16], v[49:50]
	v_fma_f64 v[49:50], v[11:12], v[109:110], v[53:54]
	v_add_f64 v[13:14], v[13:14], v[17:18]
	s_clause 0x1
	buffer_load_dword v18, off, s[0:3], 0 offset:964
	buffer_load_dword v17, off, s[0:3], 0 offset:960
	ds_read_b128 v[9:12], v70 offset:1712
	s_waitcnt vmcnt(55) lgkmcnt(1)
	v_mul_f64 v[67:68], v[3:4], v[95:96]
	v_mul_f64 v[53:54], v[1:2], v[95:96]
	s_waitcnt vmcnt(53)
	v_fma_f64 v[57:58], v[5:6], v[63:64], -v[57:58]
	v_add_f64 v[15:16], v[15:16], v[55:56]
	v_fma_f64 v[55:56], v[7:8], v[63:64], v[61:62]
	v_add_f64 v[13:14], v[13:14], v[49:50]
	ds_read_b128 v[5:8], v70 offset:1728
	s_waitcnt vmcnt(49) lgkmcnt(1)
	v_mul_f64 v[49:50], v[9:10], v[21:22]
	v_mul_f64 v[21:22], v[11:12], v[21:22]
	s_waitcnt vmcnt(48)
	v_fma_f64 v[61:62], v[1:2], v[113:114], -v[67:68]
	v_fma_f64 v[53:54], v[3:4], v[113:114], v[53:54]
	v_add_f64 v[15:16], v[15:16], v[57:58]
	v_add_f64 v[13:14], v[13:14], v[55:56]
	s_clause 0x3
	buffer_load_dword v55, off, s[0:3], 0 offset:192
	buffer_load_dword v56, off, s[0:3], 0 offset:196
	;; [unrolled: 1-line block ×4, first 2 shown]
	ds_read_b128 v[1:4], v70 offset:1744
	s_waitcnt vmcnt(51) lgkmcnt(1)
	v_mul_f64 v[67:68], v[7:8], v[111:112]
	v_mul_f64 v[63:64], v[5:6], v[111:112]
	s_waitcnt vmcnt(49)
	v_fma_f64 v[21:22], v[9:10], v[27:28], -v[21:22]
	v_fma_f64 v[27:28], v[11:12], v[27:28], v[49:50]
	ds_read_b128 v[9:12], v70 offset:1760
	v_add_f64 v[15:16], v[15:16], v[61:62]
	v_add_f64 v[13:14], v[13:14], v[53:54]
	s_waitcnt vmcnt(45) lgkmcnt(1)
	v_mul_f64 v[49:50], v[1:2], v[33:34]
	v_mul_f64 v[33:34], v[3:4], v[33:34]
	s_waitcnt vmcnt(44)
	v_fma_f64 v[53:54], v[5:6], v[125:126], -v[67:68]
	v_add_f64 v[15:16], v[15:16], v[21:22]
	v_fma_f64 v[21:22], v[7:8], v[125:126], v[63:64]
	v_add_f64 v[13:14], v[13:14], v[27:28]
	ds_read_b128 v[5:8], v70 offset:1776
	s_waitcnt vmcnt(43) lgkmcnt(1)
	v_mul_f64 v[61:62], v[11:12], v[97:98]
	v_mul_f64 v[27:28], v[9:10], v[97:98]
	s_waitcnt vmcnt(41)
	v_fma_f64 v[33:34], v[1:2], v[25:26], -v[33:34]
	v_fma_f64 v[25:26], v[3:4], v[25:26], v[49:50]
	ds_read_b128 v[1:4], v70 offset:1792
	v_add_f64 v[15:16], v[15:16], v[53:54]
	v_add_f64 v[13:14], v[13:14], v[21:22]
	s_waitcnt vmcnt(37) lgkmcnt(1)
	v_mul_f64 v[21:22], v[5:6], v[19:20]
	v_mul_f64 v[19:20], v[7:8], v[19:20]
	s_waitcnt vmcnt(36)
	v_fma_f64 v[49:50], v[9:10], v[123:124], -v[61:62]
	v_fma_f64 v[27:28], v[11:12], v[123:124], v[27:28]
	ds_read_b128 v[9:12], v70 offset:1808
	v_add_f64 v[15:16], v[15:16], v[33:34]
	v_add_f64 v[13:14], v[13:14], v[25:26]
	;; [unrolled: 9-line block ×3, first 2 shown]
	s_waitcnt vmcnt(29) lgkmcnt(1)
	v_mul_f64 v[27:28], v[9:10], v[23:24]
	v_mul_f64 v[23:24], v[11:12], v[23:24]
	s_waitcnt vmcnt(28)
	v_fma_f64 v[31:32], v[1:2], v[115:116], -v[33:34]
	v_add_f64 v[15:16], v[15:16], v[19:20]
	v_fma_f64 v[19:20], v[3:4], v[115:116], v[25:26]
	v_add_f64 v[13:14], v[13:14], v[21:22]
	ds_read_b128 v[1:4], v70 offset:1840
	s_waitcnt vmcnt(27) lgkmcnt(1)
	v_mul_f64 v[25:26], v[7:8], v[45:46]
	v_mul_f64 v[21:22], v[5:6], v[45:46]
	s_waitcnt vmcnt(25)
	v_fma_f64 v[23:24], v[9:10], v[41:42], -v[23:24]
	v_fma_f64 v[27:28], v[11:12], v[41:42], v[27:28]
	ds_read_b128 v[9:12], v70 offset:1856
	v_add_f64 v[15:16], v[15:16], v[31:32]
	v_add_f64 v[13:14], v[13:14], v[19:20]
	s_waitcnt vmcnt(21) lgkmcnt(1)
	v_mul_f64 v[19:20], v[1:2], v[29:30]
	v_mul_f64 v[29:30], v[3:4], v[29:30]
	s_waitcnt vmcnt(20)
	v_fma_f64 v[25:26], v[5:6], v[99:100], -v[25:26]
	v_fma_f64 v[21:22], v[7:8], v[99:100], v[21:22]
	ds_read_b128 v[5:8], v70 offset:1872
	v_add_f64 v[15:16], v[15:16], v[23:24]
	v_add_f64 v[13:14], v[13:14], v[27:28]
	;; [unrolled: 9-line block ×3, first 2 shown]
	s_waitcnt vmcnt(13) lgkmcnt(1)
	v_mul_f64 v[25:26], v[7:8], v[35:36]
	s_waitcnt vmcnt(12)
	v_fma_f64 v[27:28], v[9:10], v[93:94], -v[27:28]
	v_mul_f64 v[21:22], v[5:6], v[35:36]
	v_fma_f64 v[23:24], v[11:12], v[93:94], v[23:24]
	ds_read_b128 v[9:12], v70 offset:1904
	v_add_f64 v[15:16], v[15:16], v[29:30]
	v_add_f64 v[13:14], v[13:14], v[19:20]
	s_waitcnt vmcnt(11) lgkmcnt(1)
	v_mul_f64 v[29:30], v[3:4], v[59:60]
	v_mul_f64 v[19:20], v[1:2], v[59:60]
	s_waitcnt vmcnt(9)
	v_fma_f64 v[5:6], v[5:6], v[47:48], -v[25:26]
	v_fma_f64 v[7:8], v[7:8], v[47:48], v[21:22]
	v_add_f64 v[15:16], v[15:16], v[27:28]
	v_add_f64 v[13:14], v[13:14], v[23:24]
	s_waitcnt vmcnt(7) lgkmcnt(0)
	v_mul_f64 v[23:24], v[11:12], v[43:44]
	s_waitcnt vmcnt(6)
	v_fma_f64 v[1:2], v[1:2], v[65:66], -v[29:30]
	v_mul_f64 v[21:22], v[9:10], v[43:44]
	v_fma_f64 v[3:4], v[3:4], v[65:66], v[19:20]
	v_add_f64 v[5:6], v[15:16], v[5:6]
	v_add_f64 v[7:8], v[13:14], v[7:8]
	s_waitcnt vmcnt(4)
	v_fma_f64 v[9:10], v[9:10], v[17:18], -v[23:24]
	v_add_f64 v[1:2], v[5:6], v[1:2]
	v_fma_f64 v[5:6], v[11:12], v[17:18], v[21:22]
	v_add_f64 v[3:4], v[7:8], v[3:4]
	v_add_f64 v[1:2], v[1:2], v[9:10]
	;; [unrolled: 1-line block ×3, first 2 shown]
	s_waitcnt vmcnt(2)
	v_add_f64 v[1:2], v[55:56], -v[1:2]
	s_waitcnt vmcnt(0)
	v_add_f64 v[3:4], v[57:58], -v[3:4]
	buffer_store_dword v2, off, s[0:3], 0 offset:196
	buffer_store_dword v1, off, s[0:3], 0 offset:192
	;; [unrolled: 1-line block ×4, first 2 shown]
	v_cmpx_lt_u32_e32 10, v0
	s_cbranch_execz .LBB59_353
; %bb.352:
	v_mov_b32_e32 v4, s60
	v_mov_b32_e32 v5, 0
	s_clause 0x3
	buffer_load_dword v1, v4, s[0:3], 0 offen
	buffer_load_dword v2, v4, s[0:3], 0 offen offset:4
	buffer_load_dword v3, v4, s[0:3], 0 offen offset:8
	;; [unrolled: 1-line block ×3, first 2 shown]
	buffer_store_dword v5, off, s[0:3], 0 offset:176
	buffer_store_dword v5, off, s[0:3], 0 offset:180
	;; [unrolled: 1-line block ×4, first 2 shown]
	s_waitcnt vmcnt(0)
	ds_write_b128 v69, v[1:4]
.LBB59_353:
	s_or_b32 exec_lo, exec_lo, s4
	s_waitcnt lgkmcnt(0)
	s_waitcnt_vscnt null, 0x0
	s_barrier
	buffer_gl0_inv
	s_clause 0x37
	buffer_load_dword v17, off, s[0:3], 0 offset:200
	buffer_load_dword v18, off, s[0:3], 0 offset:204
	;; [unrolled: 1-line block ×56, first 2 shown]
	v_mov_b32_e32 v70, 0
	s_mov_b32 s4, exec_lo
	ds_read_b128 v[5:8], v70 offset:1136
	s_clause 0x2
	buffer_load_dword v66, off, s[0:3], 0 offset:428
	buffer_load_dword v68, off, s[0:3], 0 offset:404
	;; [unrolled: 1-line block ×3, first 2 shown]
	ds_read_b128 v[1:4], v70 offset:1152
	s_clause 0x4
	buffer_load_dword v100, off, s[0:3], 0 offset:444
	buffer_load_dword v109, off, s[0:3], 0 offset:456
	;; [unrolled: 1-line block ×5, first 2 shown]
	ds_read_b128 v[93:96], v70 offset:1168
	s_waitcnt vmcnt(62) lgkmcnt(2)
	v_mul_f64 v[97:98], v[7:8], v[17:18]
	v_mul_f64 v[17:18], v[5:6], v[17:18]
	s_waitcnt vmcnt(60) lgkmcnt(1)
	v_mul_f64 v[112:113], v[3:4], v[13:14]
	v_mul_f64 v[13:14], v[1:2], v[13:14]
	;; [unrolled: 3-line block ×3, first 2 shown]
	v_fma_f64 v[97:98], v[5:6], v[15:16], -v[97:98]
	v_fma_f64 v[15:16], v[7:8], v[15:16], v[17:18]
	s_clause 0x2
	buffer_load_dword v110, off, s[0:3], 0 offset:460
	buffer_load_dword v18, off, s[0:3], 0 offset:436
	;; [unrolled: 1-line block ×3, first 2 shown]
	s_waitcnt vmcnt(57)
	v_fma_f64 v[123:124], v[1:2], v[9:10], -v[112:113]
	ds_read_b128 v[5:8], v70 offset:1184
	v_fma_f64 v[9:10], v[3:4], v[9:10], v[13:14]
	s_waitcnt vmcnt(51)
	v_fma_f64 v[93:94], v[93:94], v[33:34], -v[11:12]
	v_fma_f64 v[33:34], v[95:96], v[33:34], v[114:115]
	v_add_f64 v[97:98], v[97:98], 0
	v_add_f64 v[13:14], v[15:16], 0
	s_clause 0x4
	buffer_load_dword v16, off, s[0:3], 0 offset:476
	buffer_load_dword v113, off, s[0:3], 0 offset:488
	;; [unrolled: 1-line block ×5, first 2 shown]
	s_waitcnt lgkmcnt(0)
	v_mul_f64 v[126:127], v[5:6], v[21:22]
	v_mul_f64 v[21:22], v[7:8], v[21:22]
	ds_read_b128 v[1:4], v70 offset:1200
	s_clause 0x2
	buffer_load_dword v114, off, s[0:3], 0 offset:492
	buffer_load_dword v96, off, s[0:3], 0 offset:468
	;; [unrolled: 1-line block ×3, first 2 shown]
	v_add_f64 v[97:98], v[97:98], v[123:124]
	v_add_f64 v[13:14], v[13:14], v[9:10]
	ds_read_b128 v[9:12], v70 offset:1216
	s_waitcnt vmcnt(58) lgkmcnt(1)
	v_mul_f64 v[115:116], v[1:2], v[25:26]
	v_mul_f64 v[25:26], v[3:4], v[25:26]
	s_waitcnt vmcnt(56)
	v_fma_f64 v[21:22], v[5:6], v[27:28], -v[21:22]
	v_fma_f64 v[27:28], v[7:8], v[27:28], v[126:127]
	s_waitcnt vmcnt(52) lgkmcnt(0)
	v_mul_f64 v[127:128], v[9:10], v[29:30]
	v_add_f64 v[93:94], v[97:98], v[93:94]
	v_add_f64 v[13:14], v[13:14], v[33:34]
	s_clause 0x4
	buffer_load_dword v34, off, s[0:3], 0 offset:508
	buffer_load_dword v97, off, s[0:3], 0 offset:520
	;; [unrolled: 1-line block ×5, first 2 shown]
	v_mul_f64 v[29:30], v[11:12], v[29:30]
	s_waitcnt vmcnt(56)
	v_fma_f64 v[25:26], v[1:2], v[19:20], -v[25:26]
	ds_read_b128 v[5:8], v70 offset:1232
	v_fma_f64 v[19:20], v[3:4], v[19:20], v[115:116]
	v_add_f64 v[21:22], v[93:94], v[21:22]
	v_add_f64 v[13:14], v[13:14], v[27:28]
	s_clause 0x2
	buffer_load_dword v98, off, s[0:3], 0 offset:524
	buffer_load_dword v28, off, s[0:3], 0 offset:500
	;; [unrolled: 1-line block ×3, first 2 shown]
	s_waitcnt vmcnt(58) lgkmcnt(0)
	v_mul_f64 v[93:94], v[5:6], v[35:36]
	v_mul_f64 v[35:36], v[7:8], v[35:36]
	s_waitcnt vmcnt(56)
	v_fma_f64 v[29:30], v[9:10], v[37:38], -v[29:30]
	ds_read_b128 v[1:4], v70 offset:1248
	v_add_f64 v[21:22], v[21:22], v[25:26]
	v_fma_f64 v[25:26], v[11:12], v[37:38], v[127:128]
	v_add_f64 v[13:14], v[13:14], v[19:20]
	s_clause 0x4
	buffer_load_dword v20, off, s[0:3], 0 offset:540
	buffer_load_dword v37, off, s[0:3], 0 offset:552
	;; [unrolled: 1-line block ×5, first 2 shown]
	s_waitcnt vmcnt(57) lgkmcnt(0)
	v_mul_f64 v[127:128], v[1:2], v[39:40]
	v_mul_f64 v[39:40], v[3:4], v[39:40]
	s_waitcnt vmcnt(56)
	v_fma_f64 v[35:36], v[5:6], v[23:24], -v[35:36]
	ds_read_b128 v[9:12], v70 offset:1264
	v_fma_f64 v[23:24], v[7:8], v[23:24], v[93:94]
	v_add_f64 v[21:22], v[21:22], v[29:30]
	v_add_f64 v[13:14], v[13:14], v[25:26]
	s_clause 0x2
	buffer_load_dword v38, off, s[0:3], 0 offset:556
	buffer_load_dword v26, off, s[0:3], 0 offset:532
	;; [unrolled: 1-line block ×3, first 2 shown]
	ds_read_b128 v[5:8], v70 offset:1280
	s_waitcnt vmcnt(58) lgkmcnt(1)
	v_mul_f64 v[29:30], v[9:10], v[43:44]
	v_mul_f64 v[43:44], v[11:12], v[43:44]
	s_waitcnt vmcnt(56)
	v_fma_f64 v[39:40], v[1:2], v[45:46], -v[39:40]
	v_add_f64 v[21:22], v[21:22], v[35:36]
	v_fma_f64 v[35:36], v[3:4], v[45:46], v[127:128]
	v_add_f64 v[13:14], v[13:14], v[23:24]
	s_clause 0x4
	buffer_load_dword v24, off, s[0:3], 0 offset:572
	buffer_load_dword v45, off, s[0:3], 0 offset:584
	;; [unrolled: 1-line block ×5, first 2 shown]
	s_waitcnt vmcnt(57) lgkmcnt(0)
	v_mul_f64 v[127:128], v[5:6], v[47:48]
	v_mul_f64 v[47:48], v[7:8], v[47:48]
	s_waitcnt vmcnt(56)
	v_fma_f64 v[43:44], v[9:10], v[31:32], -v[43:44]
	ds_read_b128 v[1:4], v70 offset:1296
	v_fma_f64 v[29:30], v[11:12], v[31:32], v[29:30]
	s_clause 0x2
	buffer_load_dword v46, off, s[0:3], 0 offset:588
	buffer_load_dword v32, off, s[0:3], 0 offset:564
	;; [unrolled: 1-line block ×3, first 2 shown]
	ds_read_b128 v[9:12], v70 offset:1312
	v_add_f64 v[21:22], v[21:22], v[39:40]
	v_add_f64 v[13:14], v[13:14], v[35:36]
	s_waitcnt vmcnt(58) lgkmcnt(1)
	v_mul_f64 v[39:40], v[3:4], v[51:52]
	s_waitcnt vmcnt(56)
	v_fma_f64 v[47:48], v[5:6], v[53:54], -v[47:48]
	v_mul_f64 v[35:36], v[1:2], v[51:52]
	v_add_f64 v[21:22], v[21:22], v[43:44]
	v_fma_f64 v[43:44], v[7:8], v[53:54], v[127:128]
	v_add_f64 v[13:14], v[13:14], v[29:30]
	s_clause 0x4
	buffer_load_dword v30, off, s[0:3], 0 offset:604
	buffer_load_dword v51, off, s[0:3], 0 offset:616
	;; [unrolled: 1-line block ×5, first 2 shown]
	s_waitcnt vmcnt(57) lgkmcnt(0)
	v_mul_f64 v[127:128], v[9:10], v[55:56]
	v_mul_f64 v[54:55], v[11:12], v[55:56]
	s_waitcnt vmcnt(56)
	v_fma_f64 v[39:40], v[1:2], v[41:42], -v[39:40]
	ds_read_b128 v[5:8], v70 offset:1328
	v_fma_f64 v[35:36], v[3:4], v[41:42], v[35:36]
	s_clause 0x2
	buffer_load_dword v52, off, s[0:3], 0 offset:620
	buffer_load_dword v42, off, s[0:3], 0 offset:596
	;; [unrolled: 1-line block ×3, first 2 shown]
	ds_read_b128 v[1:4], v70 offset:1344
	v_add_f64 v[21:22], v[21:22], v[47:48]
	v_add_f64 v[13:14], v[13:14], v[43:44]
	s_waitcnt vmcnt(58) lgkmcnt(1)
	v_mul_f64 v[47:48], v[7:8], v[59:60]
	s_waitcnt vmcnt(56)
	v_fma_f64 v[55:56], v[9:10], v[61:62], -v[54:55]
	v_mul_f64 v[43:44], v[5:6], v[59:60]
	v_add_f64 v[21:22], v[21:22], v[39:40]
	v_fma_f64 v[39:40], v[11:12], v[61:62], v[127:128]
	v_add_f64 v[13:14], v[13:14], v[35:36]
	s_clause 0x4
	buffer_load_dword v36, off, s[0:3], 0 offset:636
	buffer_load_dword v59, off, s[0:3], 0 offset:648
	;; [unrolled: 1-line block ×5, first 2 shown]
	s_waitcnt vmcnt(57) lgkmcnt(0)
	v_mul_f64 v[127:128], v[1:2], v[63:64]
	v_mul_f64 v[62:63], v[3:4], v[63:64]
	s_waitcnt vmcnt(56)
	v_fma_f64 v[47:48], v[5:6], v[49:50], -v[47:48]
	ds_read_b128 v[9:12], v70 offset:1360
	v_fma_f64 v[43:44], v[7:8], v[49:50], v[43:44]
	v_add_f64 v[21:22], v[21:22], v[55:56]
	v_add_f64 v[13:14], v[13:14], v[39:40]
	s_clause 0x2
	buffer_load_dword v60, off, s[0:3], 0 offset:652
	buffer_load_dword v40, off, s[0:3], 0 offset:628
	;; [unrolled: 1-line block ×3, first 2 shown]
	ds_read_b128 v[5:8], v70 offset:1376
	s_waitcnt vmcnt(58) lgkmcnt(1)
	v_mul_f64 v[55:56], v[11:12], v[65:66]
	s_waitcnt vmcnt(56)
	v_fma_f64 v[63:64], v[1:2], v[67:68], -v[62:63]
	v_mul_f64 v[49:50], v[9:10], v[65:66]
	v_add_f64 v[21:22], v[21:22], v[47:48]
	v_fma_f64 v[47:48], v[3:4], v[67:68], v[127:128]
	v_add_f64 v[13:14], v[13:14], v[43:44]
	s_clause 0x4
	buffer_load_dword v44, off, s[0:3], 0 offset:668
	buffer_load_dword v65, off, s[0:3], 0 offset:680
	;; [unrolled: 1-line block ×5, first 2 shown]
	s_waitcnt vmcnt(57) lgkmcnt(0)
	v_mul_f64 v[127:128], v[5:6], v[99:100]
	v_mul_f64 v[99:100], v[7:8], v[99:100]
	s_waitcnt vmcnt(56)
	v_fma_f64 v[55:56], v[9:10], v[57:58], -v[55:56]
	ds_read_b128 v[1:4], v70 offset:1392
	v_fma_f64 v[49:50], v[11:12], v[57:58], v[49:50]
	v_add_f64 v[21:22], v[21:22], v[63:64]
	v_add_f64 v[13:14], v[13:14], v[47:48]
	s_clause 0x2
	buffer_load_dword v66, off, s[0:3], 0 offset:684
	buffer_load_dword v48, off, s[0:3], 0 offset:660
	buffer_load_dword v47, off, s[0:3], 0 offset:656
	ds_read_b128 v[9:12], v70 offset:1408
	s_waitcnt vmcnt(58) lgkmcnt(1)
	v_mul_f64 v[63:64], v[3:4], v[109:110]
	v_mul_f64 v[57:58], v[1:2], v[109:110]
	s_waitcnt vmcnt(56)
	v_fma_f64 v[99:100], v[5:6], v[17:18], -v[99:100]
	v_fma_f64 v[17:18], v[7:8], v[17:18], v[127:128]
	v_add_f64 v[21:22], v[21:22], v[55:56]
	v_add_f64 v[13:14], v[13:14], v[49:50]
	s_clause 0x4
	buffer_load_dword v50, off, s[0:3], 0 offset:700
	buffer_load_dword v55, off, s[0:3], 0 offset:712
	;; [unrolled: 1-line block ×5, first 2 shown]
	ds_read_b128 v[5:8], v70 offset:1424
	s_waitcnt vmcnt(57) lgkmcnt(1)
	v_mul_f64 v[127:128], v[9:10], v[15:16]
	v_mul_f64 v[15:16], v[11:12], v[15:16]
	s_waitcnt vmcnt(56)
	v_fma_f64 v[63:64], v[1:2], v[111:112], -v[63:64]
	v_fma_f64 v[57:58], v[3:4], v[111:112], v[57:58]
	v_add_f64 v[21:22], v[21:22], v[99:100]
	v_add_f64 v[13:14], v[13:14], v[17:18]
	s_clause 0x2
	buffer_load_dword v56, off, s[0:3], 0 offset:716
	buffer_load_dword v18, off, s[0:3], 0 offset:692
	;; [unrolled: 1-line block ×3, first 2 shown]
	s_waitcnt vmcnt(58) lgkmcnt(0)
	v_mul_f64 v[111:112], v[7:8], v[113:114]
	ds_read_b128 v[1:4], v70 offset:1440
	v_mul_f64 v[99:100], v[5:6], v[113:114]
	s_waitcnt vmcnt(56)
	v_fma_f64 v[15:16], v[9:10], v[95:96], -v[15:16]
	v_add_f64 v[21:22], v[21:22], v[63:64]
	v_fma_f64 v[63:64], v[11:12], v[95:96], v[127:128]
	v_add_f64 v[13:14], v[13:14], v[57:58]
	s_clause 0x4
	buffer_load_dword v58, off, s[0:3], 0 offset:732
	buffer_load_dword v95, off, s[0:3], 0 offset:744
	;; [unrolled: 1-line block ×5, first 2 shown]
	ds_read_b128 v[9:12], v70 offset:1456
	s_waitcnt vmcnt(57) lgkmcnt(1)
	v_mul_f64 v[127:128], v[1:2], v[33:34]
	v_mul_f64 v[33:34], v[3:4], v[33:34]
	s_waitcnt vmcnt(56)
	v_fma_f64 v[111:112], v[5:6], v[125:126], -v[111:112]
	v_add_f64 v[15:16], v[21:22], v[15:16]
	v_fma_f64 v[21:22], v[7:8], v[125:126], v[99:100]
	v_add_f64 v[13:14], v[13:14], v[63:64]
	s_clause 0x2
	buffer_load_dword v96, off, s[0:3], 0 offset:748
	buffer_load_dword v64, off, s[0:3], 0 offset:724
	;; [unrolled: 1-line block ×3, first 2 shown]
	ds_read_b128 v[5:8], v70 offset:1472
	s_waitcnt vmcnt(58) lgkmcnt(1)
	v_mul_f64 v[99:100], v[9:10], v[97:98]
	v_mul_f64 v[97:98], v[11:12], v[97:98]
	s_waitcnt vmcnt(56)
	v_fma_f64 v[33:34], v[1:2], v[27:28], -v[33:34]
	v_fma_f64 v[27:28], v[3:4], v[27:28], v[127:128]
	v_add_f64 v[15:16], v[15:16], v[111:112]
	v_add_f64 v[13:14], v[13:14], v[21:22]
	s_clause 0x4
	buffer_load_dword v22, off, s[0:3], 0 offset:764
	buffer_load_dword v111, off, s[0:3], 0 offset:776
	;; [unrolled: 1-line block ×5, first 2 shown]
	ds_read_b128 v[1:4], v70 offset:1488
	s_waitcnt vmcnt(57) lgkmcnt(1)
	v_mul_f64 v[126:127], v[5:6], v[19:20]
	v_mul_f64 v[19:20], v[7:8], v[19:20]
	s_waitcnt vmcnt(56)
	v_fma_f64 v[97:98], v[9:10], v[123:124], -v[97:98]
	v_add_f64 v[15:16], v[15:16], v[33:34]
	v_fma_f64 v[33:34], v[11:12], v[123:124], v[99:100]
	v_add_f64 v[13:14], v[13:14], v[27:28]
	s_clause 0x2
	buffer_load_dword v112, off, s[0:3], 0 offset:780
	buffer_load_dword v28, off, s[0:3], 0 offset:756
	;; [unrolled: 1-line block ×3, first 2 shown]
	ds_read_b128 v[9:12], v70 offset:1504
	s_waitcnt vmcnt(58) lgkmcnt(1)
	v_mul_f64 v[99:100], v[1:2], v[37:38]
	v_mul_f64 v[37:38], v[3:4], v[37:38]
	s_waitcnt vmcnt(56)
	v_fma_f64 v[19:20], v[5:6], v[25:26], -v[19:20]
	v_fma_f64 v[25:26], v[7:8], v[25:26], v[126:127]
	v_add_f64 v[15:16], v[15:16], v[97:98]
	v_add_f64 v[13:14], v[13:14], v[33:34]
	s_clause 0x4
	buffer_load_dword v34, off, s[0:3], 0 offset:796
	buffer_load_dword v97, off, s[0:3], 0 offset:808
	;; [unrolled: 1-line block ×5, first 2 shown]
	ds_read_b128 v[5:8], v70 offset:1520
	s_waitcnt vmcnt(57) lgkmcnt(1)
	v_mul_f64 v[127:128], v[9:10], v[23:24]
	v_mul_f64 v[23:24], v[11:12], v[23:24]
	s_waitcnt vmcnt(56)
	v_fma_f64 v[37:38], v[1:2], v[115:116], -v[37:38]
	v_add_f64 v[15:16], v[15:16], v[19:20]
	v_fma_f64 v[19:20], v[3:4], v[115:116], v[99:100]
	v_add_f64 v[13:14], v[13:14], v[25:26]
	s_clause 0x2
	buffer_load_dword v98, off, s[0:3], 0 offset:812
	buffer_load_dword v26, off, s[0:3], 0 offset:788
	;; [unrolled: 1-line block ×3, first 2 shown]
	s_waitcnt vmcnt(58) lgkmcnt(0)
	v_mul_f64 v[99:100], v[5:6], v[45:46]
	v_mul_f64 v[45:46], v[7:8], v[45:46]
	ds_read_b128 v[1:4], v70 offset:1536
	s_waitcnt vmcnt(56)
	v_fma_f64 v[23:24], v[9:10], v[31:32], -v[23:24]
	v_fma_f64 v[31:32], v[11:12], v[31:32], v[127:128]
	v_add_f64 v[15:16], v[15:16], v[37:38]
	v_add_f64 v[13:14], v[13:14], v[19:20]
	s_clause 0x4
	buffer_load_dword v20, off, s[0:3], 0 offset:828
	buffer_load_dword v37, off, s[0:3], 0 offset:840
	buffer_load_dword v115, off, s[0:3], 0 offset:832
	buffer_load_dword v19, off, s[0:3], 0 offset:824
	buffer_load_dword v124, off, s[0:3], 0 offset:804
	ds_read_b128 v[9:12], v70 offset:1552
	s_waitcnt vmcnt(57) lgkmcnt(1)
	v_mul_f64 v[127:128], v[1:2], v[29:30]
	v_mul_f64 v[29:30], v[3:4], v[29:30]
	s_waitcnt vmcnt(56)
	v_fma_f64 v[45:46], v[5:6], v[93:94], -v[45:46]
	v_add_f64 v[15:16], v[15:16], v[23:24]
	v_fma_f64 v[23:24], v[7:8], v[93:94], v[99:100]
	v_add_f64 v[13:14], v[13:14], v[31:32]
	s_clause 0x2
	buffer_load_dword v38, off, s[0:3], 0 offset:844
	buffer_load_dword v32, off, s[0:3], 0 offset:820
	;; [unrolled: 1-line block ×3, first 2 shown]
	s_waitcnt vmcnt(58) lgkmcnt(0)
	v_mul_f64 v[93:94], v[9:10], v[51:52]
	v_mul_f64 v[51:52], v[11:12], v[51:52]
	ds_read_b128 v[5:8], v70 offset:1568
	s_waitcnt vmcnt(56)
	v_fma_f64 v[29:30], v[1:2], v[41:42], -v[29:30]
	v_fma_f64 v[41:42], v[3:4], v[41:42], v[127:128]
	v_add_f64 v[15:16], v[15:16], v[45:46]
	v_add_f64 v[13:14], v[13:14], v[23:24]
	s_clause 0x4
	buffer_load_dword v24, off, s[0:3], 0 offset:860
	buffer_load_dword v45, off, s[0:3], 0 offset:872
	buffer_load_dword v99, off, s[0:3], 0 offset:864
	buffer_load_dword v23, off, s[0:3], 0 offset:856
	buffer_load_dword v116, off, s[0:3], 0 offset:836
	ds_read_b128 v[1:4], v70 offset:1584
	s_waitcnt vmcnt(57) lgkmcnt(1)
	v_mul_f64 v[127:128], v[5:6], v[35:36]
	v_mul_f64 v[35:36], v[7:8], v[35:36]
	s_waitcnt vmcnt(56)
	v_fma_f64 v[51:52], v[9:10], v[53:54], -v[51:52]
	v_add_f64 v[15:16], v[15:16], v[29:30]
	v_fma_f64 v[29:30], v[11:12], v[53:54], v[93:94]
	v_add_f64 v[13:14], v[13:14], v[41:42]
	s_clause 0x2
	buffer_load_dword v46, off, s[0:3], 0 offset:876
	buffer_load_dword v42, off, s[0:3], 0 offset:852
	buffer_load_dword v41, off, s[0:3], 0 offset:848
	ds_read_b128 v[9:12], v70 offset:1600
	s_waitcnt vmcnt(58) lgkmcnt(1)
	v_mul_f64 v[53:54], v[1:2], v[59:60]
	v_mul_f64 v[59:60], v[3:4], v[59:60]
	s_waitcnt vmcnt(56)
	v_fma_f64 v[35:36], v[5:6], v[39:40], -v[35:36]
	v_fma_f64 v[39:40], v[7:8], v[39:40], v[127:128]
	v_add_f64 v[15:16], v[15:16], v[51:52]
	v_add_f64 v[13:14], v[13:14], v[29:30]
	s_clause 0x4
	buffer_load_dword v30, off, s[0:3], 0 offset:892
	buffer_load_dword v51, off, s[0:3], 0 offset:904
	buffer_load_dword v93, off, s[0:3], 0 offset:896
	buffer_load_dword v29, off, s[0:3], 0 offset:888
	buffer_load_dword v100, off, s[0:3], 0 offset:868
	ds_read_b128 v[5:8], v70 offset:1616
	s_waitcnt vmcnt(57) lgkmcnt(1)
	v_mul_f64 v[127:128], v[9:10], v[43:44]
	v_mul_f64 v[43:44], v[11:12], v[43:44]
	s_waitcnt vmcnt(56)
	v_fma_f64 v[59:60], v[1:2], v[61:62], -v[59:60]
	v_add_f64 v[15:16], v[15:16], v[35:36]
	v_fma_f64 v[35:36], v[3:4], v[61:62], v[53:54]
	v_add_f64 v[13:14], v[13:14], v[39:40]
	s_clause 0x2
	buffer_load_dword v52, off, s[0:3], 0 offset:908
	buffer_load_dword v40, off, s[0:3], 0 offset:884
	buffer_load_dword v39, off, s[0:3], 0 offset:880
	ds_read_b128 v[1:4], v70 offset:1632
	s_waitcnt vmcnt(58) lgkmcnt(1)
	v_mul_f64 v[61:62], v[7:8], v[65:66]
	v_mul_f64 v[53:54], v[5:6], v[65:66]
	s_waitcnt vmcnt(56)
	v_fma_f64 v[43:44], v[9:10], v[47:48], -v[43:44]
	v_fma_f64 v[47:48], v[11:12], v[47:48], v[127:128]
	v_add_f64 v[15:16], v[15:16], v[59:60]
	v_add_f64 v[13:14], v[13:14], v[35:36]
	s_clause 0x4
	buffer_load_dword v36, off, s[0:3], 0 offset:924
	buffer_load_dword v59, off, s[0:3], 0 offset:936
	buffer_load_dword v65, off, s[0:3], 0 offset:928
	buffer_load_dword v35, off, s[0:3], 0 offset:920
	buffer_load_dword v94, off, s[0:3], 0 offset:900
	ds_read_b128 v[9:12], v70 offset:1648
	s_waitcnt vmcnt(57) lgkmcnt(1)
	v_mul_f64 v[127:128], v[1:2], v[49:50]
	v_mul_f64 v[49:50], v[3:4], v[49:50]
	s_waitcnt vmcnt(56)
	v_fma_f64 v[61:62], v[5:6], v[67:68], -v[61:62]
	v_add_f64 v[15:16], v[15:16], v[43:44]
	v_fma_f64 v[43:44], v[7:8], v[67:68], v[53:54]
	v_add_f64 v[13:14], v[13:14], v[47:48]
	s_clause 0x2
	buffer_load_dword v60, off, s[0:3], 0 offset:940
	buffer_load_dword v48, off, s[0:3], 0 offset:916
	buffer_load_dword v47, off, s[0:3], 0 offset:912
	ds_read_b128 v[5:8], v70 offset:1664
	s_waitcnt vmcnt(58) lgkmcnt(1)
	v_mul_f64 v[53:54], v[9:10], v[55:56]
	v_mul_f64 v[55:56], v[11:12], v[55:56]
	s_waitcnt vmcnt(56)
	v_fma_f64 v[49:50], v[1:2], v[17:18], -v[49:50]
	v_fma_f64 v[17:18], v[3:4], v[17:18], v[127:128]
	v_add_f64 v[15:16], v[15:16], v[61:62]
	v_add_f64 v[13:14], v[13:14], v[43:44]
	s_clause 0x4
	buffer_load_dword v44, off, s[0:3], 0 offset:956
	buffer_load_dword v61, off, s[0:3], 0 offset:968
	;; [unrolled: 1-line block ×5, first 2 shown]
	ds_read_b128 v[1:4], v70 offset:1680
	s_waitcnt vmcnt(57) lgkmcnt(1)
	v_mul_f64 v[127:128], v[5:6], v[57:58]
	v_mul_f64 v[57:58], v[7:8], v[57:58]
	s_waitcnt vmcnt(56)
	v_fma_f64 v[55:56], v[9:10], v[109:110], -v[55:56]
	v_add_f64 v[15:16], v[15:16], v[49:50]
	v_fma_f64 v[49:50], v[11:12], v[109:110], v[53:54]
	v_add_f64 v[13:14], v[13:14], v[17:18]
	s_clause 0x2
	buffer_load_dword v62, off, s[0:3], 0 offset:972
	buffer_load_dword v18, off, s[0:3], 0 offset:948
	;; [unrolled: 1-line block ×3, first 2 shown]
	ds_read_b128 v[9:12], v70 offset:1696
	buffer_load_dword v68, off, s[0:3], 0 offset:964
	s_waitcnt vmcnt(59) lgkmcnt(1)
	v_mul_f64 v[53:54], v[1:2], v[95:96]
	v_mul_f64 v[95:96], v[3:4], v[95:96]
	s_waitcnt vmcnt(57)
	v_fma_f64 v[57:58], v[5:6], v[63:64], -v[57:58]
	v_add_f64 v[15:16], v[15:16], v[55:56]
	v_fma_f64 v[55:56], v[7:8], v[63:64], v[127:128]
	v_add_f64 v[13:14], v[13:14], v[49:50]
	ds_read_b128 v[5:8], v70 offset:1712
	s_waitcnt vmcnt(53) lgkmcnt(1)
	v_mul_f64 v[49:50], v[9:10], v[21:22]
	v_mul_f64 v[21:22], v[11:12], v[21:22]
	s_waitcnt vmcnt(52)
	v_fma_f64 v[63:64], v[1:2], v[113:114], -v[95:96]
	v_fma_f64 v[53:54], v[3:4], v[113:114], v[53:54]
	ds_read_b128 v[1:4], v70 offset:1728
	v_add_f64 v[15:16], v[15:16], v[57:58]
	v_add_f64 v[13:14], v[13:14], v[55:56]
	s_waitcnt vmcnt(51) lgkmcnt(1)
	v_mul_f64 v[57:58], v[7:8], v[111:112]
	v_mul_f64 v[55:56], v[5:6], v[111:112]
	s_waitcnt vmcnt(49)
	v_fma_f64 v[21:22], v[9:10], v[27:28], -v[21:22]
	v_fma_f64 v[27:28], v[11:12], v[27:28], v[49:50]
	v_add_f64 v[15:16], v[15:16], v[63:64]
	v_add_f64 v[13:14], v[13:14], v[53:54]
	s_clause 0x3
	buffer_load_dword v49, off, s[0:3], 0 offset:176
	buffer_load_dword v50, off, s[0:3], 0 offset:180
	;; [unrolled: 1-line block ×4, first 2 shown]
	ds_read_b128 v[9:12], v70 offset:1744
	s_waitcnt vmcnt(49) lgkmcnt(1)
	v_mul_f64 v[63:64], v[1:2], v[33:34]
	v_mul_f64 v[33:34], v[3:4], v[33:34]
	s_waitcnt vmcnt(48)
	v_fma_f64 v[57:58], v[5:6], v[125:126], -v[57:58]
	v_add_f64 v[15:16], v[15:16], v[21:22]
	v_fma_f64 v[21:22], v[7:8], v[125:126], v[55:56]
	v_add_f64 v[13:14], v[13:14], v[27:28]
	ds_read_b128 v[5:8], v70 offset:1760
	s_waitcnt vmcnt(47) lgkmcnt(1)
	v_mul_f64 v[55:56], v[11:12], v[97:98]
	v_mul_f64 v[27:28], v[9:10], v[97:98]
	s_waitcnt vmcnt(45)
	v_fma_f64 v[33:34], v[1:2], v[25:26], -v[33:34]
	v_fma_f64 v[25:26], v[3:4], v[25:26], v[63:64]
	ds_read_b128 v[1:4], v70 offset:1776
	v_add_f64 v[15:16], v[15:16], v[57:58]
	v_add_f64 v[13:14], v[13:14], v[21:22]
	s_waitcnt vmcnt(41) lgkmcnt(1)
	v_mul_f64 v[21:22], v[5:6], v[19:20]
	v_mul_f64 v[19:20], v[7:8], v[19:20]
	s_waitcnt vmcnt(40)
	v_fma_f64 v[55:56], v[9:10], v[123:124], -v[55:56]
	v_fma_f64 v[27:28], v[11:12], v[123:124], v[27:28]
	ds_read_b128 v[9:12], v70 offset:1792
	v_add_f64 v[15:16], v[15:16], v[33:34]
	v_add_f64 v[13:14], v[13:14], v[25:26]
	;; [unrolled: 9-line block ×3, first 2 shown]
	s_waitcnt vmcnt(33) lgkmcnt(1)
	v_mul_f64 v[27:28], v[9:10], v[23:24]
	v_mul_f64 v[23:24], v[11:12], v[23:24]
	s_waitcnt vmcnt(32)
	v_fma_f64 v[31:32], v[1:2], v[115:116], -v[33:34]
	v_add_f64 v[15:16], v[15:16], v[19:20]
	v_fma_f64 v[19:20], v[3:4], v[115:116], v[25:26]
	v_add_f64 v[13:14], v[13:14], v[21:22]
	ds_read_b128 v[1:4], v70 offset:1824
	s_waitcnt vmcnt(31) lgkmcnt(1)
	v_mul_f64 v[25:26], v[7:8], v[45:46]
	v_mul_f64 v[21:22], v[5:6], v[45:46]
	s_waitcnt vmcnt(29)
	v_fma_f64 v[23:24], v[9:10], v[41:42], -v[23:24]
	v_fma_f64 v[27:28], v[11:12], v[41:42], v[27:28]
	ds_read_b128 v[9:12], v70 offset:1840
	v_add_f64 v[15:16], v[15:16], v[31:32]
	v_add_f64 v[13:14], v[13:14], v[19:20]
	s_waitcnt vmcnt(25) lgkmcnt(1)
	v_mul_f64 v[19:20], v[1:2], v[29:30]
	v_mul_f64 v[29:30], v[3:4], v[29:30]
	s_waitcnt vmcnt(24)
	v_fma_f64 v[25:26], v[5:6], v[99:100], -v[25:26]
	v_fma_f64 v[21:22], v[7:8], v[99:100], v[21:22]
	ds_read_b128 v[5:8], v70 offset:1856
	v_add_f64 v[15:16], v[15:16], v[23:24]
	v_add_f64 v[13:14], v[13:14], v[27:28]
	;; [unrolled: 9-line block ×3, first 2 shown]
	s_waitcnt vmcnt(17) lgkmcnt(1)
	v_mul_f64 v[25:26], v[7:8], v[35:36]
	s_waitcnt vmcnt(16)
	v_fma_f64 v[27:28], v[9:10], v[93:94], -v[27:28]
	v_mul_f64 v[21:22], v[5:6], v[35:36]
	v_fma_f64 v[23:24], v[11:12], v[93:94], v[23:24]
	ds_read_b128 v[9:12], v70 offset:1888
	v_add_f64 v[15:16], v[15:16], v[29:30]
	v_add_f64 v[13:14], v[13:14], v[19:20]
	s_waitcnt vmcnt(15) lgkmcnt(1)
	v_mul_f64 v[29:30], v[3:4], v[59:60]
	v_mul_f64 v[19:20], v[1:2], v[59:60]
	s_waitcnt vmcnt(13)
	v_fma_f64 v[25:26], v[5:6], v[47:48], -v[25:26]
	v_fma_f64 v[21:22], v[7:8], v[47:48], v[21:22]
	ds_read_b128 v[5:8], v70 offset:1904
	v_add_f64 v[15:16], v[15:16], v[27:28]
	v_add_f64 v[13:14], v[13:14], v[23:24]
	s_waitcnt vmcnt(9) lgkmcnt(1)
	v_mul_f64 v[27:28], v[11:12], v[43:44]
	s_waitcnt vmcnt(8)
	v_fma_f64 v[1:2], v[1:2], v[65:66], -v[29:30]
	v_mul_f64 v[23:24], v[9:10], v[43:44]
	v_fma_f64 v[3:4], v[3:4], v[65:66], v[19:20]
	v_add_f64 v[15:16], v[15:16], v[25:26]
	v_add_f64 v[13:14], v[13:14], v[21:22]
	s_waitcnt vmcnt(7) lgkmcnt(0)
	v_mul_f64 v[21:22], v[7:8], v[61:62]
	v_mul_f64 v[19:20], v[5:6], v[61:62]
	s_waitcnt vmcnt(5)
	v_fma_f64 v[9:10], v[9:10], v[17:18], -v[27:28]
	v_fma_f64 v[11:12], v[11:12], v[17:18], v[23:24]
	v_add_f64 v[1:2], v[15:16], v[1:2]
	v_add_f64 v[3:4], v[13:14], v[3:4]
	s_waitcnt vmcnt(4)
	v_fma_f64 v[5:6], v[5:6], v[67:68], -v[21:22]
	v_fma_f64 v[7:8], v[7:8], v[67:68], v[19:20]
	v_add_f64 v[1:2], v[1:2], v[9:10]
	v_add_f64 v[3:4], v[3:4], v[11:12]
	;; [unrolled: 1-line block ×4, first 2 shown]
	s_waitcnt vmcnt(2)
	v_add_f64 v[1:2], v[49:50], -v[1:2]
	s_waitcnt vmcnt(0)
	v_add_f64 v[3:4], v[53:54], -v[3:4]
	buffer_store_dword v2, off, s[0:3], 0 offset:180
	buffer_store_dword v1, off, s[0:3], 0 offset:176
	;; [unrolled: 1-line block ×4, first 2 shown]
	v_cmpx_lt_u32_e32 9, v0
	s_cbranch_execz .LBB59_355
; %bb.354:
	v_mov_b32_e32 v4, s62
	s_clause 0x3
	buffer_load_dword v1, v4, s[0:3], 0 offen
	buffer_load_dword v2, v4, s[0:3], 0 offen offset:4
	buffer_load_dword v3, v4, s[0:3], 0 offen offset:8
	;; [unrolled: 1-line block ×3, first 2 shown]
	buffer_store_dword v70, off, s[0:3], 0 offset:160
	buffer_store_dword v70, off, s[0:3], 0 offset:164
	;; [unrolled: 1-line block ×4, first 2 shown]
	s_waitcnt vmcnt(0)
	ds_write_b128 v69, v[1:4]
.LBB59_355:
	s_or_b32 exec_lo, exec_lo, s4
	s_waitcnt lgkmcnt(0)
	s_waitcnt_vscnt null, 0x0
	s_barrier
	buffer_gl0_inv
	s_clause 0x37
	buffer_load_dword v17, off, s[0:3], 0 offset:184
	buffer_load_dword v18, off, s[0:3], 0 offset:188
	;; [unrolled: 1-line block ×56, first 2 shown]
	ds_read_b128 v[5:8], v70 offset:1120
	s_clause 0x2
	buffer_load_dword v66, off, s[0:3], 0 offset:412
	buffer_load_dword v68, off, s[0:3], 0 offset:388
	;; [unrolled: 1-line block ×3, first 2 shown]
	ds_read_b128 v[1:4], v70 offset:1136
	s_clause 0x4
	buffer_load_dword v100, off, s[0:3], 0 offset:428
	buffer_load_dword v109, off, s[0:3], 0 offset:440
	;; [unrolled: 1-line block ×5, first 2 shown]
	ds_read_b128 v[93:96], v70 offset:1152
	s_mov_b32 s4, exec_lo
	s_waitcnt vmcnt(62) lgkmcnt(2)
	v_mul_f64 v[97:98], v[7:8], v[17:18]
	v_mul_f64 v[17:18], v[5:6], v[17:18]
	s_waitcnt vmcnt(60) lgkmcnt(1)
	v_mul_f64 v[112:113], v[3:4], v[13:14]
	v_mul_f64 v[13:14], v[1:2], v[13:14]
	;; [unrolled: 3-line block ×3, first 2 shown]
	v_fma_f64 v[97:98], v[5:6], v[15:16], -v[97:98]
	v_fma_f64 v[15:16], v[7:8], v[15:16], v[17:18]
	s_clause 0x2
	buffer_load_dword v110, off, s[0:3], 0 offset:444
	buffer_load_dword v18, off, s[0:3], 0 offset:420
	;; [unrolled: 1-line block ×3, first 2 shown]
	s_waitcnt vmcnt(57)
	v_fma_f64 v[123:124], v[1:2], v[9:10], -v[112:113]
	ds_read_b128 v[5:8], v70 offset:1168
	v_fma_f64 v[9:10], v[3:4], v[9:10], v[13:14]
	s_waitcnt vmcnt(51)
	v_fma_f64 v[93:94], v[93:94], v[33:34], -v[11:12]
	v_fma_f64 v[33:34], v[95:96], v[33:34], v[114:115]
	v_add_f64 v[97:98], v[97:98], 0
	v_add_f64 v[13:14], v[15:16], 0
	s_clause 0x4
	buffer_load_dword v16, off, s[0:3], 0 offset:460
	buffer_load_dword v113, off, s[0:3], 0 offset:472
	;; [unrolled: 1-line block ×5, first 2 shown]
	s_waitcnt lgkmcnt(0)
	v_mul_f64 v[126:127], v[5:6], v[21:22]
	v_mul_f64 v[21:22], v[7:8], v[21:22]
	ds_read_b128 v[1:4], v70 offset:1184
	s_clause 0x2
	buffer_load_dword v114, off, s[0:3], 0 offset:476
	buffer_load_dword v96, off, s[0:3], 0 offset:452
	;; [unrolled: 1-line block ×3, first 2 shown]
	v_add_f64 v[97:98], v[97:98], v[123:124]
	v_add_f64 v[13:14], v[13:14], v[9:10]
	ds_read_b128 v[9:12], v70 offset:1200
	s_waitcnt vmcnt(58) lgkmcnt(1)
	v_mul_f64 v[115:116], v[1:2], v[25:26]
	v_mul_f64 v[25:26], v[3:4], v[25:26]
	s_waitcnt vmcnt(56)
	v_fma_f64 v[21:22], v[5:6], v[27:28], -v[21:22]
	v_fma_f64 v[27:28], v[7:8], v[27:28], v[126:127]
	s_waitcnt vmcnt(52) lgkmcnt(0)
	v_mul_f64 v[127:128], v[9:10], v[29:30]
	v_add_f64 v[93:94], v[97:98], v[93:94]
	v_add_f64 v[13:14], v[13:14], v[33:34]
	s_clause 0x4
	buffer_load_dword v34, off, s[0:3], 0 offset:492
	buffer_load_dword v97, off, s[0:3], 0 offset:504
	;; [unrolled: 1-line block ×5, first 2 shown]
	v_mul_f64 v[29:30], v[11:12], v[29:30]
	s_waitcnt vmcnt(56)
	v_fma_f64 v[25:26], v[1:2], v[19:20], -v[25:26]
	ds_read_b128 v[5:8], v70 offset:1216
	v_fma_f64 v[19:20], v[3:4], v[19:20], v[115:116]
	v_add_f64 v[21:22], v[93:94], v[21:22]
	v_add_f64 v[13:14], v[13:14], v[27:28]
	s_clause 0x2
	buffer_load_dword v98, off, s[0:3], 0 offset:508
	buffer_load_dword v28, off, s[0:3], 0 offset:484
	;; [unrolled: 1-line block ×3, first 2 shown]
	s_waitcnt vmcnt(58) lgkmcnt(0)
	v_mul_f64 v[93:94], v[5:6], v[35:36]
	v_mul_f64 v[35:36], v[7:8], v[35:36]
	s_waitcnt vmcnt(56)
	v_fma_f64 v[29:30], v[9:10], v[37:38], -v[29:30]
	ds_read_b128 v[1:4], v70 offset:1232
	v_add_f64 v[21:22], v[21:22], v[25:26]
	v_fma_f64 v[25:26], v[11:12], v[37:38], v[127:128]
	v_add_f64 v[13:14], v[13:14], v[19:20]
	s_clause 0x4
	buffer_load_dword v20, off, s[0:3], 0 offset:524
	buffer_load_dword v37, off, s[0:3], 0 offset:536
	;; [unrolled: 1-line block ×5, first 2 shown]
	s_waitcnt vmcnt(57) lgkmcnt(0)
	v_mul_f64 v[127:128], v[1:2], v[39:40]
	v_mul_f64 v[39:40], v[3:4], v[39:40]
	s_waitcnt vmcnt(56)
	v_fma_f64 v[35:36], v[5:6], v[23:24], -v[35:36]
	ds_read_b128 v[9:12], v70 offset:1248
	v_fma_f64 v[23:24], v[7:8], v[23:24], v[93:94]
	v_add_f64 v[21:22], v[21:22], v[29:30]
	v_add_f64 v[13:14], v[13:14], v[25:26]
	s_clause 0x2
	buffer_load_dword v38, off, s[0:3], 0 offset:540
	buffer_load_dword v26, off, s[0:3], 0 offset:516
	;; [unrolled: 1-line block ×3, first 2 shown]
	ds_read_b128 v[5:8], v70 offset:1264
	s_waitcnt vmcnt(58) lgkmcnt(1)
	v_mul_f64 v[29:30], v[9:10], v[43:44]
	v_mul_f64 v[43:44], v[11:12], v[43:44]
	s_waitcnt vmcnt(56)
	v_fma_f64 v[39:40], v[1:2], v[45:46], -v[39:40]
	v_add_f64 v[21:22], v[21:22], v[35:36]
	v_fma_f64 v[35:36], v[3:4], v[45:46], v[127:128]
	v_add_f64 v[13:14], v[13:14], v[23:24]
	s_clause 0x4
	buffer_load_dword v24, off, s[0:3], 0 offset:556
	buffer_load_dword v45, off, s[0:3], 0 offset:568
	;; [unrolled: 1-line block ×5, first 2 shown]
	s_waitcnt vmcnt(57) lgkmcnt(0)
	v_mul_f64 v[127:128], v[5:6], v[47:48]
	v_mul_f64 v[47:48], v[7:8], v[47:48]
	s_waitcnt vmcnt(56)
	v_fma_f64 v[43:44], v[9:10], v[31:32], -v[43:44]
	ds_read_b128 v[1:4], v70 offset:1280
	v_fma_f64 v[29:30], v[11:12], v[31:32], v[29:30]
	s_clause 0x2
	buffer_load_dword v46, off, s[0:3], 0 offset:572
	buffer_load_dword v32, off, s[0:3], 0 offset:548
	;; [unrolled: 1-line block ×3, first 2 shown]
	ds_read_b128 v[9:12], v70 offset:1296
	v_add_f64 v[21:22], v[21:22], v[39:40]
	v_add_f64 v[13:14], v[13:14], v[35:36]
	s_waitcnt vmcnt(58) lgkmcnt(1)
	v_mul_f64 v[39:40], v[3:4], v[51:52]
	s_waitcnt vmcnt(56)
	v_fma_f64 v[47:48], v[5:6], v[53:54], -v[47:48]
	v_mul_f64 v[35:36], v[1:2], v[51:52]
	v_add_f64 v[21:22], v[21:22], v[43:44]
	v_fma_f64 v[43:44], v[7:8], v[53:54], v[127:128]
	v_add_f64 v[13:14], v[13:14], v[29:30]
	s_clause 0x4
	buffer_load_dword v30, off, s[0:3], 0 offset:588
	buffer_load_dword v51, off, s[0:3], 0 offset:600
	;; [unrolled: 1-line block ×5, first 2 shown]
	s_waitcnt vmcnt(57) lgkmcnt(0)
	v_mul_f64 v[127:128], v[9:10], v[55:56]
	v_mul_f64 v[54:55], v[11:12], v[55:56]
	s_waitcnt vmcnt(56)
	v_fma_f64 v[39:40], v[1:2], v[41:42], -v[39:40]
	ds_read_b128 v[5:8], v70 offset:1312
	v_fma_f64 v[35:36], v[3:4], v[41:42], v[35:36]
	s_clause 0x2
	buffer_load_dword v52, off, s[0:3], 0 offset:604
	buffer_load_dword v42, off, s[0:3], 0 offset:580
	;; [unrolled: 1-line block ×3, first 2 shown]
	ds_read_b128 v[1:4], v70 offset:1328
	v_add_f64 v[21:22], v[21:22], v[47:48]
	v_add_f64 v[13:14], v[13:14], v[43:44]
	s_waitcnt vmcnt(58) lgkmcnt(1)
	v_mul_f64 v[47:48], v[7:8], v[59:60]
	s_waitcnt vmcnt(56)
	v_fma_f64 v[55:56], v[9:10], v[61:62], -v[54:55]
	v_mul_f64 v[43:44], v[5:6], v[59:60]
	v_add_f64 v[21:22], v[21:22], v[39:40]
	v_fma_f64 v[39:40], v[11:12], v[61:62], v[127:128]
	v_add_f64 v[13:14], v[13:14], v[35:36]
	s_clause 0x4
	buffer_load_dword v36, off, s[0:3], 0 offset:620
	buffer_load_dword v59, off, s[0:3], 0 offset:632
	;; [unrolled: 1-line block ×5, first 2 shown]
	s_waitcnt vmcnt(57) lgkmcnt(0)
	v_mul_f64 v[127:128], v[1:2], v[63:64]
	v_mul_f64 v[62:63], v[3:4], v[63:64]
	s_waitcnt vmcnt(56)
	v_fma_f64 v[47:48], v[5:6], v[49:50], -v[47:48]
	ds_read_b128 v[9:12], v70 offset:1344
	v_fma_f64 v[43:44], v[7:8], v[49:50], v[43:44]
	v_add_f64 v[21:22], v[21:22], v[55:56]
	v_add_f64 v[13:14], v[13:14], v[39:40]
	s_clause 0x2
	buffer_load_dword v60, off, s[0:3], 0 offset:636
	buffer_load_dword v40, off, s[0:3], 0 offset:612
	;; [unrolled: 1-line block ×3, first 2 shown]
	ds_read_b128 v[5:8], v70 offset:1360
	s_waitcnt vmcnt(58) lgkmcnt(1)
	v_mul_f64 v[55:56], v[11:12], v[65:66]
	s_waitcnt vmcnt(56)
	v_fma_f64 v[63:64], v[1:2], v[67:68], -v[62:63]
	v_mul_f64 v[49:50], v[9:10], v[65:66]
	v_add_f64 v[21:22], v[21:22], v[47:48]
	v_fma_f64 v[47:48], v[3:4], v[67:68], v[127:128]
	v_add_f64 v[13:14], v[13:14], v[43:44]
	s_clause 0x4
	buffer_load_dword v44, off, s[0:3], 0 offset:652
	buffer_load_dword v65, off, s[0:3], 0 offset:664
	;; [unrolled: 1-line block ×5, first 2 shown]
	s_waitcnt vmcnt(57) lgkmcnt(0)
	v_mul_f64 v[127:128], v[5:6], v[99:100]
	v_mul_f64 v[99:100], v[7:8], v[99:100]
	s_waitcnt vmcnt(56)
	v_fma_f64 v[55:56], v[9:10], v[57:58], -v[55:56]
	ds_read_b128 v[1:4], v70 offset:1376
	v_fma_f64 v[49:50], v[11:12], v[57:58], v[49:50]
	v_add_f64 v[21:22], v[21:22], v[63:64]
	v_add_f64 v[13:14], v[13:14], v[47:48]
	s_clause 0x2
	buffer_load_dword v66, off, s[0:3], 0 offset:668
	buffer_load_dword v48, off, s[0:3], 0 offset:644
	;; [unrolled: 1-line block ×3, first 2 shown]
	ds_read_b128 v[9:12], v70 offset:1392
	s_waitcnt vmcnt(58) lgkmcnt(1)
	v_mul_f64 v[63:64], v[3:4], v[109:110]
	v_mul_f64 v[57:58], v[1:2], v[109:110]
	s_waitcnt vmcnt(56)
	v_fma_f64 v[99:100], v[5:6], v[17:18], -v[99:100]
	v_fma_f64 v[17:18], v[7:8], v[17:18], v[127:128]
	v_add_f64 v[21:22], v[21:22], v[55:56]
	v_add_f64 v[13:14], v[13:14], v[49:50]
	s_clause 0x4
	buffer_load_dword v50, off, s[0:3], 0 offset:684
	buffer_load_dword v55, off, s[0:3], 0 offset:696
	;; [unrolled: 1-line block ×5, first 2 shown]
	ds_read_b128 v[5:8], v70 offset:1408
	s_waitcnt vmcnt(57) lgkmcnt(1)
	v_mul_f64 v[127:128], v[9:10], v[15:16]
	v_mul_f64 v[15:16], v[11:12], v[15:16]
	s_waitcnt vmcnt(56)
	v_fma_f64 v[63:64], v[1:2], v[111:112], -v[63:64]
	v_fma_f64 v[57:58], v[3:4], v[111:112], v[57:58]
	v_add_f64 v[21:22], v[21:22], v[99:100]
	v_add_f64 v[13:14], v[13:14], v[17:18]
	s_clause 0x2
	buffer_load_dword v56, off, s[0:3], 0 offset:700
	buffer_load_dword v18, off, s[0:3], 0 offset:676
	;; [unrolled: 1-line block ×3, first 2 shown]
	s_waitcnt vmcnt(58) lgkmcnt(0)
	v_mul_f64 v[111:112], v[7:8], v[113:114]
	ds_read_b128 v[1:4], v70 offset:1424
	v_mul_f64 v[99:100], v[5:6], v[113:114]
	s_waitcnt vmcnt(56)
	v_fma_f64 v[15:16], v[9:10], v[95:96], -v[15:16]
	v_add_f64 v[21:22], v[21:22], v[63:64]
	v_fma_f64 v[63:64], v[11:12], v[95:96], v[127:128]
	v_add_f64 v[13:14], v[13:14], v[57:58]
	s_clause 0x4
	buffer_load_dword v58, off, s[0:3], 0 offset:716
	buffer_load_dword v95, off, s[0:3], 0 offset:728
	;; [unrolled: 1-line block ×5, first 2 shown]
	ds_read_b128 v[9:12], v70 offset:1440
	s_waitcnt vmcnt(57) lgkmcnt(1)
	v_mul_f64 v[127:128], v[1:2], v[33:34]
	v_mul_f64 v[33:34], v[3:4], v[33:34]
	s_waitcnt vmcnt(56)
	v_fma_f64 v[111:112], v[5:6], v[125:126], -v[111:112]
	v_add_f64 v[15:16], v[21:22], v[15:16]
	v_fma_f64 v[21:22], v[7:8], v[125:126], v[99:100]
	v_add_f64 v[13:14], v[13:14], v[63:64]
	s_clause 0x2
	buffer_load_dword v96, off, s[0:3], 0 offset:732
	buffer_load_dword v64, off, s[0:3], 0 offset:708
	;; [unrolled: 1-line block ×3, first 2 shown]
	ds_read_b128 v[5:8], v70 offset:1456
	s_waitcnt vmcnt(58) lgkmcnt(1)
	v_mul_f64 v[99:100], v[9:10], v[97:98]
	v_mul_f64 v[97:98], v[11:12], v[97:98]
	s_waitcnt vmcnt(56)
	v_fma_f64 v[33:34], v[1:2], v[27:28], -v[33:34]
	v_fma_f64 v[27:28], v[3:4], v[27:28], v[127:128]
	v_add_f64 v[15:16], v[15:16], v[111:112]
	v_add_f64 v[13:14], v[13:14], v[21:22]
	s_clause 0x4
	buffer_load_dword v22, off, s[0:3], 0 offset:748
	buffer_load_dword v111, off, s[0:3], 0 offset:760
	;; [unrolled: 1-line block ×5, first 2 shown]
	ds_read_b128 v[1:4], v70 offset:1472
	s_waitcnt vmcnt(57) lgkmcnt(1)
	v_mul_f64 v[126:127], v[5:6], v[19:20]
	v_mul_f64 v[19:20], v[7:8], v[19:20]
	s_waitcnt vmcnt(56)
	v_fma_f64 v[97:98], v[9:10], v[123:124], -v[97:98]
	v_add_f64 v[15:16], v[15:16], v[33:34]
	v_fma_f64 v[33:34], v[11:12], v[123:124], v[99:100]
	v_add_f64 v[13:14], v[13:14], v[27:28]
	s_clause 0x2
	buffer_load_dword v112, off, s[0:3], 0 offset:764
	buffer_load_dword v28, off, s[0:3], 0 offset:740
	;; [unrolled: 1-line block ×3, first 2 shown]
	ds_read_b128 v[9:12], v70 offset:1488
	s_waitcnt vmcnt(58) lgkmcnt(1)
	v_mul_f64 v[99:100], v[1:2], v[37:38]
	v_mul_f64 v[37:38], v[3:4], v[37:38]
	s_waitcnt vmcnt(56)
	v_fma_f64 v[19:20], v[5:6], v[25:26], -v[19:20]
	v_fma_f64 v[25:26], v[7:8], v[25:26], v[126:127]
	v_add_f64 v[15:16], v[15:16], v[97:98]
	v_add_f64 v[13:14], v[13:14], v[33:34]
	s_clause 0x4
	buffer_load_dword v34, off, s[0:3], 0 offset:780
	buffer_load_dword v97, off, s[0:3], 0 offset:792
	;; [unrolled: 1-line block ×5, first 2 shown]
	ds_read_b128 v[5:8], v70 offset:1504
	s_waitcnt vmcnt(57) lgkmcnt(1)
	v_mul_f64 v[127:128], v[9:10], v[23:24]
	v_mul_f64 v[23:24], v[11:12], v[23:24]
	s_waitcnt vmcnt(56)
	v_fma_f64 v[37:38], v[1:2], v[115:116], -v[37:38]
	v_add_f64 v[15:16], v[15:16], v[19:20]
	v_fma_f64 v[19:20], v[3:4], v[115:116], v[99:100]
	v_add_f64 v[13:14], v[13:14], v[25:26]
	s_clause 0x2
	buffer_load_dword v98, off, s[0:3], 0 offset:796
	buffer_load_dword v26, off, s[0:3], 0 offset:772
	;; [unrolled: 1-line block ×3, first 2 shown]
	s_waitcnt vmcnt(58) lgkmcnt(0)
	v_mul_f64 v[99:100], v[5:6], v[45:46]
	v_mul_f64 v[45:46], v[7:8], v[45:46]
	ds_read_b128 v[1:4], v70 offset:1520
	s_waitcnt vmcnt(56)
	v_fma_f64 v[23:24], v[9:10], v[31:32], -v[23:24]
	v_fma_f64 v[31:32], v[11:12], v[31:32], v[127:128]
	v_add_f64 v[15:16], v[15:16], v[37:38]
	v_add_f64 v[13:14], v[13:14], v[19:20]
	s_clause 0x4
	buffer_load_dword v20, off, s[0:3], 0 offset:812
	buffer_load_dword v37, off, s[0:3], 0 offset:824
	;; [unrolled: 1-line block ×5, first 2 shown]
	ds_read_b128 v[9:12], v70 offset:1536
	s_waitcnt vmcnt(57) lgkmcnt(1)
	v_mul_f64 v[127:128], v[1:2], v[29:30]
	v_mul_f64 v[29:30], v[3:4], v[29:30]
	s_waitcnt vmcnt(56)
	v_fma_f64 v[45:46], v[5:6], v[93:94], -v[45:46]
	v_add_f64 v[15:16], v[15:16], v[23:24]
	v_fma_f64 v[23:24], v[7:8], v[93:94], v[99:100]
	v_add_f64 v[13:14], v[13:14], v[31:32]
	s_clause 0x2
	buffer_load_dword v38, off, s[0:3], 0 offset:828
	buffer_load_dword v32, off, s[0:3], 0 offset:804
	;; [unrolled: 1-line block ×3, first 2 shown]
	s_waitcnt vmcnt(58) lgkmcnt(0)
	v_mul_f64 v[93:94], v[9:10], v[51:52]
	v_mul_f64 v[51:52], v[11:12], v[51:52]
	ds_read_b128 v[5:8], v70 offset:1552
	s_waitcnt vmcnt(56)
	v_fma_f64 v[29:30], v[1:2], v[41:42], -v[29:30]
	v_fma_f64 v[41:42], v[3:4], v[41:42], v[127:128]
	v_add_f64 v[15:16], v[15:16], v[45:46]
	v_add_f64 v[13:14], v[13:14], v[23:24]
	s_clause 0x4
	buffer_load_dword v24, off, s[0:3], 0 offset:844
	buffer_load_dword v45, off, s[0:3], 0 offset:856
	buffer_load_dword v99, off, s[0:3], 0 offset:848
	buffer_load_dword v23, off, s[0:3], 0 offset:840
	buffer_load_dword v116, off, s[0:3], 0 offset:820
	ds_read_b128 v[1:4], v70 offset:1568
	s_waitcnt vmcnt(57) lgkmcnt(1)
	v_mul_f64 v[127:128], v[5:6], v[35:36]
	v_mul_f64 v[35:36], v[7:8], v[35:36]
	s_waitcnt vmcnt(56)
	v_fma_f64 v[51:52], v[9:10], v[53:54], -v[51:52]
	v_add_f64 v[15:16], v[15:16], v[29:30]
	v_fma_f64 v[29:30], v[11:12], v[53:54], v[93:94]
	v_add_f64 v[13:14], v[13:14], v[41:42]
	s_clause 0x2
	buffer_load_dword v46, off, s[0:3], 0 offset:860
	buffer_load_dword v42, off, s[0:3], 0 offset:836
	buffer_load_dword v41, off, s[0:3], 0 offset:832
	ds_read_b128 v[9:12], v70 offset:1584
	s_waitcnt vmcnt(58) lgkmcnt(1)
	v_mul_f64 v[53:54], v[1:2], v[59:60]
	v_mul_f64 v[59:60], v[3:4], v[59:60]
	s_waitcnt vmcnt(56)
	v_fma_f64 v[35:36], v[5:6], v[39:40], -v[35:36]
	v_fma_f64 v[39:40], v[7:8], v[39:40], v[127:128]
	v_add_f64 v[15:16], v[15:16], v[51:52]
	v_add_f64 v[13:14], v[13:14], v[29:30]
	s_clause 0x4
	buffer_load_dword v30, off, s[0:3], 0 offset:876
	buffer_load_dword v51, off, s[0:3], 0 offset:888
	buffer_load_dword v93, off, s[0:3], 0 offset:880
	buffer_load_dword v29, off, s[0:3], 0 offset:872
	buffer_load_dword v100, off, s[0:3], 0 offset:852
	ds_read_b128 v[5:8], v70 offset:1600
	s_waitcnt vmcnt(57) lgkmcnt(1)
	v_mul_f64 v[127:128], v[9:10], v[43:44]
	v_mul_f64 v[43:44], v[11:12], v[43:44]
	s_waitcnt vmcnt(56)
	v_fma_f64 v[59:60], v[1:2], v[61:62], -v[59:60]
	v_add_f64 v[15:16], v[15:16], v[35:36]
	v_fma_f64 v[35:36], v[3:4], v[61:62], v[53:54]
	v_add_f64 v[13:14], v[13:14], v[39:40]
	s_clause 0x2
	buffer_load_dword v52, off, s[0:3], 0 offset:892
	buffer_load_dword v40, off, s[0:3], 0 offset:868
	buffer_load_dword v39, off, s[0:3], 0 offset:864
	ds_read_b128 v[1:4], v70 offset:1616
	s_waitcnt vmcnt(58) lgkmcnt(1)
	v_mul_f64 v[61:62], v[7:8], v[65:66]
	v_mul_f64 v[53:54], v[5:6], v[65:66]
	;; [unrolled: 28-line block ×4, first 2 shown]
	s_waitcnt vmcnt(56)
	v_fma_f64 v[57:58], v[5:6], v[63:64], -v[57:58]
	v_add_f64 v[15:16], v[15:16], v[55:56]
	v_fma_f64 v[55:56], v[7:8], v[63:64], v[127:128]
	v_add_f64 v[13:14], v[13:14], v[49:50]
	s_clause 0x2
	buffer_load_dword v50, off, s[0:3], 0 offset:972
	buffer_load_dword v49, off, s[0:3], 0 offset:968
	;; [unrolled: 1-line block ×3, first 2 shown]
	ds_read_b128 v[5:8], v70 offset:1696
	s_waitcnt vmcnt(55) lgkmcnt(1)
	v_mul_f64 v[63:64], v[9:10], v[21:22]
	v_mul_f64 v[21:22], v[11:12], v[21:22]
	s_waitcnt vmcnt(54)
	v_fma_f64 v[95:96], v[1:2], v[113:114], -v[95:96]
	v_fma_f64 v[53:54], v[3:4], v[113:114], v[53:54]
	v_add_f64 v[15:16], v[15:16], v[57:58]
	v_add_f64 v[13:14], v[13:14], v[55:56]
	s_clause 0x1
	buffer_load_dword v56, off, s[0:3], 0 offset:964
	buffer_load_dword v55, off, s[0:3], 0 offset:960
	ds_read_b128 v[1:4], v70 offset:1712
	s_waitcnt vmcnt(55) lgkmcnt(1)
	v_mul_f64 v[109:110], v[7:8], v[111:112]
	v_mul_f64 v[57:58], v[5:6], v[111:112]
	s_waitcnt vmcnt(53)
	v_fma_f64 v[21:22], v[9:10], v[27:28], -v[21:22]
	v_fma_f64 v[27:28], v[11:12], v[27:28], v[63:64]
	ds_read_b128 v[9:12], v70 offset:1728
	v_add_f64 v[15:16], v[15:16], v[95:96]
	v_add_f64 v[13:14], v[13:14], v[53:54]
	s_waitcnt vmcnt(49) lgkmcnt(1)
	v_mul_f64 v[53:54], v[1:2], v[33:34]
	v_mul_f64 v[33:34], v[3:4], v[33:34]
	s_waitcnt vmcnt(48)
	v_fma_f64 v[63:64], v[5:6], v[125:126], -v[109:110]
	v_add_f64 v[15:16], v[15:16], v[21:22]
	v_fma_f64 v[21:22], v[7:8], v[125:126], v[57:58]
	v_add_f64 v[13:14], v[13:14], v[27:28]
	s_clause 0x3
	buffer_load_dword v27, off, s[0:3], 0 offset:160
	buffer_load_dword v28, off, s[0:3], 0 offset:164
	;; [unrolled: 1-line block ×4, first 2 shown]
	ds_read_b128 v[5:8], v70 offset:1744
	s_waitcnt vmcnt(51) lgkmcnt(1)
	v_mul_f64 v[95:96], v[9:10], v[97:98]
	v_mul_f64 v[97:98], v[11:12], v[97:98]
	s_waitcnt vmcnt(49)
	v_fma_f64 v[33:34], v[1:2], v[25:26], -v[33:34]
	v_fma_f64 v[25:26], v[3:4], v[25:26], v[53:54]
	ds_read_b128 v[1:4], v70 offset:1760
	v_add_f64 v[15:16], v[15:16], v[63:64]
	v_add_f64 v[13:14], v[13:14], v[21:22]
	s_waitcnt vmcnt(45) lgkmcnt(1)
	v_mul_f64 v[21:22], v[5:6], v[19:20]
	v_mul_f64 v[19:20], v[7:8], v[19:20]
	s_waitcnt vmcnt(44)
	v_fma_f64 v[53:54], v[9:10], v[123:124], -v[97:98]
	v_add_f64 v[15:16], v[15:16], v[33:34]
	v_fma_f64 v[33:34], v[11:12], v[123:124], v[95:96]
	v_add_f64 v[13:14], v[13:14], v[25:26]
	ds_read_b128 v[9:12], v70 offset:1776
	s_waitcnt vmcnt(43) lgkmcnt(1)
	v_mul_f64 v[25:26], v[1:2], v[37:38]
	v_mul_f64 v[37:38], v[3:4], v[37:38]
	s_waitcnt vmcnt(41)
	v_fma_f64 v[19:20], v[5:6], v[31:32], -v[19:20]
	v_fma_f64 v[21:22], v[7:8], v[31:32], v[21:22]
	ds_read_b128 v[5:8], v70 offset:1792
	v_add_f64 v[15:16], v[15:16], v[53:54]
	v_add_f64 v[13:14], v[13:14], v[33:34]
	s_waitcnt vmcnt(37) lgkmcnt(1)
	v_mul_f64 v[31:32], v[9:10], v[23:24]
	v_mul_f64 v[23:24], v[11:12], v[23:24]
	s_waitcnt vmcnt(36)
	v_fma_f64 v[33:34], v[1:2], v[115:116], -v[37:38]
	v_add_f64 v[15:16], v[15:16], v[19:20]
	v_fma_f64 v[19:20], v[3:4], v[115:116], v[25:26]
	v_add_f64 v[13:14], v[13:14], v[21:22]
	ds_read_b128 v[1:4], v70 offset:1808
	s_waitcnt vmcnt(35) lgkmcnt(1)
	v_mul_f64 v[25:26], v[7:8], v[45:46]
	v_mul_f64 v[21:22], v[5:6], v[45:46]
	s_waitcnt vmcnt(33)
	v_fma_f64 v[23:24], v[9:10], v[41:42], -v[23:24]
	v_fma_f64 v[31:32], v[11:12], v[41:42], v[31:32]
	ds_read_b128 v[9:12], v70 offset:1824
	v_add_f64 v[15:16], v[15:16], v[33:34]
	v_add_f64 v[13:14], v[13:14], v[19:20]
	s_waitcnt vmcnt(29) lgkmcnt(1)
	v_mul_f64 v[19:20], v[1:2], v[29:30]
	v_mul_f64 v[29:30], v[3:4], v[29:30]
	s_waitcnt vmcnt(28)
	v_fma_f64 v[25:26], v[5:6], v[99:100], -v[25:26]
	v_fma_f64 v[21:22], v[7:8], v[99:100], v[21:22]
	ds_read_b128 v[5:8], v70 offset:1840
	v_add_f64 v[15:16], v[15:16], v[23:24]
	v_add_f64 v[13:14], v[13:14], v[31:32]
	;; [unrolled: 9-line block ×3, first 2 shown]
	s_waitcnt vmcnt(21) lgkmcnt(1)
	v_mul_f64 v[25:26], v[7:8], v[35:36]
	s_waitcnt vmcnt(20)
	v_fma_f64 v[31:32], v[9:10], v[93:94], -v[31:32]
	v_mul_f64 v[21:22], v[5:6], v[35:36]
	v_fma_f64 v[23:24], v[11:12], v[93:94], v[23:24]
	ds_read_b128 v[9:12], v70 offset:1872
	v_add_f64 v[15:16], v[15:16], v[29:30]
	v_add_f64 v[13:14], v[13:14], v[19:20]
	s_waitcnt vmcnt(19) lgkmcnt(1)
	v_mul_f64 v[29:30], v[3:4], v[59:60]
	v_mul_f64 v[19:20], v[1:2], v[59:60]
	s_waitcnt vmcnt(17)
	v_fma_f64 v[25:26], v[5:6], v[47:48], -v[25:26]
	v_fma_f64 v[21:22], v[7:8], v[47:48], v[21:22]
	ds_read_b128 v[5:8], v70 offset:1888
	v_add_f64 v[15:16], v[15:16], v[31:32]
	v_add_f64 v[13:14], v[13:14], v[23:24]
	s_waitcnt vmcnt(13) lgkmcnt(1)
	v_mul_f64 v[31:32], v[11:12], v[43:44]
	s_waitcnt vmcnt(12)
	v_fma_f64 v[29:30], v[1:2], v[65:66], -v[29:30]
	v_mul_f64 v[23:24], v[9:10], v[43:44]
	v_fma_f64 v[19:20], v[3:4], v[65:66], v[19:20]
	ds_read_b128 v[1:4], v70 offset:1904
	v_add_f64 v[15:16], v[15:16], v[25:26]
	v_add_f64 v[13:14], v[13:14], v[21:22]
	s_waitcnt vmcnt(11) lgkmcnt(1)
	v_mul_f64 v[25:26], v[7:8], v[61:62]
	v_mul_f64 v[21:22], v[5:6], v[61:62]
	s_waitcnt vmcnt(9)
	v_fma_f64 v[9:10], v[9:10], v[17:18], -v[31:32]
	v_fma_f64 v[11:12], v[11:12], v[17:18], v[23:24]
	v_add_f64 v[15:16], v[15:16], v[29:30]
	v_add_f64 v[13:14], v[13:14], v[19:20]
	s_waitcnt vmcnt(7) lgkmcnt(0)
	v_mul_f64 v[19:20], v[3:4], v[49:50]
	s_waitcnt vmcnt(6)
	v_fma_f64 v[5:6], v[5:6], v[67:68], -v[25:26]
	v_mul_f64 v[17:18], v[1:2], v[49:50]
	v_fma_f64 v[7:8], v[7:8], v[67:68], v[21:22]
	v_add_f64 v[9:10], v[15:16], v[9:10]
	v_add_f64 v[11:12], v[13:14], v[11:12]
	s_waitcnt vmcnt(4)
	v_fma_f64 v[1:2], v[1:2], v[55:56], -v[19:20]
	v_fma_f64 v[3:4], v[3:4], v[55:56], v[17:18]
	v_add_f64 v[5:6], v[9:10], v[5:6]
	v_add_f64 v[7:8], v[11:12], v[7:8]
	;; [unrolled: 1-line block ×4, first 2 shown]
	s_waitcnt vmcnt(2)
	v_add_f64 v[1:2], v[27:28], -v[1:2]
	s_waitcnt vmcnt(0)
	v_add_f64 v[3:4], v[57:58], -v[3:4]
	buffer_store_dword v2, off, s[0:3], 0 offset:164
	buffer_store_dword v1, off, s[0:3], 0 offset:160
	;; [unrolled: 1-line block ×4, first 2 shown]
	v_cmpx_lt_u32_e32 8, v0
	s_cbranch_execz .LBB59_357
; %bb.356:
	v_mov_b32_e32 v4, s63
	v_mov_b32_e32 v5, 0
	s_clause 0x3
	buffer_load_dword v1, v4, s[0:3], 0 offen
	buffer_load_dword v2, v4, s[0:3], 0 offen offset:4
	buffer_load_dword v3, v4, s[0:3], 0 offen offset:8
	;; [unrolled: 1-line block ×3, first 2 shown]
	buffer_store_dword v5, off, s[0:3], 0 offset:144
	buffer_store_dword v5, off, s[0:3], 0 offset:148
	;; [unrolled: 1-line block ×4, first 2 shown]
	s_waitcnt vmcnt(0)
	ds_write_b128 v69, v[1:4]
.LBB59_357:
	s_or_b32 exec_lo, exec_lo, s4
	s_waitcnt lgkmcnt(0)
	s_waitcnt_vscnt null, 0x0
	s_barrier
	buffer_gl0_inv
	s_clause 0x37
	buffer_load_dword v17, off, s[0:3], 0 offset:168
	buffer_load_dword v18, off, s[0:3], 0 offset:172
	buffer_load_dword v13, off, s[0:3], 0 offset:184
	buffer_load_dword v14, off, s[0:3], 0 offset:188
	buffer_load_dword v15, off, s[0:3], 0 offset:160
	buffer_load_dword v16, off, s[0:3], 0 offset:164
	buffer_load_dword v11, off, s[0:3], 0 offset:200
	buffer_load_dword v12, off, s[0:3], 0 offset:204
	buffer_load_dword v9, off, s[0:3], 0 offset:176
	buffer_load_dword v10, off, s[0:3], 0 offset:180
	buffer_load_dword v22, off, s[0:3], 0 offset:220
	buffer_load_dword v25, off, s[0:3], 0 offset:232
	buffer_load_dword v19, off, s[0:3], 0 offset:224
	buffer_load_dword v21, off, s[0:3], 0 offset:216
	buffer_load_dword v33, off, s[0:3], 0 offset:192
	buffer_load_dword v34, off, s[0:3], 0 offset:196
	buffer_load_dword v26, off, s[0:3], 0 offset:236
	buffer_load_dword v28, off, s[0:3], 0 offset:212
	buffer_load_dword v27, off, s[0:3], 0 offset:208
	buffer_load_dword v30, off, s[0:3], 0 offset:252
	buffer_load_dword v35, off, s[0:3], 0 offset:264
	buffer_load_dword v23, off, s[0:3], 0 offset:256
	buffer_load_dword v29, off, s[0:3], 0 offset:248
	buffer_load_dword v20, off, s[0:3], 0 offset:228
	buffer_load_dword v36, off, s[0:3], 0 offset:268
	buffer_load_dword v38, off, s[0:3], 0 offset:244
	buffer_load_dword v37, off, s[0:3], 0 offset:240
	buffer_load_dword v40, off, s[0:3], 0 offset:284
	buffer_load_dword v43, off, s[0:3], 0 offset:296
	buffer_load_dword v31, off, s[0:3], 0 offset:288
	buffer_load_dword v39, off, s[0:3], 0 offset:280
	buffer_load_dword v24, off, s[0:3], 0 offset:260
	buffer_load_dword v44, off, s[0:3], 0 offset:300
	buffer_load_dword v46, off, s[0:3], 0 offset:276
	buffer_load_dword v45, off, s[0:3], 0 offset:272
	buffer_load_dword v48, off, s[0:3], 0 offset:316
	buffer_load_dword v51, off, s[0:3], 0 offset:328
	buffer_load_dword v41, off, s[0:3], 0 offset:320
	buffer_load_dword v47, off, s[0:3], 0 offset:312
	buffer_load_dword v32, off, s[0:3], 0 offset:292
	buffer_load_dword v52, off, s[0:3], 0 offset:332
	buffer_load_dword v54, off, s[0:3], 0 offset:308
	buffer_load_dword v53, off, s[0:3], 0 offset:304
	buffer_load_dword v56, off, s[0:3], 0 offset:348
	buffer_load_dword v59, off, s[0:3], 0 offset:360
	buffer_load_dword v49, off, s[0:3], 0 offset:352
	buffer_load_dword v55, off, s[0:3], 0 offset:344
	buffer_load_dword v42, off, s[0:3], 0 offset:324
	buffer_load_dword v60, off, s[0:3], 0 offset:364
	buffer_load_dword v62, off, s[0:3], 0 offset:340
	buffer_load_dword v61, off, s[0:3], 0 offset:336
	buffer_load_dword v64, off, s[0:3], 0 offset:380
	buffer_load_dword v65, off, s[0:3], 0 offset:392
	buffer_load_dword v57, off, s[0:3], 0 offset:384
	buffer_load_dword v63, off, s[0:3], 0 offset:376
	buffer_load_dword v50, off, s[0:3], 0 offset:356
	v_mov_b32_e32 v70, 0
	s_mov_b32 s4, exec_lo
	ds_read_b128 v[5:8], v70 offset:1104
	s_clause 0x2
	buffer_load_dword v66, off, s[0:3], 0 offset:396
	buffer_load_dword v68, off, s[0:3], 0 offset:372
	;; [unrolled: 1-line block ×3, first 2 shown]
	ds_read_b128 v[1:4], v70 offset:1120
	s_clause 0x4
	buffer_load_dword v100, off, s[0:3], 0 offset:412
	buffer_load_dword v109, off, s[0:3], 0 offset:424
	buffer_load_dword v111, off, s[0:3], 0 offset:416
	buffer_load_dword v99, off, s[0:3], 0 offset:408
	buffer_load_dword v58, off, s[0:3], 0 offset:388
	ds_read_b128 v[93:96], v70 offset:1136
	s_waitcnt vmcnt(62) lgkmcnt(2)
	v_mul_f64 v[97:98], v[7:8], v[17:18]
	v_mul_f64 v[17:18], v[5:6], v[17:18]
	s_waitcnt vmcnt(60) lgkmcnt(1)
	v_mul_f64 v[112:113], v[3:4], v[13:14]
	v_mul_f64 v[13:14], v[1:2], v[13:14]
	;; [unrolled: 3-line block ×3, first 2 shown]
	v_fma_f64 v[97:98], v[5:6], v[15:16], -v[97:98]
	v_fma_f64 v[15:16], v[7:8], v[15:16], v[17:18]
	s_clause 0x2
	buffer_load_dword v110, off, s[0:3], 0 offset:428
	buffer_load_dword v18, off, s[0:3], 0 offset:404
	buffer_load_dword v17, off, s[0:3], 0 offset:400
	s_waitcnt vmcnt(57)
	v_fma_f64 v[123:124], v[1:2], v[9:10], -v[112:113]
	ds_read_b128 v[5:8], v70 offset:1152
	v_fma_f64 v[9:10], v[3:4], v[9:10], v[13:14]
	s_waitcnt vmcnt(51)
	v_fma_f64 v[93:94], v[93:94], v[33:34], -v[11:12]
	v_fma_f64 v[33:34], v[95:96], v[33:34], v[114:115]
	v_add_f64 v[97:98], v[97:98], 0
	v_add_f64 v[13:14], v[15:16], 0
	s_clause 0x4
	buffer_load_dword v16, off, s[0:3], 0 offset:444
	buffer_load_dword v113, off, s[0:3], 0 offset:456
	;; [unrolled: 1-line block ×5, first 2 shown]
	s_waitcnt lgkmcnt(0)
	v_mul_f64 v[126:127], v[5:6], v[21:22]
	v_mul_f64 v[21:22], v[7:8], v[21:22]
	ds_read_b128 v[1:4], v70 offset:1168
	s_clause 0x2
	buffer_load_dword v114, off, s[0:3], 0 offset:460
	buffer_load_dword v96, off, s[0:3], 0 offset:436
	;; [unrolled: 1-line block ×3, first 2 shown]
	v_add_f64 v[97:98], v[97:98], v[123:124]
	v_add_f64 v[13:14], v[13:14], v[9:10]
	ds_read_b128 v[9:12], v70 offset:1184
	s_waitcnt vmcnt(58) lgkmcnt(1)
	v_mul_f64 v[115:116], v[1:2], v[25:26]
	v_mul_f64 v[25:26], v[3:4], v[25:26]
	s_waitcnt vmcnt(56)
	v_fma_f64 v[21:22], v[5:6], v[27:28], -v[21:22]
	v_fma_f64 v[27:28], v[7:8], v[27:28], v[126:127]
	s_waitcnt vmcnt(52) lgkmcnt(0)
	v_mul_f64 v[127:128], v[9:10], v[29:30]
	v_add_f64 v[93:94], v[97:98], v[93:94]
	v_add_f64 v[13:14], v[13:14], v[33:34]
	s_clause 0x4
	buffer_load_dword v34, off, s[0:3], 0 offset:476
	buffer_load_dword v97, off, s[0:3], 0 offset:488
	;; [unrolled: 1-line block ×5, first 2 shown]
	v_mul_f64 v[29:30], v[11:12], v[29:30]
	s_waitcnt vmcnt(56)
	v_fma_f64 v[25:26], v[1:2], v[19:20], -v[25:26]
	ds_read_b128 v[5:8], v70 offset:1200
	v_fma_f64 v[19:20], v[3:4], v[19:20], v[115:116]
	v_add_f64 v[21:22], v[93:94], v[21:22]
	v_add_f64 v[13:14], v[13:14], v[27:28]
	s_clause 0x2
	buffer_load_dword v98, off, s[0:3], 0 offset:492
	buffer_load_dword v28, off, s[0:3], 0 offset:468
	;; [unrolled: 1-line block ×3, first 2 shown]
	s_waitcnt vmcnt(58) lgkmcnt(0)
	v_mul_f64 v[93:94], v[5:6], v[35:36]
	v_mul_f64 v[35:36], v[7:8], v[35:36]
	s_waitcnt vmcnt(56)
	v_fma_f64 v[29:30], v[9:10], v[37:38], -v[29:30]
	ds_read_b128 v[1:4], v70 offset:1216
	v_add_f64 v[21:22], v[21:22], v[25:26]
	v_fma_f64 v[25:26], v[11:12], v[37:38], v[127:128]
	v_add_f64 v[13:14], v[13:14], v[19:20]
	s_clause 0x4
	buffer_load_dword v20, off, s[0:3], 0 offset:508
	buffer_load_dword v37, off, s[0:3], 0 offset:520
	;; [unrolled: 1-line block ×5, first 2 shown]
	s_waitcnt vmcnt(57) lgkmcnt(0)
	v_mul_f64 v[127:128], v[1:2], v[39:40]
	v_mul_f64 v[39:40], v[3:4], v[39:40]
	s_waitcnt vmcnt(56)
	v_fma_f64 v[35:36], v[5:6], v[23:24], -v[35:36]
	ds_read_b128 v[9:12], v70 offset:1232
	v_fma_f64 v[23:24], v[7:8], v[23:24], v[93:94]
	v_add_f64 v[21:22], v[21:22], v[29:30]
	v_add_f64 v[13:14], v[13:14], v[25:26]
	s_clause 0x2
	buffer_load_dword v38, off, s[0:3], 0 offset:524
	buffer_load_dword v26, off, s[0:3], 0 offset:500
	;; [unrolled: 1-line block ×3, first 2 shown]
	ds_read_b128 v[5:8], v70 offset:1248
	s_waitcnt vmcnt(58) lgkmcnt(1)
	v_mul_f64 v[29:30], v[9:10], v[43:44]
	v_mul_f64 v[43:44], v[11:12], v[43:44]
	s_waitcnt vmcnt(56)
	v_fma_f64 v[39:40], v[1:2], v[45:46], -v[39:40]
	v_add_f64 v[21:22], v[21:22], v[35:36]
	v_fma_f64 v[35:36], v[3:4], v[45:46], v[127:128]
	v_add_f64 v[13:14], v[13:14], v[23:24]
	s_clause 0x4
	buffer_load_dword v24, off, s[0:3], 0 offset:540
	buffer_load_dword v45, off, s[0:3], 0 offset:552
	;; [unrolled: 1-line block ×5, first 2 shown]
	s_waitcnt vmcnt(57) lgkmcnt(0)
	v_mul_f64 v[127:128], v[5:6], v[47:48]
	v_mul_f64 v[47:48], v[7:8], v[47:48]
	s_waitcnt vmcnt(56)
	v_fma_f64 v[43:44], v[9:10], v[31:32], -v[43:44]
	ds_read_b128 v[1:4], v70 offset:1264
	v_fma_f64 v[29:30], v[11:12], v[31:32], v[29:30]
	s_clause 0x2
	buffer_load_dword v46, off, s[0:3], 0 offset:556
	buffer_load_dword v32, off, s[0:3], 0 offset:532
	;; [unrolled: 1-line block ×3, first 2 shown]
	ds_read_b128 v[9:12], v70 offset:1280
	v_add_f64 v[21:22], v[21:22], v[39:40]
	v_add_f64 v[13:14], v[13:14], v[35:36]
	s_waitcnt vmcnt(58) lgkmcnt(1)
	v_mul_f64 v[39:40], v[3:4], v[51:52]
	s_waitcnt vmcnt(56)
	v_fma_f64 v[47:48], v[5:6], v[53:54], -v[47:48]
	v_mul_f64 v[35:36], v[1:2], v[51:52]
	v_add_f64 v[21:22], v[21:22], v[43:44]
	v_fma_f64 v[43:44], v[7:8], v[53:54], v[127:128]
	v_add_f64 v[13:14], v[13:14], v[29:30]
	s_clause 0x4
	buffer_load_dword v30, off, s[0:3], 0 offset:572
	buffer_load_dword v51, off, s[0:3], 0 offset:584
	;; [unrolled: 1-line block ×5, first 2 shown]
	s_waitcnt vmcnt(57) lgkmcnt(0)
	v_mul_f64 v[127:128], v[9:10], v[55:56]
	v_mul_f64 v[54:55], v[11:12], v[55:56]
	s_waitcnt vmcnt(56)
	v_fma_f64 v[39:40], v[1:2], v[41:42], -v[39:40]
	ds_read_b128 v[5:8], v70 offset:1296
	v_fma_f64 v[35:36], v[3:4], v[41:42], v[35:36]
	s_clause 0x2
	buffer_load_dword v52, off, s[0:3], 0 offset:588
	buffer_load_dword v42, off, s[0:3], 0 offset:564
	;; [unrolled: 1-line block ×3, first 2 shown]
	ds_read_b128 v[1:4], v70 offset:1312
	v_add_f64 v[21:22], v[21:22], v[47:48]
	v_add_f64 v[13:14], v[13:14], v[43:44]
	s_waitcnt vmcnt(58) lgkmcnt(1)
	v_mul_f64 v[47:48], v[7:8], v[59:60]
	s_waitcnt vmcnt(56)
	v_fma_f64 v[55:56], v[9:10], v[61:62], -v[54:55]
	v_mul_f64 v[43:44], v[5:6], v[59:60]
	v_add_f64 v[21:22], v[21:22], v[39:40]
	v_fma_f64 v[39:40], v[11:12], v[61:62], v[127:128]
	v_add_f64 v[13:14], v[13:14], v[35:36]
	s_clause 0x4
	buffer_load_dword v36, off, s[0:3], 0 offset:604
	buffer_load_dword v59, off, s[0:3], 0 offset:616
	;; [unrolled: 1-line block ×5, first 2 shown]
	s_waitcnt vmcnt(57) lgkmcnt(0)
	v_mul_f64 v[127:128], v[1:2], v[63:64]
	v_mul_f64 v[62:63], v[3:4], v[63:64]
	s_waitcnt vmcnt(56)
	v_fma_f64 v[47:48], v[5:6], v[49:50], -v[47:48]
	ds_read_b128 v[9:12], v70 offset:1328
	v_fma_f64 v[43:44], v[7:8], v[49:50], v[43:44]
	v_add_f64 v[21:22], v[21:22], v[55:56]
	v_add_f64 v[13:14], v[13:14], v[39:40]
	s_clause 0x2
	buffer_load_dword v60, off, s[0:3], 0 offset:620
	buffer_load_dword v40, off, s[0:3], 0 offset:596
	;; [unrolled: 1-line block ×3, first 2 shown]
	ds_read_b128 v[5:8], v70 offset:1344
	s_waitcnt vmcnt(58) lgkmcnt(1)
	v_mul_f64 v[55:56], v[11:12], v[65:66]
	s_waitcnt vmcnt(56)
	v_fma_f64 v[63:64], v[1:2], v[67:68], -v[62:63]
	v_mul_f64 v[49:50], v[9:10], v[65:66]
	v_add_f64 v[21:22], v[21:22], v[47:48]
	v_fma_f64 v[47:48], v[3:4], v[67:68], v[127:128]
	v_add_f64 v[13:14], v[13:14], v[43:44]
	s_clause 0x4
	buffer_load_dword v44, off, s[0:3], 0 offset:636
	buffer_load_dword v65, off, s[0:3], 0 offset:648
	;; [unrolled: 1-line block ×5, first 2 shown]
	s_waitcnt vmcnt(57) lgkmcnt(0)
	v_mul_f64 v[127:128], v[5:6], v[99:100]
	v_mul_f64 v[99:100], v[7:8], v[99:100]
	s_waitcnt vmcnt(56)
	v_fma_f64 v[55:56], v[9:10], v[57:58], -v[55:56]
	ds_read_b128 v[1:4], v70 offset:1360
	v_fma_f64 v[49:50], v[11:12], v[57:58], v[49:50]
	v_add_f64 v[21:22], v[21:22], v[63:64]
	v_add_f64 v[13:14], v[13:14], v[47:48]
	s_clause 0x2
	buffer_load_dword v66, off, s[0:3], 0 offset:652
	buffer_load_dword v48, off, s[0:3], 0 offset:628
	;; [unrolled: 1-line block ×3, first 2 shown]
	ds_read_b128 v[9:12], v70 offset:1376
	s_waitcnt vmcnt(58) lgkmcnt(1)
	v_mul_f64 v[63:64], v[3:4], v[109:110]
	v_mul_f64 v[57:58], v[1:2], v[109:110]
	s_waitcnt vmcnt(56)
	v_fma_f64 v[99:100], v[5:6], v[17:18], -v[99:100]
	v_fma_f64 v[17:18], v[7:8], v[17:18], v[127:128]
	v_add_f64 v[21:22], v[21:22], v[55:56]
	v_add_f64 v[13:14], v[13:14], v[49:50]
	s_clause 0x4
	buffer_load_dword v50, off, s[0:3], 0 offset:668
	buffer_load_dword v55, off, s[0:3], 0 offset:680
	;; [unrolled: 1-line block ×5, first 2 shown]
	ds_read_b128 v[5:8], v70 offset:1392
	s_waitcnt vmcnt(57) lgkmcnt(1)
	v_mul_f64 v[127:128], v[9:10], v[15:16]
	v_mul_f64 v[15:16], v[11:12], v[15:16]
	s_waitcnt vmcnt(56)
	v_fma_f64 v[63:64], v[1:2], v[111:112], -v[63:64]
	v_fma_f64 v[57:58], v[3:4], v[111:112], v[57:58]
	v_add_f64 v[21:22], v[21:22], v[99:100]
	v_add_f64 v[13:14], v[13:14], v[17:18]
	s_clause 0x2
	buffer_load_dword v56, off, s[0:3], 0 offset:684
	buffer_load_dword v18, off, s[0:3], 0 offset:660
	;; [unrolled: 1-line block ×3, first 2 shown]
	s_waitcnt vmcnt(58) lgkmcnt(0)
	v_mul_f64 v[111:112], v[7:8], v[113:114]
	ds_read_b128 v[1:4], v70 offset:1408
	v_mul_f64 v[99:100], v[5:6], v[113:114]
	s_waitcnt vmcnt(56)
	v_fma_f64 v[15:16], v[9:10], v[95:96], -v[15:16]
	v_add_f64 v[21:22], v[21:22], v[63:64]
	v_fma_f64 v[63:64], v[11:12], v[95:96], v[127:128]
	v_add_f64 v[13:14], v[13:14], v[57:58]
	s_clause 0x4
	buffer_load_dword v58, off, s[0:3], 0 offset:700
	buffer_load_dword v95, off, s[0:3], 0 offset:712
	;; [unrolled: 1-line block ×5, first 2 shown]
	ds_read_b128 v[9:12], v70 offset:1424
	s_waitcnt vmcnt(57) lgkmcnt(1)
	v_mul_f64 v[127:128], v[1:2], v[33:34]
	v_mul_f64 v[33:34], v[3:4], v[33:34]
	s_waitcnt vmcnt(56)
	v_fma_f64 v[111:112], v[5:6], v[125:126], -v[111:112]
	v_add_f64 v[15:16], v[21:22], v[15:16]
	v_fma_f64 v[21:22], v[7:8], v[125:126], v[99:100]
	v_add_f64 v[13:14], v[13:14], v[63:64]
	s_clause 0x2
	buffer_load_dword v96, off, s[0:3], 0 offset:716
	buffer_load_dword v64, off, s[0:3], 0 offset:692
	;; [unrolled: 1-line block ×3, first 2 shown]
	ds_read_b128 v[5:8], v70 offset:1440
	s_waitcnt vmcnt(58) lgkmcnt(1)
	v_mul_f64 v[99:100], v[9:10], v[97:98]
	v_mul_f64 v[97:98], v[11:12], v[97:98]
	s_waitcnt vmcnt(56)
	v_fma_f64 v[33:34], v[1:2], v[27:28], -v[33:34]
	v_fma_f64 v[27:28], v[3:4], v[27:28], v[127:128]
	v_add_f64 v[15:16], v[15:16], v[111:112]
	v_add_f64 v[13:14], v[13:14], v[21:22]
	s_clause 0x4
	buffer_load_dword v22, off, s[0:3], 0 offset:732
	buffer_load_dword v111, off, s[0:3], 0 offset:744
	buffer_load_dword v125, off, s[0:3], 0 offset:736
	buffer_load_dword v21, off, s[0:3], 0 offset:728
	buffer_load_dword v114, off, s[0:3], 0 offset:708
	ds_read_b128 v[1:4], v70 offset:1456
	s_waitcnt vmcnt(57) lgkmcnt(1)
	v_mul_f64 v[126:127], v[5:6], v[19:20]
	v_mul_f64 v[19:20], v[7:8], v[19:20]
	s_waitcnt vmcnt(56)
	v_fma_f64 v[97:98], v[9:10], v[123:124], -v[97:98]
	v_add_f64 v[15:16], v[15:16], v[33:34]
	v_fma_f64 v[33:34], v[11:12], v[123:124], v[99:100]
	v_add_f64 v[13:14], v[13:14], v[27:28]
	s_clause 0x2
	buffer_load_dword v112, off, s[0:3], 0 offset:748
	buffer_load_dword v28, off, s[0:3], 0 offset:724
	;; [unrolled: 1-line block ×3, first 2 shown]
	ds_read_b128 v[9:12], v70 offset:1472
	s_waitcnt vmcnt(58) lgkmcnt(1)
	v_mul_f64 v[99:100], v[1:2], v[37:38]
	v_mul_f64 v[37:38], v[3:4], v[37:38]
	s_waitcnt vmcnt(56)
	v_fma_f64 v[19:20], v[5:6], v[25:26], -v[19:20]
	v_fma_f64 v[25:26], v[7:8], v[25:26], v[126:127]
	v_add_f64 v[15:16], v[15:16], v[97:98]
	v_add_f64 v[13:14], v[13:14], v[33:34]
	s_clause 0x4
	buffer_load_dword v34, off, s[0:3], 0 offset:764
	buffer_load_dword v97, off, s[0:3], 0 offset:776
	;; [unrolled: 1-line block ×5, first 2 shown]
	ds_read_b128 v[5:8], v70 offset:1488
	s_waitcnt vmcnt(57) lgkmcnt(1)
	v_mul_f64 v[127:128], v[9:10], v[23:24]
	v_mul_f64 v[23:24], v[11:12], v[23:24]
	s_waitcnt vmcnt(56)
	v_fma_f64 v[37:38], v[1:2], v[115:116], -v[37:38]
	v_add_f64 v[15:16], v[15:16], v[19:20]
	v_fma_f64 v[19:20], v[3:4], v[115:116], v[99:100]
	v_add_f64 v[13:14], v[13:14], v[25:26]
	s_clause 0x2
	buffer_load_dword v98, off, s[0:3], 0 offset:780
	buffer_load_dword v26, off, s[0:3], 0 offset:756
	;; [unrolled: 1-line block ×3, first 2 shown]
	s_waitcnt vmcnt(58) lgkmcnt(0)
	v_mul_f64 v[99:100], v[5:6], v[45:46]
	v_mul_f64 v[45:46], v[7:8], v[45:46]
	ds_read_b128 v[1:4], v70 offset:1504
	s_waitcnt vmcnt(56)
	v_fma_f64 v[23:24], v[9:10], v[31:32], -v[23:24]
	v_fma_f64 v[31:32], v[11:12], v[31:32], v[127:128]
	v_add_f64 v[15:16], v[15:16], v[37:38]
	v_add_f64 v[13:14], v[13:14], v[19:20]
	s_clause 0x4
	buffer_load_dword v20, off, s[0:3], 0 offset:796
	buffer_load_dword v37, off, s[0:3], 0 offset:808
	;; [unrolled: 1-line block ×5, first 2 shown]
	ds_read_b128 v[9:12], v70 offset:1520
	s_waitcnt vmcnt(57) lgkmcnt(1)
	v_mul_f64 v[127:128], v[1:2], v[29:30]
	v_mul_f64 v[29:30], v[3:4], v[29:30]
	s_waitcnt vmcnt(56)
	v_fma_f64 v[45:46], v[5:6], v[93:94], -v[45:46]
	v_add_f64 v[15:16], v[15:16], v[23:24]
	v_fma_f64 v[23:24], v[7:8], v[93:94], v[99:100]
	v_add_f64 v[13:14], v[13:14], v[31:32]
	s_clause 0x2
	buffer_load_dword v38, off, s[0:3], 0 offset:812
	buffer_load_dword v32, off, s[0:3], 0 offset:788
	;; [unrolled: 1-line block ×3, first 2 shown]
	s_waitcnt vmcnt(58) lgkmcnt(0)
	v_mul_f64 v[93:94], v[9:10], v[51:52]
	v_mul_f64 v[51:52], v[11:12], v[51:52]
	ds_read_b128 v[5:8], v70 offset:1536
	s_waitcnt vmcnt(56)
	v_fma_f64 v[29:30], v[1:2], v[41:42], -v[29:30]
	v_fma_f64 v[41:42], v[3:4], v[41:42], v[127:128]
	v_add_f64 v[15:16], v[15:16], v[45:46]
	v_add_f64 v[13:14], v[13:14], v[23:24]
	s_clause 0x4
	buffer_load_dword v24, off, s[0:3], 0 offset:828
	buffer_load_dword v45, off, s[0:3], 0 offset:840
	buffer_load_dword v99, off, s[0:3], 0 offset:832
	buffer_load_dword v23, off, s[0:3], 0 offset:824
	buffer_load_dword v116, off, s[0:3], 0 offset:804
	ds_read_b128 v[1:4], v70 offset:1552
	s_waitcnt vmcnt(57) lgkmcnt(1)
	v_mul_f64 v[127:128], v[5:6], v[35:36]
	v_mul_f64 v[35:36], v[7:8], v[35:36]
	s_waitcnt vmcnt(56)
	v_fma_f64 v[51:52], v[9:10], v[53:54], -v[51:52]
	v_add_f64 v[15:16], v[15:16], v[29:30]
	v_fma_f64 v[29:30], v[11:12], v[53:54], v[93:94]
	v_add_f64 v[13:14], v[13:14], v[41:42]
	s_clause 0x2
	buffer_load_dword v46, off, s[0:3], 0 offset:844
	buffer_load_dword v42, off, s[0:3], 0 offset:820
	buffer_load_dword v41, off, s[0:3], 0 offset:816
	ds_read_b128 v[9:12], v70 offset:1568
	s_waitcnt vmcnt(58) lgkmcnt(1)
	v_mul_f64 v[53:54], v[1:2], v[59:60]
	v_mul_f64 v[59:60], v[3:4], v[59:60]
	s_waitcnt vmcnt(56)
	v_fma_f64 v[35:36], v[5:6], v[39:40], -v[35:36]
	v_fma_f64 v[39:40], v[7:8], v[39:40], v[127:128]
	v_add_f64 v[15:16], v[15:16], v[51:52]
	v_add_f64 v[13:14], v[13:14], v[29:30]
	s_clause 0x4
	buffer_load_dword v30, off, s[0:3], 0 offset:860
	buffer_load_dword v51, off, s[0:3], 0 offset:872
	buffer_load_dword v93, off, s[0:3], 0 offset:864
	buffer_load_dword v29, off, s[0:3], 0 offset:856
	buffer_load_dword v100, off, s[0:3], 0 offset:836
	ds_read_b128 v[5:8], v70 offset:1584
	s_waitcnt vmcnt(57) lgkmcnt(1)
	v_mul_f64 v[127:128], v[9:10], v[43:44]
	v_mul_f64 v[43:44], v[11:12], v[43:44]
	s_waitcnt vmcnt(56)
	v_fma_f64 v[59:60], v[1:2], v[61:62], -v[59:60]
	v_add_f64 v[15:16], v[15:16], v[35:36]
	v_fma_f64 v[35:36], v[3:4], v[61:62], v[53:54]
	v_add_f64 v[13:14], v[13:14], v[39:40]
	s_clause 0x2
	buffer_load_dword v52, off, s[0:3], 0 offset:876
	buffer_load_dword v40, off, s[0:3], 0 offset:852
	buffer_load_dword v39, off, s[0:3], 0 offset:848
	ds_read_b128 v[1:4], v70 offset:1600
	s_waitcnt vmcnt(58) lgkmcnt(1)
	v_mul_f64 v[61:62], v[7:8], v[65:66]
	v_mul_f64 v[53:54], v[5:6], v[65:66]
	;; [unrolled: 28-line block ×4, first 2 shown]
	s_waitcnt vmcnt(56)
	v_fma_f64 v[57:58], v[5:6], v[63:64], -v[57:58]
	v_add_f64 v[15:16], v[15:16], v[55:56]
	v_fma_f64 v[55:56], v[7:8], v[63:64], v[127:128]
	v_add_f64 v[13:14], v[13:14], v[49:50]
	s_clause 0x4
	buffer_load_dword v50, off, s[0:3], 0 offset:956
	buffer_load_dword v63, off, s[0:3], 0 offset:968
	;; [unrolled: 1-line block ×5, first 2 shown]
	ds_read_b128 v[5:8], v70 offset:1680
	s_waitcnt vmcnt(57) lgkmcnt(1)
	v_mul_f64 v[127:128], v[9:10], v[21:22]
	v_mul_f64 v[21:22], v[11:12], v[21:22]
	s_waitcnt vmcnt(56)
	v_fma_f64 v[95:96], v[1:2], v[113:114], -v[95:96]
	v_fma_f64 v[53:54], v[3:4], v[113:114], v[53:54]
	v_add_f64 v[15:16], v[15:16], v[57:58]
	v_add_f64 v[13:14], v[13:14], v[55:56]
	s_clause 0x2
	buffer_load_dword v64, off, s[0:3], 0 offset:972
	buffer_load_dword v56, off, s[0:3], 0 offset:948
	;; [unrolled: 1-line block ×3, first 2 shown]
	ds_read_b128 v[1:4], v70 offset:1696
	buffer_load_dword v110, off, s[0:3], 0 offset:964
	s_waitcnt vmcnt(59) lgkmcnt(1)
	v_mul_f64 v[57:58], v[5:6], v[111:112]
	v_mul_f64 v[111:112], v[7:8], v[111:112]
	s_waitcnt vmcnt(57)
	v_fma_f64 v[21:22], v[9:10], v[27:28], -v[21:22]
	v_fma_f64 v[27:28], v[11:12], v[27:28], v[127:128]
	ds_read_b128 v[9:12], v70 offset:1712
	v_add_f64 v[15:16], v[15:16], v[95:96]
	v_add_f64 v[13:14], v[13:14], v[53:54]
	s_waitcnt vmcnt(53) lgkmcnt(1)
	v_mul_f64 v[53:54], v[1:2], v[33:34]
	v_mul_f64 v[33:34], v[3:4], v[33:34]
	s_waitcnt vmcnt(52)
	v_fma_f64 v[95:96], v[5:6], v[125:126], -v[111:112]
	v_add_f64 v[15:16], v[15:16], v[21:22]
	v_fma_f64 v[21:22], v[7:8], v[125:126], v[57:58]
	v_add_f64 v[13:14], v[13:14], v[27:28]
	ds_read_b128 v[5:8], v70 offset:1728
	s_waitcnt vmcnt(51) lgkmcnt(1)
	v_mul_f64 v[57:58], v[11:12], v[97:98]
	v_mul_f64 v[27:28], v[9:10], v[97:98]
	s_waitcnt vmcnt(49)
	v_fma_f64 v[33:34], v[1:2], v[25:26], -v[33:34]
	v_fma_f64 v[25:26], v[3:4], v[25:26], v[53:54]
	v_add_f64 v[15:16], v[15:16], v[95:96]
	v_add_f64 v[13:14], v[13:14], v[21:22]
	s_clause 0x3
	buffer_load_dword v21, off, s[0:3], 0 offset:144
	buffer_load_dword v22, off, s[0:3], 0 offset:148
	;; [unrolled: 1-line block ×4, first 2 shown]
	ds_read_b128 v[1:4], v70 offset:1744
	s_waitcnt vmcnt(49) lgkmcnt(1)
	v_mul_f64 v[95:96], v[5:6], v[19:20]
	v_mul_f64 v[19:20], v[7:8], v[19:20]
	s_waitcnt vmcnt(48)
	v_fma_f64 v[57:58], v[9:10], v[123:124], -v[57:58]
	v_fma_f64 v[27:28], v[11:12], v[123:124], v[27:28]
	ds_read_b128 v[9:12], v70 offset:1760
	v_add_f64 v[15:16], v[15:16], v[33:34]
	v_add_f64 v[13:14], v[13:14], v[25:26]
	s_waitcnt vmcnt(47) lgkmcnt(1)
	v_mul_f64 v[33:34], v[3:4], v[37:38]
	v_mul_f64 v[25:26], v[1:2], v[37:38]
	s_waitcnt vmcnt(45)
	v_fma_f64 v[19:20], v[5:6], v[31:32], -v[19:20]
	v_fma_f64 v[31:32], v[7:8], v[31:32], v[95:96]
	ds_read_b128 v[5:8], v70 offset:1776
	v_add_f64 v[15:16], v[15:16], v[57:58]
	v_add_f64 v[13:14], v[13:14], v[27:28]
	s_waitcnt vmcnt(41) lgkmcnt(1)
	v_mul_f64 v[27:28], v[9:10], v[23:24]
	v_mul_f64 v[23:24], v[11:12], v[23:24]
	s_waitcnt vmcnt(40)
	v_fma_f64 v[33:34], v[1:2], v[115:116], -v[33:34]
	v_add_f64 v[15:16], v[15:16], v[19:20]
	v_fma_f64 v[19:20], v[3:4], v[115:116], v[25:26]
	v_add_f64 v[13:14], v[13:14], v[31:32]
	ds_read_b128 v[1:4], v70 offset:1792
	s_waitcnt vmcnt(39) lgkmcnt(1)
	v_mul_f64 v[31:32], v[7:8], v[45:46]
	v_mul_f64 v[25:26], v[5:6], v[45:46]
	s_waitcnt vmcnt(37)
	v_fma_f64 v[23:24], v[9:10], v[41:42], -v[23:24]
	v_fma_f64 v[27:28], v[11:12], v[41:42], v[27:28]
	ds_read_b128 v[9:12], v70 offset:1808
	v_add_f64 v[15:16], v[15:16], v[33:34]
	v_add_f64 v[13:14], v[13:14], v[19:20]
	s_waitcnt vmcnt(33) lgkmcnt(1)
	v_mul_f64 v[19:20], v[1:2], v[29:30]
	v_mul_f64 v[29:30], v[3:4], v[29:30]
	s_waitcnt vmcnt(32)
	v_fma_f64 v[31:32], v[5:6], v[99:100], -v[31:32]
	v_add_f64 v[15:16], v[15:16], v[23:24]
	v_fma_f64 v[23:24], v[7:8], v[99:100], v[25:26]
	v_add_f64 v[13:14], v[13:14], v[27:28]
	ds_read_b128 v[5:8], v70 offset:1824
	s_waitcnt vmcnt(31) lgkmcnt(1)
	v_mul_f64 v[27:28], v[11:12], v[51:52]
	v_mul_f64 v[25:26], v[9:10], v[51:52]
	s_waitcnt vmcnt(29)
	v_fma_f64 v[29:30], v[1:2], v[39:40], -v[29:30]
	v_fma_f64 v[19:20], v[3:4], v[39:40], v[19:20]
	ds_read_b128 v[1:4], v70 offset:1840
	v_add_f64 v[15:16], v[15:16], v[31:32]
	v_add_f64 v[13:14], v[13:14], v[23:24]
	s_waitcnt vmcnt(25) lgkmcnt(1)
	v_mul_f64 v[31:32], v[7:8], v[35:36]
	s_waitcnt vmcnt(24)
	v_fma_f64 v[27:28], v[9:10], v[93:94], -v[27:28]
	v_mul_f64 v[23:24], v[5:6], v[35:36]
	v_fma_f64 v[25:26], v[11:12], v[93:94], v[25:26]
	ds_read_b128 v[9:12], v70 offset:1856
	v_add_f64 v[15:16], v[15:16], v[29:30]
	v_add_f64 v[13:14], v[13:14], v[19:20]
	s_waitcnt vmcnt(23) lgkmcnt(1)
	v_mul_f64 v[29:30], v[3:4], v[59:60]
	v_mul_f64 v[19:20], v[1:2], v[59:60]
	s_waitcnt vmcnt(21)
	v_fma_f64 v[31:32], v[5:6], v[47:48], -v[31:32]
	v_fma_f64 v[23:24], v[7:8], v[47:48], v[23:24]
	ds_read_b128 v[5:8], v70 offset:1872
	v_add_f64 v[15:16], v[15:16], v[27:28]
	v_add_f64 v[13:14], v[13:14], v[25:26]
	s_waitcnt vmcnt(17) lgkmcnt(1)
	v_mul_f64 v[27:28], v[11:12], v[43:44]
	s_waitcnt vmcnt(16)
	v_fma_f64 v[29:30], v[1:2], v[65:66], -v[29:30]
	v_mul_f64 v[25:26], v[9:10], v[43:44]
	v_fma_f64 v[19:20], v[3:4], v[65:66], v[19:20]
	ds_read_b128 v[1:4], v70 offset:1888
	v_add_f64 v[15:16], v[15:16], v[31:32]
	v_add_f64 v[13:14], v[13:14], v[23:24]
	s_waitcnt vmcnt(15) lgkmcnt(1)
	v_mul_f64 v[31:32], v[7:8], v[61:62]
	v_mul_f64 v[23:24], v[5:6], v[61:62]
	s_waitcnt vmcnt(13)
	v_fma_f64 v[27:28], v[9:10], v[17:18], -v[27:28]
	v_fma_f64 v[17:18], v[11:12], v[17:18], v[25:26]
	ds_read_b128 v[9:12], v70 offset:1904
	v_add_f64 v[15:16], v[15:16], v[29:30]
	v_add_f64 v[13:14], v[13:14], v[19:20]
	s_waitcnt vmcnt(9) lgkmcnt(1)
	v_mul_f64 v[25:26], v[3:4], v[49:50]
	s_waitcnt vmcnt(8)
	v_fma_f64 v[5:6], v[5:6], v[67:68], -v[31:32]
	v_mul_f64 v[19:20], v[1:2], v[49:50]
	v_fma_f64 v[7:8], v[7:8], v[67:68], v[23:24]
	v_add_f64 v[15:16], v[15:16], v[27:28]
	v_add_f64 v[13:14], v[13:14], v[17:18]
	s_waitcnt vmcnt(7) lgkmcnt(0)
	v_mul_f64 v[23:24], v[11:12], v[63:64]
	v_mul_f64 v[17:18], v[9:10], v[63:64]
	s_waitcnt vmcnt(5)
	v_fma_f64 v[1:2], v[1:2], v[55:56], -v[25:26]
	v_fma_f64 v[3:4], v[3:4], v[55:56], v[19:20]
	v_add_f64 v[5:6], v[15:16], v[5:6]
	v_add_f64 v[7:8], v[13:14], v[7:8]
	s_waitcnt vmcnt(4)
	v_fma_f64 v[9:10], v[9:10], v[109:110], -v[23:24]
	v_add_f64 v[1:2], v[5:6], v[1:2]
	v_fma_f64 v[5:6], v[11:12], v[109:110], v[17:18]
	v_add_f64 v[3:4], v[7:8], v[3:4]
	v_add_f64 v[1:2], v[1:2], v[9:10]
	;; [unrolled: 1-line block ×3, first 2 shown]
	s_waitcnt vmcnt(2)
	v_add_f64 v[1:2], v[21:22], -v[1:2]
	s_waitcnt vmcnt(0)
	v_add_f64 v[3:4], v[53:54], -v[3:4]
	buffer_store_dword v2, off, s[0:3], 0 offset:148
	buffer_store_dword v1, off, s[0:3], 0 offset:144
	;; [unrolled: 1-line block ×4, first 2 shown]
	v_cmpx_lt_u32_e32 7, v0
	s_cbranch_execz .LBB59_359
; %bb.358:
	v_mov_b32_e32 v4, s64
	s_clause 0x3
	buffer_load_dword v1, v4, s[0:3], 0 offen
	buffer_load_dword v2, v4, s[0:3], 0 offen offset:4
	buffer_load_dword v3, v4, s[0:3], 0 offen offset:8
	;; [unrolled: 1-line block ×3, first 2 shown]
	buffer_store_dword v70, off, s[0:3], 0 offset:128
	buffer_store_dword v70, off, s[0:3], 0 offset:132
	;; [unrolled: 1-line block ×4, first 2 shown]
	s_waitcnt vmcnt(0)
	ds_write_b128 v69, v[1:4]
.LBB59_359:
	s_or_b32 exec_lo, exec_lo, s4
	s_waitcnt lgkmcnt(0)
	s_waitcnt_vscnt null, 0x0
	s_barrier
	buffer_gl0_inv
	s_clause 0x37
	buffer_load_dword v17, off, s[0:3], 0 offset:152
	buffer_load_dword v18, off, s[0:3], 0 offset:156
	;; [unrolled: 1-line block ×56, first 2 shown]
	ds_read_b128 v[5:8], v70 offset:1088
	s_clause 0x2
	buffer_load_dword v66, off, s[0:3], 0 offset:380
	buffer_load_dword v68, off, s[0:3], 0 offset:356
	;; [unrolled: 1-line block ×3, first 2 shown]
	ds_read_b128 v[1:4], v70 offset:1104
	s_clause 0x4
	buffer_load_dword v100, off, s[0:3], 0 offset:396
	buffer_load_dword v109, off, s[0:3], 0 offset:408
	;; [unrolled: 1-line block ×5, first 2 shown]
	ds_read_b128 v[93:96], v70 offset:1120
	s_mov_b32 s4, exec_lo
	s_waitcnt vmcnt(62) lgkmcnt(2)
	v_mul_f64 v[97:98], v[7:8], v[17:18]
	v_mul_f64 v[17:18], v[5:6], v[17:18]
	s_waitcnt vmcnt(60) lgkmcnt(1)
	v_mul_f64 v[112:113], v[3:4], v[13:14]
	v_mul_f64 v[13:14], v[1:2], v[13:14]
	;; [unrolled: 3-line block ×3, first 2 shown]
	v_fma_f64 v[97:98], v[5:6], v[15:16], -v[97:98]
	v_fma_f64 v[15:16], v[7:8], v[15:16], v[17:18]
	s_clause 0x2
	buffer_load_dword v110, off, s[0:3], 0 offset:412
	buffer_load_dword v18, off, s[0:3], 0 offset:388
	;; [unrolled: 1-line block ×3, first 2 shown]
	s_waitcnt vmcnt(57)
	v_fma_f64 v[123:124], v[1:2], v[9:10], -v[112:113]
	ds_read_b128 v[5:8], v70 offset:1136
	v_fma_f64 v[9:10], v[3:4], v[9:10], v[13:14]
	s_waitcnt vmcnt(51)
	v_fma_f64 v[93:94], v[93:94], v[33:34], -v[11:12]
	v_fma_f64 v[33:34], v[95:96], v[33:34], v[114:115]
	v_add_f64 v[97:98], v[97:98], 0
	v_add_f64 v[13:14], v[15:16], 0
	s_clause 0x4
	buffer_load_dword v16, off, s[0:3], 0 offset:428
	buffer_load_dword v113, off, s[0:3], 0 offset:440
	;; [unrolled: 1-line block ×5, first 2 shown]
	s_waitcnt lgkmcnt(0)
	v_mul_f64 v[126:127], v[5:6], v[21:22]
	v_mul_f64 v[21:22], v[7:8], v[21:22]
	ds_read_b128 v[1:4], v70 offset:1152
	s_clause 0x2
	buffer_load_dword v114, off, s[0:3], 0 offset:444
	buffer_load_dword v96, off, s[0:3], 0 offset:420
	;; [unrolled: 1-line block ×3, first 2 shown]
	v_add_f64 v[97:98], v[97:98], v[123:124]
	v_add_f64 v[13:14], v[13:14], v[9:10]
	ds_read_b128 v[9:12], v70 offset:1168
	s_waitcnt vmcnt(58) lgkmcnt(1)
	v_mul_f64 v[115:116], v[1:2], v[25:26]
	v_mul_f64 v[25:26], v[3:4], v[25:26]
	s_waitcnt vmcnt(56)
	v_fma_f64 v[21:22], v[5:6], v[27:28], -v[21:22]
	v_fma_f64 v[27:28], v[7:8], v[27:28], v[126:127]
	s_waitcnt vmcnt(52) lgkmcnt(0)
	v_mul_f64 v[127:128], v[9:10], v[29:30]
	v_add_f64 v[93:94], v[97:98], v[93:94]
	v_add_f64 v[13:14], v[13:14], v[33:34]
	s_clause 0x4
	buffer_load_dword v34, off, s[0:3], 0 offset:460
	buffer_load_dword v97, off, s[0:3], 0 offset:472
	;; [unrolled: 1-line block ×5, first 2 shown]
	v_mul_f64 v[29:30], v[11:12], v[29:30]
	s_waitcnt vmcnt(56)
	v_fma_f64 v[25:26], v[1:2], v[19:20], -v[25:26]
	ds_read_b128 v[5:8], v70 offset:1184
	v_fma_f64 v[19:20], v[3:4], v[19:20], v[115:116]
	v_add_f64 v[21:22], v[93:94], v[21:22]
	v_add_f64 v[13:14], v[13:14], v[27:28]
	s_clause 0x2
	buffer_load_dword v98, off, s[0:3], 0 offset:476
	buffer_load_dword v28, off, s[0:3], 0 offset:452
	;; [unrolled: 1-line block ×3, first 2 shown]
	s_waitcnt vmcnt(58) lgkmcnt(0)
	v_mul_f64 v[93:94], v[5:6], v[35:36]
	v_mul_f64 v[35:36], v[7:8], v[35:36]
	s_waitcnt vmcnt(56)
	v_fma_f64 v[29:30], v[9:10], v[37:38], -v[29:30]
	ds_read_b128 v[1:4], v70 offset:1200
	v_add_f64 v[21:22], v[21:22], v[25:26]
	v_fma_f64 v[25:26], v[11:12], v[37:38], v[127:128]
	v_add_f64 v[13:14], v[13:14], v[19:20]
	s_clause 0x4
	buffer_load_dword v20, off, s[0:3], 0 offset:492
	buffer_load_dword v37, off, s[0:3], 0 offset:504
	;; [unrolled: 1-line block ×5, first 2 shown]
	s_waitcnt vmcnt(57) lgkmcnt(0)
	v_mul_f64 v[127:128], v[1:2], v[39:40]
	v_mul_f64 v[39:40], v[3:4], v[39:40]
	s_waitcnt vmcnt(56)
	v_fma_f64 v[35:36], v[5:6], v[23:24], -v[35:36]
	ds_read_b128 v[9:12], v70 offset:1216
	v_fma_f64 v[23:24], v[7:8], v[23:24], v[93:94]
	v_add_f64 v[21:22], v[21:22], v[29:30]
	v_add_f64 v[13:14], v[13:14], v[25:26]
	s_clause 0x2
	buffer_load_dword v38, off, s[0:3], 0 offset:508
	buffer_load_dword v26, off, s[0:3], 0 offset:484
	;; [unrolled: 1-line block ×3, first 2 shown]
	ds_read_b128 v[5:8], v70 offset:1232
	s_waitcnt vmcnt(58) lgkmcnt(1)
	v_mul_f64 v[29:30], v[9:10], v[43:44]
	v_mul_f64 v[43:44], v[11:12], v[43:44]
	s_waitcnt vmcnt(56)
	v_fma_f64 v[39:40], v[1:2], v[45:46], -v[39:40]
	v_add_f64 v[21:22], v[21:22], v[35:36]
	v_fma_f64 v[35:36], v[3:4], v[45:46], v[127:128]
	v_add_f64 v[13:14], v[13:14], v[23:24]
	s_clause 0x4
	buffer_load_dword v24, off, s[0:3], 0 offset:524
	buffer_load_dword v45, off, s[0:3], 0 offset:536
	;; [unrolled: 1-line block ×5, first 2 shown]
	s_waitcnt vmcnt(57) lgkmcnt(0)
	v_mul_f64 v[127:128], v[5:6], v[47:48]
	v_mul_f64 v[47:48], v[7:8], v[47:48]
	s_waitcnt vmcnt(56)
	v_fma_f64 v[43:44], v[9:10], v[31:32], -v[43:44]
	ds_read_b128 v[1:4], v70 offset:1248
	v_fma_f64 v[29:30], v[11:12], v[31:32], v[29:30]
	s_clause 0x2
	buffer_load_dword v46, off, s[0:3], 0 offset:540
	buffer_load_dword v32, off, s[0:3], 0 offset:516
	;; [unrolled: 1-line block ×3, first 2 shown]
	ds_read_b128 v[9:12], v70 offset:1264
	v_add_f64 v[21:22], v[21:22], v[39:40]
	v_add_f64 v[13:14], v[13:14], v[35:36]
	s_waitcnt vmcnt(58) lgkmcnt(1)
	v_mul_f64 v[39:40], v[3:4], v[51:52]
	s_waitcnt vmcnt(56)
	v_fma_f64 v[47:48], v[5:6], v[53:54], -v[47:48]
	v_mul_f64 v[35:36], v[1:2], v[51:52]
	v_add_f64 v[21:22], v[21:22], v[43:44]
	v_fma_f64 v[43:44], v[7:8], v[53:54], v[127:128]
	v_add_f64 v[13:14], v[13:14], v[29:30]
	s_clause 0x4
	buffer_load_dword v30, off, s[0:3], 0 offset:556
	buffer_load_dword v51, off, s[0:3], 0 offset:568
	;; [unrolled: 1-line block ×5, first 2 shown]
	s_waitcnt vmcnt(57) lgkmcnt(0)
	v_mul_f64 v[127:128], v[9:10], v[55:56]
	v_mul_f64 v[54:55], v[11:12], v[55:56]
	s_waitcnt vmcnt(56)
	v_fma_f64 v[39:40], v[1:2], v[41:42], -v[39:40]
	ds_read_b128 v[5:8], v70 offset:1280
	v_fma_f64 v[35:36], v[3:4], v[41:42], v[35:36]
	s_clause 0x2
	buffer_load_dword v52, off, s[0:3], 0 offset:572
	buffer_load_dword v42, off, s[0:3], 0 offset:548
	;; [unrolled: 1-line block ×3, first 2 shown]
	ds_read_b128 v[1:4], v70 offset:1296
	v_add_f64 v[21:22], v[21:22], v[47:48]
	v_add_f64 v[13:14], v[13:14], v[43:44]
	s_waitcnt vmcnt(58) lgkmcnt(1)
	v_mul_f64 v[47:48], v[7:8], v[59:60]
	s_waitcnt vmcnt(56)
	v_fma_f64 v[55:56], v[9:10], v[61:62], -v[54:55]
	v_mul_f64 v[43:44], v[5:6], v[59:60]
	v_add_f64 v[21:22], v[21:22], v[39:40]
	v_fma_f64 v[39:40], v[11:12], v[61:62], v[127:128]
	v_add_f64 v[13:14], v[13:14], v[35:36]
	s_clause 0x4
	buffer_load_dword v36, off, s[0:3], 0 offset:588
	buffer_load_dword v59, off, s[0:3], 0 offset:600
	;; [unrolled: 1-line block ×5, first 2 shown]
	s_waitcnt vmcnt(57) lgkmcnt(0)
	v_mul_f64 v[127:128], v[1:2], v[63:64]
	v_mul_f64 v[62:63], v[3:4], v[63:64]
	s_waitcnt vmcnt(56)
	v_fma_f64 v[47:48], v[5:6], v[49:50], -v[47:48]
	ds_read_b128 v[9:12], v70 offset:1312
	v_fma_f64 v[43:44], v[7:8], v[49:50], v[43:44]
	v_add_f64 v[21:22], v[21:22], v[55:56]
	v_add_f64 v[13:14], v[13:14], v[39:40]
	s_clause 0x2
	buffer_load_dword v60, off, s[0:3], 0 offset:604
	buffer_load_dword v40, off, s[0:3], 0 offset:580
	;; [unrolled: 1-line block ×3, first 2 shown]
	ds_read_b128 v[5:8], v70 offset:1328
	s_waitcnt vmcnt(58) lgkmcnt(1)
	v_mul_f64 v[55:56], v[11:12], v[65:66]
	s_waitcnt vmcnt(56)
	v_fma_f64 v[63:64], v[1:2], v[67:68], -v[62:63]
	v_mul_f64 v[49:50], v[9:10], v[65:66]
	v_add_f64 v[21:22], v[21:22], v[47:48]
	v_fma_f64 v[47:48], v[3:4], v[67:68], v[127:128]
	v_add_f64 v[13:14], v[13:14], v[43:44]
	s_clause 0x4
	buffer_load_dword v44, off, s[0:3], 0 offset:620
	buffer_load_dword v65, off, s[0:3], 0 offset:632
	;; [unrolled: 1-line block ×5, first 2 shown]
	s_waitcnt vmcnt(57) lgkmcnt(0)
	v_mul_f64 v[127:128], v[5:6], v[99:100]
	v_mul_f64 v[99:100], v[7:8], v[99:100]
	s_waitcnt vmcnt(56)
	v_fma_f64 v[55:56], v[9:10], v[57:58], -v[55:56]
	ds_read_b128 v[1:4], v70 offset:1344
	v_fma_f64 v[49:50], v[11:12], v[57:58], v[49:50]
	v_add_f64 v[21:22], v[21:22], v[63:64]
	v_add_f64 v[13:14], v[13:14], v[47:48]
	s_clause 0x2
	buffer_load_dword v66, off, s[0:3], 0 offset:636
	buffer_load_dword v48, off, s[0:3], 0 offset:612
	buffer_load_dword v47, off, s[0:3], 0 offset:608
	ds_read_b128 v[9:12], v70 offset:1360
	s_waitcnt vmcnt(58) lgkmcnt(1)
	v_mul_f64 v[63:64], v[3:4], v[109:110]
	v_mul_f64 v[57:58], v[1:2], v[109:110]
	s_waitcnt vmcnt(56)
	v_fma_f64 v[99:100], v[5:6], v[17:18], -v[99:100]
	v_fma_f64 v[17:18], v[7:8], v[17:18], v[127:128]
	v_add_f64 v[21:22], v[21:22], v[55:56]
	v_add_f64 v[13:14], v[13:14], v[49:50]
	s_clause 0x4
	buffer_load_dword v50, off, s[0:3], 0 offset:652
	buffer_load_dword v55, off, s[0:3], 0 offset:664
	;; [unrolled: 1-line block ×5, first 2 shown]
	ds_read_b128 v[5:8], v70 offset:1376
	s_waitcnt vmcnt(57) lgkmcnt(1)
	v_mul_f64 v[127:128], v[9:10], v[15:16]
	v_mul_f64 v[15:16], v[11:12], v[15:16]
	s_waitcnt vmcnt(56)
	v_fma_f64 v[63:64], v[1:2], v[111:112], -v[63:64]
	v_fma_f64 v[57:58], v[3:4], v[111:112], v[57:58]
	v_add_f64 v[21:22], v[21:22], v[99:100]
	v_add_f64 v[13:14], v[13:14], v[17:18]
	s_clause 0x2
	buffer_load_dword v56, off, s[0:3], 0 offset:668
	buffer_load_dword v18, off, s[0:3], 0 offset:644
	;; [unrolled: 1-line block ×3, first 2 shown]
	s_waitcnt vmcnt(58) lgkmcnt(0)
	v_mul_f64 v[111:112], v[7:8], v[113:114]
	ds_read_b128 v[1:4], v70 offset:1392
	v_mul_f64 v[99:100], v[5:6], v[113:114]
	s_waitcnt vmcnt(56)
	v_fma_f64 v[15:16], v[9:10], v[95:96], -v[15:16]
	v_add_f64 v[21:22], v[21:22], v[63:64]
	v_fma_f64 v[63:64], v[11:12], v[95:96], v[127:128]
	v_add_f64 v[13:14], v[13:14], v[57:58]
	s_clause 0x4
	buffer_load_dword v58, off, s[0:3], 0 offset:684
	buffer_load_dword v95, off, s[0:3], 0 offset:696
	;; [unrolled: 1-line block ×5, first 2 shown]
	ds_read_b128 v[9:12], v70 offset:1408
	s_waitcnt vmcnt(57) lgkmcnt(1)
	v_mul_f64 v[127:128], v[1:2], v[33:34]
	v_mul_f64 v[33:34], v[3:4], v[33:34]
	s_waitcnt vmcnt(56)
	v_fma_f64 v[111:112], v[5:6], v[125:126], -v[111:112]
	v_add_f64 v[15:16], v[21:22], v[15:16]
	v_fma_f64 v[21:22], v[7:8], v[125:126], v[99:100]
	v_add_f64 v[13:14], v[13:14], v[63:64]
	s_clause 0x2
	buffer_load_dword v96, off, s[0:3], 0 offset:700
	buffer_load_dword v64, off, s[0:3], 0 offset:676
	;; [unrolled: 1-line block ×3, first 2 shown]
	ds_read_b128 v[5:8], v70 offset:1424
	s_waitcnt vmcnt(58) lgkmcnt(1)
	v_mul_f64 v[99:100], v[9:10], v[97:98]
	v_mul_f64 v[97:98], v[11:12], v[97:98]
	s_waitcnt vmcnt(56)
	v_fma_f64 v[33:34], v[1:2], v[27:28], -v[33:34]
	v_fma_f64 v[27:28], v[3:4], v[27:28], v[127:128]
	v_add_f64 v[15:16], v[15:16], v[111:112]
	v_add_f64 v[13:14], v[13:14], v[21:22]
	s_clause 0x4
	buffer_load_dword v22, off, s[0:3], 0 offset:716
	buffer_load_dword v111, off, s[0:3], 0 offset:728
	;; [unrolled: 1-line block ×5, first 2 shown]
	ds_read_b128 v[1:4], v70 offset:1440
	s_waitcnt vmcnt(57) lgkmcnt(1)
	v_mul_f64 v[126:127], v[5:6], v[19:20]
	v_mul_f64 v[19:20], v[7:8], v[19:20]
	s_waitcnt vmcnt(56)
	v_fma_f64 v[97:98], v[9:10], v[123:124], -v[97:98]
	v_add_f64 v[15:16], v[15:16], v[33:34]
	v_fma_f64 v[33:34], v[11:12], v[123:124], v[99:100]
	v_add_f64 v[13:14], v[13:14], v[27:28]
	s_clause 0x2
	buffer_load_dword v112, off, s[0:3], 0 offset:732
	buffer_load_dword v28, off, s[0:3], 0 offset:708
	;; [unrolled: 1-line block ×3, first 2 shown]
	ds_read_b128 v[9:12], v70 offset:1456
	s_waitcnt vmcnt(58) lgkmcnt(1)
	v_mul_f64 v[99:100], v[1:2], v[37:38]
	v_mul_f64 v[37:38], v[3:4], v[37:38]
	s_waitcnt vmcnt(56)
	v_fma_f64 v[19:20], v[5:6], v[25:26], -v[19:20]
	v_fma_f64 v[25:26], v[7:8], v[25:26], v[126:127]
	v_add_f64 v[15:16], v[15:16], v[97:98]
	v_add_f64 v[13:14], v[13:14], v[33:34]
	s_clause 0x4
	buffer_load_dword v34, off, s[0:3], 0 offset:748
	buffer_load_dword v97, off, s[0:3], 0 offset:760
	;; [unrolled: 1-line block ×5, first 2 shown]
	ds_read_b128 v[5:8], v70 offset:1472
	s_waitcnt vmcnt(57) lgkmcnt(1)
	v_mul_f64 v[127:128], v[9:10], v[23:24]
	v_mul_f64 v[23:24], v[11:12], v[23:24]
	s_waitcnt vmcnt(56)
	v_fma_f64 v[37:38], v[1:2], v[115:116], -v[37:38]
	v_add_f64 v[15:16], v[15:16], v[19:20]
	v_fma_f64 v[19:20], v[3:4], v[115:116], v[99:100]
	v_add_f64 v[13:14], v[13:14], v[25:26]
	s_clause 0x2
	buffer_load_dword v98, off, s[0:3], 0 offset:764
	buffer_load_dword v26, off, s[0:3], 0 offset:740
	;; [unrolled: 1-line block ×3, first 2 shown]
	s_waitcnt vmcnt(58) lgkmcnt(0)
	v_mul_f64 v[99:100], v[5:6], v[45:46]
	v_mul_f64 v[45:46], v[7:8], v[45:46]
	ds_read_b128 v[1:4], v70 offset:1488
	s_waitcnt vmcnt(56)
	v_fma_f64 v[23:24], v[9:10], v[31:32], -v[23:24]
	v_fma_f64 v[31:32], v[11:12], v[31:32], v[127:128]
	v_add_f64 v[15:16], v[15:16], v[37:38]
	v_add_f64 v[13:14], v[13:14], v[19:20]
	s_clause 0x4
	buffer_load_dword v20, off, s[0:3], 0 offset:780
	buffer_load_dword v37, off, s[0:3], 0 offset:792
	;; [unrolled: 1-line block ×5, first 2 shown]
	ds_read_b128 v[9:12], v70 offset:1504
	s_waitcnt vmcnt(57) lgkmcnt(1)
	v_mul_f64 v[127:128], v[1:2], v[29:30]
	v_mul_f64 v[29:30], v[3:4], v[29:30]
	s_waitcnt vmcnt(56)
	v_fma_f64 v[45:46], v[5:6], v[93:94], -v[45:46]
	v_add_f64 v[15:16], v[15:16], v[23:24]
	v_fma_f64 v[23:24], v[7:8], v[93:94], v[99:100]
	v_add_f64 v[13:14], v[13:14], v[31:32]
	s_clause 0x2
	buffer_load_dword v38, off, s[0:3], 0 offset:796
	buffer_load_dword v32, off, s[0:3], 0 offset:772
	;; [unrolled: 1-line block ×3, first 2 shown]
	s_waitcnt vmcnt(58) lgkmcnt(0)
	v_mul_f64 v[93:94], v[9:10], v[51:52]
	v_mul_f64 v[51:52], v[11:12], v[51:52]
	ds_read_b128 v[5:8], v70 offset:1520
	s_waitcnt vmcnt(56)
	v_fma_f64 v[29:30], v[1:2], v[41:42], -v[29:30]
	v_fma_f64 v[41:42], v[3:4], v[41:42], v[127:128]
	v_add_f64 v[15:16], v[15:16], v[45:46]
	v_add_f64 v[13:14], v[13:14], v[23:24]
	s_clause 0x4
	buffer_load_dword v24, off, s[0:3], 0 offset:812
	buffer_load_dword v45, off, s[0:3], 0 offset:824
	buffer_load_dword v99, off, s[0:3], 0 offset:816
	buffer_load_dword v23, off, s[0:3], 0 offset:808
	buffer_load_dword v116, off, s[0:3], 0 offset:788
	ds_read_b128 v[1:4], v70 offset:1536
	s_waitcnt vmcnt(57) lgkmcnt(1)
	v_mul_f64 v[127:128], v[5:6], v[35:36]
	v_mul_f64 v[35:36], v[7:8], v[35:36]
	s_waitcnt vmcnt(56)
	v_fma_f64 v[51:52], v[9:10], v[53:54], -v[51:52]
	v_add_f64 v[15:16], v[15:16], v[29:30]
	v_fma_f64 v[29:30], v[11:12], v[53:54], v[93:94]
	v_add_f64 v[13:14], v[13:14], v[41:42]
	s_clause 0x2
	buffer_load_dword v46, off, s[0:3], 0 offset:828
	buffer_load_dword v42, off, s[0:3], 0 offset:804
	buffer_load_dword v41, off, s[0:3], 0 offset:800
	ds_read_b128 v[9:12], v70 offset:1552
	s_waitcnt vmcnt(58) lgkmcnt(1)
	v_mul_f64 v[53:54], v[1:2], v[59:60]
	v_mul_f64 v[59:60], v[3:4], v[59:60]
	s_waitcnt vmcnt(56)
	v_fma_f64 v[35:36], v[5:6], v[39:40], -v[35:36]
	v_fma_f64 v[39:40], v[7:8], v[39:40], v[127:128]
	v_add_f64 v[15:16], v[15:16], v[51:52]
	v_add_f64 v[13:14], v[13:14], v[29:30]
	s_clause 0x4
	buffer_load_dword v30, off, s[0:3], 0 offset:844
	buffer_load_dword v51, off, s[0:3], 0 offset:856
	buffer_load_dword v93, off, s[0:3], 0 offset:848
	buffer_load_dword v29, off, s[0:3], 0 offset:840
	buffer_load_dword v100, off, s[0:3], 0 offset:820
	ds_read_b128 v[5:8], v70 offset:1568
	s_waitcnt vmcnt(57) lgkmcnt(1)
	v_mul_f64 v[127:128], v[9:10], v[43:44]
	v_mul_f64 v[43:44], v[11:12], v[43:44]
	s_waitcnt vmcnt(56)
	v_fma_f64 v[59:60], v[1:2], v[61:62], -v[59:60]
	v_add_f64 v[15:16], v[15:16], v[35:36]
	v_fma_f64 v[35:36], v[3:4], v[61:62], v[53:54]
	v_add_f64 v[13:14], v[13:14], v[39:40]
	s_clause 0x2
	buffer_load_dword v52, off, s[0:3], 0 offset:860
	buffer_load_dword v40, off, s[0:3], 0 offset:836
	buffer_load_dword v39, off, s[0:3], 0 offset:832
	ds_read_b128 v[1:4], v70 offset:1584
	s_waitcnt vmcnt(58) lgkmcnt(1)
	v_mul_f64 v[61:62], v[7:8], v[65:66]
	v_mul_f64 v[53:54], v[5:6], v[65:66]
	;; [unrolled: 28-line block ×4, first 2 shown]
	s_waitcnt vmcnt(56)
	v_fma_f64 v[57:58], v[5:6], v[63:64], -v[57:58]
	v_add_f64 v[15:16], v[15:16], v[55:56]
	v_fma_f64 v[55:56], v[7:8], v[63:64], v[127:128]
	v_add_f64 v[13:14], v[13:14], v[49:50]
	s_clause 0x4
	buffer_load_dword v50, off, s[0:3], 0 offset:940
	buffer_load_dword v63, off, s[0:3], 0 offset:952
	;; [unrolled: 1-line block ×5, first 2 shown]
	ds_read_b128 v[5:8], v70 offset:1664
	s_waitcnt vmcnt(57) lgkmcnt(1)
	v_mul_f64 v[127:128], v[9:10], v[21:22]
	v_mul_f64 v[21:22], v[11:12], v[21:22]
	s_waitcnt vmcnt(56)
	v_fma_f64 v[95:96], v[1:2], v[113:114], -v[95:96]
	v_fma_f64 v[53:54], v[3:4], v[113:114], v[53:54]
	v_add_f64 v[15:16], v[15:16], v[57:58]
	v_add_f64 v[13:14], v[13:14], v[55:56]
	s_clause 0x2
	buffer_load_dword v64, off, s[0:3], 0 offset:956
	buffer_load_dword v56, off, s[0:3], 0 offset:932
	;; [unrolled: 1-line block ×3, first 2 shown]
	ds_read_b128 v[1:4], v70 offset:1680
	s_waitcnt vmcnt(58) lgkmcnt(1)
	v_mul_f64 v[57:58], v[5:6], v[111:112]
	v_mul_f64 v[111:112], v[7:8], v[111:112]
	s_waitcnt vmcnt(56)
	v_fma_f64 v[21:22], v[9:10], v[27:28], -v[21:22]
	v_fma_f64 v[27:28], v[11:12], v[27:28], v[127:128]
	v_add_f64 v[15:16], v[15:16], v[95:96]
	v_add_f64 v[13:14], v[13:14], v[53:54]
	s_clause 0x2
	buffer_load_dword v54, off, s[0:3], 0 offset:972
	buffer_load_dword v53, off, s[0:3], 0 offset:968
	;; [unrolled: 1-line block ×3, first 2 shown]
	ds_read_b128 v[9:12], v70 offset:1696
	s_waitcnt vmcnt(55) lgkmcnt(1)
	v_mul_f64 v[95:96], v[1:2], v[33:34]
	v_mul_f64 v[33:34], v[3:4], v[33:34]
	s_waitcnt vmcnt(54)
	v_fma_f64 v[111:112], v[5:6], v[125:126], -v[111:112]
	v_add_f64 v[15:16], v[15:16], v[21:22]
	v_fma_f64 v[21:22], v[7:8], v[125:126], v[57:58]
	v_add_f64 v[13:14], v[13:14], v[27:28]
	s_clause 0x1
	buffer_load_dword v28, off, s[0:3], 0 offset:964
	buffer_load_dword v27, off, s[0:3], 0 offset:960
	ds_read_b128 v[5:8], v70 offset:1712
	s_waitcnt vmcnt(55) lgkmcnt(1)
	v_mul_f64 v[57:58], v[9:10], v[97:98]
	v_mul_f64 v[97:98], v[11:12], v[97:98]
	s_waitcnt vmcnt(53)
	v_fma_f64 v[33:34], v[1:2], v[25:26], -v[33:34]
	v_fma_f64 v[25:26], v[3:4], v[25:26], v[95:96]
	ds_read_b128 v[1:4], v70 offset:1728
	v_add_f64 v[15:16], v[15:16], v[111:112]
	v_add_f64 v[13:14], v[13:14], v[21:22]
	s_waitcnt vmcnt(49) lgkmcnt(1)
	v_mul_f64 v[21:22], v[5:6], v[19:20]
	v_mul_f64 v[19:20], v[7:8], v[19:20]
	s_waitcnt vmcnt(48)
	v_fma_f64 v[95:96], v[9:10], v[123:124], -v[97:98]
	v_add_f64 v[15:16], v[15:16], v[33:34]
	v_fma_f64 v[33:34], v[11:12], v[123:124], v[57:58]
	v_add_f64 v[13:14], v[13:14], v[25:26]
	s_clause 0x3
	buffer_load_dword v25, off, s[0:3], 0 offset:128
	buffer_load_dword v26, off, s[0:3], 0 offset:132
	;; [unrolled: 1-line block ×4, first 2 shown]
	ds_read_b128 v[9:12], v70 offset:1744
	s_waitcnt vmcnt(51) lgkmcnt(1)
	v_mul_f64 v[97:98], v[1:2], v[37:38]
	v_mul_f64 v[37:38], v[3:4], v[37:38]
	s_waitcnt vmcnt(49)
	v_fma_f64 v[19:20], v[5:6], v[31:32], -v[19:20]
	v_fma_f64 v[21:22], v[7:8], v[31:32], v[21:22]
	ds_read_b128 v[5:8], v70 offset:1760
	v_add_f64 v[15:16], v[15:16], v[95:96]
	v_add_f64 v[13:14], v[13:14], v[33:34]
	s_waitcnt vmcnt(45) lgkmcnt(1)
	v_mul_f64 v[31:32], v[9:10], v[23:24]
	v_mul_f64 v[23:24], v[11:12], v[23:24]
	s_waitcnt vmcnt(44)
	v_fma_f64 v[33:34], v[1:2], v[115:116], -v[37:38]
	v_add_f64 v[15:16], v[15:16], v[19:20]
	v_fma_f64 v[19:20], v[3:4], v[115:116], v[97:98]
	v_add_f64 v[13:14], v[13:14], v[21:22]
	ds_read_b128 v[1:4], v70 offset:1776
	s_waitcnt vmcnt(43) lgkmcnt(1)
	v_mul_f64 v[37:38], v[7:8], v[45:46]
	v_mul_f64 v[21:22], v[5:6], v[45:46]
	s_waitcnt vmcnt(41)
	v_fma_f64 v[23:24], v[9:10], v[41:42], -v[23:24]
	v_fma_f64 v[31:32], v[11:12], v[41:42], v[31:32]
	ds_read_b128 v[9:12], v70 offset:1792
	v_add_f64 v[15:16], v[15:16], v[33:34]
	v_add_f64 v[13:14], v[13:14], v[19:20]
	s_waitcnt vmcnt(37) lgkmcnt(1)
	v_mul_f64 v[19:20], v[1:2], v[29:30]
	v_mul_f64 v[29:30], v[3:4], v[29:30]
	s_waitcnt vmcnt(36)
	v_fma_f64 v[33:34], v[5:6], v[99:100], -v[37:38]
	v_fma_f64 v[21:22], v[7:8], v[99:100], v[21:22]
	ds_read_b128 v[5:8], v70 offset:1808
	v_add_f64 v[15:16], v[15:16], v[23:24]
	v_add_f64 v[13:14], v[13:14], v[31:32]
	;; [unrolled: 9-line block ×3, first 2 shown]
	s_waitcnt vmcnt(29) lgkmcnt(1)
	v_mul_f64 v[33:34], v[7:8], v[35:36]
	s_waitcnt vmcnt(28)
	v_fma_f64 v[31:32], v[9:10], v[93:94], -v[31:32]
	v_mul_f64 v[21:22], v[5:6], v[35:36]
	v_fma_f64 v[23:24], v[11:12], v[93:94], v[23:24]
	ds_read_b128 v[9:12], v70 offset:1840
	v_add_f64 v[15:16], v[15:16], v[29:30]
	v_add_f64 v[13:14], v[13:14], v[19:20]
	s_waitcnt vmcnt(27) lgkmcnt(1)
	v_mul_f64 v[29:30], v[3:4], v[59:60]
	v_mul_f64 v[19:20], v[1:2], v[59:60]
	s_waitcnt vmcnt(25)
	v_fma_f64 v[33:34], v[5:6], v[47:48], -v[33:34]
	v_fma_f64 v[21:22], v[7:8], v[47:48], v[21:22]
	ds_read_b128 v[5:8], v70 offset:1856
	v_add_f64 v[15:16], v[15:16], v[31:32]
	v_add_f64 v[13:14], v[13:14], v[23:24]
	s_waitcnt vmcnt(21) lgkmcnt(1)
	v_mul_f64 v[31:32], v[11:12], v[43:44]
	s_waitcnt vmcnt(20)
	v_fma_f64 v[29:30], v[1:2], v[65:66], -v[29:30]
	v_mul_f64 v[23:24], v[9:10], v[43:44]
	v_fma_f64 v[19:20], v[3:4], v[65:66], v[19:20]
	ds_read_b128 v[1:4], v70 offset:1872
	v_add_f64 v[15:16], v[15:16], v[33:34]
	v_add_f64 v[13:14], v[13:14], v[21:22]
	s_waitcnt vmcnt(19) lgkmcnt(1)
	v_mul_f64 v[33:34], v[7:8], v[61:62]
	v_mul_f64 v[21:22], v[5:6], v[61:62]
	s_waitcnt vmcnt(17)
	v_fma_f64 v[31:32], v[9:10], v[17:18], -v[31:32]
	v_fma_f64 v[17:18], v[11:12], v[17:18], v[23:24]
	ds_read_b128 v[9:12], v70 offset:1888
	v_add_f64 v[15:16], v[15:16], v[29:30]
	v_add_f64 v[13:14], v[13:14], v[19:20]
	s_waitcnt vmcnt(13) lgkmcnt(1)
	v_mul_f64 v[23:24], v[3:4], v[49:50]
	s_waitcnt vmcnt(12)
	v_fma_f64 v[29:30], v[5:6], v[67:68], -v[33:34]
	v_mul_f64 v[19:20], v[1:2], v[49:50]
	v_fma_f64 v[21:22], v[7:8], v[67:68], v[21:22]
	ds_read_b128 v[5:8], v70 offset:1904
	v_add_f64 v[15:16], v[15:16], v[31:32]
	v_add_f64 v[13:14], v[13:14], v[17:18]
	s_waitcnt vmcnt(11) lgkmcnt(1)
	v_mul_f64 v[31:32], v[11:12], v[63:64]
	v_mul_f64 v[17:18], v[9:10], v[63:64]
	s_waitcnt vmcnt(9)
	v_fma_f64 v[1:2], v[1:2], v[55:56], -v[23:24]
	v_fma_f64 v[3:4], v[3:4], v[55:56], v[19:20]
	v_add_f64 v[15:16], v[15:16], v[29:30]
	v_add_f64 v[13:14], v[13:14], v[21:22]
	s_waitcnt vmcnt(7) lgkmcnt(0)
	v_mul_f64 v[21:22], v[7:8], v[53:54]
	s_waitcnt vmcnt(6)
	v_fma_f64 v[9:10], v[9:10], v[109:110], -v[31:32]
	v_mul_f64 v[19:20], v[5:6], v[53:54]
	v_fma_f64 v[11:12], v[11:12], v[109:110], v[17:18]
	v_add_f64 v[1:2], v[15:16], v[1:2]
	v_add_f64 v[3:4], v[13:14], v[3:4]
	s_waitcnt vmcnt(4)
	v_fma_f64 v[5:6], v[5:6], v[27:28], -v[21:22]
	v_fma_f64 v[7:8], v[7:8], v[27:28], v[19:20]
	v_add_f64 v[1:2], v[1:2], v[9:10]
	v_add_f64 v[3:4], v[3:4], v[11:12]
	;; [unrolled: 1-line block ×4, first 2 shown]
	s_waitcnt vmcnt(2)
	v_add_f64 v[1:2], v[25:26], -v[1:2]
	s_waitcnt vmcnt(0)
	v_add_f64 v[3:4], v[57:58], -v[3:4]
	buffer_store_dword v2, off, s[0:3], 0 offset:132
	buffer_store_dword v1, off, s[0:3], 0 offset:128
	;; [unrolled: 1-line block ×4, first 2 shown]
	v_cmpx_lt_u32_e32 6, v0
	s_cbranch_execz .LBB59_361
; %bb.360:
	v_mov_b32_e32 v4, s65
	v_mov_b32_e32 v5, 0
	s_clause 0x3
	buffer_load_dword v1, v4, s[0:3], 0 offen
	buffer_load_dword v2, v4, s[0:3], 0 offen offset:4
	buffer_load_dword v3, v4, s[0:3], 0 offen offset:8
	;; [unrolled: 1-line block ×3, first 2 shown]
	buffer_store_dword v5, off, s[0:3], 0 offset:112
	buffer_store_dword v5, off, s[0:3], 0 offset:116
	;; [unrolled: 1-line block ×4, first 2 shown]
	s_waitcnt vmcnt(0)
	ds_write_b128 v69, v[1:4]
.LBB59_361:
	s_or_b32 exec_lo, exec_lo, s4
	s_waitcnt lgkmcnt(0)
	s_waitcnt_vscnt null, 0x0
	s_barrier
	buffer_gl0_inv
	s_clause 0x37
	buffer_load_dword v17, off, s[0:3], 0 offset:136
	buffer_load_dword v18, off, s[0:3], 0 offset:140
	;; [unrolled: 1-line block ×56, first 2 shown]
	v_mov_b32_e32 v70, 0
	s_mov_b32 s4, exec_lo
	ds_read_b128 v[5:8], v70 offset:1072
	s_clause 0x2
	buffer_load_dword v66, off, s[0:3], 0 offset:364
	buffer_load_dword v68, off, s[0:3], 0 offset:340
	;; [unrolled: 1-line block ×3, first 2 shown]
	ds_read_b128 v[1:4], v70 offset:1088
	s_clause 0x4
	buffer_load_dword v100, off, s[0:3], 0 offset:380
	buffer_load_dword v109, off, s[0:3], 0 offset:392
	buffer_load_dword v111, off, s[0:3], 0 offset:384
	buffer_load_dword v99, off, s[0:3], 0 offset:376
	buffer_load_dword v58, off, s[0:3], 0 offset:356
	ds_read_b128 v[93:96], v70 offset:1104
	s_waitcnt vmcnt(62) lgkmcnt(2)
	v_mul_f64 v[97:98], v[7:8], v[17:18]
	v_mul_f64 v[17:18], v[5:6], v[17:18]
	s_waitcnt vmcnt(60) lgkmcnt(1)
	v_mul_f64 v[112:113], v[3:4], v[13:14]
	v_mul_f64 v[13:14], v[1:2], v[13:14]
	;; [unrolled: 3-line block ×3, first 2 shown]
	v_fma_f64 v[97:98], v[5:6], v[15:16], -v[97:98]
	v_fma_f64 v[15:16], v[7:8], v[15:16], v[17:18]
	s_clause 0x2
	buffer_load_dword v110, off, s[0:3], 0 offset:396
	buffer_load_dword v18, off, s[0:3], 0 offset:372
	;; [unrolled: 1-line block ×3, first 2 shown]
	s_waitcnt vmcnt(57)
	v_fma_f64 v[123:124], v[1:2], v[9:10], -v[112:113]
	ds_read_b128 v[5:8], v70 offset:1120
	v_fma_f64 v[9:10], v[3:4], v[9:10], v[13:14]
	s_waitcnt vmcnt(51)
	v_fma_f64 v[93:94], v[93:94], v[33:34], -v[11:12]
	v_fma_f64 v[33:34], v[95:96], v[33:34], v[114:115]
	v_add_f64 v[97:98], v[97:98], 0
	v_add_f64 v[13:14], v[15:16], 0
	s_clause 0x4
	buffer_load_dword v16, off, s[0:3], 0 offset:412
	buffer_load_dword v113, off, s[0:3], 0 offset:424
	;; [unrolled: 1-line block ×5, first 2 shown]
	s_waitcnt lgkmcnt(0)
	v_mul_f64 v[126:127], v[5:6], v[21:22]
	v_mul_f64 v[21:22], v[7:8], v[21:22]
	ds_read_b128 v[1:4], v70 offset:1136
	s_clause 0x2
	buffer_load_dword v114, off, s[0:3], 0 offset:428
	buffer_load_dword v96, off, s[0:3], 0 offset:404
	;; [unrolled: 1-line block ×3, first 2 shown]
	v_add_f64 v[97:98], v[97:98], v[123:124]
	v_add_f64 v[13:14], v[13:14], v[9:10]
	ds_read_b128 v[9:12], v70 offset:1152
	s_waitcnt vmcnt(58) lgkmcnt(1)
	v_mul_f64 v[115:116], v[1:2], v[25:26]
	v_mul_f64 v[25:26], v[3:4], v[25:26]
	s_waitcnt vmcnt(56)
	v_fma_f64 v[21:22], v[5:6], v[27:28], -v[21:22]
	v_fma_f64 v[27:28], v[7:8], v[27:28], v[126:127]
	s_waitcnt vmcnt(52) lgkmcnt(0)
	v_mul_f64 v[127:128], v[9:10], v[29:30]
	v_add_f64 v[93:94], v[97:98], v[93:94]
	v_add_f64 v[13:14], v[13:14], v[33:34]
	s_clause 0x4
	buffer_load_dword v34, off, s[0:3], 0 offset:444
	buffer_load_dword v97, off, s[0:3], 0 offset:456
	;; [unrolled: 1-line block ×5, first 2 shown]
	v_mul_f64 v[29:30], v[11:12], v[29:30]
	s_waitcnt vmcnt(56)
	v_fma_f64 v[25:26], v[1:2], v[19:20], -v[25:26]
	ds_read_b128 v[5:8], v70 offset:1168
	v_fma_f64 v[19:20], v[3:4], v[19:20], v[115:116]
	v_add_f64 v[21:22], v[93:94], v[21:22]
	v_add_f64 v[13:14], v[13:14], v[27:28]
	s_clause 0x2
	buffer_load_dword v98, off, s[0:3], 0 offset:460
	buffer_load_dword v28, off, s[0:3], 0 offset:436
	buffer_load_dword v27, off, s[0:3], 0 offset:432
	s_waitcnt vmcnt(58) lgkmcnt(0)
	v_mul_f64 v[93:94], v[5:6], v[35:36]
	v_mul_f64 v[35:36], v[7:8], v[35:36]
	s_waitcnt vmcnt(56)
	v_fma_f64 v[29:30], v[9:10], v[37:38], -v[29:30]
	ds_read_b128 v[1:4], v70 offset:1184
	v_add_f64 v[21:22], v[21:22], v[25:26]
	v_fma_f64 v[25:26], v[11:12], v[37:38], v[127:128]
	v_add_f64 v[13:14], v[13:14], v[19:20]
	s_clause 0x4
	buffer_load_dword v20, off, s[0:3], 0 offset:476
	buffer_load_dword v37, off, s[0:3], 0 offset:488
	;; [unrolled: 1-line block ×5, first 2 shown]
	s_waitcnt vmcnt(57) lgkmcnt(0)
	v_mul_f64 v[127:128], v[1:2], v[39:40]
	v_mul_f64 v[39:40], v[3:4], v[39:40]
	s_waitcnt vmcnt(56)
	v_fma_f64 v[35:36], v[5:6], v[23:24], -v[35:36]
	ds_read_b128 v[9:12], v70 offset:1200
	v_fma_f64 v[23:24], v[7:8], v[23:24], v[93:94]
	v_add_f64 v[21:22], v[21:22], v[29:30]
	v_add_f64 v[13:14], v[13:14], v[25:26]
	s_clause 0x2
	buffer_load_dword v38, off, s[0:3], 0 offset:492
	buffer_load_dword v26, off, s[0:3], 0 offset:468
	;; [unrolled: 1-line block ×3, first 2 shown]
	ds_read_b128 v[5:8], v70 offset:1216
	s_waitcnt vmcnt(58) lgkmcnt(1)
	v_mul_f64 v[29:30], v[9:10], v[43:44]
	v_mul_f64 v[43:44], v[11:12], v[43:44]
	s_waitcnt vmcnt(56)
	v_fma_f64 v[39:40], v[1:2], v[45:46], -v[39:40]
	v_add_f64 v[21:22], v[21:22], v[35:36]
	v_fma_f64 v[35:36], v[3:4], v[45:46], v[127:128]
	v_add_f64 v[13:14], v[13:14], v[23:24]
	s_clause 0x4
	buffer_load_dword v24, off, s[0:3], 0 offset:508
	buffer_load_dword v45, off, s[0:3], 0 offset:520
	;; [unrolled: 1-line block ×5, first 2 shown]
	s_waitcnt vmcnt(57) lgkmcnt(0)
	v_mul_f64 v[127:128], v[5:6], v[47:48]
	v_mul_f64 v[47:48], v[7:8], v[47:48]
	s_waitcnt vmcnt(56)
	v_fma_f64 v[43:44], v[9:10], v[31:32], -v[43:44]
	ds_read_b128 v[1:4], v70 offset:1232
	v_fma_f64 v[29:30], v[11:12], v[31:32], v[29:30]
	s_clause 0x2
	buffer_load_dword v46, off, s[0:3], 0 offset:524
	buffer_load_dword v32, off, s[0:3], 0 offset:500
	buffer_load_dword v31, off, s[0:3], 0 offset:496
	ds_read_b128 v[9:12], v70 offset:1248
	v_add_f64 v[21:22], v[21:22], v[39:40]
	v_add_f64 v[13:14], v[13:14], v[35:36]
	s_waitcnt vmcnt(58) lgkmcnt(1)
	v_mul_f64 v[39:40], v[3:4], v[51:52]
	s_waitcnt vmcnt(56)
	v_fma_f64 v[47:48], v[5:6], v[53:54], -v[47:48]
	v_mul_f64 v[35:36], v[1:2], v[51:52]
	v_add_f64 v[21:22], v[21:22], v[43:44]
	v_fma_f64 v[43:44], v[7:8], v[53:54], v[127:128]
	v_add_f64 v[13:14], v[13:14], v[29:30]
	s_clause 0x4
	buffer_load_dword v30, off, s[0:3], 0 offset:540
	buffer_load_dword v51, off, s[0:3], 0 offset:552
	;; [unrolled: 1-line block ×5, first 2 shown]
	s_waitcnt vmcnt(57) lgkmcnt(0)
	v_mul_f64 v[127:128], v[9:10], v[55:56]
	v_mul_f64 v[54:55], v[11:12], v[55:56]
	s_waitcnt vmcnt(56)
	v_fma_f64 v[39:40], v[1:2], v[41:42], -v[39:40]
	ds_read_b128 v[5:8], v70 offset:1264
	v_fma_f64 v[35:36], v[3:4], v[41:42], v[35:36]
	s_clause 0x2
	buffer_load_dword v52, off, s[0:3], 0 offset:556
	buffer_load_dword v42, off, s[0:3], 0 offset:532
	;; [unrolled: 1-line block ×3, first 2 shown]
	ds_read_b128 v[1:4], v70 offset:1280
	v_add_f64 v[21:22], v[21:22], v[47:48]
	v_add_f64 v[13:14], v[13:14], v[43:44]
	s_waitcnt vmcnt(58) lgkmcnt(1)
	v_mul_f64 v[47:48], v[7:8], v[59:60]
	s_waitcnt vmcnt(56)
	v_fma_f64 v[55:56], v[9:10], v[61:62], -v[54:55]
	v_mul_f64 v[43:44], v[5:6], v[59:60]
	v_add_f64 v[21:22], v[21:22], v[39:40]
	v_fma_f64 v[39:40], v[11:12], v[61:62], v[127:128]
	v_add_f64 v[13:14], v[13:14], v[35:36]
	s_clause 0x4
	buffer_load_dword v36, off, s[0:3], 0 offset:572
	buffer_load_dword v59, off, s[0:3], 0 offset:584
	;; [unrolled: 1-line block ×5, first 2 shown]
	s_waitcnt vmcnt(57) lgkmcnt(0)
	v_mul_f64 v[127:128], v[1:2], v[63:64]
	v_mul_f64 v[62:63], v[3:4], v[63:64]
	s_waitcnt vmcnt(56)
	v_fma_f64 v[47:48], v[5:6], v[49:50], -v[47:48]
	ds_read_b128 v[9:12], v70 offset:1296
	v_fma_f64 v[43:44], v[7:8], v[49:50], v[43:44]
	v_add_f64 v[21:22], v[21:22], v[55:56]
	v_add_f64 v[13:14], v[13:14], v[39:40]
	s_clause 0x2
	buffer_load_dword v60, off, s[0:3], 0 offset:588
	buffer_load_dword v40, off, s[0:3], 0 offset:564
	;; [unrolled: 1-line block ×3, first 2 shown]
	ds_read_b128 v[5:8], v70 offset:1312
	s_waitcnt vmcnt(58) lgkmcnt(1)
	v_mul_f64 v[55:56], v[11:12], v[65:66]
	s_waitcnt vmcnt(56)
	v_fma_f64 v[63:64], v[1:2], v[67:68], -v[62:63]
	v_mul_f64 v[49:50], v[9:10], v[65:66]
	v_add_f64 v[21:22], v[21:22], v[47:48]
	v_fma_f64 v[47:48], v[3:4], v[67:68], v[127:128]
	v_add_f64 v[13:14], v[13:14], v[43:44]
	s_clause 0x4
	buffer_load_dword v44, off, s[0:3], 0 offset:604
	buffer_load_dword v65, off, s[0:3], 0 offset:616
	;; [unrolled: 1-line block ×5, first 2 shown]
	s_waitcnt vmcnt(57) lgkmcnt(0)
	v_mul_f64 v[127:128], v[5:6], v[99:100]
	v_mul_f64 v[99:100], v[7:8], v[99:100]
	s_waitcnt vmcnt(56)
	v_fma_f64 v[55:56], v[9:10], v[57:58], -v[55:56]
	ds_read_b128 v[1:4], v70 offset:1328
	v_fma_f64 v[49:50], v[11:12], v[57:58], v[49:50]
	v_add_f64 v[21:22], v[21:22], v[63:64]
	v_add_f64 v[13:14], v[13:14], v[47:48]
	s_clause 0x2
	buffer_load_dword v66, off, s[0:3], 0 offset:620
	buffer_load_dword v48, off, s[0:3], 0 offset:596
	;; [unrolled: 1-line block ×3, first 2 shown]
	ds_read_b128 v[9:12], v70 offset:1344
	s_waitcnt vmcnt(58) lgkmcnt(1)
	v_mul_f64 v[63:64], v[3:4], v[109:110]
	v_mul_f64 v[57:58], v[1:2], v[109:110]
	s_waitcnt vmcnt(56)
	v_fma_f64 v[99:100], v[5:6], v[17:18], -v[99:100]
	v_fma_f64 v[17:18], v[7:8], v[17:18], v[127:128]
	v_add_f64 v[21:22], v[21:22], v[55:56]
	v_add_f64 v[13:14], v[13:14], v[49:50]
	s_clause 0x4
	buffer_load_dword v50, off, s[0:3], 0 offset:636
	buffer_load_dword v55, off, s[0:3], 0 offset:648
	;; [unrolled: 1-line block ×5, first 2 shown]
	ds_read_b128 v[5:8], v70 offset:1360
	s_waitcnt vmcnt(57) lgkmcnt(1)
	v_mul_f64 v[127:128], v[9:10], v[15:16]
	v_mul_f64 v[15:16], v[11:12], v[15:16]
	s_waitcnt vmcnt(56)
	v_fma_f64 v[63:64], v[1:2], v[111:112], -v[63:64]
	v_fma_f64 v[57:58], v[3:4], v[111:112], v[57:58]
	v_add_f64 v[21:22], v[21:22], v[99:100]
	v_add_f64 v[13:14], v[13:14], v[17:18]
	s_clause 0x2
	buffer_load_dword v56, off, s[0:3], 0 offset:652
	buffer_load_dword v18, off, s[0:3], 0 offset:628
	;; [unrolled: 1-line block ×3, first 2 shown]
	s_waitcnt vmcnt(58) lgkmcnt(0)
	v_mul_f64 v[111:112], v[7:8], v[113:114]
	ds_read_b128 v[1:4], v70 offset:1376
	v_mul_f64 v[99:100], v[5:6], v[113:114]
	s_waitcnt vmcnt(56)
	v_fma_f64 v[15:16], v[9:10], v[95:96], -v[15:16]
	v_add_f64 v[21:22], v[21:22], v[63:64]
	v_fma_f64 v[63:64], v[11:12], v[95:96], v[127:128]
	v_add_f64 v[13:14], v[13:14], v[57:58]
	s_clause 0x4
	buffer_load_dword v58, off, s[0:3], 0 offset:668
	buffer_load_dword v95, off, s[0:3], 0 offset:680
	buffer_load_dword v113, off, s[0:3], 0 offset:672
	buffer_load_dword v57, off, s[0:3], 0 offset:664
	buffer_load_dword v110, off, s[0:3], 0 offset:644
	ds_read_b128 v[9:12], v70 offset:1392
	s_waitcnt vmcnt(57) lgkmcnt(1)
	v_mul_f64 v[127:128], v[1:2], v[33:34]
	v_mul_f64 v[33:34], v[3:4], v[33:34]
	s_waitcnt vmcnt(56)
	v_fma_f64 v[111:112], v[5:6], v[125:126], -v[111:112]
	v_add_f64 v[15:16], v[21:22], v[15:16]
	v_fma_f64 v[21:22], v[7:8], v[125:126], v[99:100]
	v_add_f64 v[13:14], v[13:14], v[63:64]
	s_clause 0x2
	buffer_load_dword v96, off, s[0:3], 0 offset:684
	buffer_load_dword v64, off, s[0:3], 0 offset:660
	;; [unrolled: 1-line block ×3, first 2 shown]
	ds_read_b128 v[5:8], v70 offset:1408
	s_waitcnt vmcnt(58) lgkmcnt(1)
	v_mul_f64 v[99:100], v[9:10], v[97:98]
	v_mul_f64 v[97:98], v[11:12], v[97:98]
	s_waitcnt vmcnt(56)
	v_fma_f64 v[33:34], v[1:2], v[27:28], -v[33:34]
	v_fma_f64 v[27:28], v[3:4], v[27:28], v[127:128]
	v_add_f64 v[15:16], v[15:16], v[111:112]
	v_add_f64 v[13:14], v[13:14], v[21:22]
	s_clause 0x4
	buffer_load_dword v22, off, s[0:3], 0 offset:700
	buffer_load_dword v111, off, s[0:3], 0 offset:712
	;; [unrolled: 1-line block ×5, first 2 shown]
	ds_read_b128 v[1:4], v70 offset:1424
	s_waitcnt vmcnt(57) lgkmcnt(1)
	v_mul_f64 v[126:127], v[5:6], v[19:20]
	v_mul_f64 v[19:20], v[7:8], v[19:20]
	s_waitcnt vmcnt(56)
	v_fma_f64 v[97:98], v[9:10], v[123:124], -v[97:98]
	v_add_f64 v[15:16], v[15:16], v[33:34]
	v_fma_f64 v[33:34], v[11:12], v[123:124], v[99:100]
	v_add_f64 v[13:14], v[13:14], v[27:28]
	s_clause 0x2
	buffer_load_dword v112, off, s[0:3], 0 offset:716
	buffer_load_dword v28, off, s[0:3], 0 offset:692
	buffer_load_dword v27, off, s[0:3], 0 offset:688
	ds_read_b128 v[9:12], v70 offset:1440
	s_waitcnt vmcnt(58) lgkmcnt(1)
	v_mul_f64 v[99:100], v[1:2], v[37:38]
	v_mul_f64 v[37:38], v[3:4], v[37:38]
	s_waitcnt vmcnt(56)
	v_fma_f64 v[19:20], v[5:6], v[25:26], -v[19:20]
	v_fma_f64 v[25:26], v[7:8], v[25:26], v[126:127]
	v_add_f64 v[15:16], v[15:16], v[97:98]
	v_add_f64 v[13:14], v[13:14], v[33:34]
	s_clause 0x4
	buffer_load_dword v34, off, s[0:3], 0 offset:732
	buffer_load_dword v97, off, s[0:3], 0 offset:744
	;; [unrolled: 1-line block ×5, first 2 shown]
	ds_read_b128 v[5:8], v70 offset:1456
	s_waitcnt vmcnt(57) lgkmcnt(1)
	v_mul_f64 v[127:128], v[9:10], v[23:24]
	v_mul_f64 v[23:24], v[11:12], v[23:24]
	s_waitcnt vmcnt(56)
	v_fma_f64 v[37:38], v[1:2], v[115:116], -v[37:38]
	v_add_f64 v[15:16], v[15:16], v[19:20]
	v_fma_f64 v[19:20], v[3:4], v[115:116], v[99:100]
	v_add_f64 v[13:14], v[13:14], v[25:26]
	s_clause 0x2
	buffer_load_dword v98, off, s[0:3], 0 offset:748
	buffer_load_dword v26, off, s[0:3], 0 offset:724
	;; [unrolled: 1-line block ×3, first 2 shown]
	s_waitcnt vmcnt(58) lgkmcnt(0)
	v_mul_f64 v[99:100], v[5:6], v[45:46]
	v_mul_f64 v[45:46], v[7:8], v[45:46]
	ds_read_b128 v[1:4], v70 offset:1472
	s_waitcnt vmcnt(56)
	v_fma_f64 v[23:24], v[9:10], v[31:32], -v[23:24]
	v_fma_f64 v[31:32], v[11:12], v[31:32], v[127:128]
	v_add_f64 v[15:16], v[15:16], v[37:38]
	v_add_f64 v[13:14], v[13:14], v[19:20]
	s_clause 0x4
	buffer_load_dword v20, off, s[0:3], 0 offset:764
	buffer_load_dword v37, off, s[0:3], 0 offset:776
	;; [unrolled: 1-line block ×5, first 2 shown]
	ds_read_b128 v[9:12], v70 offset:1488
	s_waitcnt vmcnt(57) lgkmcnt(1)
	v_mul_f64 v[127:128], v[1:2], v[29:30]
	v_mul_f64 v[29:30], v[3:4], v[29:30]
	s_waitcnt vmcnt(56)
	v_fma_f64 v[45:46], v[5:6], v[93:94], -v[45:46]
	v_add_f64 v[15:16], v[15:16], v[23:24]
	v_fma_f64 v[23:24], v[7:8], v[93:94], v[99:100]
	v_add_f64 v[13:14], v[13:14], v[31:32]
	s_clause 0x2
	buffer_load_dword v38, off, s[0:3], 0 offset:780
	buffer_load_dword v32, off, s[0:3], 0 offset:756
	;; [unrolled: 1-line block ×3, first 2 shown]
	s_waitcnt vmcnt(58) lgkmcnt(0)
	v_mul_f64 v[93:94], v[9:10], v[51:52]
	v_mul_f64 v[51:52], v[11:12], v[51:52]
	ds_read_b128 v[5:8], v70 offset:1504
	s_waitcnt vmcnt(56)
	v_fma_f64 v[29:30], v[1:2], v[41:42], -v[29:30]
	v_fma_f64 v[41:42], v[3:4], v[41:42], v[127:128]
	v_add_f64 v[15:16], v[15:16], v[45:46]
	v_add_f64 v[13:14], v[13:14], v[23:24]
	s_clause 0x4
	buffer_load_dword v24, off, s[0:3], 0 offset:796
	buffer_load_dword v45, off, s[0:3], 0 offset:808
	buffer_load_dword v99, off, s[0:3], 0 offset:800
	buffer_load_dword v23, off, s[0:3], 0 offset:792
	buffer_load_dword v116, off, s[0:3], 0 offset:772
	ds_read_b128 v[1:4], v70 offset:1520
	s_waitcnt vmcnt(57) lgkmcnt(1)
	v_mul_f64 v[127:128], v[5:6], v[35:36]
	v_mul_f64 v[35:36], v[7:8], v[35:36]
	s_waitcnt vmcnt(56)
	v_fma_f64 v[51:52], v[9:10], v[53:54], -v[51:52]
	v_add_f64 v[15:16], v[15:16], v[29:30]
	v_fma_f64 v[29:30], v[11:12], v[53:54], v[93:94]
	v_add_f64 v[13:14], v[13:14], v[41:42]
	s_clause 0x2
	buffer_load_dword v46, off, s[0:3], 0 offset:812
	buffer_load_dword v42, off, s[0:3], 0 offset:788
	buffer_load_dword v41, off, s[0:3], 0 offset:784
	ds_read_b128 v[9:12], v70 offset:1536
	s_waitcnt vmcnt(58) lgkmcnt(1)
	v_mul_f64 v[53:54], v[1:2], v[59:60]
	v_mul_f64 v[59:60], v[3:4], v[59:60]
	s_waitcnt vmcnt(56)
	v_fma_f64 v[35:36], v[5:6], v[39:40], -v[35:36]
	v_fma_f64 v[39:40], v[7:8], v[39:40], v[127:128]
	v_add_f64 v[15:16], v[15:16], v[51:52]
	v_add_f64 v[13:14], v[13:14], v[29:30]
	s_clause 0x4
	buffer_load_dword v30, off, s[0:3], 0 offset:828
	buffer_load_dword v51, off, s[0:3], 0 offset:840
	buffer_load_dword v93, off, s[0:3], 0 offset:832
	buffer_load_dword v29, off, s[0:3], 0 offset:824
	buffer_load_dword v100, off, s[0:3], 0 offset:804
	ds_read_b128 v[5:8], v70 offset:1552
	s_waitcnt vmcnt(57) lgkmcnt(1)
	v_mul_f64 v[127:128], v[9:10], v[43:44]
	v_mul_f64 v[43:44], v[11:12], v[43:44]
	s_waitcnt vmcnt(56)
	v_fma_f64 v[59:60], v[1:2], v[61:62], -v[59:60]
	v_add_f64 v[15:16], v[15:16], v[35:36]
	v_fma_f64 v[35:36], v[3:4], v[61:62], v[53:54]
	v_add_f64 v[13:14], v[13:14], v[39:40]
	s_clause 0x2
	buffer_load_dword v52, off, s[0:3], 0 offset:844
	buffer_load_dword v40, off, s[0:3], 0 offset:820
	buffer_load_dword v39, off, s[0:3], 0 offset:816
	ds_read_b128 v[1:4], v70 offset:1568
	s_waitcnt vmcnt(58) lgkmcnt(1)
	v_mul_f64 v[61:62], v[7:8], v[65:66]
	v_mul_f64 v[53:54], v[5:6], v[65:66]
	;; [unrolled: 28-line block ×4, first 2 shown]
	s_waitcnt vmcnt(56)
	v_fma_f64 v[57:58], v[5:6], v[63:64], -v[57:58]
	v_add_f64 v[15:16], v[15:16], v[55:56]
	v_fma_f64 v[55:56], v[7:8], v[63:64], v[127:128]
	v_add_f64 v[13:14], v[13:14], v[49:50]
	s_clause 0x4
	buffer_load_dword v50, off, s[0:3], 0 offset:924
	buffer_load_dword v63, off, s[0:3], 0 offset:936
	;; [unrolled: 1-line block ×5, first 2 shown]
	ds_read_b128 v[5:8], v70 offset:1648
	s_waitcnt vmcnt(57) lgkmcnt(1)
	v_mul_f64 v[127:128], v[9:10], v[21:22]
	v_mul_f64 v[21:22], v[11:12], v[21:22]
	s_waitcnt vmcnt(56)
	v_fma_f64 v[95:96], v[1:2], v[113:114], -v[95:96]
	v_fma_f64 v[53:54], v[3:4], v[113:114], v[53:54]
	v_add_f64 v[15:16], v[15:16], v[57:58]
	v_add_f64 v[13:14], v[13:14], v[55:56]
	s_clause 0x2
	buffer_load_dword v64, off, s[0:3], 0 offset:940
	buffer_load_dword v56, off, s[0:3], 0 offset:916
	;; [unrolled: 1-line block ×3, first 2 shown]
	ds_read_b128 v[1:4], v70 offset:1664
	s_waitcnt vmcnt(58) lgkmcnt(1)
	v_mul_f64 v[57:58], v[5:6], v[111:112]
	v_mul_f64 v[111:112], v[7:8], v[111:112]
	s_waitcnt vmcnt(56)
	v_fma_f64 v[21:22], v[9:10], v[27:28], -v[21:22]
	v_fma_f64 v[27:28], v[11:12], v[27:28], v[127:128]
	v_add_f64 v[15:16], v[15:16], v[95:96]
	v_add_f64 v[13:14], v[13:14], v[53:54]
	s_clause 0x4
	buffer_load_dword v54, off, s[0:3], 0 offset:956
	buffer_load_dword v95, off, s[0:3], 0 offset:968
	;; [unrolled: 1-line block ×5, first 2 shown]
	ds_read_b128 v[9:12], v70 offset:1680
	s_waitcnt vmcnt(57) lgkmcnt(1)
	v_mul_f64 v[127:128], v[1:2], v[33:34]
	v_mul_f64 v[33:34], v[3:4], v[33:34]
	s_waitcnt vmcnt(56)
	v_fma_f64 v[111:112], v[5:6], v[125:126], -v[111:112]
	v_add_f64 v[15:16], v[15:16], v[21:22]
	v_fma_f64 v[21:22], v[7:8], v[125:126], v[57:58]
	v_add_f64 v[13:14], v[13:14], v[27:28]
	s_clause 0x2
	buffer_load_dword v96, off, s[0:3], 0 offset:972
	buffer_load_dword v28, off, s[0:3], 0 offset:948
	;; [unrolled: 1-line block ×3, first 2 shown]
	ds_read_b128 v[5:8], v70 offset:1696
	buffer_load_dword v114, off, s[0:3], 0 offset:964
	s_waitcnt vmcnt(59) lgkmcnt(1)
	v_mul_f64 v[57:58], v[9:10], v[97:98]
	v_mul_f64 v[97:98], v[11:12], v[97:98]
	s_waitcnt vmcnt(57)
	v_fma_f64 v[33:34], v[1:2], v[25:26], -v[33:34]
	v_fma_f64 v[25:26], v[3:4], v[25:26], v[127:128]
	ds_read_b128 v[1:4], v70 offset:1712
	v_add_f64 v[15:16], v[15:16], v[111:112]
	v_add_f64 v[13:14], v[13:14], v[21:22]
	s_waitcnt vmcnt(53) lgkmcnt(1)
	v_mul_f64 v[21:22], v[5:6], v[19:20]
	v_mul_f64 v[19:20], v[7:8], v[19:20]
	s_waitcnt vmcnt(52)
	v_fma_f64 v[97:98], v[9:10], v[123:124], -v[97:98]
	v_add_f64 v[15:16], v[15:16], v[33:34]
	v_fma_f64 v[33:34], v[11:12], v[123:124], v[57:58]
	v_add_f64 v[13:14], v[13:14], v[25:26]
	ds_read_b128 v[9:12], v70 offset:1728
	s_waitcnt vmcnt(51) lgkmcnt(1)
	v_mul_f64 v[25:26], v[1:2], v[37:38]
	v_mul_f64 v[37:38], v[3:4], v[37:38]
	s_waitcnt vmcnt(49)
	v_fma_f64 v[19:20], v[5:6], v[31:32], -v[19:20]
	v_fma_f64 v[21:22], v[7:8], v[31:32], v[21:22]
	v_add_f64 v[15:16], v[15:16], v[97:98]
	v_add_f64 v[13:14], v[13:14], v[33:34]
	s_clause 0x3
	buffer_load_dword v31, off, s[0:3], 0 offset:112
	buffer_load_dword v32, off, s[0:3], 0 offset:116
	;; [unrolled: 1-line block ×4, first 2 shown]
	ds_read_b128 v[5:8], v70 offset:1744
	s_waitcnt vmcnt(49) lgkmcnt(1)
	v_mul_f64 v[57:58], v[9:10], v[23:24]
	v_mul_f64 v[23:24], v[11:12], v[23:24]
	s_waitcnt vmcnt(48)
	v_fma_f64 v[37:38], v[1:2], v[115:116], -v[37:38]
	v_add_f64 v[15:16], v[15:16], v[19:20]
	v_fma_f64 v[19:20], v[3:4], v[115:116], v[25:26]
	v_add_f64 v[13:14], v[13:14], v[21:22]
	ds_read_b128 v[1:4], v70 offset:1760
	s_waitcnt vmcnt(47) lgkmcnt(1)
	v_mul_f64 v[25:26], v[7:8], v[45:46]
	v_mul_f64 v[21:22], v[5:6], v[45:46]
	s_waitcnt vmcnt(45)
	v_fma_f64 v[23:24], v[9:10], v[41:42], -v[23:24]
	v_add_f64 v[15:16], v[15:16], v[37:38]
	v_fma_f64 v[37:38], v[11:12], v[41:42], v[57:58]
	v_add_f64 v[13:14], v[13:14], v[19:20]
	ds_read_b128 v[9:12], v70 offset:1776
	s_waitcnt vmcnt(41) lgkmcnt(1)
	v_mul_f64 v[19:20], v[1:2], v[29:30]
	v_mul_f64 v[29:30], v[3:4], v[29:30]
	s_waitcnt vmcnt(40)
	v_fma_f64 v[25:26], v[5:6], v[99:100], -v[25:26]
	v_fma_f64 v[21:22], v[7:8], v[99:100], v[21:22]
	ds_read_b128 v[5:8], v70 offset:1792
	v_add_f64 v[15:16], v[15:16], v[23:24]
	v_add_f64 v[13:14], v[13:14], v[37:38]
	s_waitcnt vmcnt(39) lgkmcnt(1)
	v_mul_f64 v[37:38], v[11:12], v[51:52]
	v_mul_f64 v[23:24], v[9:10], v[51:52]
	s_waitcnt vmcnt(37)
	v_fma_f64 v[29:30], v[1:2], v[39:40], -v[29:30]
	v_fma_f64 v[19:20], v[3:4], v[39:40], v[19:20]
	ds_read_b128 v[1:4], v70 offset:1808
	v_add_f64 v[15:16], v[15:16], v[25:26]
	v_add_f64 v[13:14], v[13:14], v[21:22]
	;; [unrolled: 9-line block ×4, first 2 shown]
	s_waitcnt vmcnt(25) lgkmcnt(1)
	v_mul_f64 v[35:36], v[11:12], v[43:44]
	s_waitcnt vmcnt(24)
	v_fma_f64 v[29:30], v[1:2], v[65:66], -v[29:30]
	v_mul_f64 v[23:24], v[9:10], v[43:44]
	v_fma_f64 v[19:20], v[3:4], v[65:66], v[19:20]
	ds_read_b128 v[1:4], v70 offset:1856
	v_add_f64 v[15:16], v[15:16], v[25:26]
	v_add_f64 v[13:14], v[13:14], v[21:22]
	s_waitcnt vmcnt(23) lgkmcnt(1)
	v_mul_f64 v[25:26], v[7:8], v[61:62]
	v_mul_f64 v[21:22], v[5:6], v[61:62]
	s_waitcnt vmcnt(21)
	v_fma_f64 v[35:36], v[9:10], v[17:18], -v[35:36]
	v_fma_f64 v[17:18], v[11:12], v[17:18], v[23:24]
	ds_read_b128 v[9:12], v70 offset:1872
	v_add_f64 v[15:16], v[15:16], v[29:30]
	v_add_f64 v[13:14], v[13:14], v[19:20]
	s_waitcnt vmcnt(17) lgkmcnt(1)
	v_mul_f64 v[23:24], v[3:4], v[49:50]
	s_waitcnt vmcnt(16)
	v_fma_f64 v[25:26], v[5:6], v[67:68], -v[25:26]
	v_mul_f64 v[19:20], v[1:2], v[49:50]
	v_fma_f64 v[21:22], v[7:8], v[67:68], v[21:22]
	ds_read_b128 v[5:8], v70 offset:1888
	v_add_f64 v[15:16], v[15:16], v[35:36]
	v_add_f64 v[13:14], v[13:14], v[17:18]
	s_waitcnt vmcnt(15) lgkmcnt(1)
	v_mul_f64 v[29:30], v[11:12], v[63:64]
	v_mul_f64 v[17:18], v[9:10], v[63:64]
	s_waitcnt vmcnt(13)
	v_fma_f64 v[23:24], v[1:2], v[55:56], -v[23:24]
	v_fma_f64 v[19:20], v[3:4], v[55:56], v[19:20]
	ds_read_b128 v[1:4], v70 offset:1904
	v_add_f64 v[15:16], v[15:16], v[25:26]
	v_add_f64 v[13:14], v[13:14], v[21:22]
	s_waitcnt vmcnt(9) lgkmcnt(1)
	v_mul_f64 v[25:26], v[7:8], v[53:54]
	s_waitcnt vmcnt(8)
	v_fma_f64 v[9:10], v[9:10], v[109:110], -v[29:30]
	v_mul_f64 v[21:22], v[5:6], v[53:54]
	v_fma_f64 v[11:12], v[11:12], v[109:110], v[17:18]
	v_add_f64 v[15:16], v[15:16], v[23:24]
	v_add_f64 v[13:14], v[13:14], v[19:20]
	s_waitcnt vmcnt(7) lgkmcnt(0)
	v_mul_f64 v[19:20], v[3:4], v[95:96]
	v_mul_f64 v[17:18], v[1:2], v[95:96]
	s_waitcnt vmcnt(5)
	v_fma_f64 v[5:6], v[5:6], v[27:28], -v[25:26]
	v_fma_f64 v[7:8], v[7:8], v[27:28], v[21:22]
	v_add_f64 v[9:10], v[15:16], v[9:10]
	v_add_f64 v[11:12], v[13:14], v[11:12]
	s_waitcnt vmcnt(4)
	v_fma_f64 v[1:2], v[1:2], v[113:114], -v[19:20]
	v_fma_f64 v[3:4], v[3:4], v[113:114], v[17:18]
	v_add_f64 v[5:6], v[9:10], v[5:6]
	v_add_f64 v[7:8], v[11:12], v[7:8]
	;; [unrolled: 1-line block ×4, first 2 shown]
	s_waitcnt vmcnt(2)
	v_add_f64 v[1:2], v[31:32], -v[1:2]
	s_waitcnt vmcnt(0)
	v_add_f64 v[3:4], v[33:34], -v[3:4]
	buffer_store_dword v2, off, s[0:3], 0 offset:116
	buffer_store_dword v1, off, s[0:3], 0 offset:112
	;; [unrolled: 1-line block ×4, first 2 shown]
	v_cmpx_lt_u32_e32 5, v0
	s_cbranch_execz .LBB59_363
; %bb.362:
	v_mov_b32_e32 v4, s66
	s_clause 0x3
	buffer_load_dword v1, v4, s[0:3], 0 offen
	buffer_load_dword v2, v4, s[0:3], 0 offen offset:4
	buffer_load_dword v3, v4, s[0:3], 0 offen offset:8
	;; [unrolled: 1-line block ×3, first 2 shown]
	buffer_store_dword v70, off, s[0:3], 0 offset:96
	buffer_store_dword v70, off, s[0:3], 0 offset:100
	;; [unrolled: 1-line block ×4, first 2 shown]
	s_waitcnt vmcnt(0)
	ds_write_b128 v69, v[1:4]
.LBB59_363:
	s_or_b32 exec_lo, exec_lo, s4
	s_waitcnt lgkmcnt(0)
	s_waitcnt_vscnt null, 0x0
	s_barrier
	buffer_gl0_inv
	s_clause 0x37
	buffer_load_dword v17, off, s[0:3], 0 offset:120
	buffer_load_dword v18, off, s[0:3], 0 offset:124
	;; [unrolled: 1-line block ×56, first 2 shown]
	ds_read_b128 v[5:8], v70 offset:1056
	s_clause 0x2
	buffer_load_dword v66, off, s[0:3], 0 offset:348
	buffer_load_dword v68, off, s[0:3], 0 offset:324
	;; [unrolled: 1-line block ×3, first 2 shown]
	ds_read_b128 v[1:4], v70 offset:1072
	s_clause 0x4
	buffer_load_dword v100, off, s[0:3], 0 offset:364
	buffer_load_dword v109, off, s[0:3], 0 offset:376
	;; [unrolled: 1-line block ×5, first 2 shown]
	ds_read_b128 v[93:96], v70 offset:1088
	s_mov_b32 s4, exec_lo
	s_waitcnt vmcnt(62) lgkmcnt(2)
	v_mul_f64 v[97:98], v[7:8], v[17:18]
	v_mul_f64 v[17:18], v[5:6], v[17:18]
	s_waitcnt vmcnt(60) lgkmcnt(1)
	v_mul_f64 v[112:113], v[3:4], v[13:14]
	v_mul_f64 v[13:14], v[1:2], v[13:14]
	;; [unrolled: 3-line block ×3, first 2 shown]
	v_fma_f64 v[97:98], v[5:6], v[15:16], -v[97:98]
	v_fma_f64 v[15:16], v[7:8], v[15:16], v[17:18]
	s_clause 0x2
	buffer_load_dword v110, off, s[0:3], 0 offset:380
	buffer_load_dword v18, off, s[0:3], 0 offset:356
	;; [unrolled: 1-line block ×3, first 2 shown]
	s_waitcnt vmcnt(57)
	v_fma_f64 v[123:124], v[1:2], v[9:10], -v[112:113]
	ds_read_b128 v[5:8], v70 offset:1104
	v_fma_f64 v[9:10], v[3:4], v[9:10], v[13:14]
	s_waitcnt vmcnt(51)
	v_fma_f64 v[93:94], v[93:94], v[33:34], -v[11:12]
	v_fma_f64 v[33:34], v[95:96], v[33:34], v[114:115]
	v_add_f64 v[97:98], v[97:98], 0
	v_add_f64 v[13:14], v[15:16], 0
	s_clause 0x4
	buffer_load_dword v16, off, s[0:3], 0 offset:396
	buffer_load_dword v113, off, s[0:3], 0 offset:408
	;; [unrolled: 1-line block ×5, first 2 shown]
	s_waitcnt lgkmcnt(0)
	v_mul_f64 v[126:127], v[5:6], v[21:22]
	v_mul_f64 v[21:22], v[7:8], v[21:22]
	ds_read_b128 v[1:4], v70 offset:1120
	s_clause 0x2
	buffer_load_dword v114, off, s[0:3], 0 offset:412
	buffer_load_dword v96, off, s[0:3], 0 offset:388
	;; [unrolled: 1-line block ×3, first 2 shown]
	v_add_f64 v[97:98], v[97:98], v[123:124]
	v_add_f64 v[13:14], v[13:14], v[9:10]
	ds_read_b128 v[9:12], v70 offset:1136
	s_waitcnt vmcnt(58) lgkmcnt(1)
	v_mul_f64 v[115:116], v[1:2], v[25:26]
	v_mul_f64 v[25:26], v[3:4], v[25:26]
	s_waitcnt vmcnt(56)
	v_fma_f64 v[21:22], v[5:6], v[27:28], -v[21:22]
	v_fma_f64 v[27:28], v[7:8], v[27:28], v[126:127]
	s_waitcnt vmcnt(52) lgkmcnt(0)
	v_mul_f64 v[127:128], v[9:10], v[29:30]
	v_add_f64 v[93:94], v[97:98], v[93:94]
	v_add_f64 v[13:14], v[13:14], v[33:34]
	s_clause 0x4
	buffer_load_dword v34, off, s[0:3], 0 offset:428
	buffer_load_dword v97, off, s[0:3], 0 offset:440
	;; [unrolled: 1-line block ×5, first 2 shown]
	v_mul_f64 v[29:30], v[11:12], v[29:30]
	s_waitcnt vmcnt(56)
	v_fma_f64 v[25:26], v[1:2], v[19:20], -v[25:26]
	ds_read_b128 v[5:8], v70 offset:1152
	v_fma_f64 v[19:20], v[3:4], v[19:20], v[115:116]
	v_add_f64 v[21:22], v[93:94], v[21:22]
	v_add_f64 v[13:14], v[13:14], v[27:28]
	s_clause 0x2
	buffer_load_dword v98, off, s[0:3], 0 offset:444
	buffer_load_dword v28, off, s[0:3], 0 offset:420
	;; [unrolled: 1-line block ×3, first 2 shown]
	s_waitcnt vmcnt(58) lgkmcnt(0)
	v_mul_f64 v[93:94], v[5:6], v[35:36]
	v_mul_f64 v[35:36], v[7:8], v[35:36]
	s_waitcnt vmcnt(56)
	v_fma_f64 v[29:30], v[9:10], v[37:38], -v[29:30]
	ds_read_b128 v[1:4], v70 offset:1168
	v_add_f64 v[21:22], v[21:22], v[25:26]
	v_fma_f64 v[25:26], v[11:12], v[37:38], v[127:128]
	v_add_f64 v[13:14], v[13:14], v[19:20]
	s_clause 0x4
	buffer_load_dword v20, off, s[0:3], 0 offset:460
	buffer_load_dword v37, off, s[0:3], 0 offset:472
	;; [unrolled: 1-line block ×5, first 2 shown]
	s_waitcnt vmcnt(57) lgkmcnt(0)
	v_mul_f64 v[127:128], v[1:2], v[39:40]
	v_mul_f64 v[39:40], v[3:4], v[39:40]
	s_waitcnt vmcnt(56)
	v_fma_f64 v[35:36], v[5:6], v[23:24], -v[35:36]
	ds_read_b128 v[9:12], v70 offset:1184
	v_fma_f64 v[23:24], v[7:8], v[23:24], v[93:94]
	v_add_f64 v[21:22], v[21:22], v[29:30]
	v_add_f64 v[13:14], v[13:14], v[25:26]
	s_clause 0x2
	buffer_load_dword v38, off, s[0:3], 0 offset:476
	buffer_load_dword v26, off, s[0:3], 0 offset:452
	;; [unrolled: 1-line block ×3, first 2 shown]
	ds_read_b128 v[5:8], v70 offset:1200
	s_waitcnt vmcnt(58) lgkmcnt(1)
	v_mul_f64 v[29:30], v[9:10], v[43:44]
	v_mul_f64 v[43:44], v[11:12], v[43:44]
	s_waitcnt vmcnt(56)
	v_fma_f64 v[39:40], v[1:2], v[45:46], -v[39:40]
	v_add_f64 v[21:22], v[21:22], v[35:36]
	v_fma_f64 v[35:36], v[3:4], v[45:46], v[127:128]
	v_add_f64 v[13:14], v[13:14], v[23:24]
	s_clause 0x4
	buffer_load_dword v24, off, s[0:3], 0 offset:492
	buffer_load_dword v45, off, s[0:3], 0 offset:504
	;; [unrolled: 1-line block ×5, first 2 shown]
	s_waitcnt vmcnt(57) lgkmcnt(0)
	v_mul_f64 v[127:128], v[5:6], v[47:48]
	v_mul_f64 v[47:48], v[7:8], v[47:48]
	s_waitcnt vmcnt(56)
	v_fma_f64 v[43:44], v[9:10], v[31:32], -v[43:44]
	ds_read_b128 v[1:4], v70 offset:1216
	v_fma_f64 v[29:30], v[11:12], v[31:32], v[29:30]
	s_clause 0x2
	buffer_load_dword v46, off, s[0:3], 0 offset:508
	buffer_load_dword v32, off, s[0:3], 0 offset:484
	;; [unrolled: 1-line block ×3, first 2 shown]
	ds_read_b128 v[9:12], v70 offset:1232
	v_add_f64 v[21:22], v[21:22], v[39:40]
	v_add_f64 v[13:14], v[13:14], v[35:36]
	s_waitcnt vmcnt(58) lgkmcnt(1)
	v_mul_f64 v[39:40], v[3:4], v[51:52]
	s_waitcnt vmcnt(56)
	v_fma_f64 v[47:48], v[5:6], v[53:54], -v[47:48]
	v_mul_f64 v[35:36], v[1:2], v[51:52]
	v_add_f64 v[21:22], v[21:22], v[43:44]
	v_fma_f64 v[43:44], v[7:8], v[53:54], v[127:128]
	v_add_f64 v[13:14], v[13:14], v[29:30]
	s_clause 0x4
	buffer_load_dword v30, off, s[0:3], 0 offset:524
	buffer_load_dword v51, off, s[0:3], 0 offset:536
	;; [unrolled: 1-line block ×5, first 2 shown]
	s_waitcnt vmcnt(57) lgkmcnt(0)
	v_mul_f64 v[127:128], v[9:10], v[55:56]
	v_mul_f64 v[54:55], v[11:12], v[55:56]
	s_waitcnt vmcnt(56)
	v_fma_f64 v[39:40], v[1:2], v[41:42], -v[39:40]
	ds_read_b128 v[5:8], v70 offset:1248
	v_fma_f64 v[35:36], v[3:4], v[41:42], v[35:36]
	s_clause 0x2
	buffer_load_dword v52, off, s[0:3], 0 offset:540
	buffer_load_dword v42, off, s[0:3], 0 offset:516
	;; [unrolled: 1-line block ×3, first 2 shown]
	ds_read_b128 v[1:4], v70 offset:1264
	v_add_f64 v[21:22], v[21:22], v[47:48]
	v_add_f64 v[13:14], v[13:14], v[43:44]
	s_waitcnt vmcnt(58) lgkmcnt(1)
	v_mul_f64 v[47:48], v[7:8], v[59:60]
	s_waitcnt vmcnt(56)
	v_fma_f64 v[55:56], v[9:10], v[61:62], -v[54:55]
	v_mul_f64 v[43:44], v[5:6], v[59:60]
	v_add_f64 v[21:22], v[21:22], v[39:40]
	v_fma_f64 v[39:40], v[11:12], v[61:62], v[127:128]
	v_add_f64 v[13:14], v[13:14], v[35:36]
	s_clause 0x4
	buffer_load_dword v36, off, s[0:3], 0 offset:556
	buffer_load_dword v59, off, s[0:3], 0 offset:568
	;; [unrolled: 1-line block ×5, first 2 shown]
	s_waitcnt vmcnt(57) lgkmcnt(0)
	v_mul_f64 v[127:128], v[1:2], v[63:64]
	v_mul_f64 v[62:63], v[3:4], v[63:64]
	s_waitcnt vmcnt(56)
	v_fma_f64 v[47:48], v[5:6], v[49:50], -v[47:48]
	ds_read_b128 v[9:12], v70 offset:1280
	v_fma_f64 v[43:44], v[7:8], v[49:50], v[43:44]
	v_add_f64 v[21:22], v[21:22], v[55:56]
	v_add_f64 v[13:14], v[13:14], v[39:40]
	s_clause 0x2
	buffer_load_dword v60, off, s[0:3], 0 offset:572
	buffer_load_dword v40, off, s[0:3], 0 offset:548
	;; [unrolled: 1-line block ×3, first 2 shown]
	ds_read_b128 v[5:8], v70 offset:1296
	s_waitcnt vmcnt(58) lgkmcnt(1)
	v_mul_f64 v[55:56], v[11:12], v[65:66]
	s_waitcnt vmcnt(56)
	v_fma_f64 v[63:64], v[1:2], v[67:68], -v[62:63]
	v_mul_f64 v[49:50], v[9:10], v[65:66]
	v_add_f64 v[21:22], v[21:22], v[47:48]
	v_fma_f64 v[47:48], v[3:4], v[67:68], v[127:128]
	v_add_f64 v[13:14], v[13:14], v[43:44]
	s_clause 0x4
	buffer_load_dword v44, off, s[0:3], 0 offset:588
	buffer_load_dword v65, off, s[0:3], 0 offset:600
	;; [unrolled: 1-line block ×5, first 2 shown]
	s_waitcnt vmcnt(57) lgkmcnt(0)
	v_mul_f64 v[127:128], v[5:6], v[99:100]
	v_mul_f64 v[99:100], v[7:8], v[99:100]
	s_waitcnt vmcnt(56)
	v_fma_f64 v[55:56], v[9:10], v[57:58], -v[55:56]
	ds_read_b128 v[1:4], v70 offset:1312
	v_fma_f64 v[49:50], v[11:12], v[57:58], v[49:50]
	v_add_f64 v[21:22], v[21:22], v[63:64]
	v_add_f64 v[13:14], v[13:14], v[47:48]
	s_clause 0x2
	buffer_load_dword v66, off, s[0:3], 0 offset:604
	buffer_load_dword v48, off, s[0:3], 0 offset:580
	;; [unrolled: 1-line block ×3, first 2 shown]
	ds_read_b128 v[9:12], v70 offset:1328
	s_waitcnt vmcnt(58) lgkmcnt(1)
	v_mul_f64 v[63:64], v[3:4], v[109:110]
	v_mul_f64 v[57:58], v[1:2], v[109:110]
	s_waitcnt vmcnt(56)
	v_fma_f64 v[99:100], v[5:6], v[17:18], -v[99:100]
	v_fma_f64 v[17:18], v[7:8], v[17:18], v[127:128]
	v_add_f64 v[21:22], v[21:22], v[55:56]
	v_add_f64 v[13:14], v[13:14], v[49:50]
	s_clause 0x4
	buffer_load_dword v50, off, s[0:3], 0 offset:620
	buffer_load_dword v55, off, s[0:3], 0 offset:632
	;; [unrolled: 1-line block ×5, first 2 shown]
	ds_read_b128 v[5:8], v70 offset:1344
	s_waitcnt vmcnt(57) lgkmcnt(1)
	v_mul_f64 v[127:128], v[9:10], v[15:16]
	v_mul_f64 v[15:16], v[11:12], v[15:16]
	s_waitcnt vmcnt(56)
	v_fma_f64 v[63:64], v[1:2], v[111:112], -v[63:64]
	v_fma_f64 v[57:58], v[3:4], v[111:112], v[57:58]
	v_add_f64 v[21:22], v[21:22], v[99:100]
	v_add_f64 v[13:14], v[13:14], v[17:18]
	s_clause 0x2
	buffer_load_dword v56, off, s[0:3], 0 offset:636
	buffer_load_dword v18, off, s[0:3], 0 offset:612
	;; [unrolled: 1-line block ×3, first 2 shown]
	s_waitcnt vmcnt(58) lgkmcnt(0)
	v_mul_f64 v[111:112], v[7:8], v[113:114]
	ds_read_b128 v[1:4], v70 offset:1360
	v_mul_f64 v[99:100], v[5:6], v[113:114]
	s_waitcnt vmcnt(56)
	v_fma_f64 v[15:16], v[9:10], v[95:96], -v[15:16]
	v_add_f64 v[21:22], v[21:22], v[63:64]
	v_fma_f64 v[63:64], v[11:12], v[95:96], v[127:128]
	v_add_f64 v[13:14], v[13:14], v[57:58]
	s_clause 0x4
	buffer_load_dword v58, off, s[0:3], 0 offset:652
	buffer_load_dword v95, off, s[0:3], 0 offset:664
	;; [unrolled: 1-line block ×5, first 2 shown]
	ds_read_b128 v[9:12], v70 offset:1376
	s_waitcnt vmcnt(57) lgkmcnt(1)
	v_mul_f64 v[127:128], v[1:2], v[33:34]
	v_mul_f64 v[33:34], v[3:4], v[33:34]
	s_waitcnt vmcnt(56)
	v_fma_f64 v[111:112], v[5:6], v[125:126], -v[111:112]
	v_add_f64 v[15:16], v[21:22], v[15:16]
	v_fma_f64 v[21:22], v[7:8], v[125:126], v[99:100]
	v_add_f64 v[13:14], v[13:14], v[63:64]
	s_clause 0x2
	buffer_load_dword v96, off, s[0:3], 0 offset:668
	buffer_load_dword v64, off, s[0:3], 0 offset:644
	;; [unrolled: 1-line block ×3, first 2 shown]
	ds_read_b128 v[5:8], v70 offset:1392
	s_waitcnt vmcnt(58) lgkmcnt(1)
	v_mul_f64 v[99:100], v[9:10], v[97:98]
	v_mul_f64 v[97:98], v[11:12], v[97:98]
	s_waitcnt vmcnt(56)
	v_fma_f64 v[33:34], v[1:2], v[27:28], -v[33:34]
	v_fma_f64 v[27:28], v[3:4], v[27:28], v[127:128]
	v_add_f64 v[15:16], v[15:16], v[111:112]
	v_add_f64 v[13:14], v[13:14], v[21:22]
	s_clause 0x4
	buffer_load_dword v22, off, s[0:3], 0 offset:684
	buffer_load_dword v111, off, s[0:3], 0 offset:696
	;; [unrolled: 1-line block ×5, first 2 shown]
	ds_read_b128 v[1:4], v70 offset:1408
	s_waitcnt vmcnt(57) lgkmcnt(1)
	v_mul_f64 v[126:127], v[5:6], v[19:20]
	v_mul_f64 v[19:20], v[7:8], v[19:20]
	s_waitcnt vmcnt(56)
	v_fma_f64 v[97:98], v[9:10], v[123:124], -v[97:98]
	v_add_f64 v[15:16], v[15:16], v[33:34]
	v_fma_f64 v[33:34], v[11:12], v[123:124], v[99:100]
	v_add_f64 v[13:14], v[13:14], v[27:28]
	s_clause 0x2
	buffer_load_dword v112, off, s[0:3], 0 offset:700
	buffer_load_dword v28, off, s[0:3], 0 offset:676
	;; [unrolled: 1-line block ×3, first 2 shown]
	ds_read_b128 v[9:12], v70 offset:1424
	s_waitcnt vmcnt(58) lgkmcnt(1)
	v_mul_f64 v[99:100], v[1:2], v[37:38]
	v_mul_f64 v[37:38], v[3:4], v[37:38]
	s_waitcnt vmcnt(56)
	v_fma_f64 v[19:20], v[5:6], v[25:26], -v[19:20]
	v_fma_f64 v[25:26], v[7:8], v[25:26], v[126:127]
	v_add_f64 v[15:16], v[15:16], v[97:98]
	v_add_f64 v[13:14], v[13:14], v[33:34]
	s_clause 0x4
	buffer_load_dword v34, off, s[0:3], 0 offset:716
	buffer_load_dword v97, off, s[0:3], 0 offset:728
	;; [unrolled: 1-line block ×5, first 2 shown]
	ds_read_b128 v[5:8], v70 offset:1440
	s_waitcnt vmcnt(57) lgkmcnt(1)
	v_mul_f64 v[127:128], v[9:10], v[23:24]
	v_mul_f64 v[23:24], v[11:12], v[23:24]
	s_waitcnt vmcnt(56)
	v_fma_f64 v[37:38], v[1:2], v[115:116], -v[37:38]
	v_add_f64 v[15:16], v[15:16], v[19:20]
	v_fma_f64 v[19:20], v[3:4], v[115:116], v[99:100]
	v_add_f64 v[13:14], v[13:14], v[25:26]
	s_clause 0x2
	buffer_load_dword v98, off, s[0:3], 0 offset:732
	buffer_load_dword v26, off, s[0:3], 0 offset:708
	;; [unrolled: 1-line block ×3, first 2 shown]
	s_waitcnt vmcnt(58) lgkmcnt(0)
	v_mul_f64 v[99:100], v[5:6], v[45:46]
	v_mul_f64 v[45:46], v[7:8], v[45:46]
	ds_read_b128 v[1:4], v70 offset:1456
	s_waitcnt vmcnt(56)
	v_fma_f64 v[23:24], v[9:10], v[31:32], -v[23:24]
	v_fma_f64 v[31:32], v[11:12], v[31:32], v[127:128]
	v_add_f64 v[15:16], v[15:16], v[37:38]
	v_add_f64 v[13:14], v[13:14], v[19:20]
	s_clause 0x4
	buffer_load_dword v20, off, s[0:3], 0 offset:748
	buffer_load_dword v37, off, s[0:3], 0 offset:760
	;; [unrolled: 1-line block ×5, first 2 shown]
	ds_read_b128 v[9:12], v70 offset:1472
	s_waitcnt vmcnt(57) lgkmcnt(1)
	v_mul_f64 v[127:128], v[1:2], v[29:30]
	v_mul_f64 v[29:30], v[3:4], v[29:30]
	s_waitcnt vmcnt(56)
	v_fma_f64 v[45:46], v[5:6], v[93:94], -v[45:46]
	v_add_f64 v[15:16], v[15:16], v[23:24]
	v_fma_f64 v[23:24], v[7:8], v[93:94], v[99:100]
	v_add_f64 v[13:14], v[13:14], v[31:32]
	s_clause 0x2
	buffer_load_dword v38, off, s[0:3], 0 offset:764
	buffer_load_dword v32, off, s[0:3], 0 offset:740
	;; [unrolled: 1-line block ×3, first 2 shown]
	s_waitcnt vmcnt(58) lgkmcnt(0)
	v_mul_f64 v[93:94], v[9:10], v[51:52]
	v_mul_f64 v[51:52], v[11:12], v[51:52]
	ds_read_b128 v[5:8], v70 offset:1488
	s_waitcnt vmcnt(56)
	v_fma_f64 v[29:30], v[1:2], v[41:42], -v[29:30]
	v_fma_f64 v[41:42], v[3:4], v[41:42], v[127:128]
	v_add_f64 v[15:16], v[15:16], v[45:46]
	v_add_f64 v[13:14], v[13:14], v[23:24]
	s_clause 0x4
	buffer_load_dword v24, off, s[0:3], 0 offset:780
	buffer_load_dword v45, off, s[0:3], 0 offset:792
	buffer_load_dword v99, off, s[0:3], 0 offset:784
	buffer_load_dword v23, off, s[0:3], 0 offset:776
	buffer_load_dword v116, off, s[0:3], 0 offset:756
	ds_read_b128 v[1:4], v70 offset:1504
	s_waitcnt vmcnt(57) lgkmcnt(1)
	v_mul_f64 v[127:128], v[5:6], v[35:36]
	v_mul_f64 v[35:36], v[7:8], v[35:36]
	s_waitcnt vmcnt(56)
	v_fma_f64 v[51:52], v[9:10], v[53:54], -v[51:52]
	v_add_f64 v[15:16], v[15:16], v[29:30]
	v_fma_f64 v[29:30], v[11:12], v[53:54], v[93:94]
	v_add_f64 v[13:14], v[13:14], v[41:42]
	s_clause 0x2
	buffer_load_dword v46, off, s[0:3], 0 offset:796
	buffer_load_dword v42, off, s[0:3], 0 offset:772
	buffer_load_dword v41, off, s[0:3], 0 offset:768
	ds_read_b128 v[9:12], v70 offset:1520
	s_waitcnt vmcnt(58) lgkmcnt(1)
	v_mul_f64 v[53:54], v[1:2], v[59:60]
	v_mul_f64 v[59:60], v[3:4], v[59:60]
	s_waitcnt vmcnt(56)
	v_fma_f64 v[35:36], v[5:6], v[39:40], -v[35:36]
	v_fma_f64 v[39:40], v[7:8], v[39:40], v[127:128]
	v_add_f64 v[15:16], v[15:16], v[51:52]
	v_add_f64 v[13:14], v[13:14], v[29:30]
	s_clause 0x4
	buffer_load_dword v30, off, s[0:3], 0 offset:812
	buffer_load_dword v51, off, s[0:3], 0 offset:824
	buffer_load_dword v93, off, s[0:3], 0 offset:816
	buffer_load_dword v29, off, s[0:3], 0 offset:808
	buffer_load_dword v100, off, s[0:3], 0 offset:788
	ds_read_b128 v[5:8], v70 offset:1536
	s_waitcnt vmcnt(57) lgkmcnt(1)
	v_mul_f64 v[127:128], v[9:10], v[43:44]
	v_mul_f64 v[43:44], v[11:12], v[43:44]
	s_waitcnt vmcnt(56)
	v_fma_f64 v[59:60], v[1:2], v[61:62], -v[59:60]
	v_add_f64 v[15:16], v[15:16], v[35:36]
	v_fma_f64 v[35:36], v[3:4], v[61:62], v[53:54]
	v_add_f64 v[13:14], v[13:14], v[39:40]
	s_clause 0x2
	buffer_load_dword v52, off, s[0:3], 0 offset:828
	buffer_load_dword v40, off, s[0:3], 0 offset:804
	buffer_load_dword v39, off, s[0:3], 0 offset:800
	ds_read_b128 v[1:4], v70 offset:1552
	s_waitcnt vmcnt(58) lgkmcnt(1)
	v_mul_f64 v[61:62], v[7:8], v[65:66]
	v_mul_f64 v[53:54], v[5:6], v[65:66]
	;; [unrolled: 28-line block ×4, first 2 shown]
	s_waitcnt vmcnt(56)
	v_fma_f64 v[57:58], v[5:6], v[63:64], -v[57:58]
	v_add_f64 v[15:16], v[15:16], v[55:56]
	v_fma_f64 v[55:56], v[7:8], v[63:64], v[127:128]
	v_add_f64 v[13:14], v[13:14], v[49:50]
	s_clause 0x4
	buffer_load_dword v50, off, s[0:3], 0 offset:908
	buffer_load_dword v63, off, s[0:3], 0 offset:920
	;; [unrolled: 1-line block ×5, first 2 shown]
	ds_read_b128 v[5:8], v70 offset:1632
	s_waitcnt vmcnt(57) lgkmcnt(1)
	v_mul_f64 v[127:128], v[9:10], v[21:22]
	v_mul_f64 v[21:22], v[11:12], v[21:22]
	s_waitcnt vmcnt(56)
	v_fma_f64 v[95:96], v[1:2], v[113:114], -v[95:96]
	v_fma_f64 v[53:54], v[3:4], v[113:114], v[53:54]
	v_add_f64 v[15:16], v[15:16], v[57:58]
	v_add_f64 v[13:14], v[13:14], v[55:56]
	s_clause 0x2
	buffer_load_dword v64, off, s[0:3], 0 offset:924
	buffer_load_dword v56, off, s[0:3], 0 offset:900
	;; [unrolled: 1-line block ×3, first 2 shown]
	ds_read_b128 v[1:4], v70 offset:1648
	s_waitcnt vmcnt(58) lgkmcnt(1)
	v_mul_f64 v[57:58], v[5:6], v[111:112]
	v_mul_f64 v[111:112], v[7:8], v[111:112]
	s_waitcnt vmcnt(56)
	v_fma_f64 v[21:22], v[9:10], v[27:28], -v[21:22]
	v_fma_f64 v[27:28], v[11:12], v[27:28], v[127:128]
	v_add_f64 v[15:16], v[15:16], v[95:96]
	v_add_f64 v[13:14], v[13:14], v[53:54]
	s_clause 0x4
	buffer_load_dword v54, off, s[0:3], 0 offset:940
	buffer_load_dword v95, off, s[0:3], 0 offset:952
	;; [unrolled: 1-line block ×5, first 2 shown]
	ds_read_b128 v[9:12], v70 offset:1664
	s_waitcnt vmcnt(57) lgkmcnt(1)
	v_mul_f64 v[127:128], v[1:2], v[33:34]
	v_mul_f64 v[33:34], v[3:4], v[33:34]
	s_waitcnt vmcnt(56)
	v_fma_f64 v[111:112], v[5:6], v[125:126], -v[111:112]
	v_add_f64 v[15:16], v[15:16], v[21:22]
	v_fma_f64 v[21:22], v[7:8], v[125:126], v[57:58]
	v_add_f64 v[13:14], v[13:14], v[27:28]
	s_clause 0x2
	buffer_load_dword v96, off, s[0:3], 0 offset:956
	buffer_load_dword v28, off, s[0:3], 0 offset:932
	;; [unrolled: 1-line block ×3, first 2 shown]
	ds_read_b128 v[5:8], v70 offset:1680
	s_waitcnt vmcnt(58) lgkmcnt(1)
	v_mul_f64 v[57:58], v[9:10], v[97:98]
	v_mul_f64 v[97:98], v[11:12], v[97:98]
	s_waitcnt vmcnt(56)
	v_fma_f64 v[33:34], v[1:2], v[25:26], -v[33:34]
	v_fma_f64 v[25:26], v[3:4], v[25:26], v[127:128]
	v_add_f64 v[15:16], v[15:16], v[111:112]
	v_add_f64 v[13:14], v[13:14], v[21:22]
	s_clause 0x2
	buffer_load_dword v22, off, s[0:3], 0 offset:972
	buffer_load_dword v21, off, s[0:3], 0 offset:968
	;; [unrolled: 1-line block ×3, first 2 shown]
	ds_read_b128 v[1:4], v70 offset:1696
	s_waitcnt vmcnt(55) lgkmcnt(1)
	v_mul_f64 v[111:112], v[5:6], v[19:20]
	v_mul_f64 v[19:20], v[7:8], v[19:20]
	s_waitcnt vmcnt(54)
	v_fma_f64 v[97:98], v[9:10], v[123:124], -v[97:98]
	v_add_f64 v[15:16], v[15:16], v[33:34]
	v_fma_f64 v[33:34], v[11:12], v[123:124], v[57:58]
	v_add_f64 v[13:14], v[13:14], v[25:26]
	s_clause 0x1
	buffer_load_dword v26, off, s[0:3], 0 offset:964
	buffer_load_dword v25, off, s[0:3], 0 offset:960
	ds_read_b128 v[9:12], v70 offset:1712
	s_waitcnt vmcnt(55) lgkmcnt(1)
	v_mul_f64 v[57:58], v[1:2], v[37:38]
	v_mul_f64 v[37:38], v[3:4], v[37:38]
	s_waitcnt vmcnt(53)
	v_fma_f64 v[19:20], v[5:6], v[31:32], -v[19:20]
	v_fma_f64 v[31:32], v[7:8], v[31:32], v[111:112]
	ds_read_b128 v[5:8], v70 offset:1728
	v_add_f64 v[15:16], v[15:16], v[97:98]
	v_add_f64 v[13:14], v[13:14], v[33:34]
	s_waitcnt vmcnt(49) lgkmcnt(1)
	v_mul_f64 v[33:34], v[9:10], v[23:24]
	v_mul_f64 v[23:24], v[11:12], v[23:24]
	s_waitcnt vmcnt(48)
	v_fma_f64 v[37:38], v[1:2], v[115:116], -v[37:38]
	v_add_f64 v[15:16], v[15:16], v[19:20]
	v_fma_f64 v[19:20], v[3:4], v[115:116], v[57:58]
	v_add_f64 v[13:14], v[13:14], v[31:32]
	s_clause 0x3
	buffer_load_dword v31, off, s[0:3], 0 offset:96
	buffer_load_dword v32, off, s[0:3], 0 offset:100
	;; [unrolled: 1-line block ×4, first 2 shown]
	ds_read_b128 v[1:4], v70 offset:1744
	s_waitcnt vmcnt(51) lgkmcnt(1)
	v_mul_f64 v[97:98], v[5:6], v[45:46]
	v_mul_f64 v[45:46], v[7:8], v[45:46]
	s_waitcnt vmcnt(49)
	v_fma_f64 v[23:24], v[9:10], v[41:42], -v[23:24]
	v_fma_f64 v[33:34], v[11:12], v[41:42], v[33:34]
	ds_read_b128 v[9:12], v70 offset:1760
	v_add_f64 v[15:16], v[15:16], v[37:38]
	v_add_f64 v[13:14], v[13:14], v[19:20]
	s_waitcnt vmcnt(45) lgkmcnt(1)
	v_mul_f64 v[19:20], v[1:2], v[29:30]
	v_mul_f64 v[29:30], v[3:4], v[29:30]
	s_waitcnt vmcnt(44)
	v_fma_f64 v[37:38], v[5:6], v[99:100], -v[45:46]
	v_add_f64 v[15:16], v[15:16], v[23:24]
	v_fma_f64 v[23:24], v[7:8], v[99:100], v[97:98]
	v_add_f64 v[13:14], v[13:14], v[33:34]
	ds_read_b128 v[5:8], v70 offset:1776
	s_waitcnt vmcnt(43) lgkmcnt(1)
	v_mul_f64 v[41:42], v[11:12], v[51:52]
	v_mul_f64 v[33:34], v[9:10], v[51:52]
	s_waitcnt vmcnt(41)
	v_fma_f64 v[29:30], v[1:2], v[39:40], -v[29:30]
	v_fma_f64 v[19:20], v[3:4], v[39:40], v[19:20]
	ds_read_b128 v[1:4], v70 offset:1792
	v_add_f64 v[15:16], v[15:16], v[37:38]
	v_add_f64 v[13:14], v[13:14], v[23:24]
	s_waitcnt vmcnt(37) lgkmcnt(1)
	v_mul_f64 v[23:24], v[5:6], v[35:36]
	v_mul_f64 v[35:36], v[7:8], v[35:36]
	s_waitcnt vmcnt(36)
	v_fma_f64 v[37:38], v[9:10], v[93:94], -v[41:42]
	v_add_f64 v[15:16], v[15:16], v[29:30]
	v_fma_f64 v[29:30], v[11:12], v[93:94], v[33:34]
	v_add_f64 v[13:14], v[13:14], v[19:20]
	ds_read_b128 v[9:12], v70 offset:1808
	s_waitcnt vmcnt(35) lgkmcnt(1)
	v_mul_f64 v[33:34], v[3:4], v[59:60]
	v_mul_f64 v[19:20], v[1:2], v[59:60]
	s_waitcnt vmcnt(33)
	v_fma_f64 v[35:36], v[5:6], v[47:48], -v[35:36]
	v_fma_f64 v[23:24], v[7:8], v[47:48], v[23:24]
	ds_read_b128 v[5:8], v70 offset:1824
	v_add_f64 v[15:16], v[15:16], v[37:38]
	v_add_f64 v[13:14], v[13:14], v[29:30]
	s_waitcnt vmcnt(29) lgkmcnt(1)
	v_mul_f64 v[37:38], v[11:12], v[43:44]
	s_waitcnt vmcnt(28)
	v_fma_f64 v[33:34], v[1:2], v[65:66], -v[33:34]
	v_mul_f64 v[29:30], v[9:10], v[43:44]
	v_fma_f64 v[19:20], v[3:4], v[65:66], v[19:20]
	ds_read_b128 v[1:4], v70 offset:1840
	v_add_f64 v[15:16], v[15:16], v[35:36]
	v_add_f64 v[13:14], v[13:14], v[23:24]
	s_waitcnt vmcnt(27) lgkmcnt(1)
	v_mul_f64 v[35:36], v[7:8], v[61:62]
	v_mul_f64 v[23:24], v[5:6], v[61:62]
	s_waitcnt vmcnt(25)
	v_fma_f64 v[37:38], v[9:10], v[17:18], -v[37:38]
	v_fma_f64 v[17:18], v[11:12], v[17:18], v[29:30]
	ds_read_b128 v[9:12], v70 offset:1856
	v_add_f64 v[15:16], v[15:16], v[33:34]
	v_add_f64 v[13:14], v[13:14], v[19:20]
	s_waitcnt vmcnt(21) lgkmcnt(1)
	v_mul_f64 v[29:30], v[3:4], v[49:50]
	s_waitcnt vmcnt(20)
	v_fma_f64 v[33:34], v[5:6], v[67:68], -v[35:36]
	v_mul_f64 v[19:20], v[1:2], v[49:50]
	v_fma_f64 v[23:24], v[7:8], v[67:68], v[23:24]
	ds_read_b128 v[5:8], v70 offset:1872
	v_add_f64 v[15:16], v[15:16], v[37:38]
	v_add_f64 v[13:14], v[13:14], v[17:18]
	s_waitcnt vmcnt(19) lgkmcnt(1)
	v_mul_f64 v[35:36], v[11:12], v[63:64]
	v_mul_f64 v[17:18], v[9:10], v[63:64]
	s_waitcnt vmcnt(17)
	v_fma_f64 v[29:30], v[1:2], v[55:56], -v[29:30]
	v_fma_f64 v[19:20], v[3:4], v[55:56], v[19:20]
	ds_read_b128 v[1:4], v70 offset:1888
	v_add_f64 v[15:16], v[15:16], v[33:34]
	v_add_f64 v[13:14], v[13:14], v[23:24]
	s_waitcnt vmcnt(13) lgkmcnt(1)
	v_mul_f64 v[33:34], v[7:8], v[53:54]
	s_waitcnt vmcnt(12)
	v_fma_f64 v[35:36], v[9:10], v[109:110], -v[35:36]
	v_mul_f64 v[23:24], v[5:6], v[53:54]
	v_fma_f64 v[17:18], v[11:12], v[109:110], v[17:18]
	ds_read_b128 v[9:12], v70 offset:1904
	v_add_f64 v[15:16], v[15:16], v[29:30]
	v_add_f64 v[13:14], v[13:14], v[19:20]
	s_waitcnt vmcnt(11) lgkmcnt(1)
	v_mul_f64 v[29:30], v[3:4], v[95:96]
	v_mul_f64 v[19:20], v[1:2], v[95:96]
	s_waitcnt vmcnt(9)
	v_fma_f64 v[5:6], v[5:6], v[27:28], -v[33:34]
	v_fma_f64 v[7:8], v[7:8], v[27:28], v[23:24]
	v_add_f64 v[15:16], v[15:16], v[35:36]
	v_add_f64 v[13:14], v[13:14], v[17:18]
	s_waitcnt vmcnt(7) lgkmcnt(0)
	v_mul_f64 v[17:18], v[9:10], v[21:22]
	v_mul_f64 v[21:22], v[11:12], v[21:22]
	s_waitcnt vmcnt(6)
	v_fma_f64 v[1:2], v[1:2], v[113:114], -v[29:30]
	v_fma_f64 v[3:4], v[3:4], v[113:114], v[19:20]
	v_add_f64 v[5:6], v[15:16], v[5:6]
	v_add_f64 v[7:8], v[13:14], v[7:8]
	s_waitcnt vmcnt(4)
	v_fma_f64 v[9:10], v[9:10], v[25:26], -v[21:22]
	v_add_f64 v[1:2], v[5:6], v[1:2]
	v_fma_f64 v[5:6], v[11:12], v[25:26], v[17:18]
	v_add_f64 v[3:4], v[7:8], v[3:4]
	v_add_f64 v[1:2], v[1:2], v[9:10]
	;; [unrolled: 1-line block ×3, first 2 shown]
	s_waitcnt vmcnt(2)
	v_add_f64 v[1:2], v[31:32], -v[1:2]
	s_waitcnt vmcnt(0)
	v_add_f64 v[3:4], v[57:58], -v[3:4]
	buffer_store_dword v2, off, s[0:3], 0 offset:100
	buffer_store_dword v1, off, s[0:3], 0 offset:96
	;; [unrolled: 1-line block ×4, first 2 shown]
	v_cmpx_lt_u32_e32 4, v0
	s_cbranch_execz .LBB59_365
; %bb.364:
	v_mov_b32_e32 v4, s67
	v_mov_b32_e32 v5, 0
	s_clause 0x3
	buffer_load_dword v1, v4, s[0:3], 0 offen
	buffer_load_dword v2, v4, s[0:3], 0 offen offset:4
	buffer_load_dword v3, v4, s[0:3], 0 offen offset:8
	;; [unrolled: 1-line block ×3, first 2 shown]
	buffer_store_dword v5, off, s[0:3], 0 offset:80
	buffer_store_dword v5, off, s[0:3], 0 offset:84
	;; [unrolled: 1-line block ×4, first 2 shown]
	s_waitcnt vmcnt(0)
	ds_write_b128 v69, v[1:4]
.LBB59_365:
	s_or_b32 exec_lo, exec_lo, s4
	s_waitcnt lgkmcnt(0)
	s_waitcnt_vscnt null, 0x0
	s_barrier
	buffer_gl0_inv
	s_clause 0x37
	buffer_load_dword v17, off, s[0:3], 0 offset:104
	buffer_load_dword v18, off, s[0:3], 0 offset:108
	;; [unrolled: 1-line block ×56, first 2 shown]
	v_mov_b32_e32 v70, 0
	s_mov_b32 s4, exec_lo
	ds_read_b128 v[5:8], v70 offset:1040
	s_clause 0x2
	buffer_load_dword v66, off, s[0:3], 0 offset:332
	buffer_load_dword v68, off, s[0:3], 0 offset:308
	buffer_load_dword v67, off, s[0:3], 0 offset:304
	ds_read_b128 v[1:4], v70 offset:1056
	s_clause 0x4
	buffer_load_dword v100, off, s[0:3], 0 offset:348
	buffer_load_dword v109, off, s[0:3], 0 offset:360
	;; [unrolled: 1-line block ×5, first 2 shown]
	ds_read_b128 v[93:96], v70 offset:1072
	s_waitcnt vmcnt(62) lgkmcnt(2)
	v_mul_f64 v[97:98], v[7:8], v[17:18]
	v_mul_f64 v[17:18], v[5:6], v[17:18]
	s_waitcnt vmcnt(60) lgkmcnt(1)
	v_mul_f64 v[112:113], v[3:4], v[13:14]
	v_mul_f64 v[13:14], v[1:2], v[13:14]
	;; [unrolled: 3-line block ×3, first 2 shown]
	v_fma_f64 v[97:98], v[5:6], v[15:16], -v[97:98]
	v_fma_f64 v[15:16], v[7:8], v[15:16], v[17:18]
	s_clause 0x2
	buffer_load_dword v110, off, s[0:3], 0 offset:364
	buffer_load_dword v18, off, s[0:3], 0 offset:340
	;; [unrolled: 1-line block ×3, first 2 shown]
	s_waitcnt vmcnt(57)
	v_fma_f64 v[123:124], v[1:2], v[9:10], -v[112:113]
	ds_read_b128 v[5:8], v70 offset:1088
	v_fma_f64 v[9:10], v[3:4], v[9:10], v[13:14]
	s_waitcnt vmcnt(51)
	v_fma_f64 v[93:94], v[93:94], v[33:34], -v[11:12]
	v_fma_f64 v[33:34], v[95:96], v[33:34], v[114:115]
	v_add_f64 v[97:98], v[97:98], 0
	v_add_f64 v[13:14], v[15:16], 0
	s_clause 0x4
	buffer_load_dword v16, off, s[0:3], 0 offset:380
	buffer_load_dword v113, off, s[0:3], 0 offset:392
	;; [unrolled: 1-line block ×5, first 2 shown]
	s_waitcnt lgkmcnt(0)
	v_mul_f64 v[126:127], v[5:6], v[21:22]
	v_mul_f64 v[21:22], v[7:8], v[21:22]
	ds_read_b128 v[1:4], v70 offset:1104
	s_clause 0x2
	buffer_load_dword v114, off, s[0:3], 0 offset:396
	buffer_load_dword v96, off, s[0:3], 0 offset:372
	;; [unrolled: 1-line block ×3, first 2 shown]
	v_add_f64 v[97:98], v[97:98], v[123:124]
	v_add_f64 v[13:14], v[13:14], v[9:10]
	ds_read_b128 v[9:12], v70 offset:1120
	s_waitcnt vmcnt(58) lgkmcnt(1)
	v_mul_f64 v[115:116], v[1:2], v[25:26]
	v_mul_f64 v[25:26], v[3:4], v[25:26]
	s_waitcnt vmcnt(56)
	v_fma_f64 v[21:22], v[5:6], v[27:28], -v[21:22]
	v_fma_f64 v[27:28], v[7:8], v[27:28], v[126:127]
	s_waitcnt vmcnt(52) lgkmcnt(0)
	v_mul_f64 v[127:128], v[9:10], v[29:30]
	v_add_f64 v[93:94], v[97:98], v[93:94]
	v_add_f64 v[13:14], v[13:14], v[33:34]
	s_clause 0x4
	buffer_load_dword v34, off, s[0:3], 0 offset:412
	buffer_load_dword v97, off, s[0:3], 0 offset:424
	buffer_load_dword v123, off, s[0:3], 0 offset:416
	buffer_load_dword v33, off, s[0:3], 0 offset:408
	buffer_load_dword v126, off, s[0:3], 0 offset:388
	v_mul_f64 v[29:30], v[11:12], v[29:30]
	s_waitcnt vmcnt(56)
	v_fma_f64 v[25:26], v[1:2], v[19:20], -v[25:26]
	ds_read_b128 v[5:8], v70 offset:1136
	v_fma_f64 v[19:20], v[3:4], v[19:20], v[115:116]
	v_add_f64 v[21:22], v[93:94], v[21:22]
	v_add_f64 v[13:14], v[13:14], v[27:28]
	s_clause 0x2
	buffer_load_dword v98, off, s[0:3], 0 offset:428
	buffer_load_dword v28, off, s[0:3], 0 offset:404
	;; [unrolled: 1-line block ×3, first 2 shown]
	s_waitcnt vmcnt(58) lgkmcnt(0)
	v_mul_f64 v[93:94], v[5:6], v[35:36]
	v_mul_f64 v[35:36], v[7:8], v[35:36]
	s_waitcnt vmcnt(56)
	v_fma_f64 v[29:30], v[9:10], v[37:38], -v[29:30]
	ds_read_b128 v[1:4], v70 offset:1152
	v_add_f64 v[21:22], v[21:22], v[25:26]
	v_fma_f64 v[25:26], v[11:12], v[37:38], v[127:128]
	v_add_f64 v[13:14], v[13:14], v[19:20]
	s_clause 0x4
	buffer_load_dword v20, off, s[0:3], 0 offset:444
	buffer_load_dword v37, off, s[0:3], 0 offset:456
	;; [unrolled: 1-line block ×5, first 2 shown]
	s_waitcnt vmcnt(57) lgkmcnt(0)
	v_mul_f64 v[127:128], v[1:2], v[39:40]
	v_mul_f64 v[39:40], v[3:4], v[39:40]
	s_waitcnt vmcnt(56)
	v_fma_f64 v[35:36], v[5:6], v[23:24], -v[35:36]
	ds_read_b128 v[9:12], v70 offset:1168
	v_fma_f64 v[23:24], v[7:8], v[23:24], v[93:94]
	v_add_f64 v[21:22], v[21:22], v[29:30]
	v_add_f64 v[13:14], v[13:14], v[25:26]
	s_clause 0x2
	buffer_load_dword v38, off, s[0:3], 0 offset:460
	buffer_load_dword v26, off, s[0:3], 0 offset:436
	;; [unrolled: 1-line block ×3, first 2 shown]
	ds_read_b128 v[5:8], v70 offset:1184
	s_waitcnt vmcnt(58) lgkmcnt(1)
	v_mul_f64 v[29:30], v[9:10], v[43:44]
	v_mul_f64 v[43:44], v[11:12], v[43:44]
	s_waitcnt vmcnt(56)
	v_fma_f64 v[39:40], v[1:2], v[45:46], -v[39:40]
	v_add_f64 v[21:22], v[21:22], v[35:36]
	v_fma_f64 v[35:36], v[3:4], v[45:46], v[127:128]
	v_add_f64 v[13:14], v[13:14], v[23:24]
	s_clause 0x4
	buffer_load_dword v24, off, s[0:3], 0 offset:476
	buffer_load_dword v45, off, s[0:3], 0 offset:488
	;; [unrolled: 1-line block ×5, first 2 shown]
	s_waitcnt vmcnt(57) lgkmcnt(0)
	v_mul_f64 v[127:128], v[5:6], v[47:48]
	v_mul_f64 v[47:48], v[7:8], v[47:48]
	s_waitcnt vmcnt(56)
	v_fma_f64 v[43:44], v[9:10], v[31:32], -v[43:44]
	ds_read_b128 v[1:4], v70 offset:1200
	v_fma_f64 v[29:30], v[11:12], v[31:32], v[29:30]
	s_clause 0x2
	buffer_load_dword v46, off, s[0:3], 0 offset:492
	buffer_load_dword v32, off, s[0:3], 0 offset:468
	;; [unrolled: 1-line block ×3, first 2 shown]
	ds_read_b128 v[9:12], v70 offset:1216
	v_add_f64 v[21:22], v[21:22], v[39:40]
	v_add_f64 v[13:14], v[13:14], v[35:36]
	s_waitcnt vmcnt(58) lgkmcnt(1)
	v_mul_f64 v[39:40], v[3:4], v[51:52]
	s_waitcnt vmcnt(56)
	v_fma_f64 v[47:48], v[5:6], v[53:54], -v[47:48]
	v_mul_f64 v[35:36], v[1:2], v[51:52]
	v_add_f64 v[21:22], v[21:22], v[43:44]
	v_fma_f64 v[43:44], v[7:8], v[53:54], v[127:128]
	v_add_f64 v[13:14], v[13:14], v[29:30]
	s_clause 0x4
	buffer_load_dword v30, off, s[0:3], 0 offset:508
	buffer_load_dword v51, off, s[0:3], 0 offset:520
	buffer_load_dword v53, off, s[0:3], 0 offset:512
	buffer_load_dword v29, off, s[0:3], 0 offset:504
	buffer_load_dword v94, off, s[0:3], 0 offset:484
	s_waitcnt vmcnt(57) lgkmcnt(0)
	v_mul_f64 v[127:128], v[9:10], v[55:56]
	v_mul_f64 v[54:55], v[11:12], v[55:56]
	s_waitcnt vmcnt(56)
	v_fma_f64 v[39:40], v[1:2], v[41:42], -v[39:40]
	ds_read_b128 v[5:8], v70 offset:1232
	v_fma_f64 v[35:36], v[3:4], v[41:42], v[35:36]
	s_clause 0x2
	buffer_load_dword v52, off, s[0:3], 0 offset:524
	buffer_load_dword v42, off, s[0:3], 0 offset:500
	;; [unrolled: 1-line block ×3, first 2 shown]
	ds_read_b128 v[1:4], v70 offset:1248
	v_add_f64 v[21:22], v[21:22], v[47:48]
	v_add_f64 v[13:14], v[13:14], v[43:44]
	s_waitcnt vmcnt(58) lgkmcnt(1)
	v_mul_f64 v[47:48], v[7:8], v[59:60]
	s_waitcnt vmcnt(56)
	v_fma_f64 v[55:56], v[9:10], v[61:62], -v[54:55]
	v_mul_f64 v[43:44], v[5:6], v[59:60]
	v_add_f64 v[21:22], v[21:22], v[39:40]
	v_fma_f64 v[39:40], v[11:12], v[61:62], v[127:128]
	v_add_f64 v[13:14], v[13:14], v[35:36]
	s_clause 0x4
	buffer_load_dword v36, off, s[0:3], 0 offset:540
	buffer_load_dword v59, off, s[0:3], 0 offset:552
	buffer_load_dword v61, off, s[0:3], 0 offset:544
	buffer_load_dword v35, off, s[0:3], 0 offset:536
	buffer_load_dword v54, off, s[0:3], 0 offset:516
	s_waitcnt vmcnt(57) lgkmcnt(0)
	v_mul_f64 v[127:128], v[1:2], v[63:64]
	v_mul_f64 v[62:63], v[3:4], v[63:64]
	s_waitcnt vmcnt(56)
	v_fma_f64 v[47:48], v[5:6], v[49:50], -v[47:48]
	ds_read_b128 v[9:12], v70 offset:1264
	v_fma_f64 v[43:44], v[7:8], v[49:50], v[43:44]
	v_add_f64 v[21:22], v[21:22], v[55:56]
	v_add_f64 v[13:14], v[13:14], v[39:40]
	s_clause 0x2
	buffer_load_dword v60, off, s[0:3], 0 offset:556
	buffer_load_dword v40, off, s[0:3], 0 offset:532
	;; [unrolled: 1-line block ×3, first 2 shown]
	ds_read_b128 v[5:8], v70 offset:1280
	s_waitcnt vmcnt(58) lgkmcnt(1)
	v_mul_f64 v[55:56], v[11:12], v[65:66]
	s_waitcnt vmcnt(56)
	v_fma_f64 v[63:64], v[1:2], v[67:68], -v[62:63]
	v_mul_f64 v[49:50], v[9:10], v[65:66]
	v_add_f64 v[21:22], v[21:22], v[47:48]
	v_fma_f64 v[47:48], v[3:4], v[67:68], v[127:128]
	v_add_f64 v[13:14], v[13:14], v[43:44]
	s_clause 0x4
	buffer_load_dword v44, off, s[0:3], 0 offset:572
	buffer_load_dword v65, off, s[0:3], 0 offset:584
	;; [unrolled: 1-line block ×5, first 2 shown]
	s_waitcnt vmcnt(57) lgkmcnt(0)
	v_mul_f64 v[127:128], v[5:6], v[99:100]
	v_mul_f64 v[99:100], v[7:8], v[99:100]
	s_waitcnt vmcnt(56)
	v_fma_f64 v[55:56], v[9:10], v[57:58], -v[55:56]
	ds_read_b128 v[1:4], v70 offset:1296
	v_fma_f64 v[49:50], v[11:12], v[57:58], v[49:50]
	v_add_f64 v[21:22], v[21:22], v[63:64]
	v_add_f64 v[13:14], v[13:14], v[47:48]
	s_clause 0x2
	buffer_load_dword v66, off, s[0:3], 0 offset:588
	buffer_load_dword v48, off, s[0:3], 0 offset:564
	;; [unrolled: 1-line block ×3, first 2 shown]
	ds_read_b128 v[9:12], v70 offset:1312
	s_waitcnt vmcnt(58) lgkmcnt(1)
	v_mul_f64 v[63:64], v[3:4], v[109:110]
	v_mul_f64 v[57:58], v[1:2], v[109:110]
	s_waitcnt vmcnt(56)
	v_fma_f64 v[99:100], v[5:6], v[17:18], -v[99:100]
	v_fma_f64 v[17:18], v[7:8], v[17:18], v[127:128]
	v_add_f64 v[21:22], v[21:22], v[55:56]
	v_add_f64 v[13:14], v[13:14], v[49:50]
	s_clause 0x4
	buffer_load_dword v50, off, s[0:3], 0 offset:604
	buffer_load_dword v55, off, s[0:3], 0 offset:616
	;; [unrolled: 1-line block ×5, first 2 shown]
	ds_read_b128 v[5:8], v70 offset:1328
	s_waitcnt vmcnt(57) lgkmcnt(1)
	v_mul_f64 v[127:128], v[9:10], v[15:16]
	v_mul_f64 v[15:16], v[11:12], v[15:16]
	s_waitcnt vmcnt(56)
	v_fma_f64 v[63:64], v[1:2], v[111:112], -v[63:64]
	v_fma_f64 v[57:58], v[3:4], v[111:112], v[57:58]
	v_add_f64 v[21:22], v[21:22], v[99:100]
	v_add_f64 v[13:14], v[13:14], v[17:18]
	s_clause 0x2
	buffer_load_dword v56, off, s[0:3], 0 offset:620
	buffer_load_dword v18, off, s[0:3], 0 offset:596
	;; [unrolled: 1-line block ×3, first 2 shown]
	s_waitcnt vmcnt(58) lgkmcnt(0)
	v_mul_f64 v[111:112], v[7:8], v[113:114]
	ds_read_b128 v[1:4], v70 offset:1344
	v_mul_f64 v[99:100], v[5:6], v[113:114]
	s_waitcnt vmcnt(56)
	v_fma_f64 v[15:16], v[9:10], v[95:96], -v[15:16]
	v_add_f64 v[21:22], v[21:22], v[63:64]
	v_fma_f64 v[63:64], v[11:12], v[95:96], v[127:128]
	v_add_f64 v[13:14], v[13:14], v[57:58]
	s_clause 0x4
	buffer_load_dword v58, off, s[0:3], 0 offset:636
	buffer_load_dword v95, off, s[0:3], 0 offset:648
	;; [unrolled: 1-line block ×5, first 2 shown]
	ds_read_b128 v[9:12], v70 offset:1360
	s_waitcnt vmcnt(57) lgkmcnt(1)
	v_mul_f64 v[127:128], v[1:2], v[33:34]
	v_mul_f64 v[33:34], v[3:4], v[33:34]
	s_waitcnt vmcnt(56)
	v_fma_f64 v[111:112], v[5:6], v[125:126], -v[111:112]
	v_add_f64 v[15:16], v[21:22], v[15:16]
	v_fma_f64 v[21:22], v[7:8], v[125:126], v[99:100]
	v_add_f64 v[13:14], v[13:14], v[63:64]
	s_clause 0x2
	buffer_load_dword v96, off, s[0:3], 0 offset:652
	buffer_load_dword v64, off, s[0:3], 0 offset:628
	buffer_load_dword v63, off, s[0:3], 0 offset:624
	ds_read_b128 v[5:8], v70 offset:1376
	s_waitcnt vmcnt(58) lgkmcnt(1)
	v_mul_f64 v[99:100], v[9:10], v[97:98]
	v_mul_f64 v[97:98], v[11:12], v[97:98]
	s_waitcnt vmcnt(56)
	v_fma_f64 v[33:34], v[1:2], v[27:28], -v[33:34]
	v_fma_f64 v[27:28], v[3:4], v[27:28], v[127:128]
	v_add_f64 v[15:16], v[15:16], v[111:112]
	v_add_f64 v[13:14], v[13:14], v[21:22]
	s_clause 0x4
	buffer_load_dword v22, off, s[0:3], 0 offset:668
	buffer_load_dword v111, off, s[0:3], 0 offset:680
	;; [unrolled: 1-line block ×5, first 2 shown]
	ds_read_b128 v[1:4], v70 offset:1392
	s_waitcnt vmcnt(57) lgkmcnt(1)
	v_mul_f64 v[126:127], v[5:6], v[19:20]
	v_mul_f64 v[19:20], v[7:8], v[19:20]
	s_waitcnt vmcnt(56)
	v_fma_f64 v[97:98], v[9:10], v[123:124], -v[97:98]
	v_add_f64 v[15:16], v[15:16], v[33:34]
	v_fma_f64 v[33:34], v[11:12], v[123:124], v[99:100]
	v_add_f64 v[13:14], v[13:14], v[27:28]
	s_clause 0x2
	buffer_load_dword v112, off, s[0:3], 0 offset:684
	buffer_load_dword v28, off, s[0:3], 0 offset:660
	;; [unrolled: 1-line block ×3, first 2 shown]
	ds_read_b128 v[9:12], v70 offset:1408
	s_waitcnt vmcnt(58) lgkmcnt(1)
	v_mul_f64 v[99:100], v[1:2], v[37:38]
	v_mul_f64 v[37:38], v[3:4], v[37:38]
	s_waitcnt vmcnt(56)
	v_fma_f64 v[19:20], v[5:6], v[25:26], -v[19:20]
	v_fma_f64 v[25:26], v[7:8], v[25:26], v[126:127]
	v_add_f64 v[15:16], v[15:16], v[97:98]
	v_add_f64 v[13:14], v[13:14], v[33:34]
	s_clause 0x4
	buffer_load_dword v34, off, s[0:3], 0 offset:700
	buffer_load_dword v97, off, s[0:3], 0 offset:712
	;; [unrolled: 1-line block ×5, first 2 shown]
	ds_read_b128 v[5:8], v70 offset:1424
	s_waitcnt vmcnt(57) lgkmcnt(1)
	v_mul_f64 v[127:128], v[9:10], v[23:24]
	v_mul_f64 v[23:24], v[11:12], v[23:24]
	s_waitcnt vmcnt(56)
	v_fma_f64 v[37:38], v[1:2], v[115:116], -v[37:38]
	v_add_f64 v[15:16], v[15:16], v[19:20]
	v_fma_f64 v[19:20], v[3:4], v[115:116], v[99:100]
	v_add_f64 v[13:14], v[13:14], v[25:26]
	s_clause 0x2
	buffer_load_dword v98, off, s[0:3], 0 offset:716
	buffer_load_dword v26, off, s[0:3], 0 offset:692
	;; [unrolled: 1-line block ×3, first 2 shown]
	s_waitcnt vmcnt(58) lgkmcnt(0)
	v_mul_f64 v[99:100], v[5:6], v[45:46]
	v_mul_f64 v[45:46], v[7:8], v[45:46]
	ds_read_b128 v[1:4], v70 offset:1440
	s_waitcnt vmcnt(56)
	v_fma_f64 v[23:24], v[9:10], v[31:32], -v[23:24]
	v_fma_f64 v[31:32], v[11:12], v[31:32], v[127:128]
	v_add_f64 v[15:16], v[15:16], v[37:38]
	v_add_f64 v[13:14], v[13:14], v[19:20]
	s_clause 0x4
	buffer_load_dword v20, off, s[0:3], 0 offset:732
	buffer_load_dword v37, off, s[0:3], 0 offset:744
	;; [unrolled: 1-line block ×5, first 2 shown]
	ds_read_b128 v[9:12], v70 offset:1456
	s_waitcnt vmcnt(57) lgkmcnt(1)
	v_mul_f64 v[127:128], v[1:2], v[29:30]
	v_mul_f64 v[29:30], v[3:4], v[29:30]
	s_waitcnt vmcnt(56)
	v_fma_f64 v[45:46], v[5:6], v[93:94], -v[45:46]
	v_add_f64 v[15:16], v[15:16], v[23:24]
	v_fma_f64 v[23:24], v[7:8], v[93:94], v[99:100]
	v_add_f64 v[13:14], v[13:14], v[31:32]
	s_clause 0x2
	buffer_load_dword v38, off, s[0:3], 0 offset:748
	buffer_load_dword v32, off, s[0:3], 0 offset:724
	buffer_load_dword v31, off, s[0:3], 0 offset:720
	s_waitcnt vmcnt(58) lgkmcnt(0)
	v_mul_f64 v[93:94], v[9:10], v[51:52]
	v_mul_f64 v[51:52], v[11:12], v[51:52]
	ds_read_b128 v[5:8], v70 offset:1472
	s_waitcnt vmcnt(56)
	v_fma_f64 v[29:30], v[1:2], v[41:42], -v[29:30]
	v_fma_f64 v[41:42], v[3:4], v[41:42], v[127:128]
	v_add_f64 v[15:16], v[15:16], v[45:46]
	v_add_f64 v[13:14], v[13:14], v[23:24]
	s_clause 0x4
	buffer_load_dword v24, off, s[0:3], 0 offset:764
	buffer_load_dword v45, off, s[0:3], 0 offset:776
	buffer_load_dword v99, off, s[0:3], 0 offset:768
	buffer_load_dword v23, off, s[0:3], 0 offset:760
	buffer_load_dword v116, off, s[0:3], 0 offset:740
	ds_read_b128 v[1:4], v70 offset:1488
	s_waitcnt vmcnt(57) lgkmcnt(1)
	v_mul_f64 v[127:128], v[5:6], v[35:36]
	v_mul_f64 v[35:36], v[7:8], v[35:36]
	s_waitcnt vmcnt(56)
	v_fma_f64 v[51:52], v[9:10], v[53:54], -v[51:52]
	v_add_f64 v[15:16], v[15:16], v[29:30]
	v_fma_f64 v[29:30], v[11:12], v[53:54], v[93:94]
	v_add_f64 v[13:14], v[13:14], v[41:42]
	s_clause 0x2
	buffer_load_dword v46, off, s[0:3], 0 offset:780
	buffer_load_dword v42, off, s[0:3], 0 offset:756
	buffer_load_dword v41, off, s[0:3], 0 offset:752
	ds_read_b128 v[9:12], v70 offset:1504
	s_waitcnt vmcnt(58) lgkmcnt(1)
	v_mul_f64 v[53:54], v[1:2], v[59:60]
	v_mul_f64 v[59:60], v[3:4], v[59:60]
	s_waitcnt vmcnt(56)
	v_fma_f64 v[35:36], v[5:6], v[39:40], -v[35:36]
	v_fma_f64 v[39:40], v[7:8], v[39:40], v[127:128]
	v_add_f64 v[15:16], v[15:16], v[51:52]
	v_add_f64 v[13:14], v[13:14], v[29:30]
	s_clause 0x4
	buffer_load_dword v30, off, s[0:3], 0 offset:796
	buffer_load_dword v51, off, s[0:3], 0 offset:808
	buffer_load_dword v93, off, s[0:3], 0 offset:800
	buffer_load_dword v29, off, s[0:3], 0 offset:792
	buffer_load_dword v100, off, s[0:3], 0 offset:772
	ds_read_b128 v[5:8], v70 offset:1520
	s_waitcnt vmcnt(57) lgkmcnt(1)
	v_mul_f64 v[127:128], v[9:10], v[43:44]
	v_mul_f64 v[43:44], v[11:12], v[43:44]
	s_waitcnt vmcnt(56)
	v_fma_f64 v[59:60], v[1:2], v[61:62], -v[59:60]
	v_add_f64 v[15:16], v[15:16], v[35:36]
	v_fma_f64 v[35:36], v[3:4], v[61:62], v[53:54]
	v_add_f64 v[13:14], v[13:14], v[39:40]
	s_clause 0x2
	buffer_load_dword v52, off, s[0:3], 0 offset:812
	buffer_load_dword v40, off, s[0:3], 0 offset:788
	buffer_load_dword v39, off, s[0:3], 0 offset:784
	ds_read_b128 v[1:4], v70 offset:1536
	s_waitcnt vmcnt(58) lgkmcnt(1)
	v_mul_f64 v[61:62], v[7:8], v[65:66]
	v_mul_f64 v[53:54], v[5:6], v[65:66]
	;; [unrolled: 28-line block ×4, first 2 shown]
	s_waitcnt vmcnt(56)
	v_fma_f64 v[57:58], v[5:6], v[63:64], -v[57:58]
	v_add_f64 v[15:16], v[15:16], v[55:56]
	v_fma_f64 v[55:56], v[7:8], v[63:64], v[127:128]
	v_add_f64 v[13:14], v[13:14], v[49:50]
	s_clause 0x4
	buffer_load_dword v50, off, s[0:3], 0 offset:892
	buffer_load_dword v63, off, s[0:3], 0 offset:904
	;; [unrolled: 1-line block ×5, first 2 shown]
	ds_read_b128 v[5:8], v70 offset:1616
	s_waitcnt vmcnt(57) lgkmcnt(1)
	v_mul_f64 v[127:128], v[9:10], v[21:22]
	v_mul_f64 v[21:22], v[11:12], v[21:22]
	s_waitcnt vmcnt(56)
	v_fma_f64 v[95:96], v[1:2], v[113:114], -v[95:96]
	v_fma_f64 v[53:54], v[3:4], v[113:114], v[53:54]
	v_add_f64 v[15:16], v[15:16], v[57:58]
	v_add_f64 v[13:14], v[13:14], v[55:56]
	s_clause 0x2
	buffer_load_dword v64, off, s[0:3], 0 offset:908
	buffer_load_dword v56, off, s[0:3], 0 offset:884
	;; [unrolled: 1-line block ×3, first 2 shown]
	ds_read_b128 v[1:4], v70 offset:1632
	s_waitcnt vmcnt(58) lgkmcnt(1)
	v_mul_f64 v[57:58], v[5:6], v[111:112]
	v_mul_f64 v[111:112], v[7:8], v[111:112]
	s_waitcnt vmcnt(56)
	v_fma_f64 v[21:22], v[9:10], v[27:28], -v[21:22]
	v_fma_f64 v[27:28], v[11:12], v[27:28], v[127:128]
	v_add_f64 v[15:16], v[15:16], v[95:96]
	v_add_f64 v[13:14], v[13:14], v[53:54]
	s_clause 0x4
	buffer_load_dword v54, off, s[0:3], 0 offset:924
	buffer_load_dword v95, off, s[0:3], 0 offset:936
	;; [unrolled: 1-line block ×5, first 2 shown]
	ds_read_b128 v[9:12], v70 offset:1648
	s_waitcnt vmcnt(57) lgkmcnt(1)
	v_mul_f64 v[127:128], v[1:2], v[33:34]
	v_mul_f64 v[33:34], v[3:4], v[33:34]
	s_waitcnt vmcnt(56)
	v_fma_f64 v[111:112], v[5:6], v[125:126], -v[111:112]
	v_add_f64 v[15:16], v[15:16], v[21:22]
	v_fma_f64 v[21:22], v[7:8], v[125:126], v[57:58]
	v_add_f64 v[13:14], v[13:14], v[27:28]
	s_clause 0x2
	buffer_load_dword v96, off, s[0:3], 0 offset:940
	buffer_load_dword v28, off, s[0:3], 0 offset:916
	;; [unrolled: 1-line block ×3, first 2 shown]
	ds_read_b128 v[5:8], v70 offset:1664
	s_waitcnt vmcnt(58) lgkmcnt(1)
	v_mul_f64 v[57:58], v[9:10], v[97:98]
	v_mul_f64 v[97:98], v[11:12], v[97:98]
	s_waitcnt vmcnt(56)
	v_fma_f64 v[33:34], v[1:2], v[25:26], -v[33:34]
	v_fma_f64 v[25:26], v[3:4], v[25:26], v[127:128]
	v_add_f64 v[15:16], v[15:16], v[111:112]
	v_add_f64 v[13:14], v[13:14], v[21:22]
	s_clause 0x4
	buffer_load_dword v22, off, s[0:3], 0 offset:956
	buffer_load_dword v111, off, s[0:3], 0 offset:968
	;; [unrolled: 1-line block ×5, first 2 shown]
	ds_read_b128 v[1:4], v70 offset:1680
	s_waitcnt vmcnt(57) lgkmcnt(1)
	v_mul_f64 v[126:127], v[5:6], v[19:20]
	v_mul_f64 v[19:20], v[7:8], v[19:20]
	s_waitcnt vmcnt(56)
	v_fma_f64 v[97:98], v[9:10], v[123:124], -v[97:98]
	v_add_f64 v[15:16], v[15:16], v[33:34]
	v_fma_f64 v[33:34], v[11:12], v[123:124], v[57:58]
	v_add_f64 v[13:14], v[13:14], v[25:26]
	s_clause 0x2
	buffer_load_dword v112, off, s[0:3], 0 offset:972
	buffer_load_dword v26, off, s[0:3], 0 offset:948
	;; [unrolled: 1-line block ×3, first 2 shown]
	ds_read_b128 v[9:12], v70 offset:1696
	s_waitcnt vmcnt(58) lgkmcnt(1)
	v_mul_f64 v[57:58], v[1:2], v[37:38]
	v_mul_f64 v[37:38], v[3:4], v[37:38]
	s_waitcnt vmcnt(56)
	v_fma_f64 v[19:20], v[5:6], v[31:32], -v[19:20]
	v_fma_f64 v[31:32], v[7:8], v[31:32], v[126:127]
	buffer_load_dword v126, off, s[0:3], 0 offset:964
	ds_read_b128 v[5:8], v70 offset:1712
	v_add_f64 v[15:16], v[15:16], v[97:98]
	v_add_f64 v[13:14], v[13:14], v[33:34]
	s_waitcnt vmcnt(53) lgkmcnt(1)
	v_mul_f64 v[33:34], v[9:10], v[23:24]
	v_mul_f64 v[23:24], v[11:12], v[23:24]
	s_waitcnt vmcnt(52)
	v_fma_f64 v[37:38], v[1:2], v[115:116], -v[37:38]
	v_add_f64 v[15:16], v[15:16], v[19:20]
	v_fma_f64 v[19:20], v[3:4], v[115:116], v[57:58]
	v_add_f64 v[13:14], v[13:14], v[31:32]
	ds_read_b128 v[1:4], v70 offset:1728
	s_waitcnt vmcnt(51) lgkmcnt(1)
	v_mul_f64 v[31:32], v[5:6], v[45:46]
	v_mul_f64 v[45:46], v[7:8], v[45:46]
	s_waitcnt vmcnt(49)
	v_fma_f64 v[23:24], v[9:10], v[41:42], -v[23:24]
	v_fma_f64 v[33:34], v[11:12], v[41:42], v[33:34]
	v_add_f64 v[15:16], v[15:16], v[37:38]
	v_add_f64 v[13:14], v[13:14], v[19:20]
	s_clause 0x3
	buffer_load_dword v19, off, s[0:3], 0 offset:80
	buffer_load_dword v20, off, s[0:3], 0 offset:84
	;; [unrolled: 1-line block ×4, first 2 shown]
	ds_read_b128 v[9:12], v70 offset:1744
	s_waitcnt vmcnt(49) lgkmcnt(1)
	v_mul_f64 v[41:42], v[1:2], v[29:30]
	v_mul_f64 v[29:30], v[3:4], v[29:30]
	s_waitcnt vmcnt(48)
	v_fma_f64 v[45:46], v[5:6], v[99:100], -v[45:46]
	v_add_f64 v[15:16], v[15:16], v[23:24]
	v_fma_f64 v[23:24], v[7:8], v[99:100], v[31:32]
	v_add_f64 v[13:14], v[13:14], v[33:34]
	ds_read_b128 v[5:8], v70 offset:1760
	s_waitcnt vmcnt(47) lgkmcnt(1)
	v_mul_f64 v[33:34], v[11:12], v[51:52]
	v_mul_f64 v[31:32], v[9:10], v[51:52]
	s_waitcnt vmcnt(45)
	v_fma_f64 v[29:30], v[1:2], v[39:40], -v[29:30]
	v_fma_f64 v[39:40], v[3:4], v[39:40], v[41:42]
	ds_read_b128 v[1:4], v70 offset:1776
	v_add_f64 v[15:16], v[15:16], v[45:46]
	v_add_f64 v[13:14], v[13:14], v[23:24]
	s_waitcnt vmcnt(41) lgkmcnt(1)
	v_mul_f64 v[23:24], v[5:6], v[35:36]
	v_mul_f64 v[35:36], v[7:8], v[35:36]
	s_waitcnt vmcnt(40)
	v_fma_f64 v[33:34], v[9:10], v[93:94], -v[33:34]
	v_add_f64 v[15:16], v[15:16], v[29:30]
	v_fma_f64 v[29:30], v[11:12], v[93:94], v[31:32]
	v_add_f64 v[13:14], v[13:14], v[39:40]
	ds_read_b128 v[9:12], v70 offset:1792
	s_waitcnt vmcnt(39) lgkmcnt(1)
	v_mul_f64 v[39:40], v[3:4], v[59:60]
	v_mul_f64 v[31:32], v[1:2], v[59:60]
	s_waitcnt vmcnt(37)
	v_fma_f64 v[35:36], v[5:6], v[47:48], -v[35:36]
	v_fma_f64 v[23:24], v[7:8], v[47:48], v[23:24]
	ds_read_b128 v[5:8], v70 offset:1808
	v_add_f64 v[15:16], v[15:16], v[33:34]
	v_add_f64 v[13:14], v[13:14], v[29:30]
	s_waitcnt vmcnt(33) lgkmcnt(1)
	v_mul_f64 v[33:34], v[11:12], v[43:44]
	s_waitcnt vmcnt(32)
	v_fma_f64 v[39:40], v[1:2], v[65:66], -v[39:40]
	v_mul_f64 v[29:30], v[9:10], v[43:44]
	v_fma_f64 v[31:32], v[3:4], v[65:66], v[31:32]
	ds_read_b128 v[1:4], v70 offset:1824
	v_add_f64 v[15:16], v[15:16], v[35:36]
	v_add_f64 v[13:14], v[13:14], v[23:24]
	s_waitcnt vmcnt(31) lgkmcnt(1)
	v_mul_f64 v[35:36], v[7:8], v[61:62]
	v_mul_f64 v[23:24], v[5:6], v[61:62]
	s_waitcnt vmcnt(29)
	v_fma_f64 v[33:34], v[9:10], v[17:18], -v[33:34]
	v_fma_f64 v[17:18], v[11:12], v[17:18], v[29:30]
	ds_read_b128 v[9:12], v70 offset:1840
	v_add_f64 v[15:16], v[15:16], v[39:40]
	v_add_f64 v[13:14], v[13:14], v[31:32]
	s_waitcnt vmcnt(25) lgkmcnt(1)
	v_mul_f64 v[31:32], v[3:4], v[49:50]
	s_waitcnt vmcnt(24)
	v_fma_f64 v[35:36], v[5:6], v[67:68], -v[35:36]
	v_mul_f64 v[29:30], v[1:2], v[49:50]
	v_fma_f64 v[23:24], v[7:8], v[67:68], v[23:24]
	ds_read_b128 v[5:8], v70 offset:1856
	v_add_f64 v[15:16], v[15:16], v[33:34]
	v_add_f64 v[13:14], v[13:14], v[17:18]
	;; [unrolled: 18-line block ×3, first 2 shown]
	s_waitcnt vmcnt(15) lgkmcnt(1)
	v_mul_f64 v[31:32], v[3:4], v[95:96]
	v_mul_f64 v[29:30], v[1:2], v[95:96]
	s_waitcnt vmcnt(13)
	v_fma_f64 v[35:36], v[5:6], v[27:28], -v[35:36]
	v_fma_f64 v[23:24], v[7:8], v[27:28], v[23:24]
	ds_read_b128 v[5:8], v70 offset:1904
	v_add_f64 v[15:16], v[15:16], v[33:34]
	v_add_f64 v[13:14], v[13:14], v[17:18]
	s_waitcnt vmcnt(9) lgkmcnt(1)
	v_mul_f64 v[17:18], v[9:10], v[21:22]
	v_mul_f64 v[21:22], v[11:12], v[21:22]
	s_waitcnt vmcnt(8)
	v_fma_f64 v[1:2], v[1:2], v[113:114], -v[31:32]
	v_fma_f64 v[3:4], v[3:4], v[113:114], v[29:30]
	v_add_f64 v[15:16], v[15:16], v[35:36]
	v_add_f64 v[13:14], v[13:14], v[23:24]
	s_waitcnt vmcnt(7) lgkmcnt(0)
	v_mul_f64 v[27:28], v[7:8], v[111:112]
	v_mul_f64 v[23:24], v[5:6], v[111:112]
	s_waitcnt vmcnt(5)
	v_fma_f64 v[9:10], v[9:10], v[25:26], -v[21:22]
	v_fma_f64 v[11:12], v[11:12], v[25:26], v[17:18]
	v_add_f64 v[1:2], v[15:16], v[1:2]
	v_add_f64 v[3:4], v[13:14], v[3:4]
	s_waitcnt vmcnt(4)
	v_fma_f64 v[5:6], v[5:6], v[125:126], -v[27:28]
	v_fma_f64 v[7:8], v[7:8], v[125:126], v[23:24]
	v_add_f64 v[1:2], v[1:2], v[9:10]
	v_add_f64 v[3:4], v[3:4], v[11:12]
	v_add_f64 v[1:2], v[1:2], v[5:6]
	v_add_f64 v[3:4], v[3:4], v[7:8]
	s_waitcnt vmcnt(2)
	v_add_f64 v[1:2], v[19:20], -v[1:2]
	s_waitcnt vmcnt(0)
	v_add_f64 v[3:4], v[37:38], -v[3:4]
	buffer_store_dword v2, off, s[0:3], 0 offset:84
	buffer_store_dword v1, off, s[0:3], 0 offset:80
	;; [unrolled: 1-line block ×4, first 2 shown]
	v_cmpx_lt_u32_e32 3, v0
	s_cbranch_execz .LBB59_367
; %bb.366:
	v_mov_b32_e32 v4, s68
	s_clause 0x3
	buffer_load_dword v1, v4, s[0:3], 0 offen
	buffer_load_dword v2, v4, s[0:3], 0 offen offset:4
	buffer_load_dword v3, v4, s[0:3], 0 offen offset:8
	;; [unrolled: 1-line block ×3, first 2 shown]
	buffer_store_dword v70, off, s[0:3], 0 offset:64
	buffer_store_dword v70, off, s[0:3], 0 offset:68
	;; [unrolled: 1-line block ×4, first 2 shown]
	s_waitcnt vmcnt(0)
	ds_write_b128 v69, v[1:4]
.LBB59_367:
	s_or_b32 exec_lo, exec_lo, s4
	s_waitcnt lgkmcnt(0)
	s_waitcnt_vscnt null, 0x0
	s_barrier
	buffer_gl0_inv
	s_clause 0x37
	buffer_load_dword v17, off, s[0:3], 0 offset:88
	buffer_load_dword v18, off, s[0:3], 0 offset:92
	;; [unrolled: 1-line block ×56, first 2 shown]
	ds_read_b128 v[5:8], v70 offset:1024
	s_clause 0x2
	buffer_load_dword v66, off, s[0:3], 0 offset:316
	buffer_load_dword v68, off, s[0:3], 0 offset:292
	;; [unrolled: 1-line block ×3, first 2 shown]
	ds_read_b128 v[1:4], v70 offset:1040
	s_clause 0x4
	buffer_load_dword v100, off, s[0:3], 0 offset:332
	buffer_load_dword v109, off, s[0:3], 0 offset:344
	;; [unrolled: 1-line block ×5, first 2 shown]
	ds_read_b128 v[93:96], v70 offset:1056
	s_mov_b32 s4, exec_lo
	s_waitcnt vmcnt(62) lgkmcnt(2)
	v_mul_f64 v[97:98], v[7:8], v[17:18]
	v_mul_f64 v[17:18], v[5:6], v[17:18]
	s_waitcnt vmcnt(60) lgkmcnt(1)
	v_mul_f64 v[112:113], v[3:4], v[13:14]
	v_mul_f64 v[13:14], v[1:2], v[13:14]
	;; [unrolled: 3-line block ×3, first 2 shown]
	v_fma_f64 v[97:98], v[5:6], v[15:16], -v[97:98]
	v_fma_f64 v[15:16], v[7:8], v[15:16], v[17:18]
	s_clause 0x2
	buffer_load_dword v110, off, s[0:3], 0 offset:348
	buffer_load_dword v18, off, s[0:3], 0 offset:324
	;; [unrolled: 1-line block ×3, first 2 shown]
	s_waitcnt vmcnt(57)
	v_fma_f64 v[123:124], v[1:2], v[9:10], -v[112:113]
	ds_read_b128 v[5:8], v70 offset:1072
	v_fma_f64 v[9:10], v[3:4], v[9:10], v[13:14]
	s_waitcnt vmcnt(51)
	v_fma_f64 v[93:94], v[93:94], v[33:34], -v[11:12]
	v_fma_f64 v[33:34], v[95:96], v[33:34], v[114:115]
	v_add_f64 v[97:98], v[97:98], 0
	v_add_f64 v[13:14], v[15:16], 0
	s_clause 0x4
	buffer_load_dword v16, off, s[0:3], 0 offset:364
	buffer_load_dword v113, off, s[0:3], 0 offset:376
	;; [unrolled: 1-line block ×5, first 2 shown]
	s_waitcnt lgkmcnt(0)
	v_mul_f64 v[126:127], v[5:6], v[21:22]
	v_mul_f64 v[21:22], v[7:8], v[21:22]
	ds_read_b128 v[1:4], v70 offset:1088
	s_clause 0x2
	buffer_load_dword v114, off, s[0:3], 0 offset:380
	buffer_load_dword v96, off, s[0:3], 0 offset:356
	buffer_load_dword v95, off, s[0:3], 0 offset:352
	v_add_f64 v[97:98], v[97:98], v[123:124]
	v_add_f64 v[13:14], v[13:14], v[9:10]
	ds_read_b128 v[9:12], v70 offset:1104
	s_waitcnt vmcnt(58) lgkmcnt(1)
	v_mul_f64 v[115:116], v[1:2], v[25:26]
	v_mul_f64 v[25:26], v[3:4], v[25:26]
	s_waitcnt vmcnt(56)
	v_fma_f64 v[21:22], v[5:6], v[27:28], -v[21:22]
	v_fma_f64 v[27:28], v[7:8], v[27:28], v[126:127]
	s_waitcnt vmcnt(52) lgkmcnt(0)
	v_mul_f64 v[127:128], v[9:10], v[29:30]
	v_add_f64 v[93:94], v[97:98], v[93:94]
	v_add_f64 v[13:14], v[13:14], v[33:34]
	s_clause 0x4
	buffer_load_dword v34, off, s[0:3], 0 offset:396
	buffer_load_dword v97, off, s[0:3], 0 offset:408
	;; [unrolled: 1-line block ×5, first 2 shown]
	v_mul_f64 v[29:30], v[11:12], v[29:30]
	s_waitcnt vmcnt(56)
	v_fma_f64 v[25:26], v[1:2], v[19:20], -v[25:26]
	ds_read_b128 v[5:8], v70 offset:1120
	v_fma_f64 v[19:20], v[3:4], v[19:20], v[115:116]
	v_add_f64 v[21:22], v[93:94], v[21:22]
	v_add_f64 v[13:14], v[13:14], v[27:28]
	s_clause 0x2
	buffer_load_dword v98, off, s[0:3], 0 offset:412
	buffer_load_dword v28, off, s[0:3], 0 offset:388
	;; [unrolled: 1-line block ×3, first 2 shown]
	s_waitcnt vmcnt(58) lgkmcnt(0)
	v_mul_f64 v[93:94], v[5:6], v[35:36]
	v_mul_f64 v[35:36], v[7:8], v[35:36]
	s_waitcnt vmcnt(56)
	v_fma_f64 v[29:30], v[9:10], v[37:38], -v[29:30]
	ds_read_b128 v[1:4], v70 offset:1136
	v_add_f64 v[21:22], v[21:22], v[25:26]
	v_fma_f64 v[25:26], v[11:12], v[37:38], v[127:128]
	v_add_f64 v[13:14], v[13:14], v[19:20]
	s_clause 0x4
	buffer_load_dword v20, off, s[0:3], 0 offset:428
	buffer_load_dword v37, off, s[0:3], 0 offset:440
	;; [unrolled: 1-line block ×5, first 2 shown]
	s_waitcnt vmcnt(57) lgkmcnt(0)
	v_mul_f64 v[127:128], v[1:2], v[39:40]
	v_mul_f64 v[39:40], v[3:4], v[39:40]
	s_waitcnt vmcnt(56)
	v_fma_f64 v[35:36], v[5:6], v[23:24], -v[35:36]
	ds_read_b128 v[9:12], v70 offset:1152
	v_fma_f64 v[23:24], v[7:8], v[23:24], v[93:94]
	v_add_f64 v[21:22], v[21:22], v[29:30]
	v_add_f64 v[13:14], v[13:14], v[25:26]
	s_clause 0x2
	buffer_load_dword v38, off, s[0:3], 0 offset:444
	buffer_load_dword v26, off, s[0:3], 0 offset:420
	;; [unrolled: 1-line block ×3, first 2 shown]
	ds_read_b128 v[5:8], v70 offset:1168
	s_waitcnt vmcnt(58) lgkmcnt(1)
	v_mul_f64 v[29:30], v[9:10], v[43:44]
	v_mul_f64 v[43:44], v[11:12], v[43:44]
	s_waitcnt vmcnt(56)
	v_fma_f64 v[39:40], v[1:2], v[45:46], -v[39:40]
	v_add_f64 v[21:22], v[21:22], v[35:36]
	v_fma_f64 v[35:36], v[3:4], v[45:46], v[127:128]
	v_add_f64 v[13:14], v[13:14], v[23:24]
	s_clause 0x4
	buffer_load_dword v24, off, s[0:3], 0 offset:460
	buffer_load_dword v45, off, s[0:3], 0 offset:472
	;; [unrolled: 1-line block ×5, first 2 shown]
	s_waitcnt vmcnt(57) lgkmcnt(0)
	v_mul_f64 v[127:128], v[5:6], v[47:48]
	v_mul_f64 v[47:48], v[7:8], v[47:48]
	s_waitcnt vmcnt(56)
	v_fma_f64 v[43:44], v[9:10], v[31:32], -v[43:44]
	ds_read_b128 v[1:4], v70 offset:1184
	v_fma_f64 v[29:30], v[11:12], v[31:32], v[29:30]
	s_clause 0x2
	buffer_load_dword v46, off, s[0:3], 0 offset:476
	buffer_load_dword v32, off, s[0:3], 0 offset:452
	;; [unrolled: 1-line block ×3, first 2 shown]
	ds_read_b128 v[9:12], v70 offset:1200
	v_add_f64 v[21:22], v[21:22], v[39:40]
	v_add_f64 v[13:14], v[13:14], v[35:36]
	s_waitcnt vmcnt(58) lgkmcnt(1)
	v_mul_f64 v[39:40], v[3:4], v[51:52]
	s_waitcnt vmcnt(56)
	v_fma_f64 v[47:48], v[5:6], v[53:54], -v[47:48]
	v_mul_f64 v[35:36], v[1:2], v[51:52]
	v_add_f64 v[21:22], v[21:22], v[43:44]
	v_fma_f64 v[43:44], v[7:8], v[53:54], v[127:128]
	v_add_f64 v[13:14], v[13:14], v[29:30]
	s_clause 0x4
	buffer_load_dword v30, off, s[0:3], 0 offset:492
	buffer_load_dword v51, off, s[0:3], 0 offset:504
	;; [unrolled: 1-line block ×5, first 2 shown]
	s_waitcnt vmcnt(57) lgkmcnt(0)
	v_mul_f64 v[127:128], v[9:10], v[55:56]
	v_mul_f64 v[54:55], v[11:12], v[55:56]
	s_waitcnt vmcnt(56)
	v_fma_f64 v[39:40], v[1:2], v[41:42], -v[39:40]
	ds_read_b128 v[5:8], v70 offset:1216
	v_fma_f64 v[35:36], v[3:4], v[41:42], v[35:36]
	s_clause 0x2
	buffer_load_dword v52, off, s[0:3], 0 offset:508
	buffer_load_dword v42, off, s[0:3], 0 offset:484
	;; [unrolled: 1-line block ×3, first 2 shown]
	ds_read_b128 v[1:4], v70 offset:1232
	v_add_f64 v[21:22], v[21:22], v[47:48]
	v_add_f64 v[13:14], v[13:14], v[43:44]
	s_waitcnt vmcnt(58) lgkmcnt(1)
	v_mul_f64 v[47:48], v[7:8], v[59:60]
	s_waitcnt vmcnt(56)
	v_fma_f64 v[55:56], v[9:10], v[61:62], -v[54:55]
	v_mul_f64 v[43:44], v[5:6], v[59:60]
	v_add_f64 v[21:22], v[21:22], v[39:40]
	v_fma_f64 v[39:40], v[11:12], v[61:62], v[127:128]
	v_add_f64 v[13:14], v[13:14], v[35:36]
	s_clause 0x4
	buffer_load_dword v36, off, s[0:3], 0 offset:524
	buffer_load_dword v59, off, s[0:3], 0 offset:536
	;; [unrolled: 1-line block ×5, first 2 shown]
	s_waitcnt vmcnt(57) lgkmcnt(0)
	v_mul_f64 v[127:128], v[1:2], v[63:64]
	v_mul_f64 v[62:63], v[3:4], v[63:64]
	s_waitcnt vmcnt(56)
	v_fma_f64 v[47:48], v[5:6], v[49:50], -v[47:48]
	ds_read_b128 v[9:12], v70 offset:1248
	v_fma_f64 v[43:44], v[7:8], v[49:50], v[43:44]
	v_add_f64 v[21:22], v[21:22], v[55:56]
	v_add_f64 v[13:14], v[13:14], v[39:40]
	s_clause 0x2
	buffer_load_dword v60, off, s[0:3], 0 offset:540
	buffer_load_dword v40, off, s[0:3], 0 offset:516
	;; [unrolled: 1-line block ×3, first 2 shown]
	ds_read_b128 v[5:8], v70 offset:1264
	s_waitcnt vmcnt(58) lgkmcnt(1)
	v_mul_f64 v[55:56], v[11:12], v[65:66]
	s_waitcnt vmcnt(56)
	v_fma_f64 v[63:64], v[1:2], v[67:68], -v[62:63]
	v_mul_f64 v[49:50], v[9:10], v[65:66]
	v_add_f64 v[21:22], v[21:22], v[47:48]
	v_fma_f64 v[47:48], v[3:4], v[67:68], v[127:128]
	v_add_f64 v[13:14], v[13:14], v[43:44]
	s_clause 0x4
	buffer_load_dword v44, off, s[0:3], 0 offset:556
	buffer_load_dword v65, off, s[0:3], 0 offset:568
	;; [unrolled: 1-line block ×5, first 2 shown]
	s_waitcnt vmcnt(57) lgkmcnt(0)
	v_mul_f64 v[127:128], v[5:6], v[99:100]
	v_mul_f64 v[99:100], v[7:8], v[99:100]
	s_waitcnt vmcnt(56)
	v_fma_f64 v[55:56], v[9:10], v[57:58], -v[55:56]
	ds_read_b128 v[1:4], v70 offset:1280
	v_fma_f64 v[49:50], v[11:12], v[57:58], v[49:50]
	v_add_f64 v[21:22], v[21:22], v[63:64]
	v_add_f64 v[13:14], v[13:14], v[47:48]
	s_clause 0x2
	buffer_load_dword v66, off, s[0:3], 0 offset:572
	buffer_load_dword v48, off, s[0:3], 0 offset:548
	;; [unrolled: 1-line block ×3, first 2 shown]
	ds_read_b128 v[9:12], v70 offset:1296
	s_waitcnt vmcnt(58) lgkmcnt(1)
	v_mul_f64 v[63:64], v[3:4], v[109:110]
	v_mul_f64 v[57:58], v[1:2], v[109:110]
	s_waitcnt vmcnt(56)
	v_fma_f64 v[99:100], v[5:6], v[17:18], -v[99:100]
	v_fma_f64 v[17:18], v[7:8], v[17:18], v[127:128]
	v_add_f64 v[21:22], v[21:22], v[55:56]
	v_add_f64 v[13:14], v[13:14], v[49:50]
	s_clause 0x4
	buffer_load_dword v50, off, s[0:3], 0 offset:588
	buffer_load_dword v55, off, s[0:3], 0 offset:600
	buffer_load_dword v109, off, s[0:3], 0 offset:592
	buffer_load_dword v49, off, s[0:3], 0 offset:584
	buffer_load_dword v68, off, s[0:3], 0 offset:564
	ds_read_b128 v[5:8], v70 offset:1312
	s_waitcnt vmcnt(57) lgkmcnt(1)
	v_mul_f64 v[127:128], v[9:10], v[15:16]
	v_mul_f64 v[15:16], v[11:12], v[15:16]
	s_waitcnt vmcnt(56)
	v_fma_f64 v[63:64], v[1:2], v[111:112], -v[63:64]
	v_fma_f64 v[57:58], v[3:4], v[111:112], v[57:58]
	v_add_f64 v[21:22], v[21:22], v[99:100]
	v_add_f64 v[13:14], v[13:14], v[17:18]
	s_clause 0x2
	buffer_load_dword v56, off, s[0:3], 0 offset:604
	buffer_load_dword v18, off, s[0:3], 0 offset:580
	;; [unrolled: 1-line block ×3, first 2 shown]
	s_waitcnt vmcnt(58) lgkmcnt(0)
	v_mul_f64 v[111:112], v[7:8], v[113:114]
	ds_read_b128 v[1:4], v70 offset:1328
	v_mul_f64 v[99:100], v[5:6], v[113:114]
	s_waitcnt vmcnt(56)
	v_fma_f64 v[15:16], v[9:10], v[95:96], -v[15:16]
	v_add_f64 v[21:22], v[21:22], v[63:64]
	v_fma_f64 v[63:64], v[11:12], v[95:96], v[127:128]
	v_add_f64 v[13:14], v[13:14], v[57:58]
	s_clause 0x4
	buffer_load_dword v58, off, s[0:3], 0 offset:620
	buffer_load_dword v95, off, s[0:3], 0 offset:632
	;; [unrolled: 1-line block ×5, first 2 shown]
	ds_read_b128 v[9:12], v70 offset:1344
	s_waitcnt vmcnt(57) lgkmcnt(1)
	v_mul_f64 v[127:128], v[1:2], v[33:34]
	v_mul_f64 v[33:34], v[3:4], v[33:34]
	s_waitcnt vmcnt(56)
	v_fma_f64 v[111:112], v[5:6], v[125:126], -v[111:112]
	v_add_f64 v[15:16], v[21:22], v[15:16]
	v_fma_f64 v[21:22], v[7:8], v[125:126], v[99:100]
	v_add_f64 v[13:14], v[13:14], v[63:64]
	s_clause 0x2
	buffer_load_dword v96, off, s[0:3], 0 offset:636
	buffer_load_dword v64, off, s[0:3], 0 offset:612
	;; [unrolled: 1-line block ×3, first 2 shown]
	ds_read_b128 v[5:8], v70 offset:1360
	s_waitcnt vmcnt(58) lgkmcnt(1)
	v_mul_f64 v[99:100], v[9:10], v[97:98]
	v_mul_f64 v[97:98], v[11:12], v[97:98]
	s_waitcnt vmcnt(56)
	v_fma_f64 v[33:34], v[1:2], v[27:28], -v[33:34]
	v_fma_f64 v[27:28], v[3:4], v[27:28], v[127:128]
	v_add_f64 v[15:16], v[15:16], v[111:112]
	v_add_f64 v[13:14], v[13:14], v[21:22]
	s_clause 0x4
	buffer_load_dword v22, off, s[0:3], 0 offset:652
	buffer_load_dword v111, off, s[0:3], 0 offset:664
	buffer_load_dword v125, off, s[0:3], 0 offset:656
	buffer_load_dword v21, off, s[0:3], 0 offset:648
	buffer_load_dword v114, off, s[0:3], 0 offset:628
	ds_read_b128 v[1:4], v70 offset:1376
	s_waitcnt vmcnt(57) lgkmcnt(1)
	v_mul_f64 v[126:127], v[5:6], v[19:20]
	v_mul_f64 v[19:20], v[7:8], v[19:20]
	s_waitcnt vmcnt(56)
	v_fma_f64 v[97:98], v[9:10], v[123:124], -v[97:98]
	v_add_f64 v[15:16], v[15:16], v[33:34]
	v_fma_f64 v[33:34], v[11:12], v[123:124], v[99:100]
	v_add_f64 v[13:14], v[13:14], v[27:28]
	s_clause 0x2
	buffer_load_dword v112, off, s[0:3], 0 offset:668
	buffer_load_dword v28, off, s[0:3], 0 offset:644
	;; [unrolled: 1-line block ×3, first 2 shown]
	ds_read_b128 v[9:12], v70 offset:1392
	s_waitcnt vmcnt(58) lgkmcnt(1)
	v_mul_f64 v[99:100], v[1:2], v[37:38]
	v_mul_f64 v[37:38], v[3:4], v[37:38]
	s_waitcnt vmcnt(56)
	v_fma_f64 v[19:20], v[5:6], v[25:26], -v[19:20]
	v_fma_f64 v[25:26], v[7:8], v[25:26], v[126:127]
	v_add_f64 v[15:16], v[15:16], v[97:98]
	v_add_f64 v[13:14], v[13:14], v[33:34]
	s_clause 0x4
	buffer_load_dword v34, off, s[0:3], 0 offset:684
	buffer_load_dword v97, off, s[0:3], 0 offset:696
	;; [unrolled: 1-line block ×5, first 2 shown]
	ds_read_b128 v[5:8], v70 offset:1408
	s_waitcnt vmcnt(57) lgkmcnt(1)
	v_mul_f64 v[127:128], v[9:10], v[23:24]
	v_mul_f64 v[23:24], v[11:12], v[23:24]
	s_waitcnt vmcnt(56)
	v_fma_f64 v[37:38], v[1:2], v[115:116], -v[37:38]
	v_add_f64 v[15:16], v[15:16], v[19:20]
	v_fma_f64 v[19:20], v[3:4], v[115:116], v[99:100]
	v_add_f64 v[13:14], v[13:14], v[25:26]
	s_clause 0x2
	buffer_load_dword v98, off, s[0:3], 0 offset:700
	buffer_load_dword v26, off, s[0:3], 0 offset:676
	buffer_load_dword v25, off, s[0:3], 0 offset:672
	s_waitcnt vmcnt(58) lgkmcnt(0)
	v_mul_f64 v[99:100], v[5:6], v[45:46]
	v_mul_f64 v[45:46], v[7:8], v[45:46]
	ds_read_b128 v[1:4], v70 offset:1424
	s_waitcnt vmcnt(56)
	v_fma_f64 v[23:24], v[9:10], v[31:32], -v[23:24]
	v_fma_f64 v[31:32], v[11:12], v[31:32], v[127:128]
	v_add_f64 v[15:16], v[15:16], v[37:38]
	v_add_f64 v[13:14], v[13:14], v[19:20]
	s_clause 0x4
	buffer_load_dword v20, off, s[0:3], 0 offset:716
	buffer_load_dword v37, off, s[0:3], 0 offset:728
	;; [unrolled: 1-line block ×5, first 2 shown]
	ds_read_b128 v[9:12], v70 offset:1440
	s_waitcnt vmcnt(57) lgkmcnt(1)
	v_mul_f64 v[127:128], v[1:2], v[29:30]
	v_mul_f64 v[29:30], v[3:4], v[29:30]
	s_waitcnt vmcnt(56)
	v_fma_f64 v[45:46], v[5:6], v[93:94], -v[45:46]
	v_add_f64 v[15:16], v[15:16], v[23:24]
	v_fma_f64 v[23:24], v[7:8], v[93:94], v[99:100]
	v_add_f64 v[13:14], v[13:14], v[31:32]
	s_clause 0x2
	buffer_load_dword v38, off, s[0:3], 0 offset:732
	buffer_load_dword v32, off, s[0:3], 0 offset:708
	;; [unrolled: 1-line block ×3, first 2 shown]
	s_waitcnt vmcnt(58) lgkmcnt(0)
	v_mul_f64 v[93:94], v[9:10], v[51:52]
	v_mul_f64 v[51:52], v[11:12], v[51:52]
	ds_read_b128 v[5:8], v70 offset:1456
	s_waitcnt vmcnt(56)
	v_fma_f64 v[29:30], v[1:2], v[41:42], -v[29:30]
	v_fma_f64 v[41:42], v[3:4], v[41:42], v[127:128]
	v_add_f64 v[15:16], v[15:16], v[45:46]
	v_add_f64 v[13:14], v[13:14], v[23:24]
	s_clause 0x4
	buffer_load_dword v24, off, s[0:3], 0 offset:748
	buffer_load_dword v45, off, s[0:3], 0 offset:760
	buffer_load_dword v99, off, s[0:3], 0 offset:752
	buffer_load_dword v23, off, s[0:3], 0 offset:744
	buffer_load_dword v116, off, s[0:3], 0 offset:724
	ds_read_b128 v[1:4], v70 offset:1472
	s_waitcnt vmcnt(57) lgkmcnt(1)
	v_mul_f64 v[127:128], v[5:6], v[35:36]
	v_mul_f64 v[35:36], v[7:8], v[35:36]
	s_waitcnt vmcnt(56)
	v_fma_f64 v[51:52], v[9:10], v[53:54], -v[51:52]
	v_add_f64 v[15:16], v[15:16], v[29:30]
	v_fma_f64 v[29:30], v[11:12], v[53:54], v[93:94]
	v_add_f64 v[13:14], v[13:14], v[41:42]
	s_clause 0x2
	buffer_load_dword v46, off, s[0:3], 0 offset:764
	buffer_load_dword v42, off, s[0:3], 0 offset:740
	buffer_load_dword v41, off, s[0:3], 0 offset:736
	ds_read_b128 v[9:12], v70 offset:1488
	s_waitcnt vmcnt(58) lgkmcnt(1)
	v_mul_f64 v[53:54], v[1:2], v[59:60]
	v_mul_f64 v[59:60], v[3:4], v[59:60]
	s_waitcnt vmcnt(56)
	v_fma_f64 v[35:36], v[5:6], v[39:40], -v[35:36]
	v_fma_f64 v[39:40], v[7:8], v[39:40], v[127:128]
	v_add_f64 v[15:16], v[15:16], v[51:52]
	v_add_f64 v[13:14], v[13:14], v[29:30]
	s_clause 0x4
	buffer_load_dword v30, off, s[0:3], 0 offset:780
	buffer_load_dword v51, off, s[0:3], 0 offset:792
	buffer_load_dword v93, off, s[0:3], 0 offset:784
	buffer_load_dword v29, off, s[0:3], 0 offset:776
	buffer_load_dword v100, off, s[0:3], 0 offset:756
	ds_read_b128 v[5:8], v70 offset:1504
	s_waitcnt vmcnt(57) lgkmcnt(1)
	v_mul_f64 v[127:128], v[9:10], v[43:44]
	v_mul_f64 v[43:44], v[11:12], v[43:44]
	s_waitcnt vmcnt(56)
	v_fma_f64 v[59:60], v[1:2], v[61:62], -v[59:60]
	v_add_f64 v[15:16], v[15:16], v[35:36]
	v_fma_f64 v[35:36], v[3:4], v[61:62], v[53:54]
	v_add_f64 v[13:14], v[13:14], v[39:40]
	s_clause 0x2
	buffer_load_dword v52, off, s[0:3], 0 offset:796
	buffer_load_dword v40, off, s[0:3], 0 offset:772
	buffer_load_dword v39, off, s[0:3], 0 offset:768
	ds_read_b128 v[1:4], v70 offset:1520
	s_waitcnt vmcnt(58) lgkmcnt(1)
	v_mul_f64 v[61:62], v[7:8], v[65:66]
	v_mul_f64 v[53:54], v[5:6], v[65:66]
	;; [unrolled: 28-line block ×4, first 2 shown]
	s_waitcnt vmcnt(56)
	v_fma_f64 v[57:58], v[5:6], v[63:64], -v[57:58]
	v_add_f64 v[15:16], v[15:16], v[55:56]
	v_fma_f64 v[55:56], v[7:8], v[63:64], v[127:128]
	v_add_f64 v[13:14], v[13:14], v[49:50]
	s_clause 0x4
	buffer_load_dword v50, off, s[0:3], 0 offset:876
	buffer_load_dword v63, off, s[0:3], 0 offset:888
	;; [unrolled: 1-line block ×5, first 2 shown]
	ds_read_b128 v[5:8], v70 offset:1600
	s_waitcnt vmcnt(57) lgkmcnt(1)
	v_mul_f64 v[127:128], v[9:10], v[21:22]
	v_mul_f64 v[21:22], v[11:12], v[21:22]
	s_waitcnt vmcnt(56)
	v_fma_f64 v[95:96], v[1:2], v[113:114], -v[95:96]
	v_fma_f64 v[53:54], v[3:4], v[113:114], v[53:54]
	v_add_f64 v[15:16], v[15:16], v[57:58]
	v_add_f64 v[13:14], v[13:14], v[55:56]
	s_clause 0x2
	buffer_load_dword v64, off, s[0:3], 0 offset:892
	buffer_load_dword v56, off, s[0:3], 0 offset:868
	;; [unrolled: 1-line block ×3, first 2 shown]
	ds_read_b128 v[1:4], v70 offset:1616
	s_waitcnt vmcnt(58) lgkmcnt(1)
	v_mul_f64 v[57:58], v[5:6], v[111:112]
	v_mul_f64 v[111:112], v[7:8], v[111:112]
	s_waitcnt vmcnt(56)
	v_fma_f64 v[21:22], v[9:10], v[27:28], -v[21:22]
	v_fma_f64 v[27:28], v[11:12], v[27:28], v[127:128]
	v_add_f64 v[15:16], v[15:16], v[95:96]
	v_add_f64 v[13:14], v[13:14], v[53:54]
	s_clause 0x4
	buffer_load_dword v54, off, s[0:3], 0 offset:908
	buffer_load_dword v95, off, s[0:3], 0 offset:920
	;; [unrolled: 1-line block ×5, first 2 shown]
	ds_read_b128 v[9:12], v70 offset:1632
	s_waitcnt vmcnt(57) lgkmcnt(1)
	v_mul_f64 v[127:128], v[1:2], v[33:34]
	v_mul_f64 v[33:34], v[3:4], v[33:34]
	s_waitcnt vmcnt(56)
	v_fma_f64 v[111:112], v[5:6], v[125:126], -v[111:112]
	v_add_f64 v[15:16], v[15:16], v[21:22]
	v_fma_f64 v[21:22], v[7:8], v[125:126], v[57:58]
	v_add_f64 v[13:14], v[13:14], v[27:28]
	s_clause 0x2
	buffer_load_dword v96, off, s[0:3], 0 offset:924
	buffer_load_dword v28, off, s[0:3], 0 offset:900
	;; [unrolled: 1-line block ×3, first 2 shown]
	ds_read_b128 v[5:8], v70 offset:1648
	s_waitcnt vmcnt(58) lgkmcnt(1)
	v_mul_f64 v[57:58], v[9:10], v[97:98]
	v_mul_f64 v[97:98], v[11:12], v[97:98]
	s_waitcnt vmcnt(56)
	v_fma_f64 v[33:34], v[1:2], v[25:26], -v[33:34]
	v_fma_f64 v[25:26], v[3:4], v[25:26], v[127:128]
	v_add_f64 v[15:16], v[15:16], v[111:112]
	v_add_f64 v[13:14], v[13:14], v[21:22]
	s_clause 0x4
	buffer_load_dword v22, off, s[0:3], 0 offset:940
	buffer_load_dword v111, off, s[0:3], 0 offset:952
	;; [unrolled: 1-line block ×5, first 2 shown]
	ds_read_b128 v[1:4], v70 offset:1664
	s_waitcnt vmcnt(57) lgkmcnt(1)
	v_mul_f64 v[126:127], v[5:6], v[19:20]
	v_mul_f64 v[19:20], v[7:8], v[19:20]
	s_waitcnt vmcnt(56)
	v_fma_f64 v[97:98], v[9:10], v[123:124], -v[97:98]
	v_add_f64 v[15:16], v[15:16], v[33:34]
	v_fma_f64 v[33:34], v[11:12], v[123:124], v[57:58]
	v_add_f64 v[13:14], v[13:14], v[25:26]
	s_clause 0x2
	buffer_load_dword v112, off, s[0:3], 0 offset:956
	buffer_load_dword v26, off, s[0:3], 0 offset:932
	;; [unrolled: 1-line block ×3, first 2 shown]
	ds_read_b128 v[9:12], v70 offset:1680
	s_waitcnt vmcnt(58) lgkmcnt(1)
	v_mul_f64 v[57:58], v[1:2], v[37:38]
	v_mul_f64 v[37:38], v[3:4], v[37:38]
	s_waitcnt vmcnt(56)
	v_fma_f64 v[19:20], v[5:6], v[31:32], -v[19:20]
	v_fma_f64 v[31:32], v[7:8], v[31:32], v[126:127]
	v_add_f64 v[15:16], v[15:16], v[97:98]
	v_add_f64 v[13:14], v[13:14], v[33:34]
	s_clause 0x2
	buffer_load_dword v34, off, s[0:3], 0 offset:972
	buffer_load_dword v33, off, s[0:3], 0 offset:968
	;; [unrolled: 1-line block ×3, first 2 shown]
	ds_read_b128 v[5:8], v70 offset:1696
	s_waitcnt vmcnt(55) lgkmcnt(1)
	v_mul_f64 v[97:98], v[9:10], v[23:24]
	v_mul_f64 v[23:24], v[11:12], v[23:24]
	s_waitcnt vmcnt(54)
	v_fma_f64 v[37:38], v[1:2], v[115:116], -v[37:38]
	v_add_f64 v[15:16], v[15:16], v[19:20]
	v_fma_f64 v[19:20], v[3:4], v[115:116], v[57:58]
	v_add_f64 v[13:14], v[13:14], v[31:32]
	s_clause 0x1
	buffer_load_dword v32, off, s[0:3], 0 offset:964
	buffer_load_dword v31, off, s[0:3], 0 offset:960
	ds_read_b128 v[1:4], v70 offset:1712
	s_waitcnt vmcnt(55) lgkmcnt(1)
	v_mul_f64 v[57:58], v[5:6], v[45:46]
	v_mul_f64 v[45:46], v[7:8], v[45:46]
	s_waitcnt vmcnt(53)
	v_fma_f64 v[23:24], v[9:10], v[41:42], -v[23:24]
	v_add_f64 v[15:16], v[15:16], v[37:38]
	v_fma_f64 v[37:38], v[11:12], v[41:42], v[97:98]
	v_add_f64 v[13:14], v[13:14], v[19:20]
	ds_read_b128 v[9:12], v70 offset:1728
	s_waitcnt vmcnt(49) lgkmcnt(1)
	v_mul_f64 v[19:20], v[1:2], v[29:30]
	v_mul_f64 v[29:30], v[3:4], v[29:30]
	s_waitcnt vmcnt(48)
	v_fma_f64 v[41:42], v[5:6], v[99:100], -v[45:46]
	v_add_f64 v[15:16], v[15:16], v[23:24]
	v_fma_f64 v[23:24], v[7:8], v[99:100], v[57:58]
	v_add_f64 v[13:14], v[13:14], v[37:38]
	s_clause 0x3
	buffer_load_dword v37, off, s[0:3], 0 offset:64
	buffer_load_dword v38, off, s[0:3], 0 offset:68
	;; [unrolled: 1-line block ×4, first 2 shown]
	ds_read_b128 v[5:8], v70 offset:1744
	s_waitcnt vmcnt(51) lgkmcnt(1)
	v_mul_f64 v[57:58], v[9:10], v[51:52]
	v_mul_f64 v[51:52], v[11:12], v[51:52]
	s_waitcnt vmcnt(49)
	v_fma_f64 v[29:30], v[1:2], v[39:40], -v[29:30]
	v_fma_f64 v[19:20], v[3:4], v[39:40], v[19:20]
	ds_read_b128 v[1:4], v70 offset:1760
	v_add_f64 v[15:16], v[15:16], v[41:42]
	v_add_f64 v[13:14], v[13:14], v[23:24]
	s_waitcnt vmcnt(45) lgkmcnt(1)
	v_mul_f64 v[23:24], v[5:6], v[35:36]
	v_mul_f64 v[35:36], v[7:8], v[35:36]
	s_waitcnt vmcnt(44)
	v_fma_f64 v[39:40], v[9:10], v[93:94], -v[51:52]
	v_add_f64 v[15:16], v[15:16], v[29:30]
	v_fma_f64 v[29:30], v[11:12], v[93:94], v[57:58]
	v_add_f64 v[13:14], v[13:14], v[19:20]
	ds_read_b128 v[9:12], v70 offset:1776
	s_waitcnt vmcnt(43) lgkmcnt(1)
	v_mul_f64 v[41:42], v[3:4], v[59:60]
	v_mul_f64 v[19:20], v[1:2], v[59:60]
	s_waitcnt vmcnt(41)
	v_fma_f64 v[35:36], v[5:6], v[47:48], -v[35:36]
	v_fma_f64 v[23:24], v[7:8], v[47:48], v[23:24]
	ds_read_b128 v[5:8], v70 offset:1792
	v_add_f64 v[15:16], v[15:16], v[39:40]
	v_add_f64 v[13:14], v[13:14], v[29:30]
	s_waitcnt vmcnt(37) lgkmcnt(1)
	v_mul_f64 v[39:40], v[11:12], v[43:44]
	s_waitcnt vmcnt(36)
	v_fma_f64 v[41:42], v[1:2], v[65:66], -v[41:42]
	v_mul_f64 v[29:30], v[9:10], v[43:44]
	v_fma_f64 v[19:20], v[3:4], v[65:66], v[19:20]
	ds_read_b128 v[1:4], v70 offset:1808
	v_add_f64 v[15:16], v[15:16], v[35:36]
	v_add_f64 v[13:14], v[13:14], v[23:24]
	s_waitcnt vmcnt(35) lgkmcnt(1)
	v_mul_f64 v[35:36], v[7:8], v[61:62]
	v_mul_f64 v[23:24], v[5:6], v[61:62]
	s_waitcnt vmcnt(33)
	v_fma_f64 v[39:40], v[9:10], v[17:18], -v[39:40]
	v_fma_f64 v[17:18], v[11:12], v[17:18], v[29:30]
	ds_read_b128 v[9:12], v70 offset:1824
	v_add_f64 v[15:16], v[15:16], v[41:42]
	v_add_f64 v[13:14], v[13:14], v[19:20]
	s_waitcnt vmcnt(29) lgkmcnt(1)
	v_mul_f64 v[29:30], v[3:4], v[49:50]
	s_waitcnt vmcnt(28)
	v_fma_f64 v[35:36], v[5:6], v[67:68], -v[35:36]
	v_mul_f64 v[19:20], v[1:2], v[49:50]
	v_fma_f64 v[23:24], v[7:8], v[67:68], v[23:24]
	ds_read_b128 v[5:8], v70 offset:1840
	v_add_f64 v[15:16], v[15:16], v[39:40]
	v_add_f64 v[13:14], v[13:14], v[17:18]
	;; [unrolled: 18-line block ×3, first 2 shown]
	s_waitcnt vmcnt(19) lgkmcnt(1)
	v_mul_f64 v[29:30], v[3:4], v[95:96]
	v_mul_f64 v[19:20], v[1:2], v[95:96]
	s_waitcnt vmcnt(17)
	v_fma_f64 v[35:36], v[5:6], v[27:28], -v[35:36]
	v_fma_f64 v[23:24], v[7:8], v[27:28], v[23:24]
	ds_read_b128 v[5:8], v70 offset:1888
	v_add_f64 v[15:16], v[15:16], v[39:40]
	v_add_f64 v[13:14], v[13:14], v[17:18]
	s_waitcnt vmcnt(13) lgkmcnt(1)
	v_mul_f64 v[17:18], v[9:10], v[21:22]
	v_mul_f64 v[21:22], v[11:12], v[21:22]
	s_waitcnt vmcnt(12)
	v_fma_f64 v[27:28], v[1:2], v[113:114], -v[29:30]
	v_fma_f64 v[19:20], v[3:4], v[113:114], v[19:20]
	ds_read_b128 v[1:4], v70 offset:1904
	v_add_f64 v[15:16], v[15:16], v[35:36]
	v_add_f64 v[13:14], v[13:14], v[23:24]
	s_waitcnt vmcnt(11) lgkmcnt(1)
	v_mul_f64 v[29:30], v[7:8], v[111:112]
	v_mul_f64 v[23:24], v[5:6], v[111:112]
	s_waitcnt vmcnt(9)
	v_fma_f64 v[9:10], v[9:10], v[25:26], -v[21:22]
	v_fma_f64 v[11:12], v[11:12], v[25:26], v[17:18]
	v_add_f64 v[15:16], v[15:16], v[27:28]
	v_add_f64 v[13:14], v[13:14], v[19:20]
	s_waitcnt vmcnt(7) lgkmcnt(0)
	v_mul_f64 v[19:20], v[3:4], v[33:34]
	s_waitcnt vmcnt(6)
	v_fma_f64 v[5:6], v[5:6], v[125:126], -v[29:30]
	v_mul_f64 v[17:18], v[1:2], v[33:34]
	v_fma_f64 v[7:8], v[7:8], v[125:126], v[23:24]
	v_add_f64 v[9:10], v[15:16], v[9:10]
	v_add_f64 v[11:12], v[13:14], v[11:12]
	s_waitcnt vmcnt(4)
	v_fma_f64 v[1:2], v[1:2], v[31:32], -v[19:20]
	v_fma_f64 v[3:4], v[3:4], v[31:32], v[17:18]
	v_add_f64 v[5:6], v[9:10], v[5:6]
	v_add_f64 v[7:8], v[11:12], v[7:8]
	v_add_f64 v[1:2], v[5:6], v[1:2]
	v_add_f64 v[3:4], v[7:8], v[3:4]
	s_waitcnt vmcnt(2)
	v_add_f64 v[1:2], v[37:38], -v[1:2]
	s_waitcnt vmcnt(0)
	v_add_f64 v[3:4], v[45:46], -v[3:4]
	buffer_store_dword v2, off, s[0:3], 0 offset:68
	buffer_store_dword v1, off, s[0:3], 0 offset:64
	;; [unrolled: 1-line block ×4, first 2 shown]
	v_cmpx_lt_u32_e32 2, v0
	s_cbranch_execz .LBB59_369
; %bb.368:
	v_mov_b32_e32 v4, s69
	v_mov_b32_e32 v5, 0
	s_clause 0x3
	buffer_load_dword v1, v4, s[0:3], 0 offen
	buffer_load_dword v2, v4, s[0:3], 0 offen offset:4
	buffer_load_dword v3, v4, s[0:3], 0 offen offset:8
	;; [unrolled: 1-line block ×3, first 2 shown]
	buffer_store_dword v5, off, s[0:3], 0 offset:48
	buffer_store_dword v5, off, s[0:3], 0 offset:52
	;; [unrolled: 1-line block ×4, first 2 shown]
	s_waitcnt vmcnt(0)
	ds_write_b128 v69, v[1:4]
.LBB59_369:
	s_or_b32 exec_lo, exec_lo, s4
	s_waitcnt lgkmcnt(0)
	s_waitcnt_vscnt null, 0x0
	s_barrier
	buffer_gl0_inv
	s_clause 0x37
	buffer_load_dword v17, off, s[0:3], 0 offset:72
	buffer_load_dword v18, off, s[0:3], 0 offset:76
	;; [unrolled: 1-line block ×56, first 2 shown]
	v_mov_b32_e32 v70, 0
	s_mov_b32 s4, exec_lo
	ds_read_b128 v[5:8], v70 offset:1008
	s_clause 0x2
	buffer_load_dword v66, off, s[0:3], 0 offset:300
	buffer_load_dword v68, off, s[0:3], 0 offset:276
	;; [unrolled: 1-line block ×3, first 2 shown]
	ds_read_b128 v[1:4], v70 offset:1024
	s_clause 0x4
	buffer_load_dword v100, off, s[0:3], 0 offset:316
	buffer_load_dword v109, off, s[0:3], 0 offset:328
	;; [unrolled: 1-line block ×5, first 2 shown]
	ds_read_b128 v[93:96], v70 offset:1040
	s_waitcnt vmcnt(62) lgkmcnt(2)
	v_mul_f64 v[97:98], v[7:8], v[17:18]
	v_mul_f64 v[17:18], v[5:6], v[17:18]
	s_waitcnt vmcnt(60) lgkmcnt(1)
	v_mul_f64 v[112:113], v[3:4], v[13:14]
	v_mul_f64 v[13:14], v[1:2], v[13:14]
	;; [unrolled: 3-line block ×3, first 2 shown]
	v_fma_f64 v[97:98], v[5:6], v[15:16], -v[97:98]
	v_fma_f64 v[15:16], v[7:8], v[15:16], v[17:18]
	s_clause 0x2
	buffer_load_dword v110, off, s[0:3], 0 offset:332
	buffer_load_dword v18, off, s[0:3], 0 offset:308
	;; [unrolled: 1-line block ×3, first 2 shown]
	s_waitcnt vmcnt(57)
	v_fma_f64 v[123:124], v[1:2], v[9:10], -v[112:113]
	ds_read_b128 v[5:8], v70 offset:1056
	v_fma_f64 v[9:10], v[3:4], v[9:10], v[13:14]
	s_waitcnt vmcnt(51)
	v_fma_f64 v[93:94], v[93:94], v[33:34], -v[11:12]
	v_fma_f64 v[33:34], v[95:96], v[33:34], v[114:115]
	v_add_f64 v[97:98], v[97:98], 0
	v_add_f64 v[13:14], v[15:16], 0
	s_clause 0x4
	buffer_load_dword v16, off, s[0:3], 0 offset:348
	buffer_load_dword v113, off, s[0:3], 0 offset:360
	buffer_load_dword v125, off, s[0:3], 0 offset:352
	buffer_load_dword v15, off, s[0:3], 0 offset:344
	buffer_load_dword v112, off, s[0:3], 0 offset:324
	s_waitcnt lgkmcnt(0)
	v_mul_f64 v[126:127], v[5:6], v[21:22]
	v_mul_f64 v[21:22], v[7:8], v[21:22]
	ds_read_b128 v[1:4], v70 offset:1072
	s_clause 0x2
	buffer_load_dword v114, off, s[0:3], 0 offset:364
	buffer_load_dword v96, off, s[0:3], 0 offset:340
	;; [unrolled: 1-line block ×3, first 2 shown]
	v_add_f64 v[97:98], v[97:98], v[123:124]
	v_add_f64 v[13:14], v[13:14], v[9:10]
	ds_read_b128 v[9:12], v70 offset:1088
	s_waitcnt vmcnt(58) lgkmcnt(1)
	v_mul_f64 v[115:116], v[1:2], v[25:26]
	v_mul_f64 v[25:26], v[3:4], v[25:26]
	s_waitcnt vmcnt(56)
	v_fma_f64 v[21:22], v[5:6], v[27:28], -v[21:22]
	v_fma_f64 v[27:28], v[7:8], v[27:28], v[126:127]
	s_waitcnt vmcnt(52) lgkmcnt(0)
	v_mul_f64 v[127:128], v[9:10], v[29:30]
	v_add_f64 v[93:94], v[97:98], v[93:94]
	v_add_f64 v[13:14], v[13:14], v[33:34]
	s_clause 0x4
	buffer_load_dword v34, off, s[0:3], 0 offset:380
	buffer_load_dword v97, off, s[0:3], 0 offset:392
	;; [unrolled: 1-line block ×5, first 2 shown]
	v_mul_f64 v[29:30], v[11:12], v[29:30]
	s_waitcnt vmcnt(56)
	v_fma_f64 v[25:26], v[1:2], v[19:20], -v[25:26]
	ds_read_b128 v[5:8], v70 offset:1104
	v_fma_f64 v[19:20], v[3:4], v[19:20], v[115:116]
	v_add_f64 v[21:22], v[93:94], v[21:22]
	v_add_f64 v[13:14], v[13:14], v[27:28]
	s_clause 0x2
	buffer_load_dword v98, off, s[0:3], 0 offset:396
	buffer_load_dword v28, off, s[0:3], 0 offset:372
	;; [unrolled: 1-line block ×3, first 2 shown]
	s_waitcnt vmcnt(58) lgkmcnt(0)
	v_mul_f64 v[93:94], v[5:6], v[35:36]
	v_mul_f64 v[35:36], v[7:8], v[35:36]
	s_waitcnt vmcnt(56)
	v_fma_f64 v[29:30], v[9:10], v[37:38], -v[29:30]
	ds_read_b128 v[1:4], v70 offset:1120
	v_add_f64 v[21:22], v[21:22], v[25:26]
	v_fma_f64 v[25:26], v[11:12], v[37:38], v[127:128]
	v_add_f64 v[13:14], v[13:14], v[19:20]
	s_clause 0x4
	buffer_load_dword v20, off, s[0:3], 0 offset:412
	buffer_load_dword v37, off, s[0:3], 0 offset:424
	;; [unrolled: 1-line block ×5, first 2 shown]
	s_waitcnt vmcnt(57) lgkmcnt(0)
	v_mul_f64 v[127:128], v[1:2], v[39:40]
	v_mul_f64 v[39:40], v[3:4], v[39:40]
	s_waitcnt vmcnt(56)
	v_fma_f64 v[35:36], v[5:6], v[23:24], -v[35:36]
	ds_read_b128 v[9:12], v70 offset:1136
	v_fma_f64 v[23:24], v[7:8], v[23:24], v[93:94]
	v_add_f64 v[21:22], v[21:22], v[29:30]
	v_add_f64 v[13:14], v[13:14], v[25:26]
	s_clause 0x2
	buffer_load_dword v38, off, s[0:3], 0 offset:428
	buffer_load_dword v26, off, s[0:3], 0 offset:404
	;; [unrolled: 1-line block ×3, first 2 shown]
	ds_read_b128 v[5:8], v70 offset:1152
	s_waitcnt vmcnt(58) lgkmcnt(1)
	v_mul_f64 v[29:30], v[9:10], v[43:44]
	v_mul_f64 v[43:44], v[11:12], v[43:44]
	s_waitcnt vmcnt(56)
	v_fma_f64 v[39:40], v[1:2], v[45:46], -v[39:40]
	v_add_f64 v[21:22], v[21:22], v[35:36]
	v_fma_f64 v[35:36], v[3:4], v[45:46], v[127:128]
	v_add_f64 v[13:14], v[13:14], v[23:24]
	s_clause 0x4
	buffer_load_dword v24, off, s[0:3], 0 offset:444
	buffer_load_dword v45, off, s[0:3], 0 offset:456
	;; [unrolled: 1-line block ×5, first 2 shown]
	s_waitcnt vmcnt(57) lgkmcnt(0)
	v_mul_f64 v[127:128], v[5:6], v[47:48]
	v_mul_f64 v[47:48], v[7:8], v[47:48]
	s_waitcnt vmcnt(56)
	v_fma_f64 v[43:44], v[9:10], v[31:32], -v[43:44]
	ds_read_b128 v[1:4], v70 offset:1168
	v_fma_f64 v[29:30], v[11:12], v[31:32], v[29:30]
	s_clause 0x2
	buffer_load_dword v46, off, s[0:3], 0 offset:460
	buffer_load_dword v32, off, s[0:3], 0 offset:436
	;; [unrolled: 1-line block ×3, first 2 shown]
	ds_read_b128 v[9:12], v70 offset:1184
	v_add_f64 v[21:22], v[21:22], v[39:40]
	v_add_f64 v[13:14], v[13:14], v[35:36]
	s_waitcnt vmcnt(58) lgkmcnt(1)
	v_mul_f64 v[39:40], v[3:4], v[51:52]
	s_waitcnt vmcnt(56)
	v_fma_f64 v[47:48], v[5:6], v[53:54], -v[47:48]
	v_mul_f64 v[35:36], v[1:2], v[51:52]
	v_add_f64 v[21:22], v[21:22], v[43:44]
	v_fma_f64 v[43:44], v[7:8], v[53:54], v[127:128]
	v_add_f64 v[13:14], v[13:14], v[29:30]
	s_clause 0x4
	buffer_load_dword v30, off, s[0:3], 0 offset:476
	buffer_load_dword v51, off, s[0:3], 0 offset:488
	;; [unrolled: 1-line block ×5, first 2 shown]
	s_waitcnt vmcnt(57) lgkmcnt(0)
	v_mul_f64 v[127:128], v[9:10], v[55:56]
	v_mul_f64 v[54:55], v[11:12], v[55:56]
	s_waitcnt vmcnt(56)
	v_fma_f64 v[39:40], v[1:2], v[41:42], -v[39:40]
	ds_read_b128 v[5:8], v70 offset:1200
	v_fma_f64 v[35:36], v[3:4], v[41:42], v[35:36]
	s_clause 0x2
	buffer_load_dword v52, off, s[0:3], 0 offset:492
	buffer_load_dword v42, off, s[0:3], 0 offset:468
	;; [unrolled: 1-line block ×3, first 2 shown]
	ds_read_b128 v[1:4], v70 offset:1216
	v_add_f64 v[21:22], v[21:22], v[47:48]
	v_add_f64 v[13:14], v[13:14], v[43:44]
	s_waitcnt vmcnt(58) lgkmcnt(1)
	v_mul_f64 v[47:48], v[7:8], v[59:60]
	s_waitcnt vmcnt(56)
	v_fma_f64 v[55:56], v[9:10], v[61:62], -v[54:55]
	v_mul_f64 v[43:44], v[5:6], v[59:60]
	v_add_f64 v[21:22], v[21:22], v[39:40]
	v_fma_f64 v[39:40], v[11:12], v[61:62], v[127:128]
	v_add_f64 v[13:14], v[13:14], v[35:36]
	s_clause 0x4
	buffer_load_dword v36, off, s[0:3], 0 offset:508
	buffer_load_dword v59, off, s[0:3], 0 offset:520
	;; [unrolled: 1-line block ×5, first 2 shown]
	s_waitcnt vmcnt(57) lgkmcnt(0)
	v_mul_f64 v[127:128], v[1:2], v[63:64]
	v_mul_f64 v[62:63], v[3:4], v[63:64]
	s_waitcnt vmcnt(56)
	v_fma_f64 v[47:48], v[5:6], v[49:50], -v[47:48]
	ds_read_b128 v[9:12], v70 offset:1232
	v_fma_f64 v[43:44], v[7:8], v[49:50], v[43:44]
	v_add_f64 v[21:22], v[21:22], v[55:56]
	v_add_f64 v[13:14], v[13:14], v[39:40]
	s_clause 0x2
	buffer_load_dword v60, off, s[0:3], 0 offset:524
	buffer_load_dword v40, off, s[0:3], 0 offset:500
	;; [unrolled: 1-line block ×3, first 2 shown]
	ds_read_b128 v[5:8], v70 offset:1248
	s_waitcnt vmcnt(58) lgkmcnt(1)
	v_mul_f64 v[55:56], v[11:12], v[65:66]
	s_waitcnt vmcnt(56)
	v_fma_f64 v[63:64], v[1:2], v[67:68], -v[62:63]
	v_mul_f64 v[49:50], v[9:10], v[65:66]
	v_add_f64 v[21:22], v[21:22], v[47:48]
	v_fma_f64 v[47:48], v[3:4], v[67:68], v[127:128]
	v_add_f64 v[13:14], v[13:14], v[43:44]
	s_clause 0x4
	buffer_load_dword v44, off, s[0:3], 0 offset:540
	buffer_load_dword v65, off, s[0:3], 0 offset:552
	;; [unrolled: 1-line block ×5, first 2 shown]
	s_waitcnt vmcnt(57) lgkmcnt(0)
	v_mul_f64 v[127:128], v[5:6], v[99:100]
	v_mul_f64 v[99:100], v[7:8], v[99:100]
	s_waitcnt vmcnt(56)
	v_fma_f64 v[55:56], v[9:10], v[57:58], -v[55:56]
	ds_read_b128 v[1:4], v70 offset:1264
	v_fma_f64 v[49:50], v[11:12], v[57:58], v[49:50]
	v_add_f64 v[21:22], v[21:22], v[63:64]
	v_add_f64 v[13:14], v[13:14], v[47:48]
	s_clause 0x2
	buffer_load_dword v66, off, s[0:3], 0 offset:556
	buffer_load_dword v48, off, s[0:3], 0 offset:532
	;; [unrolled: 1-line block ×3, first 2 shown]
	ds_read_b128 v[9:12], v70 offset:1280
	s_waitcnt vmcnt(58) lgkmcnt(1)
	v_mul_f64 v[63:64], v[3:4], v[109:110]
	v_mul_f64 v[57:58], v[1:2], v[109:110]
	s_waitcnt vmcnt(56)
	v_fma_f64 v[99:100], v[5:6], v[17:18], -v[99:100]
	v_fma_f64 v[17:18], v[7:8], v[17:18], v[127:128]
	v_add_f64 v[21:22], v[21:22], v[55:56]
	v_add_f64 v[13:14], v[13:14], v[49:50]
	s_clause 0x4
	buffer_load_dword v50, off, s[0:3], 0 offset:572
	buffer_load_dword v55, off, s[0:3], 0 offset:584
	;; [unrolled: 1-line block ×5, first 2 shown]
	ds_read_b128 v[5:8], v70 offset:1296
	s_waitcnt vmcnt(57) lgkmcnt(1)
	v_mul_f64 v[127:128], v[9:10], v[15:16]
	v_mul_f64 v[15:16], v[11:12], v[15:16]
	s_waitcnt vmcnt(56)
	v_fma_f64 v[63:64], v[1:2], v[111:112], -v[63:64]
	v_fma_f64 v[57:58], v[3:4], v[111:112], v[57:58]
	v_add_f64 v[21:22], v[21:22], v[99:100]
	v_add_f64 v[13:14], v[13:14], v[17:18]
	s_clause 0x2
	buffer_load_dword v56, off, s[0:3], 0 offset:588
	buffer_load_dword v18, off, s[0:3], 0 offset:564
	;; [unrolled: 1-line block ×3, first 2 shown]
	s_waitcnt vmcnt(58) lgkmcnt(0)
	v_mul_f64 v[111:112], v[7:8], v[113:114]
	ds_read_b128 v[1:4], v70 offset:1312
	v_mul_f64 v[99:100], v[5:6], v[113:114]
	s_waitcnt vmcnt(56)
	v_fma_f64 v[15:16], v[9:10], v[95:96], -v[15:16]
	v_add_f64 v[21:22], v[21:22], v[63:64]
	v_fma_f64 v[63:64], v[11:12], v[95:96], v[127:128]
	v_add_f64 v[13:14], v[13:14], v[57:58]
	s_clause 0x4
	buffer_load_dword v58, off, s[0:3], 0 offset:604
	buffer_load_dword v95, off, s[0:3], 0 offset:616
	;; [unrolled: 1-line block ×5, first 2 shown]
	ds_read_b128 v[9:12], v70 offset:1328
	s_waitcnt vmcnt(57) lgkmcnt(1)
	v_mul_f64 v[127:128], v[1:2], v[33:34]
	v_mul_f64 v[33:34], v[3:4], v[33:34]
	s_waitcnt vmcnt(56)
	v_fma_f64 v[111:112], v[5:6], v[125:126], -v[111:112]
	v_add_f64 v[15:16], v[21:22], v[15:16]
	v_fma_f64 v[21:22], v[7:8], v[125:126], v[99:100]
	v_add_f64 v[13:14], v[13:14], v[63:64]
	s_clause 0x2
	buffer_load_dword v96, off, s[0:3], 0 offset:620
	buffer_load_dword v64, off, s[0:3], 0 offset:596
	;; [unrolled: 1-line block ×3, first 2 shown]
	ds_read_b128 v[5:8], v70 offset:1344
	s_waitcnt vmcnt(58) lgkmcnt(1)
	v_mul_f64 v[99:100], v[9:10], v[97:98]
	v_mul_f64 v[97:98], v[11:12], v[97:98]
	s_waitcnt vmcnt(56)
	v_fma_f64 v[33:34], v[1:2], v[27:28], -v[33:34]
	v_fma_f64 v[27:28], v[3:4], v[27:28], v[127:128]
	v_add_f64 v[15:16], v[15:16], v[111:112]
	v_add_f64 v[13:14], v[13:14], v[21:22]
	s_clause 0x4
	buffer_load_dword v22, off, s[0:3], 0 offset:636
	buffer_load_dword v111, off, s[0:3], 0 offset:648
	;; [unrolled: 1-line block ×5, first 2 shown]
	ds_read_b128 v[1:4], v70 offset:1360
	s_waitcnt vmcnt(57) lgkmcnt(1)
	v_mul_f64 v[126:127], v[5:6], v[19:20]
	v_mul_f64 v[19:20], v[7:8], v[19:20]
	s_waitcnt vmcnt(56)
	v_fma_f64 v[97:98], v[9:10], v[123:124], -v[97:98]
	v_add_f64 v[15:16], v[15:16], v[33:34]
	v_fma_f64 v[33:34], v[11:12], v[123:124], v[99:100]
	v_add_f64 v[13:14], v[13:14], v[27:28]
	s_clause 0x2
	buffer_load_dword v112, off, s[0:3], 0 offset:652
	buffer_load_dword v28, off, s[0:3], 0 offset:628
	;; [unrolled: 1-line block ×3, first 2 shown]
	ds_read_b128 v[9:12], v70 offset:1376
	s_waitcnt vmcnt(58) lgkmcnt(1)
	v_mul_f64 v[99:100], v[1:2], v[37:38]
	v_mul_f64 v[37:38], v[3:4], v[37:38]
	s_waitcnt vmcnt(56)
	v_fma_f64 v[19:20], v[5:6], v[25:26], -v[19:20]
	v_fma_f64 v[25:26], v[7:8], v[25:26], v[126:127]
	v_add_f64 v[15:16], v[15:16], v[97:98]
	v_add_f64 v[13:14], v[13:14], v[33:34]
	s_clause 0x4
	buffer_load_dword v34, off, s[0:3], 0 offset:668
	buffer_load_dword v97, off, s[0:3], 0 offset:680
	;; [unrolled: 1-line block ×5, first 2 shown]
	ds_read_b128 v[5:8], v70 offset:1392
	s_waitcnt vmcnt(57) lgkmcnt(1)
	v_mul_f64 v[127:128], v[9:10], v[23:24]
	v_mul_f64 v[23:24], v[11:12], v[23:24]
	s_waitcnt vmcnt(56)
	v_fma_f64 v[37:38], v[1:2], v[115:116], -v[37:38]
	v_add_f64 v[15:16], v[15:16], v[19:20]
	v_fma_f64 v[19:20], v[3:4], v[115:116], v[99:100]
	v_add_f64 v[13:14], v[13:14], v[25:26]
	s_clause 0x2
	buffer_load_dword v98, off, s[0:3], 0 offset:684
	buffer_load_dword v26, off, s[0:3], 0 offset:660
	;; [unrolled: 1-line block ×3, first 2 shown]
	s_waitcnt vmcnt(58) lgkmcnt(0)
	v_mul_f64 v[99:100], v[5:6], v[45:46]
	v_mul_f64 v[45:46], v[7:8], v[45:46]
	ds_read_b128 v[1:4], v70 offset:1408
	s_waitcnt vmcnt(56)
	v_fma_f64 v[23:24], v[9:10], v[31:32], -v[23:24]
	v_fma_f64 v[31:32], v[11:12], v[31:32], v[127:128]
	v_add_f64 v[15:16], v[15:16], v[37:38]
	v_add_f64 v[13:14], v[13:14], v[19:20]
	s_clause 0x4
	buffer_load_dword v20, off, s[0:3], 0 offset:700
	buffer_load_dword v37, off, s[0:3], 0 offset:712
	;; [unrolled: 1-line block ×5, first 2 shown]
	ds_read_b128 v[9:12], v70 offset:1424
	s_waitcnt vmcnt(57) lgkmcnt(1)
	v_mul_f64 v[127:128], v[1:2], v[29:30]
	v_mul_f64 v[29:30], v[3:4], v[29:30]
	s_waitcnt vmcnt(56)
	v_fma_f64 v[45:46], v[5:6], v[93:94], -v[45:46]
	v_add_f64 v[15:16], v[15:16], v[23:24]
	v_fma_f64 v[23:24], v[7:8], v[93:94], v[99:100]
	v_add_f64 v[13:14], v[13:14], v[31:32]
	s_clause 0x2
	buffer_load_dword v38, off, s[0:3], 0 offset:716
	buffer_load_dword v32, off, s[0:3], 0 offset:692
	buffer_load_dword v31, off, s[0:3], 0 offset:688
	s_waitcnt vmcnt(58) lgkmcnt(0)
	v_mul_f64 v[93:94], v[9:10], v[51:52]
	v_mul_f64 v[51:52], v[11:12], v[51:52]
	ds_read_b128 v[5:8], v70 offset:1440
	s_waitcnt vmcnt(56)
	v_fma_f64 v[29:30], v[1:2], v[41:42], -v[29:30]
	v_fma_f64 v[41:42], v[3:4], v[41:42], v[127:128]
	v_add_f64 v[15:16], v[15:16], v[45:46]
	v_add_f64 v[13:14], v[13:14], v[23:24]
	s_clause 0x4
	buffer_load_dword v24, off, s[0:3], 0 offset:732
	buffer_load_dword v45, off, s[0:3], 0 offset:744
	buffer_load_dword v99, off, s[0:3], 0 offset:736
	buffer_load_dword v23, off, s[0:3], 0 offset:728
	buffer_load_dword v116, off, s[0:3], 0 offset:708
	ds_read_b128 v[1:4], v70 offset:1456
	s_waitcnt vmcnt(57) lgkmcnt(1)
	v_mul_f64 v[127:128], v[5:6], v[35:36]
	v_mul_f64 v[35:36], v[7:8], v[35:36]
	s_waitcnt vmcnt(56)
	v_fma_f64 v[51:52], v[9:10], v[53:54], -v[51:52]
	v_add_f64 v[15:16], v[15:16], v[29:30]
	v_fma_f64 v[29:30], v[11:12], v[53:54], v[93:94]
	v_add_f64 v[13:14], v[13:14], v[41:42]
	s_clause 0x2
	buffer_load_dword v46, off, s[0:3], 0 offset:748
	buffer_load_dword v42, off, s[0:3], 0 offset:724
	buffer_load_dword v41, off, s[0:3], 0 offset:720
	ds_read_b128 v[9:12], v70 offset:1472
	s_waitcnt vmcnt(58) lgkmcnt(1)
	v_mul_f64 v[53:54], v[1:2], v[59:60]
	v_mul_f64 v[59:60], v[3:4], v[59:60]
	s_waitcnt vmcnt(56)
	v_fma_f64 v[35:36], v[5:6], v[39:40], -v[35:36]
	v_fma_f64 v[39:40], v[7:8], v[39:40], v[127:128]
	v_add_f64 v[15:16], v[15:16], v[51:52]
	v_add_f64 v[13:14], v[13:14], v[29:30]
	s_clause 0x4
	buffer_load_dword v30, off, s[0:3], 0 offset:764
	buffer_load_dword v51, off, s[0:3], 0 offset:776
	buffer_load_dword v93, off, s[0:3], 0 offset:768
	buffer_load_dword v29, off, s[0:3], 0 offset:760
	buffer_load_dword v100, off, s[0:3], 0 offset:740
	ds_read_b128 v[5:8], v70 offset:1488
	s_waitcnt vmcnt(57) lgkmcnt(1)
	v_mul_f64 v[127:128], v[9:10], v[43:44]
	v_mul_f64 v[43:44], v[11:12], v[43:44]
	s_waitcnt vmcnt(56)
	v_fma_f64 v[59:60], v[1:2], v[61:62], -v[59:60]
	v_add_f64 v[15:16], v[15:16], v[35:36]
	v_fma_f64 v[35:36], v[3:4], v[61:62], v[53:54]
	v_add_f64 v[13:14], v[13:14], v[39:40]
	s_clause 0x2
	buffer_load_dword v52, off, s[0:3], 0 offset:780
	buffer_load_dword v40, off, s[0:3], 0 offset:756
	buffer_load_dword v39, off, s[0:3], 0 offset:752
	ds_read_b128 v[1:4], v70 offset:1504
	s_waitcnt vmcnt(58) lgkmcnt(1)
	v_mul_f64 v[61:62], v[7:8], v[65:66]
	v_mul_f64 v[53:54], v[5:6], v[65:66]
	;; [unrolled: 28-line block ×4, first 2 shown]
	s_waitcnt vmcnt(56)
	v_fma_f64 v[57:58], v[5:6], v[63:64], -v[57:58]
	v_add_f64 v[15:16], v[15:16], v[55:56]
	v_fma_f64 v[55:56], v[7:8], v[63:64], v[127:128]
	v_add_f64 v[13:14], v[13:14], v[49:50]
	s_clause 0x4
	buffer_load_dword v50, off, s[0:3], 0 offset:860
	buffer_load_dword v63, off, s[0:3], 0 offset:872
	;; [unrolled: 1-line block ×5, first 2 shown]
	ds_read_b128 v[5:8], v70 offset:1584
	s_waitcnt vmcnt(57) lgkmcnt(1)
	v_mul_f64 v[127:128], v[9:10], v[21:22]
	v_mul_f64 v[21:22], v[11:12], v[21:22]
	s_waitcnt vmcnt(56)
	v_fma_f64 v[95:96], v[1:2], v[113:114], -v[95:96]
	v_fma_f64 v[53:54], v[3:4], v[113:114], v[53:54]
	v_add_f64 v[15:16], v[15:16], v[57:58]
	v_add_f64 v[13:14], v[13:14], v[55:56]
	s_clause 0x2
	buffer_load_dword v64, off, s[0:3], 0 offset:876
	buffer_load_dword v56, off, s[0:3], 0 offset:852
	buffer_load_dword v55, off, s[0:3], 0 offset:848
	ds_read_b128 v[1:4], v70 offset:1600
	s_waitcnt vmcnt(58) lgkmcnt(1)
	v_mul_f64 v[57:58], v[5:6], v[111:112]
	v_mul_f64 v[111:112], v[7:8], v[111:112]
	s_waitcnt vmcnt(56)
	v_fma_f64 v[21:22], v[9:10], v[27:28], -v[21:22]
	v_fma_f64 v[27:28], v[11:12], v[27:28], v[127:128]
	v_add_f64 v[15:16], v[15:16], v[95:96]
	v_add_f64 v[13:14], v[13:14], v[53:54]
	s_clause 0x4
	buffer_load_dword v54, off, s[0:3], 0 offset:892
	buffer_load_dword v95, off, s[0:3], 0 offset:904
	buffer_load_dword v113, off, s[0:3], 0 offset:896
	buffer_load_dword v53, off, s[0:3], 0 offset:888
	buffer_load_dword v110, off, s[0:3], 0 offset:868
	ds_read_b128 v[9:12], v70 offset:1616
	s_waitcnt vmcnt(57) lgkmcnt(1)
	v_mul_f64 v[127:128], v[1:2], v[33:34]
	v_mul_f64 v[33:34], v[3:4], v[33:34]
	s_waitcnt vmcnt(56)
	v_fma_f64 v[111:112], v[5:6], v[125:126], -v[111:112]
	v_add_f64 v[15:16], v[15:16], v[21:22]
	v_fma_f64 v[21:22], v[7:8], v[125:126], v[57:58]
	v_add_f64 v[13:14], v[13:14], v[27:28]
	s_clause 0x2
	buffer_load_dword v96, off, s[0:3], 0 offset:908
	buffer_load_dword v28, off, s[0:3], 0 offset:884
	buffer_load_dword v27, off, s[0:3], 0 offset:880
	ds_read_b128 v[5:8], v70 offset:1632
	s_waitcnt vmcnt(58) lgkmcnt(1)
	v_mul_f64 v[57:58], v[9:10], v[97:98]
	v_mul_f64 v[97:98], v[11:12], v[97:98]
	s_waitcnt vmcnt(56)
	v_fma_f64 v[33:34], v[1:2], v[25:26], -v[33:34]
	v_fma_f64 v[25:26], v[3:4], v[25:26], v[127:128]
	v_add_f64 v[15:16], v[15:16], v[111:112]
	v_add_f64 v[13:14], v[13:14], v[21:22]
	s_clause 0x4
	buffer_load_dword v22, off, s[0:3], 0 offset:924
	buffer_load_dword v111, off, s[0:3], 0 offset:936
	buffer_load_dword v125, off, s[0:3], 0 offset:928
	buffer_load_dword v21, off, s[0:3], 0 offset:920
	buffer_load_dword v114, off, s[0:3], 0 offset:900
	ds_read_b128 v[1:4], v70 offset:1648
	s_waitcnt vmcnt(57) lgkmcnt(1)
	v_mul_f64 v[126:127], v[5:6], v[19:20]
	v_mul_f64 v[19:20], v[7:8], v[19:20]
	s_waitcnt vmcnt(56)
	v_fma_f64 v[97:98], v[9:10], v[123:124], -v[97:98]
	v_add_f64 v[15:16], v[15:16], v[33:34]
	v_fma_f64 v[33:34], v[11:12], v[123:124], v[57:58]
	;; [unrolled: 28-line block ×3, first 2 shown]
	v_add_f64 v[13:14], v[13:14], v[31:32]
	s_clause 0x2
	buffer_load_dword v98, off, s[0:3], 0 offset:972
	buffer_load_dword v32, off, s[0:3], 0 offset:948
	;; [unrolled: 1-line block ×3, first 2 shown]
	ds_read_b128 v[1:4], v70 offset:1696
	buffer_load_dword v124, off, s[0:3], 0 offset:964
	s_waitcnt vmcnt(59) lgkmcnt(1)
	v_mul_f64 v[57:58], v[5:6], v[45:46]
	v_mul_f64 v[45:46], v[7:8], v[45:46]
	s_waitcnt vmcnt(57)
	v_fma_f64 v[23:24], v[9:10], v[41:42], -v[23:24]
	v_add_f64 v[15:16], v[15:16], v[37:38]
	v_fma_f64 v[37:38], v[11:12], v[41:42], v[127:128]
	v_add_f64 v[13:14], v[13:14], v[19:20]
	ds_read_b128 v[9:12], v70 offset:1712
	s_waitcnt vmcnt(53) lgkmcnt(1)
	v_mul_f64 v[19:20], v[1:2], v[29:30]
	v_mul_f64 v[29:30], v[3:4], v[29:30]
	s_waitcnt vmcnt(52)
	v_fma_f64 v[41:42], v[5:6], v[99:100], -v[45:46]
	v_add_f64 v[15:16], v[15:16], v[23:24]
	v_fma_f64 v[23:24], v[7:8], v[99:100], v[57:58]
	v_add_f64 v[13:14], v[13:14], v[37:38]
	ds_read_b128 v[5:8], v70 offset:1728
	s_waitcnt vmcnt(51) lgkmcnt(1)
	v_mul_f64 v[45:46], v[11:12], v[51:52]
	v_mul_f64 v[37:38], v[9:10], v[51:52]
	s_waitcnt vmcnt(49)
	v_fma_f64 v[29:30], v[1:2], v[39:40], -v[29:30]
	v_fma_f64 v[19:20], v[3:4], v[39:40], v[19:20]
	v_add_f64 v[15:16], v[15:16], v[41:42]
	v_add_f64 v[13:14], v[13:14], v[23:24]
	s_clause 0x3
	buffer_load_dword v23, off, s[0:3], 0 offset:48
	buffer_load_dword v24, off, s[0:3], 0 offset:52
	;; [unrolled: 1-line block ×4, first 2 shown]
	ds_read_b128 v[1:4], v70 offset:1744
	s_waitcnt vmcnt(49) lgkmcnt(1)
	v_mul_f64 v[41:42], v[5:6], v[35:36]
	v_mul_f64 v[35:36], v[7:8], v[35:36]
	s_waitcnt vmcnt(48)
	v_fma_f64 v[45:46], v[9:10], v[93:94], -v[45:46]
	v_add_f64 v[15:16], v[15:16], v[29:30]
	v_fma_f64 v[29:30], v[11:12], v[93:94], v[37:38]
	v_add_f64 v[13:14], v[13:14], v[19:20]
	ds_read_b128 v[9:12], v70 offset:1760
	s_waitcnt vmcnt(47) lgkmcnt(1)
	v_mul_f64 v[37:38], v[3:4], v[59:60]
	v_mul_f64 v[19:20], v[1:2], v[59:60]
	s_waitcnt vmcnt(45)
	v_fma_f64 v[35:36], v[5:6], v[47:48], -v[35:36]
	v_fma_f64 v[41:42], v[7:8], v[47:48], v[41:42]
	ds_read_b128 v[5:8], v70 offset:1776
	v_add_f64 v[15:16], v[15:16], v[45:46]
	v_add_f64 v[13:14], v[13:14], v[29:30]
	s_waitcnt vmcnt(41) lgkmcnt(1)
	v_mul_f64 v[29:30], v[9:10], v[43:44]
	v_mul_f64 v[43:44], v[11:12], v[43:44]
	s_waitcnt vmcnt(40)
	v_fma_f64 v[37:38], v[1:2], v[65:66], -v[37:38]
	v_fma_f64 v[19:20], v[3:4], v[65:66], v[19:20]
	ds_read_b128 v[1:4], v70 offset:1792
	v_add_f64 v[15:16], v[15:16], v[35:36]
	v_add_f64 v[13:14], v[13:14], v[41:42]
	;; [unrolled: 9-line block ×3, first 2 shown]
	s_waitcnt vmcnt(33) lgkmcnt(1)
	v_mul_f64 v[29:30], v[3:4], v[49:50]
	s_waitcnt vmcnt(32)
	v_fma_f64 v[37:38], v[5:6], v[67:68], -v[41:42]
	v_mul_f64 v[19:20], v[1:2], v[49:50]
	v_fma_f64 v[35:36], v[7:8], v[67:68], v[35:36]
	ds_read_b128 v[5:8], v70 offset:1824
	v_add_f64 v[15:16], v[15:16], v[43:44]
	v_add_f64 v[13:14], v[13:14], v[17:18]
	s_waitcnt vmcnt(31) lgkmcnt(1)
	v_mul_f64 v[41:42], v[11:12], v[63:64]
	v_mul_f64 v[17:18], v[9:10], v[63:64]
	s_waitcnt vmcnt(29)
	v_fma_f64 v[29:30], v[1:2], v[55:56], -v[29:30]
	v_fma_f64 v[19:20], v[3:4], v[55:56], v[19:20]
	ds_read_b128 v[1:4], v70 offset:1840
	v_add_f64 v[15:16], v[15:16], v[37:38]
	v_add_f64 v[13:14], v[13:14], v[35:36]
	s_waitcnt vmcnt(25) lgkmcnt(1)
	v_mul_f64 v[37:38], v[7:8], v[53:54]
	s_waitcnt vmcnt(24)
	v_fma_f64 v[41:42], v[9:10], v[109:110], -v[41:42]
	v_mul_f64 v[35:36], v[5:6], v[53:54]
	v_fma_f64 v[17:18], v[11:12], v[109:110], v[17:18]
	ds_read_b128 v[9:12], v70 offset:1856
	v_add_f64 v[15:16], v[15:16], v[29:30]
	v_add_f64 v[13:14], v[13:14], v[19:20]
	s_waitcnt vmcnt(23) lgkmcnt(1)
	v_mul_f64 v[29:30], v[3:4], v[95:96]
	v_mul_f64 v[19:20], v[1:2], v[95:96]
	s_waitcnt vmcnt(21)
	v_fma_f64 v[37:38], v[5:6], v[27:28], -v[37:38]
	v_fma_f64 v[27:28], v[7:8], v[27:28], v[35:36]
	ds_read_b128 v[5:8], v70 offset:1872
	v_add_f64 v[15:16], v[15:16], v[41:42]
	v_add_f64 v[13:14], v[13:14], v[17:18]
	s_waitcnt vmcnt(17) lgkmcnt(1)
	v_mul_f64 v[17:18], v[9:10], v[21:22]
	v_mul_f64 v[21:22], v[11:12], v[21:22]
	s_waitcnt vmcnt(16)
	v_fma_f64 v[29:30], v[1:2], v[113:114], -v[29:30]
	;; [unrolled: 9-line block ×3, first 2 shown]
	v_fma_f64 v[17:18], v[11:12], v[25:26], v[17:18]
	ds_read_b128 v[9:12], v70 offset:1904
	v_add_f64 v[15:16], v[15:16], v[29:30]
	v_add_f64 v[13:14], v[13:14], v[19:20]
	s_waitcnt vmcnt(9) lgkmcnt(1)
	v_mul_f64 v[25:26], v[3:4], v[33:34]
	s_waitcnt vmcnt(8)
	v_fma_f64 v[5:6], v[5:6], v[125:126], -v[35:36]
	v_mul_f64 v[19:20], v[1:2], v[33:34]
	v_fma_f64 v[7:8], v[7:8], v[125:126], v[27:28]
	v_add_f64 v[15:16], v[15:16], v[21:22]
	v_add_f64 v[13:14], v[13:14], v[17:18]
	s_waitcnt vmcnt(7) lgkmcnt(0)
	v_mul_f64 v[21:22], v[11:12], v[97:98]
	v_mul_f64 v[17:18], v[9:10], v[97:98]
	s_waitcnt vmcnt(5)
	v_fma_f64 v[1:2], v[1:2], v[31:32], -v[25:26]
	v_fma_f64 v[3:4], v[3:4], v[31:32], v[19:20]
	v_add_f64 v[5:6], v[15:16], v[5:6]
	v_add_f64 v[7:8], v[13:14], v[7:8]
	s_waitcnt vmcnt(4)
	v_fma_f64 v[9:10], v[9:10], v[123:124], -v[21:22]
	v_add_f64 v[1:2], v[5:6], v[1:2]
	v_fma_f64 v[5:6], v[11:12], v[123:124], v[17:18]
	v_add_f64 v[3:4], v[7:8], v[3:4]
	v_add_f64 v[1:2], v[1:2], v[9:10]
	;; [unrolled: 1-line block ×3, first 2 shown]
	s_waitcnt vmcnt(2)
	v_add_f64 v[1:2], v[23:24], -v[1:2]
	s_waitcnt vmcnt(0)
	v_add_f64 v[3:4], v[39:40], -v[3:4]
	buffer_store_dword v2, off, s[0:3], 0 offset:52
	buffer_store_dword v1, off, s[0:3], 0 offset:48
	buffer_store_dword v4, off, s[0:3], 0 offset:60
	buffer_store_dword v3, off, s[0:3], 0 offset:56
	v_cmpx_lt_u32_e32 1, v0
	s_cbranch_execz .LBB59_371
; %bb.370:
	v_mov_b32_e32 v4, s71
	s_clause 0x3
	buffer_load_dword v1, v4, s[0:3], 0 offen
	buffer_load_dword v2, v4, s[0:3], 0 offen offset:4
	buffer_load_dword v3, v4, s[0:3], 0 offen offset:8
	;; [unrolled: 1-line block ×3, first 2 shown]
	buffer_store_dword v70, off, s[0:3], 0 offset:32
	buffer_store_dword v70, off, s[0:3], 0 offset:36
	;; [unrolled: 1-line block ×4, first 2 shown]
	s_waitcnt vmcnt(0)
	ds_write_b128 v69, v[1:4]
.LBB59_371:
	s_or_b32 exec_lo, exec_lo, s4
	s_waitcnt lgkmcnt(0)
	s_waitcnt_vscnt null, 0x0
	s_barrier
	buffer_gl0_inv
	s_clause 0x37
	buffer_load_dword v17, off, s[0:3], 0 offset:56
	buffer_load_dword v18, off, s[0:3], 0 offset:60
	;; [unrolled: 1-line block ×56, first 2 shown]
	ds_read_b128 v[5:8], v70 offset:992
	s_clause 0x2
	buffer_load_dword v66, off, s[0:3], 0 offset:284
	buffer_load_dword v68, off, s[0:3], 0 offset:260
	;; [unrolled: 1-line block ×3, first 2 shown]
	ds_read_b128 v[1:4], v70 offset:1008
	s_clause 0x4
	buffer_load_dword v100, off, s[0:3], 0 offset:300
	buffer_load_dword v109, off, s[0:3], 0 offset:312
	;; [unrolled: 1-line block ×5, first 2 shown]
	ds_read_b128 v[93:96], v70 offset:1024
	s_mov_b32 s4, exec_lo
	s_waitcnt vmcnt(62) lgkmcnt(2)
	v_mul_f64 v[97:98], v[7:8], v[17:18]
	v_mul_f64 v[17:18], v[5:6], v[17:18]
	s_waitcnt vmcnt(60) lgkmcnt(1)
	v_mul_f64 v[112:113], v[3:4], v[13:14]
	v_mul_f64 v[13:14], v[1:2], v[13:14]
	;; [unrolled: 3-line block ×3, first 2 shown]
	v_fma_f64 v[97:98], v[5:6], v[15:16], -v[97:98]
	v_fma_f64 v[15:16], v[7:8], v[15:16], v[17:18]
	s_clause 0x2
	buffer_load_dword v110, off, s[0:3], 0 offset:316
	buffer_load_dword v18, off, s[0:3], 0 offset:292
	;; [unrolled: 1-line block ×3, first 2 shown]
	s_waitcnt vmcnt(57)
	v_fma_f64 v[123:124], v[1:2], v[9:10], -v[112:113]
	ds_read_b128 v[5:8], v70 offset:1040
	v_fma_f64 v[9:10], v[3:4], v[9:10], v[13:14]
	s_waitcnt vmcnt(51)
	v_fma_f64 v[93:94], v[93:94], v[33:34], -v[11:12]
	v_fma_f64 v[33:34], v[95:96], v[33:34], v[114:115]
	v_add_f64 v[97:98], v[97:98], 0
	v_add_f64 v[13:14], v[15:16], 0
	s_clause 0x4
	buffer_load_dword v16, off, s[0:3], 0 offset:332
	buffer_load_dword v113, off, s[0:3], 0 offset:344
	buffer_load_dword v125, off, s[0:3], 0 offset:336
	buffer_load_dword v15, off, s[0:3], 0 offset:328
	buffer_load_dword v112, off, s[0:3], 0 offset:308
	s_waitcnt lgkmcnt(0)
	v_mul_f64 v[126:127], v[5:6], v[21:22]
	v_mul_f64 v[21:22], v[7:8], v[21:22]
	ds_read_b128 v[1:4], v70 offset:1056
	s_clause 0x2
	buffer_load_dword v114, off, s[0:3], 0 offset:348
	buffer_load_dword v96, off, s[0:3], 0 offset:324
	;; [unrolled: 1-line block ×3, first 2 shown]
	v_add_f64 v[97:98], v[97:98], v[123:124]
	v_add_f64 v[13:14], v[13:14], v[9:10]
	ds_read_b128 v[9:12], v70 offset:1072
	s_waitcnt vmcnt(58) lgkmcnt(1)
	v_mul_f64 v[115:116], v[1:2], v[25:26]
	v_mul_f64 v[25:26], v[3:4], v[25:26]
	s_waitcnt vmcnt(56)
	v_fma_f64 v[21:22], v[5:6], v[27:28], -v[21:22]
	v_fma_f64 v[27:28], v[7:8], v[27:28], v[126:127]
	s_waitcnt vmcnt(52) lgkmcnt(0)
	v_mul_f64 v[127:128], v[9:10], v[29:30]
	v_add_f64 v[93:94], v[97:98], v[93:94]
	v_add_f64 v[13:14], v[13:14], v[33:34]
	s_clause 0x4
	buffer_load_dword v34, off, s[0:3], 0 offset:364
	buffer_load_dword v97, off, s[0:3], 0 offset:376
	;; [unrolled: 1-line block ×5, first 2 shown]
	v_mul_f64 v[29:30], v[11:12], v[29:30]
	s_waitcnt vmcnt(56)
	v_fma_f64 v[25:26], v[1:2], v[19:20], -v[25:26]
	ds_read_b128 v[5:8], v70 offset:1088
	v_fma_f64 v[19:20], v[3:4], v[19:20], v[115:116]
	v_add_f64 v[21:22], v[93:94], v[21:22]
	v_add_f64 v[13:14], v[13:14], v[27:28]
	s_clause 0x2
	buffer_load_dword v98, off, s[0:3], 0 offset:380
	buffer_load_dword v28, off, s[0:3], 0 offset:356
	;; [unrolled: 1-line block ×3, first 2 shown]
	s_waitcnt vmcnt(58) lgkmcnt(0)
	v_mul_f64 v[93:94], v[5:6], v[35:36]
	v_mul_f64 v[35:36], v[7:8], v[35:36]
	s_waitcnt vmcnt(56)
	v_fma_f64 v[29:30], v[9:10], v[37:38], -v[29:30]
	ds_read_b128 v[1:4], v70 offset:1104
	v_add_f64 v[21:22], v[21:22], v[25:26]
	v_fma_f64 v[25:26], v[11:12], v[37:38], v[127:128]
	v_add_f64 v[13:14], v[13:14], v[19:20]
	s_clause 0x4
	buffer_load_dword v20, off, s[0:3], 0 offset:396
	buffer_load_dword v37, off, s[0:3], 0 offset:408
	;; [unrolled: 1-line block ×5, first 2 shown]
	s_waitcnt vmcnt(57) lgkmcnt(0)
	v_mul_f64 v[127:128], v[1:2], v[39:40]
	v_mul_f64 v[39:40], v[3:4], v[39:40]
	s_waitcnt vmcnt(56)
	v_fma_f64 v[35:36], v[5:6], v[23:24], -v[35:36]
	ds_read_b128 v[9:12], v70 offset:1120
	v_fma_f64 v[23:24], v[7:8], v[23:24], v[93:94]
	v_add_f64 v[21:22], v[21:22], v[29:30]
	v_add_f64 v[13:14], v[13:14], v[25:26]
	s_clause 0x2
	buffer_load_dword v38, off, s[0:3], 0 offset:412
	buffer_load_dword v26, off, s[0:3], 0 offset:388
	;; [unrolled: 1-line block ×3, first 2 shown]
	ds_read_b128 v[5:8], v70 offset:1136
	s_waitcnt vmcnt(58) lgkmcnt(1)
	v_mul_f64 v[29:30], v[9:10], v[43:44]
	v_mul_f64 v[43:44], v[11:12], v[43:44]
	s_waitcnt vmcnt(56)
	v_fma_f64 v[39:40], v[1:2], v[45:46], -v[39:40]
	v_add_f64 v[21:22], v[21:22], v[35:36]
	v_fma_f64 v[35:36], v[3:4], v[45:46], v[127:128]
	v_add_f64 v[13:14], v[13:14], v[23:24]
	s_clause 0x4
	buffer_load_dword v24, off, s[0:3], 0 offset:428
	buffer_load_dword v45, off, s[0:3], 0 offset:440
	buffer_load_dword v93, off, s[0:3], 0 offset:432
	buffer_load_dword v23, off, s[0:3], 0 offset:424
	buffer_load_dword v116, off, s[0:3], 0 offset:404
	s_waitcnt vmcnt(57) lgkmcnt(0)
	v_mul_f64 v[127:128], v[5:6], v[47:48]
	v_mul_f64 v[47:48], v[7:8], v[47:48]
	s_waitcnt vmcnt(56)
	v_fma_f64 v[43:44], v[9:10], v[31:32], -v[43:44]
	ds_read_b128 v[1:4], v70 offset:1152
	v_fma_f64 v[29:30], v[11:12], v[31:32], v[29:30]
	s_clause 0x2
	buffer_load_dword v46, off, s[0:3], 0 offset:444
	buffer_load_dword v32, off, s[0:3], 0 offset:420
	buffer_load_dword v31, off, s[0:3], 0 offset:416
	ds_read_b128 v[9:12], v70 offset:1168
	v_add_f64 v[21:22], v[21:22], v[39:40]
	v_add_f64 v[13:14], v[13:14], v[35:36]
	s_waitcnt vmcnt(58) lgkmcnt(1)
	v_mul_f64 v[39:40], v[3:4], v[51:52]
	s_waitcnt vmcnt(56)
	v_fma_f64 v[47:48], v[5:6], v[53:54], -v[47:48]
	v_mul_f64 v[35:36], v[1:2], v[51:52]
	v_add_f64 v[21:22], v[21:22], v[43:44]
	v_fma_f64 v[43:44], v[7:8], v[53:54], v[127:128]
	v_add_f64 v[13:14], v[13:14], v[29:30]
	s_clause 0x4
	buffer_load_dword v30, off, s[0:3], 0 offset:460
	buffer_load_dword v51, off, s[0:3], 0 offset:472
	buffer_load_dword v53, off, s[0:3], 0 offset:464
	buffer_load_dword v29, off, s[0:3], 0 offset:456
	buffer_load_dword v94, off, s[0:3], 0 offset:436
	s_waitcnt vmcnt(57) lgkmcnt(0)
	v_mul_f64 v[127:128], v[9:10], v[55:56]
	v_mul_f64 v[54:55], v[11:12], v[55:56]
	s_waitcnt vmcnt(56)
	v_fma_f64 v[39:40], v[1:2], v[41:42], -v[39:40]
	ds_read_b128 v[5:8], v70 offset:1184
	v_fma_f64 v[35:36], v[3:4], v[41:42], v[35:36]
	s_clause 0x2
	buffer_load_dword v52, off, s[0:3], 0 offset:476
	buffer_load_dword v42, off, s[0:3], 0 offset:452
	buffer_load_dword v41, off, s[0:3], 0 offset:448
	ds_read_b128 v[1:4], v70 offset:1200
	v_add_f64 v[21:22], v[21:22], v[47:48]
	v_add_f64 v[13:14], v[13:14], v[43:44]
	s_waitcnt vmcnt(58) lgkmcnt(1)
	v_mul_f64 v[47:48], v[7:8], v[59:60]
	s_waitcnt vmcnt(56)
	v_fma_f64 v[55:56], v[9:10], v[61:62], -v[54:55]
	v_mul_f64 v[43:44], v[5:6], v[59:60]
	v_add_f64 v[21:22], v[21:22], v[39:40]
	v_fma_f64 v[39:40], v[11:12], v[61:62], v[127:128]
	v_add_f64 v[13:14], v[13:14], v[35:36]
	s_clause 0x4
	buffer_load_dword v36, off, s[0:3], 0 offset:492
	buffer_load_dword v59, off, s[0:3], 0 offset:504
	;; [unrolled: 1-line block ×5, first 2 shown]
	s_waitcnt vmcnt(57) lgkmcnt(0)
	v_mul_f64 v[127:128], v[1:2], v[63:64]
	v_mul_f64 v[62:63], v[3:4], v[63:64]
	s_waitcnt vmcnt(56)
	v_fma_f64 v[47:48], v[5:6], v[49:50], -v[47:48]
	ds_read_b128 v[9:12], v70 offset:1216
	v_fma_f64 v[43:44], v[7:8], v[49:50], v[43:44]
	v_add_f64 v[21:22], v[21:22], v[55:56]
	v_add_f64 v[13:14], v[13:14], v[39:40]
	s_clause 0x2
	buffer_load_dword v60, off, s[0:3], 0 offset:508
	buffer_load_dword v40, off, s[0:3], 0 offset:484
	;; [unrolled: 1-line block ×3, first 2 shown]
	ds_read_b128 v[5:8], v70 offset:1232
	s_waitcnt vmcnt(58) lgkmcnt(1)
	v_mul_f64 v[55:56], v[11:12], v[65:66]
	s_waitcnt vmcnt(56)
	v_fma_f64 v[63:64], v[1:2], v[67:68], -v[62:63]
	v_mul_f64 v[49:50], v[9:10], v[65:66]
	v_add_f64 v[21:22], v[21:22], v[47:48]
	v_fma_f64 v[47:48], v[3:4], v[67:68], v[127:128]
	v_add_f64 v[13:14], v[13:14], v[43:44]
	s_clause 0x4
	buffer_load_dword v44, off, s[0:3], 0 offset:524
	buffer_load_dword v65, off, s[0:3], 0 offset:536
	;; [unrolled: 1-line block ×5, first 2 shown]
	s_waitcnt vmcnt(57) lgkmcnt(0)
	v_mul_f64 v[127:128], v[5:6], v[99:100]
	v_mul_f64 v[99:100], v[7:8], v[99:100]
	s_waitcnt vmcnt(56)
	v_fma_f64 v[55:56], v[9:10], v[57:58], -v[55:56]
	ds_read_b128 v[1:4], v70 offset:1248
	v_fma_f64 v[49:50], v[11:12], v[57:58], v[49:50]
	v_add_f64 v[21:22], v[21:22], v[63:64]
	v_add_f64 v[13:14], v[13:14], v[47:48]
	s_clause 0x2
	buffer_load_dword v66, off, s[0:3], 0 offset:540
	buffer_load_dword v48, off, s[0:3], 0 offset:516
	;; [unrolled: 1-line block ×3, first 2 shown]
	ds_read_b128 v[9:12], v70 offset:1264
	s_waitcnt vmcnt(58) lgkmcnt(1)
	v_mul_f64 v[63:64], v[3:4], v[109:110]
	v_mul_f64 v[57:58], v[1:2], v[109:110]
	s_waitcnt vmcnt(56)
	v_fma_f64 v[99:100], v[5:6], v[17:18], -v[99:100]
	v_fma_f64 v[17:18], v[7:8], v[17:18], v[127:128]
	v_add_f64 v[21:22], v[21:22], v[55:56]
	v_add_f64 v[13:14], v[13:14], v[49:50]
	s_clause 0x4
	buffer_load_dword v50, off, s[0:3], 0 offset:556
	buffer_load_dword v55, off, s[0:3], 0 offset:568
	;; [unrolled: 1-line block ×5, first 2 shown]
	ds_read_b128 v[5:8], v70 offset:1280
	s_waitcnt vmcnt(57) lgkmcnt(1)
	v_mul_f64 v[127:128], v[9:10], v[15:16]
	v_mul_f64 v[15:16], v[11:12], v[15:16]
	s_waitcnt vmcnt(56)
	v_fma_f64 v[63:64], v[1:2], v[111:112], -v[63:64]
	v_fma_f64 v[57:58], v[3:4], v[111:112], v[57:58]
	v_add_f64 v[21:22], v[21:22], v[99:100]
	v_add_f64 v[13:14], v[13:14], v[17:18]
	s_clause 0x2
	buffer_load_dword v56, off, s[0:3], 0 offset:572
	buffer_load_dword v18, off, s[0:3], 0 offset:548
	;; [unrolled: 1-line block ×3, first 2 shown]
	s_waitcnt vmcnt(58) lgkmcnt(0)
	v_mul_f64 v[111:112], v[7:8], v[113:114]
	ds_read_b128 v[1:4], v70 offset:1296
	v_mul_f64 v[99:100], v[5:6], v[113:114]
	s_waitcnt vmcnt(56)
	v_fma_f64 v[15:16], v[9:10], v[95:96], -v[15:16]
	v_add_f64 v[21:22], v[21:22], v[63:64]
	v_fma_f64 v[63:64], v[11:12], v[95:96], v[127:128]
	v_add_f64 v[13:14], v[13:14], v[57:58]
	s_clause 0x4
	buffer_load_dword v58, off, s[0:3], 0 offset:588
	buffer_load_dword v95, off, s[0:3], 0 offset:600
	;; [unrolled: 1-line block ×5, first 2 shown]
	ds_read_b128 v[9:12], v70 offset:1312
	s_waitcnt vmcnt(57) lgkmcnt(1)
	v_mul_f64 v[127:128], v[1:2], v[33:34]
	v_mul_f64 v[33:34], v[3:4], v[33:34]
	s_waitcnt vmcnt(56)
	v_fma_f64 v[111:112], v[5:6], v[125:126], -v[111:112]
	v_add_f64 v[15:16], v[21:22], v[15:16]
	v_fma_f64 v[21:22], v[7:8], v[125:126], v[99:100]
	v_add_f64 v[13:14], v[13:14], v[63:64]
	s_clause 0x2
	buffer_load_dword v96, off, s[0:3], 0 offset:604
	buffer_load_dword v64, off, s[0:3], 0 offset:580
	;; [unrolled: 1-line block ×3, first 2 shown]
	ds_read_b128 v[5:8], v70 offset:1328
	s_waitcnt vmcnt(58) lgkmcnt(1)
	v_mul_f64 v[99:100], v[9:10], v[97:98]
	v_mul_f64 v[97:98], v[11:12], v[97:98]
	s_waitcnt vmcnt(56)
	v_fma_f64 v[33:34], v[1:2], v[27:28], -v[33:34]
	v_fma_f64 v[27:28], v[3:4], v[27:28], v[127:128]
	v_add_f64 v[15:16], v[15:16], v[111:112]
	v_add_f64 v[13:14], v[13:14], v[21:22]
	s_clause 0x4
	buffer_load_dword v22, off, s[0:3], 0 offset:620
	buffer_load_dword v111, off, s[0:3], 0 offset:632
	;; [unrolled: 1-line block ×5, first 2 shown]
	ds_read_b128 v[1:4], v70 offset:1344
	s_waitcnt vmcnt(57) lgkmcnt(1)
	v_mul_f64 v[126:127], v[5:6], v[19:20]
	v_mul_f64 v[19:20], v[7:8], v[19:20]
	s_waitcnt vmcnt(56)
	v_fma_f64 v[97:98], v[9:10], v[123:124], -v[97:98]
	v_add_f64 v[15:16], v[15:16], v[33:34]
	v_fma_f64 v[33:34], v[11:12], v[123:124], v[99:100]
	v_add_f64 v[13:14], v[13:14], v[27:28]
	s_clause 0x2
	buffer_load_dword v112, off, s[0:3], 0 offset:636
	buffer_load_dword v28, off, s[0:3], 0 offset:612
	;; [unrolled: 1-line block ×3, first 2 shown]
	ds_read_b128 v[9:12], v70 offset:1360
	s_waitcnt vmcnt(58) lgkmcnt(1)
	v_mul_f64 v[99:100], v[1:2], v[37:38]
	v_mul_f64 v[37:38], v[3:4], v[37:38]
	s_waitcnt vmcnt(56)
	v_fma_f64 v[19:20], v[5:6], v[25:26], -v[19:20]
	v_fma_f64 v[25:26], v[7:8], v[25:26], v[126:127]
	v_add_f64 v[15:16], v[15:16], v[97:98]
	v_add_f64 v[13:14], v[13:14], v[33:34]
	s_clause 0x4
	buffer_load_dword v34, off, s[0:3], 0 offset:652
	buffer_load_dword v97, off, s[0:3], 0 offset:664
	buffer_load_dword v123, off, s[0:3], 0 offset:656
	buffer_load_dword v33, off, s[0:3], 0 offset:648
	buffer_load_dword v126, off, s[0:3], 0 offset:628
	ds_read_b128 v[5:8], v70 offset:1376
	s_waitcnt vmcnt(57) lgkmcnt(1)
	v_mul_f64 v[127:128], v[9:10], v[23:24]
	v_mul_f64 v[23:24], v[11:12], v[23:24]
	s_waitcnt vmcnt(56)
	v_fma_f64 v[37:38], v[1:2], v[115:116], -v[37:38]
	v_add_f64 v[15:16], v[15:16], v[19:20]
	v_fma_f64 v[19:20], v[3:4], v[115:116], v[99:100]
	v_add_f64 v[13:14], v[13:14], v[25:26]
	s_clause 0x2
	buffer_load_dword v98, off, s[0:3], 0 offset:668
	buffer_load_dword v26, off, s[0:3], 0 offset:644
	;; [unrolled: 1-line block ×3, first 2 shown]
	s_waitcnt vmcnt(58) lgkmcnt(0)
	v_mul_f64 v[99:100], v[5:6], v[45:46]
	v_mul_f64 v[45:46], v[7:8], v[45:46]
	ds_read_b128 v[1:4], v70 offset:1392
	s_waitcnt vmcnt(56)
	v_fma_f64 v[23:24], v[9:10], v[31:32], -v[23:24]
	v_fma_f64 v[31:32], v[11:12], v[31:32], v[127:128]
	v_add_f64 v[15:16], v[15:16], v[37:38]
	v_add_f64 v[13:14], v[13:14], v[19:20]
	s_clause 0x4
	buffer_load_dword v20, off, s[0:3], 0 offset:684
	buffer_load_dword v37, off, s[0:3], 0 offset:696
	;; [unrolled: 1-line block ×5, first 2 shown]
	ds_read_b128 v[9:12], v70 offset:1408
	s_waitcnt vmcnt(57) lgkmcnt(1)
	v_mul_f64 v[127:128], v[1:2], v[29:30]
	v_mul_f64 v[29:30], v[3:4], v[29:30]
	s_waitcnt vmcnt(56)
	v_fma_f64 v[45:46], v[5:6], v[93:94], -v[45:46]
	v_add_f64 v[15:16], v[15:16], v[23:24]
	v_fma_f64 v[23:24], v[7:8], v[93:94], v[99:100]
	v_add_f64 v[13:14], v[13:14], v[31:32]
	s_clause 0x2
	buffer_load_dword v38, off, s[0:3], 0 offset:700
	buffer_load_dword v32, off, s[0:3], 0 offset:676
	;; [unrolled: 1-line block ×3, first 2 shown]
	s_waitcnt vmcnt(58) lgkmcnt(0)
	v_mul_f64 v[93:94], v[9:10], v[51:52]
	v_mul_f64 v[51:52], v[11:12], v[51:52]
	ds_read_b128 v[5:8], v70 offset:1424
	s_waitcnt vmcnt(56)
	v_fma_f64 v[29:30], v[1:2], v[41:42], -v[29:30]
	v_fma_f64 v[41:42], v[3:4], v[41:42], v[127:128]
	v_add_f64 v[15:16], v[15:16], v[45:46]
	v_add_f64 v[13:14], v[13:14], v[23:24]
	s_clause 0x4
	buffer_load_dword v24, off, s[0:3], 0 offset:716
	buffer_load_dword v45, off, s[0:3], 0 offset:728
	buffer_load_dword v99, off, s[0:3], 0 offset:720
	buffer_load_dword v23, off, s[0:3], 0 offset:712
	buffer_load_dword v116, off, s[0:3], 0 offset:692
	ds_read_b128 v[1:4], v70 offset:1440
	s_waitcnt vmcnt(57) lgkmcnt(1)
	v_mul_f64 v[127:128], v[5:6], v[35:36]
	v_mul_f64 v[35:36], v[7:8], v[35:36]
	s_waitcnt vmcnt(56)
	v_fma_f64 v[51:52], v[9:10], v[53:54], -v[51:52]
	v_add_f64 v[15:16], v[15:16], v[29:30]
	v_fma_f64 v[29:30], v[11:12], v[53:54], v[93:94]
	v_add_f64 v[13:14], v[13:14], v[41:42]
	s_clause 0x2
	buffer_load_dword v46, off, s[0:3], 0 offset:732
	buffer_load_dword v42, off, s[0:3], 0 offset:708
	buffer_load_dword v41, off, s[0:3], 0 offset:704
	ds_read_b128 v[9:12], v70 offset:1456
	s_waitcnt vmcnt(58) lgkmcnt(1)
	v_mul_f64 v[53:54], v[1:2], v[59:60]
	v_mul_f64 v[59:60], v[3:4], v[59:60]
	s_waitcnt vmcnt(56)
	v_fma_f64 v[35:36], v[5:6], v[39:40], -v[35:36]
	v_fma_f64 v[39:40], v[7:8], v[39:40], v[127:128]
	v_add_f64 v[15:16], v[15:16], v[51:52]
	v_add_f64 v[13:14], v[13:14], v[29:30]
	s_clause 0x4
	buffer_load_dword v30, off, s[0:3], 0 offset:748
	buffer_load_dword v51, off, s[0:3], 0 offset:760
	buffer_load_dword v93, off, s[0:3], 0 offset:752
	buffer_load_dword v29, off, s[0:3], 0 offset:744
	buffer_load_dword v100, off, s[0:3], 0 offset:724
	ds_read_b128 v[5:8], v70 offset:1472
	s_waitcnt vmcnt(57) lgkmcnt(1)
	v_mul_f64 v[127:128], v[9:10], v[43:44]
	v_mul_f64 v[43:44], v[11:12], v[43:44]
	s_waitcnt vmcnt(56)
	v_fma_f64 v[59:60], v[1:2], v[61:62], -v[59:60]
	v_add_f64 v[15:16], v[15:16], v[35:36]
	v_fma_f64 v[35:36], v[3:4], v[61:62], v[53:54]
	v_add_f64 v[13:14], v[13:14], v[39:40]
	s_clause 0x2
	buffer_load_dword v52, off, s[0:3], 0 offset:764
	buffer_load_dword v40, off, s[0:3], 0 offset:740
	buffer_load_dword v39, off, s[0:3], 0 offset:736
	ds_read_b128 v[1:4], v70 offset:1488
	s_waitcnt vmcnt(58) lgkmcnt(1)
	v_mul_f64 v[61:62], v[7:8], v[65:66]
	v_mul_f64 v[53:54], v[5:6], v[65:66]
	s_waitcnt vmcnt(56)
	v_fma_f64 v[43:44], v[9:10], v[47:48], -v[43:44]
	v_fma_f64 v[47:48], v[11:12], v[47:48], v[127:128]
	v_add_f64 v[15:16], v[15:16], v[59:60]
	v_add_f64 v[13:14], v[13:14], v[35:36]
	s_clause 0x4
	buffer_load_dword v36, off, s[0:3], 0 offset:780
	buffer_load_dword v59, off, s[0:3], 0 offset:792
	buffer_load_dword v65, off, s[0:3], 0 offset:784
	buffer_load_dword v35, off, s[0:3], 0 offset:776
	buffer_load_dword v94, off, s[0:3], 0 offset:756
	ds_read_b128 v[9:12], v70 offset:1504
	s_waitcnt vmcnt(57) lgkmcnt(1)
	v_mul_f64 v[127:128], v[1:2], v[49:50]
	v_mul_f64 v[49:50], v[3:4], v[49:50]
	s_waitcnt vmcnt(56)
	v_fma_f64 v[61:62], v[5:6], v[67:68], -v[61:62]
	v_add_f64 v[15:16], v[15:16], v[43:44]
	v_fma_f64 v[43:44], v[7:8], v[67:68], v[53:54]
	v_add_f64 v[13:14], v[13:14], v[47:48]
	s_clause 0x2
	buffer_load_dword v60, off, s[0:3], 0 offset:796
	buffer_load_dword v48, off, s[0:3], 0 offset:772
	buffer_load_dword v47, off, s[0:3], 0 offset:768
	ds_read_b128 v[5:8], v70 offset:1520
	s_waitcnt vmcnt(58) lgkmcnt(1)
	v_mul_f64 v[53:54], v[9:10], v[55:56]
	v_mul_f64 v[55:56], v[11:12], v[55:56]
	s_waitcnt vmcnt(56)
	v_fma_f64 v[49:50], v[1:2], v[17:18], -v[49:50]
	v_fma_f64 v[17:18], v[3:4], v[17:18], v[127:128]
	v_add_f64 v[15:16], v[15:16], v[61:62]
	v_add_f64 v[13:14], v[13:14], v[43:44]
	s_clause 0x4
	buffer_load_dword v44, off, s[0:3], 0 offset:812
	buffer_load_dword v61, off, s[0:3], 0 offset:824
	buffer_load_dword v67, off, s[0:3], 0 offset:816
	buffer_load_dword v43, off, s[0:3], 0 offset:808
	buffer_load_dword v66, off, s[0:3], 0 offset:788
	ds_read_b128 v[1:4], v70 offset:1536
	s_waitcnt vmcnt(57) lgkmcnt(1)
	v_mul_f64 v[127:128], v[5:6], v[57:58]
	v_mul_f64 v[57:58], v[7:8], v[57:58]
	s_waitcnt vmcnt(56)
	v_fma_f64 v[55:56], v[9:10], v[109:110], -v[55:56]
	v_add_f64 v[15:16], v[15:16], v[49:50]
	v_fma_f64 v[49:50], v[11:12], v[109:110], v[53:54]
	v_add_f64 v[13:14], v[13:14], v[17:18]
	s_clause 0x2
	buffer_load_dword v62, off, s[0:3], 0 offset:828
	buffer_load_dword v18, off, s[0:3], 0 offset:804
	buffer_load_dword v17, off, s[0:3], 0 offset:800
	ds_read_b128 v[9:12], v70 offset:1552
	s_waitcnt vmcnt(58) lgkmcnt(1)
	v_mul_f64 v[53:54], v[1:2], v[95:96]
	v_mul_f64 v[95:96], v[3:4], v[95:96]
	s_waitcnt vmcnt(56)
	v_fma_f64 v[57:58], v[5:6], v[63:64], -v[57:58]
	v_add_f64 v[15:16], v[15:16], v[55:56]
	v_fma_f64 v[55:56], v[7:8], v[63:64], v[127:128]
	v_add_f64 v[13:14], v[13:14], v[49:50]
	s_clause 0x4
	buffer_load_dword v50, off, s[0:3], 0 offset:844
	buffer_load_dword v63, off, s[0:3], 0 offset:856
	;; [unrolled: 1-line block ×5, first 2 shown]
	ds_read_b128 v[5:8], v70 offset:1568
	s_waitcnt vmcnt(57) lgkmcnt(1)
	v_mul_f64 v[127:128], v[9:10], v[21:22]
	v_mul_f64 v[21:22], v[11:12], v[21:22]
	s_waitcnt vmcnt(56)
	v_fma_f64 v[95:96], v[1:2], v[113:114], -v[95:96]
	v_fma_f64 v[53:54], v[3:4], v[113:114], v[53:54]
	v_add_f64 v[15:16], v[15:16], v[57:58]
	v_add_f64 v[13:14], v[13:14], v[55:56]
	s_clause 0x2
	buffer_load_dword v64, off, s[0:3], 0 offset:860
	buffer_load_dword v56, off, s[0:3], 0 offset:836
	buffer_load_dword v55, off, s[0:3], 0 offset:832
	ds_read_b128 v[1:4], v70 offset:1584
	s_waitcnt vmcnt(58) lgkmcnt(1)
	v_mul_f64 v[57:58], v[5:6], v[111:112]
	v_mul_f64 v[111:112], v[7:8], v[111:112]
	s_waitcnt vmcnt(56)
	v_fma_f64 v[21:22], v[9:10], v[27:28], -v[21:22]
	v_fma_f64 v[27:28], v[11:12], v[27:28], v[127:128]
	v_add_f64 v[15:16], v[15:16], v[95:96]
	v_add_f64 v[13:14], v[13:14], v[53:54]
	s_clause 0x4
	buffer_load_dword v54, off, s[0:3], 0 offset:876
	buffer_load_dword v95, off, s[0:3], 0 offset:888
	buffer_load_dword v113, off, s[0:3], 0 offset:880
	buffer_load_dword v53, off, s[0:3], 0 offset:872
	buffer_load_dword v110, off, s[0:3], 0 offset:852
	ds_read_b128 v[9:12], v70 offset:1600
	s_waitcnt vmcnt(57) lgkmcnt(1)
	v_mul_f64 v[127:128], v[1:2], v[33:34]
	v_mul_f64 v[33:34], v[3:4], v[33:34]
	s_waitcnt vmcnt(56)
	v_fma_f64 v[111:112], v[5:6], v[125:126], -v[111:112]
	v_add_f64 v[15:16], v[15:16], v[21:22]
	v_fma_f64 v[21:22], v[7:8], v[125:126], v[57:58]
	v_add_f64 v[13:14], v[13:14], v[27:28]
	s_clause 0x2
	buffer_load_dword v96, off, s[0:3], 0 offset:892
	buffer_load_dword v28, off, s[0:3], 0 offset:868
	buffer_load_dword v27, off, s[0:3], 0 offset:864
	ds_read_b128 v[5:8], v70 offset:1616
	s_waitcnt vmcnt(58) lgkmcnt(1)
	v_mul_f64 v[57:58], v[9:10], v[97:98]
	v_mul_f64 v[97:98], v[11:12], v[97:98]
	s_waitcnt vmcnt(56)
	v_fma_f64 v[33:34], v[1:2], v[25:26], -v[33:34]
	v_fma_f64 v[25:26], v[3:4], v[25:26], v[127:128]
	v_add_f64 v[15:16], v[15:16], v[111:112]
	v_add_f64 v[13:14], v[13:14], v[21:22]
	s_clause 0x4
	buffer_load_dword v22, off, s[0:3], 0 offset:908
	buffer_load_dword v111, off, s[0:3], 0 offset:920
	buffer_load_dword v125, off, s[0:3], 0 offset:912
	buffer_load_dword v21, off, s[0:3], 0 offset:904
	buffer_load_dword v114, off, s[0:3], 0 offset:884
	ds_read_b128 v[1:4], v70 offset:1632
	s_waitcnt vmcnt(57) lgkmcnt(1)
	v_mul_f64 v[126:127], v[5:6], v[19:20]
	v_mul_f64 v[19:20], v[7:8], v[19:20]
	s_waitcnt vmcnt(56)
	v_fma_f64 v[97:98], v[9:10], v[123:124], -v[97:98]
	v_add_f64 v[15:16], v[15:16], v[33:34]
	v_fma_f64 v[33:34], v[11:12], v[123:124], v[57:58]
	;; [unrolled: 28-line block ×3, first 2 shown]
	v_add_f64 v[13:14], v[13:14], v[31:32]
	s_clause 0x2
	buffer_load_dword v98, off, s[0:3], 0 offset:956
	buffer_load_dword v32, off, s[0:3], 0 offset:932
	;; [unrolled: 1-line block ×3, first 2 shown]
	ds_read_b128 v[1:4], v70 offset:1680
	s_waitcnt vmcnt(58) lgkmcnt(1)
	v_mul_f64 v[57:58], v[5:6], v[45:46]
	v_mul_f64 v[45:46], v[7:8], v[45:46]
	s_waitcnt vmcnt(56)
	v_fma_f64 v[23:24], v[9:10], v[41:42], -v[23:24]
	v_add_f64 v[15:16], v[15:16], v[37:38]
	v_fma_f64 v[37:38], v[11:12], v[41:42], v[127:128]
	v_add_f64 v[13:14], v[13:14], v[19:20]
	s_clause 0x2
	buffer_load_dword v20, off, s[0:3], 0 offset:972
	buffer_load_dword v19, off, s[0:3], 0 offset:968
	;; [unrolled: 1-line block ×3, first 2 shown]
	ds_read_b128 v[9:12], v70 offset:1696
	s_waitcnt vmcnt(55) lgkmcnt(1)
	v_mul_f64 v[41:42], v[1:2], v[29:30]
	v_mul_f64 v[29:30], v[3:4], v[29:30]
	s_waitcnt vmcnt(54)
	v_fma_f64 v[45:46], v[5:6], v[99:100], -v[45:46]
	v_add_f64 v[15:16], v[15:16], v[23:24]
	v_fma_f64 v[23:24], v[7:8], v[99:100], v[57:58]
	v_add_f64 v[13:14], v[13:14], v[37:38]
	s_clause 0x1
	buffer_load_dword v38, off, s[0:3], 0 offset:964
	buffer_load_dword v37, off, s[0:3], 0 offset:960
	ds_read_b128 v[5:8], v70 offset:1712
	s_waitcnt vmcnt(55) lgkmcnt(1)
	v_mul_f64 v[57:58], v[9:10], v[51:52]
	v_mul_f64 v[51:52], v[11:12], v[51:52]
	s_waitcnt vmcnt(53)
	v_fma_f64 v[29:30], v[1:2], v[39:40], -v[29:30]
	v_fma_f64 v[39:40], v[3:4], v[39:40], v[41:42]
	ds_read_b128 v[1:4], v70 offset:1728
	v_add_f64 v[15:16], v[15:16], v[45:46]
	v_add_f64 v[13:14], v[13:14], v[23:24]
	s_waitcnt vmcnt(49) lgkmcnt(1)
	v_mul_f64 v[23:24], v[5:6], v[35:36]
	v_mul_f64 v[35:36], v[7:8], v[35:36]
	s_waitcnt vmcnt(48)
	v_fma_f64 v[41:42], v[9:10], v[93:94], -v[51:52]
	v_add_f64 v[15:16], v[15:16], v[29:30]
	v_fma_f64 v[29:30], v[11:12], v[93:94], v[57:58]
	v_add_f64 v[13:14], v[13:14], v[39:40]
	s_clause 0x3
	buffer_load_dword v39, off, s[0:3], 0 offset:32
	buffer_load_dword v40, off, s[0:3], 0 offset:36
	buffer_load_dword v45, off, s[0:3], 0 offset:40
	buffer_load_dword v46, off, s[0:3], 0 offset:44
	ds_read_b128 v[9:12], v70 offset:1744
	s_waitcnt vmcnt(51) lgkmcnt(1)
	v_mul_f64 v[57:58], v[3:4], v[59:60]
	v_mul_f64 v[51:52], v[1:2], v[59:60]
	s_waitcnt vmcnt(49)
	v_fma_f64 v[35:36], v[5:6], v[47:48], -v[35:36]
	v_fma_f64 v[23:24], v[7:8], v[47:48], v[23:24]
	ds_read_b128 v[5:8], v70 offset:1760
	v_add_f64 v[15:16], v[15:16], v[41:42]
	v_add_f64 v[13:14], v[13:14], v[29:30]
	s_waitcnt vmcnt(45) lgkmcnt(1)
	v_mul_f64 v[29:30], v[9:10], v[43:44]
	v_mul_f64 v[41:42], v[11:12], v[43:44]
	s_waitcnt vmcnt(44)
	v_fma_f64 v[43:44], v[1:2], v[65:66], -v[57:58]
	v_add_f64 v[15:16], v[15:16], v[35:36]
	v_fma_f64 v[35:36], v[3:4], v[65:66], v[51:52]
	v_add_f64 v[13:14], v[13:14], v[23:24]
	ds_read_b128 v[1:4], v70 offset:1776
	s_waitcnt vmcnt(43) lgkmcnt(1)
	v_mul_f64 v[47:48], v[7:8], v[61:62]
	v_mul_f64 v[23:24], v[5:6], v[61:62]
	s_waitcnt vmcnt(41)
	v_fma_f64 v[41:42], v[9:10], v[17:18], -v[41:42]
	v_fma_f64 v[17:18], v[11:12], v[17:18], v[29:30]
	ds_read_b128 v[9:12], v70 offset:1792
	v_add_f64 v[15:16], v[15:16], v[43:44]
	v_add_f64 v[13:14], v[13:14], v[35:36]
	s_waitcnt vmcnt(37) lgkmcnt(1)
	v_mul_f64 v[35:36], v[3:4], v[49:50]
	s_waitcnt vmcnt(36)
	v_fma_f64 v[43:44], v[5:6], v[67:68], -v[47:48]
	v_mul_f64 v[29:30], v[1:2], v[49:50]
	v_fma_f64 v[23:24], v[7:8], v[67:68], v[23:24]
	ds_read_b128 v[5:8], v70 offset:1808
	v_add_f64 v[15:16], v[15:16], v[41:42]
	v_add_f64 v[13:14], v[13:14], v[17:18]
	s_waitcnt vmcnt(35) lgkmcnt(1)
	v_mul_f64 v[41:42], v[11:12], v[63:64]
	v_mul_f64 v[17:18], v[9:10], v[63:64]
	s_waitcnt vmcnt(33)
	v_fma_f64 v[35:36], v[1:2], v[55:56], -v[35:36]
	v_fma_f64 v[29:30], v[3:4], v[55:56], v[29:30]
	ds_read_b128 v[1:4], v70 offset:1824
	v_add_f64 v[15:16], v[15:16], v[43:44]
	v_add_f64 v[13:14], v[13:14], v[23:24]
	s_waitcnt vmcnt(29) lgkmcnt(1)
	v_mul_f64 v[43:44], v[7:8], v[53:54]
	s_waitcnt vmcnt(28)
	v_fma_f64 v[41:42], v[9:10], v[109:110], -v[41:42]
	v_mul_f64 v[23:24], v[5:6], v[53:54]
	v_fma_f64 v[17:18], v[11:12], v[109:110], v[17:18]
	ds_read_b128 v[9:12], v70 offset:1840
	v_add_f64 v[15:16], v[15:16], v[35:36]
	v_add_f64 v[13:14], v[13:14], v[29:30]
	s_waitcnt vmcnt(27) lgkmcnt(1)
	v_mul_f64 v[35:36], v[3:4], v[95:96]
	v_mul_f64 v[29:30], v[1:2], v[95:96]
	s_waitcnt vmcnt(25)
	v_fma_f64 v[43:44], v[5:6], v[27:28], -v[43:44]
	v_fma_f64 v[23:24], v[7:8], v[27:28], v[23:24]
	ds_read_b128 v[5:8], v70 offset:1856
	v_add_f64 v[15:16], v[15:16], v[41:42]
	v_add_f64 v[13:14], v[13:14], v[17:18]
	s_waitcnt vmcnt(21) lgkmcnt(1)
	v_mul_f64 v[17:18], v[9:10], v[21:22]
	v_mul_f64 v[21:22], v[11:12], v[21:22]
	s_waitcnt vmcnt(20)
	v_fma_f64 v[27:28], v[1:2], v[113:114], -v[35:36]
	;; [unrolled: 9-line block ×3, first 2 shown]
	v_fma_f64 v[17:18], v[11:12], v[25:26], v[17:18]
	ds_read_b128 v[9:12], v70 offset:1888
	v_add_f64 v[15:16], v[15:16], v[27:28]
	v_add_f64 v[13:14], v[13:14], v[29:30]
	s_waitcnt vmcnt(13) lgkmcnt(1)
	v_mul_f64 v[27:28], v[3:4], v[33:34]
	s_waitcnt vmcnt(12)
	v_fma_f64 v[29:30], v[5:6], v[125:126], -v[35:36]
	v_mul_f64 v[25:26], v[1:2], v[33:34]
	v_add_f64 v[15:16], v[15:16], v[21:22]
	v_fma_f64 v[21:22], v[7:8], v[125:126], v[23:24]
	v_add_f64 v[13:14], v[13:14], v[17:18]
	ds_read_b128 v[5:8], v70 offset:1904
	s_waitcnt vmcnt(11) lgkmcnt(1)
	v_mul_f64 v[23:24], v[11:12], v[97:98]
	v_mul_f64 v[17:18], v[9:10], v[97:98]
	s_waitcnt vmcnt(9)
	v_fma_f64 v[1:2], v[1:2], v[31:32], -v[27:28]
	v_fma_f64 v[3:4], v[3:4], v[31:32], v[25:26]
	v_add_f64 v[15:16], v[15:16], v[29:30]
	v_add_f64 v[13:14], v[13:14], v[21:22]
	s_waitcnt vmcnt(7) lgkmcnt(0)
	v_mul_f64 v[21:22], v[5:6], v[19:20]
	v_mul_f64 v[19:20], v[7:8], v[19:20]
	s_waitcnt vmcnt(6)
	v_fma_f64 v[9:10], v[9:10], v[123:124], -v[23:24]
	v_fma_f64 v[11:12], v[11:12], v[123:124], v[17:18]
	v_add_f64 v[1:2], v[15:16], v[1:2]
	v_add_f64 v[3:4], v[13:14], v[3:4]
	s_waitcnt vmcnt(4)
	v_fma_f64 v[5:6], v[5:6], v[37:38], -v[19:20]
	v_fma_f64 v[7:8], v[7:8], v[37:38], v[21:22]
	v_add_f64 v[1:2], v[1:2], v[9:10]
	v_add_f64 v[3:4], v[3:4], v[11:12]
	;; [unrolled: 1-line block ×4, first 2 shown]
	s_waitcnt vmcnt(2)
	v_add_f64 v[1:2], v[39:40], -v[1:2]
	s_waitcnt vmcnt(0)
	v_add_f64 v[3:4], v[45:46], -v[3:4]
	buffer_store_dword v2, off, s[0:3], 0 offset:36
	buffer_store_dword v1, off, s[0:3], 0 offset:32
	;; [unrolled: 1-line block ×4, first 2 shown]
	v_cmpx_ne_u32_e32 0, v0
	s_cbranch_execz .LBB59_373
; %bb.372:
	s_clause 0x3
	buffer_load_dword v0, off, s[0:3], 0 offset:16
	buffer_load_dword v1, off, s[0:3], 0 offset:20
	;; [unrolled: 1-line block ×4, first 2 shown]
	v_mov_b32_e32 v4, 0
	buffer_store_dword v4, off, s[0:3], 0 offset:16
	buffer_store_dword v4, off, s[0:3], 0 offset:20
	;; [unrolled: 1-line block ×4, first 2 shown]
	s_waitcnt vmcnt(0)
	ds_write_b128 v69, v[0:3]
.LBB59_373:
	s_or_b32 exec_lo, exec_lo, s4
	s_waitcnt lgkmcnt(0)
	s_waitcnt_vscnt null, 0x0
	s_barrier
	buffer_gl0_inv
	s_clause 0x37
	buffer_load_dword v16, off, s[0:3], 0 offset:40
	buffer_load_dword v17, off, s[0:3], 0 offset:44
	;; [unrolled: 1-line block ×56, first 2 shown]
	v_mov_b32_e32 v68, 0
	v_mov_b32_e32 v140, v186
	;; [unrolled: 1-line block ×5, first 2 shown]
	ds_read_b128 v[4:7], v68 offset:976
	s_clause 0x2
	buffer_load_dword v65, off, s[0:3], 0 offset:268
	buffer_load_dword v67, off, s[0:3], 0 offset:244
	;; [unrolled: 1-line block ×3, first 2 shown]
	ds_read_b128 v[0:3], v68 offset:992
	s_clause 0x4
	buffer_load_dword v98, off, s[0:3], 0 offset:284
	buffer_load_dword v99, off, s[0:3], 0 offset:296
	;; [unrolled: 1-line block ×5, first 2 shown]
	ds_read_b128 v[93:96], v68 offset:1008
	s_and_b32 vcc_lo, exec_lo, s72
	s_waitcnt vmcnt(62) lgkmcnt(2)
	v_mul_f64 v[69:70], v[6:7], v[16:17]
	v_mul_f64 v[16:17], v[4:5], v[16:17]
	s_waitcnt vmcnt(60) lgkmcnt(1)
	v_mul_f64 v[110:111], v[2:3], v[12:13]
	v_mul_f64 v[12:13], v[0:1], v[12:13]
	;; [unrolled: 3-line block ×3, first 2 shown]
	v_fma_f64 v[69:70], v[4:5], v[14:15], -v[69:70]
	v_fma_f64 v[14:15], v[6:7], v[14:15], v[16:17]
	s_clause 0x2
	buffer_load_dword v100, off, s[0:3], 0 offset:300
	buffer_load_dword v17, off, s[0:3], 0 offset:276
	;; [unrolled: 1-line block ×3, first 2 shown]
	s_waitcnt vmcnt(57)
	v_fma_f64 v[114:115], v[0:1], v[8:9], -v[110:111]
	ds_read_b128 v[4:7], v68 offset:1024
	v_fma_f64 v[8:9], v[2:3], v[8:9], v[12:13]
	s_waitcnt vmcnt(51)
	v_fma_f64 v[93:94], v[93:94], v[32:33], -v[10:11]
	v_fma_f64 v[32:33], v[95:96], v[32:33], v[112:113]
	v_add_f64 v[69:70], v[69:70], 0
	v_add_f64 v[12:13], v[14:15], 0
	s_clause 0x4
	buffer_load_dword v15, off, s[0:3], 0 offset:316
	buffer_load_dword v111, off, s[0:3], 0 offset:328
	buffer_load_dword v123, off, s[0:3], 0 offset:320
	buffer_load_dword v14, off, s[0:3], 0 offset:312
	buffer_load_dword v110, off, s[0:3], 0 offset:292
	s_waitcnt lgkmcnt(0)
	v_mul_f64 v[124:125], v[4:5], v[20:21]
	v_mul_f64 v[20:21], v[6:7], v[20:21]
	ds_read_b128 v[0:3], v68 offset:1040
	s_clause 0x2
	buffer_load_dword v112, off, s[0:3], 0 offset:332
	buffer_load_dword v96, off, s[0:3], 0 offset:308
	;; [unrolled: 1-line block ×3, first 2 shown]
	v_add_f64 v[69:70], v[69:70], v[114:115]
	v_add_f64 v[12:13], v[12:13], v[8:9]
	ds_read_b128 v[8:11], v68 offset:1056
	s_waitcnt vmcnt(58) lgkmcnt(1)
	v_mul_f64 v[113:114], v[0:1], v[24:25]
	v_mul_f64 v[24:25], v[2:3], v[24:25]
	s_waitcnt vmcnt(56)
	v_fma_f64 v[20:21], v[4:5], v[26:27], -v[20:21]
	v_fma_f64 v[26:27], v[6:7], v[26:27], v[124:125]
	s_waitcnt vmcnt(52) lgkmcnt(0)
	v_mul_f64 v[125:126], v[8:9], v[28:29]
	v_add_f64 v[69:70], v[69:70], v[93:94]
	v_add_f64 v[12:13], v[12:13], v[32:33]
	s_clause 0x4
	buffer_load_dword v33, off, s[0:3], 0 offset:348
	buffer_load_dword v93, off, s[0:3], 0 offset:360
	;; [unrolled: 1-line block ×5, first 2 shown]
	v_mul_f64 v[28:29], v[10:11], v[28:29]
	s_waitcnt vmcnt(56)
	v_fma_f64 v[24:25], v[0:1], v[18:19], -v[24:25]
	ds_read_b128 v[4:7], v68 offset:1072
	v_fma_f64 v[18:19], v[2:3], v[18:19], v[113:114]
	v_add_f64 v[20:21], v[69:70], v[20:21]
	v_add_f64 v[12:13], v[12:13], v[26:27]
	s_clause 0x2
	buffer_load_dword v94, off, s[0:3], 0 offset:364
	buffer_load_dword v27, off, s[0:3], 0 offset:340
	;; [unrolled: 1-line block ×3, first 2 shown]
	s_waitcnt vmcnt(58) lgkmcnt(0)
	v_mul_f64 v[69:70], v[4:5], v[34:35]
	v_mul_f64 v[34:35], v[6:7], v[34:35]
	s_waitcnt vmcnt(56)
	v_fma_f64 v[28:29], v[8:9], v[36:37], -v[28:29]
	ds_read_b128 v[0:3], v68 offset:1088
	v_add_f64 v[20:21], v[20:21], v[24:25]
	v_fma_f64 v[24:25], v[10:11], v[36:37], v[125:126]
	v_add_f64 v[12:13], v[12:13], v[18:19]
	s_clause 0x4
	buffer_load_dword v19, off, s[0:3], 0 offset:380
	buffer_load_dword v36, off, s[0:3], 0 offset:392
	buffer_load_dword v113, off, s[0:3], 0 offset:384
	buffer_load_dword v18, off, s[0:3], 0 offset:376
	buffer_load_dword v116, off, s[0:3], 0 offset:356
	s_waitcnt vmcnt(57) lgkmcnt(0)
	v_mul_f64 v[125:126], v[0:1], v[38:39]
	v_mul_f64 v[38:39], v[2:3], v[38:39]
	s_waitcnt vmcnt(56)
	v_fma_f64 v[34:35], v[4:5], v[22:23], -v[34:35]
	ds_read_b128 v[8:11], v68 offset:1104
	v_fma_f64 v[22:23], v[6:7], v[22:23], v[69:70]
	v_add_f64 v[20:21], v[20:21], v[28:29]
	v_add_f64 v[12:13], v[12:13], v[24:25]
	s_clause 0x2
	buffer_load_dword v37, off, s[0:3], 0 offset:396
	buffer_load_dword v25, off, s[0:3], 0 offset:372
	;; [unrolled: 1-line block ×3, first 2 shown]
	ds_read_b128 v[4:7], v68 offset:1120
	s_waitcnt vmcnt(58) lgkmcnt(1)
	v_mul_f64 v[28:29], v[8:9], v[42:43]
	v_mul_f64 v[42:43], v[10:11], v[42:43]
	s_waitcnt vmcnt(56)
	v_fma_f64 v[38:39], v[0:1], v[44:45], -v[38:39]
	v_add_f64 v[20:21], v[20:21], v[34:35]
	v_fma_f64 v[34:35], v[2:3], v[44:45], v[125:126]
	v_add_f64 v[12:13], v[12:13], v[22:23]
	s_clause 0x4
	buffer_load_dword v23, off, s[0:3], 0 offset:412
	buffer_load_dword v44, off, s[0:3], 0 offset:424
	;; [unrolled: 1-line block ×5, first 2 shown]
	s_waitcnt vmcnt(57) lgkmcnt(0)
	v_mul_f64 v[70:71], v[4:5], v[46:47]
	v_mul_f64 v[46:47], v[6:7], v[46:47]
	s_waitcnt vmcnt(56)
	v_fma_f64 v[42:43], v[8:9], v[30:31], -v[42:43]
	ds_read_b128 v[0:3], v68 offset:1136
	v_fma_f64 v[28:29], v[10:11], v[30:31], v[28:29]
	s_clause 0x2
	buffer_load_dword v45, off, s[0:3], 0 offset:428
	buffer_load_dword v31, off, s[0:3], 0 offset:404
	;; [unrolled: 1-line block ×3, first 2 shown]
	ds_read_b128 v[8:11], v68 offset:1152
	v_add_f64 v[20:21], v[20:21], v[38:39]
	v_add_f64 v[12:13], v[12:13], v[34:35]
	s_waitcnt vmcnt(58) lgkmcnt(1)
	v_mul_f64 v[38:39], v[2:3], v[50:51]
	s_waitcnt vmcnt(56)
	v_fma_f64 v[46:47], v[4:5], v[52:53], -v[46:47]
	v_mul_f64 v[34:35], v[0:1], v[50:51]
	s_waitcnt vmcnt(52) lgkmcnt(0)
	v_mul_f64 v[125:126], v[8:9], v[54:55]
	v_add_f64 v[20:21], v[20:21], v[42:43]
	v_fma_f64 v[42:43], v[6:7], v[52:53], v[70:71]
	v_add_f64 v[12:13], v[12:13], v[28:29]
	s_clause 0x4
	buffer_load_dword v29, off, s[0:3], 0 offset:444
	buffer_load_dword v50, off, s[0:3], 0 offset:456
	;; [unrolled: 1-line block ×5, first 2 shown]
	v_mul_f64 v[53:54], v[10:11], v[54:55]
	s_waitcnt vmcnt(56)
	v_fma_f64 v[38:39], v[0:1], v[40:41], -v[38:39]
	ds_read_b128 v[4:7], v68 offset:1168
	v_fma_f64 v[34:35], v[2:3], v[40:41], v[34:35]
	s_clause 0x2
	buffer_load_dword v51, off, s[0:3], 0 offset:460
	buffer_load_dword v41, off, s[0:3], 0 offset:436
	;; [unrolled: 1-line block ×3, first 2 shown]
	ds_read_b128 v[0:3], v68 offset:1184
	v_add_f64 v[20:21], v[20:21], v[46:47]
	v_add_f64 v[12:13], v[12:13], v[42:43]
	s_waitcnt vmcnt(58) lgkmcnt(1)
	v_mul_f64 v[46:47], v[6:7], v[58:59]
	s_waitcnt vmcnt(56)
	v_fma_f64 v[54:55], v[8:9], v[60:61], -v[53:54]
	v_mul_f64 v[42:43], v[4:5], v[58:59]
	v_add_f64 v[20:21], v[20:21], v[38:39]
	v_fma_f64 v[38:39], v[10:11], v[60:61], v[125:126]
	v_add_f64 v[12:13], v[12:13], v[34:35]
	s_clause 0x4
	buffer_load_dword v35, off, s[0:3], 0 offset:476
	buffer_load_dword v58, off, s[0:3], 0 offset:488
	;; [unrolled: 1-line block ×5, first 2 shown]
	s_waitcnt vmcnt(57) lgkmcnt(0)
	v_mul_f64 v[125:126], v[0:1], v[62:63]
	v_mul_f64 v[61:62], v[2:3], v[62:63]
	s_waitcnt vmcnt(56)
	v_fma_f64 v[46:47], v[4:5], v[48:49], -v[46:47]
	ds_read_b128 v[8:11], v68 offset:1200
	v_fma_f64 v[42:43], v[6:7], v[48:49], v[42:43]
	v_add_f64 v[20:21], v[20:21], v[54:55]
	v_add_f64 v[12:13], v[12:13], v[38:39]
	s_clause 0x2
	buffer_load_dword v59, off, s[0:3], 0 offset:492
	buffer_load_dword v39, off, s[0:3], 0 offset:468
	;; [unrolled: 1-line block ×3, first 2 shown]
	ds_read_b128 v[4:7], v68 offset:1216
	s_waitcnt vmcnt(58) lgkmcnt(1)
	v_mul_f64 v[54:55], v[10:11], v[64:65]
	s_waitcnt vmcnt(56)
	v_fma_f64 v[62:63], v[0:1], v[66:67], -v[61:62]
	v_mul_f64 v[48:49], v[8:9], v[64:65]
	v_add_f64 v[20:21], v[20:21], v[46:47]
	v_fma_f64 v[46:47], v[2:3], v[66:67], v[125:126]
	v_add_f64 v[12:13], v[12:13], v[42:43]
	s_clause 0x4
	buffer_load_dword v43, off, s[0:3], 0 offset:508
	buffer_load_dword v64, off, s[0:3], 0 offset:520
	;; [unrolled: 1-line block ×5, first 2 shown]
	s_waitcnt vmcnt(57) lgkmcnt(0)
	v_mul_f64 v[125:126], v[4:5], v[97:98]
	v_mul_f64 v[97:98], v[6:7], v[97:98]
	s_waitcnt vmcnt(56)
	v_fma_f64 v[54:55], v[8:9], v[56:57], -v[54:55]
	ds_read_b128 v[0:3], v68 offset:1232
	v_fma_f64 v[48:49], v[10:11], v[56:57], v[48:49]
	v_add_f64 v[20:21], v[20:21], v[62:63]
	v_add_f64 v[12:13], v[12:13], v[46:47]
	s_clause 0x2
	buffer_load_dword v65, off, s[0:3], 0 offset:524
	buffer_load_dword v47, off, s[0:3], 0 offset:500
	;; [unrolled: 1-line block ×3, first 2 shown]
	ds_read_b128 v[8:11], v68 offset:1248
	s_waitcnt vmcnt(58) lgkmcnt(1)
	v_mul_f64 v[62:63], v[2:3], v[99:100]
	v_mul_f64 v[56:57], v[0:1], v[99:100]
	s_waitcnt vmcnt(56)
	v_fma_f64 v[97:98], v[4:5], v[16:17], -v[97:98]
	v_fma_f64 v[16:17], v[6:7], v[16:17], v[125:126]
	v_add_f64 v[20:21], v[20:21], v[54:55]
	v_add_f64 v[12:13], v[12:13], v[48:49]
	s_clause 0x4
	buffer_load_dword v49, off, s[0:3], 0 offset:540
	buffer_load_dword v54, off, s[0:3], 0 offset:552
	;; [unrolled: 1-line block ×5, first 2 shown]
	ds_read_b128 v[4:7], v68 offset:1264
	s_waitcnt vmcnt(57) lgkmcnt(1)
	v_mul_f64 v[125:126], v[8:9], v[14:15]
	v_mul_f64 v[14:15], v[10:11], v[14:15]
	s_waitcnt vmcnt(56)
	v_fma_f64 v[62:63], v[0:1], v[109:110], -v[62:63]
	v_fma_f64 v[56:57], v[2:3], v[109:110], v[56:57]
	v_add_f64 v[20:21], v[20:21], v[97:98]
	v_add_f64 v[12:13], v[12:13], v[16:17]
	s_clause 0x2
	buffer_load_dword v55, off, s[0:3], 0 offset:556
	buffer_load_dword v17, off, s[0:3], 0 offset:532
	;; [unrolled: 1-line block ×3, first 2 shown]
	s_waitcnt vmcnt(58) lgkmcnt(0)
	v_mul_f64 v[109:110], v[6:7], v[111:112]
	ds_read_b128 v[0:3], v68 offset:1280
	v_mul_f64 v[97:98], v[4:5], v[111:112]
	s_waitcnt vmcnt(56)
	v_fma_f64 v[14:15], v[8:9], v[95:96], -v[14:15]
	v_add_f64 v[20:21], v[20:21], v[62:63]
	v_fma_f64 v[62:63], v[10:11], v[95:96], v[125:126]
	v_add_f64 v[12:13], v[12:13], v[56:57]
	s_clause 0x4
	buffer_load_dword v57, off, s[0:3], 0 offset:572
	buffer_load_dword v95, off, s[0:3], 0 offset:584
	;; [unrolled: 1-line block ×5, first 2 shown]
	ds_read_b128 v[8:11], v68 offset:1296
	s_waitcnt vmcnt(57) lgkmcnt(1)
	v_mul_f64 v[125:126], v[0:1], v[32:33]
	v_mul_f64 v[32:33], v[2:3], v[32:33]
	s_waitcnt vmcnt(56)
	v_fma_f64 v[109:110], v[4:5], v[123:124], -v[109:110]
	v_add_f64 v[14:15], v[20:21], v[14:15]
	v_fma_f64 v[20:21], v[6:7], v[123:124], v[97:98]
	v_add_f64 v[12:13], v[12:13], v[62:63]
	s_clause 0x2
	buffer_load_dword v96, off, s[0:3], 0 offset:588
	buffer_load_dword v63, off, s[0:3], 0 offset:564
	;; [unrolled: 1-line block ×3, first 2 shown]
	ds_read_b128 v[4:7], v68 offset:1312
	s_waitcnt vmcnt(58) lgkmcnt(1)
	v_mul_f64 v[97:98], v[8:9], v[93:94]
	v_mul_f64 v[93:94], v[10:11], v[93:94]
	s_waitcnt vmcnt(56)
	v_fma_f64 v[32:33], v[0:1], v[26:27], -v[32:33]
	v_fma_f64 v[26:27], v[2:3], v[26:27], v[125:126]
	v_add_f64 v[14:15], v[14:15], v[109:110]
	v_add_f64 v[12:13], v[12:13], v[20:21]
	s_clause 0x4
	buffer_load_dword v21, off, s[0:3], 0 offset:604
	buffer_load_dword v109, off, s[0:3], 0 offset:616
	;; [unrolled: 1-line block ×5, first 2 shown]
	ds_read_b128 v[0:3], v68 offset:1328
	s_waitcnt vmcnt(57) lgkmcnt(1)
	v_mul_f64 v[124:125], v[4:5], v[18:19]
	v_mul_f64 v[18:19], v[6:7], v[18:19]
	s_waitcnt vmcnt(56)
	v_fma_f64 v[93:94], v[8:9], v[115:116], -v[93:94]
	v_add_f64 v[14:15], v[14:15], v[32:33]
	v_fma_f64 v[32:33], v[10:11], v[115:116], v[97:98]
	v_add_f64 v[12:13], v[12:13], v[26:27]
	s_clause 0x2
	buffer_load_dword v110, off, s[0:3], 0 offset:620
	buffer_load_dword v27, off, s[0:3], 0 offset:596
	;; [unrolled: 1-line block ×3, first 2 shown]
	ds_read_b128 v[8:11], v68 offset:1344
	s_waitcnt vmcnt(58) lgkmcnt(1)
	v_mul_f64 v[97:98], v[0:1], v[36:37]
	v_mul_f64 v[36:37], v[2:3], v[36:37]
	s_waitcnt vmcnt(56)
	v_fma_f64 v[18:19], v[4:5], v[24:25], -v[18:19]
	v_fma_f64 v[24:25], v[6:7], v[24:25], v[124:125]
	v_add_f64 v[14:15], v[14:15], v[93:94]
	v_add_f64 v[12:13], v[12:13], v[32:33]
	s_clause 0x4
	buffer_load_dword v33, off, s[0:3], 0 offset:636
	buffer_load_dword v93, off, s[0:3], 0 offset:648
	;; [unrolled: 1-line block ×5, first 2 shown]
	ds_read_b128 v[4:7], v68 offset:1360
	s_waitcnt vmcnt(57) lgkmcnt(1)
	v_mul_f64 v[125:126], v[8:9], v[22:23]
	v_mul_f64 v[22:23], v[10:11], v[22:23]
	s_waitcnt vmcnt(56)
	v_fma_f64 v[36:37], v[0:1], v[113:114], -v[36:37]
	v_add_f64 v[14:15], v[14:15], v[18:19]
	v_fma_f64 v[18:19], v[2:3], v[113:114], v[97:98]
	v_add_f64 v[12:13], v[12:13], v[24:25]
	s_clause 0x2
	buffer_load_dword v94, off, s[0:3], 0 offset:652
	buffer_load_dword v25, off, s[0:3], 0 offset:628
	;; [unrolled: 1-line block ×3, first 2 shown]
	s_waitcnt vmcnt(58) lgkmcnt(0)
	v_mul_f64 v[97:98], v[4:5], v[44:45]
	v_mul_f64 v[44:45], v[6:7], v[44:45]
	ds_read_b128 v[0:3], v68 offset:1376
	s_waitcnt vmcnt(56)
	v_fma_f64 v[22:23], v[8:9], v[30:31], -v[22:23]
	v_fma_f64 v[30:31], v[10:11], v[30:31], v[125:126]
	v_add_f64 v[14:15], v[14:15], v[36:37]
	v_add_f64 v[12:13], v[12:13], v[18:19]
	s_clause 0x4
	buffer_load_dword v19, off, s[0:3], 0 offset:668
	buffer_load_dword v36, off, s[0:3], 0 offset:680
	;; [unrolled: 1-line block ×5, first 2 shown]
	ds_read_b128 v[8:11], v68 offset:1392
	s_waitcnt vmcnt(57) lgkmcnt(1)
	v_mul_f64 v[125:126], v[0:1], v[28:29]
	v_mul_f64 v[28:29], v[2:3], v[28:29]
	s_waitcnt vmcnt(56)
	v_fma_f64 v[44:45], v[4:5], v[69:70], -v[44:45]
	v_add_f64 v[14:15], v[14:15], v[22:23]
	v_fma_f64 v[22:23], v[6:7], v[69:70], v[97:98]
	v_add_f64 v[12:13], v[12:13], v[30:31]
	s_clause 0x2
	buffer_load_dword v37, off, s[0:3], 0 offset:684
	buffer_load_dword v31, off, s[0:3], 0 offset:660
	;; [unrolled: 1-line block ×3, first 2 shown]
	s_waitcnt vmcnt(58) lgkmcnt(0)
	v_mul_f64 v[69:70], v[8:9], v[50:51]
	v_mul_f64 v[50:51], v[10:11], v[50:51]
	ds_read_b128 v[4:7], v68 offset:1408
	s_waitcnt vmcnt(56)
	v_fma_f64 v[28:29], v[0:1], v[40:41], -v[28:29]
	v_fma_f64 v[40:41], v[2:3], v[40:41], v[125:126]
	v_add_f64 v[14:15], v[14:15], v[44:45]
	v_add_f64 v[12:13], v[12:13], v[22:23]
	s_clause 0x4
	buffer_load_dword v23, off, s[0:3], 0 offset:700
	buffer_load_dword v44, off, s[0:3], 0 offset:712
	buffer_load_dword v97, off, s[0:3], 0 offset:704
	buffer_load_dword v22, off, s[0:3], 0 offset:696
	buffer_load_dword v114, off, s[0:3], 0 offset:676
	ds_read_b128 v[0:3], v68 offset:1424
	s_waitcnt vmcnt(57) lgkmcnt(1)
	v_mul_f64 v[125:126], v[4:5], v[34:35]
	v_mul_f64 v[34:35], v[6:7], v[34:35]
	s_waitcnt vmcnt(56)
	v_fma_f64 v[50:51], v[8:9], v[52:53], -v[50:51]
	v_add_f64 v[14:15], v[14:15], v[28:29]
	v_fma_f64 v[28:29], v[10:11], v[52:53], v[69:70]
	v_add_f64 v[12:13], v[12:13], v[40:41]
	s_clause 0x2
	buffer_load_dword v45, off, s[0:3], 0 offset:716
	buffer_load_dword v41, off, s[0:3], 0 offset:692
	buffer_load_dword v40, off, s[0:3], 0 offset:688
	ds_read_b128 v[8:11], v68 offset:1440
	s_waitcnt vmcnt(58) lgkmcnt(1)
	v_mul_f64 v[52:53], v[0:1], v[58:59]
	v_mul_f64 v[58:59], v[2:3], v[58:59]
	s_waitcnt vmcnt(56)
	v_fma_f64 v[34:35], v[4:5], v[38:39], -v[34:35]
	v_fma_f64 v[38:39], v[6:7], v[38:39], v[125:126]
	v_add_f64 v[14:15], v[14:15], v[50:51]
	v_add_f64 v[12:13], v[12:13], v[28:29]
	s_clause 0x4
	buffer_load_dword v29, off, s[0:3], 0 offset:732
	buffer_load_dword v50, off, s[0:3], 0 offset:744
	buffer_load_dword v69, off, s[0:3], 0 offset:736
	buffer_load_dword v28, off, s[0:3], 0 offset:728
	buffer_load_dword v98, off, s[0:3], 0 offset:708
	ds_read_b128 v[4:7], v68 offset:1456
	s_waitcnt vmcnt(57) lgkmcnt(1)
	v_mul_f64 v[70:71], v[8:9], v[42:43]
	v_mul_f64 v[42:43], v[10:11], v[42:43]
	s_waitcnt vmcnt(56)
	v_fma_f64 v[58:59], v[0:1], v[60:61], -v[58:59]
	v_add_f64 v[14:15], v[14:15], v[34:35]
	v_fma_f64 v[34:35], v[2:3], v[60:61], v[52:53]
	v_add_f64 v[12:13], v[12:13], v[38:39]
	s_clause 0x2
	buffer_load_dword v51, off, s[0:3], 0 offset:748
	buffer_load_dword v39, off, s[0:3], 0 offset:724
	buffer_load_dword v38, off, s[0:3], 0 offset:720
	ds_read_b128 v[0:3], v68 offset:1472
	s_waitcnt vmcnt(58) lgkmcnt(1)
	v_mul_f64 v[60:61], v[6:7], v[64:65]
	v_mul_f64 v[52:53], v[4:5], v[64:65]
	;; [unrolled: 28-line block ×4, first 2 shown]
	s_waitcnt vmcnt(56)
	v_fma_f64 v[56:57], v[4:5], v[62:63], -v[56:57]
	v_add_f64 v[14:15], v[14:15], v[54:55]
	v_fma_f64 v[54:55], v[6:7], v[62:63], v[125:126]
	v_add_f64 v[12:13], v[12:13], v[48:49]
	s_clause 0x4
	buffer_load_dword v49, off, s[0:3], 0 offset:828
	buffer_load_dword v62, off, s[0:3], 0 offset:840
	;; [unrolled: 1-line block ×5, first 2 shown]
	ds_read_b128 v[4:7], v68 offset:1552
	s_waitcnt vmcnt(57) lgkmcnt(1)
	v_mul_f64 v[125:126], v[8:9], v[20:21]
	v_mul_f64 v[20:21], v[10:11], v[20:21]
	s_waitcnt vmcnt(56)
	v_fma_f64 v[95:96], v[0:1], v[111:112], -v[95:96]
	v_fma_f64 v[52:53], v[2:3], v[111:112], v[52:53]
	v_add_f64 v[14:15], v[14:15], v[56:57]
	v_add_f64 v[12:13], v[12:13], v[54:55]
	s_clause 0x2
	buffer_load_dword v63, off, s[0:3], 0 offset:844
	buffer_load_dword v55, off, s[0:3], 0 offset:820
	buffer_load_dword v54, off, s[0:3], 0 offset:816
	ds_read_b128 v[0:3], v68 offset:1568
	s_waitcnt vmcnt(58) lgkmcnt(1)
	v_mul_f64 v[56:57], v[4:5], v[109:110]
	v_mul_f64 v[109:110], v[6:7], v[109:110]
	s_waitcnt vmcnt(56)
	v_fma_f64 v[20:21], v[8:9], v[26:27], -v[20:21]
	v_fma_f64 v[26:27], v[10:11], v[26:27], v[125:126]
	v_add_f64 v[14:15], v[14:15], v[95:96]
	v_add_f64 v[12:13], v[12:13], v[52:53]
	s_clause 0x4
	buffer_load_dword v53, off, s[0:3], 0 offset:860
	buffer_load_dword v95, off, s[0:3], 0 offset:872
	buffer_load_dword v111, off, s[0:3], 0 offset:864
	buffer_load_dword v52, off, s[0:3], 0 offset:856
	buffer_load_dword v100, off, s[0:3], 0 offset:836
	ds_read_b128 v[8:11], v68 offset:1584
	s_waitcnt vmcnt(57) lgkmcnt(1)
	v_mul_f64 v[125:126], v[0:1], v[32:33]
	v_mul_f64 v[32:33], v[2:3], v[32:33]
	s_waitcnt vmcnt(56)
	v_fma_f64 v[109:110], v[4:5], v[123:124], -v[109:110]
	v_add_f64 v[14:15], v[14:15], v[20:21]
	v_fma_f64 v[20:21], v[6:7], v[123:124], v[56:57]
	v_add_f64 v[12:13], v[12:13], v[26:27]
	s_clause 0x2
	buffer_load_dword v96, off, s[0:3], 0 offset:876
	buffer_load_dword v27, off, s[0:3], 0 offset:852
	buffer_load_dword v26, off, s[0:3], 0 offset:848
	ds_read_b128 v[4:7], v68 offset:1600
	s_waitcnt vmcnt(58) lgkmcnt(1)
	v_mul_f64 v[56:57], v[8:9], v[93:94]
	v_mul_f64 v[93:94], v[10:11], v[93:94]
	s_waitcnt vmcnt(56)
	v_fma_f64 v[32:33], v[0:1], v[24:25], -v[32:33]
	v_fma_f64 v[24:25], v[2:3], v[24:25], v[125:126]
	v_add_f64 v[14:15], v[14:15], v[109:110]
	v_add_f64 v[12:13], v[12:13], v[20:21]
	s_clause 0x4
	buffer_load_dword v21, off, s[0:3], 0 offset:892
	buffer_load_dword v109, off, s[0:3], 0 offset:904
	buffer_load_dword v123, off, s[0:3], 0 offset:896
	buffer_load_dword v20, off, s[0:3], 0 offset:888
	buffer_load_dword v112, off, s[0:3], 0 offset:868
	ds_read_b128 v[0:3], v68 offset:1616
	s_waitcnt vmcnt(57) lgkmcnt(1)
	v_mul_f64 v[124:125], v[4:5], v[18:19]
	v_mul_f64 v[18:19], v[6:7], v[18:19]
	s_waitcnt vmcnt(56)
	v_fma_f64 v[93:94], v[8:9], v[115:116], -v[93:94]
	v_add_f64 v[14:15], v[14:15], v[32:33]
	v_fma_f64 v[32:33], v[10:11], v[115:116], v[56:57]
	;; [unrolled: 28-line block ×3, first 2 shown]
	v_add_f64 v[12:13], v[12:13], v[30:31]
	s_clause 0x2
	buffer_load_dword v94, off, s[0:3], 0 offset:940
	buffer_load_dword v31, off, s[0:3], 0 offset:916
	;; [unrolled: 1-line block ×3, first 2 shown]
	ds_read_b128 v[0:3], v68 offset:1664
	s_waitcnt vmcnt(58) lgkmcnt(1)
	v_mul_f64 v[56:57], v[4:5], v[44:45]
	v_mul_f64 v[44:45], v[6:7], v[44:45]
	s_waitcnt vmcnt(56)
	v_fma_f64 v[22:23], v[8:9], v[40:41], -v[22:23]
	v_add_f64 v[14:15], v[14:15], v[36:37]
	v_fma_f64 v[36:37], v[10:11], v[40:41], v[125:126]
	v_add_f64 v[12:13], v[12:13], v[18:19]
	s_clause 0x4
	buffer_load_dword v19, off, s[0:3], 0 offset:956
	buffer_load_dword v40, off, s[0:3], 0 offset:968
	;; [unrolled: 1-line block ×5, first 2 shown]
	ds_read_b128 v[8:11], v68 offset:1680
	s_waitcnt vmcnt(57) lgkmcnt(1)
	v_mul_f64 v[125:126], v[0:1], v[28:29]
	v_mul_f64 v[28:29], v[2:3], v[28:29]
	s_waitcnt vmcnt(56)
	v_fma_f64 v[44:45], v[4:5], v[97:98], -v[44:45]
	v_add_f64 v[14:15], v[14:15], v[22:23]
	v_fma_f64 v[22:23], v[6:7], v[97:98], v[56:57]
	v_add_f64 v[12:13], v[12:13], v[36:37]
	s_clause 0x2
	buffer_load_dword v41, off, s[0:3], 0 offset:972
	buffer_load_dword v37, off, s[0:3], 0 offset:948
	buffer_load_dword v36, off, s[0:3], 0 offset:944
	ds_read_b128 v[4:7], v68 offset:1696
	buffer_load_dword v114, off, s[0:3], 0 offset:964
	s_waitcnt vmcnt(59) lgkmcnt(1)
	v_mul_f64 v[56:57], v[8:9], v[50:51]
	v_mul_f64 v[50:51], v[10:11], v[50:51]
	s_waitcnt vmcnt(57)
	v_fma_f64 v[28:29], v[0:1], v[38:39], -v[28:29]
	v_fma_f64 v[38:39], v[2:3], v[38:39], v[125:126]
	ds_read_b128 v[0:3], v68 offset:1712
	v_add_f64 v[14:15], v[14:15], v[44:45]
	v_add_f64 v[12:13], v[12:13], v[22:23]
	s_waitcnt vmcnt(53) lgkmcnt(1)
	v_mul_f64 v[22:23], v[4:5], v[34:35]
	v_mul_f64 v[34:35], v[6:7], v[34:35]
	s_waitcnt vmcnt(52)
	v_fma_f64 v[44:45], v[8:9], v[69:70], -v[50:51]
	v_add_f64 v[14:15], v[14:15], v[28:29]
	v_fma_f64 v[28:29], v[10:11], v[69:70], v[56:57]
	v_add_f64 v[12:13], v[12:13], v[38:39]
	ds_read_b128 v[8:11], v68 offset:1728
	s_waitcnt vmcnt(51) lgkmcnt(1)
	v_mul_f64 v[50:51], v[2:3], v[58:59]
	v_mul_f64 v[38:39], v[0:1], v[58:59]
	s_waitcnt vmcnt(49)
	v_fma_f64 v[34:35], v[4:5], v[46:47], -v[34:35]
	v_fma_f64 v[22:23], v[6:7], v[46:47], v[22:23]
	v_add_f64 v[14:15], v[14:15], v[44:45]
	v_add_f64 v[12:13], v[12:13], v[28:29]
	s_clause 0x3
	buffer_load_dword v28, off, s[0:3], 0 offset:16
	buffer_load_dword v29, off, s[0:3], 0 offset:20
	;; [unrolled: 1-line block ×4, first 2 shown]
	ds_read_b128 v[4:7], v68 offset:1744
	s_waitcnt vmcnt(49) lgkmcnt(1)
	v_mul_f64 v[46:47], v[8:9], v[42:43]
	v_mul_f64 v[42:43], v[10:11], v[42:43]
	s_waitcnt vmcnt(48)
	v_fma_f64 v[50:51], v[0:1], v[64:65], -v[50:51]
	v_add_f64 v[14:15], v[14:15], v[34:35]
	v_fma_f64 v[34:35], v[2:3], v[64:65], v[38:39]
	v_add_f64 v[12:13], v[12:13], v[22:23]
	ds_read_b128 v[0:3], v68 offset:1760
	s_waitcnt vmcnt(47) lgkmcnt(1)
	v_mul_f64 v[38:39], v[6:7], v[60:61]
	v_mul_f64 v[22:23], v[4:5], v[60:61]
	s_waitcnt vmcnt(45)
	v_fma_f64 v[42:43], v[8:9], v[16:17], -v[42:43]
	v_fma_f64 v[16:17], v[10:11], v[16:17], v[46:47]
	ds_read_b128 v[8:11], v68 offset:1776
	v_add_f64 v[14:15], v[14:15], v[50:51]
	v_add_f64 v[12:13], v[12:13], v[34:35]
	s_waitcnt vmcnt(41) lgkmcnt(1)
	v_mul_f64 v[46:47], v[2:3], v[48:49]
	s_waitcnt vmcnt(40)
	v_fma_f64 v[38:39], v[4:5], v[66:67], -v[38:39]
	v_mul_f64 v[34:35], v[0:1], v[48:49]
	v_fma_f64 v[22:23], v[6:7], v[66:67], v[22:23]
	ds_read_b128 v[4:7], v68 offset:1792
	v_add_f64 v[14:15], v[14:15], v[42:43]
	v_add_f64 v[12:13], v[12:13], v[16:17]
	s_waitcnt vmcnt(39) lgkmcnt(1)
	v_mul_f64 v[42:43], v[10:11], v[62:63]
	v_mul_f64 v[16:17], v[8:9], v[62:63]
	s_waitcnt vmcnt(37)
	v_fma_f64 v[46:47], v[0:1], v[54:55], -v[46:47]
	v_fma_f64 v[34:35], v[2:3], v[54:55], v[34:35]
	ds_read_b128 v[0:3], v68 offset:1808
	v_add_f64 v[14:15], v[14:15], v[38:39]
	v_add_f64 v[12:13], v[12:13], v[22:23]
	s_waitcnt vmcnt(33) lgkmcnt(1)
	v_mul_f64 v[38:39], v[6:7], v[52:53]
	s_waitcnt vmcnt(32)
	v_fma_f64 v[42:43], v[8:9], v[99:100], -v[42:43]
	v_mul_f64 v[22:23], v[4:5], v[52:53]
	v_fma_f64 v[16:17], v[10:11], v[99:100], v[16:17]
	ds_read_b128 v[8:11], v68 offset:1824
	v_add_f64 v[14:15], v[14:15], v[46:47]
	v_add_f64 v[12:13], v[12:13], v[34:35]
	s_waitcnt vmcnt(31) lgkmcnt(1)
	v_mul_f64 v[46:47], v[2:3], v[95:96]
	v_mul_f64 v[34:35], v[0:1], v[95:96]
	s_waitcnt vmcnt(29)
	v_fma_f64 v[38:39], v[4:5], v[26:27], -v[38:39]
	v_fma_f64 v[22:23], v[6:7], v[26:27], v[22:23]
	ds_read_b128 v[4:7], v68 offset:1840
	v_add_f64 v[14:15], v[14:15], v[42:43]
	v_add_f64 v[12:13], v[12:13], v[16:17]
	s_waitcnt vmcnt(25) lgkmcnt(1)
	v_mul_f64 v[16:17], v[8:9], v[20:21]
	v_mul_f64 v[20:21], v[10:11], v[20:21]
	s_waitcnt vmcnt(24)
	v_fma_f64 v[26:27], v[0:1], v[111:112], -v[46:47]
	v_fma_f64 v[34:35], v[2:3], v[111:112], v[34:35]
	ds_read_b128 v[0:3], v68 offset:1856
	v_add_f64 v[14:15], v[14:15], v[38:39]
	v_add_f64 v[12:13], v[12:13], v[22:23]
	s_waitcnt vmcnt(23) lgkmcnt(1)
	v_mul_f64 v[38:39], v[6:7], v[109:110]
	v_mul_f64 v[22:23], v[4:5], v[109:110]
	s_waitcnt vmcnt(21)
	v_fma_f64 v[20:21], v[8:9], v[24:25], -v[20:21]
	v_fma_f64 v[16:17], v[10:11], v[24:25], v[16:17]
	ds_read_b128 v[8:11], v68 offset:1872
	v_add_f64 v[14:15], v[14:15], v[26:27]
	v_add_f64 v[12:13], v[12:13], v[34:35]
	s_waitcnt vmcnt(17) lgkmcnt(1)
	v_mul_f64 v[24:25], v[0:1], v[32:33]
	v_mul_f64 v[26:27], v[2:3], v[32:33]
	s_waitcnt vmcnt(16)
	v_fma_f64 v[32:33], v[4:5], v[123:124], -v[38:39]
	v_add_f64 v[14:15], v[14:15], v[20:21]
	v_fma_f64 v[20:21], v[6:7], v[123:124], v[22:23]
	v_add_f64 v[12:13], v[12:13], v[16:17]
	ds_read_b128 v[4:7], v68 offset:1888
	s_waitcnt vmcnt(15) lgkmcnt(1)
	v_mul_f64 v[22:23], v[10:11], v[93:94]
	v_mul_f64 v[16:17], v[8:9], v[93:94]
	s_waitcnt vmcnt(13)
	v_fma_f64 v[26:27], v[0:1], v[30:31], -v[26:27]
	v_fma_f64 v[24:25], v[2:3], v[30:31], v[24:25]
	ds_read_b128 v[0:3], v68 offset:1904
	v_add_f64 v[14:15], v[14:15], v[32:33]
	v_add_f64 v[12:13], v[12:13], v[20:21]
	s_waitcnt vmcnt(9) lgkmcnt(1)
	v_mul_f64 v[20:21], v[4:5], v[18:19]
	v_mul_f64 v[18:19], v[6:7], v[18:19]
	s_waitcnt vmcnt(8)
	v_fma_f64 v[8:9], v[8:9], v[115:116], -v[22:23]
	v_fma_f64 v[10:11], v[10:11], v[115:116], v[16:17]
	v_add_f64 v[14:15], v[14:15], v[26:27]
	v_add_f64 v[12:13], v[12:13], v[24:25]
	s_waitcnt vmcnt(7) lgkmcnt(0)
	v_mul_f64 v[22:23], v[2:3], v[40:41]
	v_mul_f64 v[16:17], v[0:1], v[40:41]
	s_waitcnt vmcnt(5)
	v_fma_f64 v[4:5], v[4:5], v[36:37], -v[18:19]
	v_fma_f64 v[6:7], v[6:7], v[36:37], v[20:21]
	v_add_f64 v[8:9], v[14:15], v[8:9]
	v_add_f64 v[10:11], v[12:13], v[10:11]
	s_waitcnt vmcnt(4)
	v_fma_f64 v[0:1], v[0:1], v[113:114], -v[22:23]
	v_fma_f64 v[2:3], v[2:3], v[113:114], v[16:17]
	v_add_f64 v[4:5], v[8:9], v[4:5]
	v_add_f64 v[6:7], v[10:11], v[6:7]
	;; [unrolled: 1-line block ×4, first 2 shown]
	s_waitcnt vmcnt(2)
	v_add_f64 v[0:1], v[28:29], -v[0:1]
	s_waitcnt vmcnt(0)
	v_add_f64 v[2:3], v[44:45], -v[2:3]
	buffer_store_dword v1, off, s[0:3], 0 offset:20
	buffer_store_dword v0, off, s[0:3], 0 offset:16
	;; [unrolled: 1-line block ×4, first 2 shown]
	s_cbranch_vccz .LBB59_492
; %bb.374:
	global_load_dword v0, v68, s[20:21] offset:232
	s_waitcnt vmcnt(0)
	v_add_nc_u32_e32 v0, -1, v0
	v_cmp_ne_u32_e32 vcc_lo, 58, v0
	s_cbranch_vccz .LBB59_376
; %bb.375:
	v_lshlrev_b32_e32 v0, 4, v0
	v_mov_b32_e32 v1, s9
	v_add_nc_u32_e32 v0, 16, v0
	s_clause 0x7
	buffer_load_dword v2, v0, s[0:3], 0 offen
	buffer_load_dword v3, v0, s[0:3], 0 offen offset:4
	buffer_load_dword v4, v0, s[0:3], 0 offen offset:8
	;; [unrolled: 1-line block ×6, first 2 shown]
	buffer_load_dword v9, v1, s[0:3], 0 offen
	s_waitcnt vmcnt(7)
	buffer_store_dword v2, v1, s[0:3], 0 offen
	s_waitcnt vmcnt(6)
	buffer_store_dword v3, v1, s[0:3], 0 offen offset:4
	s_waitcnt vmcnt(5)
	buffer_store_dword v4, v1, s[0:3], 0 offen offset:8
	s_waitcnt vmcnt(4)
	buffer_store_dword v5, v1, s[0:3], 0 offen offset:12
	s_waitcnt vmcnt(3)
	buffer_store_dword v6, v0, s[0:3], 0 offen offset:12
	s_waitcnt vmcnt(2)
	buffer_store_dword v7, v0, s[0:3], 0 offen offset:8
	s_waitcnt vmcnt(1)
	buffer_store_dword v8, v0, s[0:3], 0 offen offset:4
	s_waitcnt vmcnt(0)
	buffer_store_dword v9, v0, s[0:3], 0 offen
.LBB59_376:
	v_mov_b32_e32 v0, 0
	global_load_dword v1, v0, s[20:21] offset:228
	s_waitcnt vmcnt(0)
	v_add_nc_u32_e32 v1, -1, v1
	v_cmp_eq_u32_e32 vcc_lo, 57, v1
	s_cbranch_vccnz .LBB59_378
; %bb.377:
	v_lshlrev_b32_e32 v1, 4, v1
	v_mov_b32_e32 v2, s12
	v_add_nc_u32_e32 v1, 16, v1
	s_clause 0x7
	buffer_load_dword v3, v1, s[0:3], 0 offen
	buffer_load_dword v4, v1, s[0:3], 0 offen offset:4
	buffer_load_dword v5, v1, s[0:3], 0 offen offset:8
	;; [unrolled: 1-line block ×6, first 2 shown]
	buffer_load_dword v10, v2, s[0:3], 0 offen
	s_waitcnt vmcnt(7)
	buffer_store_dword v3, v2, s[0:3], 0 offen
	s_waitcnt vmcnt(6)
	buffer_store_dword v4, v2, s[0:3], 0 offen offset:4
	s_waitcnt vmcnt(5)
	buffer_store_dword v5, v2, s[0:3], 0 offen offset:8
	;; [unrolled: 2-line block ×6, first 2 shown]
	s_waitcnt vmcnt(0)
	buffer_store_dword v10, v1, s[0:3], 0 offen
.LBB59_378:
	global_load_dword v0, v0, s[20:21] offset:224
	s_waitcnt vmcnt(0)
	v_add_nc_u32_e32 v0, -1, v0
	v_cmp_eq_u32_e32 vcc_lo, 56, v0
	s_cbranch_vccnz .LBB59_380
; %bb.379:
	v_lshlrev_b32_e32 v0, 4, v0
	v_mov_b32_e32 v1, s13
	v_add_nc_u32_e32 v0, 16, v0
	s_clause 0x7
	buffer_load_dword v2, v0, s[0:3], 0 offen
	buffer_load_dword v3, v0, s[0:3], 0 offen offset:4
	buffer_load_dword v4, v0, s[0:3], 0 offen offset:8
	buffer_load_dword v5, v0, s[0:3], 0 offen offset:12
	buffer_load_dword v6, v1, s[0:3], 0 offen offset:12
	buffer_load_dword v7, v1, s[0:3], 0 offen offset:8
	buffer_load_dword v8, v1, s[0:3], 0 offen offset:4
	buffer_load_dword v9, v1, s[0:3], 0 offen
	s_waitcnt vmcnt(7)
	buffer_store_dword v2, v1, s[0:3], 0 offen
	s_waitcnt vmcnt(6)
	buffer_store_dword v3, v1, s[0:3], 0 offen offset:4
	s_waitcnt vmcnt(5)
	buffer_store_dword v4, v1, s[0:3], 0 offen offset:8
	;; [unrolled: 2-line block ×6, first 2 shown]
	s_waitcnt vmcnt(0)
	buffer_store_dword v9, v0, s[0:3], 0 offen
.LBB59_380:
	v_mov_b32_e32 v0, 0
	global_load_dword v1, v0, s[20:21] offset:220
	s_waitcnt vmcnt(0)
	v_add_nc_u32_e32 v1, -1, v1
	v_cmp_eq_u32_e32 vcc_lo, 55, v1
	s_cbranch_vccnz .LBB59_382
; %bb.381:
	v_lshlrev_b32_e32 v1, 4, v1
	v_mov_b32_e32 v2, s14
	v_add_nc_u32_e32 v1, 16, v1
	s_clause 0x7
	buffer_load_dword v3, v1, s[0:3], 0 offen
	buffer_load_dword v4, v1, s[0:3], 0 offen offset:4
	buffer_load_dword v5, v1, s[0:3], 0 offen offset:8
	;; [unrolled: 1-line block ×6, first 2 shown]
	buffer_load_dword v10, v2, s[0:3], 0 offen
	s_waitcnt vmcnt(7)
	buffer_store_dword v3, v2, s[0:3], 0 offen
	s_waitcnt vmcnt(6)
	buffer_store_dword v4, v2, s[0:3], 0 offen offset:4
	s_waitcnt vmcnt(5)
	buffer_store_dword v5, v2, s[0:3], 0 offen offset:8
	;; [unrolled: 2-line block ×6, first 2 shown]
	s_waitcnt vmcnt(0)
	buffer_store_dword v10, v1, s[0:3], 0 offen
.LBB59_382:
	global_load_dword v0, v0, s[20:21] offset:216
	s_waitcnt vmcnt(0)
	v_add_nc_u32_e32 v0, -1, v0
	v_cmp_eq_u32_e32 vcc_lo, 54, v0
	s_cbranch_vccnz .LBB59_384
; %bb.383:
	v_lshlrev_b32_e32 v0, 4, v0
	v_mov_b32_e32 v1, s15
	v_add_nc_u32_e32 v0, 16, v0
	s_clause 0x7
	buffer_load_dword v2, v0, s[0:3], 0 offen
	buffer_load_dword v3, v0, s[0:3], 0 offen offset:4
	buffer_load_dword v4, v0, s[0:3], 0 offen offset:8
	;; [unrolled: 1-line block ×6, first 2 shown]
	buffer_load_dword v9, v1, s[0:3], 0 offen
	s_waitcnt vmcnt(7)
	buffer_store_dword v2, v1, s[0:3], 0 offen
	s_waitcnt vmcnt(6)
	buffer_store_dword v3, v1, s[0:3], 0 offen offset:4
	s_waitcnt vmcnt(5)
	buffer_store_dword v4, v1, s[0:3], 0 offen offset:8
	;; [unrolled: 2-line block ×6, first 2 shown]
	s_waitcnt vmcnt(0)
	buffer_store_dword v9, v0, s[0:3], 0 offen
.LBB59_384:
	v_mov_b32_e32 v0, 0
	global_load_dword v1, v0, s[20:21] offset:212
	s_waitcnt vmcnt(0)
	v_add_nc_u32_e32 v1, -1, v1
	v_cmp_eq_u32_e32 vcc_lo, 53, v1
	s_cbranch_vccnz .LBB59_386
; %bb.385:
	v_lshlrev_b32_e32 v1, 4, v1
	v_mov_b32_e32 v2, s16
	v_add_nc_u32_e32 v1, 16, v1
	s_clause 0x7
	buffer_load_dword v3, v1, s[0:3], 0 offen
	buffer_load_dword v4, v1, s[0:3], 0 offen offset:4
	buffer_load_dword v5, v1, s[0:3], 0 offen offset:8
	;; [unrolled: 1-line block ×6, first 2 shown]
	buffer_load_dword v10, v2, s[0:3], 0 offen
	s_waitcnt vmcnt(7)
	buffer_store_dword v3, v2, s[0:3], 0 offen
	s_waitcnt vmcnt(6)
	buffer_store_dword v4, v2, s[0:3], 0 offen offset:4
	s_waitcnt vmcnt(5)
	buffer_store_dword v5, v2, s[0:3], 0 offen offset:8
	;; [unrolled: 2-line block ×6, first 2 shown]
	s_waitcnt vmcnt(0)
	buffer_store_dword v10, v1, s[0:3], 0 offen
.LBB59_386:
	global_load_dword v0, v0, s[20:21] offset:208
	s_waitcnt vmcnt(0)
	v_add_nc_u32_e32 v0, -1, v0
	v_cmp_eq_u32_e32 vcc_lo, 52, v0
	s_cbranch_vccnz .LBB59_388
; %bb.387:
	v_lshlrev_b32_e32 v0, 4, v0
	v_mov_b32_e32 v1, s17
	v_add_nc_u32_e32 v0, 16, v0
	s_clause 0x7
	buffer_load_dword v2, v0, s[0:3], 0 offen
	buffer_load_dword v3, v0, s[0:3], 0 offen offset:4
	buffer_load_dword v4, v0, s[0:3], 0 offen offset:8
	;; [unrolled: 1-line block ×6, first 2 shown]
	buffer_load_dword v9, v1, s[0:3], 0 offen
	s_waitcnt vmcnt(7)
	buffer_store_dword v2, v1, s[0:3], 0 offen
	s_waitcnt vmcnt(6)
	buffer_store_dword v3, v1, s[0:3], 0 offen offset:4
	s_waitcnt vmcnt(5)
	buffer_store_dword v4, v1, s[0:3], 0 offen offset:8
	;; [unrolled: 2-line block ×6, first 2 shown]
	s_waitcnt vmcnt(0)
	buffer_store_dword v9, v0, s[0:3], 0 offen
.LBB59_388:
	v_mov_b32_e32 v0, 0
	global_load_dword v1, v0, s[20:21] offset:204
	s_waitcnt vmcnt(0)
	v_add_nc_u32_e32 v1, -1, v1
	v_cmp_eq_u32_e32 vcc_lo, 51, v1
	s_cbranch_vccnz .LBB59_390
; %bb.389:
	v_lshlrev_b32_e32 v1, 4, v1
	v_mov_b32_e32 v2, s18
	v_add_nc_u32_e32 v1, 16, v1
	s_clause 0x7
	buffer_load_dword v3, v1, s[0:3], 0 offen
	buffer_load_dword v4, v1, s[0:3], 0 offen offset:4
	buffer_load_dword v5, v1, s[0:3], 0 offen offset:8
	;; [unrolled: 1-line block ×6, first 2 shown]
	buffer_load_dword v10, v2, s[0:3], 0 offen
	s_waitcnt vmcnt(7)
	buffer_store_dword v3, v2, s[0:3], 0 offen
	s_waitcnt vmcnt(6)
	buffer_store_dword v4, v2, s[0:3], 0 offen offset:4
	s_waitcnt vmcnt(5)
	buffer_store_dword v5, v2, s[0:3], 0 offen offset:8
	;; [unrolled: 2-line block ×6, first 2 shown]
	s_waitcnt vmcnt(0)
	buffer_store_dword v10, v1, s[0:3], 0 offen
.LBB59_390:
	global_load_dword v0, v0, s[20:21] offset:200
	s_waitcnt vmcnt(0)
	v_add_nc_u32_e32 v0, -1, v0
	v_cmp_eq_u32_e32 vcc_lo, 50, v0
	s_cbranch_vccnz .LBB59_392
; %bb.391:
	v_lshlrev_b32_e32 v0, 4, v0
	v_mov_b32_e32 v1, s19
	v_add_nc_u32_e32 v0, 16, v0
	s_clause 0x7
	buffer_load_dword v2, v0, s[0:3], 0 offen
	buffer_load_dword v3, v0, s[0:3], 0 offen offset:4
	buffer_load_dword v4, v0, s[0:3], 0 offen offset:8
	;; [unrolled: 1-line block ×6, first 2 shown]
	buffer_load_dword v9, v1, s[0:3], 0 offen
	s_waitcnt vmcnt(7)
	buffer_store_dword v2, v1, s[0:3], 0 offen
	s_waitcnt vmcnt(6)
	buffer_store_dword v3, v1, s[0:3], 0 offen offset:4
	s_waitcnt vmcnt(5)
	buffer_store_dword v4, v1, s[0:3], 0 offen offset:8
	;; [unrolled: 2-line block ×6, first 2 shown]
	s_waitcnt vmcnt(0)
	buffer_store_dword v9, v0, s[0:3], 0 offen
.LBB59_392:
	v_mov_b32_e32 v0, 0
	global_load_dword v1, v0, s[20:21] offset:196
	s_waitcnt vmcnt(0)
	v_add_nc_u32_e32 v1, -1, v1
	v_cmp_eq_u32_e32 vcc_lo, 49, v1
	s_cbranch_vccnz .LBB59_394
; %bb.393:
	v_lshlrev_b32_e32 v1, 4, v1
	v_mov_b32_e32 v2, s22
	v_add_nc_u32_e32 v1, 16, v1
	s_clause 0x7
	buffer_load_dword v3, v1, s[0:3], 0 offen
	buffer_load_dword v4, v1, s[0:3], 0 offen offset:4
	buffer_load_dword v5, v1, s[0:3], 0 offen offset:8
	;; [unrolled: 1-line block ×6, first 2 shown]
	buffer_load_dword v10, v2, s[0:3], 0 offen
	s_waitcnt vmcnt(7)
	buffer_store_dword v3, v2, s[0:3], 0 offen
	s_waitcnt vmcnt(6)
	buffer_store_dword v4, v2, s[0:3], 0 offen offset:4
	s_waitcnt vmcnt(5)
	buffer_store_dword v5, v2, s[0:3], 0 offen offset:8
	;; [unrolled: 2-line block ×6, first 2 shown]
	s_waitcnt vmcnt(0)
	buffer_store_dword v10, v1, s[0:3], 0 offen
.LBB59_394:
	global_load_dword v0, v0, s[20:21] offset:192
	s_waitcnt vmcnt(0)
	v_add_nc_u32_e32 v0, -1, v0
	v_cmp_eq_u32_e32 vcc_lo, 48, v0
	s_cbranch_vccnz .LBB59_396
; %bb.395:
	v_lshlrev_b32_e32 v0, 4, v0
	v_mov_b32_e32 v1, s23
	v_add_nc_u32_e32 v0, 16, v0
	s_clause 0x7
	buffer_load_dword v2, v0, s[0:3], 0 offen
	buffer_load_dword v3, v0, s[0:3], 0 offen offset:4
	buffer_load_dword v4, v0, s[0:3], 0 offen offset:8
	;; [unrolled: 1-line block ×6, first 2 shown]
	buffer_load_dword v9, v1, s[0:3], 0 offen
	s_waitcnt vmcnt(7)
	buffer_store_dword v2, v1, s[0:3], 0 offen
	s_waitcnt vmcnt(6)
	buffer_store_dword v3, v1, s[0:3], 0 offen offset:4
	s_waitcnt vmcnt(5)
	buffer_store_dword v4, v1, s[0:3], 0 offen offset:8
	;; [unrolled: 2-line block ×6, first 2 shown]
	s_waitcnt vmcnt(0)
	buffer_store_dword v9, v0, s[0:3], 0 offen
.LBB59_396:
	v_mov_b32_e32 v0, 0
	global_load_dword v1, v0, s[20:21] offset:188
	s_waitcnt vmcnt(0)
	v_add_nc_u32_e32 v1, -1, v1
	v_cmp_eq_u32_e32 vcc_lo, 47, v1
	s_cbranch_vccnz .LBB59_398
; %bb.397:
	v_lshlrev_b32_e32 v1, 4, v1
	v_mov_b32_e32 v2, s24
	v_add_nc_u32_e32 v1, 16, v1
	s_clause 0x7
	buffer_load_dword v3, v1, s[0:3], 0 offen
	buffer_load_dword v4, v1, s[0:3], 0 offen offset:4
	buffer_load_dword v5, v1, s[0:3], 0 offen offset:8
	;; [unrolled: 1-line block ×6, first 2 shown]
	buffer_load_dword v10, v2, s[0:3], 0 offen
	s_waitcnt vmcnt(7)
	buffer_store_dword v3, v2, s[0:3], 0 offen
	s_waitcnt vmcnt(6)
	buffer_store_dword v4, v2, s[0:3], 0 offen offset:4
	s_waitcnt vmcnt(5)
	buffer_store_dword v5, v2, s[0:3], 0 offen offset:8
	;; [unrolled: 2-line block ×6, first 2 shown]
	s_waitcnt vmcnt(0)
	buffer_store_dword v10, v1, s[0:3], 0 offen
.LBB59_398:
	global_load_dword v0, v0, s[20:21] offset:184
	s_waitcnt vmcnt(0)
	v_add_nc_u32_e32 v0, -1, v0
	v_cmp_eq_u32_e32 vcc_lo, 46, v0
	s_cbranch_vccnz .LBB59_400
; %bb.399:
	v_lshlrev_b32_e32 v0, 4, v0
	v_mov_b32_e32 v1, s25
	v_add_nc_u32_e32 v0, 16, v0
	s_clause 0x7
	buffer_load_dword v2, v0, s[0:3], 0 offen
	buffer_load_dword v3, v0, s[0:3], 0 offen offset:4
	buffer_load_dword v4, v0, s[0:3], 0 offen offset:8
	buffer_load_dword v5, v0, s[0:3], 0 offen offset:12
	buffer_load_dword v6, v1, s[0:3], 0 offen offset:12
	buffer_load_dword v7, v1, s[0:3], 0 offen offset:8
	buffer_load_dword v8, v1, s[0:3], 0 offen offset:4
	buffer_load_dword v9, v1, s[0:3], 0 offen
	s_waitcnt vmcnt(7)
	buffer_store_dword v2, v1, s[0:3], 0 offen
	s_waitcnt vmcnt(6)
	buffer_store_dword v3, v1, s[0:3], 0 offen offset:4
	s_waitcnt vmcnt(5)
	buffer_store_dword v4, v1, s[0:3], 0 offen offset:8
	;; [unrolled: 2-line block ×6, first 2 shown]
	s_waitcnt vmcnt(0)
	buffer_store_dword v9, v0, s[0:3], 0 offen
.LBB59_400:
	v_mov_b32_e32 v0, 0
	global_load_dword v1, v0, s[20:21] offset:180
	s_waitcnt vmcnt(0)
	v_add_nc_u32_e32 v1, -1, v1
	v_cmp_eq_u32_e32 vcc_lo, 45, v1
	s_cbranch_vccnz .LBB59_402
; %bb.401:
	v_lshlrev_b32_e32 v1, 4, v1
	v_mov_b32_e32 v2, s26
	v_add_nc_u32_e32 v1, 16, v1
	s_clause 0x7
	buffer_load_dword v3, v1, s[0:3], 0 offen
	buffer_load_dword v4, v1, s[0:3], 0 offen offset:4
	buffer_load_dword v5, v1, s[0:3], 0 offen offset:8
	;; [unrolled: 1-line block ×6, first 2 shown]
	buffer_load_dword v10, v2, s[0:3], 0 offen
	s_waitcnt vmcnt(7)
	buffer_store_dword v3, v2, s[0:3], 0 offen
	s_waitcnt vmcnt(6)
	buffer_store_dword v4, v2, s[0:3], 0 offen offset:4
	s_waitcnt vmcnt(5)
	buffer_store_dword v5, v2, s[0:3], 0 offen offset:8
	;; [unrolled: 2-line block ×6, first 2 shown]
	s_waitcnt vmcnt(0)
	buffer_store_dword v10, v1, s[0:3], 0 offen
.LBB59_402:
	global_load_dword v0, v0, s[20:21] offset:176
	s_waitcnt vmcnt(0)
	v_add_nc_u32_e32 v0, -1, v0
	v_cmp_eq_u32_e32 vcc_lo, 44, v0
	s_cbranch_vccnz .LBB59_404
; %bb.403:
	v_lshlrev_b32_e32 v0, 4, v0
	v_mov_b32_e32 v1, s27
	v_add_nc_u32_e32 v0, 16, v0
	s_clause 0x7
	buffer_load_dword v2, v0, s[0:3], 0 offen
	buffer_load_dword v3, v0, s[0:3], 0 offen offset:4
	buffer_load_dword v4, v0, s[0:3], 0 offen offset:8
	;; [unrolled: 1-line block ×6, first 2 shown]
	buffer_load_dword v9, v1, s[0:3], 0 offen
	s_waitcnt vmcnt(7)
	buffer_store_dword v2, v1, s[0:3], 0 offen
	s_waitcnt vmcnt(6)
	buffer_store_dword v3, v1, s[0:3], 0 offen offset:4
	s_waitcnt vmcnt(5)
	buffer_store_dword v4, v1, s[0:3], 0 offen offset:8
	;; [unrolled: 2-line block ×6, first 2 shown]
	s_waitcnt vmcnt(0)
	buffer_store_dword v9, v0, s[0:3], 0 offen
.LBB59_404:
	v_mov_b32_e32 v0, 0
	global_load_dword v1, v0, s[20:21] offset:172
	s_waitcnt vmcnt(0)
	v_add_nc_u32_e32 v1, -1, v1
	v_cmp_eq_u32_e32 vcc_lo, 43, v1
	s_cbranch_vccnz .LBB59_406
; %bb.405:
	v_lshlrev_b32_e32 v1, 4, v1
	v_mov_b32_e32 v2, s28
	v_add_nc_u32_e32 v1, 16, v1
	s_clause 0x7
	buffer_load_dword v3, v1, s[0:3], 0 offen
	buffer_load_dword v4, v1, s[0:3], 0 offen offset:4
	buffer_load_dword v5, v1, s[0:3], 0 offen offset:8
	;; [unrolled: 1-line block ×6, first 2 shown]
	buffer_load_dword v10, v2, s[0:3], 0 offen
	s_waitcnt vmcnt(7)
	buffer_store_dword v3, v2, s[0:3], 0 offen
	s_waitcnt vmcnt(6)
	buffer_store_dword v4, v2, s[0:3], 0 offen offset:4
	s_waitcnt vmcnt(5)
	buffer_store_dword v5, v2, s[0:3], 0 offen offset:8
	;; [unrolled: 2-line block ×6, first 2 shown]
	s_waitcnt vmcnt(0)
	buffer_store_dword v10, v1, s[0:3], 0 offen
.LBB59_406:
	global_load_dword v0, v0, s[20:21] offset:168
	s_waitcnt vmcnt(0)
	v_add_nc_u32_e32 v0, -1, v0
	v_cmp_eq_u32_e32 vcc_lo, 42, v0
	s_cbranch_vccnz .LBB59_408
; %bb.407:
	v_lshlrev_b32_e32 v0, 4, v0
	v_mov_b32_e32 v1, s29
	v_add_nc_u32_e32 v0, 16, v0
	s_clause 0x7
	buffer_load_dword v2, v0, s[0:3], 0 offen
	buffer_load_dword v3, v0, s[0:3], 0 offen offset:4
	buffer_load_dword v4, v0, s[0:3], 0 offen offset:8
	;; [unrolled: 1-line block ×6, first 2 shown]
	buffer_load_dword v9, v1, s[0:3], 0 offen
	s_waitcnt vmcnt(7)
	buffer_store_dword v2, v1, s[0:3], 0 offen
	s_waitcnt vmcnt(6)
	buffer_store_dword v3, v1, s[0:3], 0 offen offset:4
	s_waitcnt vmcnt(5)
	buffer_store_dword v4, v1, s[0:3], 0 offen offset:8
	;; [unrolled: 2-line block ×6, first 2 shown]
	s_waitcnt vmcnt(0)
	buffer_store_dword v9, v0, s[0:3], 0 offen
.LBB59_408:
	v_mov_b32_e32 v0, 0
	global_load_dword v1, v0, s[20:21] offset:164
	s_waitcnt vmcnt(0)
	v_add_nc_u32_e32 v1, -1, v1
	v_cmp_eq_u32_e32 vcc_lo, 41, v1
	s_cbranch_vccnz .LBB59_410
; %bb.409:
	v_lshlrev_b32_e32 v1, 4, v1
	v_mov_b32_e32 v2, s30
	v_add_nc_u32_e32 v1, 16, v1
	s_clause 0x7
	buffer_load_dword v3, v1, s[0:3], 0 offen
	buffer_load_dword v4, v1, s[0:3], 0 offen offset:4
	buffer_load_dword v5, v1, s[0:3], 0 offen offset:8
	;; [unrolled: 1-line block ×6, first 2 shown]
	buffer_load_dword v10, v2, s[0:3], 0 offen
	s_waitcnt vmcnt(7)
	buffer_store_dword v3, v2, s[0:3], 0 offen
	s_waitcnt vmcnt(6)
	buffer_store_dword v4, v2, s[0:3], 0 offen offset:4
	s_waitcnt vmcnt(5)
	buffer_store_dword v5, v2, s[0:3], 0 offen offset:8
	;; [unrolled: 2-line block ×6, first 2 shown]
	s_waitcnt vmcnt(0)
	buffer_store_dword v10, v1, s[0:3], 0 offen
.LBB59_410:
	global_load_dword v0, v0, s[20:21] offset:160
	s_waitcnt vmcnt(0)
	v_add_nc_u32_e32 v0, -1, v0
	v_cmp_eq_u32_e32 vcc_lo, 40, v0
	s_cbranch_vccnz .LBB59_412
; %bb.411:
	v_lshlrev_b32_e32 v0, 4, v0
	v_mov_b32_e32 v1, s31
	v_add_nc_u32_e32 v0, 16, v0
	s_clause 0x7
	buffer_load_dword v2, v0, s[0:3], 0 offen
	buffer_load_dword v3, v0, s[0:3], 0 offen offset:4
	buffer_load_dword v4, v0, s[0:3], 0 offen offset:8
	buffer_load_dword v5, v0, s[0:3], 0 offen offset:12
	buffer_load_dword v6, v1, s[0:3], 0 offen offset:12
	buffer_load_dword v7, v1, s[0:3], 0 offen offset:8
	buffer_load_dword v8, v1, s[0:3], 0 offen offset:4
	buffer_load_dword v9, v1, s[0:3], 0 offen
	s_waitcnt vmcnt(7)
	buffer_store_dword v2, v1, s[0:3], 0 offen
	s_waitcnt vmcnt(6)
	buffer_store_dword v3, v1, s[0:3], 0 offen offset:4
	s_waitcnt vmcnt(5)
	buffer_store_dword v4, v1, s[0:3], 0 offen offset:8
	;; [unrolled: 2-line block ×6, first 2 shown]
	s_waitcnt vmcnt(0)
	buffer_store_dword v9, v0, s[0:3], 0 offen
.LBB59_412:
	v_mov_b32_e32 v0, 0
	global_load_dword v1, v0, s[20:21] offset:156
	s_waitcnt vmcnt(0)
	v_add_nc_u32_e32 v1, -1, v1
	v_cmp_eq_u32_e32 vcc_lo, 39, v1
	s_cbranch_vccnz .LBB59_414
; %bb.413:
	v_lshlrev_b32_e32 v1, 4, v1
	v_mov_b32_e32 v2, s33
	v_add_nc_u32_e32 v1, 16, v1
	s_clause 0x7
	buffer_load_dword v3, v1, s[0:3], 0 offen
	buffer_load_dword v4, v1, s[0:3], 0 offen offset:4
	buffer_load_dword v5, v1, s[0:3], 0 offen offset:8
	;; [unrolled: 1-line block ×6, first 2 shown]
	buffer_load_dword v10, v2, s[0:3], 0 offen
	s_waitcnt vmcnt(7)
	buffer_store_dword v3, v2, s[0:3], 0 offen
	s_waitcnt vmcnt(6)
	buffer_store_dword v4, v2, s[0:3], 0 offen offset:4
	s_waitcnt vmcnt(5)
	buffer_store_dword v5, v2, s[0:3], 0 offen offset:8
	;; [unrolled: 2-line block ×6, first 2 shown]
	s_waitcnt vmcnt(0)
	buffer_store_dword v10, v1, s[0:3], 0 offen
.LBB59_414:
	global_load_dword v0, v0, s[20:21] offset:152
	s_waitcnt vmcnt(0)
	v_add_nc_u32_e32 v0, -1, v0
	v_cmp_eq_u32_e32 vcc_lo, 38, v0
	s_cbranch_vccnz .LBB59_416
; %bb.415:
	v_lshlrev_b32_e32 v0, 4, v0
	v_mov_b32_e32 v1, s34
	v_add_nc_u32_e32 v0, 16, v0
	s_clause 0x7
	buffer_load_dword v2, v0, s[0:3], 0 offen
	buffer_load_dword v3, v0, s[0:3], 0 offen offset:4
	buffer_load_dword v4, v0, s[0:3], 0 offen offset:8
	;; [unrolled: 1-line block ×6, first 2 shown]
	buffer_load_dword v9, v1, s[0:3], 0 offen
	s_waitcnt vmcnt(7)
	buffer_store_dword v2, v1, s[0:3], 0 offen
	s_waitcnt vmcnt(6)
	buffer_store_dword v3, v1, s[0:3], 0 offen offset:4
	s_waitcnt vmcnt(5)
	buffer_store_dword v4, v1, s[0:3], 0 offen offset:8
	;; [unrolled: 2-line block ×6, first 2 shown]
	s_waitcnt vmcnt(0)
	buffer_store_dword v9, v0, s[0:3], 0 offen
.LBB59_416:
	v_mov_b32_e32 v0, 0
	global_load_dword v1, v0, s[20:21] offset:148
	s_waitcnt vmcnt(0)
	v_add_nc_u32_e32 v1, -1, v1
	v_cmp_eq_u32_e32 vcc_lo, 37, v1
	s_cbranch_vccnz .LBB59_418
; %bb.417:
	v_lshlrev_b32_e32 v1, 4, v1
	v_mov_b32_e32 v2, s35
	v_add_nc_u32_e32 v1, 16, v1
	s_clause 0x7
	buffer_load_dword v3, v1, s[0:3], 0 offen
	buffer_load_dword v4, v1, s[0:3], 0 offen offset:4
	buffer_load_dword v5, v1, s[0:3], 0 offen offset:8
	;; [unrolled: 1-line block ×6, first 2 shown]
	buffer_load_dword v10, v2, s[0:3], 0 offen
	s_waitcnt vmcnt(7)
	buffer_store_dword v3, v2, s[0:3], 0 offen
	s_waitcnt vmcnt(6)
	buffer_store_dword v4, v2, s[0:3], 0 offen offset:4
	s_waitcnt vmcnt(5)
	buffer_store_dword v5, v2, s[0:3], 0 offen offset:8
	;; [unrolled: 2-line block ×6, first 2 shown]
	s_waitcnt vmcnt(0)
	buffer_store_dword v10, v1, s[0:3], 0 offen
.LBB59_418:
	global_load_dword v0, v0, s[20:21] offset:144
	s_waitcnt vmcnt(0)
	v_add_nc_u32_e32 v0, -1, v0
	v_cmp_eq_u32_e32 vcc_lo, 36, v0
	s_cbranch_vccnz .LBB59_420
; %bb.419:
	v_lshlrev_b32_e32 v0, 4, v0
	v_mov_b32_e32 v1, s36
	v_add_nc_u32_e32 v0, 16, v0
	s_clause 0x7
	buffer_load_dword v2, v0, s[0:3], 0 offen
	buffer_load_dword v3, v0, s[0:3], 0 offen offset:4
	buffer_load_dword v4, v0, s[0:3], 0 offen offset:8
	;; [unrolled: 1-line block ×6, first 2 shown]
	buffer_load_dword v9, v1, s[0:3], 0 offen
	s_waitcnt vmcnt(7)
	buffer_store_dword v2, v1, s[0:3], 0 offen
	s_waitcnt vmcnt(6)
	buffer_store_dword v3, v1, s[0:3], 0 offen offset:4
	s_waitcnt vmcnt(5)
	buffer_store_dword v4, v1, s[0:3], 0 offen offset:8
	;; [unrolled: 2-line block ×6, first 2 shown]
	s_waitcnt vmcnt(0)
	buffer_store_dword v9, v0, s[0:3], 0 offen
.LBB59_420:
	v_mov_b32_e32 v0, 0
	global_load_dword v1, v0, s[20:21] offset:140
	s_waitcnt vmcnt(0)
	v_add_nc_u32_e32 v1, -1, v1
	v_cmp_eq_u32_e32 vcc_lo, 35, v1
	s_cbranch_vccnz .LBB59_422
; %bb.421:
	v_lshlrev_b32_e32 v1, 4, v1
	v_mov_b32_e32 v2, s37
	v_add_nc_u32_e32 v1, 16, v1
	s_clause 0x7
	buffer_load_dword v3, v1, s[0:3], 0 offen
	buffer_load_dword v4, v1, s[0:3], 0 offen offset:4
	buffer_load_dword v5, v1, s[0:3], 0 offen offset:8
	;; [unrolled: 1-line block ×6, first 2 shown]
	buffer_load_dword v10, v2, s[0:3], 0 offen
	s_waitcnt vmcnt(7)
	buffer_store_dword v3, v2, s[0:3], 0 offen
	s_waitcnt vmcnt(6)
	buffer_store_dword v4, v2, s[0:3], 0 offen offset:4
	s_waitcnt vmcnt(5)
	buffer_store_dword v5, v2, s[0:3], 0 offen offset:8
	;; [unrolled: 2-line block ×6, first 2 shown]
	s_waitcnt vmcnt(0)
	buffer_store_dword v10, v1, s[0:3], 0 offen
.LBB59_422:
	global_load_dword v0, v0, s[20:21] offset:136
	s_waitcnt vmcnt(0)
	v_add_nc_u32_e32 v0, -1, v0
	v_cmp_eq_u32_e32 vcc_lo, 34, v0
	s_cbranch_vccnz .LBB59_424
; %bb.423:
	v_lshlrev_b32_e32 v0, 4, v0
	v_mov_b32_e32 v1, s38
	v_add_nc_u32_e32 v0, 16, v0
	s_clause 0x7
	buffer_load_dword v2, v0, s[0:3], 0 offen
	buffer_load_dword v3, v0, s[0:3], 0 offen offset:4
	buffer_load_dword v4, v0, s[0:3], 0 offen offset:8
	;; [unrolled: 1-line block ×6, first 2 shown]
	buffer_load_dword v9, v1, s[0:3], 0 offen
	s_waitcnt vmcnt(7)
	buffer_store_dword v2, v1, s[0:3], 0 offen
	s_waitcnt vmcnt(6)
	buffer_store_dword v3, v1, s[0:3], 0 offen offset:4
	s_waitcnt vmcnt(5)
	buffer_store_dword v4, v1, s[0:3], 0 offen offset:8
	;; [unrolled: 2-line block ×6, first 2 shown]
	s_waitcnt vmcnt(0)
	buffer_store_dword v9, v0, s[0:3], 0 offen
.LBB59_424:
	v_mov_b32_e32 v0, 0
	global_load_dword v1, v0, s[20:21] offset:132
	s_waitcnt vmcnt(0)
	v_add_nc_u32_e32 v1, -1, v1
	v_cmp_eq_u32_e32 vcc_lo, 33, v1
	s_cbranch_vccnz .LBB59_426
; %bb.425:
	v_lshlrev_b32_e32 v1, 4, v1
	v_mov_b32_e32 v2, s39
	v_add_nc_u32_e32 v1, 16, v1
	s_clause 0x7
	buffer_load_dword v3, v1, s[0:3], 0 offen
	buffer_load_dword v4, v1, s[0:3], 0 offen offset:4
	buffer_load_dword v5, v1, s[0:3], 0 offen offset:8
	;; [unrolled: 1-line block ×6, first 2 shown]
	buffer_load_dword v10, v2, s[0:3], 0 offen
	s_waitcnt vmcnt(7)
	buffer_store_dword v3, v2, s[0:3], 0 offen
	s_waitcnt vmcnt(6)
	buffer_store_dword v4, v2, s[0:3], 0 offen offset:4
	s_waitcnt vmcnt(5)
	buffer_store_dword v5, v2, s[0:3], 0 offen offset:8
	;; [unrolled: 2-line block ×6, first 2 shown]
	s_waitcnt vmcnt(0)
	buffer_store_dword v10, v1, s[0:3], 0 offen
.LBB59_426:
	global_load_dword v0, v0, s[20:21] offset:128
	s_waitcnt vmcnt(0)
	v_add_nc_u32_e32 v0, -1, v0
	v_cmp_eq_u32_e32 vcc_lo, 32, v0
	s_cbranch_vccnz .LBB59_428
; %bb.427:
	v_lshlrev_b32_e32 v0, 4, v0
	v_mov_b32_e32 v1, s40
	v_add_nc_u32_e32 v0, 16, v0
	s_clause 0x7
	buffer_load_dword v2, v0, s[0:3], 0 offen
	buffer_load_dword v3, v0, s[0:3], 0 offen offset:4
	buffer_load_dword v4, v0, s[0:3], 0 offen offset:8
	;; [unrolled: 1-line block ×6, first 2 shown]
	buffer_load_dword v9, v1, s[0:3], 0 offen
	s_waitcnt vmcnt(7)
	buffer_store_dword v2, v1, s[0:3], 0 offen
	s_waitcnt vmcnt(6)
	buffer_store_dword v3, v1, s[0:3], 0 offen offset:4
	s_waitcnt vmcnt(5)
	buffer_store_dword v4, v1, s[0:3], 0 offen offset:8
	;; [unrolled: 2-line block ×6, first 2 shown]
	s_waitcnt vmcnt(0)
	buffer_store_dword v9, v0, s[0:3], 0 offen
.LBB59_428:
	v_mov_b32_e32 v0, 0
	global_load_dword v1, v0, s[20:21] offset:124
	s_waitcnt vmcnt(0)
	v_add_nc_u32_e32 v1, -1, v1
	v_cmp_eq_u32_e32 vcc_lo, 31, v1
	s_cbranch_vccnz .LBB59_430
; %bb.429:
	v_lshlrev_b32_e32 v1, 4, v1
	v_mov_b32_e32 v2, s41
	v_add_nc_u32_e32 v1, 16, v1
	s_clause 0x7
	buffer_load_dword v3, v1, s[0:3], 0 offen
	buffer_load_dword v4, v1, s[0:3], 0 offen offset:4
	buffer_load_dword v5, v1, s[0:3], 0 offen offset:8
	;; [unrolled: 1-line block ×6, first 2 shown]
	buffer_load_dword v10, v2, s[0:3], 0 offen
	s_waitcnt vmcnt(7)
	buffer_store_dword v3, v2, s[0:3], 0 offen
	s_waitcnt vmcnt(6)
	buffer_store_dword v4, v2, s[0:3], 0 offen offset:4
	s_waitcnt vmcnt(5)
	buffer_store_dword v5, v2, s[0:3], 0 offen offset:8
	;; [unrolled: 2-line block ×6, first 2 shown]
	s_waitcnt vmcnt(0)
	buffer_store_dword v10, v1, s[0:3], 0 offen
.LBB59_430:
	global_load_dword v0, v0, s[20:21] offset:120
	s_waitcnt vmcnt(0)
	v_add_nc_u32_e32 v0, -1, v0
	v_cmp_eq_u32_e32 vcc_lo, 30, v0
	s_cbranch_vccnz .LBB59_432
; %bb.431:
	v_lshlrev_b32_e32 v0, 4, v0
	v_mov_b32_e32 v1, s42
	v_add_nc_u32_e32 v0, 16, v0
	s_clause 0x7
	buffer_load_dword v2, v0, s[0:3], 0 offen
	buffer_load_dword v3, v0, s[0:3], 0 offen offset:4
	buffer_load_dword v4, v0, s[0:3], 0 offen offset:8
	;; [unrolled: 1-line block ×6, first 2 shown]
	buffer_load_dword v9, v1, s[0:3], 0 offen
	s_waitcnt vmcnt(7)
	buffer_store_dword v2, v1, s[0:3], 0 offen
	s_waitcnt vmcnt(6)
	buffer_store_dword v3, v1, s[0:3], 0 offen offset:4
	s_waitcnt vmcnt(5)
	buffer_store_dword v4, v1, s[0:3], 0 offen offset:8
	;; [unrolled: 2-line block ×6, first 2 shown]
	s_waitcnt vmcnt(0)
	buffer_store_dword v9, v0, s[0:3], 0 offen
.LBB59_432:
	v_mov_b32_e32 v0, 0
	global_load_dword v1, v0, s[20:21] offset:116
	s_waitcnt vmcnt(0)
	v_add_nc_u32_e32 v1, -1, v1
	v_cmp_eq_u32_e32 vcc_lo, 29, v1
	s_cbranch_vccnz .LBB59_434
; %bb.433:
	v_lshlrev_b32_e32 v1, 4, v1
	v_mov_b32_e32 v2, s43
	v_add_nc_u32_e32 v1, 16, v1
	s_clause 0x7
	buffer_load_dword v3, v1, s[0:3], 0 offen
	buffer_load_dword v4, v1, s[0:3], 0 offen offset:4
	buffer_load_dword v5, v1, s[0:3], 0 offen offset:8
	;; [unrolled: 1-line block ×6, first 2 shown]
	buffer_load_dword v10, v2, s[0:3], 0 offen
	s_waitcnt vmcnt(7)
	buffer_store_dword v3, v2, s[0:3], 0 offen
	s_waitcnt vmcnt(6)
	buffer_store_dword v4, v2, s[0:3], 0 offen offset:4
	s_waitcnt vmcnt(5)
	buffer_store_dword v5, v2, s[0:3], 0 offen offset:8
	s_waitcnt vmcnt(4)
	buffer_store_dword v6, v2, s[0:3], 0 offen offset:12
	s_waitcnt vmcnt(3)
	buffer_store_dword v7, v1, s[0:3], 0 offen offset:12
	s_waitcnt vmcnt(2)
	buffer_store_dword v8, v1, s[0:3], 0 offen offset:8
	s_waitcnt vmcnt(1)
	buffer_store_dword v9, v1, s[0:3], 0 offen offset:4
	s_waitcnt vmcnt(0)
	buffer_store_dword v10, v1, s[0:3], 0 offen
.LBB59_434:
	global_load_dword v0, v0, s[20:21] offset:112
	s_waitcnt vmcnt(0)
	v_add_nc_u32_e32 v0, -1, v0
	v_cmp_eq_u32_e32 vcc_lo, 28, v0
	s_cbranch_vccnz .LBB59_436
; %bb.435:
	v_lshlrev_b32_e32 v0, 4, v0
	v_mov_b32_e32 v1, s44
	v_add_nc_u32_e32 v0, 16, v0
	s_clause 0x7
	buffer_load_dword v2, v0, s[0:3], 0 offen
	buffer_load_dword v3, v0, s[0:3], 0 offen offset:4
	buffer_load_dword v4, v0, s[0:3], 0 offen offset:8
	;; [unrolled: 1-line block ×6, first 2 shown]
	buffer_load_dword v9, v1, s[0:3], 0 offen
	s_waitcnt vmcnt(7)
	buffer_store_dword v2, v1, s[0:3], 0 offen
	s_waitcnt vmcnt(6)
	buffer_store_dword v3, v1, s[0:3], 0 offen offset:4
	s_waitcnt vmcnt(5)
	buffer_store_dword v4, v1, s[0:3], 0 offen offset:8
	s_waitcnt vmcnt(4)
	buffer_store_dword v5, v1, s[0:3], 0 offen offset:12
	s_waitcnt vmcnt(3)
	buffer_store_dword v6, v0, s[0:3], 0 offen offset:12
	s_waitcnt vmcnt(2)
	buffer_store_dword v7, v0, s[0:3], 0 offen offset:8
	s_waitcnt vmcnt(1)
	buffer_store_dword v8, v0, s[0:3], 0 offen offset:4
	s_waitcnt vmcnt(0)
	buffer_store_dword v9, v0, s[0:3], 0 offen
.LBB59_436:
	v_mov_b32_e32 v0, 0
	global_load_dword v1, v0, s[20:21] offset:108
	s_waitcnt vmcnt(0)
	v_add_nc_u32_e32 v1, -1, v1
	v_cmp_eq_u32_e32 vcc_lo, 27, v1
	s_cbranch_vccnz .LBB59_438
; %bb.437:
	v_lshlrev_b32_e32 v1, 4, v1
	v_mov_b32_e32 v2, s45
	v_add_nc_u32_e32 v1, 16, v1
	s_clause 0x7
	buffer_load_dword v3, v1, s[0:3], 0 offen
	buffer_load_dword v4, v1, s[0:3], 0 offen offset:4
	buffer_load_dword v5, v1, s[0:3], 0 offen offset:8
	;; [unrolled: 1-line block ×6, first 2 shown]
	buffer_load_dword v10, v2, s[0:3], 0 offen
	s_waitcnt vmcnt(7)
	buffer_store_dword v3, v2, s[0:3], 0 offen
	s_waitcnt vmcnt(6)
	buffer_store_dword v4, v2, s[0:3], 0 offen offset:4
	s_waitcnt vmcnt(5)
	buffer_store_dword v5, v2, s[0:3], 0 offen offset:8
	;; [unrolled: 2-line block ×6, first 2 shown]
	s_waitcnt vmcnt(0)
	buffer_store_dword v10, v1, s[0:3], 0 offen
.LBB59_438:
	global_load_dword v0, v0, s[20:21] offset:104
	s_waitcnt vmcnt(0)
	v_add_nc_u32_e32 v0, -1, v0
	v_cmp_eq_u32_e32 vcc_lo, 26, v0
	s_cbranch_vccnz .LBB59_440
; %bb.439:
	v_lshlrev_b32_e32 v0, 4, v0
	v_mov_b32_e32 v1, s46
	v_add_nc_u32_e32 v0, 16, v0
	s_clause 0x7
	buffer_load_dword v2, v0, s[0:3], 0 offen
	buffer_load_dword v3, v0, s[0:3], 0 offen offset:4
	buffer_load_dword v4, v0, s[0:3], 0 offen offset:8
	buffer_load_dword v5, v0, s[0:3], 0 offen offset:12
	buffer_load_dword v6, v1, s[0:3], 0 offen offset:12
	buffer_load_dword v7, v1, s[0:3], 0 offen offset:8
	buffer_load_dword v8, v1, s[0:3], 0 offen offset:4
	buffer_load_dword v9, v1, s[0:3], 0 offen
	s_waitcnt vmcnt(7)
	buffer_store_dword v2, v1, s[0:3], 0 offen
	s_waitcnt vmcnt(6)
	buffer_store_dword v3, v1, s[0:3], 0 offen offset:4
	s_waitcnt vmcnt(5)
	buffer_store_dword v4, v1, s[0:3], 0 offen offset:8
	;; [unrolled: 2-line block ×6, first 2 shown]
	s_waitcnt vmcnt(0)
	buffer_store_dword v9, v0, s[0:3], 0 offen
.LBB59_440:
	v_mov_b32_e32 v0, 0
	global_load_dword v1, v0, s[20:21] offset:100
	s_waitcnt vmcnt(0)
	v_add_nc_u32_e32 v1, -1, v1
	v_cmp_eq_u32_e32 vcc_lo, 25, v1
	s_cbranch_vccnz .LBB59_442
; %bb.441:
	v_lshlrev_b32_e32 v1, 4, v1
	v_mov_b32_e32 v2, s47
	v_add_nc_u32_e32 v1, 16, v1
	s_clause 0x7
	buffer_load_dword v3, v1, s[0:3], 0 offen
	buffer_load_dword v4, v1, s[0:3], 0 offen offset:4
	buffer_load_dword v5, v1, s[0:3], 0 offen offset:8
	buffer_load_dword v6, v1, s[0:3], 0 offen offset:12
	buffer_load_dword v7, v2, s[0:3], 0 offen offset:12
	buffer_load_dword v8, v2, s[0:3], 0 offen offset:8
	buffer_load_dword v9, v2, s[0:3], 0 offen offset:4
	buffer_load_dword v10, v2, s[0:3], 0 offen
	s_waitcnt vmcnt(7)
	buffer_store_dword v3, v2, s[0:3], 0 offen
	s_waitcnt vmcnt(6)
	buffer_store_dword v4, v2, s[0:3], 0 offen offset:4
	s_waitcnt vmcnt(5)
	buffer_store_dword v5, v2, s[0:3], 0 offen offset:8
	;; [unrolled: 2-line block ×6, first 2 shown]
	s_waitcnt vmcnt(0)
	buffer_store_dword v10, v1, s[0:3], 0 offen
.LBB59_442:
	global_load_dword v0, v0, s[20:21] offset:96
	s_waitcnt vmcnt(0)
	v_add_nc_u32_e32 v0, -1, v0
	v_cmp_eq_u32_e32 vcc_lo, 24, v0
	s_cbranch_vccnz .LBB59_444
; %bb.443:
	v_lshlrev_b32_e32 v0, 4, v0
	v_mov_b32_e32 v1, s48
	v_add_nc_u32_e32 v0, 16, v0
	s_clause 0x7
	buffer_load_dword v2, v0, s[0:3], 0 offen
	buffer_load_dword v3, v0, s[0:3], 0 offen offset:4
	buffer_load_dword v4, v0, s[0:3], 0 offen offset:8
	buffer_load_dword v5, v0, s[0:3], 0 offen offset:12
	buffer_load_dword v6, v1, s[0:3], 0 offen offset:12
	buffer_load_dword v7, v1, s[0:3], 0 offen offset:8
	buffer_load_dword v8, v1, s[0:3], 0 offen offset:4
	buffer_load_dword v9, v1, s[0:3], 0 offen
	s_waitcnt vmcnt(7)
	buffer_store_dword v2, v1, s[0:3], 0 offen
	s_waitcnt vmcnt(6)
	buffer_store_dword v3, v1, s[0:3], 0 offen offset:4
	s_waitcnt vmcnt(5)
	buffer_store_dword v4, v1, s[0:3], 0 offen offset:8
	s_waitcnt vmcnt(4)
	buffer_store_dword v5, v1, s[0:3], 0 offen offset:12
	s_waitcnt vmcnt(3)
	buffer_store_dword v6, v0, s[0:3], 0 offen offset:12
	s_waitcnt vmcnt(2)
	buffer_store_dword v7, v0, s[0:3], 0 offen offset:8
	s_waitcnt vmcnt(1)
	buffer_store_dword v8, v0, s[0:3], 0 offen offset:4
	s_waitcnt vmcnt(0)
	buffer_store_dword v9, v0, s[0:3], 0 offen
.LBB59_444:
	v_mov_b32_e32 v0, 0
	global_load_dword v1, v0, s[20:21] offset:92
	s_waitcnt vmcnt(0)
	v_add_nc_u32_e32 v1, -1, v1
	v_cmp_eq_u32_e32 vcc_lo, 23, v1
	s_cbranch_vccnz .LBB59_446
; %bb.445:
	v_lshlrev_b32_e32 v1, 4, v1
	v_mov_b32_e32 v2, s49
	v_add_nc_u32_e32 v1, 16, v1
	s_clause 0x7
	buffer_load_dword v3, v1, s[0:3], 0 offen
	buffer_load_dword v4, v1, s[0:3], 0 offen offset:4
	buffer_load_dword v5, v1, s[0:3], 0 offen offset:8
	;; [unrolled: 1-line block ×6, first 2 shown]
	buffer_load_dword v10, v2, s[0:3], 0 offen
	s_waitcnt vmcnt(7)
	buffer_store_dword v3, v2, s[0:3], 0 offen
	s_waitcnt vmcnt(6)
	buffer_store_dword v4, v2, s[0:3], 0 offen offset:4
	s_waitcnt vmcnt(5)
	buffer_store_dword v5, v2, s[0:3], 0 offen offset:8
	;; [unrolled: 2-line block ×6, first 2 shown]
	s_waitcnt vmcnt(0)
	buffer_store_dword v10, v1, s[0:3], 0 offen
.LBB59_446:
	global_load_dword v0, v0, s[20:21] offset:88
	s_waitcnt vmcnt(0)
	v_add_nc_u32_e32 v0, -1, v0
	v_cmp_eq_u32_e32 vcc_lo, 22, v0
	s_cbranch_vccnz .LBB59_448
; %bb.447:
	v_lshlrev_b32_e32 v0, 4, v0
	v_mov_b32_e32 v1, s50
	v_add_nc_u32_e32 v0, 16, v0
	s_clause 0x7
	buffer_load_dword v2, v0, s[0:3], 0 offen
	buffer_load_dword v3, v0, s[0:3], 0 offen offset:4
	buffer_load_dword v4, v0, s[0:3], 0 offen offset:8
	;; [unrolled: 1-line block ×6, first 2 shown]
	buffer_load_dword v9, v1, s[0:3], 0 offen
	s_waitcnt vmcnt(7)
	buffer_store_dword v2, v1, s[0:3], 0 offen
	s_waitcnt vmcnt(6)
	buffer_store_dword v3, v1, s[0:3], 0 offen offset:4
	s_waitcnt vmcnt(5)
	buffer_store_dword v4, v1, s[0:3], 0 offen offset:8
	;; [unrolled: 2-line block ×6, first 2 shown]
	s_waitcnt vmcnt(0)
	buffer_store_dword v9, v0, s[0:3], 0 offen
.LBB59_448:
	v_mov_b32_e32 v0, 0
	global_load_dword v1, v0, s[20:21] offset:84
	s_waitcnt vmcnt(0)
	v_add_nc_u32_e32 v1, -1, v1
	v_cmp_eq_u32_e32 vcc_lo, 21, v1
	s_cbranch_vccnz .LBB59_450
; %bb.449:
	v_lshlrev_b32_e32 v1, 4, v1
	v_mov_b32_e32 v2, s51
	v_add_nc_u32_e32 v1, 16, v1
	s_clause 0x7
	buffer_load_dword v3, v1, s[0:3], 0 offen
	buffer_load_dword v4, v1, s[0:3], 0 offen offset:4
	buffer_load_dword v5, v1, s[0:3], 0 offen offset:8
	;; [unrolled: 1-line block ×6, first 2 shown]
	buffer_load_dword v10, v2, s[0:3], 0 offen
	s_waitcnt vmcnt(7)
	buffer_store_dword v3, v2, s[0:3], 0 offen
	s_waitcnt vmcnt(6)
	buffer_store_dword v4, v2, s[0:3], 0 offen offset:4
	s_waitcnt vmcnt(5)
	buffer_store_dword v5, v2, s[0:3], 0 offen offset:8
	;; [unrolled: 2-line block ×6, first 2 shown]
	s_waitcnt vmcnt(0)
	buffer_store_dword v10, v1, s[0:3], 0 offen
.LBB59_450:
	global_load_dword v0, v0, s[20:21] offset:80
	s_waitcnt vmcnt(0)
	v_add_nc_u32_e32 v0, -1, v0
	v_cmp_eq_u32_e32 vcc_lo, 20, v0
	s_cbranch_vccnz .LBB59_452
; %bb.451:
	v_lshlrev_b32_e32 v0, 4, v0
	v_mov_b32_e32 v1, s53
	v_add_nc_u32_e32 v0, 16, v0
	s_clause 0x7
	buffer_load_dword v2, v0, s[0:3], 0 offen
	buffer_load_dword v3, v0, s[0:3], 0 offen offset:4
	buffer_load_dword v4, v0, s[0:3], 0 offen offset:8
	;; [unrolled: 1-line block ×6, first 2 shown]
	buffer_load_dword v9, v1, s[0:3], 0 offen
	s_waitcnt vmcnt(7)
	buffer_store_dword v2, v1, s[0:3], 0 offen
	s_waitcnt vmcnt(6)
	buffer_store_dword v3, v1, s[0:3], 0 offen offset:4
	s_waitcnt vmcnt(5)
	buffer_store_dword v4, v1, s[0:3], 0 offen offset:8
	s_waitcnt vmcnt(4)
	buffer_store_dword v5, v1, s[0:3], 0 offen offset:12
	s_waitcnt vmcnt(3)
	buffer_store_dword v6, v0, s[0:3], 0 offen offset:12
	s_waitcnt vmcnt(2)
	buffer_store_dword v7, v0, s[0:3], 0 offen offset:8
	s_waitcnt vmcnt(1)
	buffer_store_dword v8, v0, s[0:3], 0 offen offset:4
	s_waitcnt vmcnt(0)
	buffer_store_dword v9, v0, s[0:3], 0 offen
.LBB59_452:
	v_mov_b32_e32 v0, 0
	global_load_dword v1, v0, s[20:21] offset:76
	s_waitcnt vmcnt(0)
	v_add_nc_u32_e32 v1, -1, v1
	v_cmp_eq_u32_e32 vcc_lo, 19, v1
	s_cbranch_vccnz .LBB59_454
; %bb.453:
	v_lshlrev_b32_e32 v1, 4, v1
	v_mov_b32_e32 v2, s55
	v_add_nc_u32_e32 v1, 16, v1
	s_clause 0x7
	buffer_load_dword v3, v1, s[0:3], 0 offen
	buffer_load_dword v4, v1, s[0:3], 0 offen offset:4
	buffer_load_dword v5, v1, s[0:3], 0 offen offset:8
	;; [unrolled: 1-line block ×6, first 2 shown]
	buffer_load_dword v10, v2, s[0:3], 0 offen
	s_waitcnt vmcnt(7)
	buffer_store_dword v3, v2, s[0:3], 0 offen
	s_waitcnt vmcnt(6)
	buffer_store_dword v4, v2, s[0:3], 0 offen offset:4
	s_waitcnt vmcnt(5)
	buffer_store_dword v5, v2, s[0:3], 0 offen offset:8
	s_waitcnt vmcnt(4)
	buffer_store_dword v6, v2, s[0:3], 0 offen offset:12
	s_waitcnt vmcnt(3)
	buffer_store_dword v7, v1, s[0:3], 0 offen offset:12
	s_waitcnt vmcnt(2)
	buffer_store_dword v8, v1, s[0:3], 0 offen offset:8
	s_waitcnt vmcnt(1)
	buffer_store_dword v9, v1, s[0:3], 0 offen offset:4
	s_waitcnt vmcnt(0)
	buffer_store_dword v10, v1, s[0:3], 0 offen
.LBB59_454:
	global_load_dword v0, v0, s[20:21] offset:72
	s_waitcnt vmcnt(0)
	v_add_nc_u32_e32 v0, -1, v0
	v_cmp_eq_u32_e32 vcc_lo, 18, v0
	s_cbranch_vccnz .LBB59_456
; %bb.455:
	v_lshlrev_b32_e32 v0, 4, v0
	v_mov_b32_e32 v1, s57
	v_add_nc_u32_e32 v0, 16, v0
	s_clause 0x7
	buffer_load_dword v2, v0, s[0:3], 0 offen
	buffer_load_dword v3, v0, s[0:3], 0 offen offset:4
	buffer_load_dword v4, v0, s[0:3], 0 offen offset:8
	;; [unrolled: 1-line block ×6, first 2 shown]
	buffer_load_dword v9, v1, s[0:3], 0 offen
	s_waitcnt vmcnt(7)
	buffer_store_dword v2, v1, s[0:3], 0 offen
	s_waitcnt vmcnt(6)
	buffer_store_dword v3, v1, s[0:3], 0 offen offset:4
	s_waitcnt vmcnt(5)
	buffer_store_dword v4, v1, s[0:3], 0 offen offset:8
	s_waitcnt vmcnt(4)
	buffer_store_dword v5, v1, s[0:3], 0 offen offset:12
	s_waitcnt vmcnt(3)
	buffer_store_dword v6, v0, s[0:3], 0 offen offset:12
	s_waitcnt vmcnt(2)
	buffer_store_dword v7, v0, s[0:3], 0 offen offset:8
	s_waitcnt vmcnt(1)
	buffer_store_dword v8, v0, s[0:3], 0 offen offset:4
	s_waitcnt vmcnt(0)
	buffer_store_dword v9, v0, s[0:3], 0 offen
.LBB59_456:
	v_mov_b32_e32 v0, 0
	global_load_dword v1, v0, s[20:21] offset:68
	s_waitcnt vmcnt(0)
	v_add_nc_u32_e32 v1, -1, v1
	v_cmp_eq_u32_e32 vcc_lo, 17, v1
	s_cbranch_vccnz .LBB59_458
; %bb.457:
	v_lshlrev_b32_e32 v1, 4, v1
	v_mov_b32_e32 v2, s59
	v_add_nc_u32_e32 v1, 16, v1
	s_clause 0x7
	buffer_load_dword v3, v1, s[0:3], 0 offen
	buffer_load_dword v4, v1, s[0:3], 0 offen offset:4
	buffer_load_dword v5, v1, s[0:3], 0 offen offset:8
	;; [unrolled: 1-line block ×6, first 2 shown]
	buffer_load_dword v10, v2, s[0:3], 0 offen
	s_waitcnt vmcnt(7)
	buffer_store_dword v3, v2, s[0:3], 0 offen
	s_waitcnt vmcnt(6)
	buffer_store_dword v4, v2, s[0:3], 0 offen offset:4
	s_waitcnt vmcnt(5)
	buffer_store_dword v5, v2, s[0:3], 0 offen offset:8
	;; [unrolled: 2-line block ×6, first 2 shown]
	s_waitcnt vmcnt(0)
	buffer_store_dword v10, v1, s[0:3], 0 offen
.LBB59_458:
	global_load_dword v0, v0, s[20:21] offset:64
	s_waitcnt vmcnt(0)
	v_add_nc_u32_e32 v0, -1, v0
	v_cmp_eq_u32_e32 vcc_lo, 16, v0
	s_cbranch_vccnz .LBB59_460
; %bb.459:
	v_lshlrev_b32_e32 v0, 4, v0
	v_mov_b32_e32 v1, s61
	v_add_nc_u32_e32 v0, 16, v0
	s_clause 0x7
	buffer_load_dword v2, v0, s[0:3], 0 offen
	buffer_load_dword v3, v0, s[0:3], 0 offen offset:4
	buffer_load_dword v4, v0, s[0:3], 0 offen offset:8
	;; [unrolled: 1-line block ×6, first 2 shown]
	buffer_load_dword v9, v1, s[0:3], 0 offen
	s_waitcnt vmcnt(7)
	buffer_store_dword v2, v1, s[0:3], 0 offen
	s_waitcnt vmcnt(6)
	buffer_store_dword v3, v1, s[0:3], 0 offen offset:4
	s_waitcnt vmcnt(5)
	buffer_store_dword v4, v1, s[0:3], 0 offen offset:8
	s_waitcnt vmcnt(4)
	buffer_store_dword v5, v1, s[0:3], 0 offen offset:12
	s_waitcnt vmcnt(3)
	buffer_store_dword v6, v0, s[0:3], 0 offen offset:12
	s_waitcnt vmcnt(2)
	buffer_store_dword v7, v0, s[0:3], 0 offen offset:8
	s_waitcnt vmcnt(1)
	buffer_store_dword v8, v0, s[0:3], 0 offen offset:4
	s_waitcnt vmcnt(0)
	buffer_store_dword v9, v0, s[0:3], 0 offen
.LBB59_460:
	v_mov_b32_e32 v0, 0
	global_load_dword v1, v0, s[20:21] offset:60
	s_waitcnt vmcnt(0)
	v_add_nc_u32_e32 v1, -1, v1
	v_cmp_eq_u32_e32 vcc_lo, 15, v1
	s_cbranch_vccnz .LBB59_462
; %bb.461:
	v_lshlrev_b32_e32 v1, 4, v1
	v_mov_b32_e32 v2, s70
	v_add_nc_u32_e32 v1, 16, v1
	s_clause 0x7
	buffer_load_dword v3, v1, s[0:3], 0 offen
	buffer_load_dword v4, v1, s[0:3], 0 offen offset:4
	buffer_load_dword v5, v1, s[0:3], 0 offen offset:8
	;; [unrolled: 1-line block ×6, first 2 shown]
	buffer_load_dword v10, v2, s[0:3], 0 offen
	s_waitcnt vmcnt(7)
	buffer_store_dword v3, v2, s[0:3], 0 offen
	s_waitcnt vmcnt(6)
	buffer_store_dword v4, v2, s[0:3], 0 offen offset:4
	s_waitcnt vmcnt(5)
	buffer_store_dword v5, v2, s[0:3], 0 offen offset:8
	;; [unrolled: 2-line block ×6, first 2 shown]
	s_waitcnt vmcnt(0)
	buffer_store_dword v10, v1, s[0:3], 0 offen
.LBB59_462:
	global_load_dword v0, v0, s[20:21] offset:56
	s_waitcnt vmcnt(0)
	v_add_nc_u32_e32 v0, -1, v0
	v_cmp_eq_u32_e32 vcc_lo, 14, v0
	s_cbranch_vccnz .LBB59_464
; %bb.463:
	v_lshlrev_b32_e32 v0, 4, v0
	v_mov_b32_e32 v1, s52
	v_add_nc_u32_e32 v0, 16, v0
	s_clause 0x7
	buffer_load_dword v2, v0, s[0:3], 0 offen
	buffer_load_dword v3, v0, s[0:3], 0 offen offset:4
	buffer_load_dword v4, v0, s[0:3], 0 offen offset:8
	;; [unrolled: 1-line block ×6, first 2 shown]
	buffer_load_dword v9, v1, s[0:3], 0 offen
	s_waitcnt vmcnt(7)
	buffer_store_dword v2, v1, s[0:3], 0 offen
	s_waitcnt vmcnt(6)
	buffer_store_dword v3, v1, s[0:3], 0 offen offset:4
	s_waitcnt vmcnt(5)
	buffer_store_dword v4, v1, s[0:3], 0 offen offset:8
	;; [unrolled: 2-line block ×6, first 2 shown]
	s_waitcnt vmcnt(0)
	buffer_store_dword v9, v0, s[0:3], 0 offen
.LBB59_464:
	v_mov_b32_e32 v0, 0
	global_load_dword v1, v0, s[20:21] offset:52
	s_waitcnt vmcnt(0)
	v_add_nc_u32_e32 v1, -1, v1
	v_cmp_eq_u32_e32 vcc_lo, 13, v1
	s_cbranch_vccnz .LBB59_466
; %bb.465:
	v_lshlrev_b32_e32 v1, 4, v1
	v_mov_b32_e32 v2, s54
	v_add_nc_u32_e32 v1, 16, v1
	s_clause 0x7
	buffer_load_dword v3, v1, s[0:3], 0 offen
	buffer_load_dword v4, v1, s[0:3], 0 offen offset:4
	buffer_load_dword v5, v1, s[0:3], 0 offen offset:8
	;; [unrolled: 1-line block ×6, first 2 shown]
	buffer_load_dword v10, v2, s[0:3], 0 offen
	s_waitcnt vmcnt(7)
	buffer_store_dword v3, v2, s[0:3], 0 offen
	s_waitcnt vmcnt(6)
	buffer_store_dword v4, v2, s[0:3], 0 offen offset:4
	s_waitcnt vmcnt(5)
	buffer_store_dword v5, v2, s[0:3], 0 offen offset:8
	;; [unrolled: 2-line block ×6, first 2 shown]
	s_waitcnt vmcnt(0)
	buffer_store_dword v10, v1, s[0:3], 0 offen
.LBB59_466:
	global_load_dword v0, v0, s[20:21] offset:48
	s_waitcnt vmcnt(0)
	v_add_nc_u32_e32 v0, -1, v0
	v_cmp_eq_u32_e32 vcc_lo, 12, v0
	s_cbranch_vccnz .LBB59_468
; %bb.467:
	v_lshlrev_b32_e32 v0, 4, v0
	v_mov_b32_e32 v1, s56
	v_add_nc_u32_e32 v0, 16, v0
	s_clause 0x7
	buffer_load_dword v2, v0, s[0:3], 0 offen
	buffer_load_dword v3, v0, s[0:3], 0 offen offset:4
	buffer_load_dword v4, v0, s[0:3], 0 offen offset:8
	;; [unrolled: 1-line block ×6, first 2 shown]
	buffer_load_dword v9, v1, s[0:3], 0 offen
	s_waitcnt vmcnt(7)
	buffer_store_dword v2, v1, s[0:3], 0 offen
	s_waitcnt vmcnt(6)
	buffer_store_dword v3, v1, s[0:3], 0 offen offset:4
	s_waitcnt vmcnt(5)
	buffer_store_dword v4, v1, s[0:3], 0 offen offset:8
	;; [unrolled: 2-line block ×6, first 2 shown]
	s_waitcnt vmcnt(0)
	buffer_store_dword v9, v0, s[0:3], 0 offen
.LBB59_468:
	v_mov_b32_e32 v0, 0
	global_load_dword v1, v0, s[20:21] offset:44
	s_waitcnt vmcnt(0)
	v_add_nc_u32_e32 v1, -1, v1
	v_cmp_eq_u32_e32 vcc_lo, 11, v1
	s_cbranch_vccnz .LBB59_470
; %bb.469:
	v_lshlrev_b32_e32 v1, 4, v1
	v_mov_b32_e32 v2, s58
	v_add_nc_u32_e32 v1, 16, v1
	s_clause 0x7
	buffer_load_dword v3, v1, s[0:3], 0 offen
	buffer_load_dword v4, v1, s[0:3], 0 offen offset:4
	buffer_load_dword v5, v1, s[0:3], 0 offen offset:8
	;; [unrolled: 1-line block ×6, first 2 shown]
	buffer_load_dword v10, v2, s[0:3], 0 offen
	s_waitcnt vmcnt(7)
	buffer_store_dword v3, v2, s[0:3], 0 offen
	s_waitcnt vmcnt(6)
	buffer_store_dword v4, v2, s[0:3], 0 offen offset:4
	s_waitcnt vmcnt(5)
	buffer_store_dword v5, v2, s[0:3], 0 offen offset:8
	;; [unrolled: 2-line block ×6, first 2 shown]
	s_waitcnt vmcnt(0)
	buffer_store_dword v10, v1, s[0:3], 0 offen
.LBB59_470:
	global_load_dword v0, v0, s[20:21] offset:40
	s_waitcnt vmcnt(0)
	v_add_nc_u32_e32 v0, -1, v0
	v_cmp_eq_u32_e32 vcc_lo, 10, v0
	s_cbranch_vccnz .LBB59_472
; %bb.471:
	v_lshlrev_b32_e32 v0, 4, v0
	v_mov_b32_e32 v1, s60
	v_add_nc_u32_e32 v0, 16, v0
	s_clause 0x7
	buffer_load_dword v2, v0, s[0:3], 0 offen
	buffer_load_dword v3, v0, s[0:3], 0 offen offset:4
	buffer_load_dword v4, v0, s[0:3], 0 offen offset:8
	;; [unrolled: 1-line block ×6, first 2 shown]
	buffer_load_dword v9, v1, s[0:3], 0 offen
	s_waitcnt vmcnt(7)
	buffer_store_dword v2, v1, s[0:3], 0 offen
	s_waitcnt vmcnt(6)
	buffer_store_dword v3, v1, s[0:3], 0 offen offset:4
	s_waitcnt vmcnt(5)
	buffer_store_dword v4, v1, s[0:3], 0 offen offset:8
	;; [unrolled: 2-line block ×6, first 2 shown]
	s_waitcnt vmcnt(0)
	buffer_store_dword v9, v0, s[0:3], 0 offen
.LBB59_472:
	v_mov_b32_e32 v0, 0
	global_load_dword v1, v0, s[20:21] offset:36
	s_waitcnt vmcnt(0)
	v_add_nc_u32_e32 v1, -1, v1
	v_cmp_eq_u32_e32 vcc_lo, 9, v1
	s_cbranch_vccnz .LBB59_474
; %bb.473:
	v_lshlrev_b32_e32 v1, 4, v1
	v_mov_b32_e32 v2, s62
	v_add_nc_u32_e32 v1, 16, v1
	s_clause 0x7
	buffer_load_dword v3, v1, s[0:3], 0 offen
	buffer_load_dword v4, v1, s[0:3], 0 offen offset:4
	buffer_load_dword v5, v1, s[0:3], 0 offen offset:8
	;; [unrolled: 1-line block ×6, first 2 shown]
	buffer_load_dword v10, v2, s[0:3], 0 offen
	s_waitcnt vmcnt(7)
	buffer_store_dword v3, v2, s[0:3], 0 offen
	s_waitcnt vmcnt(6)
	buffer_store_dword v4, v2, s[0:3], 0 offen offset:4
	s_waitcnt vmcnt(5)
	buffer_store_dword v5, v2, s[0:3], 0 offen offset:8
	;; [unrolled: 2-line block ×6, first 2 shown]
	s_waitcnt vmcnt(0)
	buffer_store_dword v10, v1, s[0:3], 0 offen
.LBB59_474:
	global_load_dword v0, v0, s[20:21] offset:32
	s_waitcnt vmcnt(0)
	v_add_nc_u32_e32 v0, -1, v0
	v_cmp_eq_u32_e32 vcc_lo, 8, v0
	s_cbranch_vccnz .LBB59_476
; %bb.475:
	v_lshlrev_b32_e32 v0, 4, v0
	v_mov_b32_e32 v1, s63
	v_add_nc_u32_e32 v0, 16, v0
	s_clause 0x7
	buffer_load_dword v2, v0, s[0:3], 0 offen
	buffer_load_dword v3, v0, s[0:3], 0 offen offset:4
	buffer_load_dword v4, v0, s[0:3], 0 offen offset:8
	;; [unrolled: 1-line block ×6, first 2 shown]
	buffer_load_dword v9, v1, s[0:3], 0 offen
	s_waitcnt vmcnt(7)
	buffer_store_dword v2, v1, s[0:3], 0 offen
	s_waitcnt vmcnt(6)
	buffer_store_dword v3, v1, s[0:3], 0 offen offset:4
	s_waitcnt vmcnt(5)
	buffer_store_dword v4, v1, s[0:3], 0 offen offset:8
	;; [unrolled: 2-line block ×6, first 2 shown]
	s_waitcnt vmcnt(0)
	buffer_store_dword v9, v0, s[0:3], 0 offen
.LBB59_476:
	v_mov_b32_e32 v0, 0
	global_load_dword v1, v0, s[20:21] offset:28
	s_waitcnt vmcnt(0)
	v_add_nc_u32_e32 v1, -1, v1
	v_cmp_eq_u32_e32 vcc_lo, 7, v1
	s_cbranch_vccnz .LBB59_478
; %bb.477:
	v_lshlrev_b32_e32 v1, 4, v1
	v_mov_b32_e32 v2, s64
	v_add_nc_u32_e32 v1, 16, v1
	s_clause 0x7
	buffer_load_dword v3, v1, s[0:3], 0 offen
	buffer_load_dword v4, v1, s[0:3], 0 offen offset:4
	buffer_load_dword v5, v1, s[0:3], 0 offen offset:8
	;; [unrolled: 1-line block ×6, first 2 shown]
	buffer_load_dword v10, v2, s[0:3], 0 offen
	s_waitcnt vmcnt(7)
	buffer_store_dword v3, v2, s[0:3], 0 offen
	s_waitcnt vmcnt(6)
	buffer_store_dword v4, v2, s[0:3], 0 offen offset:4
	s_waitcnt vmcnt(5)
	buffer_store_dword v5, v2, s[0:3], 0 offen offset:8
	;; [unrolled: 2-line block ×6, first 2 shown]
	s_waitcnt vmcnt(0)
	buffer_store_dword v10, v1, s[0:3], 0 offen
.LBB59_478:
	global_load_dword v0, v0, s[20:21] offset:24
	s_waitcnt vmcnt(0)
	v_add_nc_u32_e32 v0, -1, v0
	v_cmp_eq_u32_e32 vcc_lo, 6, v0
	s_cbranch_vccnz .LBB59_480
; %bb.479:
	v_lshlrev_b32_e32 v0, 4, v0
	v_mov_b32_e32 v1, s65
	v_add_nc_u32_e32 v0, 16, v0
	s_clause 0x7
	buffer_load_dword v2, v0, s[0:3], 0 offen
	buffer_load_dword v3, v0, s[0:3], 0 offen offset:4
	buffer_load_dword v4, v0, s[0:3], 0 offen offset:8
	;; [unrolled: 1-line block ×6, first 2 shown]
	buffer_load_dword v9, v1, s[0:3], 0 offen
	s_waitcnt vmcnt(7)
	buffer_store_dword v2, v1, s[0:3], 0 offen
	s_waitcnt vmcnt(6)
	buffer_store_dword v3, v1, s[0:3], 0 offen offset:4
	s_waitcnt vmcnt(5)
	buffer_store_dword v4, v1, s[0:3], 0 offen offset:8
	;; [unrolled: 2-line block ×6, first 2 shown]
	s_waitcnt vmcnt(0)
	buffer_store_dword v9, v0, s[0:3], 0 offen
.LBB59_480:
	v_mov_b32_e32 v0, 0
	global_load_dword v1, v0, s[20:21] offset:20
	s_waitcnt vmcnt(0)
	v_add_nc_u32_e32 v1, -1, v1
	v_cmp_eq_u32_e32 vcc_lo, 5, v1
	s_cbranch_vccnz .LBB59_482
; %bb.481:
	v_lshlrev_b32_e32 v1, 4, v1
	v_mov_b32_e32 v2, s66
	v_add_nc_u32_e32 v1, 16, v1
	s_clause 0x7
	buffer_load_dword v3, v1, s[0:3], 0 offen
	buffer_load_dword v4, v1, s[0:3], 0 offen offset:4
	buffer_load_dword v5, v1, s[0:3], 0 offen offset:8
	;; [unrolled: 1-line block ×6, first 2 shown]
	buffer_load_dword v10, v2, s[0:3], 0 offen
	s_waitcnt vmcnt(7)
	buffer_store_dword v3, v2, s[0:3], 0 offen
	s_waitcnt vmcnt(6)
	buffer_store_dword v4, v2, s[0:3], 0 offen offset:4
	s_waitcnt vmcnt(5)
	buffer_store_dword v5, v2, s[0:3], 0 offen offset:8
	;; [unrolled: 2-line block ×6, first 2 shown]
	s_waitcnt vmcnt(0)
	buffer_store_dword v10, v1, s[0:3], 0 offen
.LBB59_482:
	global_load_dword v0, v0, s[20:21] offset:16
	s_waitcnt vmcnt(0)
	v_add_nc_u32_e32 v0, -1, v0
	v_cmp_eq_u32_e32 vcc_lo, 4, v0
	s_cbranch_vccnz .LBB59_484
; %bb.483:
	v_lshlrev_b32_e32 v0, 4, v0
	v_mov_b32_e32 v1, s67
	v_add_nc_u32_e32 v0, 16, v0
	s_clause 0x7
	buffer_load_dword v2, v0, s[0:3], 0 offen
	buffer_load_dword v3, v0, s[0:3], 0 offen offset:4
	buffer_load_dword v4, v0, s[0:3], 0 offen offset:8
	;; [unrolled: 1-line block ×6, first 2 shown]
	buffer_load_dword v9, v1, s[0:3], 0 offen
	s_waitcnt vmcnt(7)
	buffer_store_dword v2, v1, s[0:3], 0 offen
	s_waitcnt vmcnt(6)
	buffer_store_dword v3, v1, s[0:3], 0 offen offset:4
	s_waitcnt vmcnt(5)
	buffer_store_dword v4, v1, s[0:3], 0 offen offset:8
	;; [unrolled: 2-line block ×6, first 2 shown]
	s_waitcnt vmcnt(0)
	buffer_store_dword v9, v0, s[0:3], 0 offen
.LBB59_484:
	v_mov_b32_e32 v0, 0
	global_load_dword v1, v0, s[20:21] offset:12
	s_waitcnt vmcnt(0)
	v_add_nc_u32_e32 v1, -1, v1
	v_cmp_eq_u32_e32 vcc_lo, 3, v1
	s_cbranch_vccnz .LBB59_486
; %bb.485:
	v_lshlrev_b32_e32 v1, 4, v1
	v_mov_b32_e32 v2, s68
	v_add_nc_u32_e32 v1, 16, v1
	s_clause 0x7
	buffer_load_dword v3, v1, s[0:3], 0 offen
	buffer_load_dword v4, v1, s[0:3], 0 offen offset:4
	buffer_load_dword v5, v1, s[0:3], 0 offen offset:8
	;; [unrolled: 1-line block ×6, first 2 shown]
	buffer_load_dword v10, v2, s[0:3], 0 offen
	s_waitcnt vmcnt(7)
	buffer_store_dword v3, v2, s[0:3], 0 offen
	s_waitcnt vmcnt(6)
	buffer_store_dword v4, v2, s[0:3], 0 offen offset:4
	s_waitcnt vmcnt(5)
	buffer_store_dword v5, v2, s[0:3], 0 offen offset:8
	;; [unrolled: 2-line block ×6, first 2 shown]
	s_waitcnt vmcnt(0)
	buffer_store_dword v10, v1, s[0:3], 0 offen
.LBB59_486:
	global_load_dword v0, v0, s[20:21] offset:8
	s_waitcnt vmcnt(0)
	v_add_nc_u32_e32 v0, -1, v0
	v_cmp_eq_u32_e32 vcc_lo, 2, v0
	s_cbranch_vccnz .LBB59_488
; %bb.487:
	v_lshlrev_b32_e32 v0, 4, v0
	v_mov_b32_e32 v1, s69
	v_add_nc_u32_e32 v0, 16, v0
	s_clause 0x7
	buffer_load_dword v2, v0, s[0:3], 0 offen
	buffer_load_dword v3, v0, s[0:3], 0 offen offset:4
	buffer_load_dword v4, v0, s[0:3], 0 offen offset:8
	;; [unrolled: 1-line block ×6, first 2 shown]
	buffer_load_dword v9, v1, s[0:3], 0 offen
	s_waitcnt vmcnt(7)
	buffer_store_dword v2, v1, s[0:3], 0 offen
	s_waitcnt vmcnt(6)
	buffer_store_dword v3, v1, s[0:3], 0 offen offset:4
	s_waitcnt vmcnt(5)
	buffer_store_dword v4, v1, s[0:3], 0 offen offset:8
	;; [unrolled: 2-line block ×6, first 2 shown]
	s_waitcnt vmcnt(0)
	buffer_store_dword v9, v0, s[0:3], 0 offen
.LBB59_488:
	v_mov_b32_e32 v0, 0
	global_load_dword v1, v0, s[20:21] offset:4
	s_waitcnt vmcnt(0)
	v_add_nc_u32_e32 v1, -1, v1
	v_cmp_eq_u32_e32 vcc_lo, 1, v1
	s_cbranch_vccnz .LBB59_490
; %bb.489:
	v_lshlrev_b32_e32 v1, 4, v1
	v_mov_b32_e32 v2, s71
	v_add_nc_u32_e32 v1, 16, v1
	s_clause 0x7
	buffer_load_dword v3, v1, s[0:3], 0 offen
	buffer_load_dword v4, v1, s[0:3], 0 offen offset:4
	buffer_load_dword v5, v1, s[0:3], 0 offen offset:8
	;; [unrolled: 1-line block ×6, first 2 shown]
	buffer_load_dword v10, v2, s[0:3], 0 offen
	s_waitcnt vmcnt(7)
	buffer_store_dword v3, v2, s[0:3], 0 offen
	s_waitcnt vmcnt(6)
	buffer_store_dword v4, v2, s[0:3], 0 offen offset:4
	s_waitcnt vmcnt(5)
	buffer_store_dword v5, v2, s[0:3], 0 offen offset:8
	;; [unrolled: 2-line block ×6, first 2 shown]
	s_waitcnt vmcnt(0)
	buffer_store_dword v10, v1, s[0:3], 0 offen
.LBB59_490:
	global_load_dword v0, v0, s[20:21]
	s_waitcnt vmcnt(0)
	v_add_nc_u32_e32 v0, -1, v0
	v_cmp_eq_u32_e32 vcc_lo, 0, v0
	s_cbranch_vccnz .LBB59_492
; %bb.491:
	v_lshlrev_b32_e32 v0, 4, v0
	v_add_nc_u32_e32 v0, 16, v0
	s_clause 0x7
	buffer_load_dword v1, v0, s[0:3], 0 offen
	buffer_load_dword v2, v0, s[0:3], 0 offen offset:4
	buffer_load_dword v3, v0, s[0:3], 0 offen offset:8
	;; [unrolled: 1-line block ×3, first 2 shown]
	buffer_load_dword v5, off, s[0:3], 0 offset:28
	buffer_load_dword v6, off, s[0:3], 0 offset:24
	;; [unrolled: 1-line block ×4, first 2 shown]
	s_waitcnt vmcnt(7)
	buffer_store_dword v1, off, s[0:3], 0 offset:16
	s_waitcnt vmcnt(6)
	buffer_store_dword v2, off, s[0:3], 0 offset:20
	;; [unrolled: 2-line block ×4, first 2 shown]
	s_waitcnt vmcnt(3)
	buffer_store_dword v5, v0, s[0:3], 0 offen offset:12
	s_waitcnt vmcnt(2)
	buffer_store_dword v6, v0, s[0:3], 0 offen offset:8
	;; [unrolled: 2-line block ×3, first 2 shown]
	s_waitcnt vmcnt(0)
	buffer_store_dword v8, v0, s[0:3], 0 offen
.LBB59_492:
	v_mov_b32_e32 v7, s71
	v_mov_b32_e32 v11, s69
	v_mov_b32_e32 v15, s68
	v_mov_b32_e32 v19, s67
	v_mov_b32_e32 v23, s66
	v_mov_b32_e32 v27, s65
	v_mov_b32_e32 v28, s64
	s_clause 0x1f
	buffer_load_dword v0, off, s[0:3], 0 offset:16
	buffer_load_dword v1, off, s[0:3], 0 offset:20
	;; [unrolled: 1-line block ×4, first 2 shown]
	buffer_load_dword v4, v7, s[0:3], 0 offen
	buffer_load_dword v5, v7, s[0:3], 0 offen offset:4
	buffer_load_dword v6, v7, s[0:3], 0 offen offset:8
	buffer_load_dword v7, v7, s[0:3], 0 offen offset:12
	buffer_load_dword v8, v11, s[0:3], 0 offen
	buffer_load_dword v9, v11, s[0:3], 0 offen offset:4
	buffer_load_dword v10, v11, s[0:3], 0 offen offset:8
	buffer_load_dword v11, v11, s[0:3], 0 offen offset:12
	;; [unrolled: 4-line block ×7, first 2 shown]
	v_mov_b32_e32 v28, s63
	s_clause 0x3
	buffer_load_dword v36, v28, s[0:3], 0 offen
	buffer_load_dword v37, v28, s[0:3], 0 offen offset:4
	buffer_load_dword v38, v28, s[0:3], 0 offen offset:8
	buffer_load_dword v39, v28, s[0:3], 0 offen offset:12
	v_mov_b32_e32 v28, s62
	s_clause 0x3
	buffer_load_dword v40, v28, s[0:3], 0 offen
	buffer_load_dword v41, v28, s[0:3], 0 offen offset:4
	buffer_load_dword v42, v28, s[0:3], 0 offen offset:8
	buffer_load_dword v43, v28, s[0:3], 0 offen offset:12
	;; [unrolled: 6-line block ×8, first 2 shown]
	v_mov_b32_e32 v28, s61
	v_mov_b32_e32 v31, s59
	;; [unrolled: 1-line block ×12, first 2 shown]
	s_clause 0x7
	buffer_load_dword v68, v28, s[0:3], 0 offen
	buffer_load_dword v69, v28, s[0:3], 0 offen offset:4
	buffer_load_dword v70, v28, s[0:3], 0 offen offset:8
	;; [unrolled: 1-line block ×3, first 2 shown]
	buffer_load_dword v28, v31, s[0:3], 0 offen
	buffer_load_dword v29, v31, s[0:3], 0 offen offset:4
	buffer_load_dword v30, v31, s[0:3], 0 offen offset:8
	;; [unrolled: 1-line block ×3, first 2 shown]
	v_mov_b32_e32 v134, s47
	v_mov_b32_e32 v147, s40
	s_clause 0x17
	buffer_load_dword v93, v88, s[0:3], 0 offen
	buffer_load_dword v94, v88, s[0:3], 0 offen offset:4
	buffer_load_dword v95, v88, s[0:3], 0 offen offset:8
	buffer_load_dword v96, v88, s[0:3], 0 offen offset:12
	buffer_load_dword v97, v100, s[0:3], 0 offen
	buffer_load_dword v98, v100, s[0:3], 0 offen offset:4
	buffer_load_dword v99, v100, s[0:3], 0 offen offset:8
	buffer_load_dword v100, v100, s[0:3], 0 offen offset:12
	;; [unrolled: 4-line block ×6, first 2 shown]
	v_mov_b32_e32 v138, s45
	v_mov_b32_e32 v151, s38
	;; [unrolled: 1-line block ×30, first 2 shown]
	s_waitcnt vmcnt(62)
	global_store_dwordx4 v[161:162], v[0:3], off
	s_clause 0x7
	buffer_load_dword v0, v131, s[0:3], 0 offen
	buffer_load_dword v1, v131, s[0:3], 0 offen offset:4
	buffer_load_dword v2, v131, s[0:3], 0 offen offset:8
	buffer_load_dword v3, v131, s[0:3], 0 offen offset:12
	buffer_load_dword v131, v134, s[0:3], 0 offen
	buffer_load_dword v132, v134, s[0:3], 0 offen offset:4
	buffer_load_dword v133, v134, s[0:3], 0 offen offset:8
	buffer_load_dword v134, v134, s[0:3], 0 offen offset:12
	global_store_dwordx4 v[136:137], v[4:7], off
	s_clause 0x7
	buffer_load_dword v4, v135, s[0:3], 0 offen
	buffer_load_dword v5, v135, s[0:3], 0 offen offset:4
	buffer_load_dword v6, v135, s[0:3], 0 offen offset:8
	buffer_load_dword v7, v135, s[0:3], 0 offen offset:12
	buffer_load_dword v135, v138, s[0:3], 0 offen
	buffer_load_dword v136, v138, s[0:3], 0 offen offset:4
	buffer_load_dword v137, v138, s[0:3], 0 offen offset:8
	buffer_load_dword v138, v138, s[0:3], 0 offen offset:12
	;; [unrolled: 10-line block ×8, first 2 shown]
	s_waitcnt vmcnt(62)
	global_store_dwordx4 v[177:178], v[36:39], off
	s_clause 0x7
	buffer_load_dword v36, v248, s[0:3], 0 offen
	buffer_load_dword v37, v248, s[0:3], 0 offen offset:4
	buffer_load_dword v38, v248, s[0:3], 0 offen offset:8
	buffer_load_dword v39, v248, s[0:3], 0 offen offset:12
	buffer_load_dword v163, v249, s[0:3], 0 offen
	buffer_load_dword v164, v249, s[0:3], 0 offen offset:4
	buffer_load_dword v165, v249, s[0:3], 0 offen offset:8
	buffer_load_dword v166, v249, s[0:3], 0 offen offset:12
	global_store_dwordx4 v[167:168], v[40:43], off
	s_clause 0x7
	buffer_load_dword v40, v250, s[0:3], 0 offen
	buffer_load_dword v41, v250, s[0:3], 0 offen offset:4
	buffer_load_dword v42, v250, s[0:3], 0 offen offset:8
	buffer_load_dword v43, v250, s[0:3], 0 offen offset:12
	buffer_load_dword v167, v251, s[0:3], 0 offen
	buffer_load_dword v168, v251, s[0:3], 0 offen offset:4
	buffer_load_dword v169, v251, s[0:3], 0 offen offset:8
	buffer_load_dword v170, v251, s[0:3], 0 offen offset:12
	;; [unrolled: 10-line block ×8, first 2 shown]
	buffer_load_dword v187, off, s[0:3], 0 offset:976
	buffer_load_dword v188, off, s[0:3], 0 offset:980
	s_waitcnt vmcnt(0)
	global_store_dwordx4 v[187:188], v[68:71], off
	s_clause 0x7
	buffer_load_dword v68, v195, s[0:3], 0 offen
	buffer_load_dword v69, v195, s[0:3], 0 offen offset:4
	buffer_load_dword v70, v195, s[0:3], 0 offen offset:8
	buffer_load_dword v71, v195, s[0:3], 0 offen offset:12
	buffer_load_dword v195, v198, s[0:3], 0 offen
	buffer_load_dword v196, v198, s[0:3], 0 offen offset:4
	buffer_load_dword v197, v198, s[0:3], 0 offen offset:8
	;; [unrolled: 1-line block ×3, first 2 shown]
	global_store_dwordx4 v[200:201], v[28:31], off
	s_clause 0x7
	buffer_load_dword v28, v199, s[0:3], 0 offen
	buffer_load_dword v29, v199, s[0:3], 0 offen offset:4
	buffer_load_dword v30, v199, s[0:3], 0 offen offset:8
	;; [unrolled: 1-line block ×3, first 2 shown]
	buffer_load_dword v251, v88, s[0:3], 0 offen
	buffer_load_dword v252, v88, s[0:3], 0 offen offset:4
	buffer_load_dword v253, v88, s[0:3], 0 offen offset:8
	;; [unrolled: 1-line block ×3, first 2 shown]
	global_store_dwordx4 v[202:203], v[93:96], off
	s_clause 0x1
	buffer_load_dword v93, off, s[0:3], 0 offset:984
	buffer_load_dword v94, off, s[0:3], 0 offset:988
	s_waitcnt vmcnt(0)
	global_store_dwordx4 v[93:94], v[97:100], off
	s_clause 0x1
	buffer_load_dword v93, off, s[0:3], 0 offset:992
	buffer_load_dword v94, off, s[0:3], 0 offset:996
	s_waitcnt vmcnt(0)
	;; [unrolled: 5-line block ×3, first 2 shown]
	global_store_dwordx4 v[93:94], v[113:116], off
	global_store_dwordx4 v[205:206], v[123:126], off
	;; [unrolled: 1-line block ×39, first 2 shown]
	s_endpgm
	.section	.rodata,"a",@progbits
	.p2align	6, 0x0
	.amdhsa_kernel _ZN9rocsolver6v33100L18getri_kernel_smallILi60E19rocblas_complex_numIdEPS3_EEvT1_iilPiilS6_bb
		.amdhsa_group_segment_fixed_size 1928
		.amdhsa_private_segment_fixed_size 1024
		.amdhsa_kernarg_size 60
		.amdhsa_user_sgpr_count 6
		.amdhsa_user_sgpr_private_segment_buffer 1
		.amdhsa_user_sgpr_dispatch_ptr 0
		.amdhsa_user_sgpr_queue_ptr 0
		.amdhsa_user_sgpr_kernarg_segment_ptr 1
		.amdhsa_user_sgpr_dispatch_id 0
		.amdhsa_user_sgpr_flat_scratch_init 0
		.amdhsa_user_sgpr_private_segment_size 0
		.amdhsa_wavefront_size32 1
		.amdhsa_uses_dynamic_stack 0
		.amdhsa_system_sgpr_private_segment_wavefront_offset 1
		.amdhsa_system_sgpr_workgroup_id_x 1
		.amdhsa_system_sgpr_workgroup_id_y 0
		.amdhsa_system_sgpr_workgroup_id_z 0
		.amdhsa_system_sgpr_workgroup_info 0
		.amdhsa_system_vgpr_workitem_id 0
		.amdhsa_next_free_vgpr 256
		.amdhsa_next_free_sgpr 76
		.amdhsa_reserve_vcc 1
		.amdhsa_reserve_flat_scratch 0
		.amdhsa_float_round_mode_32 0
		.amdhsa_float_round_mode_16_64 0
		.amdhsa_float_denorm_mode_32 3
		.amdhsa_float_denorm_mode_16_64 3
		.amdhsa_dx10_clamp 1
		.amdhsa_ieee_mode 1
		.amdhsa_fp16_overflow 0
		.amdhsa_workgroup_processor_mode 1
		.amdhsa_memory_ordered 1
		.amdhsa_forward_progress 1
		.amdhsa_shared_vgpr_count 0
		.amdhsa_exception_fp_ieee_invalid_op 0
		.amdhsa_exception_fp_denorm_src 0
		.amdhsa_exception_fp_ieee_div_zero 0
		.amdhsa_exception_fp_ieee_overflow 0
		.amdhsa_exception_fp_ieee_underflow 0
		.amdhsa_exception_fp_ieee_inexact 0
		.amdhsa_exception_int_div_zero 0
	.end_amdhsa_kernel
	.section	.text._ZN9rocsolver6v33100L18getri_kernel_smallILi60E19rocblas_complex_numIdEPS3_EEvT1_iilPiilS6_bb,"axG",@progbits,_ZN9rocsolver6v33100L18getri_kernel_smallILi60E19rocblas_complex_numIdEPS3_EEvT1_iilPiilS6_bb,comdat
.Lfunc_end59:
	.size	_ZN9rocsolver6v33100L18getri_kernel_smallILi60E19rocblas_complex_numIdEPS3_EEvT1_iilPiilS6_bb, .Lfunc_end59-_ZN9rocsolver6v33100L18getri_kernel_smallILi60E19rocblas_complex_numIdEPS3_EEvT1_iilPiilS6_bb
                                        ; -- End function
	.set _ZN9rocsolver6v33100L18getri_kernel_smallILi60E19rocblas_complex_numIdEPS3_EEvT1_iilPiilS6_bb.num_vgpr, 256
	.set _ZN9rocsolver6v33100L18getri_kernel_smallILi60E19rocblas_complex_numIdEPS3_EEvT1_iilPiilS6_bb.num_agpr, 0
	.set _ZN9rocsolver6v33100L18getri_kernel_smallILi60E19rocblas_complex_numIdEPS3_EEvT1_iilPiilS6_bb.numbered_sgpr, 76
	.set _ZN9rocsolver6v33100L18getri_kernel_smallILi60E19rocblas_complex_numIdEPS3_EEvT1_iilPiilS6_bb.num_named_barrier, 0
	.set _ZN9rocsolver6v33100L18getri_kernel_smallILi60E19rocblas_complex_numIdEPS3_EEvT1_iilPiilS6_bb.private_seg_size, 1024
	.set _ZN9rocsolver6v33100L18getri_kernel_smallILi60E19rocblas_complex_numIdEPS3_EEvT1_iilPiilS6_bb.uses_vcc, 1
	.set _ZN9rocsolver6v33100L18getri_kernel_smallILi60E19rocblas_complex_numIdEPS3_EEvT1_iilPiilS6_bb.uses_flat_scratch, 0
	.set _ZN9rocsolver6v33100L18getri_kernel_smallILi60E19rocblas_complex_numIdEPS3_EEvT1_iilPiilS6_bb.has_dyn_sized_stack, 0
	.set _ZN9rocsolver6v33100L18getri_kernel_smallILi60E19rocblas_complex_numIdEPS3_EEvT1_iilPiilS6_bb.has_recursion, 0
	.set _ZN9rocsolver6v33100L18getri_kernel_smallILi60E19rocblas_complex_numIdEPS3_EEvT1_iilPiilS6_bb.has_indirect_call, 0
	.section	.AMDGPU.csdata,"",@progbits
; Kernel info:
; codeLenInByte = 230528
; TotalNumSgprs: 78
; NumVgprs: 256
; ScratchSize: 1024
; MemoryBound: 0
; FloatMode: 240
; IeeeMode: 1
; LDSByteSize: 1928 bytes/workgroup (compile time only)
; SGPRBlocks: 0
; VGPRBlocks: 31
; NumSGPRsForWavesPerEU: 78
; NumVGPRsForWavesPerEU: 256
; Occupancy: 4
; WaveLimiterHint : 1
; COMPUTE_PGM_RSRC2:SCRATCH_EN: 1
; COMPUTE_PGM_RSRC2:USER_SGPR: 6
; COMPUTE_PGM_RSRC2:TRAP_HANDLER: 0
; COMPUTE_PGM_RSRC2:TGID_X_EN: 1
; COMPUTE_PGM_RSRC2:TGID_Y_EN: 0
; COMPUTE_PGM_RSRC2:TGID_Z_EN: 0
; COMPUTE_PGM_RSRC2:TIDIG_COMP_CNT: 0
	.section	.text._ZN9rocsolver6v33100L18getri_kernel_smallILi61E19rocblas_complex_numIdEPS3_EEvT1_iilPiilS6_bb,"axG",@progbits,_ZN9rocsolver6v33100L18getri_kernel_smallILi61E19rocblas_complex_numIdEPS3_EEvT1_iilPiilS6_bb,comdat
	.globl	_ZN9rocsolver6v33100L18getri_kernel_smallILi61E19rocblas_complex_numIdEPS3_EEvT1_iilPiilS6_bb ; -- Begin function _ZN9rocsolver6v33100L18getri_kernel_smallILi61E19rocblas_complex_numIdEPS3_EEvT1_iilPiilS6_bb
	.p2align	8
	.type	_ZN9rocsolver6v33100L18getri_kernel_smallILi61E19rocblas_complex_numIdEPS3_EEvT1_iilPiilS6_bb,@function
_ZN9rocsolver6v33100L18getri_kernel_smallILi61E19rocblas_complex_numIdEPS3_EEvT1_iilPiilS6_bb: ; @_ZN9rocsolver6v33100L18getri_kernel_smallILi61E19rocblas_complex_numIdEPS3_EEvT1_iilPiilS6_bb
; %bb.0:
	s_add_u32 s0, s0, s7
	s_addc_u32 s1, s1, 0
	s_mov_b32 s7, exec_lo
	v_cmpx_gt_u32_e32 61, v0
	s_cbranch_execz .LBB60_270
; %bb.1:
	s_clause 0x2
	s_load_dword s7, s[4:5], 0x38
	s_load_dwordx4 s[16:19], s[4:5], 0x10
	s_load_dwordx4 s[8:11], s[4:5], 0x28
                                        ; implicit-def: $sgpr20_sgpr21
	s_waitcnt lgkmcnt(0)
	s_bitcmp1_b32 s7, 8
	s_cselect_b32 s75, -1, 0
	s_bfe_u32 s12, s7, 0x10008
	s_ashr_i32 s7, s6, 31
	s_cmp_eq_u32 s12, 0
	s_cbranch_scc1 .LBB60_3
; %bb.2:
	s_load_dword s12, s[4:5], 0x20
	s_mul_i32 s13, s8, s7
	s_mul_hi_u32 s14, s8, s6
	s_mul_i32 s9, s9, s6
	s_add_i32 s13, s14, s13
	s_mul_i32 s8, s8, s6
	s_add_i32 s9, s13, s9
	s_lshl_b64 s[8:9], s[8:9], 2
	s_waitcnt lgkmcnt(0)
	s_ashr_i32 s13, s12, 31
	s_add_u32 s14, s18, s8
	s_addc_u32 s15, s19, s9
	s_lshl_b64 s[8:9], s[12:13], 2
	s_add_u32 s20, s14, s8
	s_addc_u32 s21, s15, s9
.LBB60_3:
	s_clause 0x1
	s_load_dwordx4 s[12:15], s[4:5], 0x0
	s_load_dword s8, s[4:5], 0x38
	s_mul_i32 s4, s16, s7
	s_mul_hi_u32 s5, s16, s6
	s_mul_i32 s9, s17, s6
	s_add_i32 s5, s5, s4
	s_mul_i32 s4, s16, s6
	s_add_i32 s5, s5, s9
	v_lshlrev_b32_e32 v247, 4, v0
	s_lshl_b64 s[4:5], s[4:5], 4
	s_mov_b32 s73, 32
	s_mov_b32 s72, 48
	;; [unrolled: 1-line block ×3, first 2 shown]
	s_movk_i32 s69, 0x50
	s_waitcnt lgkmcnt(0)
	v_add3_u32 v5, s15, s15, v0
	s_ashr_i32 s17, s14, 31
	s_mov_b32 s16, s14
	s_add_u32 s9, s12, s4
	s_addc_u32 s13, s13, s5
	v_add_nc_u32_e32 v7, s15, v5
	s_lshl_b64 s[4:5], s[16:17], 4
	v_ashrrev_i32_e32 v6, 31, v5
	s_add_u32 s4, s9, s4
	s_addc_u32 s5, s13, s5
	v_add_nc_u32_e32 v9, s15, v7
	v_add_co_u32 v161, s9, s4, v247
	s_mov_b32 s12, s15
	s_ashr_i32 s13, s15, 31
	v_lshlrev_b64 v[5:6], 4, v[5:6]
	v_ashrrev_i32_e32 v8, 31, v7
	v_add_co_ci_u32_e64 v162, null, s5, 0, s9
	s_lshl_b64 s[12:13], s[12:13], 4
	v_ashrrev_i32_e32 v10, 31, v9
	v_add_nc_u32_e32 v11, s15, v9
	v_add_co_u32 v179, vcc_lo, v161, s12
	v_lshlrev_b64 v[7:8], 4, v[7:8]
	v_add_co_ci_u32_e64 v180, null, s13, v162, vcc_lo
	v_add_co_u32 v184, vcc_lo, s4, v5
	v_add_co_ci_u32_e64 v185, null, s5, v6, vcc_lo
	v_lshlrev_b64 v[5:6], 4, v[9:10]
	v_ashrrev_i32_e32 v12, 31, v11
	v_add_nc_u32_e32 v9, s15, v11
	v_add_co_u32 v188, vcc_lo, s4, v7
	v_add_co_ci_u32_e64 v189, null, s5, v8, vcc_lo
	v_lshlrev_b64 v[7:8], 4, v[11:12]
	v_ashrrev_i32_e32 v10, 31, v9
	v_add_nc_u32_e32 v11, s15, v9
	v_add_co_u32 v192, vcc_lo, s4, v5
	v_add_co_ci_u32_e64 v193, null, s5, v6, vcc_lo
	v_lshlrev_b64 v[5:6], 4, v[9:10]
	v_ashrrev_i32_e32 v12, 31, v11
	v_add_nc_u32_e32 v9, s15, v11
	v_add_co_u32 v194, vcc_lo, s4, v7
	v_add_co_ci_u32_e64 v195, null, s5, v8, vcc_lo
	v_lshlrev_b64 v[7:8], 4, v[11:12]
	v_ashrrev_i32_e32 v10, 31, v9
	v_add_nc_u32_e32 v11, s15, v9
	v_add_co_u32 v167, vcc_lo, s4, v5
	v_add_co_ci_u32_e64 v168, null, s5, v6, vcc_lo
	v_lshlrev_b64 v[5:6], 4, v[9:10]
	v_ashrrev_i32_e32 v12, 31, v11
	v_add_nc_u32_e32 v9, s15, v11
	v_add_co_u32 v175, vcc_lo, s4, v7
	v_add_co_ci_u32_e64 v176, null, s5, v8, vcc_lo
	v_lshlrev_b64 v[7:8], 4, v[11:12]
	v_ashrrev_i32_e32 v10, 31, v9
	v_add_nc_u32_e32 v11, s15, v9
	v_add_co_u32 v171, vcc_lo, s4, v5
	v_add_co_ci_u32_e64 v172, null, s5, v6, vcc_lo
	v_lshlrev_b64 v[5:6], 4, v[9:10]
	v_ashrrev_i32_e32 v12, 31, v11
	v_add_nc_u32_e32 v9, s15, v11
	v_add_co_u32 v163, vcc_lo, s4, v7
	v_add_co_ci_u32_e64 v164, null, s5, v8, vcc_lo
	v_lshlrev_b64 v[7:8], 4, v[11:12]
	v_ashrrev_i32_e32 v10, 31, v9
	v_add_nc_u32_e32 v11, s15, v9
	v_add_co_u32 v165, vcc_lo, s4, v5
	v_add_co_ci_u32_e64 v166, null, s5, v6, vcc_lo
	v_lshlrev_b64 v[5:6], 4, v[9:10]
	v_ashrrev_i32_e32 v12, 31, v11
	v_add_nc_u32_e32 v9, s15, v11
	v_add_co_u32 v169, vcc_lo, s4, v7
	v_add_co_ci_u32_e64 v170, null, s5, v8, vcc_lo
	v_lshlrev_b64 v[7:8], 4, v[11:12]
	v_ashrrev_i32_e32 v10, 31, v9
	v_add_nc_u32_e32 v11, s15, v9
	v_add_co_u32 v173, vcc_lo, s4, v5
	v_add_co_ci_u32_e64 v174, null, s5, v6, vcc_lo
	v_lshlrev_b64 v[5:6], 4, v[9:10]
	v_ashrrev_i32_e32 v12, 31, v11
	v_add_nc_u32_e32 v9, s15, v11
	v_add_co_u32 v177, vcc_lo, s4, v7
	v_add_co_ci_u32_e64 v178, null, s5, v8, vcc_lo
	v_lshlrev_b64 v[7:8], 4, v[11:12]
	v_ashrrev_i32_e32 v10, 31, v9
	v_add_nc_u32_e32 v11, s15, v9
	v_add_co_u32 v182, vcc_lo, s4, v5
	v_add_co_ci_u32_e64 v183, null, s5, v6, vcc_lo
	v_lshlrev_b64 v[5:6], 4, v[9:10]
	v_ashrrev_i32_e32 v12, 31, v11
	v_add_nc_u32_e32 v9, s15, v11
	v_add_co_u32 v186, vcc_lo, s4, v7
	v_add_co_ci_u32_e64 v187, null, s5, v8, vcc_lo
	v_lshlrev_b64 v[7:8], 4, v[11:12]
	v_add_nc_u32_e32 v11, s15, v9
	v_ashrrev_i32_e32 v10, 31, v9
	v_add_co_u32 v190, vcc_lo, s4, v5
	v_add_co_ci_u32_e64 v191, null, s5, v6, vcc_lo
	v_ashrrev_i32_e32 v12, 31, v11
	v_lshlrev_b64 v[5:6], 4, v[9:10]
	v_add_co_u32 v196, vcc_lo, s4, v7
	v_add_co_ci_u32_e64 v197, null, s5, v8, vcc_lo
	v_lshlrev_b64 v[7:8], 4, v[11:12]
	v_add_co_u32 v200, vcc_lo, s4, v5
	v_add_co_ci_u32_e64 v201, null, s5, v6, vcc_lo
	s_clause 0x1
	global_load_dwordx4 v[1:4], v247, s[4:5]
	global_load_dwordx4 v[29:32], v[167:168], off
	v_add_co_u32 v13, vcc_lo, s4, v7
	v_add_co_ci_u32_e64 v14, null, s5, v8, vcc_lo
	s_clause 0x10
	global_load_dwordx4 v[89:92], v[179:180], off
	global_load_dwordx4 v[41:44], v[184:185], off
	global_load_dwordx4 v[49:52], v[188:189], off
	global_load_dwordx4 v[57:60], v[192:193], off
	global_load_dwordx4 v[25:28], v[194:195], off
	global_load_dwordx4 v[33:36], v[175:176], off
	global_load_dwordx4 v[37:40], v[171:172], off
	global_load_dwordx4 v[45:48], v[163:164], off
	global_load_dwordx4 v[53:56], v[165:166], off
	global_load_dwordx4 v[65:68], v[169:170], off
	global_load_dwordx4 v[73:76], v[173:174], off
	global_load_dwordx4 v[77:80], v[177:178], off
	global_load_dwordx4 v[81:84], v[182:183], off
	global_load_dwordx4 v[85:88], v[186:187], off
	global_load_dwordx4 v[101:104], v[190:191], off
	global_load_dwordx4 v[129:132], v[196:197], off
	global_load_dwordx4 v[121:124], v[200:201], off
	buffer_store_dword v13, off, s[0:3], 0 offset:992 ; 4-byte Folded Spill
	buffer_store_dword v14, off, s[0:3], 0 offset:996 ; 4-byte Folded Spill
	v_add_nc_u32_e32 v9, s15, v11
	s_movk_i32 s9, 0xd0
	s_add_i32 s68, s9, 16
	s_movk_i32 s9, 0xf0
	v_ashrrev_i32_e32 v10, 31, v9
	v_add_nc_u32_e32 v11, s15, v9
	s_add_i32 s64, s9, 16
	s_movk_i32 s9, 0x110
	v_lshlrev_b64 v[5:6], 4, v[9:10]
	v_ashrrev_i32_e32 v12, 31, v11
	v_add_nc_u32_e32 v9, s15, v11
	s_add_i32 s60, s9, 16
	s_movk_i32 s9, 0x130
	v_add_co_u32 v15, vcc_lo, s4, v5
	v_add_co_ci_u32_e64 v16, null, s5, v6, vcc_lo
	v_lshlrev_b64 v[7:8], 4, v[11:12]
	v_ashrrev_i32_e32 v10, 31, v9
	v_add_nc_u32_e32 v11, s15, v9
	s_add_i32 s56, s9, 16
	s_movk_i32 s9, 0x150
	v_lshlrev_b64 v[5:6], 4, v[9:10]
	v_ashrrev_i32_e32 v12, 31, v11
	v_add_co_u32 v203, vcc_lo, s4, v7
	v_add_co_ci_u32_e64 v204, null, s5, v8, vcc_lo
	v_lshlrev_b64 v[7:8], 4, v[11:12]
	v_add_co_u32 v205, vcc_lo, s4, v5
	v_add_nc_u32_e32 v5, s15, v11
	v_add_co_ci_u32_e64 v206, null, s5, v6, vcc_lo
	v_add_co_u32 v207, vcc_lo, s4, v7
	v_add_nc_u32_e32 v7, s15, v5
	v_ashrrev_i32_e32 v6, 31, v5
	v_add_co_ci_u32_e64 v208, null, s5, v8, vcc_lo
	s_add_i32 s54, s9, 16
	v_add_nc_u32_e32 v9, s15, v7
	v_lshlrev_b64 v[5:6], 4, v[5:6]
	v_ashrrev_i32_e32 v8, 31, v7
	s_movk_i32 s9, 0x170
	v_ashrrev_i32_e32 v10, 31, v9
	s_add_i32 s52, s9, 16
	v_add_co_u32 v209, vcc_lo, s4, v5
	v_add_co_ci_u32_e64 v210, null, s5, v6, vcc_lo
	v_lshlrev_b64 v[5:6], 4, v[9:10]
	v_add_nc_u32_e32 v9, s15, v9
	v_lshlrev_b64 v[7:8], 4, v[7:8]
	s_movk_i32 s9, 0x190
	s_add_i32 s50, s9, 16
	v_add_nc_u32_e32 v11, s15, v9
	v_ashrrev_i32_e32 v10, 31, v9
	v_add_co_u32 v211, vcc_lo, s4, v7
	v_add_co_ci_u32_e64 v212, null, s5, v8, vcc_lo
	v_ashrrev_i32_e32 v12, 31, v11
	v_add_co_u32 v213, vcc_lo, s4, v5
	v_add_co_ci_u32_e64 v214, null, s5, v6, vcc_lo
	v_lshlrev_b64 v[5:6], 4, v[9:10]
	v_lshlrev_b64 v[7:8], 4, v[11:12]
	v_add_nc_u32_e32 v9, s15, v11
	s_movk_i32 s9, 0x1b0
	s_add_i32 s48, s9, 16
	v_add_co_u32 v215, vcc_lo, s4, v5
	v_add_co_ci_u32_e64 v216, null, s5, v6, vcc_lo
	v_add_co_u32 v217, vcc_lo, s4, v7
	v_add_co_ci_u32_e64 v218, null, s5, v8, vcc_lo
	v_add_nc_u32_e32 v11, s15, v9
	v_ashrrev_i32_e32 v10, 31, v9
	s_movk_i32 s9, 0x1d0
	s_add_i32 s46, s9, 16
	v_ashrrev_i32_e32 v12, 31, v11
	v_lshlrev_b64 v[9:10], 4, v[9:10]
	s_movk_i32 s9, 0x1f0
	s_add_i32 s44, s9, 16
	s_movk_i32 s9, 0x210
	v_add_co_u32 v219, vcc_lo, s4, v9
	v_add_co_ci_u32_e64 v220, null, s5, v10, vcc_lo
	s_add_i32 s42, s9, 16
	s_movk_i32 s9, 0x230
	s_add_i32 s40, s9, 16
	s_movk_i32 s9, 0x250
	;; [unrolled: 2-line block ×6, first 2 shown]
	s_add_i32 s30, s9, 16
	global_load_dwordx4 v[113:116], v[13:14], off
	buffer_store_dword v15, off, s[0:3], 0 offset:1000 ; 4-byte Folded Spill
	buffer_store_dword v16, off, s[0:3], 0 offset:1004 ; 4-byte Folded Spill
	v_add_nc_u32_e32 v13, s15, v11
	v_lshlrev_b64 v[11:12], 4, v[11:12]
	v_ashrrev_i32_e32 v14, 31, v13
	v_add_co_u32 v221, vcc_lo, s4, v11
	v_add_co_ci_u32_e64 v222, null, s5, v12, vcc_lo
	v_lshlrev_b64 v[17:18], 4, v[13:14]
	v_add_co_u32 v223, vcc_lo, s4, v17
	v_add_co_ci_u32_e64 v224, null, s5, v18, vcc_lo
	s_clause 0x8
	global_load_dwordx4 v[105:108], v[15:16], off
	global_load_dwordx4 v[137:140], v[203:204], off
	;; [unrolled: 1-line block ×9, first 2 shown]
	v_add_nc_u32_e32 v15, s15, v13
	v_add_nc_u32_e32 v19, s15, v15
	v_ashrrev_i32_e32 v16, 31, v15
	v_add_nc_u32_e32 v23, s15, v19
	v_ashrrev_i32_e32 v20, 31, v19
	v_lshlrev_b64 v[21:22], 4, v[15:16]
	s_clause 0x1
	global_load_dwordx4 v[13:16], v[219:220], off
	global_load_dwordx4 v[9:12], v[221:222], off
	v_add_nc_u32_e32 v63, s15, v23
	v_ashrrev_i32_e32 v24, 31, v23
	v_lshlrev_b64 v[61:62], 4, v[19:20]
	v_add_co_u32 v225, vcc_lo, s4, v21
	v_add_nc_u32_e32 v71, s15, v63
	v_ashrrev_i32_e32 v64, 31, v63
	v_lshlrev_b64 v[69:70], 4, v[23:24]
	v_add_co_ci_u32_e64 v226, null, s5, v22, vcc_lo
	v_add_nc_u32_e32 v95, s15, v71
	v_ashrrev_i32_e32 v72, 31, v71
	v_lshlrev_b64 v[93:94], 4, v[63:64]
	v_add_co_u32 v227, vcc_lo, s4, v61
	v_add_nc_u32_e32 v99, s15, v95
	v_ashrrev_i32_e32 v96, 31, v95
	v_lshlrev_b64 v[97:98], 4, v[71:72]
	v_add_co_ci_u32_e64 v228, null, s5, v62, vcc_lo
	v_add_nc_u32_e32 v111, s15, v99
	v_ashrrev_i32_e32 v100, 31, v99
	v_add_co_u32 v229, vcc_lo, s4, v69
	v_lshlrev_b64 v[109:110], 4, v[95:96]
	v_add_nc_u32_e32 v119, s15, v111
	v_ashrrev_i32_e32 v112, 31, v111
	v_add_co_ci_u32_e64 v230, null, s5, v70, vcc_lo
	v_add_co_u32 v231, vcc_lo, s4, v93
	v_add_nc_u32_e32 v143, s15, v119
	v_lshlrev_b64 v[117:118], 4, v[99:100]
	v_ashrrev_i32_e32 v120, 31, v119
	v_add_co_ci_u32_e64 v232, null, s5, v94, vcc_lo
	v_add_nc_u32_e32 v243, s15, v143
	v_add_co_u32 v233, vcc_lo, s4, v97
	v_lshlrev_b64 v[141:142], 4, v[111:112]
	v_add_co_ci_u32_e64 v234, null, s5, v98, vcc_lo
	v_add_co_u32 v235, vcc_lo, s4, v109
	v_ashrrev_i32_e32 v144, 31, v143
	v_add_nc_u32_e32 v245, s15, v243
	v_add_co_ci_u32_e64 v236, null, s5, v110, vcc_lo
	v_add_co_u32 v237, vcc_lo, s4, v117
	v_lshlrev_b64 v[241:242], 4, v[119:120]
	v_ashrrev_i32_e32 v244, 31, v243
	v_add_co_ci_u32_e64 v238, null, s5, v118, vcc_lo
	v_add_co_u32 v239, vcc_lo, s4, v141
	v_add_co_ci_u32_e64 v240, null, s5, v142, vcc_lo
	v_lshlrev_b64 v[141:142], 4, v[143:144]
	v_add_nc_u32_e32 v250, s15, v245
	v_add_co_u32 v241, vcc_lo, s4, v241
	v_lshlrev_b64 v[248:249], 4, v[243:244]
	v_add_co_ci_u32_e64 v242, null, s5, v242, vcc_lo
	v_ashrrev_i32_e32 v251, 31, v250
	v_add_nc_u32_e32 v252, s15, v250
	v_add_co_u32 v243, vcc_lo, s4, v141
	s_clause 0x7
	global_load_dwordx4 v[21:24], v[223:224], off
	global_load_dwordx4 v[17:20], v[225:226], off
	;; [unrolled: 1-line block ×8, first 2 shown]
	s_waitcnt vmcnt(38)
	buffer_store_dword v4, off, s[0:3], 0 offset:28
	buffer_store_dword v3, off, s[0:3], 0 offset:24
	;; [unrolled: 1-line block ×4, first 2 shown]
	v_add_co_ci_u32_e64 v244, null, s5, v142, vcc_lo
	s_clause 0x1
	global_load_dwordx4 v[141:144], v[239:240], off
	global_load_dwordx4 v[1:4], v[241:242], off
	s_waitcnt vmcnt(38)
	buffer_store_dword v92, off, s[0:3], 0 offset:44
	buffer_store_dword v91, off, s[0:3], 0 offset:40
	;; [unrolled: 1-line block ×4, first 2 shown]
	v_add_co_u32 v89, vcc_lo, s4, v248
	v_add_co_ci_u32_e64 v90, null, s5, v249, vcc_lo
	v_lshlrev_b64 v[248:249], 4, v[250:251]
	v_add_nc_u32_e32 v250, s15, v252
	s_waitcnt vmcnt(37)
	buffer_store_dword v44, off, s[0:3], 0 offset:60
	buffer_store_dword v43, off, s[0:3], 0 offset:56
	;; [unrolled: 1-line block ×4, first 2 shown]
	s_waitcnt vmcnt(36)
	buffer_store_dword v52, off, s[0:3], 0 offset:76
	buffer_store_dword v51, off, s[0:3], 0 offset:72
	;; [unrolled: 1-line block ×4, first 2 shown]
	s_clause 0x1
	global_load_dwordx4 v[41:44], v[243:244], off
	global_load_dwordx4 v[49:52], v[89:90], off
	s_waitcnt vmcnt(37)
	buffer_store_dword v60, off, s[0:3], 0 offset:92
	buffer_store_dword v59, off, s[0:3], 0 offset:88
	;; [unrolled: 1-line block ×4, first 2 shown]
	v_ashrrev_i32_e32 v246, 31, v245
	v_add_nc_u32_e32 v57, s15, v250
	v_ashrrev_i32_e32 v253, 31, v252
	v_ashrrev_i32_e32 v251, 31, v250
	s_waitcnt vmcnt(36)
	buffer_store_dword v28, off, s[0:3], 0 offset:108
	buffer_store_dword v27, off, s[0:3], 0 offset:104
	;; [unrolled: 1-line block ×8, first 2 shown]
	s_waitcnt vmcnt(35)
	buffer_store_dword v36, off, s[0:3], 0 offset:140
	buffer_store_dword v35, off, s[0:3], 0 offset:136
	buffer_store_dword v34, off, s[0:3], 0 offset:132
	buffer_store_dword v33, off, s[0:3], 0 offset:128
	s_waitcnt vmcnt(34)
	buffer_store_dword v40, off, s[0:3], 0 offset:156
	buffer_store_dword v39, off, s[0:3], 0 offset:152
	buffer_store_dword v38, off, s[0:3], 0 offset:148
	buffer_store_dword v37, off, s[0:3], 0 offset:144
	;; [unrolled: 5-line block ×21, first 2 shown]
	s_waitcnt vmcnt(14)
	buffer_store_dword v8, off, s[0:3], 0 offset:476
	v_add_nc_u32_e32 v45, s15, v57
	v_lshlrev_b64 v[245:246], 4, v[245:246]
	v_ashrrev_i32_e32 v58, 31, v57
	v_lshlrev_b64 v[252:253], 4, v[252:253]
	v_lshlrev_b64 v[59:60], 4, v[250:251]
	v_ashrrev_i32_e32 v46, 31, v45
	v_add_co_u32 v91, vcc_lo, s4, v245
	v_lshlrev_b64 v[47:48], 4, v[57:58]
	v_lshlrev_b64 v[53:54], 4, v[45:46]
	v_add_nc_u32_e32 v45, s15, v45
	v_add_co_ci_u32_e64 v92, null, s5, v246, vcc_lo
	v_add_co_u32 v245, vcc_lo, s4, v248
	v_add_nc_u32_e32 v57, s15, v45
	v_add_co_ci_u32_e64 v246, null, s5, v249, vcc_lo
	v_add_co_u32 v76, vcc_lo, s4, v252
	v_add_co_ci_u32_e64 v77, null, s5, v253, vcc_lo
	v_add_co_u32 v78, vcc_lo, s4, v59
	v_add_nc_u32_e32 v59, s15, v57
	v_ashrrev_i32_e32 v46, 31, v45
	v_ashrrev_i32_e32 v58, 31, v57
	v_add_co_ci_u32_e64 v79, null, s5, v60, vcc_lo
	v_add_nc_u32_e32 v67, s15, v59
	v_lshlrev_b64 v[65:66], 4, v[45:46]
	v_add_co_u32 v80, vcc_lo, s4, v47
	v_lshlrev_b64 v[57:58], 4, v[57:58]
	v_add_nc_u32_e32 v73, s15, v67
	v_ashrrev_i32_e32 v60, 31, v59
	v_add_co_ci_u32_e64 v81, null, s5, v48, vcc_lo
	v_add_co_u32 v82, vcc_lo, s4, v53
	v_ashrrev_i32_e32 v68, 31, v67
	v_add_co_ci_u32_e64 v83, null, s5, v54, vcc_lo
	v_add_co_u32 v84, vcc_lo, s4, v65
	v_ashrrev_i32_e32 v74, 31, v73
	v_add_co_ci_u32_e64 v85, null, s5, v66, vcc_lo
	v_lshlrev_b64 v[59:60], 4, v[59:60]
	v_add_co_u32 v86, vcc_lo, s4, v57
	v_add_nc_u32_e32 v105, s15, v73
	v_add_co_ci_u32_e64 v87, null, s5, v58, vcc_lo
	v_lshlrev_b64 v[57:58], 4, v[67:68]
	v_lshlrev_b64 v[73:74], 4, v[73:74]
	v_ashrrev_i32_e32 v106, 31, v105
	v_add_nc_u32_e32 v113, s15, v105
	v_add_co_u32 v101, vcc_lo, s4, v59
	v_add_co_ci_u32_e64 v102, null, s5, v60, vcc_lo
	v_add_co_u32 v103, vcc_lo, s4, v57
	v_add_co_ci_u32_e64 v104, null, s5, v58, vcc_lo
	v_lshlrev_b64 v[107:108], 4, v[105:106]
	v_add_co_u32 v105, vcc_lo, s4, v73
	v_add_nc_u32_e32 v73, s15, v113
	v_ashrrev_i32_e32 v114, 31, v113
	v_add_co_ci_u32_e64 v106, null, s5, v74, vcc_lo
	v_add_co_u32 v107, vcc_lo, s4, v107
	v_add_nc_u32_e32 v115, s15, v73
	v_ashrrev_i32_e32 v74, 31, v73
	v_lshlrev_b64 v[113:114], 4, v[113:114]
	v_add_co_ci_u32_e64 v108, null, s5, v108, vcc_lo
	v_add_nc_u32_e32 v121, s15, v115
	v_lshlrev_b64 v[73:74], 4, v[73:74]
	v_ashrrev_i32_e32 v116, 31, v115
	v_add_co_u32 v113, vcc_lo, s4, v113
	v_ashrrev_i32_e32 v122, 31, v121
	v_add_nc_u32_e32 v125, s15, v121
	v_add_co_ci_u32_e64 v114, null, s5, v114, vcc_lo
	v_lshlrev_b64 v[123:124], 4, v[115:116]
	v_add_co_u32 v115, vcc_lo, s4, v73
	v_add_co_ci_u32_e64 v116, null, s5, v74, vcc_lo
	v_lshlrev_b64 v[73:74], 4, v[121:122]
	v_add_nc_u32_e32 v127, s15, v125
	v_ashrrev_i32_e32 v126, 31, v125
	v_add_co_u32 v121, vcc_lo, s4, v123
	v_add_co_ci_u32_e64 v122, null, s5, v124, vcc_lo
	v_ashrrev_i32_e32 v128, 31, v127
	v_add_co_u32 v123, vcc_lo, s4, v73
	v_add_co_ci_u32_e64 v124, null, s5, v74, vcc_lo
	v_lshlrev_b64 v[73:74], 4, v[125:126]
	v_lshlrev_b64 v[125:126], 4, v[127:128]
	s_clause 0x7
	global_load_dwordx4 v[25:28], v[91:92], off
	global_load_dwordx4 v[29:32], v[245:246], off
	;; [unrolled: 1-line block ×8, first 2 shown]
	v_add_co_u32 v127, vcc_lo, s4, v73
	v_add_co_ci_u32_e64 v128, null, s5, v74, vcc_lo
	v_add_co_u32 v125, vcc_lo, s4, v125
	v_add_co_ci_u32_e64 v126, null, s5, v126, vcc_lo
	s_clause 0x8
	global_load_dwordx4 v[129:132], v[101:102], off
	global_load_dwordx4 v[133:136], v[103:104], off
	;; [unrolled: 1-line block ×9, first 2 shown]
	buffer_store_dword v7, off, s[0:3], 0 offset:472
	buffer_store_dword v6, off, s[0:3], 0 offset:468
	;; [unrolled: 1-line block ×3, first 2 shown]
	global_load_dwordx4 v[5:8], v[125:126], off
	s_movk_i32 s5, 0x60
	s_movk_i32 s4, 0x50
	s_add_i32 s65, s5, 16
	s_movk_i32 s5, 0x80
	s_add_i32 s67, s4, 16
	s_add_i32 s61, s5, 16
	s_movk_i32 s5, 0xa0
	s_movk_i32 s4, 0x70
	s_add_i32 s57, s5, 16
	s_movk_i32 s5, 0xc0
	s_add_i32 s63, s4, 16
	s_add_i32 s70, s5, 16
	s_movk_i32 s5, 0xe0
	s_movk_i32 s4, 0x90
	s_add_i32 s66, s5, 16
	s_movk_i32 s5, 0x100
	s_add_i32 s59, s4, 16
	s_add_i32 s62, s5, 16
	s_movk_i32 s5, 0x120
	s_movk_i32 s4, 0x2f0
	s_add_i32 s58, s5, 16
	s_movk_i32 s5, 0x140
	s_add_i32 s27, s4, 16
	s_add_i32 s55, s5, 16
	s_movk_i32 s5, 0x160
	s_movk_i32 s4, 0x2d0
	s_add_i32 s53, s5, 16
	s_movk_i32 s5, 0x180
	s_add_i32 s29, s4, 16
	s_add_i32 s51, s5, 16
	s_movk_i32 s5, 0x1a0
	s_movk_i32 s4, 0xb0
	s_add_i32 s49, s5, 16
	s_movk_i32 s5, 0x1c0
	s_add_i32 s74, s4, 16
	s_add_i32 s47, s5, 16
	s_movk_i32 s5, 0x1e0
	s_movk_i32 s4, 0x310
	s_add_i32 s45, s5, 16
	s_movk_i32 s5, 0x200
	s_add_i32 s25, s4, 16
	s_add_i32 s43, s5, 16
	s_movk_i32 s5, 0x220
	s_movk_i32 s4, 0x330
	s_add_i32 s41, s5, 16
	s_movk_i32 s5, 0x240
	s_add_i32 s23, s4, 16
	s_add_i32 s39, s5, 16
	s_movk_i32 s5, 0x260
	s_movk_i32 s4, 0x350
	s_add_i32 s37, s5, 16
	s_movk_i32 s5, 0x280
	s_add_i32 s19, s4, 16
	s_add_i32 s35, s5, 16
	s_movk_i32 s5, 0x2a0
	s_movk_i32 s4, 0x370
	s_add_i32 s33, s5, 16
	s_movk_i32 s5, 0x2e0
	s_add_i32 s17, s4, 16
	s_add_i32 s28, s5, 16
	s_movk_i32 s5, 0x300
	s_movk_i32 s4, 0x390
	s_add_i32 s26, s5, 16
	s_movk_i32 s5, 0x320
	s_add_i32 s15, s4, 16
	s_add_i32 s24, s5, 16
	s_movk_i32 s5, 0x340
	s_movk_i32 s4, 0x3b0
	s_add_i32 s22, s5, 16
	s_movk_i32 s5, 0x360
	s_add_i32 s13, s4, 16
	s_add_i32 s18, s5, 16
	s_movk_i32 s5, 0x380
	s_waitcnt vmcnt(31)
	buffer_store_dword v16, off, s[0:3], 0 offset:492
	buffer_store_dword v15, off, s[0:3], 0 offset:488
	buffer_store_dword v14, off, s[0:3], 0 offset:484
	buffer_store_dword v13, off, s[0:3], 0 offset:480
	s_waitcnt vmcnt(30)
	buffer_store_dword v12, off, s[0:3], 0 offset:508
	buffer_store_dword v11, off, s[0:3], 0 offset:504
	buffer_store_dword v10, off, s[0:3], 0 offset:500
	buffer_store_dword v9, off, s[0:3], 0 offset:496
	;; [unrolled: 5-line block ×31, first 2 shown]
	s_waitcnt vmcnt(0)
	buffer_store_dword v8, off, s[0:3], 0 offset:988
	buffer_store_dword v7, off, s[0:3], 0 offset:984
	;; [unrolled: 1-line block ×3, first 2 shown]
	s_add_i32 s16, s5, 16
	s_movk_i32 s5, 0x3a0
	buffer_store_dword v5, off, s[0:3], 0 offset:976
	s_add_i32 s14, s5, 16
	s_movk_i32 s5, 0x3c0
	s_add_i32 s12, s5, 16
	s_bitcmp0_b32 s8, 0
	s_mov_b32 s5, -1
	s_cbranch_scc1 .LBB60_268
; %bb.4:
	v_cmp_eq_u32_e64 s4, 0, v0
	s_and_saveexec_b32 s5, s4
; %bb.5:
	v_mov_b32_e32 v1, 0
	ds_write_b32 v1, v1 offset:1952
; %bb.6:
	s_or_b32 exec_lo, exec_lo, s5
	v_lshl_add_u32 v11, v0, 4, 16
	s_waitcnt lgkmcnt(0)
	s_waitcnt_vscnt null, 0x0
	s_barrier
	buffer_gl0_inv
	s_clause 0x3
	buffer_load_dword v1, v11, s[0:3], 0 offen
	buffer_load_dword v2, v11, s[0:3], 0 offen offset:4
	buffer_load_dword v3, v11, s[0:3], 0 offen offset:8
	;; [unrolled: 1-line block ×3, first 2 shown]
	s_waitcnt vmcnt(2)
	v_cmp_eq_f64_e32 vcc_lo, 0, v[1:2]
	s_waitcnt vmcnt(0)
	v_cmp_eq_f64_e64 s5, 0, v[3:4]
	s_and_b32 s5, vcc_lo, s5
	s_and_saveexec_b32 s8, s5
	s_cbranch_execz .LBB60_10
; %bb.7:
	v_mov_b32_e32 v1, 0
	s_mov_b32 s9, 0
	ds_read_b32 v2, v1 offset:1952
	s_waitcnt lgkmcnt(0)
	v_readfirstlane_b32 s5, v2
	v_add_nc_u32_e32 v2, 1, v0
	s_cmp_eq_u32 s5, 0
	v_cmp_gt_i32_e32 vcc_lo, s5, v2
	s_cselect_b32 s76, -1, 0
	s_or_b32 s76, s76, vcc_lo
	s_and_b32 exec_lo, exec_lo, s76
	s_cbranch_execz .LBB60_10
; %bb.8:
	v_mov_b32_e32 v3, s5
.LBB60_9:                               ; =>This Inner Loop Header: Depth=1
	ds_cmpst_rtn_b32 v3, v1, v3, v2 offset:1952
	s_waitcnt lgkmcnt(0)
	v_cmp_ne_u32_e32 vcc_lo, 0, v3
	v_cmp_le_i32_e64 s5, v3, v2
	s_and_b32 s5, vcc_lo, s5
	s_and_b32 s5, exec_lo, s5
	s_or_b32 s9, s5, s9
	s_andn2_b32 exec_lo, exec_lo, s9
	s_cbranch_execnz .LBB60_9
.LBB60_10:
	s_or_b32 exec_lo, exec_lo, s8
	v_mov_b32_e32 v1, 0
	s_barrier
	buffer_gl0_inv
	ds_read_b32 v2, v1 offset:1952
	s_and_saveexec_b32 s5, s4
	s_cbranch_execz .LBB60_12
; %bb.11:
	s_lshl_b64 s[8:9], s[6:7], 2
	s_add_u32 s8, s10, s8
	s_addc_u32 s9, s11, s9
	s_waitcnt lgkmcnt(0)
	global_store_dword v1, v2, s[8:9]
.LBB60_12:
	s_or_b32 exec_lo, exec_lo, s5
	s_waitcnt lgkmcnt(0)
	v_cmp_ne_u32_e32 vcc_lo, 0, v2
	s_mov_b32 s5, 0
	s_cbranch_vccnz .LBB60_268
; %bb.13:
	s_clause 0x3
	buffer_load_dword v7, v11, s[0:3], 0 offen
	buffer_load_dword v8, v11, s[0:3], 0 offen offset:4
	buffer_load_dword v9, v11, s[0:3], 0 offen offset:8
	;; [unrolled: 1-line block ×3, first 2 shown]
                                        ; implicit-def: $vgpr5_vgpr6
                                        ; implicit-def: $vgpr3_vgpr4
	s_waitcnt vmcnt(0)
	v_cmp_ngt_f64_e64 s5, |v[7:8]|, |v[9:10]|
	s_and_saveexec_b32 s8, s5
	s_xor_b32 s5, exec_lo, s8
	s_cbranch_execz .LBB60_15
; %bb.14:
	v_div_scale_f64 v[1:2], null, v[9:10], v[9:10], v[7:8]
	v_div_scale_f64 v[12:13], vcc_lo, v[7:8], v[9:10], v[7:8]
	v_rcp_f64_e32 v[3:4], v[1:2]
	v_fma_f64 v[5:6], -v[1:2], v[3:4], 1.0
	v_fma_f64 v[3:4], v[3:4], v[5:6], v[3:4]
	v_fma_f64 v[5:6], -v[1:2], v[3:4], 1.0
	v_fma_f64 v[3:4], v[3:4], v[5:6], v[3:4]
	v_mul_f64 v[5:6], v[12:13], v[3:4]
	v_fma_f64 v[1:2], -v[1:2], v[5:6], v[12:13]
	v_div_fmas_f64 v[1:2], v[1:2], v[3:4], v[5:6]
	v_div_fixup_f64 v[1:2], v[1:2], v[9:10], v[7:8]
	v_fma_f64 v[3:4], v[7:8], v[1:2], v[9:10]
	v_div_scale_f64 v[5:6], null, v[3:4], v[3:4], 1.0
	v_div_scale_f64 v[12:13], vcc_lo, 1.0, v[3:4], 1.0
	v_rcp_f64_e32 v[7:8], v[5:6]
	v_fma_f64 v[9:10], -v[5:6], v[7:8], 1.0
	v_fma_f64 v[7:8], v[7:8], v[9:10], v[7:8]
	v_fma_f64 v[9:10], -v[5:6], v[7:8], 1.0
	v_fma_f64 v[7:8], v[7:8], v[9:10], v[7:8]
	v_mul_f64 v[9:10], v[12:13], v[7:8]
	v_fma_f64 v[5:6], -v[5:6], v[9:10], v[12:13]
	v_div_fmas_f64 v[5:6], v[5:6], v[7:8], v[9:10]
                                        ; implicit-def: $vgpr7_vgpr8
                                        ; implicit-def: $vgpr9_vgpr10
	v_div_fixup_f64 v[3:4], v[5:6], v[3:4], 1.0
	v_mul_f64 v[5:6], v[1:2], v[3:4]
	v_xor_b32_e32 v4, 0x80000000, v4
	v_xor_b32_e32 v2, 0x80000000, v6
	v_mov_b32_e32 v1, v5
.LBB60_15:
	s_andn2_saveexec_b32 s5, s5
	s_cbranch_execz .LBB60_17
; %bb.16:
	v_div_scale_f64 v[1:2], null, v[7:8], v[7:8], v[9:10]
	v_div_scale_f64 v[12:13], vcc_lo, v[9:10], v[7:8], v[9:10]
	v_rcp_f64_e32 v[3:4], v[1:2]
	v_fma_f64 v[5:6], -v[1:2], v[3:4], 1.0
	v_fma_f64 v[3:4], v[3:4], v[5:6], v[3:4]
	v_fma_f64 v[5:6], -v[1:2], v[3:4], 1.0
	v_fma_f64 v[3:4], v[3:4], v[5:6], v[3:4]
	v_mul_f64 v[5:6], v[12:13], v[3:4]
	v_fma_f64 v[1:2], -v[1:2], v[5:6], v[12:13]
	v_div_fmas_f64 v[1:2], v[1:2], v[3:4], v[5:6]
	v_div_fixup_f64 v[1:2], v[1:2], v[7:8], v[9:10]
	v_fma_f64 v[3:4], v[9:10], v[1:2], v[7:8]
	v_div_scale_f64 v[5:6], null, v[3:4], v[3:4], 1.0
	v_rcp_f64_e32 v[7:8], v[5:6]
	v_fma_f64 v[9:10], -v[5:6], v[7:8], 1.0
	v_fma_f64 v[7:8], v[7:8], v[9:10], v[7:8]
	v_fma_f64 v[9:10], -v[5:6], v[7:8], 1.0
	v_fma_f64 v[7:8], v[7:8], v[9:10], v[7:8]
	v_div_scale_f64 v[9:10], vcc_lo, 1.0, v[3:4], 1.0
	v_mul_f64 v[12:13], v[9:10], v[7:8]
	v_fma_f64 v[5:6], -v[5:6], v[12:13], v[9:10]
	v_div_fmas_f64 v[5:6], v[5:6], v[7:8], v[12:13]
	v_div_fixup_f64 v[5:6], v[5:6], v[3:4], 1.0
	v_mul_f64 v[3:4], v[1:2], -v[5:6]
	v_xor_b32_e32 v2, 0x80000000, v6
	v_mov_b32_e32 v1, v5
.LBB60_17:
	s_or_b32 exec_lo, exec_lo, s5
	v_mov_b32_e32 v10, s73
	buffer_store_dword v6, v11, s[0:3], 0 offen offset:4
	buffer_store_dword v5, v11, s[0:3], 0 offen
	buffer_store_dword v4, v11, s[0:3], 0 offen offset:12
	buffer_store_dword v3, v11, s[0:3], 0 offen offset:8
	v_xor_b32_e32 v4, 0x80000000, v4
	v_add_nc_u32_e32 v5, 0x3d0, v247
	s_clause 0x3
	buffer_load_dword v9, v10, s[0:3], 0 offen offset:12
	buffer_load_dword v8, v10, s[0:3], 0 offen offset:8
	;; [unrolled: 1-line block ×3, first 2 shown]
	buffer_load_dword v6, v10, s[0:3], 0 offen
	ds_write_b128 v247, v[1:4]
	s_waitcnt vmcnt(0)
	ds_write_b128 v247, v[6:9] offset:976
	s_waitcnt lgkmcnt(0)
	s_waitcnt_vscnt null, 0x0
	s_barrier
	buffer_gl0_inv
	s_and_saveexec_b32 s5, s4
	s_cbranch_execz .LBB60_19
; %bb.18:
	s_clause 0x3
	buffer_load_dword v12, v11, s[0:3], 0 offen offset:8
	buffer_load_dword v13, v11, s[0:3], 0 offen offset:12
	buffer_load_dword v14, v11, s[0:3], 0 offen
	buffer_load_dword v15, v11, s[0:3], 0 offen offset:4
	ds_read_b128 v[1:4], v5
	v_mov_b32_e32 v6, 0
	ds_read_b128 v[6:9], v6 offset:16
	s_waitcnt vmcnt(2) lgkmcnt(1)
	v_mul_f64 v[16:17], v[1:2], v[12:13]
	v_mul_f64 v[12:13], v[3:4], v[12:13]
	s_waitcnt vmcnt(0)
	v_fma_f64 v[3:4], v[3:4], v[14:15], v[16:17]
	v_fma_f64 v[1:2], v[1:2], v[14:15], -v[12:13]
	v_add_f64 v[3:4], v[3:4], 0
	v_add_f64 v[1:2], v[1:2], 0
	s_waitcnt lgkmcnt(0)
	v_mul_f64 v[12:13], v[3:4], v[8:9]
	v_mul_f64 v[8:9], v[1:2], v[8:9]
	v_fma_f64 v[1:2], v[1:2], v[6:7], -v[12:13]
	v_fma_f64 v[3:4], v[3:4], v[6:7], v[8:9]
	buffer_store_dword v1, off, s[0:3], 0 offset:32
	buffer_store_dword v2, off, s[0:3], 0 offset:36
	;; [unrolled: 1-line block ×4, first 2 shown]
.LBB60_19:
	s_or_b32 exec_lo, exec_lo, s5
	v_mov_b32_e32 v4, s72
	s_waitcnt_vscnt null, 0x0
	s_barrier
	buffer_gl0_inv
	v_cmp_gt_u32_e32 vcc_lo, 2, v0
	s_clause 0x3
	buffer_load_dword v1, v4, s[0:3], 0 offen
	buffer_load_dword v2, v4, s[0:3], 0 offen offset:4
	buffer_load_dword v3, v4, s[0:3], 0 offen offset:8
	;; [unrolled: 1-line block ×3, first 2 shown]
	s_waitcnt vmcnt(0)
	ds_write_b128 v5, v[1:4]
	s_waitcnt lgkmcnt(0)
	s_barrier
	buffer_gl0_inv
	s_and_saveexec_b32 s5, vcc_lo
	s_cbranch_execz .LBB60_23
; %bb.20:
	s_clause 0x3
	buffer_load_dword v6, v11, s[0:3], 0 offen offset:8
	buffer_load_dword v7, v11, s[0:3], 0 offen offset:12
	buffer_load_dword v8, v11, s[0:3], 0 offen
	buffer_load_dword v9, v11, s[0:3], 0 offen offset:4
	ds_read_b128 v[1:4], v5
	s_waitcnt vmcnt(2) lgkmcnt(0)
	v_mul_f64 v[12:13], v[3:4], v[6:7]
	v_mul_f64 v[6:7], v[1:2], v[6:7]
	s_waitcnt vmcnt(0)
	v_fma_f64 v[1:2], v[1:2], v[8:9], -v[12:13]
	v_fma_f64 v[3:4], v[3:4], v[8:9], v[6:7]
	v_add_f64 v[1:2], v[1:2], 0
	v_add_f64 v[3:4], v[3:4], 0
	s_and_saveexec_b32 s8, s4
	s_cbranch_execz .LBB60_22
; %bb.21:
	s_clause 0x3
	buffer_load_dword v12, off, s[0:3], 0 offset:40
	buffer_load_dword v13, off, s[0:3], 0 offset:44
	;; [unrolled: 1-line block ×4, first 2 shown]
	v_mov_b32_e32 v6, 0
	ds_read_b128 v[6:9], v6 offset:992
	s_waitcnt vmcnt(2) lgkmcnt(0)
	v_mul_f64 v[16:17], v[6:7], v[12:13]
	v_mul_f64 v[12:13], v[8:9], v[12:13]
	s_waitcnt vmcnt(0)
	v_fma_f64 v[8:9], v[8:9], v[14:15], v[16:17]
	v_fma_f64 v[6:7], v[6:7], v[14:15], -v[12:13]
	v_add_f64 v[3:4], v[3:4], v[8:9]
	v_add_f64 v[1:2], v[1:2], v[6:7]
.LBB60_22:
	s_or_b32 exec_lo, exec_lo, s8
	v_mov_b32_e32 v6, 0
	ds_read_b128 v[6:9], v6 offset:32
	s_waitcnt lgkmcnt(0)
	v_mul_f64 v[12:13], v[3:4], v[8:9]
	v_mul_f64 v[8:9], v[1:2], v[8:9]
	v_fma_f64 v[1:2], v[1:2], v[6:7], -v[12:13]
	v_fma_f64 v[3:4], v[3:4], v[6:7], v[8:9]
	buffer_store_dword v2, off, s[0:3], 0 offset:52
	buffer_store_dword v1, off, s[0:3], 0 offset:48
	;; [unrolled: 1-line block ×4, first 2 shown]
.LBB60_23:
	s_or_b32 exec_lo, exec_lo, s5
	v_mov_b32_e32 v4, s71
	s_waitcnt_vscnt null, 0x0
	s_barrier
	buffer_gl0_inv
	v_add_nc_u32_e32 v6, -1, v0
	s_clause 0x3
	buffer_load_dword v1, v4, s[0:3], 0 offen
	buffer_load_dword v2, v4, s[0:3], 0 offen offset:4
	buffer_load_dword v3, v4, s[0:3], 0 offen offset:8
	;; [unrolled: 1-line block ×3, first 2 shown]
	s_mov_b32 s8, exec_lo
	s_waitcnt vmcnt(0)
	ds_write_b128 v5, v[1:4]
	s_waitcnt lgkmcnt(0)
	s_barrier
	buffer_gl0_inv
	v_cmpx_gt_u32_e32 3, v0
	s_cbranch_execz .LBB60_27
; %bb.24:
	v_mov_b32_e32 v1, 0
	v_mov_b32_e32 v3, 0
	v_add_nc_u32_e32 v7, -1, v0
	v_add_nc_u32_e32 v8, 0x3d0, v247
	v_mov_b32_e32 v2, 0
	v_mov_b32_e32 v4, 0
	v_add_nc_u32_e32 v9, 16, v247
	s_mov_b32 s9, 0
	.p2align	6
.LBB60_25:                              ; =>This Inner Loop Header: Depth=1
	s_clause 0x3
	buffer_load_dword v16, v9, s[0:3], 0 offen offset:8
	buffer_load_dword v17, v9, s[0:3], 0 offen offset:12
	buffer_load_dword v18, v9, s[0:3], 0 offen
	buffer_load_dword v19, v9, s[0:3], 0 offen offset:4
	ds_read_b128 v[12:15], v8
	v_add_nc_u32_e32 v7, 1, v7
	v_add_nc_u32_e32 v8, 16, v8
	;; [unrolled: 1-line block ×3, first 2 shown]
	v_cmp_lt_u32_e64 s5, 1, v7
	s_or_b32 s9, s5, s9
	s_waitcnt vmcnt(2) lgkmcnt(0)
	v_mul_f64 v[20:21], v[14:15], v[16:17]
	v_mul_f64 v[16:17], v[12:13], v[16:17]
	s_waitcnt vmcnt(0)
	v_fma_f64 v[12:13], v[12:13], v[18:19], -v[20:21]
	v_fma_f64 v[14:15], v[14:15], v[18:19], v[16:17]
	v_add_f64 v[3:4], v[3:4], v[12:13]
	v_add_f64 v[1:2], v[1:2], v[14:15]
	s_andn2_b32 exec_lo, exec_lo, s9
	s_cbranch_execnz .LBB60_25
; %bb.26:
	s_or_b32 exec_lo, exec_lo, s9
	v_mov_b32_e32 v7, 0
	ds_read_b128 v[7:10], v7 offset:48
	s_waitcnt lgkmcnt(0)
	v_mul_f64 v[12:13], v[1:2], v[9:10]
	v_mul_f64 v[9:10], v[3:4], v[9:10]
	v_fma_f64 v[3:4], v[3:4], v[7:8], -v[12:13]
	v_fma_f64 v[1:2], v[1:2], v[7:8], v[9:10]
	buffer_store_dword v4, off, s[0:3], 0 offset:68
	buffer_store_dword v3, off, s[0:3], 0 offset:64
	;; [unrolled: 1-line block ×4, first 2 shown]
.LBB60_27:
	s_or_b32 exec_lo, exec_lo, s8
	v_mov_b32_e32 v4, s69
	s_waitcnt_vscnt null, 0x0
	s_barrier
	buffer_gl0_inv
	v_cmp_gt_u32_e64 s5, 4, v0
	s_clause 0x3
	buffer_load_dword v1, v4, s[0:3], 0 offen
	buffer_load_dword v2, v4, s[0:3], 0 offen offset:4
	buffer_load_dword v3, v4, s[0:3], 0 offen offset:8
	buffer_load_dword v4, v4, s[0:3], 0 offen offset:12
	s_waitcnt vmcnt(0)
	ds_write_b128 v5, v[1:4]
	s_waitcnt lgkmcnt(0)
	s_barrier
	buffer_gl0_inv
	s_and_saveexec_b32 s9, s5
	s_cbranch_execz .LBB60_31
; %bb.28:
	v_mov_b32_e32 v1, 0
	v_mov_b32_e32 v3, 0
	v_add_nc_u32_e32 v7, -1, v0
	v_add_nc_u32_e32 v8, 0x3d0, v247
	v_mov_b32_e32 v2, 0
	v_mov_b32_e32 v4, 0
	v_add_nc_u32_e32 v9, 16, v247
	s_mov_b32 s76, 0
	.p2align	6
.LBB60_29:                              ; =>This Inner Loop Header: Depth=1
	s_clause 0x3
	buffer_load_dword v16, v9, s[0:3], 0 offen offset:8
	buffer_load_dword v17, v9, s[0:3], 0 offen offset:12
	buffer_load_dword v18, v9, s[0:3], 0 offen
	buffer_load_dword v19, v9, s[0:3], 0 offen offset:4
	ds_read_b128 v[12:15], v8
	v_add_nc_u32_e32 v7, 1, v7
	v_add_nc_u32_e32 v8, 16, v8
	;; [unrolled: 1-line block ×3, first 2 shown]
	v_cmp_lt_u32_e64 s8, 2, v7
	s_or_b32 s76, s8, s76
	s_waitcnt vmcnt(2) lgkmcnt(0)
	v_mul_f64 v[20:21], v[14:15], v[16:17]
	v_mul_f64 v[16:17], v[12:13], v[16:17]
	s_waitcnt vmcnt(0)
	v_fma_f64 v[12:13], v[12:13], v[18:19], -v[20:21]
	v_fma_f64 v[14:15], v[14:15], v[18:19], v[16:17]
	v_add_f64 v[3:4], v[3:4], v[12:13]
	v_add_f64 v[1:2], v[1:2], v[14:15]
	s_andn2_b32 exec_lo, exec_lo, s76
	s_cbranch_execnz .LBB60_29
; %bb.30:
	s_or_b32 exec_lo, exec_lo, s76
	v_mov_b32_e32 v7, 0
	ds_read_b128 v[7:10], v7 offset:64
	s_waitcnt lgkmcnt(0)
	v_mul_f64 v[12:13], v[1:2], v[9:10]
	v_mul_f64 v[9:10], v[3:4], v[9:10]
	v_fma_f64 v[3:4], v[3:4], v[7:8], -v[12:13]
	v_fma_f64 v[1:2], v[1:2], v[7:8], v[9:10]
	buffer_store_dword v4, off, s[0:3], 0 offset:84
	buffer_store_dword v3, off, s[0:3], 0 offset:80
	;; [unrolled: 1-line block ×4, first 2 shown]
.LBB60_31:
	s_or_b32 exec_lo, exec_lo, s9
	v_mov_b32_e32 v4, s67
	s_waitcnt_vscnt null, 0x0
	s_barrier
	buffer_gl0_inv
	s_mov_b32 s9, exec_lo
	s_clause 0x3
	buffer_load_dword v1, v4, s[0:3], 0 offen
	buffer_load_dword v2, v4, s[0:3], 0 offen offset:4
	buffer_load_dword v3, v4, s[0:3], 0 offen offset:8
	;; [unrolled: 1-line block ×3, first 2 shown]
	s_waitcnt vmcnt(0)
	ds_write_b128 v5, v[1:4]
	s_waitcnt lgkmcnt(0)
	s_barrier
	buffer_gl0_inv
	v_cmpx_gt_u32_e32 5, v0
	s_cbranch_execz .LBB60_35
; %bb.32:
	v_mov_b32_e32 v1, 0
	v_mov_b32_e32 v3, 0
	v_add_nc_u32_e32 v7, -1, v0
	v_add_nc_u32_e32 v8, 0x3d0, v247
	v_mov_b32_e32 v2, 0
	v_mov_b32_e32 v4, 0
	v_add_nc_u32_e32 v9, 16, v247
	s_mov_b32 s76, 0
	.p2align	6
.LBB60_33:                              ; =>This Inner Loop Header: Depth=1
	s_clause 0x3
	buffer_load_dword v16, v9, s[0:3], 0 offen offset:8
	buffer_load_dword v17, v9, s[0:3], 0 offen offset:12
	buffer_load_dword v18, v9, s[0:3], 0 offen
	buffer_load_dword v19, v9, s[0:3], 0 offen offset:4
	ds_read_b128 v[12:15], v8
	v_add_nc_u32_e32 v7, 1, v7
	v_add_nc_u32_e32 v8, 16, v8
	;; [unrolled: 1-line block ×3, first 2 shown]
	v_cmp_lt_u32_e64 s8, 3, v7
	s_or_b32 s76, s8, s76
	s_waitcnt vmcnt(2) lgkmcnt(0)
	v_mul_f64 v[20:21], v[14:15], v[16:17]
	v_mul_f64 v[16:17], v[12:13], v[16:17]
	s_waitcnt vmcnt(0)
	v_fma_f64 v[12:13], v[12:13], v[18:19], -v[20:21]
	v_fma_f64 v[14:15], v[14:15], v[18:19], v[16:17]
	v_add_f64 v[3:4], v[3:4], v[12:13]
	v_add_f64 v[1:2], v[1:2], v[14:15]
	s_andn2_b32 exec_lo, exec_lo, s76
	s_cbranch_execnz .LBB60_33
; %bb.34:
	s_or_b32 exec_lo, exec_lo, s76
	v_mov_b32_e32 v7, 0
	ds_read_b128 v[7:10], v7 offset:80
	s_waitcnt lgkmcnt(0)
	v_mul_f64 v[12:13], v[1:2], v[9:10]
	v_mul_f64 v[9:10], v[3:4], v[9:10]
	v_fma_f64 v[3:4], v[3:4], v[7:8], -v[12:13]
	v_fma_f64 v[1:2], v[1:2], v[7:8], v[9:10]
	buffer_store_dword v4, off, s[0:3], 0 offset:100
	buffer_store_dword v3, off, s[0:3], 0 offset:96
	;; [unrolled: 1-line block ×4, first 2 shown]
.LBB60_35:
	s_or_b32 exec_lo, exec_lo, s9
	v_mov_b32_e32 v4, s65
	s_waitcnt_vscnt null, 0x0
	s_barrier
	buffer_gl0_inv
	v_cmp_gt_u32_e64 s8, 6, v0
	s_clause 0x3
	buffer_load_dword v1, v4, s[0:3], 0 offen
	buffer_load_dword v2, v4, s[0:3], 0 offen offset:4
	buffer_load_dword v3, v4, s[0:3], 0 offen offset:8
	;; [unrolled: 1-line block ×3, first 2 shown]
	s_waitcnt vmcnt(0)
	ds_write_b128 v5, v[1:4]
	s_waitcnt lgkmcnt(0)
	s_barrier
	buffer_gl0_inv
	s_and_saveexec_b32 s76, s8
	s_cbranch_execz .LBB60_39
; %bb.36:
	v_mov_b32_e32 v1, 0
	v_mov_b32_e32 v3, 0
	v_add_nc_u32_e32 v7, -1, v0
	v_add_nc_u32_e32 v8, 0x3d0, v247
	v_mov_b32_e32 v2, 0
	v_mov_b32_e32 v4, 0
	v_add_nc_u32_e32 v9, 16, v247
	s_mov_b32 s77, 0
	.p2align	6
.LBB60_37:                              ; =>This Inner Loop Header: Depth=1
	s_clause 0x3
	buffer_load_dword v16, v9, s[0:3], 0 offen offset:8
	buffer_load_dword v17, v9, s[0:3], 0 offen offset:12
	buffer_load_dword v18, v9, s[0:3], 0 offen
	buffer_load_dword v19, v9, s[0:3], 0 offen offset:4
	ds_read_b128 v[12:15], v8
	v_add_nc_u32_e32 v7, 1, v7
	v_add_nc_u32_e32 v8, 16, v8
	;; [unrolled: 1-line block ×3, first 2 shown]
	v_cmp_lt_u32_e64 s9, 4, v7
	s_or_b32 s77, s9, s77
	s_waitcnt vmcnt(2) lgkmcnt(0)
	v_mul_f64 v[20:21], v[14:15], v[16:17]
	v_mul_f64 v[16:17], v[12:13], v[16:17]
	s_waitcnt vmcnt(0)
	v_fma_f64 v[12:13], v[12:13], v[18:19], -v[20:21]
	v_fma_f64 v[14:15], v[14:15], v[18:19], v[16:17]
	v_add_f64 v[3:4], v[3:4], v[12:13]
	v_add_f64 v[1:2], v[1:2], v[14:15]
	s_andn2_b32 exec_lo, exec_lo, s77
	s_cbranch_execnz .LBB60_37
; %bb.38:
	s_or_b32 exec_lo, exec_lo, s77
	v_mov_b32_e32 v7, 0
	ds_read_b128 v[7:10], v7 offset:96
	s_waitcnt lgkmcnt(0)
	v_mul_f64 v[12:13], v[1:2], v[9:10]
	v_mul_f64 v[9:10], v[3:4], v[9:10]
	v_fma_f64 v[3:4], v[3:4], v[7:8], -v[12:13]
	v_fma_f64 v[1:2], v[1:2], v[7:8], v[9:10]
	buffer_store_dword v4, off, s[0:3], 0 offset:116
	buffer_store_dword v3, off, s[0:3], 0 offset:112
	;; [unrolled: 1-line block ×4, first 2 shown]
.LBB60_39:
	s_or_b32 exec_lo, exec_lo, s76
	v_mov_b32_e32 v4, s63
	s_waitcnt_vscnt null, 0x0
	s_barrier
	buffer_gl0_inv
	s_mov_b32 s76, exec_lo
	s_clause 0x3
	buffer_load_dword v1, v4, s[0:3], 0 offen
	buffer_load_dword v2, v4, s[0:3], 0 offen offset:4
	buffer_load_dword v3, v4, s[0:3], 0 offen offset:8
	;; [unrolled: 1-line block ×3, first 2 shown]
	s_waitcnt vmcnt(0)
	ds_write_b128 v5, v[1:4]
	s_waitcnt lgkmcnt(0)
	s_barrier
	buffer_gl0_inv
	v_cmpx_gt_u32_e32 7, v0
	s_cbranch_execz .LBB60_43
; %bb.40:
	v_mov_b32_e32 v1, 0
	v_mov_b32_e32 v3, 0
	v_add_nc_u32_e32 v7, -1, v0
	v_add_nc_u32_e32 v8, 0x3d0, v247
	v_mov_b32_e32 v2, 0
	v_mov_b32_e32 v4, 0
	v_add_nc_u32_e32 v9, 16, v247
	s_mov_b32 s77, 0
	.p2align	6
.LBB60_41:                              ; =>This Inner Loop Header: Depth=1
	s_clause 0x3
	buffer_load_dword v16, v9, s[0:3], 0 offen offset:8
	buffer_load_dword v17, v9, s[0:3], 0 offen offset:12
	buffer_load_dword v18, v9, s[0:3], 0 offen
	buffer_load_dword v19, v9, s[0:3], 0 offen offset:4
	ds_read_b128 v[12:15], v8
	v_add_nc_u32_e32 v7, 1, v7
	v_add_nc_u32_e32 v8, 16, v8
	;; [unrolled: 1-line block ×3, first 2 shown]
	v_cmp_lt_u32_e64 s9, 5, v7
	s_or_b32 s77, s9, s77
	s_waitcnt vmcnt(2) lgkmcnt(0)
	v_mul_f64 v[20:21], v[14:15], v[16:17]
	v_mul_f64 v[16:17], v[12:13], v[16:17]
	s_waitcnt vmcnt(0)
	v_fma_f64 v[12:13], v[12:13], v[18:19], -v[20:21]
	v_fma_f64 v[14:15], v[14:15], v[18:19], v[16:17]
	v_add_f64 v[3:4], v[3:4], v[12:13]
	v_add_f64 v[1:2], v[1:2], v[14:15]
	s_andn2_b32 exec_lo, exec_lo, s77
	s_cbranch_execnz .LBB60_41
; %bb.42:
	s_or_b32 exec_lo, exec_lo, s77
	v_mov_b32_e32 v7, 0
	ds_read_b128 v[7:10], v7 offset:112
	s_waitcnt lgkmcnt(0)
	v_mul_f64 v[12:13], v[1:2], v[9:10]
	v_mul_f64 v[9:10], v[3:4], v[9:10]
	v_fma_f64 v[3:4], v[3:4], v[7:8], -v[12:13]
	v_fma_f64 v[1:2], v[1:2], v[7:8], v[9:10]
	buffer_store_dword v4, off, s[0:3], 0 offset:132
	buffer_store_dword v3, off, s[0:3], 0 offset:128
	;; [unrolled: 1-line block ×4, first 2 shown]
.LBB60_43:
	s_or_b32 exec_lo, exec_lo, s76
	v_mov_b32_e32 v4, s61
	s_waitcnt_vscnt null, 0x0
	s_barrier
	buffer_gl0_inv
	s_mov_b32 s76, exec_lo
	s_clause 0x3
	buffer_load_dword v1, v4, s[0:3], 0 offen
	buffer_load_dword v2, v4, s[0:3], 0 offen offset:4
	buffer_load_dword v3, v4, s[0:3], 0 offen offset:8
	buffer_load_dword v4, v4, s[0:3], 0 offen offset:12
	s_waitcnt vmcnt(0)
	ds_write_b128 v5, v[1:4]
	s_waitcnt lgkmcnt(0)
	s_barrier
	buffer_gl0_inv
	v_cmpx_gt_u32_e32 8, v0
	s_cbranch_execz .LBB60_59
; %bb.44:
	s_clause 0x3
	buffer_load_dword v7, v11, s[0:3], 0 offen offset:8
	buffer_load_dword v8, v11, s[0:3], 0 offen offset:12
	buffer_load_dword v9, v11, s[0:3], 0 offen
	buffer_load_dword v10, v11, s[0:3], 0 offen offset:4
	ds_read_b128 v[1:4], v5
	s_mov_b32 s77, exec_lo
	s_waitcnt vmcnt(2) lgkmcnt(0)
	v_mul_f64 v[12:13], v[3:4], v[7:8]
	v_mul_f64 v[7:8], v[1:2], v[7:8]
	s_waitcnt vmcnt(0)
	v_fma_f64 v[1:2], v[1:2], v[9:10], -v[12:13]
	v_fma_f64 v[7:8], v[3:4], v[9:10], v[7:8]
	v_add_f64 v[3:4], v[1:2], 0
	v_add_f64 v[1:2], v[7:8], 0
	v_cmpx_ne_u32_e32 7, v0
	s_cbranch_execz .LBB60_58
; %bb.45:
	s_clause 0x3
	buffer_load_dword v12, v11, s[0:3], 0 offen offset:24
	buffer_load_dword v13, v11, s[0:3], 0 offen offset:28
	;; [unrolled: 1-line block ×4, first 2 shown]
	ds_read_b128 v[7:10], v5 offset:16
	s_waitcnt vmcnt(2) lgkmcnt(0)
	v_mul_f64 v[16:17], v[9:10], v[12:13]
	v_mul_f64 v[12:13], v[7:8], v[12:13]
	s_waitcnt vmcnt(0)
	v_fma_f64 v[7:8], v[7:8], v[14:15], -v[16:17]
	v_fma_f64 v[9:10], v[9:10], v[14:15], v[12:13]
	v_add_f64 v[3:4], v[3:4], v[7:8]
	v_add_f64 v[1:2], v[1:2], v[9:10]
	s_and_saveexec_b32 s9, s8
	s_cbranch_execz .LBB60_57
; %bb.46:
	s_clause 0x3
	buffer_load_dword v12, v11, s[0:3], 0 offen offset:40
	buffer_load_dword v13, v11, s[0:3], 0 offen offset:44
	buffer_load_dword v14, v11, s[0:3], 0 offen offset:32
	buffer_load_dword v15, v11, s[0:3], 0 offen offset:36
	ds_read_b128 v[7:10], v5 offset:32
	s_mov_b32 s78, exec_lo
	s_waitcnt vmcnt(2) lgkmcnt(0)
	v_mul_f64 v[16:17], v[9:10], v[12:13]
	v_mul_f64 v[12:13], v[7:8], v[12:13]
	s_waitcnt vmcnt(0)
	v_fma_f64 v[7:8], v[7:8], v[14:15], -v[16:17]
	v_fma_f64 v[9:10], v[9:10], v[14:15], v[12:13]
	v_add_f64 v[3:4], v[3:4], v[7:8]
	v_add_f64 v[1:2], v[1:2], v[9:10]
	v_cmpx_ne_u32_e32 5, v0
	s_cbranch_execz .LBB60_56
; %bb.47:
	s_clause 0x3
	buffer_load_dword v12, v11, s[0:3], 0 offen offset:56
	buffer_load_dword v13, v11, s[0:3], 0 offen offset:60
	;; [unrolled: 1-line block ×4, first 2 shown]
	ds_read_b128 v[7:10], v5 offset:48
	s_waitcnt vmcnt(2) lgkmcnt(0)
	v_mul_f64 v[16:17], v[9:10], v[12:13]
	v_mul_f64 v[12:13], v[7:8], v[12:13]
	s_waitcnt vmcnt(0)
	v_fma_f64 v[7:8], v[7:8], v[14:15], -v[16:17]
	v_fma_f64 v[9:10], v[9:10], v[14:15], v[12:13]
	v_add_f64 v[3:4], v[3:4], v[7:8]
	v_add_f64 v[1:2], v[1:2], v[9:10]
	s_and_saveexec_b32 s8, s5
	s_cbranch_execz .LBB60_55
; %bb.48:
	s_clause 0x3
	buffer_load_dword v12, v11, s[0:3], 0 offen offset:72
	buffer_load_dword v13, v11, s[0:3], 0 offen offset:76
	;; [unrolled: 1-line block ×4, first 2 shown]
	ds_read_b128 v[7:10], v5 offset:64
	s_mov_b32 s79, exec_lo
	s_waitcnt vmcnt(2) lgkmcnt(0)
	v_mul_f64 v[16:17], v[9:10], v[12:13]
	v_mul_f64 v[12:13], v[7:8], v[12:13]
	s_waitcnt vmcnt(0)
	v_fma_f64 v[7:8], v[7:8], v[14:15], -v[16:17]
	v_fma_f64 v[9:10], v[9:10], v[14:15], v[12:13]
	v_add_f64 v[3:4], v[3:4], v[7:8]
	v_add_f64 v[1:2], v[1:2], v[9:10]
	v_cmpx_ne_u32_e32 3, v0
	s_cbranch_execz .LBB60_54
; %bb.49:
	s_clause 0x3
	buffer_load_dword v12, v11, s[0:3], 0 offen offset:88
	buffer_load_dword v13, v11, s[0:3], 0 offen offset:92
	;; [unrolled: 1-line block ×4, first 2 shown]
	ds_read_b128 v[7:10], v5 offset:80
	s_waitcnt vmcnt(2) lgkmcnt(0)
	v_mul_f64 v[16:17], v[9:10], v[12:13]
	v_mul_f64 v[12:13], v[7:8], v[12:13]
	s_waitcnt vmcnt(0)
	v_fma_f64 v[7:8], v[7:8], v[14:15], -v[16:17]
	v_fma_f64 v[9:10], v[9:10], v[14:15], v[12:13]
	v_add_f64 v[3:4], v[3:4], v[7:8]
	v_add_f64 v[1:2], v[1:2], v[9:10]
	s_and_saveexec_b32 s5, vcc_lo
	s_cbranch_execz .LBB60_53
; %bb.50:
	s_clause 0x3
	buffer_load_dword v12, v11, s[0:3], 0 offen offset:104
	buffer_load_dword v13, v11, s[0:3], 0 offen offset:108
	;; [unrolled: 1-line block ×4, first 2 shown]
	ds_read_b128 v[7:10], v5 offset:96
	s_waitcnt vmcnt(2) lgkmcnt(0)
	v_mul_f64 v[16:17], v[9:10], v[12:13]
	v_mul_f64 v[12:13], v[7:8], v[12:13]
	s_waitcnt vmcnt(0)
	v_fma_f64 v[7:8], v[7:8], v[14:15], -v[16:17]
	v_fma_f64 v[9:10], v[9:10], v[14:15], v[12:13]
	v_add_f64 v[3:4], v[3:4], v[7:8]
	v_add_f64 v[1:2], v[1:2], v[9:10]
	s_and_saveexec_b32 s80, s4
	s_cbranch_execz .LBB60_52
; %bb.51:
	s_clause 0x3
	buffer_load_dword v12, v11, s[0:3], 0 offen offset:120
	buffer_load_dword v13, v11, s[0:3], 0 offen offset:124
	;; [unrolled: 1-line block ×4, first 2 shown]
	ds_read_b128 v[7:10], v5 offset:112
	s_waitcnt vmcnt(2) lgkmcnt(0)
	v_mul_f64 v[16:17], v[9:10], v[12:13]
	v_mul_f64 v[11:12], v[7:8], v[12:13]
	s_waitcnt vmcnt(0)
	v_fma_f64 v[7:8], v[7:8], v[14:15], -v[16:17]
	v_fma_f64 v[9:10], v[9:10], v[14:15], v[11:12]
	v_add_f64 v[3:4], v[3:4], v[7:8]
	v_add_f64 v[1:2], v[1:2], v[9:10]
.LBB60_52:
	s_or_b32 exec_lo, exec_lo, s80
.LBB60_53:
	s_or_b32 exec_lo, exec_lo, s5
.LBB60_54:
	s_or_b32 exec_lo, exec_lo, s79
.LBB60_55:
	s_or_b32 exec_lo, exec_lo, s8
.LBB60_56:
	s_or_b32 exec_lo, exec_lo, s78
.LBB60_57:
	s_or_b32 exec_lo, exec_lo, s9
.LBB60_58:
	s_or_b32 exec_lo, exec_lo, s77
	v_mov_b32_e32 v7, 0
	ds_read_b128 v[7:10], v7 offset:128
	s_waitcnt lgkmcnt(0)
	v_mul_f64 v[11:12], v[1:2], v[9:10]
	v_mul_f64 v[9:10], v[3:4], v[9:10]
	v_fma_f64 v[3:4], v[3:4], v[7:8], -v[11:12]
	v_fma_f64 v[1:2], v[1:2], v[7:8], v[9:10]
	buffer_store_dword v4, off, s[0:3], 0 offset:148
	buffer_store_dword v3, off, s[0:3], 0 offset:144
	;; [unrolled: 1-line block ×4, first 2 shown]
.LBB60_59:
	s_or_b32 exec_lo, exec_lo, s76
	v_mov_b32_e32 v4, s59
	s_waitcnt_vscnt null, 0x0
	s_barrier
	buffer_gl0_inv
	s_mov_b32 s4, exec_lo
	s_clause 0x3
	buffer_load_dword v1, v4, s[0:3], 0 offen
	buffer_load_dword v2, v4, s[0:3], 0 offen offset:4
	buffer_load_dword v3, v4, s[0:3], 0 offen offset:8
	;; [unrolled: 1-line block ×3, first 2 shown]
	s_waitcnt vmcnt(0)
	ds_write_b128 v5, v[1:4]
	s_waitcnt lgkmcnt(0)
	s_barrier
	buffer_gl0_inv
	v_cmpx_gt_u32_e32 9, v0
	s_cbranch_execz .LBB60_63
; %bb.60:
	v_mov_b32_e32 v1, 0
	v_mov_b32_e32 v3, 0
	v_add_nc_u32_e32 v7, -1, v0
	v_add_nc_u32_e32 v8, 0x3d0, v247
	v_mov_b32_e32 v2, 0
	v_mov_b32_e32 v4, 0
	v_add_nc_u32_e32 v9, 16, v247
	s_mov_b32 s5, 0
	.p2align	6
.LBB60_61:                              ; =>This Inner Loop Header: Depth=1
	s_clause 0x3
	buffer_load_dword v14, v9, s[0:3], 0 offen offset:8
	buffer_load_dword v15, v9, s[0:3], 0 offen offset:12
	buffer_load_dword v16, v9, s[0:3], 0 offen
	buffer_load_dword v17, v9, s[0:3], 0 offen offset:4
	ds_read_b128 v[10:13], v8
	v_add_nc_u32_e32 v7, 1, v7
	v_add_nc_u32_e32 v8, 16, v8
	;; [unrolled: 1-line block ×3, first 2 shown]
	v_cmp_lt_u32_e32 vcc_lo, 7, v7
	s_or_b32 s5, vcc_lo, s5
	s_waitcnt vmcnt(2) lgkmcnt(0)
	v_mul_f64 v[18:19], v[12:13], v[14:15]
	v_mul_f64 v[14:15], v[10:11], v[14:15]
	s_waitcnt vmcnt(0)
	v_fma_f64 v[10:11], v[10:11], v[16:17], -v[18:19]
	v_fma_f64 v[12:13], v[12:13], v[16:17], v[14:15]
	v_add_f64 v[3:4], v[3:4], v[10:11]
	v_add_f64 v[1:2], v[1:2], v[12:13]
	s_andn2_b32 exec_lo, exec_lo, s5
	s_cbranch_execnz .LBB60_61
; %bb.62:
	s_or_b32 exec_lo, exec_lo, s5
	v_mov_b32_e32 v7, 0
	ds_read_b128 v[7:10], v7 offset:144
	s_waitcnt lgkmcnt(0)
	v_mul_f64 v[11:12], v[1:2], v[9:10]
	v_mul_f64 v[9:10], v[3:4], v[9:10]
	v_fma_f64 v[3:4], v[3:4], v[7:8], -v[11:12]
	v_fma_f64 v[1:2], v[1:2], v[7:8], v[9:10]
	buffer_store_dword v4, off, s[0:3], 0 offset:164
	buffer_store_dword v3, off, s[0:3], 0 offset:160
	;; [unrolled: 1-line block ×4, first 2 shown]
.LBB60_63:
	s_or_b32 exec_lo, exec_lo, s4
	v_mov_b32_e32 v4, s57
	s_waitcnt_vscnt null, 0x0
	s_barrier
	buffer_gl0_inv
	s_mov_b32 s4, exec_lo
	s_clause 0x3
	buffer_load_dword v1, v4, s[0:3], 0 offen
	buffer_load_dword v2, v4, s[0:3], 0 offen offset:4
	buffer_load_dword v3, v4, s[0:3], 0 offen offset:8
	;; [unrolled: 1-line block ×3, first 2 shown]
	s_waitcnt vmcnt(0)
	ds_write_b128 v5, v[1:4]
	s_waitcnt lgkmcnt(0)
	s_barrier
	buffer_gl0_inv
	v_cmpx_gt_u32_e32 10, v0
	s_cbranch_execz .LBB60_67
; %bb.64:
	v_mov_b32_e32 v1, 0
	v_mov_b32_e32 v3, 0
	v_add_nc_u32_e32 v7, -1, v0
	v_add_nc_u32_e32 v8, 0x3d0, v247
	v_mov_b32_e32 v2, 0
	v_mov_b32_e32 v4, 0
	v_add_nc_u32_e32 v9, 16, v247
	s_mov_b32 s5, 0
	.p2align	6
.LBB60_65:                              ; =>This Inner Loop Header: Depth=1
	s_clause 0x3
	buffer_load_dword v14, v9, s[0:3], 0 offen offset:8
	buffer_load_dword v15, v9, s[0:3], 0 offen offset:12
	buffer_load_dword v16, v9, s[0:3], 0 offen
	buffer_load_dword v17, v9, s[0:3], 0 offen offset:4
	ds_read_b128 v[10:13], v8
	v_add_nc_u32_e32 v7, 1, v7
	v_add_nc_u32_e32 v8, 16, v8
	;; [unrolled: 1-line block ×3, first 2 shown]
	v_cmp_lt_u32_e32 vcc_lo, 8, v7
	s_or_b32 s5, vcc_lo, s5
	s_waitcnt vmcnt(2) lgkmcnt(0)
	v_mul_f64 v[18:19], v[12:13], v[14:15]
	v_mul_f64 v[14:15], v[10:11], v[14:15]
	s_waitcnt vmcnt(0)
	v_fma_f64 v[10:11], v[10:11], v[16:17], -v[18:19]
	v_fma_f64 v[12:13], v[12:13], v[16:17], v[14:15]
	v_add_f64 v[3:4], v[3:4], v[10:11]
	v_add_f64 v[1:2], v[1:2], v[12:13]
	s_andn2_b32 exec_lo, exec_lo, s5
	s_cbranch_execnz .LBB60_65
; %bb.66:
	s_or_b32 exec_lo, exec_lo, s5
	v_mov_b32_e32 v7, 0
	ds_read_b128 v[7:10], v7 offset:160
	s_waitcnt lgkmcnt(0)
	v_mul_f64 v[11:12], v[1:2], v[9:10]
	v_mul_f64 v[9:10], v[3:4], v[9:10]
	v_fma_f64 v[3:4], v[3:4], v[7:8], -v[11:12]
	v_fma_f64 v[1:2], v[1:2], v[7:8], v[9:10]
	buffer_store_dword v4, off, s[0:3], 0 offset:180
	buffer_store_dword v3, off, s[0:3], 0 offset:176
	;; [unrolled: 1-line block ×4, first 2 shown]
.LBB60_67:
	s_or_b32 exec_lo, exec_lo, s4
	v_mov_b32_e32 v4, s74
	s_waitcnt_vscnt null, 0x0
	s_barrier
	buffer_gl0_inv
	s_mov_b32 s4, exec_lo
	s_clause 0x3
	buffer_load_dword v1, v4, s[0:3], 0 offen
	buffer_load_dword v2, v4, s[0:3], 0 offen offset:4
	buffer_load_dword v3, v4, s[0:3], 0 offen offset:8
	;; [unrolled: 1-line block ×3, first 2 shown]
	s_waitcnt vmcnt(0)
	ds_write_b128 v5, v[1:4]
	s_waitcnt lgkmcnt(0)
	s_barrier
	buffer_gl0_inv
	v_cmpx_gt_u32_e32 11, v0
	s_cbranch_execz .LBB60_71
; %bb.68:
	v_mov_b32_e32 v1, 0
	v_mov_b32_e32 v3, 0
	v_add_nc_u32_e32 v7, -1, v0
	v_add_nc_u32_e32 v8, 0x3d0, v247
	v_mov_b32_e32 v2, 0
	v_mov_b32_e32 v4, 0
	v_add_nc_u32_e32 v9, 16, v247
	s_mov_b32 s5, 0
	.p2align	6
.LBB60_69:                              ; =>This Inner Loop Header: Depth=1
	s_clause 0x3
	buffer_load_dword v14, v9, s[0:3], 0 offen offset:8
	buffer_load_dword v15, v9, s[0:3], 0 offen offset:12
	buffer_load_dword v16, v9, s[0:3], 0 offen
	buffer_load_dword v17, v9, s[0:3], 0 offen offset:4
	ds_read_b128 v[10:13], v8
	v_add_nc_u32_e32 v7, 1, v7
	v_add_nc_u32_e32 v8, 16, v8
	;; [unrolled: 1-line block ×3, first 2 shown]
	v_cmp_lt_u32_e32 vcc_lo, 9, v7
	s_or_b32 s5, vcc_lo, s5
	s_waitcnt vmcnt(2) lgkmcnt(0)
	v_mul_f64 v[18:19], v[12:13], v[14:15]
	v_mul_f64 v[14:15], v[10:11], v[14:15]
	s_waitcnt vmcnt(0)
	v_fma_f64 v[10:11], v[10:11], v[16:17], -v[18:19]
	v_fma_f64 v[12:13], v[12:13], v[16:17], v[14:15]
	v_add_f64 v[3:4], v[3:4], v[10:11]
	v_add_f64 v[1:2], v[1:2], v[12:13]
	s_andn2_b32 exec_lo, exec_lo, s5
	s_cbranch_execnz .LBB60_69
; %bb.70:
	s_or_b32 exec_lo, exec_lo, s5
	v_mov_b32_e32 v7, 0
	ds_read_b128 v[7:10], v7 offset:176
	s_waitcnt lgkmcnt(0)
	v_mul_f64 v[11:12], v[1:2], v[9:10]
	v_mul_f64 v[9:10], v[3:4], v[9:10]
	v_fma_f64 v[3:4], v[3:4], v[7:8], -v[11:12]
	v_fma_f64 v[1:2], v[1:2], v[7:8], v[9:10]
	buffer_store_dword v4, off, s[0:3], 0 offset:196
	buffer_store_dword v3, off, s[0:3], 0 offset:192
	;; [unrolled: 1-line block ×4, first 2 shown]
.LBB60_71:
	s_or_b32 exec_lo, exec_lo, s4
	v_mov_b32_e32 v4, s70
	s_waitcnt_vscnt null, 0x0
	s_barrier
	buffer_gl0_inv
	s_mov_b32 s4, exec_lo
	s_clause 0x3
	buffer_load_dword v1, v4, s[0:3], 0 offen
	buffer_load_dword v2, v4, s[0:3], 0 offen offset:4
	buffer_load_dword v3, v4, s[0:3], 0 offen offset:8
	;; [unrolled: 1-line block ×3, first 2 shown]
	s_waitcnt vmcnt(0)
	ds_write_b128 v5, v[1:4]
	s_waitcnt lgkmcnt(0)
	s_barrier
	buffer_gl0_inv
	v_cmpx_gt_u32_e32 12, v0
	s_cbranch_execz .LBB60_75
; %bb.72:
	v_mov_b32_e32 v1, 0
	v_mov_b32_e32 v3, 0
	v_add_nc_u32_e32 v7, -1, v0
	v_add_nc_u32_e32 v8, 0x3d0, v247
	v_mov_b32_e32 v2, 0
	v_mov_b32_e32 v4, 0
	v_add_nc_u32_e32 v9, 16, v247
	s_mov_b32 s5, 0
	.p2align	6
.LBB60_73:                              ; =>This Inner Loop Header: Depth=1
	s_clause 0x3
	buffer_load_dword v14, v9, s[0:3], 0 offen offset:8
	buffer_load_dword v15, v9, s[0:3], 0 offen offset:12
	buffer_load_dword v16, v9, s[0:3], 0 offen
	buffer_load_dword v17, v9, s[0:3], 0 offen offset:4
	ds_read_b128 v[10:13], v8
	v_add_nc_u32_e32 v7, 1, v7
	v_add_nc_u32_e32 v8, 16, v8
	;; [unrolled: 1-line block ×3, first 2 shown]
	v_cmp_lt_u32_e32 vcc_lo, 10, v7
	s_or_b32 s5, vcc_lo, s5
	s_waitcnt vmcnt(2) lgkmcnt(0)
	v_mul_f64 v[18:19], v[12:13], v[14:15]
	v_mul_f64 v[14:15], v[10:11], v[14:15]
	s_waitcnt vmcnt(0)
	v_fma_f64 v[10:11], v[10:11], v[16:17], -v[18:19]
	v_fma_f64 v[12:13], v[12:13], v[16:17], v[14:15]
	v_add_f64 v[3:4], v[3:4], v[10:11]
	v_add_f64 v[1:2], v[1:2], v[12:13]
	s_andn2_b32 exec_lo, exec_lo, s5
	s_cbranch_execnz .LBB60_73
; %bb.74:
	s_or_b32 exec_lo, exec_lo, s5
	v_mov_b32_e32 v7, 0
	ds_read_b128 v[7:10], v7 offset:192
	s_waitcnt lgkmcnt(0)
	v_mul_f64 v[11:12], v[1:2], v[9:10]
	v_mul_f64 v[9:10], v[3:4], v[9:10]
	v_fma_f64 v[3:4], v[3:4], v[7:8], -v[11:12]
	v_fma_f64 v[1:2], v[1:2], v[7:8], v[9:10]
	buffer_store_dword v4, off, s[0:3], 0 offset:212
	buffer_store_dword v3, off, s[0:3], 0 offset:208
	;; [unrolled: 1-line block ×4, first 2 shown]
.LBB60_75:
	s_or_b32 exec_lo, exec_lo, s4
	v_mov_b32_e32 v4, s68
	s_waitcnt_vscnt null, 0x0
	s_barrier
	buffer_gl0_inv
	s_mov_b32 s4, exec_lo
	s_clause 0x3
	buffer_load_dword v1, v4, s[0:3], 0 offen
	buffer_load_dword v2, v4, s[0:3], 0 offen offset:4
	buffer_load_dword v3, v4, s[0:3], 0 offen offset:8
	;; [unrolled: 1-line block ×3, first 2 shown]
	s_waitcnt vmcnt(0)
	ds_write_b128 v5, v[1:4]
	s_waitcnt lgkmcnt(0)
	s_barrier
	buffer_gl0_inv
	v_cmpx_gt_u32_e32 13, v0
	s_cbranch_execz .LBB60_79
; %bb.76:
	v_mov_b32_e32 v1, 0
	v_mov_b32_e32 v3, 0
	v_add_nc_u32_e32 v7, -1, v0
	v_add_nc_u32_e32 v8, 0x3d0, v247
	v_mov_b32_e32 v2, 0
	v_mov_b32_e32 v4, 0
	v_add_nc_u32_e32 v9, 16, v247
	s_mov_b32 s5, 0
	.p2align	6
.LBB60_77:                              ; =>This Inner Loop Header: Depth=1
	s_clause 0x3
	buffer_load_dword v14, v9, s[0:3], 0 offen offset:8
	buffer_load_dword v15, v9, s[0:3], 0 offen offset:12
	buffer_load_dword v16, v9, s[0:3], 0 offen
	buffer_load_dword v17, v9, s[0:3], 0 offen offset:4
	ds_read_b128 v[10:13], v8
	v_add_nc_u32_e32 v7, 1, v7
	v_add_nc_u32_e32 v8, 16, v8
	;; [unrolled: 1-line block ×3, first 2 shown]
	v_cmp_lt_u32_e32 vcc_lo, 11, v7
	s_or_b32 s5, vcc_lo, s5
	s_waitcnt vmcnt(2) lgkmcnt(0)
	v_mul_f64 v[18:19], v[12:13], v[14:15]
	v_mul_f64 v[14:15], v[10:11], v[14:15]
	s_waitcnt vmcnt(0)
	v_fma_f64 v[10:11], v[10:11], v[16:17], -v[18:19]
	v_fma_f64 v[12:13], v[12:13], v[16:17], v[14:15]
	v_add_f64 v[3:4], v[3:4], v[10:11]
	v_add_f64 v[1:2], v[1:2], v[12:13]
	s_andn2_b32 exec_lo, exec_lo, s5
	s_cbranch_execnz .LBB60_77
; %bb.78:
	s_or_b32 exec_lo, exec_lo, s5
	v_mov_b32_e32 v7, 0
	ds_read_b128 v[7:10], v7 offset:208
	s_waitcnt lgkmcnt(0)
	v_mul_f64 v[11:12], v[1:2], v[9:10]
	v_mul_f64 v[9:10], v[3:4], v[9:10]
	v_fma_f64 v[3:4], v[3:4], v[7:8], -v[11:12]
	v_fma_f64 v[1:2], v[1:2], v[7:8], v[9:10]
	buffer_store_dword v4, off, s[0:3], 0 offset:228
	buffer_store_dword v3, off, s[0:3], 0 offset:224
	;; [unrolled: 1-line block ×4, first 2 shown]
.LBB60_79:
	s_or_b32 exec_lo, exec_lo, s4
	v_mov_b32_e32 v4, s66
	s_waitcnt_vscnt null, 0x0
	s_barrier
	buffer_gl0_inv
	s_mov_b32 s4, exec_lo
	s_clause 0x3
	buffer_load_dword v1, v4, s[0:3], 0 offen
	buffer_load_dword v2, v4, s[0:3], 0 offen offset:4
	buffer_load_dword v3, v4, s[0:3], 0 offen offset:8
	;; [unrolled: 1-line block ×3, first 2 shown]
	s_waitcnt vmcnt(0)
	ds_write_b128 v5, v[1:4]
	s_waitcnt lgkmcnt(0)
	s_barrier
	buffer_gl0_inv
	v_cmpx_gt_u32_e32 14, v0
	s_cbranch_execz .LBB60_83
; %bb.80:
	v_mov_b32_e32 v1, 0
	v_mov_b32_e32 v3, 0
	v_add_nc_u32_e32 v7, -1, v0
	v_add_nc_u32_e32 v8, 0x3d0, v247
	v_mov_b32_e32 v2, 0
	v_mov_b32_e32 v4, 0
	v_add_nc_u32_e32 v9, 16, v247
	s_mov_b32 s5, 0
	.p2align	6
.LBB60_81:                              ; =>This Inner Loop Header: Depth=1
	s_clause 0x3
	buffer_load_dword v14, v9, s[0:3], 0 offen offset:8
	buffer_load_dword v15, v9, s[0:3], 0 offen offset:12
	buffer_load_dword v16, v9, s[0:3], 0 offen
	buffer_load_dword v17, v9, s[0:3], 0 offen offset:4
	ds_read_b128 v[10:13], v8
	v_add_nc_u32_e32 v7, 1, v7
	v_add_nc_u32_e32 v8, 16, v8
	;; [unrolled: 1-line block ×3, first 2 shown]
	v_cmp_lt_u32_e32 vcc_lo, 12, v7
	s_or_b32 s5, vcc_lo, s5
	s_waitcnt vmcnt(2) lgkmcnt(0)
	v_mul_f64 v[18:19], v[12:13], v[14:15]
	v_mul_f64 v[14:15], v[10:11], v[14:15]
	s_waitcnt vmcnt(0)
	v_fma_f64 v[10:11], v[10:11], v[16:17], -v[18:19]
	v_fma_f64 v[12:13], v[12:13], v[16:17], v[14:15]
	v_add_f64 v[3:4], v[3:4], v[10:11]
	v_add_f64 v[1:2], v[1:2], v[12:13]
	s_andn2_b32 exec_lo, exec_lo, s5
	s_cbranch_execnz .LBB60_81
; %bb.82:
	s_or_b32 exec_lo, exec_lo, s5
	v_mov_b32_e32 v7, 0
	ds_read_b128 v[7:10], v7 offset:224
	s_waitcnt lgkmcnt(0)
	v_mul_f64 v[11:12], v[1:2], v[9:10]
	v_mul_f64 v[9:10], v[3:4], v[9:10]
	v_fma_f64 v[3:4], v[3:4], v[7:8], -v[11:12]
	v_fma_f64 v[1:2], v[1:2], v[7:8], v[9:10]
	buffer_store_dword v4, off, s[0:3], 0 offset:244
	buffer_store_dword v3, off, s[0:3], 0 offset:240
	;; [unrolled: 1-line block ×4, first 2 shown]
.LBB60_83:
	s_or_b32 exec_lo, exec_lo, s4
	v_mov_b32_e32 v4, s64
	s_waitcnt_vscnt null, 0x0
	s_barrier
	buffer_gl0_inv
	s_mov_b32 s4, exec_lo
	s_clause 0x3
	buffer_load_dword v1, v4, s[0:3], 0 offen
	buffer_load_dword v2, v4, s[0:3], 0 offen offset:4
	buffer_load_dword v3, v4, s[0:3], 0 offen offset:8
	;; [unrolled: 1-line block ×3, first 2 shown]
	s_waitcnt vmcnt(0)
	ds_write_b128 v5, v[1:4]
	s_waitcnt lgkmcnt(0)
	s_barrier
	buffer_gl0_inv
	v_cmpx_gt_u32_e32 15, v0
	s_cbranch_execz .LBB60_87
; %bb.84:
	v_mov_b32_e32 v1, 0
	v_mov_b32_e32 v3, 0
	v_add_nc_u32_e32 v7, -1, v0
	v_add_nc_u32_e32 v8, 0x3d0, v247
	v_mov_b32_e32 v2, 0
	v_mov_b32_e32 v4, 0
	v_add_nc_u32_e32 v9, 16, v247
	s_mov_b32 s5, 0
	.p2align	6
.LBB60_85:                              ; =>This Inner Loop Header: Depth=1
	s_clause 0x3
	buffer_load_dword v14, v9, s[0:3], 0 offen offset:8
	buffer_load_dword v15, v9, s[0:3], 0 offen offset:12
	buffer_load_dword v16, v9, s[0:3], 0 offen
	buffer_load_dword v17, v9, s[0:3], 0 offen offset:4
	ds_read_b128 v[10:13], v8
	v_add_nc_u32_e32 v7, 1, v7
	v_add_nc_u32_e32 v8, 16, v8
	;; [unrolled: 1-line block ×3, first 2 shown]
	v_cmp_lt_u32_e32 vcc_lo, 13, v7
	s_or_b32 s5, vcc_lo, s5
	s_waitcnt vmcnt(2) lgkmcnt(0)
	v_mul_f64 v[18:19], v[12:13], v[14:15]
	v_mul_f64 v[14:15], v[10:11], v[14:15]
	s_waitcnt vmcnt(0)
	v_fma_f64 v[10:11], v[10:11], v[16:17], -v[18:19]
	v_fma_f64 v[12:13], v[12:13], v[16:17], v[14:15]
	v_add_f64 v[3:4], v[3:4], v[10:11]
	v_add_f64 v[1:2], v[1:2], v[12:13]
	s_andn2_b32 exec_lo, exec_lo, s5
	s_cbranch_execnz .LBB60_85
; %bb.86:
	s_or_b32 exec_lo, exec_lo, s5
	v_mov_b32_e32 v7, 0
	ds_read_b128 v[7:10], v7 offset:240
	s_waitcnt lgkmcnt(0)
	v_mul_f64 v[11:12], v[1:2], v[9:10]
	v_mul_f64 v[9:10], v[3:4], v[9:10]
	v_fma_f64 v[3:4], v[3:4], v[7:8], -v[11:12]
	v_fma_f64 v[1:2], v[1:2], v[7:8], v[9:10]
	buffer_store_dword v4, off, s[0:3], 0 offset:260
	buffer_store_dword v3, off, s[0:3], 0 offset:256
	;; [unrolled: 1-line block ×4, first 2 shown]
.LBB60_87:
	s_or_b32 exec_lo, exec_lo, s4
	v_mov_b32_e32 v4, s62
	s_waitcnt_vscnt null, 0x0
	s_barrier
	buffer_gl0_inv
	s_mov_b32 s4, exec_lo
	s_clause 0x3
	buffer_load_dword v1, v4, s[0:3], 0 offen
	buffer_load_dword v2, v4, s[0:3], 0 offen offset:4
	buffer_load_dword v3, v4, s[0:3], 0 offen offset:8
	;; [unrolled: 1-line block ×3, first 2 shown]
	s_waitcnt vmcnt(0)
	ds_write_b128 v5, v[1:4]
	s_waitcnt lgkmcnt(0)
	s_barrier
	buffer_gl0_inv
	v_cmpx_gt_u32_e32 16, v0
	s_cbranch_execz .LBB60_91
; %bb.88:
	v_mov_b32_e32 v1, 0
	v_mov_b32_e32 v3, 0
	v_add_nc_u32_e32 v7, -1, v0
	v_add_nc_u32_e32 v8, 0x3d0, v247
	v_mov_b32_e32 v2, 0
	v_mov_b32_e32 v4, 0
	v_add_nc_u32_e32 v9, 16, v247
	s_mov_b32 s5, 0
	.p2align	6
.LBB60_89:                              ; =>This Inner Loop Header: Depth=1
	s_clause 0x3
	buffer_load_dword v14, v9, s[0:3], 0 offen offset:8
	buffer_load_dword v15, v9, s[0:3], 0 offen offset:12
	buffer_load_dword v16, v9, s[0:3], 0 offen
	buffer_load_dword v17, v9, s[0:3], 0 offen offset:4
	ds_read_b128 v[10:13], v8
	v_add_nc_u32_e32 v7, 1, v7
	v_add_nc_u32_e32 v8, 16, v8
	;; [unrolled: 1-line block ×3, first 2 shown]
	v_cmp_lt_u32_e32 vcc_lo, 14, v7
	s_or_b32 s5, vcc_lo, s5
	s_waitcnt vmcnt(2) lgkmcnt(0)
	v_mul_f64 v[18:19], v[12:13], v[14:15]
	v_mul_f64 v[14:15], v[10:11], v[14:15]
	s_waitcnt vmcnt(0)
	v_fma_f64 v[10:11], v[10:11], v[16:17], -v[18:19]
	v_fma_f64 v[12:13], v[12:13], v[16:17], v[14:15]
	v_add_f64 v[3:4], v[3:4], v[10:11]
	v_add_f64 v[1:2], v[1:2], v[12:13]
	s_andn2_b32 exec_lo, exec_lo, s5
	s_cbranch_execnz .LBB60_89
; %bb.90:
	s_or_b32 exec_lo, exec_lo, s5
	v_mov_b32_e32 v7, 0
	ds_read_b128 v[7:10], v7 offset:256
	s_waitcnt lgkmcnt(0)
	v_mul_f64 v[11:12], v[1:2], v[9:10]
	v_mul_f64 v[9:10], v[3:4], v[9:10]
	v_fma_f64 v[3:4], v[3:4], v[7:8], -v[11:12]
	v_fma_f64 v[1:2], v[1:2], v[7:8], v[9:10]
	buffer_store_dword v4, off, s[0:3], 0 offset:276
	buffer_store_dword v3, off, s[0:3], 0 offset:272
	;; [unrolled: 1-line block ×4, first 2 shown]
.LBB60_91:
	s_or_b32 exec_lo, exec_lo, s4
	v_mov_b32_e32 v4, s60
	s_waitcnt_vscnt null, 0x0
	s_barrier
	buffer_gl0_inv
	s_mov_b32 s4, exec_lo
	s_clause 0x3
	buffer_load_dword v1, v4, s[0:3], 0 offen
	buffer_load_dword v2, v4, s[0:3], 0 offen offset:4
	buffer_load_dword v3, v4, s[0:3], 0 offen offset:8
	;; [unrolled: 1-line block ×3, first 2 shown]
	s_waitcnt vmcnt(0)
	ds_write_b128 v5, v[1:4]
	s_waitcnt lgkmcnt(0)
	s_barrier
	buffer_gl0_inv
	v_cmpx_gt_u32_e32 17, v0
	s_cbranch_execz .LBB60_95
; %bb.92:
	v_mov_b32_e32 v1, 0
	v_mov_b32_e32 v3, 0
	v_add_nc_u32_e32 v7, -1, v0
	v_add_nc_u32_e32 v8, 0x3d0, v247
	v_mov_b32_e32 v2, 0
	v_mov_b32_e32 v4, 0
	v_add_nc_u32_e32 v9, 16, v247
	s_mov_b32 s5, 0
	.p2align	6
.LBB60_93:                              ; =>This Inner Loop Header: Depth=1
	s_clause 0x3
	buffer_load_dword v14, v9, s[0:3], 0 offen offset:8
	buffer_load_dword v15, v9, s[0:3], 0 offen offset:12
	buffer_load_dword v16, v9, s[0:3], 0 offen
	buffer_load_dword v17, v9, s[0:3], 0 offen offset:4
	ds_read_b128 v[10:13], v8
	v_add_nc_u32_e32 v7, 1, v7
	v_add_nc_u32_e32 v8, 16, v8
	;; [unrolled: 1-line block ×3, first 2 shown]
	v_cmp_lt_u32_e32 vcc_lo, 15, v7
	s_or_b32 s5, vcc_lo, s5
	s_waitcnt vmcnt(2) lgkmcnt(0)
	v_mul_f64 v[18:19], v[12:13], v[14:15]
	v_mul_f64 v[14:15], v[10:11], v[14:15]
	s_waitcnt vmcnt(0)
	v_fma_f64 v[10:11], v[10:11], v[16:17], -v[18:19]
	v_fma_f64 v[12:13], v[12:13], v[16:17], v[14:15]
	v_add_f64 v[3:4], v[3:4], v[10:11]
	v_add_f64 v[1:2], v[1:2], v[12:13]
	s_andn2_b32 exec_lo, exec_lo, s5
	s_cbranch_execnz .LBB60_93
; %bb.94:
	s_or_b32 exec_lo, exec_lo, s5
	v_mov_b32_e32 v7, 0
	ds_read_b128 v[7:10], v7 offset:272
	s_waitcnt lgkmcnt(0)
	v_mul_f64 v[11:12], v[1:2], v[9:10]
	v_mul_f64 v[9:10], v[3:4], v[9:10]
	v_fma_f64 v[3:4], v[3:4], v[7:8], -v[11:12]
	v_fma_f64 v[1:2], v[1:2], v[7:8], v[9:10]
	buffer_store_dword v4, off, s[0:3], 0 offset:292
	buffer_store_dword v3, off, s[0:3], 0 offset:288
	;; [unrolled: 1-line block ×4, first 2 shown]
.LBB60_95:
	s_or_b32 exec_lo, exec_lo, s4
	v_mov_b32_e32 v4, s58
	s_waitcnt_vscnt null, 0x0
	s_barrier
	buffer_gl0_inv
	s_mov_b32 s4, exec_lo
	s_clause 0x3
	buffer_load_dword v1, v4, s[0:3], 0 offen
	buffer_load_dword v2, v4, s[0:3], 0 offen offset:4
	buffer_load_dword v3, v4, s[0:3], 0 offen offset:8
	;; [unrolled: 1-line block ×3, first 2 shown]
	s_waitcnt vmcnt(0)
	ds_write_b128 v5, v[1:4]
	s_waitcnt lgkmcnt(0)
	s_barrier
	buffer_gl0_inv
	v_cmpx_gt_u32_e32 18, v0
	s_cbranch_execz .LBB60_99
; %bb.96:
	v_mov_b32_e32 v1, 0
	v_mov_b32_e32 v3, 0
	v_add_nc_u32_e32 v7, -1, v0
	v_add_nc_u32_e32 v8, 0x3d0, v247
	v_mov_b32_e32 v2, 0
	v_mov_b32_e32 v4, 0
	v_add_nc_u32_e32 v9, 16, v247
	s_mov_b32 s5, 0
	.p2align	6
.LBB60_97:                              ; =>This Inner Loop Header: Depth=1
	s_clause 0x3
	buffer_load_dword v14, v9, s[0:3], 0 offen offset:8
	buffer_load_dword v15, v9, s[0:3], 0 offen offset:12
	buffer_load_dword v16, v9, s[0:3], 0 offen
	buffer_load_dword v17, v9, s[0:3], 0 offen offset:4
	ds_read_b128 v[10:13], v8
	v_add_nc_u32_e32 v7, 1, v7
	v_add_nc_u32_e32 v8, 16, v8
	;; [unrolled: 1-line block ×3, first 2 shown]
	v_cmp_lt_u32_e32 vcc_lo, 16, v7
	s_or_b32 s5, vcc_lo, s5
	s_waitcnt vmcnt(2) lgkmcnt(0)
	v_mul_f64 v[18:19], v[12:13], v[14:15]
	v_mul_f64 v[14:15], v[10:11], v[14:15]
	s_waitcnt vmcnt(0)
	v_fma_f64 v[10:11], v[10:11], v[16:17], -v[18:19]
	v_fma_f64 v[12:13], v[12:13], v[16:17], v[14:15]
	v_add_f64 v[3:4], v[3:4], v[10:11]
	v_add_f64 v[1:2], v[1:2], v[12:13]
	s_andn2_b32 exec_lo, exec_lo, s5
	s_cbranch_execnz .LBB60_97
; %bb.98:
	s_or_b32 exec_lo, exec_lo, s5
	v_mov_b32_e32 v7, 0
	ds_read_b128 v[7:10], v7 offset:288
	s_waitcnt lgkmcnt(0)
	v_mul_f64 v[11:12], v[1:2], v[9:10]
	v_mul_f64 v[9:10], v[3:4], v[9:10]
	v_fma_f64 v[3:4], v[3:4], v[7:8], -v[11:12]
	v_fma_f64 v[1:2], v[1:2], v[7:8], v[9:10]
	buffer_store_dword v4, off, s[0:3], 0 offset:308
	buffer_store_dword v3, off, s[0:3], 0 offset:304
	;; [unrolled: 1-line block ×4, first 2 shown]
.LBB60_99:
	s_or_b32 exec_lo, exec_lo, s4
	v_mov_b32_e32 v4, s56
	s_waitcnt_vscnt null, 0x0
	s_barrier
	buffer_gl0_inv
	s_mov_b32 s4, exec_lo
	s_clause 0x3
	buffer_load_dword v1, v4, s[0:3], 0 offen
	buffer_load_dword v2, v4, s[0:3], 0 offen offset:4
	buffer_load_dword v3, v4, s[0:3], 0 offen offset:8
	;; [unrolled: 1-line block ×3, first 2 shown]
	s_waitcnt vmcnt(0)
	ds_write_b128 v5, v[1:4]
	s_waitcnt lgkmcnt(0)
	s_barrier
	buffer_gl0_inv
	v_cmpx_gt_u32_e32 19, v0
	s_cbranch_execz .LBB60_103
; %bb.100:
	v_mov_b32_e32 v1, 0
	v_mov_b32_e32 v3, 0
	v_add_nc_u32_e32 v7, -1, v0
	v_add_nc_u32_e32 v8, 0x3d0, v247
	v_mov_b32_e32 v2, 0
	v_mov_b32_e32 v4, 0
	v_add_nc_u32_e32 v9, 16, v247
	s_mov_b32 s5, 0
	.p2align	6
.LBB60_101:                             ; =>This Inner Loop Header: Depth=1
	s_clause 0x3
	buffer_load_dword v14, v9, s[0:3], 0 offen offset:8
	buffer_load_dword v15, v9, s[0:3], 0 offen offset:12
	buffer_load_dword v16, v9, s[0:3], 0 offen
	buffer_load_dword v17, v9, s[0:3], 0 offen offset:4
	ds_read_b128 v[10:13], v8
	v_add_nc_u32_e32 v7, 1, v7
	v_add_nc_u32_e32 v8, 16, v8
	;; [unrolled: 1-line block ×3, first 2 shown]
	v_cmp_lt_u32_e32 vcc_lo, 17, v7
	s_or_b32 s5, vcc_lo, s5
	s_waitcnt vmcnt(2) lgkmcnt(0)
	v_mul_f64 v[18:19], v[12:13], v[14:15]
	v_mul_f64 v[14:15], v[10:11], v[14:15]
	s_waitcnt vmcnt(0)
	v_fma_f64 v[10:11], v[10:11], v[16:17], -v[18:19]
	v_fma_f64 v[12:13], v[12:13], v[16:17], v[14:15]
	v_add_f64 v[3:4], v[3:4], v[10:11]
	v_add_f64 v[1:2], v[1:2], v[12:13]
	s_andn2_b32 exec_lo, exec_lo, s5
	s_cbranch_execnz .LBB60_101
; %bb.102:
	s_or_b32 exec_lo, exec_lo, s5
	v_mov_b32_e32 v7, 0
	ds_read_b128 v[7:10], v7 offset:304
	s_waitcnt lgkmcnt(0)
	v_mul_f64 v[11:12], v[1:2], v[9:10]
	v_mul_f64 v[9:10], v[3:4], v[9:10]
	v_fma_f64 v[3:4], v[3:4], v[7:8], -v[11:12]
	v_fma_f64 v[1:2], v[1:2], v[7:8], v[9:10]
	buffer_store_dword v4, off, s[0:3], 0 offset:324
	buffer_store_dword v3, off, s[0:3], 0 offset:320
	;; [unrolled: 1-line block ×4, first 2 shown]
.LBB60_103:
	s_or_b32 exec_lo, exec_lo, s4
	v_mov_b32_e32 v4, s55
	s_waitcnt_vscnt null, 0x0
	s_barrier
	buffer_gl0_inv
	s_mov_b32 s4, exec_lo
	s_clause 0x3
	buffer_load_dword v1, v4, s[0:3], 0 offen
	buffer_load_dword v2, v4, s[0:3], 0 offen offset:4
	buffer_load_dword v3, v4, s[0:3], 0 offen offset:8
	buffer_load_dword v4, v4, s[0:3], 0 offen offset:12
	s_waitcnt vmcnt(0)
	ds_write_b128 v5, v[1:4]
	s_waitcnt lgkmcnt(0)
	s_barrier
	buffer_gl0_inv
	v_cmpx_gt_u32_e32 20, v0
	s_cbranch_execz .LBB60_107
; %bb.104:
	v_mov_b32_e32 v1, 0
	v_mov_b32_e32 v3, 0
	v_add_nc_u32_e32 v7, -1, v0
	v_add_nc_u32_e32 v8, 0x3d0, v247
	v_mov_b32_e32 v2, 0
	v_mov_b32_e32 v4, 0
	v_add_nc_u32_e32 v9, 16, v247
	s_mov_b32 s5, 0
	.p2align	6
.LBB60_105:                             ; =>This Inner Loop Header: Depth=1
	s_clause 0x3
	buffer_load_dword v14, v9, s[0:3], 0 offen offset:8
	buffer_load_dword v15, v9, s[0:3], 0 offen offset:12
	buffer_load_dword v16, v9, s[0:3], 0 offen
	buffer_load_dword v17, v9, s[0:3], 0 offen offset:4
	ds_read_b128 v[10:13], v8
	v_add_nc_u32_e32 v7, 1, v7
	v_add_nc_u32_e32 v8, 16, v8
	;; [unrolled: 1-line block ×3, first 2 shown]
	v_cmp_lt_u32_e32 vcc_lo, 18, v7
	s_or_b32 s5, vcc_lo, s5
	s_waitcnt vmcnt(2) lgkmcnt(0)
	v_mul_f64 v[18:19], v[12:13], v[14:15]
	v_mul_f64 v[14:15], v[10:11], v[14:15]
	s_waitcnt vmcnt(0)
	v_fma_f64 v[10:11], v[10:11], v[16:17], -v[18:19]
	v_fma_f64 v[12:13], v[12:13], v[16:17], v[14:15]
	v_add_f64 v[3:4], v[3:4], v[10:11]
	v_add_f64 v[1:2], v[1:2], v[12:13]
	s_andn2_b32 exec_lo, exec_lo, s5
	s_cbranch_execnz .LBB60_105
; %bb.106:
	s_or_b32 exec_lo, exec_lo, s5
	v_mov_b32_e32 v7, 0
	ds_read_b128 v[7:10], v7 offset:320
	s_waitcnt lgkmcnt(0)
	v_mul_f64 v[11:12], v[1:2], v[9:10]
	v_mul_f64 v[9:10], v[3:4], v[9:10]
	v_fma_f64 v[3:4], v[3:4], v[7:8], -v[11:12]
	v_fma_f64 v[1:2], v[1:2], v[7:8], v[9:10]
	buffer_store_dword v4, off, s[0:3], 0 offset:340
	buffer_store_dword v3, off, s[0:3], 0 offset:336
	;; [unrolled: 1-line block ×4, first 2 shown]
.LBB60_107:
	s_or_b32 exec_lo, exec_lo, s4
	v_mov_b32_e32 v4, s54
	s_waitcnt_vscnt null, 0x0
	s_barrier
	buffer_gl0_inv
	s_mov_b32 s4, exec_lo
	s_clause 0x3
	buffer_load_dword v1, v4, s[0:3], 0 offen
	buffer_load_dword v2, v4, s[0:3], 0 offen offset:4
	buffer_load_dword v3, v4, s[0:3], 0 offen offset:8
	;; [unrolled: 1-line block ×3, first 2 shown]
	s_waitcnt vmcnt(0)
	ds_write_b128 v5, v[1:4]
	s_waitcnt lgkmcnt(0)
	s_barrier
	buffer_gl0_inv
	v_cmpx_gt_u32_e32 21, v0
	s_cbranch_execz .LBB60_111
; %bb.108:
	v_mov_b32_e32 v1, 0
	v_mov_b32_e32 v3, 0
	v_add_nc_u32_e32 v7, -1, v0
	v_add_nc_u32_e32 v8, 0x3d0, v247
	v_mov_b32_e32 v2, 0
	v_mov_b32_e32 v4, 0
	v_add_nc_u32_e32 v9, 16, v247
	s_mov_b32 s5, 0
	.p2align	6
.LBB60_109:                             ; =>This Inner Loop Header: Depth=1
	s_clause 0x3
	buffer_load_dword v14, v9, s[0:3], 0 offen offset:8
	buffer_load_dword v15, v9, s[0:3], 0 offen offset:12
	buffer_load_dword v16, v9, s[0:3], 0 offen
	buffer_load_dword v17, v9, s[0:3], 0 offen offset:4
	ds_read_b128 v[10:13], v8
	v_add_nc_u32_e32 v7, 1, v7
	v_add_nc_u32_e32 v8, 16, v8
	;; [unrolled: 1-line block ×3, first 2 shown]
	v_cmp_lt_u32_e32 vcc_lo, 19, v7
	s_or_b32 s5, vcc_lo, s5
	s_waitcnt vmcnt(2) lgkmcnt(0)
	v_mul_f64 v[18:19], v[12:13], v[14:15]
	v_mul_f64 v[14:15], v[10:11], v[14:15]
	s_waitcnt vmcnt(0)
	v_fma_f64 v[10:11], v[10:11], v[16:17], -v[18:19]
	v_fma_f64 v[12:13], v[12:13], v[16:17], v[14:15]
	v_add_f64 v[3:4], v[3:4], v[10:11]
	v_add_f64 v[1:2], v[1:2], v[12:13]
	s_andn2_b32 exec_lo, exec_lo, s5
	s_cbranch_execnz .LBB60_109
; %bb.110:
	s_or_b32 exec_lo, exec_lo, s5
	v_mov_b32_e32 v7, 0
	ds_read_b128 v[7:10], v7 offset:336
	s_waitcnt lgkmcnt(0)
	v_mul_f64 v[11:12], v[1:2], v[9:10]
	v_mul_f64 v[9:10], v[3:4], v[9:10]
	v_fma_f64 v[3:4], v[3:4], v[7:8], -v[11:12]
	v_fma_f64 v[1:2], v[1:2], v[7:8], v[9:10]
	buffer_store_dword v4, off, s[0:3], 0 offset:356
	buffer_store_dword v3, off, s[0:3], 0 offset:352
	;; [unrolled: 1-line block ×4, first 2 shown]
.LBB60_111:
	s_or_b32 exec_lo, exec_lo, s4
	v_mov_b32_e32 v4, s53
	s_waitcnt_vscnt null, 0x0
	s_barrier
	buffer_gl0_inv
	s_mov_b32 s4, exec_lo
	s_clause 0x3
	buffer_load_dword v1, v4, s[0:3], 0 offen
	buffer_load_dword v2, v4, s[0:3], 0 offen offset:4
	buffer_load_dword v3, v4, s[0:3], 0 offen offset:8
	;; [unrolled: 1-line block ×3, first 2 shown]
	s_waitcnt vmcnt(0)
	ds_write_b128 v5, v[1:4]
	s_waitcnt lgkmcnt(0)
	s_barrier
	buffer_gl0_inv
	v_cmpx_gt_u32_e32 22, v0
	s_cbranch_execz .LBB60_115
; %bb.112:
	v_mov_b32_e32 v1, 0
	v_mov_b32_e32 v3, 0
	v_add_nc_u32_e32 v7, -1, v0
	v_add_nc_u32_e32 v8, 0x3d0, v247
	v_mov_b32_e32 v2, 0
	v_mov_b32_e32 v4, 0
	v_add_nc_u32_e32 v9, 16, v247
	s_mov_b32 s5, 0
	.p2align	6
.LBB60_113:                             ; =>This Inner Loop Header: Depth=1
	s_clause 0x3
	buffer_load_dword v14, v9, s[0:3], 0 offen offset:8
	buffer_load_dword v15, v9, s[0:3], 0 offen offset:12
	buffer_load_dword v16, v9, s[0:3], 0 offen
	buffer_load_dword v17, v9, s[0:3], 0 offen offset:4
	ds_read_b128 v[10:13], v8
	v_add_nc_u32_e32 v7, 1, v7
	v_add_nc_u32_e32 v8, 16, v8
	;; [unrolled: 1-line block ×3, first 2 shown]
	v_cmp_lt_u32_e32 vcc_lo, 20, v7
	s_or_b32 s5, vcc_lo, s5
	s_waitcnt vmcnt(2) lgkmcnt(0)
	v_mul_f64 v[18:19], v[12:13], v[14:15]
	v_mul_f64 v[14:15], v[10:11], v[14:15]
	s_waitcnt vmcnt(0)
	v_fma_f64 v[10:11], v[10:11], v[16:17], -v[18:19]
	v_fma_f64 v[12:13], v[12:13], v[16:17], v[14:15]
	v_add_f64 v[3:4], v[3:4], v[10:11]
	v_add_f64 v[1:2], v[1:2], v[12:13]
	s_andn2_b32 exec_lo, exec_lo, s5
	s_cbranch_execnz .LBB60_113
; %bb.114:
	s_or_b32 exec_lo, exec_lo, s5
	v_mov_b32_e32 v7, 0
	ds_read_b128 v[7:10], v7 offset:352
	s_waitcnt lgkmcnt(0)
	v_mul_f64 v[11:12], v[1:2], v[9:10]
	v_mul_f64 v[9:10], v[3:4], v[9:10]
	v_fma_f64 v[3:4], v[3:4], v[7:8], -v[11:12]
	v_fma_f64 v[1:2], v[1:2], v[7:8], v[9:10]
	buffer_store_dword v4, off, s[0:3], 0 offset:372
	buffer_store_dword v3, off, s[0:3], 0 offset:368
	;; [unrolled: 1-line block ×4, first 2 shown]
.LBB60_115:
	s_or_b32 exec_lo, exec_lo, s4
	v_mov_b32_e32 v4, s52
	s_waitcnt_vscnt null, 0x0
	s_barrier
	buffer_gl0_inv
	s_mov_b32 s4, exec_lo
	s_clause 0x3
	buffer_load_dword v1, v4, s[0:3], 0 offen
	buffer_load_dword v2, v4, s[0:3], 0 offen offset:4
	buffer_load_dword v3, v4, s[0:3], 0 offen offset:8
	;; [unrolled: 1-line block ×3, first 2 shown]
	s_waitcnt vmcnt(0)
	ds_write_b128 v5, v[1:4]
	s_waitcnt lgkmcnt(0)
	s_barrier
	buffer_gl0_inv
	v_cmpx_gt_u32_e32 23, v0
	s_cbranch_execz .LBB60_119
; %bb.116:
	v_mov_b32_e32 v1, 0
	v_mov_b32_e32 v3, 0
	v_add_nc_u32_e32 v7, -1, v0
	v_add_nc_u32_e32 v8, 0x3d0, v247
	v_mov_b32_e32 v2, 0
	v_mov_b32_e32 v4, 0
	v_add_nc_u32_e32 v9, 16, v247
	s_mov_b32 s5, 0
	.p2align	6
.LBB60_117:                             ; =>This Inner Loop Header: Depth=1
	s_clause 0x3
	buffer_load_dword v14, v9, s[0:3], 0 offen offset:8
	buffer_load_dword v15, v9, s[0:3], 0 offen offset:12
	buffer_load_dword v16, v9, s[0:3], 0 offen
	buffer_load_dword v17, v9, s[0:3], 0 offen offset:4
	ds_read_b128 v[10:13], v8
	v_add_nc_u32_e32 v7, 1, v7
	v_add_nc_u32_e32 v8, 16, v8
	;; [unrolled: 1-line block ×3, first 2 shown]
	v_cmp_lt_u32_e32 vcc_lo, 21, v7
	s_or_b32 s5, vcc_lo, s5
	s_waitcnt vmcnt(2) lgkmcnt(0)
	v_mul_f64 v[18:19], v[12:13], v[14:15]
	v_mul_f64 v[14:15], v[10:11], v[14:15]
	s_waitcnt vmcnt(0)
	v_fma_f64 v[10:11], v[10:11], v[16:17], -v[18:19]
	v_fma_f64 v[12:13], v[12:13], v[16:17], v[14:15]
	v_add_f64 v[3:4], v[3:4], v[10:11]
	v_add_f64 v[1:2], v[1:2], v[12:13]
	s_andn2_b32 exec_lo, exec_lo, s5
	s_cbranch_execnz .LBB60_117
; %bb.118:
	s_or_b32 exec_lo, exec_lo, s5
	v_mov_b32_e32 v7, 0
	ds_read_b128 v[7:10], v7 offset:368
	s_waitcnt lgkmcnt(0)
	v_mul_f64 v[11:12], v[1:2], v[9:10]
	v_mul_f64 v[9:10], v[3:4], v[9:10]
	v_fma_f64 v[3:4], v[3:4], v[7:8], -v[11:12]
	v_fma_f64 v[1:2], v[1:2], v[7:8], v[9:10]
	buffer_store_dword v4, off, s[0:3], 0 offset:388
	buffer_store_dword v3, off, s[0:3], 0 offset:384
	buffer_store_dword v2, off, s[0:3], 0 offset:396
	buffer_store_dword v1, off, s[0:3], 0 offset:392
.LBB60_119:
	s_or_b32 exec_lo, exec_lo, s4
	v_mov_b32_e32 v4, s51
	s_waitcnt_vscnt null, 0x0
	s_barrier
	buffer_gl0_inv
	s_mov_b32 s4, exec_lo
	s_clause 0x3
	buffer_load_dword v1, v4, s[0:3], 0 offen
	buffer_load_dword v2, v4, s[0:3], 0 offen offset:4
	buffer_load_dword v3, v4, s[0:3], 0 offen offset:8
	;; [unrolled: 1-line block ×3, first 2 shown]
	s_waitcnt vmcnt(0)
	ds_write_b128 v5, v[1:4]
	s_waitcnt lgkmcnt(0)
	s_barrier
	buffer_gl0_inv
	v_cmpx_gt_u32_e32 24, v0
	s_cbranch_execz .LBB60_123
; %bb.120:
	v_mov_b32_e32 v1, 0
	v_mov_b32_e32 v3, 0
	v_add_nc_u32_e32 v7, -1, v0
	v_add_nc_u32_e32 v8, 0x3d0, v247
	v_mov_b32_e32 v2, 0
	v_mov_b32_e32 v4, 0
	v_add_nc_u32_e32 v9, 16, v247
	s_mov_b32 s5, 0
	.p2align	6
.LBB60_121:                             ; =>This Inner Loop Header: Depth=1
	s_clause 0x3
	buffer_load_dword v14, v9, s[0:3], 0 offen offset:8
	buffer_load_dword v15, v9, s[0:3], 0 offen offset:12
	buffer_load_dword v16, v9, s[0:3], 0 offen
	buffer_load_dword v17, v9, s[0:3], 0 offen offset:4
	ds_read_b128 v[10:13], v8
	v_add_nc_u32_e32 v7, 1, v7
	v_add_nc_u32_e32 v8, 16, v8
	;; [unrolled: 1-line block ×3, first 2 shown]
	v_cmp_lt_u32_e32 vcc_lo, 22, v7
	s_or_b32 s5, vcc_lo, s5
	s_waitcnt vmcnt(2) lgkmcnt(0)
	v_mul_f64 v[18:19], v[12:13], v[14:15]
	v_mul_f64 v[14:15], v[10:11], v[14:15]
	s_waitcnt vmcnt(0)
	v_fma_f64 v[10:11], v[10:11], v[16:17], -v[18:19]
	v_fma_f64 v[12:13], v[12:13], v[16:17], v[14:15]
	v_add_f64 v[3:4], v[3:4], v[10:11]
	v_add_f64 v[1:2], v[1:2], v[12:13]
	s_andn2_b32 exec_lo, exec_lo, s5
	s_cbranch_execnz .LBB60_121
; %bb.122:
	s_or_b32 exec_lo, exec_lo, s5
	v_mov_b32_e32 v7, 0
	ds_read_b128 v[7:10], v7 offset:384
	s_waitcnt lgkmcnt(0)
	v_mul_f64 v[11:12], v[1:2], v[9:10]
	v_mul_f64 v[9:10], v[3:4], v[9:10]
	v_fma_f64 v[3:4], v[3:4], v[7:8], -v[11:12]
	v_fma_f64 v[1:2], v[1:2], v[7:8], v[9:10]
	buffer_store_dword v4, off, s[0:3], 0 offset:404
	buffer_store_dword v3, off, s[0:3], 0 offset:400
	;; [unrolled: 1-line block ×4, first 2 shown]
.LBB60_123:
	s_or_b32 exec_lo, exec_lo, s4
	v_mov_b32_e32 v4, s50
	s_waitcnt_vscnt null, 0x0
	s_barrier
	buffer_gl0_inv
	s_mov_b32 s4, exec_lo
	s_clause 0x3
	buffer_load_dword v1, v4, s[0:3], 0 offen
	buffer_load_dword v2, v4, s[0:3], 0 offen offset:4
	buffer_load_dword v3, v4, s[0:3], 0 offen offset:8
	;; [unrolled: 1-line block ×3, first 2 shown]
	s_waitcnt vmcnt(0)
	ds_write_b128 v5, v[1:4]
	s_waitcnt lgkmcnt(0)
	s_barrier
	buffer_gl0_inv
	v_cmpx_gt_u32_e32 25, v0
	s_cbranch_execz .LBB60_127
; %bb.124:
	v_mov_b32_e32 v1, 0
	v_mov_b32_e32 v3, 0
	v_add_nc_u32_e32 v7, -1, v0
	v_add_nc_u32_e32 v8, 0x3d0, v247
	v_mov_b32_e32 v2, 0
	v_mov_b32_e32 v4, 0
	v_add_nc_u32_e32 v9, 16, v247
	s_mov_b32 s5, 0
	.p2align	6
.LBB60_125:                             ; =>This Inner Loop Header: Depth=1
	s_clause 0x3
	buffer_load_dword v14, v9, s[0:3], 0 offen offset:8
	buffer_load_dword v15, v9, s[0:3], 0 offen offset:12
	buffer_load_dword v16, v9, s[0:3], 0 offen
	buffer_load_dword v17, v9, s[0:3], 0 offen offset:4
	ds_read_b128 v[10:13], v8
	v_add_nc_u32_e32 v7, 1, v7
	v_add_nc_u32_e32 v8, 16, v8
	;; [unrolled: 1-line block ×3, first 2 shown]
	v_cmp_lt_u32_e32 vcc_lo, 23, v7
	s_or_b32 s5, vcc_lo, s5
	s_waitcnt vmcnt(2) lgkmcnt(0)
	v_mul_f64 v[18:19], v[12:13], v[14:15]
	v_mul_f64 v[14:15], v[10:11], v[14:15]
	s_waitcnt vmcnt(0)
	v_fma_f64 v[10:11], v[10:11], v[16:17], -v[18:19]
	v_fma_f64 v[12:13], v[12:13], v[16:17], v[14:15]
	v_add_f64 v[3:4], v[3:4], v[10:11]
	v_add_f64 v[1:2], v[1:2], v[12:13]
	s_andn2_b32 exec_lo, exec_lo, s5
	s_cbranch_execnz .LBB60_125
; %bb.126:
	s_or_b32 exec_lo, exec_lo, s5
	v_mov_b32_e32 v7, 0
	ds_read_b128 v[7:10], v7 offset:400
	s_waitcnt lgkmcnt(0)
	v_mul_f64 v[11:12], v[1:2], v[9:10]
	v_mul_f64 v[9:10], v[3:4], v[9:10]
	v_fma_f64 v[3:4], v[3:4], v[7:8], -v[11:12]
	v_fma_f64 v[1:2], v[1:2], v[7:8], v[9:10]
	buffer_store_dword v4, off, s[0:3], 0 offset:420
	buffer_store_dword v3, off, s[0:3], 0 offset:416
	;; [unrolled: 1-line block ×4, first 2 shown]
.LBB60_127:
	s_or_b32 exec_lo, exec_lo, s4
	v_mov_b32_e32 v4, s49
	s_waitcnt_vscnt null, 0x0
	s_barrier
	buffer_gl0_inv
	s_mov_b32 s4, exec_lo
	s_clause 0x3
	buffer_load_dword v1, v4, s[0:3], 0 offen
	buffer_load_dword v2, v4, s[0:3], 0 offen offset:4
	buffer_load_dword v3, v4, s[0:3], 0 offen offset:8
	;; [unrolled: 1-line block ×3, first 2 shown]
	s_waitcnt vmcnt(0)
	ds_write_b128 v5, v[1:4]
	s_waitcnt lgkmcnt(0)
	s_barrier
	buffer_gl0_inv
	v_cmpx_gt_u32_e32 26, v0
	s_cbranch_execz .LBB60_131
; %bb.128:
	v_mov_b32_e32 v1, 0
	v_mov_b32_e32 v3, 0
	v_add_nc_u32_e32 v7, -1, v0
	v_add_nc_u32_e32 v8, 0x3d0, v247
	v_mov_b32_e32 v2, 0
	v_mov_b32_e32 v4, 0
	v_add_nc_u32_e32 v9, 16, v247
	s_mov_b32 s5, 0
	.p2align	6
.LBB60_129:                             ; =>This Inner Loop Header: Depth=1
	s_clause 0x3
	buffer_load_dword v14, v9, s[0:3], 0 offen offset:8
	buffer_load_dword v15, v9, s[0:3], 0 offen offset:12
	buffer_load_dword v16, v9, s[0:3], 0 offen
	buffer_load_dword v17, v9, s[0:3], 0 offen offset:4
	ds_read_b128 v[10:13], v8
	v_add_nc_u32_e32 v7, 1, v7
	v_add_nc_u32_e32 v8, 16, v8
	;; [unrolled: 1-line block ×3, first 2 shown]
	v_cmp_lt_u32_e32 vcc_lo, 24, v7
	s_or_b32 s5, vcc_lo, s5
	s_waitcnt vmcnt(2) lgkmcnt(0)
	v_mul_f64 v[18:19], v[12:13], v[14:15]
	v_mul_f64 v[14:15], v[10:11], v[14:15]
	s_waitcnt vmcnt(0)
	v_fma_f64 v[10:11], v[10:11], v[16:17], -v[18:19]
	v_fma_f64 v[12:13], v[12:13], v[16:17], v[14:15]
	v_add_f64 v[3:4], v[3:4], v[10:11]
	v_add_f64 v[1:2], v[1:2], v[12:13]
	s_andn2_b32 exec_lo, exec_lo, s5
	s_cbranch_execnz .LBB60_129
; %bb.130:
	s_or_b32 exec_lo, exec_lo, s5
	v_mov_b32_e32 v7, 0
	ds_read_b128 v[7:10], v7 offset:416
	s_waitcnt lgkmcnt(0)
	v_mul_f64 v[11:12], v[1:2], v[9:10]
	v_mul_f64 v[9:10], v[3:4], v[9:10]
	v_fma_f64 v[3:4], v[3:4], v[7:8], -v[11:12]
	v_fma_f64 v[1:2], v[1:2], v[7:8], v[9:10]
	buffer_store_dword v4, off, s[0:3], 0 offset:436
	buffer_store_dword v3, off, s[0:3], 0 offset:432
	;; [unrolled: 1-line block ×4, first 2 shown]
.LBB60_131:
	s_or_b32 exec_lo, exec_lo, s4
	v_mov_b32_e32 v4, s48
	s_waitcnt_vscnt null, 0x0
	s_barrier
	buffer_gl0_inv
	s_mov_b32 s4, exec_lo
	s_clause 0x3
	buffer_load_dword v1, v4, s[0:3], 0 offen
	buffer_load_dword v2, v4, s[0:3], 0 offen offset:4
	buffer_load_dword v3, v4, s[0:3], 0 offen offset:8
	;; [unrolled: 1-line block ×3, first 2 shown]
	s_waitcnt vmcnt(0)
	ds_write_b128 v5, v[1:4]
	s_waitcnt lgkmcnt(0)
	s_barrier
	buffer_gl0_inv
	v_cmpx_gt_u32_e32 27, v0
	s_cbranch_execz .LBB60_135
; %bb.132:
	v_mov_b32_e32 v1, 0
	v_mov_b32_e32 v3, 0
	v_add_nc_u32_e32 v7, -1, v0
	v_add_nc_u32_e32 v8, 0x3d0, v247
	v_mov_b32_e32 v2, 0
	v_mov_b32_e32 v4, 0
	v_add_nc_u32_e32 v9, 16, v247
	s_mov_b32 s5, 0
	.p2align	6
.LBB60_133:                             ; =>This Inner Loop Header: Depth=1
	s_clause 0x3
	buffer_load_dword v14, v9, s[0:3], 0 offen offset:8
	buffer_load_dword v15, v9, s[0:3], 0 offen offset:12
	buffer_load_dword v16, v9, s[0:3], 0 offen
	buffer_load_dword v17, v9, s[0:3], 0 offen offset:4
	ds_read_b128 v[10:13], v8
	v_add_nc_u32_e32 v7, 1, v7
	v_add_nc_u32_e32 v8, 16, v8
	v_add_nc_u32_e32 v9, 16, v9
	v_cmp_lt_u32_e32 vcc_lo, 25, v7
	s_or_b32 s5, vcc_lo, s5
	s_waitcnt vmcnt(2) lgkmcnt(0)
	v_mul_f64 v[18:19], v[12:13], v[14:15]
	v_mul_f64 v[14:15], v[10:11], v[14:15]
	s_waitcnt vmcnt(0)
	v_fma_f64 v[10:11], v[10:11], v[16:17], -v[18:19]
	v_fma_f64 v[12:13], v[12:13], v[16:17], v[14:15]
	v_add_f64 v[3:4], v[3:4], v[10:11]
	v_add_f64 v[1:2], v[1:2], v[12:13]
	s_andn2_b32 exec_lo, exec_lo, s5
	s_cbranch_execnz .LBB60_133
; %bb.134:
	s_or_b32 exec_lo, exec_lo, s5
	v_mov_b32_e32 v7, 0
	ds_read_b128 v[7:10], v7 offset:432
	s_waitcnt lgkmcnt(0)
	v_mul_f64 v[11:12], v[1:2], v[9:10]
	v_mul_f64 v[9:10], v[3:4], v[9:10]
	v_fma_f64 v[3:4], v[3:4], v[7:8], -v[11:12]
	v_fma_f64 v[1:2], v[1:2], v[7:8], v[9:10]
	buffer_store_dword v4, off, s[0:3], 0 offset:452
	buffer_store_dword v3, off, s[0:3], 0 offset:448
	;; [unrolled: 1-line block ×4, first 2 shown]
.LBB60_135:
	s_or_b32 exec_lo, exec_lo, s4
	v_mov_b32_e32 v4, s47
	s_waitcnt_vscnt null, 0x0
	s_barrier
	buffer_gl0_inv
	s_mov_b32 s4, exec_lo
	s_clause 0x3
	buffer_load_dword v1, v4, s[0:3], 0 offen
	buffer_load_dword v2, v4, s[0:3], 0 offen offset:4
	buffer_load_dword v3, v4, s[0:3], 0 offen offset:8
	;; [unrolled: 1-line block ×3, first 2 shown]
	s_waitcnt vmcnt(0)
	ds_write_b128 v5, v[1:4]
	s_waitcnt lgkmcnt(0)
	s_barrier
	buffer_gl0_inv
	v_cmpx_gt_u32_e32 28, v0
	s_cbranch_execz .LBB60_139
; %bb.136:
	v_mov_b32_e32 v1, 0
	v_mov_b32_e32 v3, 0
	v_add_nc_u32_e32 v7, -1, v0
	v_add_nc_u32_e32 v8, 0x3d0, v247
	v_mov_b32_e32 v2, 0
	v_mov_b32_e32 v4, 0
	v_add_nc_u32_e32 v9, 16, v247
	s_mov_b32 s5, 0
	.p2align	6
.LBB60_137:                             ; =>This Inner Loop Header: Depth=1
	s_clause 0x3
	buffer_load_dword v14, v9, s[0:3], 0 offen offset:8
	buffer_load_dword v15, v9, s[0:3], 0 offen offset:12
	buffer_load_dword v16, v9, s[0:3], 0 offen
	buffer_load_dword v17, v9, s[0:3], 0 offen offset:4
	ds_read_b128 v[10:13], v8
	v_add_nc_u32_e32 v7, 1, v7
	v_add_nc_u32_e32 v8, 16, v8
	;; [unrolled: 1-line block ×3, first 2 shown]
	v_cmp_lt_u32_e32 vcc_lo, 26, v7
	s_or_b32 s5, vcc_lo, s5
	s_waitcnt vmcnt(2) lgkmcnt(0)
	v_mul_f64 v[18:19], v[12:13], v[14:15]
	v_mul_f64 v[14:15], v[10:11], v[14:15]
	s_waitcnt vmcnt(0)
	v_fma_f64 v[10:11], v[10:11], v[16:17], -v[18:19]
	v_fma_f64 v[12:13], v[12:13], v[16:17], v[14:15]
	v_add_f64 v[3:4], v[3:4], v[10:11]
	v_add_f64 v[1:2], v[1:2], v[12:13]
	s_andn2_b32 exec_lo, exec_lo, s5
	s_cbranch_execnz .LBB60_137
; %bb.138:
	s_or_b32 exec_lo, exec_lo, s5
	v_mov_b32_e32 v7, 0
	ds_read_b128 v[7:10], v7 offset:448
	s_waitcnt lgkmcnt(0)
	v_mul_f64 v[11:12], v[1:2], v[9:10]
	v_mul_f64 v[9:10], v[3:4], v[9:10]
	v_fma_f64 v[3:4], v[3:4], v[7:8], -v[11:12]
	v_fma_f64 v[1:2], v[1:2], v[7:8], v[9:10]
	buffer_store_dword v4, off, s[0:3], 0 offset:468
	buffer_store_dword v3, off, s[0:3], 0 offset:464
	;; [unrolled: 1-line block ×4, first 2 shown]
.LBB60_139:
	s_or_b32 exec_lo, exec_lo, s4
	v_mov_b32_e32 v4, s46
	s_waitcnt_vscnt null, 0x0
	s_barrier
	buffer_gl0_inv
	s_mov_b32 s4, exec_lo
	s_clause 0x3
	buffer_load_dword v1, v4, s[0:3], 0 offen
	buffer_load_dword v2, v4, s[0:3], 0 offen offset:4
	buffer_load_dword v3, v4, s[0:3], 0 offen offset:8
	;; [unrolled: 1-line block ×3, first 2 shown]
	s_waitcnt vmcnt(0)
	ds_write_b128 v5, v[1:4]
	s_waitcnt lgkmcnt(0)
	s_barrier
	buffer_gl0_inv
	v_cmpx_gt_u32_e32 29, v0
	s_cbranch_execz .LBB60_143
; %bb.140:
	v_mov_b32_e32 v1, 0
	v_mov_b32_e32 v3, 0
	v_add_nc_u32_e32 v7, -1, v0
	v_add_nc_u32_e32 v8, 0x3d0, v247
	v_mov_b32_e32 v2, 0
	v_mov_b32_e32 v4, 0
	v_add_nc_u32_e32 v9, 16, v247
	s_mov_b32 s5, 0
	.p2align	6
.LBB60_141:                             ; =>This Inner Loop Header: Depth=1
	s_clause 0x3
	buffer_load_dword v14, v9, s[0:3], 0 offen offset:8
	buffer_load_dword v15, v9, s[0:3], 0 offen offset:12
	buffer_load_dword v16, v9, s[0:3], 0 offen
	buffer_load_dword v17, v9, s[0:3], 0 offen offset:4
	ds_read_b128 v[10:13], v8
	v_add_nc_u32_e32 v7, 1, v7
	v_add_nc_u32_e32 v8, 16, v8
	;; [unrolled: 1-line block ×3, first 2 shown]
	v_cmp_lt_u32_e32 vcc_lo, 27, v7
	s_or_b32 s5, vcc_lo, s5
	s_waitcnt vmcnt(2) lgkmcnt(0)
	v_mul_f64 v[18:19], v[12:13], v[14:15]
	v_mul_f64 v[14:15], v[10:11], v[14:15]
	s_waitcnt vmcnt(0)
	v_fma_f64 v[10:11], v[10:11], v[16:17], -v[18:19]
	v_fma_f64 v[12:13], v[12:13], v[16:17], v[14:15]
	v_add_f64 v[3:4], v[3:4], v[10:11]
	v_add_f64 v[1:2], v[1:2], v[12:13]
	s_andn2_b32 exec_lo, exec_lo, s5
	s_cbranch_execnz .LBB60_141
; %bb.142:
	s_or_b32 exec_lo, exec_lo, s5
	v_mov_b32_e32 v7, 0
	ds_read_b128 v[7:10], v7 offset:464
	s_waitcnt lgkmcnt(0)
	v_mul_f64 v[11:12], v[1:2], v[9:10]
	v_mul_f64 v[9:10], v[3:4], v[9:10]
	v_fma_f64 v[3:4], v[3:4], v[7:8], -v[11:12]
	v_fma_f64 v[1:2], v[1:2], v[7:8], v[9:10]
	buffer_store_dword v4, off, s[0:3], 0 offset:484
	buffer_store_dword v3, off, s[0:3], 0 offset:480
	;; [unrolled: 1-line block ×4, first 2 shown]
.LBB60_143:
	s_or_b32 exec_lo, exec_lo, s4
	v_mov_b32_e32 v4, s45
	s_waitcnt_vscnt null, 0x0
	s_barrier
	buffer_gl0_inv
	s_mov_b32 s4, exec_lo
	s_clause 0x3
	buffer_load_dword v1, v4, s[0:3], 0 offen
	buffer_load_dword v2, v4, s[0:3], 0 offen offset:4
	buffer_load_dword v3, v4, s[0:3], 0 offen offset:8
	;; [unrolled: 1-line block ×3, first 2 shown]
	s_waitcnt vmcnt(0)
	ds_write_b128 v5, v[1:4]
	s_waitcnt lgkmcnt(0)
	s_barrier
	buffer_gl0_inv
	v_cmpx_gt_u32_e32 30, v0
	s_cbranch_execz .LBB60_147
; %bb.144:
	v_mov_b32_e32 v1, 0
	v_mov_b32_e32 v3, 0
	v_add_nc_u32_e32 v7, -1, v0
	v_add_nc_u32_e32 v8, 0x3d0, v247
	v_mov_b32_e32 v2, 0
	v_mov_b32_e32 v4, 0
	v_add_nc_u32_e32 v9, 16, v247
	s_mov_b32 s5, 0
	.p2align	6
.LBB60_145:                             ; =>This Inner Loop Header: Depth=1
	s_clause 0x3
	buffer_load_dword v14, v9, s[0:3], 0 offen offset:8
	buffer_load_dword v15, v9, s[0:3], 0 offen offset:12
	buffer_load_dword v16, v9, s[0:3], 0 offen
	buffer_load_dword v17, v9, s[0:3], 0 offen offset:4
	ds_read_b128 v[10:13], v8
	v_add_nc_u32_e32 v7, 1, v7
	v_add_nc_u32_e32 v8, 16, v8
	;; [unrolled: 1-line block ×3, first 2 shown]
	v_cmp_lt_u32_e32 vcc_lo, 28, v7
	s_or_b32 s5, vcc_lo, s5
	s_waitcnt vmcnt(2) lgkmcnt(0)
	v_mul_f64 v[18:19], v[12:13], v[14:15]
	v_mul_f64 v[14:15], v[10:11], v[14:15]
	s_waitcnt vmcnt(0)
	v_fma_f64 v[10:11], v[10:11], v[16:17], -v[18:19]
	v_fma_f64 v[12:13], v[12:13], v[16:17], v[14:15]
	v_add_f64 v[3:4], v[3:4], v[10:11]
	v_add_f64 v[1:2], v[1:2], v[12:13]
	s_andn2_b32 exec_lo, exec_lo, s5
	s_cbranch_execnz .LBB60_145
; %bb.146:
	s_or_b32 exec_lo, exec_lo, s5
	v_mov_b32_e32 v7, 0
	ds_read_b128 v[7:10], v7 offset:480
	s_waitcnt lgkmcnt(0)
	v_mul_f64 v[11:12], v[1:2], v[9:10]
	v_mul_f64 v[9:10], v[3:4], v[9:10]
	v_fma_f64 v[3:4], v[3:4], v[7:8], -v[11:12]
	v_fma_f64 v[1:2], v[1:2], v[7:8], v[9:10]
	buffer_store_dword v4, off, s[0:3], 0 offset:500
	buffer_store_dword v3, off, s[0:3], 0 offset:496
	;; [unrolled: 1-line block ×4, first 2 shown]
.LBB60_147:
	s_or_b32 exec_lo, exec_lo, s4
	v_mov_b32_e32 v4, s44
	s_waitcnt_vscnt null, 0x0
	s_barrier
	buffer_gl0_inv
	s_mov_b32 s4, exec_lo
	s_clause 0x3
	buffer_load_dword v1, v4, s[0:3], 0 offen
	buffer_load_dword v2, v4, s[0:3], 0 offen offset:4
	buffer_load_dword v3, v4, s[0:3], 0 offen offset:8
	;; [unrolled: 1-line block ×3, first 2 shown]
	s_waitcnt vmcnt(0)
	ds_write_b128 v5, v[1:4]
	s_waitcnt lgkmcnt(0)
	s_barrier
	buffer_gl0_inv
	v_cmpx_gt_u32_e32 31, v0
	s_cbranch_execz .LBB60_151
; %bb.148:
	v_mov_b32_e32 v1, 0
	v_mov_b32_e32 v3, 0
	v_add_nc_u32_e32 v7, -1, v0
	v_add_nc_u32_e32 v8, 0x3d0, v247
	v_mov_b32_e32 v2, 0
	v_mov_b32_e32 v4, 0
	v_add_nc_u32_e32 v9, 16, v247
	s_mov_b32 s5, 0
	.p2align	6
.LBB60_149:                             ; =>This Inner Loop Header: Depth=1
	s_clause 0x3
	buffer_load_dword v14, v9, s[0:3], 0 offen offset:8
	buffer_load_dword v15, v9, s[0:3], 0 offen offset:12
	buffer_load_dword v16, v9, s[0:3], 0 offen
	buffer_load_dword v17, v9, s[0:3], 0 offen offset:4
	ds_read_b128 v[10:13], v8
	v_add_nc_u32_e32 v7, 1, v7
	v_add_nc_u32_e32 v8, 16, v8
	;; [unrolled: 1-line block ×3, first 2 shown]
	v_cmp_lt_u32_e32 vcc_lo, 29, v7
	s_or_b32 s5, vcc_lo, s5
	s_waitcnt vmcnt(2) lgkmcnt(0)
	v_mul_f64 v[18:19], v[12:13], v[14:15]
	v_mul_f64 v[14:15], v[10:11], v[14:15]
	s_waitcnt vmcnt(0)
	v_fma_f64 v[10:11], v[10:11], v[16:17], -v[18:19]
	v_fma_f64 v[12:13], v[12:13], v[16:17], v[14:15]
	v_add_f64 v[3:4], v[3:4], v[10:11]
	v_add_f64 v[1:2], v[1:2], v[12:13]
	s_andn2_b32 exec_lo, exec_lo, s5
	s_cbranch_execnz .LBB60_149
; %bb.150:
	s_or_b32 exec_lo, exec_lo, s5
	v_mov_b32_e32 v7, 0
	ds_read_b128 v[7:10], v7 offset:496
	s_waitcnt lgkmcnt(0)
	v_mul_f64 v[11:12], v[1:2], v[9:10]
	v_mul_f64 v[9:10], v[3:4], v[9:10]
	v_fma_f64 v[3:4], v[3:4], v[7:8], -v[11:12]
	v_fma_f64 v[1:2], v[1:2], v[7:8], v[9:10]
	buffer_store_dword v4, off, s[0:3], 0 offset:516
	buffer_store_dword v3, off, s[0:3], 0 offset:512
	;; [unrolled: 1-line block ×4, first 2 shown]
.LBB60_151:
	s_or_b32 exec_lo, exec_lo, s4
	v_mov_b32_e32 v4, s43
	s_waitcnt_vscnt null, 0x0
	s_barrier
	buffer_gl0_inv
	s_mov_b32 s4, exec_lo
	s_clause 0x3
	buffer_load_dword v1, v4, s[0:3], 0 offen
	buffer_load_dword v2, v4, s[0:3], 0 offen offset:4
	buffer_load_dword v3, v4, s[0:3], 0 offen offset:8
	;; [unrolled: 1-line block ×3, first 2 shown]
	s_waitcnt vmcnt(0)
	ds_write_b128 v5, v[1:4]
	s_waitcnt lgkmcnt(0)
	s_barrier
	buffer_gl0_inv
	v_cmpx_gt_u32_e32 32, v0
	s_cbranch_execz .LBB60_155
; %bb.152:
	v_mov_b32_e32 v1, 0
	v_mov_b32_e32 v3, 0
	v_add_nc_u32_e32 v7, -1, v0
	v_add_nc_u32_e32 v8, 0x3d0, v247
	v_mov_b32_e32 v2, 0
	v_mov_b32_e32 v4, 0
	v_add_nc_u32_e32 v9, 16, v247
	s_mov_b32 s5, 0
	.p2align	6
.LBB60_153:                             ; =>This Inner Loop Header: Depth=1
	s_clause 0x3
	buffer_load_dword v14, v9, s[0:3], 0 offen offset:8
	buffer_load_dword v15, v9, s[0:3], 0 offen offset:12
	buffer_load_dword v16, v9, s[0:3], 0 offen
	buffer_load_dword v17, v9, s[0:3], 0 offen offset:4
	ds_read_b128 v[10:13], v8
	v_add_nc_u32_e32 v7, 1, v7
	v_add_nc_u32_e32 v8, 16, v8
	;; [unrolled: 1-line block ×3, first 2 shown]
	v_cmp_lt_u32_e32 vcc_lo, 30, v7
	s_or_b32 s5, vcc_lo, s5
	s_waitcnt vmcnt(2) lgkmcnt(0)
	v_mul_f64 v[18:19], v[12:13], v[14:15]
	v_mul_f64 v[14:15], v[10:11], v[14:15]
	s_waitcnt vmcnt(0)
	v_fma_f64 v[10:11], v[10:11], v[16:17], -v[18:19]
	v_fma_f64 v[12:13], v[12:13], v[16:17], v[14:15]
	v_add_f64 v[3:4], v[3:4], v[10:11]
	v_add_f64 v[1:2], v[1:2], v[12:13]
	s_andn2_b32 exec_lo, exec_lo, s5
	s_cbranch_execnz .LBB60_153
; %bb.154:
	s_or_b32 exec_lo, exec_lo, s5
	v_mov_b32_e32 v7, 0
	ds_read_b128 v[7:10], v7 offset:512
	s_waitcnt lgkmcnt(0)
	v_mul_f64 v[11:12], v[1:2], v[9:10]
	v_mul_f64 v[9:10], v[3:4], v[9:10]
	v_fma_f64 v[3:4], v[3:4], v[7:8], -v[11:12]
	v_fma_f64 v[1:2], v[1:2], v[7:8], v[9:10]
	buffer_store_dword v4, off, s[0:3], 0 offset:532
	buffer_store_dword v3, off, s[0:3], 0 offset:528
	;; [unrolled: 1-line block ×4, first 2 shown]
.LBB60_155:
	s_or_b32 exec_lo, exec_lo, s4
	v_mov_b32_e32 v4, s42
	s_waitcnt_vscnt null, 0x0
	s_barrier
	buffer_gl0_inv
	s_mov_b32 s4, exec_lo
	s_clause 0x3
	buffer_load_dword v1, v4, s[0:3], 0 offen
	buffer_load_dword v2, v4, s[0:3], 0 offen offset:4
	buffer_load_dword v3, v4, s[0:3], 0 offen offset:8
	;; [unrolled: 1-line block ×3, first 2 shown]
	s_waitcnt vmcnt(0)
	ds_write_b128 v5, v[1:4]
	s_waitcnt lgkmcnt(0)
	s_barrier
	buffer_gl0_inv
	v_cmpx_gt_u32_e32 33, v0
	s_cbranch_execz .LBB60_159
; %bb.156:
	v_mov_b32_e32 v1, 0
	v_mov_b32_e32 v3, 0
	v_add_nc_u32_e32 v7, -1, v0
	v_add_nc_u32_e32 v8, 0x3d0, v247
	v_mov_b32_e32 v2, 0
	v_mov_b32_e32 v4, 0
	v_add_nc_u32_e32 v9, 16, v247
	s_mov_b32 s5, 0
	.p2align	6
.LBB60_157:                             ; =>This Inner Loop Header: Depth=1
	s_clause 0x3
	buffer_load_dword v14, v9, s[0:3], 0 offen offset:8
	buffer_load_dword v15, v9, s[0:3], 0 offen offset:12
	buffer_load_dword v16, v9, s[0:3], 0 offen
	buffer_load_dword v17, v9, s[0:3], 0 offen offset:4
	ds_read_b128 v[10:13], v8
	v_add_nc_u32_e32 v7, 1, v7
	v_add_nc_u32_e32 v8, 16, v8
	;; [unrolled: 1-line block ×3, first 2 shown]
	v_cmp_lt_u32_e32 vcc_lo, 31, v7
	s_or_b32 s5, vcc_lo, s5
	s_waitcnt vmcnt(2) lgkmcnt(0)
	v_mul_f64 v[18:19], v[12:13], v[14:15]
	v_mul_f64 v[14:15], v[10:11], v[14:15]
	s_waitcnt vmcnt(0)
	v_fma_f64 v[10:11], v[10:11], v[16:17], -v[18:19]
	v_fma_f64 v[12:13], v[12:13], v[16:17], v[14:15]
	v_add_f64 v[3:4], v[3:4], v[10:11]
	v_add_f64 v[1:2], v[1:2], v[12:13]
	s_andn2_b32 exec_lo, exec_lo, s5
	s_cbranch_execnz .LBB60_157
; %bb.158:
	s_or_b32 exec_lo, exec_lo, s5
	v_mov_b32_e32 v7, 0
	ds_read_b128 v[7:10], v7 offset:528
	s_waitcnt lgkmcnt(0)
	v_mul_f64 v[11:12], v[1:2], v[9:10]
	v_mul_f64 v[9:10], v[3:4], v[9:10]
	v_fma_f64 v[3:4], v[3:4], v[7:8], -v[11:12]
	v_fma_f64 v[1:2], v[1:2], v[7:8], v[9:10]
	buffer_store_dword v4, off, s[0:3], 0 offset:548
	buffer_store_dword v3, off, s[0:3], 0 offset:544
	;; [unrolled: 1-line block ×4, first 2 shown]
.LBB60_159:
	s_or_b32 exec_lo, exec_lo, s4
	v_mov_b32_e32 v4, s41
	s_waitcnt_vscnt null, 0x0
	s_barrier
	buffer_gl0_inv
	s_mov_b32 s4, exec_lo
	s_clause 0x3
	buffer_load_dword v1, v4, s[0:3], 0 offen
	buffer_load_dword v2, v4, s[0:3], 0 offen offset:4
	buffer_load_dword v3, v4, s[0:3], 0 offen offset:8
	;; [unrolled: 1-line block ×3, first 2 shown]
	s_waitcnt vmcnt(0)
	ds_write_b128 v5, v[1:4]
	s_waitcnt lgkmcnt(0)
	s_barrier
	buffer_gl0_inv
	v_cmpx_gt_u32_e32 34, v0
	s_cbranch_execz .LBB60_163
; %bb.160:
	v_mov_b32_e32 v1, 0
	v_mov_b32_e32 v3, 0
	v_add_nc_u32_e32 v7, -1, v0
	v_add_nc_u32_e32 v8, 0x3d0, v247
	v_mov_b32_e32 v2, 0
	v_mov_b32_e32 v4, 0
	v_add_nc_u32_e32 v9, 16, v247
	s_mov_b32 s5, 0
	.p2align	6
.LBB60_161:                             ; =>This Inner Loop Header: Depth=1
	s_clause 0x3
	buffer_load_dword v14, v9, s[0:3], 0 offen offset:8
	buffer_load_dword v15, v9, s[0:3], 0 offen offset:12
	buffer_load_dword v16, v9, s[0:3], 0 offen
	buffer_load_dword v17, v9, s[0:3], 0 offen offset:4
	ds_read_b128 v[10:13], v8
	v_add_nc_u32_e32 v7, 1, v7
	v_add_nc_u32_e32 v8, 16, v8
	;; [unrolled: 1-line block ×3, first 2 shown]
	v_cmp_lt_u32_e32 vcc_lo, 32, v7
	s_or_b32 s5, vcc_lo, s5
	s_waitcnt vmcnt(2) lgkmcnt(0)
	v_mul_f64 v[18:19], v[12:13], v[14:15]
	v_mul_f64 v[14:15], v[10:11], v[14:15]
	s_waitcnt vmcnt(0)
	v_fma_f64 v[10:11], v[10:11], v[16:17], -v[18:19]
	v_fma_f64 v[12:13], v[12:13], v[16:17], v[14:15]
	v_add_f64 v[3:4], v[3:4], v[10:11]
	v_add_f64 v[1:2], v[1:2], v[12:13]
	s_andn2_b32 exec_lo, exec_lo, s5
	s_cbranch_execnz .LBB60_161
; %bb.162:
	s_or_b32 exec_lo, exec_lo, s5
	v_mov_b32_e32 v7, 0
	ds_read_b128 v[7:10], v7 offset:544
	s_waitcnt lgkmcnt(0)
	v_mul_f64 v[11:12], v[1:2], v[9:10]
	v_mul_f64 v[9:10], v[3:4], v[9:10]
	v_fma_f64 v[3:4], v[3:4], v[7:8], -v[11:12]
	v_fma_f64 v[1:2], v[1:2], v[7:8], v[9:10]
	buffer_store_dword v4, off, s[0:3], 0 offset:564
	buffer_store_dword v3, off, s[0:3], 0 offset:560
	;; [unrolled: 1-line block ×4, first 2 shown]
.LBB60_163:
	s_or_b32 exec_lo, exec_lo, s4
	v_mov_b32_e32 v4, s40
	s_waitcnt_vscnt null, 0x0
	s_barrier
	buffer_gl0_inv
	s_mov_b32 s4, exec_lo
	s_clause 0x3
	buffer_load_dword v1, v4, s[0:3], 0 offen
	buffer_load_dword v2, v4, s[0:3], 0 offen offset:4
	buffer_load_dword v3, v4, s[0:3], 0 offen offset:8
	;; [unrolled: 1-line block ×3, first 2 shown]
	s_waitcnt vmcnt(0)
	ds_write_b128 v5, v[1:4]
	s_waitcnt lgkmcnt(0)
	s_barrier
	buffer_gl0_inv
	v_cmpx_gt_u32_e32 35, v0
	s_cbranch_execz .LBB60_167
; %bb.164:
	v_mov_b32_e32 v1, 0
	v_mov_b32_e32 v3, 0
	v_add_nc_u32_e32 v7, -1, v0
	v_add_nc_u32_e32 v8, 0x3d0, v247
	v_mov_b32_e32 v2, 0
	v_mov_b32_e32 v4, 0
	v_add_nc_u32_e32 v9, 16, v247
	s_mov_b32 s5, 0
	.p2align	6
.LBB60_165:                             ; =>This Inner Loop Header: Depth=1
	s_clause 0x3
	buffer_load_dword v14, v9, s[0:3], 0 offen offset:8
	buffer_load_dword v15, v9, s[0:3], 0 offen offset:12
	buffer_load_dword v16, v9, s[0:3], 0 offen
	buffer_load_dword v17, v9, s[0:3], 0 offen offset:4
	ds_read_b128 v[10:13], v8
	v_add_nc_u32_e32 v7, 1, v7
	v_add_nc_u32_e32 v8, 16, v8
	v_add_nc_u32_e32 v9, 16, v9
	v_cmp_lt_u32_e32 vcc_lo, 33, v7
	s_or_b32 s5, vcc_lo, s5
	s_waitcnt vmcnt(2) lgkmcnt(0)
	v_mul_f64 v[18:19], v[12:13], v[14:15]
	v_mul_f64 v[14:15], v[10:11], v[14:15]
	s_waitcnt vmcnt(0)
	v_fma_f64 v[10:11], v[10:11], v[16:17], -v[18:19]
	v_fma_f64 v[12:13], v[12:13], v[16:17], v[14:15]
	v_add_f64 v[3:4], v[3:4], v[10:11]
	v_add_f64 v[1:2], v[1:2], v[12:13]
	s_andn2_b32 exec_lo, exec_lo, s5
	s_cbranch_execnz .LBB60_165
; %bb.166:
	s_or_b32 exec_lo, exec_lo, s5
	v_mov_b32_e32 v7, 0
	ds_read_b128 v[7:10], v7 offset:560
	s_waitcnt lgkmcnt(0)
	v_mul_f64 v[11:12], v[1:2], v[9:10]
	v_mul_f64 v[9:10], v[3:4], v[9:10]
	v_fma_f64 v[3:4], v[3:4], v[7:8], -v[11:12]
	v_fma_f64 v[1:2], v[1:2], v[7:8], v[9:10]
	buffer_store_dword v4, off, s[0:3], 0 offset:580
	buffer_store_dword v3, off, s[0:3], 0 offset:576
	;; [unrolled: 1-line block ×4, first 2 shown]
.LBB60_167:
	s_or_b32 exec_lo, exec_lo, s4
	v_mov_b32_e32 v4, s39
	s_waitcnt_vscnt null, 0x0
	s_barrier
	buffer_gl0_inv
	s_mov_b32 s4, exec_lo
	s_clause 0x3
	buffer_load_dword v1, v4, s[0:3], 0 offen
	buffer_load_dword v2, v4, s[0:3], 0 offen offset:4
	buffer_load_dword v3, v4, s[0:3], 0 offen offset:8
	;; [unrolled: 1-line block ×3, first 2 shown]
	s_waitcnt vmcnt(0)
	ds_write_b128 v5, v[1:4]
	s_waitcnt lgkmcnt(0)
	s_barrier
	buffer_gl0_inv
	v_cmpx_gt_u32_e32 36, v0
	s_cbranch_execz .LBB60_171
; %bb.168:
	v_mov_b32_e32 v1, 0
	v_mov_b32_e32 v3, 0
	v_add_nc_u32_e32 v7, -1, v0
	v_add_nc_u32_e32 v8, 0x3d0, v247
	v_mov_b32_e32 v2, 0
	v_mov_b32_e32 v4, 0
	v_add_nc_u32_e32 v9, 16, v247
	s_mov_b32 s5, 0
	.p2align	6
.LBB60_169:                             ; =>This Inner Loop Header: Depth=1
	s_clause 0x3
	buffer_load_dword v14, v9, s[0:3], 0 offen offset:8
	buffer_load_dword v15, v9, s[0:3], 0 offen offset:12
	buffer_load_dword v16, v9, s[0:3], 0 offen
	buffer_load_dword v17, v9, s[0:3], 0 offen offset:4
	ds_read_b128 v[10:13], v8
	v_add_nc_u32_e32 v7, 1, v7
	v_add_nc_u32_e32 v8, 16, v8
	;; [unrolled: 1-line block ×3, first 2 shown]
	v_cmp_lt_u32_e32 vcc_lo, 34, v7
	s_or_b32 s5, vcc_lo, s5
	s_waitcnt vmcnt(2) lgkmcnt(0)
	v_mul_f64 v[18:19], v[12:13], v[14:15]
	v_mul_f64 v[14:15], v[10:11], v[14:15]
	s_waitcnt vmcnt(0)
	v_fma_f64 v[10:11], v[10:11], v[16:17], -v[18:19]
	v_fma_f64 v[12:13], v[12:13], v[16:17], v[14:15]
	v_add_f64 v[3:4], v[3:4], v[10:11]
	v_add_f64 v[1:2], v[1:2], v[12:13]
	s_andn2_b32 exec_lo, exec_lo, s5
	s_cbranch_execnz .LBB60_169
; %bb.170:
	s_or_b32 exec_lo, exec_lo, s5
	v_mov_b32_e32 v7, 0
	ds_read_b128 v[7:10], v7 offset:576
	s_waitcnt lgkmcnt(0)
	v_mul_f64 v[11:12], v[1:2], v[9:10]
	v_mul_f64 v[9:10], v[3:4], v[9:10]
	v_fma_f64 v[3:4], v[3:4], v[7:8], -v[11:12]
	v_fma_f64 v[1:2], v[1:2], v[7:8], v[9:10]
	buffer_store_dword v4, off, s[0:3], 0 offset:596
	buffer_store_dword v3, off, s[0:3], 0 offset:592
	;; [unrolled: 1-line block ×4, first 2 shown]
.LBB60_171:
	s_or_b32 exec_lo, exec_lo, s4
	v_mov_b32_e32 v4, s38
	s_waitcnt_vscnt null, 0x0
	s_barrier
	buffer_gl0_inv
	s_mov_b32 s4, exec_lo
	s_clause 0x3
	buffer_load_dword v1, v4, s[0:3], 0 offen
	buffer_load_dword v2, v4, s[0:3], 0 offen offset:4
	buffer_load_dword v3, v4, s[0:3], 0 offen offset:8
	;; [unrolled: 1-line block ×3, first 2 shown]
	s_waitcnt vmcnt(0)
	ds_write_b128 v5, v[1:4]
	s_waitcnt lgkmcnt(0)
	s_barrier
	buffer_gl0_inv
	v_cmpx_gt_u32_e32 37, v0
	s_cbranch_execz .LBB60_175
; %bb.172:
	v_mov_b32_e32 v1, 0
	v_mov_b32_e32 v3, 0
	v_add_nc_u32_e32 v7, -1, v0
	v_add_nc_u32_e32 v8, 0x3d0, v247
	v_mov_b32_e32 v2, 0
	v_mov_b32_e32 v4, 0
	v_add_nc_u32_e32 v9, 16, v247
	s_mov_b32 s5, 0
	.p2align	6
.LBB60_173:                             ; =>This Inner Loop Header: Depth=1
	s_clause 0x3
	buffer_load_dword v14, v9, s[0:3], 0 offen offset:8
	buffer_load_dword v15, v9, s[0:3], 0 offen offset:12
	buffer_load_dword v16, v9, s[0:3], 0 offen
	buffer_load_dword v17, v9, s[0:3], 0 offen offset:4
	ds_read_b128 v[10:13], v8
	v_add_nc_u32_e32 v7, 1, v7
	v_add_nc_u32_e32 v8, 16, v8
	;; [unrolled: 1-line block ×3, first 2 shown]
	v_cmp_lt_u32_e32 vcc_lo, 35, v7
	s_or_b32 s5, vcc_lo, s5
	s_waitcnt vmcnt(2) lgkmcnt(0)
	v_mul_f64 v[18:19], v[12:13], v[14:15]
	v_mul_f64 v[14:15], v[10:11], v[14:15]
	s_waitcnt vmcnt(0)
	v_fma_f64 v[10:11], v[10:11], v[16:17], -v[18:19]
	v_fma_f64 v[12:13], v[12:13], v[16:17], v[14:15]
	v_add_f64 v[3:4], v[3:4], v[10:11]
	v_add_f64 v[1:2], v[1:2], v[12:13]
	s_andn2_b32 exec_lo, exec_lo, s5
	s_cbranch_execnz .LBB60_173
; %bb.174:
	s_or_b32 exec_lo, exec_lo, s5
	v_mov_b32_e32 v7, 0
	ds_read_b128 v[7:10], v7 offset:592
	s_waitcnt lgkmcnt(0)
	v_mul_f64 v[11:12], v[1:2], v[9:10]
	v_mul_f64 v[9:10], v[3:4], v[9:10]
	v_fma_f64 v[3:4], v[3:4], v[7:8], -v[11:12]
	v_fma_f64 v[1:2], v[1:2], v[7:8], v[9:10]
	buffer_store_dword v4, off, s[0:3], 0 offset:612
	buffer_store_dword v3, off, s[0:3], 0 offset:608
	;; [unrolled: 1-line block ×4, first 2 shown]
.LBB60_175:
	s_or_b32 exec_lo, exec_lo, s4
	v_mov_b32_e32 v4, s37
	s_waitcnt_vscnt null, 0x0
	s_barrier
	buffer_gl0_inv
	s_mov_b32 s4, exec_lo
	s_clause 0x3
	buffer_load_dword v1, v4, s[0:3], 0 offen
	buffer_load_dword v2, v4, s[0:3], 0 offen offset:4
	buffer_load_dword v3, v4, s[0:3], 0 offen offset:8
	buffer_load_dword v4, v4, s[0:3], 0 offen offset:12
	s_waitcnt vmcnt(0)
	ds_write_b128 v5, v[1:4]
	s_waitcnt lgkmcnt(0)
	s_barrier
	buffer_gl0_inv
	v_cmpx_gt_u32_e32 38, v0
	s_cbranch_execz .LBB60_179
; %bb.176:
	v_mov_b32_e32 v1, 0
	v_mov_b32_e32 v3, 0
	v_add_nc_u32_e32 v7, -1, v0
	v_add_nc_u32_e32 v8, 0x3d0, v247
	v_mov_b32_e32 v2, 0
	v_mov_b32_e32 v4, 0
	v_add_nc_u32_e32 v9, 16, v247
	s_mov_b32 s5, 0
	.p2align	6
.LBB60_177:                             ; =>This Inner Loop Header: Depth=1
	s_clause 0x3
	buffer_load_dword v14, v9, s[0:3], 0 offen offset:8
	buffer_load_dword v15, v9, s[0:3], 0 offen offset:12
	buffer_load_dword v16, v9, s[0:3], 0 offen
	buffer_load_dword v17, v9, s[0:3], 0 offen offset:4
	ds_read_b128 v[10:13], v8
	v_add_nc_u32_e32 v7, 1, v7
	v_add_nc_u32_e32 v8, 16, v8
	;; [unrolled: 1-line block ×3, first 2 shown]
	v_cmp_lt_u32_e32 vcc_lo, 36, v7
	s_or_b32 s5, vcc_lo, s5
	s_waitcnt vmcnt(2) lgkmcnt(0)
	v_mul_f64 v[18:19], v[12:13], v[14:15]
	v_mul_f64 v[14:15], v[10:11], v[14:15]
	s_waitcnt vmcnt(0)
	v_fma_f64 v[10:11], v[10:11], v[16:17], -v[18:19]
	v_fma_f64 v[12:13], v[12:13], v[16:17], v[14:15]
	v_add_f64 v[3:4], v[3:4], v[10:11]
	v_add_f64 v[1:2], v[1:2], v[12:13]
	s_andn2_b32 exec_lo, exec_lo, s5
	s_cbranch_execnz .LBB60_177
; %bb.178:
	s_or_b32 exec_lo, exec_lo, s5
	v_mov_b32_e32 v7, 0
	ds_read_b128 v[7:10], v7 offset:608
	s_waitcnt lgkmcnt(0)
	v_mul_f64 v[11:12], v[1:2], v[9:10]
	v_mul_f64 v[9:10], v[3:4], v[9:10]
	v_fma_f64 v[3:4], v[3:4], v[7:8], -v[11:12]
	v_fma_f64 v[1:2], v[1:2], v[7:8], v[9:10]
	buffer_store_dword v4, off, s[0:3], 0 offset:628
	buffer_store_dword v3, off, s[0:3], 0 offset:624
	;; [unrolled: 1-line block ×4, first 2 shown]
.LBB60_179:
	s_or_b32 exec_lo, exec_lo, s4
	v_mov_b32_e32 v4, s36
	s_waitcnt_vscnt null, 0x0
	s_barrier
	buffer_gl0_inv
	s_mov_b32 s4, exec_lo
	s_clause 0x3
	buffer_load_dword v1, v4, s[0:3], 0 offen
	buffer_load_dword v2, v4, s[0:3], 0 offen offset:4
	buffer_load_dword v3, v4, s[0:3], 0 offen offset:8
	buffer_load_dword v4, v4, s[0:3], 0 offen offset:12
	s_waitcnt vmcnt(0)
	ds_write_b128 v5, v[1:4]
	s_waitcnt lgkmcnt(0)
	s_barrier
	buffer_gl0_inv
	v_cmpx_gt_u32_e32 39, v0
	s_cbranch_execz .LBB60_183
; %bb.180:
	v_mov_b32_e32 v1, 0
	v_mov_b32_e32 v3, 0
	v_add_nc_u32_e32 v7, -1, v0
	v_add_nc_u32_e32 v8, 0x3d0, v247
	v_mov_b32_e32 v2, 0
	v_mov_b32_e32 v4, 0
	v_add_nc_u32_e32 v9, 16, v247
	s_mov_b32 s5, 0
	.p2align	6
.LBB60_181:                             ; =>This Inner Loop Header: Depth=1
	s_clause 0x3
	buffer_load_dword v14, v9, s[0:3], 0 offen offset:8
	buffer_load_dword v15, v9, s[0:3], 0 offen offset:12
	buffer_load_dword v16, v9, s[0:3], 0 offen
	buffer_load_dword v17, v9, s[0:3], 0 offen offset:4
	ds_read_b128 v[10:13], v8
	v_add_nc_u32_e32 v7, 1, v7
	v_add_nc_u32_e32 v8, 16, v8
	;; [unrolled: 1-line block ×3, first 2 shown]
	v_cmp_lt_u32_e32 vcc_lo, 37, v7
	s_or_b32 s5, vcc_lo, s5
	s_waitcnt vmcnt(2) lgkmcnt(0)
	v_mul_f64 v[18:19], v[12:13], v[14:15]
	v_mul_f64 v[14:15], v[10:11], v[14:15]
	s_waitcnt vmcnt(0)
	v_fma_f64 v[10:11], v[10:11], v[16:17], -v[18:19]
	v_fma_f64 v[12:13], v[12:13], v[16:17], v[14:15]
	v_add_f64 v[3:4], v[3:4], v[10:11]
	v_add_f64 v[1:2], v[1:2], v[12:13]
	s_andn2_b32 exec_lo, exec_lo, s5
	s_cbranch_execnz .LBB60_181
; %bb.182:
	s_or_b32 exec_lo, exec_lo, s5
	v_mov_b32_e32 v7, 0
	ds_read_b128 v[7:10], v7 offset:624
	s_waitcnt lgkmcnt(0)
	v_mul_f64 v[11:12], v[1:2], v[9:10]
	v_mul_f64 v[9:10], v[3:4], v[9:10]
	v_fma_f64 v[3:4], v[3:4], v[7:8], -v[11:12]
	v_fma_f64 v[1:2], v[1:2], v[7:8], v[9:10]
	buffer_store_dword v4, off, s[0:3], 0 offset:644
	buffer_store_dword v3, off, s[0:3], 0 offset:640
	;; [unrolled: 1-line block ×4, first 2 shown]
.LBB60_183:
	s_or_b32 exec_lo, exec_lo, s4
	v_mov_b32_e32 v4, s35
	s_waitcnt_vscnt null, 0x0
	s_barrier
	buffer_gl0_inv
	s_mov_b32 s4, exec_lo
	s_clause 0x3
	buffer_load_dword v1, v4, s[0:3], 0 offen
	buffer_load_dword v2, v4, s[0:3], 0 offen offset:4
	buffer_load_dword v3, v4, s[0:3], 0 offen offset:8
	;; [unrolled: 1-line block ×3, first 2 shown]
	s_waitcnt vmcnt(0)
	ds_write_b128 v5, v[1:4]
	s_waitcnt lgkmcnt(0)
	s_barrier
	buffer_gl0_inv
	v_cmpx_gt_u32_e32 40, v0
	s_cbranch_execz .LBB60_187
; %bb.184:
	v_mov_b32_e32 v1, 0
	v_mov_b32_e32 v3, 0
	v_add_nc_u32_e32 v7, -1, v0
	v_add_nc_u32_e32 v8, 0x3d0, v247
	v_mov_b32_e32 v2, 0
	v_mov_b32_e32 v4, 0
	v_add_nc_u32_e32 v9, 16, v247
	s_mov_b32 s5, 0
	.p2align	6
.LBB60_185:                             ; =>This Inner Loop Header: Depth=1
	s_clause 0x3
	buffer_load_dword v14, v9, s[0:3], 0 offen offset:8
	buffer_load_dword v15, v9, s[0:3], 0 offen offset:12
	buffer_load_dword v16, v9, s[0:3], 0 offen
	buffer_load_dword v17, v9, s[0:3], 0 offen offset:4
	ds_read_b128 v[10:13], v8
	v_add_nc_u32_e32 v7, 1, v7
	v_add_nc_u32_e32 v8, 16, v8
	v_add_nc_u32_e32 v9, 16, v9
	v_cmp_lt_u32_e32 vcc_lo, 38, v7
	s_or_b32 s5, vcc_lo, s5
	s_waitcnt vmcnt(2) lgkmcnt(0)
	v_mul_f64 v[18:19], v[12:13], v[14:15]
	v_mul_f64 v[14:15], v[10:11], v[14:15]
	s_waitcnt vmcnt(0)
	v_fma_f64 v[10:11], v[10:11], v[16:17], -v[18:19]
	v_fma_f64 v[12:13], v[12:13], v[16:17], v[14:15]
	v_add_f64 v[3:4], v[3:4], v[10:11]
	v_add_f64 v[1:2], v[1:2], v[12:13]
	s_andn2_b32 exec_lo, exec_lo, s5
	s_cbranch_execnz .LBB60_185
; %bb.186:
	s_or_b32 exec_lo, exec_lo, s5
	v_mov_b32_e32 v7, 0
	ds_read_b128 v[7:10], v7 offset:640
	s_waitcnt lgkmcnt(0)
	v_mul_f64 v[11:12], v[1:2], v[9:10]
	v_mul_f64 v[9:10], v[3:4], v[9:10]
	v_fma_f64 v[3:4], v[3:4], v[7:8], -v[11:12]
	v_fma_f64 v[1:2], v[1:2], v[7:8], v[9:10]
	buffer_store_dword v4, off, s[0:3], 0 offset:660
	buffer_store_dword v3, off, s[0:3], 0 offset:656
	;; [unrolled: 1-line block ×4, first 2 shown]
.LBB60_187:
	s_or_b32 exec_lo, exec_lo, s4
	v_mov_b32_e32 v4, s34
	s_waitcnt_vscnt null, 0x0
	s_barrier
	buffer_gl0_inv
	s_mov_b32 s4, exec_lo
	s_clause 0x3
	buffer_load_dword v1, v4, s[0:3], 0 offen
	buffer_load_dword v2, v4, s[0:3], 0 offen offset:4
	buffer_load_dword v3, v4, s[0:3], 0 offen offset:8
	;; [unrolled: 1-line block ×3, first 2 shown]
	s_waitcnt vmcnt(0)
	ds_write_b128 v5, v[1:4]
	s_waitcnt lgkmcnt(0)
	s_barrier
	buffer_gl0_inv
	v_cmpx_gt_u32_e32 41, v0
	s_cbranch_execz .LBB60_191
; %bb.188:
	v_mov_b32_e32 v1, 0
	v_mov_b32_e32 v3, 0
	v_add_nc_u32_e32 v7, -1, v0
	v_add_nc_u32_e32 v8, 0x3d0, v247
	v_mov_b32_e32 v2, 0
	v_mov_b32_e32 v4, 0
	v_add_nc_u32_e32 v9, 16, v247
	s_mov_b32 s5, 0
	.p2align	6
.LBB60_189:                             ; =>This Inner Loop Header: Depth=1
	s_clause 0x3
	buffer_load_dword v14, v9, s[0:3], 0 offen offset:8
	buffer_load_dword v15, v9, s[0:3], 0 offen offset:12
	buffer_load_dword v16, v9, s[0:3], 0 offen
	buffer_load_dword v17, v9, s[0:3], 0 offen offset:4
	ds_read_b128 v[10:13], v8
	v_add_nc_u32_e32 v7, 1, v7
	v_add_nc_u32_e32 v8, 16, v8
	;; [unrolled: 1-line block ×3, first 2 shown]
	v_cmp_lt_u32_e32 vcc_lo, 39, v7
	s_or_b32 s5, vcc_lo, s5
	s_waitcnt vmcnt(2) lgkmcnt(0)
	v_mul_f64 v[18:19], v[12:13], v[14:15]
	v_mul_f64 v[14:15], v[10:11], v[14:15]
	s_waitcnt vmcnt(0)
	v_fma_f64 v[10:11], v[10:11], v[16:17], -v[18:19]
	v_fma_f64 v[12:13], v[12:13], v[16:17], v[14:15]
	v_add_f64 v[3:4], v[3:4], v[10:11]
	v_add_f64 v[1:2], v[1:2], v[12:13]
	s_andn2_b32 exec_lo, exec_lo, s5
	s_cbranch_execnz .LBB60_189
; %bb.190:
	s_or_b32 exec_lo, exec_lo, s5
	v_mov_b32_e32 v7, 0
	ds_read_b128 v[7:10], v7 offset:656
	s_waitcnt lgkmcnt(0)
	v_mul_f64 v[11:12], v[1:2], v[9:10]
	v_mul_f64 v[9:10], v[3:4], v[9:10]
	v_fma_f64 v[3:4], v[3:4], v[7:8], -v[11:12]
	v_fma_f64 v[1:2], v[1:2], v[7:8], v[9:10]
	buffer_store_dword v4, off, s[0:3], 0 offset:676
	buffer_store_dword v3, off, s[0:3], 0 offset:672
	;; [unrolled: 1-line block ×4, first 2 shown]
.LBB60_191:
	s_or_b32 exec_lo, exec_lo, s4
	v_mov_b32_e32 v4, s33
	s_waitcnt_vscnt null, 0x0
	s_barrier
	buffer_gl0_inv
	s_mov_b32 s4, exec_lo
	s_clause 0x3
	buffer_load_dword v1, v4, s[0:3], 0 offen
	buffer_load_dword v2, v4, s[0:3], 0 offen offset:4
	buffer_load_dword v3, v4, s[0:3], 0 offen offset:8
	buffer_load_dword v4, v4, s[0:3], 0 offen offset:12
	s_waitcnt vmcnt(0)
	ds_write_b128 v5, v[1:4]
	s_waitcnt lgkmcnt(0)
	s_barrier
	buffer_gl0_inv
	v_cmpx_gt_u32_e32 42, v0
	s_cbranch_execz .LBB60_195
; %bb.192:
	v_mov_b32_e32 v1, 0
	v_mov_b32_e32 v3, 0
	v_add_nc_u32_e32 v7, -1, v0
	v_add_nc_u32_e32 v8, 0x3d0, v247
	v_mov_b32_e32 v2, 0
	v_mov_b32_e32 v4, 0
	v_add_nc_u32_e32 v9, 16, v247
	s_mov_b32 s5, 0
	.p2align	6
.LBB60_193:                             ; =>This Inner Loop Header: Depth=1
	s_clause 0x3
	buffer_load_dword v14, v9, s[0:3], 0 offen offset:8
	buffer_load_dword v15, v9, s[0:3], 0 offen offset:12
	buffer_load_dword v16, v9, s[0:3], 0 offen
	buffer_load_dword v17, v9, s[0:3], 0 offen offset:4
	ds_read_b128 v[10:13], v8
	v_add_nc_u32_e32 v7, 1, v7
	v_add_nc_u32_e32 v8, 16, v8
	;; [unrolled: 1-line block ×3, first 2 shown]
	v_cmp_lt_u32_e32 vcc_lo, 40, v7
	s_or_b32 s5, vcc_lo, s5
	s_waitcnt vmcnt(2) lgkmcnt(0)
	v_mul_f64 v[18:19], v[12:13], v[14:15]
	v_mul_f64 v[14:15], v[10:11], v[14:15]
	s_waitcnt vmcnt(0)
	v_fma_f64 v[10:11], v[10:11], v[16:17], -v[18:19]
	v_fma_f64 v[12:13], v[12:13], v[16:17], v[14:15]
	v_add_f64 v[3:4], v[3:4], v[10:11]
	v_add_f64 v[1:2], v[1:2], v[12:13]
	s_andn2_b32 exec_lo, exec_lo, s5
	s_cbranch_execnz .LBB60_193
; %bb.194:
	s_or_b32 exec_lo, exec_lo, s5
	v_mov_b32_e32 v7, 0
	ds_read_b128 v[7:10], v7 offset:672
	s_waitcnt lgkmcnt(0)
	v_mul_f64 v[11:12], v[1:2], v[9:10]
	v_mul_f64 v[9:10], v[3:4], v[9:10]
	v_fma_f64 v[3:4], v[3:4], v[7:8], -v[11:12]
	v_fma_f64 v[1:2], v[1:2], v[7:8], v[9:10]
	buffer_store_dword v4, off, s[0:3], 0 offset:692
	buffer_store_dword v3, off, s[0:3], 0 offset:688
	buffer_store_dword v2, off, s[0:3], 0 offset:700
	buffer_store_dword v1, off, s[0:3], 0 offset:696
.LBB60_195:
	s_or_b32 exec_lo, exec_lo, s4
	v_mov_b32_e32 v4, s31
	s_waitcnt_vscnt null, 0x0
	s_barrier
	buffer_gl0_inv
	s_mov_b32 s4, exec_lo
	s_clause 0x3
	buffer_load_dword v1, v4, s[0:3], 0 offen
	buffer_load_dword v2, v4, s[0:3], 0 offen offset:4
	buffer_load_dword v3, v4, s[0:3], 0 offen offset:8
	;; [unrolled: 1-line block ×3, first 2 shown]
	s_waitcnt vmcnt(0)
	ds_write_b128 v5, v[1:4]
	s_waitcnt lgkmcnt(0)
	s_barrier
	buffer_gl0_inv
	v_cmpx_gt_u32_e32 43, v0
	s_cbranch_execz .LBB60_199
; %bb.196:
	v_mov_b32_e32 v1, 0
	v_mov_b32_e32 v3, 0
	v_add_nc_u32_e32 v7, -1, v0
	v_add_nc_u32_e32 v8, 0x3d0, v247
	v_mov_b32_e32 v2, 0
	v_mov_b32_e32 v4, 0
	v_add_nc_u32_e32 v9, 16, v247
	s_mov_b32 s5, 0
	.p2align	6
.LBB60_197:                             ; =>This Inner Loop Header: Depth=1
	s_clause 0x3
	buffer_load_dword v14, v9, s[0:3], 0 offen offset:8
	buffer_load_dword v15, v9, s[0:3], 0 offen offset:12
	buffer_load_dword v16, v9, s[0:3], 0 offen
	buffer_load_dword v17, v9, s[0:3], 0 offen offset:4
	ds_read_b128 v[10:13], v8
	v_add_nc_u32_e32 v7, 1, v7
	v_add_nc_u32_e32 v8, 16, v8
	;; [unrolled: 1-line block ×3, first 2 shown]
	v_cmp_lt_u32_e32 vcc_lo, 41, v7
	s_or_b32 s5, vcc_lo, s5
	s_waitcnt vmcnt(2) lgkmcnt(0)
	v_mul_f64 v[18:19], v[12:13], v[14:15]
	v_mul_f64 v[14:15], v[10:11], v[14:15]
	s_waitcnt vmcnt(0)
	v_fma_f64 v[10:11], v[10:11], v[16:17], -v[18:19]
	v_fma_f64 v[12:13], v[12:13], v[16:17], v[14:15]
	v_add_f64 v[3:4], v[3:4], v[10:11]
	v_add_f64 v[1:2], v[1:2], v[12:13]
	s_andn2_b32 exec_lo, exec_lo, s5
	s_cbranch_execnz .LBB60_197
; %bb.198:
	s_or_b32 exec_lo, exec_lo, s5
	v_mov_b32_e32 v7, 0
	ds_read_b128 v[7:10], v7 offset:688
	s_waitcnt lgkmcnt(0)
	v_mul_f64 v[11:12], v[1:2], v[9:10]
	v_mul_f64 v[9:10], v[3:4], v[9:10]
	v_fma_f64 v[3:4], v[3:4], v[7:8], -v[11:12]
	v_fma_f64 v[1:2], v[1:2], v[7:8], v[9:10]
	buffer_store_dword v4, off, s[0:3], 0 offset:708
	buffer_store_dword v3, off, s[0:3], 0 offset:704
	;; [unrolled: 1-line block ×4, first 2 shown]
.LBB60_199:
	s_or_b32 exec_lo, exec_lo, s4
	v_mov_b32_e32 v4, s30
	s_waitcnt_vscnt null, 0x0
	s_barrier
	buffer_gl0_inv
	s_mov_b32 s4, exec_lo
	s_clause 0x3
	buffer_load_dword v1, v4, s[0:3], 0 offen
	buffer_load_dword v2, v4, s[0:3], 0 offen offset:4
	buffer_load_dword v3, v4, s[0:3], 0 offen offset:8
	;; [unrolled: 1-line block ×3, first 2 shown]
	s_waitcnt vmcnt(0)
	ds_write_b128 v5, v[1:4]
	s_waitcnt lgkmcnt(0)
	s_barrier
	buffer_gl0_inv
	v_cmpx_gt_u32_e32 44, v0
	s_cbranch_execz .LBB60_203
; %bb.200:
	v_mov_b32_e32 v1, 0
	v_mov_b32_e32 v3, 0
	v_add_nc_u32_e32 v7, -1, v0
	v_add_nc_u32_e32 v8, 0x3d0, v247
	v_mov_b32_e32 v2, 0
	v_mov_b32_e32 v4, 0
	v_add_nc_u32_e32 v9, 16, v247
	s_mov_b32 s5, 0
	.p2align	6
.LBB60_201:                             ; =>This Inner Loop Header: Depth=1
	s_clause 0x3
	buffer_load_dword v14, v9, s[0:3], 0 offen offset:8
	buffer_load_dword v15, v9, s[0:3], 0 offen offset:12
	buffer_load_dword v16, v9, s[0:3], 0 offen
	buffer_load_dword v17, v9, s[0:3], 0 offen offset:4
	ds_read_b128 v[10:13], v8
	v_add_nc_u32_e32 v7, 1, v7
	v_add_nc_u32_e32 v8, 16, v8
	;; [unrolled: 1-line block ×3, first 2 shown]
	v_cmp_lt_u32_e32 vcc_lo, 42, v7
	s_or_b32 s5, vcc_lo, s5
	s_waitcnt vmcnt(2) lgkmcnt(0)
	v_mul_f64 v[18:19], v[12:13], v[14:15]
	v_mul_f64 v[14:15], v[10:11], v[14:15]
	s_waitcnt vmcnt(0)
	v_fma_f64 v[10:11], v[10:11], v[16:17], -v[18:19]
	v_fma_f64 v[12:13], v[12:13], v[16:17], v[14:15]
	v_add_f64 v[3:4], v[3:4], v[10:11]
	v_add_f64 v[1:2], v[1:2], v[12:13]
	s_andn2_b32 exec_lo, exec_lo, s5
	s_cbranch_execnz .LBB60_201
; %bb.202:
	s_or_b32 exec_lo, exec_lo, s5
	v_mov_b32_e32 v7, 0
	ds_read_b128 v[7:10], v7 offset:704
	s_waitcnt lgkmcnt(0)
	v_mul_f64 v[11:12], v[1:2], v[9:10]
	v_mul_f64 v[9:10], v[3:4], v[9:10]
	v_fma_f64 v[3:4], v[3:4], v[7:8], -v[11:12]
	v_fma_f64 v[1:2], v[1:2], v[7:8], v[9:10]
	buffer_store_dword v4, off, s[0:3], 0 offset:724
	buffer_store_dword v3, off, s[0:3], 0 offset:720
	;; [unrolled: 1-line block ×4, first 2 shown]
.LBB60_203:
	s_or_b32 exec_lo, exec_lo, s4
	v_mov_b32_e32 v4, s29
	s_waitcnt_vscnt null, 0x0
	s_barrier
	buffer_gl0_inv
	s_mov_b32 s4, exec_lo
	s_clause 0x3
	buffer_load_dword v1, v4, s[0:3], 0 offen
	buffer_load_dword v2, v4, s[0:3], 0 offen offset:4
	buffer_load_dword v3, v4, s[0:3], 0 offen offset:8
	;; [unrolled: 1-line block ×3, first 2 shown]
	s_waitcnt vmcnt(0)
	ds_write_b128 v5, v[1:4]
	s_waitcnt lgkmcnt(0)
	s_barrier
	buffer_gl0_inv
	v_cmpx_gt_u32_e32 45, v0
	s_cbranch_execz .LBB60_207
; %bb.204:
	v_mov_b32_e32 v1, 0
	v_mov_b32_e32 v3, 0
	v_add_nc_u32_e32 v7, -1, v0
	v_add_nc_u32_e32 v8, 0x3d0, v247
	v_mov_b32_e32 v2, 0
	v_mov_b32_e32 v4, 0
	v_add_nc_u32_e32 v9, 16, v247
	s_mov_b32 s5, 0
	.p2align	6
.LBB60_205:                             ; =>This Inner Loop Header: Depth=1
	s_clause 0x3
	buffer_load_dword v14, v9, s[0:3], 0 offen offset:8
	buffer_load_dword v15, v9, s[0:3], 0 offen offset:12
	buffer_load_dword v16, v9, s[0:3], 0 offen
	buffer_load_dword v17, v9, s[0:3], 0 offen offset:4
	ds_read_b128 v[10:13], v8
	v_add_nc_u32_e32 v7, 1, v7
	v_add_nc_u32_e32 v8, 16, v8
	;; [unrolled: 1-line block ×3, first 2 shown]
	v_cmp_lt_u32_e32 vcc_lo, 43, v7
	s_or_b32 s5, vcc_lo, s5
	s_waitcnt vmcnt(2) lgkmcnt(0)
	v_mul_f64 v[18:19], v[12:13], v[14:15]
	v_mul_f64 v[14:15], v[10:11], v[14:15]
	s_waitcnt vmcnt(0)
	v_fma_f64 v[10:11], v[10:11], v[16:17], -v[18:19]
	v_fma_f64 v[12:13], v[12:13], v[16:17], v[14:15]
	v_add_f64 v[3:4], v[3:4], v[10:11]
	v_add_f64 v[1:2], v[1:2], v[12:13]
	s_andn2_b32 exec_lo, exec_lo, s5
	s_cbranch_execnz .LBB60_205
; %bb.206:
	s_or_b32 exec_lo, exec_lo, s5
	v_mov_b32_e32 v7, 0
	ds_read_b128 v[7:10], v7 offset:720
	s_waitcnt lgkmcnt(0)
	v_mul_f64 v[11:12], v[1:2], v[9:10]
	v_mul_f64 v[9:10], v[3:4], v[9:10]
	v_fma_f64 v[3:4], v[3:4], v[7:8], -v[11:12]
	v_fma_f64 v[1:2], v[1:2], v[7:8], v[9:10]
	buffer_store_dword v4, off, s[0:3], 0 offset:740
	buffer_store_dword v3, off, s[0:3], 0 offset:736
	buffer_store_dword v2, off, s[0:3], 0 offset:748
	buffer_store_dword v1, off, s[0:3], 0 offset:744
.LBB60_207:
	s_or_b32 exec_lo, exec_lo, s4
	v_mov_b32_e32 v4, s28
	s_waitcnt_vscnt null, 0x0
	s_barrier
	buffer_gl0_inv
	s_mov_b32 s4, exec_lo
	s_clause 0x3
	buffer_load_dword v1, v4, s[0:3], 0 offen
	buffer_load_dword v2, v4, s[0:3], 0 offen offset:4
	buffer_load_dword v3, v4, s[0:3], 0 offen offset:8
	;; [unrolled: 1-line block ×3, first 2 shown]
	s_waitcnt vmcnt(0)
	ds_write_b128 v5, v[1:4]
	s_waitcnt lgkmcnt(0)
	s_barrier
	buffer_gl0_inv
	v_cmpx_gt_u32_e32 46, v0
	s_cbranch_execz .LBB60_211
; %bb.208:
	v_mov_b32_e32 v1, 0
	v_mov_b32_e32 v3, 0
	v_add_nc_u32_e32 v7, -1, v0
	v_add_nc_u32_e32 v8, 0x3d0, v247
	v_mov_b32_e32 v2, 0
	v_mov_b32_e32 v4, 0
	v_add_nc_u32_e32 v9, 16, v247
	s_mov_b32 s5, 0
	.p2align	6
.LBB60_209:                             ; =>This Inner Loop Header: Depth=1
	s_clause 0x3
	buffer_load_dword v14, v9, s[0:3], 0 offen offset:8
	buffer_load_dword v15, v9, s[0:3], 0 offen offset:12
	buffer_load_dword v16, v9, s[0:3], 0 offen
	buffer_load_dword v17, v9, s[0:3], 0 offen offset:4
	ds_read_b128 v[10:13], v8
	v_add_nc_u32_e32 v7, 1, v7
	v_add_nc_u32_e32 v8, 16, v8
	;; [unrolled: 1-line block ×3, first 2 shown]
	v_cmp_lt_u32_e32 vcc_lo, 44, v7
	s_or_b32 s5, vcc_lo, s5
	s_waitcnt vmcnt(2) lgkmcnt(0)
	v_mul_f64 v[18:19], v[12:13], v[14:15]
	v_mul_f64 v[14:15], v[10:11], v[14:15]
	s_waitcnt vmcnt(0)
	v_fma_f64 v[10:11], v[10:11], v[16:17], -v[18:19]
	v_fma_f64 v[12:13], v[12:13], v[16:17], v[14:15]
	v_add_f64 v[3:4], v[3:4], v[10:11]
	v_add_f64 v[1:2], v[1:2], v[12:13]
	s_andn2_b32 exec_lo, exec_lo, s5
	s_cbranch_execnz .LBB60_209
; %bb.210:
	s_or_b32 exec_lo, exec_lo, s5
	v_mov_b32_e32 v7, 0
	ds_read_b128 v[7:10], v7 offset:736
	s_waitcnt lgkmcnt(0)
	v_mul_f64 v[11:12], v[1:2], v[9:10]
	v_mul_f64 v[9:10], v[3:4], v[9:10]
	v_fma_f64 v[3:4], v[3:4], v[7:8], -v[11:12]
	v_fma_f64 v[1:2], v[1:2], v[7:8], v[9:10]
	buffer_store_dword v4, off, s[0:3], 0 offset:756
	buffer_store_dword v3, off, s[0:3], 0 offset:752
	;; [unrolled: 1-line block ×4, first 2 shown]
.LBB60_211:
	s_or_b32 exec_lo, exec_lo, s4
	v_mov_b32_e32 v4, s27
	s_waitcnt_vscnt null, 0x0
	s_barrier
	buffer_gl0_inv
	s_mov_b32 s4, exec_lo
	s_clause 0x3
	buffer_load_dword v1, v4, s[0:3], 0 offen
	buffer_load_dword v2, v4, s[0:3], 0 offen offset:4
	buffer_load_dword v3, v4, s[0:3], 0 offen offset:8
	;; [unrolled: 1-line block ×3, first 2 shown]
	s_waitcnt vmcnt(0)
	ds_write_b128 v5, v[1:4]
	s_waitcnt lgkmcnt(0)
	s_barrier
	buffer_gl0_inv
	v_cmpx_gt_u32_e32 47, v0
	s_cbranch_execz .LBB60_215
; %bb.212:
	v_mov_b32_e32 v1, 0
	v_mov_b32_e32 v3, 0
	v_add_nc_u32_e32 v7, -1, v0
	v_add_nc_u32_e32 v8, 0x3d0, v247
	v_mov_b32_e32 v2, 0
	v_mov_b32_e32 v4, 0
	v_add_nc_u32_e32 v9, 16, v247
	s_mov_b32 s5, 0
	.p2align	6
.LBB60_213:                             ; =>This Inner Loop Header: Depth=1
	s_clause 0x3
	buffer_load_dword v14, v9, s[0:3], 0 offen offset:8
	buffer_load_dword v15, v9, s[0:3], 0 offen offset:12
	buffer_load_dword v16, v9, s[0:3], 0 offen
	buffer_load_dword v17, v9, s[0:3], 0 offen offset:4
	ds_read_b128 v[10:13], v8
	v_add_nc_u32_e32 v7, 1, v7
	v_add_nc_u32_e32 v8, 16, v8
	;; [unrolled: 1-line block ×3, first 2 shown]
	v_cmp_lt_u32_e32 vcc_lo, 45, v7
	s_or_b32 s5, vcc_lo, s5
	s_waitcnt vmcnt(2) lgkmcnt(0)
	v_mul_f64 v[18:19], v[12:13], v[14:15]
	v_mul_f64 v[14:15], v[10:11], v[14:15]
	s_waitcnt vmcnt(0)
	v_fma_f64 v[10:11], v[10:11], v[16:17], -v[18:19]
	v_fma_f64 v[12:13], v[12:13], v[16:17], v[14:15]
	v_add_f64 v[3:4], v[3:4], v[10:11]
	v_add_f64 v[1:2], v[1:2], v[12:13]
	s_andn2_b32 exec_lo, exec_lo, s5
	s_cbranch_execnz .LBB60_213
; %bb.214:
	s_or_b32 exec_lo, exec_lo, s5
	v_mov_b32_e32 v7, 0
	ds_read_b128 v[7:10], v7 offset:752
	s_waitcnt lgkmcnt(0)
	v_mul_f64 v[11:12], v[1:2], v[9:10]
	v_mul_f64 v[9:10], v[3:4], v[9:10]
	v_fma_f64 v[3:4], v[3:4], v[7:8], -v[11:12]
	v_fma_f64 v[1:2], v[1:2], v[7:8], v[9:10]
	buffer_store_dword v4, off, s[0:3], 0 offset:772
	buffer_store_dword v3, off, s[0:3], 0 offset:768
	;; [unrolled: 1-line block ×4, first 2 shown]
.LBB60_215:
	s_or_b32 exec_lo, exec_lo, s4
	v_mov_b32_e32 v4, s26
	s_waitcnt_vscnt null, 0x0
	s_barrier
	buffer_gl0_inv
	s_mov_b32 s4, exec_lo
	s_clause 0x3
	buffer_load_dword v1, v4, s[0:3], 0 offen
	buffer_load_dword v2, v4, s[0:3], 0 offen offset:4
	buffer_load_dword v3, v4, s[0:3], 0 offen offset:8
	;; [unrolled: 1-line block ×3, first 2 shown]
	s_waitcnt vmcnt(0)
	ds_write_b128 v5, v[1:4]
	s_waitcnt lgkmcnt(0)
	s_barrier
	buffer_gl0_inv
	v_cmpx_gt_u32_e32 48, v0
	s_cbranch_execz .LBB60_219
; %bb.216:
	v_mov_b32_e32 v1, 0
	v_mov_b32_e32 v3, 0
	v_add_nc_u32_e32 v7, -1, v0
	v_add_nc_u32_e32 v8, 0x3d0, v247
	v_mov_b32_e32 v2, 0
	v_mov_b32_e32 v4, 0
	v_add_nc_u32_e32 v9, 16, v247
	s_mov_b32 s5, 0
	.p2align	6
.LBB60_217:                             ; =>This Inner Loop Header: Depth=1
	s_clause 0x3
	buffer_load_dword v14, v9, s[0:3], 0 offen offset:8
	buffer_load_dword v15, v9, s[0:3], 0 offen offset:12
	buffer_load_dword v16, v9, s[0:3], 0 offen
	buffer_load_dword v17, v9, s[0:3], 0 offen offset:4
	ds_read_b128 v[10:13], v8
	v_add_nc_u32_e32 v7, 1, v7
	v_add_nc_u32_e32 v8, 16, v8
	;; [unrolled: 1-line block ×3, first 2 shown]
	v_cmp_lt_u32_e32 vcc_lo, 46, v7
	s_or_b32 s5, vcc_lo, s5
	s_waitcnt vmcnt(2) lgkmcnt(0)
	v_mul_f64 v[18:19], v[12:13], v[14:15]
	v_mul_f64 v[14:15], v[10:11], v[14:15]
	s_waitcnt vmcnt(0)
	v_fma_f64 v[10:11], v[10:11], v[16:17], -v[18:19]
	v_fma_f64 v[12:13], v[12:13], v[16:17], v[14:15]
	v_add_f64 v[3:4], v[3:4], v[10:11]
	v_add_f64 v[1:2], v[1:2], v[12:13]
	s_andn2_b32 exec_lo, exec_lo, s5
	s_cbranch_execnz .LBB60_217
; %bb.218:
	s_or_b32 exec_lo, exec_lo, s5
	v_mov_b32_e32 v7, 0
	ds_read_b128 v[7:10], v7 offset:768
	s_waitcnt lgkmcnt(0)
	v_mul_f64 v[11:12], v[1:2], v[9:10]
	v_mul_f64 v[9:10], v[3:4], v[9:10]
	v_fma_f64 v[3:4], v[3:4], v[7:8], -v[11:12]
	v_fma_f64 v[1:2], v[1:2], v[7:8], v[9:10]
	buffer_store_dword v4, off, s[0:3], 0 offset:788
	buffer_store_dword v3, off, s[0:3], 0 offset:784
	;; [unrolled: 1-line block ×4, first 2 shown]
.LBB60_219:
	s_or_b32 exec_lo, exec_lo, s4
	v_mov_b32_e32 v4, s25
	s_waitcnt_vscnt null, 0x0
	s_barrier
	buffer_gl0_inv
	s_mov_b32 s4, exec_lo
	s_clause 0x3
	buffer_load_dword v1, v4, s[0:3], 0 offen
	buffer_load_dword v2, v4, s[0:3], 0 offen offset:4
	buffer_load_dword v3, v4, s[0:3], 0 offen offset:8
	;; [unrolled: 1-line block ×3, first 2 shown]
	s_waitcnt vmcnt(0)
	ds_write_b128 v5, v[1:4]
	s_waitcnt lgkmcnt(0)
	s_barrier
	buffer_gl0_inv
	v_cmpx_gt_u32_e32 49, v0
	s_cbranch_execz .LBB60_223
; %bb.220:
	v_mov_b32_e32 v1, 0
	v_mov_b32_e32 v3, 0
	v_add_nc_u32_e32 v7, -1, v0
	v_add_nc_u32_e32 v8, 0x3d0, v247
	v_mov_b32_e32 v2, 0
	v_mov_b32_e32 v4, 0
	v_add_nc_u32_e32 v9, 16, v247
	s_mov_b32 s5, 0
	.p2align	6
.LBB60_221:                             ; =>This Inner Loop Header: Depth=1
	s_clause 0x3
	buffer_load_dword v14, v9, s[0:3], 0 offen offset:8
	buffer_load_dword v15, v9, s[0:3], 0 offen offset:12
	buffer_load_dword v16, v9, s[0:3], 0 offen
	buffer_load_dword v17, v9, s[0:3], 0 offen offset:4
	ds_read_b128 v[10:13], v8
	v_add_nc_u32_e32 v7, 1, v7
	v_add_nc_u32_e32 v8, 16, v8
	;; [unrolled: 1-line block ×3, first 2 shown]
	v_cmp_lt_u32_e32 vcc_lo, 47, v7
	s_or_b32 s5, vcc_lo, s5
	s_waitcnt vmcnt(2) lgkmcnt(0)
	v_mul_f64 v[18:19], v[12:13], v[14:15]
	v_mul_f64 v[14:15], v[10:11], v[14:15]
	s_waitcnt vmcnt(0)
	v_fma_f64 v[10:11], v[10:11], v[16:17], -v[18:19]
	v_fma_f64 v[12:13], v[12:13], v[16:17], v[14:15]
	v_add_f64 v[3:4], v[3:4], v[10:11]
	v_add_f64 v[1:2], v[1:2], v[12:13]
	s_andn2_b32 exec_lo, exec_lo, s5
	s_cbranch_execnz .LBB60_221
; %bb.222:
	s_or_b32 exec_lo, exec_lo, s5
	v_mov_b32_e32 v7, 0
	ds_read_b128 v[7:10], v7 offset:784
	s_waitcnt lgkmcnt(0)
	v_mul_f64 v[11:12], v[1:2], v[9:10]
	v_mul_f64 v[9:10], v[3:4], v[9:10]
	v_fma_f64 v[3:4], v[3:4], v[7:8], -v[11:12]
	v_fma_f64 v[1:2], v[1:2], v[7:8], v[9:10]
	buffer_store_dword v4, off, s[0:3], 0 offset:804
	buffer_store_dword v3, off, s[0:3], 0 offset:800
	;; [unrolled: 1-line block ×4, first 2 shown]
.LBB60_223:
	s_or_b32 exec_lo, exec_lo, s4
	v_mov_b32_e32 v4, s24
	s_waitcnt_vscnt null, 0x0
	s_barrier
	buffer_gl0_inv
	s_mov_b32 s4, exec_lo
	s_clause 0x3
	buffer_load_dword v1, v4, s[0:3], 0 offen
	buffer_load_dword v2, v4, s[0:3], 0 offen offset:4
	buffer_load_dword v3, v4, s[0:3], 0 offen offset:8
	;; [unrolled: 1-line block ×3, first 2 shown]
	s_waitcnt vmcnt(0)
	ds_write_b128 v5, v[1:4]
	s_waitcnt lgkmcnt(0)
	s_barrier
	buffer_gl0_inv
	v_cmpx_gt_u32_e32 50, v0
	s_cbranch_execz .LBB60_227
; %bb.224:
	v_mov_b32_e32 v1, 0
	v_mov_b32_e32 v3, 0
	v_add_nc_u32_e32 v7, -1, v0
	v_add_nc_u32_e32 v8, 0x3d0, v247
	v_mov_b32_e32 v2, 0
	v_mov_b32_e32 v4, 0
	v_add_nc_u32_e32 v9, 16, v247
	s_mov_b32 s5, 0
	.p2align	6
.LBB60_225:                             ; =>This Inner Loop Header: Depth=1
	s_clause 0x3
	buffer_load_dword v14, v9, s[0:3], 0 offen offset:8
	buffer_load_dword v15, v9, s[0:3], 0 offen offset:12
	buffer_load_dword v16, v9, s[0:3], 0 offen
	buffer_load_dword v17, v9, s[0:3], 0 offen offset:4
	ds_read_b128 v[10:13], v8
	v_add_nc_u32_e32 v7, 1, v7
	v_add_nc_u32_e32 v8, 16, v8
	;; [unrolled: 1-line block ×3, first 2 shown]
	v_cmp_lt_u32_e32 vcc_lo, 48, v7
	s_or_b32 s5, vcc_lo, s5
	s_waitcnt vmcnt(2) lgkmcnt(0)
	v_mul_f64 v[18:19], v[12:13], v[14:15]
	v_mul_f64 v[14:15], v[10:11], v[14:15]
	s_waitcnt vmcnt(0)
	v_fma_f64 v[10:11], v[10:11], v[16:17], -v[18:19]
	v_fma_f64 v[12:13], v[12:13], v[16:17], v[14:15]
	v_add_f64 v[3:4], v[3:4], v[10:11]
	v_add_f64 v[1:2], v[1:2], v[12:13]
	s_andn2_b32 exec_lo, exec_lo, s5
	s_cbranch_execnz .LBB60_225
; %bb.226:
	s_or_b32 exec_lo, exec_lo, s5
	v_mov_b32_e32 v7, 0
	ds_read_b128 v[7:10], v7 offset:800
	s_waitcnt lgkmcnt(0)
	v_mul_f64 v[11:12], v[1:2], v[9:10]
	v_mul_f64 v[9:10], v[3:4], v[9:10]
	v_fma_f64 v[3:4], v[3:4], v[7:8], -v[11:12]
	v_fma_f64 v[1:2], v[1:2], v[7:8], v[9:10]
	buffer_store_dword v4, off, s[0:3], 0 offset:820
	buffer_store_dword v3, off, s[0:3], 0 offset:816
	;; [unrolled: 1-line block ×4, first 2 shown]
.LBB60_227:
	s_or_b32 exec_lo, exec_lo, s4
	v_mov_b32_e32 v4, s23
	s_waitcnt_vscnt null, 0x0
	s_barrier
	buffer_gl0_inv
	s_mov_b32 s4, exec_lo
	s_clause 0x3
	buffer_load_dword v1, v4, s[0:3], 0 offen
	buffer_load_dword v2, v4, s[0:3], 0 offen offset:4
	buffer_load_dword v3, v4, s[0:3], 0 offen offset:8
	;; [unrolled: 1-line block ×3, first 2 shown]
	s_waitcnt vmcnt(0)
	ds_write_b128 v5, v[1:4]
	s_waitcnt lgkmcnt(0)
	s_barrier
	buffer_gl0_inv
	v_cmpx_gt_u32_e32 51, v0
	s_cbranch_execz .LBB60_231
; %bb.228:
	v_mov_b32_e32 v1, 0
	v_mov_b32_e32 v3, 0
	v_add_nc_u32_e32 v7, -1, v0
	v_add_nc_u32_e32 v8, 0x3d0, v247
	v_mov_b32_e32 v2, 0
	v_mov_b32_e32 v4, 0
	v_add_nc_u32_e32 v9, 16, v247
	s_mov_b32 s5, 0
	.p2align	6
.LBB60_229:                             ; =>This Inner Loop Header: Depth=1
	s_clause 0x3
	buffer_load_dword v14, v9, s[0:3], 0 offen offset:8
	buffer_load_dword v15, v9, s[0:3], 0 offen offset:12
	buffer_load_dword v16, v9, s[0:3], 0 offen
	buffer_load_dword v17, v9, s[0:3], 0 offen offset:4
	ds_read_b128 v[10:13], v8
	v_add_nc_u32_e32 v7, 1, v7
	v_add_nc_u32_e32 v8, 16, v8
	;; [unrolled: 1-line block ×3, first 2 shown]
	v_cmp_lt_u32_e32 vcc_lo, 49, v7
	s_or_b32 s5, vcc_lo, s5
	s_waitcnt vmcnt(2) lgkmcnt(0)
	v_mul_f64 v[18:19], v[12:13], v[14:15]
	v_mul_f64 v[14:15], v[10:11], v[14:15]
	s_waitcnt vmcnt(0)
	v_fma_f64 v[10:11], v[10:11], v[16:17], -v[18:19]
	v_fma_f64 v[12:13], v[12:13], v[16:17], v[14:15]
	v_add_f64 v[3:4], v[3:4], v[10:11]
	v_add_f64 v[1:2], v[1:2], v[12:13]
	s_andn2_b32 exec_lo, exec_lo, s5
	s_cbranch_execnz .LBB60_229
; %bb.230:
	s_or_b32 exec_lo, exec_lo, s5
	v_mov_b32_e32 v7, 0
	ds_read_b128 v[7:10], v7 offset:816
	s_waitcnt lgkmcnt(0)
	v_mul_f64 v[11:12], v[1:2], v[9:10]
	v_mul_f64 v[9:10], v[3:4], v[9:10]
	v_fma_f64 v[3:4], v[3:4], v[7:8], -v[11:12]
	v_fma_f64 v[1:2], v[1:2], v[7:8], v[9:10]
	buffer_store_dword v4, off, s[0:3], 0 offset:836
	buffer_store_dword v3, off, s[0:3], 0 offset:832
	;; [unrolled: 1-line block ×4, first 2 shown]
.LBB60_231:
	s_or_b32 exec_lo, exec_lo, s4
	v_mov_b32_e32 v4, s22
	s_waitcnt_vscnt null, 0x0
	s_barrier
	buffer_gl0_inv
	s_mov_b32 s4, exec_lo
	s_clause 0x3
	buffer_load_dword v1, v4, s[0:3], 0 offen
	buffer_load_dword v2, v4, s[0:3], 0 offen offset:4
	buffer_load_dword v3, v4, s[0:3], 0 offen offset:8
	;; [unrolled: 1-line block ×3, first 2 shown]
	s_waitcnt vmcnt(0)
	ds_write_b128 v5, v[1:4]
	s_waitcnt lgkmcnt(0)
	s_barrier
	buffer_gl0_inv
	v_cmpx_gt_u32_e32 52, v0
	s_cbranch_execz .LBB60_235
; %bb.232:
	v_mov_b32_e32 v1, 0
	v_mov_b32_e32 v3, 0
	v_add_nc_u32_e32 v7, -1, v0
	v_add_nc_u32_e32 v8, 0x3d0, v247
	v_mov_b32_e32 v2, 0
	v_mov_b32_e32 v4, 0
	v_add_nc_u32_e32 v9, 16, v247
	s_mov_b32 s5, 0
	.p2align	6
.LBB60_233:                             ; =>This Inner Loop Header: Depth=1
	s_clause 0x3
	buffer_load_dword v14, v9, s[0:3], 0 offen offset:8
	buffer_load_dword v15, v9, s[0:3], 0 offen offset:12
	buffer_load_dword v16, v9, s[0:3], 0 offen
	buffer_load_dword v17, v9, s[0:3], 0 offen offset:4
	ds_read_b128 v[10:13], v8
	v_add_nc_u32_e32 v7, 1, v7
	v_add_nc_u32_e32 v8, 16, v8
	;; [unrolled: 1-line block ×3, first 2 shown]
	v_cmp_lt_u32_e32 vcc_lo, 50, v7
	s_or_b32 s5, vcc_lo, s5
	s_waitcnt vmcnt(2) lgkmcnt(0)
	v_mul_f64 v[18:19], v[12:13], v[14:15]
	v_mul_f64 v[14:15], v[10:11], v[14:15]
	s_waitcnt vmcnt(0)
	v_fma_f64 v[10:11], v[10:11], v[16:17], -v[18:19]
	v_fma_f64 v[12:13], v[12:13], v[16:17], v[14:15]
	v_add_f64 v[3:4], v[3:4], v[10:11]
	v_add_f64 v[1:2], v[1:2], v[12:13]
	s_andn2_b32 exec_lo, exec_lo, s5
	s_cbranch_execnz .LBB60_233
; %bb.234:
	s_or_b32 exec_lo, exec_lo, s5
	v_mov_b32_e32 v7, 0
	ds_read_b128 v[7:10], v7 offset:832
	s_waitcnt lgkmcnt(0)
	v_mul_f64 v[11:12], v[1:2], v[9:10]
	v_mul_f64 v[9:10], v[3:4], v[9:10]
	v_fma_f64 v[3:4], v[3:4], v[7:8], -v[11:12]
	v_fma_f64 v[1:2], v[1:2], v[7:8], v[9:10]
	buffer_store_dword v4, off, s[0:3], 0 offset:852
	buffer_store_dword v3, off, s[0:3], 0 offset:848
	;; [unrolled: 1-line block ×4, first 2 shown]
.LBB60_235:
	s_or_b32 exec_lo, exec_lo, s4
	v_mov_b32_e32 v4, s19
	s_waitcnt_vscnt null, 0x0
	s_barrier
	buffer_gl0_inv
	s_mov_b32 s4, exec_lo
	s_clause 0x3
	buffer_load_dword v1, v4, s[0:3], 0 offen
	buffer_load_dword v2, v4, s[0:3], 0 offen offset:4
	buffer_load_dword v3, v4, s[0:3], 0 offen offset:8
	;; [unrolled: 1-line block ×3, first 2 shown]
	s_waitcnt vmcnt(0)
	ds_write_b128 v5, v[1:4]
	s_waitcnt lgkmcnt(0)
	s_barrier
	buffer_gl0_inv
	v_cmpx_gt_u32_e32 53, v0
	s_cbranch_execz .LBB60_239
; %bb.236:
	v_mov_b32_e32 v1, 0
	v_mov_b32_e32 v3, 0
	v_add_nc_u32_e32 v7, -1, v0
	v_add_nc_u32_e32 v8, 0x3d0, v247
	v_mov_b32_e32 v2, 0
	v_mov_b32_e32 v4, 0
	v_add_nc_u32_e32 v9, 16, v247
	s_mov_b32 s5, 0
	.p2align	6
.LBB60_237:                             ; =>This Inner Loop Header: Depth=1
	s_clause 0x3
	buffer_load_dword v14, v9, s[0:3], 0 offen offset:8
	buffer_load_dword v15, v9, s[0:3], 0 offen offset:12
	buffer_load_dword v16, v9, s[0:3], 0 offen
	buffer_load_dword v17, v9, s[0:3], 0 offen offset:4
	ds_read_b128 v[10:13], v8
	v_add_nc_u32_e32 v7, 1, v7
	v_add_nc_u32_e32 v8, 16, v8
	;; [unrolled: 1-line block ×3, first 2 shown]
	v_cmp_lt_u32_e32 vcc_lo, 51, v7
	s_or_b32 s5, vcc_lo, s5
	s_waitcnt vmcnt(2) lgkmcnt(0)
	v_mul_f64 v[18:19], v[12:13], v[14:15]
	v_mul_f64 v[14:15], v[10:11], v[14:15]
	s_waitcnt vmcnt(0)
	v_fma_f64 v[10:11], v[10:11], v[16:17], -v[18:19]
	v_fma_f64 v[12:13], v[12:13], v[16:17], v[14:15]
	v_add_f64 v[3:4], v[3:4], v[10:11]
	v_add_f64 v[1:2], v[1:2], v[12:13]
	s_andn2_b32 exec_lo, exec_lo, s5
	s_cbranch_execnz .LBB60_237
; %bb.238:
	s_or_b32 exec_lo, exec_lo, s5
	v_mov_b32_e32 v7, 0
	ds_read_b128 v[7:10], v7 offset:848
	s_waitcnt lgkmcnt(0)
	v_mul_f64 v[11:12], v[1:2], v[9:10]
	v_mul_f64 v[9:10], v[3:4], v[9:10]
	v_fma_f64 v[3:4], v[3:4], v[7:8], -v[11:12]
	v_fma_f64 v[1:2], v[1:2], v[7:8], v[9:10]
	buffer_store_dword v4, off, s[0:3], 0 offset:868
	buffer_store_dword v3, off, s[0:3], 0 offset:864
	;; [unrolled: 1-line block ×4, first 2 shown]
.LBB60_239:
	s_or_b32 exec_lo, exec_lo, s4
	v_mov_b32_e32 v4, s18
	s_waitcnt_vscnt null, 0x0
	s_barrier
	buffer_gl0_inv
	s_mov_b32 s4, exec_lo
	s_clause 0x3
	buffer_load_dword v1, v4, s[0:3], 0 offen
	buffer_load_dword v2, v4, s[0:3], 0 offen offset:4
	buffer_load_dword v3, v4, s[0:3], 0 offen offset:8
	;; [unrolled: 1-line block ×3, first 2 shown]
	s_waitcnt vmcnt(0)
	ds_write_b128 v5, v[1:4]
	s_waitcnt lgkmcnt(0)
	s_barrier
	buffer_gl0_inv
	v_cmpx_gt_u32_e32 54, v0
	s_cbranch_execz .LBB60_243
; %bb.240:
	v_mov_b32_e32 v1, 0
	v_mov_b32_e32 v3, 0
	v_add_nc_u32_e32 v7, -1, v0
	v_add_nc_u32_e32 v8, 0x3d0, v247
	v_mov_b32_e32 v2, 0
	v_mov_b32_e32 v4, 0
	v_add_nc_u32_e32 v9, 16, v247
	s_mov_b32 s5, 0
	.p2align	6
.LBB60_241:                             ; =>This Inner Loop Header: Depth=1
	s_clause 0x3
	buffer_load_dword v14, v9, s[0:3], 0 offen offset:8
	buffer_load_dword v15, v9, s[0:3], 0 offen offset:12
	buffer_load_dword v16, v9, s[0:3], 0 offen
	buffer_load_dword v17, v9, s[0:3], 0 offen offset:4
	ds_read_b128 v[10:13], v8
	v_add_nc_u32_e32 v7, 1, v7
	v_add_nc_u32_e32 v8, 16, v8
	;; [unrolled: 1-line block ×3, first 2 shown]
	v_cmp_lt_u32_e32 vcc_lo, 52, v7
	s_or_b32 s5, vcc_lo, s5
	s_waitcnt vmcnt(2) lgkmcnt(0)
	v_mul_f64 v[18:19], v[12:13], v[14:15]
	v_mul_f64 v[14:15], v[10:11], v[14:15]
	s_waitcnt vmcnt(0)
	v_fma_f64 v[10:11], v[10:11], v[16:17], -v[18:19]
	v_fma_f64 v[12:13], v[12:13], v[16:17], v[14:15]
	v_add_f64 v[3:4], v[3:4], v[10:11]
	v_add_f64 v[1:2], v[1:2], v[12:13]
	s_andn2_b32 exec_lo, exec_lo, s5
	s_cbranch_execnz .LBB60_241
; %bb.242:
	s_or_b32 exec_lo, exec_lo, s5
	v_mov_b32_e32 v7, 0
	ds_read_b128 v[7:10], v7 offset:864
	s_waitcnt lgkmcnt(0)
	v_mul_f64 v[11:12], v[1:2], v[9:10]
	v_mul_f64 v[9:10], v[3:4], v[9:10]
	v_fma_f64 v[3:4], v[3:4], v[7:8], -v[11:12]
	v_fma_f64 v[1:2], v[1:2], v[7:8], v[9:10]
	buffer_store_dword v4, off, s[0:3], 0 offset:884
	buffer_store_dword v3, off, s[0:3], 0 offset:880
	;; [unrolled: 1-line block ×4, first 2 shown]
.LBB60_243:
	s_or_b32 exec_lo, exec_lo, s4
	v_mov_b32_e32 v4, s17
	s_waitcnt_vscnt null, 0x0
	s_barrier
	buffer_gl0_inv
	s_mov_b32 s4, exec_lo
	s_clause 0x3
	buffer_load_dword v1, v4, s[0:3], 0 offen
	buffer_load_dword v2, v4, s[0:3], 0 offen offset:4
	buffer_load_dword v3, v4, s[0:3], 0 offen offset:8
	;; [unrolled: 1-line block ×3, first 2 shown]
	s_waitcnt vmcnt(0)
	ds_write_b128 v5, v[1:4]
	s_waitcnt lgkmcnt(0)
	s_barrier
	buffer_gl0_inv
	v_cmpx_gt_u32_e32 55, v0
	s_cbranch_execz .LBB60_247
; %bb.244:
	v_mov_b32_e32 v1, 0
	v_mov_b32_e32 v3, 0
	v_add_nc_u32_e32 v7, -1, v0
	v_add_nc_u32_e32 v8, 0x3d0, v247
	v_mov_b32_e32 v2, 0
	v_mov_b32_e32 v4, 0
	v_add_nc_u32_e32 v9, 16, v247
	s_mov_b32 s5, 0
	.p2align	6
.LBB60_245:                             ; =>This Inner Loop Header: Depth=1
	s_clause 0x3
	buffer_load_dword v14, v9, s[0:3], 0 offen offset:8
	buffer_load_dword v15, v9, s[0:3], 0 offen offset:12
	buffer_load_dword v16, v9, s[0:3], 0 offen
	buffer_load_dword v17, v9, s[0:3], 0 offen offset:4
	ds_read_b128 v[10:13], v8
	v_add_nc_u32_e32 v7, 1, v7
	v_add_nc_u32_e32 v8, 16, v8
	;; [unrolled: 1-line block ×3, first 2 shown]
	v_cmp_lt_u32_e32 vcc_lo, 53, v7
	s_or_b32 s5, vcc_lo, s5
	s_waitcnt vmcnt(2) lgkmcnt(0)
	v_mul_f64 v[18:19], v[12:13], v[14:15]
	v_mul_f64 v[14:15], v[10:11], v[14:15]
	s_waitcnt vmcnt(0)
	v_fma_f64 v[10:11], v[10:11], v[16:17], -v[18:19]
	v_fma_f64 v[12:13], v[12:13], v[16:17], v[14:15]
	v_add_f64 v[3:4], v[3:4], v[10:11]
	v_add_f64 v[1:2], v[1:2], v[12:13]
	s_andn2_b32 exec_lo, exec_lo, s5
	s_cbranch_execnz .LBB60_245
; %bb.246:
	s_or_b32 exec_lo, exec_lo, s5
	v_mov_b32_e32 v7, 0
	ds_read_b128 v[7:10], v7 offset:880
	s_waitcnt lgkmcnt(0)
	v_mul_f64 v[11:12], v[1:2], v[9:10]
	v_mul_f64 v[9:10], v[3:4], v[9:10]
	v_fma_f64 v[3:4], v[3:4], v[7:8], -v[11:12]
	v_fma_f64 v[1:2], v[1:2], v[7:8], v[9:10]
	buffer_store_dword v4, off, s[0:3], 0 offset:900
	buffer_store_dword v3, off, s[0:3], 0 offset:896
	buffer_store_dword v2, off, s[0:3], 0 offset:908
	buffer_store_dword v1, off, s[0:3], 0 offset:904
.LBB60_247:
	s_or_b32 exec_lo, exec_lo, s4
	v_mov_b32_e32 v4, s16
	s_waitcnt_vscnt null, 0x0
	s_barrier
	buffer_gl0_inv
	s_mov_b32 s4, exec_lo
	s_clause 0x3
	buffer_load_dword v1, v4, s[0:3], 0 offen
	buffer_load_dword v2, v4, s[0:3], 0 offen offset:4
	buffer_load_dword v3, v4, s[0:3], 0 offen offset:8
	buffer_load_dword v4, v4, s[0:3], 0 offen offset:12
	s_waitcnt vmcnt(0)
	ds_write_b128 v5, v[1:4]
	s_waitcnt lgkmcnt(0)
	s_barrier
	buffer_gl0_inv
	v_cmpx_gt_u32_e32 56, v0
	s_cbranch_execz .LBB60_251
; %bb.248:
	v_mov_b32_e32 v1, 0
	v_mov_b32_e32 v3, 0
	v_add_nc_u32_e32 v7, -1, v0
	v_add_nc_u32_e32 v8, 0x3d0, v247
	v_mov_b32_e32 v2, 0
	v_mov_b32_e32 v4, 0
	v_add_nc_u32_e32 v9, 16, v247
	s_mov_b32 s5, 0
	.p2align	6
.LBB60_249:                             ; =>This Inner Loop Header: Depth=1
	s_clause 0x3
	buffer_load_dword v14, v9, s[0:3], 0 offen offset:8
	buffer_load_dword v15, v9, s[0:3], 0 offen offset:12
	buffer_load_dword v16, v9, s[0:3], 0 offen
	buffer_load_dword v17, v9, s[0:3], 0 offen offset:4
	ds_read_b128 v[10:13], v8
	v_add_nc_u32_e32 v7, 1, v7
	v_add_nc_u32_e32 v8, 16, v8
	;; [unrolled: 1-line block ×3, first 2 shown]
	v_cmp_lt_u32_e32 vcc_lo, 54, v7
	s_or_b32 s5, vcc_lo, s5
	s_waitcnt vmcnt(2) lgkmcnt(0)
	v_mul_f64 v[18:19], v[12:13], v[14:15]
	v_mul_f64 v[14:15], v[10:11], v[14:15]
	s_waitcnt vmcnt(0)
	v_fma_f64 v[10:11], v[10:11], v[16:17], -v[18:19]
	v_fma_f64 v[12:13], v[12:13], v[16:17], v[14:15]
	v_add_f64 v[3:4], v[3:4], v[10:11]
	v_add_f64 v[1:2], v[1:2], v[12:13]
	s_andn2_b32 exec_lo, exec_lo, s5
	s_cbranch_execnz .LBB60_249
; %bb.250:
	s_or_b32 exec_lo, exec_lo, s5
	v_mov_b32_e32 v7, 0
	ds_read_b128 v[7:10], v7 offset:896
	s_waitcnt lgkmcnt(0)
	v_mul_f64 v[11:12], v[1:2], v[9:10]
	v_mul_f64 v[9:10], v[3:4], v[9:10]
	v_fma_f64 v[3:4], v[3:4], v[7:8], -v[11:12]
	v_fma_f64 v[1:2], v[1:2], v[7:8], v[9:10]
	buffer_store_dword v4, off, s[0:3], 0 offset:916
	buffer_store_dword v3, off, s[0:3], 0 offset:912
	;; [unrolled: 1-line block ×4, first 2 shown]
.LBB60_251:
	s_or_b32 exec_lo, exec_lo, s4
	v_mov_b32_e32 v4, s15
	s_waitcnt_vscnt null, 0x0
	s_barrier
	buffer_gl0_inv
	s_mov_b32 s4, exec_lo
	s_clause 0x3
	buffer_load_dword v1, v4, s[0:3], 0 offen
	buffer_load_dword v2, v4, s[0:3], 0 offen offset:4
	buffer_load_dword v3, v4, s[0:3], 0 offen offset:8
	;; [unrolled: 1-line block ×3, first 2 shown]
	s_waitcnt vmcnt(0)
	ds_write_b128 v5, v[1:4]
	s_waitcnt lgkmcnt(0)
	s_barrier
	buffer_gl0_inv
	v_cmpx_gt_u32_e32 57, v0
	s_cbranch_execz .LBB60_255
; %bb.252:
	v_mov_b32_e32 v1, 0
	v_mov_b32_e32 v3, 0
	v_add_nc_u32_e32 v7, -1, v0
	v_add_nc_u32_e32 v8, 0x3d0, v247
	v_mov_b32_e32 v2, 0
	v_mov_b32_e32 v4, 0
	v_add_nc_u32_e32 v9, 16, v247
	s_mov_b32 s5, 0
	.p2align	6
.LBB60_253:                             ; =>This Inner Loop Header: Depth=1
	s_clause 0x3
	buffer_load_dword v14, v9, s[0:3], 0 offen offset:8
	buffer_load_dword v15, v9, s[0:3], 0 offen offset:12
	buffer_load_dword v16, v9, s[0:3], 0 offen
	buffer_load_dword v17, v9, s[0:3], 0 offen offset:4
	ds_read_b128 v[10:13], v8
	v_add_nc_u32_e32 v7, 1, v7
	v_add_nc_u32_e32 v8, 16, v8
	;; [unrolled: 1-line block ×3, first 2 shown]
	v_cmp_lt_u32_e32 vcc_lo, 55, v7
	s_or_b32 s5, vcc_lo, s5
	s_waitcnt vmcnt(2) lgkmcnt(0)
	v_mul_f64 v[18:19], v[12:13], v[14:15]
	v_mul_f64 v[14:15], v[10:11], v[14:15]
	s_waitcnt vmcnt(0)
	v_fma_f64 v[10:11], v[10:11], v[16:17], -v[18:19]
	v_fma_f64 v[12:13], v[12:13], v[16:17], v[14:15]
	v_add_f64 v[3:4], v[3:4], v[10:11]
	v_add_f64 v[1:2], v[1:2], v[12:13]
	s_andn2_b32 exec_lo, exec_lo, s5
	s_cbranch_execnz .LBB60_253
; %bb.254:
	s_or_b32 exec_lo, exec_lo, s5
	v_mov_b32_e32 v7, 0
	ds_read_b128 v[7:10], v7 offset:912
	s_waitcnt lgkmcnt(0)
	v_mul_f64 v[11:12], v[1:2], v[9:10]
	v_mul_f64 v[9:10], v[3:4], v[9:10]
	v_fma_f64 v[3:4], v[3:4], v[7:8], -v[11:12]
	v_fma_f64 v[1:2], v[1:2], v[7:8], v[9:10]
	buffer_store_dword v4, off, s[0:3], 0 offset:932
	buffer_store_dword v3, off, s[0:3], 0 offset:928
	;; [unrolled: 1-line block ×4, first 2 shown]
.LBB60_255:
	s_or_b32 exec_lo, exec_lo, s4
	v_mov_b32_e32 v4, s14
	s_waitcnt_vscnt null, 0x0
	s_barrier
	buffer_gl0_inv
	s_mov_b32 s4, exec_lo
	s_clause 0x3
	buffer_load_dword v1, v4, s[0:3], 0 offen
	buffer_load_dword v2, v4, s[0:3], 0 offen offset:4
	buffer_load_dword v3, v4, s[0:3], 0 offen offset:8
	;; [unrolled: 1-line block ×3, first 2 shown]
	s_waitcnt vmcnt(0)
	ds_write_b128 v5, v[1:4]
	s_waitcnt lgkmcnt(0)
	s_barrier
	buffer_gl0_inv
	v_cmpx_gt_u32_e32 58, v0
	s_cbranch_execz .LBB60_259
; %bb.256:
	v_mov_b32_e32 v1, 0
	v_mov_b32_e32 v3, 0
	v_add_nc_u32_e32 v7, -1, v0
	v_add_nc_u32_e32 v8, 0x3d0, v247
	v_mov_b32_e32 v2, 0
	v_mov_b32_e32 v4, 0
	v_add_nc_u32_e32 v9, 16, v247
	s_mov_b32 s5, 0
	.p2align	6
.LBB60_257:                             ; =>This Inner Loop Header: Depth=1
	s_clause 0x3
	buffer_load_dword v14, v9, s[0:3], 0 offen offset:8
	buffer_load_dword v15, v9, s[0:3], 0 offen offset:12
	buffer_load_dword v16, v9, s[0:3], 0 offen
	buffer_load_dword v17, v9, s[0:3], 0 offen offset:4
	ds_read_b128 v[10:13], v8
	v_add_nc_u32_e32 v7, 1, v7
	v_add_nc_u32_e32 v8, 16, v8
	;; [unrolled: 1-line block ×3, first 2 shown]
	v_cmp_lt_u32_e32 vcc_lo, 56, v7
	s_or_b32 s5, vcc_lo, s5
	s_waitcnt vmcnt(2) lgkmcnt(0)
	v_mul_f64 v[18:19], v[12:13], v[14:15]
	v_mul_f64 v[14:15], v[10:11], v[14:15]
	s_waitcnt vmcnt(0)
	v_fma_f64 v[10:11], v[10:11], v[16:17], -v[18:19]
	v_fma_f64 v[12:13], v[12:13], v[16:17], v[14:15]
	v_add_f64 v[3:4], v[3:4], v[10:11]
	v_add_f64 v[1:2], v[1:2], v[12:13]
	s_andn2_b32 exec_lo, exec_lo, s5
	s_cbranch_execnz .LBB60_257
; %bb.258:
	s_or_b32 exec_lo, exec_lo, s5
	v_mov_b32_e32 v7, 0
	ds_read_b128 v[7:10], v7 offset:928
	s_waitcnt lgkmcnt(0)
	v_mul_f64 v[11:12], v[1:2], v[9:10]
	v_mul_f64 v[9:10], v[3:4], v[9:10]
	v_fma_f64 v[3:4], v[3:4], v[7:8], -v[11:12]
	v_fma_f64 v[1:2], v[1:2], v[7:8], v[9:10]
	buffer_store_dword v4, off, s[0:3], 0 offset:948
	buffer_store_dword v3, off, s[0:3], 0 offset:944
	;; [unrolled: 1-line block ×4, first 2 shown]
.LBB60_259:
	s_or_b32 exec_lo, exec_lo, s4
	v_mov_b32_e32 v4, s13
	s_waitcnt_vscnt null, 0x0
	s_barrier
	buffer_gl0_inv
	s_mov_b32 s4, exec_lo
	s_clause 0x3
	buffer_load_dword v1, v4, s[0:3], 0 offen
	buffer_load_dword v2, v4, s[0:3], 0 offen offset:4
	buffer_load_dword v3, v4, s[0:3], 0 offen offset:8
	;; [unrolled: 1-line block ×3, first 2 shown]
	s_waitcnt vmcnt(0)
	ds_write_b128 v5, v[1:4]
	s_waitcnt lgkmcnt(0)
	s_barrier
	buffer_gl0_inv
	v_cmpx_gt_u32_e32 59, v0
	s_cbranch_execz .LBB60_263
; %bb.260:
	v_mov_b32_e32 v1, 0
	v_mov_b32_e32 v3, 0
	v_add_nc_u32_e32 v7, -1, v0
	v_add_nc_u32_e32 v8, 0x3d0, v247
	v_mov_b32_e32 v2, 0
	v_mov_b32_e32 v4, 0
	v_add_nc_u32_e32 v9, 16, v247
	s_mov_b32 s5, 0
	.p2align	6
.LBB60_261:                             ; =>This Inner Loop Header: Depth=1
	s_clause 0x3
	buffer_load_dword v14, v9, s[0:3], 0 offen offset:8
	buffer_load_dword v15, v9, s[0:3], 0 offen offset:12
	buffer_load_dword v16, v9, s[0:3], 0 offen
	buffer_load_dword v17, v9, s[0:3], 0 offen offset:4
	ds_read_b128 v[10:13], v8
	v_add_nc_u32_e32 v7, 1, v7
	v_add_nc_u32_e32 v8, 16, v8
	;; [unrolled: 1-line block ×3, first 2 shown]
	v_cmp_lt_u32_e32 vcc_lo, 57, v7
	s_or_b32 s5, vcc_lo, s5
	s_waitcnt vmcnt(2) lgkmcnt(0)
	v_mul_f64 v[18:19], v[12:13], v[14:15]
	v_mul_f64 v[14:15], v[10:11], v[14:15]
	s_waitcnt vmcnt(0)
	v_fma_f64 v[10:11], v[10:11], v[16:17], -v[18:19]
	v_fma_f64 v[12:13], v[12:13], v[16:17], v[14:15]
	v_add_f64 v[3:4], v[3:4], v[10:11]
	v_add_f64 v[1:2], v[1:2], v[12:13]
	s_andn2_b32 exec_lo, exec_lo, s5
	s_cbranch_execnz .LBB60_261
; %bb.262:
	s_or_b32 exec_lo, exec_lo, s5
	v_mov_b32_e32 v7, 0
	ds_read_b128 v[7:10], v7 offset:944
	s_waitcnt lgkmcnt(0)
	v_mul_f64 v[11:12], v[1:2], v[9:10]
	v_mul_f64 v[9:10], v[3:4], v[9:10]
	v_fma_f64 v[3:4], v[3:4], v[7:8], -v[11:12]
	v_fma_f64 v[1:2], v[1:2], v[7:8], v[9:10]
	buffer_store_dword v4, off, s[0:3], 0 offset:964
	buffer_store_dword v3, off, s[0:3], 0 offset:960
	buffer_store_dword v2, off, s[0:3], 0 offset:972
	buffer_store_dword v1, off, s[0:3], 0 offset:968
.LBB60_263:
	s_or_b32 exec_lo, exec_lo, s4
	v_mov_b32_e32 v4, s12
	s_waitcnt_vscnt null, 0x0
	s_barrier
	buffer_gl0_inv
	s_mov_b32 s4, exec_lo
	s_clause 0x3
	buffer_load_dword v1, v4, s[0:3], 0 offen
	buffer_load_dword v2, v4, s[0:3], 0 offen offset:4
	buffer_load_dword v3, v4, s[0:3], 0 offen offset:8
	buffer_load_dword v4, v4, s[0:3], 0 offen offset:12
	s_waitcnt vmcnt(0)
	ds_write_b128 v5, v[1:4]
	s_waitcnt lgkmcnt(0)
	s_barrier
	buffer_gl0_inv
	v_cmpx_ne_u32_e32 60, v0
	s_cbranch_execz .LBB60_267
; %bb.264:
	v_mov_b32_e32 v1, 0
	v_mov_b32_e32 v3, 0
	;; [unrolled: 1-line block ×4, first 2 shown]
	v_add_nc_u32_e32 v7, 16, v247
	s_mov_b32 s5, 0
	.p2align	6
.LBB60_265:                             ; =>This Inner Loop Header: Depth=1
	s_clause 0x3
	buffer_load_dword v12, v7, s[0:3], 0 offen offset:8
	buffer_load_dword v13, v7, s[0:3], 0 offen offset:12
	buffer_load_dword v14, v7, s[0:3], 0 offen
	buffer_load_dword v15, v7, s[0:3], 0 offen offset:4
	ds_read_b128 v[8:11], v5
	v_add_nc_u32_e32 v6, 1, v6
	v_add_nc_u32_e32 v5, 16, v5
	;; [unrolled: 1-line block ×3, first 2 shown]
	v_cmp_lt_u32_e32 vcc_lo, 58, v6
	s_or_b32 s5, vcc_lo, s5
	s_waitcnt vmcnt(2) lgkmcnt(0)
	v_mul_f64 v[16:17], v[10:11], v[12:13]
	v_mul_f64 v[12:13], v[8:9], v[12:13]
	s_waitcnt vmcnt(0)
	v_fma_f64 v[8:9], v[8:9], v[14:15], -v[16:17]
	v_fma_f64 v[10:11], v[10:11], v[14:15], v[12:13]
	v_add_f64 v[3:4], v[3:4], v[8:9]
	v_add_f64 v[1:2], v[1:2], v[10:11]
	s_andn2_b32 exec_lo, exec_lo, s5
	s_cbranch_execnz .LBB60_265
; %bb.266:
	s_or_b32 exec_lo, exec_lo, s5
	v_mov_b32_e32 v5, 0
	ds_read_b128 v[5:8], v5 offset:960
	s_waitcnt lgkmcnt(0)
	v_mul_f64 v[9:10], v[1:2], v[7:8]
	v_mul_f64 v[7:8], v[3:4], v[7:8]
	v_fma_f64 v[3:4], v[3:4], v[5:6], -v[9:10]
	v_fma_f64 v[1:2], v[1:2], v[5:6], v[7:8]
	buffer_store_dword v4, off, s[0:3], 0 offset:980
	buffer_store_dword v3, off, s[0:3], 0 offset:976
	;; [unrolled: 1-line block ×4, first 2 shown]
.LBB60_267:
	s_or_b32 exec_lo, exec_lo, s4
	s_mov_b32 s5, -1
	s_waitcnt_vscnt null, 0x0
	s_barrier
	buffer_gl0_inv
.LBB60_268:
	s_and_b32 vcc_lo, exec_lo, s5
	s_cbranch_vccz .LBB60_270
; %bb.269:
	s_lshl_b64 s[4:5], s[6:7], 2
	v_mov_b32_e32 v1, 0
	s_add_u32 s4, s10, s4
	s_addc_u32 s5, s11, s5
	global_load_dword v1, v1, s[4:5]
	s_waitcnt vmcnt(0)
	v_cmp_ne_u32_e32 vcc_lo, 0, v1
	s_cbranch_vccz .LBB60_271
.LBB60_270:
	s_endpgm
.LBB60_271:
	v_lshl_add_u32 v69, v0, 4, 0x3d0
	s_mov_b32 s4, exec_lo
	v_cmpx_eq_u32_e32 60, v0
	s_cbranch_execz .LBB60_273
; %bb.272:
	v_mov_b32_e32 v4, s13
	v_mov_b32_e32 v5, 0
	s_clause 0x3
	buffer_load_dword v1, v4, s[0:3], 0 offen
	buffer_load_dword v2, v4, s[0:3], 0 offen offset:4
	buffer_load_dword v3, v4, s[0:3], 0 offen offset:8
	;; [unrolled: 1-line block ×3, first 2 shown]
	buffer_store_dword v5, off, s[0:3], 0 offset:960
	buffer_store_dword v5, off, s[0:3], 0 offset:964
	;; [unrolled: 1-line block ×4, first 2 shown]
	s_waitcnt vmcnt(0)
	ds_write_b128 v69, v[1:4]
.LBB60_273:
	s_or_b32 exec_lo, exec_lo, s4
	s_waitcnt lgkmcnt(0)
	s_waitcnt_vscnt null, 0x0
	s_barrier
	buffer_gl0_inv
	s_clause 0x7
	buffer_load_dword v6, off, s[0:3], 0 offset:984
	buffer_load_dword v7, off, s[0:3], 0 offset:988
	buffer_load_dword v8, off, s[0:3], 0 offset:976
	buffer_load_dword v9, off, s[0:3], 0 offset:980
	buffer_load_dword v10, off, s[0:3], 0 offset:960
	buffer_load_dword v11, off, s[0:3], 0 offset:964
	buffer_load_dword v12, off, s[0:3], 0 offset:968
	buffer_load_dword v13, off, s[0:3], 0 offset:972
	v_mov_b32_e32 v1, 0
	s_mov_b32 s4, exec_lo
	ds_read_b128 v[2:5], v1 offset:1936
	s_waitcnt vmcnt(6) lgkmcnt(0)
	v_mul_f64 v[14:15], v[4:5], v[6:7]
	v_mul_f64 v[6:7], v[2:3], v[6:7]
	s_waitcnt vmcnt(4)
	v_fma_f64 v[2:3], v[2:3], v[8:9], -v[14:15]
	v_fma_f64 v[4:5], v[4:5], v[8:9], v[6:7]
	v_add_f64 v[2:3], v[2:3], 0
	v_add_f64 v[4:5], v[4:5], 0
	s_waitcnt vmcnt(2)
	v_add_f64 v[2:3], v[10:11], -v[2:3]
	s_waitcnt vmcnt(0)
	v_add_f64 v[4:5], v[12:13], -v[4:5]
	buffer_store_dword v2, off, s[0:3], 0 offset:960
	buffer_store_dword v3, off, s[0:3], 0 offset:964
	;; [unrolled: 1-line block ×4, first 2 shown]
	v_cmpx_lt_u32_e32 58, v0
	s_cbranch_execz .LBB60_275
; %bb.274:
	v_mov_b32_e32 v5, s14
	s_clause 0x3
	buffer_load_dword v2, v5, s[0:3], 0 offen
	buffer_load_dword v3, v5, s[0:3], 0 offen offset:4
	buffer_load_dword v4, v5, s[0:3], 0 offen offset:8
	;; [unrolled: 1-line block ×3, first 2 shown]
	buffer_store_dword v1, off, s[0:3], 0 offset:944
	buffer_store_dword v1, off, s[0:3], 0 offset:948
	;; [unrolled: 1-line block ×4, first 2 shown]
	s_waitcnt vmcnt(0)
	ds_write_b128 v69, v[2:5]
.LBB60_275:
	s_or_b32 exec_lo, exec_lo, s4
	s_waitcnt lgkmcnt(0)
	s_waitcnt_vscnt null, 0x0
	s_barrier
	buffer_gl0_inv
	s_clause 0xb
	buffer_load_dword v10, off, s[0:3], 0 offset:968
	buffer_load_dword v11, off, s[0:3], 0 offset:972
	;; [unrolled: 1-line block ×12, first 2 shown]
	ds_read_b128 v[2:5], v1 offset:1920
	ds_read_b128 v[6:9], v1 offset:1936
	s_mov_b32 s4, exec_lo
	s_waitcnt vmcnt(10) lgkmcnt(1)
	v_mul_f64 v[22:23], v[4:5], v[10:11]
	v_mul_f64 v[10:11], v[2:3], v[10:11]
	s_waitcnt vmcnt(8) lgkmcnt(0)
	v_mul_f64 v[24:25], v[8:9], v[12:13]
	v_mul_f64 v[12:13], v[6:7], v[12:13]
	s_waitcnt vmcnt(6)
	v_fma_f64 v[1:2], v[2:3], v[14:15], -v[22:23]
	v_fma_f64 v[3:4], v[4:5], v[14:15], v[10:11]
	s_waitcnt vmcnt(4)
	v_fma_f64 v[5:6], v[6:7], v[16:17], -v[24:25]
	v_fma_f64 v[7:8], v[8:9], v[16:17], v[12:13]
	v_add_f64 v[1:2], v[1:2], 0
	v_add_f64 v[3:4], v[3:4], 0
	;; [unrolled: 1-line block ×4, first 2 shown]
	s_waitcnt vmcnt(2)
	v_add_f64 v[1:2], v[18:19], -v[1:2]
	s_waitcnt vmcnt(0)
	v_add_f64 v[3:4], v[20:21], -v[3:4]
	buffer_store_dword v1, off, s[0:3], 0 offset:944
	buffer_store_dword v2, off, s[0:3], 0 offset:948
	;; [unrolled: 1-line block ×4, first 2 shown]
	v_cmpx_lt_u32_e32 57, v0
	s_cbranch_execz .LBB60_277
; %bb.276:
	v_mov_b32_e32 v4, s15
	v_mov_b32_e32 v5, 0
	s_clause 0x3
	buffer_load_dword v1, v4, s[0:3], 0 offen
	buffer_load_dword v2, v4, s[0:3], 0 offen offset:4
	buffer_load_dword v3, v4, s[0:3], 0 offen offset:8
	;; [unrolled: 1-line block ×3, first 2 shown]
	buffer_store_dword v5, off, s[0:3], 0 offset:928
	buffer_store_dword v5, off, s[0:3], 0 offset:932
	;; [unrolled: 1-line block ×4, first 2 shown]
	s_waitcnt vmcnt(0)
	ds_write_b128 v69, v[1:4]
.LBB60_277:
	s_or_b32 exec_lo, exec_lo, s4
	s_waitcnt lgkmcnt(0)
	s_waitcnt_vscnt null, 0x0
	s_barrier
	buffer_gl0_inv
	s_clause 0xf
	buffer_load_dword v10, off, s[0:3], 0 offset:952
	buffer_load_dword v11, off, s[0:3], 0 offset:956
	buffer_load_dword v14, off, s[0:3], 0 offset:968
	buffer_load_dword v15, off, s[0:3], 0 offset:972
	buffer_load_dword v16, off, s[0:3], 0 offset:944
	buffer_load_dword v17, off, s[0:3], 0 offset:948
	buffer_load_dword v18, off, s[0:3], 0 offset:984
	buffer_load_dword v19, off, s[0:3], 0 offset:988
	buffer_load_dword v20, off, s[0:3], 0 offset:960
	buffer_load_dword v21, off, s[0:3], 0 offset:964
	buffer_load_dword v22, off, s[0:3], 0 offset:976
	buffer_load_dword v23, off, s[0:3], 0 offset:980
	buffer_load_dword v24, off, s[0:3], 0 offset:928
	buffer_load_dword v25, off, s[0:3], 0 offset:932
	buffer_load_dword v26, off, s[0:3], 0 offset:936
	buffer_load_dword v27, off, s[0:3], 0 offset:940
	v_mov_b32_e32 v1, 0
	ds_read_b128 v[2:5], v1 offset:1904
	ds_read_b128 v[6:9], v1 offset:1920
	s_mov_b32 s4, exec_lo
	s_waitcnt vmcnt(14) lgkmcnt(1)
	v_mul_f64 v[28:29], v[4:5], v[10:11]
	v_mul_f64 v[30:31], v[2:3], v[10:11]
	s_waitcnt vmcnt(12) lgkmcnt(0)
	v_mul_f64 v[32:33], v[8:9], v[14:15]
	ds_read_b128 v[10:13], v1 offset:1936
	v_mul_f64 v[14:15], v[6:7], v[14:15]
	s_waitcnt vmcnt(10)
	v_fma_f64 v[2:3], v[2:3], v[16:17], -v[28:29]
	v_fma_f64 v[4:5], v[4:5], v[16:17], v[30:31]
	s_waitcnt vmcnt(8) lgkmcnt(0)
	v_mul_f64 v[16:17], v[10:11], v[18:19]
	v_mul_f64 v[18:19], v[12:13], v[18:19]
	s_waitcnt vmcnt(6)
	v_fma_f64 v[6:7], v[6:7], v[20:21], -v[32:33]
	v_fma_f64 v[8:9], v[8:9], v[20:21], v[14:15]
	v_add_f64 v[2:3], v[2:3], 0
	v_add_f64 v[4:5], v[4:5], 0
	s_waitcnt vmcnt(4)
	v_fma_f64 v[10:11], v[10:11], v[22:23], -v[18:19]
	v_add_f64 v[2:3], v[2:3], v[6:7]
	v_fma_f64 v[6:7], v[12:13], v[22:23], v[16:17]
	v_add_f64 v[4:5], v[4:5], v[8:9]
	v_add_f64 v[2:3], v[2:3], v[10:11]
	;; [unrolled: 1-line block ×3, first 2 shown]
	s_waitcnt vmcnt(2)
	v_add_f64 v[2:3], v[24:25], -v[2:3]
	s_waitcnt vmcnt(0)
	v_add_f64 v[4:5], v[26:27], -v[4:5]
	buffer_store_dword v2, off, s[0:3], 0 offset:928
	buffer_store_dword v3, off, s[0:3], 0 offset:932
	;; [unrolled: 1-line block ×4, first 2 shown]
	v_cmpx_lt_u32_e32 56, v0
	s_cbranch_execz .LBB60_279
; %bb.278:
	v_mov_b32_e32 v5, s16
	s_clause 0x3
	buffer_load_dword v2, v5, s[0:3], 0 offen
	buffer_load_dword v3, v5, s[0:3], 0 offen offset:4
	buffer_load_dword v4, v5, s[0:3], 0 offen offset:8
	;; [unrolled: 1-line block ×3, first 2 shown]
	buffer_store_dword v1, off, s[0:3], 0 offset:912
	buffer_store_dword v1, off, s[0:3], 0 offset:916
	;; [unrolled: 1-line block ×4, first 2 shown]
	s_waitcnt vmcnt(0)
	ds_write_b128 v69, v[2:5]
.LBB60_279:
	s_or_b32 exec_lo, exec_lo, s4
	s_waitcnt lgkmcnt(0)
	s_waitcnt_vscnt null, 0x0
	s_barrier
	buffer_gl0_inv
	s_clause 0x13
	buffer_load_dword v10, off, s[0:3], 0 offset:936
	buffer_load_dword v11, off, s[0:3], 0 offset:940
	;; [unrolled: 1-line block ×20, first 2 shown]
	ds_read_b128 v[2:5], v1 offset:1888
	ds_read_b128 v[6:9], v1 offset:1904
	s_mov_b32 s4, exec_lo
	s_waitcnt vmcnt(18) lgkmcnt(1)
	v_mul_f64 v[32:33], v[4:5], v[10:11]
	v_mul_f64 v[34:35], v[2:3], v[10:11]
	s_waitcnt vmcnt(16) lgkmcnt(0)
	v_mul_f64 v[36:37], v[8:9], v[14:15]
	ds_read_b128 v[10:13], v1 offset:1920
	v_mul_f64 v[14:15], v[6:7], v[14:15]
	s_waitcnt vmcnt(14)
	v_fma_f64 v[32:33], v[2:3], v[16:17], -v[32:33]
	v_fma_f64 v[16:17], v[4:5], v[16:17], v[34:35]
	s_waitcnt vmcnt(12) lgkmcnt(0)
	v_mul_f64 v[34:35], v[10:11], v[18:19]
	v_mul_f64 v[18:19], v[12:13], v[18:19]
	s_waitcnt vmcnt(10)
	v_fma_f64 v[5:6], v[6:7], v[20:21], -v[36:37]
	ds_read_b128 v[1:4], v1 offset:1936
	v_fma_f64 v[7:8], v[8:9], v[20:21], v[14:15]
	v_add_f64 v[32:33], v[32:33], 0
	v_add_f64 v[14:15], v[16:17], 0
	s_waitcnt vmcnt(8) lgkmcnt(0)
	v_mul_f64 v[20:21], v[3:4], v[22:23]
	s_waitcnt vmcnt(6)
	v_fma_f64 v[9:10], v[10:11], v[24:25], -v[18:19]
	v_mul_f64 v[16:17], v[1:2], v[22:23]
	v_fma_f64 v[11:12], v[12:13], v[24:25], v[34:35]
	v_add_f64 v[5:6], v[32:33], v[5:6]
	v_add_f64 v[7:8], v[14:15], v[7:8]
	s_waitcnt vmcnt(4)
	v_fma_f64 v[1:2], v[1:2], v[26:27], -v[20:21]
	v_fma_f64 v[3:4], v[3:4], v[26:27], v[16:17]
	v_add_f64 v[5:6], v[5:6], v[9:10]
	v_add_f64 v[7:8], v[7:8], v[11:12]
	;; [unrolled: 1-line block ×4, first 2 shown]
	s_waitcnt vmcnt(2)
	v_add_f64 v[1:2], v[28:29], -v[1:2]
	s_waitcnt vmcnt(0)
	v_add_f64 v[3:4], v[30:31], -v[3:4]
	buffer_store_dword v1, off, s[0:3], 0 offset:912
	buffer_store_dword v2, off, s[0:3], 0 offset:916
	;; [unrolled: 1-line block ×4, first 2 shown]
	v_cmpx_lt_u32_e32 55, v0
	s_cbranch_execz .LBB60_281
; %bb.280:
	v_mov_b32_e32 v4, s17
	v_mov_b32_e32 v5, 0
	s_clause 0x3
	buffer_load_dword v1, v4, s[0:3], 0 offen
	buffer_load_dword v2, v4, s[0:3], 0 offen offset:4
	buffer_load_dword v3, v4, s[0:3], 0 offen offset:8
	;; [unrolled: 1-line block ×3, first 2 shown]
	buffer_store_dword v5, off, s[0:3], 0 offset:896
	buffer_store_dword v5, off, s[0:3], 0 offset:900
	;; [unrolled: 1-line block ×4, first 2 shown]
	s_waitcnt vmcnt(0)
	ds_write_b128 v69, v[1:4]
.LBB60_281:
	s_or_b32 exec_lo, exec_lo, s4
	s_waitcnt lgkmcnt(0)
	s_waitcnt_vscnt null, 0x0
	s_barrier
	buffer_gl0_inv
	s_clause 0x17
	buffer_load_dword v10, off, s[0:3], 0 offset:920
	buffer_load_dword v11, off, s[0:3], 0 offset:924
	;; [unrolled: 1-line block ×24, first 2 shown]
	v_mov_b32_e32 v1, 0
	ds_read_b128 v[2:5], v1 offset:1872
	ds_read_b128 v[6:9], v1 offset:1888
	s_mov_b32 s4, exec_lo
	s_waitcnt vmcnt(22) lgkmcnt(1)
	v_mul_f64 v[36:37], v[4:5], v[10:11]
	v_mul_f64 v[38:39], v[2:3], v[10:11]
	s_waitcnt vmcnt(20) lgkmcnt(0)
	v_mul_f64 v[40:41], v[8:9], v[14:15]
	ds_read_b128 v[10:13], v1 offset:1904
	v_mul_f64 v[14:15], v[6:7], v[14:15]
	s_waitcnt vmcnt(18)
	v_fma_f64 v[36:37], v[2:3], v[16:17], -v[36:37]
	v_fma_f64 v[16:17], v[4:5], v[16:17], v[38:39]
	ds_read_b128 v[2:5], v1 offset:1920
	s_waitcnt vmcnt(16) lgkmcnt(1)
	v_mul_f64 v[38:39], v[10:11], v[18:19]
	v_mul_f64 v[18:19], v[12:13], v[18:19]
	s_waitcnt vmcnt(14)
	v_fma_f64 v[40:41], v[6:7], v[20:21], -v[40:41]
	v_fma_f64 v[14:15], v[8:9], v[20:21], v[14:15]
	ds_read_b128 v[6:9], v1 offset:1936
	s_waitcnt vmcnt(10) lgkmcnt(1)
	v_mul_f64 v[20:21], v[2:3], v[22:23]
	v_add_f64 v[36:37], v[36:37], 0
	v_add_f64 v[16:17], v[16:17], 0
	v_mul_f64 v[22:23], v[4:5], v[22:23]
	s_waitcnt vmcnt(8)
	v_fma_f64 v[10:11], v[10:11], v[28:29], -v[18:19]
	v_fma_f64 v[12:13], v[12:13], v[28:29], v[38:39]
	s_waitcnt vmcnt(5)
	v_fma_f64 v[4:5], v[4:5], v[30:31], v[20:21]
	v_add_f64 v[18:19], v[36:37], v[40:41]
	v_add_f64 v[14:15], v[16:17], v[14:15]
	s_waitcnt lgkmcnt(0)
	v_mul_f64 v[16:17], v[6:7], v[24:25]
	v_mul_f64 v[24:25], v[8:9], v[24:25]
	v_fma_f64 v[2:3], v[2:3], v[30:31], -v[22:23]
	v_add_f64 v[10:11], v[18:19], v[10:11]
	v_add_f64 v[12:13], v[14:15], v[12:13]
	s_waitcnt vmcnt(4)
	v_fma_f64 v[8:9], v[8:9], v[26:27], v[16:17]
	v_fma_f64 v[6:7], v[6:7], v[26:27], -v[24:25]
	v_add_f64 v[2:3], v[10:11], v[2:3]
	v_add_f64 v[4:5], v[12:13], v[4:5]
	;; [unrolled: 1-line block ×4, first 2 shown]
	s_waitcnt vmcnt(2)
	v_add_f64 v[2:3], v[32:33], -v[2:3]
	s_waitcnt vmcnt(0)
	v_add_f64 v[4:5], v[34:35], -v[4:5]
	buffer_store_dword v3, off, s[0:3], 0 offset:900
	buffer_store_dword v2, off, s[0:3], 0 offset:896
	;; [unrolled: 1-line block ×4, first 2 shown]
	v_cmpx_lt_u32_e32 54, v0
	s_cbranch_execz .LBB60_283
; %bb.282:
	v_mov_b32_e32 v5, s18
	s_clause 0x3
	buffer_load_dword v2, v5, s[0:3], 0 offen
	buffer_load_dword v3, v5, s[0:3], 0 offen offset:4
	buffer_load_dword v4, v5, s[0:3], 0 offen offset:8
	;; [unrolled: 1-line block ×3, first 2 shown]
	buffer_store_dword v1, off, s[0:3], 0 offset:880
	buffer_store_dword v1, off, s[0:3], 0 offset:884
	;; [unrolled: 1-line block ×4, first 2 shown]
	s_waitcnt vmcnt(0)
	ds_write_b128 v69, v[2:5]
.LBB60_283:
	s_or_b32 exec_lo, exec_lo, s4
	s_waitcnt lgkmcnt(0)
	s_waitcnt_vscnt null, 0x0
	s_barrier
	buffer_gl0_inv
	s_clause 0x1b
	buffer_load_dword v10, off, s[0:3], 0 offset:904
	buffer_load_dword v11, off, s[0:3], 0 offset:908
	;; [unrolled: 1-line block ×28, first 2 shown]
	ds_read_b128 v[2:5], v1 offset:1856
	ds_read_b128 v[6:9], v1 offset:1872
	s_mov_b32 s4, exec_lo
	s_waitcnt vmcnt(26) lgkmcnt(1)
	v_mul_f64 v[40:41], v[4:5], v[10:11]
	v_mul_f64 v[42:43], v[2:3], v[10:11]
	s_waitcnt vmcnt(24) lgkmcnt(0)
	v_mul_f64 v[44:45], v[8:9], v[14:15]
	ds_read_b128 v[10:13], v1 offset:1888
	v_mul_f64 v[14:15], v[6:7], v[14:15]
	s_waitcnt vmcnt(22)
	v_fma_f64 v[40:41], v[2:3], v[16:17], -v[40:41]
	v_fma_f64 v[16:17], v[4:5], v[16:17], v[42:43]
	ds_read_b128 v[2:5], v1 offset:1904
	s_waitcnt vmcnt(20) lgkmcnt(1)
	v_mul_f64 v[42:43], v[10:11], v[18:19]
	v_mul_f64 v[18:19], v[12:13], v[18:19]
	s_waitcnt vmcnt(18)
	v_fma_f64 v[44:45], v[6:7], v[20:21], -v[44:45]
	v_fma_f64 v[14:15], v[8:9], v[20:21], v[14:15]
	ds_read_b128 v[6:9], v1 offset:1920
	s_waitcnt vmcnt(14) lgkmcnt(1)
	v_mul_f64 v[20:21], v[2:3], v[22:23]
	v_add_f64 v[40:41], v[40:41], 0
	v_add_f64 v[16:17], v[16:17], 0
	v_mul_f64 v[22:23], v[4:5], v[22:23]
	s_waitcnt vmcnt(12)
	v_fma_f64 v[18:19], v[10:11], v[28:29], -v[18:19]
	v_fma_f64 v[28:29], v[12:13], v[28:29], v[42:43]
	ds_read_b128 v[10:13], v1 offset:1936
	v_add_f64 v[40:41], v[40:41], v[44:45]
	v_add_f64 v[14:15], v[16:17], v[14:15]
	s_waitcnt vmcnt(11) lgkmcnt(1)
	v_mul_f64 v[16:17], v[6:7], v[24:25]
	v_mul_f64 v[24:25], v[8:9], v[24:25]
	s_waitcnt vmcnt(9)
	v_fma_f64 v[1:2], v[2:3], v[30:31], -v[22:23]
	v_fma_f64 v[3:4], v[4:5], v[30:31], v[20:21]
	s_waitcnt vmcnt(7) lgkmcnt(0)
	v_mul_f64 v[22:23], v[12:13], v[32:33]
	v_mul_f64 v[20:21], v[10:11], v[32:33]
	v_add_f64 v[18:19], v[40:41], v[18:19]
	v_add_f64 v[14:15], v[14:15], v[28:29]
	s_waitcnt vmcnt(6)
	v_fma_f64 v[5:6], v[6:7], v[26:27], -v[24:25]
	v_fma_f64 v[7:8], v[8:9], v[26:27], v[16:17]
	s_waitcnt vmcnt(4)
	v_fma_f64 v[9:10], v[10:11], v[34:35], -v[22:23]
	v_add_f64 v[1:2], v[18:19], v[1:2]
	v_add_f64 v[3:4], v[14:15], v[3:4]
	;; [unrolled: 1-line block ×3, first 2 shown]
	v_fma_f64 v[5:6], v[12:13], v[34:35], v[20:21]
	v_add_f64 v[3:4], v[3:4], v[7:8]
	v_add_f64 v[1:2], v[1:2], v[9:10]
	;; [unrolled: 1-line block ×3, first 2 shown]
	s_waitcnt vmcnt(2)
	v_add_f64 v[1:2], v[36:37], -v[1:2]
	s_waitcnt vmcnt(0)
	v_add_f64 v[3:4], v[38:39], -v[3:4]
	buffer_store_dword v2, off, s[0:3], 0 offset:884
	buffer_store_dword v1, off, s[0:3], 0 offset:880
	;; [unrolled: 1-line block ×4, first 2 shown]
	v_cmpx_lt_u32_e32 53, v0
	s_cbranch_execz .LBB60_285
; %bb.284:
	v_mov_b32_e32 v4, s19
	v_mov_b32_e32 v5, 0
	s_clause 0x3
	buffer_load_dword v1, v4, s[0:3], 0 offen
	buffer_load_dword v2, v4, s[0:3], 0 offen offset:4
	buffer_load_dword v3, v4, s[0:3], 0 offen offset:8
	;; [unrolled: 1-line block ×3, first 2 shown]
	buffer_store_dword v5, off, s[0:3], 0 offset:864
	buffer_store_dword v5, off, s[0:3], 0 offset:868
	;; [unrolled: 1-line block ×4, first 2 shown]
	s_waitcnt vmcnt(0)
	ds_write_b128 v69, v[1:4]
.LBB60_285:
	s_or_b32 exec_lo, exec_lo, s4
	s_waitcnt lgkmcnt(0)
	s_waitcnt_vscnt null, 0x0
	s_barrier
	buffer_gl0_inv
	s_clause 0x1f
	buffer_load_dword v10, off, s[0:3], 0 offset:888
	buffer_load_dword v11, off, s[0:3], 0 offset:892
	;; [unrolled: 1-line block ×32, first 2 shown]
	v_mov_b32_e32 v1, 0
	ds_read_b128 v[2:5], v1 offset:1840
	ds_read_b128 v[6:9], v1 offset:1856
	s_mov_b32 s4, exec_lo
	s_waitcnt vmcnt(30) lgkmcnt(1)
	v_mul_f64 v[44:45], v[4:5], v[10:11]
	v_mul_f64 v[46:47], v[2:3], v[10:11]
	s_waitcnt vmcnt(28) lgkmcnt(0)
	v_mul_f64 v[48:49], v[8:9], v[14:15]
	ds_read_b128 v[10:13], v1 offset:1872
	v_mul_f64 v[14:15], v[6:7], v[14:15]
	s_waitcnt vmcnt(26)
	v_fma_f64 v[44:45], v[2:3], v[16:17], -v[44:45]
	v_fma_f64 v[16:17], v[4:5], v[16:17], v[46:47]
	ds_read_b128 v[2:5], v1 offset:1888
	s_waitcnt vmcnt(24) lgkmcnt(1)
	v_mul_f64 v[46:47], v[10:11], v[18:19]
	v_mul_f64 v[18:19], v[12:13], v[18:19]
	s_waitcnt vmcnt(22)
	v_fma_f64 v[48:49], v[6:7], v[20:21], -v[48:49]
	v_fma_f64 v[14:15], v[8:9], v[20:21], v[14:15]
	ds_read_b128 v[6:9], v1 offset:1904
	s_waitcnt vmcnt(18) lgkmcnt(1)
	v_mul_f64 v[20:21], v[2:3], v[22:23]
	v_add_f64 v[44:45], v[44:45], 0
	v_add_f64 v[16:17], v[16:17], 0
	v_mul_f64 v[22:23], v[4:5], v[22:23]
	s_waitcnt vmcnt(16)
	v_fma_f64 v[18:19], v[10:11], v[28:29], -v[18:19]
	v_fma_f64 v[28:29], v[12:13], v[28:29], v[46:47]
	ds_read_b128 v[10:13], v1 offset:1920
	s_waitcnt vmcnt(13)
	v_fma_f64 v[20:21], v[4:5], v[30:31], v[20:21]
	v_add_f64 v[44:45], v[44:45], v[48:49]
	v_add_f64 v[14:15], v[16:17], v[14:15]
	s_waitcnt lgkmcnt(1)
	v_mul_f64 v[16:17], v[6:7], v[24:25]
	v_mul_f64 v[24:25], v[8:9], v[24:25]
	v_fma_f64 v[22:23], v[2:3], v[30:31], -v[22:23]
	s_waitcnt vmcnt(9) lgkmcnt(0)
	v_mul_f64 v[30:31], v[12:13], v[32:33]
	ds_read_b128 v[2:5], v1 offset:1936
	v_add_f64 v[18:19], v[44:45], v[18:19]
	v_add_f64 v[14:15], v[14:15], v[28:29]
	v_mul_f64 v[28:29], v[10:11], v[32:33]
	s_waitcnt vmcnt(8)
	v_fma_f64 v[6:7], v[6:7], v[26:27], -v[24:25]
	v_fma_f64 v[8:9], v[8:9], v[26:27], v[16:17]
	s_waitcnt vmcnt(5)
	v_fma_f64 v[10:11], v[10:11], v[38:39], -v[30:31]
	s_waitcnt lgkmcnt(0)
	v_mul_f64 v[16:17], v[2:3], v[34:35]
	v_add_f64 v[18:19], v[18:19], v[22:23]
	v_add_f64 v[14:15], v[14:15], v[20:21]
	v_mul_f64 v[20:21], v[4:5], v[34:35]
	v_fma_f64 v[12:13], v[12:13], v[38:39], v[28:29]
	s_waitcnt vmcnt(4)
	v_fma_f64 v[4:5], v[4:5], v[36:37], v[16:17]
	v_add_f64 v[6:7], v[18:19], v[6:7]
	v_add_f64 v[8:9], v[14:15], v[8:9]
	v_fma_f64 v[2:3], v[2:3], v[36:37], -v[20:21]
	v_add_f64 v[6:7], v[6:7], v[10:11]
	v_add_f64 v[8:9], v[8:9], v[12:13]
	;; [unrolled: 1-line block ×4, first 2 shown]
	s_waitcnt vmcnt(2)
	v_add_f64 v[2:3], v[40:41], -v[2:3]
	s_waitcnt vmcnt(0)
	v_add_f64 v[4:5], v[42:43], -v[4:5]
	buffer_store_dword v3, off, s[0:3], 0 offset:868
	buffer_store_dword v2, off, s[0:3], 0 offset:864
	;; [unrolled: 1-line block ×4, first 2 shown]
	v_cmpx_lt_u32_e32 52, v0
	s_cbranch_execz .LBB60_287
; %bb.286:
	v_mov_b32_e32 v5, s22
	s_clause 0x3
	buffer_load_dword v2, v5, s[0:3], 0 offen
	buffer_load_dword v3, v5, s[0:3], 0 offen offset:4
	buffer_load_dword v4, v5, s[0:3], 0 offen offset:8
	;; [unrolled: 1-line block ×3, first 2 shown]
	buffer_store_dword v1, off, s[0:3], 0 offset:848
	buffer_store_dword v1, off, s[0:3], 0 offset:852
	;; [unrolled: 1-line block ×4, first 2 shown]
	s_waitcnt vmcnt(0)
	ds_write_b128 v69, v[2:5]
.LBB60_287:
	s_or_b32 exec_lo, exec_lo, s4
	s_waitcnt lgkmcnt(0)
	s_waitcnt_vscnt null, 0x0
	s_barrier
	buffer_gl0_inv
	s_clause 0x23
	buffer_load_dword v10, off, s[0:3], 0 offset:872
	buffer_load_dword v11, off, s[0:3], 0 offset:876
	;; [unrolled: 1-line block ×36, first 2 shown]
	ds_read_b128 v[2:5], v1 offset:1824
	ds_read_b128 v[6:9], v1 offset:1840
	s_mov_b32 s4, exec_lo
	s_waitcnt vmcnt(34) lgkmcnt(1)
	v_mul_f64 v[48:49], v[4:5], v[10:11]
	v_mul_f64 v[50:51], v[2:3], v[10:11]
	s_waitcnt vmcnt(32) lgkmcnt(0)
	v_mul_f64 v[52:53], v[8:9], v[14:15]
	ds_read_b128 v[10:13], v1 offset:1856
	v_mul_f64 v[14:15], v[6:7], v[14:15]
	s_waitcnt vmcnt(30)
	v_fma_f64 v[48:49], v[2:3], v[16:17], -v[48:49]
	v_fma_f64 v[16:17], v[4:5], v[16:17], v[50:51]
	ds_read_b128 v[2:5], v1 offset:1872
	s_waitcnt vmcnt(28) lgkmcnt(1)
	v_mul_f64 v[50:51], v[10:11], v[18:19]
	v_mul_f64 v[18:19], v[12:13], v[18:19]
	s_waitcnt vmcnt(26)
	v_fma_f64 v[52:53], v[6:7], v[20:21], -v[52:53]
	v_fma_f64 v[14:15], v[8:9], v[20:21], v[14:15]
	ds_read_b128 v[6:9], v1 offset:1888
	s_waitcnt vmcnt(22) lgkmcnt(1)
	v_mul_f64 v[20:21], v[2:3], v[22:23]
	v_add_f64 v[48:49], v[48:49], 0
	v_add_f64 v[16:17], v[16:17], 0
	v_mul_f64 v[22:23], v[4:5], v[22:23]
	s_waitcnt vmcnt(20)
	v_fma_f64 v[18:19], v[10:11], v[28:29], -v[18:19]
	v_fma_f64 v[28:29], v[12:13], v[28:29], v[50:51]
	ds_read_b128 v[10:13], v1 offset:1904
	s_waitcnt vmcnt(17)
	v_fma_f64 v[20:21], v[4:5], v[30:31], v[20:21]
	v_add_f64 v[48:49], v[48:49], v[52:53]
	v_add_f64 v[14:15], v[16:17], v[14:15]
	s_waitcnt lgkmcnt(1)
	v_mul_f64 v[16:17], v[6:7], v[24:25]
	v_mul_f64 v[24:25], v[8:9], v[24:25]
	v_fma_f64 v[22:23], v[2:3], v[30:31], -v[22:23]
	s_waitcnt vmcnt(13) lgkmcnt(0)
	v_mul_f64 v[30:31], v[12:13], v[32:33]
	ds_read_b128 v[2:5], v1 offset:1920
	v_add_f64 v[18:19], v[48:49], v[18:19]
	v_add_f64 v[14:15], v[14:15], v[28:29]
	v_mul_f64 v[28:29], v[10:11], v[32:33]
	s_waitcnt vmcnt(12)
	v_fma_f64 v[24:25], v[6:7], v[26:27], -v[24:25]
	v_fma_f64 v[16:17], v[8:9], v[26:27], v[16:17]
	ds_read_b128 v[6:9], v1 offset:1936
	s_waitcnt vmcnt(9)
	v_fma_f64 v[10:11], v[10:11], v[38:39], -v[30:31]
	v_add_f64 v[18:19], v[18:19], v[22:23]
	v_add_f64 v[14:15], v[14:15], v[20:21]
	s_waitcnt lgkmcnt(1)
	v_mul_f64 v[22:23], v[4:5], v[34:35]
	v_mul_f64 v[20:21], v[2:3], v[34:35]
	v_fma_f64 v[12:13], v[12:13], v[38:39], v[28:29]
	v_add_f64 v[18:19], v[18:19], v[24:25]
	v_add_f64 v[14:15], v[14:15], v[16:17]
	s_waitcnt vmcnt(7) lgkmcnt(0)
	v_mul_f64 v[24:25], v[8:9], v[40:41]
	s_waitcnt vmcnt(6)
	v_fma_f64 v[1:2], v[2:3], v[36:37], -v[22:23]
	v_mul_f64 v[16:17], v[6:7], v[40:41]
	v_fma_f64 v[3:4], v[4:5], v[36:37], v[20:21]
	v_add_f64 v[10:11], v[18:19], v[10:11]
	v_add_f64 v[12:13], v[14:15], v[12:13]
	s_waitcnt vmcnt(4)
	v_fma_f64 v[5:6], v[6:7], v[42:43], -v[24:25]
	v_fma_f64 v[7:8], v[8:9], v[42:43], v[16:17]
	v_add_f64 v[1:2], v[10:11], v[1:2]
	v_add_f64 v[3:4], v[12:13], v[3:4]
	;; [unrolled: 1-line block ×4, first 2 shown]
	s_waitcnt vmcnt(2)
	v_add_f64 v[1:2], v[44:45], -v[1:2]
	s_waitcnt vmcnt(0)
	v_add_f64 v[3:4], v[46:47], -v[3:4]
	buffer_store_dword v2, off, s[0:3], 0 offset:852
	buffer_store_dword v1, off, s[0:3], 0 offset:848
	;; [unrolled: 1-line block ×4, first 2 shown]
	v_cmpx_lt_u32_e32 51, v0
	s_cbranch_execz .LBB60_289
; %bb.288:
	v_mov_b32_e32 v4, s23
	v_mov_b32_e32 v5, 0
	s_clause 0x3
	buffer_load_dword v1, v4, s[0:3], 0 offen
	buffer_load_dword v2, v4, s[0:3], 0 offen offset:4
	buffer_load_dword v3, v4, s[0:3], 0 offen offset:8
	;; [unrolled: 1-line block ×3, first 2 shown]
	buffer_store_dword v5, off, s[0:3], 0 offset:832
	buffer_store_dword v5, off, s[0:3], 0 offset:836
	;; [unrolled: 1-line block ×4, first 2 shown]
	s_waitcnt vmcnt(0)
	ds_write_b128 v69, v[1:4]
.LBB60_289:
	s_or_b32 exec_lo, exec_lo, s4
	s_waitcnt lgkmcnt(0)
	s_waitcnt_vscnt null, 0x0
	s_barrier
	buffer_gl0_inv
	s_clause 0x27
	buffer_load_dword v10, off, s[0:3], 0 offset:856
	buffer_load_dword v11, off, s[0:3], 0 offset:860
	buffer_load_dword v14, off, s[0:3], 0 offset:872
	buffer_load_dword v15, off, s[0:3], 0 offset:876
	buffer_load_dword v16, off, s[0:3], 0 offset:848
	buffer_load_dword v17, off, s[0:3], 0 offset:852
	buffer_load_dword v18, off, s[0:3], 0 offset:888
	buffer_load_dword v19, off, s[0:3], 0 offset:892
	buffer_load_dword v20, off, s[0:3], 0 offset:864
	buffer_load_dword v21, off, s[0:3], 0 offset:868
	buffer_load_dword v23, off, s[0:3], 0 offset:908
	buffer_load_dword v24, off, s[0:3], 0 offset:920
	buffer_load_dword v26, off, s[0:3], 0 offset:912
	buffer_load_dword v22, off, s[0:3], 0 offset:904
	buffer_load_dword v28, off, s[0:3], 0 offset:880
	buffer_load_dword v29, off, s[0:3], 0 offset:884
	buffer_load_dword v25, off, s[0:3], 0 offset:924
	buffer_load_dword v31, off, s[0:3], 0 offset:900
	buffer_load_dword v30, off, s[0:3], 0 offset:896
	buffer_load_dword v33, off, s[0:3], 0 offset:940
	buffer_load_dword v34, off, s[0:3], 0 offset:952
	buffer_load_dword v36, off, s[0:3], 0 offset:944
	buffer_load_dword v32, off, s[0:3], 0 offset:936
	buffer_load_dword v27, off, s[0:3], 0 offset:916
	buffer_load_dword v35, off, s[0:3], 0 offset:956
	buffer_load_dword v39, off, s[0:3], 0 offset:932
	buffer_load_dword v38, off, s[0:3], 0 offset:928
	buffer_load_dword v41, off, s[0:3], 0 offset:972
	buffer_load_dword v42, off, s[0:3], 0 offset:984
	buffer_load_dword v44, off, s[0:3], 0 offset:976
	buffer_load_dword v40, off, s[0:3], 0 offset:968
	buffer_load_dword v37, off, s[0:3], 0 offset:948
	buffer_load_dword v43, off, s[0:3], 0 offset:988
	buffer_load_dword v47, off, s[0:3], 0 offset:964
	buffer_load_dword v46, off, s[0:3], 0 offset:960
	buffer_load_dword v45, off, s[0:3], 0 offset:980
	buffer_load_dword v48, off, s[0:3], 0 offset:832
	buffer_load_dword v49, off, s[0:3], 0 offset:836
	buffer_load_dword v50, off, s[0:3], 0 offset:840
	buffer_load_dword v51, off, s[0:3], 0 offset:844
	v_mov_b32_e32 v1, 0
	ds_read_b128 v[2:5], v1 offset:1808
	ds_read_b128 v[6:9], v1 offset:1824
	s_mov_b32 s4, exec_lo
	s_waitcnt vmcnt(38) lgkmcnt(1)
	v_mul_f64 v[52:53], v[4:5], v[10:11]
	v_mul_f64 v[54:55], v[2:3], v[10:11]
	s_waitcnt vmcnt(36) lgkmcnt(0)
	v_mul_f64 v[56:57], v[8:9], v[14:15]
	ds_read_b128 v[10:13], v1 offset:1840
	v_mul_f64 v[14:15], v[6:7], v[14:15]
	s_waitcnt vmcnt(34)
	v_fma_f64 v[52:53], v[2:3], v[16:17], -v[52:53]
	v_fma_f64 v[16:17], v[4:5], v[16:17], v[54:55]
	ds_read_b128 v[2:5], v1 offset:1856
	s_waitcnt vmcnt(32) lgkmcnt(1)
	v_mul_f64 v[54:55], v[10:11], v[18:19]
	v_mul_f64 v[18:19], v[12:13], v[18:19]
	s_waitcnt vmcnt(30)
	v_fma_f64 v[56:57], v[6:7], v[20:21], -v[56:57]
	v_fma_f64 v[14:15], v[8:9], v[20:21], v[14:15]
	ds_read_b128 v[6:9], v1 offset:1872
	s_waitcnt vmcnt(26) lgkmcnt(1)
	v_mul_f64 v[20:21], v[2:3], v[22:23]
	v_add_f64 v[52:53], v[52:53], 0
	v_add_f64 v[16:17], v[16:17], 0
	v_mul_f64 v[22:23], v[4:5], v[22:23]
	s_waitcnt vmcnt(24)
	v_fma_f64 v[18:19], v[10:11], v[28:29], -v[18:19]
	v_fma_f64 v[28:29], v[12:13], v[28:29], v[54:55]
	ds_read_b128 v[10:13], v1 offset:1888
	s_waitcnt vmcnt(21)
	v_fma_f64 v[20:21], v[4:5], v[30:31], v[20:21]
	v_add_f64 v[52:53], v[52:53], v[56:57]
	v_add_f64 v[14:15], v[16:17], v[14:15]
	s_waitcnt lgkmcnt(1)
	v_mul_f64 v[16:17], v[6:7], v[24:25]
	v_mul_f64 v[24:25], v[8:9], v[24:25]
	v_fma_f64 v[22:23], v[2:3], v[30:31], -v[22:23]
	s_waitcnt vmcnt(17) lgkmcnt(0)
	v_mul_f64 v[30:31], v[12:13], v[32:33]
	ds_read_b128 v[2:5], v1 offset:1904
	v_add_f64 v[18:19], v[52:53], v[18:19]
	v_add_f64 v[14:15], v[14:15], v[28:29]
	v_mul_f64 v[28:29], v[10:11], v[32:33]
	s_waitcnt vmcnt(16)
	v_fma_f64 v[24:25], v[6:7], v[26:27], -v[24:25]
	v_fma_f64 v[16:17], v[8:9], v[26:27], v[16:17]
	ds_read_b128 v[6:9], v1 offset:1920
	s_waitcnt vmcnt(13)
	v_fma_f64 v[26:27], v[10:11], v[38:39], -v[30:31]
	v_add_f64 v[18:19], v[18:19], v[22:23]
	v_add_f64 v[14:15], v[14:15], v[20:21]
	s_waitcnt lgkmcnt(1)
	v_mul_f64 v[22:23], v[4:5], v[34:35]
	v_mul_f64 v[20:21], v[2:3], v[34:35]
	v_add_f64 v[18:19], v[18:19], v[24:25]
	v_fma_f64 v[24:25], v[12:13], v[38:39], v[28:29]
	v_add_f64 v[14:15], v[14:15], v[16:17]
	s_waitcnt vmcnt(9) lgkmcnt(0)
	v_mul_f64 v[28:29], v[8:9], v[40:41]
	s_waitcnt vmcnt(8)
	v_fma_f64 v[2:3], v[2:3], v[36:37], -v[22:23]
	ds_read_b128 v[10:13], v1 offset:1936
	v_mul_f64 v[16:17], v[6:7], v[40:41]
	v_fma_f64 v[4:5], v[4:5], v[36:37], v[20:21]
	v_add_f64 v[18:19], v[18:19], v[26:27]
	v_add_f64 v[14:15], v[14:15], v[24:25]
	s_waitcnt vmcnt(7) lgkmcnt(0)
	v_mul_f64 v[22:23], v[12:13], v[42:43]
	s_waitcnt vmcnt(5)
	v_fma_f64 v[6:7], v[6:7], v[46:47], -v[28:29]
	v_mul_f64 v[20:21], v[10:11], v[42:43]
	v_fma_f64 v[8:9], v[8:9], v[46:47], v[16:17]
	v_add_f64 v[2:3], v[18:19], v[2:3]
	v_add_f64 v[4:5], v[14:15], v[4:5]
	s_waitcnt vmcnt(4)
	v_fma_f64 v[10:11], v[10:11], v[44:45], -v[22:23]
	v_add_f64 v[2:3], v[2:3], v[6:7]
	v_fma_f64 v[6:7], v[12:13], v[44:45], v[20:21]
	v_add_f64 v[4:5], v[4:5], v[8:9]
	v_add_f64 v[2:3], v[2:3], v[10:11]
	;; [unrolled: 1-line block ×3, first 2 shown]
	s_waitcnt vmcnt(2)
	v_add_f64 v[2:3], v[48:49], -v[2:3]
	s_waitcnt vmcnt(0)
	v_add_f64 v[4:5], v[50:51], -v[4:5]
	buffer_store_dword v3, off, s[0:3], 0 offset:836
	buffer_store_dword v2, off, s[0:3], 0 offset:832
	;; [unrolled: 1-line block ×4, first 2 shown]
	v_cmpx_lt_u32_e32 50, v0
	s_cbranch_execz .LBB60_291
; %bb.290:
	v_mov_b32_e32 v5, s24
	s_clause 0x3
	buffer_load_dword v2, v5, s[0:3], 0 offen
	buffer_load_dword v3, v5, s[0:3], 0 offen offset:4
	buffer_load_dword v4, v5, s[0:3], 0 offen offset:8
	;; [unrolled: 1-line block ×3, first 2 shown]
	buffer_store_dword v1, off, s[0:3], 0 offset:816
	buffer_store_dword v1, off, s[0:3], 0 offset:820
	;; [unrolled: 1-line block ×4, first 2 shown]
	s_waitcnt vmcnt(0)
	ds_write_b128 v69, v[2:5]
.LBB60_291:
	s_or_b32 exec_lo, exec_lo, s4
	s_waitcnt lgkmcnt(0)
	s_waitcnt_vscnt null, 0x0
	s_barrier
	buffer_gl0_inv
	s_clause 0x2b
	buffer_load_dword v10, off, s[0:3], 0 offset:840
	buffer_load_dword v11, off, s[0:3], 0 offset:844
	;; [unrolled: 1-line block ×44, first 2 shown]
	ds_read_b128 v[2:5], v1 offset:1792
	ds_read_b128 v[6:9], v1 offset:1808
	s_mov_b32 s4, exec_lo
	s_waitcnt vmcnt(42) lgkmcnt(1)
	v_mul_f64 v[56:57], v[4:5], v[10:11]
	v_mul_f64 v[58:59], v[2:3], v[10:11]
	s_waitcnt vmcnt(40) lgkmcnt(0)
	v_mul_f64 v[60:61], v[8:9], v[14:15]
	ds_read_b128 v[10:13], v1 offset:1824
	v_mul_f64 v[14:15], v[6:7], v[14:15]
	s_waitcnt vmcnt(38)
	v_fma_f64 v[56:57], v[2:3], v[16:17], -v[56:57]
	v_fma_f64 v[16:17], v[4:5], v[16:17], v[58:59]
	ds_read_b128 v[2:5], v1 offset:1840
	s_waitcnt vmcnt(36) lgkmcnt(1)
	v_mul_f64 v[58:59], v[10:11], v[18:19]
	v_mul_f64 v[18:19], v[12:13], v[18:19]
	s_waitcnt vmcnt(34)
	v_fma_f64 v[60:61], v[6:7], v[20:21], -v[60:61]
	v_fma_f64 v[14:15], v[8:9], v[20:21], v[14:15]
	ds_read_b128 v[6:9], v1 offset:1856
	s_waitcnt vmcnt(30) lgkmcnt(1)
	v_mul_f64 v[20:21], v[2:3], v[22:23]
	v_add_f64 v[56:57], v[56:57], 0
	v_add_f64 v[16:17], v[16:17], 0
	v_mul_f64 v[22:23], v[4:5], v[22:23]
	s_waitcnt vmcnt(28)
	v_fma_f64 v[18:19], v[10:11], v[28:29], -v[18:19]
	v_fma_f64 v[28:29], v[12:13], v[28:29], v[58:59]
	ds_read_b128 v[10:13], v1 offset:1872
	s_waitcnt vmcnt(25)
	v_fma_f64 v[20:21], v[4:5], v[30:31], v[20:21]
	v_add_f64 v[56:57], v[56:57], v[60:61]
	v_add_f64 v[14:15], v[16:17], v[14:15]
	s_waitcnt lgkmcnt(1)
	v_mul_f64 v[16:17], v[6:7], v[24:25]
	v_mul_f64 v[24:25], v[8:9], v[24:25]
	v_fma_f64 v[22:23], v[2:3], v[30:31], -v[22:23]
	s_waitcnt vmcnt(21) lgkmcnt(0)
	v_mul_f64 v[30:31], v[12:13], v[32:33]
	ds_read_b128 v[2:5], v1 offset:1888
	v_add_f64 v[18:19], v[56:57], v[18:19]
	v_add_f64 v[14:15], v[14:15], v[28:29]
	v_mul_f64 v[28:29], v[10:11], v[32:33]
	s_waitcnt vmcnt(20)
	v_fma_f64 v[24:25], v[6:7], v[26:27], -v[24:25]
	v_fma_f64 v[16:17], v[8:9], v[26:27], v[16:17]
	ds_read_b128 v[6:9], v1 offset:1904
	s_waitcnt vmcnt(17)
	v_fma_f64 v[26:27], v[10:11], v[38:39], -v[30:31]
	v_add_f64 v[18:19], v[18:19], v[22:23]
	v_add_f64 v[14:15], v[14:15], v[20:21]
	s_waitcnt lgkmcnt(1)
	v_mul_f64 v[22:23], v[4:5], v[34:35]
	v_mul_f64 v[20:21], v[2:3], v[34:35]
	v_add_f64 v[18:19], v[18:19], v[24:25]
	v_fma_f64 v[24:25], v[12:13], v[38:39], v[28:29]
	v_add_f64 v[14:15], v[14:15], v[16:17]
	s_waitcnt vmcnt(13) lgkmcnt(0)
	v_mul_f64 v[28:29], v[8:9], v[40:41]
	s_waitcnt vmcnt(12)
	v_fma_f64 v[22:23], v[2:3], v[36:37], -v[22:23]
	ds_read_b128 v[10:13], v1 offset:1920
	v_mul_f64 v[16:17], v[6:7], v[40:41]
	v_fma_f64 v[20:21], v[4:5], v[36:37], v[20:21]
	ds_read_b128 v[1:4], v1 offset:1936
	v_add_f64 v[18:19], v[18:19], v[26:27]
	v_add_f64 v[14:15], v[14:15], v[24:25]
	s_waitcnt vmcnt(11) lgkmcnt(1)
	v_mul_f64 v[26:27], v[12:13], v[42:43]
	s_waitcnt vmcnt(9)
	v_fma_f64 v[5:6], v[6:7], v[46:47], -v[28:29]
	v_mul_f64 v[24:25], v[10:11], v[42:43]
	v_fma_f64 v[7:8], v[8:9], v[46:47], v[16:17]
	s_waitcnt vmcnt(7) lgkmcnt(0)
	v_mul_f64 v[16:17], v[1:2], v[48:49]
	v_add_f64 v[18:19], v[18:19], v[22:23]
	v_add_f64 v[14:15], v[14:15], v[20:21]
	v_mul_f64 v[20:21], v[3:4], v[48:49]
	s_waitcnt vmcnt(6)
	v_fma_f64 v[9:10], v[10:11], v[44:45], -v[26:27]
	v_fma_f64 v[11:12], v[12:13], v[44:45], v[24:25]
	s_waitcnt vmcnt(4)
	v_fma_f64 v[3:4], v[3:4], v[50:51], v[16:17]
	v_add_f64 v[5:6], v[18:19], v[5:6]
	v_add_f64 v[7:8], v[14:15], v[7:8]
	v_fma_f64 v[1:2], v[1:2], v[50:51], -v[20:21]
	v_add_f64 v[5:6], v[5:6], v[9:10]
	v_add_f64 v[7:8], v[7:8], v[11:12]
	;; [unrolled: 1-line block ×4, first 2 shown]
	s_waitcnt vmcnt(2)
	v_add_f64 v[1:2], v[52:53], -v[1:2]
	s_waitcnt vmcnt(0)
	v_add_f64 v[3:4], v[54:55], -v[3:4]
	buffer_store_dword v2, off, s[0:3], 0 offset:820
	buffer_store_dword v1, off, s[0:3], 0 offset:816
	;; [unrolled: 1-line block ×4, first 2 shown]
	v_cmpx_lt_u32_e32 49, v0
	s_cbranch_execz .LBB60_293
; %bb.292:
	v_mov_b32_e32 v4, s25
	v_mov_b32_e32 v5, 0
	s_clause 0x3
	buffer_load_dword v1, v4, s[0:3], 0 offen
	buffer_load_dword v2, v4, s[0:3], 0 offen offset:4
	buffer_load_dword v3, v4, s[0:3], 0 offen offset:8
	;; [unrolled: 1-line block ×3, first 2 shown]
	buffer_store_dword v5, off, s[0:3], 0 offset:800
	buffer_store_dword v5, off, s[0:3], 0 offset:804
	buffer_store_dword v5, off, s[0:3], 0 offset:808
	buffer_store_dword v5, off, s[0:3], 0 offset:812
	s_waitcnt vmcnt(0)
	ds_write_b128 v69, v[1:4]
.LBB60_293:
	s_or_b32 exec_lo, exec_lo, s4
	s_waitcnt lgkmcnt(0)
	s_waitcnt_vscnt null, 0x0
	s_barrier
	buffer_gl0_inv
	s_clause 0x2f
	buffer_load_dword v10, off, s[0:3], 0 offset:824
	buffer_load_dword v11, off, s[0:3], 0 offset:828
	;; [unrolled: 1-line block ×48, first 2 shown]
	v_mov_b32_e32 v1, 0
	ds_read_b128 v[2:5], v1 offset:1776
	ds_read_b128 v[6:9], v1 offset:1792
	s_mov_b32 s4, exec_lo
	s_waitcnt vmcnt(46) lgkmcnt(1)
	v_mul_f64 v[60:61], v[4:5], v[10:11]
	v_mul_f64 v[62:63], v[2:3], v[10:11]
	s_waitcnt vmcnt(44) lgkmcnt(0)
	v_mul_f64 v[64:65], v[8:9], v[14:15]
	ds_read_b128 v[10:13], v1 offset:1808
	v_mul_f64 v[14:15], v[6:7], v[14:15]
	s_waitcnt vmcnt(42)
	v_fma_f64 v[60:61], v[2:3], v[16:17], -v[60:61]
	v_fma_f64 v[16:17], v[4:5], v[16:17], v[62:63]
	ds_read_b128 v[2:5], v1 offset:1824
	s_waitcnt vmcnt(40) lgkmcnt(1)
	v_mul_f64 v[62:63], v[10:11], v[18:19]
	v_mul_f64 v[18:19], v[12:13], v[18:19]
	s_waitcnt vmcnt(38)
	v_fma_f64 v[64:65], v[6:7], v[20:21], -v[64:65]
	v_fma_f64 v[14:15], v[8:9], v[20:21], v[14:15]
	ds_read_b128 v[6:9], v1 offset:1840
	s_waitcnt vmcnt(34) lgkmcnt(1)
	v_mul_f64 v[20:21], v[2:3], v[22:23]
	v_add_f64 v[60:61], v[60:61], 0
	v_add_f64 v[16:17], v[16:17], 0
	v_mul_f64 v[22:23], v[4:5], v[22:23]
	s_waitcnt vmcnt(32)
	v_fma_f64 v[18:19], v[10:11], v[28:29], -v[18:19]
	v_fma_f64 v[28:29], v[12:13], v[28:29], v[62:63]
	ds_read_b128 v[10:13], v1 offset:1856
	s_waitcnt vmcnt(29)
	v_fma_f64 v[20:21], v[4:5], v[30:31], v[20:21]
	v_add_f64 v[60:61], v[60:61], v[64:65]
	v_add_f64 v[14:15], v[16:17], v[14:15]
	s_waitcnt lgkmcnt(1)
	v_mul_f64 v[16:17], v[6:7], v[24:25]
	v_mul_f64 v[24:25], v[8:9], v[24:25]
	v_fma_f64 v[22:23], v[2:3], v[30:31], -v[22:23]
	s_waitcnt vmcnt(25) lgkmcnt(0)
	v_mul_f64 v[30:31], v[12:13], v[32:33]
	ds_read_b128 v[2:5], v1 offset:1872
	v_add_f64 v[18:19], v[60:61], v[18:19]
	v_add_f64 v[14:15], v[14:15], v[28:29]
	v_mul_f64 v[28:29], v[10:11], v[32:33]
	s_waitcnt vmcnt(24)
	v_fma_f64 v[24:25], v[6:7], v[26:27], -v[24:25]
	v_fma_f64 v[16:17], v[8:9], v[26:27], v[16:17]
	ds_read_b128 v[6:9], v1 offset:1888
	s_waitcnt vmcnt(21)
	v_fma_f64 v[26:27], v[10:11], v[38:39], -v[30:31]
	v_add_f64 v[18:19], v[18:19], v[22:23]
	v_add_f64 v[14:15], v[14:15], v[20:21]
	s_waitcnt lgkmcnt(1)
	v_mul_f64 v[22:23], v[4:5], v[34:35]
	v_mul_f64 v[20:21], v[2:3], v[34:35]
	v_add_f64 v[18:19], v[18:19], v[24:25]
	v_fma_f64 v[24:25], v[12:13], v[38:39], v[28:29]
	v_add_f64 v[14:15], v[14:15], v[16:17]
	s_waitcnt vmcnt(17) lgkmcnt(0)
	v_mul_f64 v[28:29], v[8:9], v[40:41]
	s_waitcnt vmcnt(16)
	v_fma_f64 v[22:23], v[2:3], v[36:37], -v[22:23]
	ds_read_b128 v[10:13], v1 offset:1904
	v_mul_f64 v[16:17], v[6:7], v[40:41]
	v_fma_f64 v[20:21], v[4:5], v[36:37], v[20:21]
	ds_read_b128 v[2:5], v1 offset:1920
	v_add_f64 v[18:19], v[18:19], v[26:27]
	v_add_f64 v[14:15], v[14:15], v[24:25]
	s_waitcnt vmcnt(15) lgkmcnt(1)
	v_mul_f64 v[26:27], v[12:13], v[42:43]
	s_waitcnt vmcnt(13)
	v_fma_f64 v[28:29], v[6:7], v[46:47], -v[28:29]
	v_mul_f64 v[24:25], v[10:11], v[42:43]
	v_fma_f64 v[16:17], v[8:9], v[46:47], v[16:17]
	ds_read_b128 v[6:9], v1 offset:1936
	v_add_f64 v[18:19], v[18:19], v[22:23]
	s_waitcnt vmcnt(9) lgkmcnt(1)
	v_mul_f64 v[22:23], v[4:5], v[48:49]
	v_add_f64 v[14:15], v[14:15], v[20:21]
	s_waitcnt vmcnt(8)
	v_fma_f64 v[10:11], v[10:11], v[44:45], -v[26:27]
	v_mul_f64 v[20:21], v[2:3], v[48:49]
	v_fma_f64 v[12:13], v[12:13], v[44:45], v[24:25]
	s_waitcnt vmcnt(7) lgkmcnt(0)
	v_mul_f64 v[24:25], v[8:9], v[50:51]
	v_add_f64 v[18:19], v[18:19], v[28:29]
	s_waitcnt vmcnt(5)
	v_fma_f64 v[2:3], v[2:3], v[54:55], -v[22:23]
	v_add_f64 v[14:15], v[14:15], v[16:17]
	v_mul_f64 v[16:17], v[6:7], v[50:51]
	v_fma_f64 v[4:5], v[4:5], v[54:55], v[20:21]
	s_waitcnt vmcnt(4)
	v_fma_f64 v[6:7], v[6:7], v[52:53], -v[24:25]
	v_add_f64 v[10:11], v[18:19], v[10:11]
	v_add_f64 v[12:13], v[14:15], v[12:13]
	v_fma_f64 v[8:9], v[8:9], v[52:53], v[16:17]
	v_add_f64 v[2:3], v[10:11], v[2:3]
	v_add_f64 v[4:5], v[12:13], v[4:5]
	;; [unrolled: 1-line block ×4, first 2 shown]
	s_waitcnt vmcnt(2)
	v_add_f64 v[2:3], v[56:57], -v[2:3]
	s_waitcnt vmcnt(0)
	v_add_f64 v[4:5], v[58:59], -v[4:5]
	buffer_store_dword v3, off, s[0:3], 0 offset:804
	buffer_store_dword v2, off, s[0:3], 0 offset:800
	;; [unrolled: 1-line block ×4, first 2 shown]
	v_cmpx_lt_u32_e32 48, v0
	s_cbranch_execz .LBB60_295
; %bb.294:
	v_mov_b32_e32 v5, s26
	s_clause 0x3
	buffer_load_dword v2, v5, s[0:3], 0 offen
	buffer_load_dword v3, v5, s[0:3], 0 offen offset:4
	buffer_load_dword v4, v5, s[0:3], 0 offen offset:8
	buffer_load_dword v5, v5, s[0:3], 0 offen offset:12
	buffer_store_dword v1, off, s[0:3], 0 offset:784
	buffer_store_dword v1, off, s[0:3], 0 offset:788
	;; [unrolled: 1-line block ×4, first 2 shown]
	s_waitcnt vmcnt(0)
	ds_write_b128 v69, v[2:5]
.LBB60_295:
	s_or_b32 exec_lo, exec_lo, s4
	s_waitcnt lgkmcnt(0)
	s_waitcnt_vscnt null, 0x0
	s_barrier
	buffer_gl0_inv
	s_clause 0x2f
	buffer_load_dword v10, off, s[0:3], 0 offset:808
	buffer_load_dword v11, off, s[0:3], 0 offset:812
	;; [unrolled: 1-line block ×48, first 2 shown]
	ds_read_b128 v[2:5], v1 offset:1760
	s_clause 0x3
	buffer_load_dword v60, off, s[0:3], 0 offset:784
	buffer_load_dword v61, off, s[0:3], 0 offset:788
	;; [unrolled: 1-line block ×4, first 2 shown]
	ds_read_b128 v[6:9], v1 offset:1776
	s_mov_b32 s4, exec_lo
	s_waitcnt vmcnt(50) lgkmcnt(1)
	v_mul_f64 v[64:65], v[4:5], v[10:11]
	v_mul_f64 v[66:67], v[2:3], v[10:11]
	ds_read_b128 v[10:13], v1 offset:1792
	s_waitcnt vmcnt(48) lgkmcnt(1)
	v_mul_f64 v[70:71], v[8:9], v[14:15]
	v_mul_f64 v[14:15], v[6:7], v[14:15]
	s_waitcnt vmcnt(46)
	v_fma_f64 v[64:65], v[2:3], v[16:17], -v[64:65]
	v_fma_f64 v[16:17], v[4:5], v[16:17], v[66:67]
	s_waitcnt vmcnt(44) lgkmcnt(0)
	v_mul_f64 v[66:67], v[10:11], v[18:19]
	v_mul_f64 v[18:19], v[12:13], v[18:19]
	s_waitcnt vmcnt(42)
	v_fma_f64 v[70:71], v[6:7], v[20:21], -v[70:71]
	ds_read_b128 v[2:5], v1 offset:1808
	v_fma_f64 v[14:15], v[8:9], v[20:21], v[14:15]
	ds_read_b128 v[6:9], v1 offset:1824
	v_add_f64 v[64:65], v[64:65], 0
	v_add_f64 v[16:17], v[16:17], 0
	s_waitcnt vmcnt(40) lgkmcnt(1)
	v_mul_f64 v[20:21], v[2:3], v[22:23]
	v_mul_f64 v[22:23], v[4:5], v[22:23]
	s_waitcnt vmcnt(38)
	v_fma_f64 v[18:19], v[10:11], v[24:25], -v[18:19]
	v_fma_f64 v[24:25], v[12:13], v[24:25], v[66:67]
	ds_read_b128 v[10:13], v1 offset:1840
	v_add_f64 v[64:65], v[64:65], v[70:71]
	v_add_f64 v[14:15], v[16:17], v[14:15]
	s_waitcnt vmcnt(36) lgkmcnt(1)
	v_mul_f64 v[16:17], v[6:7], v[26:27]
	v_mul_f64 v[26:27], v[8:9], v[26:27]
	s_waitcnt vmcnt(34)
	v_fma_f64 v[22:23], v[2:3], v[28:29], -v[22:23]
	v_fma_f64 v[20:21], v[4:5], v[28:29], v[20:21]
	ds_read_b128 v[2:5], v1 offset:1856
	s_waitcnt vmcnt(32) lgkmcnt(1)
	v_mul_f64 v[28:29], v[12:13], v[30:31]
	v_add_f64 v[18:19], v[64:65], v[18:19]
	v_add_f64 v[14:15], v[14:15], v[24:25]
	v_mul_f64 v[24:25], v[10:11], v[30:31]
	s_waitcnt vmcnt(30)
	v_fma_f64 v[26:27], v[6:7], v[32:33], -v[26:27]
	v_fma_f64 v[16:17], v[8:9], v[32:33], v[16:17]
	ds_read_b128 v[6:9], v1 offset:1872
	s_waitcnt vmcnt(26)
	v_fma_f64 v[28:29], v[10:11], v[36:37], -v[28:29]
	v_add_f64 v[18:19], v[18:19], v[22:23]
	v_add_f64 v[14:15], v[14:15], v[20:21]
	s_waitcnt lgkmcnt(1)
	v_mul_f64 v[22:23], v[4:5], v[34:35]
	v_mul_f64 v[20:21], v[2:3], v[34:35]
	v_fma_f64 v[24:25], v[12:13], v[36:37], v[24:25]
	ds_read_b128 v[10:13], v1 offset:1888
	v_add_f64 v[18:19], v[18:19], v[26:27]
	v_add_f64 v[14:15], v[14:15], v[16:17]
	s_waitcnt vmcnt(24) lgkmcnt(1)
	v_mul_f64 v[26:27], v[8:9], v[38:39]
	s_waitcnt vmcnt(22)
	v_fma_f64 v[22:23], v[2:3], v[40:41], -v[22:23]
	v_mul_f64 v[16:17], v[6:7], v[38:39]
	v_fma_f64 v[20:21], v[4:5], v[40:41], v[20:21]
	ds_read_b128 v[2:5], v1 offset:1904
	v_add_f64 v[18:19], v[18:19], v[28:29]
	v_add_f64 v[14:15], v[14:15], v[24:25]
	s_waitcnt vmcnt(20) lgkmcnt(1)
	v_mul_f64 v[28:29], v[12:13], v[42:43]
	s_waitcnt vmcnt(18)
	v_fma_f64 v[26:27], v[6:7], v[44:45], -v[26:27]
	;; [unrolled: 9-line block ×4, first 2 shown]
	v_mul_f64 v[16:17], v[6:7], v[50:51]
	v_fma_f64 v[3:4], v[4:5], v[52:53], v[20:21]
	s_waitcnt vmcnt(8) lgkmcnt(0)
	v_mul_f64 v[22:23], v[12:13], v[54:55]
	v_mul_f64 v[20:21], v[10:11], v[54:55]
	v_add_f64 v[18:19], v[18:19], v[28:29]
	v_add_f64 v[14:15], v[14:15], v[24:25]
	s_waitcnt vmcnt(6)
	v_fma_f64 v[5:6], v[6:7], v[56:57], -v[26:27]
	v_fma_f64 v[7:8], v[8:9], v[56:57], v[16:17]
	s_waitcnt vmcnt(4)
	v_fma_f64 v[9:10], v[10:11], v[58:59], -v[22:23]
	v_add_f64 v[1:2], v[18:19], v[1:2]
	v_add_f64 v[3:4], v[14:15], v[3:4]
	;; [unrolled: 1-line block ×3, first 2 shown]
	v_fma_f64 v[5:6], v[12:13], v[58:59], v[20:21]
	v_add_f64 v[3:4], v[3:4], v[7:8]
	v_add_f64 v[1:2], v[1:2], v[9:10]
	;; [unrolled: 1-line block ×3, first 2 shown]
	s_waitcnt vmcnt(2)
	v_add_f64 v[1:2], v[60:61], -v[1:2]
	s_waitcnt vmcnt(0)
	v_add_f64 v[3:4], v[62:63], -v[3:4]
	buffer_store_dword v2, off, s[0:3], 0 offset:788
	buffer_store_dword v1, off, s[0:3], 0 offset:784
	;; [unrolled: 1-line block ×4, first 2 shown]
	v_cmpx_lt_u32_e32 47, v0
	s_cbranch_execz .LBB60_297
; %bb.296:
	v_mov_b32_e32 v4, s27
	v_mov_b32_e32 v5, 0
	s_clause 0x3
	buffer_load_dword v1, v4, s[0:3], 0 offen
	buffer_load_dword v2, v4, s[0:3], 0 offen offset:4
	buffer_load_dword v3, v4, s[0:3], 0 offen offset:8
	;; [unrolled: 1-line block ×3, first 2 shown]
	buffer_store_dword v5, off, s[0:3], 0 offset:768
	buffer_store_dword v5, off, s[0:3], 0 offset:772
	;; [unrolled: 1-line block ×4, first 2 shown]
	s_waitcnt vmcnt(0)
	ds_write_b128 v69, v[1:4]
.LBB60_297:
	s_or_b32 exec_lo, exec_lo, s4
	s_waitcnt lgkmcnt(0)
	s_waitcnt_vscnt null, 0x0
	s_barrier
	buffer_gl0_inv
	s_clause 0x33
	buffer_load_dword v10, off, s[0:3], 0 offset:792
	buffer_load_dword v11, off, s[0:3], 0 offset:796
	;; [unrolled: 1-line block ×52, first 2 shown]
	v_mov_b32_e32 v1, 0
	ds_read_b128 v[2:5], v1 offset:1744
	ds_read_b128 v[6:9], v1 offset:1760
	s_clause 0x3
	buffer_load_dword v70, off, s[0:3], 0 offset:768
	buffer_load_dword v71, off, s[0:3], 0 offset:772
	;; [unrolled: 1-line block ×4, first 2 shown]
	s_mov_b32 s4, exec_lo
	s_waitcnt vmcnt(54) lgkmcnt(1)
	v_mul_f64 v[64:65], v[4:5], v[10:11]
	v_mul_f64 v[66:67], v[2:3], v[10:11]
	s_waitcnt vmcnt(52) lgkmcnt(0)
	v_mul_f64 v[74:75], v[8:9], v[14:15]
	ds_read_b128 v[10:13], v1 offset:1776
	v_mul_f64 v[14:15], v[6:7], v[14:15]
	s_waitcnt vmcnt(50)
	v_fma_f64 v[64:65], v[2:3], v[16:17], -v[64:65]
	v_fma_f64 v[16:17], v[4:5], v[16:17], v[66:67]
	ds_read_b128 v[2:5], v1 offset:1792
	s_waitcnt vmcnt(48) lgkmcnt(1)
	v_mul_f64 v[66:67], v[10:11], v[18:19]
	v_mul_f64 v[18:19], v[12:13], v[18:19]
	s_waitcnt vmcnt(46)
	v_fma_f64 v[74:75], v[6:7], v[20:21], -v[74:75]
	v_fma_f64 v[14:15], v[8:9], v[20:21], v[14:15]
	ds_read_b128 v[6:9], v1 offset:1808
	s_waitcnt vmcnt(42) lgkmcnt(1)
	v_mul_f64 v[20:21], v[2:3], v[22:23]
	v_add_f64 v[64:65], v[64:65], 0
	v_add_f64 v[16:17], v[16:17], 0
	v_mul_f64 v[22:23], v[4:5], v[22:23]
	s_waitcnt vmcnt(40)
	v_fma_f64 v[18:19], v[10:11], v[28:29], -v[18:19]
	v_fma_f64 v[28:29], v[12:13], v[28:29], v[66:67]
	ds_read_b128 v[10:13], v1 offset:1824
	s_waitcnt vmcnt(37)
	v_fma_f64 v[20:21], v[4:5], v[30:31], v[20:21]
	v_add_f64 v[64:65], v[64:65], v[74:75]
	v_add_f64 v[14:15], v[16:17], v[14:15]
	s_waitcnt lgkmcnt(1)
	v_mul_f64 v[16:17], v[6:7], v[24:25]
	v_mul_f64 v[24:25], v[8:9], v[24:25]
	v_fma_f64 v[22:23], v[2:3], v[30:31], -v[22:23]
	s_waitcnt vmcnt(33) lgkmcnt(0)
	v_mul_f64 v[30:31], v[12:13], v[32:33]
	ds_read_b128 v[2:5], v1 offset:1840
	v_add_f64 v[18:19], v[64:65], v[18:19]
	v_add_f64 v[14:15], v[14:15], v[28:29]
	v_mul_f64 v[28:29], v[10:11], v[32:33]
	s_waitcnt vmcnt(32)
	v_fma_f64 v[24:25], v[6:7], v[26:27], -v[24:25]
	v_fma_f64 v[16:17], v[8:9], v[26:27], v[16:17]
	ds_read_b128 v[6:9], v1 offset:1856
	s_waitcnt vmcnt(29)
	v_fma_f64 v[26:27], v[10:11], v[38:39], -v[30:31]
	v_add_f64 v[18:19], v[18:19], v[22:23]
	v_add_f64 v[14:15], v[14:15], v[20:21]
	s_waitcnt lgkmcnt(1)
	v_mul_f64 v[22:23], v[4:5], v[34:35]
	v_mul_f64 v[20:21], v[2:3], v[34:35]
	v_add_f64 v[18:19], v[18:19], v[24:25]
	v_fma_f64 v[24:25], v[12:13], v[38:39], v[28:29]
	v_add_f64 v[14:15], v[14:15], v[16:17]
	s_waitcnt vmcnt(25) lgkmcnt(0)
	v_mul_f64 v[28:29], v[8:9], v[40:41]
	s_waitcnt vmcnt(24)
	v_fma_f64 v[22:23], v[2:3], v[36:37], -v[22:23]
	ds_read_b128 v[10:13], v1 offset:1872
	v_mul_f64 v[16:17], v[6:7], v[40:41]
	v_fma_f64 v[20:21], v[4:5], v[36:37], v[20:21]
	ds_read_b128 v[2:5], v1 offset:1888
	v_add_f64 v[18:19], v[18:19], v[26:27]
	v_add_f64 v[14:15], v[14:15], v[24:25]
	s_waitcnt vmcnt(23) lgkmcnt(1)
	v_mul_f64 v[26:27], v[12:13], v[42:43]
	s_waitcnt vmcnt(21)
	v_fma_f64 v[28:29], v[6:7], v[46:47], -v[28:29]
	v_mul_f64 v[24:25], v[10:11], v[42:43]
	v_fma_f64 v[16:17], v[8:9], v[46:47], v[16:17]
	ds_read_b128 v[6:9], v1 offset:1904
	v_add_f64 v[18:19], v[18:19], v[22:23]
	s_waitcnt vmcnt(17) lgkmcnt(1)
	v_mul_f64 v[22:23], v[4:5], v[48:49]
	v_add_f64 v[14:15], v[14:15], v[20:21]
	s_waitcnt vmcnt(16)
	v_fma_f64 v[26:27], v[10:11], v[44:45], -v[26:27]
	v_mul_f64 v[20:21], v[2:3], v[48:49]
	v_fma_f64 v[24:25], v[12:13], v[44:45], v[24:25]
	ds_read_b128 v[10:13], v1 offset:1920
	v_add_f64 v[18:19], v[18:19], v[28:29]
	s_waitcnt vmcnt(15) lgkmcnt(1)
	v_mul_f64 v[28:29], v[8:9], v[50:51]
	v_add_f64 v[14:15], v[14:15], v[16:17]
	;; [unrolled: 9-line block ×3, first 2 shown]
	s_waitcnt vmcnt(8)
	v_fma_f64 v[6:7], v[6:7], v[52:53], -v[28:29]
	v_mul_f64 v[24:25], v[10:11], v[56:57]
	v_fma_f64 v[8:9], v[8:9], v[52:53], v[16:17]
	s_waitcnt vmcnt(7) lgkmcnt(0)
	v_mul_f64 v[16:17], v[2:3], v[58:59]
	v_add_f64 v[18:19], v[18:19], v[22:23]
	s_waitcnt vmcnt(5)
	v_fma_f64 v[10:11], v[10:11], v[62:63], -v[26:27]
	v_add_f64 v[14:15], v[14:15], v[20:21]
	v_mul_f64 v[20:21], v[4:5], v[58:59]
	v_fma_f64 v[12:13], v[12:13], v[62:63], v[24:25]
	s_waitcnt vmcnt(4)
	v_fma_f64 v[4:5], v[4:5], v[60:61], v[16:17]
	v_add_f64 v[6:7], v[18:19], v[6:7]
	v_add_f64 v[8:9], v[14:15], v[8:9]
	v_fma_f64 v[2:3], v[2:3], v[60:61], -v[20:21]
	v_add_f64 v[6:7], v[6:7], v[10:11]
	v_add_f64 v[8:9], v[8:9], v[12:13]
	;; [unrolled: 1-line block ×4, first 2 shown]
	s_waitcnt vmcnt(2)
	v_add_f64 v[2:3], v[70:71], -v[2:3]
	s_waitcnt vmcnt(0)
	v_add_f64 v[4:5], v[72:73], -v[4:5]
	buffer_store_dword v3, off, s[0:3], 0 offset:772
	buffer_store_dword v2, off, s[0:3], 0 offset:768
	;; [unrolled: 1-line block ×4, first 2 shown]
	v_cmpx_lt_u32_e32 46, v0
	s_cbranch_execz .LBB60_299
; %bb.298:
	v_mov_b32_e32 v5, s28
	s_clause 0x3
	buffer_load_dword v2, v5, s[0:3], 0 offen
	buffer_load_dword v3, v5, s[0:3], 0 offen offset:4
	buffer_load_dword v4, v5, s[0:3], 0 offen offset:8
	;; [unrolled: 1-line block ×3, first 2 shown]
	buffer_store_dword v1, off, s[0:3], 0 offset:752
	buffer_store_dword v1, off, s[0:3], 0 offset:756
	;; [unrolled: 1-line block ×4, first 2 shown]
	s_waitcnt vmcnt(0)
	ds_write_b128 v69, v[2:5]
.LBB60_299:
	s_or_b32 exec_lo, exec_lo, s4
	s_waitcnt lgkmcnt(0)
	s_waitcnt_vscnt null, 0x0
	s_barrier
	buffer_gl0_inv
	s_clause 0x35
	buffer_load_dword v10, off, s[0:3], 0 offset:776
	buffer_load_dword v11, off, s[0:3], 0 offset:780
	;; [unrolled: 1-line block ×54, first 2 shown]
	ds_read_b128 v[2:5], v1 offset:1728
	s_clause 0x1
	buffer_load_dword v67, off, s[0:3], 0 offset:980
	buffer_load_dword v66, off, s[0:3], 0 offset:976
	ds_read_b128 v[6:9], v1 offset:1744
	s_mov_b32 s4, exec_lo
	s_waitcnt vmcnt(54) lgkmcnt(1)
	v_mul_f64 v[70:71], v[4:5], v[10:11]
	v_mul_f64 v[72:73], v[2:3], v[10:11]
	ds_read_b128 v[10:13], v1 offset:1760
	s_waitcnt vmcnt(52) lgkmcnt(1)
	v_mul_f64 v[74:75], v[8:9], v[14:15]
	v_mul_f64 v[14:15], v[6:7], v[14:15]
	s_waitcnt vmcnt(48) lgkmcnt(0)
	v_mul_f64 v[95:96], v[10:11], v[18:19]
	v_fma_f64 v[70:71], v[2:3], v[16:17], -v[70:71]
	v_fma_f64 v[16:17], v[4:5], v[16:17], v[72:73]
	s_clause 0x3
	buffer_load_dword v72, off, s[0:3], 0 offset:752
	buffer_load_dword v73, off, s[0:3], 0 offset:756
	;; [unrolled: 1-line block ×4, first 2 shown]
	v_mul_f64 v[18:19], v[12:13], v[18:19]
	s_waitcnt vmcnt(50)
	v_fma_f64 v[74:75], v[6:7], v[20:21], -v[74:75]
	ds_read_b128 v[2:5], v1 offset:1776
	v_fma_f64 v[14:15], v[8:9], v[20:21], v[14:15]
	ds_read_b128 v[6:9], v1 offset:1792
	v_add_f64 v[70:71], v[70:71], 0
	v_add_f64 v[16:17], v[16:17], 0
	s_waitcnt vmcnt(46) lgkmcnt(1)
	v_mul_f64 v[20:21], v[2:3], v[22:23]
	v_mul_f64 v[22:23], v[4:5], v[22:23]
	s_waitcnt vmcnt(44)
	v_fma_f64 v[18:19], v[10:11], v[28:29], -v[18:19]
	v_fma_f64 v[28:29], v[12:13], v[28:29], v[95:96]
	ds_read_b128 v[10:13], v1 offset:1808
	v_add_f64 v[70:71], v[70:71], v[74:75]
	v_add_f64 v[14:15], v[16:17], v[14:15]
	s_waitcnt vmcnt(43) lgkmcnt(1)
	v_mul_f64 v[16:17], v[6:7], v[24:25]
	v_mul_f64 v[24:25], v[8:9], v[24:25]
	s_waitcnt vmcnt(41)
	v_fma_f64 v[22:23], v[2:3], v[30:31], -v[22:23]
	v_fma_f64 v[20:21], v[4:5], v[30:31], v[20:21]
	ds_read_b128 v[2:5], v1 offset:1824
	s_waitcnt vmcnt(37) lgkmcnt(1)
	v_mul_f64 v[30:31], v[12:13], v[32:33]
	v_add_f64 v[18:19], v[70:71], v[18:19]
	v_add_f64 v[14:15], v[14:15], v[28:29]
	v_mul_f64 v[28:29], v[10:11], v[32:33]
	s_waitcnt vmcnt(36)
	v_fma_f64 v[24:25], v[6:7], v[26:27], -v[24:25]
	v_fma_f64 v[16:17], v[8:9], v[26:27], v[16:17]
	ds_read_b128 v[6:9], v1 offset:1840
	s_waitcnt vmcnt(33)
	v_fma_f64 v[26:27], v[10:11], v[38:39], -v[30:31]
	v_add_f64 v[18:19], v[18:19], v[22:23]
	v_add_f64 v[14:15], v[14:15], v[20:21]
	s_waitcnt lgkmcnt(1)
	v_mul_f64 v[22:23], v[4:5], v[34:35]
	v_mul_f64 v[20:21], v[2:3], v[34:35]
	v_add_f64 v[18:19], v[18:19], v[24:25]
	v_fma_f64 v[24:25], v[12:13], v[38:39], v[28:29]
	v_add_f64 v[14:15], v[14:15], v[16:17]
	ds_read_b128 v[10:13], v1 offset:1856
	s_waitcnt vmcnt(29) lgkmcnt(1)
	v_mul_f64 v[28:29], v[8:9], v[40:41]
	s_waitcnt vmcnt(28)
	v_fma_f64 v[22:23], v[2:3], v[36:37], -v[22:23]
	v_mul_f64 v[16:17], v[6:7], v[40:41]
	v_fma_f64 v[20:21], v[4:5], v[36:37], v[20:21]
	ds_read_b128 v[2:5], v1 offset:1872
	v_add_f64 v[18:19], v[18:19], v[26:27]
	s_waitcnt vmcnt(27) lgkmcnt(1)
	v_mul_f64 v[26:27], v[12:13], v[42:43]
	v_add_f64 v[14:15], v[14:15], v[24:25]
	v_mul_f64 v[24:25], v[10:11], v[42:43]
	s_waitcnt vmcnt(25)
	v_fma_f64 v[28:29], v[6:7], v[46:47], -v[28:29]
	v_fma_f64 v[16:17], v[8:9], v[46:47], v[16:17]
	ds_read_b128 v[6:9], v1 offset:1888
	v_add_f64 v[18:19], v[18:19], v[22:23]
	s_waitcnt vmcnt(21) lgkmcnt(1)
	v_mul_f64 v[22:23], v[4:5], v[48:49]
	v_add_f64 v[14:15], v[14:15], v[20:21]
	s_waitcnt vmcnt(20)
	v_fma_f64 v[26:27], v[10:11], v[44:45], -v[26:27]
	v_mul_f64 v[20:21], v[2:3], v[48:49]
	v_fma_f64 v[24:25], v[12:13], v[44:45], v[24:25]
	ds_read_b128 v[10:13], v1 offset:1904
	v_add_f64 v[18:19], v[18:19], v[28:29]
	s_waitcnt vmcnt(19) lgkmcnt(1)
	v_mul_f64 v[28:29], v[8:9], v[50:51]
	v_add_f64 v[14:15], v[14:15], v[16:17]
	s_waitcnt vmcnt(17)
	v_fma_f64 v[22:23], v[2:3], v[54:55], -v[22:23]
	v_mul_f64 v[16:17], v[6:7], v[50:51]
	;; [unrolled: 9-line block ×4, first 2 shown]
	v_fma_f64 v[12:13], v[12:13], v[62:63], v[24:25]
	s_waitcnt vmcnt(7) lgkmcnt(0)
	v_mul_f64 v[24:25], v[8:9], v[64:65]
	v_add_f64 v[18:19], v[18:19], v[28:29]
	s_waitcnt vmcnt(6)
	v_fma_f64 v[1:2], v[2:3], v[60:61], -v[22:23]
	v_add_f64 v[14:15], v[14:15], v[16:17]
	v_mul_f64 v[16:17], v[6:7], v[64:65]
	v_fma_f64 v[3:4], v[4:5], v[60:61], v[20:21]
	s_waitcnt vmcnt(4)
	v_fma_f64 v[5:6], v[6:7], v[66:67], -v[24:25]
	v_add_f64 v[10:11], v[18:19], v[10:11]
	v_add_f64 v[12:13], v[14:15], v[12:13]
	v_fma_f64 v[7:8], v[8:9], v[66:67], v[16:17]
	v_add_f64 v[1:2], v[10:11], v[1:2]
	v_add_f64 v[3:4], v[12:13], v[3:4]
	;; [unrolled: 1-line block ×4, first 2 shown]
	s_waitcnt vmcnt(2)
	v_add_f64 v[1:2], v[72:73], -v[1:2]
	s_waitcnt vmcnt(0)
	v_add_f64 v[3:4], v[93:94], -v[3:4]
	buffer_store_dword v2, off, s[0:3], 0 offset:756
	buffer_store_dword v1, off, s[0:3], 0 offset:752
	;; [unrolled: 1-line block ×4, first 2 shown]
	v_cmpx_lt_u32_e32 45, v0
	s_cbranch_execz .LBB60_301
; %bb.300:
	v_mov_b32_e32 v4, s29
	v_mov_b32_e32 v5, 0
	s_clause 0x3
	buffer_load_dword v1, v4, s[0:3], 0 offen
	buffer_load_dword v2, v4, s[0:3], 0 offen offset:4
	buffer_load_dword v3, v4, s[0:3], 0 offen offset:8
	;; [unrolled: 1-line block ×3, first 2 shown]
	buffer_store_dword v5, off, s[0:3], 0 offset:736
	buffer_store_dword v5, off, s[0:3], 0 offset:740
	;; [unrolled: 1-line block ×4, first 2 shown]
	s_waitcnt vmcnt(0)
	ds_write_b128 v69, v[1:4]
.LBB60_301:
	s_or_b32 exec_lo, exec_lo, s4
	s_waitcnt lgkmcnt(0)
	s_waitcnt_vscnt null, 0x0
	s_barrier
	buffer_gl0_inv
	s_clause 0x37
	buffer_load_dword v10, off, s[0:3], 0 offset:760
	buffer_load_dword v11, off, s[0:3], 0 offset:764
	;; [unrolled: 1-line block ×56, first 2 shown]
	v_mov_b32_e32 v1, 0
	s_mov_b32 s4, exec_lo
	ds_read_b128 v[2:5], v1 offset:1712
	s_clause 0x2
	buffer_load_dword v67, off, s[0:3], 0 offset:988
	buffer_load_dword v73, off, s[0:3], 0 offset:964
	;; [unrolled: 1-line block ×3, first 2 shown]
	ds_read_b128 v[6:9], v1 offset:1728
	buffer_load_dword v71, off, s[0:3], 0 offset:980
	s_waitcnt vmcnt(58) lgkmcnt(1)
	v_mul_f64 v[74:75], v[4:5], v[10:11]
	v_mul_f64 v[93:94], v[2:3], v[10:11]
	ds_read_b128 v[10:13], v1 offset:1744
	s_waitcnt vmcnt(56) lgkmcnt(1)
	v_mul_f64 v[95:96], v[8:9], v[14:15]
	v_mul_f64 v[14:15], v[6:7], v[14:15]
	s_waitcnt vmcnt(54)
	v_fma_f64 v[74:75], v[2:3], v[16:17], -v[74:75]
	v_fma_f64 v[16:17], v[4:5], v[16:17], v[93:94]
	s_waitcnt vmcnt(52) lgkmcnt(0)
	v_mul_f64 v[93:94], v[10:11], v[18:19]
	v_mul_f64 v[18:19], v[12:13], v[18:19]
	s_waitcnt vmcnt(50)
	v_fma_f64 v[95:96], v[6:7], v[20:21], -v[95:96]
	ds_read_b128 v[2:5], v1 offset:1760
	v_fma_f64 v[14:15], v[8:9], v[20:21], v[14:15]
	s_clause 0x3
	buffer_load_dword v20, off, s[0:3], 0 offset:736
	buffer_load_dword v21, off, s[0:3], 0 offset:740
	;; [unrolled: 1-line block ×4, first 2 shown]
	ds_read_b128 v[6:9], v1 offset:1776
	v_add_f64 v[74:75], v[74:75], 0
	v_add_f64 v[16:17], v[16:17], 0
	s_waitcnt vmcnt(50) lgkmcnt(1)
	v_mul_f64 v[99:100], v[2:3], v[22:23]
	v_mul_f64 v[22:23], v[4:5], v[22:23]
	s_waitcnt vmcnt(48)
	v_fma_f64 v[18:19], v[10:11], v[28:29], -v[18:19]
	v_fma_f64 v[28:29], v[12:13], v[28:29], v[93:94]
	ds_read_b128 v[10:13], v1 offset:1792
	v_add_f64 v[74:75], v[74:75], v[95:96]
	v_add_f64 v[14:15], v[16:17], v[14:15]
	s_waitcnt vmcnt(47) lgkmcnt(1)
	v_mul_f64 v[16:17], v[6:7], v[24:25]
	v_mul_f64 v[24:25], v[8:9], v[24:25]
	s_waitcnt vmcnt(45)
	v_fma_f64 v[22:23], v[2:3], v[30:31], -v[22:23]
	v_fma_f64 v[30:31], v[4:5], v[30:31], v[99:100]
	;; [unrolled: 9-line block ×3, first 2 shown]
	ds_read_b128 v[6:9], v1 offset:1824
	s_waitcnt vmcnt(39) lgkmcnt(1)
	v_mul_f64 v[26:27], v[4:5], v[34:35]
	v_add_f64 v[18:19], v[18:19], v[22:23]
	v_add_f64 v[14:15], v[14:15], v[30:31]
	v_mul_f64 v[22:23], v[2:3], v[34:35]
	s_waitcnt vmcnt(37)
	v_fma_f64 v[30:31], v[10:11], v[38:39], -v[32:33]
	s_waitcnt vmcnt(32)
	v_fma_f64 v[26:27], v[2:3], v[36:37], -v[26:27]
	v_add_f64 v[18:19], v[18:19], v[24:25]
	v_fma_f64 v[24:25], v[12:13], v[38:39], v[28:29]
	v_add_f64 v[14:15], v[14:15], v[16:17]
	s_waitcnt lgkmcnt(0)
	v_mul_f64 v[28:29], v[8:9], v[40:41]
	ds_read_b128 v[10:13], v1 offset:1840
	v_mul_f64 v[16:17], v[6:7], v[40:41]
	v_fma_f64 v[22:23], v[4:5], v[36:37], v[22:23]
	ds_read_b128 v[2:5], v1 offset:1856
	v_add_f64 v[18:19], v[18:19], v[30:31]
	v_add_f64 v[14:15], v[14:15], v[24:25]
	s_waitcnt vmcnt(31) lgkmcnt(1)
	v_mul_f64 v[30:31], v[12:13], v[42:43]
	s_waitcnt vmcnt(29)
	v_fma_f64 v[28:29], v[6:7], v[46:47], -v[28:29]
	v_mul_f64 v[24:25], v[10:11], v[42:43]
	v_fma_f64 v[16:17], v[8:9], v[46:47], v[16:17]
	ds_read_b128 v[6:9], v1 offset:1872
	v_add_f64 v[18:19], v[18:19], v[26:27]
	s_waitcnt vmcnt(25) lgkmcnt(1)
	v_mul_f64 v[26:27], v[4:5], v[48:49]
	v_add_f64 v[14:15], v[14:15], v[22:23]
	s_waitcnt vmcnt(24)
	v_fma_f64 v[30:31], v[10:11], v[44:45], -v[30:31]
	v_mul_f64 v[22:23], v[2:3], v[48:49]
	v_fma_f64 v[24:25], v[12:13], v[44:45], v[24:25]
	ds_read_b128 v[10:13], v1 offset:1888
	v_add_f64 v[18:19], v[18:19], v[28:29]
	s_waitcnt vmcnt(23) lgkmcnt(1)
	v_mul_f64 v[28:29], v[8:9], v[50:51]
	v_add_f64 v[14:15], v[14:15], v[16:17]
	;; [unrolled: 9-line block ×5, first 2 shown]
	s_waitcnt vmcnt(8)
	v_fma_f64 v[2:3], v[2:3], v[60:61], -v[26:27]
	v_mul_f64 v[16:17], v[6:7], v[64:65]
	v_fma_f64 v[4:5], v[4:5], v[60:61], v[22:23]
	s_waitcnt vmcnt(7) lgkmcnt(0)
	v_mul_f64 v[22:23], v[10:11], v[66:67]
	v_add_f64 v[18:19], v[18:19], v[30:31]
	s_waitcnt vmcnt(5)
	v_fma_f64 v[6:7], v[6:7], v[72:73], -v[28:29]
	v_add_f64 v[14:15], v[14:15], v[24:25]
	v_mul_f64 v[24:25], v[12:13], v[66:67]
	v_fma_f64 v[8:9], v[8:9], v[72:73], v[16:17]
	v_add_f64 v[2:3], v[18:19], v[2:3]
	v_add_f64 v[4:5], v[14:15], v[4:5]
	s_waitcnt vmcnt(4)
	v_fma_f64 v[10:11], v[10:11], v[70:71], -v[24:25]
	v_add_f64 v[2:3], v[2:3], v[6:7]
	v_fma_f64 v[6:7], v[12:13], v[70:71], v[22:23]
	v_add_f64 v[4:5], v[4:5], v[8:9]
	v_add_f64 v[2:3], v[2:3], v[10:11]
	;; [unrolled: 1-line block ×3, first 2 shown]
	s_waitcnt vmcnt(2)
	v_add_f64 v[2:3], v[20:21], -v[2:3]
	s_waitcnt vmcnt(0)
	v_add_f64 v[4:5], v[97:98], -v[4:5]
	buffer_store_dword v3, off, s[0:3], 0 offset:740
	buffer_store_dword v2, off, s[0:3], 0 offset:736
	buffer_store_dword v5, off, s[0:3], 0 offset:748
	buffer_store_dword v4, off, s[0:3], 0 offset:744
	v_cmpx_lt_u32_e32 44, v0
	s_cbranch_execz .LBB60_303
; %bb.302:
	v_mov_b32_e32 v5, s30
	s_clause 0x3
	buffer_load_dword v2, v5, s[0:3], 0 offen
	buffer_load_dword v3, v5, s[0:3], 0 offen offset:4
	buffer_load_dword v4, v5, s[0:3], 0 offen offset:8
	;; [unrolled: 1-line block ×3, first 2 shown]
	buffer_store_dword v1, off, s[0:3], 0 offset:720
	buffer_store_dword v1, off, s[0:3], 0 offset:724
	;; [unrolled: 1-line block ×4, first 2 shown]
	s_waitcnt vmcnt(0)
	ds_write_b128 v69, v[2:5]
.LBB60_303:
	s_or_b32 exec_lo, exec_lo, s4
	s_waitcnt lgkmcnt(0)
	s_waitcnt_vscnt null, 0x0
	s_barrier
	buffer_gl0_inv
	s_clause 0x37
	buffer_load_dword v10, off, s[0:3], 0 offset:744
	buffer_load_dword v11, off, s[0:3], 0 offset:748
	;; [unrolled: 1-line block ×56, first 2 shown]
	ds_read_b128 v[2:5], v1 offset:1696
	s_clause 0x2
	buffer_load_dword v67, off, s[0:3], 0 offset:972
	buffer_load_dword v73, off, s[0:3], 0 offset:948
	;; [unrolled: 1-line block ×3, first 2 shown]
	ds_read_b128 v[6:9], v1 offset:1712
	s_clause 0x2
	buffer_load_dword v96, off, s[0:3], 0 offset:988
	buffer_load_dword v95, off, s[0:3], 0 offset:984
	;; [unrolled: 1-line block ×3, first 2 shown]
	s_mov_b32 s4, exec_lo
	s_waitcnt vmcnt(60) lgkmcnt(1)
	v_mul_f64 v[74:75], v[4:5], v[10:11]
	v_mul_f64 v[93:94], v[2:3], v[10:11]
	s_waitcnt vmcnt(58) lgkmcnt(0)
	v_mul_f64 v[97:98], v[8:9], v[14:15]
	ds_read_b128 v[10:13], v1 offset:1728
	v_mul_f64 v[14:15], v[6:7], v[14:15]
	s_waitcnt vmcnt(56)
	v_fma_f64 v[74:75], v[2:3], v[16:17], -v[74:75]
	v_fma_f64 v[16:17], v[4:5], v[16:17], v[93:94]
	s_clause 0x1
	buffer_load_dword v94, off, s[0:3], 0 offset:980
	buffer_load_dword v93, off, s[0:3], 0 offset:976
	s_waitcnt vmcnt(56) lgkmcnt(0)
	v_mul_f64 v[99:100], v[10:11], v[18:19]
	v_mul_f64 v[18:19], v[12:13], v[18:19]
	s_waitcnt vmcnt(54)
	v_fma_f64 v[97:98], v[6:7], v[20:21], -v[97:98]
	ds_read_b128 v[2:5], v1 offset:1744
	v_fma_f64 v[14:15], v[8:9], v[20:21], v[14:15]
	ds_read_b128 v[6:9], v1 offset:1760
	v_add_f64 v[74:75], v[74:75], 0
	v_add_f64 v[16:17], v[16:17], 0
	s_waitcnt vmcnt(50) lgkmcnt(1)
	v_mul_f64 v[20:21], v[2:3], v[22:23]
	v_mul_f64 v[22:23], v[4:5], v[22:23]
	s_waitcnt vmcnt(48)
	v_fma_f64 v[18:19], v[10:11], v[28:29], -v[18:19]
	v_fma_f64 v[28:29], v[12:13], v[28:29], v[99:100]
	s_waitcnt vmcnt(47) lgkmcnt(0)
	v_mul_f64 v[99:100], v[6:7], v[24:25]
	v_mul_f64 v[24:25], v[8:9], v[24:25]
	v_add_f64 v[74:75], v[74:75], v[97:98]
	v_add_f64 v[14:15], v[16:17], v[14:15]
	s_clause 0x3
	buffer_load_dword v16, off, s[0:3], 0 offset:720
	buffer_load_dword v17, off, s[0:3], 0 offset:724
	;; [unrolled: 1-line block ×4, first 2 shown]
	ds_read_b128 v[10:13], v1 offset:1776
	s_waitcnt vmcnt(49)
	v_fma_f64 v[20:21], v[4:5], v[30:31], v[20:21]
	v_fma_f64 v[22:23], v[2:3], v[30:31], -v[22:23]
	ds_read_b128 v[2:5], v1 offset:1792
	s_waitcnt vmcnt(44)
	v_fma_f64 v[24:25], v[6:7], v[26:27], -v[24:25]
	v_add_f64 v[18:19], v[74:75], v[18:19]
	v_add_f64 v[14:15], v[14:15], v[28:29]
	s_waitcnt lgkmcnt(1)
	v_mul_f64 v[30:31], v[12:13], v[32:33]
	v_mul_f64 v[28:29], v[10:11], v[32:33]
	v_add_f64 v[18:19], v[18:19], v[22:23]
	v_fma_f64 v[22:23], v[8:9], v[26:27], v[99:100]
	v_add_f64 v[14:15], v[14:15], v[20:21]
	s_waitcnt vmcnt(43) lgkmcnt(0)
	v_mul_f64 v[26:27], v[4:5], v[34:35]
	s_waitcnt vmcnt(41)
	v_fma_f64 v[30:31], v[10:11], v[38:39], -v[30:31]
	ds_read_b128 v[6:9], v1 offset:1808
	v_mul_f64 v[20:21], v[2:3], v[34:35]
	v_add_f64 v[18:19], v[18:19], v[24:25]
	v_fma_f64 v[24:25], v[12:13], v[38:39], v[28:29]
	v_add_f64 v[14:15], v[14:15], v[22:23]
	ds_read_b128 v[10:13], v1 offset:1824
	s_waitcnt vmcnt(37) lgkmcnt(1)
	v_mul_f64 v[28:29], v[8:9], v[40:41]
	s_waitcnt vmcnt(36)
	v_fma_f64 v[26:27], v[2:3], v[36:37], -v[26:27]
	v_mul_f64 v[22:23], v[6:7], v[40:41]
	v_fma_f64 v[20:21], v[4:5], v[36:37], v[20:21]
	ds_read_b128 v[2:5], v1 offset:1840
	v_add_f64 v[18:19], v[18:19], v[30:31]
	s_waitcnt vmcnt(35) lgkmcnt(1)
	v_mul_f64 v[30:31], v[12:13], v[42:43]
	v_add_f64 v[14:15], v[14:15], v[24:25]
	v_mul_f64 v[24:25], v[10:11], v[42:43]
	s_waitcnt vmcnt(33)
	v_fma_f64 v[28:29], v[6:7], v[46:47], -v[28:29]
	v_fma_f64 v[22:23], v[8:9], v[46:47], v[22:23]
	ds_read_b128 v[6:9], v1 offset:1856
	v_add_f64 v[18:19], v[18:19], v[26:27]
	s_waitcnt vmcnt(29) lgkmcnt(1)
	v_mul_f64 v[26:27], v[4:5], v[48:49]
	v_add_f64 v[14:15], v[14:15], v[20:21]
	s_waitcnt vmcnt(28)
	v_fma_f64 v[30:31], v[10:11], v[44:45], -v[30:31]
	v_mul_f64 v[20:21], v[2:3], v[48:49]
	v_fma_f64 v[24:25], v[12:13], v[44:45], v[24:25]
	ds_read_b128 v[10:13], v1 offset:1872
	v_add_f64 v[18:19], v[18:19], v[28:29]
	s_waitcnt vmcnt(27) lgkmcnt(1)
	v_mul_f64 v[28:29], v[8:9], v[50:51]
	v_add_f64 v[14:15], v[14:15], v[22:23]
	s_waitcnt vmcnt(25)
	v_fma_f64 v[26:27], v[2:3], v[54:55], -v[26:27]
	v_mul_f64 v[22:23], v[6:7], v[50:51]
	v_fma_f64 v[20:21], v[4:5], v[54:55], v[20:21]
	ds_read_b128 v[2:5], v1 offset:1888
	v_add_f64 v[18:19], v[18:19], v[30:31]
	s_waitcnt vmcnt(21) lgkmcnt(1)
	v_mul_f64 v[30:31], v[12:13], v[56:57]
	v_add_f64 v[14:15], v[14:15], v[24:25]
	s_waitcnt vmcnt(20)
	v_fma_f64 v[28:29], v[6:7], v[52:53], -v[28:29]
	v_mul_f64 v[24:25], v[10:11], v[56:57]
	v_fma_f64 v[22:23], v[8:9], v[52:53], v[22:23]
	ds_read_b128 v[6:9], v1 offset:1904
	v_add_f64 v[18:19], v[18:19], v[26:27]
	s_waitcnt vmcnt(19) lgkmcnt(1)
	v_mul_f64 v[26:27], v[4:5], v[58:59]
	v_add_f64 v[14:15], v[14:15], v[20:21]
	s_waitcnt vmcnt(17)
	v_fma_f64 v[30:31], v[10:11], v[62:63], -v[30:31]
	v_mul_f64 v[20:21], v[2:3], v[58:59]
	v_fma_f64 v[24:25], v[12:13], v[62:63], v[24:25]
	ds_read_b128 v[10:13], v1 offset:1920
	v_add_f64 v[18:19], v[18:19], v[28:29]
	s_waitcnt vmcnt(13) lgkmcnt(1)
	v_mul_f64 v[28:29], v[8:9], v[64:65]
	v_add_f64 v[14:15], v[14:15], v[22:23]
	s_waitcnt vmcnt(12)
	v_fma_f64 v[26:27], v[2:3], v[60:61], -v[26:27]
	v_mul_f64 v[22:23], v[6:7], v[64:65]
	v_fma_f64 v[20:21], v[4:5], v[60:61], v[20:21]
	ds_read_b128 v[1:4], v1 offset:1936
	v_add_f64 v[18:19], v[18:19], v[30:31]
	s_waitcnt vmcnt(11) lgkmcnt(1)
	v_mul_f64 v[30:31], v[12:13], v[66:67]
	v_add_f64 v[14:15], v[14:15], v[24:25]
	s_waitcnt vmcnt(9)
	v_fma_f64 v[5:6], v[6:7], v[72:73], -v[28:29]
	v_mul_f64 v[24:25], v[10:11], v[66:67]
	v_fma_f64 v[7:8], v[8:9], v[72:73], v[22:23]
	s_waitcnt vmcnt(7) lgkmcnt(0)
	v_mul_f64 v[22:23], v[3:4], v[95:96]
	v_add_f64 v[18:19], v[18:19], v[26:27]
	s_waitcnt vmcnt(6)
	v_fma_f64 v[9:10], v[10:11], v[70:71], -v[30:31]
	v_add_f64 v[14:15], v[14:15], v[20:21]
	v_mul_f64 v[20:21], v[1:2], v[95:96]
	v_fma_f64 v[11:12], v[12:13], v[70:71], v[24:25]
	v_add_f64 v[5:6], v[18:19], v[5:6]
	v_add_f64 v[7:8], v[14:15], v[7:8]
	s_waitcnt vmcnt(4)
	v_fma_f64 v[1:2], v[1:2], v[93:94], -v[22:23]
	v_fma_f64 v[3:4], v[3:4], v[93:94], v[20:21]
	v_add_f64 v[5:6], v[5:6], v[9:10]
	v_add_f64 v[7:8], v[7:8], v[11:12]
	;; [unrolled: 1-line block ×4, first 2 shown]
	s_waitcnt vmcnt(2)
	v_add_f64 v[1:2], v[16:17], -v[1:2]
	s_waitcnt vmcnt(0)
	v_add_f64 v[3:4], v[97:98], -v[3:4]
	buffer_store_dword v2, off, s[0:3], 0 offset:724
	buffer_store_dword v1, off, s[0:3], 0 offset:720
	;; [unrolled: 1-line block ×4, first 2 shown]
	v_cmpx_lt_u32_e32 43, v0
	s_cbranch_execz .LBB60_305
; %bb.304:
	v_mov_b32_e32 v4, s31
	v_mov_b32_e32 v5, 0
	s_clause 0x3
	buffer_load_dword v1, v4, s[0:3], 0 offen
	buffer_load_dword v2, v4, s[0:3], 0 offen offset:4
	buffer_load_dword v3, v4, s[0:3], 0 offen offset:8
	;; [unrolled: 1-line block ×3, first 2 shown]
	buffer_store_dword v5, off, s[0:3], 0 offset:704
	buffer_store_dword v5, off, s[0:3], 0 offset:708
	;; [unrolled: 1-line block ×4, first 2 shown]
	s_waitcnt vmcnt(0)
	ds_write_b128 v69, v[1:4]
.LBB60_305:
	s_or_b32 exec_lo, exec_lo, s4
	s_waitcnt lgkmcnt(0)
	s_waitcnt_vscnt null, 0x0
	s_barrier
	buffer_gl0_inv
	s_clause 0x37
	buffer_load_dword v10, off, s[0:3], 0 offset:728
	buffer_load_dword v11, off, s[0:3], 0 offset:732
	;; [unrolled: 1-line block ×56, first 2 shown]
	v_mov_b32_e32 v1, 0
	s_mov_b32 s4, exec_lo
	ds_read_b128 v[2:5], v1 offset:1680
	s_clause 0x2
	buffer_load_dword v67, off, s[0:3], 0 offset:956
	buffer_load_dword v73, off, s[0:3], 0 offset:932
	;; [unrolled: 1-line block ×3, first 2 shown]
	ds_read_b128 v[6:9], v1 offset:1696
	s_clause 0x4
	buffer_load_dword v96, off, s[0:3], 0 offset:972
	buffer_load_dword v97, off, s[0:3], 0 offset:984
	;; [unrolled: 1-line block ×5, first 2 shown]
	s_waitcnt vmcnt(62) lgkmcnt(1)
	v_mul_f64 v[74:75], v[4:5], v[10:11]
	v_mul_f64 v[93:94], v[2:3], v[10:11]
	s_waitcnt vmcnt(60) lgkmcnt(0)
	v_mul_f64 v[109:110], v[8:9], v[14:15]
	ds_read_b128 v[10:13], v1 offset:1712
	v_mul_f64 v[14:15], v[6:7], v[14:15]
	s_waitcnt vmcnt(58)
	v_fma_f64 v[74:75], v[2:3], v[16:17], -v[74:75]
	v_fma_f64 v[16:17], v[4:5], v[16:17], v[93:94]
	s_clause 0x2
	buffer_load_dword v98, off, s[0:3], 0 offset:988
	buffer_load_dword v94, off, s[0:3], 0 offset:964
	;; [unrolled: 1-line block ×3, first 2 shown]
	s_waitcnt vmcnt(59) lgkmcnt(0)
	v_mul_f64 v[111:112], v[10:11], v[18:19]
	v_mul_f64 v[18:19], v[12:13], v[18:19]
	s_waitcnt vmcnt(57)
	v_fma_f64 v[109:110], v[6:7], v[20:21], -v[109:110]
	ds_read_b128 v[2:5], v1 offset:1728
	v_fma_f64 v[14:15], v[8:9], v[20:21], v[14:15]
	buffer_load_dword v100, off, s[0:3], 0 offset:980
	ds_read_b128 v[6:9], v1 offset:1744
	v_add_f64 v[74:75], v[74:75], 0
	v_add_f64 v[16:17], v[16:17], 0
	s_waitcnt vmcnt(54) lgkmcnt(1)
	v_mul_f64 v[20:21], v[2:3], v[22:23]
	v_mul_f64 v[22:23], v[4:5], v[22:23]
	s_waitcnt vmcnt(52)
	v_fma_f64 v[18:19], v[10:11], v[28:29], -v[18:19]
	v_fma_f64 v[28:29], v[12:13], v[28:29], v[111:112]
	ds_read_b128 v[10:13], v1 offset:1760
	v_add_f64 v[74:75], v[74:75], v[109:110]
	v_add_f64 v[14:15], v[16:17], v[14:15]
	s_waitcnt vmcnt(51) lgkmcnt(1)
	v_mul_f64 v[16:17], v[6:7], v[24:25]
	v_mul_f64 v[24:25], v[8:9], v[24:25]
	s_waitcnt vmcnt(49)
	v_fma_f64 v[20:21], v[4:5], v[30:31], v[20:21]
	v_fma_f64 v[22:23], v[2:3], v[30:31], -v[22:23]
	v_add_f64 v[18:19], v[74:75], v[18:19]
	v_add_f64 v[14:15], v[14:15], v[28:29]
	s_clause 0x3
	buffer_load_dword v28, off, s[0:3], 0 offset:704
	buffer_load_dword v29, off, s[0:3], 0 offset:708
	;; [unrolled: 1-line block ×4, first 2 shown]
	s_waitcnt vmcnt(49) lgkmcnt(0)
	v_mul_f64 v[74:75], v[10:11], v[32:33]
	v_mul_f64 v[32:33], v[12:13], v[32:33]
	s_waitcnt vmcnt(48)
	v_fma_f64 v[24:25], v[6:7], v[26:27], -v[24:25]
	ds_read_b128 v[2:5], v1 offset:1776
	v_fma_f64 v[16:17], v[8:9], v[26:27], v[16:17]
	ds_read_b128 v[6:9], v1 offset:1792
	v_add_f64 v[18:19], v[18:19], v[22:23]
	v_add_f64 v[14:15], v[14:15], v[20:21]
	s_waitcnt vmcnt(47) lgkmcnt(1)
	v_mul_f64 v[22:23], v[4:5], v[34:35]
	s_waitcnt vmcnt(45)
	v_fma_f64 v[26:27], v[10:11], v[38:39], -v[32:33]
	v_mul_f64 v[20:21], v[2:3], v[34:35]
	s_waitcnt vmcnt(41) lgkmcnt(0)
	v_mul_f64 v[32:33], v[8:9], v[40:41]
	v_add_f64 v[18:19], v[18:19], v[24:25]
	v_fma_f64 v[24:25], v[12:13], v[38:39], v[74:75]
	v_add_f64 v[14:15], v[14:15], v[16:17]
	ds_read_b128 v[10:13], v1 offset:1808
	s_waitcnt vmcnt(40)
	v_fma_f64 v[22:23], v[2:3], v[36:37], -v[22:23]
	v_mul_f64 v[16:17], v[6:7], v[40:41]
	v_fma_f64 v[20:21], v[4:5], v[36:37], v[20:21]
	ds_read_b128 v[2:5], v1 offset:1824
	s_waitcnt vmcnt(37)
	v_fma_f64 v[32:33], v[6:7], v[46:47], -v[32:33]
	v_add_f64 v[18:19], v[18:19], v[26:27]
	s_waitcnt lgkmcnt(1)
	v_mul_f64 v[26:27], v[12:13], v[42:43]
	v_add_f64 v[14:15], v[14:15], v[24:25]
	v_mul_f64 v[24:25], v[10:11], v[42:43]
	v_fma_f64 v[16:17], v[8:9], v[46:47], v[16:17]
	ds_read_b128 v[6:9], v1 offset:1840
	v_add_f64 v[18:19], v[18:19], v[22:23]
	s_waitcnt vmcnt(33) lgkmcnt(1)
	v_mul_f64 v[22:23], v[4:5], v[48:49]
	v_add_f64 v[14:15], v[14:15], v[20:21]
	s_waitcnt vmcnt(32)
	v_fma_f64 v[26:27], v[10:11], v[44:45], -v[26:27]
	v_mul_f64 v[20:21], v[2:3], v[48:49]
	v_fma_f64 v[24:25], v[12:13], v[44:45], v[24:25]
	ds_read_b128 v[10:13], v1 offset:1856
	v_add_f64 v[18:19], v[18:19], v[32:33]
	s_waitcnt vmcnt(31) lgkmcnt(1)
	v_mul_f64 v[32:33], v[8:9], v[50:51]
	v_add_f64 v[14:15], v[14:15], v[16:17]
	s_waitcnt vmcnt(29)
	v_fma_f64 v[22:23], v[2:3], v[54:55], -v[22:23]
	;; [unrolled: 9-line block ×7, first 2 shown]
	v_mul_f64 v[20:21], v[2:3], v[95:96]
	v_fma_f64 v[12:13], v[12:13], v[70:71], v[24:25]
	v_add_f64 v[18:19], v[18:19], v[32:33]
	v_add_f64 v[14:15], v[14:15], v[16:17]
	s_waitcnt vmcnt(7) lgkmcnt(0)
	v_mul_f64 v[24:25], v[8:9], v[97:98]
	v_mul_f64 v[16:17], v[6:7], v[97:98]
	s_waitcnt vmcnt(5)
	v_fma_f64 v[2:3], v[2:3], v[93:94], -v[22:23]
	v_fma_f64 v[4:5], v[4:5], v[93:94], v[20:21]
	v_add_f64 v[10:11], v[18:19], v[10:11]
	v_add_f64 v[12:13], v[14:15], v[12:13]
	s_waitcnt vmcnt(4)
	v_fma_f64 v[6:7], v[6:7], v[99:100], -v[24:25]
	v_fma_f64 v[8:9], v[8:9], v[99:100], v[16:17]
	v_add_f64 v[2:3], v[10:11], v[2:3]
	v_add_f64 v[4:5], v[12:13], v[4:5]
	;; [unrolled: 1-line block ×4, first 2 shown]
	s_waitcnt vmcnt(2)
	v_add_f64 v[2:3], v[28:29], -v[2:3]
	s_waitcnt vmcnt(0)
	v_add_f64 v[4:5], v[30:31], -v[4:5]
	buffer_store_dword v3, off, s[0:3], 0 offset:708
	buffer_store_dword v2, off, s[0:3], 0 offset:704
	;; [unrolled: 1-line block ×4, first 2 shown]
	v_cmpx_lt_u32_e32 42, v0
	s_cbranch_execz .LBB60_307
; %bb.306:
	v_mov_b32_e32 v5, s33
	s_clause 0x3
	buffer_load_dword v2, v5, s[0:3], 0 offen
	buffer_load_dword v3, v5, s[0:3], 0 offen offset:4
	buffer_load_dword v4, v5, s[0:3], 0 offen offset:8
	;; [unrolled: 1-line block ×3, first 2 shown]
	buffer_store_dword v1, off, s[0:3], 0 offset:688
	buffer_store_dword v1, off, s[0:3], 0 offset:692
	;; [unrolled: 1-line block ×4, first 2 shown]
	s_waitcnt vmcnt(0)
	ds_write_b128 v69, v[2:5]
.LBB60_307:
	s_or_b32 exec_lo, exec_lo, s4
	s_waitcnt lgkmcnt(0)
	s_waitcnt_vscnt null, 0x0
	s_barrier
	buffer_gl0_inv
	s_clause 0x37
	buffer_load_dword v10, off, s[0:3], 0 offset:712
	buffer_load_dword v11, off, s[0:3], 0 offset:716
	;; [unrolled: 1-line block ×56, first 2 shown]
	ds_read_b128 v[2:5], v1 offset:1664
	s_clause 0x2
	buffer_load_dword v67, off, s[0:3], 0 offset:940
	buffer_load_dword v73, off, s[0:3], 0 offset:916
	;; [unrolled: 1-line block ×3, first 2 shown]
	ds_read_b128 v[6:9], v1 offset:1680
	s_clause 0x4
	buffer_load_dword v96, off, s[0:3], 0 offset:956
	buffer_load_dword v97, off, s[0:3], 0 offset:968
	;; [unrolled: 1-line block ×5, first 2 shown]
	s_mov_b32 s4, exec_lo
	s_waitcnt vmcnt(62) lgkmcnt(1)
	v_mul_f64 v[74:75], v[4:5], v[10:11]
	v_mul_f64 v[93:94], v[2:3], v[10:11]
	s_waitcnt vmcnt(60) lgkmcnt(0)
	v_mul_f64 v[109:110], v[8:9], v[14:15]
	ds_read_b128 v[10:13], v1 offset:1696
	v_mul_f64 v[14:15], v[6:7], v[14:15]
	s_waitcnt vmcnt(58)
	v_fma_f64 v[74:75], v[2:3], v[16:17], -v[74:75]
	v_fma_f64 v[16:17], v[4:5], v[16:17], v[93:94]
	s_clause 0x2
	buffer_load_dword v98, off, s[0:3], 0 offset:972
	buffer_load_dword v94, off, s[0:3], 0 offset:948
	;; [unrolled: 1-line block ×3, first 2 shown]
	s_waitcnt vmcnt(59) lgkmcnt(0)
	v_mul_f64 v[111:112], v[10:11], v[18:19]
	v_mul_f64 v[18:19], v[12:13], v[18:19]
	s_waitcnt vmcnt(57)
	v_fma_f64 v[109:110], v[6:7], v[20:21], -v[109:110]
	ds_read_b128 v[2:5], v1 offset:1712
	v_fma_f64 v[14:15], v[8:9], v[20:21], v[14:15]
	s_clause 0x2
	buffer_load_dword v21, off, s[0:3], 0 offset:988
	buffer_load_dword v20, off, s[0:3], 0 offset:984
	;; [unrolled: 1-line block ×3, first 2 shown]
	ds_read_b128 v[6:9], v1 offset:1728
	v_add_f64 v[74:75], v[74:75], 0
	v_add_f64 v[16:17], v[16:17], 0
	s_waitcnt vmcnt(56) lgkmcnt(1)
	v_mul_f64 v[117:118], v[2:3], v[22:23]
	v_mul_f64 v[22:23], v[4:5], v[22:23]
	s_waitcnt vmcnt(54)
	v_fma_f64 v[18:19], v[10:11], v[28:29], -v[18:19]
	v_fma_f64 v[28:29], v[12:13], v[28:29], v[111:112]
	v_add_f64 v[74:75], v[74:75], v[109:110]
	v_add_f64 v[14:15], v[16:17], v[14:15]
	s_clause 0x1
	buffer_load_dword v17, off, s[0:3], 0 offset:980
	buffer_load_dword v16, off, s[0:3], 0 offset:976
	s_waitcnt vmcnt(55) lgkmcnt(0)
	v_mul_f64 v[109:110], v[6:7], v[24:25]
	v_mul_f64 v[24:25], v[8:9], v[24:25]
	s_waitcnt vmcnt(53)
	v_fma_f64 v[22:23], v[2:3], v[30:31], -v[22:23]
	ds_read_b128 v[10:13], v1 offset:1744
	v_fma_f64 v[30:31], v[4:5], v[30:31], v[117:118]
	ds_read_b128 v[2:5], v1 offset:1760
	v_add_f64 v[18:19], v[74:75], v[18:19]
	v_add_f64 v[14:15], v[14:15], v[28:29]
	s_waitcnt vmcnt(49) lgkmcnt(1)
	v_mul_f64 v[28:29], v[10:11], v[32:33]
	v_mul_f64 v[32:33], v[12:13], v[32:33]
	s_waitcnt vmcnt(48)
	v_fma_f64 v[24:25], v[6:7], v[26:27], -v[24:25]
	s_waitcnt vmcnt(47) lgkmcnt(0)
	v_mul_f64 v[74:75], v[2:3], v[34:35]
	v_mul_f64 v[34:35], v[4:5], v[34:35]
	v_add_f64 v[18:19], v[18:19], v[22:23]
	v_fma_f64 v[22:23], v[8:9], v[26:27], v[109:110]
	v_add_f64 v[14:15], v[14:15], v[30:31]
	s_clause 0x3
	buffer_load_dword v26, off, s[0:3], 0 offset:688
	buffer_load_dword v27, off, s[0:3], 0 offset:692
	;; [unrolled: 1-line block ×4, first 2 shown]
	ds_read_b128 v[6:9], v1 offset:1776
	s_waitcnt vmcnt(49)
	v_fma_f64 v[32:33], v[10:11], v[38:39], -v[32:33]
	s_waitcnt vmcnt(44)
	v_fma_f64 v[34:35], v[2:3], v[36:37], -v[34:35]
	v_add_f64 v[18:19], v[18:19], v[24:25]
	v_fma_f64 v[24:25], v[12:13], v[38:39], v[28:29]
	v_add_f64 v[14:15], v[14:15], v[22:23]
	ds_read_b128 v[10:13], v1 offset:1792
	s_waitcnt lgkmcnt(1)
	v_mul_f64 v[28:29], v[8:9], v[40:41]
	v_mul_f64 v[22:23], v[6:7], v[40:41]
	v_add_f64 v[18:19], v[18:19], v[32:33]
	v_fma_f64 v[32:33], v[4:5], v[36:37], v[74:75]
	v_add_f64 v[14:15], v[14:15], v[24:25]
	s_waitcnt vmcnt(43) lgkmcnt(0)
	v_mul_f64 v[36:37], v[12:13], v[42:43]
	s_waitcnt vmcnt(41)
	v_fma_f64 v[28:29], v[6:7], v[46:47], -v[28:29]
	ds_read_b128 v[2:5], v1 offset:1808
	v_mul_f64 v[24:25], v[10:11], v[42:43]
	v_fma_f64 v[22:23], v[8:9], v[46:47], v[22:23]
	ds_read_b128 v[6:9], v1 offset:1824
	v_add_f64 v[18:19], v[18:19], v[34:35]
	v_add_f64 v[14:15], v[14:15], v[32:33]
	s_waitcnt vmcnt(37) lgkmcnt(1)
	v_mul_f64 v[34:35], v[4:5], v[48:49]
	s_waitcnt vmcnt(36)
	v_fma_f64 v[36:37], v[10:11], v[44:45], -v[36:37]
	v_mul_f64 v[32:33], v[2:3], v[48:49]
	v_fma_f64 v[24:25], v[12:13], v[44:45], v[24:25]
	ds_read_b128 v[10:13], v1 offset:1840
	v_add_f64 v[18:19], v[18:19], v[28:29]
	s_waitcnt vmcnt(35) lgkmcnt(1)
	v_mul_f64 v[28:29], v[8:9], v[50:51]
	v_add_f64 v[14:15], v[14:15], v[22:23]
	s_waitcnt vmcnt(33)
	v_fma_f64 v[34:35], v[2:3], v[54:55], -v[34:35]
	v_mul_f64 v[22:23], v[6:7], v[50:51]
	v_fma_f64 v[32:33], v[4:5], v[54:55], v[32:33]
	ds_read_b128 v[2:5], v1 offset:1856
	v_add_f64 v[18:19], v[18:19], v[36:37]
	s_waitcnt vmcnt(29) lgkmcnt(1)
	v_mul_f64 v[36:37], v[12:13], v[56:57]
	v_add_f64 v[14:15], v[14:15], v[24:25]
	s_waitcnt vmcnt(28)
	v_fma_f64 v[28:29], v[6:7], v[52:53], -v[28:29]
	v_mul_f64 v[24:25], v[10:11], v[56:57]
	v_fma_f64 v[22:23], v[8:9], v[52:53], v[22:23]
	ds_read_b128 v[6:9], v1 offset:1872
	v_add_f64 v[18:19], v[18:19], v[34:35]
	s_waitcnt vmcnt(27) lgkmcnt(1)
	v_mul_f64 v[34:35], v[4:5], v[58:59]
	v_add_f64 v[14:15], v[14:15], v[32:33]
	s_waitcnt vmcnt(25)
	v_fma_f64 v[36:37], v[10:11], v[62:63], -v[36:37]
	v_mul_f64 v[32:33], v[2:3], v[58:59]
	v_fma_f64 v[24:25], v[12:13], v[62:63], v[24:25]
	ds_read_b128 v[10:13], v1 offset:1888
	v_add_f64 v[18:19], v[18:19], v[28:29]
	s_waitcnt vmcnt(21) lgkmcnt(1)
	v_mul_f64 v[28:29], v[8:9], v[64:65]
	v_add_f64 v[14:15], v[14:15], v[22:23]
	s_waitcnt vmcnt(20)
	v_fma_f64 v[34:35], v[2:3], v[60:61], -v[34:35]
	v_mul_f64 v[22:23], v[6:7], v[64:65]
	v_fma_f64 v[32:33], v[4:5], v[60:61], v[32:33]
	ds_read_b128 v[2:5], v1 offset:1904
	v_add_f64 v[18:19], v[18:19], v[36:37]
	s_waitcnt vmcnt(19) lgkmcnt(1)
	v_mul_f64 v[36:37], v[12:13], v[66:67]
	v_add_f64 v[14:15], v[14:15], v[24:25]
	s_waitcnt vmcnt(17)
	v_fma_f64 v[28:29], v[6:7], v[72:73], -v[28:29]
	v_mul_f64 v[24:25], v[10:11], v[66:67]
	v_fma_f64 v[22:23], v[8:9], v[72:73], v[22:23]
	ds_read_b128 v[6:9], v1 offset:1920
	v_add_f64 v[18:19], v[18:19], v[34:35]
	s_waitcnt vmcnt(13) lgkmcnt(1)
	v_mul_f64 v[34:35], v[4:5], v[95:96]
	v_add_f64 v[14:15], v[14:15], v[32:33]
	s_waitcnt vmcnt(12)
	v_fma_f64 v[36:37], v[10:11], v[70:71], -v[36:37]
	v_mul_f64 v[32:33], v[2:3], v[95:96]
	v_fma_f64 v[24:25], v[12:13], v[70:71], v[24:25]
	ds_read_b128 v[10:13], v1 offset:1936
	v_add_f64 v[18:19], v[18:19], v[28:29]
	v_add_f64 v[14:15], v[14:15], v[22:23]
	s_waitcnt vmcnt(11) lgkmcnt(1)
	v_mul_f64 v[28:29], v[8:9], v[97:98]
	v_mul_f64 v[22:23], v[6:7], v[97:98]
	s_waitcnt vmcnt(9)
	v_fma_f64 v[1:2], v[2:3], v[93:94], -v[34:35]
	v_fma_f64 v[3:4], v[4:5], v[93:94], v[32:33]
	v_add_f64 v[18:19], v[18:19], v[36:37]
	v_add_f64 v[14:15], v[14:15], v[24:25]
	s_waitcnt vmcnt(7) lgkmcnt(0)
	v_mul_f64 v[24:25], v[10:11], v[20:21]
	v_mul_f64 v[20:21], v[12:13], v[20:21]
	s_waitcnt vmcnt(6)
	v_fma_f64 v[5:6], v[6:7], v[99:100], -v[28:29]
	v_fma_f64 v[7:8], v[8:9], v[99:100], v[22:23]
	v_add_f64 v[1:2], v[18:19], v[1:2]
	v_add_f64 v[3:4], v[14:15], v[3:4]
	s_waitcnt vmcnt(4)
	v_fma_f64 v[9:10], v[10:11], v[16:17], -v[20:21]
	v_add_f64 v[1:2], v[1:2], v[5:6]
	v_fma_f64 v[5:6], v[12:13], v[16:17], v[24:25]
	v_add_f64 v[3:4], v[3:4], v[7:8]
	v_add_f64 v[1:2], v[1:2], v[9:10]
	;; [unrolled: 1-line block ×3, first 2 shown]
	s_waitcnt vmcnt(2)
	v_add_f64 v[1:2], v[26:27], -v[1:2]
	s_waitcnt vmcnt(0)
	v_add_f64 v[3:4], v[30:31], -v[3:4]
	buffer_store_dword v2, off, s[0:3], 0 offset:692
	buffer_store_dword v1, off, s[0:3], 0 offset:688
	;; [unrolled: 1-line block ×4, first 2 shown]
	v_cmpx_lt_u32_e32 41, v0
	s_cbranch_execz .LBB60_309
; %bb.308:
	v_mov_b32_e32 v4, s34
	v_mov_b32_e32 v5, 0
	s_clause 0x3
	buffer_load_dword v1, v4, s[0:3], 0 offen
	buffer_load_dword v2, v4, s[0:3], 0 offen offset:4
	buffer_load_dword v3, v4, s[0:3], 0 offen offset:8
	;; [unrolled: 1-line block ×3, first 2 shown]
	buffer_store_dword v5, off, s[0:3], 0 offset:672
	buffer_store_dword v5, off, s[0:3], 0 offset:676
	;; [unrolled: 1-line block ×4, first 2 shown]
	s_waitcnt vmcnt(0)
	ds_write_b128 v69, v[1:4]
.LBB60_309:
	s_or_b32 exec_lo, exec_lo, s4
	s_waitcnt lgkmcnt(0)
	s_waitcnt_vscnt null, 0x0
	s_barrier
	buffer_gl0_inv
	s_clause 0x37
	buffer_load_dword v10, off, s[0:3], 0 offset:696
	buffer_load_dword v11, off, s[0:3], 0 offset:700
	;; [unrolled: 1-line block ×56, first 2 shown]
	v_mov_b32_e32 v1, 0
	s_mov_b32 s4, exec_lo
	ds_read_b128 v[2:5], v1 offset:1648
	s_clause 0x2
	buffer_load_dword v67, off, s[0:3], 0 offset:924
	buffer_load_dword v73, off, s[0:3], 0 offset:900
	;; [unrolled: 1-line block ×3, first 2 shown]
	ds_read_b128 v[6:9], v1 offset:1664
	s_clause 0x4
	buffer_load_dword v96, off, s[0:3], 0 offset:940
	buffer_load_dword v97, off, s[0:3], 0 offset:952
	;; [unrolled: 1-line block ×5, first 2 shown]
	s_waitcnt vmcnt(62) lgkmcnt(1)
	v_mul_f64 v[74:75], v[4:5], v[10:11]
	v_mul_f64 v[93:94], v[2:3], v[10:11]
	s_waitcnt vmcnt(60) lgkmcnt(0)
	v_mul_f64 v[109:110], v[8:9], v[14:15]
	ds_read_b128 v[10:13], v1 offset:1680
	v_mul_f64 v[14:15], v[6:7], v[14:15]
	s_waitcnt vmcnt(58)
	v_fma_f64 v[74:75], v[2:3], v[16:17], -v[74:75]
	v_fma_f64 v[16:17], v[4:5], v[16:17], v[93:94]
	s_clause 0x2
	buffer_load_dword v98, off, s[0:3], 0 offset:956
	buffer_load_dword v94, off, s[0:3], 0 offset:932
	;; [unrolled: 1-line block ×3, first 2 shown]
	s_waitcnt vmcnt(59) lgkmcnt(0)
	v_mul_f64 v[111:112], v[10:11], v[18:19]
	v_mul_f64 v[18:19], v[12:13], v[18:19]
	s_waitcnt vmcnt(57)
	v_fma_f64 v[109:110], v[6:7], v[20:21], -v[109:110]
	ds_read_b128 v[2:5], v1 offset:1696
	v_fma_f64 v[14:15], v[8:9], v[20:21], v[14:15]
	s_clause 0x4
	buffer_load_dword v21, off, s[0:3], 0 offset:972
	buffer_load_dword v117, off, s[0:3], 0 offset:984
	;; [unrolled: 1-line block ×5, first 2 shown]
	ds_read_b128 v[6:9], v1 offset:1712
	v_add_f64 v[74:75], v[74:75], 0
	v_add_f64 v[16:17], v[16:17], 0
	s_waitcnt vmcnt(58) lgkmcnt(1)
	v_mul_f64 v[129:130], v[2:3], v[22:23]
	v_mul_f64 v[22:23], v[4:5], v[22:23]
	s_waitcnt vmcnt(56)
	v_fma_f64 v[18:19], v[10:11], v[28:29], -v[18:19]
	v_fma_f64 v[28:29], v[12:13], v[28:29], v[111:112]
	v_add_f64 v[74:75], v[74:75], v[109:110]
	v_add_f64 v[14:15], v[16:17], v[14:15]
	s_clause 0x2
	buffer_load_dword v118, off, s[0:3], 0 offset:988
	buffer_load_dword v17, off, s[0:3], 0 offset:964
	;; [unrolled: 1-line block ×3, first 2 shown]
	s_waitcnt vmcnt(58) lgkmcnt(0)
	v_mul_f64 v[109:110], v[6:7], v[24:25]
	v_mul_f64 v[24:25], v[8:9], v[24:25]
	s_waitcnt vmcnt(56)
	v_fma_f64 v[22:23], v[2:3], v[30:31], -v[22:23]
	ds_read_b128 v[10:13], v1 offset:1728
	v_fma_f64 v[30:31], v[4:5], v[30:31], v[129:130]
	buffer_load_dword v120, off, s[0:3], 0 offset:980
	ds_read_b128 v[2:5], v1 offset:1744
	v_add_f64 v[18:19], v[74:75], v[18:19]
	v_add_f64 v[14:15], v[14:15], v[28:29]
	s_waitcnt vmcnt(53) lgkmcnt(1)
	v_mul_f64 v[28:29], v[10:11], v[32:33]
	v_mul_f64 v[32:33], v[12:13], v[32:33]
	s_waitcnt vmcnt(52)
	v_fma_f64 v[24:25], v[6:7], v[26:27], -v[24:25]
	v_add_f64 v[18:19], v[18:19], v[22:23]
	v_fma_f64 v[22:23], v[8:9], v[26:27], v[109:110]
	v_add_f64 v[14:15], v[14:15], v[30:31]
	s_waitcnt vmcnt(51) lgkmcnt(0)
	v_mul_f64 v[30:31], v[4:5], v[34:35]
	ds_read_b128 v[6:9], v1 offset:1760
	s_waitcnt vmcnt(49)
	v_fma_f64 v[32:33], v[10:11], v[38:39], -v[32:33]
	v_mul_f64 v[26:27], v[2:3], v[34:35]
	v_add_f64 v[18:19], v[18:19], v[24:25]
	v_fma_f64 v[24:25], v[12:13], v[38:39], v[28:29]
	v_add_f64 v[14:15], v[14:15], v[22:23]
	s_clause 0x3
	buffer_load_dword v22, off, s[0:3], 0 offset:672
	buffer_load_dword v23, off, s[0:3], 0 offset:676
	;; [unrolled: 1-line block ×4, first 2 shown]
	s_waitcnt vmcnt(49) lgkmcnt(0)
	v_mul_f64 v[38:39], v[8:9], v[40:41]
	s_waitcnt vmcnt(48)
	v_fma_f64 v[30:31], v[2:3], v[36:37], -v[30:31]
	ds_read_b128 v[10:13], v1 offset:1776
	v_mul_f64 v[34:35], v[6:7], v[40:41]
	v_fma_f64 v[26:27], v[4:5], v[36:37], v[26:27]
	ds_read_b128 v[2:5], v1 offset:1792
	v_add_f64 v[18:19], v[18:19], v[32:33]
	v_add_f64 v[14:15], v[14:15], v[24:25]
	s_waitcnt vmcnt(47) lgkmcnt(1)
	v_mul_f64 v[32:33], v[12:13], v[42:43]
	s_waitcnt vmcnt(45)
	v_fma_f64 v[36:37], v[6:7], v[46:47], -v[38:39]
	v_mul_f64 v[24:25], v[10:11], v[42:43]
	v_add_f64 v[18:19], v[18:19], v[30:31]
	v_fma_f64 v[30:31], v[8:9], v[46:47], v[34:35]
	v_add_f64 v[14:15], v[14:15], v[26:27]
	s_waitcnt vmcnt(41) lgkmcnt(0)
	v_mul_f64 v[34:35], v[4:5], v[48:49]
	s_waitcnt vmcnt(40)
	v_fma_f64 v[32:33], v[10:11], v[44:45], -v[32:33]
	ds_read_b128 v[6:9], v1 offset:1808
	v_mul_f64 v[26:27], v[2:3], v[48:49]
	v_fma_f64 v[24:25], v[12:13], v[44:45], v[24:25]
	ds_read_b128 v[10:13], v1 offset:1824
	v_add_f64 v[18:19], v[18:19], v[36:37]
	v_add_f64 v[14:15], v[14:15], v[30:31]
	s_waitcnt vmcnt(39) lgkmcnt(1)
	v_mul_f64 v[36:37], v[8:9], v[50:51]
	s_waitcnt vmcnt(37)
	v_fma_f64 v[34:35], v[2:3], v[54:55], -v[34:35]
	v_mul_f64 v[30:31], v[6:7], v[50:51]
	v_fma_f64 v[26:27], v[4:5], v[54:55], v[26:27]
	ds_read_b128 v[2:5], v1 offset:1840
	v_add_f64 v[18:19], v[18:19], v[32:33]
	s_waitcnt vmcnt(33) lgkmcnt(1)
	v_mul_f64 v[32:33], v[12:13], v[56:57]
	v_add_f64 v[14:15], v[14:15], v[24:25]
	s_waitcnt vmcnt(32)
	v_fma_f64 v[36:37], v[6:7], v[52:53], -v[36:37]
	v_mul_f64 v[24:25], v[10:11], v[56:57]
	v_fma_f64 v[30:31], v[8:9], v[52:53], v[30:31]
	ds_read_b128 v[6:9], v1 offset:1856
	v_add_f64 v[18:19], v[18:19], v[34:35]
	s_waitcnt vmcnt(31) lgkmcnt(1)
	v_mul_f64 v[34:35], v[4:5], v[58:59]
	v_add_f64 v[14:15], v[14:15], v[26:27]
	;; [unrolled: 9-line block ×5, first 2 shown]
	s_waitcnt vmcnt(16)
	v_fma_f64 v[32:33], v[10:11], v[70:71], -v[32:33]
	v_mul_f64 v[26:27], v[2:3], v[95:96]
	v_fma_f64 v[24:25], v[12:13], v[70:71], v[24:25]
	ds_read_b128 v[10:13], v1 offset:1920
	v_add_f64 v[18:19], v[18:19], v[36:37]
	v_add_f64 v[14:15], v[14:15], v[30:31]
	s_waitcnt vmcnt(15) lgkmcnt(1)
	v_mul_f64 v[36:37], v[8:9], v[97:98]
	v_mul_f64 v[30:31], v[6:7], v[97:98]
	s_waitcnt vmcnt(13)
	v_fma_f64 v[34:35], v[2:3], v[93:94], -v[34:35]
	v_fma_f64 v[26:27], v[4:5], v[93:94], v[26:27]
	ds_read_b128 v[2:5], v1 offset:1936
	v_add_f64 v[18:19], v[18:19], v[32:33]
	v_add_f64 v[14:15], v[14:15], v[24:25]
	s_waitcnt vmcnt(9) lgkmcnt(1)
	v_mul_f64 v[24:25], v[10:11], v[20:21]
	v_mul_f64 v[20:21], v[12:13], v[20:21]
	s_waitcnt vmcnt(8)
	v_fma_f64 v[6:7], v[6:7], v[99:100], -v[36:37]
	v_fma_f64 v[8:9], v[8:9], v[99:100], v[30:31]
	v_add_f64 v[18:19], v[18:19], v[34:35]
	v_add_f64 v[14:15], v[14:15], v[26:27]
	s_waitcnt vmcnt(7) lgkmcnt(0)
	v_mul_f64 v[30:31], v[4:5], v[117:118]
	v_mul_f64 v[26:27], v[2:3], v[117:118]
	s_waitcnt vmcnt(5)
	v_fma_f64 v[10:11], v[10:11], v[16:17], -v[20:21]
	v_fma_f64 v[12:13], v[12:13], v[16:17], v[24:25]
	v_add_f64 v[6:7], v[18:19], v[6:7]
	v_add_f64 v[8:9], v[14:15], v[8:9]
	s_waitcnt vmcnt(4)
	v_fma_f64 v[2:3], v[2:3], v[119:120], -v[30:31]
	v_fma_f64 v[4:5], v[4:5], v[119:120], v[26:27]
	v_add_f64 v[6:7], v[6:7], v[10:11]
	v_add_f64 v[8:9], v[8:9], v[12:13]
	;; [unrolled: 1-line block ×4, first 2 shown]
	s_waitcnt vmcnt(2)
	v_add_f64 v[2:3], v[22:23], -v[2:3]
	s_waitcnt vmcnt(0)
	v_add_f64 v[4:5], v[28:29], -v[4:5]
	buffer_store_dword v3, off, s[0:3], 0 offset:676
	buffer_store_dword v2, off, s[0:3], 0 offset:672
	;; [unrolled: 1-line block ×4, first 2 shown]
	v_cmpx_lt_u32_e32 40, v0
	s_cbranch_execz .LBB60_311
; %bb.310:
	v_mov_b32_e32 v5, s35
	s_clause 0x3
	buffer_load_dword v2, v5, s[0:3], 0 offen
	buffer_load_dword v3, v5, s[0:3], 0 offen offset:4
	buffer_load_dword v4, v5, s[0:3], 0 offen offset:8
	buffer_load_dword v5, v5, s[0:3], 0 offen offset:12
	buffer_store_dword v1, off, s[0:3], 0 offset:656
	buffer_store_dword v1, off, s[0:3], 0 offset:660
	;; [unrolled: 1-line block ×4, first 2 shown]
	s_waitcnt vmcnt(0)
	ds_write_b128 v69, v[2:5]
.LBB60_311:
	s_or_b32 exec_lo, exec_lo, s4
	s_waitcnt lgkmcnt(0)
	s_waitcnt_vscnt null, 0x0
	s_barrier
	buffer_gl0_inv
	s_clause 0x37
	buffer_load_dword v10, off, s[0:3], 0 offset:680
	buffer_load_dword v11, off, s[0:3], 0 offset:684
	;; [unrolled: 1-line block ×56, first 2 shown]
	ds_read_b128 v[2:5], v1 offset:1632
	s_clause 0x2
	buffer_load_dword v67, off, s[0:3], 0 offset:908
	buffer_load_dword v73, off, s[0:3], 0 offset:884
	;; [unrolled: 1-line block ×3, first 2 shown]
	ds_read_b128 v[6:9], v1 offset:1648
	s_clause 0x4
	buffer_load_dword v96, off, s[0:3], 0 offset:924
	buffer_load_dword v97, off, s[0:3], 0 offset:936
	buffer_load_dword v99, off, s[0:3], 0 offset:928
	buffer_load_dword v95, off, s[0:3], 0 offset:920
	buffer_load_dword v71, off, s[0:3], 0 offset:900
	s_mov_b32 s4, exec_lo
	s_waitcnt vmcnt(62) lgkmcnt(1)
	v_mul_f64 v[74:75], v[4:5], v[10:11]
	v_mul_f64 v[93:94], v[2:3], v[10:11]
	s_waitcnt vmcnt(60) lgkmcnt(0)
	v_mul_f64 v[109:110], v[8:9], v[14:15]
	ds_read_b128 v[10:13], v1 offset:1664
	v_mul_f64 v[14:15], v[6:7], v[14:15]
	s_waitcnt vmcnt(58)
	v_fma_f64 v[74:75], v[2:3], v[16:17], -v[74:75]
	v_fma_f64 v[16:17], v[4:5], v[16:17], v[93:94]
	s_clause 0x2
	buffer_load_dword v98, off, s[0:3], 0 offset:940
	buffer_load_dword v94, off, s[0:3], 0 offset:916
	;; [unrolled: 1-line block ×3, first 2 shown]
	s_waitcnt vmcnt(59) lgkmcnt(0)
	v_mul_f64 v[111:112], v[10:11], v[18:19]
	v_mul_f64 v[18:19], v[12:13], v[18:19]
	s_waitcnt vmcnt(57)
	v_fma_f64 v[109:110], v[6:7], v[20:21], -v[109:110]
	ds_read_b128 v[2:5], v1 offset:1680
	v_fma_f64 v[14:15], v[8:9], v[20:21], v[14:15]
	s_clause 0x4
	buffer_load_dword v21, off, s[0:3], 0 offset:956
	buffer_load_dword v117, off, s[0:3], 0 offset:968
	;; [unrolled: 1-line block ×5, first 2 shown]
	ds_read_b128 v[6:9], v1 offset:1696
	v_add_f64 v[74:75], v[74:75], 0
	v_add_f64 v[16:17], v[16:17], 0
	s_waitcnt vmcnt(58) lgkmcnt(1)
	v_mul_f64 v[129:130], v[2:3], v[22:23]
	v_mul_f64 v[22:23], v[4:5], v[22:23]
	s_waitcnt vmcnt(56)
	v_fma_f64 v[18:19], v[10:11], v[28:29], -v[18:19]
	v_fma_f64 v[28:29], v[12:13], v[28:29], v[111:112]
	v_add_f64 v[74:75], v[74:75], v[109:110]
	v_add_f64 v[14:15], v[16:17], v[14:15]
	s_clause 0x2
	buffer_load_dword v118, off, s[0:3], 0 offset:972
	buffer_load_dword v17, off, s[0:3], 0 offset:948
	;; [unrolled: 1-line block ×3, first 2 shown]
	s_waitcnt vmcnt(58) lgkmcnt(0)
	v_mul_f64 v[109:110], v[6:7], v[24:25]
	v_mul_f64 v[24:25], v[8:9], v[24:25]
	s_waitcnt vmcnt(56)
	v_fma_f64 v[22:23], v[2:3], v[30:31], -v[22:23]
	ds_read_b128 v[10:13], v1 offset:1712
	v_fma_f64 v[30:31], v[4:5], v[30:31], v[129:130]
	v_add_f64 v[18:19], v[74:75], v[18:19]
	v_add_f64 v[14:15], v[14:15], v[28:29]
	s_clause 0x2
	buffer_load_dword v29, off, s[0:3], 0 offset:988
	buffer_load_dword v28, off, s[0:3], 0 offset:984
	;; [unrolled: 1-line block ×3, first 2 shown]
	ds_read_b128 v[2:5], v1 offset:1728
	s_waitcnt vmcnt(55) lgkmcnt(1)
	v_mul_f64 v[74:75], v[10:11], v[32:33]
	v_mul_f64 v[32:33], v[12:13], v[32:33]
	s_waitcnt vmcnt(54)
	v_fma_f64 v[24:25], v[6:7], v[26:27], -v[24:25]
	v_add_f64 v[18:19], v[18:19], v[22:23]
	v_fma_f64 v[22:23], v[8:9], v[26:27], v[109:110]
	v_add_f64 v[14:15], v[14:15], v[30:31]
	s_clause 0x1
	buffer_load_dword v27, off, s[0:3], 0 offset:980
	buffer_load_dword v26, off, s[0:3], 0 offset:976
	s_waitcnt vmcnt(55) lgkmcnt(0)
	v_mul_f64 v[30:31], v[2:3], v[34:35]
	v_mul_f64 v[34:35], v[4:5], v[34:35]
	s_waitcnt vmcnt(53)
	v_fma_f64 v[32:33], v[10:11], v[38:39], -v[32:33]
	ds_read_b128 v[6:9], v1 offset:1744
	v_add_f64 v[18:19], v[18:19], v[24:25]
	v_fma_f64 v[24:25], v[12:13], v[38:39], v[74:75]
	v_add_f64 v[14:15], v[14:15], v[22:23]
	ds_read_b128 v[10:13], v1 offset:1760
	s_waitcnt vmcnt(48)
	v_fma_f64 v[30:31], v[4:5], v[36:37], v[30:31]
	s_waitcnt lgkmcnt(1)
	v_mul_f64 v[38:39], v[8:9], v[40:41]
	v_fma_f64 v[34:35], v[2:3], v[36:37], -v[34:35]
	v_mul_f64 v[22:23], v[6:7], v[40:41]
	v_add_f64 v[18:19], v[18:19], v[32:33]
	s_waitcnt vmcnt(47) lgkmcnt(0)
	v_mul_f64 v[40:41], v[12:13], v[42:43]
	v_add_f64 v[14:15], v[14:15], v[24:25]
	s_clause 0x3
	buffer_load_dword v24, off, s[0:3], 0 offset:656
	buffer_load_dword v25, off, s[0:3], 0 offset:660
	;; [unrolled: 1-line block ×4, first 2 shown]
	ds_read_b128 v[2:5], v1 offset:1776
	s_waitcnt vmcnt(49)
	v_fma_f64 v[38:39], v[6:7], v[46:47], -v[38:39]
	v_mul_f64 v[36:37], v[10:11], v[42:43]
	v_fma_f64 v[22:23], v[8:9], v[46:47], v[22:23]
	ds_read_b128 v[6:9], v1 offset:1792
	v_add_f64 v[18:19], v[18:19], v[34:35]
	s_waitcnt vmcnt(44)
	v_fma_f64 v[40:41], v[10:11], v[44:45], -v[40:41]
	v_add_f64 v[14:15], v[14:15], v[30:31]
	s_waitcnt lgkmcnt(1)
	v_mul_f64 v[34:35], v[4:5], v[48:49]
	v_mul_f64 v[30:31], v[2:3], v[48:49]
	v_fma_f64 v[36:37], v[12:13], v[44:45], v[36:37]
	ds_read_b128 v[10:13], v1 offset:1808
	v_add_f64 v[18:19], v[18:19], v[38:39]
	s_waitcnt vmcnt(43) lgkmcnt(1)
	v_mul_f64 v[38:39], v[8:9], v[50:51]
	v_add_f64 v[14:15], v[14:15], v[22:23]
	s_waitcnt vmcnt(41)
	v_fma_f64 v[34:35], v[2:3], v[54:55], -v[34:35]
	v_mul_f64 v[22:23], v[6:7], v[50:51]
	v_fma_f64 v[30:31], v[4:5], v[54:55], v[30:31]
	ds_read_b128 v[2:5], v1 offset:1824
	v_add_f64 v[18:19], v[18:19], v[40:41]
	s_waitcnt vmcnt(37) lgkmcnt(1)
	v_mul_f64 v[40:41], v[12:13], v[56:57]
	v_add_f64 v[14:15], v[14:15], v[36:37]
	s_waitcnt vmcnt(36)
	v_fma_f64 v[38:39], v[6:7], v[52:53], -v[38:39]
	;; [unrolled: 9-line block ×6, first 2 shown]
	v_mul_f64 v[30:31], v[2:3], v[95:96]
	v_fma_f64 v[36:37], v[12:13], v[70:71], v[36:37]
	ds_read_b128 v[10:13], v1 offset:1904
	v_add_f64 v[18:19], v[18:19], v[38:39]
	v_add_f64 v[14:15], v[14:15], v[22:23]
	s_waitcnt vmcnt(19) lgkmcnt(1)
	v_mul_f64 v[38:39], v[8:9], v[97:98]
	v_mul_f64 v[22:23], v[6:7], v[97:98]
	s_waitcnt vmcnt(17)
	v_fma_f64 v[34:35], v[2:3], v[93:94], -v[34:35]
	v_fma_f64 v[30:31], v[4:5], v[93:94], v[30:31]
	ds_read_b128 v[2:5], v1 offset:1920
	v_add_f64 v[18:19], v[18:19], v[40:41]
	v_add_f64 v[14:15], v[14:15], v[36:37]
	s_waitcnt vmcnt(13) lgkmcnt(1)
	v_mul_f64 v[36:37], v[10:11], v[20:21]
	v_mul_f64 v[20:21], v[12:13], v[20:21]
	s_waitcnt vmcnt(12)
	v_fma_f64 v[38:39], v[6:7], v[99:100], -v[38:39]
	;; [unrolled: 9-line block ×3, first 2 shown]
	v_fma_f64 v[12:13], v[12:13], v[16:17], v[36:37]
	v_add_f64 v[18:19], v[18:19], v[38:39]
	v_add_f64 v[14:15], v[14:15], v[22:23]
	s_waitcnt vmcnt(7) lgkmcnt(0)
	v_mul_f64 v[20:21], v[8:9], v[28:29]
	s_waitcnt vmcnt(6)
	v_fma_f64 v[1:2], v[2:3], v[119:120], -v[34:35]
	v_mul_f64 v[16:17], v[6:7], v[28:29]
	v_fma_f64 v[3:4], v[4:5], v[119:120], v[30:31]
	v_add_f64 v[10:11], v[18:19], v[10:11]
	v_add_f64 v[12:13], v[14:15], v[12:13]
	s_waitcnt vmcnt(4)
	v_fma_f64 v[5:6], v[6:7], v[26:27], -v[20:21]
	v_fma_f64 v[7:8], v[8:9], v[26:27], v[16:17]
	v_add_f64 v[1:2], v[10:11], v[1:2]
	v_add_f64 v[3:4], v[12:13], v[3:4]
	v_add_f64 v[1:2], v[1:2], v[5:6]
	v_add_f64 v[3:4], v[3:4], v[7:8]
	s_waitcnt vmcnt(2)
	v_add_f64 v[1:2], v[24:25], -v[1:2]
	s_waitcnt vmcnt(0)
	v_add_f64 v[3:4], v[32:33], -v[3:4]
	buffer_store_dword v2, off, s[0:3], 0 offset:660
	buffer_store_dword v1, off, s[0:3], 0 offset:656
	;; [unrolled: 1-line block ×4, first 2 shown]
	v_cmpx_lt_u32_e32 39, v0
	s_cbranch_execz .LBB60_313
; %bb.312:
	v_mov_b32_e32 v4, s36
	v_mov_b32_e32 v5, 0
	s_clause 0x3
	buffer_load_dword v1, v4, s[0:3], 0 offen
	buffer_load_dword v2, v4, s[0:3], 0 offen offset:4
	buffer_load_dword v3, v4, s[0:3], 0 offen offset:8
	;; [unrolled: 1-line block ×3, first 2 shown]
	buffer_store_dword v5, off, s[0:3], 0 offset:640
	buffer_store_dword v5, off, s[0:3], 0 offset:644
	;; [unrolled: 1-line block ×4, first 2 shown]
	s_waitcnt vmcnt(0)
	ds_write_b128 v69, v[1:4]
.LBB60_313:
	s_or_b32 exec_lo, exec_lo, s4
	s_waitcnt lgkmcnt(0)
	s_waitcnt_vscnt null, 0x0
	s_barrier
	buffer_gl0_inv
	s_clause 0x37
	buffer_load_dword v10, off, s[0:3], 0 offset:664
	buffer_load_dword v11, off, s[0:3], 0 offset:668
	;; [unrolled: 1-line block ×56, first 2 shown]
	v_mov_b32_e32 v1, 0
	s_mov_b32 s4, exec_lo
	ds_read_b128 v[2:5], v1 offset:1616
	s_clause 0x2
	buffer_load_dword v67, off, s[0:3], 0 offset:892
	buffer_load_dword v73, off, s[0:3], 0 offset:868
	;; [unrolled: 1-line block ×3, first 2 shown]
	ds_read_b128 v[6:9], v1 offset:1632
	s_clause 0x4
	buffer_load_dword v96, off, s[0:3], 0 offset:908
	buffer_load_dword v97, off, s[0:3], 0 offset:920
	;; [unrolled: 1-line block ×5, first 2 shown]
	s_waitcnt vmcnt(62) lgkmcnt(1)
	v_mul_f64 v[74:75], v[4:5], v[10:11]
	v_mul_f64 v[93:94], v[2:3], v[10:11]
	s_waitcnt vmcnt(60) lgkmcnt(0)
	v_mul_f64 v[109:110], v[8:9], v[14:15]
	ds_read_b128 v[10:13], v1 offset:1648
	v_mul_f64 v[14:15], v[6:7], v[14:15]
	s_waitcnt vmcnt(58)
	v_fma_f64 v[74:75], v[2:3], v[16:17], -v[74:75]
	v_fma_f64 v[16:17], v[4:5], v[16:17], v[93:94]
	s_clause 0x2
	buffer_load_dword v98, off, s[0:3], 0 offset:924
	buffer_load_dword v94, off, s[0:3], 0 offset:900
	;; [unrolled: 1-line block ×3, first 2 shown]
	s_waitcnt vmcnt(59) lgkmcnt(0)
	v_mul_f64 v[111:112], v[10:11], v[18:19]
	v_mul_f64 v[18:19], v[12:13], v[18:19]
	s_waitcnt vmcnt(57)
	v_fma_f64 v[109:110], v[6:7], v[20:21], -v[109:110]
	ds_read_b128 v[2:5], v1 offset:1664
	v_fma_f64 v[14:15], v[8:9], v[20:21], v[14:15]
	s_clause 0x4
	buffer_load_dword v21, off, s[0:3], 0 offset:940
	buffer_load_dword v117, off, s[0:3], 0 offset:952
	;; [unrolled: 1-line block ×5, first 2 shown]
	ds_read_b128 v[6:9], v1 offset:1680
	v_add_f64 v[74:75], v[74:75], 0
	v_add_f64 v[16:17], v[16:17], 0
	s_waitcnt vmcnt(58) lgkmcnt(1)
	v_mul_f64 v[129:130], v[2:3], v[22:23]
	v_mul_f64 v[22:23], v[4:5], v[22:23]
	s_waitcnt vmcnt(56)
	v_fma_f64 v[18:19], v[10:11], v[28:29], -v[18:19]
	v_fma_f64 v[28:29], v[12:13], v[28:29], v[111:112]
	v_add_f64 v[74:75], v[74:75], v[109:110]
	v_add_f64 v[14:15], v[16:17], v[14:15]
	s_clause 0x2
	buffer_load_dword v118, off, s[0:3], 0 offset:956
	buffer_load_dword v17, off, s[0:3], 0 offset:932
	buffer_load_dword v16, off, s[0:3], 0 offset:928
	s_waitcnt vmcnt(58) lgkmcnt(0)
	v_mul_f64 v[109:110], v[6:7], v[24:25]
	v_mul_f64 v[24:25], v[8:9], v[24:25]
	s_waitcnt vmcnt(56)
	v_fma_f64 v[22:23], v[2:3], v[30:31], -v[22:23]
	ds_read_b128 v[10:13], v1 offset:1696
	v_fma_f64 v[30:31], v[4:5], v[30:31], v[129:130]
	v_add_f64 v[18:19], v[74:75], v[18:19]
	v_add_f64 v[14:15], v[14:15], v[28:29]
	s_clause 0x4
	buffer_load_dword v29, off, s[0:3], 0 offset:972
	buffer_load_dword v74, off, s[0:3], 0 offset:984
	;; [unrolled: 1-line block ×5, first 2 shown]
	ds_read_b128 v[2:5], v1 offset:1712
	s_waitcnt vmcnt(57) lgkmcnt(1)
	v_mul_f64 v[129:130], v[10:11], v[32:33]
	v_mul_f64 v[32:33], v[12:13], v[32:33]
	s_waitcnt vmcnt(56)
	v_fma_f64 v[24:25], v[6:7], v[26:27], -v[24:25]
	v_add_f64 v[18:19], v[18:19], v[22:23]
	v_fma_f64 v[22:23], v[8:9], v[26:27], v[109:110]
	v_add_f64 v[14:15], v[14:15], v[30:31]
	s_clause 0x2
	buffer_load_dword v75, off, s[0:3], 0 offset:988
	buffer_load_dword v27, off, s[0:3], 0 offset:964
	;; [unrolled: 1-line block ×3, first 2 shown]
	s_waitcnt vmcnt(58) lgkmcnt(0)
	v_mul_f64 v[30:31], v[2:3], v[34:35]
	v_mul_f64 v[34:35], v[4:5], v[34:35]
	s_waitcnt vmcnt(56)
	v_fma_f64 v[32:33], v[10:11], v[38:39], -v[32:33]
	ds_read_b128 v[6:9], v1 offset:1728
	buffer_load_dword v112, off, s[0:3], 0 offset:980
	v_add_f64 v[18:19], v[18:19], v[24:25]
	v_fma_f64 v[24:25], v[12:13], v[38:39], v[129:130]
	v_add_f64 v[14:15], v[14:15], v[22:23]
	ds_read_b128 v[10:13], v1 offset:1744
	s_waitcnt vmcnt(52)
	v_fma_f64 v[30:31], v[4:5], v[36:37], v[30:31]
	s_waitcnt lgkmcnt(1)
	v_mul_f64 v[38:39], v[8:9], v[40:41]
	v_fma_f64 v[34:35], v[2:3], v[36:37], -v[34:35]
	v_mul_f64 v[22:23], v[6:7], v[40:41]
	ds_read_b128 v[2:5], v1 offset:1760
	v_add_f64 v[18:19], v[18:19], v[32:33]
	s_waitcnt vmcnt(51) lgkmcnt(1)
	v_mul_f64 v[32:33], v[12:13], v[42:43]
	v_add_f64 v[14:15], v[14:15], v[24:25]
	v_mul_f64 v[24:25], v[10:11], v[42:43]
	s_waitcnt vmcnt(49)
	v_fma_f64 v[36:37], v[6:7], v[46:47], -v[38:39]
	s_waitcnt vmcnt(45) lgkmcnt(0)
	v_mul_f64 v[40:41], v[4:5], v[48:49]
	v_fma_f64 v[22:23], v[8:9], v[46:47], v[22:23]
	v_mul_f64 v[38:39], v[2:3], v[48:49]
	v_add_f64 v[18:19], v[18:19], v[34:35]
	s_waitcnt vmcnt(44)
	v_fma_f64 v[32:33], v[10:11], v[44:45], -v[32:33]
	v_add_f64 v[14:15], v[14:15], v[30:31]
	s_clause 0x3
	buffer_load_dword v30, off, s[0:3], 0 offset:640
	buffer_load_dword v31, off, s[0:3], 0 offset:644
	buffer_load_dword v34, off, s[0:3], 0 offset:648
	buffer_load_dword v35, off, s[0:3], 0 offset:652
	ds_read_b128 v[6:9], v1 offset:1776
	v_fma_f64 v[24:25], v[12:13], v[44:45], v[24:25]
	ds_read_b128 v[10:13], v1 offset:1792
	s_waitcnt vmcnt(45)
	v_fma_f64 v[40:41], v[2:3], v[54:55], -v[40:41]
	v_add_f64 v[18:19], v[18:19], v[36:37]
	v_add_f64 v[14:15], v[14:15], v[22:23]
	s_waitcnt lgkmcnt(1)
	v_mul_f64 v[36:37], v[8:9], v[50:51]
	v_mul_f64 v[22:23], v[6:7], v[50:51]
	v_add_f64 v[18:19], v[18:19], v[32:33]
	v_fma_f64 v[32:33], v[4:5], v[54:55], v[38:39]
	v_add_f64 v[14:15], v[14:15], v[24:25]
	s_waitcnt vmcnt(41) lgkmcnt(0)
	v_mul_f64 v[38:39], v[12:13], v[56:57]
	s_waitcnt vmcnt(40)
	v_fma_f64 v[36:37], v[6:7], v[52:53], -v[36:37]
	ds_read_b128 v[2:5], v1 offset:1808
	v_mul_f64 v[24:25], v[10:11], v[56:57]
	v_fma_f64 v[22:23], v[8:9], v[52:53], v[22:23]
	ds_read_b128 v[6:9], v1 offset:1824
	v_add_f64 v[18:19], v[18:19], v[40:41]
	v_add_f64 v[14:15], v[14:15], v[32:33]
	s_waitcnt vmcnt(39) lgkmcnt(1)
	v_mul_f64 v[40:41], v[4:5], v[58:59]
	s_waitcnt vmcnt(37)
	v_fma_f64 v[38:39], v[10:11], v[62:63], -v[38:39]
	v_mul_f64 v[32:33], v[2:3], v[58:59]
	v_fma_f64 v[24:25], v[12:13], v[62:63], v[24:25]
	ds_read_b128 v[10:13], v1 offset:1840
	v_add_f64 v[18:19], v[18:19], v[36:37]
	s_waitcnt vmcnt(33) lgkmcnt(1)
	v_mul_f64 v[36:37], v[8:9], v[64:65]
	v_add_f64 v[14:15], v[14:15], v[22:23]
	s_waitcnt vmcnt(32)
	v_fma_f64 v[40:41], v[2:3], v[60:61], -v[40:41]
	v_mul_f64 v[22:23], v[6:7], v[64:65]
	v_fma_f64 v[32:33], v[4:5], v[60:61], v[32:33]
	ds_read_b128 v[2:5], v1 offset:1856
	v_add_f64 v[18:19], v[18:19], v[38:39]
	s_waitcnt vmcnt(31) lgkmcnt(1)
	v_mul_f64 v[38:39], v[12:13], v[66:67]
	v_add_f64 v[14:15], v[14:15], v[24:25]
	;; [unrolled: 9-line block ×3, first 2 shown]
	s_waitcnt vmcnt(24)
	v_fma_f64 v[38:39], v[10:11], v[70:71], -v[38:39]
	v_mul_f64 v[32:33], v[2:3], v[95:96]
	v_fma_f64 v[24:25], v[12:13], v[70:71], v[24:25]
	ds_read_b128 v[10:13], v1 offset:1888
	v_add_f64 v[18:19], v[18:19], v[36:37]
	v_add_f64 v[14:15], v[14:15], v[22:23]
	s_waitcnt vmcnt(23) lgkmcnt(1)
	v_mul_f64 v[36:37], v[8:9], v[97:98]
	v_mul_f64 v[22:23], v[6:7], v[97:98]
	s_waitcnt vmcnt(21)
	v_fma_f64 v[40:41], v[2:3], v[93:94], -v[40:41]
	v_fma_f64 v[32:33], v[4:5], v[93:94], v[32:33]
	ds_read_b128 v[2:5], v1 offset:1904
	v_add_f64 v[18:19], v[18:19], v[38:39]
	v_add_f64 v[14:15], v[14:15], v[24:25]
	s_waitcnt vmcnt(17) lgkmcnt(1)
	v_mul_f64 v[24:25], v[10:11], v[20:21]
	v_mul_f64 v[20:21], v[12:13], v[20:21]
	s_waitcnt vmcnt(16)
	v_fma_f64 v[36:37], v[6:7], v[99:100], -v[36:37]
	;; [unrolled: 9-line block ×3, first 2 shown]
	v_fma_f64 v[16:17], v[12:13], v[16:17], v[24:25]
	ds_read_b128 v[10:13], v1 offset:1936
	v_add_f64 v[18:19], v[18:19], v[36:37]
	v_add_f64 v[14:15], v[14:15], v[22:23]
	s_waitcnt vmcnt(9) lgkmcnt(1)
	v_mul_f64 v[24:25], v[8:9], v[28:29]
	s_waitcnt vmcnt(8)
	v_fma_f64 v[2:3], v[2:3], v[119:120], -v[38:39]
	v_mul_f64 v[22:23], v[6:7], v[28:29]
	v_fma_f64 v[4:5], v[4:5], v[119:120], v[32:33]
	v_add_f64 v[18:19], v[18:19], v[20:21]
	v_add_f64 v[14:15], v[14:15], v[16:17]
	s_waitcnt vmcnt(7) lgkmcnt(0)
	v_mul_f64 v[20:21], v[12:13], v[74:75]
	v_mul_f64 v[16:17], v[10:11], v[74:75]
	s_waitcnt vmcnt(5)
	v_fma_f64 v[6:7], v[6:7], v[26:27], -v[24:25]
	v_fma_f64 v[8:9], v[8:9], v[26:27], v[22:23]
	v_add_f64 v[2:3], v[18:19], v[2:3]
	v_add_f64 v[4:5], v[14:15], v[4:5]
	s_waitcnt vmcnt(4)
	v_fma_f64 v[10:11], v[10:11], v[111:112], -v[20:21]
	v_add_f64 v[2:3], v[2:3], v[6:7]
	v_fma_f64 v[6:7], v[12:13], v[111:112], v[16:17]
	v_add_f64 v[4:5], v[4:5], v[8:9]
	v_add_f64 v[2:3], v[2:3], v[10:11]
	;; [unrolled: 1-line block ×3, first 2 shown]
	s_waitcnt vmcnt(2)
	v_add_f64 v[2:3], v[30:31], -v[2:3]
	s_waitcnt vmcnt(0)
	v_add_f64 v[4:5], v[34:35], -v[4:5]
	buffer_store_dword v3, off, s[0:3], 0 offset:644
	buffer_store_dword v2, off, s[0:3], 0 offset:640
	;; [unrolled: 1-line block ×4, first 2 shown]
	v_cmpx_lt_u32_e32 38, v0
	s_cbranch_execz .LBB60_315
; %bb.314:
	v_mov_b32_e32 v5, s37
	s_clause 0x3
	buffer_load_dword v2, v5, s[0:3], 0 offen
	buffer_load_dword v3, v5, s[0:3], 0 offen offset:4
	buffer_load_dword v4, v5, s[0:3], 0 offen offset:8
	buffer_load_dword v5, v5, s[0:3], 0 offen offset:12
	buffer_store_dword v1, off, s[0:3], 0 offset:624
	buffer_store_dword v1, off, s[0:3], 0 offset:628
	;; [unrolled: 1-line block ×4, first 2 shown]
	s_waitcnt vmcnt(0)
	ds_write_b128 v69, v[2:5]
.LBB60_315:
	s_or_b32 exec_lo, exec_lo, s4
	s_waitcnt lgkmcnt(0)
	s_waitcnt_vscnt null, 0x0
	s_barrier
	buffer_gl0_inv
	s_clause 0x37
	buffer_load_dword v10, off, s[0:3], 0 offset:648
	buffer_load_dword v11, off, s[0:3], 0 offset:652
	;; [unrolled: 1-line block ×56, first 2 shown]
	ds_read_b128 v[2:5], v1 offset:1600
	s_clause 0x2
	buffer_load_dword v67, off, s[0:3], 0 offset:876
	buffer_load_dword v73, off, s[0:3], 0 offset:852
	;; [unrolled: 1-line block ×3, first 2 shown]
	ds_read_b128 v[6:9], v1 offset:1616
	s_clause 0x4
	buffer_load_dword v96, off, s[0:3], 0 offset:892
	buffer_load_dword v97, off, s[0:3], 0 offset:904
	;; [unrolled: 1-line block ×5, first 2 shown]
	s_mov_b32 s4, exec_lo
	s_waitcnt vmcnt(62) lgkmcnt(1)
	v_mul_f64 v[74:75], v[4:5], v[10:11]
	v_mul_f64 v[93:94], v[2:3], v[10:11]
	s_waitcnt vmcnt(60) lgkmcnt(0)
	v_mul_f64 v[109:110], v[8:9], v[14:15]
	ds_read_b128 v[10:13], v1 offset:1632
	v_mul_f64 v[14:15], v[6:7], v[14:15]
	s_waitcnt vmcnt(58)
	v_fma_f64 v[74:75], v[2:3], v[16:17], -v[74:75]
	v_fma_f64 v[16:17], v[4:5], v[16:17], v[93:94]
	s_clause 0x2
	buffer_load_dword v98, off, s[0:3], 0 offset:908
	buffer_load_dword v94, off, s[0:3], 0 offset:884
	;; [unrolled: 1-line block ×3, first 2 shown]
	s_waitcnt vmcnt(59) lgkmcnt(0)
	v_mul_f64 v[111:112], v[10:11], v[18:19]
	v_mul_f64 v[18:19], v[12:13], v[18:19]
	s_waitcnt vmcnt(57)
	v_fma_f64 v[109:110], v[6:7], v[20:21], -v[109:110]
	ds_read_b128 v[2:5], v1 offset:1648
	v_fma_f64 v[14:15], v[8:9], v[20:21], v[14:15]
	s_clause 0x4
	buffer_load_dword v21, off, s[0:3], 0 offset:924
	buffer_load_dword v117, off, s[0:3], 0 offset:936
	;; [unrolled: 1-line block ×5, first 2 shown]
	ds_read_b128 v[6:9], v1 offset:1664
	v_add_f64 v[74:75], v[74:75], 0
	v_add_f64 v[16:17], v[16:17], 0
	s_waitcnt vmcnt(58) lgkmcnt(1)
	v_mul_f64 v[129:130], v[2:3], v[22:23]
	v_mul_f64 v[22:23], v[4:5], v[22:23]
	s_waitcnt vmcnt(56)
	v_fma_f64 v[18:19], v[10:11], v[28:29], -v[18:19]
	v_fma_f64 v[28:29], v[12:13], v[28:29], v[111:112]
	v_add_f64 v[74:75], v[74:75], v[109:110]
	v_add_f64 v[14:15], v[16:17], v[14:15]
	s_clause 0x2
	buffer_load_dword v118, off, s[0:3], 0 offset:940
	buffer_load_dword v17, off, s[0:3], 0 offset:916
	buffer_load_dword v16, off, s[0:3], 0 offset:912
	s_waitcnt vmcnt(58) lgkmcnt(0)
	v_mul_f64 v[109:110], v[6:7], v[24:25]
	v_mul_f64 v[24:25], v[8:9], v[24:25]
	s_waitcnt vmcnt(56)
	v_fma_f64 v[22:23], v[2:3], v[30:31], -v[22:23]
	ds_read_b128 v[10:13], v1 offset:1680
	v_fma_f64 v[30:31], v[4:5], v[30:31], v[129:130]
	v_add_f64 v[18:19], v[74:75], v[18:19]
	v_add_f64 v[14:15], v[14:15], v[28:29]
	s_clause 0x4
	buffer_load_dword v29, off, s[0:3], 0 offset:956
	buffer_load_dword v74, off, s[0:3], 0 offset:968
	;; [unrolled: 1-line block ×5, first 2 shown]
	ds_read_b128 v[2:5], v1 offset:1696
	s_waitcnt vmcnt(57) lgkmcnt(1)
	v_mul_f64 v[129:130], v[10:11], v[32:33]
	v_mul_f64 v[32:33], v[12:13], v[32:33]
	s_waitcnt vmcnt(56)
	v_fma_f64 v[24:25], v[6:7], v[26:27], -v[24:25]
	v_add_f64 v[18:19], v[18:19], v[22:23]
	v_fma_f64 v[22:23], v[8:9], v[26:27], v[109:110]
	v_add_f64 v[14:15], v[14:15], v[30:31]
	s_clause 0x2
	buffer_load_dword v75, off, s[0:3], 0 offset:972
	buffer_load_dword v27, off, s[0:3], 0 offset:948
	;; [unrolled: 1-line block ×3, first 2 shown]
	s_waitcnt vmcnt(58) lgkmcnt(0)
	v_mul_f64 v[30:31], v[2:3], v[34:35]
	v_mul_f64 v[34:35], v[4:5], v[34:35]
	s_waitcnt vmcnt(56)
	v_fma_f64 v[32:33], v[10:11], v[38:39], -v[32:33]
	ds_read_b128 v[6:9], v1 offset:1712
	v_add_f64 v[18:19], v[18:19], v[24:25]
	v_fma_f64 v[24:25], v[12:13], v[38:39], v[129:130]
	v_add_f64 v[14:15], v[14:15], v[22:23]
	s_clause 0x2
	buffer_load_dword v23, off, s[0:3], 0 offset:988
	buffer_load_dword v22, off, s[0:3], 0 offset:984
	;; [unrolled: 1-line block ×3, first 2 shown]
	ds_read_b128 v[10:13], v1 offset:1728
	s_waitcnt vmcnt(55) lgkmcnt(1)
	v_mul_f64 v[38:39], v[6:7], v[40:41]
	v_mul_f64 v[40:41], v[8:9], v[40:41]
	s_waitcnt vmcnt(54)
	v_fma_f64 v[34:35], v[2:3], v[36:37], -v[34:35]
	v_fma_f64 v[30:31], v[4:5], v[36:37], v[30:31]
	v_add_f64 v[18:19], v[18:19], v[32:33]
	v_add_f64 v[14:15], v[14:15], v[24:25]
	s_clause 0x1
	buffer_load_dword v25, off, s[0:3], 0 offset:980
	buffer_load_dword v24, off, s[0:3], 0 offset:976
	s_waitcnt vmcnt(55) lgkmcnt(0)
	v_mul_f64 v[36:37], v[12:13], v[42:43]
	ds_read_b128 v[2:5], v1 offset:1744
	s_waitcnt vmcnt(53)
	v_fma_f64 v[40:41], v[6:7], v[46:47], -v[40:41]
	v_mul_f64 v[32:33], v[10:11], v[42:43]
	v_add_f64 v[18:19], v[18:19], v[34:35]
	v_fma_f64 v[34:35], v[8:9], v[46:47], v[38:39]
	v_add_f64 v[14:15], v[14:15], v[30:31]
	ds_read_b128 v[6:9], v1 offset:1760
	s_waitcnt vmcnt(49) lgkmcnt(1)
	v_mul_f64 v[38:39], v[4:5], v[48:49]
	s_waitcnt vmcnt(48)
	v_fma_f64 v[36:37], v[10:11], v[44:45], -v[36:37]
	v_mul_f64 v[30:31], v[2:3], v[48:49]
	v_fma_f64 v[32:33], v[12:13], v[44:45], v[32:33]
	v_add_f64 v[18:19], v[18:19], v[40:41]
	s_waitcnt vmcnt(47) lgkmcnt(0)
	v_mul_f64 v[44:45], v[8:9], v[50:51]
	v_add_f64 v[14:15], v[14:15], v[34:35]
	s_clause 0x3
	buffer_load_dword v34, off, s[0:3], 0 offset:624
	buffer_load_dword v35, off, s[0:3], 0 offset:628
	;; [unrolled: 1-line block ×4, first 2 shown]
	s_waitcnt vmcnt(49)
	v_fma_f64 v[38:39], v[2:3], v[54:55], -v[38:39]
	ds_read_b128 v[10:13], v1 offset:1776
	v_mul_f64 v[42:43], v[6:7], v[50:51]
	v_fma_f64 v[30:31], v[4:5], v[54:55], v[30:31]
	ds_read_b128 v[2:5], v1 offset:1792
	v_add_f64 v[18:19], v[18:19], v[36:37]
	s_waitcnt vmcnt(44)
	v_fma_f64 v[44:45], v[6:7], v[52:53], -v[44:45]
	v_add_f64 v[14:15], v[14:15], v[32:33]
	s_waitcnt lgkmcnt(1)
	v_mul_f64 v[36:37], v[12:13], v[56:57]
	v_mul_f64 v[32:33], v[10:11], v[56:57]
	v_add_f64 v[18:19], v[18:19], v[38:39]
	v_fma_f64 v[38:39], v[8:9], v[52:53], v[42:43]
	v_add_f64 v[14:15], v[14:15], v[30:31]
	s_waitcnt vmcnt(43) lgkmcnt(0)
	v_mul_f64 v[42:43], v[4:5], v[58:59]
	s_waitcnt vmcnt(41)
	v_fma_f64 v[36:37], v[10:11], v[62:63], -v[36:37]
	ds_read_b128 v[6:9], v1 offset:1808
	v_mul_f64 v[30:31], v[2:3], v[58:59]
	v_fma_f64 v[32:33], v[12:13], v[62:63], v[32:33]
	ds_read_b128 v[10:13], v1 offset:1824
	v_add_f64 v[18:19], v[18:19], v[44:45]
	v_add_f64 v[14:15], v[14:15], v[38:39]
	s_waitcnt vmcnt(37) lgkmcnt(1)
	v_mul_f64 v[44:45], v[8:9], v[64:65]
	s_waitcnt vmcnt(36)
	v_fma_f64 v[42:43], v[2:3], v[60:61], -v[42:43]
	v_mul_f64 v[38:39], v[6:7], v[64:65]
	v_fma_f64 v[30:31], v[4:5], v[60:61], v[30:31]
	ds_read_b128 v[2:5], v1 offset:1840
	v_add_f64 v[18:19], v[18:19], v[36:37]
	s_waitcnt vmcnt(35) lgkmcnt(1)
	v_mul_f64 v[36:37], v[12:13], v[66:67]
	v_add_f64 v[14:15], v[14:15], v[32:33]
	s_waitcnt vmcnt(33)
	v_fma_f64 v[44:45], v[6:7], v[72:73], -v[44:45]
	v_mul_f64 v[32:33], v[10:11], v[66:67]
	v_fma_f64 v[38:39], v[8:9], v[72:73], v[38:39]
	ds_read_b128 v[6:9], v1 offset:1856
	v_add_f64 v[18:19], v[18:19], v[42:43]
	s_waitcnt vmcnt(29) lgkmcnt(1)
	v_mul_f64 v[42:43], v[4:5], v[95:96]
	v_add_f64 v[14:15], v[14:15], v[30:31]
	s_waitcnt vmcnt(28)
	v_fma_f64 v[36:37], v[10:11], v[70:71], -v[36:37]
	v_mul_f64 v[30:31], v[2:3], v[95:96]
	v_fma_f64 v[32:33], v[12:13], v[70:71], v[32:33]
	ds_read_b128 v[10:13], v1 offset:1872
	v_add_f64 v[18:19], v[18:19], v[44:45]
	v_add_f64 v[14:15], v[14:15], v[38:39]
	s_waitcnt vmcnt(27) lgkmcnt(1)
	v_mul_f64 v[44:45], v[8:9], v[97:98]
	v_mul_f64 v[38:39], v[6:7], v[97:98]
	s_waitcnt vmcnt(25)
	v_fma_f64 v[42:43], v[2:3], v[93:94], -v[42:43]
	v_fma_f64 v[30:31], v[4:5], v[93:94], v[30:31]
	ds_read_b128 v[2:5], v1 offset:1888
	v_add_f64 v[18:19], v[18:19], v[36:37]
	v_add_f64 v[14:15], v[14:15], v[32:33]
	s_waitcnt vmcnt(21) lgkmcnt(1)
	v_mul_f64 v[32:33], v[10:11], v[20:21]
	v_mul_f64 v[20:21], v[12:13], v[20:21]
	s_waitcnt vmcnt(20)
	v_fma_f64 v[36:37], v[6:7], v[99:100], -v[44:45]
	;; [unrolled: 9-line block ×4, first 2 shown]
	v_add_f64 v[18:19], v[18:19], v[20:21]
	v_fma_f64 v[20:21], v[4:5], v[119:120], v[30:31]
	v_add_f64 v[14:15], v[14:15], v[16:17]
	ds_read_b128 v[1:4], v1 offset:1936
	s_waitcnt vmcnt(11) lgkmcnt(1)
	v_mul_f64 v[30:31], v[12:13], v[74:75]
	v_mul_f64 v[16:17], v[10:11], v[74:75]
	s_waitcnt vmcnt(9)
	v_fma_f64 v[5:6], v[6:7], v[26:27], -v[28:29]
	v_fma_f64 v[7:8], v[8:9], v[26:27], v[32:33]
	v_add_f64 v[18:19], v[18:19], v[36:37]
	v_add_f64 v[14:15], v[14:15], v[20:21]
	s_waitcnt vmcnt(7) lgkmcnt(0)
	v_mul_f64 v[20:21], v[1:2], v[22:23]
	v_mul_f64 v[22:23], v[3:4], v[22:23]
	s_waitcnt vmcnt(6)
	v_fma_f64 v[9:10], v[10:11], v[111:112], -v[30:31]
	v_fma_f64 v[11:12], v[12:13], v[111:112], v[16:17]
	v_add_f64 v[5:6], v[18:19], v[5:6]
	v_add_f64 v[7:8], v[14:15], v[7:8]
	s_waitcnt vmcnt(4)
	v_fma_f64 v[1:2], v[1:2], v[24:25], -v[22:23]
	v_fma_f64 v[3:4], v[3:4], v[24:25], v[20:21]
	v_add_f64 v[5:6], v[5:6], v[9:10]
	v_add_f64 v[7:8], v[7:8], v[11:12]
	;; [unrolled: 1-line block ×4, first 2 shown]
	s_waitcnt vmcnt(2)
	v_add_f64 v[1:2], v[34:35], -v[1:2]
	s_waitcnt vmcnt(0)
	v_add_f64 v[3:4], v[40:41], -v[3:4]
	buffer_store_dword v2, off, s[0:3], 0 offset:628
	buffer_store_dword v1, off, s[0:3], 0 offset:624
	;; [unrolled: 1-line block ×4, first 2 shown]
	v_cmpx_lt_u32_e32 37, v0
	s_cbranch_execz .LBB60_317
; %bb.316:
	v_mov_b32_e32 v4, s38
	v_mov_b32_e32 v5, 0
	s_clause 0x3
	buffer_load_dword v1, v4, s[0:3], 0 offen
	buffer_load_dword v2, v4, s[0:3], 0 offen offset:4
	buffer_load_dword v3, v4, s[0:3], 0 offen offset:8
	;; [unrolled: 1-line block ×3, first 2 shown]
	buffer_store_dword v5, off, s[0:3], 0 offset:608
	buffer_store_dword v5, off, s[0:3], 0 offset:612
	;; [unrolled: 1-line block ×4, first 2 shown]
	s_waitcnt vmcnt(0)
	ds_write_b128 v69, v[1:4]
.LBB60_317:
	s_or_b32 exec_lo, exec_lo, s4
	s_waitcnt lgkmcnt(0)
	s_waitcnt_vscnt null, 0x0
	s_barrier
	buffer_gl0_inv
	s_clause 0x37
	buffer_load_dword v10, off, s[0:3], 0 offset:632
	buffer_load_dword v11, off, s[0:3], 0 offset:636
	;; [unrolled: 1-line block ×56, first 2 shown]
	v_mov_b32_e32 v1, 0
	s_mov_b32 s4, exec_lo
	ds_read_b128 v[2:5], v1 offset:1584
	s_clause 0x2
	buffer_load_dword v67, off, s[0:3], 0 offset:860
	buffer_load_dword v73, off, s[0:3], 0 offset:836
	;; [unrolled: 1-line block ×3, first 2 shown]
	ds_read_b128 v[6:9], v1 offset:1600
	s_clause 0x4
	buffer_load_dword v96, off, s[0:3], 0 offset:876
	buffer_load_dword v97, off, s[0:3], 0 offset:888
	;; [unrolled: 1-line block ×5, first 2 shown]
	s_waitcnt vmcnt(62) lgkmcnt(1)
	v_mul_f64 v[74:75], v[4:5], v[10:11]
	v_mul_f64 v[93:94], v[2:3], v[10:11]
	s_waitcnt vmcnt(60) lgkmcnt(0)
	v_mul_f64 v[109:110], v[8:9], v[14:15]
	ds_read_b128 v[10:13], v1 offset:1616
	v_mul_f64 v[14:15], v[6:7], v[14:15]
	s_waitcnt vmcnt(58)
	v_fma_f64 v[74:75], v[2:3], v[16:17], -v[74:75]
	v_fma_f64 v[16:17], v[4:5], v[16:17], v[93:94]
	s_clause 0x2
	buffer_load_dword v98, off, s[0:3], 0 offset:892
	buffer_load_dword v94, off, s[0:3], 0 offset:868
	buffer_load_dword v93, off, s[0:3], 0 offset:864
	s_waitcnt vmcnt(59) lgkmcnt(0)
	v_mul_f64 v[111:112], v[10:11], v[18:19]
	v_mul_f64 v[18:19], v[12:13], v[18:19]
	s_waitcnt vmcnt(57)
	v_fma_f64 v[109:110], v[6:7], v[20:21], -v[109:110]
	ds_read_b128 v[2:5], v1 offset:1632
	v_fma_f64 v[14:15], v[8:9], v[20:21], v[14:15]
	s_clause 0x4
	buffer_load_dword v21, off, s[0:3], 0 offset:908
	buffer_load_dword v117, off, s[0:3], 0 offset:920
	;; [unrolled: 1-line block ×5, first 2 shown]
	ds_read_b128 v[6:9], v1 offset:1648
	v_add_f64 v[74:75], v[74:75], 0
	v_add_f64 v[16:17], v[16:17], 0
	s_waitcnt vmcnt(58) lgkmcnt(1)
	v_mul_f64 v[129:130], v[2:3], v[22:23]
	v_mul_f64 v[22:23], v[4:5], v[22:23]
	s_waitcnt vmcnt(56)
	v_fma_f64 v[18:19], v[10:11], v[28:29], -v[18:19]
	v_fma_f64 v[28:29], v[12:13], v[28:29], v[111:112]
	v_add_f64 v[74:75], v[74:75], v[109:110]
	v_add_f64 v[14:15], v[16:17], v[14:15]
	s_clause 0x2
	buffer_load_dword v118, off, s[0:3], 0 offset:924
	buffer_load_dword v17, off, s[0:3], 0 offset:900
	buffer_load_dword v16, off, s[0:3], 0 offset:896
	s_waitcnt vmcnt(58) lgkmcnt(0)
	v_mul_f64 v[109:110], v[6:7], v[24:25]
	v_mul_f64 v[24:25], v[8:9], v[24:25]
	s_waitcnt vmcnt(56)
	v_fma_f64 v[22:23], v[2:3], v[30:31], -v[22:23]
	ds_read_b128 v[10:13], v1 offset:1664
	v_fma_f64 v[30:31], v[4:5], v[30:31], v[129:130]
	v_add_f64 v[18:19], v[74:75], v[18:19]
	v_add_f64 v[14:15], v[14:15], v[28:29]
	s_clause 0x4
	buffer_load_dword v29, off, s[0:3], 0 offset:940
	buffer_load_dword v74, off, s[0:3], 0 offset:952
	;; [unrolled: 1-line block ×5, first 2 shown]
	ds_read_b128 v[2:5], v1 offset:1680
	s_waitcnt vmcnt(57) lgkmcnt(1)
	v_mul_f64 v[129:130], v[10:11], v[32:33]
	v_mul_f64 v[32:33], v[12:13], v[32:33]
	s_waitcnt vmcnt(56)
	v_fma_f64 v[24:25], v[6:7], v[26:27], -v[24:25]
	v_add_f64 v[18:19], v[18:19], v[22:23]
	v_fma_f64 v[22:23], v[8:9], v[26:27], v[109:110]
	v_add_f64 v[14:15], v[14:15], v[30:31]
	s_clause 0x2
	buffer_load_dword v75, off, s[0:3], 0 offset:956
	buffer_load_dword v27, off, s[0:3], 0 offset:932
	buffer_load_dword v26, off, s[0:3], 0 offset:928
	s_waitcnt vmcnt(58) lgkmcnt(0)
	v_mul_f64 v[30:31], v[2:3], v[34:35]
	v_mul_f64 v[34:35], v[4:5], v[34:35]
	s_waitcnt vmcnt(56)
	v_fma_f64 v[32:33], v[10:11], v[38:39], -v[32:33]
	ds_read_b128 v[6:9], v1 offset:1696
	v_add_f64 v[18:19], v[18:19], v[24:25]
	v_fma_f64 v[24:25], v[12:13], v[38:39], v[129:130]
	v_add_f64 v[14:15], v[14:15], v[22:23]
	s_clause 0x4
	buffer_load_dword v23, off, s[0:3], 0 offset:972
	buffer_load_dword v38, off, s[0:3], 0 offset:984
	;; [unrolled: 1-line block ×5, first 2 shown]
	ds_read_b128 v[10:13], v1 offset:1712
	s_waitcnt vmcnt(57) lgkmcnt(1)
	v_mul_f64 v[129:130], v[6:7], v[40:41]
	v_mul_f64 v[40:41], v[8:9], v[40:41]
	s_waitcnt vmcnt(56)
	v_fma_f64 v[34:35], v[2:3], v[36:37], -v[34:35]
	v_fma_f64 v[30:31], v[4:5], v[36:37], v[30:31]
	v_add_f64 v[18:19], v[18:19], v[32:33]
	v_add_f64 v[14:15], v[14:15], v[24:25]
	s_clause 0x2
	buffer_load_dword v39, off, s[0:3], 0 offset:988
	buffer_load_dword v25, off, s[0:3], 0 offset:964
	;; [unrolled: 1-line block ×3, first 2 shown]
	s_waitcnt vmcnt(58) lgkmcnt(0)
	v_mul_f64 v[36:37], v[12:13], v[42:43]
	ds_read_b128 v[2:5], v1 offset:1728
	s_waitcnt vmcnt(56)
	v_fma_f64 v[40:41], v[6:7], v[46:47], -v[40:41]
	v_mul_f64 v[32:33], v[10:11], v[42:43]
	buffer_load_dword v110, off, s[0:3], 0 offset:980
	v_add_f64 v[18:19], v[18:19], v[34:35]
	v_fma_f64 v[34:35], v[8:9], v[46:47], v[129:130]
	v_add_f64 v[14:15], v[14:15], v[30:31]
	ds_read_b128 v[6:9], v1 offset:1744
	s_waitcnt vmcnt(53) lgkmcnt(1)
	v_mul_f64 v[42:43], v[4:5], v[48:49]
	s_waitcnt vmcnt(52)
	v_fma_f64 v[36:37], v[10:11], v[44:45], -v[36:37]
	v_mul_f64 v[30:31], v[2:3], v[48:49]
	v_fma_f64 v[32:33], v[12:13], v[44:45], v[32:33]
	ds_read_b128 v[10:13], v1 offset:1760
	v_add_f64 v[18:19], v[18:19], v[40:41]
	s_waitcnt vmcnt(51) lgkmcnt(1)
	v_mul_f64 v[40:41], v[8:9], v[50:51]
	v_add_f64 v[14:15], v[14:15], v[34:35]
	v_mul_f64 v[34:35], v[6:7], v[50:51]
	s_waitcnt vmcnt(49)
	v_fma_f64 v[42:43], v[2:3], v[54:55], -v[42:43]
	v_fma_f64 v[30:31], v[4:5], v[54:55], v[30:31]
	s_waitcnt vmcnt(45) lgkmcnt(0)
	v_mul_f64 v[46:47], v[12:13], v[56:57]
	v_mul_f64 v[44:45], v[10:11], v[56:57]
	v_add_f64 v[18:19], v[18:19], v[36:37]
	s_waitcnt vmcnt(44)
	v_fma_f64 v[40:41], v[6:7], v[52:53], -v[40:41]
	v_add_f64 v[14:15], v[14:15], v[32:33]
	s_clause 0x3
	buffer_load_dword v32, off, s[0:3], 0 offset:608
	buffer_load_dword v33, off, s[0:3], 0 offset:612
	;; [unrolled: 1-line block ×4, first 2 shown]
	ds_read_b128 v[2:5], v1 offset:1776
	v_fma_f64 v[34:35], v[8:9], v[52:53], v[34:35]
	ds_read_b128 v[6:9], v1 offset:1792
	s_waitcnt vmcnt(45)
	v_fma_f64 v[46:47], v[10:11], v[62:63], -v[46:47]
	v_add_f64 v[18:19], v[18:19], v[42:43]
	v_add_f64 v[14:15], v[14:15], v[30:31]
	s_waitcnt lgkmcnt(1)
	v_mul_f64 v[42:43], v[4:5], v[58:59]
	v_mul_f64 v[30:31], v[2:3], v[58:59]
	v_add_f64 v[18:19], v[18:19], v[40:41]
	v_fma_f64 v[40:41], v[12:13], v[62:63], v[44:45]
	v_add_f64 v[14:15], v[14:15], v[34:35]
	s_waitcnt vmcnt(41) lgkmcnt(0)
	v_mul_f64 v[44:45], v[8:9], v[64:65]
	s_waitcnt vmcnt(40)
	v_fma_f64 v[42:43], v[2:3], v[60:61], -v[42:43]
	ds_read_b128 v[10:13], v1 offset:1808
	v_mul_f64 v[34:35], v[6:7], v[64:65]
	v_fma_f64 v[30:31], v[4:5], v[60:61], v[30:31]
	ds_read_b128 v[2:5], v1 offset:1824
	v_add_f64 v[18:19], v[18:19], v[46:47]
	v_add_f64 v[14:15], v[14:15], v[40:41]
	s_waitcnt vmcnt(39) lgkmcnt(1)
	v_mul_f64 v[46:47], v[12:13], v[66:67]
	s_waitcnt vmcnt(37)
	v_fma_f64 v[44:45], v[6:7], v[72:73], -v[44:45]
	v_mul_f64 v[40:41], v[10:11], v[66:67]
	v_fma_f64 v[34:35], v[8:9], v[72:73], v[34:35]
	ds_read_b128 v[6:9], v1 offset:1840
	v_add_f64 v[18:19], v[18:19], v[42:43]
	s_waitcnt vmcnt(33) lgkmcnt(1)
	v_mul_f64 v[42:43], v[4:5], v[95:96]
	v_add_f64 v[14:15], v[14:15], v[30:31]
	s_waitcnt vmcnt(32)
	v_fma_f64 v[46:47], v[10:11], v[70:71], -v[46:47]
	v_mul_f64 v[30:31], v[2:3], v[95:96]
	v_fma_f64 v[40:41], v[12:13], v[70:71], v[40:41]
	ds_read_b128 v[10:13], v1 offset:1856
	v_add_f64 v[18:19], v[18:19], v[44:45]
	v_add_f64 v[14:15], v[14:15], v[34:35]
	s_waitcnt vmcnt(31) lgkmcnt(1)
	v_mul_f64 v[44:45], v[8:9], v[97:98]
	v_mul_f64 v[34:35], v[6:7], v[97:98]
	s_waitcnt vmcnt(29)
	v_fma_f64 v[42:43], v[2:3], v[93:94], -v[42:43]
	v_fma_f64 v[30:31], v[4:5], v[93:94], v[30:31]
	ds_read_b128 v[2:5], v1 offset:1872
	v_add_f64 v[18:19], v[18:19], v[46:47]
	v_add_f64 v[14:15], v[14:15], v[40:41]
	s_waitcnt vmcnt(25) lgkmcnt(1)
	v_mul_f64 v[40:41], v[10:11], v[20:21]
	v_mul_f64 v[20:21], v[12:13], v[20:21]
	s_waitcnt vmcnt(24)
	v_fma_f64 v[44:45], v[6:7], v[99:100], -v[44:45]
	;; [unrolled: 9-line block ×4, first 2 shown]
	v_add_f64 v[18:19], v[18:19], v[20:21]
	v_fma_f64 v[20:21], v[4:5], v[119:120], v[30:31]
	v_add_f64 v[14:15], v[14:15], v[16:17]
	ds_read_b128 v[2:5], v1 offset:1920
	s_waitcnt vmcnt(15) lgkmcnt(1)
	v_mul_f64 v[30:31], v[12:13], v[74:75]
	v_mul_f64 v[16:17], v[10:11], v[74:75]
	s_waitcnt vmcnt(13)
	v_fma_f64 v[28:29], v[6:7], v[26:27], -v[28:29]
	v_fma_f64 v[26:27], v[8:9], v[26:27], v[34:35]
	ds_read_b128 v[6:9], v1 offset:1936
	v_add_f64 v[18:19], v[18:19], v[40:41]
	v_add_f64 v[14:15], v[14:15], v[20:21]
	s_waitcnt vmcnt(9) lgkmcnt(1)
	v_mul_f64 v[20:21], v[2:3], v[22:23]
	v_mul_f64 v[22:23], v[4:5], v[22:23]
	s_waitcnt vmcnt(8)
	v_fma_f64 v[10:11], v[10:11], v[111:112], -v[30:31]
	v_fma_f64 v[12:13], v[12:13], v[111:112], v[16:17]
	v_add_f64 v[18:19], v[18:19], v[28:29]
	v_add_f64 v[14:15], v[14:15], v[26:27]
	s_waitcnt vmcnt(7) lgkmcnt(0)
	v_mul_f64 v[26:27], v[8:9], v[38:39]
	v_mul_f64 v[16:17], v[6:7], v[38:39]
	s_waitcnt vmcnt(5)
	v_fma_f64 v[2:3], v[2:3], v[24:25], -v[22:23]
	v_fma_f64 v[4:5], v[4:5], v[24:25], v[20:21]
	v_add_f64 v[10:11], v[18:19], v[10:11]
	v_add_f64 v[12:13], v[14:15], v[12:13]
	s_waitcnt vmcnt(4)
	v_fma_f64 v[6:7], v[6:7], v[109:110], -v[26:27]
	v_fma_f64 v[8:9], v[8:9], v[109:110], v[16:17]
	v_add_f64 v[2:3], v[10:11], v[2:3]
	v_add_f64 v[4:5], v[12:13], v[4:5]
	;; [unrolled: 1-line block ×4, first 2 shown]
	s_waitcnt vmcnt(2)
	v_add_f64 v[2:3], v[32:33], -v[2:3]
	s_waitcnt vmcnt(0)
	v_add_f64 v[4:5], v[36:37], -v[4:5]
	buffer_store_dword v3, off, s[0:3], 0 offset:612
	buffer_store_dword v2, off, s[0:3], 0 offset:608
	;; [unrolled: 1-line block ×4, first 2 shown]
	v_cmpx_lt_u32_e32 36, v0
	s_cbranch_execz .LBB60_319
; %bb.318:
	v_mov_b32_e32 v5, s39
	s_clause 0x3
	buffer_load_dword v2, v5, s[0:3], 0 offen
	buffer_load_dword v3, v5, s[0:3], 0 offen offset:4
	buffer_load_dword v4, v5, s[0:3], 0 offen offset:8
	;; [unrolled: 1-line block ×3, first 2 shown]
	buffer_store_dword v1, off, s[0:3], 0 offset:592
	buffer_store_dword v1, off, s[0:3], 0 offset:596
	;; [unrolled: 1-line block ×4, first 2 shown]
	s_waitcnt vmcnt(0)
	ds_write_b128 v69, v[2:5]
.LBB60_319:
	s_or_b32 exec_lo, exec_lo, s4
	s_waitcnt lgkmcnt(0)
	s_waitcnt_vscnt null, 0x0
	s_barrier
	buffer_gl0_inv
	s_clause 0x37
	buffer_load_dword v10, off, s[0:3], 0 offset:616
	buffer_load_dword v11, off, s[0:3], 0 offset:620
	buffer_load_dword v14, off, s[0:3], 0 offset:632
	buffer_load_dword v15, off, s[0:3], 0 offset:636
	buffer_load_dword v16, off, s[0:3], 0 offset:608
	buffer_load_dword v17, off, s[0:3], 0 offset:612
	buffer_load_dword v18, off, s[0:3], 0 offset:648
	buffer_load_dword v19, off, s[0:3], 0 offset:652
	buffer_load_dword v20, off, s[0:3], 0 offset:624
	buffer_load_dword v21, off, s[0:3], 0 offset:628
	buffer_load_dword v23, off, s[0:3], 0 offset:668
	buffer_load_dword v24, off, s[0:3], 0 offset:680
	buffer_load_dword v26, off, s[0:3], 0 offset:672
	buffer_load_dword v22, off, s[0:3], 0 offset:664
	buffer_load_dword v28, off, s[0:3], 0 offset:640
	buffer_load_dword v29, off, s[0:3], 0 offset:644
	buffer_load_dword v25, off, s[0:3], 0 offset:684
	buffer_load_dword v31, off, s[0:3], 0 offset:660
	buffer_load_dword v30, off, s[0:3], 0 offset:656
	buffer_load_dword v33, off, s[0:3], 0 offset:700
	buffer_load_dword v34, off, s[0:3], 0 offset:712
	buffer_load_dword v36, off, s[0:3], 0 offset:704
	buffer_load_dword v32, off, s[0:3], 0 offset:696
	buffer_load_dword v27, off, s[0:3], 0 offset:676
	buffer_load_dword v35, off, s[0:3], 0 offset:716
	buffer_load_dword v39, off, s[0:3], 0 offset:692
	buffer_load_dword v38, off, s[0:3], 0 offset:688
	buffer_load_dword v41, off, s[0:3], 0 offset:732
	buffer_load_dword v42, off, s[0:3], 0 offset:744
	buffer_load_dword v44, off, s[0:3], 0 offset:736
	buffer_load_dword v40, off, s[0:3], 0 offset:728
	buffer_load_dword v37, off, s[0:3], 0 offset:708
	buffer_load_dword v43, off, s[0:3], 0 offset:748
	buffer_load_dword v47, off, s[0:3], 0 offset:724
	buffer_load_dword v46, off, s[0:3], 0 offset:720
	buffer_load_dword v49, off, s[0:3], 0 offset:764
	buffer_load_dword v50, off, s[0:3], 0 offset:776
	buffer_load_dword v52, off, s[0:3], 0 offset:768
	buffer_load_dword v48, off, s[0:3], 0 offset:760
	buffer_load_dword v45, off, s[0:3], 0 offset:740
	buffer_load_dword v51, off, s[0:3], 0 offset:780
	buffer_load_dword v55, off, s[0:3], 0 offset:756
	buffer_load_dword v54, off, s[0:3], 0 offset:752
	buffer_load_dword v57, off, s[0:3], 0 offset:796
	buffer_load_dword v58, off, s[0:3], 0 offset:808
	buffer_load_dword v60, off, s[0:3], 0 offset:800
	buffer_load_dword v56, off, s[0:3], 0 offset:792
	buffer_load_dword v53, off, s[0:3], 0 offset:772
	buffer_load_dword v59, off, s[0:3], 0 offset:812
	buffer_load_dword v63, off, s[0:3], 0 offset:788
	buffer_load_dword v62, off, s[0:3], 0 offset:784
	buffer_load_dword v65, off, s[0:3], 0 offset:828
	buffer_load_dword v66, off, s[0:3], 0 offset:840
	buffer_load_dword v70, off, s[0:3], 0 offset:832
	buffer_load_dword v64, off, s[0:3], 0 offset:824
	buffer_load_dword v61, off, s[0:3], 0 offset:804
	ds_read_b128 v[2:5], v1 offset:1568
	s_clause 0x2
	buffer_load_dword v67, off, s[0:3], 0 offset:844
	buffer_load_dword v73, off, s[0:3], 0 offset:820
	;; [unrolled: 1-line block ×3, first 2 shown]
	ds_read_b128 v[6:9], v1 offset:1584
	s_clause 0x4
	buffer_load_dword v96, off, s[0:3], 0 offset:860
	buffer_load_dword v97, off, s[0:3], 0 offset:872
	;; [unrolled: 1-line block ×5, first 2 shown]
	s_mov_b32 s4, exec_lo
	s_waitcnt vmcnt(62) lgkmcnt(1)
	v_mul_f64 v[74:75], v[4:5], v[10:11]
	v_mul_f64 v[93:94], v[2:3], v[10:11]
	s_waitcnt vmcnt(60) lgkmcnt(0)
	v_mul_f64 v[109:110], v[8:9], v[14:15]
	ds_read_b128 v[10:13], v1 offset:1600
	v_mul_f64 v[14:15], v[6:7], v[14:15]
	s_waitcnt vmcnt(58)
	v_fma_f64 v[74:75], v[2:3], v[16:17], -v[74:75]
	v_fma_f64 v[16:17], v[4:5], v[16:17], v[93:94]
	s_clause 0x2
	buffer_load_dword v98, off, s[0:3], 0 offset:876
	buffer_load_dword v94, off, s[0:3], 0 offset:852
	;; [unrolled: 1-line block ×3, first 2 shown]
	s_waitcnt vmcnt(59) lgkmcnt(0)
	v_mul_f64 v[111:112], v[10:11], v[18:19]
	v_mul_f64 v[18:19], v[12:13], v[18:19]
	s_waitcnt vmcnt(57)
	v_fma_f64 v[109:110], v[6:7], v[20:21], -v[109:110]
	ds_read_b128 v[2:5], v1 offset:1616
	v_fma_f64 v[14:15], v[8:9], v[20:21], v[14:15]
	s_clause 0x4
	buffer_load_dword v21, off, s[0:3], 0 offset:892
	buffer_load_dword v117, off, s[0:3], 0 offset:904
	;; [unrolled: 1-line block ×5, first 2 shown]
	ds_read_b128 v[6:9], v1 offset:1632
	v_add_f64 v[74:75], v[74:75], 0
	v_add_f64 v[16:17], v[16:17], 0
	s_waitcnt vmcnt(58) lgkmcnt(1)
	v_mul_f64 v[129:130], v[2:3], v[22:23]
	v_mul_f64 v[22:23], v[4:5], v[22:23]
	s_waitcnt vmcnt(56)
	v_fma_f64 v[18:19], v[10:11], v[28:29], -v[18:19]
	v_fma_f64 v[28:29], v[12:13], v[28:29], v[111:112]
	v_add_f64 v[74:75], v[74:75], v[109:110]
	v_add_f64 v[14:15], v[16:17], v[14:15]
	s_clause 0x2
	buffer_load_dword v118, off, s[0:3], 0 offset:908
	buffer_load_dword v17, off, s[0:3], 0 offset:884
	buffer_load_dword v16, off, s[0:3], 0 offset:880
	s_waitcnt vmcnt(58) lgkmcnt(0)
	v_mul_f64 v[109:110], v[6:7], v[24:25]
	v_mul_f64 v[24:25], v[8:9], v[24:25]
	s_waitcnt vmcnt(56)
	v_fma_f64 v[22:23], v[2:3], v[30:31], -v[22:23]
	ds_read_b128 v[10:13], v1 offset:1648
	v_fma_f64 v[30:31], v[4:5], v[30:31], v[129:130]
	v_add_f64 v[18:19], v[74:75], v[18:19]
	v_add_f64 v[14:15], v[14:15], v[28:29]
	s_clause 0x4
	buffer_load_dword v29, off, s[0:3], 0 offset:924
	buffer_load_dword v74, off, s[0:3], 0 offset:936
	;; [unrolled: 1-line block ×5, first 2 shown]
	ds_read_b128 v[2:5], v1 offset:1664
	s_waitcnt vmcnt(57) lgkmcnt(1)
	v_mul_f64 v[129:130], v[10:11], v[32:33]
	v_mul_f64 v[32:33], v[12:13], v[32:33]
	s_waitcnt vmcnt(56)
	v_fma_f64 v[24:25], v[6:7], v[26:27], -v[24:25]
	v_add_f64 v[18:19], v[18:19], v[22:23]
	v_fma_f64 v[22:23], v[8:9], v[26:27], v[109:110]
	v_add_f64 v[14:15], v[14:15], v[30:31]
	s_clause 0x2
	buffer_load_dword v75, off, s[0:3], 0 offset:940
	buffer_load_dword v27, off, s[0:3], 0 offset:916
	;; [unrolled: 1-line block ×3, first 2 shown]
	s_waitcnt vmcnt(58) lgkmcnt(0)
	v_mul_f64 v[30:31], v[2:3], v[34:35]
	v_mul_f64 v[34:35], v[4:5], v[34:35]
	s_waitcnt vmcnt(56)
	v_fma_f64 v[32:33], v[10:11], v[38:39], -v[32:33]
	ds_read_b128 v[6:9], v1 offset:1680
	v_add_f64 v[18:19], v[18:19], v[24:25]
	v_fma_f64 v[24:25], v[12:13], v[38:39], v[129:130]
	v_add_f64 v[14:15], v[14:15], v[22:23]
	s_clause 0x4
	buffer_load_dword v23, off, s[0:3], 0 offset:956
	buffer_load_dword v38, off, s[0:3], 0 offset:968
	;; [unrolled: 1-line block ×5, first 2 shown]
	ds_read_b128 v[10:13], v1 offset:1696
	s_waitcnt vmcnt(57) lgkmcnt(1)
	v_mul_f64 v[129:130], v[6:7], v[40:41]
	v_mul_f64 v[40:41], v[8:9], v[40:41]
	s_waitcnt vmcnt(56)
	v_fma_f64 v[34:35], v[2:3], v[36:37], -v[34:35]
	v_fma_f64 v[30:31], v[4:5], v[36:37], v[30:31]
	v_add_f64 v[18:19], v[18:19], v[32:33]
	v_add_f64 v[14:15], v[14:15], v[24:25]
	s_clause 0x2
	buffer_load_dword v39, off, s[0:3], 0 offset:972
	buffer_load_dword v25, off, s[0:3], 0 offset:948
	;; [unrolled: 1-line block ×3, first 2 shown]
	s_waitcnt vmcnt(58) lgkmcnt(0)
	v_mul_f64 v[36:37], v[12:13], v[42:43]
	ds_read_b128 v[2:5], v1 offset:1712
	s_waitcnt vmcnt(56)
	v_fma_f64 v[40:41], v[6:7], v[46:47], -v[40:41]
	v_mul_f64 v[32:33], v[10:11], v[42:43]
	v_add_f64 v[18:19], v[18:19], v[34:35]
	v_fma_f64 v[34:35], v[8:9], v[46:47], v[129:130]
	v_add_f64 v[14:15], v[14:15], v[30:31]
	s_clause 0x2
	buffer_load_dword v31, off, s[0:3], 0 offset:988
	buffer_load_dword v30, off, s[0:3], 0 offset:984
	;; [unrolled: 1-line block ×3, first 2 shown]
	s_waitcnt vmcnt(55) lgkmcnt(0)
	v_mul_f64 v[46:47], v[4:5], v[48:49]
	s_waitcnt vmcnt(54)
	v_fma_f64 v[36:37], v[10:11], v[44:45], -v[36:37]
	ds_read_b128 v[6:9], v1 offset:1728
	v_mul_f64 v[42:43], v[2:3], v[48:49]
	v_fma_f64 v[32:33], v[12:13], v[44:45], v[32:33]
	v_add_f64 v[18:19], v[18:19], v[40:41]
	v_add_f64 v[14:15], v[14:15], v[34:35]
	s_clause 0x1
	buffer_load_dword v35, off, s[0:3], 0 offset:980
	buffer_load_dword v34, off, s[0:3], 0 offset:976
	s_waitcnt vmcnt(55) lgkmcnt(0)
	v_mul_f64 v[44:45], v[8:9], v[50:51]
	s_waitcnt vmcnt(53)
	v_fma_f64 v[46:47], v[2:3], v[54:55], -v[46:47]
	ds_read_b128 v[10:13], v1 offset:1744
	v_mul_f64 v[40:41], v[6:7], v[50:51]
	v_add_f64 v[18:19], v[18:19], v[36:37]
	v_fma_f64 v[36:37], v[4:5], v[54:55], v[42:43]
	v_add_f64 v[14:15], v[14:15], v[32:33]
	ds_read_b128 v[2:5], v1 offset:1760
	s_waitcnt vmcnt(49) lgkmcnt(1)
	v_mul_f64 v[42:43], v[12:13], v[56:57]
	s_waitcnt vmcnt(48)
	v_fma_f64 v[44:45], v[6:7], v[52:53], -v[44:45]
	v_mul_f64 v[32:33], v[10:11], v[56:57]
	v_fma_f64 v[40:41], v[8:9], v[52:53], v[40:41]
	v_add_f64 v[18:19], v[18:19], v[46:47]
	s_waitcnt vmcnt(47) lgkmcnt(0)
	v_mul_f64 v[50:51], v[4:5], v[58:59]
	v_add_f64 v[14:15], v[14:15], v[36:37]
	s_clause 0x3
	buffer_load_dword v36, off, s[0:3], 0 offset:592
	buffer_load_dword v37, off, s[0:3], 0 offset:596
	;; [unrolled: 1-line block ×4, first 2 shown]
	s_waitcnt vmcnt(49)
	v_fma_f64 v[42:43], v[10:11], v[62:63], -v[42:43]
	ds_read_b128 v[6:9], v1 offset:1776
	v_mul_f64 v[48:49], v[2:3], v[58:59]
	v_fma_f64 v[32:33], v[12:13], v[62:63], v[32:33]
	ds_read_b128 v[10:13], v1 offset:1792
	v_add_f64 v[18:19], v[18:19], v[44:45]
	s_waitcnt vmcnt(44)
	v_fma_f64 v[50:51], v[2:3], v[60:61], -v[50:51]
	v_add_f64 v[14:15], v[14:15], v[40:41]
	s_waitcnt lgkmcnt(1)
	v_mul_f64 v[44:45], v[8:9], v[64:65]
	v_mul_f64 v[40:41], v[6:7], v[64:65]
	v_add_f64 v[18:19], v[18:19], v[42:43]
	v_fma_f64 v[42:43], v[4:5], v[60:61], v[48:49]
	v_add_f64 v[14:15], v[14:15], v[32:33]
	s_waitcnt vmcnt(43) lgkmcnt(0)
	v_mul_f64 v[48:49], v[12:13], v[66:67]
	s_waitcnt vmcnt(41)
	v_fma_f64 v[44:45], v[6:7], v[72:73], -v[44:45]
	ds_read_b128 v[2:5], v1 offset:1808
	v_mul_f64 v[32:33], v[10:11], v[66:67]
	v_fma_f64 v[40:41], v[8:9], v[72:73], v[40:41]
	ds_read_b128 v[6:9], v1 offset:1824
	v_add_f64 v[18:19], v[18:19], v[50:51]
	v_add_f64 v[14:15], v[14:15], v[42:43]
	s_waitcnt vmcnt(37) lgkmcnt(1)
	v_mul_f64 v[50:51], v[4:5], v[95:96]
	s_waitcnt vmcnt(36)
	v_fma_f64 v[48:49], v[10:11], v[70:71], -v[48:49]
	v_mul_f64 v[42:43], v[2:3], v[95:96]
	v_fma_f64 v[32:33], v[12:13], v[70:71], v[32:33]
	ds_read_b128 v[10:13], v1 offset:1840
	v_add_f64 v[18:19], v[18:19], v[44:45]
	v_add_f64 v[14:15], v[14:15], v[40:41]
	s_waitcnt vmcnt(35) lgkmcnt(1)
	v_mul_f64 v[44:45], v[8:9], v[97:98]
	v_mul_f64 v[40:41], v[6:7], v[97:98]
	s_waitcnt vmcnt(33)
	v_fma_f64 v[50:51], v[2:3], v[93:94], -v[50:51]
	v_fma_f64 v[42:43], v[4:5], v[93:94], v[42:43]
	ds_read_b128 v[2:5], v1 offset:1856
	v_add_f64 v[18:19], v[18:19], v[48:49]
	v_add_f64 v[14:15], v[14:15], v[32:33]
	s_waitcnt vmcnt(29) lgkmcnt(1)
	v_mul_f64 v[32:33], v[10:11], v[20:21]
	v_mul_f64 v[20:21], v[12:13], v[20:21]
	s_waitcnt vmcnt(28)
	v_fma_f64 v[44:45], v[6:7], v[99:100], -v[44:45]
	;; [unrolled: 9-line block ×4, first 2 shown]
	v_add_f64 v[18:19], v[18:19], v[20:21]
	v_fma_f64 v[20:21], v[4:5], v[119:120], v[42:43]
	v_add_f64 v[14:15], v[14:15], v[16:17]
	ds_read_b128 v[2:5], v1 offset:1904
	s_waitcnt vmcnt(19) lgkmcnt(1)
	v_mul_f64 v[42:43], v[12:13], v[74:75]
	v_mul_f64 v[16:17], v[10:11], v[74:75]
	s_waitcnt vmcnt(17)
	v_fma_f64 v[28:29], v[6:7], v[26:27], -v[28:29]
	v_fma_f64 v[26:27], v[8:9], v[26:27], v[32:33]
	ds_read_b128 v[6:9], v1 offset:1920
	v_add_f64 v[18:19], v[18:19], v[40:41]
	v_add_f64 v[14:15], v[14:15], v[20:21]
	s_waitcnt vmcnt(13) lgkmcnt(1)
	v_mul_f64 v[20:21], v[2:3], v[22:23]
	v_mul_f64 v[22:23], v[4:5], v[22:23]
	s_waitcnt vmcnt(12)
	v_fma_f64 v[32:33], v[10:11], v[111:112], -v[42:43]
	v_fma_f64 v[16:17], v[12:13], v[111:112], v[16:17]
	ds_read_b128 v[10:13], v1 offset:1936
	v_add_f64 v[18:19], v[18:19], v[28:29]
	v_add_f64 v[14:15], v[14:15], v[26:27]
	s_waitcnt vmcnt(11) lgkmcnt(1)
	v_mul_f64 v[28:29], v[8:9], v[38:39]
	v_mul_f64 v[26:27], v[6:7], v[38:39]
	s_waitcnt vmcnt(9)
	v_fma_f64 v[1:2], v[2:3], v[24:25], -v[22:23]
	v_fma_f64 v[3:4], v[4:5], v[24:25], v[20:21]
	v_add_f64 v[18:19], v[18:19], v[32:33]
	v_add_f64 v[14:15], v[14:15], v[16:17]
	s_waitcnt vmcnt(7) lgkmcnt(0)
	v_mul_f64 v[20:21], v[12:13], v[30:31]
	s_waitcnt vmcnt(6)
	v_fma_f64 v[5:6], v[6:7], v[109:110], -v[28:29]
	v_mul_f64 v[16:17], v[10:11], v[30:31]
	v_fma_f64 v[7:8], v[8:9], v[109:110], v[26:27]
	v_add_f64 v[1:2], v[18:19], v[1:2]
	v_add_f64 v[3:4], v[14:15], v[3:4]
	s_waitcnt vmcnt(4)
	v_fma_f64 v[9:10], v[10:11], v[34:35], -v[20:21]
	v_add_f64 v[1:2], v[1:2], v[5:6]
	v_fma_f64 v[5:6], v[12:13], v[34:35], v[16:17]
	v_add_f64 v[3:4], v[3:4], v[7:8]
	v_add_f64 v[1:2], v[1:2], v[9:10]
	;; [unrolled: 1-line block ×3, first 2 shown]
	s_waitcnt vmcnt(2)
	v_add_f64 v[1:2], v[36:37], -v[1:2]
	s_waitcnt vmcnt(0)
	v_add_f64 v[3:4], v[46:47], -v[3:4]
	buffer_store_dword v2, off, s[0:3], 0 offset:596
	buffer_store_dword v1, off, s[0:3], 0 offset:592
	;; [unrolled: 1-line block ×4, first 2 shown]
	v_cmpx_lt_u32_e32 35, v0
	s_cbranch_execz .LBB60_321
; %bb.320:
	v_mov_b32_e32 v4, s40
	v_mov_b32_e32 v5, 0
	s_clause 0x3
	buffer_load_dword v1, v4, s[0:3], 0 offen
	buffer_load_dword v2, v4, s[0:3], 0 offen offset:4
	buffer_load_dword v3, v4, s[0:3], 0 offen offset:8
	;; [unrolled: 1-line block ×3, first 2 shown]
	buffer_store_dword v5, off, s[0:3], 0 offset:576
	buffer_store_dword v5, off, s[0:3], 0 offset:580
	;; [unrolled: 1-line block ×4, first 2 shown]
	s_waitcnt vmcnt(0)
	ds_write_b128 v69, v[1:4]
.LBB60_321:
	s_or_b32 exec_lo, exec_lo, s4
	s_waitcnt lgkmcnt(0)
	s_waitcnt_vscnt null, 0x0
	s_barrier
	buffer_gl0_inv
	s_clause 0x37
	buffer_load_dword v10, off, s[0:3], 0 offset:600
	buffer_load_dword v11, off, s[0:3], 0 offset:604
	;; [unrolled: 1-line block ×56, first 2 shown]
	v_mov_b32_e32 v1, 0
	s_mov_b32 s4, exec_lo
	ds_read_b128 v[2:5], v1 offset:1552
	s_clause 0x2
	buffer_load_dword v67, off, s[0:3], 0 offset:828
	buffer_load_dword v73, off, s[0:3], 0 offset:804
	;; [unrolled: 1-line block ×3, first 2 shown]
	ds_read_b128 v[6:9], v1 offset:1568
	s_clause 0x4
	buffer_load_dword v96, off, s[0:3], 0 offset:844
	buffer_load_dword v97, off, s[0:3], 0 offset:856
	;; [unrolled: 1-line block ×5, first 2 shown]
	s_waitcnt vmcnt(62) lgkmcnt(1)
	v_mul_f64 v[74:75], v[4:5], v[10:11]
	v_mul_f64 v[93:94], v[2:3], v[10:11]
	s_waitcnt vmcnt(60) lgkmcnt(0)
	v_mul_f64 v[109:110], v[8:9], v[14:15]
	ds_read_b128 v[10:13], v1 offset:1584
	v_mul_f64 v[14:15], v[6:7], v[14:15]
	s_waitcnt vmcnt(58)
	v_fma_f64 v[74:75], v[2:3], v[16:17], -v[74:75]
	v_fma_f64 v[16:17], v[4:5], v[16:17], v[93:94]
	s_clause 0x2
	buffer_load_dword v98, off, s[0:3], 0 offset:860
	buffer_load_dword v94, off, s[0:3], 0 offset:836
	;; [unrolled: 1-line block ×3, first 2 shown]
	s_waitcnt vmcnt(59) lgkmcnt(0)
	v_mul_f64 v[111:112], v[10:11], v[18:19]
	v_mul_f64 v[18:19], v[12:13], v[18:19]
	s_waitcnt vmcnt(57)
	v_fma_f64 v[109:110], v[6:7], v[20:21], -v[109:110]
	ds_read_b128 v[2:5], v1 offset:1600
	v_fma_f64 v[14:15], v[8:9], v[20:21], v[14:15]
	s_clause 0x4
	buffer_load_dword v21, off, s[0:3], 0 offset:876
	buffer_load_dword v117, off, s[0:3], 0 offset:888
	;; [unrolled: 1-line block ×5, first 2 shown]
	ds_read_b128 v[6:9], v1 offset:1616
	v_add_f64 v[74:75], v[74:75], 0
	v_add_f64 v[16:17], v[16:17], 0
	s_waitcnt vmcnt(58) lgkmcnt(1)
	v_mul_f64 v[129:130], v[2:3], v[22:23]
	v_mul_f64 v[22:23], v[4:5], v[22:23]
	s_waitcnt vmcnt(56)
	v_fma_f64 v[18:19], v[10:11], v[28:29], -v[18:19]
	v_fma_f64 v[28:29], v[12:13], v[28:29], v[111:112]
	v_add_f64 v[74:75], v[74:75], v[109:110]
	v_add_f64 v[14:15], v[16:17], v[14:15]
	s_clause 0x2
	buffer_load_dword v118, off, s[0:3], 0 offset:892
	buffer_load_dword v17, off, s[0:3], 0 offset:868
	;; [unrolled: 1-line block ×3, first 2 shown]
	s_waitcnt vmcnt(58) lgkmcnt(0)
	v_mul_f64 v[109:110], v[6:7], v[24:25]
	v_mul_f64 v[24:25], v[8:9], v[24:25]
	s_waitcnt vmcnt(56)
	v_fma_f64 v[22:23], v[2:3], v[30:31], -v[22:23]
	ds_read_b128 v[10:13], v1 offset:1632
	v_fma_f64 v[30:31], v[4:5], v[30:31], v[129:130]
	v_add_f64 v[18:19], v[74:75], v[18:19]
	v_add_f64 v[14:15], v[14:15], v[28:29]
	s_clause 0x4
	buffer_load_dword v29, off, s[0:3], 0 offset:908
	buffer_load_dword v74, off, s[0:3], 0 offset:920
	buffer_load_dword v111, off, s[0:3], 0 offset:912
	buffer_load_dword v28, off, s[0:3], 0 offset:904
	buffer_load_dword v120, off, s[0:3], 0 offset:884
	ds_read_b128 v[2:5], v1 offset:1648
	s_waitcnt vmcnt(57) lgkmcnt(1)
	v_mul_f64 v[129:130], v[10:11], v[32:33]
	v_mul_f64 v[32:33], v[12:13], v[32:33]
	s_waitcnt vmcnt(56)
	v_fma_f64 v[24:25], v[6:7], v[26:27], -v[24:25]
	v_add_f64 v[18:19], v[18:19], v[22:23]
	v_fma_f64 v[22:23], v[8:9], v[26:27], v[109:110]
	v_add_f64 v[14:15], v[14:15], v[30:31]
	s_clause 0x2
	buffer_load_dword v75, off, s[0:3], 0 offset:924
	buffer_load_dword v27, off, s[0:3], 0 offset:900
	;; [unrolled: 1-line block ×3, first 2 shown]
	s_waitcnt vmcnt(58) lgkmcnt(0)
	v_mul_f64 v[30:31], v[2:3], v[34:35]
	v_mul_f64 v[34:35], v[4:5], v[34:35]
	s_waitcnt vmcnt(56)
	v_fma_f64 v[32:33], v[10:11], v[38:39], -v[32:33]
	ds_read_b128 v[6:9], v1 offset:1664
	v_add_f64 v[18:19], v[18:19], v[24:25]
	v_fma_f64 v[24:25], v[12:13], v[38:39], v[129:130]
	v_add_f64 v[14:15], v[14:15], v[22:23]
	s_clause 0x4
	buffer_load_dword v23, off, s[0:3], 0 offset:940
	buffer_load_dword v38, off, s[0:3], 0 offset:952
	;; [unrolled: 1-line block ×5, first 2 shown]
	ds_read_b128 v[10:13], v1 offset:1680
	s_waitcnt vmcnt(57) lgkmcnt(1)
	v_mul_f64 v[129:130], v[6:7], v[40:41]
	v_mul_f64 v[40:41], v[8:9], v[40:41]
	s_waitcnt vmcnt(56)
	v_fma_f64 v[34:35], v[2:3], v[36:37], -v[34:35]
	v_fma_f64 v[30:31], v[4:5], v[36:37], v[30:31]
	v_add_f64 v[18:19], v[18:19], v[32:33]
	v_add_f64 v[14:15], v[14:15], v[24:25]
	s_clause 0x2
	buffer_load_dword v39, off, s[0:3], 0 offset:956
	buffer_load_dword v25, off, s[0:3], 0 offset:932
	;; [unrolled: 1-line block ×3, first 2 shown]
	s_waitcnt vmcnt(58) lgkmcnt(0)
	v_mul_f64 v[36:37], v[12:13], v[42:43]
	ds_read_b128 v[2:5], v1 offset:1696
	s_waitcnt vmcnt(56)
	v_fma_f64 v[40:41], v[6:7], v[46:47], -v[40:41]
	v_mul_f64 v[32:33], v[10:11], v[42:43]
	v_add_f64 v[18:19], v[18:19], v[34:35]
	v_fma_f64 v[34:35], v[8:9], v[46:47], v[129:130]
	v_add_f64 v[14:15], v[14:15], v[30:31]
	s_clause 0x4
	buffer_load_dword v31, off, s[0:3], 0 offset:972
	buffer_load_dword v42, off, s[0:3], 0 offset:984
	;; [unrolled: 1-line block ×5, first 2 shown]
	s_waitcnt vmcnt(57) lgkmcnt(0)
	v_mul_f64 v[129:130], v[2:3], v[48:49]
	v_mul_f64 v[47:48], v[4:5], v[48:49]
	s_waitcnt vmcnt(56)
	v_fma_f64 v[36:37], v[10:11], v[44:45], -v[36:37]
	ds_read_b128 v[6:9], v1 offset:1712
	v_fma_f64 v[32:33], v[12:13], v[44:45], v[32:33]
	v_add_f64 v[18:19], v[18:19], v[40:41]
	v_add_f64 v[14:15], v[14:15], v[34:35]
	s_clause 0x2
	buffer_load_dword v43, off, s[0:3], 0 offset:988
	buffer_load_dword v35, off, s[0:3], 0 offset:964
	;; [unrolled: 1-line block ×3, first 2 shown]
	ds_read_b128 v[10:13], v1 offset:1728
	s_waitcnt vmcnt(58) lgkmcnt(1)
	v_mul_f64 v[44:45], v[8:9], v[50:51]
	s_waitcnt vmcnt(56)
	v_fma_f64 v[48:49], v[2:3], v[54:55], -v[47:48]
	v_mul_f64 v[40:41], v[6:7], v[50:51]
	buffer_load_dword v47, off, s[0:3], 0 offset:980
	v_add_f64 v[18:19], v[18:19], v[36:37]
	v_fma_f64 v[36:37], v[4:5], v[54:55], v[129:130]
	v_add_f64 v[14:15], v[14:15], v[32:33]
	ds_read_b128 v[2:5], v1 offset:1744
	s_waitcnt vmcnt(53) lgkmcnt(1)
	v_mul_f64 v[50:51], v[12:13], v[56:57]
	s_waitcnt vmcnt(52)
	v_fma_f64 v[44:45], v[6:7], v[52:53], -v[44:45]
	v_mul_f64 v[32:33], v[10:11], v[56:57]
	v_fma_f64 v[40:41], v[8:9], v[52:53], v[40:41]
	ds_read_b128 v[6:9], v1 offset:1760
	v_add_f64 v[18:19], v[18:19], v[48:49]
	s_waitcnt vmcnt(51) lgkmcnt(1)
	v_mul_f64 v[48:49], v[4:5], v[58:59]
	v_add_f64 v[14:15], v[14:15], v[36:37]
	v_mul_f64 v[36:37], v[2:3], v[58:59]
	s_waitcnt vmcnt(49)
	v_fma_f64 v[50:51], v[10:11], v[62:63], -v[50:51]
	v_fma_f64 v[32:33], v[12:13], v[62:63], v[32:33]
	s_waitcnt vmcnt(45) lgkmcnt(0)
	v_mul_f64 v[54:55], v[8:9], v[64:65]
	v_mul_f64 v[52:53], v[6:7], v[64:65]
	v_add_f64 v[18:19], v[18:19], v[44:45]
	s_waitcnt vmcnt(44)
	v_fma_f64 v[48:49], v[2:3], v[60:61], -v[48:49]
	v_add_f64 v[14:15], v[14:15], v[40:41]
	s_clause 0x3
	buffer_load_dword v40, off, s[0:3], 0 offset:576
	buffer_load_dword v41, off, s[0:3], 0 offset:580
	;; [unrolled: 1-line block ×4, first 2 shown]
	ds_read_b128 v[10:13], v1 offset:1776
	v_fma_f64 v[36:37], v[4:5], v[60:61], v[36:37]
	ds_read_b128 v[2:5], v1 offset:1792
	s_waitcnt vmcnt(45)
	v_fma_f64 v[54:55], v[6:7], v[72:73], -v[54:55]
	v_add_f64 v[18:19], v[18:19], v[50:51]
	v_add_f64 v[14:15], v[14:15], v[32:33]
	s_waitcnt lgkmcnt(1)
	v_mul_f64 v[50:51], v[12:13], v[66:67]
	v_mul_f64 v[32:33], v[10:11], v[66:67]
	v_add_f64 v[18:19], v[18:19], v[48:49]
	v_fma_f64 v[48:49], v[8:9], v[72:73], v[52:53]
	v_add_f64 v[14:15], v[14:15], v[36:37]
	s_waitcnt vmcnt(41) lgkmcnt(0)
	v_mul_f64 v[52:53], v[4:5], v[95:96]
	s_waitcnt vmcnt(40)
	v_fma_f64 v[50:51], v[10:11], v[70:71], -v[50:51]
	ds_read_b128 v[6:9], v1 offset:1808
	v_mul_f64 v[36:37], v[2:3], v[95:96]
	v_fma_f64 v[32:33], v[12:13], v[70:71], v[32:33]
	ds_read_b128 v[10:13], v1 offset:1824
	v_add_f64 v[18:19], v[18:19], v[54:55]
	v_add_f64 v[14:15], v[14:15], v[48:49]
	s_waitcnt vmcnt(39) lgkmcnt(1)
	v_mul_f64 v[54:55], v[8:9], v[97:98]
	v_mul_f64 v[48:49], v[6:7], v[97:98]
	s_waitcnt vmcnt(37)
	v_fma_f64 v[52:53], v[2:3], v[93:94], -v[52:53]
	v_fma_f64 v[36:37], v[4:5], v[93:94], v[36:37]
	ds_read_b128 v[2:5], v1 offset:1840
	v_add_f64 v[18:19], v[18:19], v[50:51]
	v_add_f64 v[14:15], v[14:15], v[32:33]
	s_waitcnt vmcnt(33) lgkmcnt(1)
	v_mul_f64 v[32:33], v[10:11], v[20:21]
	v_mul_f64 v[20:21], v[12:13], v[20:21]
	s_waitcnt vmcnt(32)
	v_fma_f64 v[50:51], v[6:7], v[99:100], -v[54:55]
	;; [unrolled: 9-line block ×4, first 2 shown]
	v_add_f64 v[18:19], v[18:19], v[20:21]
	v_fma_f64 v[20:21], v[4:5], v[119:120], v[36:37]
	v_add_f64 v[14:15], v[14:15], v[16:17]
	ds_read_b128 v[2:5], v1 offset:1888
	s_waitcnt vmcnt(23) lgkmcnt(1)
	v_mul_f64 v[36:37], v[12:13], v[74:75]
	v_mul_f64 v[16:17], v[10:11], v[74:75]
	s_waitcnt vmcnt(21)
	v_fma_f64 v[28:29], v[6:7], v[26:27], -v[28:29]
	v_fma_f64 v[26:27], v[8:9], v[26:27], v[32:33]
	ds_read_b128 v[6:9], v1 offset:1904
	v_add_f64 v[18:19], v[18:19], v[48:49]
	v_add_f64 v[14:15], v[14:15], v[20:21]
	s_waitcnt vmcnt(17) lgkmcnt(1)
	v_mul_f64 v[20:21], v[2:3], v[22:23]
	v_mul_f64 v[22:23], v[4:5], v[22:23]
	s_waitcnt vmcnt(16)
	v_fma_f64 v[32:33], v[10:11], v[111:112], -v[36:37]
	v_fma_f64 v[16:17], v[12:13], v[111:112], v[16:17]
	ds_read_b128 v[10:13], v1 offset:1920
	v_add_f64 v[18:19], v[18:19], v[28:29]
	v_add_f64 v[14:15], v[14:15], v[26:27]
	;; [unrolled: 9-line block ×3, first 2 shown]
	s_waitcnt vmcnt(9) lgkmcnt(1)
	v_mul_f64 v[24:25], v[12:13], v[30:31]
	s_waitcnt vmcnt(8)
	v_fma_f64 v[6:7], v[6:7], v[109:110], -v[28:29]
	v_mul_f64 v[16:17], v[10:11], v[30:31]
	v_fma_f64 v[8:9], v[8:9], v[109:110], v[26:27]
	v_add_f64 v[18:19], v[18:19], v[22:23]
	v_add_f64 v[14:15], v[14:15], v[20:21]
	s_waitcnt vmcnt(7) lgkmcnt(0)
	v_mul_f64 v[22:23], v[4:5], v[42:43]
	v_mul_f64 v[20:21], v[2:3], v[42:43]
	s_waitcnt vmcnt(5)
	v_fma_f64 v[10:11], v[10:11], v[34:35], -v[24:25]
	v_fma_f64 v[12:13], v[12:13], v[34:35], v[16:17]
	v_add_f64 v[6:7], v[18:19], v[6:7]
	v_add_f64 v[8:9], v[14:15], v[8:9]
	s_waitcnt vmcnt(4)
	v_fma_f64 v[2:3], v[2:3], v[46:47], -v[22:23]
	v_fma_f64 v[4:5], v[4:5], v[46:47], v[20:21]
	v_add_f64 v[6:7], v[6:7], v[10:11]
	v_add_f64 v[8:9], v[8:9], v[12:13]
	;; [unrolled: 1-line block ×4, first 2 shown]
	s_waitcnt vmcnt(2)
	v_add_f64 v[2:3], v[40:41], -v[2:3]
	s_waitcnt vmcnt(0)
	v_add_f64 v[4:5], v[44:45], -v[4:5]
	buffer_store_dword v3, off, s[0:3], 0 offset:580
	buffer_store_dword v2, off, s[0:3], 0 offset:576
	;; [unrolled: 1-line block ×4, first 2 shown]
	v_cmpx_lt_u32_e32 34, v0
	s_cbranch_execz .LBB60_323
; %bb.322:
	v_mov_b32_e32 v5, s41
	s_clause 0x3
	buffer_load_dword v2, v5, s[0:3], 0 offen
	buffer_load_dword v3, v5, s[0:3], 0 offen offset:4
	buffer_load_dword v4, v5, s[0:3], 0 offen offset:8
	;; [unrolled: 1-line block ×3, first 2 shown]
	buffer_store_dword v1, off, s[0:3], 0 offset:560
	buffer_store_dword v1, off, s[0:3], 0 offset:564
	;; [unrolled: 1-line block ×4, first 2 shown]
	s_waitcnt vmcnt(0)
	ds_write_b128 v69, v[2:5]
.LBB60_323:
	s_or_b32 exec_lo, exec_lo, s4
	s_waitcnt lgkmcnt(0)
	s_waitcnt_vscnt null, 0x0
	s_barrier
	buffer_gl0_inv
	s_clause 0x37
	buffer_load_dword v10, off, s[0:3], 0 offset:584
	buffer_load_dword v11, off, s[0:3], 0 offset:588
	;; [unrolled: 1-line block ×56, first 2 shown]
	ds_read_b128 v[2:5], v1 offset:1536
	s_clause 0x2
	buffer_load_dword v67, off, s[0:3], 0 offset:812
	buffer_load_dword v73, off, s[0:3], 0 offset:788
	;; [unrolled: 1-line block ×3, first 2 shown]
	ds_read_b128 v[6:9], v1 offset:1552
	s_clause 0x4
	buffer_load_dword v96, off, s[0:3], 0 offset:828
	buffer_load_dword v97, off, s[0:3], 0 offset:840
	;; [unrolled: 1-line block ×5, first 2 shown]
	s_mov_b32 s4, exec_lo
	s_waitcnt vmcnt(62) lgkmcnt(1)
	v_mul_f64 v[74:75], v[4:5], v[10:11]
	v_mul_f64 v[93:94], v[2:3], v[10:11]
	s_waitcnt vmcnt(60) lgkmcnt(0)
	v_mul_f64 v[109:110], v[8:9], v[14:15]
	ds_read_b128 v[10:13], v1 offset:1568
	v_mul_f64 v[14:15], v[6:7], v[14:15]
	s_waitcnt vmcnt(58)
	v_fma_f64 v[74:75], v[2:3], v[16:17], -v[74:75]
	v_fma_f64 v[16:17], v[4:5], v[16:17], v[93:94]
	s_clause 0x2
	buffer_load_dword v98, off, s[0:3], 0 offset:844
	buffer_load_dword v94, off, s[0:3], 0 offset:820
	;; [unrolled: 1-line block ×3, first 2 shown]
	s_waitcnt vmcnt(59) lgkmcnt(0)
	v_mul_f64 v[111:112], v[10:11], v[18:19]
	v_mul_f64 v[18:19], v[12:13], v[18:19]
	s_waitcnt vmcnt(57)
	v_fma_f64 v[109:110], v[6:7], v[20:21], -v[109:110]
	ds_read_b128 v[2:5], v1 offset:1584
	v_fma_f64 v[14:15], v[8:9], v[20:21], v[14:15]
	s_clause 0x4
	buffer_load_dword v21, off, s[0:3], 0 offset:860
	buffer_load_dword v117, off, s[0:3], 0 offset:872
	;; [unrolled: 1-line block ×5, first 2 shown]
	ds_read_b128 v[6:9], v1 offset:1600
	v_add_f64 v[74:75], v[74:75], 0
	v_add_f64 v[16:17], v[16:17], 0
	s_waitcnt vmcnt(58) lgkmcnt(1)
	v_mul_f64 v[129:130], v[2:3], v[22:23]
	v_mul_f64 v[22:23], v[4:5], v[22:23]
	s_waitcnt vmcnt(56)
	v_fma_f64 v[18:19], v[10:11], v[28:29], -v[18:19]
	v_fma_f64 v[28:29], v[12:13], v[28:29], v[111:112]
	v_add_f64 v[74:75], v[74:75], v[109:110]
	v_add_f64 v[14:15], v[16:17], v[14:15]
	s_clause 0x2
	buffer_load_dword v118, off, s[0:3], 0 offset:876
	buffer_load_dword v17, off, s[0:3], 0 offset:852
	;; [unrolled: 1-line block ×3, first 2 shown]
	s_waitcnt vmcnt(58) lgkmcnt(0)
	v_mul_f64 v[109:110], v[6:7], v[24:25]
	v_mul_f64 v[24:25], v[8:9], v[24:25]
	s_waitcnt vmcnt(56)
	v_fma_f64 v[22:23], v[2:3], v[30:31], -v[22:23]
	ds_read_b128 v[10:13], v1 offset:1616
	v_fma_f64 v[30:31], v[4:5], v[30:31], v[129:130]
	v_add_f64 v[18:19], v[74:75], v[18:19]
	v_add_f64 v[14:15], v[14:15], v[28:29]
	s_clause 0x4
	buffer_load_dword v29, off, s[0:3], 0 offset:892
	buffer_load_dword v74, off, s[0:3], 0 offset:904
	;; [unrolled: 1-line block ×5, first 2 shown]
	ds_read_b128 v[2:5], v1 offset:1632
	s_waitcnt vmcnt(57) lgkmcnt(1)
	v_mul_f64 v[129:130], v[10:11], v[32:33]
	v_mul_f64 v[32:33], v[12:13], v[32:33]
	s_waitcnt vmcnt(56)
	v_fma_f64 v[24:25], v[6:7], v[26:27], -v[24:25]
	v_add_f64 v[18:19], v[18:19], v[22:23]
	v_fma_f64 v[22:23], v[8:9], v[26:27], v[109:110]
	v_add_f64 v[14:15], v[14:15], v[30:31]
	s_clause 0x2
	buffer_load_dword v75, off, s[0:3], 0 offset:908
	buffer_load_dword v27, off, s[0:3], 0 offset:884
	;; [unrolled: 1-line block ×3, first 2 shown]
	s_waitcnt vmcnt(58) lgkmcnt(0)
	v_mul_f64 v[30:31], v[2:3], v[34:35]
	v_mul_f64 v[34:35], v[4:5], v[34:35]
	s_waitcnt vmcnt(56)
	v_fma_f64 v[32:33], v[10:11], v[38:39], -v[32:33]
	ds_read_b128 v[6:9], v1 offset:1648
	v_add_f64 v[18:19], v[18:19], v[24:25]
	v_fma_f64 v[24:25], v[12:13], v[38:39], v[129:130]
	v_add_f64 v[14:15], v[14:15], v[22:23]
	s_clause 0x4
	buffer_load_dword v23, off, s[0:3], 0 offset:924
	buffer_load_dword v38, off, s[0:3], 0 offset:936
	;; [unrolled: 1-line block ×5, first 2 shown]
	ds_read_b128 v[10:13], v1 offset:1664
	s_waitcnt vmcnt(57) lgkmcnt(1)
	v_mul_f64 v[129:130], v[6:7], v[40:41]
	v_mul_f64 v[40:41], v[8:9], v[40:41]
	s_waitcnt vmcnt(56)
	v_fma_f64 v[34:35], v[2:3], v[36:37], -v[34:35]
	v_fma_f64 v[30:31], v[4:5], v[36:37], v[30:31]
	v_add_f64 v[18:19], v[18:19], v[32:33]
	v_add_f64 v[14:15], v[14:15], v[24:25]
	s_clause 0x2
	buffer_load_dword v39, off, s[0:3], 0 offset:940
	buffer_load_dword v25, off, s[0:3], 0 offset:916
	;; [unrolled: 1-line block ×3, first 2 shown]
	s_waitcnt vmcnt(58) lgkmcnt(0)
	v_mul_f64 v[36:37], v[12:13], v[42:43]
	ds_read_b128 v[2:5], v1 offset:1680
	s_waitcnt vmcnt(56)
	v_fma_f64 v[40:41], v[6:7], v[46:47], -v[40:41]
	v_mul_f64 v[32:33], v[10:11], v[42:43]
	v_add_f64 v[18:19], v[18:19], v[34:35]
	v_fma_f64 v[34:35], v[8:9], v[46:47], v[129:130]
	v_add_f64 v[14:15], v[14:15], v[30:31]
	s_clause 0x4
	buffer_load_dword v31, off, s[0:3], 0 offset:956
	buffer_load_dword v42, off, s[0:3], 0 offset:968
	;; [unrolled: 1-line block ×5, first 2 shown]
	s_waitcnt vmcnt(57) lgkmcnt(0)
	v_mul_f64 v[129:130], v[2:3], v[48:49]
	v_mul_f64 v[47:48], v[4:5], v[48:49]
	s_waitcnt vmcnt(56)
	v_fma_f64 v[36:37], v[10:11], v[44:45], -v[36:37]
	ds_read_b128 v[6:9], v1 offset:1696
	v_fma_f64 v[32:33], v[12:13], v[44:45], v[32:33]
	v_add_f64 v[18:19], v[18:19], v[40:41]
	v_add_f64 v[14:15], v[14:15], v[34:35]
	s_clause 0x2
	buffer_load_dword v43, off, s[0:3], 0 offset:972
	buffer_load_dword v35, off, s[0:3], 0 offset:948
	buffer_load_dword v34, off, s[0:3], 0 offset:944
	ds_read_b128 v[10:13], v1 offset:1712
	s_waitcnt vmcnt(58) lgkmcnt(1)
	v_mul_f64 v[44:45], v[8:9], v[50:51]
	s_waitcnt vmcnt(56)
	v_fma_f64 v[48:49], v[2:3], v[54:55], -v[47:48]
	v_mul_f64 v[40:41], v[6:7], v[50:51]
	v_add_f64 v[18:19], v[18:19], v[36:37]
	v_fma_f64 v[36:37], v[4:5], v[54:55], v[129:130]
	v_add_f64 v[14:15], v[14:15], v[32:33]
	s_clause 0x2
	buffer_load_dword v33, off, s[0:3], 0 offset:988
	buffer_load_dword v32, off, s[0:3], 0 offset:984
	;; [unrolled: 1-line block ×3, first 2 shown]
	s_waitcnt vmcnt(55) lgkmcnt(0)
	v_mul_f64 v[54:55], v[12:13], v[56:57]
	s_waitcnt vmcnt(54)
	v_fma_f64 v[44:45], v[6:7], v[52:53], -v[44:45]
	ds_read_b128 v[2:5], v1 offset:1728
	v_mul_f64 v[50:51], v[10:11], v[56:57]
	v_fma_f64 v[40:41], v[8:9], v[52:53], v[40:41]
	v_add_f64 v[18:19], v[18:19], v[48:49]
	v_add_f64 v[14:15], v[14:15], v[36:37]
	s_clause 0x1
	buffer_load_dword v37, off, s[0:3], 0 offset:980
	buffer_load_dword v36, off, s[0:3], 0 offset:976
	s_waitcnt vmcnt(55) lgkmcnt(0)
	v_mul_f64 v[52:53], v[4:5], v[58:59]
	s_waitcnt vmcnt(53)
	v_fma_f64 v[54:55], v[10:11], v[62:63], -v[54:55]
	ds_read_b128 v[6:9], v1 offset:1744
	v_mul_f64 v[48:49], v[2:3], v[58:59]
	v_add_f64 v[18:19], v[18:19], v[44:45]
	v_fma_f64 v[44:45], v[12:13], v[62:63], v[50:51]
	v_add_f64 v[14:15], v[14:15], v[40:41]
	ds_read_b128 v[10:13], v1 offset:1760
	s_waitcnt vmcnt(49) lgkmcnt(1)
	v_mul_f64 v[50:51], v[8:9], v[64:65]
	s_waitcnt vmcnt(48)
	v_fma_f64 v[52:53], v[2:3], v[60:61], -v[52:53]
	v_mul_f64 v[40:41], v[6:7], v[64:65]
	v_fma_f64 v[48:49], v[4:5], v[60:61], v[48:49]
	v_add_f64 v[18:19], v[18:19], v[54:55]
	s_waitcnt vmcnt(47) lgkmcnt(0)
	v_mul_f64 v[58:59], v[12:13], v[66:67]
	v_add_f64 v[14:15], v[14:15], v[44:45]
	s_clause 0x3
	buffer_load_dword v44, off, s[0:3], 0 offset:560
	buffer_load_dword v45, off, s[0:3], 0 offset:564
	;; [unrolled: 1-line block ×4, first 2 shown]
	s_waitcnt vmcnt(49)
	v_fma_f64 v[50:51], v[6:7], v[72:73], -v[50:51]
	ds_read_b128 v[2:5], v1 offset:1776
	v_mul_f64 v[56:57], v[10:11], v[66:67]
	v_fma_f64 v[40:41], v[8:9], v[72:73], v[40:41]
	ds_read_b128 v[6:9], v1 offset:1792
	v_add_f64 v[18:19], v[18:19], v[52:53]
	s_waitcnt vmcnt(44)
	v_fma_f64 v[58:59], v[10:11], v[70:71], -v[58:59]
	v_add_f64 v[14:15], v[14:15], v[48:49]
	s_waitcnt lgkmcnt(1)
	v_mul_f64 v[52:53], v[4:5], v[95:96]
	v_mul_f64 v[48:49], v[2:3], v[95:96]
	v_add_f64 v[18:19], v[18:19], v[50:51]
	v_fma_f64 v[50:51], v[12:13], v[70:71], v[56:57]
	v_add_f64 v[14:15], v[14:15], v[40:41]
	ds_read_b128 v[10:13], v1 offset:1808
	s_waitcnt vmcnt(43) lgkmcnt(1)
	v_mul_f64 v[56:57], v[8:9], v[97:98]
	v_mul_f64 v[40:41], v[6:7], v[97:98]
	s_waitcnt vmcnt(41)
	v_fma_f64 v[52:53], v[2:3], v[93:94], -v[52:53]
	v_fma_f64 v[48:49], v[4:5], v[93:94], v[48:49]
	ds_read_b128 v[2:5], v1 offset:1824
	v_add_f64 v[18:19], v[18:19], v[58:59]
	v_add_f64 v[14:15], v[14:15], v[50:51]
	s_waitcnt vmcnt(37) lgkmcnt(1)
	v_mul_f64 v[50:51], v[10:11], v[20:21]
	v_mul_f64 v[20:21], v[12:13], v[20:21]
	s_waitcnt vmcnt(36)
	v_fma_f64 v[56:57], v[6:7], v[99:100], -v[56:57]
	v_fma_f64 v[40:41], v[8:9], v[99:100], v[40:41]
	ds_read_b128 v[6:9], v1 offset:1840
	v_add_f64 v[18:19], v[18:19], v[52:53]
	v_add_f64 v[14:15], v[14:15], v[48:49]
	;; [unrolled: 9-line block ×3, first 2 shown]
	s_waitcnt vmcnt(29) lgkmcnt(1)
	v_mul_f64 v[40:41], v[6:7], v[28:29]
	v_mul_f64 v[28:29], v[8:9], v[28:29]
	s_waitcnt vmcnt(28)
	v_fma_f64 v[50:51], v[2:3], v[119:120], -v[52:53]
	v_add_f64 v[18:19], v[18:19], v[20:21]
	v_fma_f64 v[20:21], v[4:5], v[119:120], v[48:49]
	v_add_f64 v[14:15], v[14:15], v[16:17]
	ds_read_b128 v[2:5], v1 offset:1872
	s_waitcnt vmcnt(27) lgkmcnt(1)
	v_mul_f64 v[48:49], v[12:13], v[74:75]
	v_mul_f64 v[16:17], v[10:11], v[74:75]
	s_waitcnt vmcnt(25)
	v_fma_f64 v[28:29], v[6:7], v[26:27], -v[28:29]
	v_fma_f64 v[26:27], v[8:9], v[26:27], v[40:41]
	ds_read_b128 v[6:9], v1 offset:1888
	v_add_f64 v[18:19], v[18:19], v[50:51]
	v_add_f64 v[14:15], v[14:15], v[20:21]
	s_waitcnt vmcnt(21) lgkmcnt(1)
	v_mul_f64 v[20:21], v[2:3], v[22:23]
	v_mul_f64 v[22:23], v[4:5], v[22:23]
	s_waitcnt vmcnt(20)
	v_fma_f64 v[40:41], v[10:11], v[111:112], -v[48:49]
	v_fma_f64 v[16:17], v[12:13], v[111:112], v[16:17]
	ds_read_b128 v[10:13], v1 offset:1904
	v_add_f64 v[18:19], v[18:19], v[28:29]
	v_add_f64 v[14:15], v[14:15], v[26:27]
	;; [unrolled: 9-line block ×3, first 2 shown]
	s_waitcnt vmcnt(13) lgkmcnt(1)
	v_mul_f64 v[24:25], v[12:13], v[30:31]
	s_waitcnt vmcnt(12)
	v_fma_f64 v[28:29], v[6:7], v[109:110], -v[28:29]
	v_mul_f64 v[16:17], v[10:11], v[30:31]
	v_add_f64 v[18:19], v[18:19], v[22:23]
	v_fma_f64 v[22:23], v[8:9], v[109:110], v[26:27]
	v_add_f64 v[14:15], v[14:15], v[20:21]
	ds_read_b128 v[6:9], v1 offset:1936
	s_waitcnt vmcnt(11) lgkmcnt(1)
	v_mul_f64 v[26:27], v[4:5], v[42:43]
	v_mul_f64 v[20:21], v[2:3], v[42:43]
	s_waitcnt vmcnt(9)
	v_fma_f64 v[10:11], v[10:11], v[34:35], -v[24:25]
	v_fma_f64 v[12:13], v[12:13], v[34:35], v[16:17]
	v_add_f64 v[18:19], v[18:19], v[28:29]
	v_add_f64 v[14:15], v[14:15], v[22:23]
	s_waitcnt vmcnt(7) lgkmcnt(0)
	v_mul_f64 v[22:23], v[8:9], v[32:33]
	s_waitcnt vmcnt(6)
	v_fma_f64 v[1:2], v[2:3], v[46:47], -v[26:27]
	v_mul_f64 v[16:17], v[6:7], v[32:33]
	v_fma_f64 v[3:4], v[4:5], v[46:47], v[20:21]
	v_add_f64 v[10:11], v[18:19], v[10:11]
	v_add_f64 v[12:13], v[14:15], v[12:13]
	s_waitcnt vmcnt(4)
	v_fma_f64 v[5:6], v[6:7], v[36:37], -v[22:23]
	v_fma_f64 v[7:8], v[8:9], v[36:37], v[16:17]
	v_add_f64 v[1:2], v[10:11], v[1:2]
	v_add_f64 v[3:4], v[12:13], v[3:4]
	;; [unrolled: 1-line block ×4, first 2 shown]
	s_waitcnt vmcnt(2)
	v_add_f64 v[1:2], v[44:45], -v[1:2]
	s_waitcnt vmcnt(0)
	v_add_f64 v[3:4], v[54:55], -v[3:4]
	buffer_store_dword v2, off, s[0:3], 0 offset:564
	buffer_store_dword v1, off, s[0:3], 0 offset:560
	;; [unrolled: 1-line block ×4, first 2 shown]
	v_cmpx_lt_u32_e32 33, v0
	s_cbranch_execz .LBB60_325
; %bb.324:
	v_mov_b32_e32 v4, s42
	v_mov_b32_e32 v5, 0
	s_clause 0x3
	buffer_load_dword v1, v4, s[0:3], 0 offen
	buffer_load_dword v2, v4, s[0:3], 0 offen offset:4
	buffer_load_dword v3, v4, s[0:3], 0 offen offset:8
	;; [unrolled: 1-line block ×3, first 2 shown]
	buffer_store_dword v5, off, s[0:3], 0 offset:544
	buffer_store_dword v5, off, s[0:3], 0 offset:548
	;; [unrolled: 1-line block ×4, first 2 shown]
	s_waitcnt vmcnt(0)
	ds_write_b128 v69, v[1:4]
.LBB60_325:
	s_or_b32 exec_lo, exec_lo, s4
	s_waitcnt lgkmcnt(0)
	s_waitcnt_vscnt null, 0x0
	s_barrier
	buffer_gl0_inv
	s_clause 0x37
	buffer_load_dword v10, off, s[0:3], 0 offset:568
	buffer_load_dword v11, off, s[0:3], 0 offset:572
	;; [unrolled: 1-line block ×56, first 2 shown]
	v_mov_b32_e32 v1, 0
	s_mov_b32 s4, exec_lo
	ds_read_b128 v[2:5], v1 offset:1520
	s_clause 0x2
	buffer_load_dword v67, off, s[0:3], 0 offset:796
	buffer_load_dword v73, off, s[0:3], 0 offset:772
	;; [unrolled: 1-line block ×3, first 2 shown]
	ds_read_b128 v[6:9], v1 offset:1536
	s_clause 0x4
	buffer_load_dword v96, off, s[0:3], 0 offset:812
	buffer_load_dword v97, off, s[0:3], 0 offset:824
	;; [unrolled: 1-line block ×5, first 2 shown]
	s_waitcnt vmcnt(62) lgkmcnt(1)
	v_mul_f64 v[74:75], v[4:5], v[10:11]
	v_mul_f64 v[93:94], v[2:3], v[10:11]
	s_waitcnt vmcnt(60) lgkmcnt(0)
	v_mul_f64 v[109:110], v[8:9], v[14:15]
	ds_read_b128 v[10:13], v1 offset:1552
	v_mul_f64 v[14:15], v[6:7], v[14:15]
	s_waitcnt vmcnt(58)
	v_fma_f64 v[74:75], v[2:3], v[16:17], -v[74:75]
	v_fma_f64 v[16:17], v[4:5], v[16:17], v[93:94]
	s_clause 0x2
	buffer_load_dword v98, off, s[0:3], 0 offset:828
	buffer_load_dword v94, off, s[0:3], 0 offset:804
	;; [unrolled: 1-line block ×3, first 2 shown]
	s_waitcnt vmcnt(59) lgkmcnt(0)
	v_mul_f64 v[111:112], v[10:11], v[18:19]
	v_mul_f64 v[18:19], v[12:13], v[18:19]
	s_waitcnt vmcnt(57)
	v_fma_f64 v[109:110], v[6:7], v[20:21], -v[109:110]
	ds_read_b128 v[2:5], v1 offset:1568
	v_fma_f64 v[14:15], v[8:9], v[20:21], v[14:15]
	s_clause 0x4
	buffer_load_dword v21, off, s[0:3], 0 offset:844
	buffer_load_dword v117, off, s[0:3], 0 offset:856
	;; [unrolled: 1-line block ×5, first 2 shown]
	ds_read_b128 v[6:9], v1 offset:1584
	v_add_f64 v[74:75], v[74:75], 0
	v_add_f64 v[16:17], v[16:17], 0
	s_waitcnt vmcnt(58) lgkmcnt(1)
	v_mul_f64 v[129:130], v[2:3], v[22:23]
	v_mul_f64 v[22:23], v[4:5], v[22:23]
	s_waitcnt vmcnt(56)
	v_fma_f64 v[18:19], v[10:11], v[28:29], -v[18:19]
	v_fma_f64 v[28:29], v[12:13], v[28:29], v[111:112]
	v_add_f64 v[74:75], v[74:75], v[109:110]
	v_add_f64 v[14:15], v[16:17], v[14:15]
	s_clause 0x2
	buffer_load_dword v118, off, s[0:3], 0 offset:860
	buffer_load_dword v17, off, s[0:3], 0 offset:836
	;; [unrolled: 1-line block ×3, first 2 shown]
	s_waitcnt vmcnt(58) lgkmcnt(0)
	v_mul_f64 v[109:110], v[6:7], v[24:25]
	v_mul_f64 v[24:25], v[8:9], v[24:25]
	s_waitcnt vmcnt(56)
	v_fma_f64 v[22:23], v[2:3], v[30:31], -v[22:23]
	ds_read_b128 v[10:13], v1 offset:1600
	v_fma_f64 v[30:31], v[4:5], v[30:31], v[129:130]
	v_add_f64 v[18:19], v[74:75], v[18:19]
	v_add_f64 v[14:15], v[14:15], v[28:29]
	s_clause 0x4
	buffer_load_dword v29, off, s[0:3], 0 offset:876
	buffer_load_dword v74, off, s[0:3], 0 offset:888
	;; [unrolled: 1-line block ×5, first 2 shown]
	ds_read_b128 v[2:5], v1 offset:1616
	s_waitcnt vmcnt(57) lgkmcnt(1)
	v_mul_f64 v[129:130], v[10:11], v[32:33]
	v_mul_f64 v[32:33], v[12:13], v[32:33]
	s_waitcnt vmcnt(56)
	v_fma_f64 v[24:25], v[6:7], v[26:27], -v[24:25]
	v_add_f64 v[18:19], v[18:19], v[22:23]
	v_fma_f64 v[22:23], v[8:9], v[26:27], v[109:110]
	v_add_f64 v[14:15], v[14:15], v[30:31]
	s_clause 0x2
	buffer_load_dword v75, off, s[0:3], 0 offset:892
	buffer_load_dword v27, off, s[0:3], 0 offset:868
	;; [unrolled: 1-line block ×3, first 2 shown]
	s_waitcnt vmcnt(58) lgkmcnt(0)
	v_mul_f64 v[30:31], v[2:3], v[34:35]
	v_mul_f64 v[34:35], v[4:5], v[34:35]
	s_waitcnt vmcnt(56)
	v_fma_f64 v[32:33], v[10:11], v[38:39], -v[32:33]
	ds_read_b128 v[6:9], v1 offset:1632
	v_add_f64 v[18:19], v[18:19], v[24:25]
	v_fma_f64 v[24:25], v[12:13], v[38:39], v[129:130]
	v_add_f64 v[14:15], v[14:15], v[22:23]
	s_clause 0x4
	buffer_load_dword v23, off, s[0:3], 0 offset:908
	buffer_load_dword v38, off, s[0:3], 0 offset:920
	;; [unrolled: 1-line block ×5, first 2 shown]
	ds_read_b128 v[10:13], v1 offset:1648
	s_waitcnt vmcnt(57) lgkmcnt(1)
	v_mul_f64 v[129:130], v[6:7], v[40:41]
	v_mul_f64 v[40:41], v[8:9], v[40:41]
	s_waitcnt vmcnt(56)
	v_fma_f64 v[34:35], v[2:3], v[36:37], -v[34:35]
	v_fma_f64 v[30:31], v[4:5], v[36:37], v[30:31]
	v_add_f64 v[18:19], v[18:19], v[32:33]
	v_add_f64 v[14:15], v[14:15], v[24:25]
	s_clause 0x2
	buffer_load_dword v39, off, s[0:3], 0 offset:924
	buffer_load_dword v25, off, s[0:3], 0 offset:900
	;; [unrolled: 1-line block ×3, first 2 shown]
	s_waitcnt vmcnt(58) lgkmcnt(0)
	v_mul_f64 v[36:37], v[12:13], v[42:43]
	ds_read_b128 v[2:5], v1 offset:1664
	s_waitcnt vmcnt(56)
	v_fma_f64 v[40:41], v[6:7], v[46:47], -v[40:41]
	v_mul_f64 v[32:33], v[10:11], v[42:43]
	v_add_f64 v[18:19], v[18:19], v[34:35]
	v_fma_f64 v[34:35], v[8:9], v[46:47], v[129:130]
	v_add_f64 v[14:15], v[14:15], v[30:31]
	s_clause 0x4
	buffer_load_dword v31, off, s[0:3], 0 offset:940
	buffer_load_dword v42, off, s[0:3], 0 offset:952
	;; [unrolled: 1-line block ×5, first 2 shown]
	s_waitcnt vmcnt(57) lgkmcnt(0)
	v_mul_f64 v[129:130], v[2:3], v[48:49]
	v_mul_f64 v[47:48], v[4:5], v[48:49]
	s_waitcnt vmcnt(56)
	v_fma_f64 v[36:37], v[10:11], v[44:45], -v[36:37]
	ds_read_b128 v[6:9], v1 offset:1680
	v_fma_f64 v[32:33], v[12:13], v[44:45], v[32:33]
	v_add_f64 v[18:19], v[18:19], v[40:41]
	v_add_f64 v[14:15], v[14:15], v[34:35]
	s_clause 0x2
	buffer_load_dword v43, off, s[0:3], 0 offset:956
	buffer_load_dword v35, off, s[0:3], 0 offset:932
	;; [unrolled: 1-line block ×3, first 2 shown]
	ds_read_b128 v[10:13], v1 offset:1696
	s_waitcnt vmcnt(58) lgkmcnt(1)
	v_mul_f64 v[44:45], v[8:9], v[50:51]
	s_waitcnt vmcnt(56)
	v_fma_f64 v[48:49], v[2:3], v[54:55], -v[47:48]
	v_mul_f64 v[40:41], v[6:7], v[50:51]
	v_add_f64 v[18:19], v[18:19], v[36:37]
	v_fma_f64 v[36:37], v[4:5], v[54:55], v[129:130]
	v_add_f64 v[14:15], v[14:15], v[32:33]
	s_clause 0x4
	buffer_load_dword v33, off, s[0:3], 0 offset:972
	buffer_load_dword v50, off, s[0:3], 0 offset:984
	;; [unrolled: 1-line block ×5, first 2 shown]
	s_waitcnt vmcnt(57) lgkmcnt(0)
	v_mul_f64 v[129:130], v[10:11], v[56:57]
	v_mul_f64 v[55:56], v[12:13], v[56:57]
	s_waitcnt vmcnt(56)
	v_fma_f64 v[44:45], v[6:7], v[52:53], -v[44:45]
	ds_read_b128 v[2:5], v1 offset:1712
	v_fma_f64 v[40:41], v[8:9], v[52:53], v[40:41]
	v_add_f64 v[18:19], v[18:19], v[48:49]
	v_add_f64 v[14:15], v[14:15], v[36:37]
	s_clause 0x2
	buffer_load_dword v51, off, s[0:3], 0 offset:988
	buffer_load_dword v37, off, s[0:3], 0 offset:964
	;; [unrolled: 1-line block ×3, first 2 shown]
	ds_read_b128 v[6:9], v1 offset:1728
	s_waitcnt vmcnt(58) lgkmcnt(1)
	v_mul_f64 v[52:53], v[4:5], v[58:59]
	s_waitcnt vmcnt(56)
	v_fma_f64 v[56:57], v[10:11], v[62:63], -v[55:56]
	v_mul_f64 v[48:49], v[2:3], v[58:59]
	buffer_load_dword v55, off, s[0:3], 0 offset:980
	v_add_f64 v[18:19], v[18:19], v[44:45]
	v_fma_f64 v[44:45], v[12:13], v[62:63], v[129:130]
	v_add_f64 v[14:15], v[14:15], v[40:41]
	ds_read_b128 v[10:13], v1 offset:1744
	s_waitcnt vmcnt(53) lgkmcnt(1)
	v_mul_f64 v[58:59], v[8:9], v[64:65]
	s_waitcnt vmcnt(52)
	v_fma_f64 v[52:53], v[2:3], v[60:61], -v[52:53]
	v_mul_f64 v[40:41], v[6:7], v[64:65]
	v_fma_f64 v[48:49], v[4:5], v[60:61], v[48:49]
	ds_read_b128 v[2:5], v1 offset:1760
	v_add_f64 v[18:19], v[18:19], v[56:57]
	s_waitcnt vmcnt(51) lgkmcnt(1)
	v_mul_f64 v[56:57], v[12:13], v[66:67]
	v_add_f64 v[14:15], v[14:15], v[44:45]
	v_mul_f64 v[44:45], v[10:11], v[66:67]
	s_waitcnt vmcnt(49)
	v_fma_f64 v[58:59], v[6:7], v[72:73], -v[58:59]
	v_fma_f64 v[40:41], v[8:9], v[72:73], v[40:41]
	s_waitcnt vmcnt(45) lgkmcnt(0)
	v_mul_f64 v[62:63], v[4:5], v[95:96]
	v_mul_f64 v[60:61], v[2:3], v[95:96]
	v_add_f64 v[18:19], v[18:19], v[52:53]
	s_waitcnt vmcnt(44)
	v_fma_f64 v[56:57], v[10:11], v[70:71], -v[56:57]
	v_add_f64 v[14:15], v[14:15], v[48:49]
	s_clause 0x3
	buffer_load_dword v48, off, s[0:3], 0 offset:544
	buffer_load_dword v49, off, s[0:3], 0 offset:548
	;; [unrolled: 1-line block ×4, first 2 shown]
	ds_read_b128 v[6:9], v1 offset:1776
	v_fma_f64 v[44:45], v[12:13], v[70:71], v[44:45]
	ds_read_b128 v[10:13], v1 offset:1792
	v_add_f64 v[18:19], v[18:19], v[58:59]
	v_add_f64 v[14:15], v[14:15], v[40:41]
	s_waitcnt vmcnt(47) lgkmcnt(1)
	v_mul_f64 v[58:59], v[8:9], v[97:98]
	v_mul_f64 v[40:41], v[6:7], v[97:98]
	s_waitcnt vmcnt(45)
	v_fma_f64 v[62:63], v[2:3], v[93:94], -v[62:63]
	v_add_f64 v[18:19], v[18:19], v[56:57]
	v_fma_f64 v[56:57], v[4:5], v[93:94], v[60:61]
	v_add_f64 v[14:15], v[14:15], v[44:45]
	s_waitcnt vmcnt(41) lgkmcnt(0)
	v_mul_f64 v[44:45], v[10:11], v[20:21]
	v_mul_f64 v[20:21], v[12:13], v[20:21]
	ds_read_b128 v[2:5], v1 offset:1808
	s_waitcnt vmcnt(40)
	v_fma_f64 v[58:59], v[6:7], v[99:100], -v[58:59]
	v_fma_f64 v[40:41], v[8:9], v[99:100], v[40:41]
	ds_read_b128 v[6:9], v1 offset:1824
	v_add_f64 v[18:19], v[18:19], v[62:63]
	v_add_f64 v[14:15], v[14:15], v[56:57]
	s_waitcnt vmcnt(39) lgkmcnt(1)
	v_mul_f64 v[60:61], v[4:5], v[117:118]
	v_mul_f64 v[56:57], v[2:3], v[117:118]
	s_waitcnt vmcnt(37)
	v_fma_f64 v[20:21], v[10:11], v[16:17], -v[20:21]
	v_fma_f64 v[16:17], v[12:13], v[16:17], v[44:45]
	ds_read_b128 v[10:13], v1 offset:1840
	v_add_f64 v[18:19], v[18:19], v[58:59]
	v_add_f64 v[14:15], v[14:15], v[40:41]
	s_waitcnt vmcnt(33) lgkmcnt(1)
	v_mul_f64 v[40:41], v[6:7], v[28:29]
	v_mul_f64 v[28:29], v[8:9], v[28:29]
	s_waitcnt vmcnt(32)
	v_fma_f64 v[44:45], v[2:3], v[119:120], -v[60:61]
	v_add_f64 v[18:19], v[18:19], v[20:21]
	v_fma_f64 v[20:21], v[4:5], v[119:120], v[56:57]
	v_add_f64 v[14:15], v[14:15], v[16:17]
	ds_read_b128 v[2:5], v1 offset:1856
	s_waitcnt vmcnt(31) lgkmcnt(1)
	v_mul_f64 v[56:57], v[12:13], v[74:75]
	v_mul_f64 v[16:17], v[10:11], v[74:75]
	s_waitcnt vmcnt(29)
	v_fma_f64 v[28:29], v[6:7], v[26:27], -v[28:29]
	v_fma_f64 v[26:27], v[8:9], v[26:27], v[40:41]
	ds_read_b128 v[6:9], v1 offset:1872
	v_add_f64 v[18:19], v[18:19], v[44:45]
	v_add_f64 v[14:15], v[14:15], v[20:21]
	s_waitcnt vmcnt(25) lgkmcnt(1)
	v_mul_f64 v[20:21], v[2:3], v[22:23]
	v_mul_f64 v[22:23], v[4:5], v[22:23]
	s_waitcnt vmcnt(24)
	v_fma_f64 v[40:41], v[10:11], v[111:112], -v[56:57]
	v_fma_f64 v[16:17], v[12:13], v[111:112], v[16:17]
	ds_read_b128 v[10:13], v1 offset:1888
	v_add_f64 v[18:19], v[18:19], v[28:29]
	v_add_f64 v[14:15], v[14:15], v[26:27]
	;; [unrolled: 9-line block ×3, first 2 shown]
	s_waitcnt vmcnt(17) lgkmcnt(1)
	v_mul_f64 v[24:25], v[12:13], v[30:31]
	s_waitcnt vmcnt(16)
	v_fma_f64 v[28:29], v[6:7], v[109:110], -v[28:29]
	v_mul_f64 v[16:17], v[10:11], v[30:31]
	v_add_f64 v[18:19], v[18:19], v[22:23]
	v_fma_f64 v[22:23], v[8:9], v[109:110], v[26:27]
	v_add_f64 v[14:15], v[14:15], v[20:21]
	ds_read_b128 v[6:9], v1 offset:1920
	s_waitcnt vmcnt(15) lgkmcnt(1)
	v_mul_f64 v[26:27], v[4:5], v[42:43]
	v_mul_f64 v[20:21], v[2:3], v[42:43]
	s_waitcnt vmcnt(13)
	v_fma_f64 v[24:25], v[10:11], v[34:35], -v[24:25]
	v_fma_f64 v[16:17], v[12:13], v[34:35], v[16:17]
	ds_read_b128 v[10:13], v1 offset:1936
	v_add_f64 v[18:19], v[18:19], v[28:29]
	v_add_f64 v[14:15], v[14:15], v[22:23]
	s_waitcnt vmcnt(9) lgkmcnt(1)
	v_mul_f64 v[28:29], v[8:9], v[32:33]
	s_waitcnt vmcnt(8)
	v_fma_f64 v[2:3], v[2:3], v[46:47], -v[26:27]
	v_mul_f64 v[22:23], v[6:7], v[32:33]
	v_fma_f64 v[4:5], v[4:5], v[46:47], v[20:21]
	v_add_f64 v[18:19], v[18:19], v[24:25]
	v_add_f64 v[14:15], v[14:15], v[16:17]
	s_waitcnt vmcnt(7) lgkmcnt(0)
	v_mul_f64 v[20:21], v[12:13], v[50:51]
	v_mul_f64 v[16:17], v[10:11], v[50:51]
	s_waitcnt vmcnt(5)
	v_fma_f64 v[6:7], v[6:7], v[36:37], -v[28:29]
	v_fma_f64 v[8:9], v[8:9], v[36:37], v[22:23]
	v_add_f64 v[2:3], v[18:19], v[2:3]
	v_add_f64 v[4:5], v[14:15], v[4:5]
	s_waitcnt vmcnt(4)
	v_fma_f64 v[10:11], v[10:11], v[54:55], -v[20:21]
	v_add_f64 v[2:3], v[2:3], v[6:7]
	v_fma_f64 v[6:7], v[12:13], v[54:55], v[16:17]
	v_add_f64 v[4:5], v[4:5], v[8:9]
	v_add_f64 v[2:3], v[2:3], v[10:11]
	;; [unrolled: 1-line block ×3, first 2 shown]
	s_waitcnt vmcnt(2)
	v_add_f64 v[2:3], v[48:49], -v[2:3]
	s_waitcnt vmcnt(0)
	v_add_f64 v[4:5], v[52:53], -v[4:5]
	buffer_store_dword v3, off, s[0:3], 0 offset:548
	buffer_store_dword v2, off, s[0:3], 0 offset:544
	;; [unrolled: 1-line block ×4, first 2 shown]
	v_cmpx_lt_u32_e32 32, v0
	s_cbranch_execz .LBB60_327
; %bb.326:
	v_mov_b32_e32 v5, s43
	s_clause 0x3
	buffer_load_dword v2, v5, s[0:3], 0 offen
	buffer_load_dword v3, v5, s[0:3], 0 offen offset:4
	buffer_load_dword v4, v5, s[0:3], 0 offen offset:8
	;; [unrolled: 1-line block ×3, first 2 shown]
	buffer_store_dword v1, off, s[0:3], 0 offset:528
	buffer_store_dword v1, off, s[0:3], 0 offset:532
	;; [unrolled: 1-line block ×4, first 2 shown]
	s_waitcnt vmcnt(0)
	ds_write_b128 v69, v[2:5]
.LBB60_327:
	s_or_b32 exec_lo, exec_lo, s4
	s_waitcnt lgkmcnt(0)
	s_waitcnt_vscnt null, 0x0
	s_barrier
	buffer_gl0_inv
	s_clause 0x37
	buffer_load_dword v10, off, s[0:3], 0 offset:552
	buffer_load_dword v11, off, s[0:3], 0 offset:556
	buffer_load_dword v14, off, s[0:3], 0 offset:568
	buffer_load_dword v15, off, s[0:3], 0 offset:572
	buffer_load_dword v16, off, s[0:3], 0 offset:544
	buffer_load_dword v17, off, s[0:3], 0 offset:548
	buffer_load_dword v18, off, s[0:3], 0 offset:584
	buffer_load_dword v19, off, s[0:3], 0 offset:588
	buffer_load_dword v20, off, s[0:3], 0 offset:560
	buffer_load_dword v21, off, s[0:3], 0 offset:564
	buffer_load_dword v23, off, s[0:3], 0 offset:604
	buffer_load_dword v24, off, s[0:3], 0 offset:616
	buffer_load_dword v26, off, s[0:3], 0 offset:608
	buffer_load_dword v22, off, s[0:3], 0 offset:600
	buffer_load_dword v28, off, s[0:3], 0 offset:576
	buffer_load_dword v29, off, s[0:3], 0 offset:580
	buffer_load_dword v25, off, s[0:3], 0 offset:620
	buffer_load_dword v31, off, s[0:3], 0 offset:596
	buffer_load_dword v30, off, s[0:3], 0 offset:592
	buffer_load_dword v33, off, s[0:3], 0 offset:636
	buffer_load_dword v34, off, s[0:3], 0 offset:648
	buffer_load_dword v36, off, s[0:3], 0 offset:640
	buffer_load_dword v32, off, s[0:3], 0 offset:632
	buffer_load_dword v27, off, s[0:3], 0 offset:612
	buffer_load_dword v35, off, s[0:3], 0 offset:652
	buffer_load_dword v39, off, s[0:3], 0 offset:628
	buffer_load_dword v38, off, s[0:3], 0 offset:624
	buffer_load_dword v41, off, s[0:3], 0 offset:668
	buffer_load_dword v42, off, s[0:3], 0 offset:680
	buffer_load_dword v44, off, s[0:3], 0 offset:672
	buffer_load_dword v40, off, s[0:3], 0 offset:664
	buffer_load_dword v37, off, s[0:3], 0 offset:644
	buffer_load_dword v43, off, s[0:3], 0 offset:684
	buffer_load_dword v47, off, s[0:3], 0 offset:660
	buffer_load_dword v46, off, s[0:3], 0 offset:656
	buffer_load_dword v49, off, s[0:3], 0 offset:700
	buffer_load_dword v50, off, s[0:3], 0 offset:712
	buffer_load_dword v52, off, s[0:3], 0 offset:704
	buffer_load_dword v48, off, s[0:3], 0 offset:696
	buffer_load_dword v45, off, s[0:3], 0 offset:676
	buffer_load_dword v51, off, s[0:3], 0 offset:716
	buffer_load_dword v55, off, s[0:3], 0 offset:692
	buffer_load_dword v54, off, s[0:3], 0 offset:688
	buffer_load_dword v57, off, s[0:3], 0 offset:732
	buffer_load_dword v58, off, s[0:3], 0 offset:744
	buffer_load_dword v60, off, s[0:3], 0 offset:736
	buffer_load_dword v56, off, s[0:3], 0 offset:728
	buffer_load_dword v53, off, s[0:3], 0 offset:708
	buffer_load_dword v59, off, s[0:3], 0 offset:748
	buffer_load_dword v63, off, s[0:3], 0 offset:724
	buffer_load_dword v62, off, s[0:3], 0 offset:720
	buffer_load_dword v65, off, s[0:3], 0 offset:764
	buffer_load_dword v66, off, s[0:3], 0 offset:776
	buffer_load_dword v70, off, s[0:3], 0 offset:768
	buffer_load_dword v64, off, s[0:3], 0 offset:760
	buffer_load_dword v61, off, s[0:3], 0 offset:740
	ds_read_b128 v[2:5], v1 offset:1504
	s_clause 0x2
	buffer_load_dword v67, off, s[0:3], 0 offset:780
	buffer_load_dword v73, off, s[0:3], 0 offset:756
	;; [unrolled: 1-line block ×3, first 2 shown]
	ds_read_b128 v[6:9], v1 offset:1520
	s_clause 0x4
	buffer_load_dword v96, off, s[0:3], 0 offset:796
	buffer_load_dword v97, off, s[0:3], 0 offset:808
	;; [unrolled: 1-line block ×5, first 2 shown]
	s_mov_b32 s4, exec_lo
	s_waitcnt vmcnt(62) lgkmcnt(1)
	v_mul_f64 v[74:75], v[4:5], v[10:11]
	v_mul_f64 v[93:94], v[2:3], v[10:11]
	s_waitcnt vmcnt(60) lgkmcnt(0)
	v_mul_f64 v[109:110], v[8:9], v[14:15]
	ds_read_b128 v[10:13], v1 offset:1536
	v_mul_f64 v[14:15], v[6:7], v[14:15]
	s_waitcnt vmcnt(58)
	v_fma_f64 v[74:75], v[2:3], v[16:17], -v[74:75]
	v_fma_f64 v[16:17], v[4:5], v[16:17], v[93:94]
	s_clause 0x2
	buffer_load_dword v98, off, s[0:3], 0 offset:812
	buffer_load_dword v94, off, s[0:3], 0 offset:788
	;; [unrolled: 1-line block ×3, first 2 shown]
	s_waitcnt vmcnt(59) lgkmcnt(0)
	v_mul_f64 v[111:112], v[10:11], v[18:19]
	v_mul_f64 v[18:19], v[12:13], v[18:19]
	s_waitcnt vmcnt(57)
	v_fma_f64 v[109:110], v[6:7], v[20:21], -v[109:110]
	ds_read_b128 v[2:5], v1 offset:1552
	v_fma_f64 v[14:15], v[8:9], v[20:21], v[14:15]
	s_clause 0x4
	buffer_load_dword v21, off, s[0:3], 0 offset:828
	buffer_load_dword v117, off, s[0:3], 0 offset:840
	;; [unrolled: 1-line block ×5, first 2 shown]
	ds_read_b128 v[6:9], v1 offset:1568
	v_add_f64 v[74:75], v[74:75], 0
	v_add_f64 v[16:17], v[16:17], 0
	s_waitcnt vmcnt(58) lgkmcnt(1)
	v_mul_f64 v[129:130], v[2:3], v[22:23]
	v_mul_f64 v[22:23], v[4:5], v[22:23]
	s_waitcnt vmcnt(56)
	v_fma_f64 v[18:19], v[10:11], v[28:29], -v[18:19]
	v_fma_f64 v[28:29], v[12:13], v[28:29], v[111:112]
	v_add_f64 v[74:75], v[74:75], v[109:110]
	v_add_f64 v[14:15], v[16:17], v[14:15]
	s_clause 0x2
	buffer_load_dword v118, off, s[0:3], 0 offset:844
	buffer_load_dword v17, off, s[0:3], 0 offset:820
	;; [unrolled: 1-line block ×3, first 2 shown]
	s_waitcnt vmcnt(58) lgkmcnt(0)
	v_mul_f64 v[109:110], v[6:7], v[24:25]
	v_mul_f64 v[24:25], v[8:9], v[24:25]
	s_waitcnt vmcnt(56)
	v_fma_f64 v[22:23], v[2:3], v[30:31], -v[22:23]
	ds_read_b128 v[10:13], v1 offset:1584
	v_fma_f64 v[30:31], v[4:5], v[30:31], v[129:130]
	v_add_f64 v[18:19], v[74:75], v[18:19]
	v_add_f64 v[14:15], v[14:15], v[28:29]
	s_clause 0x4
	buffer_load_dword v29, off, s[0:3], 0 offset:860
	buffer_load_dword v74, off, s[0:3], 0 offset:872
	;; [unrolled: 1-line block ×5, first 2 shown]
	ds_read_b128 v[2:5], v1 offset:1600
	s_waitcnt vmcnt(57) lgkmcnt(1)
	v_mul_f64 v[129:130], v[10:11], v[32:33]
	v_mul_f64 v[32:33], v[12:13], v[32:33]
	s_waitcnt vmcnt(56)
	v_fma_f64 v[24:25], v[6:7], v[26:27], -v[24:25]
	v_add_f64 v[18:19], v[18:19], v[22:23]
	v_fma_f64 v[22:23], v[8:9], v[26:27], v[109:110]
	v_add_f64 v[14:15], v[14:15], v[30:31]
	s_clause 0x2
	buffer_load_dword v75, off, s[0:3], 0 offset:876
	buffer_load_dword v27, off, s[0:3], 0 offset:852
	;; [unrolled: 1-line block ×3, first 2 shown]
	s_waitcnt vmcnt(58) lgkmcnt(0)
	v_mul_f64 v[30:31], v[2:3], v[34:35]
	v_mul_f64 v[34:35], v[4:5], v[34:35]
	s_waitcnt vmcnt(56)
	v_fma_f64 v[32:33], v[10:11], v[38:39], -v[32:33]
	ds_read_b128 v[6:9], v1 offset:1616
	v_add_f64 v[18:19], v[18:19], v[24:25]
	v_fma_f64 v[24:25], v[12:13], v[38:39], v[129:130]
	v_add_f64 v[14:15], v[14:15], v[22:23]
	s_clause 0x4
	buffer_load_dword v23, off, s[0:3], 0 offset:892
	buffer_load_dword v38, off, s[0:3], 0 offset:904
	;; [unrolled: 1-line block ×5, first 2 shown]
	ds_read_b128 v[10:13], v1 offset:1632
	s_waitcnt vmcnt(57) lgkmcnt(1)
	v_mul_f64 v[129:130], v[6:7], v[40:41]
	v_mul_f64 v[40:41], v[8:9], v[40:41]
	s_waitcnt vmcnt(56)
	v_fma_f64 v[34:35], v[2:3], v[36:37], -v[34:35]
	v_fma_f64 v[30:31], v[4:5], v[36:37], v[30:31]
	v_add_f64 v[18:19], v[18:19], v[32:33]
	v_add_f64 v[14:15], v[14:15], v[24:25]
	s_clause 0x2
	buffer_load_dword v39, off, s[0:3], 0 offset:908
	buffer_load_dword v25, off, s[0:3], 0 offset:884
	;; [unrolled: 1-line block ×3, first 2 shown]
	s_waitcnt vmcnt(58) lgkmcnt(0)
	v_mul_f64 v[36:37], v[12:13], v[42:43]
	ds_read_b128 v[2:5], v1 offset:1648
	s_waitcnt vmcnt(56)
	v_fma_f64 v[40:41], v[6:7], v[46:47], -v[40:41]
	v_mul_f64 v[32:33], v[10:11], v[42:43]
	v_add_f64 v[18:19], v[18:19], v[34:35]
	v_fma_f64 v[34:35], v[8:9], v[46:47], v[129:130]
	v_add_f64 v[14:15], v[14:15], v[30:31]
	s_clause 0x4
	buffer_load_dword v31, off, s[0:3], 0 offset:924
	buffer_load_dword v42, off, s[0:3], 0 offset:936
	;; [unrolled: 1-line block ×5, first 2 shown]
	s_waitcnt vmcnt(57) lgkmcnt(0)
	v_mul_f64 v[129:130], v[2:3], v[48:49]
	v_mul_f64 v[47:48], v[4:5], v[48:49]
	s_waitcnt vmcnt(56)
	v_fma_f64 v[36:37], v[10:11], v[44:45], -v[36:37]
	ds_read_b128 v[6:9], v1 offset:1664
	v_fma_f64 v[32:33], v[12:13], v[44:45], v[32:33]
	v_add_f64 v[18:19], v[18:19], v[40:41]
	v_add_f64 v[14:15], v[14:15], v[34:35]
	s_clause 0x2
	buffer_load_dword v43, off, s[0:3], 0 offset:940
	buffer_load_dword v35, off, s[0:3], 0 offset:916
	;; [unrolled: 1-line block ×3, first 2 shown]
	ds_read_b128 v[10:13], v1 offset:1680
	s_waitcnt vmcnt(58) lgkmcnt(1)
	v_mul_f64 v[44:45], v[8:9], v[50:51]
	s_waitcnt vmcnt(56)
	v_fma_f64 v[48:49], v[2:3], v[54:55], -v[47:48]
	v_mul_f64 v[40:41], v[6:7], v[50:51]
	v_add_f64 v[18:19], v[18:19], v[36:37]
	v_fma_f64 v[36:37], v[4:5], v[54:55], v[129:130]
	v_add_f64 v[14:15], v[14:15], v[32:33]
	s_clause 0x4
	buffer_load_dword v33, off, s[0:3], 0 offset:956
	buffer_load_dword v50, off, s[0:3], 0 offset:968
	;; [unrolled: 1-line block ×5, first 2 shown]
	s_waitcnt vmcnt(57) lgkmcnt(0)
	v_mul_f64 v[129:130], v[10:11], v[56:57]
	v_mul_f64 v[55:56], v[12:13], v[56:57]
	s_waitcnt vmcnt(56)
	v_fma_f64 v[44:45], v[6:7], v[52:53], -v[44:45]
	ds_read_b128 v[2:5], v1 offset:1696
	v_fma_f64 v[40:41], v[8:9], v[52:53], v[40:41]
	v_add_f64 v[18:19], v[18:19], v[48:49]
	v_add_f64 v[14:15], v[14:15], v[36:37]
	s_clause 0x2
	buffer_load_dword v51, off, s[0:3], 0 offset:972
	buffer_load_dword v37, off, s[0:3], 0 offset:948
	;; [unrolled: 1-line block ×3, first 2 shown]
	ds_read_b128 v[6:9], v1 offset:1712
	s_waitcnt vmcnt(58) lgkmcnt(1)
	v_mul_f64 v[52:53], v[4:5], v[58:59]
	s_waitcnt vmcnt(56)
	v_fma_f64 v[56:57], v[10:11], v[62:63], -v[55:56]
	v_mul_f64 v[48:49], v[2:3], v[58:59]
	v_add_f64 v[18:19], v[18:19], v[44:45]
	v_fma_f64 v[44:45], v[12:13], v[62:63], v[129:130]
	v_add_f64 v[14:15], v[14:15], v[40:41]
	s_clause 0x2
	buffer_load_dword v41, off, s[0:3], 0 offset:988
	buffer_load_dword v40, off, s[0:3], 0 offset:984
	;; [unrolled: 1-line block ×3, first 2 shown]
	s_waitcnt vmcnt(55) lgkmcnt(0)
	v_mul_f64 v[62:63], v[8:9], v[64:65]
	s_waitcnt vmcnt(54)
	v_fma_f64 v[52:53], v[2:3], v[60:61], -v[52:53]
	ds_read_b128 v[10:13], v1 offset:1728
	v_mul_f64 v[58:59], v[6:7], v[64:65]
	v_fma_f64 v[48:49], v[4:5], v[60:61], v[48:49]
	v_add_f64 v[18:19], v[18:19], v[56:57]
	v_add_f64 v[14:15], v[14:15], v[44:45]
	s_clause 0x1
	buffer_load_dword v45, off, s[0:3], 0 offset:980
	buffer_load_dword v44, off, s[0:3], 0 offset:976
	s_waitcnt vmcnt(55) lgkmcnt(0)
	v_mul_f64 v[60:61], v[12:13], v[66:67]
	s_waitcnt vmcnt(53)
	v_fma_f64 v[62:63], v[6:7], v[72:73], -v[62:63]
	ds_read_b128 v[2:5], v1 offset:1744
	v_mul_f64 v[56:57], v[10:11], v[66:67]
	v_add_f64 v[18:19], v[18:19], v[52:53]
	v_fma_f64 v[52:53], v[8:9], v[72:73], v[58:59]
	v_add_f64 v[14:15], v[14:15], v[48:49]
	ds_read_b128 v[6:9], v1 offset:1760
	s_waitcnt vmcnt(49) lgkmcnt(1)
	v_mul_f64 v[58:59], v[4:5], v[95:96]
	s_waitcnt vmcnt(48)
	v_fma_f64 v[60:61], v[10:11], v[70:71], -v[60:61]
	v_mul_f64 v[48:49], v[2:3], v[95:96]
	v_fma_f64 v[56:57], v[12:13], v[70:71], v[56:57]
	v_add_f64 v[18:19], v[18:19], v[62:63]
	v_add_f64 v[14:15], v[14:15], v[52:53]
	s_clause 0x3
	buffer_load_dword v52, off, s[0:3], 0 offset:528
	buffer_load_dword v53, off, s[0:3], 0 offset:532
	;; [unrolled: 1-line block ×4, first 2 shown]
	ds_read_b128 v[10:13], v1 offset:1776
	s_waitcnt vmcnt(51) lgkmcnt(1)
	v_mul_f64 v[66:67], v[8:9], v[97:98]
	v_mul_f64 v[64:65], v[6:7], v[97:98]
	s_waitcnt vmcnt(49)
	v_fma_f64 v[58:59], v[2:3], v[93:94], -v[58:59]
	v_fma_f64 v[48:49], v[4:5], v[93:94], v[48:49]
	ds_read_b128 v[2:5], v1 offset:1792
	v_add_f64 v[18:19], v[18:19], v[60:61]
	v_add_f64 v[14:15], v[14:15], v[56:57]
	s_waitcnt vmcnt(45) lgkmcnt(1)
	v_mul_f64 v[56:57], v[10:11], v[20:21]
	v_mul_f64 v[20:21], v[12:13], v[20:21]
	s_waitcnt vmcnt(44)
	v_fma_f64 v[60:61], v[6:7], v[99:100], -v[66:67]
	v_add_f64 v[18:19], v[18:19], v[58:59]
	v_fma_f64 v[58:59], v[8:9], v[99:100], v[64:65]
	v_add_f64 v[14:15], v[14:15], v[48:49]
	ds_read_b128 v[6:9], v1 offset:1808
	s_waitcnt vmcnt(43) lgkmcnt(1)
	v_mul_f64 v[64:65], v[4:5], v[117:118]
	v_mul_f64 v[48:49], v[2:3], v[117:118]
	s_waitcnt vmcnt(41)
	v_fma_f64 v[20:21], v[10:11], v[16:17], -v[20:21]
	v_fma_f64 v[16:17], v[12:13], v[16:17], v[56:57]
	ds_read_b128 v[10:13], v1 offset:1824
	v_add_f64 v[18:19], v[18:19], v[60:61]
	v_add_f64 v[14:15], v[14:15], v[58:59]
	s_waitcnt vmcnt(37) lgkmcnt(1)
	v_mul_f64 v[56:57], v[6:7], v[28:29]
	v_mul_f64 v[28:29], v[8:9], v[28:29]
	s_waitcnt vmcnt(36)
	v_fma_f64 v[58:59], v[2:3], v[119:120], -v[64:65]
	v_add_f64 v[18:19], v[18:19], v[20:21]
	v_fma_f64 v[20:21], v[4:5], v[119:120], v[48:49]
	v_add_f64 v[14:15], v[14:15], v[16:17]
	ds_read_b128 v[2:5], v1 offset:1840
	s_waitcnt vmcnt(35) lgkmcnt(1)
	v_mul_f64 v[48:49], v[12:13], v[74:75]
	v_mul_f64 v[16:17], v[10:11], v[74:75]
	s_waitcnt vmcnt(33)
	v_fma_f64 v[28:29], v[6:7], v[26:27], -v[28:29]
	v_fma_f64 v[26:27], v[8:9], v[26:27], v[56:57]
	ds_read_b128 v[6:9], v1 offset:1856
	v_add_f64 v[18:19], v[18:19], v[58:59]
	v_add_f64 v[14:15], v[14:15], v[20:21]
	s_waitcnt vmcnt(29) lgkmcnt(1)
	v_mul_f64 v[20:21], v[2:3], v[22:23]
	v_mul_f64 v[22:23], v[4:5], v[22:23]
	s_waitcnt vmcnt(28)
	v_fma_f64 v[48:49], v[10:11], v[111:112], -v[48:49]
	v_fma_f64 v[16:17], v[12:13], v[111:112], v[16:17]
	ds_read_b128 v[10:13], v1 offset:1872
	v_add_f64 v[18:19], v[18:19], v[28:29]
	v_add_f64 v[14:15], v[14:15], v[26:27]
	s_waitcnt vmcnt(27) lgkmcnt(1)
	v_mul_f64 v[28:29], v[8:9], v[38:39]
	v_mul_f64 v[26:27], v[6:7], v[38:39]
	s_waitcnt vmcnt(25)
	v_fma_f64 v[22:23], v[2:3], v[24:25], -v[22:23]
	v_fma_f64 v[20:21], v[4:5], v[24:25], v[20:21]
	ds_read_b128 v[2:5], v1 offset:1888
	v_add_f64 v[18:19], v[18:19], v[48:49]
	v_add_f64 v[14:15], v[14:15], v[16:17]
	s_waitcnt vmcnt(21) lgkmcnt(1)
	v_mul_f64 v[24:25], v[12:13], v[30:31]
	s_waitcnt vmcnt(20)
	v_fma_f64 v[28:29], v[6:7], v[109:110], -v[28:29]
	v_mul_f64 v[16:17], v[10:11], v[30:31]
	v_add_f64 v[18:19], v[18:19], v[22:23]
	v_fma_f64 v[22:23], v[8:9], v[109:110], v[26:27]
	v_add_f64 v[14:15], v[14:15], v[20:21]
	ds_read_b128 v[6:9], v1 offset:1904
	s_waitcnt vmcnt(19) lgkmcnt(1)
	v_mul_f64 v[26:27], v[4:5], v[42:43]
	v_mul_f64 v[20:21], v[2:3], v[42:43]
	s_waitcnt vmcnt(17)
	v_fma_f64 v[24:25], v[10:11], v[34:35], -v[24:25]
	v_fma_f64 v[16:17], v[12:13], v[34:35], v[16:17]
	ds_read_b128 v[10:13], v1 offset:1920
	v_add_f64 v[18:19], v[18:19], v[28:29]
	v_add_f64 v[14:15], v[14:15], v[22:23]
	s_waitcnt vmcnt(13) lgkmcnt(1)
	v_mul_f64 v[28:29], v[8:9], v[32:33]
	s_waitcnt vmcnt(12)
	v_fma_f64 v[26:27], v[2:3], v[46:47], -v[26:27]
	v_mul_f64 v[22:23], v[6:7], v[32:33]
	v_fma_f64 v[20:21], v[4:5], v[46:47], v[20:21]
	ds_read_b128 v[1:4], v1 offset:1936
	v_add_f64 v[18:19], v[18:19], v[24:25]
	v_add_f64 v[14:15], v[14:15], v[16:17]
	s_waitcnt vmcnt(11) lgkmcnt(1)
	v_mul_f64 v[24:25], v[12:13], v[50:51]
	v_mul_f64 v[16:17], v[10:11], v[50:51]
	s_waitcnt vmcnt(9)
	v_fma_f64 v[5:6], v[6:7], v[36:37], -v[28:29]
	v_fma_f64 v[7:8], v[8:9], v[36:37], v[22:23]
	v_add_f64 v[18:19], v[18:19], v[26:27]
	v_add_f64 v[14:15], v[14:15], v[20:21]
	s_waitcnt vmcnt(7) lgkmcnt(0)
	v_mul_f64 v[22:23], v[3:4], v[40:41]
	s_waitcnt vmcnt(6)
	v_fma_f64 v[9:10], v[10:11], v[54:55], -v[24:25]
	v_mul_f64 v[20:21], v[1:2], v[40:41]
	v_fma_f64 v[11:12], v[12:13], v[54:55], v[16:17]
	v_add_f64 v[5:6], v[18:19], v[5:6]
	v_add_f64 v[7:8], v[14:15], v[7:8]
	s_waitcnt vmcnt(4)
	v_fma_f64 v[1:2], v[1:2], v[44:45], -v[22:23]
	v_fma_f64 v[3:4], v[3:4], v[44:45], v[20:21]
	v_add_f64 v[5:6], v[5:6], v[9:10]
	v_add_f64 v[7:8], v[7:8], v[11:12]
	;; [unrolled: 1-line block ×4, first 2 shown]
	s_waitcnt vmcnt(2)
	v_add_f64 v[1:2], v[52:53], -v[1:2]
	s_waitcnt vmcnt(0)
	v_add_f64 v[3:4], v[62:63], -v[3:4]
	buffer_store_dword v2, off, s[0:3], 0 offset:532
	buffer_store_dword v1, off, s[0:3], 0 offset:528
	;; [unrolled: 1-line block ×4, first 2 shown]
	v_cmpx_lt_u32_e32 31, v0
	s_cbranch_execz .LBB60_329
; %bb.328:
	v_mov_b32_e32 v4, s44
	v_mov_b32_e32 v5, 0
	s_clause 0x3
	buffer_load_dword v1, v4, s[0:3], 0 offen
	buffer_load_dword v2, v4, s[0:3], 0 offen offset:4
	buffer_load_dword v3, v4, s[0:3], 0 offen offset:8
	;; [unrolled: 1-line block ×3, first 2 shown]
	buffer_store_dword v5, off, s[0:3], 0 offset:512
	buffer_store_dword v5, off, s[0:3], 0 offset:516
	;; [unrolled: 1-line block ×4, first 2 shown]
	s_waitcnt vmcnt(0)
	ds_write_b128 v69, v[1:4]
.LBB60_329:
	s_or_b32 exec_lo, exec_lo, s4
	s_waitcnt lgkmcnt(0)
	s_waitcnt_vscnt null, 0x0
	s_barrier
	buffer_gl0_inv
	s_clause 0x37
	buffer_load_dword v9, off, s[0:3], 0 offset:536
	buffer_load_dword v10, off, s[0:3], 0 offset:540
	;; [unrolled: 1-line block ×56, first 2 shown]
	v_mov_b32_e32 v11, 0
	s_mov_b32 s4, exec_lo
	ds_read_b128 v[5:8], v11 offset:1488
	s_clause 0x2
	buffer_load_dword v71, off, s[0:3], 0 offset:764
	buffer_load_dword v75, off, s[0:3], 0 offset:740
	;; [unrolled: 1-line block ×3, first 2 shown]
	ds_read_b128 v[12:15], v11 offset:1504
	s_clause 0x4
	buffer_load_dword v96, off, s[0:3], 0 offset:780
	buffer_load_dword v97, off, s[0:3], 0 offset:792
	;; [unrolled: 1-line block ×5, first 2 shown]
	ds_read_b128 v[16:19], v11 offset:1520
	s_waitcnt vmcnt(62) lgkmcnt(2)
	v_mul_f64 v[93:94], v[7:8], v[9:10]
	v_mul_f64 v[9:10], v[5:6], v[9:10]
	s_waitcnt vmcnt(60) lgkmcnt(1)
	v_mul_f64 v[109:110], v[14:15], v[20:21]
	v_mul_f64 v[20:21], v[12:13], v[20:21]
	;; [unrolled: 3-line block ×3, first 2 shown]
	v_fma_f64 v[93:94], v[5:6], v[22:23], -v[93:94]
	v_fma_f64 v[9:10], v[7:8], v[22:23], v[9:10]
	s_clause 0x2
	buffer_load_dword v98, off, s[0:3], 0 offset:796
	buffer_load_dword v23, off, s[0:3], 0 offset:772
	;; [unrolled: 1-line block ×3, first 2 shown]
	s_waitcnt vmcnt(57)
	v_fma_f64 v[12:13], v[12:13], v[1:2], -v[109:110]
	ds_read_b128 v[5:8], v11 offset:1536
	v_fma_f64 v[14:15], v[14:15], v[1:2], v[20:21]
	s_clause 0x4
	buffer_load_dword v21, off, s[0:3], 0 offset:812
	buffer_load_dword v109, off, s[0:3], 0 offset:824
	;; [unrolled: 1-line block ×5, first 2 shown]
	s_waitcnt vmcnt(56)
	v_fma_f64 v[16:17], v[16:17], v[30:31], -v[117:118]
	ds_read_b128 v[1:4], v11 offset:1552
	v_fma_f64 v[18:19], v[18:19], v[30:31], v[111:112]
	s_clause 0x2
	buffer_load_dword v110, off, s[0:3], 0 offset:828
	buffer_load_dword v31, off, s[0:3], 0 offset:804
	;; [unrolled: 1-line block ×3, first 2 shown]
	v_add_f64 v[93:94], v[93:94], 0
	v_add_f64 v[9:10], v[9:10], 0
	s_waitcnt lgkmcnt(1)
	v_mul_f64 v[129:130], v[5:6], v[24:25]
	v_mul_f64 v[24:25], v[7:8], v[24:25]
	s_waitcnt vmcnt(58) lgkmcnt(0)
	v_mul_f64 v[111:112], v[1:2], v[26:27]
	v_mul_f64 v[26:27], v[3:4], v[26:27]
	v_add_f64 v[93:94], v[93:94], v[12:13]
	v_add_f64 v[9:10], v[9:10], v[14:15]
	ds_read_b128 v[12:15], v11 offset:1568
	s_waitcnt vmcnt(56)
	v_fma_f64 v[24:25], v[5:6], v[32:33], -v[24:25]
	v_fma_f64 v[32:33], v[7:8], v[32:33], v[129:130]
	s_waitcnt vmcnt(51)
	v_fma_f64 v[26:27], v[1:2], v[28:29], -v[26:27]
	s_waitcnt lgkmcnt(0)
	v_mul_f64 v[129:130], v[12:13], v[34:35]
	v_add_f64 v[16:17], v[93:94], v[16:17]
	v_add_f64 v[9:10], v[9:10], v[18:19]
	s_clause 0x4
	buffer_load_dword v19, off, s[0:3], 0 offset:844
	buffer_load_dword v93, off, s[0:3], 0 offset:856
	;; [unrolled: 1-line block ×5, first 2 shown]
	v_mul_f64 v[34:35], v[14:15], v[34:35]
	ds_read_b128 v[5:8], v11 offset:1584
	v_add_f64 v[16:17], v[16:17], v[24:25]
	v_fma_f64 v[24:25], v[3:4], v[28:29], v[111:112]
	v_add_f64 v[9:10], v[9:10], v[32:33]
	s_clause 0x2
	buffer_load_dword v94, off, s[0:3], 0 offset:860
	buffer_load_dword v29, off, s[0:3], 0 offset:836
	buffer_load_dword v28, off, s[0:3], 0 offset:832
	s_waitcnt vmcnt(58) lgkmcnt(0)
	v_mul_f64 v[32:33], v[5:6], v[36:37]
	v_mul_f64 v[36:37], v[7:8], v[36:37]
	s_waitcnt vmcnt(56)
	v_fma_f64 v[34:35], v[12:13], v[40:41], -v[34:35]
	ds_read_b128 v[1:4], v11 offset:1600
	v_add_f64 v[16:17], v[16:17], v[26:27]
	v_fma_f64 v[26:27], v[14:15], v[40:41], v[129:130]
	v_add_f64 v[9:10], v[9:10], v[24:25]
	s_clause 0x4
	buffer_load_dword v25, off, s[0:3], 0 offset:876
	buffer_load_dword v40, off, s[0:3], 0 offset:888
	;; [unrolled: 1-line block ×5, first 2 shown]
	ds_read_b128 v[12:15], v11 offset:1616
	s_waitcnt vmcnt(57) lgkmcnt(1)
	v_mul_f64 v[129:130], v[1:2], v[42:43]
	v_mul_f64 v[42:43], v[3:4], v[42:43]
	s_waitcnt vmcnt(56)
	v_fma_f64 v[36:37], v[5:6], v[38:39], -v[36:37]
	v_fma_f64 v[32:33], v[7:8], v[38:39], v[32:33]
	v_add_f64 v[16:17], v[16:17], v[34:35]
	v_add_f64 v[9:10], v[9:10], v[26:27]
	s_clause 0x2
	buffer_load_dword v41, off, s[0:3], 0 offset:892
	buffer_load_dword v27, off, s[0:3], 0 offset:868
	;; [unrolled: 1-line block ×3, first 2 shown]
	s_waitcnt vmcnt(58) lgkmcnt(0)
	v_mul_f64 v[38:39], v[14:15], v[44:45]
	ds_read_b128 v[5:8], v11 offset:1632
	s_waitcnt vmcnt(56)
	v_fma_f64 v[42:43], v[1:2], v[48:49], -v[42:43]
	v_mul_f64 v[34:35], v[12:13], v[44:45]
	v_add_f64 v[16:17], v[16:17], v[36:37]
	v_fma_f64 v[36:37], v[3:4], v[48:49], v[129:130]
	v_add_f64 v[9:10], v[9:10], v[32:33]
	s_clause 0x4
	buffer_load_dword v33, off, s[0:3], 0 offset:908
	buffer_load_dword v44, off, s[0:3], 0 offset:920
	buffer_load_dword v48, off, s[0:3], 0 offset:912
	buffer_load_dword v32, off, s[0:3], 0 offset:904
	buffer_load_dword v112, off, s[0:3], 0 offset:884
	s_waitcnt vmcnt(57) lgkmcnt(0)
	v_mul_f64 v[129:130], v[5:6], v[50:51]
	v_mul_f64 v[49:50], v[7:8], v[50:51]
	s_waitcnt vmcnt(56)
	v_fma_f64 v[38:39], v[12:13], v[46:47], -v[38:39]
	ds_read_b128 v[1:4], v11 offset:1648
	v_fma_f64 v[34:35], v[14:15], v[46:47], v[34:35]
	v_add_f64 v[16:17], v[16:17], v[42:43]
	v_add_f64 v[9:10], v[9:10], v[36:37]
	s_clause 0x2
	buffer_load_dword v45, off, s[0:3], 0 offset:924
	buffer_load_dword v37, off, s[0:3], 0 offset:900
	buffer_load_dword v36, off, s[0:3], 0 offset:896
	ds_read_b128 v[12:15], v11 offset:1664
	s_waitcnt vmcnt(58) lgkmcnt(1)
	v_mul_f64 v[46:47], v[3:4], v[52:53]
	s_waitcnt vmcnt(56)
	v_fma_f64 v[50:51], v[5:6], v[56:57], -v[49:50]
	v_mul_f64 v[42:43], v[1:2], v[52:53]
	v_add_f64 v[16:17], v[16:17], v[38:39]
	v_fma_f64 v[38:39], v[7:8], v[56:57], v[129:130]
	v_add_f64 v[9:10], v[9:10], v[34:35]
	s_clause 0x4
	buffer_load_dword v35, off, s[0:3], 0 offset:940
	buffer_load_dword v52, off, s[0:3], 0 offset:952
	buffer_load_dword v56, off, s[0:3], 0 offset:944
	buffer_load_dword v34, off, s[0:3], 0 offset:936
	buffer_load_dword v49, off, s[0:3], 0 offset:916
	s_waitcnt vmcnt(57) lgkmcnt(0)
	v_mul_f64 v[129:130], v[12:13], v[58:59]
	v_mul_f64 v[57:58], v[14:15], v[58:59]
	s_waitcnt vmcnt(56)
	v_fma_f64 v[46:47], v[1:2], v[54:55], -v[46:47]
	ds_read_b128 v[5:8], v11 offset:1680
	v_fma_f64 v[42:43], v[3:4], v[54:55], v[42:43]
	v_add_f64 v[16:17], v[16:17], v[50:51]
	v_add_f64 v[9:10], v[9:10], v[38:39]
	s_clause 0x2
	buffer_load_dword v53, off, s[0:3], 0 offset:956
	buffer_load_dword v39, off, s[0:3], 0 offset:932
	buffer_load_dword v38, off, s[0:3], 0 offset:928
	ds_read_b128 v[1:4], v11 offset:1696
	s_waitcnt vmcnt(58) lgkmcnt(1)
	v_mul_f64 v[54:55], v[7:8], v[60:61]
	s_waitcnt vmcnt(56)
	v_fma_f64 v[58:59], v[12:13], v[64:65], -v[57:58]
	v_mul_f64 v[50:51], v[5:6], v[60:61]
	v_add_f64 v[16:17], v[16:17], v[46:47]
	v_fma_f64 v[46:47], v[14:15], v[64:65], v[129:130]
	v_add_f64 v[9:10], v[9:10], v[42:43]
	s_clause 0x4
	buffer_load_dword v43, off, s[0:3], 0 offset:972
	buffer_load_dword v60, off, s[0:3], 0 offset:984
	buffer_load_dword v64, off, s[0:3], 0 offset:976
	buffer_load_dword v42, off, s[0:3], 0 offset:968
	buffer_load_dword v57, off, s[0:3], 0 offset:948
	s_waitcnt vmcnt(57) lgkmcnt(0)
	v_mul_f64 v[129:130], v[1:2], v[66:67]
	v_mul_f64 v[65:66], v[3:4], v[66:67]
	s_waitcnt vmcnt(56)
	v_fma_f64 v[54:55], v[5:6], v[62:63], -v[54:55]
	ds_read_b128 v[12:15], v11 offset:1712
	v_fma_f64 v[50:51], v[7:8], v[62:63], v[50:51]
	v_add_f64 v[16:17], v[16:17], v[58:59]
	v_add_f64 v[9:10], v[9:10], v[46:47]
	s_clause 0x2
	buffer_load_dword v61, off, s[0:3], 0 offset:988
	buffer_load_dword v47, off, s[0:3], 0 offset:964
	buffer_load_dword v46, off, s[0:3], 0 offset:960
	ds_read_b128 v[5:8], v11 offset:1728
	s_waitcnt vmcnt(58) lgkmcnt(1)
	v_mul_f64 v[62:63], v[14:15], v[70:71]
	s_waitcnt vmcnt(56)
	v_fma_f64 v[66:67], v[1:2], v[74:75], -v[65:66]
	v_mul_f64 v[58:59], v[12:13], v[70:71]
	buffer_load_dword v65, off, s[0:3], 0 offset:980
	v_add_f64 v[16:17], v[16:17], v[54:55]
	v_fma_f64 v[54:55], v[3:4], v[74:75], v[129:130]
	v_add_f64 v[9:10], v[9:10], v[50:51]
	ds_read_b128 v[1:4], v11 offset:1744
	s_waitcnt vmcnt(53) lgkmcnt(1)
	v_mul_f64 v[70:71], v[7:8], v[95:96]
	s_waitcnt vmcnt(52)
	v_fma_f64 v[62:63], v[12:13], v[72:73], -v[62:63]
	v_mul_f64 v[50:51], v[5:6], v[95:96]
	v_fma_f64 v[58:59], v[14:15], v[72:73], v[58:59]
	ds_read_b128 v[12:15], v11 offset:1760
	v_add_f64 v[16:17], v[16:17], v[66:67]
	v_add_f64 v[9:10], v[9:10], v[54:55]
	s_waitcnt vmcnt(51) lgkmcnt(1)
	v_mul_f64 v[66:67], v[3:4], v[97:98]
	v_mul_f64 v[54:55], v[1:2], v[97:98]
	s_waitcnt vmcnt(49)
	v_fma_f64 v[70:71], v[5:6], v[22:23], -v[70:71]
	v_fma_f64 v[22:23], v[7:8], v[22:23], v[50:51]
	v_add_f64 v[16:17], v[16:17], v[62:63]
	s_waitcnt vmcnt(45) lgkmcnt(0)
	v_mul_f64 v[62:63], v[12:13], v[20:21]
	v_add_f64 v[9:10], v[9:10], v[58:59]
	s_clause 0x3
	buffer_load_dword v50, off, s[0:3], 0 offset:512
	buffer_load_dword v51, off, s[0:3], 0 offset:516
	;; [unrolled: 1-line block ×4, first 2 shown]
	v_mul_f64 v[20:21], v[14:15], v[20:21]
	ds_read_b128 v[5:8], v11 offset:1776
	s_waitcnt vmcnt(48)
	v_fma_f64 v[66:67], v[1:2], v[99:100], -v[66:67]
	v_fma_f64 v[54:55], v[3:4], v[99:100], v[54:55]
	ds_read_b128 v[1:4], v11 offset:1792
	v_add_f64 v[16:17], v[16:17], v[70:71]
	v_add_f64 v[9:10], v[9:10], v[22:23]
	s_waitcnt vmcnt(47) lgkmcnt(1)
	v_mul_f64 v[70:71], v[7:8], v[109:110]
	s_waitcnt vmcnt(45)
	v_fma_f64 v[20:21], v[12:13], v[30:31], -v[20:21]
	v_mul_f64 v[22:23], v[5:6], v[109:110]
	v_fma_f64 v[30:31], v[14:15], v[30:31], v[62:63]
	ds_read_b128 v[12:15], v11 offset:1808
	v_add_f64 v[16:17], v[16:17], v[66:67]
	v_add_f64 v[9:10], v[9:10], v[54:55]
	s_waitcnt vmcnt(41) lgkmcnt(1)
	v_mul_f64 v[54:55], v[1:2], v[18:19]
	v_mul_f64 v[18:19], v[3:4], v[18:19]
	s_waitcnt vmcnt(40)
	v_fma_f64 v[62:63], v[5:6], v[119:120], -v[70:71]
	v_add_f64 v[16:17], v[16:17], v[20:21]
	v_fma_f64 v[20:21], v[7:8], v[119:120], v[22:23]
	v_add_f64 v[9:10], v[9:10], v[30:31]
	ds_read_b128 v[5:8], v11 offset:1824
	s_waitcnt vmcnt(39) lgkmcnt(1)
	v_mul_f64 v[30:31], v[14:15], v[93:94]
	v_mul_f64 v[22:23], v[12:13], v[93:94]
	s_waitcnt vmcnt(37)
	v_fma_f64 v[18:19], v[1:2], v[28:29], -v[18:19]
	v_fma_f64 v[28:29], v[3:4], v[28:29], v[54:55]
	ds_read_b128 v[1:4], v11 offset:1840
	v_add_f64 v[16:17], v[16:17], v[62:63]
	v_add_f64 v[9:10], v[9:10], v[20:21]
	s_waitcnt vmcnt(33) lgkmcnt(1)
	v_mul_f64 v[20:21], v[5:6], v[24:25]
	v_mul_f64 v[24:25], v[7:8], v[24:25]
	s_waitcnt vmcnt(32)
	v_fma_f64 v[30:31], v[12:13], v[117:118], -v[30:31]
	v_add_f64 v[16:17], v[16:17], v[18:19]
	v_fma_f64 v[18:19], v[14:15], v[117:118], v[22:23]
	v_add_f64 v[9:10], v[9:10], v[28:29]
	ds_read_b128 v[12:15], v11 offset:1856
	s_waitcnt vmcnt(31) lgkmcnt(1)
	v_mul_f64 v[28:29], v[3:4], v[40:41]
	v_mul_f64 v[22:23], v[1:2], v[40:41]
	s_waitcnt vmcnt(29)
	v_fma_f64 v[24:25], v[5:6], v[26:27], -v[24:25]
	v_fma_f64 v[20:21], v[7:8], v[26:27], v[20:21]
	ds_read_b128 v[5:8], v11 offset:1872
	v_add_f64 v[16:17], v[16:17], v[30:31]
	v_add_f64 v[9:10], v[9:10], v[18:19]
	s_waitcnt vmcnt(25) lgkmcnt(1)
	v_mul_f64 v[26:27], v[14:15], v[32:33]
	s_waitcnt vmcnt(24)
	v_fma_f64 v[28:29], v[1:2], v[111:112], -v[28:29]
	v_mul_f64 v[18:19], v[12:13], v[32:33]
	v_fma_f64 v[22:23], v[3:4], v[111:112], v[22:23]
	ds_read_b128 v[1:4], v11 offset:1888
	v_add_f64 v[16:17], v[16:17], v[24:25]
	v_add_f64 v[9:10], v[9:10], v[20:21]
	s_waitcnt vmcnt(23) lgkmcnt(1)
	v_mul_f64 v[24:25], v[7:8], v[44:45]
	v_mul_f64 v[20:21], v[5:6], v[44:45]
	s_waitcnt vmcnt(21)
	v_fma_f64 v[26:27], v[12:13], v[36:37], -v[26:27]
	v_fma_f64 v[18:19], v[14:15], v[36:37], v[18:19]
	ds_read_b128 v[12:15], v11 offset:1904
	v_add_f64 v[16:17], v[16:17], v[28:29]
	v_add_f64 v[9:10], v[9:10], v[22:23]
	s_waitcnt vmcnt(17) lgkmcnt(1)
	v_mul_f64 v[28:29], v[3:4], v[34:35]
	s_waitcnt vmcnt(16)
	v_fma_f64 v[24:25], v[5:6], v[48:49], -v[24:25]
	v_mul_f64 v[22:23], v[1:2], v[34:35]
	v_fma_f64 v[20:21], v[7:8], v[48:49], v[20:21]
	ds_read_b128 v[5:8], v11 offset:1920
	v_add_f64 v[16:17], v[16:17], v[26:27]
	v_add_f64 v[9:10], v[9:10], v[18:19]
	s_waitcnt vmcnt(15) lgkmcnt(1)
	v_mul_f64 v[26:27], v[14:15], v[52:53]
	v_mul_f64 v[18:19], v[12:13], v[52:53]
	s_waitcnt vmcnt(13)
	v_fma_f64 v[28:29], v[1:2], v[38:39], -v[28:29]
	v_fma_f64 v[22:23], v[3:4], v[38:39], v[22:23]
	ds_read_b128 v[1:4], v11 offset:1936
	v_add_f64 v[16:17], v[16:17], v[24:25]
	v_add_f64 v[9:10], v[9:10], v[20:21]
	s_waitcnt vmcnt(9) lgkmcnt(1)
	v_mul_f64 v[24:25], v[7:8], v[42:43]
	s_waitcnt vmcnt(8)
	v_fma_f64 v[12:13], v[12:13], v[56:57], -v[26:27]
	v_mul_f64 v[20:21], v[5:6], v[42:43]
	v_fma_f64 v[14:15], v[14:15], v[56:57], v[18:19]
	v_add_f64 v[16:17], v[16:17], v[28:29]
	v_add_f64 v[9:10], v[9:10], v[22:23]
	s_waitcnt vmcnt(7) lgkmcnt(0)
	v_mul_f64 v[22:23], v[3:4], v[60:61]
	v_mul_f64 v[18:19], v[1:2], v[60:61]
	s_waitcnt vmcnt(5)
	v_fma_f64 v[5:6], v[5:6], v[46:47], -v[24:25]
	v_fma_f64 v[7:8], v[7:8], v[46:47], v[20:21]
	v_add_f64 v[12:13], v[16:17], v[12:13]
	v_add_f64 v[9:10], v[9:10], v[14:15]
	s_waitcnt vmcnt(4)
	v_fma_f64 v[1:2], v[1:2], v[64:65], -v[22:23]
	v_fma_f64 v[3:4], v[3:4], v[64:65], v[18:19]
	v_add_f64 v[5:6], v[12:13], v[5:6]
	v_add_f64 v[7:8], v[9:10], v[7:8]
	;; [unrolled: 1-line block ×4, first 2 shown]
	s_waitcnt vmcnt(2)
	v_add_f64 v[1:2], v[50:51], -v[1:2]
	s_waitcnt vmcnt(0)
	v_add_f64 v[3:4], v[58:59], -v[3:4]
	buffer_store_dword v2, off, s[0:3], 0 offset:516
	buffer_store_dword v1, off, s[0:3], 0 offset:512
	buffer_store_dword v4, off, s[0:3], 0 offset:524
	buffer_store_dword v3, off, s[0:3], 0 offset:520
	v_cmpx_lt_u32_e32 30, v0
	s_cbranch_execz .LBB60_331
; %bb.330:
	v_mov_b32_e32 v4, s45
	s_clause 0x3
	buffer_load_dword v1, v4, s[0:3], 0 offen
	buffer_load_dword v2, v4, s[0:3], 0 offen offset:4
	buffer_load_dword v3, v4, s[0:3], 0 offen offset:8
	;; [unrolled: 1-line block ×3, first 2 shown]
	buffer_store_dword v11, off, s[0:3], 0 offset:496
	buffer_store_dword v11, off, s[0:3], 0 offset:500
	;; [unrolled: 1-line block ×4, first 2 shown]
	s_waitcnt vmcnt(0)
	ds_write_b128 v69, v[1:4]
.LBB60_331:
	s_or_b32 exec_lo, exec_lo, s4
	s_waitcnt lgkmcnt(0)
	s_waitcnt_vscnt null, 0x0
	s_barrier
	buffer_gl0_inv
	s_clause 0x37
	buffer_load_dword v9, off, s[0:3], 0 offset:520
	buffer_load_dword v10, off, s[0:3], 0 offset:524
	buffer_load_dword v5, off, s[0:3], 0 offset:536
	buffer_load_dword v6, off, s[0:3], 0 offset:540
	buffer_load_dword v7, off, s[0:3], 0 offset:512
	buffer_load_dword v8, off, s[0:3], 0 offset:516
	buffer_load_dword v3, off, s[0:3], 0 offset:552
	buffer_load_dword v4, off, s[0:3], 0 offset:556
	buffer_load_dword v1, off, s[0:3], 0 offset:528
	buffer_load_dword v2, off, s[0:3], 0 offset:532
	buffer_load_dword v25, off, s[0:3], 0 offset:572
	buffer_load_dword v26, off, s[0:3], 0 offset:584
	buffer_load_dword v28, off, s[0:3], 0 offset:576
	buffer_load_dword v24, off, s[0:3], 0 offset:568
	buffer_load_dword v30, off, s[0:3], 0 offset:544
	buffer_load_dword v31, off, s[0:3], 0 offset:548
	buffer_load_dword v27, off, s[0:3], 0 offset:588
	buffer_load_dword v33, off, s[0:3], 0 offset:564
	buffer_load_dword v32, off, s[0:3], 0 offset:560
	buffer_load_dword v35, off, s[0:3], 0 offset:604
	buffer_load_dword v36, off, s[0:3], 0 offset:616
	buffer_load_dword v38, off, s[0:3], 0 offset:608
	buffer_load_dword v34, off, s[0:3], 0 offset:600
	buffer_load_dword v29, off, s[0:3], 0 offset:580
	buffer_load_dword v37, off, s[0:3], 0 offset:620
	buffer_load_dword v41, off, s[0:3], 0 offset:596
	buffer_load_dword v40, off, s[0:3], 0 offset:592
	buffer_load_dword v43, off, s[0:3], 0 offset:636
	buffer_load_dword v44, off, s[0:3], 0 offset:648
	buffer_load_dword v46, off, s[0:3], 0 offset:640
	buffer_load_dword v42, off, s[0:3], 0 offset:632
	buffer_load_dword v39, off, s[0:3], 0 offset:612
	buffer_load_dword v45, off, s[0:3], 0 offset:652
	buffer_load_dword v49, off, s[0:3], 0 offset:628
	buffer_load_dword v48, off, s[0:3], 0 offset:624
	buffer_load_dword v51, off, s[0:3], 0 offset:668
	buffer_load_dword v52, off, s[0:3], 0 offset:680
	buffer_load_dword v54, off, s[0:3], 0 offset:672
	buffer_load_dword v50, off, s[0:3], 0 offset:664
	buffer_load_dword v47, off, s[0:3], 0 offset:644
	buffer_load_dword v53, off, s[0:3], 0 offset:684
	buffer_load_dword v57, off, s[0:3], 0 offset:660
	buffer_load_dword v56, off, s[0:3], 0 offset:656
	buffer_load_dword v59, off, s[0:3], 0 offset:700
	buffer_load_dword v60, off, s[0:3], 0 offset:712
	buffer_load_dword v62, off, s[0:3], 0 offset:704
	buffer_load_dword v58, off, s[0:3], 0 offset:696
	buffer_load_dword v55, off, s[0:3], 0 offset:676
	buffer_load_dword v61, off, s[0:3], 0 offset:716
	buffer_load_dword v65, off, s[0:3], 0 offset:692
	buffer_load_dword v64, off, s[0:3], 0 offset:688
	buffer_load_dword v67, off, s[0:3], 0 offset:732
	buffer_load_dword v70, off, s[0:3], 0 offset:744
	buffer_load_dword v72, off, s[0:3], 0 offset:736
	buffer_load_dword v66, off, s[0:3], 0 offset:728
	buffer_load_dword v63, off, s[0:3], 0 offset:708
	ds_read_b128 v[12:15], v11 offset:1472
	s_clause 0x2
	buffer_load_dword v71, off, s[0:3], 0 offset:748
	buffer_load_dword v75, off, s[0:3], 0 offset:724
	;; [unrolled: 1-line block ×3, first 2 shown]
	ds_read_b128 v[16:19], v11 offset:1488
	s_clause 0x4
	buffer_load_dword v96, off, s[0:3], 0 offset:764
	buffer_load_dword v97, off, s[0:3], 0 offset:776
	;; [unrolled: 1-line block ×5, first 2 shown]
	ds_read_b128 v[20:23], v11 offset:1504
	s_clause 0x2
	buffer_load_dword v98, off, s[0:3], 0 offset:780
	buffer_load_dword v112, off, s[0:3], 0 offset:756
	;; [unrolled: 1-line block ×3, first 2 shown]
	s_mov_b32 s4, exec_lo
	s_waitcnt vmcnt(62) lgkmcnt(2)
	v_mul_f64 v[93:94], v[14:15], v[9:10]
	v_mul_f64 v[9:10], v[12:13], v[9:10]
	s_waitcnt lgkmcnt(1)
	v_mul_f64 v[109:110], v[18:19], v[5:6]
	s_waitcnt vmcnt(59) lgkmcnt(0)
	v_mul_f64 v[117:118], v[22:23], v[3:4]
	v_fma_f64 v[12:13], v[12:13], v[7:8], -v[93:94]
	v_mul_f64 v[93:94], v[16:17], v[5:6]
	v_fma_f64 v[9:10], v[14:15], v[7:8], v[9:10]
	s_waitcnt vmcnt(57)
	v_fma_f64 v[16:17], v[16:17], v[1:2], -v[109:110]
	ds_read_b128 v[5:8], v11 offset:1520
	v_mul_f64 v[14:15], v[20:21], v[3:4]
	s_waitcnt vmcnt(51)
	v_fma_f64 v[20:21], v[20:21], v[30:31], -v[117:118]
	v_add_f64 v[12:13], v[12:13], 0
	v_fma_f64 v[18:19], v[18:19], v[1:2], v[93:94]
	v_add_f64 v[9:10], v[9:10], 0
	s_clause 0x4
	buffer_load_dword v94, off, s[0:3], 0 offset:796
	buffer_load_dword v109, off, s[0:3], 0 offset:808
	;; [unrolled: 1-line block ×5, first 2 shown]
	s_waitcnt lgkmcnt(0)
	v_mul_f64 v[129:130], v[5:6], v[24:25]
	v_mul_f64 v[24:25], v[7:8], v[24:25]
	ds_read_b128 v[1:4], v11 offset:1536
	v_fma_f64 v[22:23], v[22:23], v[30:31], v[14:15]
	v_add_f64 v[16:17], v[12:13], v[16:17]
	v_add_f64 v[9:10], v[9:10], v[18:19]
	s_clause 0x2
	buffer_load_dword v110, off, s[0:3], 0 offset:812
	buffer_load_dword v19, off, s[0:3], 0 offset:788
	;; [unrolled: 1-line block ×3, first 2 shown]
	s_waitcnt vmcnt(58) lgkmcnt(0)
	v_mul_f64 v[30:31], v[1:2], v[26:27]
	v_mul_f64 v[26:27], v[3:4], v[26:27]
	s_waitcnt vmcnt(56)
	v_fma_f64 v[24:25], v[5:6], v[32:33], -v[24:25]
	ds_read_b128 v[12:15], v11 offset:1552
	v_add_f64 v[16:17], v[16:17], v[20:21]
	v_fma_f64 v[20:21], v[7:8], v[32:33], v[129:130]
	v_add_f64 v[9:10], v[9:10], v[22:23]
	s_clause 0x4
	buffer_load_dword v23, off, s[0:3], 0 offset:828
	buffer_load_dword v32, off, s[0:3], 0 offset:840
	;; [unrolled: 1-line block ×5, first 2 shown]
	ds_read_b128 v[5:8], v11 offset:1568
	s_waitcnt vmcnt(57) lgkmcnt(1)
	v_mul_f64 v[129:130], v[12:13], v[34:35]
	v_mul_f64 v[34:35], v[14:15], v[34:35]
	s_waitcnt vmcnt(56)
	v_fma_f64 v[26:27], v[1:2], v[28:29], -v[26:27]
	v_add_f64 v[16:17], v[16:17], v[24:25]
	v_fma_f64 v[24:25], v[3:4], v[28:29], v[30:31]
	v_add_f64 v[9:10], v[9:10], v[20:21]
	s_clause 0x2
	buffer_load_dword v33, off, s[0:3], 0 offset:844
	buffer_load_dword v21, off, s[0:3], 0 offset:820
	;; [unrolled: 1-line block ×3, first 2 shown]
	s_waitcnt vmcnt(58) lgkmcnt(0)
	v_mul_f64 v[30:31], v[7:8], v[36:37]
	ds_read_b128 v[1:4], v11 offset:1584
	s_waitcnt vmcnt(56)
	v_fma_f64 v[34:35], v[12:13], v[40:41], -v[34:35]
	v_mul_f64 v[28:29], v[5:6], v[36:37]
	v_add_f64 v[16:17], v[16:17], v[26:27]
	v_fma_f64 v[26:27], v[14:15], v[40:41], v[129:130]
	v_add_f64 v[9:10], v[9:10], v[24:25]
	s_clause 0x4
	buffer_load_dword v25, off, s[0:3], 0 offset:860
	buffer_load_dword v36, off, s[0:3], 0 offset:872
	buffer_load_dword v40, off, s[0:3], 0 offset:864
	buffer_load_dword v24, off, s[0:3], 0 offset:856
	buffer_load_dword v118, off, s[0:3], 0 offset:836
	s_waitcnt vmcnt(57) lgkmcnt(0)
	v_mul_f64 v[129:130], v[1:2], v[42:43]
	v_mul_f64 v[41:42], v[3:4], v[42:43]
	s_waitcnt vmcnt(56)
	v_fma_f64 v[30:31], v[5:6], v[38:39], -v[30:31]
	ds_read_b128 v[12:15], v11 offset:1600
	v_fma_f64 v[28:29], v[7:8], v[38:39], v[28:29]
	v_add_f64 v[16:17], v[16:17], v[34:35]
	v_add_f64 v[9:10], v[9:10], v[26:27]
	s_clause 0x2
	buffer_load_dword v37, off, s[0:3], 0 offset:876
	buffer_load_dword v27, off, s[0:3], 0 offset:852
	buffer_load_dword v26, off, s[0:3], 0 offset:848
	ds_read_b128 v[5:8], v11 offset:1616
	s_waitcnt vmcnt(58) lgkmcnt(1)
	v_mul_f64 v[38:39], v[14:15], v[44:45]
	s_waitcnt vmcnt(56)
	v_fma_f64 v[42:43], v[1:2], v[48:49], -v[41:42]
	v_mul_f64 v[34:35], v[12:13], v[44:45]
	v_add_f64 v[16:17], v[16:17], v[30:31]
	v_fma_f64 v[30:31], v[3:4], v[48:49], v[129:130]
	v_add_f64 v[9:10], v[9:10], v[28:29]
	s_clause 0x4
	buffer_load_dword v29, off, s[0:3], 0 offset:892
	buffer_load_dword v44, off, s[0:3], 0 offset:904
	buffer_load_dword v48, off, s[0:3], 0 offset:896
	buffer_load_dword v28, off, s[0:3], 0 offset:888
	buffer_load_dword v41, off, s[0:3], 0 offset:868
	s_waitcnt vmcnt(57) lgkmcnt(0)
	v_mul_f64 v[129:130], v[5:6], v[50:51]
	v_mul_f64 v[49:50], v[7:8], v[50:51]
	s_waitcnt vmcnt(56)
	v_fma_f64 v[38:39], v[12:13], v[46:47], -v[38:39]
	ds_read_b128 v[1:4], v11 offset:1632
	v_fma_f64 v[34:35], v[14:15], v[46:47], v[34:35]
	v_add_f64 v[16:17], v[16:17], v[42:43]
	v_add_f64 v[9:10], v[9:10], v[30:31]
	s_clause 0x2
	buffer_load_dword v45, off, s[0:3], 0 offset:908
	buffer_load_dword v31, off, s[0:3], 0 offset:884
	buffer_load_dword v30, off, s[0:3], 0 offset:880
	ds_read_b128 v[12:15], v11 offset:1648
	s_waitcnt vmcnt(58) lgkmcnt(1)
	v_mul_f64 v[46:47], v[3:4], v[52:53]
	;; [unrolled: 28-line block ×4, first 2 shown]
	s_waitcnt vmcnt(56)
	v_fma_f64 v[66:67], v[1:2], v[74:75], -v[65:66]
	v_mul_f64 v[58:59], v[12:13], v[70:71]
	v_add_f64 v[16:17], v[16:17], v[54:55]
	v_fma_f64 v[54:55], v[3:4], v[74:75], v[129:130]
	v_add_f64 v[9:10], v[9:10], v[50:51]
	s_clause 0x2
	buffer_load_dword v51, off, s[0:3], 0 offset:988
	buffer_load_dword v50, off, s[0:3], 0 offset:984
	;; [unrolled: 1-line block ×3, first 2 shown]
	s_waitcnt vmcnt(55) lgkmcnt(0)
	v_mul_f64 v[74:75], v[7:8], v[95:96]
	s_waitcnt vmcnt(54)
	v_fma_f64 v[62:63], v[12:13], v[72:73], -v[62:63]
	ds_read_b128 v[1:4], v11 offset:1728
	v_mul_f64 v[70:71], v[5:6], v[95:96]
	v_fma_f64 v[58:59], v[14:15], v[72:73], v[58:59]
	v_add_f64 v[16:17], v[16:17], v[66:67]
	v_add_f64 v[9:10], v[9:10], v[54:55]
	s_clause 0x1
	buffer_load_dword v55, off, s[0:3], 0 offset:980
	buffer_load_dword v54, off, s[0:3], 0 offset:976
	s_waitcnt vmcnt(55) lgkmcnt(0)
	v_mul_f64 v[72:73], v[3:4], v[97:98]
	s_waitcnt vmcnt(53)
	v_fma_f64 v[74:75], v[5:6], v[111:112], -v[74:75]
	ds_read_b128 v[12:15], v11 offset:1744
	v_mul_f64 v[66:67], v[1:2], v[97:98]
	v_add_f64 v[16:17], v[16:17], v[62:63]
	v_fma_f64 v[62:63], v[7:8], v[111:112], v[70:71]
	v_add_f64 v[9:10], v[9:10], v[58:59]
	ds_read_b128 v[5:8], v11 offset:1760
	s_waitcnt vmcnt(49) lgkmcnt(1)
	v_mul_f64 v[70:71], v[14:15], v[93:94]
	s_waitcnt vmcnt(48)
	v_fma_f64 v[72:73], v[1:2], v[99:100], -v[72:73]
	v_mul_f64 v[58:59], v[12:13], v[93:94]
	v_fma_f64 v[66:67], v[3:4], v[99:100], v[66:67]
	v_add_f64 v[16:17], v[16:17], v[74:75]
	v_add_f64 v[9:10], v[9:10], v[62:63]
	s_clause 0x3
	buffer_load_dword v62, off, s[0:3], 0 offset:496
	buffer_load_dword v63, off, s[0:3], 0 offset:500
	buffer_load_dword v74, off, s[0:3], 0 offset:504
	buffer_load_dword v75, off, s[0:3], 0 offset:508
	ds_read_b128 v[1:4], v11 offset:1776
	s_waitcnt vmcnt(51) lgkmcnt(1)
	v_mul_f64 v[95:96], v[7:8], v[109:110]
	v_mul_f64 v[93:94], v[5:6], v[109:110]
	s_waitcnt vmcnt(49)
	v_fma_f64 v[70:71], v[12:13], v[18:19], -v[70:71]
	v_fma_f64 v[18:19], v[14:15], v[18:19], v[58:59]
	ds_read_b128 v[12:15], v11 offset:1792
	v_add_f64 v[16:17], v[16:17], v[72:73]
	v_add_f64 v[9:10], v[9:10], v[66:67]
	s_waitcnt vmcnt(45) lgkmcnt(1)
	v_mul_f64 v[58:59], v[1:2], v[22:23]
	v_mul_f64 v[22:23], v[3:4], v[22:23]
	s_waitcnt vmcnt(44)
	v_fma_f64 v[66:67], v[5:6], v[119:120], -v[95:96]
	v_add_f64 v[16:17], v[16:17], v[70:71]
	v_fma_f64 v[70:71], v[7:8], v[119:120], v[93:94]
	v_add_f64 v[9:10], v[9:10], v[18:19]
	ds_read_b128 v[5:8], v11 offset:1808
	s_waitcnt vmcnt(43) lgkmcnt(1)
	v_mul_f64 v[18:19], v[12:13], v[32:33]
	v_mul_f64 v[32:33], v[14:15], v[32:33]
	s_waitcnt vmcnt(41)
	v_fma_f64 v[22:23], v[1:2], v[20:21], -v[22:23]
	v_fma_f64 v[20:21], v[3:4], v[20:21], v[58:59]
	ds_read_b128 v[1:4], v11 offset:1824
	v_add_f64 v[16:17], v[16:17], v[66:67]
	v_add_f64 v[9:10], v[9:10], v[70:71]
	s_waitcnt vmcnt(37) lgkmcnt(1)
	v_mul_f64 v[58:59], v[5:6], v[24:25]
	v_mul_f64 v[24:25], v[7:8], v[24:25]
	s_waitcnt vmcnt(36)
	v_fma_f64 v[32:33], v[12:13], v[117:118], -v[32:33]
	v_fma_f64 v[18:19], v[14:15], v[117:118], v[18:19]
	ds_read_b128 v[12:15], v11 offset:1840
	v_add_f64 v[16:17], v[16:17], v[22:23]
	v_add_f64 v[9:10], v[9:10], v[20:21]
	;; [unrolled: 9-line block ×5, first 2 shown]
	s_waitcnt vmcnt(21) lgkmcnt(1)
	v_mul_f64 v[22:23], v[3:4], v[34:35]
	s_waitcnt vmcnt(20)
	v_fma_f64 v[26:27], v[5:6], v[48:49], -v[26:27]
	v_mul_f64 v[20:21], v[1:2], v[34:35]
	v_fma_f64 v[24:25], v[7:8], v[48:49], v[24:25]
	ds_read_b128 v[5:8], v11 offset:1904
	v_add_f64 v[16:17], v[16:17], v[28:29]
	v_add_f64 v[9:10], v[9:10], v[18:19]
	s_waitcnt vmcnt(19) lgkmcnt(1)
	v_mul_f64 v[28:29], v[14:15], v[52:53]
	v_mul_f64 v[18:19], v[12:13], v[52:53]
	s_waitcnt vmcnt(17)
	v_fma_f64 v[22:23], v[1:2], v[38:39], -v[22:23]
	v_fma_f64 v[20:21], v[3:4], v[38:39], v[20:21]
	ds_read_b128 v[1:4], v11 offset:1920
	v_add_f64 v[16:17], v[16:17], v[26:27]
	v_add_f64 v[9:10], v[9:10], v[24:25]
	s_waitcnt vmcnt(13) lgkmcnt(1)
	v_mul_f64 v[26:27], v[7:8], v[42:43]
	s_waitcnt vmcnt(12)
	v_fma_f64 v[28:29], v[12:13], v[56:57], -v[28:29]
	v_mul_f64 v[24:25], v[5:6], v[42:43]
	v_fma_f64 v[13:14], v[14:15], v[56:57], v[18:19]
	v_add_f64 v[16:17], v[16:17], v[22:23]
	v_add_f64 v[18:19], v[9:10], v[20:21]
	ds_read_b128 v[9:12], v11 offset:1936
	s_waitcnt vmcnt(11) lgkmcnt(1)
	v_mul_f64 v[22:23], v[3:4], v[60:61]
	v_mul_f64 v[20:21], v[1:2], v[60:61]
	s_waitcnt vmcnt(9)
	v_fma_f64 v[5:6], v[5:6], v[46:47], -v[26:27]
	v_fma_f64 v[7:8], v[7:8], v[46:47], v[24:25]
	v_add_f64 v[15:16], v[16:17], v[28:29]
	v_add_f64 v[13:14], v[18:19], v[13:14]
	s_waitcnt vmcnt(7) lgkmcnt(0)
	v_mul_f64 v[24:25], v[11:12], v[50:51]
	s_waitcnt vmcnt(6)
	v_fma_f64 v[1:2], v[1:2], v[64:65], -v[22:23]
	v_mul_f64 v[17:18], v[9:10], v[50:51]
	v_fma_f64 v[3:4], v[3:4], v[64:65], v[20:21]
	v_add_f64 v[5:6], v[15:16], v[5:6]
	v_add_f64 v[7:8], v[13:14], v[7:8]
	s_waitcnt vmcnt(4)
	v_fma_f64 v[9:10], v[9:10], v[54:55], -v[24:25]
	v_add_f64 v[1:2], v[5:6], v[1:2]
	v_fma_f64 v[5:6], v[11:12], v[54:55], v[17:18]
	v_add_f64 v[3:4], v[7:8], v[3:4]
	v_add_f64 v[1:2], v[1:2], v[9:10]
	;; [unrolled: 1-line block ×3, first 2 shown]
	s_waitcnt vmcnt(2)
	v_add_f64 v[1:2], v[62:63], -v[1:2]
	s_waitcnt vmcnt(0)
	v_add_f64 v[3:4], v[74:75], -v[3:4]
	buffer_store_dword v2, off, s[0:3], 0 offset:500
	buffer_store_dword v1, off, s[0:3], 0 offset:496
	;; [unrolled: 1-line block ×4, first 2 shown]
	v_cmpx_lt_u32_e32 29, v0
	s_cbranch_execz .LBB60_333
; %bb.332:
	v_mov_b32_e32 v4, s46
	v_mov_b32_e32 v5, 0
	s_clause 0x3
	buffer_load_dword v1, v4, s[0:3], 0 offen
	buffer_load_dword v2, v4, s[0:3], 0 offen offset:4
	buffer_load_dword v3, v4, s[0:3], 0 offen offset:8
	buffer_load_dword v4, v4, s[0:3], 0 offen offset:12
	buffer_store_dword v5, off, s[0:3], 0 offset:480
	buffer_store_dword v5, off, s[0:3], 0 offset:484
	;; [unrolled: 1-line block ×4, first 2 shown]
	s_waitcnt vmcnt(0)
	ds_write_b128 v69, v[1:4]
.LBB60_333:
	s_or_b32 exec_lo, exec_lo, s4
	s_waitcnt lgkmcnt(0)
	s_waitcnt_vscnt null, 0x0
	s_barrier
	buffer_gl0_inv
	s_clause 0x37
	buffer_load_dword v9, off, s[0:3], 0 offset:504
	buffer_load_dword v10, off, s[0:3], 0 offset:508
	;; [unrolled: 1-line block ×56, first 2 shown]
	v_mov_b32_e32 v29, 0
	s_mov_b32 s4, exec_lo
	ds_read_b128 v[17:20], v29 offset:1456
	s_clause 0x2
	buffer_load_dword v71, off, s[0:3], 0 offset:732
	buffer_load_dword v75, off, s[0:3], 0 offset:708
	;; [unrolled: 1-line block ×3, first 2 shown]
	ds_read_b128 v[21:24], v29 offset:1472
	s_clause 0x4
	buffer_load_dword v96, off, s[0:3], 0 offset:748
	buffer_load_dword v97, off, s[0:3], 0 offset:760
	;; [unrolled: 1-line block ×5, first 2 shown]
	ds_read_b128 v[25:28], v29 offset:1488
	s_clause 0x2
	buffer_load_dword v98, off, s[0:3], 0 offset:764
	buffer_load_dword v112, off, s[0:3], 0 offset:740
	;; [unrolled: 1-line block ×3, first 2 shown]
	s_waitcnt vmcnt(62) lgkmcnt(2)
	v_mul_f64 v[93:94], v[19:20], v[9:10]
	v_mul_f64 v[9:10], v[17:18], v[9:10]
	s_waitcnt lgkmcnt(1)
	v_mul_f64 v[109:110], v[23:24], v[5:6]
	s_waitcnt vmcnt(59) lgkmcnt(0)
	v_mul_f64 v[117:118], v[27:28], v[3:4]
	v_fma_f64 v[17:18], v[17:18], v[7:8], -v[93:94]
	v_mul_f64 v[93:94], v[21:22], v[5:6]
	v_fma_f64 v[9:10], v[19:20], v[7:8], v[9:10]
	s_waitcnt vmcnt(57)
	v_fma_f64 v[21:22], v[21:22], v[1:2], -v[109:110]
	ds_read_b128 v[5:8], v29 offset:1504
	v_mul_f64 v[19:20], v[25:26], v[3:4]
	s_waitcnt vmcnt(51)
	v_fma_f64 v[25:26], v[25:26], v[32:33], -v[117:118]
	v_add_f64 v[17:18], v[17:18], 0
	v_fma_f64 v[23:24], v[23:24], v[1:2], v[93:94]
	v_add_f64 v[9:10], v[9:10], 0
	s_clause 0x4
	buffer_load_dword v94, off, s[0:3], 0 offset:780
	buffer_load_dword v109, off, s[0:3], 0 offset:792
	;; [unrolled: 1-line block ×5, first 2 shown]
	s_waitcnt lgkmcnt(0)
	v_mul_f64 v[129:130], v[5:6], v[13:14]
	v_mul_f64 v[13:14], v[7:8], v[13:14]
	ds_read_b128 v[1:4], v29 offset:1520
	v_fma_f64 v[27:28], v[27:28], v[32:33], v[19:20]
	v_add_f64 v[21:22], v[17:18], v[21:22]
	v_add_f64 v[9:10], v[9:10], v[23:24]
	s_clause 0x2
	buffer_load_dword v110, off, s[0:3], 0 offset:796
	buffer_load_dword v24, off, s[0:3], 0 offset:772
	;; [unrolled: 1-line block ×3, first 2 shown]
	s_waitcnt vmcnt(58) lgkmcnt(0)
	v_mul_f64 v[32:33], v[1:2], v[30:31]
	v_mul_f64 v[30:31], v[3:4], v[30:31]
	s_waitcnt vmcnt(56)
	v_fma_f64 v[13:14], v[5:6], v[34:35], -v[13:14]
	ds_read_b128 v[17:20], v29 offset:1536
	v_add_f64 v[21:22], v[21:22], v[25:26]
	v_fma_f64 v[25:26], v[7:8], v[34:35], v[129:130]
	v_add_f64 v[9:10], v[9:10], v[27:28]
	s_clause 0x4
	buffer_load_dword v28, off, s[0:3], 0 offset:812
	buffer_load_dword v34, off, s[0:3], 0 offset:824
	;; [unrolled: 1-line block ×5, first 2 shown]
	ds_read_b128 v[5:8], v29 offset:1552
	s_waitcnt vmcnt(57) lgkmcnt(1)
	v_mul_f64 v[129:130], v[17:18], v[36:37]
	v_mul_f64 v[36:37], v[19:20], v[36:37]
	s_waitcnt vmcnt(56)
	v_fma_f64 v[30:31], v[1:2], v[11:12], -v[30:31]
	v_fma_f64 v[11:12], v[3:4], v[11:12], v[32:33]
	v_add_f64 v[13:14], v[21:22], v[13:14]
	s_clause 0x2
	buffer_load_dword v35, off, s[0:3], 0 offset:828
	buffer_load_dword v22, off, s[0:3], 0 offset:804
	buffer_load_dword v21, off, s[0:3], 0 offset:800
	v_add_f64 v[9:10], v[9:10], v[25:26]
	s_waitcnt vmcnt(58) lgkmcnt(0)
	v_mul_f64 v[32:33], v[7:8], v[38:39]
	ds_read_b128 v[1:4], v29 offset:1568
	v_mul_f64 v[25:26], v[5:6], v[38:39]
	s_waitcnt vmcnt(56)
	v_fma_f64 v[17:18], v[17:18], v[40:41], -v[36:37]
	v_fma_f64 v[19:20], v[19:20], v[40:41], v[129:130]
	s_clause 0x4
	buffer_load_dword v37, off, s[0:3], 0 offset:844
	buffer_load_dword v38, off, s[0:3], 0 offset:856
	;; [unrolled: 1-line block ×5, first 2 shown]
	v_add_f64 v[13:14], v[13:14], v[30:31]
	v_add_f64 v[30:31], v[9:10], v[11:12]
	s_waitcnt vmcnt(57) lgkmcnt(0)
	v_mul_f64 v[129:130], v[1:2], v[42:43]
	v_mul_f64 v[41:42], v[3:4], v[42:43]
	s_waitcnt vmcnt(56)
	v_fma_f64 v[32:33], v[5:6], v[15:16], -v[32:33]
	ds_read_b128 v[9:12], v29 offset:1584
	v_fma_f64 v[15:16], v[7:8], v[15:16], v[25:26]
	v_add_f64 v[13:14], v[13:14], v[17:18]
	v_add_f64 v[17:18], v[30:31], v[19:20]
	s_clause 0x2
	buffer_load_dword v39, off, s[0:3], 0 offset:860
	buffer_load_dword v20, off, s[0:3], 0 offset:836
	;; [unrolled: 1-line block ×3, first 2 shown]
	s_waitcnt vmcnt(58) lgkmcnt(0)
	v_mul_f64 v[30:31], v[11:12], v[44:45]
	s_waitcnt vmcnt(56)
	v_fma_f64 v[42:43], v[1:2], v[48:49], -v[41:42]
	ds_read_b128 v[5:8], v29 offset:1600
	v_mul_f64 v[25:26], v[9:10], v[44:45]
	v_add_f64 v[13:14], v[13:14], v[32:33]
	v_fma_f64 v[32:33], v[3:4], v[48:49], v[129:130]
	v_add_f64 v[15:16], v[17:18], v[15:16]
	s_clause 0x4
	buffer_load_dword v18, off, s[0:3], 0 offset:876
	buffer_load_dword v44, off, s[0:3], 0 offset:888
	buffer_load_dword v48, off, s[0:3], 0 offset:880
	buffer_load_dword v17, off, s[0:3], 0 offset:872
	buffer_load_dword v41, off, s[0:3], 0 offset:852
	s_waitcnt vmcnt(57) lgkmcnt(0)
	v_mul_f64 v[129:130], v[5:6], v[50:51]
	v_mul_f64 v[49:50], v[7:8], v[50:51]
	s_waitcnt vmcnt(56)
	v_fma_f64 v[30:31], v[9:10], v[46:47], -v[30:31]
	ds_read_b128 v[1:4], v29 offset:1616
	v_fma_f64 v[25:26], v[11:12], v[46:47], v[25:26]
	v_add_f64 v[13:14], v[13:14], v[42:43]
	v_add_f64 v[15:16], v[15:16], v[32:33]
	s_clause 0x2
	buffer_load_dword v45, off, s[0:3], 0 offset:892
	buffer_load_dword v33, off, s[0:3], 0 offset:868
	buffer_load_dword v32, off, s[0:3], 0 offset:864
	ds_read_b128 v[9:12], v29 offset:1632
	s_waitcnt vmcnt(58) lgkmcnt(1)
	v_mul_f64 v[46:47], v[3:4], v[52:53]
	s_waitcnt vmcnt(56)
	v_fma_f64 v[50:51], v[5:6], v[56:57], -v[49:50]
	v_mul_f64 v[42:43], v[1:2], v[52:53]
	v_add_f64 v[13:14], v[13:14], v[30:31]
	v_fma_f64 v[30:31], v[7:8], v[56:57], v[129:130]
	v_add_f64 v[15:16], v[15:16], v[25:26]
	s_clause 0x4
	buffer_load_dword v26, off, s[0:3], 0 offset:908
	buffer_load_dword v52, off, s[0:3], 0 offset:920
	buffer_load_dword v56, off, s[0:3], 0 offset:912
	buffer_load_dword v25, off, s[0:3], 0 offset:904
	buffer_load_dword v49, off, s[0:3], 0 offset:884
	s_waitcnt vmcnt(57) lgkmcnt(0)
	v_mul_f64 v[129:130], v[9:10], v[58:59]
	v_mul_f64 v[57:58], v[11:12], v[58:59]
	s_waitcnt vmcnt(56)
	v_fma_f64 v[46:47], v[1:2], v[54:55], -v[46:47]
	ds_read_b128 v[5:8], v29 offset:1648
	v_fma_f64 v[42:43], v[3:4], v[54:55], v[42:43]
	v_add_f64 v[13:14], v[13:14], v[50:51]
	v_add_f64 v[15:16], v[15:16], v[30:31]
	s_clause 0x2
	buffer_load_dword v53, off, s[0:3], 0 offset:924
	buffer_load_dword v31, off, s[0:3], 0 offset:900
	buffer_load_dword v30, off, s[0:3], 0 offset:896
	ds_read_b128 v[1:4], v29 offset:1664
	s_waitcnt vmcnt(58) lgkmcnt(1)
	v_mul_f64 v[54:55], v[7:8], v[60:61]
	s_waitcnt vmcnt(56)
	v_fma_f64 v[58:59], v[9:10], v[64:65], -v[57:58]
	;; [unrolled: 28-line block ×4, first 2 shown]
	v_mul_f64 v[66:67], v[1:2], v[97:98]
	buffer_load_dword v75, off, s[0:3], 0 offset:980
	v_add_f64 v[13:14], v[13:14], v[62:63]
	v_fma_f64 v[62:63], v[7:8], v[111:112], v[129:130]
	v_add_f64 v[15:16], v[15:16], v[58:59]
	ds_read_b128 v[5:8], v29 offset:1744
	s_waitcnt vmcnt(53) lgkmcnt(1)
	v_mul_f64 v[58:59], v[9:10], v[93:94]
	v_mul_f64 v[93:94], v[11:12], v[93:94]
	s_waitcnt vmcnt(52)
	v_fma_f64 v[72:73], v[1:2], v[99:100], -v[72:73]
	v_fma_f64 v[66:67], v[3:4], v[99:100], v[66:67]
	ds_read_b128 v[1:4], v29 offset:1760
	v_add_f64 v[13:14], v[13:14], v[95:96]
	v_add_f64 v[15:16], v[15:16], v[62:63]
	s_waitcnt vmcnt(51) lgkmcnt(1)
	v_mul_f64 v[95:96], v[7:8], v[109:110]
	v_mul_f64 v[62:63], v[5:6], v[109:110]
	s_waitcnt vmcnt(49)
	v_fma_f64 v[93:94], v[9:10], v[23:24], -v[93:94]
	v_fma_f64 v[23:24], v[11:12], v[23:24], v[58:59]
	v_add_f64 v[13:14], v[13:14], v[72:73]
	v_add_f64 v[15:16], v[15:16], v[66:67]
	s_clause 0x3
	buffer_load_dword v58, off, s[0:3], 0 offset:480
	buffer_load_dword v59, off, s[0:3], 0 offset:484
	;; [unrolled: 1-line block ×4, first 2 shown]
	ds_read_b128 v[9:12], v29 offset:1776
	s_waitcnt vmcnt(49) lgkmcnt(1)
	v_mul_f64 v[72:73], v[1:2], v[27:28]
	v_mul_f64 v[27:28], v[3:4], v[27:28]
	s_waitcnt vmcnt(48)
	v_fma_f64 v[95:96], v[5:6], v[119:120], -v[95:96]
	v_fma_f64 v[62:63], v[7:8], v[119:120], v[62:63]
	ds_read_b128 v[5:8], v29 offset:1792
	v_add_f64 v[13:14], v[13:14], v[93:94]
	v_add_f64 v[15:16], v[15:16], v[23:24]
	s_waitcnt vmcnt(47) lgkmcnt(1)
	v_mul_f64 v[23:24], v[9:10], v[34:35]
	v_mul_f64 v[34:35], v[11:12], v[34:35]
	s_waitcnt vmcnt(45)
	v_fma_f64 v[27:28], v[1:2], v[21:22], -v[27:28]
	v_fma_f64 v[21:22], v[3:4], v[21:22], v[72:73]
	ds_read_b128 v[1:4], v29 offset:1808
	v_add_f64 v[13:14], v[13:14], v[95:96]
	v_add_f64 v[15:16], v[15:16], v[62:63]
	s_waitcnt vmcnt(41) lgkmcnt(1)
	v_mul_f64 v[62:63], v[5:6], v[36:37]
	v_mul_f64 v[36:37], v[7:8], v[36:37]
	s_waitcnt vmcnt(40)
	v_fma_f64 v[23:24], v[11:12], v[117:118], v[23:24]
	v_fma_f64 v[34:35], v[9:10], v[117:118], -v[34:35]
	ds_read_b128 v[9:12], v29 offset:1824
	v_add_f64 v[13:14], v[13:14], v[27:28]
	v_add_f64 v[15:16], v[15:16], v[21:22]
	s_waitcnt vmcnt(39) lgkmcnt(1)
	v_mul_f64 v[27:28], v[3:4], v[38:39]
	v_mul_f64 v[21:22], v[1:2], v[38:39]
	s_waitcnt vmcnt(37)
	v_fma_f64 v[36:37], v[5:6], v[19:20], -v[36:37]
	v_fma_f64 v[19:20], v[7:8], v[19:20], v[62:63]
	ds_read_b128 v[5:8], v29 offset:1840
	v_add_f64 v[13:14], v[13:14], v[34:35]
	v_add_f64 v[15:16], v[15:16], v[23:24]
	s_waitcnt vmcnt(33) lgkmcnt(1)
	v_mul_f64 v[23:24], v[9:10], v[17:18]
	v_mul_f64 v[17:18], v[11:12], v[17:18]
	s_waitcnt vmcnt(32)
	v_fma_f64 v[27:28], v[1:2], v[40:41], -v[27:28]
	v_fma_f64 v[21:22], v[3:4], v[40:41], v[21:22]
	;; [unrolled: 9-line block ×3, first 2 shown]
	ds_read_b128 v[9:12], v29 offset:1872
	v_add_f64 v[13:14], v[13:14], v[27:28]
	v_add_f64 v[15:16], v[15:16], v[21:22]
	s_waitcnt vmcnt(25) lgkmcnt(1)
	v_mul_f64 v[21:22], v[1:2], v[25:26]
	v_mul_f64 v[25:26], v[3:4], v[25:26]
	s_waitcnt vmcnt(24)
	v_fma_f64 v[27:28], v[5:6], v[48:49], -v[34:35]
	v_add_f64 v[13:14], v[13:14], v[17:18]
	v_fma_f64 v[17:18], v[7:8], v[48:49], v[19:20]
	v_add_f64 v[15:16], v[15:16], v[23:24]
	ds_read_b128 v[5:8], v29 offset:1888
	s_waitcnt vmcnt(23) lgkmcnt(1)
	v_mul_f64 v[23:24], v[11:12], v[52:53]
	v_mul_f64 v[19:20], v[9:10], v[52:53]
	s_waitcnt vmcnt(21)
	v_fma_f64 v[25:26], v[1:2], v[30:31], -v[25:26]
	v_fma_f64 v[21:22], v[3:4], v[30:31], v[21:22]
	ds_read_b128 v[1:4], v29 offset:1904
	v_add_f64 v[13:14], v[13:14], v[27:28]
	v_add_f64 v[15:16], v[15:16], v[17:18]
	s_waitcnt vmcnt(17) lgkmcnt(1)
	v_mul_f64 v[27:28], v[7:8], v[42:43]
	s_waitcnt vmcnt(16)
	v_fma_f64 v[23:24], v[9:10], v[56:57], -v[23:24]
	v_mul_f64 v[17:18], v[5:6], v[42:43]
	v_fma_f64 v[19:20], v[11:12], v[56:57], v[19:20]
	ds_read_b128 v[9:12], v29 offset:1920
	v_add_f64 v[13:14], v[13:14], v[25:26]
	v_add_f64 v[15:16], v[15:16], v[21:22]
	s_waitcnt vmcnt(15) lgkmcnt(1)
	v_mul_f64 v[25:26], v[3:4], v[60:61]
	v_mul_f64 v[21:22], v[1:2], v[60:61]
	s_waitcnt vmcnt(13)
	v_fma_f64 v[27:28], v[5:6], v[46:47], -v[27:28]
	v_fma_f64 v[17:18], v[7:8], v[46:47], v[17:18]
	ds_read_b128 v[5:8], v29 offset:1936
	v_add_f64 v[13:14], v[13:14], v[23:24]
	v_add_f64 v[15:16], v[15:16], v[19:20]
	s_waitcnt vmcnt(9) lgkmcnt(1)
	v_mul_f64 v[23:24], v[11:12], v[50:51]
	s_waitcnt vmcnt(8)
	v_fma_f64 v[1:2], v[1:2], v[64:65], -v[25:26]
	v_mul_f64 v[19:20], v[9:10], v[50:51]
	v_fma_f64 v[3:4], v[3:4], v[64:65], v[21:22]
	v_add_f64 v[13:14], v[13:14], v[27:28]
	v_add_f64 v[15:16], v[15:16], v[17:18]
	s_waitcnt vmcnt(7) lgkmcnt(0)
	v_mul_f64 v[21:22], v[7:8], v[70:71]
	v_mul_f64 v[17:18], v[5:6], v[70:71]
	s_waitcnt vmcnt(5)
	v_fma_f64 v[9:10], v[9:10], v[54:55], -v[23:24]
	v_fma_f64 v[11:12], v[11:12], v[54:55], v[19:20]
	v_add_f64 v[1:2], v[13:14], v[1:2]
	v_add_f64 v[3:4], v[15:16], v[3:4]
	s_waitcnt vmcnt(4)
	v_fma_f64 v[5:6], v[5:6], v[74:75], -v[21:22]
	v_fma_f64 v[7:8], v[7:8], v[74:75], v[17:18]
	v_add_f64 v[1:2], v[1:2], v[9:10]
	v_add_f64 v[3:4], v[3:4], v[11:12]
	;; [unrolled: 1-line block ×4, first 2 shown]
	s_waitcnt vmcnt(2)
	v_add_f64 v[1:2], v[58:59], -v[1:2]
	s_waitcnt vmcnt(0)
	v_add_f64 v[3:4], v[66:67], -v[3:4]
	buffer_store_dword v2, off, s[0:3], 0 offset:484
	buffer_store_dword v1, off, s[0:3], 0 offset:480
	;; [unrolled: 1-line block ×4, first 2 shown]
	v_cmpx_lt_u32_e32 28, v0
	s_cbranch_execz .LBB60_335
; %bb.334:
	v_mov_b32_e32 v4, s47
	s_clause 0x3
	buffer_load_dword v1, v4, s[0:3], 0 offen
	buffer_load_dword v2, v4, s[0:3], 0 offen offset:4
	buffer_load_dword v3, v4, s[0:3], 0 offen offset:8
	;; [unrolled: 1-line block ×3, first 2 shown]
	buffer_store_dword v29, off, s[0:3], 0 offset:464
	buffer_store_dword v29, off, s[0:3], 0 offset:468
	buffer_store_dword v29, off, s[0:3], 0 offset:472
	buffer_store_dword v29, off, s[0:3], 0 offset:476
	s_waitcnt vmcnt(0)
	ds_write_b128 v69, v[1:4]
.LBB60_335:
	s_or_b32 exec_lo, exec_lo, s4
	s_waitcnt lgkmcnt(0)
	s_waitcnt_vscnt null, 0x0
	s_barrier
	buffer_gl0_inv
	s_clause 0x37
	buffer_load_dword v9, off, s[0:3], 0 offset:488
	buffer_load_dword v10, off, s[0:3], 0 offset:492
	;; [unrolled: 1-line block ×56, first 2 shown]
	ds_read_b128 v[30:33], v29 offset:1440
	s_clause 0x2
	buffer_load_dword v71, off, s[0:3], 0 offset:716
	buffer_load_dword v75, off, s[0:3], 0 offset:692
	;; [unrolled: 1-line block ×3, first 2 shown]
	ds_read_b128 v[34:37], v29 offset:1456
	s_clause 0x4
	buffer_load_dword v96, off, s[0:3], 0 offset:732
	buffer_load_dword v97, off, s[0:3], 0 offset:744
	;; [unrolled: 1-line block ×5, first 2 shown]
	ds_read_b128 v[38:41], v29 offset:1472
	s_clause 0x2
	buffer_load_dword v98, off, s[0:3], 0 offset:748
	buffer_load_dword v112, off, s[0:3], 0 offset:724
	;; [unrolled: 1-line block ×3, first 2 shown]
	s_mov_b32 s4, exec_lo
	s_waitcnt vmcnt(62) lgkmcnt(2)
	v_mul_f64 v[93:94], v[32:33], v[9:10]
	v_mul_f64 v[9:10], v[30:31], v[9:10]
	s_waitcnt lgkmcnt(1)
	v_mul_f64 v[109:110], v[36:37], v[5:6]
	s_waitcnt vmcnt(59) lgkmcnt(0)
	v_mul_f64 v[117:118], v[40:41], v[3:4]
	v_fma_f64 v[30:31], v[30:31], v[7:8], -v[93:94]
	v_mul_f64 v[93:94], v[34:35], v[5:6]
	v_fma_f64 v[9:10], v[32:33], v[7:8], v[9:10]
	s_waitcnt vmcnt(57)
	v_fma_f64 v[34:35], v[34:35], v[1:2], -v[109:110]
	ds_read_b128 v[5:8], v29 offset:1488
	v_mul_f64 v[32:33], v[38:39], v[3:4]
	s_waitcnt vmcnt(51)
	v_fma_f64 v[38:39], v[38:39], v[25:26], -v[117:118]
	v_add_f64 v[30:31], v[30:31], 0
	v_fma_f64 v[36:37], v[36:37], v[1:2], v[93:94]
	v_add_f64 v[9:10], v[9:10], 0
	s_clause 0x4
	buffer_load_dword v94, off, s[0:3], 0 offset:764
	buffer_load_dword v109, off, s[0:3], 0 offset:776
	;; [unrolled: 1-line block ×5, first 2 shown]
	s_waitcnt lgkmcnt(0)
	v_mul_f64 v[129:130], v[5:6], v[13:14]
	v_mul_f64 v[13:14], v[7:8], v[13:14]
	ds_read_b128 v[1:4], v29 offset:1504
	v_fma_f64 v[25:26], v[40:41], v[25:26], v[32:33]
	v_add_f64 v[34:35], v[30:31], v[34:35]
	v_add_f64 v[9:10], v[9:10], v[36:37]
	s_clause 0x2
	buffer_load_dword v110, off, s[0:3], 0 offset:780
	buffer_load_dword v37, off, s[0:3], 0 offset:756
	;; [unrolled: 1-line block ×3, first 2 shown]
	s_waitcnt vmcnt(58) lgkmcnt(0)
	v_mul_f64 v[40:41], v[1:2], v[17:18]
	v_mul_f64 v[17:18], v[3:4], v[17:18]
	s_waitcnt vmcnt(56)
	v_fma_f64 v[13:14], v[5:6], v[19:20], -v[13:14]
	ds_read_b128 v[30:33], v29 offset:1520
	v_fma_f64 v[19:20], v[7:8], v[19:20], v[129:130]
	v_add_f64 v[34:35], v[34:35], v[38:39]
	v_add_f64 v[9:10], v[9:10], v[25:26]
	s_clause 0x4
	buffer_load_dword v26, off, s[0:3], 0 offset:796
	buffer_load_dword v38, off, s[0:3], 0 offset:808
	;; [unrolled: 1-line block ×5, first 2 shown]
	ds_read_b128 v[5:8], v29 offset:1536
	s_waitcnt vmcnt(57) lgkmcnt(1)
	v_mul_f64 v[129:130], v[30:31], v[21:22]
	v_mul_f64 v[21:22], v[32:33], v[21:22]
	s_waitcnt vmcnt(56)
	v_fma_f64 v[17:18], v[1:2], v[11:12], -v[17:18]
	v_fma_f64 v[11:12], v[3:4], v[11:12], v[40:41]
	v_add_f64 v[13:14], v[34:35], v[13:14]
	v_add_f64 v[9:10], v[9:10], v[19:20]
	s_clause 0x2
	buffer_load_dword v39, off, s[0:3], 0 offset:812
	buffer_load_dword v20, off, s[0:3], 0 offset:788
	buffer_load_dword v19, off, s[0:3], 0 offset:784
	s_waitcnt vmcnt(58) lgkmcnt(0)
	v_mul_f64 v[34:35], v[5:6], v[27:28]
	v_mul_f64 v[27:28], v[7:8], v[27:28]
	s_waitcnt vmcnt(56)
	v_fma_f64 v[21:22], v[30:31], v[42:43], -v[21:22]
	ds_read_b128 v[1:4], v29 offset:1552
	v_add_f64 v[13:14], v[13:14], v[17:18]
	v_fma_f64 v[17:18], v[32:33], v[42:43], v[129:130]
	v_add_f64 v[30:31], v[9:10], v[11:12]
	s_clause 0x4
	buffer_load_dword v33, off, s[0:3], 0 offset:828
	buffer_load_dword v40, off, s[0:3], 0 offset:840
	;; [unrolled: 1-line block ×5, first 2 shown]
	ds_read_b128 v[9:12], v29 offset:1568
	s_waitcnt vmcnt(57) lgkmcnt(1)
	v_mul_f64 v[129:130], v[1:2], v[44:45]
	v_mul_f64 v[43:44], v[3:4], v[44:45]
	s_waitcnt vmcnt(56)
	v_fma_f64 v[27:28], v[5:6], v[15:16], -v[27:28]
	v_fma_f64 v[15:16], v[7:8], v[15:16], v[34:35]
	v_add_f64 v[13:14], v[13:14], v[21:22]
	s_clause 0x2
	buffer_load_dword v41, off, s[0:3], 0 offset:844
	buffer_load_dword v22, off, s[0:3], 0 offset:820
	;; [unrolled: 1-line block ×3, first 2 shown]
	v_add_f64 v[17:18], v[30:31], v[17:18]
	s_waitcnt vmcnt(58) lgkmcnt(0)
	v_mul_f64 v[34:35], v[11:12], v[46:47]
	ds_read_b128 v[5:8], v29 offset:1584
	v_mul_f64 v[30:31], v[9:10], v[46:47]
	s_waitcnt vmcnt(56)
	v_fma_f64 v[44:45], v[1:2], v[48:49], -v[43:44]
	v_add_f64 v[13:14], v[13:14], v[27:28]
	v_fma_f64 v[27:28], v[3:4], v[48:49], v[129:130]
	v_add_f64 v[15:16], v[17:18], v[15:16]
	s_clause 0x4
	buffer_load_dword v18, off, s[0:3], 0 offset:860
	buffer_load_dword v46, off, s[0:3], 0 offset:872
	buffer_load_dword v48, off, s[0:3], 0 offset:864
	buffer_load_dword v17, off, s[0:3], 0 offset:856
	buffer_load_dword v43, off, s[0:3], 0 offset:836
	s_waitcnt vmcnt(57) lgkmcnt(0)
	v_mul_f64 v[129:130], v[5:6], v[50:51]
	v_mul_f64 v[49:50], v[7:8], v[50:51]
	s_waitcnt vmcnt(56)
	v_fma_f64 v[34:35], v[9:10], v[23:24], -v[34:35]
	ds_read_b128 v[1:4], v29 offset:1600
	v_fma_f64 v[23:24], v[11:12], v[23:24], v[30:31]
	v_add_f64 v[13:14], v[13:14], v[44:45]
	v_add_f64 v[15:16], v[15:16], v[27:28]
	s_clause 0x2
	buffer_load_dword v47, off, s[0:3], 0 offset:876
	buffer_load_dword v28, off, s[0:3], 0 offset:852
	buffer_load_dword v27, off, s[0:3], 0 offset:848
	ds_read_b128 v[9:12], v29 offset:1616
	s_waitcnt vmcnt(58) lgkmcnt(1)
	v_mul_f64 v[44:45], v[3:4], v[52:53]
	s_waitcnt vmcnt(56)
	v_fma_f64 v[50:51], v[5:6], v[56:57], -v[49:50]
	v_mul_f64 v[30:31], v[1:2], v[52:53]
	v_add_f64 v[13:14], v[13:14], v[34:35]
	v_fma_f64 v[34:35], v[7:8], v[56:57], v[129:130]
	v_add_f64 v[15:16], v[15:16], v[23:24]
	s_clause 0x4
	buffer_load_dword v24, off, s[0:3], 0 offset:892
	buffer_load_dword v52, off, s[0:3], 0 offset:904
	buffer_load_dword v56, off, s[0:3], 0 offset:896
	buffer_load_dword v23, off, s[0:3], 0 offset:888
	buffer_load_dword v49, off, s[0:3], 0 offset:868
	s_waitcnt vmcnt(57) lgkmcnt(0)
	v_mul_f64 v[129:130], v[9:10], v[58:59]
	v_mul_f64 v[57:58], v[11:12], v[58:59]
	s_waitcnt vmcnt(56)
	v_fma_f64 v[44:45], v[1:2], v[54:55], -v[44:45]
	ds_read_b128 v[5:8], v29 offset:1632
	v_fma_f64 v[30:31], v[3:4], v[54:55], v[30:31]
	v_add_f64 v[13:14], v[13:14], v[50:51]
	v_add_f64 v[15:16], v[15:16], v[34:35]
	s_clause 0x2
	buffer_load_dword v53, off, s[0:3], 0 offset:908
	buffer_load_dword v35, off, s[0:3], 0 offset:884
	buffer_load_dword v34, off, s[0:3], 0 offset:880
	ds_read_b128 v[1:4], v29 offset:1648
	s_waitcnt vmcnt(58) lgkmcnt(1)
	v_mul_f64 v[54:55], v[7:8], v[60:61]
	s_waitcnt vmcnt(56)
	v_fma_f64 v[58:59], v[9:10], v[64:65], -v[57:58]
	v_mul_f64 v[50:51], v[5:6], v[60:61]
	v_add_f64 v[13:14], v[13:14], v[44:45]
	v_fma_f64 v[44:45], v[11:12], v[64:65], v[129:130]
	v_add_f64 v[15:16], v[15:16], v[30:31]
	s_clause 0x4
	buffer_load_dword v31, off, s[0:3], 0 offset:924
	buffer_load_dword v60, off, s[0:3], 0 offset:936
	buffer_load_dword v64, off, s[0:3], 0 offset:928
	buffer_load_dword v30, off, s[0:3], 0 offset:920
	buffer_load_dword v57, off, s[0:3], 0 offset:900
	s_waitcnt vmcnt(57) lgkmcnt(0)
	v_mul_f64 v[129:130], v[1:2], v[66:67]
	v_mul_f64 v[65:66], v[3:4], v[66:67]
	s_waitcnt vmcnt(56)
	v_fma_f64 v[54:55], v[5:6], v[62:63], -v[54:55]
	ds_read_b128 v[9:12], v29 offset:1664
	v_fma_f64 v[50:51], v[7:8], v[62:63], v[50:51]
	v_add_f64 v[13:14], v[13:14], v[58:59]
	v_add_f64 v[15:16], v[15:16], v[44:45]
	s_clause 0x2
	buffer_load_dword v61, off, s[0:3], 0 offset:940
	buffer_load_dword v45, off, s[0:3], 0 offset:916
	buffer_load_dword v44, off, s[0:3], 0 offset:912
	ds_read_b128 v[5:8], v29 offset:1680
	s_waitcnt vmcnt(58) lgkmcnt(1)
	v_mul_f64 v[62:63], v[11:12], v[70:71]
	s_waitcnt vmcnt(56)
	v_fma_f64 v[66:67], v[1:2], v[74:75], -v[65:66]
	v_mul_f64 v[58:59], v[9:10], v[70:71]
	v_add_f64 v[13:14], v[13:14], v[54:55]
	v_fma_f64 v[54:55], v[3:4], v[74:75], v[129:130]
	v_add_f64 v[15:16], v[15:16], v[50:51]
	s_clause 0x4
	buffer_load_dword v51, off, s[0:3], 0 offset:956
	buffer_load_dword v70, off, s[0:3], 0 offset:968
	buffer_load_dword v74, off, s[0:3], 0 offset:960
	buffer_load_dword v50, off, s[0:3], 0 offset:952
	buffer_load_dword v65, off, s[0:3], 0 offset:932
	s_waitcnt vmcnt(57) lgkmcnt(0)
	v_mul_f64 v[129:130], v[5:6], v[95:96]
	v_mul_f64 v[95:96], v[7:8], v[95:96]
	s_waitcnt vmcnt(56)
	v_fma_f64 v[62:63], v[9:10], v[72:73], -v[62:63]
	ds_read_b128 v[1:4], v29 offset:1696
	v_fma_f64 v[58:59], v[11:12], v[72:73], v[58:59]
	v_add_f64 v[13:14], v[13:14], v[66:67]
	v_add_f64 v[15:16], v[15:16], v[54:55]
	s_clause 0x2
	buffer_load_dword v71, off, s[0:3], 0 offset:972
	buffer_load_dword v55, off, s[0:3], 0 offset:948
	buffer_load_dword v54, off, s[0:3], 0 offset:944
	ds_read_b128 v[9:12], v29 offset:1712
	s_waitcnt vmcnt(58) lgkmcnt(1)
	v_mul_f64 v[72:73], v[3:4], v[97:98]
	s_waitcnt vmcnt(56)
	v_fma_f64 v[95:96], v[5:6], v[111:112], -v[95:96]
	v_mul_f64 v[66:67], v[1:2], v[97:98]
	v_add_f64 v[13:14], v[13:14], v[62:63]
	v_fma_f64 v[62:63], v[7:8], v[111:112], v[129:130]
	v_add_f64 v[15:16], v[15:16], v[58:59]
	s_clause 0x2
	buffer_load_dword v59, off, s[0:3], 0 offset:988
	buffer_load_dword v58, off, s[0:3], 0 offset:984
	;; [unrolled: 1-line block ×3, first 2 shown]
	ds_read_b128 v[5:8], v29 offset:1728
	s_waitcnt vmcnt(55) lgkmcnt(1)
	v_mul_f64 v[97:98], v[9:10], v[93:94]
	v_mul_f64 v[93:94], v[11:12], v[93:94]
	s_waitcnt vmcnt(54)
	v_fma_f64 v[72:73], v[1:2], v[99:100], -v[72:73]
	v_fma_f64 v[66:67], v[3:4], v[99:100], v[66:67]
	v_add_f64 v[13:14], v[13:14], v[95:96]
	v_add_f64 v[15:16], v[15:16], v[62:63]
	s_clause 0x1
	buffer_load_dword v63, off, s[0:3], 0 offset:980
	buffer_load_dword v62, off, s[0:3], 0 offset:976
	ds_read_b128 v[1:4], v29 offset:1744
	s_waitcnt vmcnt(55) lgkmcnt(1)
	v_mul_f64 v[99:100], v[7:8], v[109:110]
	v_mul_f64 v[95:96], v[5:6], v[109:110]
	s_waitcnt vmcnt(53)
	v_fma_f64 v[93:94], v[9:10], v[36:37], -v[93:94]
	v_fma_f64 v[36:37], v[11:12], v[36:37], v[97:98]
	ds_read_b128 v[9:12], v29 offset:1760
	v_add_f64 v[13:14], v[13:14], v[72:73]
	v_add_f64 v[15:16], v[15:16], v[66:67]
	s_waitcnt vmcnt(49) lgkmcnt(1)
	v_mul_f64 v[66:67], v[1:2], v[25:26]
	v_mul_f64 v[25:26], v[3:4], v[25:26]
	s_waitcnt vmcnt(48)
	v_fma_f64 v[72:73], v[5:6], v[119:120], -v[99:100]
	v_add_f64 v[13:14], v[13:14], v[93:94]
	v_fma_f64 v[93:94], v[7:8], v[119:120], v[95:96]
	v_add_f64 v[15:16], v[15:16], v[36:37]
	s_clause 0x3
	buffer_load_dword v36, off, s[0:3], 0 offset:464
	buffer_load_dword v37, off, s[0:3], 0 offset:468
	;; [unrolled: 1-line block ×4, first 2 shown]
	ds_read_b128 v[5:8], v29 offset:1776
	s_waitcnt vmcnt(51) lgkmcnt(1)
	v_mul_f64 v[97:98], v[9:10], v[38:39]
	v_mul_f64 v[38:39], v[11:12], v[38:39]
	s_waitcnt vmcnt(49)
	v_fma_f64 v[25:26], v[1:2], v[19:20], -v[25:26]
	v_fma_f64 v[19:20], v[3:4], v[19:20], v[66:67]
	ds_read_b128 v[1:4], v29 offset:1792
	v_add_f64 v[13:14], v[13:14], v[72:73]
	v_add_f64 v[15:16], v[15:16], v[93:94]
	s_waitcnt vmcnt(45) lgkmcnt(1)
	v_mul_f64 v[66:67], v[5:6], v[32:33]
	v_mul_f64 v[32:33], v[7:8], v[32:33]
	s_waitcnt vmcnt(44)
	v_fma_f64 v[38:39], v[9:10], v[117:118], -v[38:39]
	v_add_f64 v[13:14], v[13:14], v[25:26]
	v_fma_f64 v[25:26], v[11:12], v[117:118], v[97:98]
	v_add_f64 v[15:16], v[15:16], v[19:20]
	ds_read_b128 v[9:12], v29 offset:1808
	s_waitcnt vmcnt(43) lgkmcnt(1)
	v_mul_f64 v[19:20], v[1:2], v[40:41]
	v_mul_f64 v[40:41], v[3:4], v[40:41]
	s_waitcnt vmcnt(41)
	v_fma_f64 v[32:33], v[5:6], v[21:22], -v[32:33]
	v_fma_f64 v[21:22], v[7:8], v[21:22], v[66:67]
	ds_read_b128 v[5:8], v29 offset:1824
	v_add_f64 v[13:14], v[13:14], v[38:39]
	v_add_f64 v[15:16], v[15:16], v[25:26]
	s_waitcnt vmcnt(37) lgkmcnt(1)
	v_mul_f64 v[25:26], v[9:10], v[17:18]
	v_mul_f64 v[17:18], v[11:12], v[17:18]
	s_waitcnt vmcnt(36)
	v_fma_f64 v[38:39], v[1:2], v[42:43], -v[40:41]
	v_fma_f64 v[19:20], v[3:4], v[42:43], v[19:20]
	ds_read_b128 v[1:4], v29 offset:1840
	v_add_f64 v[13:14], v[13:14], v[32:33]
	v_add_f64 v[15:16], v[15:16], v[21:22]
	;; [unrolled: 9-line block ×3, first 2 shown]
	s_waitcnt vmcnt(29) lgkmcnt(1)
	v_mul_f64 v[19:20], v[1:2], v[23:24]
	v_mul_f64 v[23:24], v[3:4], v[23:24]
	s_waitcnt vmcnt(28)
	v_fma_f64 v[27:28], v[5:6], v[48:49], -v[32:33]
	v_add_f64 v[13:14], v[13:14], v[17:18]
	v_fma_f64 v[17:18], v[7:8], v[48:49], v[21:22]
	v_add_f64 v[15:16], v[15:16], v[25:26]
	ds_read_b128 v[5:8], v29 offset:1872
	s_waitcnt vmcnt(27) lgkmcnt(1)
	v_mul_f64 v[25:26], v[11:12], v[52:53]
	v_mul_f64 v[21:22], v[9:10], v[52:53]
	s_waitcnt vmcnt(25)
	v_fma_f64 v[23:24], v[1:2], v[34:35], -v[23:24]
	v_fma_f64 v[19:20], v[3:4], v[34:35], v[19:20]
	ds_read_b128 v[1:4], v29 offset:1888
	v_add_f64 v[13:14], v[13:14], v[27:28]
	v_add_f64 v[15:16], v[15:16], v[17:18]
	s_waitcnt vmcnt(21) lgkmcnt(1)
	v_mul_f64 v[27:28], v[7:8], v[30:31]
	s_waitcnt vmcnt(20)
	v_fma_f64 v[25:26], v[9:10], v[56:57], -v[25:26]
	v_mul_f64 v[17:18], v[5:6], v[30:31]
	v_fma_f64 v[21:22], v[11:12], v[56:57], v[21:22]
	ds_read_b128 v[9:12], v29 offset:1904
	v_add_f64 v[13:14], v[13:14], v[23:24]
	v_add_f64 v[15:16], v[15:16], v[19:20]
	s_waitcnt vmcnt(19) lgkmcnt(1)
	v_mul_f64 v[23:24], v[3:4], v[60:61]
	v_mul_f64 v[19:20], v[1:2], v[60:61]
	s_waitcnt vmcnt(17)
	v_fma_f64 v[27:28], v[5:6], v[44:45], -v[27:28]
	v_fma_f64 v[17:18], v[7:8], v[44:45], v[17:18]
	ds_read_b128 v[5:8], v29 offset:1920
	v_add_f64 v[13:14], v[13:14], v[25:26]
	v_add_f64 v[15:16], v[15:16], v[21:22]
	s_waitcnt vmcnt(13) lgkmcnt(1)
	v_mul_f64 v[25:26], v[11:12], v[50:51]
	s_waitcnt vmcnt(12)
	v_fma_f64 v[23:24], v[1:2], v[64:65], -v[23:24]
	v_mul_f64 v[21:22], v[9:10], v[50:51]
	v_fma_f64 v[19:20], v[3:4], v[64:65], v[19:20]
	ds_read_b128 v[1:4], v29 offset:1936
	v_add_f64 v[13:14], v[13:14], v[27:28]
	v_add_f64 v[15:16], v[15:16], v[17:18]
	s_waitcnt vmcnt(11) lgkmcnt(1)
	v_mul_f64 v[27:28], v[7:8], v[70:71]
	v_mul_f64 v[17:18], v[5:6], v[70:71]
	s_waitcnt vmcnt(9)
	v_fma_f64 v[9:10], v[9:10], v[54:55], -v[25:26]
	v_fma_f64 v[11:12], v[11:12], v[54:55], v[21:22]
	v_add_f64 v[13:14], v[13:14], v[23:24]
	v_add_f64 v[15:16], v[15:16], v[19:20]
	s_waitcnt vmcnt(7) lgkmcnt(0)
	v_mul_f64 v[21:22], v[3:4], v[58:59]
	s_waitcnt vmcnt(6)
	v_fma_f64 v[5:6], v[5:6], v[74:75], -v[27:28]
	v_mul_f64 v[19:20], v[1:2], v[58:59]
	v_fma_f64 v[7:8], v[7:8], v[74:75], v[17:18]
	v_add_f64 v[9:10], v[13:14], v[9:10]
	v_add_f64 v[11:12], v[15:16], v[11:12]
	s_waitcnt vmcnt(4)
	v_fma_f64 v[1:2], v[1:2], v[62:63], -v[21:22]
	v_fma_f64 v[3:4], v[3:4], v[62:63], v[19:20]
	v_add_f64 v[5:6], v[9:10], v[5:6]
	v_add_f64 v[7:8], v[11:12], v[7:8]
	;; [unrolled: 1-line block ×4, first 2 shown]
	s_waitcnt vmcnt(2)
	v_add_f64 v[1:2], v[36:37], -v[1:2]
	s_waitcnt vmcnt(0)
	v_add_f64 v[3:4], v[95:96], -v[3:4]
	buffer_store_dword v2, off, s[0:3], 0 offset:468
	buffer_store_dword v1, off, s[0:3], 0 offset:464
	;; [unrolled: 1-line block ×4, first 2 shown]
	v_cmpx_lt_u32_e32 27, v0
	s_cbranch_execz .LBB60_337
; %bb.336:
	v_mov_b32_e32 v4, s48
	v_mov_b32_e32 v5, 0
	s_clause 0x3
	buffer_load_dword v1, v4, s[0:3], 0 offen
	buffer_load_dword v2, v4, s[0:3], 0 offen offset:4
	buffer_load_dword v3, v4, s[0:3], 0 offen offset:8
	;; [unrolled: 1-line block ×3, first 2 shown]
	buffer_store_dword v5, off, s[0:3], 0 offset:448
	buffer_store_dword v5, off, s[0:3], 0 offset:452
	;; [unrolled: 1-line block ×4, first 2 shown]
	s_waitcnt vmcnt(0)
	ds_write_b128 v69, v[1:4]
.LBB60_337:
	s_or_b32 exec_lo, exec_lo, s4
	s_waitcnt lgkmcnt(0)
	s_waitcnt_vscnt null, 0x0
	s_barrier
	buffer_gl0_inv
	s_clause 0x37
	buffer_load_dword v9, off, s[0:3], 0 offset:472
	buffer_load_dword v10, off, s[0:3], 0 offset:476
	;; [unrolled: 1-line block ×56, first 2 shown]
	v_mov_b32_e32 v51, 0
	s_mov_b32 s4, exec_lo
	ds_read_b128 v[39:42], v51 offset:1424
	s_clause 0x2
	buffer_load_dword v71, off, s[0:3], 0 offset:700
	buffer_load_dword v75, off, s[0:3], 0 offset:676
	;; [unrolled: 1-line block ×3, first 2 shown]
	ds_read_b128 v[43:46], v51 offset:1440
	s_clause 0x4
	buffer_load_dword v96, off, s[0:3], 0 offset:716
	buffer_load_dword v97, off, s[0:3], 0 offset:728
	;; [unrolled: 1-line block ×5, first 2 shown]
	ds_read_b128 v[47:50], v51 offset:1456
	s_clause 0x2
	buffer_load_dword v98, off, s[0:3], 0 offset:732
	buffer_load_dword v112, off, s[0:3], 0 offset:708
	;; [unrolled: 1-line block ×3, first 2 shown]
	s_waitcnt vmcnt(62) lgkmcnt(2)
	v_mul_f64 v[93:94], v[41:42], v[9:10]
	v_mul_f64 v[9:10], v[39:40], v[9:10]
	s_waitcnt lgkmcnt(1)
	v_mul_f64 v[109:110], v[45:46], v[5:6]
	s_waitcnt vmcnt(59) lgkmcnt(0)
	v_mul_f64 v[117:118], v[49:50], v[3:4]
	v_fma_f64 v[39:40], v[39:40], v[7:8], -v[93:94]
	v_mul_f64 v[93:94], v[43:44], v[5:6]
	v_fma_f64 v[9:10], v[41:42], v[7:8], v[9:10]
	s_waitcnt vmcnt(57)
	v_fma_f64 v[43:44], v[43:44], v[1:2], -v[109:110]
	ds_read_b128 v[5:8], v51 offset:1472
	v_mul_f64 v[41:42], v[47:48], v[3:4]
	s_waitcnt vmcnt(51)
	v_fma_f64 v[47:48], v[47:48], v[25:26], -v[117:118]
	v_add_f64 v[39:40], v[39:40], 0
	v_fma_f64 v[45:46], v[45:46], v[1:2], v[93:94]
	v_add_f64 v[9:10], v[9:10], 0
	s_clause 0x4
	buffer_load_dword v94, off, s[0:3], 0 offset:748
	buffer_load_dword v109, off, s[0:3], 0 offset:760
	;; [unrolled: 1-line block ×5, first 2 shown]
	s_waitcnt lgkmcnt(0)
	v_mul_f64 v[129:130], v[5:6], v[13:14]
	v_mul_f64 v[13:14], v[7:8], v[13:14]
	ds_read_b128 v[1:4], v51 offset:1488
	v_fma_f64 v[25:26], v[49:50], v[25:26], v[41:42]
	v_add_f64 v[43:44], v[39:40], v[43:44]
	v_add_f64 v[9:10], v[9:10], v[45:46]
	s_clause 0x2
	buffer_load_dword v110, off, s[0:3], 0 offset:764
	buffer_load_dword v46, off, s[0:3], 0 offset:740
	;; [unrolled: 1-line block ×3, first 2 shown]
	s_waitcnt vmcnt(58) lgkmcnt(0)
	v_mul_f64 v[49:50], v[1:2], v[17:18]
	v_mul_f64 v[17:18], v[3:4], v[17:18]
	s_waitcnt vmcnt(56)
	v_fma_f64 v[13:14], v[5:6], v[19:20], -v[13:14]
	ds_read_b128 v[39:42], v51 offset:1504
	v_fma_f64 v[19:20], v[7:8], v[19:20], v[129:130]
	v_add_f64 v[43:44], v[43:44], v[47:48]
	v_add_f64 v[9:10], v[9:10], v[25:26]
	s_clause 0x4
	buffer_load_dword v26, off, s[0:3], 0 offset:780
	buffer_load_dword v47, off, s[0:3], 0 offset:792
	;; [unrolled: 1-line block ×5, first 2 shown]
	ds_read_b128 v[5:8], v51 offset:1520
	s_waitcnt vmcnt(57) lgkmcnt(1)
	v_mul_f64 v[129:130], v[39:40], v[21:22]
	v_mul_f64 v[21:22], v[41:42], v[21:22]
	s_waitcnt vmcnt(56)
	v_fma_f64 v[17:18], v[1:2], v[11:12], -v[17:18]
	v_fma_f64 v[11:12], v[3:4], v[11:12], v[49:50]
	v_add_f64 v[13:14], v[43:44], v[13:14]
	v_add_f64 v[9:10], v[9:10], v[19:20]
	s_clause 0x2
	buffer_load_dword v48, off, s[0:3], 0 offset:796
	buffer_load_dword v20, off, s[0:3], 0 offset:772
	;; [unrolled: 1-line block ×3, first 2 shown]
	s_waitcnt vmcnt(58) lgkmcnt(0)
	v_mul_f64 v[43:44], v[5:6], v[27:28]
	v_mul_f64 v[27:28], v[7:8], v[27:28]
	s_waitcnt vmcnt(56)
	v_fma_f64 v[21:22], v[39:40], v[29:30], -v[21:22]
	ds_read_b128 v[1:4], v51 offset:1536
	v_add_f64 v[13:14], v[13:14], v[17:18]
	v_fma_f64 v[17:18], v[41:42], v[29:30], v[129:130]
	v_add_f64 v[29:30], v[9:10], v[11:12]
	s_clause 0x4
	buffer_load_dword v40, off, s[0:3], 0 offset:812
	buffer_load_dword v41, off, s[0:3], 0 offset:824
	buffer_load_dword v49, off, s[0:3], 0 offset:816
	buffer_load_dword v39, off, s[0:3], 0 offset:808
	buffer_load_dword v118, off, s[0:3], 0 offset:788
	ds_read_b128 v[9:12], v51 offset:1552
	s_waitcnt vmcnt(57) lgkmcnt(1)
	v_mul_f64 v[129:130], v[1:2], v[31:32]
	v_mul_f64 v[31:32], v[3:4], v[31:32]
	s_waitcnt vmcnt(56)
	v_fma_f64 v[27:28], v[5:6], v[15:16], -v[27:28]
	v_fma_f64 v[15:16], v[7:8], v[15:16], v[43:44]
	v_add_f64 v[13:14], v[13:14], v[21:22]
	s_clause 0x2
	buffer_load_dword v42, off, s[0:3], 0 offset:828
	buffer_load_dword v22, off, s[0:3], 0 offset:804
	;; [unrolled: 1-line block ×3, first 2 shown]
	v_add_f64 v[17:18], v[29:30], v[17:18]
	s_waitcnt vmcnt(58) lgkmcnt(0)
	v_mul_f64 v[29:30], v[9:10], v[35:36]
	v_mul_f64 v[35:36], v[11:12], v[35:36]
	ds_read_b128 v[5:8], v51 offset:1568
	s_waitcnt vmcnt(56)
	v_fma_f64 v[31:32], v[1:2], v[37:38], -v[31:32]
	v_add_f64 v[13:14], v[13:14], v[27:28]
	v_fma_f64 v[27:28], v[3:4], v[37:38], v[129:130]
	v_add_f64 v[15:16], v[17:18], v[15:16]
	s_clause 0x4
	buffer_load_dword v18, off, s[0:3], 0 offset:844
	buffer_load_dword v37, off, s[0:3], 0 offset:856
	buffer_load_dword v43, off, s[0:3], 0 offset:848
	buffer_load_dword v17, off, s[0:3], 0 offset:840
	buffer_load_dword v50, off, s[0:3], 0 offset:820
	s_waitcnt vmcnt(57) lgkmcnt(0)
	v_mul_f64 v[129:130], v[5:6], v[52:53]
	v_mul_f64 v[52:53], v[7:8], v[52:53]
	s_waitcnt vmcnt(56)
	v_fma_f64 v[35:36], v[9:10], v[23:24], -v[35:36]
	ds_read_b128 v[1:4], v51 offset:1584
	v_fma_f64 v[23:24], v[11:12], v[23:24], v[29:30]
	v_add_f64 v[13:14], v[13:14], v[31:32]
	v_add_f64 v[15:16], v[15:16], v[27:28]
	s_clause 0x2
	buffer_load_dword v38, off, s[0:3], 0 offset:860
	buffer_load_dword v28, off, s[0:3], 0 offset:836
	;; [unrolled: 1-line block ×3, first 2 shown]
	ds_read_b128 v[9:12], v51 offset:1600
	s_waitcnt vmcnt(58) lgkmcnt(1)
	v_mul_f64 v[31:32], v[3:4], v[54:55]
	s_waitcnt vmcnt(56)
	v_fma_f64 v[52:53], v[5:6], v[56:57], -v[52:53]
	v_mul_f64 v[29:30], v[1:2], v[54:55]
	v_add_f64 v[13:14], v[13:14], v[35:36]
	v_fma_f64 v[35:36], v[7:8], v[56:57], v[129:130]
	v_add_f64 v[15:16], v[15:16], v[23:24]
	s_clause 0x4
	buffer_load_dword v24, off, s[0:3], 0 offset:876
	buffer_load_dword v54, off, s[0:3], 0 offset:888
	buffer_load_dword v56, off, s[0:3], 0 offset:880
	buffer_load_dword v23, off, s[0:3], 0 offset:872
	buffer_load_dword v44, off, s[0:3], 0 offset:852
	s_waitcnt vmcnt(57) lgkmcnt(0)
	v_mul_f64 v[129:130], v[9:10], v[58:59]
	v_mul_f64 v[57:58], v[11:12], v[58:59]
	s_waitcnt vmcnt(56)
	v_fma_f64 v[31:32], v[1:2], v[33:34], -v[31:32]
	ds_read_b128 v[5:8], v51 offset:1616
	v_fma_f64 v[29:30], v[3:4], v[33:34], v[29:30]
	s_clause 0x2
	buffer_load_dword v55, off, s[0:3], 0 offset:892
	buffer_load_dword v34, off, s[0:3], 0 offset:868
	;; [unrolled: 1-line block ×3, first 2 shown]
	ds_read_b128 v[1:4], v51 offset:1632
	v_add_f64 v[13:14], v[13:14], v[52:53]
	v_add_f64 v[15:16], v[15:16], v[35:36]
	s_waitcnt vmcnt(58) lgkmcnt(1)
	v_mul_f64 v[52:53], v[7:8], v[60:61]
	s_waitcnt vmcnt(56)
	v_fma_f64 v[58:59], v[9:10], v[64:65], -v[57:58]
	v_mul_f64 v[35:36], v[5:6], v[60:61]
	v_add_f64 v[13:14], v[13:14], v[31:32]
	v_fma_f64 v[31:32], v[11:12], v[64:65], v[129:130]
	v_add_f64 v[15:16], v[15:16], v[29:30]
	s_clause 0x4
	buffer_load_dword v30, off, s[0:3], 0 offset:908
	buffer_load_dword v60, off, s[0:3], 0 offset:920
	;; [unrolled: 1-line block ×5, first 2 shown]
	s_waitcnt vmcnt(57) lgkmcnt(0)
	v_mul_f64 v[129:130], v[1:2], v[66:67]
	v_mul_f64 v[65:66], v[3:4], v[66:67]
	s_waitcnt vmcnt(56)
	v_fma_f64 v[52:53], v[5:6], v[62:63], -v[52:53]
	ds_read_b128 v[9:12], v51 offset:1648
	v_fma_f64 v[35:36], v[7:8], v[62:63], v[35:36]
	v_add_f64 v[13:14], v[13:14], v[58:59]
	v_add_f64 v[15:16], v[15:16], v[31:32]
	s_clause 0x2
	buffer_load_dword v61, off, s[0:3], 0 offset:924
	buffer_load_dword v32, off, s[0:3], 0 offset:900
	;; [unrolled: 1-line block ×3, first 2 shown]
	ds_read_b128 v[5:8], v51 offset:1664
	s_waitcnt vmcnt(58) lgkmcnt(1)
	v_mul_f64 v[62:63], v[11:12], v[70:71]
	s_waitcnt vmcnt(56)
	v_fma_f64 v[66:67], v[1:2], v[74:75], -v[65:66]
	v_mul_f64 v[58:59], v[9:10], v[70:71]
	v_add_f64 v[13:14], v[13:14], v[52:53]
	v_fma_f64 v[52:53], v[3:4], v[74:75], v[129:130]
	v_add_f64 v[15:16], v[15:16], v[35:36]
	s_clause 0x4
	buffer_load_dword v36, off, s[0:3], 0 offset:940
	buffer_load_dword v70, off, s[0:3], 0 offset:952
	;; [unrolled: 1-line block ×5, first 2 shown]
	s_waitcnt vmcnt(57) lgkmcnt(0)
	v_mul_f64 v[129:130], v[5:6], v[95:96]
	v_mul_f64 v[95:96], v[7:8], v[95:96]
	s_waitcnt vmcnt(56)
	v_fma_f64 v[62:63], v[9:10], v[72:73], -v[62:63]
	ds_read_b128 v[1:4], v51 offset:1680
	v_fma_f64 v[58:59], v[11:12], v[72:73], v[58:59]
	v_add_f64 v[13:14], v[13:14], v[66:67]
	v_add_f64 v[15:16], v[15:16], v[52:53]
	s_clause 0x2
	buffer_load_dword v71, off, s[0:3], 0 offset:956
	buffer_load_dword v53, off, s[0:3], 0 offset:932
	;; [unrolled: 1-line block ×3, first 2 shown]
	ds_read_b128 v[9:12], v51 offset:1696
	s_waitcnt vmcnt(58) lgkmcnt(1)
	v_mul_f64 v[72:73], v[3:4], v[97:98]
	s_waitcnt vmcnt(56)
	v_fma_f64 v[95:96], v[5:6], v[111:112], -v[95:96]
	v_mul_f64 v[66:67], v[1:2], v[97:98]
	v_add_f64 v[13:14], v[13:14], v[62:63]
	v_fma_f64 v[62:63], v[7:8], v[111:112], v[129:130]
	v_add_f64 v[15:16], v[15:16], v[58:59]
	s_clause 0x4
	buffer_load_dword v59, off, s[0:3], 0 offset:972
	buffer_load_dword v97, off, s[0:3], 0 offset:984
	;; [unrolled: 1-line block ×5, first 2 shown]
	ds_read_b128 v[5:8], v51 offset:1712
	s_waitcnt vmcnt(57) lgkmcnt(1)
	v_mul_f64 v[129:130], v[9:10], v[93:94]
	v_mul_f64 v[93:94], v[11:12], v[93:94]
	s_waitcnt vmcnt(56)
	v_fma_f64 v[72:73], v[1:2], v[99:100], -v[72:73]
	v_fma_f64 v[66:67], v[3:4], v[99:100], v[66:67]
	v_add_f64 v[13:14], v[13:14], v[95:96]
	v_add_f64 v[15:16], v[15:16], v[62:63]
	s_clause 0x2
	buffer_load_dword v98, off, s[0:3], 0 offset:988
	buffer_load_dword v63, off, s[0:3], 0 offset:964
	;; [unrolled: 1-line block ×3, first 2 shown]
	ds_read_b128 v[1:4], v51 offset:1728
	buffer_load_dword v112, off, s[0:3], 0 offset:980
	s_waitcnt vmcnt(59) lgkmcnt(1)
	v_mul_f64 v[99:100], v[7:8], v[109:110]
	v_mul_f64 v[95:96], v[5:6], v[109:110]
	s_waitcnt vmcnt(57)
	v_fma_f64 v[93:94], v[9:10], v[45:46], -v[93:94]
	v_fma_f64 v[45:46], v[11:12], v[45:46], v[129:130]
	ds_read_b128 v[9:12], v51 offset:1744
	v_add_f64 v[13:14], v[13:14], v[72:73]
	v_add_f64 v[15:16], v[15:16], v[66:67]
	s_waitcnt vmcnt(53) lgkmcnt(1)
	v_mul_f64 v[66:67], v[1:2], v[25:26]
	v_mul_f64 v[25:26], v[3:4], v[25:26]
	s_waitcnt vmcnt(52)
	v_fma_f64 v[72:73], v[5:6], v[119:120], -v[99:100]
	v_add_f64 v[13:14], v[13:14], v[93:94]
	v_fma_f64 v[93:94], v[7:8], v[119:120], v[95:96]
	v_add_f64 v[15:16], v[15:16], v[45:46]
	ds_read_b128 v[5:8], v51 offset:1760
	s_waitcnt vmcnt(51) lgkmcnt(1)
	v_mul_f64 v[45:46], v[9:10], v[47:48]
	v_mul_f64 v[47:48], v[11:12], v[47:48]
	s_waitcnt vmcnt(49)
	v_fma_f64 v[25:26], v[1:2], v[19:20], -v[25:26]
	v_fma_f64 v[19:20], v[3:4], v[19:20], v[66:67]
	v_add_f64 v[13:14], v[13:14], v[72:73]
	s_clause 0x3
	buffer_load_dword v66, off, s[0:3], 0 offset:448
	buffer_load_dword v67, off, s[0:3], 0 offset:452
	buffer_load_dword v72, off, s[0:3], 0 offset:456
	buffer_load_dword v73, off, s[0:3], 0 offset:460
	v_add_f64 v[15:16], v[15:16], v[93:94]
	ds_read_b128 v[1:4], v51 offset:1776
	s_waitcnt vmcnt(49) lgkmcnt(1)
	v_mul_f64 v[93:94], v[5:6], v[39:40]
	v_mul_f64 v[39:40], v[7:8], v[39:40]
	s_waitcnt vmcnt(48)
	v_fma_f64 v[47:48], v[9:10], v[117:118], -v[47:48]
	v_add_f64 v[13:14], v[13:14], v[25:26]
	v_fma_f64 v[25:26], v[11:12], v[117:118], v[45:46]
	v_add_f64 v[15:16], v[15:16], v[19:20]
	ds_read_b128 v[9:12], v51 offset:1792
	s_waitcnt vmcnt(47) lgkmcnt(1)
	v_mul_f64 v[19:20], v[1:2], v[41:42]
	v_mul_f64 v[41:42], v[3:4], v[41:42]
	s_waitcnt vmcnt(45)
	v_fma_f64 v[39:40], v[5:6], v[21:22], -v[39:40]
	v_fma_f64 v[21:22], v[7:8], v[21:22], v[93:94]
	ds_read_b128 v[5:8], v51 offset:1808
	v_add_f64 v[13:14], v[13:14], v[47:48]
	v_add_f64 v[15:16], v[15:16], v[25:26]
	s_waitcnt vmcnt(41) lgkmcnt(1)
	v_mul_f64 v[25:26], v[9:10], v[17:18]
	v_mul_f64 v[17:18], v[11:12], v[17:18]
	s_waitcnt vmcnt(40)
	v_fma_f64 v[41:42], v[1:2], v[49:50], -v[41:42]
	v_fma_f64 v[19:20], v[3:4], v[49:50], v[19:20]
	ds_read_b128 v[1:4], v51 offset:1824
	v_add_f64 v[13:14], v[13:14], v[39:40]
	v_add_f64 v[15:16], v[15:16], v[21:22]
	;; [unrolled: 9-line block ×3, first 2 shown]
	s_waitcnt vmcnt(33) lgkmcnt(1)
	v_mul_f64 v[19:20], v[1:2], v[23:24]
	v_mul_f64 v[23:24], v[3:4], v[23:24]
	s_waitcnt vmcnt(32)
	v_fma_f64 v[27:28], v[5:6], v[43:44], -v[37:38]
	v_add_f64 v[13:14], v[13:14], v[17:18]
	v_fma_f64 v[17:18], v[7:8], v[43:44], v[21:22]
	v_add_f64 v[15:16], v[15:16], v[25:26]
	ds_read_b128 v[5:8], v51 offset:1856
	s_waitcnt vmcnt(31) lgkmcnt(1)
	v_mul_f64 v[25:26], v[11:12], v[54:55]
	v_mul_f64 v[21:22], v[9:10], v[54:55]
	s_waitcnt vmcnt(29)
	v_fma_f64 v[19:20], v[3:4], v[33:34], v[19:20]
	v_fma_f64 v[23:24], v[1:2], v[33:34], -v[23:24]
	ds_read_b128 v[1:4], v51 offset:1872
	v_add_f64 v[13:14], v[13:14], v[27:28]
	v_add_f64 v[15:16], v[15:16], v[17:18]
	s_waitcnt vmcnt(25) lgkmcnt(1)
	v_mul_f64 v[27:28], v[7:8], v[29:30]
	s_waitcnt vmcnt(24)
	v_fma_f64 v[25:26], v[9:10], v[56:57], -v[25:26]
	v_mul_f64 v[17:18], v[5:6], v[29:30]
	v_fma_f64 v[21:22], v[11:12], v[56:57], v[21:22]
	ds_read_b128 v[9:12], v51 offset:1888
	v_add_f64 v[13:14], v[13:14], v[23:24]
	v_add_f64 v[15:16], v[15:16], v[19:20]
	s_waitcnt vmcnt(23) lgkmcnt(1)
	v_mul_f64 v[23:24], v[3:4], v[60:61]
	v_mul_f64 v[19:20], v[1:2], v[60:61]
	s_waitcnt vmcnt(21)
	v_fma_f64 v[27:28], v[5:6], v[31:32], -v[27:28]
	v_fma_f64 v[17:18], v[7:8], v[31:32], v[17:18]
	ds_read_b128 v[5:8], v51 offset:1904
	v_add_f64 v[13:14], v[13:14], v[25:26]
	v_add_f64 v[15:16], v[15:16], v[21:22]
	s_waitcnt vmcnt(17) lgkmcnt(1)
	v_mul_f64 v[25:26], v[11:12], v[35:36]
	s_waitcnt vmcnt(16)
	v_fma_f64 v[23:24], v[1:2], v[64:65], -v[23:24]
	v_mul_f64 v[21:22], v[9:10], v[35:36]
	v_fma_f64 v[19:20], v[3:4], v[64:65], v[19:20]
	ds_read_b128 v[1:4], v51 offset:1920
	v_add_f64 v[13:14], v[13:14], v[27:28]
	v_add_f64 v[15:16], v[15:16], v[17:18]
	s_waitcnt vmcnt(15) lgkmcnt(1)
	v_mul_f64 v[27:28], v[7:8], v[70:71]
	v_mul_f64 v[17:18], v[5:6], v[70:71]
	s_waitcnt vmcnt(13)
	v_fma_f64 v[25:26], v[9:10], v[52:53], -v[25:26]
	v_fma_f64 v[21:22], v[11:12], v[52:53], v[21:22]
	ds_read_b128 v[9:12], v51 offset:1936
	v_add_f64 v[13:14], v[13:14], v[23:24]
	v_add_f64 v[15:16], v[15:16], v[19:20]
	s_waitcnt vmcnt(9) lgkmcnt(1)
	v_mul_f64 v[23:24], v[3:4], v[58:59]
	s_waitcnt vmcnt(8)
	v_fma_f64 v[5:6], v[5:6], v[74:75], -v[27:28]
	v_mul_f64 v[19:20], v[1:2], v[58:59]
	v_fma_f64 v[7:8], v[7:8], v[74:75], v[17:18]
	v_add_f64 v[13:14], v[13:14], v[25:26]
	v_add_f64 v[15:16], v[15:16], v[21:22]
	s_waitcnt vmcnt(7) lgkmcnt(0)
	v_mul_f64 v[21:22], v[11:12], v[97:98]
	v_mul_f64 v[17:18], v[9:10], v[97:98]
	s_waitcnt vmcnt(5)
	v_fma_f64 v[1:2], v[1:2], v[62:63], -v[23:24]
	v_fma_f64 v[3:4], v[3:4], v[62:63], v[19:20]
	v_add_f64 v[5:6], v[13:14], v[5:6]
	v_add_f64 v[7:8], v[15:16], v[7:8]
	s_waitcnt vmcnt(4)
	v_fma_f64 v[9:10], v[9:10], v[111:112], -v[21:22]
	v_add_f64 v[1:2], v[5:6], v[1:2]
	v_fma_f64 v[5:6], v[11:12], v[111:112], v[17:18]
	v_add_f64 v[3:4], v[7:8], v[3:4]
	v_add_f64 v[1:2], v[1:2], v[9:10]
	;; [unrolled: 1-line block ×3, first 2 shown]
	s_waitcnt vmcnt(2)
	v_add_f64 v[1:2], v[66:67], -v[1:2]
	s_waitcnt vmcnt(0)
	v_add_f64 v[3:4], v[72:73], -v[3:4]
	buffer_store_dword v2, off, s[0:3], 0 offset:452
	buffer_store_dword v1, off, s[0:3], 0 offset:448
	;; [unrolled: 1-line block ×4, first 2 shown]
	v_cmpx_lt_u32_e32 26, v0
	s_cbranch_execz .LBB60_339
; %bb.338:
	v_mov_b32_e32 v4, s49
	s_clause 0x3
	buffer_load_dword v1, v4, s[0:3], 0 offen
	buffer_load_dword v2, v4, s[0:3], 0 offen offset:4
	buffer_load_dword v3, v4, s[0:3], 0 offen offset:8
	;; [unrolled: 1-line block ×3, first 2 shown]
	buffer_store_dword v51, off, s[0:3], 0 offset:432
	buffer_store_dword v51, off, s[0:3], 0 offset:436
	;; [unrolled: 1-line block ×4, first 2 shown]
	s_waitcnt vmcnt(0)
	ds_write_b128 v69, v[1:4]
.LBB60_339:
	s_or_b32 exec_lo, exec_lo, s4
	s_waitcnt lgkmcnt(0)
	s_waitcnt_vscnt null, 0x0
	s_barrier
	buffer_gl0_inv
	s_clause 0x37
	buffer_load_dword v9, off, s[0:3], 0 offset:456
	buffer_load_dword v10, off, s[0:3], 0 offset:460
	;; [unrolled: 1-line block ×56, first 2 shown]
	ds_read_b128 v[52:55], v51 offset:1408
	s_clause 0x2
	buffer_load_dword v73, off, s[0:3], 0 offset:684
	buffer_load_dword v75, off, s[0:3], 0 offset:660
	buffer_load_dword v74, off, s[0:3], 0 offset:656
	ds_read_b128 v[56:59], v51 offset:1424
	s_clause 0x4
	buffer_load_dword v96, off, s[0:3], 0 offset:700
	buffer_load_dword v97, off, s[0:3], 0 offset:712
	;; [unrolled: 1-line block ×5, first 2 shown]
	ds_read_b128 v[60:63], v51 offset:1440
	s_clause 0x2
	buffer_load_dword v98, off, s[0:3], 0 offset:716
	buffer_load_dword v112, off, s[0:3], 0 offset:692
	;; [unrolled: 1-line block ×3, first 2 shown]
	s_mov_b32 s4, exec_lo
	s_waitcnt vmcnt(62) lgkmcnt(2)
	v_mul_f64 v[93:94], v[54:55], v[9:10]
	v_mul_f64 v[9:10], v[52:53], v[9:10]
	s_waitcnt lgkmcnt(1)
	v_mul_f64 v[109:110], v[58:59], v[5:6]
	s_waitcnt vmcnt(59) lgkmcnt(0)
	v_mul_f64 v[117:118], v[62:63], v[3:4]
	v_fma_f64 v[52:53], v[52:53], v[7:8], -v[93:94]
	v_mul_f64 v[93:94], v[56:57], v[5:6]
	v_fma_f64 v[9:10], v[54:55], v[7:8], v[9:10]
	s_waitcnt vmcnt(57)
	v_fma_f64 v[56:57], v[56:57], v[1:2], -v[109:110]
	ds_read_b128 v[5:8], v51 offset:1456
	v_mul_f64 v[54:55], v[60:61], v[3:4]
	s_waitcnt vmcnt(51)
	v_fma_f64 v[60:61], v[60:61], v[25:26], -v[117:118]
	v_add_f64 v[52:53], v[52:53], 0
	v_fma_f64 v[58:59], v[58:59], v[1:2], v[93:94]
	v_add_f64 v[9:10], v[9:10], 0
	s_clause 0x4
	buffer_load_dword v94, off, s[0:3], 0 offset:732
	buffer_load_dword v109, off, s[0:3], 0 offset:744
	;; [unrolled: 1-line block ×5, first 2 shown]
	s_waitcnt lgkmcnt(0)
	v_mul_f64 v[129:130], v[5:6], v[13:14]
	v_mul_f64 v[13:14], v[7:8], v[13:14]
	ds_read_b128 v[1:4], v51 offset:1472
	v_fma_f64 v[25:26], v[62:63], v[25:26], v[54:55]
	v_add_f64 v[56:57], v[52:53], v[56:57]
	v_add_f64 v[9:10], v[9:10], v[58:59]
	s_clause 0x2
	buffer_load_dword v110, off, s[0:3], 0 offset:748
	buffer_load_dword v59, off, s[0:3], 0 offset:724
	;; [unrolled: 1-line block ×3, first 2 shown]
	s_waitcnt vmcnt(58) lgkmcnt(0)
	v_mul_f64 v[62:63], v[1:2], v[17:18]
	v_mul_f64 v[17:18], v[3:4], v[17:18]
	s_waitcnt vmcnt(56)
	v_fma_f64 v[13:14], v[5:6], v[19:20], -v[13:14]
	ds_read_b128 v[52:55], v51 offset:1488
	v_fma_f64 v[19:20], v[7:8], v[19:20], v[129:130]
	v_add_f64 v[56:57], v[56:57], v[60:61]
	v_add_f64 v[9:10], v[9:10], v[25:26]
	s_clause 0x4
	buffer_load_dword v26, off, s[0:3], 0 offset:764
	buffer_load_dword v60, off, s[0:3], 0 offset:776
	;; [unrolled: 1-line block ×5, first 2 shown]
	ds_read_b128 v[5:8], v51 offset:1504
	s_waitcnt vmcnt(57) lgkmcnt(1)
	v_mul_f64 v[129:130], v[52:53], v[21:22]
	v_mul_f64 v[21:22], v[54:55], v[21:22]
	s_waitcnt vmcnt(56)
	v_fma_f64 v[17:18], v[1:2], v[11:12], -v[17:18]
	v_fma_f64 v[11:12], v[3:4], v[11:12], v[62:63]
	v_add_f64 v[13:14], v[56:57], v[13:14]
	v_add_f64 v[9:10], v[9:10], v[19:20]
	s_clause 0x2
	buffer_load_dword v61, off, s[0:3], 0 offset:780
	buffer_load_dword v20, off, s[0:3], 0 offset:756
	;; [unrolled: 1-line block ×3, first 2 shown]
	s_waitcnt vmcnt(58) lgkmcnt(0)
	v_mul_f64 v[56:57], v[5:6], v[27:28]
	v_mul_f64 v[27:28], v[7:8], v[27:28]
	s_waitcnt vmcnt(56)
	v_fma_f64 v[21:22], v[52:53], v[29:30], -v[21:22]
	ds_read_b128 v[1:4], v51 offset:1520
	v_add_f64 v[13:14], v[13:14], v[17:18]
	v_fma_f64 v[17:18], v[54:55], v[29:30], v[129:130]
	v_add_f64 v[29:30], v[9:10], v[11:12]
	s_clause 0x4
	buffer_load_dword v53, off, s[0:3], 0 offset:796
	buffer_load_dword v54, off, s[0:3], 0 offset:808
	;; [unrolled: 1-line block ×5, first 2 shown]
	ds_read_b128 v[9:12], v51 offset:1536
	s_waitcnt vmcnt(57) lgkmcnt(1)
	v_mul_f64 v[129:130], v[1:2], v[31:32]
	v_mul_f64 v[31:32], v[3:4], v[31:32]
	s_waitcnt vmcnt(56)
	v_fma_f64 v[27:28], v[5:6], v[15:16], -v[27:28]
	v_fma_f64 v[15:16], v[7:8], v[15:16], v[56:57]
	v_add_f64 v[13:14], v[13:14], v[21:22]
	s_clause 0x2
	buffer_load_dword v55, off, s[0:3], 0 offset:812
	buffer_load_dword v22, off, s[0:3], 0 offset:788
	;; [unrolled: 1-line block ×3, first 2 shown]
	v_add_f64 v[17:18], v[29:30], v[17:18]
	s_waitcnt vmcnt(58) lgkmcnt(0)
	v_mul_f64 v[29:30], v[9:10], v[35:36]
	v_mul_f64 v[35:36], v[11:12], v[35:36]
	ds_read_b128 v[5:8], v51 offset:1552
	s_waitcnt vmcnt(56)
	v_fma_f64 v[31:32], v[1:2], v[37:38], -v[31:32]
	v_add_f64 v[13:14], v[13:14], v[27:28]
	v_fma_f64 v[27:28], v[3:4], v[37:38], v[129:130]
	v_add_f64 v[15:16], v[17:18], v[15:16]
	s_clause 0x4
	buffer_load_dword v18, off, s[0:3], 0 offset:828
	buffer_load_dword v37, off, s[0:3], 0 offset:840
	;; [unrolled: 1-line block ×5, first 2 shown]
	s_waitcnt vmcnt(57) lgkmcnt(0)
	v_mul_f64 v[129:130], v[5:6], v[39:40]
	v_mul_f64 v[39:40], v[7:8], v[39:40]
	s_waitcnt vmcnt(56)
	v_fma_f64 v[35:36], v[9:10], v[23:24], -v[35:36]
	ds_read_b128 v[1:4], v51 offset:1568
	v_fma_f64 v[23:24], v[11:12], v[23:24], v[29:30]
	v_add_f64 v[13:14], v[13:14], v[31:32]
	v_add_f64 v[15:16], v[15:16], v[27:28]
	s_clause 0x2
	buffer_load_dword v38, off, s[0:3], 0 offset:844
	buffer_load_dword v28, off, s[0:3], 0 offset:820
	;; [unrolled: 1-line block ×3, first 2 shown]
	ds_read_b128 v[9:12], v51 offset:1584
	s_waitcnt vmcnt(58) lgkmcnt(1)
	v_mul_f64 v[31:32], v[3:4], v[43:44]
	s_waitcnt vmcnt(56)
	v_fma_f64 v[39:40], v[5:6], v[45:46], -v[39:40]
	v_mul_f64 v[29:30], v[1:2], v[43:44]
	v_add_f64 v[13:14], v[13:14], v[35:36]
	v_fma_f64 v[35:36], v[7:8], v[45:46], v[129:130]
	v_add_f64 v[15:16], v[15:16], v[23:24]
	s_clause 0x4
	buffer_load_dword v24, off, s[0:3], 0 offset:860
	buffer_load_dword v43, off, s[0:3], 0 offset:872
	;; [unrolled: 1-line block ×5, first 2 shown]
	s_waitcnt vmcnt(57) lgkmcnt(0)
	v_mul_f64 v[129:130], v[9:10], v[47:48]
	v_mul_f64 v[46:47], v[11:12], v[47:48]
	s_waitcnt vmcnt(56)
	v_fma_f64 v[31:32], v[1:2], v[33:34], -v[31:32]
	ds_read_b128 v[5:8], v51 offset:1600
	v_fma_f64 v[29:30], v[3:4], v[33:34], v[29:30]
	s_clause 0x2
	buffer_load_dword v44, off, s[0:3], 0 offset:876
	buffer_load_dword v34, off, s[0:3], 0 offset:852
	;; [unrolled: 1-line block ×3, first 2 shown]
	ds_read_b128 v[1:4], v51 offset:1616
	v_add_f64 v[13:14], v[13:14], v[39:40]
	v_add_f64 v[15:16], v[15:16], v[35:36]
	s_waitcnt vmcnt(58) lgkmcnt(1)
	v_mul_f64 v[39:40], v[7:8], v[64:65]
	s_waitcnt vmcnt(56)
	v_fma_f64 v[47:48], v[9:10], v[66:67], -v[46:47]
	v_mul_f64 v[35:36], v[5:6], v[64:65]
	v_add_f64 v[13:14], v[13:14], v[31:32]
	v_fma_f64 v[31:32], v[11:12], v[66:67], v[129:130]
	v_add_f64 v[15:16], v[15:16], v[29:30]
	s_clause 0x4
	buffer_load_dword v30, off, s[0:3], 0 offset:892
	buffer_load_dword v64, off, s[0:3], 0 offset:904
	;; [unrolled: 1-line block ×5, first 2 shown]
	s_waitcnt vmcnt(57) lgkmcnt(0)
	v_mul_f64 v[67:68], v[1:2], v[70:71]
	v_mul_f64 v[70:71], v[3:4], v[70:71]
	s_waitcnt vmcnt(56)
	v_fma_f64 v[39:40], v[5:6], v[41:42], -v[39:40]
	ds_read_b128 v[9:12], v51 offset:1632
	v_fma_f64 v[35:36], v[7:8], v[41:42], v[35:36]
	v_add_f64 v[13:14], v[13:14], v[47:48]
	v_add_f64 v[15:16], v[15:16], v[31:32]
	s_clause 0x2
	buffer_load_dword v65, off, s[0:3], 0 offset:908
	buffer_load_dword v32, off, s[0:3], 0 offset:884
	;; [unrolled: 1-line block ×3, first 2 shown]
	ds_read_b128 v[5:8], v51 offset:1648
	s_waitcnt vmcnt(58) lgkmcnt(1)
	v_mul_f64 v[47:48], v[11:12], v[72:73]
	s_waitcnt vmcnt(56)
	v_fma_f64 v[70:71], v[1:2], v[74:75], -v[70:71]
	v_mul_f64 v[41:42], v[9:10], v[72:73]
	v_add_f64 v[13:14], v[13:14], v[39:40]
	v_fma_f64 v[39:40], v[3:4], v[74:75], v[67:68]
	v_add_f64 v[15:16], v[15:16], v[35:36]
	s_clause 0x4
	buffer_load_dword v36, off, s[0:3], 0 offset:924
	buffer_load_dword v72, off, s[0:3], 0 offset:936
	;; [unrolled: 1-line block ×5, first 2 shown]
	s_waitcnt vmcnt(57) lgkmcnt(0)
	v_mul_f64 v[129:130], v[5:6], v[95:96]
	v_mul_f64 v[95:96], v[7:8], v[95:96]
	s_waitcnt vmcnt(56)
	v_fma_f64 v[47:48], v[9:10], v[49:50], -v[47:48]
	ds_read_b128 v[1:4], v51 offset:1664
	v_fma_f64 v[41:42], v[11:12], v[49:50], v[41:42]
	v_add_f64 v[13:14], v[13:14], v[70:71]
	v_add_f64 v[15:16], v[15:16], v[39:40]
	s_clause 0x2
	buffer_load_dword v73, off, s[0:3], 0 offset:940
	buffer_load_dword v40, off, s[0:3], 0 offset:916
	;; [unrolled: 1-line block ×3, first 2 shown]
	ds_read_b128 v[9:12], v51 offset:1680
	s_waitcnt vmcnt(58) lgkmcnt(1)
	v_mul_f64 v[70:71], v[3:4], v[97:98]
	s_waitcnt vmcnt(56)
	v_fma_f64 v[95:96], v[5:6], v[111:112], -v[95:96]
	v_mul_f64 v[49:50], v[1:2], v[97:98]
	v_add_f64 v[13:14], v[13:14], v[47:48]
	v_fma_f64 v[47:48], v[7:8], v[111:112], v[129:130]
	v_add_f64 v[15:16], v[15:16], v[41:42]
	s_clause 0x4
	buffer_load_dword v42, off, s[0:3], 0 offset:956
	buffer_load_dword v97, off, s[0:3], 0 offset:968
	;; [unrolled: 1-line block ×5, first 2 shown]
	ds_read_b128 v[5:8], v51 offset:1696
	s_waitcnt vmcnt(57) lgkmcnt(1)
	v_mul_f64 v[129:130], v[9:10], v[93:94]
	v_mul_f64 v[93:94], v[11:12], v[93:94]
	s_waitcnt vmcnt(56)
	v_fma_f64 v[70:71], v[1:2], v[99:100], -v[70:71]
	v_fma_f64 v[49:50], v[3:4], v[99:100], v[49:50]
	v_add_f64 v[13:14], v[13:14], v[95:96]
	v_add_f64 v[15:16], v[15:16], v[47:48]
	s_clause 0x2
	buffer_load_dword v98, off, s[0:3], 0 offset:972
	buffer_load_dword v48, off, s[0:3], 0 offset:948
	;; [unrolled: 1-line block ×3, first 2 shown]
	ds_read_b128 v[1:4], v51 offset:1712
	s_waitcnt vmcnt(58) lgkmcnt(1)
	v_mul_f64 v[99:100], v[7:8], v[109:110]
	v_mul_f64 v[95:96], v[5:6], v[109:110]
	s_waitcnt vmcnt(56)
	v_fma_f64 v[93:94], v[9:10], v[58:59], -v[93:94]
	v_fma_f64 v[58:59], v[11:12], v[58:59], v[129:130]
	v_add_f64 v[13:14], v[13:14], v[70:71]
	v_add_f64 v[15:16], v[15:16], v[49:50]
	s_clause 0x2
	buffer_load_dword v50, off, s[0:3], 0 offset:988
	buffer_load_dword v49, off, s[0:3], 0 offset:984
	;; [unrolled: 1-line block ×3, first 2 shown]
	ds_read_b128 v[9:12], v51 offset:1728
	s_waitcnt vmcnt(55) lgkmcnt(1)
	v_mul_f64 v[70:71], v[1:2], v[25:26]
	v_mul_f64 v[25:26], v[3:4], v[25:26]
	s_waitcnt vmcnt(54)
	v_fma_f64 v[99:100], v[5:6], v[119:120], -v[99:100]
	v_add_f64 v[13:14], v[13:14], v[93:94]
	v_fma_f64 v[93:94], v[7:8], v[119:120], v[95:96]
	v_add_f64 v[15:16], v[15:16], v[58:59]
	s_clause 0x1
	buffer_load_dword v59, off, s[0:3], 0 offset:980
	buffer_load_dword v58, off, s[0:3], 0 offset:976
	ds_read_b128 v[5:8], v51 offset:1744
	s_waitcnt vmcnt(55) lgkmcnt(1)
	v_mul_f64 v[95:96], v[9:10], v[60:61]
	v_mul_f64 v[60:61], v[11:12], v[60:61]
	s_waitcnt vmcnt(53)
	v_fma_f64 v[25:26], v[1:2], v[19:20], -v[25:26]
	v_fma_f64 v[19:20], v[3:4], v[19:20], v[70:71]
	ds_read_b128 v[1:4], v51 offset:1760
	v_add_f64 v[13:14], v[13:14], v[99:100]
	v_add_f64 v[15:16], v[15:16], v[93:94]
	s_waitcnt vmcnt(49) lgkmcnt(1)
	v_mul_f64 v[70:71], v[5:6], v[52:53]
	v_mul_f64 v[52:53], v[7:8], v[52:53]
	s_waitcnt vmcnt(48)
	v_fma_f64 v[60:61], v[9:10], v[117:118], -v[60:61]
	v_add_f64 v[13:14], v[13:14], v[25:26]
	v_fma_f64 v[25:26], v[11:12], v[117:118], v[95:96]
	v_add_f64 v[15:16], v[15:16], v[19:20]
	s_clause 0x3
	buffer_load_dword v19, off, s[0:3], 0 offset:432
	buffer_load_dword v20, off, s[0:3], 0 offset:436
	;; [unrolled: 1-line block ×4, first 2 shown]
	ds_read_b128 v[9:12], v51 offset:1776
	s_waitcnt vmcnt(51) lgkmcnt(1)
	v_mul_f64 v[95:96], v[1:2], v[54:55]
	v_mul_f64 v[54:55], v[3:4], v[54:55]
	s_waitcnt vmcnt(49)
	v_fma_f64 v[52:53], v[5:6], v[21:22], -v[52:53]
	v_fma_f64 v[21:22], v[7:8], v[21:22], v[70:71]
	ds_read_b128 v[5:8], v51 offset:1792
	v_add_f64 v[13:14], v[13:14], v[60:61]
	v_add_f64 v[15:16], v[15:16], v[25:26]
	s_waitcnt vmcnt(45) lgkmcnt(1)
	v_mul_f64 v[25:26], v[9:10], v[17:18]
	v_mul_f64 v[17:18], v[11:12], v[17:18]
	s_waitcnt vmcnt(44)
	v_fma_f64 v[54:55], v[1:2], v[62:63], -v[54:55]
	v_add_f64 v[13:14], v[13:14], v[52:53]
	v_fma_f64 v[52:53], v[3:4], v[62:63], v[95:96]
	v_add_f64 v[15:16], v[15:16], v[21:22]
	ds_read_b128 v[1:4], v51 offset:1808
	s_waitcnt vmcnt(43) lgkmcnt(1)
	v_mul_f64 v[21:22], v[5:6], v[37:38]
	v_mul_f64 v[37:38], v[7:8], v[37:38]
	s_waitcnt vmcnt(41)
	v_fma_f64 v[17:18], v[9:10], v[27:28], -v[17:18]
	v_fma_f64 v[25:26], v[11:12], v[27:28], v[25:26]
	ds_read_b128 v[9:12], v51 offset:1824
	v_add_f64 v[13:14], v[13:14], v[54:55]
	v_add_f64 v[15:16], v[15:16], v[52:53]
	s_waitcnt vmcnt(37) lgkmcnt(1)
	v_mul_f64 v[27:28], v[1:2], v[23:24]
	v_mul_f64 v[23:24], v[3:4], v[23:24]
	s_waitcnt vmcnt(36)
	v_fma_f64 v[37:38], v[5:6], v[56:57], -v[37:38]
	v_add_f64 v[13:14], v[13:14], v[17:18]
	v_fma_f64 v[17:18], v[7:8], v[56:57], v[21:22]
	v_add_f64 v[15:16], v[15:16], v[25:26]
	s_waitcnt vmcnt(35) lgkmcnt(0)
	v_mul_f64 v[25:26], v[11:12], v[43:44]
	ds_read_b128 v[5:8], v51 offset:1840
	v_mul_f64 v[21:22], v[9:10], v[43:44]
	s_waitcnt vmcnt(33)
	v_fma_f64 v[27:28], v[3:4], v[33:34], v[27:28]
	v_fma_f64 v[23:24], v[1:2], v[33:34], -v[23:24]
	ds_read_b128 v[1:4], v51 offset:1856
	v_add_f64 v[13:14], v[13:14], v[37:38]
	v_add_f64 v[15:16], v[15:16], v[17:18]
	s_waitcnt vmcnt(29) lgkmcnt(1)
	v_mul_f64 v[17:18], v[5:6], v[29:30]
	v_mul_f64 v[29:30], v[7:8], v[29:30]
	s_waitcnt vmcnt(28)
	v_fma_f64 v[25:26], v[9:10], v[45:46], -v[25:26]
	v_fma_f64 v[21:22], v[11:12], v[45:46], v[21:22]
	ds_read_b128 v[9:12], v51 offset:1872
	v_add_f64 v[13:14], v[13:14], v[23:24]
	v_add_f64 v[15:16], v[15:16], v[27:28]
	s_waitcnt vmcnt(27) lgkmcnt(1)
	v_mul_f64 v[27:28], v[3:4], v[64:65]
	v_mul_f64 v[23:24], v[1:2], v[64:65]
	s_waitcnt vmcnt(25)
	v_fma_f64 v[29:30], v[5:6], v[31:32], -v[29:30]
	v_fma_f64 v[17:18], v[7:8], v[31:32], v[17:18]
	ds_read_b128 v[5:8], v51 offset:1888
	v_add_f64 v[13:14], v[13:14], v[25:26]
	v_add_f64 v[15:16], v[15:16], v[21:22]
	s_waitcnt vmcnt(21) lgkmcnt(1)
	v_mul_f64 v[25:26], v[11:12], v[35:36]
	s_waitcnt vmcnt(20)
	v_fma_f64 v[27:28], v[1:2], v[66:67], -v[27:28]
	v_mul_f64 v[21:22], v[9:10], v[35:36]
	v_fma_f64 v[23:24], v[3:4], v[66:67], v[23:24]
	ds_read_b128 v[1:4], v51 offset:1904
	v_add_f64 v[13:14], v[13:14], v[29:30]
	v_add_f64 v[15:16], v[15:16], v[17:18]
	s_waitcnt vmcnt(19) lgkmcnt(1)
	v_mul_f64 v[29:30], v[7:8], v[72:73]
	v_mul_f64 v[17:18], v[5:6], v[72:73]
	s_waitcnt vmcnt(17)
	v_fma_f64 v[25:26], v[9:10], v[39:40], -v[25:26]
	v_fma_f64 v[21:22], v[11:12], v[39:40], v[21:22]
	ds_read_b128 v[9:12], v51 offset:1920
	v_add_f64 v[13:14], v[13:14], v[27:28]
	v_add_f64 v[15:16], v[15:16], v[23:24]
	s_waitcnt vmcnt(13) lgkmcnt(1)
	v_mul_f64 v[27:28], v[3:4], v[41:42]
	s_waitcnt vmcnt(12)
	v_fma_f64 v[29:30], v[5:6], v[74:75], -v[29:30]
	v_mul_f64 v[23:24], v[1:2], v[41:42]
	v_fma_f64 v[17:18], v[7:8], v[74:75], v[17:18]
	ds_read_b128 v[5:8], v51 offset:1936
	v_add_f64 v[13:14], v[13:14], v[25:26]
	v_add_f64 v[15:16], v[15:16], v[21:22]
	s_waitcnt vmcnt(11) lgkmcnt(1)
	v_mul_f64 v[25:26], v[11:12], v[97:98]
	v_mul_f64 v[21:22], v[9:10], v[97:98]
	s_waitcnt vmcnt(9)
	v_fma_f64 v[1:2], v[1:2], v[47:48], -v[27:28]
	v_fma_f64 v[3:4], v[3:4], v[47:48], v[23:24]
	v_add_f64 v[13:14], v[13:14], v[29:30]
	v_add_f64 v[15:16], v[15:16], v[17:18]
	s_waitcnt vmcnt(7) lgkmcnt(0)
	v_mul_f64 v[23:24], v[7:8], v[49:50]
	s_waitcnt vmcnt(6)
	v_fma_f64 v[9:10], v[9:10], v[111:112], -v[25:26]
	v_mul_f64 v[17:18], v[5:6], v[49:50]
	v_fma_f64 v[11:12], v[11:12], v[111:112], v[21:22]
	v_add_f64 v[1:2], v[13:14], v[1:2]
	v_add_f64 v[3:4], v[15:16], v[3:4]
	s_waitcnt vmcnt(4)
	v_fma_f64 v[5:6], v[5:6], v[58:59], -v[23:24]
	v_fma_f64 v[7:8], v[7:8], v[58:59], v[17:18]
	v_add_f64 v[1:2], v[1:2], v[9:10]
	v_add_f64 v[3:4], v[3:4], v[11:12]
	;; [unrolled: 1-line block ×4, first 2 shown]
	s_waitcnt vmcnt(2)
	v_add_f64 v[1:2], v[19:20], -v[1:2]
	s_waitcnt vmcnt(0)
	v_add_f64 v[3:4], v[93:94], -v[3:4]
	buffer_store_dword v2, off, s[0:3], 0 offset:436
	buffer_store_dword v1, off, s[0:3], 0 offset:432
	;; [unrolled: 1-line block ×4, first 2 shown]
	v_cmpx_lt_u32_e32 25, v0
	s_cbranch_execz .LBB60_341
; %bb.340:
	v_mov_b32_e32 v4, s50
	v_mov_b32_e32 v5, 0
	s_clause 0x3
	buffer_load_dword v1, v4, s[0:3], 0 offen
	buffer_load_dword v2, v4, s[0:3], 0 offen offset:4
	buffer_load_dword v3, v4, s[0:3], 0 offen offset:8
	;; [unrolled: 1-line block ×3, first 2 shown]
	buffer_store_dword v5, off, s[0:3], 0 offset:416
	buffer_store_dword v5, off, s[0:3], 0 offset:420
	buffer_store_dword v5, off, s[0:3], 0 offset:424
	buffer_store_dword v5, off, s[0:3], 0 offset:428
	s_waitcnt vmcnt(0)
	ds_write_b128 v69, v[1:4]
.LBB60_341:
	s_or_b32 exec_lo, exec_lo, s4
	s_waitcnt lgkmcnt(0)
	s_waitcnt_vscnt null, 0x0
	s_barrier
	buffer_gl0_inv
	s_clause 0x37
	buffer_load_dword v9, off, s[0:3], 0 offset:440
	buffer_load_dword v10, off, s[0:3], 0 offset:444
	buffer_load_dword v5, off, s[0:3], 0 offset:456
	buffer_load_dword v6, off, s[0:3], 0 offset:460
	buffer_load_dword v7, off, s[0:3], 0 offset:432
	buffer_load_dword v8, off, s[0:3], 0 offset:436
	buffer_load_dword v3, off, s[0:3], 0 offset:472
	buffer_load_dword v4, off, s[0:3], 0 offset:476
	buffer_load_dword v1, off, s[0:3], 0 offset:448
	buffer_load_dword v2, off, s[0:3], 0 offset:452
	buffer_load_dword v14, off, s[0:3], 0 offset:492
	buffer_load_dword v17, off, s[0:3], 0 offset:504
	buffer_load_dword v11, off, s[0:3], 0 offset:496
	buffer_load_dword v13, off, s[0:3], 0 offset:488
	buffer_load_dword v25, off, s[0:3], 0 offset:464
	buffer_load_dword v26, off, s[0:3], 0 offset:468
	buffer_load_dword v18, off, s[0:3], 0 offset:508
	buffer_load_dword v20, off, s[0:3], 0 offset:484
	buffer_load_dword v19, off, s[0:3], 0 offset:480
	buffer_load_dword v22, off, s[0:3], 0 offset:524
	buffer_load_dword v27, off, s[0:3], 0 offset:536
	buffer_load_dword v15, off, s[0:3], 0 offset:528
	buffer_load_dword v21, off, s[0:3], 0 offset:520
	buffer_load_dword v12, off, s[0:3], 0 offset:500
	buffer_load_dword v28, off, s[0:3], 0 offset:540
	buffer_load_dword v30, off, s[0:3], 0 offset:516
	buffer_load_dword v29, off, s[0:3], 0 offset:512
	buffer_load_dword v32, off, s[0:3], 0 offset:556
	buffer_load_dword v35, off, s[0:3], 0 offset:568
	buffer_load_dword v23, off, s[0:3], 0 offset:560
	buffer_load_dword v31, off, s[0:3], 0 offset:552
	buffer_load_dword v16, off, s[0:3], 0 offset:532
	buffer_load_dword v36, off, s[0:3], 0 offset:572
	buffer_load_dword v38, off, s[0:3], 0 offset:548
	buffer_load_dword v37, off, s[0:3], 0 offset:544
	buffer_load_dword v40, off, s[0:3], 0 offset:588
	buffer_load_dword v43, off, s[0:3], 0 offset:600
	buffer_load_dword v33, off, s[0:3], 0 offset:592
	buffer_load_dword v39, off, s[0:3], 0 offset:584
	buffer_load_dword v24, off, s[0:3], 0 offset:564
	buffer_load_dword v44, off, s[0:3], 0 offset:604
	buffer_load_dword v46, off, s[0:3], 0 offset:580
	buffer_load_dword v45, off, s[0:3], 0 offset:576
	buffer_load_dword v48, off, s[0:3], 0 offset:620
	buffer_load_dword v51, off, s[0:3], 0 offset:632
	buffer_load_dword v41, off, s[0:3], 0 offset:624
	buffer_load_dword v47, off, s[0:3], 0 offset:616
	buffer_load_dword v34, off, s[0:3], 0 offset:596
	buffer_load_dword v52, off, s[0:3], 0 offset:636
	buffer_load_dword v54, off, s[0:3], 0 offset:612
	buffer_load_dword v53, off, s[0:3], 0 offset:608
	buffer_load_dword v56, off, s[0:3], 0 offset:652
	buffer_load_dword v57, off, s[0:3], 0 offset:664
	buffer_load_dword v49, off, s[0:3], 0 offset:656
	buffer_load_dword v55, off, s[0:3], 0 offset:648
	buffer_load_dword v42, off, s[0:3], 0 offset:628
	v_mov_b32_e32 v61, 0
	s_mov_b32 s4, exec_lo
	ds_read_b128 v[62:65], v61 offset:1392
	s_clause 0x2
	buffer_load_dword v58, off, s[0:3], 0 offset:668
	buffer_load_dword v60, off, s[0:3], 0 offset:644
	;; [unrolled: 1-line block ×3, first 2 shown]
	ds_read_b128 v[70:73], v61 offset:1408
	s_clause 0x4
	buffer_load_dword v75, off, s[0:3], 0 offset:684
	buffer_load_dword v97, off, s[0:3], 0 offset:696
	;; [unrolled: 1-line block ×5, first 2 shown]
	ds_read_b128 v[93:96], v61 offset:1424
	s_clause 0x2
	buffer_load_dword v98, off, s[0:3], 0 offset:700
	buffer_load_dword v112, off, s[0:3], 0 offset:676
	buffer_load_dword v111, off, s[0:3], 0 offset:672
	s_waitcnt vmcnt(62) lgkmcnt(2)
	v_mul_f64 v[66:67], v[64:65], v[9:10]
	v_mul_f64 v[9:10], v[62:63], v[9:10]
	s_waitcnt lgkmcnt(1)
	v_mul_f64 v[109:110], v[72:73], v[5:6]
	s_waitcnt vmcnt(59) lgkmcnt(0)
	v_mul_f64 v[117:118], v[95:96], v[3:4]
	v_fma_f64 v[62:63], v[62:63], v[7:8], -v[66:67]
	v_mul_f64 v[66:67], v[70:71], v[5:6]
	v_fma_f64 v[9:10], v[64:65], v[7:8], v[9:10]
	s_waitcnt vmcnt(57)
	v_fma_f64 v[70:71], v[70:71], v[1:2], -v[109:110]
	ds_read_b128 v[5:8], v61 offset:1440
	v_mul_f64 v[64:65], v[93:94], v[3:4]
	s_waitcnt vmcnt(51)
	v_fma_f64 v[93:94], v[93:94], v[25:26], -v[117:118]
	v_add_f64 v[62:63], v[62:63], 0
	v_fma_f64 v[66:67], v[72:73], v[1:2], v[66:67]
	v_add_f64 v[9:10], v[9:10], 0
	s_clause 0x4
	buffer_load_dword v73, off, s[0:3], 0 offset:716
	buffer_load_dword v109, off, s[0:3], 0 offset:728
	;; [unrolled: 1-line block ×5, first 2 shown]
	s_waitcnt lgkmcnt(0)
	v_mul_f64 v[129:130], v[5:6], v[13:14]
	v_mul_f64 v[13:14], v[7:8], v[13:14]
	ds_read_b128 v[1:4], v61 offset:1456
	v_fma_f64 v[25:26], v[95:96], v[25:26], v[64:65]
	v_add_f64 v[70:71], v[62:63], v[70:71]
	v_add_f64 v[9:10], v[9:10], v[66:67]
	s_clause 0x2
	buffer_load_dword v110, off, s[0:3], 0 offset:732
	buffer_load_dword v67, off, s[0:3], 0 offset:708
	buffer_load_dword v66, off, s[0:3], 0 offset:704
	s_waitcnt vmcnt(58) lgkmcnt(0)
	v_mul_f64 v[95:96], v[1:2], v[17:18]
	v_mul_f64 v[17:18], v[3:4], v[17:18]
	s_waitcnt vmcnt(56)
	v_fma_f64 v[13:14], v[5:6], v[19:20], -v[13:14]
	ds_read_b128 v[62:65], v61 offset:1472
	v_fma_f64 v[19:20], v[7:8], v[19:20], v[129:130]
	v_add_f64 v[70:71], v[70:71], v[93:94]
	v_add_f64 v[9:10], v[9:10], v[25:26]
	s_clause 0x4
	buffer_load_dword v26, off, s[0:3], 0 offset:748
	buffer_load_dword v93, off, s[0:3], 0 offset:760
	;; [unrolled: 1-line block ×5, first 2 shown]
	ds_read_b128 v[5:8], v61 offset:1488
	s_waitcnt vmcnt(57) lgkmcnt(1)
	v_mul_f64 v[129:130], v[62:63], v[21:22]
	v_mul_f64 v[21:22], v[64:65], v[21:22]
	s_waitcnt vmcnt(56)
	v_fma_f64 v[17:18], v[1:2], v[11:12], -v[17:18]
	v_fma_f64 v[11:12], v[3:4], v[11:12], v[95:96]
	v_add_f64 v[13:14], v[70:71], v[13:14]
	v_add_f64 v[9:10], v[9:10], v[19:20]
	s_clause 0x2
	buffer_load_dword v94, off, s[0:3], 0 offset:764
	buffer_load_dword v20, off, s[0:3], 0 offset:740
	buffer_load_dword v19, off, s[0:3], 0 offset:736
	s_waitcnt vmcnt(58) lgkmcnt(0)
	v_mul_f64 v[70:71], v[5:6], v[27:28]
	v_mul_f64 v[27:28], v[7:8], v[27:28]
	s_waitcnt vmcnt(56)
	v_fma_f64 v[21:22], v[62:63], v[29:30], -v[21:22]
	ds_read_b128 v[1:4], v61 offset:1504
	v_add_f64 v[13:14], v[13:14], v[17:18]
	v_fma_f64 v[17:18], v[64:65], v[29:30], v[129:130]
	v_add_f64 v[29:30], v[9:10], v[11:12]
	s_clause 0x4
	buffer_load_dword v63, off, s[0:3], 0 offset:780
	buffer_load_dword v64, off, s[0:3], 0 offset:792
	buffer_load_dword v95, off, s[0:3], 0 offset:784
	buffer_load_dword v62, off, s[0:3], 0 offset:776
	buffer_load_dword v118, off, s[0:3], 0 offset:756
	ds_read_b128 v[9:12], v61 offset:1520
	s_waitcnt vmcnt(57) lgkmcnt(1)
	v_mul_f64 v[129:130], v[1:2], v[31:32]
	v_mul_f64 v[31:32], v[3:4], v[31:32]
	s_waitcnt vmcnt(56)
	v_fma_f64 v[27:28], v[5:6], v[15:16], -v[27:28]
	v_fma_f64 v[15:16], v[7:8], v[15:16], v[70:71]
	v_add_f64 v[13:14], v[13:14], v[21:22]
	s_clause 0x2
	buffer_load_dword v65, off, s[0:3], 0 offset:796
	buffer_load_dword v22, off, s[0:3], 0 offset:772
	;; [unrolled: 1-line block ×3, first 2 shown]
	v_add_f64 v[17:18], v[29:30], v[17:18]
	s_waitcnt vmcnt(58) lgkmcnt(0)
	v_mul_f64 v[29:30], v[9:10], v[35:36]
	v_mul_f64 v[35:36], v[11:12], v[35:36]
	ds_read_b128 v[5:8], v61 offset:1536
	s_waitcnt vmcnt(56)
	v_fma_f64 v[31:32], v[1:2], v[37:38], -v[31:32]
	v_add_f64 v[13:14], v[13:14], v[27:28]
	v_fma_f64 v[27:28], v[3:4], v[37:38], v[129:130]
	v_add_f64 v[15:16], v[17:18], v[15:16]
	s_clause 0x4
	buffer_load_dword v18, off, s[0:3], 0 offset:812
	buffer_load_dword v37, off, s[0:3], 0 offset:824
	;; [unrolled: 1-line block ×5, first 2 shown]
	s_waitcnt vmcnt(57) lgkmcnt(0)
	v_mul_f64 v[129:130], v[5:6], v[39:40]
	v_mul_f64 v[39:40], v[7:8], v[39:40]
	s_waitcnt vmcnt(56)
	v_fma_f64 v[35:36], v[9:10], v[23:24], -v[35:36]
	ds_read_b128 v[1:4], v61 offset:1552
	v_fma_f64 v[23:24], v[11:12], v[23:24], v[29:30]
	v_add_f64 v[13:14], v[13:14], v[31:32]
	v_add_f64 v[15:16], v[15:16], v[27:28]
	s_clause 0x2
	buffer_load_dword v38, off, s[0:3], 0 offset:828
	buffer_load_dword v28, off, s[0:3], 0 offset:804
	;; [unrolled: 1-line block ×3, first 2 shown]
	ds_read_b128 v[9:12], v61 offset:1568
	s_waitcnt vmcnt(58) lgkmcnt(1)
	v_mul_f64 v[31:32], v[3:4], v[43:44]
	s_waitcnt vmcnt(56)
	v_fma_f64 v[39:40], v[5:6], v[45:46], -v[39:40]
	v_mul_f64 v[29:30], v[1:2], v[43:44]
	v_add_f64 v[13:14], v[13:14], v[35:36]
	v_fma_f64 v[35:36], v[7:8], v[45:46], v[129:130]
	v_add_f64 v[15:16], v[15:16], v[23:24]
	s_clause 0x4
	buffer_load_dword v24, off, s[0:3], 0 offset:844
	buffer_load_dword v43, off, s[0:3], 0 offset:856
	;; [unrolled: 1-line block ×5, first 2 shown]
	s_waitcnt vmcnt(57) lgkmcnt(0)
	v_mul_f64 v[129:130], v[9:10], v[47:48]
	v_mul_f64 v[46:47], v[11:12], v[47:48]
	s_waitcnt vmcnt(56)
	v_fma_f64 v[31:32], v[1:2], v[33:34], -v[31:32]
	ds_read_b128 v[5:8], v61 offset:1584
	v_fma_f64 v[29:30], v[3:4], v[33:34], v[29:30]
	s_clause 0x2
	buffer_load_dword v44, off, s[0:3], 0 offset:860
	buffer_load_dword v34, off, s[0:3], 0 offset:836
	;; [unrolled: 1-line block ×3, first 2 shown]
	ds_read_b128 v[1:4], v61 offset:1600
	v_add_f64 v[13:14], v[13:14], v[39:40]
	v_add_f64 v[15:16], v[15:16], v[35:36]
	s_waitcnt vmcnt(58) lgkmcnt(1)
	v_mul_f64 v[39:40], v[7:8], v[51:52]
	s_waitcnt vmcnt(56)
	v_fma_f64 v[47:48], v[9:10], v[53:54], -v[46:47]
	v_mul_f64 v[35:36], v[5:6], v[51:52]
	v_add_f64 v[13:14], v[13:14], v[31:32]
	v_fma_f64 v[31:32], v[11:12], v[53:54], v[129:130]
	v_add_f64 v[15:16], v[15:16], v[29:30]
	s_clause 0x4
	buffer_load_dword v30, off, s[0:3], 0 offset:876
	buffer_load_dword v51, off, s[0:3], 0 offset:888
	;; [unrolled: 1-line block ×5, first 2 shown]
	s_waitcnt vmcnt(57) lgkmcnt(0)
	v_mul_f64 v[129:130], v[1:2], v[55:56]
	v_mul_f64 v[54:55], v[3:4], v[55:56]
	s_waitcnt vmcnt(56)
	v_fma_f64 v[39:40], v[5:6], v[41:42], -v[39:40]
	ds_read_b128 v[9:12], v61 offset:1616
	v_fma_f64 v[35:36], v[7:8], v[41:42], v[35:36]
	v_add_f64 v[13:14], v[13:14], v[47:48]
	v_add_f64 v[15:16], v[15:16], v[31:32]
	s_clause 0x2
	buffer_load_dword v52, off, s[0:3], 0 offset:892
	buffer_load_dword v32, off, s[0:3], 0 offset:868
	;; [unrolled: 1-line block ×3, first 2 shown]
	ds_read_b128 v[5:8], v61 offset:1632
	s_waitcnt vmcnt(58) lgkmcnt(1)
	v_mul_f64 v[47:48], v[11:12], v[57:58]
	s_waitcnt vmcnt(56)
	v_fma_f64 v[55:56], v[1:2], v[59:60], -v[54:55]
	v_mul_f64 v[41:42], v[9:10], v[57:58]
	v_add_f64 v[13:14], v[13:14], v[39:40]
	v_fma_f64 v[39:40], v[3:4], v[59:60], v[129:130]
	v_add_f64 v[15:16], v[15:16], v[35:36]
	s_clause 0x4
	buffer_load_dword v36, off, s[0:3], 0 offset:908
	buffer_load_dword v57, off, s[0:3], 0 offset:920
	;; [unrolled: 1-line block ×5, first 2 shown]
	s_waitcnt vmcnt(57) lgkmcnt(0)
	v_mul_f64 v[129:130], v[5:6], v[74:75]
	v_mul_f64 v[74:75], v[7:8], v[74:75]
	s_waitcnt vmcnt(56)
	v_fma_f64 v[47:48], v[9:10], v[49:50], -v[47:48]
	ds_read_b128 v[1:4], v61 offset:1648
	v_fma_f64 v[41:42], v[11:12], v[49:50], v[41:42]
	v_add_f64 v[13:14], v[13:14], v[55:56]
	v_add_f64 v[15:16], v[15:16], v[39:40]
	s_clause 0x2
	buffer_load_dword v58, off, s[0:3], 0 offset:924
	buffer_load_dword v40, off, s[0:3], 0 offset:900
	;; [unrolled: 1-line block ×3, first 2 shown]
	ds_read_b128 v[9:12], v61 offset:1664
	s_waitcnt vmcnt(58) lgkmcnt(1)
	v_mul_f64 v[55:56], v[3:4], v[97:98]
	s_waitcnt vmcnt(56)
	v_fma_f64 v[74:75], v[5:6], v[111:112], -v[74:75]
	v_mul_f64 v[49:50], v[1:2], v[97:98]
	v_add_f64 v[13:14], v[13:14], v[47:48]
	v_fma_f64 v[47:48], v[7:8], v[111:112], v[129:130]
	v_add_f64 v[15:16], v[15:16], v[41:42]
	s_clause 0x4
	buffer_load_dword v42, off, s[0:3], 0 offset:940
	buffer_load_dword v97, off, s[0:3], 0 offset:952
	;; [unrolled: 1-line block ×5, first 2 shown]
	ds_read_b128 v[5:8], v61 offset:1680
	s_waitcnt vmcnt(57) lgkmcnt(1)
	v_mul_f64 v[129:130], v[9:10], v[72:73]
	v_mul_f64 v[72:73], v[11:12], v[72:73]
	s_waitcnt vmcnt(56)
	v_fma_f64 v[55:56], v[1:2], v[99:100], -v[55:56]
	v_fma_f64 v[49:50], v[3:4], v[99:100], v[49:50]
	v_add_f64 v[13:14], v[13:14], v[74:75]
	v_add_f64 v[15:16], v[15:16], v[47:48]
	s_clause 0x2
	buffer_load_dword v98, off, s[0:3], 0 offset:956
	buffer_load_dword v48, off, s[0:3], 0 offset:932
	;; [unrolled: 1-line block ×3, first 2 shown]
	ds_read_b128 v[1:4], v61 offset:1696
	s_waitcnt vmcnt(58) lgkmcnt(1)
	v_mul_f64 v[99:100], v[7:8], v[109:110]
	v_mul_f64 v[74:75], v[5:6], v[109:110]
	s_waitcnt vmcnt(56)
	v_fma_f64 v[72:73], v[9:10], v[66:67], -v[72:73]
	v_add_f64 v[13:14], v[13:14], v[55:56]
	v_fma_f64 v[55:56], v[11:12], v[66:67], v[129:130]
	v_add_f64 v[15:16], v[15:16], v[49:50]
	s_clause 0x4
	buffer_load_dword v50, off, s[0:3], 0 offset:972
	buffer_load_dword v66, off, s[0:3], 0 offset:984
	;; [unrolled: 1-line block ×5, first 2 shown]
	ds_read_b128 v[9:12], v61 offset:1712
	s_waitcnt vmcnt(57) lgkmcnt(1)
	v_mul_f64 v[129:130], v[1:2], v[25:26]
	v_mul_f64 v[25:26], v[3:4], v[25:26]
	s_waitcnt vmcnt(56)
	v_fma_f64 v[99:100], v[5:6], v[119:120], -v[99:100]
	v_add_f64 v[13:14], v[13:14], v[72:73]
	v_fma_f64 v[72:73], v[7:8], v[119:120], v[74:75]
	v_add_f64 v[15:16], v[15:16], v[55:56]
	s_clause 0x2
	buffer_load_dword v67, off, s[0:3], 0 offset:988
	buffer_load_dword v56, off, s[0:3], 0 offset:964
	;; [unrolled: 1-line block ×3, first 2 shown]
	ds_read_b128 v[5:8], v61 offset:1728
	buffer_load_dword v110, off, s[0:3], 0 offset:980
	s_waitcnt vmcnt(59) lgkmcnt(1)
	v_mul_f64 v[74:75], v[9:10], v[93:94]
	v_mul_f64 v[93:94], v[11:12], v[93:94]
	s_waitcnt vmcnt(57)
	v_fma_f64 v[25:26], v[1:2], v[19:20], -v[25:26]
	v_fma_f64 v[19:20], v[3:4], v[19:20], v[129:130]
	ds_read_b128 v[1:4], v61 offset:1744
	v_add_f64 v[13:14], v[13:14], v[99:100]
	v_add_f64 v[15:16], v[15:16], v[72:73]
	s_waitcnt vmcnt(53) lgkmcnt(1)
	v_mul_f64 v[72:73], v[5:6], v[62:63]
	v_mul_f64 v[62:63], v[7:8], v[62:63]
	s_waitcnt vmcnt(52)
	v_fma_f64 v[93:94], v[9:10], v[117:118], -v[93:94]
	v_add_f64 v[13:14], v[13:14], v[25:26]
	v_fma_f64 v[25:26], v[11:12], v[117:118], v[74:75]
	v_add_f64 v[15:16], v[15:16], v[19:20]
	ds_read_b128 v[9:12], v61 offset:1760
	s_waitcnt vmcnt(51) lgkmcnt(1)
	v_mul_f64 v[19:20], v[1:2], v[64:65]
	v_mul_f64 v[64:65], v[3:4], v[64:65]
	s_waitcnt vmcnt(49)
	v_fma_f64 v[62:63], v[5:6], v[21:22], -v[62:63]
	v_fma_f64 v[21:22], v[7:8], v[21:22], v[72:73]
	v_add_f64 v[13:14], v[13:14], v[93:94]
	v_add_f64 v[15:16], v[15:16], v[25:26]
	s_clause 0x3
	buffer_load_dword v25, off, s[0:3], 0 offset:416
	buffer_load_dword v26, off, s[0:3], 0 offset:420
	;; [unrolled: 1-line block ×4, first 2 shown]
	ds_read_b128 v[5:8], v61 offset:1776
	s_waitcnt vmcnt(49) lgkmcnt(1)
	v_mul_f64 v[74:75], v[9:10], v[17:18]
	v_mul_f64 v[17:18], v[11:12], v[17:18]
	s_waitcnt vmcnt(48)
	v_fma_f64 v[64:65], v[1:2], v[95:96], -v[64:65]
	v_fma_f64 v[19:20], v[3:4], v[95:96], v[19:20]
	ds_read_b128 v[1:4], v61 offset:1792
	v_add_f64 v[13:14], v[13:14], v[62:63]
	v_add_f64 v[15:16], v[15:16], v[21:22]
	s_waitcnt vmcnt(47) lgkmcnt(1)
	v_mul_f64 v[21:22], v[5:6], v[37:38]
	v_mul_f64 v[37:38], v[7:8], v[37:38]
	s_waitcnt vmcnt(45)
	v_fma_f64 v[17:18], v[9:10], v[27:28], -v[17:18]
	v_fma_f64 v[27:28], v[11:12], v[27:28], v[74:75]
	ds_read_b128 v[9:12], v61 offset:1808
	v_add_f64 v[13:14], v[13:14], v[64:65]
	v_add_f64 v[15:16], v[15:16], v[19:20]
	s_waitcnt vmcnt(41) lgkmcnt(1)
	v_mul_f64 v[19:20], v[1:2], v[23:24]
	v_mul_f64 v[23:24], v[3:4], v[23:24]
	s_waitcnt vmcnt(40)
	v_fma_f64 v[37:38], v[5:6], v[70:71], -v[37:38]
	v_add_f64 v[13:14], v[13:14], v[17:18]
	v_fma_f64 v[17:18], v[7:8], v[70:71], v[21:22]
	v_add_f64 v[15:16], v[15:16], v[27:28]
	ds_read_b128 v[5:8], v61 offset:1824
	s_waitcnt vmcnt(39) lgkmcnt(1)
	v_mul_f64 v[27:28], v[11:12], v[43:44]
	v_mul_f64 v[21:22], v[9:10], v[43:44]
	s_waitcnt vmcnt(37)
	v_fma_f64 v[19:20], v[3:4], v[33:34], v[19:20]
	v_fma_f64 v[23:24], v[1:2], v[33:34], -v[23:24]
	ds_read_b128 v[1:4], v61 offset:1840
	v_add_f64 v[13:14], v[13:14], v[37:38]
	v_add_f64 v[15:16], v[15:16], v[17:18]
	s_waitcnt vmcnt(33) lgkmcnt(1)
	v_mul_f64 v[17:18], v[5:6], v[29:30]
	v_mul_f64 v[29:30], v[7:8], v[29:30]
	s_waitcnt vmcnt(32)
	v_fma_f64 v[27:28], v[9:10], v[45:46], -v[27:28]
	v_fma_f64 v[21:22], v[11:12], v[45:46], v[21:22]
	ds_read_b128 v[9:12], v61 offset:1856
	v_add_f64 v[13:14], v[13:14], v[23:24]
	v_add_f64 v[15:16], v[15:16], v[19:20]
	s_waitcnt vmcnt(31) lgkmcnt(1)
	v_mul_f64 v[23:24], v[3:4], v[51:52]
	v_mul_f64 v[19:20], v[1:2], v[51:52]
	s_waitcnt vmcnt(29)
	v_fma_f64 v[29:30], v[5:6], v[31:32], -v[29:30]
	v_fma_f64 v[17:18], v[7:8], v[31:32], v[17:18]
	ds_read_b128 v[5:8], v61 offset:1872
	v_add_f64 v[13:14], v[13:14], v[27:28]
	v_add_f64 v[15:16], v[15:16], v[21:22]
	s_waitcnt vmcnt(25) lgkmcnt(1)
	v_mul_f64 v[27:28], v[11:12], v[35:36]
	s_waitcnt vmcnt(24)
	v_fma_f64 v[23:24], v[1:2], v[53:54], -v[23:24]
	v_mul_f64 v[21:22], v[9:10], v[35:36]
	v_fma_f64 v[19:20], v[3:4], v[53:54], v[19:20]
	ds_read_b128 v[1:4], v61 offset:1888
	v_add_f64 v[13:14], v[13:14], v[29:30]
	v_add_f64 v[15:16], v[15:16], v[17:18]
	s_waitcnt vmcnt(23) lgkmcnt(1)
	v_mul_f64 v[29:30], v[7:8], v[57:58]
	v_mul_f64 v[17:18], v[5:6], v[57:58]
	s_waitcnt vmcnt(21)
	v_fma_f64 v[27:28], v[9:10], v[39:40], -v[27:28]
	v_fma_f64 v[21:22], v[11:12], v[39:40], v[21:22]
	ds_read_b128 v[9:12], v61 offset:1904
	v_add_f64 v[13:14], v[13:14], v[23:24]
	v_add_f64 v[15:16], v[15:16], v[19:20]
	s_waitcnt vmcnt(17) lgkmcnt(1)
	v_mul_f64 v[23:24], v[3:4], v[41:42]
	s_waitcnt vmcnt(16)
	v_fma_f64 v[29:30], v[5:6], v[59:60], -v[29:30]
	v_mul_f64 v[19:20], v[1:2], v[41:42]
	;; [unrolled: 18-line block ×3, first 2 shown]
	v_fma_f64 v[11:12], v[11:12], v[111:112], v[21:22]
	v_add_f64 v[13:14], v[13:14], v[23:24]
	v_add_f64 v[15:16], v[15:16], v[19:20]
	s_waitcnt vmcnt(7) lgkmcnt(0)
	v_mul_f64 v[21:22], v[3:4], v[66:67]
	v_mul_f64 v[19:20], v[1:2], v[66:67]
	s_waitcnt vmcnt(5)
	v_fma_f64 v[5:6], v[5:6], v[55:56], -v[29:30]
	v_fma_f64 v[7:8], v[7:8], v[55:56], v[17:18]
	v_add_f64 v[9:10], v[13:14], v[9:10]
	v_add_f64 v[11:12], v[15:16], v[11:12]
	s_waitcnt vmcnt(4)
	v_fma_f64 v[1:2], v[1:2], v[109:110], -v[21:22]
	v_fma_f64 v[3:4], v[3:4], v[109:110], v[19:20]
	v_add_f64 v[5:6], v[9:10], v[5:6]
	v_add_f64 v[7:8], v[11:12], v[7:8]
	v_add_f64 v[1:2], v[5:6], v[1:2]
	v_add_f64 v[3:4], v[7:8], v[3:4]
	s_waitcnt vmcnt(2)
	v_add_f64 v[1:2], v[25:26], -v[1:2]
	s_waitcnt vmcnt(0)
	v_add_f64 v[3:4], v[72:73], -v[3:4]
	buffer_store_dword v2, off, s[0:3], 0 offset:420
	buffer_store_dword v1, off, s[0:3], 0 offset:416
	;; [unrolled: 1-line block ×4, first 2 shown]
	v_cmpx_lt_u32_e32 24, v0
	s_cbranch_execz .LBB60_343
; %bb.342:
	v_mov_b32_e32 v4, s51
	s_clause 0x3
	buffer_load_dword v1, v4, s[0:3], 0 offen
	buffer_load_dword v2, v4, s[0:3], 0 offen offset:4
	buffer_load_dword v3, v4, s[0:3], 0 offen offset:8
	;; [unrolled: 1-line block ×3, first 2 shown]
	buffer_store_dword v61, off, s[0:3], 0 offset:400
	buffer_store_dword v61, off, s[0:3], 0 offset:404
	;; [unrolled: 1-line block ×4, first 2 shown]
	s_waitcnt vmcnt(0)
	ds_write_b128 v69, v[1:4]
.LBB60_343:
	s_or_b32 exec_lo, exec_lo, s4
	s_waitcnt lgkmcnt(0)
	s_waitcnt_vscnt null, 0x0
	s_barrier
	buffer_gl0_inv
	s_clause 0x37
	buffer_load_dword v9, off, s[0:3], 0 offset:424
	buffer_load_dword v10, off, s[0:3], 0 offset:428
	buffer_load_dword v5, off, s[0:3], 0 offset:440
	buffer_load_dword v6, off, s[0:3], 0 offset:444
	buffer_load_dword v7, off, s[0:3], 0 offset:416
	buffer_load_dword v8, off, s[0:3], 0 offset:420
	buffer_load_dword v3, off, s[0:3], 0 offset:456
	buffer_load_dword v4, off, s[0:3], 0 offset:460
	buffer_load_dword v1, off, s[0:3], 0 offset:432
	buffer_load_dword v2, off, s[0:3], 0 offset:436
	buffer_load_dword v14, off, s[0:3], 0 offset:476
	buffer_load_dword v17, off, s[0:3], 0 offset:488
	buffer_load_dword v11, off, s[0:3], 0 offset:480
	buffer_load_dword v13, off, s[0:3], 0 offset:472
	buffer_load_dword v25, off, s[0:3], 0 offset:448
	buffer_load_dword v26, off, s[0:3], 0 offset:452
	buffer_load_dword v18, off, s[0:3], 0 offset:492
	buffer_load_dword v20, off, s[0:3], 0 offset:468
	buffer_load_dword v19, off, s[0:3], 0 offset:464
	buffer_load_dword v22, off, s[0:3], 0 offset:508
	buffer_load_dword v27, off, s[0:3], 0 offset:520
	buffer_load_dword v15, off, s[0:3], 0 offset:512
	buffer_load_dword v21, off, s[0:3], 0 offset:504
	buffer_load_dword v12, off, s[0:3], 0 offset:484
	buffer_load_dword v28, off, s[0:3], 0 offset:524
	buffer_load_dword v30, off, s[0:3], 0 offset:500
	buffer_load_dword v29, off, s[0:3], 0 offset:496
	buffer_load_dword v32, off, s[0:3], 0 offset:540
	buffer_load_dword v35, off, s[0:3], 0 offset:552
	buffer_load_dword v23, off, s[0:3], 0 offset:544
	buffer_load_dword v31, off, s[0:3], 0 offset:536
	buffer_load_dword v16, off, s[0:3], 0 offset:516
	buffer_load_dword v36, off, s[0:3], 0 offset:556
	buffer_load_dword v38, off, s[0:3], 0 offset:532
	buffer_load_dword v37, off, s[0:3], 0 offset:528
	buffer_load_dword v40, off, s[0:3], 0 offset:572
	buffer_load_dword v43, off, s[0:3], 0 offset:584
	buffer_load_dword v33, off, s[0:3], 0 offset:576
	buffer_load_dword v39, off, s[0:3], 0 offset:568
	buffer_load_dword v24, off, s[0:3], 0 offset:548
	buffer_load_dword v44, off, s[0:3], 0 offset:588
	buffer_load_dword v46, off, s[0:3], 0 offset:564
	buffer_load_dword v45, off, s[0:3], 0 offset:560
	buffer_load_dword v48, off, s[0:3], 0 offset:604
	buffer_load_dword v51, off, s[0:3], 0 offset:616
	buffer_load_dword v41, off, s[0:3], 0 offset:608
	buffer_load_dword v47, off, s[0:3], 0 offset:600
	buffer_load_dword v34, off, s[0:3], 0 offset:580
	buffer_load_dword v52, off, s[0:3], 0 offset:620
	buffer_load_dword v54, off, s[0:3], 0 offset:596
	buffer_load_dword v53, off, s[0:3], 0 offset:592
	buffer_load_dword v56, off, s[0:3], 0 offset:636
	buffer_load_dword v57, off, s[0:3], 0 offset:648
	buffer_load_dword v49, off, s[0:3], 0 offset:640
	buffer_load_dword v55, off, s[0:3], 0 offset:632
	buffer_load_dword v42, off, s[0:3], 0 offset:612
	ds_read_b128 v[62:65], v61 offset:1376
	s_clause 0x2
	buffer_load_dword v58, off, s[0:3], 0 offset:652
	buffer_load_dword v60, off, s[0:3], 0 offset:628
	;; [unrolled: 1-line block ×3, first 2 shown]
	ds_read_b128 v[70:73], v61 offset:1392
	s_clause 0x4
	buffer_load_dword v75, off, s[0:3], 0 offset:668
	buffer_load_dword v97, off, s[0:3], 0 offset:680
	;; [unrolled: 1-line block ×5, first 2 shown]
	ds_read_b128 v[93:96], v61 offset:1408
	s_clause 0x2
	buffer_load_dword v98, off, s[0:3], 0 offset:684
	buffer_load_dword v112, off, s[0:3], 0 offset:660
	;; [unrolled: 1-line block ×3, first 2 shown]
	s_mov_b32 s4, exec_lo
	s_waitcnt vmcnt(62) lgkmcnt(2)
	v_mul_f64 v[66:67], v[64:65], v[9:10]
	v_mul_f64 v[9:10], v[62:63], v[9:10]
	s_waitcnt lgkmcnt(1)
	v_mul_f64 v[109:110], v[72:73], v[5:6]
	s_waitcnt vmcnt(59) lgkmcnt(0)
	v_mul_f64 v[117:118], v[95:96], v[3:4]
	v_fma_f64 v[62:63], v[62:63], v[7:8], -v[66:67]
	v_mul_f64 v[66:67], v[70:71], v[5:6]
	v_fma_f64 v[9:10], v[64:65], v[7:8], v[9:10]
	s_waitcnt vmcnt(57)
	v_fma_f64 v[70:71], v[70:71], v[1:2], -v[109:110]
	ds_read_b128 v[5:8], v61 offset:1424
	v_mul_f64 v[64:65], v[93:94], v[3:4]
	s_waitcnt vmcnt(51)
	v_fma_f64 v[93:94], v[93:94], v[25:26], -v[117:118]
	v_add_f64 v[62:63], v[62:63], 0
	v_fma_f64 v[66:67], v[72:73], v[1:2], v[66:67]
	v_add_f64 v[9:10], v[9:10], 0
	s_clause 0x4
	buffer_load_dword v73, off, s[0:3], 0 offset:700
	buffer_load_dword v109, off, s[0:3], 0 offset:712
	;; [unrolled: 1-line block ×5, first 2 shown]
	s_waitcnt lgkmcnt(0)
	v_mul_f64 v[129:130], v[5:6], v[13:14]
	v_mul_f64 v[13:14], v[7:8], v[13:14]
	ds_read_b128 v[1:4], v61 offset:1440
	v_fma_f64 v[25:26], v[95:96], v[25:26], v[64:65]
	v_add_f64 v[70:71], v[62:63], v[70:71]
	v_add_f64 v[9:10], v[9:10], v[66:67]
	s_clause 0x2
	buffer_load_dword v110, off, s[0:3], 0 offset:716
	buffer_load_dword v67, off, s[0:3], 0 offset:692
	;; [unrolled: 1-line block ×3, first 2 shown]
	s_waitcnt vmcnt(58) lgkmcnt(0)
	v_mul_f64 v[95:96], v[1:2], v[17:18]
	v_mul_f64 v[17:18], v[3:4], v[17:18]
	s_waitcnt vmcnt(56)
	v_fma_f64 v[13:14], v[5:6], v[19:20], -v[13:14]
	ds_read_b128 v[62:65], v61 offset:1456
	v_fma_f64 v[19:20], v[7:8], v[19:20], v[129:130]
	v_add_f64 v[70:71], v[70:71], v[93:94]
	v_add_f64 v[9:10], v[9:10], v[25:26]
	s_clause 0x4
	buffer_load_dword v26, off, s[0:3], 0 offset:732
	buffer_load_dword v93, off, s[0:3], 0 offset:744
	;; [unrolled: 1-line block ×5, first 2 shown]
	ds_read_b128 v[5:8], v61 offset:1472
	s_waitcnt vmcnt(57) lgkmcnt(1)
	v_mul_f64 v[129:130], v[62:63], v[21:22]
	v_mul_f64 v[21:22], v[64:65], v[21:22]
	s_waitcnt vmcnt(56)
	v_fma_f64 v[17:18], v[1:2], v[11:12], -v[17:18]
	v_fma_f64 v[11:12], v[3:4], v[11:12], v[95:96]
	v_add_f64 v[13:14], v[70:71], v[13:14]
	v_add_f64 v[9:10], v[9:10], v[19:20]
	s_clause 0x2
	buffer_load_dword v94, off, s[0:3], 0 offset:748
	buffer_load_dword v20, off, s[0:3], 0 offset:724
	;; [unrolled: 1-line block ×3, first 2 shown]
	s_waitcnt vmcnt(58) lgkmcnt(0)
	v_mul_f64 v[70:71], v[5:6], v[27:28]
	v_mul_f64 v[27:28], v[7:8], v[27:28]
	s_waitcnt vmcnt(56)
	v_fma_f64 v[21:22], v[62:63], v[29:30], -v[21:22]
	ds_read_b128 v[1:4], v61 offset:1488
	v_add_f64 v[13:14], v[13:14], v[17:18]
	v_fma_f64 v[17:18], v[64:65], v[29:30], v[129:130]
	v_add_f64 v[29:30], v[9:10], v[11:12]
	s_clause 0x4
	buffer_load_dword v63, off, s[0:3], 0 offset:764
	buffer_load_dword v64, off, s[0:3], 0 offset:776
	;; [unrolled: 1-line block ×5, first 2 shown]
	ds_read_b128 v[9:12], v61 offset:1504
	s_waitcnt vmcnt(57) lgkmcnt(1)
	v_mul_f64 v[129:130], v[1:2], v[31:32]
	v_mul_f64 v[31:32], v[3:4], v[31:32]
	s_waitcnt vmcnt(56)
	v_fma_f64 v[27:28], v[5:6], v[15:16], -v[27:28]
	v_fma_f64 v[15:16], v[7:8], v[15:16], v[70:71]
	v_add_f64 v[13:14], v[13:14], v[21:22]
	s_clause 0x2
	buffer_load_dword v65, off, s[0:3], 0 offset:780
	buffer_load_dword v22, off, s[0:3], 0 offset:756
	;; [unrolled: 1-line block ×3, first 2 shown]
	v_add_f64 v[17:18], v[29:30], v[17:18]
	s_waitcnt vmcnt(58) lgkmcnt(0)
	v_mul_f64 v[29:30], v[9:10], v[35:36]
	v_mul_f64 v[35:36], v[11:12], v[35:36]
	ds_read_b128 v[5:8], v61 offset:1520
	s_waitcnt vmcnt(56)
	v_fma_f64 v[31:32], v[1:2], v[37:38], -v[31:32]
	v_add_f64 v[13:14], v[13:14], v[27:28]
	v_fma_f64 v[27:28], v[3:4], v[37:38], v[129:130]
	v_add_f64 v[15:16], v[17:18], v[15:16]
	s_clause 0x4
	buffer_load_dword v18, off, s[0:3], 0 offset:796
	buffer_load_dword v37, off, s[0:3], 0 offset:808
	;; [unrolled: 1-line block ×5, first 2 shown]
	s_waitcnt vmcnt(57) lgkmcnt(0)
	v_mul_f64 v[129:130], v[5:6], v[39:40]
	v_mul_f64 v[39:40], v[7:8], v[39:40]
	s_waitcnt vmcnt(56)
	v_fma_f64 v[35:36], v[9:10], v[23:24], -v[35:36]
	ds_read_b128 v[1:4], v61 offset:1536
	v_fma_f64 v[23:24], v[11:12], v[23:24], v[29:30]
	v_add_f64 v[13:14], v[13:14], v[31:32]
	v_add_f64 v[15:16], v[15:16], v[27:28]
	s_clause 0x2
	buffer_load_dword v38, off, s[0:3], 0 offset:812
	buffer_load_dword v28, off, s[0:3], 0 offset:788
	;; [unrolled: 1-line block ×3, first 2 shown]
	ds_read_b128 v[9:12], v61 offset:1552
	s_waitcnt vmcnt(58) lgkmcnt(1)
	v_mul_f64 v[31:32], v[3:4], v[43:44]
	s_waitcnt vmcnt(56)
	v_fma_f64 v[39:40], v[5:6], v[45:46], -v[39:40]
	v_mul_f64 v[29:30], v[1:2], v[43:44]
	v_add_f64 v[13:14], v[13:14], v[35:36]
	v_fma_f64 v[35:36], v[7:8], v[45:46], v[129:130]
	v_add_f64 v[15:16], v[15:16], v[23:24]
	s_clause 0x4
	buffer_load_dword v24, off, s[0:3], 0 offset:828
	buffer_load_dword v43, off, s[0:3], 0 offset:840
	;; [unrolled: 1-line block ×5, first 2 shown]
	s_waitcnt vmcnt(57) lgkmcnt(0)
	v_mul_f64 v[129:130], v[9:10], v[47:48]
	v_mul_f64 v[46:47], v[11:12], v[47:48]
	s_waitcnt vmcnt(56)
	v_fma_f64 v[31:32], v[1:2], v[33:34], -v[31:32]
	ds_read_b128 v[5:8], v61 offset:1568
	v_fma_f64 v[29:30], v[3:4], v[33:34], v[29:30]
	s_clause 0x2
	buffer_load_dword v44, off, s[0:3], 0 offset:844
	buffer_load_dword v34, off, s[0:3], 0 offset:820
	;; [unrolled: 1-line block ×3, first 2 shown]
	ds_read_b128 v[1:4], v61 offset:1584
	v_add_f64 v[13:14], v[13:14], v[39:40]
	v_add_f64 v[15:16], v[15:16], v[35:36]
	s_waitcnt vmcnt(58) lgkmcnt(1)
	v_mul_f64 v[39:40], v[7:8], v[51:52]
	s_waitcnt vmcnt(56)
	v_fma_f64 v[47:48], v[9:10], v[53:54], -v[46:47]
	v_mul_f64 v[35:36], v[5:6], v[51:52]
	v_add_f64 v[13:14], v[13:14], v[31:32]
	v_fma_f64 v[31:32], v[11:12], v[53:54], v[129:130]
	v_add_f64 v[15:16], v[15:16], v[29:30]
	s_clause 0x4
	buffer_load_dword v30, off, s[0:3], 0 offset:860
	buffer_load_dword v51, off, s[0:3], 0 offset:872
	;; [unrolled: 1-line block ×5, first 2 shown]
	s_waitcnt vmcnt(57) lgkmcnt(0)
	v_mul_f64 v[129:130], v[1:2], v[55:56]
	v_mul_f64 v[54:55], v[3:4], v[55:56]
	s_waitcnt vmcnt(56)
	v_fma_f64 v[39:40], v[5:6], v[41:42], -v[39:40]
	ds_read_b128 v[9:12], v61 offset:1600
	v_fma_f64 v[35:36], v[7:8], v[41:42], v[35:36]
	v_add_f64 v[13:14], v[13:14], v[47:48]
	v_add_f64 v[15:16], v[15:16], v[31:32]
	s_clause 0x2
	buffer_load_dword v52, off, s[0:3], 0 offset:876
	buffer_load_dword v32, off, s[0:3], 0 offset:852
	;; [unrolled: 1-line block ×3, first 2 shown]
	ds_read_b128 v[5:8], v61 offset:1616
	s_waitcnt vmcnt(58) lgkmcnt(1)
	v_mul_f64 v[47:48], v[11:12], v[57:58]
	s_waitcnt vmcnt(56)
	v_fma_f64 v[55:56], v[1:2], v[59:60], -v[54:55]
	v_mul_f64 v[41:42], v[9:10], v[57:58]
	v_add_f64 v[13:14], v[13:14], v[39:40]
	v_fma_f64 v[39:40], v[3:4], v[59:60], v[129:130]
	v_add_f64 v[15:16], v[15:16], v[35:36]
	s_clause 0x4
	buffer_load_dword v36, off, s[0:3], 0 offset:892
	buffer_load_dword v57, off, s[0:3], 0 offset:904
	;; [unrolled: 1-line block ×5, first 2 shown]
	s_waitcnt vmcnt(57) lgkmcnt(0)
	v_mul_f64 v[129:130], v[5:6], v[74:75]
	v_mul_f64 v[74:75], v[7:8], v[74:75]
	s_waitcnt vmcnt(56)
	v_fma_f64 v[47:48], v[9:10], v[49:50], -v[47:48]
	ds_read_b128 v[1:4], v61 offset:1632
	v_fma_f64 v[41:42], v[11:12], v[49:50], v[41:42]
	v_add_f64 v[13:14], v[13:14], v[55:56]
	v_add_f64 v[15:16], v[15:16], v[39:40]
	s_clause 0x2
	buffer_load_dword v58, off, s[0:3], 0 offset:908
	buffer_load_dword v40, off, s[0:3], 0 offset:884
	;; [unrolled: 1-line block ×3, first 2 shown]
	ds_read_b128 v[9:12], v61 offset:1648
	s_waitcnt vmcnt(58) lgkmcnt(1)
	v_mul_f64 v[55:56], v[3:4], v[97:98]
	s_waitcnt vmcnt(56)
	v_fma_f64 v[74:75], v[5:6], v[111:112], -v[74:75]
	v_mul_f64 v[49:50], v[1:2], v[97:98]
	v_add_f64 v[13:14], v[13:14], v[47:48]
	v_fma_f64 v[47:48], v[7:8], v[111:112], v[129:130]
	v_add_f64 v[15:16], v[15:16], v[41:42]
	s_clause 0x4
	buffer_load_dword v42, off, s[0:3], 0 offset:924
	buffer_load_dword v97, off, s[0:3], 0 offset:936
	buffer_load_dword v111, off, s[0:3], 0 offset:928
	buffer_load_dword v41, off, s[0:3], 0 offset:920
	buffer_load_dword v60, off, s[0:3], 0 offset:900
	ds_read_b128 v[5:8], v61 offset:1664
	s_waitcnt vmcnt(57) lgkmcnt(1)
	v_mul_f64 v[129:130], v[9:10], v[72:73]
	v_mul_f64 v[72:73], v[11:12], v[72:73]
	s_waitcnt vmcnt(56)
	v_fma_f64 v[55:56], v[1:2], v[99:100], -v[55:56]
	v_fma_f64 v[49:50], v[3:4], v[99:100], v[49:50]
	v_add_f64 v[13:14], v[13:14], v[74:75]
	v_add_f64 v[15:16], v[15:16], v[47:48]
	s_clause 0x2
	buffer_load_dword v98, off, s[0:3], 0 offset:940
	buffer_load_dword v48, off, s[0:3], 0 offset:916
	;; [unrolled: 1-line block ×3, first 2 shown]
	ds_read_b128 v[1:4], v61 offset:1680
	s_waitcnt vmcnt(58) lgkmcnt(1)
	v_mul_f64 v[99:100], v[7:8], v[109:110]
	v_mul_f64 v[74:75], v[5:6], v[109:110]
	s_waitcnt vmcnt(56)
	v_fma_f64 v[72:73], v[9:10], v[66:67], -v[72:73]
	v_add_f64 v[13:14], v[13:14], v[55:56]
	v_fma_f64 v[55:56], v[11:12], v[66:67], v[129:130]
	v_add_f64 v[15:16], v[15:16], v[49:50]
	s_clause 0x4
	buffer_load_dword v50, off, s[0:3], 0 offset:956
	buffer_load_dword v66, off, s[0:3], 0 offset:968
	;; [unrolled: 1-line block ×5, first 2 shown]
	ds_read_b128 v[9:12], v61 offset:1696
	s_waitcnt vmcnt(57) lgkmcnt(1)
	v_mul_f64 v[129:130], v[1:2], v[25:26]
	v_mul_f64 v[25:26], v[3:4], v[25:26]
	s_waitcnt vmcnt(56)
	v_fma_f64 v[99:100], v[5:6], v[119:120], -v[99:100]
	v_add_f64 v[13:14], v[13:14], v[72:73]
	v_fma_f64 v[72:73], v[7:8], v[119:120], v[74:75]
	v_add_f64 v[15:16], v[15:16], v[55:56]
	s_clause 0x2
	buffer_load_dword v67, off, s[0:3], 0 offset:972
	buffer_load_dword v56, off, s[0:3], 0 offset:948
	;; [unrolled: 1-line block ×3, first 2 shown]
	ds_read_b128 v[5:8], v61 offset:1712
	s_waitcnt vmcnt(58) lgkmcnt(1)
	v_mul_f64 v[74:75], v[9:10], v[93:94]
	v_mul_f64 v[93:94], v[11:12], v[93:94]
	s_waitcnt vmcnt(56)
	v_fma_f64 v[25:26], v[1:2], v[19:20], -v[25:26]
	v_fma_f64 v[19:20], v[3:4], v[19:20], v[129:130]
	v_add_f64 v[13:14], v[13:14], v[99:100]
	v_add_f64 v[15:16], v[15:16], v[72:73]
	s_clause 0x2
	buffer_load_dword v73, off, s[0:3], 0 offset:988
	buffer_load_dword v72, off, s[0:3], 0 offset:984
	;; [unrolled: 1-line block ×3, first 2 shown]
	ds_read_b128 v[1:4], v61 offset:1728
	s_waitcnt vmcnt(55) lgkmcnt(1)
	v_mul_f64 v[99:100], v[5:6], v[62:63]
	v_mul_f64 v[62:63], v[7:8], v[62:63]
	s_waitcnt vmcnt(54)
	v_fma_f64 v[93:94], v[9:10], v[117:118], -v[93:94]
	v_add_f64 v[13:14], v[13:14], v[25:26]
	v_fma_f64 v[25:26], v[11:12], v[117:118], v[74:75]
	v_add_f64 v[15:16], v[15:16], v[19:20]
	s_clause 0x1
	buffer_load_dword v20, off, s[0:3], 0 offset:980
	buffer_load_dword v19, off, s[0:3], 0 offset:976
	ds_read_b128 v[9:12], v61 offset:1744
	s_waitcnt vmcnt(55) lgkmcnt(1)
	v_mul_f64 v[74:75], v[1:2], v[64:65]
	v_mul_f64 v[64:65], v[3:4], v[64:65]
	s_waitcnt vmcnt(53)
	v_fma_f64 v[62:63], v[5:6], v[21:22], -v[62:63]
	v_fma_f64 v[21:22], v[7:8], v[21:22], v[99:100]
	ds_read_b128 v[5:8], v61 offset:1760
	v_add_f64 v[13:14], v[13:14], v[93:94]
	v_add_f64 v[15:16], v[15:16], v[25:26]
	s_waitcnt vmcnt(49) lgkmcnt(1)
	v_mul_f64 v[25:26], v[9:10], v[17:18]
	v_mul_f64 v[17:18], v[11:12], v[17:18]
	s_waitcnt vmcnt(48)
	v_fma_f64 v[64:65], v[1:2], v[95:96], -v[64:65]
	v_add_f64 v[13:14], v[13:14], v[62:63]
	v_fma_f64 v[62:63], v[3:4], v[95:96], v[74:75]
	v_add_f64 v[15:16], v[15:16], v[21:22]
	s_clause 0x3
	buffer_load_dword v21, off, s[0:3], 0 offset:400
	buffer_load_dword v22, off, s[0:3], 0 offset:404
	;; [unrolled: 1-line block ×4, first 2 shown]
	ds_read_b128 v[1:4], v61 offset:1776
	s_waitcnt vmcnt(51) lgkmcnt(1)
	v_mul_f64 v[93:94], v[5:6], v[37:38]
	v_mul_f64 v[37:38], v[7:8], v[37:38]
	s_waitcnt vmcnt(49)
	v_fma_f64 v[17:18], v[9:10], v[27:28], -v[17:18]
	v_fma_f64 v[25:26], v[11:12], v[27:28], v[25:26]
	ds_read_b128 v[9:12], v61 offset:1792
	v_add_f64 v[13:14], v[13:14], v[64:65]
	v_add_f64 v[15:16], v[15:16], v[62:63]
	s_waitcnt vmcnt(45) lgkmcnt(1)
	v_mul_f64 v[27:28], v[1:2], v[23:24]
	v_mul_f64 v[23:24], v[3:4], v[23:24]
	s_waitcnt vmcnt(44)
	v_fma_f64 v[37:38], v[5:6], v[70:71], -v[37:38]
	v_add_f64 v[13:14], v[13:14], v[17:18]
	v_fma_f64 v[17:18], v[7:8], v[70:71], v[93:94]
	v_add_f64 v[15:16], v[15:16], v[25:26]
	s_waitcnt vmcnt(43) lgkmcnt(0)
	v_mul_f64 v[25:26], v[9:10], v[43:44]
	v_mul_f64 v[43:44], v[11:12], v[43:44]
	ds_read_b128 v[5:8], v61 offset:1808
	s_waitcnt vmcnt(41)
	v_fma_f64 v[27:28], v[3:4], v[33:34], v[27:28]
	v_fma_f64 v[23:24], v[1:2], v[33:34], -v[23:24]
	ds_read_b128 v[1:4], v61 offset:1824
	v_add_f64 v[13:14], v[13:14], v[37:38]
	v_add_f64 v[15:16], v[15:16], v[17:18]
	s_waitcnt vmcnt(37) lgkmcnt(1)
	v_mul_f64 v[17:18], v[5:6], v[29:30]
	v_mul_f64 v[29:30], v[7:8], v[29:30]
	s_waitcnt vmcnt(36)
	v_fma_f64 v[33:34], v[9:10], v[45:46], -v[43:44]
	v_add_f64 v[13:14], v[13:14], v[23:24]
	v_fma_f64 v[23:24], v[11:12], v[45:46], v[25:26]
	v_add_f64 v[15:16], v[15:16], v[27:28]
	ds_read_b128 v[9:12], v61 offset:1840
	s_waitcnt vmcnt(35) lgkmcnt(1)
	v_mul_f64 v[27:28], v[3:4], v[51:52]
	v_mul_f64 v[25:26], v[1:2], v[51:52]
	s_waitcnt vmcnt(33)
	v_fma_f64 v[29:30], v[5:6], v[31:32], -v[29:30]
	v_fma_f64 v[17:18], v[7:8], v[31:32], v[17:18]
	ds_read_b128 v[5:8], v61 offset:1856
	v_add_f64 v[13:14], v[13:14], v[33:34]
	v_add_f64 v[15:16], v[15:16], v[23:24]
	s_waitcnt vmcnt(29) lgkmcnt(1)
	v_mul_f64 v[31:32], v[11:12], v[35:36]
	s_waitcnt vmcnt(28)
	v_fma_f64 v[27:28], v[1:2], v[53:54], -v[27:28]
	v_mul_f64 v[23:24], v[9:10], v[35:36]
	v_fma_f64 v[25:26], v[3:4], v[53:54], v[25:26]
	ds_read_b128 v[1:4], v61 offset:1872
	v_add_f64 v[13:14], v[13:14], v[29:30]
	v_add_f64 v[15:16], v[15:16], v[17:18]
	s_waitcnt vmcnt(27) lgkmcnt(1)
	v_mul_f64 v[29:30], v[7:8], v[57:58]
	v_mul_f64 v[17:18], v[5:6], v[57:58]
	s_waitcnt vmcnt(25)
	v_fma_f64 v[31:32], v[9:10], v[39:40], -v[31:32]
	v_fma_f64 v[23:24], v[11:12], v[39:40], v[23:24]
	ds_read_b128 v[9:12], v61 offset:1888
	v_add_f64 v[13:14], v[13:14], v[27:28]
	v_add_f64 v[15:16], v[15:16], v[25:26]
	s_waitcnt vmcnt(21) lgkmcnt(1)
	v_mul_f64 v[27:28], v[3:4], v[41:42]
	s_waitcnt vmcnt(20)
	v_fma_f64 v[29:30], v[5:6], v[59:60], -v[29:30]
	v_mul_f64 v[25:26], v[1:2], v[41:42]
	v_fma_f64 v[17:18], v[7:8], v[59:60], v[17:18]
	ds_read_b128 v[5:8], v61 offset:1904
	v_add_f64 v[13:14], v[13:14], v[31:32]
	v_add_f64 v[15:16], v[15:16], v[23:24]
	;; [unrolled: 18-line block ×3, first 2 shown]
	s_waitcnt vmcnt(11) lgkmcnt(1)
	v_mul_f64 v[27:28], v[3:4], v[66:67]
	v_mul_f64 v[25:26], v[1:2], v[66:67]
	s_waitcnt vmcnt(9)
	v_fma_f64 v[5:6], v[5:6], v[55:56], -v[29:30]
	v_fma_f64 v[7:8], v[7:8], v[55:56], v[17:18]
	v_add_f64 v[13:14], v[13:14], v[31:32]
	v_add_f64 v[15:16], v[15:16], v[23:24]
	s_waitcnt vmcnt(7) lgkmcnt(0)
	v_mul_f64 v[23:24], v[11:12], v[72:73]
	s_waitcnt vmcnt(6)
	v_fma_f64 v[1:2], v[1:2], v[109:110], -v[27:28]
	v_mul_f64 v[17:18], v[9:10], v[72:73]
	v_fma_f64 v[3:4], v[3:4], v[109:110], v[25:26]
	v_add_f64 v[5:6], v[13:14], v[5:6]
	v_add_f64 v[7:8], v[15:16], v[7:8]
	s_waitcnt vmcnt(4)
	v_fma_f64 v[9:10], v[9:10], v[19:20], -v[23:24]
	v_add_f64 v[1:2], v[5:6], v[1:2]
	v_fma_f64 v[5:6], v[11:12], v[19:20], v[17:18]
	v_add_f64 v[3:4], v[7:8], v[3:4]
	v_add_f64 v[1:2], v[1:2], v[9:10]
	;; [unrolled: 1-line block ×3, first 2 shown]
	s_waitcnt vmcnt(2)
	v_add_f64 v[1:2], v[21:22], -v[1:2]
	s_waitcnt vmcnt(0)
	v_add_f64 v[3:4], v[74:75], -v[3:4]
	buffer_store_dword v2, off, s[0:3], 0 offset:404
	buffer_store_dword v1, off, s[0:3], 0 offset:400
	;; [unrolled: 1-line block ×4, first 2 shown]
	v_cmpx_lt_u32_e32 23, v0
	s_cbranch_execz .LBB60_345
; %bb.344:
	v_mov_b32_e32 v4, s52
	v_mov_b32_e32 v5, 0
	s_clause 0x3
	buffer_load_dword v1, v4, s[0:3], 0 offen
	buffer_load_dword v2, v4, s[0:3], 0 offen offset:4
	buffer_load_dword v3, v4, s[0:3], 0 offen offset:8
	buffer_load_dword v4, v4, s[0:3], 0 offen offset:12
	buffer_store_dword v5, off, s[0:3], 0 offset:384
	buffer_store_dword v5, off, s[0:3], 0 offset:388
	;; [unrolled: 1-line block ×4, first 2 shown]
	s_waitcnt vmcnt(0)
	ds_write_b128 v69, v[1:4]
.LBB60_345:
	s_or_b32 exec_lo, exec_lo, s4
	s_waitcnt lgkmcnt(0)
	s_waitcnt_vscnt null, 0x0
	s_barrier
	buffer_gl0_inv
	s_clause 0x37
	buffer_load_dword v9, off, s[0:3], 0 offset:408
	buffer_load_dword v10, off, s[0:3], 0 offset:412
	;; [unrolled: 1-line block ×56, first 2 shown]
	v_mov_b32_e32 v61, 0
	s_mov_b32 s4, exec_lo
	ds_read_b128 v[62:65], v61 offset:1360
	s_clause 0x2
	buffer_load_dword v58, off, s[0:3], 0 offset:636
	buffer_load_dword v60, off, s[0:3], 0 offset:612
	;; [unrolled: 1-line block ×3, first 2 shown]
	ds_read_b128 v[70:73], v61 offset:1376
	s_clause 0x4
	buffer_load_dword v75, off, s[0:3], 0 offset:652
	buffer_load_dword v97, off, s[0:3], 0 offset:664
	;; [unrolled: 1-line block ×5, first 2 shown]
	ds_read_b128 v[93:96], v61 offset:1392
	s_clause 0x2
	buffer_load_dword v98, off, s[0:3], 0 offset:668
	buffer_load_dword v112, off, s[0:3], 0 offset:644
	;; [unrolled: 1-line block ×3, first 2 shown]
	s_waitcnt vmcnt(62) lgkmcnt(2)
	v_mul_f64 v[66:67], v[64:65], v[9:10]
	v_mul_f64 v[9:10], v[62:63], v[9:10]
	s_waitcnt lgkmcnt(1)
	v_mul_f64 v[109:110], v[72:73], v[5:6]
	s_waitcnt vmcnt(59) lgkmcnt(0)
	v_mul_f64 v[117:118], v[95:96], v[3:4]
	v_fma_f64 v[62:63], v[62:63], v[7:8], -v[66:67]
	v_mul_f64 v[66:67], v[70:71], v[5:6]
	v_fma_f64 v[9:10], v[64:65], v[7:8], v[9:10]
	s_waitcnt vmcnt(57)
	v_fma_f64 v[70:71], v[70:71], v[1:2], -v[109:110]
	ds_read_b128 v[5:8], v61 offset:1408
	v_mul_f64 v[64:65], v[93:94], v[3:4]
	s_waitcnt vmcnt(51)
	v_fma_f64 v[93:94], v[93:94], v[25:26], -v[117:118]
	v_add_f64 v[62:63], v[62:63], 0
	v_fma_f64 v[66:67], v[72:73], v[1:2], v[66:67]
	v_add_f64 v[9:10], v[9:10], 0
	s_clause 0x4
	buffer_load_dword v73, off, s[0:3], 0 offset:684
	buffer_load_dword v109, off, s[0:3], 0 offset:696
	;; [unrolled: 1-line block ×5, first 2 shown]
	s_waitcnt lgkmcnt(0)
	v_mul_f64 v[129:130], v[5:6], v[13:14]
	v_mul_f64 v[13:14], v[7:8], v[13:14]
	ds_read_b128 v[1:4], v61 offset:1424
	v_fma_f64 v[25:26], v[95:96], v[25:26], v[64:65]
	v_add_f64 v[70:71], v[62:63], v[70:71]
	v_add_f64 v[9:10], v[9:10], v[66:67]
	s_clause 0x2
	buffer_load_dword v110, off, s[0:3], 0 offset:700
	buffer_load_dword v67, off, s[0:3], 0 offset:676
	;; [unrolled: 1-line block ×3, first 2 shown]
	s_waitcnt vmcnt(58) lgkmcnt(0)
	v_mul_f64 v[95:96], v[1:2], v[17:18]
	v_mul_f64 v[17:18], v[3:4], v[17:18]
	s_waitcnt vmcnt(56)
	v_fma_f64 v[13:14], v[5:6], v[19:20], -v[13:14]
	ds_read_b128 v[62:65], v61 offset:1440
	v_fma_f64 v[19:20], v[7:8], v[19:20], v[129:130]
	v_add_f64 v[70:71], v[70:71], v[93:94]
	v_add_f64 v[9:10], v[9:10], v[25:26]
	s_clause 0x4
	buffer_load_dword v26, off, s[0:3], 0 offset:716
	buffer_load_dword v93, off, s[0:3], 0 offset:728
	;; [unrolled: 1-line block ×5, first 2 shown]
	ds_read_b128 v[5:8], v61 offset:1456
	s_waitcnt vmcnt(57) lgkmcnt(1)
	v_mul_f64 v[129:130], v[62:63], v[21:22]
	v_mul_f64 v[21:22], v[64:65], v[21:22]
	s_waitcnt vmcnt(56)
	v_fma_f64 v[17:18], v[1:2], v[11:12], -v[17:18]
	v_fma_f64 v[11:12], v[3:4], v[11:12], v[95:96]
	v_add_f64 v[13:14], v[70:71], v[13:14]
	v_add_f64 v[9:10], v[9:10], v[19:20]
	s_clause 0x2
	buffer_load_dword v94, off, s[0:3], 0 offset:732
	buffer_load_dword v20, off, s[0:3], 0 offset:708
	;; [unrolled: 1-line block ×3, first 2 shown]
	s_waitcnt vmcnt(58) lgkmcnt(0)
	v_mul_f64 v[70:71], v[5:6], v[27:28]
	v_mul_f64 v[27:28], v[7:8], v[27:28]
	s_waitcnt vmcnt(56)
	v_fma_f64 v[21:22], v[62:63], v[29:30], -v[21:22]
	ds_read_b128 v[1:4], v61 offset:1472
	v_add_f64 v[13:14], v[13:14], v[17:18]
	v_fma_f64 v[17:18], v[64:65], v[29:30], v[129:130]
	v_add_f64 v[29:30], v[9:10], v[11:12]
	s_clause 0x4
	buffer_load_dword v63, off, s[0:3], 0 offset:748
	buffer_load_dword v64, off, s[0:3], 0 offset:760
	;; [unrolled: 1-line block ×5, first 2 shown]
	ds_read_b128 v[9:12], v61 offset:1488
	s_waitcnt vmcnt(57) lgkmcnt(1)
	v_mul_f64 v[129:130], v[1:2], v[31:32]
	v_mul_f64 v[31:32], v[3:4], v[31:32]
	s_waitcnt vmcnt(56)
	v_fma_f64 v[27:28], v[5:6], v[15:16], -v[27:28]
	v_fma_f64 v[15:16], v[7:8], v[15:16], v[70:71]
	v_add_f64 v[13:14], v[13:14], v[21:22]
	s_clause 0x2
	buffer_load_dword v65, off, s[0:3], 0 offset:764
	buffer_load_dword v22, off, s[0:3], 0 offset:740
	;; [unrolled: 1-line block ×3, first 2 shown]
	v_add_f64 v[17:18], v[29:30], v[17:18]
	s_waitcnt vmcnt(58) lgkmcnt(0)
	v_mul_f64 v[29:30], v[9:10], v[35:36]
	v_mul_f64 v[35:36], v[11:12], v[35:36]
	ds_read_b128 v[5:8], v61 offset:1504
	s_waitcnt vmcnt(56)
	v_fma_f64 v[31:32], v[1:2], v[37:38], -v[31:32]
	v_add_f64 v[13:14], v[13:14], v[27:28]
	v_fma_f64 v[27:28], v[3:4], v[37:38], v[129:130]
	v_add_f64 v[15:16], v[17:18], v[15:16]
	s_clause 0x4
	buffer_load_dword v18, off, s[0:3], 0 offset:780
	buffer_load_dword v37, off, s[0:3], 0 offset:792
	;; [unrolled: 1-line block ×5, first 2 shown]
	s_waitcnt vmcnt(57) lgkmcnt(0)
	v_mul_f64 v[129:130], v[5:6], v[39:40]
	v_mul_f64 v[39:40], v[7:8], v[39:40]
	s_waitcnt vmcnt(56)
	v_fma_f64 v[35:36], v[9:10], v[23:24], -v[35:36]
	ds_read_b128 v[1:4], v61 offset:1520
	v_fma_f64 v[23:24], v[11:12], v[23:24], v[29:30]
	v_add_f64 v[13:14], v[13:14], v[31:32]
	v_add_f64 v[15:16], v[15:16], v[27:28]
	s_clause 0x2
	buffer_load_dword v38, off, s[0:3], 0 offset:796
	buffer_load_dword v28, off, s[0:3], 0 offset:772
	;; [unrolled: 1-line block ×3, first 2 shown]
	ds_read_b128 v[9:12], v61 offset:1536
	s_waitcnt vmcnt(58) lgkmcnt(1)
	v_mul_f64 v[31:32], v[3:4], v[43:44]
	s_waitcnt vmcnt(56)
	v_fma_f64 v[39:40], v[5:6], v[45:46], -v[39:40]
	v_mul_f64 v[29:30], v[1:2], v[43:44]
	v_add_f64 v[13:14], v[13:14], v[35:36]
	v_fma_f64 v[35:36], v[7:8], v[45:46], v[129:130]
	v_add_f64 v[15:16], v[15:16], v[23:24]
	s_clause 0x4
	buffer_load_dword v24, off, s[0:3], 0 offset:812
	buffer_load_dword v43, off, s[0:3], 0 offset:824
	;; [unrolled: 1-line block ×5, first 2 shown]
	s_waitcnt vmcnt(57) lgkmcnt(0)
	v_mul_f64 v[129:130], v[9:10], v[47:48]
	v_mul_f64 v[46:47], v[11:12], v[47:48]
	s_waitcnt vmcnt(56)
	v_fma_f64 v[31:32], v[1:2], v[33:34], -v[31:32]
	ds_read_b128 v[5:8], v61 offset:1552
	v_fma_f64 v[29:30], v[3:4], v[33:34], v[29:30]
	s_clause 0x2
	buffer_load_dword v44, off, s[0:3], 0 offset:828
	buffer_load_dword v34, off, s[0:3], 0 offset:804
	;; [unrolled: 1-line block ×3, first 2 shown]
	ds_read_b128 v[1:4], v61 offset:1568
	v_add_f64 v[13:14], v[13:14], v[39:40]
	v_add_f64 v[15:16], v[15:16], v[35:36]
	s_waitcnt vmcnt(58) lgkmcnt(1)
	v_mul_f64 v[39:40], v[7:8], v[51:52]
	s_waitcnt vmcnt(56)
	v_fma_f64 v[47:48], v[9:10], v[53:54], -v[46:47]
	v_mul_f64 v[35:36], v[5:6], v[51:52]
	v_add_f64 v[13:14], v[13:14], v[31:32]
	v_fma_f64 v[31:32], v[11:12], v[53:54], v[129:130]
	v_add_f64 v[15:16], v[15:16], v[29:30]
	s_clause 0x4
	buffer_load_dword v30, off, s[0:3], 0 offset:844
	buffer_load_dword v51, off, s[0:3], 0 offset:856
	;; [unrolled: 1-line block ×5, first 2 shown]
	s_waitcnt vmcnt(57) lgkmcnt(0)
	v_mul_f64 v[129:130], v[1:2], v[55:56]
	v_mul_f64 v[54:55], v[3:4], v[55:56]
	s_waitcnt vmcnt(56)
	v_fma_f64 v[39:40], v[5:6], v[41:42], -v[39:40]
	ds_read_b128 v[9:12], v61 offset:1584
	v_fma_f64 v[35:36], v[7:8], v[41:42], v[35:36]
	v_add_f64 v[13:14], v[13:14], v[47:48]
	v_add_f64 v[15:16], v[15:16], v[31:32]
	s_clause 0x2
	buffer_load_dword v52, off, s[0:3], 0 offset:860
	buffer_load_dword v32, off, s[0:3], 0 offset:836
	;; [unrolled: 1-line block ×3, first 2 shown]
	ds_read_b128 v[5:8], v61 offset:1600
	s_waitcnt vmcnt(58) lgkmcnt(1)
	v_mul_f64 v[47:48], v[11:12], v[57:58]
	s_waitcnt vmcnt(56)
	v_fma_f64 v[55:56], v[1:2], v[59:60], -v[54:55]
	v_mul_f64 v[41:42], v[9:10], v[57:58]
	v_add_f64 v[13:14], v[13:14], v[39:40]
	v_fma_f64 v[39:40], v[3:4], v[59:60], v[129:130]
	v_add_f64 v[15:16], v[15:16], v[35:36]
	s_clause 0x4
	buffer_load_dword v36, off, s[0:3], 0 offset:876
	buffer_load_dword v57, off, s[0:3], 0 offset:888
	buffer_load_dword v59, off, s[0:3], 0 offset:880
	buffer_load_dword v35, off, s[0:3], 0 offset:872
	buffer_load_dword v54, off, s[0:3], 0 offset:852
	s_waitcnt vmcnt(57) lgkmcnt(0)
	v_mul_f64 v[129:130], v[5:6], v[74:75]
	v_mul_f64 v[74:75], v[7:8], v[74:75]
	s_waitcnt vmcnt(56)
	v_fma_f64 v[47:48], v[9:10], v[49:50], -v[47:48]
	ds_read_b128 v[1:4], v61 offset:1616
	v_fma_f64 v[41:42], v[11:12], v[49:50], v[41:42]
	v_add_f64 v[13:14], v[13:14], v[55:56]
	v_add_f64 v[15:16], v[15:16], v[39:40]
	s_clause 0x2
	buffer_load_dword v58, off, s[0:3], 0 offset:892
	buffer_load_dword v40, off, s[0:3], 0 offset:868
	;; [unrolled: 1-line block ×3, first 2 shown]
	ds_read_b128 v[9:12], v61 offset:1632
	s_waitcnt vmcnt(58) lgkmcnt(1)
	v_mul_f64 v[55:56], v[3:4], v[97:98]
	s_waitcnt vmcnt(56)
	v_fma_f64 v[74:75], v[5:6], v[111:112], -v[74:75]
	v_mul_f64 v[49:50], v[1:2], v[97:98]
	v_add_f64 v[13:14], v[13:14], v[47:48]
	v_fma_f64 v[47:48], v[7:8], v[111:112], v[129:130]
	v_add_f64 v[15:16], v[15:16], v[41:42]
	s_clause 0x4
	buffer_load_dword v42, off, s[0:3], 0 offset:908
	buffer_load_dword v97, off, s[0:3], 0 offset:920
	;; [unrolled: 1-line block ×5, first 2 shown]
	ds_read_b128 v[5:8], v61 offset:1648
	s_waitcnt vmcnt(57) lgkmcnt(1)
	v_mul_f64 v[129:130], v[9:10], v[72:73]
	v_mul_f64 v[72:73], v[11:12], v[72:73]
	s_waitcnt vmcnt(56)
	v_fma_f64 v[55:56], v[1:2], v[99:100], -v[55:56]
	v_fma_f64 v[49:50], v[3:4], v[99:100], v[49:50]
	v_add_f64 v[13:14], v[13:14], v[74:75]
	v_add_f64 v[15:16], v[15:16], v[47:48]
	s_clause 0x2
	buffer_load_dword v98, off, s[0:3], 0 offset:924
	buffer_load_dword v48, off, s[0:3], 0 offset:900
	;; [unrolled: 1-line block ×3, first 2 shown]
	ds_read_b128 v[1:4], v61 offset:1664
	s_waitcnt vmcnt(58) lgkmcnt(1)
	v_mul_f64 v[99:100], v[7:8], v[109:110]
	v_mul_f64 v[74:75], v[5:6], v[109:110]
	s_waitcnt vmcnt(56)
	v_fma_f64 v[72:73], v[9:10], v[66:67], -v[72:73]
	v_add_f64 v[13:14], v[13:14], v[55:56]
	v_fma_f64 v[55:56], v[11:12], v[66:67], v[129:130]
	v_add_f64 v[15:16], v[15:16], v[49:50]
	s_clause 0x4
	buffer_load_dword v50, off, s[0:3], 0 offset:940
	buffer_load_dword v66, off, s[0:3], 0 offset:952
	buffer_load_dword v109, off, s[0:3], 0 offset:944
	buffer_load_dword v49, off, s[0:3], 0 offset:936
	buffer_load_dword v112, off, s[0:3], 0 offset:916
	ds_read_b128 v[9:12], v61 offset:1680
	s_waitcnt vmcnt(57) lgkmcnt(1)
	v_mul_f64 v[129:130], v[1:2], v[25:26]
	v_mul_f64 v[25:26], v[3:4], v[25:26]
	s_waitcnt vmcnt(56)
	v_fma_f64 v[99:100], v[5:6], v[119:120], -v[99:100]
	v_add_f64 v[13:14], v[13:14], v[72:73]
	v_fma_f64 v[72:73], v[7:8], v[119:120], v[74:75]
	v_add_f64 v[15:16], v[15:16], v[55:56]
	s_clause 0x2
	buffer_load_dword v67, off, s[0:3], 0 offset:956
	buffer_load_dword v56, off, s[0:3], 0 offset:932
	;; [unrolled: 1-line block ×3, first 2 shown]
	ds_read_b128 v[5:8], v61 offset:1696
	s_waitcnt vmcnt(58) lgkmcnt(1)
	v_mul_f64 v[74:75], v[9:10], v[93:94]
	v_mul_f64 v[93:94], v[11:12], v[93:94]
	s_waitcnt vmcnt(56)
	v_fma_f64 v[25:26], v[1:2], v[19:20], -v[25:26]
	v_fma_f64 v[19:20], v[3:4], v[19:20], v[129:130]
	v_add_f64 v[13:14], v[13:14], v[99:100]
	v_add_f64 v[15:16], v[15:16], v[72:73]
	s_clause 0x4
	buffer_load_dword v73, off, s[0:3], 0 offset:972
	buffer_load_dword v99, off, s[0:3], 0 offset:984
	;; [unrolled: 1-line block ×5, first 2 shown]
	ds_read_b128 v[1:4], v61 offset:1712
	s_waitcnt vmcnt(57) lgkmcnt(1)
	v_mul_f64 v[129:130], v[5:6], v[62:63]
	v_mul_f64 v[62:63], v[7:8], v[62:63]
	s_waitcnt vmcnt(56)
	v_fma_f64 v[93:94], v[9:10], v[117:118], -v[93:94]
	v_add_f64 v[13:14], v[13:14], v[25:26]
	v_fma_f64 v[25:26], v[11:12], v[117:118], v[74:75]
	v_add_f64 v[15:16], v[15:16], v[19:20]
	s_clause 0x2
	buffer_load_dword v100, off, s[0:3], 0 offset:988
	buffer_load_dword v20, off, s[0:3], 0 offset:964
	;; [unrolled: 1-line block ×3, first 2 shown]
	ds_read_b128 v[9:12], v61 offset:1728
	buffer_load_dword v120, off, s[0:3], 0 offset:980
	s_waitcnt vmcnt(59) lgkmcnt(1)
	v_mul_f64 v[74:75], v[1:2], v[64:65]
	v_mul_f64 v[64:65], v[3:4], v[64:65]
	s_waitcnt vmcnt(57)
	v_fma_f64 v[62:63], v[5:6], v[21:22], -v[62:63]
	v_fma_f64 v[21:22], v[7:8], v[21:22], v[129:130]
	ds_read_b128 v[5:8], v61 offset:1744
	v_add_f64 v[13:14], v[13:14], v[93:94]
	v_add_f64 v[15:16], v[15:16], v[25:26]
	s_waitcnt vmcnt(53) lgkmcnt(1)
	v_mul_f64 v[25:26], v[9:10], v[17:18]
	v_mul_f64 v[17:18], v[11:12], v[17:18]
	s_waitcnt vmcnt(52)
	v_fma_f64 v[64:65], v[1:2], v[95:96], -v[64:65]
	v_add_f64 v[13:14], v[13:14], v[62:63]
	v_fma_f64 v[62:63], v[3:4], v[95:96], v[74:75]
	v_add_f64 v[15:16], v[15:16], v[21:22]
	ds_read_b128 v[1:4], v61 offset:1760
	s_waitcnt vmcnt(51) lgkmcnt(1)
	v_mul_f64 v[21:22], v[5:6], v[37:38]
	v_mul_f64 v[37:38], v[7:8], v[37:38]
	s_waitcnt vmcnt(49)
	v_fma_f64 v[17:18], v[9:10], v[27:28], -v[17:18]
	v_fma_f64 v[25:26], v[11:12], v[27:28], v[25:26]
	v_add_f64 v[13:14], v[13:14], v[64:65]
	v_add_f64 v[15:16], v[15:16], v[62:63]
	s_clause 0x3
	buffer_load_dword v27, off, s[0:3], 0 offset:384
	buffer_load_dword v28, off, s[0:3], 0 offset:388
	;; [unrolled: 1-line block ×4, first 2 shown]
	ds_read_b128 v[9:12], v61 offset:1776
	s_waitcnt vmcnt(49) lgkmcnt(1)
	v_mul_f64 v[64:65], v[1:2], v[23:24]
	v_mul_f64 v[23:24], v[3:4], v[23:24]
	s_waitcnt vmcnt(48)
	v_fma_f64 v[37:38], v[5:6], v[70:71], -v[37:38]
	v_add_f64 v[13:14], v[13:14], v[17:18]
	v_fma_f64 v[17:18], v[7:8], v[70:71], v[21:22]
	v_add_f64 v[15:16], v[15:16], v[25:26]
	ds_read_b128 v[5:8], v61 offset:1792
	s_waitcnt vmcnt(47) lgkmcnt(1)
	v_mul_f64 v[25:26], v[11:12], v[43:44]
	v_mul_f64 v[21:22], v[9:10], v[43:44]
	s_waitcnt vmcnt(45)
	v_fma_f64 v[23:24], v[1:2], v[33:34], -v[23:24]
	v_fma_f64 v[33:34], v[3:4], v[33:34], v[64:65]
	ds_read_b128 v[1:4], v61 offset:1808
	v_add_f64 v[13:14], v[13:14], v[37:38]
	v_add_f64 v[15:16], v[15:16], v[17:18]
	s_waitcnt vmcnt(41) lgkmcnt(1)
	v_mul_f64 v[17:18], v[5:6], v[29:30]
	v_mul_f64 v[29:30], v[7:8], v[29:30]
	s_waitcnt vmcnt(40)
	v_fma_f64 v[25:26], v[9:10], v[45:46], -v[25:26]
	v_fma_f64 v[21:22], v[11:12], v[45:46], v[21:22]
	ds_read_b128 v[9:12], v61 offset:1824
	v_add_f64 v[13:14], v[13:14], v[23:24]
	v_add_f64 v[15:16], v[15:16], v[33:34]
	;; [unrolled: 9-line block ×3, first 2 shown]
	s_waitcnt vmcnt(33) lgkmcnt(1)
	v_mul_f64 v[25:26], v[11:12], v[35:36]
	s_waitcnt vmcnt(32)
	v_fma_f64 v[31:32], v[1:2], v[53:54], -v[33:34]
	v_mul_f64 v[21:22], v[9:10], v[35:36]
	v_fma_f64 v[23:24], v[3:4], v[53:54], v[23:24]
	ds_read_b128 v[1:4], v61 offset:1856
	v_add_f64 v[13:14], v[13:14], v[29:30]
	v_add_f64 v[15:16], v[15:16], v[17:18]
	s_waitcnt vmcnt(31) lgkmcnt(1)
	v_mul_f64 v[29:30], v[7:8], v[57:58]
	v_mul_f64 v[17:18], v[5:6], v[57:58]
	s_waitcnt vmcnt(29)
	v_fma_f64 v[25:26], v[9:10], v[39:40], -v[25:26]
	v_fma_f64 v[21:22], v[11:12], v[39:40], v[21:22]
	ds_read_b128 v[9:12], v61 offset:1872
	v_add_f64 v[13:14], v[13:14], v[31:32]
	v_add_f64 v[15:16], v[15:16], v[23:24]
	s_waitcnt vmcnt(25) lgkmcnt(1)
	v_mul_f64 v[31:32], v[3:4], v[41:42]
	s_waitcnt vmcnt(24)
	v_fma_f64 v[29:30], v[5:6], v[59:60], -v[29:30]
	v_mul_f64 v[23:24], v[1:2], v[41:42]
	v_fma_f64 v[17:18], v[7:8], v[59:60], v[17:18]
	ds_read_b128 v[5:8], v61 offset:1888
	v_add_f64 v[13:14], v[13:14], v[25:26]
	v_add_f64 v[15:16], v[15:16], v[21:22]
	s_waitcnt vmcnt(23) lgkmcnt(1)
	v_mul_f64 v[25:26], v[11:12], v[97:98]
	v_mul_f64 v[21:22], v[9:10], v[97:98]
	s_waitcnt vmcnt(21)
	v_fma_f64 v[31:32], v[1:2], v[47:48], -v[31:32]
	v_fma_f64 v[23:24], v[3:4], v[47:48], v[23:24]
	ds_read_b128 v[1:4], v61 offset:1904
	v_add_f64 v[13:14], v[13:14], v[29:30]
	v_add_f64 v[15:16], v[15:16], v[17:18]
	;; [unrolled: 18-line block ×3, first 2 shown]
	s_waitcnt vmcnt(9) lgkmcnt(1)
	v_mul_f64 v[25:26], v[11:12], v[72:73]
	s_waitcnt vmcnt(8)
	v_fma_f64 v[1:2], v[1:2], v[109:110], -v[31:32]
	v_mul_f64 v[21:22], v[9:10], v[72:73]
	v_fma_f64 v[3:4], v[3:4], v[109:110], v[23:24]
	v_add_f64 v[13:14], v[13:14], v[29:30]
	v_add_f64 v[15:16], v[15:16], v[17:18]
	s_waitcnt vmcnt(7) lgkmcnt(0)
	v_mul_f64 v[23:24], v[7:8], v[99:100]
	v_mul_f64 v[17:18], v[5:6], v[99:100]
	s_waitcnt vmcnt(5)
	v_fma_f64 v[9:10], v[9:10], v[19:20], -v[25:26]
	v_fma_f64 v[11:12], v[11:12], v[19:20], v[21:22]
	v_add_f64 v[1:2], v[13:14], v[1:2]
	v_add_f64 v[3:4], v[15:16], v[3:4]
	s_waitcnt vmcnt(4)
	v_fma_f64 v[5:6], v[5:6], v[119:120], -v[23:24]
	v_fma_f64 v[7:8], v[7:8], v[119:120], v[17:18]
	v_add_f64 v[1:2], v[1:2], v[9:10]
	v_add_f64 v[3:4], v[3:4], v[11:12]
	;; [unrolled: 1-line block ×4, first 2 shown]
	s_waitcnt vmcnt(2)
	v_add_f64 v[1:2], v[27:28], -v[1:2]
	s_waitcnt vmcnt(0)
	v_add_f64 v[3:4], v[62:63], -v[3:4]
	buffer_store_dword v2, off, s[0:3], 0 offset:388
	buffer_store_dword v1, off, s[0:3], 0 offset:384
	;; [unrolled: 1-line block ×4, first 2 shown]
	v_cmpx_lt_u32_e32 22, v0
	s_cbranch_execz .LBB60_347
; %bb.346:
	v_mov_b32_e32 v4, s53
	s_clause 0x3
	buffer_load_dword v1, v4, s[0:3], 0 offen
	buffer_load_dword v2, v4, s[0:3], 0 offen offset:4
	buffer_load_dword v3, v4, s[0:3], 0 offen offset:8
	;; [unrolled: 1-line block ×3, first 2 shown]
	buffer_store_dword v61, off, s[0:3], 0 offset:368
	buffer_store_dword v61, off, s[0:3], 0 offset:372
	;; [unrolled: 1-line block ×4, first 2 shown]
	s_waitcnt vmcnt(0)
	ds_write_b128 v69, v[1:4]
.LBB60_347:
	s_or_b32 exec_lo, exec_lo, s4
	s_waitcnt lgkmcnt(0)
	s_waitcnt_vscnt null, 0x0
	s_barrier
	buffer_gl0_inv
	s_clause 0x37
	buffer_load_dword v9, off, s[0:3], 0 offset:392
	buffer_load_dword v10, off, s[0:3], 0 offset:396
	;; [unrolled: 1-line block ×56, first 2 shown]
	ds_read_b128 v[62:65], v61 offset:1344
	s_clause 0x2
	buffer_load_dword v58, off, s[0:3], 0 offset:620
	buffer_load_dword v60, off, s[0:3], 0 offset:596
	buffer_load_dword v59, off, s[0:3], 0 offset:592
	ds_read_b128 v[70:73], v61 offset:1360
	s_clause 0x4
	buffer_load_dword v75, off, s[0:3], 0 offset:636
	buffer_load_dword v97, off, s[0:3], 0 offset:648
	;; [unrolled: 1-line block ×5, first 2 shown]
	ds_read_b128 v[93:96], v61 offset:1376
	s_clause 0x2
	buffer_load_dword v98, off, s[0:3], 0 offset:652
	buffer_load_dword v112, off, s[0:3], 0 offset:628
	buffer_load_dword v111, off, s[0:3], 0 offset:624
	s_mov_b32 s4, exec_lo
	s_waitcnt vmcnt(62) lgkmcnt(2)
	v_mul_f64 v[66:67], v[64:65], v[9:10]
	v_mul_f64 v[9:10], v[62:63], v[9:10]
	s_waitcnt lgkmcnt(1)
	v_mul_f64 v[109:110], v[72:73], v[5:6]
	s_waitcnt vmcnt(59) lgkmcnt(0)
	v_mul_f64 v[117:118], v[95:96], v[3:4]
	v_fma_f64 v[62:63], v[62:63], v[7:8], -v[66:67]
	v_mul_f64 v[66:67], v[70:71], v[5:6]
	v_fma_f64 v[9:10], v[64:65], v[7:8], v[9:10]
	s_waitcnt vmcnt(57)
	v_fma_f64 v[70:71], v[70:71], v[1:2], -v[109:110]
	ds_read_b128 v[5:8], v61 offset:1392
	v_mul_f64 v[64:65], v[93:94], v[3:4]
	s_waitcnt vmcnt(51)
	v_fma_f64 v[93:94], v[93:94], v[25:26], -v[117:118]
	v_add_f64 v[62:63], v[62:63], 0
	v_fma_f64 v[66:67], v[72:73], v[1:2], v[66:67]
	v_add_f64 v[9:10], v[9:10], 0
	s_clause 0x4
	buffer_load_dword v73, off, s[0:3], 0 offset:668
	buffer_load_dword v109, off, s[0:3], 0 offset:680
	;; [unrolled: 1-line block ×5, first 2 shown]
	s_waitcnt lgkmcnt(0)
	v_mul_f64 v[129:130], v[5:6], v[13:14]
	v_mul_f64 v[13:14], v[7:8], v[13:14]
	ds_read_b128 v[1:4], v61 offset:1408
	v_fma_f64 v[25:26], v[95:96], v[25:26], v[64:65]
	v_add_f64 v[70:71], v[62:63], v[70:71]
	v_add_f64 v[9:10], v[9:10], v[66:67]
	s_clause 0x2
	buffer_load_dword v110, off, s[0:3], 0 offset:684
	buffer_load_dword v67, off, s[0:3], 0 offset:660
	;; [unrolled: 1-line block ×3, first 2 shown]
	s_waitcnt vmcnt(58) lgkmcnt(0)
	v_mul_f64 v[95:96], v[1:2], v[17:18]
	v_mul_f64 v[17:18], v[3:4], v[17:18]
	s_waitcnt vmcnt(56)
	v_fma_f64 v[13:14], v[5:6], v[19:20], -v[13:14]
	ds_read_b128 v[62:65], v61 offset:1424
	v_fma_f64 v[19:20], v[7:8], v[19:20], v[129:130]
	v_add_f64 v[70:71], v[70:71], v[93:94]
	v_add_f64 v[9:10], v[9:10], v[25:26]
	s_clause 0x4
	buffer_load_dword v26, off, s[0:3], 0 offset:700
	buffer_load_dword v93, off, s[0:3], 0 offset:712
	;; [unrolled: 1-line block ×5, first 2 shown]
	ds_read_b128 v[5:8], v61 offset:1440
	s_waitcnt vmcnt(57) lgkmcnt(1)
	v_mul_f64 v[129:130], v[62:63], v[21:22]
	v_mul_f64 v[21:22], v[64:65], v[21:22]
	s_waitcnt vmcnt(56)
	v_fma_f64 v[17:18], v[1:2], v[11:12], -v[17:18]
	v_fma_f64 v[11:12], v[3:4], v[11:12], v[95:96]
	v_add_f64 v[13:14], v[70:71], v[13:14]
	v_add_f64 v[9:10], v[9:10], v[19:20]
	s_clause 0x2
	buffer_load_dword v94, off, s[0:3], 0 offset:716
	buffer_load_dword v20, off, s[0:3], 0 offset:692
	;; [unrolled: 1-line block ×3, first 2 shown]
	s_waitcnt vmcnt(58) lgkmcnt(0)
	v_mul_f64 v[70:71], v[5:6], v[27:28]
	v_mul_f64 v[27:28], v[7:8], v[27:28]
	s_waitcnt vmcnt(56)
	v_fma_f64 v[21:22], v[62:63], v[29:30], -v[21:22]
	ds_read_b128 v[1:4], v61 offset:1456
	v_add_f64 v[13:14], v[13:14], v[17:18]
	v_fma_f64 v[17:18], v[64:65], v[29:30], v[129:130]
	v_add_f64 v[29:30], v[9:10], v[11:12]
	s_clause 0x4
	buffer_load_dword v63, off, s[0:3], 0 offset:732
	buffer_load_dword v64, off, s[0:3], 0 offset:744
	;; [unrolled: 1-line block ×5, first 2 shown]
	ds_read_b128 v[9:12], v61 offset:1472
	s_waitcnt vmcnt(57) lgkmcnt(1)
	v_mul_f64 v[129:130], v[1:2], v[31:32]
	v_mul_f64 v[31:32], v[3:4], v[31:32]
	s_waitcnt vmcnt(56)
	v_fma_f64 v[27:28], v[5:6], v[15:16], -v[27:28]
	v_fma_f64 v[15:16], v[7:8], v[15:16], v[70:71]
	v_add_f64 v[13:14], v[13:14], v[21:22]
	s_clause 0x2
	buffer_load_dword v65, off, s[0:3], 0 offset:748
	buffer_load_dword v22, off, s[0:3], 0 offset:724
	;; [unrolled: 1-line block ×3, first 2 shown]
	v_add_f64 v[17:18], v[29:30], v[17:18]
	s_waitcnt vmcnt(58) lgkmcnt(0)
	v_mul_f64 v[29:30], v[9:10], v[35:36]
	v_mul_f64 v[35:36], v[11:12], v[35:36]
	ds_read_b128 v[5:8], v61 offset:1488
	s_waitcnt vmcnt(56)
	v_fma_f64 v[31:32], v[1:2], v[37:38], -v[31:32]
	v_add_f64 v[13:14], v[13:14], v[27:28]
	v_fma_f64 v[27:28], v[3:4], v[37:38], v[129:130]
	v_add_f64 v[15:16], v[17:18], v[15:16]
	s_clause 0x4
	buffer_load_dword v18, off, s[0:3], 0 offset:764
	buffer_load_dword v37, off, s[0:3], 0 offset:776
	;; [unrolled: 1-line block ×5, first 2 shown]
	s_waitcnt vmcnt(57) lgkmcnt(0)
	v_mul_f64 v[129:130], v[5:6], v[39:40]
	v_mul_f64 v[39:40], v[7:8], v[39:40]
	s_waitcnt vmcnt(56)
	v_fma_f64 v[35:36], v[9:10], v[23:24], -v[35:36]
	ds_read_b128 v[1:4], v61 offset:1504
	v_fma_f64 v[23:24], v[11:12], v[23:24], v[29:30]
	v_add_f64 v[13:14], v[13:14], v[31:32]
	v_add_f64 v[15:16], v[15:16], v[27:28]
	s_clause 0x2
	buffer_load_dword v38, off, s[0:3], 0 offset:780
	buffer_load_dword v28, off, s[0:3], 0 offset:756
	buffer_load_dword v27, off, s[0:3], 0 offset:752
	ds_read_b128 v[9:12], v61 offset:1520
	s_waitcnt vmcnt(58) lgkmcnt(1)
	v_mul_f64 v[31:32], v[3:4], v[43:44]
	s_waitcnt vmcnt(56)
	v_fma_f64 v[39:40], v[5:6], v[45:46], -v[39:40]
	v_mul_f64 v[29:30], v[1:2], v[43:44]
	v_add_f64 v[13:14], v[13:14], v[35:36]
	v_fma_f64 v[35:36], v[7:8], v[45:46], v[129:130]
	v_add_f64 v[15:16], v[15:16], v[23:24]
	s_clause 0x4
	buffer_load_dword v24, off, s[0:3], 0 offset:796
	buffer_load_dword v43, off, s[0:3], 0 offset:808
	;; [unrolled: 1-line block ×5, first 2 shown]
	s_waitcnt vmcnt(57) lgkmcnt(0)
	v_mul_f64 v[129:130], v[9:10], v[47:48]
	v_mul_f64 v[46:47], v[11:12], v[47:48]
	s_waitcnt vmcnt(56)
	v_fma_f64 v[31:32], v[1:2], v[33:34], -v[31:32]
	ds_read_b128 v[5:8], v61 offset:1536
	v_fma_f64 v[29:30], v[3:4], v[33:34], v[29:30]
	s_clause 0x2
	buffer_load_dword v44, off, s[0:3], 0 offset:812
	buffer_load_dword v34, off, s[0:3], 0 offset:788
	;; [unrolled: 1-line block ×3, first 2 shown]
	ds_read_b128 v[1:4], v61 offset:1552
	v_add_f64 v[13:14], v[13:14], v[39:40]
	v_add_f64 v[15:16], v[15:16], v[35:36]
	s_waitcnt vmcnt(58) lgkmcnt(1)
	v_mul_f64 v[39:40], v[7:8], v[51:52]
	s_waitcnt vmcnt(56)
	v_fma_f64 v[47:48], v[9:10], v[53:54], -v[46:47]
	v_mul_f64 v[35:36], v[5:6], v[51:52]
	v_add_f64 v[13:14], v[13:14], v[31:32]
	v_fma_f64 v[31:32], v[11:12], v[53:54], v[129:130]
	v_add_f64 v[15:16], v[15:16], v[29:30]
	s_clause 0x4
	buffer_load_dword v30, off, s[0:3], 0 offset:828
	buffer_load_dword v51, off, s[0:3], 0 offset:840
	;; [unrolled: 1-line block ×5, first 2 shown]
	s_waitcnt vmcnt(57) lgkmcnt(0)
	v_mul_f64 v[129:130], v[1:2], v[55:56]
	v_mul_f64 v[54:55], v[3:4], v[55:56]
	s_waitcnt vmcnt(56)
	v_fma_f64 v[39:40], v[5:6], v[41:42], -v[39:40]
	ds_read_b128 v[9:12], v61 offset:1568
	v_fma_f64 v[35:36], v[7:8], v[41:42], v[35:36]
	v_add_f64 v[13:14], v[13:14], v[47:48]
	v_add_f64 v[15:16], v[15:16], v[31:32]
	s_clause 0x2
	buffer_load_dword v52, off, s[0:3], 0 offset:844
	buffer_load_dword v32, off, s[0:3], 0 offset:820
	;; [unrolled: 1-line block ×3, first 2 shown]
	ds_read_b128 v[5:8], v61 offset:1584
	s_waitcnt vmcnt(58) lgkmcnt(1)
	v_mul_f64 v[47:48], v[11:12], v[57:58]
	s_waitcnt vmcnt(56)
	v_fma_f64 v[55:56], v[1:2], v[59:60], -v[54:55]
	v_mul_f64 v[41:42], v[9:10], v[57:58]
	v_add_f64 v[13:14], v[13:14], v[39:40]
	v_fma_f64 v[39:40], v[3:4], v[59:60], v[129:130]
	v_add_f64 v[15:16], v[15:16], v[35:36]
	s_clause 0x4
	buffer_load_dword v36, off, s[0:3], 0 offset:860
	buffer_load_dword v57, off, s[0:3], 0 offset:872
	buffer_load_dword v59, off, s[0:3], 0 offset:864
	buffer_load_dword v35, off, s[0:3], 0 offset:856
	buffer_load_dword v54, off, s[0:3], 0 offset:836
	s_waitcnt vmcnt(57) lgkmcnt(0)
	v_mul_f64 v[129:130], v[5:6], v[74:75]
	v_mul_f64 v[74:75], v[7:8], v[74:75]
	s_waitcnt vmcnt(56)
	v_fma_f64 v[47:48], v[9:10], v[49:50], -v[47:48]
	ds_read_b128 v[1:4], v61 offset:1600
	v_fma_f64 v[41:42], v[11:12], v[49:50], v[41:42]
	v_add_f64 v[13:14], v[13:14], v[55:56]
	v_add_f64 v[15:16], v[15:16], v[39:40]
	s_clause 0x2
	buffer_load_dword v58, off, s[0:3], 0 offset:876
	buffer_load_dword v40, off, s[0:3], 0 offset:852
	;; [unrolled: 1-line block ×3, first 2 shown]
	ds_read_b128 v[9:12], v61 offset:1616
	s_waitcnt vmcnt(58) lgkmcnt(1)
	v_mul_f64 v[55:56], v[3:4], v[97:98]
	s_waitcnt vmcnt(56)
	v_fma_f64 v[74:75], v[5:6], v[111:112], -v[74:75]
	v_mul_f64 v[49:50], v[1:2], v[97:98]
	v_add_f64 v[13:14], v[13:14], v[47:48]
	v_fma_f64 v[47:48], v[7:8], v[111:112], v[129:130]
	v_add_f64 v[15:16], v[15:16], v[41:42]
	s_clause 0x4
	buffer_load_dword v42, off, s[0:3], 0 offset:892
	buffer_load_dword v97, off, s[0:3], 0 offset:904
	;; [unrolled: 1-line block ×5, first 2 shown]
	ds_read_b128 v[5:8], v61 offset:1632
	s_waitcnt vmcnt(57) lgkmcnt(1)
	v_mul_f64 v[129:130], v[9:10], v[72:73]
	v_mul_f64 v[72:73], v[11:12], v[72:73]
	s_waitcnt vmcnt(56)
	v_fma_f64 v[55:56], v[1:2], v[99:100], -v[55:56]
	v_fma_f64 v[49:50], v[3:4], v[99:100], v[49:50]
	v_add_f64 v[13:14], v[13:14], v[74:75]
	v_add_f64 v[15:16], v[15:16], v[47:48]
	s_clause 0x2
	buffer_load_dword v98, off, s[0:3], 0 offset:908
	buffer_load_dword v48, off, s[0:3], 0 offset:884
	;; [unrolled: 1-line block ×3, first 2 shown]
	ds_read_b128 v[1:4], v61 offset:1648
	s_waitcnt vmcnt(58) lgkmcnt(1)
	v_mul_f64 v[99:100], v[7:8], v[109:110]
	v_mul_f64 v[74:75], v[5:6], v[109:110]
	s_waitcnt vmcnt(56)
	v_fma_f64 v[72:73], v[9:10], v[66:67], -v[72:73]
	v_add_f64 v[13:14], v[13:14], v[55:56]
	v_fma_f64 v[55:56], v[11:12], v[66:67], v[129:130]
	v_add_f64 v[15:16], v[15:16], v[49:50]
	s_clause 0x4
	buffer_load_dword v50, off, s[0:3], 0 offset:924
	buffer_load_dword v66, off, s[0:3], 0 offset:936
	;; [unrolled: 1-line block ×5, first 2 shown]
	ds_read_b128 v[9:12], v61 offset:1664
	s_waitcnt vmcnt(57) lgkmcnt(1)
	v_mul_f64 v[129:130], v[1:2], v[25:26]
	v_mul_f64 v[25:26], v[3:4], v[25:26]
	s_waitcnt vmcnt(56)
	v_fma_f64 v[99:100], v[5:6], v[119:120], -v[99:100]
	v_add_f64 v[13:14], v[13:14], v[72:73]
	v_fma_f64 v[72:73], v[7:8], v[119:120], v[74:75]
	v_add_f64 v[15:16], v[15:16], v[55:56]
	s_clause 0x2
	buffer_load_dword v67, off, s[0:3], 0 offset:940
	buffer_load_dword v56, off, s[0:3], 0 offset:916
	;; [unrolled: 1-line block ×3, first 2 shown]
	ds_read_b128 v[5:8], v61 offset:1680
	s_waitcnt vmcnt(58) lgkmcnt(1)
	v_mul_f64 v[74:75], v[9:10], v[93:94]
	v_mul_f64 v[93:94], v[11:12], v[93:94]
	s_waitcnt vmcnt(56)
	v_fma_f64 v[25:26], v[1:2], v[19:20], -v[25:26]
	v_fma_f64 v[19:20], v[3:4], v[19:20], v[129:130]
	v_add_f64 v[13:14], v[13:14], v[99:100]
	v_add_f64 v[15:16], v[15:16], v[72:73]
	s_clause 0x4
	buffer_load_dword v73, off, s[0:3], 0 offset:956
	buffer_load_dword v99, off, s[0:3], 0 offset:968
	;; [unrolled: 1-line block ×5, first 2 shown]
	ds_read_b128 v[1:4], v61 offset:1696
	s_waitcnt vmcnt(57) lgkmcnt(1)
	v_mul_f64 v[129:130], v[5:6], v[62:63]
	v_mul_f64 v[62:63], v[7:8], v[62:63]
	s_waitcnt vmcnt(56)
	v_fma_f64 v[93:94], v[9:10], v[117:118], -v[93:94]
	v_add_f64 v[13:14], v[13:14], v[25:26]
	v_fma_f64 v[25:26], v[11:12], v[117:118], v[74:75]
	v_add_f64 v[15:16], v[15:16], v[19:20]
	s_clause 0x2
	buffer_load_dword v100, off, s[0:3], 0 offset:972
	buffer_load_dword v20, off, s[0:3], 0 offset:948
	;; [unrolled: 1-line block ×3, first 2 shown]
	ds_read_b128 v[9:12], v61 offset:1712
	s_waitcnt vmcnt(58) lgkmcnt(1)
	v_mul_f64 v[74:75], v[1:2], v[64:65]
	v_mul_f64 v[64:65], v[3:4], v[64:65]
	s_waitcnt vmcnt(56)
	v_fma_f64 v[62:63], v[5:6], v[21:22], -v[62:63]
	v_fma_f64 v[21:22], v[7:8], v[21:22], v[129:130]
	v_add_f64 v[13:14], v[13:14], v[93:94]
	v_add_f64 v[15:16], v[15:16], v[25:26]
	s_clause 0x2
	buffer_load_dword v26, off, s[0:3], 0 offset:988
	buffer_load_dword v25, off, s[0:3], 0 offset:984
	;; [unrolled: 1-line block ×3, first 2 shown]
	ds_read_b128 v[5:8], v61 offset:1728
	s_waitcnt vmcnt(55) lgkmcnt(1)
	v_mul_f64 v[93:94], v[9:10], v[17:18]
	v_mul_f64 v[17:18], v[11:12], v[17:18]
	s_waitcnt vmcnt(54)
	v_fma_f64 v[64:65], v[1:2], v[95:96], -v[64:65]
	v_add_f64 v[13:14], v[13:14], v[62:63]
	v_fma_f64 v[62:63], v[3:4], v[95:96], v[74:75]
	v_add_f64 v[15:16], v[15:16], v[21:22]
	s_clause 0x1
	buffer_load_dword v22, off, s[0:3], 0 offset:980
	buffer_load_dword v21, off, s[0:3], 0 offset:976
	ds_read_b128 v[1:4], v61 offset:1744
	s_waitcnt vmcnt(55) lgkmcnt(1)
	v_mul_f64 v[74:75], v[5:6], v[37:38]
	v_mul_f64 v[37:38], v[7:8], v[37:38]
	s_waitcnt vmcnt(53)
	v_fma_f64 v[17:18], v[9:10], v[27:28], -v[17:18]
	v_fma_f64 v[27:28], v[11:12], v[27:28], v[93:94]
	ds_read_b128 v[9:12], v61 offset:1760
	v_add_f64 v[13:14], v[13:14], v[64:65]
	v_add_f64 v[15:16], v[15:16], v[62:63]
	s_waitcnt vmcnt(49) lgkmcnt(1)
	v_mul_f64 v[62:63], v[1:2], v[23:24]
	v_mul_f64 v[23:24], v[3:4], v[23:24]
	s_waitcnt vmcnt(48)
	v_fma_f64 v[37:38], v[5:6], v[70:71], -v[37:38]
	v_add_f64 v[13:14], v[13:14], v[17:18]
	v_fma_f64 v[17:18], v[7:8], v[70:71], v[74:75]
	v_add_f64 v[15:16], v[15:16], v[27:28]
	s_clause 0x3
	buffer_load_dword v27, off, s[0:3], 0 offset:368
	buffer_load_dword v28, off, s[0:3], 0 offset:372
	;; [unrolled: 1-line block ×4, first 2 shown]
	s_waitcnt vmcnt(51) lgkmcnt(0)
	v_mul_f64 v[70:71], v[9:10], v[43:44]
	v_mul_f64 v[43:44], v[11:12], v[43:44]
	ds_read_b128 v[5:8], v61 offset:1776
	s_waitcnt vmcnt(49)
	v_fma_f64 v[23:24], v[1:2], v[33:34], -v[23:24]
	v_fma_f64 v[33:34], v[3:4], v[33:34], v[62:63]
	ds_read_b128 v[1:4], v61 offset:1792
	v_add_f64 v[13:14], v[13:14], v[37:38]
	v_add_f64 v[15:16], v[15:16], v[17:18]
	s_waitcnt vmcnt(45) lgkmcnt(1)
	v_mul_f64 v[17:18], v[5:6], v[29:30]
	v_mul_f64 v[29:30], v[7:8], v[29:30]
	s_waitcnt vmcnt(44)
	v_fma_f64 v[37:38], v[9:10], v[45:46], -v[43:44]
	v_add_f64 v[13:14], v[13:14], v[23:24]
	v_fma_f64 v[23:24], v[11:12], v[45:46], v[70:71]
	v_add_f64 v[15:16], v[15:16], v[33:34]
	ds_read_b128 v[9:12], v61 offset:1808
	s_waitcnt vmcnt(43) lgkmcnt(1)
	v_mul_f64 v[43:44], v[3:4], v[51:52]
	v_mul_f64 v[33:34], v[1:2], v[51:52]
	s_waitcnt vmcnt(41)
	v_fma_f64 v[29:30], v[5:6], v[31:32], -v[29:30]
	v_fma_f64 v[17:18], v[7:8], v[31:32], v[17:18]
	ds_read_b128 v[5:8], v61 offset:1824
	v_add_f64 v[13:14], v[13:14], v[37:38]
	v_add_f64 v[15:16], v[15:16], v[23:24]
	s_waitcnt vmcnt(37) lgkmcnt(1)
	v_mul_f64 v[23:24], v[9:10], v[35:36]
	v_mul_f64 v[31:32], v[11:12], v[35:36]
	s_waitcnt vmcnt(36)
	v_fma_f64 v[35:36], v[1:2], v[53:54], -v[43:44]
	v_add_f64 v[13:14], v[13:14], v[29:30]
	v_fma_f64 v[29:30], v[3:4], v[53:54], v[33:34]
	v_add_f64 v[15:16], v[15:16], v[17:18]
	ds_read_b128 v[1:4], v61 offset:1840
	s_waitcnt vmcnt(35) lgkmcnt(1)
	v_mul_f64 v[33:34], v[7:8], v[57:58]
	v_mul_f64 v[17:18], v[5:6], v[57:58]
	s_waitcnt vmcnt(33)
	v_fma_f64 v[31:32], v[9:10], v[39:40], -v[31:32]
	v_fma_f64 v[23:24], v[11:12], v[39:40], v[23:24]
	ds_read_b128 v[9:12], v61 offset:1856
	v_add_f64 v[13:14], v[13:14], v[35:36]
	v_add_f64 v[15:16], v[15:16], v[29:30]
	s_waitcnt vmcnt(29) lgkmcnt(1)
	v_mul_f64 v[35:36], v[3:4], v[41:42]
	s_waitcnt vmcnt(28)
	v_fma_f64 v[33:34], v[5:6], v[59:60], -v[33:34]
	v_mul_f64 v[29:30], v[1:2], v[41:42]
	v_fma_f64 v[17:18], v[7:8], v[59:60], v[17:18]
	ds_read_b128 v[5:8], v61 offset:1872
	v_add_f64 v[13:14], v[13:14], v[31:32]
	v_add_f64 v[15:16], v[15:16], v[23:24]
	s_waitcnt vmcnt(27) lgkmcnt(1)
	v_mul_f64 v[31:32], v[11:12], v[97:98]
	v_mul_f64 v[23:24], v[9:10], v[97:98]
	s_waitcnt vmcnt(25)
	v_fma_f64 v[35:36], v[1:2], v[47:48], -v[35:36]
	v_fma_f64 v[29:30], v[3:4], v[47:48], v[29:30]
	ds_read_b128 v[1:4], v61 offset:1888
	v_add_f64 v[13:14], v[13:14], v[33:34]
	v_add_f64 v[15:16], v[15:16], v[17:18]
	s_waitcnt vmcnt(21) lgkmcnt(1)
	v_mul_f64 v[33:34], v[7:8], v[49:50]
	s_waitcnt vmcnt(20)
	v_fma_f64 v[31:32], v[9:10], v[111:112], -v[31:32]
	v_mul_f64 v[17:18], v[5:6], v[49:50]
	v_fma_f64 v[23:24], v[11:12], v[111:112], v[23:24]
	ds_read_b128 v[9:12], v61 offset:1904
	v_add_f64 v[13:14], v[13:14], v[35:36]
	v_add_f64 v[15:16], v[15:16], v[29:30]
	;; [unrolled: 18-line block ×3, first 2 shown]
	s_waitcnt vmcnt(11) lgkmcnt(1)
	v_mul_f64 v[33:34], v[7:8], v[99:100]
	v_mul_f64 v[17:18], v[5:6], v[99:100]
	s_waitcnt vmcnt(9)
	v_fma_f64 v[9:10], v[9:10], v[19:20], -v[31:32]
	v_fma_f64 v[11:12], v[11:12], v[19:20], v[23:24]
	v_add_f64 v[13:14], v[13:14], v[35:36]
	v_add_f64 v[15:16], v[15:16], v[29:30]
	s_waitcnt vmcnt(7) lgkmcnt(0)
	v_mul_f64 v[23:24], v[3:4], v[25:26]
	s_waitcnt vmcnt(6)
	v_fma_f64 v[5:6], v[5:6], v[119:120], -v[33:34]
	v_mul_f64 v[19:20], v[1:2], v[25:26]
	v_fma_f64 v[7:8], v[7:8], v[119:120], v[17:18]
	v_add_f64 v[9:10], v[13:14], v[9:10]
	v_add_f64 v[11:12], v[15:16], v[11:12]
	s_waitcnt vmcnt(4)
	v_fma_f64 v[1:2], v[1:2], v[21:22], -v[23:24]
	v_fma_f64 v[3:4], v[3:4], v[21:22], v[19:20]
	v_add_f64 v[5:6], v[9:10], v[5:6]
	v_add_f64 v[7:8], v[11:12], v[7:8]
	;; [unrolled: 1-line block ×4, first 2 shown]
	s_waitcnt vmcnt(2)
	v_add_f64 v[1:2], v[27:28], -v[1:2]
	s_waitcnt vmcnt(0)
	v_add_f64 v[3:4], v[64:65], -v[3:4]
	buffer_store_dword v2, off, s[0:3], 0 offset:372
	buffer_store_dword v1, off, s[0:3], 0 offset:368
	;; [unrolled: 1-line block ×4, first 2 shown]
	v_cmpx_lt_u32_e32 21, v0
	s_cbranch_execz .LBB60_349
; %bb.348:
	v_mov_b32_e32 v4, s54
	v_mov_b32_e32 v5, 0
	s_clause 0x3
	buffer_load_dword v1, v4, s[0:3], 0 offen
	buffer_load_dword v2, v4, s[0:3], 0 offen offset:4
	buffer_load_dword v3, v4, s[0:3], 0 offen offset:8
	;; [unrolled: 1-line block ×3, first 2 shown]
	buffer_store_dword v5, off, s[0:3], 0 offset:352
	buffer_store_dword v5, off, s[0:3], 0 offset:356
	;; [unrolled: 1-line block ×4, first 2 shown]
	s_waitcnt vmcnt(0)
	ds_write_b128 v69, v[1:4]
.LBB60_349:
	s_or_b32 exec_lo, exec_lo, s4
	s_waitcnt lgkmcnt(0)
	s_waitcnt_vscnt null, 0x0
	s_barrier
	buffer_gl0_inv
	s_clause 0x37
	buffer_load_dword v9, off, s[0:3], 0 offset:376
	buffer_load_dword v10, off, s[0:3], 0 offset:380
	;; [unrolled: 1-line block ×56, first 2 shown]
	v_mov_b32_e32 v61, 0
	s_mov_b32 s4, exec_lo
	ds_read_b128 v[62:65], v61 offset:1328
	s_clause 0x2
	buffer_load_dword v58, off, s[0:3], 0 offset:604
	buffer_load_dword v60, off, s[0:3], 0 offset:580
	buffer_load_dword v59, off, s[0:3], 0 offset:576
	ds_read_b128 v[70:73], v61 offset:1344
	s_clause 0x4
	buffer_load_dword v75, off, s[0:3], 0 offset:620
	buffer_load_dword v97, off, s[0:3], 0 offset:632
	;; [unrolled: 1-line block ×5, first 2 shown]
	ds_read_b128 v[93:96], v61 offset:1360
	s_clause 0x2
	buffer_load_dword v98, off, s[0:3], 0 offset:636
	buffer_load_dword v112, off, s[0:3], 0 offset:612
	;; [unrolled: 1-line block ×3, first 2 shown]
	s_waitcnt vmcnt(62) lgkmcnt(2)
	v_mul_f64 v[66:67], v[64:65], v[9:10]
	v_mul_f64 v[9:10], v[62:63], v[9:10]
	s_waitcnt lgkmcnt(1)
	v_mul_f64 v[109:110], v[72:73], v[5:6]
	s_waitcnt vmcnt(59) lgkmcnt(0)
	v_mul_f64 v[117:118], v[95:96], v[3:4]
	v_fma_f64 v[62:63], v[62:63], v[7:8], -v[66:67]
	v_mul_f64 v[66:67], v[70:71], v[5:6]
	v_fma_f64 v[9:10], v[64:65], v[7:8], v[9:10]
	s_waitcnt vmcnt(57)
	v_fma_f64 v[70:71], v[70:71], v[1:2], -v[109:110]
	ds_read_b128 v[5:8], v61 offset:1376
	v_mul_f64 v[64:65], v[93:94], v[3:4]
	s_waitcnt vmcnt(51)
	v_fma_f64 v[93:94], v[93:94], v[25:26], -v[117:118]
	v_add_f64 v[62:63], v[62:63], 0
	v_fma_f64 v[66:67], v[72:73], v[1:2], v[66:67]
	v_add_f64 v[9:10], v[9:10], 0
	s_clause 0x4
	buffer_load_dword v73, off, s[0:3], 0 offset:652
	buffer_load_dword v109, off, s[0:3], 0 offset:664
	;; [unrolled: 1-line block ×5, first 2 shown]
	s_waitcnt lgkmcnt(0)
	v_mul_f64 v[129:130], v[5:6], v[13:14]
	v_mul_f64 v[13:14], v[7:8], v[13:14]
	ds_read_b128 v[1:4], v61 offset:1392
	v_fma_f64 v[25:26], v[95:96], v[25:26], v[64:65]
	v_add_f64 v[70:71], v[62:63], v[70:71]
	v_add_f64 v[9:10], v[9:10], v[66:67]
	s_clause 0x2
	buffer_load_dword v110, off, s[0:3], 0 offset:668
	buffer_load_dword v67, off, s[0:3], 0 offset:644
	;; [unrolled: 1-line block ×3, first 2 shown]
	s_waitcnt vmcnt(58) lgkmcnt(0)
	v_mul_f64 v[95:96], v[1:2], v[17:18]
	v_mul_f64 v[17:18], v[3:4], v[17:18]
	s_waitcnt vmcnt(56)
	v_fma_f64 v[13:14], v[5:6], v[19:20], -v[13:14]
	ds_read_b128 v[62:65], v61 offset:1408
	v_fma_f64 v[19:20], v[7:8], v[19:20], v[129:130]
	v_add_f64 v[70:71], v[70:71], v[93:94]
	v_add_f64 v[9:10], v[9:10], v[25:26]
	s_clause 0x4
	buffer_load_dword v26, off, s[0:3], 0 offset:684
	buffer_load_dword v93, off, s[0:3], 0 offset:696
	;; [unrolled: 1-line block ×5, first 2 shown]
	ds_read_b128 v[5:8], v61 offset:1424
	s_waitcnt vmcnt(57) lgkmcnt(1)
	v_mul_f64 v[129:130], v[62:63], v[21:22]
	v_mul_f64 v[21:22], v[64:65], v[21:22]
	s_waitcnt vmcnt(56)
	v_fma_f64 v[17:18], v[1:2], v[11:12], -v[17:18]
	v_fma_f64 v[11:12], v[3:4], v[11:12], v[95:96]
	v_add_f64 v[13:14], v[70:71], v[13:14]
	v_add_f64 v[9:10], v[9:10], v[19:20]
	s_clause 0x2
	buffer_load_dword v94, off, s[0:3], 0 offset:700
	buffer_load_dword v20, off, s[0:3], 0 offset:676
	;; [unrolled: 1-line block ×3, first 2 shown]
	s_waitcnt vmcnt(58) lgkmcnt(0)
	v_mul_f64 v[70:71], v[5:6], v[27:28]
	v_mul_f64 v[27:28], v[7:8], v[27:28]
	s_waitcnt vmcnt(56)
	v_fma_f64 v[21:22], v[62:63], v[29:30], -v[21:22]
	ds_read_b128 v[1:4], v61 offset:1440
	v_add_f64 v[13:14], v[13:14], v[17:18]
	v_fma_f64 v[17:18], v[64:65], v[29:30], v[129:130]
	v_add_f64 v[29:30], v[9:10], v[11:12]
	s_clause 0x4
	buffer_load_dword v63, off, s[0:3], 0 offset:716
	buffer_load_dword v64, off, s[0:3], 0 offset:728
	;; [unrolled: 1-line block ×5, first 2 shown]
	ds_read_b128 v[9:12], v61 offset:1456
	s_waitcnt vmcnt(57) lgkmcnt(1)
	v_mul_f64 v[129:130], v[1:2], v[31:32]
	v_mul_f64 v[31:32], v[3:4], v[31:32]
	s_waitcnt vmcnt(56)
	v_fma_f64 v[27:28], v[5:6], v[15:16], -v[27:28]
	v_fma_f64 v[15:16], v[7:8], v[15:16], v[70:71]
	v_add_f64 v[13:14], v[13:14], v[21:22]
	s_clause 0x2
	buffer_load_dword v65, off, s[0:3], 0 offset:732
	buffer_load_dword v22, off, s[0:3], 0 offset:708
	;; [unrolled: 1-line block ×3, first 2 shown]
	v_add_f64 v[17:18], v[29:30], v[17:18]
	s_waitcnt vmcnt(58) lgkmcnt(0)
	v_mul_f64 v[29:30], v[9:10], v[35:36]
	v_mul_f64 v[35:36], v[11:12], v[35:36]
	ds_read_b128 v[5:8], v61 offset:1472
	s_waitcnt vmcnt(56)
	v_fma_f64 v[31:32], v[1:2], v[37:38], -v[31:32]
	v_add_f64 v[13:14], v[13:14], v[27:28]
	v_fma_f64 v[27:28], v[3:4], v[37:38], v[129:130]
	v_add_f64 v[15:16], v[17:18], v[15:16]
	s_clause 0x4
	buffer_load_dword v18, off, s[0:3], 0 offset:748
	buffer_load_dword v37, off, s[0:3], 0 offset:760
	;; [unrolled: 1-line block ×5, first 2 shown]
	s_waitcnt vmcnt(57) lgkmcnt(0)
	v_mul_f64 v[129:130], v[5:6], v[39:40]
	v_mul_f64 v[39:40], v[7:8], v[39:40]
	s_waitcnt vmcnt(56)
	v_fma_f64 v[35:36], v[9:10], v[23:24], -v[35:36]
	ds_read_b128 v[1:4], v61 offset:1488
	v_fma_f64 v[23:24], v[11:12], v[23:24], v[29:30]
	v_add_f64 v[13:14], v[13:14], v[31:32]
	v_add_f64 v[15:16], v[15:16], v[27:28]
	s_clause 0x2
	buffer_load_dword v38, off, s[0:3], 0 offset:764
	buffer_load_dword v28, off, s[0:3], 0 offset:740
	;; [unrolled: 1-line block ×3, first 2 shown]
	ds_read_b128 v[9:12], v61 offset:1504
	s_waitcnt vmcnt(58) lgkmcnt(1)
	v_mul_f64 v[31:32], v[3:4], v[43:44]
	s_waitcnt vmcnt(56)
	v_fma_f64 v[39:40], v[5:6], v[45:46], -v[39:40]
	v_mul_f64 v[29:30], v[1:2], v[43:44]
	v_add_f64 v[13:14], v[13:14], v[35:36]
	v_fma_f64 v[35:36], v[7:8], v[45:46], v[129:130]
	v_add_f64 v[15:16], v[15:16], v[23:24]
	s_clause 0x4
	buffer_load_dword v24, off, s[0:3], 0 offset:780
	buffer_load_dword v43, off, s[0:3], 0 offset:792
	;; [unrolled: 1-line block ×5, first 2 shown]
	s_waitcnt vmcnt(57) lgkmcnt(0)
	v_mul_f64 v[129:130], v[9:10], v[47:48]
	v_mul_f64 v[46:47], v[11:12], v[47:48]
	s_waitcnt vmcnt(56)
	v_fma_f64 v[31:32], v[1:2], v[33:34], -v[31:32]
	ds_read_b128 v[5:8], v61 offset:1520
	v_fma_f64 v[29:30], v[3:4], v[33:34], v[29:30]
	s_clause 0x2
	buffer_load_dword v44, off, s[0:3], 0 offset:796
	buffer_load_dword v34, off, s[0:3], 0 offset:772
	buffer_load_dword v33, off, s[0:3], 0 offset:768
	ds_read_b128 v[1:4], v61 offset:1536
	v_add_f64 v[13:14], v[13:14], v[39:40]
	v_add_f64 v[15:16], v[15:16], v[35:36]
	s_waitcnt vmcnt(58) lgkmcnt(1)
	v_mul_f64 v[39:40], v[7:8], v[51:52]
	s_waitcnt vmcnt(56)
	v_fma_f64 v[47:48], v[9:10], v[53:54], -v[46:47]
	v_mul_f64 v[35:36], v[5:6], v[51:52]
	v_add_f64 v[13:14], v[13:14], v[31:32]
	v_fma_f64 v[31:32], v[11:12], v[53:54], v[129:130]
	v_add_f64 v[15:16], v[15:16], v[29:30]
	s_clause 0x4
	buffer_load_dword v30, off, s[0:3], 0 offset:812
	buffer_load_dword v51, off, s[0:3], 0 offset:824
	;; [unrolled: 1-line block ×5, first 2 shown]
	s_waitcnt vmcnt(57) lgkmcnt(0)
	v_mul_f64 v[129:130], v[1:2], v[55:56]
	v_mul_f64 v[54:55], v[3:4], v[55:56]
	s_waitcnt vmcnt(56)
	v_fma_f64 v[39:40], v[5:6], v[41:42], -v[39:40]
	ds_read_b128 v[9:12], v61 offset:1552
	v_fma_f64 v[35:36], v[7:8], v[41:42], v[35:36]
	v_add_f64 v[13:14], v[13:14], v[47:48]
	v_add_f64 v[15:16], v[15:16], v[31:32]
	s_clause 0x2
	buffer_load_dword v52, off, s[0:3], 0 offset:828
	buffer_load_dword v32, off, s[0:3], 0 offset:804
	;; [unrolled: 1-line block ×3, first 2 shown]
	ds_read_b128 v[5:8], v61 offset:1568
	s_waitcnt vmcnt(58) lgkmcnt(1)
	v_mul_f64 v[47:48], v[11:12], v[57:58]
	s_waitcnt vmcnt(56)
	v_fma_f64 v[55:56], v[1:2], v[59:60], -v[54:55]
	v_mul_f64 v[41:42], v[9:10], v[57:58]
	v_add_f64 v[13:14], v[13:14], v[39:40]
	v_fma_f64 v[39:40], v[3:4], v[59:60], v[129:130]
	v_add_f64 v[15:16], v[15:16], v[35:36]
	s_clause 0x4
	buffer_load_dword v36, off, s[0:3], 0 offset:844
	buffer_load_dword v57, off, s[0:3], 0 offset:856
	;; [unrolled: 1-line block ×5, first 2 shown]
	s_waitcnt vmcnt(57) lgkmcnt(0)
	v_mul_f64 v[129:130], v[5:6], v[74:75]
	v_mul_f64 v[74:75], v[7:8], v[74:75]
	s_waitcnt vmcnt(56)
	v_fma_f64 v[47:48], v[9:10], v[49:50], -v[47:48]
	ds_read_b128 v[1:4], v61 offset:1584
	v_fma_f64 v[41:42], v[11:12], v[49:50], v[41:42]
	v_add_f64 v[13:14], v[13:14], v[55:56]
	v_add_f64 v[15:16], v[15:16], v[39:40]
	s_clause 0x2
	buffer_load_dword v58, off, s[0:3], 0 offset:860
	buffer_load_dword v40, off, s[0:3], 0 offset:836
	buffer_load_dword v39, off, s[0:3], 0 offset:832
	ds_read_b128 v[9:12], v61 offset:1600
	s_waitcnt vmcnt(58) lgkmcnt(1)
	v_mul_f64 v[55:56], v[3:4], v[97:98]
	s_waitcnt vmcnt(56)
	v_fma_f64 v[74:75], v[5:6], v[111:112], -v[74:75]
	v_mul_f64 v[49:50], v[1:2], v[97:98]
	v_add_f64 v[13:14], v[13:14], v[47:48]
	v_fma_f64 v[47:48], v[7:8], v[111:112], v[129:130]
	v_add_f64 v[15:16], v[15:16], v[41:42]
	s_clause 0x4
	buffer_load_dword v42, off, s[0:3], 0 offset:876
	buffer_load_dword v97, off, s[0:3], 0 offset:888
	;; [unrolled: 1-line block ×5, first 2 shown]
	ds_read_b128 v[5:8], v61 offset:1616
	s_waitcnt vmcnt(57) lgkmcnt(1)
	v_mul_f64 v[129:130], v[9:10], v[72:73]
	v_mul_f64 v[72:73], v[11:12], v[72:73]
	s_waitcnt vmcnt(56)
	v_fma_f64 v[55:56], v[1:2], v[99:100], -v[55:56]
	v_fma_f64 v[49:50], v[3:4], v[99:100], v[49:50]
	v_add_f64 v[13:14], v[13:14], v[74:75]
	v_add_f64 v[15:16], v[15:16], v[47:48]
	s_clause 0x2
	buffer_load_dword v98, off, s[0:3], 0 offset:892
	buffer_load_dword v48, off, s[0:3], 0 offset:868
	;; [unrolled: 1-line block ×3, first 2 shown]
	ds_read_b128 v[1:4], v61 offset:1632
	s_waitcnt vmcnt(58) lgkmcnt(1)
	v_mul_f64 v[99:100], v[7:8], v[109:110]
	v_mul_f64 v[74:75], v[5:6], v[109:110]
	s_waitcnt vmcnt(56)
	v_fma_f64 v[72:73], v[9:10], v[66:67], -v[72:73]
	v_add_f64 v[13:14], v[13:14], v[55:56]
	v_fma_f64 v[55:56], v[11:12], v[66:67], v[129:130]
	v_add_f64 v[15:16], v[15:16], v[49:50]
	s_clause 0x4
	buffer_load_dword v50, off, s[0:3], 0 offset:908
	buffer_load_dword v66, off, s[0:3], 0 offset:920
	;; [unrolled: 1-line block ×5, first 2 shown]
	ds_read_b128 v[9:12], v61 offset:1648
	s_waitcnt vmcnt(57) lgkmcnt(1)
	v_mul_f64 v[129:130], v[1:2], v[25:26]
	v_mul_f64 v[25:26], v[3:4], v[25:26]
	s_waitcnt vmcnt(56)
	v_fma_f64 v[99:100], v[5:6], v[119:120], -v[99:100]
	v_add_f64 v[13:14], v[13:14], v[72:73]
	v_fma_f64 v[72:73], v[7:8], v[119:120], v[74:75]
	v_add_f64 v[15:16], v[15:16], v[55:56]
	s_clause 0x2
	buffer_load_dword v67, off, s[0:3], 0 offset:924
	buffer_load_dword v56, off, s[0:3], 0 offset:900
	;; [unrolled: 1-line block ×3, first 2 shown]
	ds_read_b128 v[5:8], v61 offset:1664
	s_waitcnt vmcnt(58) lgkmcnt(1)
	v_mul_f64 v[74:75], v[9:10], v[93:94]
	v_mul_f64 v[93:94], v[11:12], v[93:94]
	s_waitcnt vmcnt(56)
	v_fma_f64 v[25:26], v[1:2], v[19:20], -v[25:26]
	v_fma_f64 v[19:20], v[3:4], v[19:20], v[129:130]
	v_add_f64 v[13:14], v[13:14], v[99:100]
	v_add_f64 v[15:16], v[15:16], v[72:73]
	s_clause 0x4
	buffer_load_dword v73, off, s[0:3], 0 offset:940
	buffer_load_dword v99, off, s[0:3], 0 offset:952
	;; [unrolled: 1-line block ×5, first 2 shown]
	ds_read_b128 v[1:4], v61 offset:1680
	s_waitcnt vmcnt(57) lgkmcnt(1)
	v_mul_f64 v[129:130], v[5:6], v[62:63]
	v_mul_f64 v[62:63], v[7:8], v[62:63]
	s_waitcnt vmcnt(56)
	v_fma_f64 v[93:94], v[9:10], v[117:118], -v[93:94]
	v_add_f64 v[13:14], v[13:14], v[25:26]
	v_fma_f64 v[25:26], v[11:12], v[117:118], v[74:75]
	v_add_f64 v[15:16], v[15:16], v[19:20]
	s_clause 0x2
	buffer_load_dword v100, off, s[0:3], 0 offset:956
	buffer_load_dword v20, off, s[0:3], 0 offset:932
	;; [unrolled: 1-line block ×3, first 2 shown]
	ds_read_b128 v[9:12], v61 offset:1696
	s_waitcnt vmcnt(58) lgkmcnt(1)
	v_mul_f64 v[74:75], v[1:2], v[64:65]
	v_mul_f64 v[64:65], v[3:4], v[64:65]
	s_waitcnt vmcnt(56)
	v_fma_f64 v[62:63], v[5:6], v[21:22], -v[62:63]
	v_fma_f64 v[21:22], v[7:8], v[21:22], v[129:130]
	v_add_f64 v[13:14], v[13:14], v[93:94]
	v_add_f64 v[15:16], v[15:16], v[25:26]
	s_clause 0x4
	buffer_load_dword v26, off, s[0:3], 0 offset:972
	buffer_load_dword v93, off, s[0:3], 0 offset:984
	;; [unrolled: 1-line block ×5, first 2 shown]
	ds_read_b128 v[5:8], v61 offset:1712
	s_waitcnt vmcnt(57) lgkmcnt(1)
	v_mul_f64 v[129:130], v[9:10], v[17:18]
	v_mul_f64 v[17:18], v[11:12], v[17:18]
	s_waitcnt vmcnt(56)
	v_fma_f64 v[64:65], v[1:2], v[95:96], -v[64:65]
	v_add_f64 v[13:14], v[13:14], v[62:63]
	v_fma_f64 v[62:63], v[3:4], v[95:96], v[74:75]
	v_add_f64 v[15:16], v[15:16], v[21:22]
	s_clause 0x2
	buffer_load_dword v94, off, s[0:3], 0 offset:988
	buffer_load_dword v22, off, s[0:3], 0 offset:964
	;; [unrolled: 1-line block ×3, first 2 shown]
	ds_read_b128 v[1:4], v61 offset:1728
	buffer_load_dword v118, off, s[0:3], 0 offset:980
	s_waitcnt vmcnt(59) lgkmcnt(1)
	v_mul_f64 v[74:75], v[5:6], v[37:38]
	v_mul_f64 v[37:38], v[7:8], v[37:38]
	s_waitcnt vmcnt(57)
	v_fma_f64 v[17:18], v[9:10], v[27:28], -v[17:18]
	v_fma_f64 v[27:28], v[11:12], v[27:28], v[129:130]
	ds_read_b128 v[9:12], v61 offset:1744
	v_add_f64 v[13:14], v[13:14], v[64:65]
	v_add_f64 v[15:16], v[15:16], v[62:63]
	s_waitcnt vmcnt(53) lgkmcnt(1)
	v_mul_f64 v[62:63], v[1:2], v[23:24]
	v_mul_f64 v[23:24], v[3:4], v[23:24]
	s_waitcnt vmcnt(52)
	v_fma_f64 v[37:38], v[5:6], v[70:71], -v[37:38]
	v_add_f64 v[13:14], v[13:14], v[17:18]
	v_fma_f64 v[17:18], v[7:8], v[70:71], v[74:75]
	v_add_f64 v[15:16], v[15:16], v[27:28]
	s_waitcnt vmcnt(51) lgkmcnt(0)
	v_mul_f64 v[27:28], v[9:10], v[43:44]
	v_mul_f64 v[43:44], v[11:12], v[43:44]
	ds_read_b128 v[5:8], v61 offset:1760
	s_waitcnt vmcnt(49)
	v_fma_f64 v[23:24], v[1:2], v[33:34], -v[23:24]
	v_fma_f64 v[33:34], v[3:4], v[33:34], v[62:63]
	v_add_f64 v[13:14], v[13:14], v[37:38]
	v_add_f64 v[15:16], v[15:16], v[17:18]
	s_clause 0x3
	buffer_load_dword v17, off, s[0:3], 0 offset:352
	buffer_load_dword v18, off, s[0:3], 0 offset:356
	;; [unrolled: 1-line block ×4, first 2 shown]
	ds_read_b128 v[1:4], v61 offset:1776
	s_waitcnt vmcnt(49) lgkmcnt(1)
	v_mul_f64 v[62:63], v[5:6], v[29:30]
	v_mul_f64 v[29:30], v[7:8], v[29:30]
	s_waitcnt vmcnt(48)
	v_fma_f64 v[43:44], v[9:10], v[45:46], -v[43:44]
	v_add_f64 v[13:14], v[13:14], v[23:24]
	v_fma_f64 v[23:24], v[11:12], v[45:46], v[27:28]
	v_add_f64 v[15:16], v[15:16], v[33:34]
	ds_read_b128 v[9:12], v61 offset:1792
	s_waitcnt vmcnt(47) lgkmcnt(1)
	v_mul_f64 v[33:34], v[3:4], v[51:52]
	v_mul_f64 v[27:28], v[1:2], v[51:52]
	s_waitcnt vmcnt(45)
	v_fma_f64 v[29:30], v[5:6], v[31:32], -v[29:30]
	v_fma_f64 v[31:32], v[7:8], v[31:32], v[62:63]
	ds_read_b128 v[5:8], v61 offset:1808
	v_add_f64 v[13:14], v[13:14], v[43:44]
	v_add_f64 v[15:16], v[15:16], v[23:24]
	s_waitcnt vmcnt(41) lgkmcnt(1)
	v_mul_f64 v[23:24], v[9:10], v[35:36]
	v_mul_f64 v[35:36], v[11:12], v[35:36]
	s_waitcnt vmcnt(40)
	v_fma_f64 v[33:34], v[1:2], v[53:54], -v[33:34]
	v_fma_f64 v[27:28], v[3:4], v[53:54], v[27:28]
	ds_read_b128 v[1:4], v61 offset:1824
	v_add_f64 v[13:14], v[13:14], v[29:30]
	v_add_f64 v[15:16], v[15:16], v[31:32]
	;; [unrolled: 9-line block ×3, first 2 shown]
	s_waitcnt vmcnt(33) lgkmcnt(1)
	v_mul_f64 v[33:34], v[3:4], v[41:42]
	s_waitcnt vmcnt(32)
	v_fma_f64 v[31:32], v[5:6], v[59:60], -v[31:32]
	v_mul_f64 v[27:28], v[1:2], v[41:42]
	v_fma_f64 v[29:30], v[7:8], v[59:60], v[29:30]
	ds_read_b128 v[5:8], v61 offset:1856
	v_add_f64 v[13:14], v[13:14], v[35:36]
	v_add_f64 v[15:16], v[15:16], v[23:24]
	s_waitcnt vmcnt(31) lgkmcnt(1)
	v_mul_f64 v[35:36], v[11:12], v[97:98]
	v_mul_f64 v[23:24], v[9:10], v[97:98]
	s_waitcnt vmcnt(29)
	v_fma_f64 v[33:34], v[1:2], v[47:48], -v[33:34]
	v_fma_f64 v[27:28], v[3:4], v[47:48], v[27:28]
	ds_read_b128 v[1:4], v61 offset:1872
	v_add_f64 v[13:14], v[13:14], v[31:32]
	v_add_f64 v[15:16], v[15:16], v[29:30]
	s_waitcnt vmcnt(25) lgkmcnt(1)
	v_mul_f64 v[31:32], v[7:8], v[49:50]
	s_waitcnt vmcnt(24)
	v_fma_f64 v[35:36], v[9:10], v[111:112], -v[35:36]
	v_mul_f64 v[29:30], v[5:6], v[49:50]
	v_fma_f64 v[23:24], v[11:12], v[111:112], v[23:24]
	ds_read_b128 v[9:12], v61 offset:1888
	v_add_f64 v[13:14], v[13:14], v[33:34]
	v_add_f64 v[15:16], v[15:16], v[27:28]
	s_waitcnt vmcnt(23) lgkmcnt(1)
	v_mul_f64 v[33:34], v[3:4], v[66:67]
	v_mul_f64 v[27:28], v[1:2], v[66:67]
	s_waitcnt vmcnt(21)
	v_fma_f64 v[31:32], v[5:6], v[55:56], -v[31:32]
	v_fma_f64 v[29:30], v[7:8], v[55:56], v[29:30]
	ds_read_b128 v[5:8], v61 offset:1904
	v_add_f64 v[13:14], v[13:14], v[35:36]
	v_add_f64 v[15:16], v[15:16], v[23:24]
	;; [unrolled: 18-line block ×3, first 2 shown]
	s_waitcnt vmcnt(9) lgkmcnt(1)
	v_mul_f64 v[23:24], v[1:2], v[25:26]
	v_mul_f64 v[25:26], v[3:4], v[25:26]
	s_waitcnt vmcnt(8)
	v_fma_f64 v[5:6], v[5:6], v[119:120], -v[31:32]
	v_fma_f64 v[7:8], v[7:8], v[119:120], v[29:30]
	v_add_f64 v[13:14], v[13:14], v[35:36]
	v_add_f64 v[15:16], v[15:16], v[19:20]
	s_waitcnt vmcnt(7) lgkmcnt(0)
	v_mul_f64 v[27:28], v[11:12], v[93:94]
	v_mul_f64 v[19:20], v[9:10], v[93:94]
	s_waitcnt vmcnt(5)
	v_fma_f64 v[1:2], v[1:2], v[21:22], -v[25:26]
	v_fma_f64 v[3:4], v[3:4], v[21:22], v[23:24]
	v_add_f64 v[5:6], v[13:14], v[5:6]
	v_add_f64 v[7:8], v[15:16], v[7:8]
	s_waitcnt vmcnt(4)
	v_fma_f64 v[9:10], v[9:10], v[117:118], -v[27:28]
	v_add_f64 v[1:2], v[5:6], v[1:2]
	v_fma_f64 v[5:6], v[11:12], v[117:118], v[19:20]
	v_add_f64 v[3:4], v[7:8], v[3:4]
	v_add_f64 v[1:2], v[1:2], v[9:10]
	;; [unrolled: 1-line block ×3, first 2 shown]
	s_waitcnt vmcnt(2)
	v_add_f64 v[1:2], v[17:18], -v[1:2]
	s_waitcnt vmcnt(0)
	v_add_f64 v[3:4], v[37:38], -v[3:4]
	buffer_store_dword v2, off, s[0:3], 0 offset:356
	buffer_store_dword v1, off, s[0:3], 0 offset:352
	buffer_store_dword v4, off, s[0:3], 0 offset:364
	buffer_store_dword v3, off, s[0:3], 0 offset:360
	v_cmpx_lt_u32_e32 20, v0
	s_cbranch_execz .LBB60_351
; %bb.350:
	v_mov_b32_e32 v4, s55
	s_clause 0x3
	buffer_load_dword v1, v4, s[0:3], 0 offen
	buffer_load_dword v2, v4, s[0:3], 0 offen offset:4
	buffer_load_dword v3, v4, s[0:3], 0 offen offset:8
	;; [unrolled: 1-line block ×3, first 2 shown]
	buffer_store_dword v61, off, s[0:3], 0 offset:336
	buffer_store_dword v61, off, s[0:3], 0 offset:340
	;; [unrolled: 1-line block ×4, first 2 shown]
	s_waitcnt vmcnt(0)
	ds_write_b128 v69, v[1:4]
.LBB60_351:
	s_or_b32 exec_lo, exec_lo, s4
	s_waitcnt lgkmcnt(0)
	s_waitcnt_vscnt null, 0x0
	s_barrier
	buffer_gl0_inv
	s_clause 0x37
	buffer_load_dword v9, off, s[0:3], 0 offset:360
	buffer_load_dword v10, off, s[0:3], 0 offset:364
	;; [unrolled: 1-line block ×56, first 2 shown]
	ds_read_b128 v[62:65], v61 offset:1312
	s_clause 0x2
	buffer_load_dword v58, off, s[0:3], 0 offset:588
	buffer_load_dword v60, off, s[0:3], 0 offset:564
	;; [unrolled: 1-line block ×3, first 2 shown]
	ds_read_b128 v[70:73], v61 offset:1328
	s_clause 0x4
	buffer_load_dword v75, off, s[0:3], 0 offset:604
	buffer_load_dword v97, off, s[0:3], 0 offset:616
	;; [unrolled: 1-line block ×5, first 2 shown]
	ds_read_b128 v[93:96], v61 offset:1344
	s_clause 0x2
	buffer_load_dword v98, off, s[0:3], 0 offset:620
	buffer_load_dword v112, off, s[0:3], 0 offset:596
	;; [unrolled: 1-line block ×3, first 2 shown]
	s_mov_b32 s4, exec_lo
	s_waitcnt vmcnt(62) lgkmcnt(2)
	v_mul_f64 v[66:67], v[64:65], v[9:10]
	v_mul_f64 v[9:10], v[62:63], v[9:10]
	s_waitcnt lgkmcnt(1)
	v_mul_f64 v[109:110], v[72:73], v[5:6]
	s_waitcnt vmcnt(59) lgkmcnt(0)
	v_mul_f64 v[117:118], v[95:96], v[3:4]
	v_fma_f64 v[62:63], v[62:63], v[7:8], -v[66:67]
	v_mul_f64 v[66:67], v[70:71], v[5:6]
	v_fma_f64 v[9:10], v[64:65], v[7:8], v[9:10]
	s_waitcnt vmcnt(57)
	v_fma_f64 v[70:71], v[70:71], v[1:2], -v[109:110]
	ds_read_b128 v[5:8], v61 offset:1360
	v_mul_f64 v[64:65], v[93:94], v[3:4]
	s_waitcnt vmcnt(51)
	v_fma_f64 v[93:94], v[93:94], v[25:26], -v[117:118]
	v_add_f64 v[62:63], v[62:63], 0
	v_fma_f64 v[66:67], v[72:73], v[1:2], v[66:67]
	v_add_f64 v[9:10], v[9:10], 0
	s_clause 0x4
	buffer_load_dword v73, off, s[0:3], 0 offset:636
	buffer_load_dword v109, off, s[0:3], 0 offset:648
	;; [unrolled: 1-line block ×5, first 2 shown]
	s_waitcnt lgkmcnt(0)
	v_mul_f64 v[129:130], v[5:6], v[13:14]
	v_mul_f64 v[13:14], v[7:8], v[13:14]
	ds_read_b128 v[1:4], v61 offset:1376
	v_fma_f64 v[25:26], v[95:96], v[25:26], v[64:65]
	v_add_f64 v[70:71], v[62:63], v[70:71]
	v_add_f64 v[9:10], v[9:10], v[66:67]
	s_clause 0x2
	buffer_load_dword v110, off, s[0:3], 0 offset:652
	buffer_load_dword v67, off, s[0:3], 0 offset:628
	;; [unrolled: 1-line block ×3, first 2 shown]
	s_waitcnt vmcnt(58) lgkmcnt(0)
	v_mul_f64 v[95:96], v[1:2], v[17:18]
	v_mul_f64 v[17:18], v[3:4], v[17:18]
	s_waitcnt vmcnt(56)
	v_fma_f64 v[13:14], v[5:6], v[19:20], -v[13:14]
	ds_read_b128 v[62:65], v61 offset:1392
	v_fma_f64 v[19:20], v[7:8], v[19:20], v[129:130]
	v_add_f64 v[70:71], v[70:71], v[93:94]
	v_add_f64 v[9:10], v[9:10], v[25:26]
	s_clause 0x4
	buffer_load_dword v26, off, s[0:3], 0 offset:668
	buffer_load_dword v93, off, s[0:3], 0 offset:680
	;; [unrolled: 1-line block ×5, first 2 shown]
	ds_read_b128 v[5:8], v61 offset:1408
	s_waitcnt vmcnt(57) lgkmcnt(1)
	v_mul_f64 v[129:130], v[62:63], v[21:22]
	v_mul_f64 v[21:22], v[64:65], v[21:22]
	s_waitcnt vmcnt(56)
	v_fma_f64 v[17:18], v[1:2], v[11:12], -v[17:18]
	v_fma_f64 v[11:12], v[3:4], v[11:12], v[95:96]
	v_add_f64 v[13:14], v[70:71], v[13:14]
	v_add_f64 v[9:10], v[9:10], v[19:20]
	s_clause 0x2
	buffer_load_dword v94, off, s[0:3], 0 offset:684
	buffer_load_dword v20, off, s[0:3], 0 offset:660
	buffer_load_dword v19, off, s[0:3], 0 offset:656
	s_waitcnt vmcnt(58) lgkmcnt(0)
	v_mul_f64 v[70:71], v[5:6], v[27:28]
	v_mul_f64 v[27:28], v[7:8], v[27:28]
	s_waitcnt vmcnt(56)
	v_fma_f64 v[21:22], v[62:63], v[29:30], -v[21:22]
	ds_read_b128 v[1:4], v61 offset:1424
	v_add_f64 v[13:14], v[13:14], v[17:18]
	v_fma_f64 v[17:18], v[64:65], v[29:30], v[129:130]
	v_add_f64 v[29:30], v[9:10], v[11:12]
	s_clause 0x4
	buffer_load_dword v63, off, s[0:3], 0 offset:700
	buffer_load_dword v64, off, s[0:3], 0 offset:712
	;; [unrolled: 1-line block ×5, first 2 shown]
	ds_read_b128 v[9:12], v61 offset:1440
	s_waitcnt vmcnt(57) lgkmcnt(1)
	v_mul_f64 v[129:130], v[1:2], v[31:32]
	v_mul_f64 v[31:32], v[3:4], v[31:32]
	s_waitcnt vmcnt(56)
	v_fma_f64 v[27:28], v[5:6], v[15:16], -v[27:28]
	v_fma_f64 v[15:16], v[7:8], v[15:16], v[70:71]
	v_add_f64 v[13:14], v[13:14], v[21:22]
	s_clause 0x2
	buffer_load_dword v65, off, s[0:3], 0 offset:716
	buffer_load_dword v22, off, s[0:3], 0 offset:692
	;; [unrolled: 1-line block ×3, first 2 shown]
	v_add_f64 v[17:18], v[29:30], v[17:18]
	s_waitcnt vmcnt(58) lgkmcnt(0)
	v_mul_f64 v[29:30], v[9:10], v[35:36]
	v_mul_f64 v[35:36], v[11:12], v[35:36]
	ds_read_b128 v[5:8], v61 offset:1456
	s_waitcnt vmcnt(56)
	v_fma_f64 v[31:32], v[1:2], v[37:38], -v[31:32]
	v_add_f64 v[13:14], v[13:14], v[27:28]
	v_fma_f64 v[27:28], v[3:4], v[37:38], v[129:130]
	v_add_f64 v[15:16], v[17:18], v[15:16]
	s_clause 0x4
	buffer_load_dword v18, off, s[0:3], 0 offset:732
	buffer_load_dword v37, off, s[0:3], 0 offset:744
	buffer_load_dword v70, off, s[0:3], 0 offset:736
	buffer_load_dword v17, off, s[0:3], 0 offset:728
	buffer_load_dword v96, off, s[0:3], 0 offset:708
	s_waitcnt vmcnt(57) lgkmcnt(0)
	v_mul_f64 v[129:130], v[5:6], v[39:40]
	v_mul_f64 v[39:40], v[7:8], v[39:40]
	s_waitcnt vmcnt(56)
	v_fma_f64 v[35:36], v[9:10], v[23:24], -v[35:36]
	ds_read_b128 v[1:4], v61 offset:1472
	v_fma_f64 v[23:24], v[11:12], v[23:24], v[29:30]
	v_add_f64 v[13:14], v[13:14], v[31:32]
	v_add_f64 v[15:16], v[15:16], v[27:28]
	s_clause 0x2
	buffer_load_dword v38, off, s[0:3], 0 offset:748
	buffer_load_dword v28, off, s[0:3], 0 offset:724
	buffer_load_dword v27, off, s[0:3], 0 offset:720
	ds_read_b128 v[9:12], v61 offset:1488
	s_waitcnt vmcnt(58) lgkmcnt(1)
	v_mul_f64 v[31:32], v[3:4], v[43:44]
	s_waitcnt vmcnt(56)
	v_fma_f64 v[39:40], v[5:6], v[45:46], -v[39:40]
	v_mul_f64 v[29:30], v[1:2], v[43:44]
	v_add_f64 v[13:14], v[13:14], v[35:36]
	v_fma_f64 v[35:36], v[7:8], v[45:46], v[129:130]
	v_add_f64 v[15:16], v[15:16], v[23:24]
	s_clause 0x4
	buffer_load_dword v24, off, s[0:3], 0 offset:764
	buffer_load_dword v43, off, s[0:3], 0 offset:776
	;; [unrolled: 1-line block ×5, first 2 shown]
	s_waitcnt vmcnt(57) lgkmcnt(0)
	v_mul_f64 v[129:130], v[9:10], v[47:48]
	v_mul_f64 v[46:47], v[11:12], v[47:48]
	s_waitcnt vmcnt(56)
	v_fma_f64 v[31:32], v[1:2], v[33:34], -v[31:32]
	ds_read_b128 v[5:8], v61 offset:1504
	v_fma_f64 v[29:30], v[3:4], v[33:34], v[29:30]
	s_clause 0x2
	buffer_load_dword v44, off, s[0:3], 0 offset:780
	buffer_load_dword v34, off, s[0:3], 0 offset:756
	;; [unrolled: 1-line block ×3, first 2 shown]
	ds_read_b128 v[1:4], v61 offset:1520
	v_add_f64 v[13:14], v[13:14], v[39:40]
	v_add_f64 v[15:16], v[15:16], v[35:36]
	s_waitcnt vmcnt(58) lgkmcnt(1)
	v_mul_f64 v[39:40], v[7:8], v[51:52]
	s_waitcnt vmcnt(56)
	v_fma_f64 v[47:48], v[9:10], v[53:54], -v[46:47]
	v_mul_f64 v[35:36], v[5:6], v[51:52]
	v_add_f64 v[13:14], v[13:14], v[31:32]
	v_fma_f64 v[31:32], v[11:12], v[53:54], v[129:130]
	v_add_f64 v[15:16], v[15:16], v[29:30]
	s_clause 0x4
	buffer_load_dword v30, off, s[0:3], 0 offset:796
	buffer_load_dword v51, off, s[0:3], 0 offset:808
	;; [unrolled: 1-line block ×5, first 2 shown]
	s_waitcnt vmcnt(57) lgkmcnt(0)
	v_mul_f64 v[129:130], v[1:2], v[55:56]
	v_mul_f64 v[54:55], v[3:4], v[55:56]
	s_waitcnt vmcnt(56)
	v_fma_f64 v[39:40], v[5:6], v[41:42], -v[39:40]
	ds_read_b128 v[9:12], v61 offset:1536
	v_fma_f64 v[35:36], v[7:8], v[41:42], v[35:36]
	v_add_f64 v[13:14], v[13:14], v[47:48]
	v_add_f64 v[15:16], v[15:16], v[31:32]
	s_clause 0x2
	buffer_load_dword v52, off, s[0:3], 0 offset:812
	buffer_load_dword v32, off, s[0:3], 0 offset:788
	;; [unrolled: 1-line block ×3, first 2 shown]
	ds_read_b128 v[5:8], v61 offset:1552
	s_waitcnt vmcnt(58) lgkmcnt(1)
	v_mul_f64 v[47:48], v[11:12], v[57:58]
	s_waitcnt vmcnt(56)
	v_fma_f64 v[55:56], v[1:2], v[59:60], -v[54:55]
	v_mul_f64 v[41:42], v[9:10], v[57:58]
	v_add_f64 v[13:14], v[13:14], v[39:40]
	v_fma_f64 v[39:40], v[3:4], v[59:60], v[129:130]
	v_add_f64 v[15:16], v[15:16], v[35:36]
	s_clause 0x4
	buffer_load_dword v36, off, s[0:3], 0 offset:828
	buffer_load_dword v57, off, s[0:3], 0 offset:840
	buffer_load_dword v59, off, s[0:3], 0 offset:832
	buffer_load_dword v35, off, s[0:3], 0 offset:824
	buffer_load_dword v54, off, s[0:3], 0 offset:804
	s_waitcnt vmcnt(57) lgkmcnt(0)
	v_mul_f64 v[129:130], v[5:6], v[74:75]
	v_mul_f64 v[74:75], v[7:8], v[74:75]
	s_waitcnt vmcnt(56)
	v_fma_f64 v[47:48], v[9:10], v[49:50], -v[47:48]
	ds_read_b128 v[1:4], v61 offset:1568
	v_fma_f64 v[41:42], v[11:12], v[49:50], v[41:42]
	v_add_f64 v[13:14], v[13:14], v[55:56]
	v_add_f64 v[15:16], v[15:16], v[39:40]
	s_clause 0x2
	buffer_load_dword v58, off, s[0:3], 0 offset:844
	buffer_load_dword v40, off, s[0:3], 0 offset:820
	;; [unrolled: 1-line block ×3, first 2 shown]
	ds_read_b128 v[9:12], v61 offset:1584
	s_waitcnt vmcnt(58) lgkmcnt(1)
	v_mul_f64 v[55:56], v[3:4], v[97:98]
	s_waitcnt vmcnt(56)
	v_fma_f64 v[74:75], v[5:6], v[111:112], -v[74:75]
	v_mul_f64 v[49:50], v[1:2], v[97:98]
	v_add_f64 v[13:14], v[13:14], v[47:48]
	v_fma_f64 v[47:48], v[7:8], v[111:112], v[129:130]
	v_add_f64 v[15:16], v[15:16], v[41:42]
	s_clause 0x4
	buffer_load_dword v42, off, s[0:3], 0 offset:860
	buffer_load_dword v97, off, s[0:3], 0 offset:872
	buffer_load_dword v111, off, s[0:3], 0 offset:864
	buffer_load_dword v41, off, s[0:3], 0 offset:856
	buffer_load_dword v60, off, s[0:3], 0 offset:836
	ds_read_b128 v[5:8], v61 offset:1600
	s_waitcnt vmcnt(57) lgkmcnt(1)
	v_mul_f64 v[129:130], v[9:10], v[72:73]
	v_mul_f64 v[72:73], v[11:12], v[72:73]
	s_waitcnt vmcnt(56)
	v_fma_f64 v[55:56], v[1:2], v[99:100], -v[55:56]
	v_fma_f64 v[49:50], v[3:4], v[99:100], v[49:50]
	v_add_f64 v[13:14], v[13:14], v[74:75]
	v_add_f64 v[15:16], v[15:16], v[47:48]
	s_clause 0x2
	buffer_load_dword v98, off, s[0:3], 0 offset:876
	buffer_load_dword v48, off, s[0:3], 0 offset:852
	;; [unrolled: 1-line block ×3, first 2 shown]
	ds_read_b128 v[1:4], v61 offset:1616
	s_waitcnt vmcnt(58) lgkmcnt(1)
	v_mul_f64 v[99:100], v[7:8], v[109:110]
	v_mul_f64 v[74:75], v[5:6], v[109:110]
	s_waitcnt vmcnt(56)
	v_fma_f64 v[72:73], v[9:10], v[66:67], -v[72:73]
	v_add_f64 v[13:14], v[13:14], v[55:56]
	v_fma_f64 v[55:56], v[11:12], v[66:67], v[129:130]
	v_add_f64 v[15:16], v[15:16], v[49:50]
	s_clause 0x4
	buffer_load_dword v50, off, s[0:3], 0 offset:892
	buffer_load_dword v66, off, s[0:3], 0 offset:904
	buffer_load_dword v109, off, s[0:3], 0 offset:896
	buffer_load_dword v49, off, s[0:3], 0 offset:888
	buffer_load_dword v112, off, s[0:3], 0 offset:868
	ds_read_b128 v[9:12], v61 offset:1632
	s_waitcnt vmcnt(57) lgkmcnt(1)
	v_mul_f64 v[129:130], v[1:2], v[25:26]
	v_mul_f64 v[25:26], v[3:4], v[25:26]
	s_waitcnt vmcnt(56)
	v_fma_f64 v[99:100], v[5:6], v[119:120], -v[99:100]
	v_add_f64 v[13:14], v[13:14], v[72:73]
	v_fma_f64 v[72:73], v[7:8], v[119:120], v[74:75]
	v_add_f64 v[15:16], v[15:16], v[55:56]
	s_clause 0x2
	buffer_load_dword v67, off, s[0:3], 0 offset:908
	buffer_load_dword v56, off, s[0:3], 0 offset:884
	buffer_load_dword v55, off, s[0:3], 0 offset:880
	ds_read_b128 v[5:8], v61 offset:1648
	s_waitcnt vmcnt(58) lgkmcnt(1)
	v_mul_f64 v[74:75], v[9:10], v[93:94]
	v_mul_f64 v[93:94], v[11:12], v[93:94]
	s_waitcnt vmcnt(56)
	v_fma_f64 v[25:26], v[1:2], v[19:20], -v[25:26]
	v_fma_f64 v[19:20], v[3:4], v[19:20], v[129:130]
	v_add_f64 v[13:14], v[13:14], v[99:100]
	v_add_f64 v[15:16], v[15:16], v[72:73]
	s_clause 0x4
	buffer_load_dword v73, off, s[0:3], 0 offset:924
	buffer_load_dword v99, off, s[0:3], 0 offset:936
	buffer_load_dword v119, off, s[0:3], 0 offset:928
	buffer_load_dword v72, off, s[0:3], 0 offset:920
	buffer_load_dword v110, off, s[0:3], 0 offset:900
	ds_read_b128 v[1:4], v61 offset:1664
	s_waitcnt vmcnt(57) lgkmcnt(1)
	v_mul_f64 v[129:130], v[5:6], v[62:63]
	v_mul_f64 v[62:63], v[7:8], v[62:63]
	s_waitcnt vmcnt(56)
	v_fma_f64 v[93:94], v[9:10], v[117:118], -v[93:94]
	v_add_f64 v[13:14], v[13:14], v[25:26]
	v_fma_f64 v[25:26], v[11:12], v[117:118], v[74:75]
	v_add_f64 v[15:16], v[15:16], v[19:20]
	s_clause 0x2
	buffer_load_dword v100, off, s[0:3], 0 offset:940
	buffer_load_dword v20, off, s[0:3], 0 offset:916
	buffer_load_dword v19, off, s[0:3], 0 offset:912
	ds_read_b128 v[9:12], v61 offset:1680
	s_waitcnt vmcnt(58) lgkmcnt(1)
	v_mul_f64 v[74:75], v[1:2], v[64:65]
	v_mul_f64 v[64:65], v[3:4], v[64:65]
	s_waitcnt vmcnt(56)
	v_fma_f64 v[62:63], v[5:6], v[21:22], -v[62:63]
	v_fma_f64 v[21:22], v[7:8], v[21:22], v[129:130]
	v_add_f64 v[13:14], v[13:14], v[93:94]
	;; [unrolled: 28-line block ×3, first 2 shown]
	v_add_f64 v[15:16], v[15:16], v[62:63]
	s_clause 0x2
	buffer_load_dword v63, off, s[0:3], 0 offset:988
	buffer_load_dword v62, off, s[0:3], 0 offset:984
	;; [unrolled: 1-line block ×3, first 2 shown]
	ds_read_b128 v[9:12], v61 offset:1728
	s_waitcnt vmcnt(55) lgkmcnt(1)
	v_mul_f64 v[64:65], v[1:2], v[23:24]
	v_mul_f64 v[23:24], v[3:4], v[23:24]
	s_waitcnt vmcnt(54)
	v_fma_f64 v[37:38], v[5:6], v[70:71], -v[37:38]
	v_add_f64 v[13:14], v[13:14], v[17:18]
	v_fma_f64 v[17:18], v[7:8], v[70:71], v[74:75]
	v_add_f64 v[15:16], v[15:16], v[27:28]
	s_clause 0x1
	buffer_load_dword v28, off, s[0:3], 0 offset:980
	buffer_load_dword v27, off, s[0:3], 0 offset:976
	s_waitcnt vmcnt(55) lgkmcnt(0)
	v_mul_f64 v[70:71], v[9:10], v[43:44]
	v_mul_f64 v[43:44], v[11:12], v[43:44]
	ds_read_b128 v[5:8], v61 offset:1744
	s_waitcnt vmcnt(53)
	v_fma_f64 v[23:24], v[1:2], v[33:34], -v[23:24]
	v_fma_f64 v[33:34], v[3:4], v[33:34], v[64:65]
	ds_read_b128 v[1:4], v61 offset:1760
	v_add_f64 v[13:14], v[13:14], v[37:38]
	v_add_f64 v[15:16], v[15:16], v[17:18]
	s_waitcnt vmcnt(49) lgkmcnt(1)
	v_mul_f64 v[17:18], v[5:6], v[29:30]
	v_mul_f64 v[29:30], v[7:8], v[29:30]
	s_waitcnt vmcnt(48)
	v_fma_f64 v[37:38], v[9:10], v[45:46], -v[43:44]
	v_add_f64 v[13:14], v[13:14], v[23:24]
	v_fma_f64 v[23:24], v[11:12], v[45:46], v[70:71]
	v_add_f64 v[15:16], v[15:16], v[33:34]
	s_clause 0x3
	buffer_load_dword v33, off, s[0:3], 0 offset:336
	buffer_load_dword v34, off, s[0:3], 0 offset:340
	;; [unrolled: 1-line block ×4, first 2 shown]
	ds_read_b128 v[9:12], v61 offset:1776
	s_waitcnt vmcnt(51) lgkmcnt(1)
	v_mul_f64 v[45:46], v[1:2], v[51:52]
	v_mul_f64 v[51:52], v[3:4], v[51:52]
	s_waitcnt vmcnt(49)
	v_fma_f64 v[29:30], v[5:6], v[31:32], -v[29:30]
	v_fma_f64 v[17:18], v[7:8], v[31:32], v[17:18]
	ds_read_b128 v[5:8], v61 offset:1792
	v_add_f64 v[13:14], v[13:14], v[37:38]
	v_add_f64 v[15:16], v[15:16], v[23:24]
	s_waitcnt vmcnt(45) lgkmcnt(1)
	v_mul_f64 v[23:24], v[9:10], v[35:36]
	v_mul_f64 v[31:32], v[11:12], v[35:36]
	s_waitcnt vmcnt(44)
	v_fma_f64 v[35:36], v[1:2], v[53:54], -v[51:52]
	v_add_f64 v[13:14], v[13:14], v[29:30]
	v_fma_f64 v[29:30], v[3:4], v[53:54], v[45:46]
	v_add_f64 v[15:16], v[15:16], v[17:18]
	ds_read_b128 v[1:4], v61 offset:1808
	s_waitcnt vmcnt(43) lgkmcnt(1)
	v_mul_f64 v[37:38], v[7:8], v[57:58]
	v_mul_f64 v[17:18], v[5:6], v[57:58]
	s_waitcnt vmcnt(41)
	v_fma_f64 v[31:32], v[9:10], v[39:40], -v[31:32]
	v_fma_f64 v[23:24], v[11:12], v[39:40], v[23:24]
	ds_read_b128 v[9:12], v61 offset:1824
	v_add_f64 v[13:14], v[13:14], v[35:36]
	v_add_f64 v[15:16], v[15:16], v[29:30]
	s_waitcnt vmcnt(37) lgkmcnt(1)
	v_mul_f64 v[35:36], v[3:4], v[41:42]
	s_waitcnt vmcnt(36)
	v_fma_f64 v[37:38], v[5:6], v[59:60], -v[37:38]
	v_mul_f64 v[29:30], v[1:2], v[41:42]
	v_fma_f64 v[17:18], v[7:8], v[59:60], v[17:18]
	ds_read_b128 v[5:8], v61 offset:1840
	v_add_f64 v[13:14], v[13:14], v[31:32]
	v_add_f64 v[15:16], v[15:16], v[23:24]
	s_waitcnt vmcnt(35) lgkmcnt(1)
	v_mul_f64 v[31:32], v[11:12], v[97:98]
	v_mul_f64 v[23:24], v[9:10], v[97:98]
	s_waitcnt vmcnt(33)
	v_fma_f64 v[35:36], v[1:2], v[47:48], -v[35:36]
	v_fma_f64 v[29:30], v[3:4], v[47:48], v[29:30]
	ds_read_b128 v[1:4], v61 offset:1856
	v_add_f64 v[13:14], v[13:14], v[37:38]
	v_add_f64 v[15:16], v[15:16], v[17:18]
	s_waitcnt vmcnt(29) lgkmcnt(1)
	v_mul_f64 v[37:38], v[7:8], v[49:50]
	s_waitcnt vmcnt(28)
	v_fma_f64 v[31:32], v[9:10], v[111:112], -v[31:32]
	v_mul_f64 v[17:18], v[5:6], v[49:50]
	v_fma_f64 v[23:24], v[11:12], v[111:112], v[23:24]
	ds_read_b128 v[9:12], v61 offset:1872
	v_add_f64 v[13:14], v[13:14], v[35:36]
	v_add_f64 v[15:16], v[15:16], v[29:30]
	s_waitcnt vmcnt(27) lgkmcnt(1)
	v_mul_f64 v[35:36], v[3:4], v[66:67]
	v_mul_f64 v[29:30], v[1:2], v[66:67]
	s_waitcnt vmcnt(25)
	v_fma_f64 v[37:38], v[5:6], v[55:56], -v[37:38]
	v_fma_f64 v[17:18], v[7:8], v[55:56], v[17:18]
	ds_read_b128 v[5:8], v61 offset:1888
	v_add_f64 v[13:14], v[13:14], v[31:32]
	v_add_f64 v[15:16], v[15:16], v[23:24]
	s_waitcnt vmcnt(21) lgkmcnt(1)
	v_mul_f64 v[31:32], v[11:12], v[72:73]
	s_waitcnt vmcnt(20)
	v_fma_f64 v[35:36], v[1:2], v[109:110], -v[35:36]
	v_mul_f64 v[23:24], v[9:10], v[72:73]
	v_fma_f64 v[29:30], v[3:4], v[109:110], v[29:30]
	ds_read_b128 v[1:4], v61 offset:1904
	v_add_f64 v[13:14], v[13:14], v[37:38]
	v_add_f64 v[15:16], v[15:16], v[17:18]
	s_waitcnt vmcnt(19) lgkmcnt(1)
	v_mul_f64 v[37:38], v[7:8], v[99:100]
	v_mul_f64 v[17:18], v[5:6], v[99:100]
	s_waitcnt vmcnt(17)
	v_fma_f64 v[31:32], v[9:10], v[19:20], -v[31:32]
	v_fma_f64 v[19:20], v[11:12], v[19:20], v[23:24]
	ds_read_b128 v[9:12], v61 offset:1920
	v_add_f64 v[13:14], v[13:14], v[35:36]
	v_add_f64 v[15:16], v[15:16], v[29:30]
	s_waitcnt vmcnt(13) lgkmcnt(1)
	v_mul_f64 v[23:24], v[1:2], v[25:26]
	v_mul_f64 v[25:26], v[3:4], v[25:26]
	s_waitcnt vmcnt(12)
	v_fma_f64 v[29:30], v[5:6], v[119:120], -v[37:38]
	v_fma_f64 v[17:18], v[7:8], v[119:120], v[17:18]
	ds_read_b128 v[5:8], v61 offset:1936
	v_add_f64 v[13:14], v[13:14], v[31:32]
	v_add_f64 v[15:16], v[15:16], v[19:20]
	s_waitcnt vmcnt(11) lgkmcnt(1)
	v_mul_f64 v[31:32], v[11:12], v[93:94]
	v_mul_f64 v[19:20], v[9:10], v[93:94]
	s_waitcnt vmcnt(9)
	v_fma_f64 v[1:2], v[1:2], v[21:22], -v[25:26]
	v_fma_f64 v[3:4], v[3:4], v[21:22], v[23:24]
	v_add_f64 v[13:14], v[13:14], v[29:30]
	v_add_f64 v[15:16], v[15:16], v[17:18]
	s_waitcnt vmcnt(7) lgkmcnt(0)
	v_mul_f64 v[21:22], v[7:8], v[62:63]
	s_waitcnt vmcnt(6)
	v_fma_f64 v[9:10], v[9:10], v[117:118], -v[31:32]
	v_mul_f64 v[17:18], v[5:6], v[62:63]
	v_fma_f64 v[11:12], v[11:12], v[117:118], v[19:20]
	v_add_f64 v[1:2], v[13:14], v[1:2]
	v_add_f64 v[3:4], v[15:16], v[3:4]
	s_waitcnt vmcnt(4)
	v_fma_f64 v[5:6], v[5:6], v[27:28], -v[21:22]
	v_fma_f64 v[7:8], v[7:8], v[27:28], v[17:18]
	v_add_f64 v[1:2], v[1:2], v[9:10]
	v_add_f64 v[3:4], v[3:4], v[11:12]
	;; [unrolled: 1-line block ×4, first 2 shown]
	s_waitcnt vmcnt(2)
	v_add_f64 v[1:2], v[33:34], -v[1:2]
	s_waitcnt vmcnt(0)
	v_add_f64 v[3:4], v[43:44], -v[3:4]
	buffer_store_dword v2, off, s[0:3], 0 offset:340
	buffer_store_dword v1, off, s[0:3], 0 offset:336
	buffer_store_dword v4, off, s[0:3], 0 offset:348
	buffer_store_dword v3, off, s[0:3], 0 offset:344
	v_cmpx_lt_u32_e32 19, v0
	s_cbranch_execz .LBB60_353
; %bb.352:
	v_mov_b32_e32 v4, s56
	v_mov_b32_e32 v5, 0
	s_clause 0x3
	buffer_load_dword v1, v4, s[0:3], 0 offen
	buffer_load_dword v2, v4, s[0:3], 0 offen offset:4
	buffer_load_dword v3, v4, s[0:3], 0 offen offset:8
	;; [unrolled: 1-line block ×3, first 2 shown]
	buffer_store_dword v5, off, s[0:3], 0 offset:320
	buffer_store_dword v5, off, s[0:3], 0 offset:324
	;; [unrolled: 1-line block ×4, first 2 shown]
	s_waitcnt vmcnt(0)
	ds_write_b128 v69, v[1:4]
.LBB60_353:
	s_or_b32 exec_lo, exec_lo, s4
	s_waitcnt lgkmcnt(0)
	s_waitcnt_vscnt null, 0x0
	s_barrier
	buffer_gl0_inv
	s_clause 0x37
	buffer_load_dword v9, off, s[0:3], 0 offset:344
	buffer_load_dword v10, off, s[0:3], 0 offset:348
	;; [unrolled: 1-line block ×56, first 2 shown]
	v_mov_b32_e32 v61, 0
	s_mov_b32 s4, exec_lo
	ds_read_b128 v[62:65], v61 offset:1296
	s_clause 0x2
	buffer_load_dword v58, off, s[0:3], 0 offset:572
	buffer_load_dword v60, off, s[0:3], 0 offset:548
	;; [unrolled: 1-line block ×3, first 2 shown]
	ds_read_b128 v[70:73], v61 offset:1312
	s_clause 0x4
	buffer_load_dword v75, off, s[0:3], 0 offset:588
	buffer_load_dword v97, off, s[0:3], 0 offset:600
	;; [unrolled: 1-line block ×5, first 2 shown]
	ds_read_b128 v[93:96], v61 offset:1328
	s_clause 0x2
	buffer_load_dword v98, off, s[0:3], 0 offset:604
	buffer_load_dword v112, off, s[0:3], 0 offset:580
	;; [unrolled: 1-line block ×3, first 2 shown]
	s_waitcnt vmcnt(62) lgkmcnt(2)
	v_mul_f64 v[66:67], v[64:65], v[9:10]
	v_mul_f64 v[9:10], v[62:63], v[9:10]
	s_waitcnt lgkmcnt(1)
	v_mul_f64 v[109:110], v[72:73], v[5:6]
	s_waitcnt vmcnt(59) lgkmcnt(0)
	v_mul_f64 v[117:118], v[95:96], v[3:4]
	v_fma_f64 v[62:63], v[62:63], v[7:8], -v[66:67]
	v_mul_f64 v[66:67], v[70:71], v[5:6]
	v_fma_f64 v[9:10], v[64:65], v[7:8], v[9:10]
	s_waitcnt vmcnt(57)
	v_fma_f64 v[70:71], v[70:71], v[1:2], -v[109:110]
	ds_read_b128 v[5:8], v61 offset:1344
	v_mul_f64 v[64:65], v[93:94], v[3:4]
	s_waitcnt vmcnt(51)
	v_fma_f64 v[93:94], v[93:94], v[25:26], -v[117:118]
	v_add_f64 v[62:63], v[62:63], 0
	v_fma_f64 v[66:67], v[72:73], v[1:2], v[66:67]
	v_add_f64 v[9:10], v[9:10], 0
	s_clause 0x4
	buffer_load_dword v73, off, s[0:3], 0 offset:620
	buffer_load_dword v109, off, s[0:3], 0 offset:632
	;; [unrolled: 1-line block ×5, first 2 shown]
	s_waitcnt lgkmcnt(0)
	v_mul_f64 v[129:130], v[5:6], v[13:14]
	v_mul_f64 v[13:14], v[7:8], v[13:14]
	ds_read_b128 v[1:4], v61 offset:1360
	v_fma_f64 v[25:26], v[95:96], v[25:26], v[64:65]
	v_add_f64 v[70:71], v[62:63], v[70:71]
	v_add_f64 v[9:10], v[9:10], v[66:67]
	s_clause 0x2
	buffer_load_dword v110, off, s[0:3], 0 offset:636
	buffer_load_dword v67, off, s[0:3], 0 offset:612
	;; [unrolled: 1-line block ×3, first 2 shown]
	s_waitcnt vmcnt(58) lgkmcnt(0)
	v_mul_f64 v[95:96], v[1:2], v[17:18]
	v_mul_f64 v[17:18], v[3:4], v[17:18]
	s_waitcnt vmcnt(56)
	v_fma_f64 v[13:14], v[5:6], v[19:20], -v[13:14]
	ds_read_b128 v[62:65], v61 offset:1376
	v_fma_f64 v[19:20], v[7:8], v[19:20], v[129:130]
	v_add_f64 v[70:71], v[70:71], v[93:94]
	v_add_f64 v[9:10], v[9:10], v[25:26]
	s_clause 0x4
	buffer_load_dword v26, off, s[0:3], 0 offset:652
	buffer_load_dword v93, off, s[0:3], 0 offset:664
	;; [unrolled: 1-line block ×5, first 2 shown]
	ds_read_b128 v[5:8], v61 offset:1392
	s_waitcnt vmcnt(57) lgkmcnt(1)
	v_mul_f64 v[129:130], v[62:63], v[21:22]
	v_mul_f64 v[21:22], v[64:65], v[21:22]
	s_waitcnt vmcnt(56)
	v_fma_f64 v[17:18], v[1:2], v[11:12], -v[17:18]
	v_fma_f64 v[11:12], v[3:4], v[11:12], v[95:96]
	v_add_f64 v[13:14], v[70:71], v[13:14]
	v_add_f64 v[9:10], v[9:10], v[19:20]
	s_clause 0x2
	buffer_load_dword v94, off, s[0:3], 0 offset:668
	buffer_load_dword v20, off, s[0:3], 0 offset:644
	;; [unrolled: 1-line block ×3, first 2 shown]
	s_waitcnt vmcnt(58) lgkmcnt(0)
	v_mul_f64 v[70:71], v[5:6], v[27:28]
	v_mul_f64 v[27:28], v[7:8], v[27:28]
	s_waitcnt vmcnt(56)
	v_fma_f64 v[21:22], v[62:63], v[29:30], -v[21:22]
	ds_read_b128 v[1:4], v61 offset:1408
	v_add_f64 v[13:14], v[13:14], v[17:18]
	v_fma_f64 v[17:18], v[64:65], v[29:30], v[129:130]
	v_add_f64 v[29:30], v[9:10], v[11:12]
	s_clause 0x4
	buffer_load_dword v63, off, s[0:3], 0 offset:684
	buffer_load_dword v64, off, s[0:3], 0 offset:696
	;; [unrolled: 1-line block ×5, first 2 shown]
	ds_read_b128 v[9:12], v61 offset:1424
	s_waitcnt vmcnt(57) lgkmcnt(1)
	v_mul_f64 v[129:130], v[1:2], v[31:32]
	v_mul_f64 v[31:32], v[3:4], v[31:32]
	s_waitcnt vmcnt(56)
	v_fma_f64 v[27:28], v[5:6], v[15:16], -v[27:28]
	v_fma_f64 v[15:16], v[7:8], v[15:16], v[70:71]
	v_add_f64 v[13:14], v[13:14], v[21:22]
	s_clause 0x2
	buffer_load_dword v65, off, s[0:3], 0 offset:700
	buffer_load_dword v22, off, s[0:3], 0 offset:676
	;; [unrolled: 1-line block ×3, first 2 shown]
	v_add_f64 v[17:18], v[29:30], v[17:18]
	s_waitcnt vmcnt(58) lgkmcnt(0)
	v_mul_f64 v[29:30], v[9:10], v[35:36]
	v_mul_f64 v[35:36], v[11:12], v[35:36]
	ds_read_b128 v[5:8], v61 offset:1440
	s_waitcnt vmcnt(56)
	v_fma_f64 v[31:32], v[1:2], v[37:38], -v[31:32]
	v_add_f64 v[13:14], v[13:14], v[27:28]
	v_fma_f64 v[27:28], v[3:4], v[37:38], v[129:130]
	v_add_f64 v[15:16], v[17:18], v[15:16]
	s_clause 0x4
	buffer_load_dword v18, off, s[0:3], 0 offset:716
	buffer_load_dword v37, off, s[0:3], 0 offset:728
	;; [unrolled: 1-line block ×5, first 2 shown]
	s_waitcnt vmcnt(57) lgkmcnt(0)
	v_mul_f64 v[129:130], v[5:6], v[39:40]
	v_mul_f64 v[39:40], v[7:8], v[39:40]
	s_waitcnt vmcnt(56)
	v_fma_f64 v[35:36], v[9:10], v[23:24], -v[35:36]
	ds_read_b128 v[1:4], v61 offset:1456
	v_fma_f64 v[23:24], v[11:12], v[23:24], v[29:30]
	v_add_f64 v[13:14], v[13:14], v[31:32]
	v_add_f64 v[15:16], v[15:16], v[27:28]
	s_clause 0x2
	buffer_load_dword v38, off, s[0:3], 0 offset:732
	buffer_load_dword v28, off, s[0:3], 0 offset:708
	;; [unrolled: 1-line block ×3, first 2 shown]
	ds_read_b128 v[9:12], v61 offset:1472
	s_waitcnt vmcnt(58) lgkmcnt(1)
	v_mul_f64 v[31:32], v[3:4], v[43:44]
	s_waitcnt vmcnt(56)
	v_fma_f64 v[39:40], v[5:6], v[45:46], -v[39:40]
	v_mul_f64 v[29:30], v[1:2], v[43:44]
	v_add_f64 v[13:14], v[13:14], v[35:36]
	v_fma_f64 v[35:36], v[7:8], v[45:46], v[129:130]
	v_add_f64 v[15:16], v[15:16], v[23:24]
	s_clause 0x4
	buffer_load_dword v24, off, s[0:3], 0 offset:748
	buffer_load_dword v43, off, s[0:3], 0 offset:760
	;; [unrolled: 1-line block ×5, first 2 shown]
	s_waitcnt vmcnt(57) lgkmcnt(0)
	v_mul_f64 v[129:130], v[9:10], v[47:48]
	v_mul_f64 v[46:47], v[11:12], v[47:48]
	s_waitcnt vmcnt(56)
	v_fma_f64 v[31:32], v[1:2], v[33:34], -v[31:32]
	ds_read_b128 v[5:8], v61 offset:1488
	v_fma_f64 v[29:30], v[3:4], v[33:34], v[29:30]
	s_clause 0x2
	buffer_load_dword v44, off, s[0:3], 0 offset:764
	buffer_load_dword v34, off, s[0:3], 0 offset:740
	;; [unrolled: 1-line block ×3, first 2 shown]
	ds_read_b128 v[1:4], v61 offset:1504
	v_add_f64 v[13:14], v[13:14], v[39:40]
	v_add_f64 v[15:16], v[15:16], v[35:36]
	s_waitcnt vmcnt(58) lgkmcnt(1)
	v_mul_f64 v[39:40], v[7:8], v[51:52]
	s_waitcnt vmcnt(56)
	v_fma_f64 v[47:48], v[9:10], v[53:54], -v[46:47]
	v_mul_f64 v[35:36], v[5:6], v[51:52]
	v_add_f64 v[13:14], v[13:14], v[31:32]
	v_fma_f64 v[31:32], v[11:12], v[53:54], v[129:130]
	v_add_f64 v[15:16], v[15:16], v[29:30]
	s_clause 0x4
	buffer_load_dword v30, off, s[0:3], 0 offset:780
	buffer_load_dword v51, off, s[0:3], 0 offset:792
	buffer_load_dword v53, off, s[0:3], 0 offset:784
	buffer_load_dword v29, off, s[0:3], 0 offset:776
	buffer_load_dword v46, off, s[0:3], 0 offset:756
	s_waitcnt vmcnt(57) lgkmcnt(0)
	v_mul_f64 v[129:130], v[1:2], v[55:56]
	v_mul_f64 v[54:55], v[3:4], v[55:56]
	s_waitcnt vmcnt(56)
	v_fma_f64 v[39:40], v[5:6], v[41:42], -v[39:40]
	ds_read_b128 v[9:12], v61 offset:1520
	v_fma_f64 v[35:36], v[7:8], v[41:42], v[35:36]
	v_add_f64 v[13:14], v[13:14], v[47:48]
	v_add_f64 v[15:16], v[15:16], v[31:32]
	s_clause 0x2
	buffer_load_dword v52, off, s[0:3], 0 offset:796
	buffer_load_dword v32, off, s[0:3], 0 offset:772
	;; [unrolled: 1-line block ×3, first 2 shown]
	ds_read_b128 v[5:8], v61 offset:1536
	s_waitcnt vmcnt(58) lgkmcnt(1)
	v_mul_f64 v[47:48], v[11:12], v[57:58]
	s_waitcnt vmcnt(56)
	v_fma_f64 v[55:56], v[1:2], v[59:60], -v[54:55]
	v_mul_f64 v[41:42], v[9:10], v[57:58]
	v_add_f64 v[13:14], v[13:14], v[39:40]
	v_fma_f64 v[39:40], v[3:4], v[59:60], v[129:130]
	v_add_f64 v[15:16], v[15:16], v[35:36]
	s_clause 0x4
	buffer_load_dword v36, off, s[0:3], 0 offset:812
	buffer_load_dword v57, off, s[0:3], 0 offset:824
	;; [unrolled: 1-line block ×5, first 2 shown]
	s_waitcnt vmcnt(57) lgkmcnt(0)
	v_mul_f64 v[129:130], v[5:6], v[74:75]
	v_mul_f64 v[74:75], v[7:8], v[74:75]
	s_waitcnt vmcnt(56)
	v_fma_f64 v[47:48], v[9:10], v[49:50], -v[47:48]
	ds_read_b128 v[1:4], v61 offset:1552
	v_fma_f64 v[41:42], v[11:12], v[49:50], v[41:42]
	v_add_f64 v[13:14], v[13:14], v[55:56]
	v_add_f64 v[15:16], v[15:16], v[39:40]
	s_clause 0x2
	buffer_load_dword v58, off, s[0:3], 0 offset:828
	buffer_load_dword v40, off, s[0:3], 0 offset:804
	;; [unrolled: 1-line block ×3, first 2 shown]
	ds_read_b128 v[9:12], v61 offset:1568
	s_waitcnt vmcnt(58) lgkmcnt(1)
	v_mul_f64 v[55:56], v[3:4], v[97:98]
	s_waitcnt vmcnt(56)
	v_fma_f64 v[74:75], v[5:6], v[111:112], -v[74:75]
	v_mul_f64 v[49:50], v[1:2], v[97:98]
	v_add_f64 v[13:14], v[13:14], v[47:48]
	v_fma_f64 v[47:48], v[7:8], v[111:112], v[129:130]
	v_add_f64 v[15:16], v[15:16], v[41:42]
	s_clause 0x4
	buffer_load_dword v42, off, s[0:3], 0 offset:844
	buffer_load_dword v97, off, s[0:3], 0 offset:856
	;; [unrolled: 1-line block ×5, first 2 shown]
	ds_read_b128 v[5:8], v61 offset:1584
	s_waitcnt vmcnt(57) lgkmcnt(1)
	v_mul_f64 v[129:130], v[9:10], v[72:73]
	v_mul_f64 v[72:73], v[11:12], v[72:73]
	s_waitcnt vmcnt(56)
	v_fma_f64 v[55:56], v[1:2], v[99:100], -v[55:56]
	v_fma_f64 v[49:50], v[3:4], v[99:100], v[49:50]
	v_add_f64 v[13:14], v[13:14], v[74:75]
	v_add_f64 v[15:16], v[15:16], v[47:48]
	s_clause 0x2
	buffer_load_dword v98, off, s[0:3], 0 offset:860
	buffer_load_dword v48, off, s[0:3], 0 offset:836
	;; [unrolled: 1-line block ×3, first 2 shown]
	ds_read_b128 v[1:4], v61 offset:1600
	s_waitcnt vmcnt(58) lgkmcnt(1)
	v_mul_f64 v[99:100], v[7:8], v[109:110]
	v_mul_f64 v[74:75], v[5:6], v[109:110]
	s_waitcnt vmcnt(56)
	v_fma_f64 v[72:73], v[9:10], v[66:67], -v[72:73]
	v_add_f64 v[13:14], v[13:14], v[55:56]
	v_fma_f64 v[55:56], v[11:12], v[66:67], v[129:130]
	v_add_f64 v[15:16], v[15:16], v[49:50]
	s_clause 0x4
	buffer_load_dword v50, off, s[0:3], 0 offset:876
	buffer_load_dword v66, off, s[0:3], 0 offset:888
	buffer_load_dword v109, off, s[0:3], 0 offset:880
	buffer_load_dword v49, off, s[0:3], 0 offset:872
	buffer_load_dword v112, off, s[0:3], 0 offset:852
	ds_read_b128 v[9:12], v61 offset:1616
	s_waitcnt vmcnt(57) lgkmcnt(1)
	v_mul_f64 v[129:130], v[1:2], v[25:26]
	v_mul_f64 v[25:26], v[3:4], v[25:26]
	s_waitcnt vmcnt(56)
	v_fma_f64 v[99:100], v[5:6], v[119:120], -v[99:100]
	v_add_f64 v[13:14], v[13:14], v[72:73]
	v_fma_f64 v[72:73], v[7:8], v[119:120], v[74:75]
	v_add_f64 v[15:16], v[15:16], v[55:56]
	s_clause 0x2
	buffer_load_dword v67, off, s[0:3], 0 offset:892
	buffer_load_dword v56, off, s[0:3], 0 offset:868
	buffer_load_dword v55, off, s[0:3], 0 offset:864
	ds_read_b128 v[5:8], v61 offset:1632
	s_waitcnt vmcnt(58) lgkmcnt(1)
	v_mul_f64 v[74:75], v[9:10], v[93:94]
	v_mul_f64 v[93:94], v[11:12], v[93:94]
	s_waitcnt vmcnt(56)
	v_fma_f64 v[25:26], v[1:2], v[19:20], -v[25:26]
	v_fma_f64 v[19:20], v[3:4], v[19:20], v[129:130]
	v_add_f64 v[13:14], v[13:14], v[99:100]
	v_add_f64 v[15:16], v[15:16], v[72:73]
	s_clause 0x4
	buffer_load_dword v73, off, s[0:3], 0 offset:908
	buffer_load_dword v99, off, s[0:3], 0 offset:920
	buffer_load_dword v119, off, s[0:3], 0 offset:912
	buffer_load_dword v72, off, s[0:3], 0 offset:904
	buffer_load_dword v110, off, s[0:3], 0 offset:884
	ds_read_b128 v[1:4], v61 offset:1648
	s_waitcnt vmcnt(57) lgkmcnt(1)
	v_mul_f64 v[129:130], v[5:6], v[62:63]
	v_mul_f64 v[62:63], v[7:8], v[62:63]
	s_waitcnt vmcnt(56)
	v_fma_f64 v[93:94], v[9:10], v[117:118], -v[93:94]
	v_add_f64 v[13:14], v[13:14], v[25:26]
	v_fma_f64 v[25:26], v[11:12], v[117:118], v[74:75]
	v_add_f64 v[15:16], v[15:16], v[19:20]
	s_clause 0x2
	buffer_load_dword v100, off, s[0:3], 0 offset:924
	buffer_load_dword v20, off, s[0:3], 0 offset:900
	buffer_load_dword v19, off, s[0:3], 0 offset:896
	ds_read_b128 v[9:12], v61 offset:1664
	s_waitcnt vmcnt(58) lgkmcnt(1)
	v_mul_f64 v[74:75], v[1:2], v[64:65]
	v_mul_f64 v[64:65], v[3:4], v[64:65]
	s_waitcnt vmcnt(56)
	v_fma_f64 v[62:63], v[5:6], v[21:22], -v[62:63]
	v_fma_f64 v[21:22], v[7:8], v[21:22], v[129:130]
	v_add_f64 v[13:14], v[13:14], v[93:94]
	;; [unrolled: 28-line block ×3, first 2 shown]
	v_add_f64 v[15:16], v[15:16], v[62:63]
	s_clause 0x4
	buffer_load_dword v63, off, s[0:3], 0 offset:972
	buffer_load_dword v64, off, s[0:3], 0 offset:984
	buffer_load_dword v95, off, s[0:3], 0 offset:976
	buffer_load_dword v62, off, s[0:3], 0 offset:968
	buffer_load_dword v118, off, s[0:3], 0 offset:948
	ds_read_b128 v[9:12], v61 offset:1712
	s_waitcnt vmcnt(57) lgkmcnt(1)
	v_mul_f64 v[129:130], v[1:2], v[23:24]
	v_mul_f64 v[23:24], v[3:4], v[23:24]
	s_waitcnt vmcnt(56)
	v_fma_f64 v[37:38], v[5:6], v[70:71], -v[37:38]
	v_add_f64 v[13:14], v[13:14], v[17:18]
	v_fma_f64 v[17:18], v[7:8], v[70:71], v[74:75]
	v_add_f64 v[15:16], v[15:16], v[27:28]
	s_clause 0x2
	buffer_load_dword v65, off, s[0:3], 0 offset:988
	buffer_load_dword v28, off, s[0:3], 0 offset:964
	;; [unrolled: 1-line block ×3, first 2 shown]
	s_waitcnt vmcnt(58) lgkmcnt(0)
	v_mul_f64 v[70:71], v[9:10], v[43:44]
	v_mul_f64 v[43:44], v[11:12], v[43:44]
	ds_read_b128 v[5:8], v61 offset:1728
	buffer_load_dword v96, off, s[0:3], 0 offset:980
	s_waitcnt vmcnt(57)
	v_fma_f64 v[23:24], v[1:2], v[33:34], -v[23:24]
	v_fma_f64 v[33:34], v[3:4], v[33:34], v[129:130]
	ds_read_b128 v[1:4], v61 offset:1744
	v_add_f64 v[13:14], v[13:14], v[37:38]
	v_add_f64 v[15:16], v[15:16], v[17:18]
	s_waitcnt vmcnt(53) lgkmcnt(1)
	v_mul_f64 v[17:18], v[5:6], v[29:30]
	v_mul_f64 v[29:30], v[7:8], v[29:30]
	s_waitcnt vmcnt(52)
	v_fma_f64 v[37:38], v[9:10], v[45:46], -v[43:44]
	v_add_f64 v[13:14], v[13:14], v[23:24]
	v_fma_f64 v[23:24], v[11:12], v[45:46], v[70:71]
	v_add_f64 v[15:16], v[15:16], v[33:34]
	ds_read_b128 v[9:12], v61 offset:1760
	s_waitcnt vmcnt(51) lgkmcnt(1)
	v_mul_f64 v[43:44], v[3:4], v[51:52]
	v_mul_f64 v[33:34], v[1:2], v[51:52]
	s_waitcnt vmcnt(49)
	v_fma_f64 v[29:30], v[5:6], v[31:32], -v[29:30]
	v_fma_f64 v[17:18], v[7:8], v[31:32], v[17:18]
	v_add_f64 v[13:14], v[13:14], v[37:38]
	v_add_f64 v[15:16], v[15:16], v[23:24]
	s_clause 0x3
	buffer_load_dword v23, off, s[0:3], 0 offset:320
	buffer_load_dword v24, off, s[0:3], 0 offset:324
	;; [unrolled: 1-line block ×4, first 2 shown]
	ds_read_b128 v[5:8], v61 offset:1776
	s_waitcnt vmcnt(49) lgkmcnt(1)
	v_mul_f64 v[37:38], v[9:10], v[35:36]
	v_mul_f64 v[35:36], v[11:12], v[35:36]
	s_waitcnt vmcnt(48)
	v_fma_f64 v[43:44], v[1:2], v[53:54], -v[43:44]
	v_add_f64 v[13:14], v[13:14], v[29:30]
	v_fma_f64 v[29:30], v[3:4], v[53:54], v[33:34]
	v_add_f64 v[15:16], v[15:16], v[17:18]
	ds_read_b128 v[1:4], v61 offset:1792
	s_waitcnt vmcnt(47) lgkmcnt(1)
	v_mul_f64 v[33:34], v[7:8], v[57:58]
	v_mul_f64 v[17:18], v[5:6], v[57:58]
	s_waitcnt vmcnt(45)
	v_fma_f64 v[35:36], v[9:10], v[39:40], -v[35:36]
	v_fma_f64 v[37:38], v[11:12], v[39:40], v[37:38]
	ds_read_b128 v[9:12], v61 offset:1808
	v_add_f64 v[13:14], v[13:14], v[43:44]
	v_add_f64 v[15:16], v[15:16], v[29:30]
	s_waitcnt vmcnt(41) lgkmcnt(1)
	v_mul_f64 v[39:40], v[3:4], v[41:42]
	s_waitcnt vmcnt(40)
	v_fma_f64 v[33:34], v[5:6], v[59:60], -v[33:34]
	v_mul_f64 v[29:30], v[1:2], v[41:42]
	v_fma_f64 v[17:18], v[7:8], v[59:60], v[17:18]
	ds_read_b128 v[5:8], v61 offset:1824
	v_add_f64 v[13:14], v[13:14], v[35:36]
	v_add_f64 v[15:16], v[15:16], v[37:38]
	s_waitcnt vmcnt(39) lgkmcnt(1)
	v_mul_f64 v[37:38], v[11:12], v[97:98]
	v_mul_f64 v[35:36], v[9:10], v[97:98]
	s_waitcnt vmcnt(37)
	v_fma_f64 v[39:40], v[1:2], v[47:48], -v[39:40]
	v_fma_f64 v[29:30], v[3:4], v[47:48], v[29:30]
	ds_read_b128 v[1:4], v61 offset:1840
	v_add_f64 v[13:14], v[13:14], v[33:34]
	v_add_f64 v[15:16], v[15:16], v[17:18]
	s_waitcnt vmcnt(33) lgkmcnt(1)
	v_mul_f64 v[33:34], v[7:8], v[49:50]
	s_waitcnt vmcnt(32)
	v_fma_f64 v[37:38], v[9:10], v[111:112], -v[37:38]
	v_mul_f64 v[17:18], v[5:6], v[49:50]
	v_fma_f64 v[35:36], v[11:12], v[111:112], v[35:36]
	ds_read_b128 v[9:12], v61 offset:1856
	v_add_f64 v[13:14], v[13:14], v[39:40]
	v_add_f64 v[15:16], v[15:16], v[29:30]
	;; [unrolled: 18-line block ×3, first 2 shown]
	s_waitcnt vmcnt(23) lgkmcnt(1)
	v_mul_f64 v[33:34], v[7:8], v[99:100]
	v_mul_f64 v[17:18], v[5:6], v[99:100]
	s_waitcnt vmcnt(21)
	v_fma_f64 v[37:38], v[9:10], v[19:20], -v[37:38]
	v_fma_f64 v[19:20], v[11:12], v[19:20], v[35:36]
	ds_read_b128 v[9:12], v61 offset:1904
	v_add_f64 v[13:14], v[13:14], v[39:40]
	v_add_f64 v[15:16], v[15:16], v[29:30]
	s_waitcnt vmcnt(17) lgkmcnt(1)
	v_mul_f64 v[29:30], v[1:2], v[25:26]
	v_mul_f64 v[25:26], v[3:4], v[25:26]
	s_waitcnt vmcnt(16)
	v_fma_f64 v[33:34], v[5:6], v[119:120], -v[33:34]
	v_fma_f64 v[17:18], v[7:8], v[119:120], v[17:18]
	ds_read_b128 v[5:8], v61 offset:1920
	v_add_f64 v[13:14], v[13:14], v[37:38]
	v_add_f64 v[15:16], v[15:16], v[19:20]
	;; [unrolled: 9-line block ×3, first 2 shown]
	s_waitcnt vmcnt(9) lgkmcnt(1)
	v_mul_f64 v[29:30], v[7:8], v[62:63]
	s_waitcnt vmcnt(8)
	v_fma_f64 v[9:10], v[9:10], v[117:118], -v[35:36]
	v_mul_f64 v[17:18], v[5:6], v[62:63]
	v_fma_f64 v[11:12], v[11:12], v[117:118], v[19:20]
	v_add_f64 v[13:14], v[13:14], v[25:26]
	v_add_f64 v[15:16], v[15:16], v[21:22]
	s_waitcnt vmcnt(7) lgkmcnt(0)
	v_mul_f64 v[21:22], v[3:4], v[64:65]
	v_mul_f64 v[19:20], v[1:2], v[64:65]
	s_waitcnt vmcnt(5)
	v_fma_f64 v[5:6], v[5:6], v[27:28], -v[29:30]
	v_fma_f64 v[7:8], v[7:8], v[27:28], v[17:18]
	v_add_f64 v[9:10], v[13:14], v[9:10]
	v_add_f64 v[11:12], v[15:16], v[11:12]
	s_waitcnt vmcnt(4)
	v_fma_f64 v[1:2], v[1:2], v[95:96], -v[21:22]
	v_fma_f64 v[3:4], v[3:4], v[95:96], v[19:20]
	v_add_f64 v[5:6], v[9:10], v[5:6]
	v_add_f64 v[7:8], v[11:12], v[7:8]
	;; [unrolled: 1-line block ×4, first 2 shown]
	s_waitcnt vmcnt(2)
	v_add_f64 v[1:2], v[23:24], -v[1:2]
	s_waitcnt vmcnt(0)
	v_add_f64 v[3:4], v[31:32], -v[3:4]
	buffer_store_dword v2, off, s[0:3], 0 offset:324
	buffer_store_dword v1, off, s[0:3], 0 offset:320
	;; [unrolled: 1-line block ×4, first 2 shown]
	v_cmpx_lt_u32_e32 18, v0
	s_cbranch_execz .LBB60_355
; %bb.354:
	v_mov_b32_e32 v4, s58
	s_clause 0x3
	buffer_load_dword v1, v4, s[0:3], 0 offen
	buffer_load_dword v2, v4, s[0:3], 0 offen offset:4
	buffer_load_dword v3, v4, s[0:3], 0 offen offset:8
	;; [unrolled: 1-line block ×3, first 2 shown]
	buffer_store_dword v61, off, s[0:3], 0 offset:304
	buffer_store_dword v61, off, s[0:3], 0 offset:308
	;; [unrolled: 1-line block ×4, first 2 shown]
	s_waitcnt vmcnt(0)
	ds_write_b128 v69, v[1:4]
.LBB60_355:
	s_or_b32 exec_lo, exec_lo, s4
	s_waitcnt lgkmcnt(0)
	s_waitcnt_vscnt null, 0x0
	s_barrier
	buffer_gl0_inv
	s_clause 0x37
	buffer_load_dword v9, off, s[0:3], 0 offset:328
	buffer_load_dword v10, off, s[0:3], 0 offset:332
	;; [unrolled: 1-line block ×56, first 2 shown]
	ds_read_b128 v[62:65], v61 offset:1280
	s_clause 0x2
	buffer_load_dword v58, off, s[0:3], 0 offset:556
	buffer_load_dword v60, off, s[0:3], 0 offset:532
	;; [unrolled: 1-line block ×3, first 2 shown]
	ds_read_b128 v[70:73], v61 offset:1296
	s_clause 0x4
	buffer_load_dword v75, off, s[0:3], 0 offset:572
	buffer_load_dword v97, off, s[0:3], 0 offset:584
	;; [unrolled: 1-line block ×5, first 2 shown]
	ds_read_b128 v[93:96], v61 offset:1312
	s_clause 0x2
	buffer_load_dword v98, off, s[0:3], 0 offset:588
	buffer_load_dword v112, off, s[0:3], 0 offset:564
	;; [unrolled: 1-line block ×3, first 2 shown]
	s_mov_b32 s4, exec_lo
	s_waitcnt vmcnt(62) lgkmcnt(2)
	v_mul_f64 v[66:67], v[64:65], v[9:10]
	v_mul_f64 v[9:10], v[62:63], v[9:10]
	s_waitcnt lgkmcnt(1)
	v_mul_f64 v[109:110], v[72:73], v[5:6]
	s_waitcnt vmcnt(59) lgkmcnt(0)
	v_mul_f64 v[117:118], v[95:96], v[3:4]
	v_fma_f64 v[62:63], v[62:63], v[7:8], -v[66:67]
	v_mul_f64 v[66:67], v[70:71], v[5:6]
	v_fma_f64 v[9:10], v[64:65], v[7:8], v[9:10]
	s_waitcnt vmcnt(57)
	v_fma_f64 v[70:71], v[70:71], v[1:2], -v[109:110]
	ds_read_b128 v[5:8], v61 offset:1328
	v_mul_f64 v[64:65], v[93:94], v[3:4]
	s_waitcnt vmcnt(51)
	v_fma_f64 v[93:94], v[93:94], v[25:26], -v[117:118]
	v_add_f64 v[62:63], v[62:63], 0
	v_fma_f64 v[66:67], v[72:73], v[1:2], v[66:67]
	v_add_f64 v[9:10], v[9:10], 0
	s_clause 0x4
	buffer_load_dword v73, off, s[0:3], 0 offset:604
	buffer_load_dword v109, off, s[0:3], 0 offset:616
	;; [unrolled: 1-line block ×5, first 2 shown]
	s_waitcnt lgkmcnt(0)
	v_mul_f64 v[129:130], v[5:6], v[13:14]
	v_mul_f64 v[13:14], v[7:8], v[13:14]
	ds_read_b128 v[1:4], v61 offset:1344
	v_fma_f64 v[25:26], v[95:96], v[25:26], v[64:65]
	v_add_f64 v[70:71], v[62:63], v[70:71]
	v_add_f64 v[9:10], v[9:10], v[66:67]
	s_clause 0x2
	buffer_load_dword v110, off, s[0:3], 0 offset:620
	buffer_load_dword v67, off, s[0:3], 0 offset:596
	buffer_load_dword v66, off, s[0:3], 0 offset:592
	s_waitcnt vmcnt(58) lgkmcnt(0)
	v_mul_f64 v[95:96], v[1:2], v[17:18]
	v_mul_f64 v[17:18], v[3:4], v[17:18]
	s_waitcnt vmcnt(56)
	v_fma_f64 v[13:14], v[5:6], v[19:20], -v[13:14]
	ds_read_b128 v[62:65], v61 offset:1360
	v_fma_f64 v[19:20], v[7:8], v[19:20], v[129:130]
	v_add_f64 v[70:71], v[70:71], v[93:94]
	v_add_f64 v[9:10], v[9:10], v[25:26]
	s_clause 0x4
	buffer_load_dword v26, off, s[0:3], 0 offset:636
	buffer_load_dword v93, off, s[0:3], 0 offset:648
	;; [unrolled: 1-line block ×5, first 2 shown]
	ds_read_b128 v[5:8], v61 offset:1376
	s_waitcnt vmcnt(57) lgkmcnt(1)
	v_mul_f64 v[129:130], v[62:63], v[21:22]
	v_mul_f64 v[21:22], v[64:65], v[21:22]
	s_waitcnt vmcnt(56)
	v_fma_f64 v[17:18], v[1:2], v[11:12], -v[17:18]
	v_fma_f64 v[11:12], v[3:4], v[11:12], v[95:96]
	v_add_f64 v[13:14], v[70:71], v[13:14]
	v_add_f64 v[9:10], v[9:10], v[19:20]
	s_clause 0x2
	buffer_load_dword v94, off, s[0:3], 0 offset:652
	buffer_load_dword v20, off, s[0:3], 0 offset:628
	buffer_load_dword v19, off, s[0:3], 0 offset:624
	s_waitcnt vmcnt(58) lgkmcnt(0)
	v_mul_f64 v[70:71], v[5:6], v[27:28]
	v_mul_f64 v[27:28], v[7:8], v[27:28]
	s_waitcnt vmcnt(56)
	v_fma_f64 v[21:22], v[62:63], v[29:30], -v[21:22]
	ds_read_b128 v[1:4], v61 offset:1392
	v_add_f64 v[13:14], v[13:14], v[17:18]
	v_fma_f64 v[17:18], v[64:65], v[29:30], v[129:130]
	v_add_f64 v[29:30], v[9:10], v[11:12]
	s_clause 0x4
	buffer_load_dword v63, off, s[0:3], 0 offset:668
	buffer_load_dword v64, off, s[0:3], 0 offset:680
	;; [unrolled: 1-line block ×5, first 2 shown]
	ds_read_b128 v[9:12], v61 offset:1408
	s_waitcnt vmcnt(57) lgkmcnt(1)
	v_mul_f64 v[129:130], v[1:2], v[31:32]
	v_mul_f64 v[31:32], v[3:4], v[31:32]
	s_waitcnt vmcnt(56)
	v_fma_f64 v[27:28], v[5:6], v[15:16], -v[27:28]
	v_fma_f64 v[15:16], v[7:8], v[15:16], v[70:71]
	v_add_f64 v[13:14], v[13:14], v[21:22]
	s_clause 0x2
	buffer_load_dword v65, off, s[0:3], 0 offset:684
	buffer_load_dword v22, off, s[0:3], 0 offset:660
	buffer_load_dword v21, off, s[0:3], 0 offset:656
	v_add_f64 v[17:18], v[29:30], v[17:18]
	s_waitcnt vmcnt(58) lgkmcnt(0)
	v_mul_f64 v[29:30], v[9:10], v[35:36]
	v_mul_f64 v[35:36], v[11:12], v[35:36]
	ds_read_b128 v[5:8], v61 offset:1424
	s_waitcnt vmcnt(56)
	v_fma_f64 v[31:32], v[1:2], v[37:38], -v[31:32]
	v_add_f64 v[13:14], v[13:14], v[27:28]
	v_fma_f64 v[27:28], v[3:4], v[37:38], v[129:130]
	v_add_f64 v[15:16], v[17:18], v[15:16]
	s_clause 0x4
	buffer_load_dword v18, off, s[0:3], 0 offset:700
	buffer_load_dword v37, off, s[0:3], 0 offset:712
	;; [unrolled: 1-line block ×5, first 2 shown]
	s_waitcnt vmcnt(57) lgkmcnt(0)
	v_mul_f64 v[129:130], v[5:6], v[39:40]
	v_mul_f64 v[39:40], v[7:8], v[39:40]
	s_waitcnt vmcnt(56)
	v_fma_f64 v[35:36], v[9:10], v[23:24], -v[35:36]
	ds_read_b128 v[1:4], v61 offset:1440
	v_fma_f64 v[23:24], v[11:12], v[23:24], v[29:30]
	v_add_f64 v[13:14], v[13:14], v[31:32]
	v_add_f64 v[15:16], v[15:16], v[27:28]
	s_clause 0x2
	buffer_load_dword v38, off, s[0:3], 0 offset:716
	buffer_load_dword v28, off, s[0:3], 0 offset:692
	buffer_load_dword v27, off, s[0:3], 0 offset:688
	ds_read_b128 v[9:12], v61 offset:1456
	s_waitcnt vmcnt(58) lgkmcnt(1)
	v_mul_f64 v[31:32], v[3:4], v[43:44]
	s_waitcnt vmcnt(56)
	v_fma_f64 v[39:40], v[5:6], v[45:46], -v[39:40]
	v_mul_f64 v[29:30], v[1:2], v[43:44]
	v_add_f64 v[13:14], v[13:14], v[35:36]
	v_fma_f64 v[35:36], v[7:8], v[45:46], v[129:130]
	v_add_f64 v[15:16], v[15:16], v[23:24]
	s_clause 0x4
	buffer_load_dword v24, off, s[0:3], 0 offset:732
	buffer_load_dword v43, off, s[0:3], 0 offset:744
	;; [unrolled: 1-line block ×5, first 2 shown]
	s_waitcnt vmcnt(57) lgkmcnt(0)
	v_mul_f64 v[129:130], v[9:10], v[47:48]
	v_mul_f64 v[46:47], v[11:12], v[47:48]
	s_waitcnt vmcnt(56)
	v_fma_f64 v[31:32], v[1:2], v[33:34], -v[31:32]
	ds_read_b128 v[5:8], v61 offset:1472
	v_fma_f64 v[29:30], v[3:4], v[33:34], v[29:30]
	s_clause 0x2
	buffer_load_dword v44, off, s[0:3], 0 offset:748
	buffer_load_dword v34, off, s[0:3], 0 offset:724
	;; [unrolled: 1-line block ×3, first 2 shown]
	ds_read_b128 v[1:4], v61 offset:1488
	v_add_f64 v[13:14], v[13:14], v[39:40]
	v_add_f64 v[15:16], v[15:16], v[35:36]
	s_waitcnt vmcnt(58) lgkmcnt(1)
	v_mul_f64 v[39:40], v[7:8], v[51:52]
	s_waitcnt vmcnt(56)
	v_fma_f64 v[47:48], v[9:10], v[53:54], -v[46:47]
	v_mul_f64 v[35:36], v[5:6], v[51:52]
	v_add_f64 v[13:14], v[13:14], v[31:32]
	v_fma_f64 v[31:32], v[11:12], v[53:54], v[129:130]
	v_add_f64 v[15:16], v[15:16], v[29:30]
	s_clause 0x4
	buffer_load_dword v30, off, s[0:3], 0 offset:764
	buffer_load_dword v51, off, s[0:3], 0 offset:776
	buffer_load_dword v53, off, s[0:3], 0 offset:768
	buffer_load_dword v29, off, s[0:3], 0 offset:760
	buffer_load_dword v46, off, s[0:3], 0 offset:740
	s_waitcnt vmcnt(57) lgkmcnt(0)
	v_mul_f64 v[129:130], v[1:2], v[55:56]
	v_mul_f64 v[54:55], v[3:4], v[55:56]
	s_waitcnt vmcnt(56)
	v_fma_f64 v[39:40], v[5:6], v[41:42], -v[39:40]
	ds_read_b128 v[9:12], v61 offset:1504
	v_fma_f64 v[35:36], v[7:8], v[41:42], v[35:36]
	v_add_f64 v[13:14], v[13:14], v[47:48]
	v_add_f64 v[15:16], v[15:16], v[31:32]
	s_clause 0x2
	buffer_load_dword v52, off, s[0:3], 0 offset:780
	buffer_load_dword v32, off, s[0:3], 0 offset:756
	;; [unrolled: 1-line block ×3, first 2 shown]
	ds_read_b128 v[5:8], v61 offset:1520
	s_waitcnt vmcnt(58) lgkmcnt(1)
	v_mul_f64 v[47:48], v[11:12], v[57:58]
	s_waitcnt vmcnt(56)
	v_fma_f64 v[55:56], v[1:2], v[59:60], -v[54:55]
	v_mul_f64 v[41:42], v[9:10], v[57:58]
	v_add_f64 v[13:14], v[13:14], v[39:40]
	v_fma_f64 v[39:40], v[3:4], v[59:60], v[129:130]
	v_add_f64 v[15:16], v[15:16], v[35:36]
	s_clause 0x4
	buffer_load_dword v36, off, s[0:3], 0 offset:796
	buffer_load_dword v57, off, s[0:3], 0 offset:808
	buffer_load_dword v59, off, s[0:3], 0 offset:800
	buffer_load_dword v35, off, s[0:3], 0 offset:792
	buffer_load_dword v54, off, s[0:3], 0 offset:772
	s_waitcnt vmcnt(57) lgkmcnt(0)
	v_mul_f64 v[129:130], v[5:6], v[74:75]
	v_mul_f64 v[74:75], v[7:8], v[74:75]
	s_waitcnt vmcnt(56)
	v_fma_f64 v[47:48], v[9:10], v[49:50], -v[47:48]
	ds_read_b128 v[1:4], v61 offset:1536
	v_fma_f64 v[41:42], v[11:12], v[49:50], v[41:42]
	v_add_f64 v[13:14], v[13:14], v[55:56]
	v_add_f64 v[15:16], v[15:16], v[39:40]
	s_clause 0x2
	buffer_load_dword v58, off, s[0:3], 0 offset:812
	buffer_load_dword v40, off, s[0:3], 0 offset:788
	buffer_load_dword v39, off, s[0:3], 0 offset:784
	ds_read_b128 v[9:12], v61 offset:1552
	s_waitcnt vmcnt(58) lgkmcnt(1)
	v_mul_f64 v[55:56], v[3:4], v[97:98]
	s_waitcnt vmcnt(56)
	v_fma_f64 v[74:75], v[5:6], v[111:112], -v[74:75]
	v_mul_f64 v[49:50], v[1:2], v[97:98]
	v_add_f64 v[13:14], v[13:14], v[47:48]
	v_fma_f64 v[47:48], v[7:8], v[111:112], v[129:130]
	v_add_f64 v[15:16], v[15:16], v[41:42]
	s_clause 0x4
	buffer_load_dword v42, off, s[0:3], 0 offset:828
	buffer_load_dword v97, off, s[0:3], 0 offset:840
	;; [unrolled: 1-line block ×5, first 2 shown]
	ds_read_b128 v[5:8], v61 offset:1568
	s_waitcnt vmcnt(57) lgkmcnt(1)
	v_mul_f64 v[129:130], v[9:10], v[72:73]
	v_mul_f64 v[72:73], v[11:12], v[72:73]
	s_waitcnt vmcnt(56)
	v_fma_f64 v[55:56], v[1:2], v[99:100], -v[55:56]
	v_fma_f64 v[49:50], v[3:4], v[99:100], v[49:50]
	v_add_f64 v[13:14], v[13:14], v[74:75]
	v_add_f64 v[15:16], v[15:16], v[47:48]
	s_clause 0x2
	buffer_load_dword v98, off, s[0:3], 0 offset:844
	buffer_load_dword v48, off, s[0:3], 0 offset:820
	;; [unrolled: 1-line block ×3, first 2 shown]
	ds_read_b128 v[1:4], v61 offset:1584
	s_waitcnt vmcnt(58) lgkmcnt(1)
	v_mul_f64 v[99:100], v[7:8], v[109:110]
	v_mul_f64 v[74:75], v[5:6], v[109:110]
	s_waitcnt vmcnt(56)
	v_fma_f64 v[72:73], v[9:10], v[66:67], -v[72:73]
	v_add_f64 v[13:14], v[13:14], v[55:56]
	v_fma_f64 v[55:56], v[11:12], v[66:67], v[129:130]
	v_add_f64 v[15:16], v[15:16], v[49:50]
	s_clause 0x4
	buffer_load_dword v50, off, s[0:3], 0 offset:860
	buffer_load_dword v66, off, s[0:3], 0 offset:872
	buffer_load_dword v109, off, s[0:3], 0 offset:864
	buffer_load_dword v49, off, s[0:3], 0 offset:856
	buffer_load_dword v112, off, s[0:3], 0 offset:836
	ds_read_b128 v[9:12], v61 offset:1600
	s_waitcnt vmcnt(57) lgkmcnt(1)
	v_mul_f64 v[129:130], v[1:2], v[25:26]
	v_mul_f64 v[25:26], v[3:4], v[25:26]
	s_waitcnt vmcnt(56)
	v_fma_f64 v[99:100], v[5:6], v[119:120], -v[99:100]
	v_add_f64 v[13:14], v[13:14], v[72:73]
	v_fma_f64 v[72:73], v[7:8], v[119:120], v[74:75]
	v_add_f64 v[15:16], v[15:16], v[55:56]
	s_clause 0x2
	buffer_load_dword v67, off, s[0:3], 0 offset:876
	buffer_load_dword v56, off, s[0:3], 0 offset:852
	buffer_load_dword v55, off, s[0:3], 0 offset:848
	ds_read_b128 v[5:8], v61 offset:1616
	s_waitcnt vmcnt(58) lgkmcnt(1)
	v_mul_f64 v[74:75], v[9:10], v[93:94]
	v_mul_f64 v[93:94], v[11:12], v[93:94]
	s_waitcnt vmcnt(56)
	v_fma_f64 v[25:26], v[1:2], v[19:20], -v[25:26]
	v_fma_f64 v[19:20], v[3:4], v[19:20], v[129:130]
	v_add_f64 v[13:14], v[13:14], v[99:100]
	v_add_f64 v[15:16], v[15:16], v[72:73]
	s_clause 0x4
	buffer_load_dword v73, off, s[0:3], 0 offset:892
	buffer_load_dword v99, off, s[0:3], 0 offset:904
	buffer_load_dword v119, off, s[0:3], 0 offset:896
	buffer_load_dword v72, off, s[0:3], 0 offset:888
	buffer_load_dword v110, off, s[0:3], 0 offset:868
	ds_read_b128 v[1:4], v61 offset:1632
	s_waitcnt vmcnt(57) lgkmcnt(1)
	v_mul_f64 v[129:130], v[5:6], v[62:63]
	v_mul_f64 v[62:63], v[7:8], v[62:63]
	s_waitcnt vmcnt(56)
	v_fma_f64 v[93:94], v[9:10], v[117:118], -v[93:94]
	v_add_f64 v[13:14], v[13:14], v[25:26]
	v_fma_f64 v[25:26], v[11:12], v[117:118], v[74:75]
	v_add_f64 v[15:16], v[15:16], v[19:20]
	s_clause 0x2
	buffer_load_dword v100, off, s[0:3], 0 offset:908
	buffer_load_dword v20, off, s[0:3], 0 offset:884
	buffer_load_dword v19, off, s[0:3], 0 offset:880
	ds_read_b128 v[9:12], v61 offset:1648
	s_waitcnt vmcnt(58) lgkmcnt(1)
	v_mul_f64 v[74:75], v[1:2], v[64:65]
	v_mul_f64 v[64:65], v[3:4], v[64:65]
	s_waitcnt vmcnt(56)
	v_fma_f64 v[62:63], v[5:6], v[21:22], -v[62:63]
	v_fma_f64 v[21:22], v[7:8], v[21:22], v[129:130]
	v_add_f64 v[13:14], v[13:14], v[93:94]
	;; [unrolled: 28-line block ×3, first 2 shown]
	v_add_f64 v[15:16], v[15:16], v[62:63]
	s_clause 0x4
	buffer_load_dword v63, off, s[0:3], 0 offset:956
	buffer_load_dword v64, off, s[0:3], 0 offset:968
	;; [unrolled: 1-line block ×5, first 2 shown]
	ds_read_b128 v[9:12], v61 offset:1696
	s_waitcnt vmcnt(57) lgkmcnt(1)
	v_mul_f64 v[129:130], v[1:2], v[23:24]
	v_mul_f64 v[23:24], v[3:4], v[23:24]
	s_waitcnt vmcnt(56)
	v_fma_f64 v[37:38], v[5:6], v[70:71], -v[37:38]
	v_add_f64 v[13:14], v[13:14], v[17:18]
	v_fma_f64 v[17:18], v[7:8], v[70:71], v[74:75]
	v_add_f64 v[15:16], v[15:16], v[27:28]
	s_clause 0x2
	buffer_load_dword v65, off, s[0:3], 0 offset:972
	buffer_load_dword v28, off, s[0:3], 0 offset:948
	;; [unrolled: 1-line block ×3, first 2 shown]
	s_waitcnt vmcnt(58) lgkmcnt(0)
	v_mul_f64 v[70:71], v[9:10], v[43:44]
	v_mul_f64 v[43:44], v[11:12], v[43:44]
	ds_read_b128 v[5:8], v61 offset:1712
	s_waitcnt vmcnt(56)
	v_fma_f64 v[23:24], v[1:2], v[33:34], -v[23:24]
	v_fma_f64 v[33:34], v[3:4], v[33:34], v[129:130]
	v_add_f64 v[13:14], v[13:14], v[37:38]
	v_add_f64 v[15:16], v[15:16], v[17:18]
	s_clause 0x2
	buffer_load_dword v18, off, s[0:3], 0 offset:988
	buffer_load_dword v17, off, s[0:3], 0 offset:984
	;; [unrolled: 1-line block ×3, first 2 shown]
	ds_read_b128 v[1:4], v61 offset:1728
	s_waitcnt vmcnt(55) lgkmcnt(1)
	v_mul_f64 v[37:38], v[5:6], v[29:30]
	v_mul_f64 v[29:30], v[7:8], v[29:30]
	s_waitcnt vmcnt(54)
	v_fma_f64 v[43:44], v[9:10], v[45:46], -v[43:44]
	v_add_f64 v[13:14], v[13:14], v[23:24]
	v_fma_f64 v[23:24], v[11:12], v[45:46], v[70:71]
	v_add_f64 v[15:16], v[15:16], v[33:34]
	s_clause 0x1
	buffer_load_dword v34, off, s[0:3], 0 offset:980
	buffer_load_dword v33, off, s[0:3], 0 offset:976
	ds_read_b128 v[9:12], v61 offset:1744
	s_waitcnt vmcnt(55) lgkmcnt(1)
	v_mul_f64 v[45:46], v[1:2], v[51:52]
	v_mul_f64 v[51:52], v[3:4], v[51:52]
	s_waitcnt vmcnt(53)
	v_fma_f64 v[29:30], v[5:6], v[31:32], -v[29:30]
	v_fma_f64 v[31:32], v[7:8], v[31:32], v[37:38]
	ds_read_b128 v[5:8], v61 offset:1760
	v_add_f64 v[13:14], v[13:14], v[43:44]
	v_add_f64 v[15:16], v[15:16], v[23:24]
	s_waitcnt vmcnt(49) lgkmcnt(1)
	v_mul_f64 v[23:24], v[9:10], v[35:36]
	v_mul_f64 v[35:36], v[11:12], v[35:36]
	s_waitcnt vmcnt(48)
	v_fma_f64 v[37:38], v[1:2], v[53:54], -v[51:52]
	v_add_f64 v[13:14], v[13:14], v[29:30]
	v_fma_f64 v[29:30], v[3:4], v[53:54], v[45:46]
	v_add_f64 v[15:16], v[15:16], v[31:32]
	s_clause 0x3
	buffer_load_dword v31, off, s[0:3], 0 offset:304
	buffer_load_dword v32, off, s[0:3], 0 offset:308
	;; [unrolled: 1-line block ×4, first 2 shown]
	ds_read_b128 v[1:4], v61 offset:1776
	s_waitcnt vmcnt(51) lgkmcnt(1)
	v_mul_f64 v[51:52], v[7:8], v[57:58]
	v_mul_f64 v[45:46], v[5:6], v[57:58]
	s_waitcnt vmcnt(49)
	v_fma_f64 v[35:36], v[9:10], v[39:40], -v[35:36]
	v_fma_f64 v[23:24], v[11:12], v[39:40], v[23:24]
	ds_read_b128 v[9:12], v61 offset:1792
	v_add_f64 v[13:14], v[13:14], v[37:38]
	v_add_f64 v[15:16], v[15:16], v[29:30]
	s_waitcnt vmcnt(45) lgkmcnt(1)
	v_mul_f64 v[37:38], v[3:4], v[41:42]
	s_waitcnt vmcnt(44)
	v_fma_f64 v[39:40], v[5:6], v[59:60], -v[51:52]
	v_mul_f64 v[29:30], v[1:2], v[41:42]
	v_add_f64 v[13:14], v[13:14], v[35:36]
	v_fma_f64 v[35:36], v[7:8], v[59:60], v[45:46]
	v_add_f64 v[15:16], v[15:16], v[23:24]
	ds_read_b128 v[5:8], v61 offset:1808
	s_waitcnt vmcnt(43) lgkmcnt(1)
	v_mul_f64 v[41:42], v[11:12], v[97:98]
	v_mul_f64 v[23:24], v[9:10], v[97:98]
	s_waitcnt vmcnt(41)
	v_fma_f64 v[37:38], v[1:2], v[47:48], -v[37:38]
	v_fma_f64 v[29:30], v[3:4], v[47:48], v[29:30]
	ds_read_b128 v[1:4], v61 offset:1824
	v_add_f64 v[13:14], v[13:14], v[39:40]
	v_add_f64 v[15:16], v[15:16], v[35:36]
	s_waitcnt vmcnt(37) lgkmcnt(1)
	v_mul_f64 v[39:40], v[7:8], v[49:50]
	s_waitcnt vmcnt(36)
	v_fma_f64 v[41:42], v[9:10], v[111:112], -v[41:42]
	v_mul_f64 v[35:36], v[5:6], v[49:50]
	v_fma_f64 v[23:24], v[11:12], v[111:112], v[23:24]
	ds_read_b128 v[9:12], v61 offset:1840
	v_add_f64 v[13:14], v[13:14], v[37:38]
	v_add_f64 v[15:16], v[15:16], v[29:30]
	s_waitcnt vmcnt(35) lgkmcnt(1)
	v_mul_f64 v[37:38], v[3:4], v[66:67]
	v_mul_f64 v[29:30], v[1:2], v[66:67]
	s_waitcnt vmcnt(33)
	v_fma_f64 v[39:40], v[5:6], v[55:56], -v[39:40]
	v_fma_f64 v[35:36], v[7:8], v[55:56], v[35:36]
	ds_read_b128 v[5:8], v61 offset:1856
	v_add_f64 v[13:14], v[13:14], v[41:42]
	v_add_f64 v[15:16], v[15:16], v[23:24]
	s_waitcnt vmcnt(29) lgkmcnt(1)
	v_mul_f64 v[41:42], v[11:12], v[72:73]
	s_waitcnt vmcnt(28)
	v_fma_f64 v[37:38], v[1:2], v[109:110], -v[37:38]
	v_mul_f64 v[23:24], v[9:10], v[72:73]
	v_fma_f64 v[29:30], v[3:4], v[109:110], v[29:30]
	ds_read_b128 v[1:4], v61 offset:1872
	v_add_f64 v[13:14], v[13:14], v[39:40]
	v_add_f64 v[15:16], v[15:16], v[35:36]
	s_waitcnt vmcnt(27) lgkmcnt(1)
	v_mul_f64 v[39:40], v[7:8], v[99:100]
	v_mul_f64 v[35:36], v[5:6], v[99:100]
	s_waitcnt vmcnt(25)
	v_fma_f64 v[41:42], v[9:10], v[19:20], -v[41:42]
	v_fma_f64 v[19:20], v[11:12], v[19:20], v[23:24]
	ds_read_b128 v[9:12], v61 offset:1888
	v_add_f64 v[13:14], v[13:14], v[37:38]
	v_add_f64 v[15:16], v[15:16], v[29:30]
	s_waitcnt vmcnt(21) lgkmcnt(1)
	v_mul_f64 v[23:24], v[1:2], v[25:26]
	v_mul_f64 v[25:26], v[3:4], v[25:26]
	s_waitcnt vmcnt(20)
	v_fma_f64 v[29:30], v[5:6], v[119:120], -v[39:40]
	;; [unrolled: 9-line block ×3, first 2 shown]
	v_fma_f64 v[21:22], v[3:4], v[21:22], v[23:24]
	ds_read_b128 v[1:4], v61 offset:1920
	v_add_f64 v[13:14], v[13:14], v[29:30]
	v_add_f64 v[15:16], v[15:16], v[35:36]
	s_waitcnt vmcnt(13) lgkmcnt(1)
	v_mul_f64 v[29:30], v[7:8], v[62:63]
	s_waitcnt vmcnt(12)
	v_fma_f64 v[35:36], v[9:10], v[117:118], -v[37:38]
	v_mul_f64 v[23:24], v[5:6], v[62:63]
	v_fma_f64 v[19:20], v[11:12], v[117:118], v[19:20]
	ds_read_b128 v[9:12], v61 offset:1936
	v_add_f64 v[13:14], v[13:14], v[25:26]
	v_add_f64 v[15:16], v[15:16], v[21:22]
	s_waitcnt vmcnt(11) lgkmcnt(1)
	v_mul_f64 v[25:26], v[3:4], v[64:65]
	v_mul_f64 v[21:22], v[1:2], v[64:65]
	s_waitcnt vmcnt(9)
	v_fma_f64 v[5:6], v[5:6], v[27:28], -v[29:30]
	v_fma_f64 v[7:8], v[7:8], v[27:28], v[23:24]
	v_add_f64 v[13:14], v[13:14], v[35:36]
	v_add_f64 v[15:16], v[15:16], v[19:20]
	s_waitcnt vmcnt(7) lgkmcnt(0)
	v_mul_f64 v[19:20], v[9:10], v[17:18]
	v_mul_f64 v[17:18], v[11:12], v[17:18]
	s_waitcnt vmcnt(6)
	v_fma_f64 v[1:2], v[1:2], v[95:96], -v[25:26]
	v_fma_f64 v[3:4], v[3:4], v[95:96], v[21:22]
	v_add_f64 v[5:6], v[13:14], v[5:6]
	v_add_f64 v[7:8], v[15:16], v[7:8]
	s_waitcnt vmcnt(4)
	v_fma_f64 v[9:10], v[9:10], v[33:34], -v[17:18]
	v_add_f64 v[1:2], v[5:6], v[1:2]
	v_fma_f64 v[5:6], v[11:12], v[33:34], v[19:20]
	v_add_f64 v[3:4], v[7:8], v[3:4]
	v_add_f64 v[1:2], v[1:2], v[9:10]
	;; [unrolled: 1-line block ×3, first 2 shown]
	s_waitcnt vmcnt(2)
	v_add_f64 v[1:2], v[31:32], -v[1:2]
	s_waitcnt vmcnt(0)
	v_add_f64 v[3:4], v[43:44], -v[3:4]
	buffer_store_dword v2, off, s[0:3], 0 offset:308
	buffer_store_dword v1, off, s[0:3], 0 offset:304
	;; [unrolled: 1-line block ×4, first 2 shown]
	v_cmpx_lt_u32_e32 17, v0
	s_cbranch_execz .LBB60_357
; %bb.356:
	v_mov_b32_e32 v4, s60
	v_mov_b32_e32 v5, 0
	s_clause 0x3
	buffer_load_dword v1, v4, s[0:3], 0 offen
	buffer_load_dword v2, v4, s[0:3], 0 offen offset:4
	buffer_load_dword v3, v4, s[0:3], 0 offen offset:8
	;; [unrolled: 1-line block ×3, first 2 shown]
	buffer_store_dword v5, off, s[0:3], 0 offset:288
	buffer_store_dword v5, off, s[0:3], 0 offset:292
	buffer_store_dword v5, off, s[0:3], 0 offset:296
	buffer_store_dword v5, off, s[0:3], 0 offset:300
	s_waitcnt vmcnt(0)
	ds_write_b128 v69, v[1:4]
.LBB60_357:
	s_or_b32 exec_lo, exec_lo, s4
	s_waitcnt lgkmcnt(0)
	s_waitcnt_vscnt null, 0x0
	s_barrier
	buffer_gl0_inv
	s_clause 0x37
	buffer_load_dword v9, off, s[0:3], 0 offset:312
	buffer_load_dword v10, off, s[0:3], 0 offset:316
	;; [unrolled: 1-line block ×56, first 2 shown]
	v_mov_b32_e32 v61, 0
	s_mov_b32 s4, exec_lo
	ds_read_b128 v[62:65], v61 offset:1264
	s_clause 0x2
	buffer_load_dword v58, off, s[0:3], 0 offset:540
	buffer_load_dword v60, off, s[0:3], 0 offset:516
	;; [unrolled: 1-line block ×3, first 2 shown]
	ds_read_b128 v[70:73], v61 offset:1280
	s_clause 0x4
	buffer_load_dword v75, off, s[0:3], 0 offset:556
	buffer_load_dword v97, off, s[0:3], 0 offset:568
	;; [unrolled: 1-line block ×5, first 2 shown]
	ds_read_b128 v[93:96], v61 offset:1296
	s_clause 0x2
	buffer_load_dword v98, off, s[0:3], 0 offset:572
	buffer_load_dword v112, off, s[0:3], 0 offset:548
	;; [unrolled: 1-line block ×3, first 2 shown]
	s_waitcnt vmcnt(62) lgkmcnt(2)
	v_mul_f64 v[66:67], v[64:65], v[9:10]
	v_mul_f64 v[9:10], v[62:63], v[9:10]
	s_waitcnt lgkmcnt(1)
	v_mul_f64 v[109:110], v[72:73], v[5:6]
	s_waitcnt vmcnt(59) lgkmcnt(0)
	v_mul_f64 v[117:118], v[95:96], v[3:4]
	v_fma_f64 v[62:63], v[62:63], v[7:8], -v[66:67]
	v_mul_f64 v[66:67], v[70:71], v[5:6]
	v_fma_f64 v[9:10], v[64:65], v[7:8], v[9:10]
	s_waitcnt vmcnt(57)
	v_fma_f64 v[70:71], v[70:71], v[1:2], -v[109:110]
	ds_read_b128 v[5:8], v61 offset:1312
	v_mul_f64 v[64:65], v[93:94], v[3:4]
	s_waitcnt vmcnt(51)
	v_fma_f64 v[93:94], v[93:94], v[25:26], -v[117:118]
	v_add_f64 v[62:63], v[62:63], 0
	v_fma_f64 v[66:67], v[72:73], v[1:2], v[66:67]
	v_add_f64 v[9:10], v[9:10], 0
	s_clause 0x4
	buffer_load_dword v73, off, s[0:3], 0 offset:588
	buffer_load_dword v109, off, s[0:3], 0 offset:600
	;; [unrolled: 1-line block ×5, first 2 shown]
	s_waitcnt lgkmcnt(0)
	v_mul_f64 v[129:130], v[5:6], v[13:14]
	v_mul_f64 v[13:14], v[7:8], v[13:14]
	ds_read_b128 v[1:4], v61 offset:1328
	v_fma_f64 v[25:26], v[95:96], v[25:26], v[64:65]
	v_add_f64 v[70:71], v[62:63], v[70:71]
	v_add_f64 v[9:10], v[9:10], v[66:67]
	s_clause 0x2
	buffer_load_dword v110, off, s[0:3], 0 offset:604
	buffer_load_dword v67, off, s[0:3], 0 offset:580
	;; [unrolled: 1-line block ×3, first 2 shown]
	s_waitcnt vmcnt(58) lgkmcnt(0)
	v_mul_f64 v[95:96], v[1:2], v[17:18]
	v_mul_f64 v[17:18], v[3:4], v[17:18]
	s_waitcnt vmcnt(56)
	v_fma_f64 v[13:14], v[5:6], v[19:20], -v[13:14]
	ds_read_b128 v[62:65], v61 offset:1344
	v_fma_f64 v[19:20], v[7:8], v[19:20], v[129:130]
	v_add_f64 v[70:71], v[70:71], v[93:94]
	v_add_f64 v[9:10], v[9:10], v[25:26]
	s_clause 0x4
	buffer_load_dword v26, off, s[0:3], 0 offset:620
	buffer_load_dword v93, off, s[0:3], 0 offset:632
	;; [unrolled: 1-line block ×5, first 2 shown]
	ds_read_b128 v[5:8], v61 offset:1360
	s_waitcnt vmcnt(57) lgkmcnt(1)
	v_mul_f64 v[129:130], v[62:63], v[21:22]
	v_mul_f64 v[21:22], v[64:65], v[21:22]
	s_waitcnt vmcnt(56)
	v_fma_f64 v[17:18], v[1:2], v[11:12], -v[17:18]
	v_fma_f64 v[11:12], v[3:4], v[11:12], v[95:96]
	v_add_f64 v[13:14], v[70:71], v[13:14]
	v_add_f64 v[9:10], v[9:10], v[19:20]
	s_clause 0x2
	buffer_load_dword v94, off, s[0:3], 0 offset:636
	buffer_load_dword v20, off, s[0:3], 0 offset:612
	;; [unrolled: 1-line block ×3, first 2 shown]
	s_waitcnt vmcnt(58) lgkmcnt(0)
	v_mul_f64 v[70:71], v[5:6], v[27:28]
	v_mul_f64 v[27:28], v[7:8], v[27:28]
	s_waitcnt vmcnt(56)
	v_fma_f64 v[21:22], v[62:63], v[29:30], -v[21:22]
	ds_read_b128 v[1:4], v61 offset:1376
	v_add_f64 v[13:14], v[13:14], v[17:18]
	v_fma_f64 v[17:18], v[64:65], v[29:30], v[129:130]
	v_add_f64 v[29:30], v[9:10], v[11:12]
	s_clause 0x4
	buffer_load_dword v63, off, s[0:3], 0 offset:652
	buffer_load_dword v64, off, s[0:3], 0 offset:664
	;; [unrolled: 1-line block ×5, first 2 shown]
	ds_read_b128 v[9:12], v61 offset:1392
	s_waitcnt vmcnt(57) lgkmcnt(1)
	v_mul_f64 v[129:130], v[1:2], v[31:32]
	v_mul_f64 v[31:32], v[3:4], v[31:32]
	s_waitcnt vmcnt(56)
	v_fma_f64 v[27:28], v[5:6], v[15:16], -v[27:28]
	v_fma_f64 v[15:16], v[7:8], v[15:16], v[70:71]
	v_add_f64 v[13:14], v[13:14], v[21:22]
	s_clause 0x2
	buffer_load_dword v65, off, s[0:3], 0 offset:668
	buffer_load_dword v22, off, s[0:3], 0 offset:644
	;; [unrolled: 1-line block ×3, first 2 shown]
	v_add_f64 v[17:18], v[29:30], v[17:18]
	s_waitcnt vmcnt(58) lgkmcnt(0)
	v_mul_f64 v[29:30], v[9:10], v[35:36]
	v_mul_f64 v[35:36], v[11:12], v[35:36]
	ds_read_b128 v[5:8], v61 offset:1408
	s_waitcnt vmcnt(56)
	v_fma_f64 v[31:32], v[1:2], v[37:38], -v[31:32]
	v_add_f64 v[13:14], v[13:14], v[27:28]
	v_fma_f64 v[27:28], v[3:4], v[37:38], v[129:130]
	v_add_f64 v[15:16], v[17:18], v[15:16]
	s_clause 0x4
	buffer_load_dword v18, off, s[0:3], 0 offset:684
	buffer_load_dword v37, off, s[0:3], 0 offset:696
	;; [unrolled: 1-line block ×5, first 2 shown]
	s_waitcnt vmcnt(57) lgkmcnt(0)
	v_mul_f64 v[129:130], v[5:6], v[39:40]
	v_mul_f64 v[39:40], v[7:8], v[39:40]
	s_waitcnt vmcnt(56)
	v_fma_f64 v[35:36], v[9:10], v[23:24], -v[35:36]
	ds_read_b128 v[1:4], v61 offset:1424
	v_fma_f64 v[23:24], v[11:12], v[23:24], v[29:30]
	v_add_f64 v[13:14], v[13:14], v[31:32]
	v_add_f64 v[15:16], v[15:16], v[27:28]
	s_clause 0x2
	buffer_load_dword v38, off, s[0:3], 0 offset:700
	buffer_load_dword v28, off, s[0:3], 0 offset:676
	;; [unrolled: 1-line block ×3, first 2 shown]
	ds_read_b128 v[9:12], v61 offset:1440
	s_waitcnt vmcnt(58) lgkmcnt(1)
	v_mul_f64 v[31:32], v[3:4], v[43:44]
	s_waitcnt vmcnt(56)
	v_fma_f64 v[39:40], v[5:6], v[45:46], -v[39:40]
	v_mul_f64 v[29:30], v[1:2], v[43:44]
	v_add_f64 v[13:14], v[13:14], v[35:36]
	v_fma_f64 v[35:36], v[7:8], v[45:46], v[129:130]
	v_add_f64 v[15:16], v[15:16], v[23:24]
	s_clause 0x4
	buffer_load_dword v24, off, s[0:3], 0 offset:716
	buffer_load_dword v43, off, s[0:3], 0 offset:728
	;; [unrolled: 1-line block ×5, first 2 shown]
	s_waitcnt vmcnt(57) lgkmcnt(0)
	v_mul_f64 v[129:130], v[9:10], v[47:48]
	v_mul_f64 v[46:47], v[11:12], v[47:48]
	s_waitcnt vmcnt(56)
	v_fma_f64 v[31:32], v[1:2], v[33:34], -v[31:32]
	ds_read_b128 v[5:8], v61 offset:1456
	v_fma_f64 v[29:30], v[3:4], v[33:34], v[29:30]
	s_clause 0x2
	buffer_load_dword v44, off, s[0:3], 0 offset:732
	buffer_load_dword v34, off, s[0:3], 0 offset:708
	;; [unrolled: 1-line block ×3, first 2 shown]
	ds_read_b128 v[1:4], v61 offset:1472
	v_add_f64 v[13:14], v[13:14], v[39:40]
	v_add_f64 v[15:16], v[15:16], v[35:36]
	s_waitcnt vmcnt(58) lgkmcnt(1)
	v_mul_f64 v[39:40], v[7:8], v[51:52]
	s_waitcnt vmcnt(56)
	v_fma_f64 v[47:48], v[9:10], v[53:54], -v[46:47]
	v_mul_f64 v[35:36], v[5:6], v[51:52]
	v_add_f64 v[13:14], v[13:14], v[31:32]
	v_fma_f64 v[31:32], v[11:12], v[53:54], v[129:130]
	v_add_f64 v[15:16], v[15:16], v[29:30]
	s_clause 0x4
	buffer_load_dword v30, off, s[0:3], 0 offset:748
	buffer_load_dword v51, off, s[0:3], 0 offset:760
	;; [unrolled: 1-line block ×5, first 2 shown]
	s_waitcnt vmcnt(57) lgkmcnt(0)
	v_mul_f64 v[129:130], v[1:2], v[55:56]
	v_mul_f64 v[54:55], v[3:4], v[55:56]
	s_waitcnt vmcnt(56)
	v_fma_f64 v[39:40], v[5:6], v[41:42], -v[39:40]
	ds_read_b128 v[9:12], v61 offset:1488
	v_fma_f64 v[35:36], v[7:8], v[41:42], v[35:36]
	v_add_f64 v[13:14], v[13:14], v[47:48]
	v_add_f64 v[15:16], v[15:16], v[31:32]
	s_clause 0x2
	buffer_load_dword v52, off, s[0:3], 0 offset:764
	buffer_load_dword v32, off, s[0:3], 0 offset:740
	;; [unrolled: 1-line block ×3, first 2 shown]
	ds_read_b128 v[5:8], v61 offset:1504
	s_waitcnt vmcnt(58) lgkmcnt(1)
	v_mul_f64 v[47:48], v[11:12], v[57:58]
	s_waitcnt vmcnt(56)
	v_fma_f64 v[55:56], v[1:2], v[59:60], -v[54:55]
	v_mul_f64 v[41:42], v[9:10], v[57:58]
	v_add_f64 v[13:14], v[13:14], v[39:40]
	v_fma_f64 v[39:40], v[3:4], v[59:60], v[129:130]
	v_add_f64 v[15:16], v[15:16], v[35:36]
	s_clause 0x4
	buffer_load_dword v36, off, s[0:3], 0 offset:780
	buffer_load_dword v57, off, s[0:3], 0 offset:792
	buffer_load_dword v59, off, s[0:3], 0 offset:784
	buffer_load_dword v35, off, s[0:3], 0 offset:776
	buffer_load_dword v54, off, s[0:3], 0 offset:756
	s_waitcnt vmcnt(57) lgkmcnt(0)
	v_mul_f64 v[129:130], v[5:6], v[74:75]
	v_mul_f64 v[74:75], v[7:8], v[74:75]
	s_waitcnt vmcnt(56)
	v_fma_f64 v[47:48], v[9:10], v[49:50], -v[47:48]
	ds_read_b128 v[1:4], v61 offset:1520
	v_fma_f64 v[41:42], v[11:12], v[49:50], v[41:42]
	v_add_f64 v[13:14], v[13:14], v[55:56]
	v_add_f64 v[15:16], v[15:16], v[39:40]
	s_clause 0x2
	buffer_load_dword v58, off, s[0:3], 0 offset:796
	buffer_load_dword v40, off, s[0:3], 0 offset:772
	;; [unrolled: 1-line block ×3, first 2 shown]
	ds_read_b128 v[9:12], v61 offset:1536
	s_waitcnt vmcnt(58) lgkmcnt(1)
	v_mul_f64 v[55:56], v[3:4], v[97:98]
	s_waitcnt vmcnt(56)
	v_fma_f64 v[74:75], v[5:6], v[111:112], -v[74:75]
	v_mul_f64 v[49:50], v[1:2], v[97:98]
	v_add_f64 v[13:14], v[13:14], v[47:48]
	v_fma_f64 v[47:48], v[7:8], v[111:112], v[129:130]
	v_add_f64 v[15:16], v[15:16], v[41:42]
	s_clause 0x4
	buffer_load_dword v42, off, s[0:3], 0 offset:812
	buffer_load_dword v97, off, s[0:3], 0 offset:824
	;; [unrolled: 1-line block ×5, first 2 shown]
	ds_read_b128 v[5:8], v61 offset:1552
	s_waitcnt vmcnt(57) lgkmcnt(1)
	v_mul_f64 v[129:130], v[9:10], v[72:73]
	v_mul_f64 v[72:73], v[11:12], v[72:73]
	s_waitcnt vmcnt(56)
	v_fma_f64 v[55:56], v[1:2], v[99:100], -v[55:56]
	v_fma_f64 v[49:50], v[3:4], v[99:100], v[49:50]
	v_add_f64 v[13:14], v[13:14], v[74:75]
	v_add_f64 v[15:16], v[15:16], v[47:48]
	s_clause 0x2
	buffer_load_dword v98, off, s[0:3], 0 offset:828
	buffer_load_dword v48, off, s[0:3], 0 offset:804
	;; [unrolled: 1-line block ×3, first 2 shown]
	ds_read_b128 v[1:4], v61 offset:1568
	s_waitcnt vmcnt(58) lgkmcnt(1)
	v_mul_f64 v[99:100], v[7:8], v[109:110]
	v_mul_f64 v[74:75], v[5:6], v[109:110]
	s_waitcnt vmcnt(56)
	v_fma_f64 v[72:73], v[9:10], v[66:67], -v[72:73]
	v_add_f64 v[13:14], v[13:14], v[55:56]
	v_fma_f64 v[55:56], v[11:12], v[66:67], v[129:130]
	v_add_f64 v[15:16], v[15:16], v[49:50]
	s_clause 0x4
	buffer_load_dword v50, off, s[0:3], 0 offset:844
	buffer_load_dword v66, off, s[0:3], 0 offset:856
	buffer_load_dword v109, off, s[0:3], 0 offset:848
	buffer_load_dword v49, off, s[0:3], 0 offset:840
	buffer_load_dword v112, off, s[0:3], 0 offset:820
	ds_read_b128 v[9:12], v61 offset:1584
	s_waitcnt vmcnt(57) lgkmcnt(1)
	v_mul_f64 v[129:130], v[1:2], v[25:26]
	v_mul_f64 v[25:26], v[3:4], v[25:26]
	s_waitcnt vmcnt(56)
	v_fma_f64 v[99:100], v[5:6], v[119:120], -v[99:100]
	v_add_f64 v[13:14], v[13:14], v[72:73]
	v_fma_f64 v[72:73], v[7:8], v[119:120], v[74:75]
	v_add_f64 v[15:16], v[15:16], v[55:56]
	s_clause 0x2
	buffer_load_dword v67, off, s[0:3], 0 offset:860
	buffer_load_dword v56, off, s[0:3], 0 offset:836
	buffer_load_dword v55, off, s[0:3], 0 offset:832
	ds_read_b128 v[5:8], v61 offset:1600
	s_waitcnt vmcnt(58) lgkmcnt(1)
	v_mul_f64 v[74:75], v[9:10], v[93:94]
	v_mul_f64 v[93:94], v[11:12], v[93:94]
	s_waitcnt vmcnt(56)
	v_fma_f64 v[25:26], v[1:2], v[19:20], -v[25:26]
	v_fma_f64 v[19:20], v[3:4], v[19:20], v[129:130]
	v_add_f64 v[13:14], v[13:14], v[99:100]
	v_add_f64 v[15:16], v[15:16], v[72:73]
	s_clause 0x4
	buffer_load_dword v73, off, s[0:3], 0 offset:876
	buffer_load_dword v99, off, s[0:3], 0 offset:888
	buffer_load_dword v119, off, s[0:3], 0 offset:880
	buffer_load_dword v72, off, s[0:3], 0 offset:872
	buffer_load_dword v110, off, s[0:3], 0 offset:852
	ds_read_b128 v[1:4], v61 offset:1616
	s_waitcnt vmcnt(57) lgkmcnt(1)
	v_mul_f64 v[129:130], v[5:6], v[62:63]
	v_mul_f64 v[62:63], v[7:8], v[62:63]
	s_waitcnt vmcnt(56)
	v_fma_f64 v[93:94], v[9:10], v[117:118], -v[93:94]
	v_add_f64 v[13:14], v[13:14], v[25:26]
	v_fma_f64 v[25:26], v[11:12], v[117:118], v[74:75]
	v_add_f64 v[15:16], v[15:16], v[19:20]
	s_clause 0x2
	buffer_load_dword v100, off, s[0:3], 0 offset:892
	buffer_load_dword v20, off, s[0:3], 0 offset:868
	buffer_load_dword v19, off, s[0:3], 0 offset:864
	ds_read_b128 v[9:12], v61 offset:1632
	s_waitcnt vmcnt(58) lgkmcnt(1)
	v_mul_f64 v[74:75], v[1:2], v[64:65]
	v_mul_f64 v[64:65], v[3:4], v[64:65]
	s_waitcnt vmcnt(56)
	v_fma_f64 v[62:63], v[5:6], v[21:22], -v[62:63]
	v_fma_f64 v[21:22], v[7:8], v[21:22], v[129:130]
	v_add_f64 v[13:14], v[13:14], v[93:94]
	;; [unrolled: 28-line block ×3, first 2 shown]
	v_add_f64 v[15:16], v[15:16], v[62:63]
	s_clause 0x4
	buffer_load_dword v63, off, s[0:3], 0 offset:940
	buffer_load_dword v64, off, s[0:3], 0 offset:952
	;; [unrolled: 1-line block ×5, first 2 shown]
	ds_read_b128 v[9:12], v61 offset:1680
	s_waitcnt vmcnt(57) lgkmcnt(1)
	v_mul_f64 v[129:130], v[1:2], v[23:24]
	v_mul_f64 v[23:24], v[3:4], v[23:24]
	s_waitcnt vmcnt(56)
	v_fma_f64 v[37:38], v[5:6], v[70:71], -v[37:38]
	v_add_f64 v[13:14], v[13:14], v[17:18]
	v_fma_f64 v[17:18], v[7:8], v[70:71], v[74:75]
	v_add_f64 v[15:16], v[15:16], v[27:28]
	s_clause 0x2
	buffer_load_dword v65, off, s[0:3], 0 offset:956
	buffer_load_dword v28, off, s[0:3], 0 offset:932
	;; [unrolled: 1-line block ×3, first 2 shown]
	s_waitcnt vmcnt(58) lgkmcnt(0)
	v_mul_f64 v[70:71], v[9:10], v[43:44]
	v_mul_f64 v[43:44], v[11:12], v[43:44]
	ds_read_b128 v[5:8], v61 offset:1696
	s_waitcnt vmcnt(56)
	v_fma_f64 v[23:24], v[1:2], v[33:34], -v[23:24]
	v_fma_f64 v[33:34], v[3:4], v[33:34], v[129:130]
	v_add_f64 v[13:14], v[13:14], v[37:38]
	v_add_f64 v[15:16], v[15:16], v[17:18]
	s_clause 0x4
	buffer_load_dword v18, off, s[0:3], 0 offset:972
	buffer_load_dword v37, off, s[0:3], 0 offset:984
	;; [unrolled: 1-line block ×5, first 2 shown]
	ds_read_b128 v[1:4], v61 offset:1712
	s_waitcnt vmcnt(57) lgkmcnt(1)
	v_mul_f64 v[129:130], v[5:6], v[29:30]
	v_mul_f64 v[29:30], v[7:8], v[29:30]
	s_waitcnt vmcnt(56)
	v_fma_f64 v[43:44], v[9:10], v[45:46], -v[43:44]
	v_add_f64 v[13:14], v[13:14], v[23:24]
	v_fma_f64 v[23:24], v[11:12], v[45:46], v[70:71]
	v_add_f64 v[15:16], v[15:16], v[33:34]
	s_clause 0x2
	buffer_load_dword v38, off, s[0:3], 0 offset:988
	buffer_load_dword v34, off, s[0:3], 0 offset:964
	;; [unrolled: 1-line block ×3, first 2 shown]
	ds_read_b128 v[9:12], v61 offset:1728
	buffer_load_dword v75, off, s[0:3], 0 offset:980
	s_waitcnt vmcnt(59) lgkmcnt(1)
	v_mul_f64 v[45:46], v[1:2], v[51:52]
	v_mul_f64 v[51:52], v[3:4], v[51:52]
	s_waitcnt vmcnt(57)
	v_fma_f64 v[29:30], v[5:6], v[31:32], -v[29:30]
	v_fma_f64 v[31:32], v[7:8], v[31:32], v[129:130]
	ds_read_b128 v[5:8], v61 offset:1744
	v_add_f64 v[13:14], v[13:14], v[43:44]
	v_add_f64 v[15:16], v[15:16], v[23:24]
	s_waitcnt vmcnt(53) lgkmcnt(1)
	v_mul_f64 v[23:24], v[9:10], v[35:36]
	v_mul_f64 v[35:36], v[11:12], v[35:36]
	s_waitcnt vmcnt(52)
	v_fma_f64 v[43:44], v[1:2], v[53:54], -v[51:52]
	v_add_f64 v[13:14], v[13:14], v[29:30]
	v_fma_f64 v[29:30], v[3:4], v[53:54], v[45:46]
	v_add_f64 v[15:16], v[15:16], v[31:32]
	ds_read_b128 v[1:4], v61 offset:1760
	s_waitcnt vmcnt(51) lgkmcnt(1)
	v_mul_f64 v[45:46], v[7:8], v[57:58]
	v_mul_f64 v[31:32], v[5:6], v[57:58]
	s_waitcnt vmcnt(49)
	v_fma_f64 v[35:36], v[9:10], v[39:40], -v[35:36]
	v_fma_f64 v[23:24], v[11:12], v[39:40], v[23:24]
	v_add_f64 v[13:14], v[13:14], v[43:44]
	v_add_f64 v[15:16], v[15:16], v[29:30]
	s_clause 0x3
	buffer_load_dword v29, off, s[0:3], 0 offset:288
	buffer_load_dword v30, off, s[0:3], 0 offset:292
	buffer_load_dword v39, off, s[0:3], 0 offset:296
	buffer_load_dword v40, off, s[0:3], 0 offset:300
	ds_read_b128 v[9:12], v61 offset:1776
	s_waitcnt vmcnt(49) lgkmcnt(1)
	v_mul_f64 v[43:44], v[1:2], v[41:42]
	v_mul_f64 v[41:42], v[3:4], v[41:42]
	s_waitcnt vmcnt(48)
	v_fma_f64 v[45:46], v[5:6], v[59:60], -v[45:46]
	v_fma_f64 v[31:32], v[7:8], v[59:60], v[31:32]
	ds_read_b128 v[5:8], v61 offset:1792
	v_add_f64 v[13:14], v[13:14], v[35:36]
	v_add_f64 v[15:16], v[15:16], v[23:24]
	s_waitcnt vmcnt(47) lgkmcnt(1)
	v_mul_f64 v[35:36], v[11:12], v[97:98]
	v_mul_f64 v[23:24], v[9:10], v[97:98]
	s_waitcnt vmcnt(45)
	v_fma_f64 v[41:42], v[1:2], v[47:48], -v[41:42]
	v_fma_f64 v[43:44], v[3:4], v[47:48], v[43:44]
	ds_read_b128 v[1:4], v61 offset:1808
	v_add_f64 v[13:14], v[13:14], v[45:46]
	v_add_f64 v[15:16], v[15:16], v[31:32]
	s_waitcnt vmcnt(41) lgkmcnt(1)
	v_mul_f64 v[45:46], v[7:8], v[49:50]
	s_waitcnt vmcnt(40)
	v_fma_f64 v[35:36], v[9:10], v[111:112], -v[35:36]
	v_mul_f64 v[31:32], v[5:6], v[49:50]
	v_fma_f64 v[23:24], v[11:12], v[111:112], v[23:24]
	ds_read_b128 v[9:12], v61 offset:1824
	v_add_f64 v[13:14], v[13:14], v[41:42]
	v_add_f64 v[15:16], v[15:16], v[43:44]
	s_waitcnt vmcnt(39) lgkmcnt(1)
	v_mul_f64 v[43:44], v[3:4], v[66:67]
	v_mul_f64 v[41:42], v[1:2], v[66:67]
	s_waitcnt vmcnt(37)
	v_fma_f64 v[45:46], v[5:6], v[55:56], -v[45:46]
	v_fma_f64 v[31:32], v[7:8], v[55:56], v[31:32]
	ds_read_b128 v[5:8], v61 offset:1840
	v_add_f64 v[13:14], v[13:14], v[35:36]
	v_add_f64 v[15:16], v[15:16], v[23:24]
	s_waitcnt vmcnt(33) lgkmcnt(1)
	v_mul_f64 v[35:36], v[11:12], v[72:73]
	s_waitcnt vmcnt(32)
	v_fma_f64 v[43:44], v[1:2], v[109:110], -v[43:44]
	v_mul_f64 v[23:24], v[9:10], v[72:73]
	v_fma_f64 v[41:42], v[3:4], v[109:110], v[41:42]
	ds_read_b128 v[1:4], v61 offset:1856
	v_add_f64 v[13:14], v[13:14], v[45:46]
	v_add_f64 v[15:16], v[15:16], v[31:32]
	s_waitcnt vmcnt(31) lgkmcnt(1)
	v_mul_f64 v[45:46], v[7:8], v[99:100]
	v_mul_f64 v[31:32], v[5:6], v[99:100]
	s_waitcnt vmcnt(29)
	v_fma_f64 v[35:36], v[9:10], v[19:20], -v[35:36]
	v_fma_f64 v[19:20], v[11:12], v[19:20], v[23:24]
	ds_read_b128 v[9:12], v61 offset:1872
	v_add_f64 v[13:14], v[13:14], v[43:44]
	v_add_f64 v[15:16], v[15:16], v[41:42]
	s_waitcnt vmcnt(25) lgkmcnt(1)
	v_mul_f64 v[23:24], v[1:2], v[25:26]
	v_mul_f64 v[25:26], v[3:4], v[25:26]
	s_waitcnt vmcnt(24)
	v_fma_f64 v[41:42], v[5:6], v[119:120], -v[45:46]
	;; [unrolled: 9-line block ×3, first 2 shown]
	v_fma_f64 v[21:22], v[3:4], v[21:22], v[23:24]
	ds_read_b128 v[1:4], v61 offset:1904
	v_add_f64 v[13:14], v[13:14], v[41:42]
	v_add_f64 v[15:16], v[15:16], v[31:32]
	s_waitcnt vmcnt(17) lgkmcnt(1)
	v_mul_f64 v[31:32], v[7:8], v[62:63]
	s_waitcnt vmcnt(16)
	v_fma_f64 v[35:36], v[9:10], v[117:118], -v[35:36]
	v_mul_f64 v[23:24], v[5:6], v[62:63]
	v_fma_f64 v[19:20], v[11:12], v[117:118], v[19:20]
	ds_read_b128 v[9:12], v61 offset:1920
	v_add_f64 v[13:14], v[13:14], v[25:26]
	v_add_f64 v[15:16], v[15:16], v[21:22]
	s_waitcnt vmcnt(15) lgkmcnt(1)
	v_mul_f64 v[25:26], v[3:4], v[64:65]
	v_mul_f64 v[21:22], v[1:2], v[64:65]
	s_waitcnt vmcnt(13)
	v_fma_f64 v[31:32], v[5:6], v[27:28], -v[31:32]
	v_fma_f64 v[23:24], v[7:8], v[27:28], v[23:24]
	ds_read_b128 v[5:8], v61 offset:1936
	v_add_f64 v[13:14], v[13:14], v[35:36]
	v_add_f64 v[15:16], v[15:16], v[19:20]
	s_waitcnt vmcnt(9) lgkmcnt(1)
	v_mul_f64 v[19:20], v[9:10], v[17:18]
	v_mul_f64 v[17:18], v[11:12], v[17:18]
	s_waitcnt vmcnt(8)
	v_fma_f64 v[1:2], v[1:2], v[95:96], -v[25:26]
	v_fma_f64 v[3:4], v[3:4], v[95:96], v[21:22]
	v_add_f64 v[13:14], v[13:14], v[31:32]
	v_add_f64 v[15:16], v[15:16], v[23:24]
	s_waitcnt vmcnt(7) lgkmcnt(0)
	v_mul_f64 v[23:24], v[7:8], v[37:38]
	v_mul_f64 v[21:22], v[5:6], v[37:38]
	s_waitcnt vmcnt(5)
	v_fma_f64 v[9:10], v[9:10], v[33:34], -v[17:18]
	v_fma_f64 v[11:12], v[11:12], v[33:34], v[19:20]
	v_add_f64 v[1:2], v[13:14], v[1:2]
	v_add_f64 v[3:4], v[15:16], v[3:4]
	s_waitcnt vmcnt(4)
	v_fma_f64 v[5:6], v[5:6], v[74:75], -v[23:24]
	v_fma_f64 v[7:8], v[7:8], v[74:75], v[21:22]
	v_add_f64 v[1:2], v[1:2], v[9:10]
	v_add_f64 v[3:4], v[3:4], v[11:12]
	;; [unrolled: 1-line block ×4, first 2 shown]
	s_waitcnt vmcnt(2)
	v_add_f64 v[1:2], v[29:30], -v[1:2]
	s_waitcnt vmcnt(0)
	v_add_f64 v[3:4], v[39:40], -v[3:4]
	buffer_store_dword v2, off, s[0:3], 0 offset:292
	buffer_store_dword v1, off, s[0:3], 0 offset:288
	;; [unrolled: 1-line block ×4, first 2 shown]
	v_cmpx_lt_u32_e32 16, v0
	s_cbranch_execz .LBB60_359
; %bb.358:
	v_mov_b32_e32 v4, s62
	s_clause 0x3
	buffer_load_dword v1, v4, s[0:3], 0 offen
	buffer_load_dword v2, v4, s[0:3], 0 offen offset:4
	buffer_load_dword v3, v4, s[0:3], 0 offen offset:8
	;; [unrolled: 1-line block ×3, first 2 shown]
	buffer_store_dword v61, off, s[0:3], 0 offset:272
	buffer_store_dword v61, off, s[0:3], 0 offset:276
	;; [unrolled: 1-line block ×4, first 2 shown]
	s_waitcnt vmcnt(0)
	ds_write_b128 v69, v[1:4]
.LBB60_359:
	s_or_b32 exec_lo, exec_lo, s4
	s_waitcnt lgkmcnt(0)
	s_waitcnt_vscnt null, 0x0
	s_barrier
	buffer_gl0_inv
	s_clause 0x37
	buffer_load_dword v9, off, s[0:3], 0 offset:296
	buffer_load_dword v10, off, s[0:3], 0 offset:300
	;; [unrolled: 1-line block ×56, first 2 shown]
	ds_read_b128 v[62:65], v61 offset:1248
	s_clause 0x2
	buffer_load_dword v58, off, s[0:3], 0 offset:524
	buffer_load_dword v60, off, s[0:3], 0 offset:500
	;; [unrolled: 1-line block ×3, first 2 shown]
	ds_read_b128 v[70:73], v61 offset:1264
	s_clause 0x4
	buffer_load_dword v75, off, s[0:3], 0 offset:540
	buffer_load_dword v97, off, s[0:3], 0 offset:552
	;; [unrolled: 1-line block ×5, first 2 shown]
	ds_read_b128 v[93:96], v61 offset:1280
	s_clause 0x2
	buffer_load_dword v98, off, s[0:3], 0 offset:556
	buffer_load_dword v112, off, s[0:3], 0 offset:532
	;; [unrolled: 1-line block ×3, first 2 shown]
	s_mov_b32 s4, exec_lo
	s_waitcnt vmcnt(62) lgkmcnt(2)
	v_mul_f64 v[66:67], v[64:65], v[9:10]
	v_mul_f64 v[9:10], v[62:63], v[9:10]
	s_waitcnt lgkmcnt(1)
	v_mul_f64 v[109:110], v[72:73], v[5:6]
	s_waitcnt vmcnt(59) lgkmcnt(0)
	v_mul_f64 v[117:118], v[95:96], v[3:4]
	v_fma_f64 v[62:63], v[62:63], v[7:8], -v[66:67]
	v_mul_f64 v[66:67], v[70:71], v[5:6]
	v_fma_f64 v[9:10], v[64:65], v[7:8], v[9:10]
	s_waitcnt vmcnt(57)
	v_fma_f64 v[70:71], v[70:71], v[1:2], -v[109:110]
	ds_read_b128 v[5:8], v61 offset:1296
	v_mul_f64 v[64:65], v[93:94], v[3:4]
	s_waitcnt vmcnt(51)
	v_fma_f64 v[93:94], v[93:94], v[25:26], -v[117:118]
	v_add_f64 v[62:63], v[62:63], 0
	v_fma_f64 v[66:67], v[72:73], v[1:2], v[66:67]
	v_add_f64 v[9:10], v[9:10], 0
	s_clause 0x4
	buffer_load_dword v73, off, s[0:3], 0 offset:572
	buffer_load_dword v109, off, s[0:3], 0 offset:584
	;; [unrolled: 1-line block ×5, first 2 shown]
	s_waitcnt lgkmcnt(0)
	v_mul_f64 v[129:130], v[5:6], v[13:14]
	v_mul_f64 v[13:14], v[7:8], v[13:14]
	ds_read_b128 v[1:4], v61 offset:1312
	v_fma_f64 v[25:26], v[95:96], v[25:26], v[64:65]
	v_add_f64 v[70:71], v[62:63], v[70:71]
	v_add_f64 v[9:10], v[9:10], v[66:67]
	s_clause 0x2
	buffer_load_dword v110, off, s[0:3], 0 offset:588
	buffer_load_dword v67, off, s[0:3], 0 offset:564
	buffer_load_dword v66, off, s[0:3], 0 offset:560
	s_waitcnt vmcnt(58) lgkmcnt(0)
	v_mul_f64 v[95:96], v[1:2], v[17:18]
	v_mul_f64 v[17:18], v[3:4], v[17:18]
	s_waitcnt vmcnt(56)
	v_fma_f64 v[13:14], v[5:6], v[19:20], -v[13:14]
	ds_read_b128 v[62:65], v61 offset:1328
	v_fma_f64 v[19:20], v[7:8], v[19:20], v[129:130]
	v_add_f64 v[70:71], v[70:71], v[93:94]
	v_add_f64 v[9:10], v[9:10], v[25:26]
	s_clause 0x4
	buffer_load_dword v26, off, s[0:3], 0 offset:604
	buffer_load_dword v93, off, s[0:3], 0 offset:616
	;; [unrolled: 1-line block ×5, first 2 shown]
	ds_read_b128 v[5:8], v61 offset:1344
	s_waitcnt vmcnt(57) lgkmcnt(1)
	v_mul_f64 v[129:130], v[62:63], v[21:22]
	v_mul_f64 v[21:22], v[64:65], v[21:22]
	s_waitcnt vmcnt(56)
	v_fma_f64 v[17:18], v[1:2], v[11:12], -v[17:18]
	v_fma_f64 v[11:12], v[3:4], v[11:12], v[95:96]
	v_add_f64 v[13:14], v[70:71], v[13:14]
	v_add_f64 v[9:10], v[9:10], v[19:20]
	s_clause 0x2
	buffer_load_dword v94, off, s[0:3], 0 offset:620
	buffer_load_dword v20, off, s[0:3], 0 offset:596
	buffer_load_dword v19, off, s[0:3], 0 offset:592
	s_waitcnt vmcnt(58) lgkmcnt(0)
	v_mul_f64 v[70:71], v[5:6], v[27:28]
	v_mul_f64 v[27:28], v[7:8], v[27:28]
	s_waitcnt vmcnt(56)
	v_fma_f64 v[21:22], v[62:63], v[29:30], -v[21:22]
	ds_read_b128 v[1:4], v61 offset:1360
	v_add_f64 v[13:14], v[13:14], v[17:18]
	v_fma_f64 v[17:18], v[64:65], v[29:30], v[129:130]
	v_add_f64 v[29:30], v[9:10], v[11:12]
	s_clause 0x4
	buffer_load_dword v63, off, s[0:3], 0 offset:636
	buffer_load_dword v64, off, s[0:3], 0 offset:648
	;; [unrolled: 1-line block ×5, first 2 shown]
	ds_read_b128 v[9:12], v61 offset:1376
	s_waitcnt vmcnt(57) lgkmcnt(1)
	v_mul_f64 v[129:130], v[1:2], v[31:32]
	v_mul_f64 v[31:32], v[3:4], v[31:32]
	s_waitcnt vmcnt(56)
	v_fma_f64 v[27:28], v[5:6], v[15:16], -v[27:28]
	v_fma_f64 v[15:16], v[7:8], v[15:16], v[70:71]
	v_add_f64 v[13:14], v[13:14], v[21:22]
	s_clause 0x2
	buffer_load_dword v65, off, s[0:3], 0 offset:652
	buffer_load_dword v22, off, s[0:3], 0 offset:628
	;; [unrolled: 1-line block ×3, first 2 shown]
	v_add_f64 v[17:18], v[29:30], v[17:18]
	s_waitcnt vmcnt(58) lgkmcnt(0)
	v_mul_f64 v[29:30], v[9:10], v[35:36]
	v_mul_f64 v[35:36], v[11:12], v[35:36]
	ds_read_b128 v[5:8], v61 offset:1392
	s_waitcnt vmcnt(56)
	v_fma_f64 v[31:32], v[1:2], v[37:38], -v[31:32]
	v_add_f64 v[13:14], v[13:14], v[27:28]
	v_fma_f64 v[27:28], v[3:4], v[37:38], v[129:130]
	v_add_f64 v[15:16], v[17:18], v[15:16]
	s_clause 0x4
	buffer_load_dword v18, off, s[0:3], 0 offset:668
	buffer_load_dword v37, off, s[0:3], 0 offset:680
	;; [unrolled: 1-line block ×5, first 2 shown]
	s_waitcnt vmcnt(57) lgkmcnt(0)
	v_mul_f64 v[129:130], v[5:6], v[39:40]
	v_mul_f64 v[39:40], v[7:8], v[39:40]
	s_waitcnt vmcnt(56)
	v_fma_f64 v[35:36], v[9:10], v[23:24], -v[35:36]
	ds_read_b128 v[1:4], v61 offset:1408
	v_fma_f64 v[23:24], v[11:12], v[23:24], v[29:30]
	v_add_f64 v[13:14], v[13:14], v[31:32]
	v_add_f64 v[15:16], v[15:16], v[27:28]
	s_clause 0x2
	buffer_load_dword v38, off, s[0:3], 0 offset:684
	buffer_load_dword v28, off, s[0:3], 0 offset:660
	;; [unrolled: 1-line block ×3, first 2 shown]
	ds_read_b128 v[9:12], v61 offset:1424
	s_waitcnt vmcnt(58) lgkmcnt(1)
	v_mul_f64 v[31:32], v[3:4], v[43:44]
	s_waitcnt vmcnt(56)
	v_fma_f64 v[39:40], v[5:6], v[45:46], -v[39:40]
	v_mul_f64 v[29:30], v[1:2], v[43:44]
	v_add_f64 v[13:14], v[13:14], v[35:36]
	v_fma_f64 v[35:36], v[7:8], v[45:46], v[129:130]
	v_add_f64 v[15:16], v[15:16], v[23:24]
	s_clause 0x4
	buffer_load_dword v24, off, s[0:3], 0 offset:700
	buffer_load_dword v43, off, s[0:3], 0 offset:712
	;; [unrolled: 1-line block ×5, first 2 shown]
	s_waitcnt vmcnt(57) lgkmcnt(0)
	v_mul_f64 v[129:130], v[9:10], v[47:48]
	v_mul_f64 v[46:47], v[11:12], v[47:48]
	s_waitcnt vmcnt(56)
	v_fma_f64 v[31:32], v[1:2], v[33:34], -v[31:32]
	ds_read_b128 v[5:8], v61 offset:1440
	v_fma_f64 v[29:30], v[3:4], v[33:34], v[29:30]
	s_clause 0x2
	buffer_load_dword v44, off, s[0:3], 0 offset:716
	buffer_load_dword v34, off, s[0:3], 0 offset:692
	;; [unrolled: 1-line block ×3, first 2 shown]
	ds_read_b128 v[1:4], v61 offset:1456
	v_add_f64 v[13:14], v[13:14], v[39:40]
	v_add_f64 v[15:16], v[15:16], v[35:36]
	s_waitcnt vmcnt(58) lgkmcnt(1)
	v_mul_f64 v[39:40], v[7:8], v[51:52]
	s_waitcnt vmcnt(56)
	v_fma_f64 v[47:48], v[9:10], v[53:54], -v[46:47]
	v_mul_f64 v[35:36], v[5:6], v[51:52]
	v_add_f64 v[13:14], v[13:14], v[31:32]
	v_fma_f64 v[31:32], v[11:12], v[53:54], v[129:130]
	v_add_f64 v[15:16], v[15:16], v[29:30]
	s_clause 0x4
	buffer_load_dword v30, off, s[0:3], 0 offset:732
	buffer_load_dword v51, off, s[0:3], 0 offset:744
	;; [unrolled: 1-line block ×5, first 2 shown]
	s_waitcnt vmcnt(57) lgkmcnt(0)
	v_mul_f64 v[129:130], v[1:2], v[55:56]
	v_mul_f64 v[54:55], v[3:4], v[55:56]
	s_waitcnt vmcnt(56)
	v_fma_f64 v[39:40], v[5:6], v[41:42], -v[39:40]
	ds_read_b128 v[9:12], v61 offset:1472
	v_fma_f64 v[35:36], v[7:8], v[41:42], v[35:36]
	v_add_f64 v[13:14], v[13:14], v[47:48]
	v_add_f64 v[15:16], v[15:16], v[31:32]
	s_clause 0x2
	buffer_load_dword v52, off, s[0:3], 0 offset:748
	buffer_load_dword v32, off, s[0:3], 0 offset:724
	;; [unrolled: 1-line block ×3, first 2 shown]
	ds_read_b128 v[5:8], v61 offset:1488
	s_waitcnt vmcnt(58) lgkmcnt(1)
	v_mul_f64 v[47:48], v[11:12], v[57:58]
	s_waitcnt vmcnt(56)
	v_fma_f64 v[55:56], v[1:2], v[59:60], -v[54:55]
	v_mul_f64 v[41:42], v[9:10], v[57:58]
	v_add_f64 v[13:14], v[13:14], v[39:40]
	v_fma_f64 v[39:40], v[3:4], v[59:60], v[129:130]
	v_add_f64 v[15:16], v[15:16], v[35:36]
	s_clause 0x4
	buffer_load_dword v36, off, s[0:3], 0 offset:764
	buffer_load_dword v57, off, s[0:3], 0 offset:776
	;; [unrolled: 1-line block ×5, first 2 shown]
	s_waitcnt vmcnt(57) lgkmcnt(0)
	v_mul_f64 v[129:130], v[5:6], v[74:75]
	v_mul_f64 v[74:75], v[7:8], v[74:75]
	s_waitcnt vmcnt(56)
	v_fma_f64 v[47:48], v[9:10], v[49:50], -v[47:48]
	ds_read_b128 v[1:4], v61 offset:1504
	v_fma_f64 v[41:42], v[11:12], v[49:50], v[41:42]
	v_add_f64 v[13:14], v[13:14], v[55:56]
	v_add_f64 v[15:16], v[15:16], v[39:40]
	s_clause 0x2
	buffer_load_dword v58, off, s[0:3], 0 offset:780
	buffer_load_dword v40, off, s[0:3], 0 offset:756
	;; [unrolled: 1-line block ×3, first 2 shown]
	ds_read_b128 v[9:12], v61 offset:1520
	s_waitcnt vmcnt(58) lgkmcnt(1)
	v_mul_f64 v[55:56], v[3:4], v[97:98]
	s_waitcnt vmcnt(56)
	v_fma_f64 v[74:75], v[5:6], v[111:112], -v[74:75]
	v_mul_f64 v[49:50], v[1:2], v[97:98]
	v_add_f64 v[13:14], v[13:14], v[47:48]
	v_fma_f64 v[47:48], v[7:8], v[111:112], v[129:130]
	v_add_f64 v[15:16], v[15:16], v[41:42]
	s_clause 0x4
	buffer_load_dword v42, off, s[0:3], 0 offset:796
	buffer_load_dword v97, off, s[0:3], 0 offset:808
	;; [unrolled: 1-line block ×5, first 2 shown]
	ds_read_b128 v[5:8], v61 offset:1536
	s_waitcnt vmcnt(57) lgkmcnt(1)
	v_mul_f64 v[129:130], v[9:10], v[72:73]
	v_mul_f64 v[72:73], v[11:12], v[72:73]
	s_waitcnt vmcnt(56)
	v_fma_f64 v[55:56], v[1:2], v[99:100], -v[55:56]
	v_fma_f64 v[49:50], v[3:4], v[99:100], v[49:50]
	v_add_f64 v[13:14], v[13:14], v[74:75]
	v_add_f64 v[15:16], v[15:16], v[47:48]
	s_clause 0x2
	buffer_load_dword v98, off, s[0:3], 0 offset:812
	buffer_load_dword v48, off, s[0:3], 0 offset:788
	;; [unrolled: 1-line block ×3, first 2 shown]
	ds_read_b128 v[1:4], v61 offset:1552
	s_waitcnt vmcnt(58) lgkmcnt(1)
	v_mul_f64 v[99:100], v[7:8], v[109:110]
	v_mul_f64 v[74:75], v[5:6], v[109:110]
	s_waitcnt vmcnt(56)
	v_fma_f64 v[72:73], v[9:10], v[66:67], -v[72:73]
	v_add_f64 v[13:14], v[13:14], v[55:56]
	v_fma_f64 v[55:56], v[11:12], v[66:67], v[129:130]
	v_add_f64 v[15:16], v[15:16], v[49:50]
	s_clause 0x4
	buffer_load_dword v50, off, s[0:3], 0 offset:828
	buffer_load_dword v66, off, s[0:3], 0 offset:840
	buffer_load_dword v109, off, s[0:3], 0 offset:832
	buffer_load_dword v49, off, s[0:3], 0 offset:824
	buffer_load_dword v112, off, s[0:3], 0 offset:804
	ds_read_b128 v[9:12], v61 offset:1568
	s_waitcnt vmcnt(57) lgkmcnt(1)
	v_mul_f64 v[129:130], v[1:2], v[25:26]
	v_mul_f64 v[25:26], v[3:4], v[25:26]
	s_waitcnt vmcnt(56)
	v_fma_f64 v[99:100], v[5:6], v[119:120], -v[99:100]
	v_add_f64 v[13:14], v[13:14], v[72:73]
	v_fma_f64 v[72:73], v[7:8], v[119:120], v[74:75]
	v_add_f64 v[15:16], v[15:16], v[55:56]
	s_clause 0x2
	buffer_load_dword v67, off, s[0:3], 0 offset:844
	buffer_load_dword v56, off, s[0:3], 0 offset:820
	buffer_load_dword v55, off, s[0:3], 0 offset:816
	ds_read_b128 v[5:8], v61 offset:1584
	s_waitcnt vmcnt(58) lgkmcnt(1)
	v_mul_f64 v[74:75], v[9:10], v[93:94]
	v_mul_f64 v[93:94], v[11:12], v[93:94]
	s_waitcnt vmcnt(56)
	v_fma_f64 v[25:26], v[1:2], v[19:20], -v[25:26]
	v_fma_f64 v[19:20], v[3:4], v[19:20], v[129:130]
	v_add_f64 v[13:14], v[13:14], v[99:100]
	v_add_f64 v[15:16], v[15:16], v[72:73]
	s_clause 0x4
	buffer_load_dword v73, off, s[0:3], 0 offset:860
	buffer_load_dword v99, off, s[0:3], 0 offset:872
	buffer_load_dword v119, off, s[0:3], 0 offset:864
	buffer_load_dword v72, off, s[0:3], 0 offset:856
	buffer_load_dword v110, off, s[0:3], 0 offset:836
	ds_read_b128 v[1:4], v61 offset:1600
	s_waitcnt vmcnt(57) lgkmcnt(1)
	v_mul_f64 v[129:130], v[5:6], v[62:63]
	v_mul_f64 v[62:63], v[7:8], v[62:63]
	s_waitcnt vmcnt(56)
	v_fma_f64 v[93:94], v[9:10], v[117:118], -v[93:94]
	v_add_f64 v[13:14], v[13:14], v[25:26]
	v_fma_f64 v[25:26], v[11:12], v[117:118], v[74:75]
	v_add_f64 v[15:16], v[15:16], v[19:20]
	s_clause 0x2
	buffer_load_dword v100, off, s[0:3], 0 offset:876
	buffer_load_dword v20, off, s[0:3], 0 offset:852
	buffer_load_dword v19, off, s[0:3], 0 offset:848
	ds_read_b128 v[9:12], v61 offset:1616
	s_waitcnt vmcnt(58) lgkmcnt(1)
	v_mul_f64 v[74:75], v[1:2], v[64:65]
	v_mul_f64 v[64:65], v[3:4], v[64:65]
	s_waitcnt vmcnt(56)
	v_fma_f64 v[62:63], v[5:6], v[21:22], -v[62:63]
	v_fma_f64 v[21:22], v[7:8], v[21:22], v[129:130]
	v_add_f64 v[13:14], v[13:14], v[93:94]
	;; [unrolled: 28-line block ×3, first 2 shown]
	v_add_f64 v[15:16], v[15:16], v[62:63]
	s_clause 0x4
	buffer_load_dword v63, off, s[0:3], 0 offset:924
	buffer_load_dword v64, off, s[0:3], 0 offset:936
	;; [unrolled: 1-line block ×5, first 2 shown]
	ds_read_b128 v[9:12], v61 offset:1664
	s_waitcnt vmcnt(57) lgkmcnt(1)
	v_mul_f64 v[129:130], v[1:2], v[23:24]
	v_mul_f64 v[23:24], v[3:4], v[23:24]
	s_waitcnt vmcnt(56)
	v_fma_f64 v[37:38], v[5:6], v[70:71], -v[37:38]
	v_add_f64 v[13:14], v[13:14], v[17:18]
	v_fma_f64 v[17:18], v[7:8], v[70:71], v[74:75]
	v_add_f64 v[15:16], v[15:16], v[27:28]
	s_clause 0x2
	buffer_load_dword v65, off, s[0:3], 0 offset:940
	buffer_load_dword v28, off, s[0:3], 0 offset:916
	;; [unrolled: 1-line block ×3, first 2 shown]
	s_waitcnt vmcnt(58) lgkmcnt(0)
	v_mul_f64 v[70:71], v[9:10], v[43:44]
	v_mul_f64 v[43:44], v[11:12], v[43:44]
	ds_read_b128 v[5:8], v61 offset:1680
	s_waitcnt vmcnt(56)
	v_fma_f64 v[23:24], v[1:2], v[33:34], -v[23:24]
	v_fma_f64 v[33:34], v[3:4], v[33:34], v[129:130]
	v_add_f64 v[13:14], v[13:14], v[37:38]
	v_add_f64 v[15:16], v[15:16], v[17:18]
	s_clause 0x4
	buffer_load_dword v18, off, s[0:3], 0 offset:956
	buffer_load_dword v37, off, s[0:3], 0 offset:968
	;; [unrolled: 1-line block ×5, first 2 shown]
	ds_read_b128 v[1:4], v61 offset:1696
	s_waitcnt vmcnt(57) lgkmcnt(1)
	v_mul_f64 v[129:130], v[5:6], v[29:30]
	v_mul_f64 v[29:30], v[7:8], v[29:30]
	s_waitcnt vmcnt(56)
	v_fma_f64 v[43:44], v[9:10], v[45:46], -v[43:44]
	v_add_f64 v[13:14], v[13:14], v[23:24]
	v_fma_f64 v[23:24], v[11:12], v[45:46], v[70:71]
	v_add_f64 v[15:16], v[15:16], v[33:34]
	s_clause 0x2
	buffer_load_dword v38, off, s[0:3], 0 offset:972
	buffer_load_dword v34, off, s[0:3], 0 offset:948
	;; [unrolled: 1-line block ×3, first 2 shown]
	ds_read_b128 v[9:12], v61 offset:1712
	s_waitcnt vmcnt(58) lgkmcnt(1)
	v_mul_f64 v[45:46], v[1:2], v[51:52]
	v_mul_f64 v[51:52], v[3:4], v[51:52]
	s_waitcnt vmcnt(56)
	v_fma_f64 v[29:30], v[5:6], v[31:32], -v[29:30]
	v_fma_f64 v[31:32], v[7:8], v[31:32], v[129:130]
	v_add_f64 v[13:14], v[13:14], v[43:44]
	v_add_f64 v[15:16], v[15:16], v[23:24]
	s_clause 0x2
	buffer_load_dword v24, off, s[0:3], 0 offset:988
	buffer_load_dword v23, off, s[0:3], 0 offset:984
	;; [unrolled: 1-line block ×3, first 2 shown]
	ds_read_b128 v[5:8], v61 offset:1728
	s_waitcnt vmcnt(55) lgkmcnt(1)
	v_mul_f64 v[43:44], v[9:10], v[35:36]
	v_mul_f64 v[35:36], v[11:12], v[35:36]
	s_waitcnt vmcnt(54)
	v_fma_f64 v[51:52], v[1:2], v[53:54], -v[51:52]
	v_add_f64 v[13:14], v[13:14], v[29:30]
	v_fma_f64 v[29:30], v[3:4], v[53:54], v[45:46]
	v_add_f64 v[15:16], v[15:16], v[31:32]
	s_clause 0x1
	buffer_load_dword v32, off, s[0:3], 0 offset:980
	buffer_load_dword v31, off, s[0:3], 0 offset:976
	ds_read_b128 v[1:4], v61 offset:1744
	s_waitcnt vmcnt(55) lgkmcnt(1)
	v_mul_f64 v[53:54], v[7:8], v[57:58]
	v_mul_f64 v[45:46], v[5:6], v[57:58]
	s_waitcnt vmcnt(53)
	v_fma_f64 v[35:36], v[9:10], v[39:40], -v[35:36]
	v_fma_f64 v[39:40], v[11:12], v[39:40], v[43:44]
	ds_read_b128 v[9:12], v61 offset:1760
	v_add_f64 v[13:14], v[13:14], v[51:52]
	v_add_f64 v[15:16], v[15:16], v[29:30]
	s_waitcnt vmcnt(49) lgkmcnt(1)
	v_mul_f64 v[29:30], v[1:2], v[41:42]
	v_mul_f64 v[41:42], v[3:4], v[41:42]
	s_waitcnt vmcnt(48)
	v_fma_f64 v[43:44], v[5:6], v[59:60], -v[53:54]
	v_add_f64 v[13:14], v[13:14], v[35:36]
	v_fma_f64 v[35:36], v[7:8], v[59:60], v[45:46]
	v_add_f64 v[15:16], v[15:16], v[39:40]
	s_clause 0x3
	buffer_load_dword v39, off, s[0:3], 0 offset:272
	buffer_load_dword v40, off, s[0:3], 0 offset:276
	;; [unrolled: 1-line block ×4, first 2 shown]
	ds_read_b128 v[5:8], v61 offset:1776
	s_waitcnt vmcnt(51) lgkmcnt(1)
	v_mul_f64 v[53:54], v[11:12], v[97:98]
	v_mul_f64 v[51:52], v[9:10], v[97:98]
	s_waitcnt vmcnt(49)
	v_fma_f64 v[41:42], v[1:2], v[47:48], -v[41:42]
	v_fma_f64 v[29:30], v[3:4], v[47:48], v[29:30]
	ds_read_b128 v[1:4], v61 offset:1792
	v_add_f64 v[13:14], v[13:14], v[43:44]
	v_add_f64 v[15:16], v[15:16], v[35:36]
	s_waitcnt vmcnt(45) lgkmcnt(1)
	v_mul_f64 v[43:44], v[7:8], v[49:50]
	s_waitcnt vmcnt(44)
	v_fma_f64 v[47:48], v[9:10], v[111:112], -v[53:54]
	v_mul_f64 v[35:36], v[5:6], v[49:50]
	v_add_f64 v[13:14], v[13:14], v[41:42]
	v_fma_f64 v[41:42], v[11:12], v[111:112], v[51:52]
	v_add_f64 v[15:16], v[15:16], v[29:30]
	ds_read_b128 v[9:12], v61 offset:1808
	s_waitcnt vmcnt(43) lgkmcnt(1)
	v_mul_f64 v[49:50], v[3:4], v[66:67]
	v_mul_f64 v[29:30], v[1:2], v[66:67]
	s_waitcnt vmcnt(41)
	v_fma_f64 v[43:44], v[5:6], v[55:56], -v[43:44]
	v_fma_f64 v[35:36], v[7:8], v[55:56], v[35:36]
	ds_read_b128 v[5:8], v61 offset:1824
	v_add_f64 v[13:14], v[13:14], v[47:48]
	v_add_f64 v[15:16], v[15:16], v[41:42]
	s_waitcnt vmcnt(37) lgkmcnt(1)
	v_mul_f64 v[47:48], v[11:12], v[72:73]
	s_waitcnt vmcnt(36)
	v_fma_f64 v[49:50], v[1:2], v[109:110], -v[49:50]
	v_mul_f64 v[41:42], v[9:10], v[72:73]
	v_fma_f64 v[29:30], v[3:4], v[109:110], v[29:30]
	ds_read_b128 v[1:4], v61 offset:1840
	v_add_f64 v[13:14], v[13:14], v[43:44]
	v_add_f64 v[15:16], v[15:16], v[35:36]
	s_waitcnt vmcnt(35) lgkmcnt(1)
	v_mul_f64 v[43:44], v[7:8], v[99:100]
	v_mul_f64 v[35:36], v[5:6], v[99:100]
	s_waitcnt vmcnt(33)
	v_fma_f64 v[47:48], v[9:10], v[19:20], -v[47:48]
	v_fma_f64 v[19:20], v[11:12], v[19:20], v[41:42]
	ds_read_b128 v[9:12], v61 offset:1856
	v_add_f64 v[13:14], v[13:14], v[49:50]
	v_add_f64 v[15:16], v[15:16], v[29:30]
	s_waitcnt vmcnt(29) lgkmcnt(1)
	v_mul_f64 v[29:30], v[1:2], v[25:26]
	v_mul_f64 v[25:26], v[3:4], v[25:26]
	s_waitcnt vmcnt(28)
	v_fma_f64 v[41:42], v[5:6], v[119:120], -v[43:44]
	;; [unrolled: 9-line block ×3, first 2 shown]
	v_fma_f64 v[21:22], v[3:4], v[21:22], v[29:30]
	ds_read_b128 v[1:4], v61 offset:1888
	v_add_f64 v[13:14], v[13:14], v[41:42]
	v_add_f64 v[15:16], v[15:16], v[35:36]
	s_waitcnt vmcnt(21) lgkmcnt(1)
	v_mul_f64 v[35:36], v[7:8], v[62:63]
	s_waitcnt vmcnt(20)
	v_fma_f64 v[41:42], v[9:10], v[117:118], -v[43:44]
	v_mul_f64 v[29:30], v[5:6], v[62:63]
	v_fma_f64 v[19:20], v[11:12], v[117:118], v[19:20]
	ds_read_b128 v[9:12], v61 offset:1904
	v_add_f64 v[13:14], v[13:14], v[25:26]
	v_add_f64 v[15:16], v[15:16], v[21:22]
	s_waitcnt vmcnt(19) lgkmcnt(1)
	v_mul_f64 v[25:26], v[3:4], v[64:65]
	v_mul_f64 v[21:22], v[1:2], v[64:65]
	s_waitcnt vmcnt(17)
	v_fma_f64 v[35:36], v[5:6], v[27:28], -v[35:36]
	v_fma_f64 v[27:28], v[7:8], v[27:28], v[29:30]
	ds_read_b128 v[5:8], v61 offset:1920
	v_add_f64 v[13:14], v[13:14], v[41:42]
	v_add_f64 v[15:16], v[15:16], v[19:20]
	s_waitcnt vmcnt(13) lgkmcnt(1)
	v_mul_f64 v[19:20], v[9:10], v[17:18]
	v_mul_f64 v[17:18], v[11:12], v[17:18]
	s_waitcnt vmcnt(12)
	v_fma_f64 v[25:26], v[1:2], v[95:96], -v[25:26]
	;; [unrolled: 9-line block ×3, first 2 shown]
	v_fma_f64 v[11:12], v[11:12], v[33:34], v[19:20]
	v_add_f64 v[13:14], v[13:14], v[25:26]
	v_add_f64 v[15:16], v[15:16], v[21:22]
	s_waitcnt vmcnt(7) lgkmcnt(0)
	v_mul_f64 v[19:20], v[3:4], v[23:24]
	s_waitcnt vmcnt(6)
	v_fma_f64 v[5:6], v[5:6], v[74:75], -v[29:30]
	v_mul_f64 v[17:18], v[1:2], v[23:24]
	v_fma_f64 v[7:8], v[7:8], v[74:75], v[27:28]
	v_add_f64 v[9:10], v[13:14], v[9:10]
	v_add_f64 v[11:12], v[15:16], v[11:12]
	s_waitcnt vmcnt(4)
	v_fma_f64 v[1:2], v[1:2], v[31:32], -v[19:20]
	v_fma_f64 v[3:4], v[3:4], v[31:32], v[17:18]
	v_add_f64 v[5:6], v[9:10], v[5:6]
	v_add_f64 v[7:8], v[11:12], v[7:8]
	v_add_f64 v[1:2], v[5:6], v[1:2]
	v_add_f64 v[3:4], v[7:8], v[3:4]
	s_waitcnt vmcnt(2)
	v_add_f64 v[1:2], v[39:40], -v[1:2]
	s_waitcnt vmcnt(0)
	v_add_f64 v[3:4], v[45:46], -v[3:4]
	buffer_store_dword v2, off, s[0:3], 0 offset:276
	buffer_store_dword v1, off, s[0:3], 0 offset:272
	;; [unrolled: 1-line block ×4, first 2 shown]
	v_cmpx_lt_u32_e32 15, v0
	s_cbranch_execz .LBB60_361
; %bb.360:
	v_mov_b32_e32 v4, s64
	v_mov_b32_e32 v5, 0
	s_clause 0x3
	buffer_load_dword v1, v4, s[0:3], 0 offen
	buffer_load_dword v2, v4, s[0:3], 0 offen offset:4
	buffer_load_dword v3, v4, s[0:3], 0 offen offset:8
	buffer_load_dword v4, v4, s[0:3], 0 offen offset:12
	buffer_store_dword v5, off, s[0:3], 0 offset:256
	buffer_store_dword v5, off, s[0:3], 0 offset:260
	;; [unrolled: 1-line block ×4, first 2 shown]
	s_waitcnt vmcnt(0)
	ds_write_b128 v69, v[1:4]
.LBB60_361:
	s_or_b32 exec_lo, exec_lo, s4
	s_waitcnt lgkmcnt(0)
	s_waitcnt_vscnt null, 0x0
	s_barrier
	buffer_gl0_inv
	s_clause 0x37
	buffer_load_dword v13, off, s[0:3], 0 offset:280
	buffer_load_dword v14, off, s[0:3], 0 offset:284
	;; [unrolled: 1-line block ×56, first 2 shown]
	v_mov_b32_e32 v70, 0
	s_mov_b32 s4, exec_lo
	ds_read_b128 v[65:68], v70 offset:1232
	s_clause 0x2
	buffer_load_dword v62, off, s[0:3], 0 offset:508
	buffer_load_dword v64, off, s[0:3], 0 offset:484
	;; [unrolled: 1-line block ×3, first 2 shown]
	ds_read_b128 v[1:4], v70 offset:1248
	s_clause 0x4
	buffer_load_dword v96, off, s[0:3], 0 offset:524
	buffer_load_dword v97, off, s[0:3], 0 offset:536
	buffer_load_dword v99, off, s[0:3], 0 offset:528
	buffer_load_dword v95, off, s[0:3], 0 offset:520
	buffer_load_dword v54, off, s[0:3], 0 offset:500
	ds_read_b128 v[71:74], v70 offset:1264
	s_waitcnt vmcnt(62) lgkmcnt(2)
	v_mul_f64 v[93:94], v[67:68], v[13:14]
	v_mul_f64 v[13:14], v[65:66], v[13:14]
	s_waitcnt vmcnt(60) lgkmcnt(1)
	v_mul_f64 v[109:110], v[3:4], v[9:10]
	s_waitcnt vmcnt(56) lgkmcnt(0)
	v_mul_f64 v[111:112], v[71:72], v[7:8]
	v_mul_f64 v[7:8], v[73:74], v[7:8]
	v_fma_f64 v[65:66], v[65:66], v[11:12], -v[93:94]
	v_mul_f64 v[93:94], v[1:2], v[9:10]
	v_fma_f64 v[13:14], v[67:68], v[11:12], v[13:14]
	s_clause 0x2
	buffer_load_dword v98, off, s[0:3], 0 offset:540
	buffer_load_dword v68, off, s[0:3], 0 offset:516
	;; [unrolled: 1-line block ×3, first 2 shown]
	s_waitcnt vmcnt(57)
	v_fma_f64 v[109:110], v[1:2], v[5:6], -v[109:110]
	ds_read_b128 v[9:12], v70 offset:1280
	s_waitcnt vmcnt(51)
	v_fma_f64 v[71:72], v[71:72], v[29:30], -v[7:8]
	v_fma_f64 v[29:30], v[73:74], v[29:30], v[111:112]
	v_add_f64 v[65:66], v[65:66], 0
	v_fma_f64 v[5:6], v[3:4], v[5:6], v[93:94]
	v_add_f64 v[13:14], v[13:14], 0
	s_clause 0x4
	buffer_load_dword v94, off, s[0:3], 0 offset:556
	buffer_load_dword v117, off, s[0:3], 0 offset:568
	;; [unrolled: 1-line block ×5, first 2 shown]
	s_waitcnt lgkmcnt(0)
	v_mul_f64 v[129:130], v[9:10], v[17:18]
	v_mul_f64 v[17:18], v[11:12], v[17:18]
	ds_read_b128 v[1:4], v70 offset:1296
	s_clause 0x2
	buffer_load_dword v118, off, s[0:3], 0 offset:572
	buffer_load_dword v74, off, s[0:3], 0 offset:548
	;; [unrolled: 1-line block ×3, first 2 shown]
	v_add_f64 v[65:66], v[65:66], v[109:110]
	v_add_f64 v[13:14], v[13:14], v[5:6]
	ds_read_b128 v[5:8], v70 offset:1312
	s_waitcnt vmcnt(58) lgkmcnt(1)
	v_mul_f64 v[109:110], v[1:2], v[21:22]
	v_mul_f64 v[21:22], v[3:4], v[21:22]
	s_waitcnt vmcnt(56)
	v_fma_f64 v[17:18], v[9:10], v[23:24], -v[17:18]
	v_fma_f64 v[23:24], v[11:12], v[23:24], v[129:130]
	v_add_f64 v[65:66], v[65:66], v[71:72]
	s_waitcnt vmcnt(52) lgkmcnt(0)
	v_mul_f64 v[129:130], v[5:6], v[25:26]
	v_add_f64 v[13:14], v[13:14], v[29:30]
	s_clause 0x4
	buffer_load_dword v30, off, s[0:3], 0 offset:588
	buffer_load_dword v71, off, s[0:3], 0 offset:600
	;; [unrolled: 1-line block ×5, first 2 shown]
	v_mul_f64 v[25:26], v[7:8], v[25:26]
	s_waitcnt vmcnt(56)
	v_fma_f64 v[21:22], v[1:2], v[15:16], -v[21:22]
	ds_read_b128 v[9:12], v70 offset:1328
	v_fma_f64 v[15:16], v[3:4], v[15:16], v[109:110]
	v_add_f64 v[17:18], v[65:66], v[17:18]
	v_add_f64 v[13:14], v[13:14], v[23:24]
	s_clause 0x2
	buffer_load_dword v72, off, s[0:3], 0 offset:604
	buffer_load_dword v24, off, s[0:3], 0 offset:580
	;; [unrolled: 1-line block ×3, first 2 shown]
	s_waitcnt vmcnt(58) lgkmcnt(0)
	v_mul_f64 v[65:66], v[9:10], v[31:32]
	v_mul_f64 v[31:32], v[11:12], v[31:32]
	s_waitcnt vmcnt(56)
	v_fma_f64 v[25:26], v[5:6], v[33:34], -v[25:26]
	ds_read_b128 v[1:4], v70 offset:1344
	v_add_f64 v[17:18], v[17:18], v[21:22]
	v_fma_f64 v[21:22], v[7:8], v[33:34], v[129:130]
	v_add_f64 v[13:14], v[13:14], v[15:16]
	s_clause 0x4
	buffer_load_dword v16, off, s[0:3], 0 offset:620
	buffer_load_dword v33, off, s[0:3], 0 offset:632
	;; [unrolled: 1-line block ×5, first 2 shown]
	ds_read_b128 v[5:8], v70 offset:1360
	s_waitcnt vmcnt(57) lgkmcnt(1)
	v_mul_f64 v[129:130], v[1:2], v[35:36]
	v_mul_f64 v[35:36], v[3:4], v[35:36]
	s_waitcnt vmcnt(56)
	v_fma_f64 v[31:32], v[9:10], v[19:20], -v[31:32]
	v_fma_f64 v[19:20], v[11:12], v[19:20], v[65:66]
	v_add_f64 v[17:18], v[17:18], v[25:26]
	v_add_f64 v[13:14], v[13:14], v[21:22]
	s_clause 0x2
	buffer_load_dword v34, off, s[0:3], 0 offset:636
	buffer_load_dword v22, off, s[0:3], 0 offset:612
	;; [unrolled: 1-line block ×3, first 2 shown]
	s_waitcnt vmcnt(58) lgkmcnt(0)
	v_mul_f64 v[25:26], v[5:6], v[39:40]
	v_mul_f64 v[39:40], v[7:8], v[39:40]
	s_waitcnt vmcnt(56)
	v_fma_f64 v[35:36], v[1:2], v[41:42], -v[35:36]
	ds_read_b128 v[9:12], v70 offset:1376
	v_add_f64 v[17:18], v[17:18], v[31:32]
	v_fma_f64 v[31:32], v[3:4], v[41:42], v[129:130]
	v_add_f64 v[13:14], v[13:14], v[19:20]
	s_clause 0x4
	buffer_load_dword v20, off, s[0:3], 0 offset:652
	buffer_load_dword v41, off, s[0:3], 0 offset:664
	;; [unrolled: 1-line block ×5, first 2 shown]
	ds_read_b128 v[1:4], v70 offset:1392
	s_waitcnt vmcnt(57) lgkmcnt(1)
	v_mul_f64 v[129:130], v[9:10], v[43:44]
	v_mul_f64 v[43:44], v[11:12], v[43:44]
	s_waitcnt vmcnt(56)
	v_fma_f64 v[39:40], v[5:6], v[27:28], -v[39:40]
	v_fma_f64 v[25:26], v[7:8], v[27:28], v[25:26]
	s_clause 0x2
	buffer_load_dword v42, off, s[0:3], 0 offset:668
	buffer_load_dword v28, off, s[0:3], 0 offset:644
	;; [unrolled: 1-line block ×3, first 2 shown]
	ds_read_b128 v[5:8], v70 offset:1408
	v_add_f64 v[17:18], v[17:18], v[35:36]
	v_add_f64 v[13:14], v[13:14], v[31:32]
	s_waitcnt vmcnt(58) lgkmcnt(1)
	v_mul_f64 v[35:36], v[3:4], v[47:48]
	v_mul_f64 v[31:32], v[1:2], v[47:48]
	s_waitcnt vmcnt(56)
	v_fma_f64 v[43:44], v[9:10], v[49:50], -v[43:44]
	v_add_f64 v[17:18], v[17:18], v[39:40]
	v_fma_f64 v[39:40], v[11:12], v[49:50], v[129:130]
	v_add_f64 v[13:14], v[13:14], v[25:26]
	s_clause 0x4
	buffer_load_dword v26, off, s[0:3], 0 offset:684
	buffer_load_dword v47, off, s[0:3], 0 offset:696
	;; [unrolled: 1-line block ×5, first 2 shown]
	s_waitcnt vmcnt(57) lgkmcnt(0)
	v_mul_f64 v[129:130], v[5:6], v[51:52]
	v_mul_f64 v[50:51], v[7:8], v[51:52]
	s_waitcnt vmcnt(56)
	v_fma_f64 v[35:36], v[1:2], v[37:38], -v[35:36]
	ds_read_b128 v[9:12], v70 offset:1424
	v_fma_f64 v[31:32], v[3:4], v[37:38], v[31:32]
	s_clause 0x2
	buffer_load_dword v48, off, s[0:3], 0 offset:700
	buffer_load_dword v38, off, s[0:3], 0 offset:676
	;; [unrolled: 1-line block ×3, first 2 shown]
	ds_read_b128 v[1:4], v70 offset:1440
	v_add_f64 v[17:18], v[17:18], v[43:44]
	v_add_f64 v[13:14], v[13:14], v[39:40]
	s_waitcnt vmcnt(58) lgkmcnt(1)
	v_mul_f64 v[43:44], v[11:12], v[55:56]
	s_waitcnt vmcnt(56)
	v_fma_f64 v[51:52], v[5:6], v[57:58], -v[50:51]
	v_mul_f64 v[39:40], v[9:10], v[55:56]
	v_add_f64 v[17:18], v[17:18], v[35:36]
	v_fma_f64 v[35:36], v[7:8], v[57:58], v[129:130]
	v_add_f64 v[13:14], v[13:14], v[31:32]
	s_clause 0x4
	buffer_load_dword v32, off, s[0:3], 0 offset:716
	buffer_load_dword v55, off, s[0:3], 0 offset:728
	;; [unrolled: 1-line block ×5, first 2 shown]
	s_waitcnt vmcnt(57) lgkmcnt(0)
	v_mul_f64 v[129:130], v[1:2], v[59:60]
	v_mul_f64 v[58:59], v[3:4], v[59:60]
	s_waitcnt vmcnt(56)
	v_fma_f64 v[43:44], v[9:10], v[45:46], -v[43:44]
	ds_read_b128 v[5:8], v70 offset:1456
	v_fma_f64 v[39:40], v[11:12], v[45:46], v[39:40]
	v_add_f64 v[17:18], v[17:18], v[51:52]
	v_add_f64 v[13:14], v[13:14], v[35:36]
	s_clause 0x2
	buffer_load_dword v56, off, s[0:3], 0 offset:732
	buffer_load_dword v36, off, s[0:3], 0 offset:708
	;; [unrolled: 1-line block ×3, first 2 shown]
	ds_read_b128 v[9:12], v70 offset:1472
	s_waitcnt vmcnt(58) lgkmcnt(1)
	v_mul_f64 v[51:52], v[7:8], v[61:62]
	s_waitcnt vmcnt(56)
	v_fma_f64 v[59:60], v[1:2], v[63:64], -v[58:59]
	v_mul_f64 v[45:46], v[5:6], v[61:62]
	v_add_f64 v[17:18], v[17:18], v[43:44]
	v_fma_f64 v[43:44], v[3:4], v[63:64], v[129:130]
	v_add_f64 v[13:14], v[13:14], v[39:40]
	s_clause 0x4
	buffer_load_dword v40, off, s[0:3], 0 offset:748
	buffer_load_dword v61, off, s[0:3], 0 offset:760
	;; [unrolled: 1-line block ×5, first 2 shown]
	s_waitcnt vmcnt(57) lgkmcnt(0)
	v_mul_f64 v[129:130], v[9:10], v[95:96]
	v_mul_f64 v[95:96], v[11:12], v[95:96]
	s_waitcnt vmcnt(56)
	v_fma_f64 v[51:52], v[5:6], v[53:54], -v[51:52]
	ds_read_b128 v[1:4], v70 offset:1488
	v_fma_f64 v[45:46], v[7:8], v[53:54], v[45:46]
	v_add_f64 v[17:18], v[17:18], v[59:60]
	v_add_f64 v[13:14], v[13:14], v[43:44]
	s_clause 0x2
	buffer_load_dword v62, off, s[0:3], 0 offset:764
	buffer_load_dword v44, off, s[0:3], 0 offset:740
	;; [unrolled: 1-line block ×3, first 2 shown]
	ds_read_b128 v[5:8], v70 offset:1504
	s_waitcnt vmcnt(58) lgkmcnt(1)
	v_mul_f64 v[59:60], v[3:4], v[97:98]
	v_mul_f64 v[53:54], v[1:2], v[97:98]
	s_waitcnt vmcnt(56)
	v_fma_f64 v[95:96], v[9:10], v[67:68], -v[95:96]
	v_add_f64 v[17:18], v[17:18], v[51:52]
	v_fma_f64 v[51:52], v[11:12], v[67:68], v[129:130]
	v_add_f64 v[13:14], v[13:14], v[45:46]
	s_clause 0x4
	buffer_load_dword v46, off, s[0:3], 0 offset:780
	buffer_load_dword v67, off, s[0:3], 0 offset:792
	buffer_load_dword v97, off, s[0:3], 0 offset:784
	buffer_load_dword v45, off, s[0:3], 0 offset:776
	buffer_load_dword v64, off, s[0:3], 0 offset:756
	ds_read_b128 v[9:12], v70 offset:1520
	s_waitcnt vmcnt(57) lgkmcnt(1)
	v_mul_f64 v[129:130], v[5:6], v[93:94]
	v_mul_f64 v[93:94], v[7:8], v[93:94]
	s_waitcnt vmcnt(56)
	v_fma_f64 v[59:60], v[1:2], v[99:100], -v[59:60]
	v_fma_f64 v[53:54], v[3:4], v[99:100], v[53:54]
	v_add_f64 v[17:18], v[17:18], v[95:96]
	v_add_f64 v[13:14], v[13:14], v[51:52]
	s_clause 0x2
	buffer_load_dword v68, off, s[0:3], 0 offset:796
	buffer_load_dword v52, off, s[0:3], 0 offset:772
	;; [unrolled: 1-line block ×3, first 2 shown]
	s_waitcnt vmcnt(58) lgkmcnt(0)
	v_mul_f64 v[99:100], v[11:12], v[117:118]
	ds_read_b128 v[1:4], v70 offset:1536
	v_mul_f64 v[95:96], v[9:10], v[117:118]
	s_waitcnt vmcnt(56)
	v_fma_f64 v[93:94], v[5:6], v[73:74], -v[93:94]
	v_add_f64 v[17:18], v[17:18], v[59:60]
	v_fma_f64 v[59:60], v[7:8], v[73:74], v[129:130]
	v_add_f64 v[13:14], v[13:14], v[53:54]
	s_clause 0x4
	buffer_load_dword v54, off, s[0:3], 0 offset:812
	buffer_load_dword v73, off, s[0:3], 0 offset:824
	;; [unrolled: 1-line block ×5, first 2 shown]
	ds_read_b128 v[5:8], v70 offset:1552
	s_waitcnt vmcnt(57) lgkmcnt(1)
	v_mul_f64 v[129:130], v[1:2], v[29:30]
	v_mul_f64 v[29:30], v[3:4], v[29:30]
	s_waitcnt vmcnt(56)
	v_fma_f64 v[99:100], v[9:10], v[119:120], -v[99:100]
	v_add_f64 v[17:18], v[17:18], v[93:94]
	v_fma_f64 v[93:94], v[11:12], v[119:120], v[95:96]
	v_add_f64 v[13:14], v[13:14], v[59:60]
	s_clause 0x2
	buffer_load_dword v74, off, s[0:3], 0 offset:828
	buffer_load_dword v60, off, s[0:3], 0 offset:804
	buffer_load_dword v59, off, s[0:3], 0 offset:800
	ds_read_b128 v[9:12], v70 offset:1568
	s_waitcnt vmcnt(58) lgkmcnt(1)
	v_mul_f64 v[95:96], v[5:6], v[71:72]
	v_mul_f64 v[71:72], v[7:8], v[71:72]
	s_waitcnt vmcnt(56)
	v_fma_f64 v[29:30], v[1:2], v[23:24], -v[29:30]
	v_fma_f64 v[23:24], v[3:4], v[23:24], v[129:130]
	v_add_f64 v[17:18], v[17:18], v[99:100]
	v_add_f64 v[13:14], v[13:14], v[93:94]
	s_clause 0x4
	buffer_load_dword v94, off, s[0:3], 0 offset:844
	buffer_load_dword v99, off, s[0:3], 0 offset:856
	buffer_load_dword v119, off, s[0:3], 0 offset:848
	buffer_load_dword v93, off, s[0:3], 0 offset:840
	buffer_load_dword v118, off, s[0:3], 0 offset:820
	ds_read_b128 v[1:4], v70 offset:1584
	s_waitcnt vmcnt(57) lgkmcnt(1)
	v_mul_f64 v[129:130], v[9:10], v[15:16]
	v_mul_f64 v[15:16], v[11:12], v[15:16]
	s_waitcnt vmcnt(56)
	v_fma_f64 v[71:72], v[5:6], v[111:112], -v[71:72]
	v_add_f64 v[17:18], v[17:18], v[29:30]
	v_fma_f64 v[29:30], v[7:8], v[111:112], v[95:96]
	v_add_f64 v[13:14], v[13:14], v[23:24]
	s_clause 0x2
	buffer_load_dword v100, off, s[0:3], 0 offset:860
	buffer_load_dword v24, off, s[0:3], 0 offset:836
	;; [unrolled: 1-line block ×3, first 2 shown]
	ds_read_b128 v[5:8], v70 offset:1600
	s_waitcnt vmcnt(58) lgkmcnt(1)
	v_mul_f64 v[95:96], v[1:2], v[33:34]
	v_mul_f64 v[33:34], v[3:4], v[33:34]
	s_waitcnt vmcnt(56)
	v_fma_f64 v[15:16], v[9:10], v[21:22], -v[15:16]
	v_fma_f64 v[21:22], v[11:12], v[21:22], v[129:130]
	v_add_f64 v[17:18], v[17:18], v[71:72]
	v_add_f64 v[13:14], v[13:14], v[29:30]
	s_clause 0x4
	buffer_load_dword v30, off, s[0:3], 0 offset:876
	buffer_load_dword v71, off, s[0:3], 0 offset:888
	;; [unrolled: 1-line block ×5, first 2 shown]
	ds_read_b128 v[9:12], v70 offset:1616
	s_waitcnt vmcnt(57) lgkmcnt(1)
	v_mul_f64 v[129:130], v[5:6], v[19:20]
	v_mul_f64 v[19:20], v[7:8], v[19:20]
	s_waitcnt vmcnt(56)
	v_fma_f64 v[33:34], v[1:2], v[109:110], -v[33:34]
	v_add_f64 v[15:16], v[17:18], v[15:16]
	v_fma_f64 v[17:18], v[3:4], v[109:110], v[95:96]
	v_add_f64 v[13:14], v[13:14], v[21:22]
	s_clause 0x2
	buffer_load_dword v72, off, s[0:3], 0 offset:892
	buffer_load_dword v22, off, s[0:3], 0 offset:868
	;; [unrolled: 1-line block ×3, first 2 shown]
	s_waitcnt vmcnt(58) lgkmcnt(0)
	v_mul_f64 v[95:96], v[9:10], v[41:42]
	v_mul_f64 v[41:42], v[11:12], v[41:42]
	ds_read_b128 v[1:4], v70 offset:1632
	s_waitcnt vmcnt(56)
	v_fma_f64 v[19:20], v[5:6], v[27:28], -v[19:20]
	v_fma_f64 v[27:28], v[7:8], v[27:28], v[129:130]
	v_add_f64 v[15:16], v[15:16], v[33:34]
	v_add_f64 v[13:14], v[13:14], v[17:18]
	s_clause 0x4
	buffer_load_dword v18, off, s[0:3], 0 offset:908
	buffer_load_dword v33, off, s[0:3], 0 offset:920
	;; [unrolled: 1-line block ×5, first 2 shown]
	ds_read_b128 v[5:8], v70 offset:1648
	s_waitcnt vmcnt(57) lgkmcnt(1)
	v_mul_f64 v[129:130], v[1:2], v[25:26]
	v_mul_f64 v[25:26], v[3:4], v[25:26]
	s_waitcnt vmcnt(56)
	v_fma_f64 v[41:42], v[9:10], v[65:66], -v[41:42]
	v_add_f64 v[15:16], v[15:16], v[19:20]
	v_fma_f64 v[19:20], v[11:12], v[65:66], v[95:96]
	v_add_f64 v[13:14], v[13:14], v[27:28]
	s_clause 0x2
	buffer_load_dword v34, off, s[0:3], 0 offset:924
	buffer_load_dword v28, off, s[0:3], 0 offset:900
	;; [unrolled: 1-line block ×3, first 2 shown]
	s_waitcnt vmcnt(58) lgkmcnt(0)
	v_mul_f64 v[65:66], v[5:6], v[47:48]
	v_mul_f64 v[47:48], v[7:8], v[47:48]
	ds_read_b128 v[9:12], v70 offset:1664
	s_waitcnt vmcnt(56)
	v_fma_f64 v[25:26], v[1:2], v[37:38], -v[25:26]
	v_fma_f64 v[37:38], v[3:4], v[37:38], v[129:130]
	v_add_f64 v[15:16], v[15:16], v[41:42]
	v_add_f64 v[13:14], v[13:14], v[19:20]
	s_clause 0x4
	buffer_load_dword v20, off, s[0:3], 0 offset:940
	buffer_load_dword v41, off, s[0:3], 0 offset:952
	buffer_load_dword v95, off, s[0:3], 0 offset:944
	buffer_load_dword v19, off, s[0:3], 0 offset:936
	buffer_load_dword v110, off, s[0:3], 0 offset:916
	ds_read_b128 v[1:4], v70 offset:1680
	s_waitcnt vmcnt(57) lgkmcnt(1)
	v_mul_f64 v[129:130], v[9:10], v[31:32]
	v_mul_f64 v[31:32], v[11:12], v[31:32]
	s_waitcnt vmcnt(56)
	v_fma_f64 v[47:48], v[5:6], v[49:50], -v[47:48]
	v_add_f64 v[15:16], v[15:16], v[25:26]
	v_fma_f64 v[25:26], v[7:8], v[49:50], v[65:66]
	v_add_f64 v[13:14], v[13:14], v[37:38]
	s_clause 0x2
	buffer_load_dword v42, off, s[0:3], 0 offset:956
	buffer_load_dword v38, off, s[0:3], 0 offset:932
	;; [unrolled: 1-line block ×3, first 2 shown]
	ds_read_b128 v[5:8], v70 offset:1696
	s_waitcnt vmcnt(58) lgkmcnt(1)
	v_mul_f64 v[49:50], v[1:2], v[55:56]
	v_mul_f64 v[55:56], v[3:4], v[55:56]
	s_waitcnt vmcnt(56)
	v_fma_f64 v[31:32], v[9:10], v[35:36], -v[31:32]
	v_fma_f64 v[35:36], v[11:12], v[35:36], v[129:130]
	v_add_f64 v[15:16], v[15:16], v[47:48]
	v_add_f64 v[13:14], v[13:14], v[25:26]
	s_clause 0x4
	buffer_load_dword v26, off, s[0:3], 0 offset:972
	buffer_load_dword v47, off, s[0:3], 0 offset:984
	;; [unrolled: 1-line block ×5, first 2 shown]
	ds_read_b128 v[9:12], v70 offset:1712
	s_waitcnt vmcnt(57) lgkmcnt(1)
	v_mul_f64 v[129:130], v[5:6], v[39:40]
	v_mul_f64 v[39:40], v[7:8], v[39:40]
	s_waitcnt vmcnt(56)
	v_fma_f64 v[55:56], v[1:2], v[57:58], -v[55:56]
	v_add_f64 v[15:16], v[15:16], v[31:32]
	v_fma_f64 v[31:32], v[3:4], v[57:58], v[49:50]
	v_add_f64 v[13:14], v[13:14], v[35:36]
	s_clause 0x2
	buffer_load_dword v48, off, s[0:3], 0 offset:988
	buffer_load_dword v36, off, s[0:3], 0 offset:964
	;; [unrolled: 1-line block ×3, first 2 shown]
	ds_read_b128 v[1:4], v70 offset:1728
	buffer_load_dword v66, off, s[0:3], 0 offset:980
	s_waitcnt vmcnt(59) lgkmcnt(1)
	v_mul_f64 v[57:58], v[11:12], v[61:62]
	v_mul_f64 v[49:50], v[9:10], v[61:62]
	s_waitcnt vmcnt(57)
	v_fma_f64 v[39:40], v[5:6], v[43:44], -v[39:40]
	v_fma_f64 v[43:44], v[7:8], v[43:44], v[129:130]
	ds_read_b128 v[5:8], v70 offset:1744
	v_add_f64 v[15:16], v[15:16], v[55:56]
	v_add_f64 v[13:14], v[13:14], v[31:32]
	s_waitcnt vmcnt(53) lgkmcnt(1)
	v_mul_f64 v[31:32], v[1:2], v[45:46]
	v_mul_f64 v[45:46], v[3:4], v[45:46]
	s_waitcnt vmcnt(52)
	v_fma_f64 v[55:56], v[9:10], v[63:64], -v[57:58]
	v_add_f64 v[15:16], v[15:16], v[39:40]
	v_fma_f64 v[39:40], v[11:12], v[63:64], v[49:50]
	v_add_f64 v[13:14], v[13:14], v[43:44]
	ds_read_b128 v[9:12], v70 offset:1760
	s_waitcnt vmcnt(51) lgkmcnt(1)
	v_mul_f64 v[49:50], v[7:8], v[67:68]
	v_mul_f64 v[43:44], v[5:6], v[67:68]
	s_waitcnt vmcnt(49)
	v_fma_f64 v[45:46], v[1:2], v[51:52], -v[45:46]
	v_fma_f64 v[31:32], v[3:4], v[51:52], v[31:32]
	v_add_f64 v[15:16], v[15:16], v[55:56]
	v_add_f64 v[13:14], v[13:14], v[39:40]
	s_clause 0x3
	buffer_load_dword v39, off, s[0:3], 0 offset:256
	buffer_load_dword v40, off, s[0:3], 0 offset:260
	;; [unrolled: 1-line block ×4, first 2 shown]
	ds_read_b128 v[1:4], v70 offset:1776
	s_waitcnt vmcnt(49) lgkmcnt(1)
	v_mul_f64 v[55:56], v[9:10], v[53:54]
	v_mul_f64 v[53:54], v[11:12], v[53:54]
	s_waitcnt vmcnt(48)
	v_fma_f64 v[49:50], v[5:6], v[97:98], -v[49:50]
	v_fma_f64 v[43:44], v[7:8], v[97:98], v[43:44]
	ds_read_b128 v[5:8], v70 offset:1792
	v_add_f64 v[15:16], v[15:16], v[45:46]
	v_add_f64 v[13:14], v[13:14], v[31:32]
	s_waitcnt vmcnt(47) lgkmcnt(1)
	v_mul_f64 v[45:46], v[3:4], v[73:74]
	v_mul_f64 v[31:32], v[1:2], v[73:74]
	s_waitcnt vmcnt(45)
	v_fma_f64 v[53:54], v[9:10], v[59:60], -v[53:54]
	v_add_f64 v[15:16], v[15:16], v[49:50]
	v_fma_f64 v[49:50], v[11:12], v[59:60], v[55:56]
	v_add_f64 v[13:14], v[13:14], v[43:44]
	ds_read_b128 v[9:12], v70 offset:1808
	s_waitcnt vmcnt(41) lgkmcnt(1)
	v_mul_f64 v[55:56], v[7:8], v[93:94]
	s_waitcnt vmcnt(40)
	v_fma_f64 v[45:46], v[1:2], v[117:118], -v[45:46]
	v_mul_f64 v[43:44], v[5:6], v[93:94]
	v_fma_f64 v[31:32], v[3:4], v[117:118], v[31:32]
	ds_read_b128 v[1:4], v70 offset:1824
	v_add_f64 v[15:16], v[15:16], v[53:54]
	v_add_f64 v[13:14], v[13:14], v[49:50]
	s_waitcnt vmcnt(39) lgkmcnt(1)
	v_mul_f64 v[53:54], v[11:12], v[99:100]
	v_mul_f64 v[49:50], v[9:10], v[99:100]
	s_waitcnt vmcnt(37)
	v_fma_f64 v[55:56], v[5:6], v[23:24], -v[55:56]
	v_fma_f64 v[23:24], v[7:8], v[23:24], v[43:44]
	ds_read_b128 v[5:8], v70 offset:1840
	v_add_f64 v[15:16], v[15:16], v[45:46]
	v_add_f64 v[13:14], v[13:14], v[31:32]
	s_waitcnt vmcnt(33) lgkmcnt(1)
	v_mul_f64 v[31:32], v[1:2], v[29:30]
	v_mul_f64 v[29:30], v[3:4], v[29:30]
	s_waitcnt vmcnt(32)
	v_fma_f64 v[43:44], v[9:10], v[119:120], -v[53:54]
	;; [unrolled: 9-line block ×6, first 2 shown]
	v_add_f64 v[15:16], v[15:16], v[17:18]
	v_fma_f64 v[17:18], v[3:4], v[109:110], v[21:22]
	v_add_f64 v[13:14], v[13:14], v[27:28]
	ds_read_b128 v[1:4], v70 offset:1920
	s_waitcnt vmcnt(15) lgkmcnt(1)
	v_mul_f64 v[27:28], v[11:12], v[41:42]
	v_mul_f64 v[21:22], v[9:10], v[41:42]
	s_waitcnt vmcnt(13)
	v_fma_f64 v[19:20], v[5:6], v[37:38], -v[19:20]
	v_fma_f64 v[23:24], v[7:8], v[37:38], v[23:24]
	ds_read_b128 v[5:8], v70 offset:1936
	v_add_f64 v[15:16], v[15:16], v[29:30]
	v_add_f64 v[13:14], v[13:14], v[17:18]
	s_waitcnt vmcnt(9) lgkmcnt(1)
	v_mul_f64 v[17:18], v[1:2], v[25:26]
	v_mul_f64 v[25:26], v[3:4], v[25:26]
	s_waitcnt vmcnt(8)
	v_fma_f64 v[9:10], v[9:10], v[95:96], -v[27:28]
	v_fma_f64 v[11:12], v[11:12], v[95:96], v[21:22]
	v_add_f64 v[15:16], v[15:16], v[19:20]
	v_add_f64 v[13:14], v[13:14], v[23:24]
	s_waitcnt vmcnt(7) lgkmcnt(0)
	v_mul_f64 v[21:22], v[7:8], v[47:48]
	v_mul_f64 v[19:20], v[5:6], v[47:48]
	s_waitcnt vmcnt(5)
	v_fma_f64 v[1:2], v[1:2], v[35:36], -v[25:26]
	v_fma_f64 v[3:4], v[3:4], v[35:36], v[17:18]
	v_add_f64 v[9:10], v[15:16], v[9:10]
	v_add_f64 v[11:12], v[13:14], v[11:12]
	s_waitcnt vmcnt(4)
	v_fma_f64 v[5:6], v[5:6], v[65:66], -v[21:22]
	v_fma_f64 v[7:8], v[7:8], v[65:66], v[19:20]
	v_add_f64 v[1:2], v[9:10], v[1:2]
	v_add_f64 v[3:4], v[11:12], v[3:4]
	;; [unrolled: 1-line block ×4, first 2 shown]
	s_waitcnt vmcnt(2)
	v_add_f64 v[1:2], v[39:40], -v[1:2]
	s_waitcnt vmcnt(0)
	v_add_f64 v[3:4], v[51:52], -v[3:4]
	buffer_store_dword v2, off, s[0:3], 0 offset:260
	buffer_store_dword v1, off, s[0:3], 0 offset:256
	;; [unrolled: 1-line block ×4, first 2 shown]
	v_cmpx_lt_u32_e32 14, v0
	s_cbranch_execz .LBB60_363
; %bb.362:
	v_mov_b32_e32 v4, s66
	s_clause 0x3
	buffer_load_dword v1, v4, s[0:3], 0 offen
	buffer_load_dword v2, v4, s[0:3], 0 offen offset:4
	buffer_load_dword v3, v4, s[0:3], 0 offen offset:8
	;; [unrolled: 1-line block ×3, first 2 shown]
	buffer_store_dword v70, off, s[0:3], 0 offset:240
	buffer_store_dword v70, off, s[0:3], 0 offset:244
	;; [unrolled: 1-line block ×4, first 2 shown]
	s_waitcnt vmcnt(0)
	ds_write_b128 v69, v[1:4]
.LBB60_363:
	s_or_b32 exec_lo, exec_lo, s4
	s_waitcnt lgkmcnt(0)
	s_waitcnt_vscnt null, 0x0
	s_barrier
	buffer_gl0_inv
	s_clause 0x37
	buffer_load_dword v17, off, s[0:3], 0 offset:264
	buffer_load_dword v18, off, s[0:3], 0 offset:268
	;; [unrolled: 1-line block ×56, first 2 shown]
	ds_read_b128 v[5:8], v70 offset:1216
	s_clause 0x2
	buffer_load_dword v66, off, s[0:3], 0 offset:492
	buffer_load_dword v68, off, s[0:3], 0 offset:468
	;; [unrolled: 1-line block ×3, first 2 shown]
	ds_read_b128 v[1:4], v70 offset:1232
	s_clause 0x4
	buffer_load_dword v96, off, s[0:3], 0 offset:508
	buffer_load_dword v97, off, s[0:3], 0 offset:520
	;; [unrolled: 1-line block ×5, first 2 shown]
	ds_read_b128 v[71:74], v70 offset:1248
	s_mov_b32 s4, exec_lo
	s_waitcnt vmcnt(62) lgkmcnt(2)
	v_mul_f64 v[93:94], v[7:8], v[17:18]
	v_mul_f64 v[17:18], v[5:6], v[17:18]
	s_waitcnt vmcnt(60) lgkmcnt(1)
	v_mul_f64 v[109:110], v[3:4], v[13:14]
	v_mul_f64 v[13:14], v[1:2], v[13:14]
	;; [unrolled: 3-line block ×3, first 2 shown]
	v_fma_f64 v[93:94], v[5:6], v[15:16], -v[93:94]
	v_fma_f64 v[15:16], v[7:8], v[15:16], v[17:18]
	s_clause 0x2
	buffer_load_dword v98, off, s[0:3], 0 offset:524
	buffer_load_dword v18, off, s[0:3], 0 offset:500
	;; [unrolled: 1-line block ×3, first 2 shown]
	s_waitcnt vmcnt(57)
	v_fma_f64 v[109:110], v[1:2], v[9:10], -v[109:110]
	ds_read_b128 v[5:8], v70 offset:1264
	v_fma_f64 v[9:10], v[3:4], v[9:10], v[13:14]
	s_waitcnt vmcnt(51)
	v_fma_f64 v[71:72], v[71:72], v[33:34], -v[11:12]
	v_fma_f64 v[33:34], v[73:74], v[33:34], v[111:112]
	v_add_f64 v[93:94], v[93:94], 0
	v_add_f64 v[13:14], v[15:16], 0
	s_clause 0x4
	buffer_load_dword v16, off, s[0:3], 0 offset:540
	buffer_load_dword v117, off, s[0:3], 0 offset:552
	buffer_load_dword v119, off, s[0:3], 0 offset:544
	buffer_load_dword v15, off, s[0:3], 0 offset:536
	buffer_load_dword v100, off, s[0:3], 0 offset:516
	s_waitcnt lgkmcnt(0)
	v_mul_f64 v[129:130], v[5:6], v[21:22]
	v_mul_f64 v[21:22], v[7:8], v[21:22]
	ds_read_b128 v[1:4], v70 offset:1280
	s_clause 0x2
	buffer_load_dword v118, off, s[0:3], 0 offset:556
	buffer_load_dword v74, off, s[0:3], 0 offset:532
	;; [unrolled: 1-line block ×3, first 2 shown]
	v_add_f64 v[93:94], v[93:94], v[109:110]
	v_add_f64 v[13:14], v[13:14], v[9:10]
	ds_read_b128 v[9:12], v70 offset:1296
	s_waitcnt vmcnt(58) lgkmcnt(1)
	v_mul_f64 v[109:110], v[1:2], v[25:26]
	v_mul_f64 v[25:26], v[3:4], v[25:26]
	s_waitcnt vmcnt(56)
	v_fma_f64 v[21:22], v[5:6], v[27:28], -v[21:22]
	v_fma_f64 v[27:28], v[7:8], v[27:28], v[129:130]
	s_waitcnt vmcnt(52) lgkmcnt(0)
	v_mul_f64 v[129:130], v[9:10], v[29:30]
	v_add_f64 v[71:72], v[93:94], v[71:72]
	v_add_f64 v[13:14], v[13:14], v[33:34]
	s_clause 0x4
	buffer_load_dword v34, off, s[0:3], 0 offset:572
	buffer_load_dword v93, off, s[0:3], 0 offset:584
	;; [unrolled: 1-line block ×5, first 2 shown]
	v_mul_f64 v[29:30], v[11:12], v[29:30]
	s_waitcnt vmcnt(56)
	v_fma_f64 v[25:26], v[1:2], v[19:20], -v[25:26]
	ds_read_b128 v[5:8], v70 offset:1312
	v_fma_f64 v[19:20], v[3:4], v[19:20], v[109:110]
	v_add_f64 v[21:22], v[71:72], v[21:22]
	v_add_f64 v[13:14], v[13:14], v[27:28]
	s_clause 0x2
	buffer_load_dword v94, off, s[0:3], 0 offset:588
	buffer_load_dword v28, off, s[0:3], 0 offset:564
	;; [unrolled: 1-line block ×3, first 2 shown]
	s_waitcnt vmcnt(58) lgkmcnt(0)
	v_mul_f64 v[71:72], v[5:6], v[35:36]
	v_mul_f64 v[35:36], v[7:8], v[35:36]
	s_waitcnt vmcnt(56)
	v_fma_f64 v[29:30], v[9:10], v[37:38], -v[29:30]
	ds_read_b128 v[1:4], v70 offset:1328
	v_add_f64 v[21:22], v[21:22], v[25:26]
	v_fma_f64 v[25:26], v[11:12], v[37:38], v[129:130]
	v_add_f64 v[13:14], v[13:14], v[19:20]
	s_clause 0x4
	buffer_load_dword v20, off, s[0:3], 0 offset:604
	buffer_load_dword v37, off, s[0:3], 0 offset:616
	;; [unrolled: 1-line block ×5, first 2 shown]
	s_waitcnt vmcnt(57) lgkmcnt(0)
	v_mul_f64 v[129:130], v[1:2], v[39:40]
	v_mul_f64 v[39:40], v[3:4], v[39:40]
	s_waitcnt vmcnt(56)
	v_fma_f64 v[35:36], v[5:6], v[23:24], -v[35:36]
	ds_read_b128 v[9:12], v70 offset:1344
	v_fma_f64 v[23:24], v[7:8], v[23:24], v[71:72]
	v_add_f64 v[21:22], v[21:22], v[29:30]
	v_add_f64 v[13:14], v[13:14], v[25:26]
	s_clause 0x2
	buffer_load_dword v38, off, s[0:3], 0 offset:620
	buffer_load_dword v26, off, s[0:3], 0 offset:596
	;; [unrolled: 1-line block ×3, first 2 shown]
	ds_read_b128 v[5:8], v70 offset:1360
	s_waitcnt vmcnt(58) lgkmcnt(1)
	v_mul_f64 v[29:30], v[9:10], v[43:44]
	v_mul_f64 v[43:44], v[11:12], v[43:44]
	s_waitcnt vmcnt(56)
	v_fma_f64 v[39:40], v[1:2], v[45:46], -v[39:40]
	v_add_f64 v[21:22], v[21:22], v[35:36]
	v_fma_f64 v[35:36], v[3:4], v[45:46], v[129:130]
	v_add_f64 v[13:14], v[13:14], v[23:24]
	s_clause 0x4
	buffer_load_dword v24, off, s[0:3], 0 offset:636
	buffer_load_dword v45, off, s[0:3], 0 offset:648
	;; [unrolled: 1-line block ×5, first 2 shown]
	s_waitcnt vmcnt(57) lgkmcnt(0)
	v_mul_f64 v[129:130], v[5:6], v[47:48]
	v_mul_f64 v[47:48], v[7:8], v[47:48]
	s_waitcnt vmcnt(56)
	v_fma_f64 v[43:44], v[9:10], v[31:32], -v[43:44]
	ds_read_b128 v[1:4], v70 offset:1376
	v_fma_f64 v[29:30], v[11:12], v[31:32], v[29:30]
	s_clause 0x2
	buffer_load_dword v46, off, s[0:3], 0 offset:652
	buffer_load_dword v32, off, s[0:3], 0 offset:628
	;; [unrolled: 1-line block ×3, first 2 shown]
	ds_read_b128 v[9:12], v70 offset:1392
	v_add_f64 v[21:22], v[21:22], v[39:40]
	v_add_f64 v[13:14], v[13:14], v[35:36]
	s_waitcnt vmcnt(58) lgkmcnt(1)
	v_mul_f64 v[39:40], v[3:4], v[51:52]
	s_waitcnt vmcnt(56)
	v_fma_f64 v[47:48], v[5:6], v[53:54], -v[47:48]
	v_mul_f64 v[35:36], v[1:2], v[51:52]
	v_add_f64 v[21:22], v[21:22], v[43:44]
	v_fma_f64 v[43:44], v[7:8], v[53:54], v[129:130]
	v_add_f64 v[13:14], v[13:14], v[29:30]
	s_clause 0x4
	buffer_load_dword v30, off, s[0:3], 0 offset:668
	buffer_load_dword v51, off, s[0:3], 0 offset:680
	;; [unrolled: 1-line block ×5, first 2 shown]
	s_waitcnt vmcnt(57) lgkmcnt(0)
	v_mul_f64 v[129:130], v[9:10], v[55:56]
	v_mul_f64 v[54:55], v[11:12], v[55:56]
	s_waitcnt vmcnt(56)
	v_fma_f64 v[39:40], v[1:2], v[41:42], -v[39:40]
	ds_read_b128 v[5:8], v70 offset:1408
	v_fma_f64 v[35:36], v[3:4], v[41:42], v[35:36]
	s_clause 0x2
	buffer_load_dword v52, off, s[0:3], 0 offset:684
	buffer_load_dword v42, off, s[0:3], 0 offset:660
	;; [unrolled: 1-line block ×3, first 2 shown]
	ds_read_b128 v[1:4], v70 offset:1424
	v_add_f64 v[21:22], v[21:22], v[47:48]
	v_add_f64 v[13:14], v[13:14], v[43:44]
	s_waitcnt vmcnt(58) lgkmcnt(1)
	v_mul_f64 v[47:48], v[7:8], v[59:60]
	s_waitcnt vmcnt(56)
	v_fma_f64 v[55:56], v[9:10], v[61:62], -v[54:55]
	v_mul_f64 v[43:44], v[5:6], v[59:60]
	v_add_f64 v[21:22], v[21:22], v[39:40]
	v_fma_f64 v[39:40], v[11:12], v[61:62], v[129:130]
	v_add_f64 v[13:14], v[13:14], v[35:36]
	s_clause 0x4
	buffer_load_dword v36, off, s[0:3], 0 offset:700
	buffer_load_dword v59, off, s[0:3], 0 offset:712
	;; [unrolled: 1-line block ×5, first 2 shown]
	s_waitcnt vmcnt(57) lgkmcnt(0)
	v_mul_f64 v[129:130], v[1:2], v[63:64]
	v_mul_f64 v[62:63], v[3:4], v[63:64]
	s_waitcnt vmcnt(56)
	v_fma_f64 v[47:48], v[5:6], v[49:50], -v[47:48]
	ds_read_b128 v[9:12], v70 offset:1440
	v_fma_f64 v[43:44], v[7:8], v[49:50], v[43:44]
	v_add_f64 v[21:22], v[21:22], v[55:56]
	v_add_f64 v[13:14], v[13:14], v[39:40]
	s_clause 0x2
	buffer_load_dword v60, off, s[0:3], 0 offset:716
	buffer_load_dword v40, off, s[0:3], 0 offset:692
	;; [unrolled: 1-line block ×3, first 2 shown]
	ds_read_b128 v[5:8], v70 offset:1456
	s_waitcnt vmcnt(58) lgkmcnt(1)
	v_mul_f64 v[55:56], v[11:12], v[65:66]
	s_waitcnt vmcnt(56)
	v_fma_f64 v[63:64], v[1:2], v[67:68], -v[62:63]
	v_mul_f64 v[49:50], v[9:10], v[65:66]
	v_add_f64 v[21:22], v[21:22], v[47:48]
	v_fma_f64 v[47:48], v[3:4], v[67:68], v[129:130]
	v_add_f64 v[13:14], v[13:14], v[43:44]
	s_clause 0x4
	buffer_load_dword v44, off, s[0:3], 0 offset:732
	buffer_load_dword v65, off, s[0:3], 0 offset:744
	;; [unrolled: 1-line block ×5, first 2 shown]
	s_waitcnt vmcnt(57) lgkmcnt(0)
	v_mul_f64 v[129:130], v[5:6], v[95:96]
	v_mul_f64 v[95:96], v[7:8], v[95:96]
	s_waitcnt vmcnt(56)
	v_fma_f64 v[55:56], v[9:10], v[57:58], -v[55:56]
	ds_read_b128 v[1:4], v70 offset:1472
	v_fma_f64 v[49:50], v[11:12], v[57:58], v[49:50]
	v_add_f64 v[21:22], v[21:22], v[63:64]
	v_add_f64 v[13:14], v[13:14], v[47:48]
	s_clause 0x2
	buffer_load_dword v66, off, s[0:3], 0 offset:748
	buffer_load_dword v48, off, s[0:3], 0 offset:724
	;; [unrolled: 1-line block ×3, first 2 shown]
	ds_read_b128 v[9:12], v70 offset:1488
	s_waitcnt vmcnt(58) lgkmcnt(1)
	v_mul_f64 v[63:64], v[3:4], v[97:98]
	v_mul_f64 v[57:58], v[1:2], v[97:98]
	s_waitcnt vmcnt(56)
	v_fma_f64 v[95:96], v[5:6], v[17:18], -v[95:96]
	v_fma_f64 v[17:18], v[7:8], v[17:18], v[129:130]
	v_add_f64 v[21:22], v[21:22], v[55:56]
	v_add_f64 v[13:14], v[13:14], v[49:50]
	s_clause 0x4
	buffer_load_dword v50, off, s[0:3], 0 offset:764
	buffer_load_dword v55, off, s[0:3], 0 offset:776
	;; [unrolled: 1-line block ×5, first 2 shown]
	ds_read_b128 v[5:8], v70 offset:1504
	s_waitcnt vmcnt(57) lgkmcnt(1)
	v_mul_f64 v[129:130], v[9:10], v[15:16]
	v_mul_f64 v[15:16], v[11:12], v[15:16]
	s_waitcnt vmcnt(56)
	v_fma_f64 v[63:64], v[1:2], v[99:100], -v[63:64]
	v_fma_f64 v[57:58], v[3:4], v[99:100], v[57:58]
	v_add_f64 v[21:22], v[21:22], v[95:96]
	v_add_f64 v[13:14], v[13:14], v[17:18]
	s_clause 0x2
	buffer_load_dword v56, off, s[0:3], 0 offset:780
	buffer_load_dword v18, off, s[0:3], 0 offset:756
	;; [unrolled: 1-line block ×3, first 2 shown]
	s_waitcnt vmcnt(58) lgkmcnt(0)
	v_mul_f64 v[99:100], v[7:8], v[117:118]
	ds_read_b128 v[1:4], v70 offset:1520
	v_mul_f64 v[95:96], v[5:6], v[117:118]
	s_waitcnt vmcnt(56)
	v_fma_f64 v[15:16], v[9:10], v[73:74], -v[15:16]
	v_add_f64 v[21:22], v[21:22], v[63:64]
	v_fma_f64 v[63:64], v[11:12], v[73:74], v[129:130]
	v_add_f64 v[13:14], v[13:14], v[57:58]
	s_clause 0x4
	buffer_load_dword v58, off, s[0:3], 0 offset:796
	buffer_load_dword v73, off, s[0:3], 0 offset:808
	;; [unrolled: 1-line block ×5, first 2 shown]
	ds_read_b128 v[9:12], v70 offset:1536
	s_waitcnt vmcnt(57) lgkmcnt(1)
	v_mul_f64 v[129:130], v[1:2], v[33:34]
	v_mul_f64 v[33:34], v[3:4], v[33:34]
	s_waitcnt vmcnt(56)
	v_fma_f64 v[99:100], v[5:6], v[119:120], -v[99:100]
	v_add_f64 v[15:16], v[21:22], v[15:16]
	v_fma_f64 v[21:22], v[7:8], v[119:120], v[95:96]
	v_add_f64 v[13:14], v[13:14], v[63:64]
	s_clause 0x2
	buffer_load_dword v74, off, s[0:3], 0 offset:812
	buffer_load_dword v64, off, s[0:3], 0 offset:788
	;; [unrolled: 1-line block ×3, first 2 shown]
	ds_read_b128 v[5:8], v70 offset:1552
	s_waitcnt vmcnt(58) lgkmcnt(1)
	v_mul_f64 v[95:96], v[9:10], v[93:94]
	v_mul_f64 v[93:94], v[11:12], v[93:94]
	s_waitcnt vmcnt(56)
	v_fma_f64 v[33:34], v[1:2], v[27:28], -v[33:34]
	v_fma_f64 v[27:28], v[3:4], v[27:28], v[129:130]
	v_add_f64 v[15:16], v[15:16], v[99:100]
	v_add_f64 v[13:14], v[13:14], v[21:22]
	s_clause 0x4
	buffer_load_dword v22, off, s[0:3], 0 offset:828
	buffer_load_dword v99, off, s[0:3], 0 offset:840
	;; [unrolled: 1-line block ×5, first 2 shown]
	ds_read_b128 v[1:4], v70 offset:1568
	s_waitcnt vmcnt(57) lgkmcnt(1)
	v_mul_f64 v[129:130], v[5:6], v[19:20]
	v_mul_f64 v[19:20], v[7:8], v[19:20]
	s_waitcnt vmcnt(56)
	v_fma_f64 v[93:94], v[9:10], v[111:112], -v[93:94]
	v_add_f64 v[15:16], v[15:16], v[33:34]
	v_fma_f64 v[33:34], v[11:12], v[111:112], v[95:96]
	v_add_f64 v[13:14], v[13:14], v[27:28]
	s_clause 0x2
	buffer_load_dword v100, off, s[0:3], 0 offset:844
	buffer_load_dword v28, off, s[0:3], 0 offset:820
	;; [unrolled: 1-line block ×3, first 2 shown]
	ds_read_b128 v[9:12], v70 offset:1584
	s_waitcnt vmcnt(58) lgkmcnt(1)
	v_mul_f64 v[95:96], v[1:2], v[37:38]
	v_mul_f64 v[37:38], v[3:4], v[37:38]
	s_waitcnt vmcnt(56)
	v_fma_f64 v[19:20], v[5:6], v[25:26], -v[19:20]
	v_fma_f64 v[25:26], v[7:8], v[25:26], v[129:130]
	v_add_f64 v[15:16], v[15:16], v[93:94]
	v_add_f64 v[13:14], v[13:14], v[33:34]
	s_clause 0x4
	buffer_load_dword v34, off, s[0:3], 0 offset:860
	buffer_load_dword v93, off, s[0:3], 0 offset:872
	;; [unrolled: 1-line block ×5, first 2 shown]
	ds_read_b128 v[5:8], v70 offset:1600
	s_waitcnt vmcnt(57) lgkmcnt(1)
	v_mul_f64 v[129:130], v[9:10], v[23:24]
	v_mul_f64 v[23:24], v[11:12], v[23:24]
	s_waitcnt vmcnt(56)
	v_fma_f64 v[37:38], v[1:2], v[109:110], -v[37:38]
	v_add_f64 v[15:16], v[15:16], v[19:20]
	v_fma_f64 v[19:20], v[3:4], v[109:110], v[95:96]
	v_add_f64 v[13:14], v[13:14], v[25:26]
	s_clause 0x2
	buffer_load_dword v94, off, s[0:3], 0 offset:876
	buffer_load_dword v26, off, s[0:3], 0 offset:852
	;; [unrolled: 1-line block ×3, first 2 shown]
	s_waitcnt vmcnt(58) lgkmcnt(0)
	v_mul_f64 v[95:96], v[5:6], v[45:46]
	v_mul_f64 v[45:46], v[7:8], v[45:46]
	ds_read_b128 v[1:4], v70 offset:1616
	s_waitcnt vmcnt(56)
	v_fma_f64 v[23:24], v[9:10], v[31:32], -v[23:24]
	v_fma_f64 v[31:32], v[11:12], v[31:32], v[129:130]
	v_add_f64 v[15:16], v[15:16], v[37:38]
	v_add_f64 v[13:14], v[13:14], v[19:20]
	s_clause 0x4
	buffer_load_dword v20, off, s[0:3], 0 offset:892
	buffer_load_dword v37, off, s[0:3], 0 offset:904
	;; [unrolled: 1-line block ×5, first 2 shown]
	ds_read_b128 v[9:12], v70 offset:1632
	s_waitcnt vmcnt(57) lgkmcnt(1)
	v_mul_f64 v[129:130], v[1:2], v[29:30]
	v_mul_f64 v[29:30], v[3:4], v[29:30]
	s_waitcnt vmcnt(56)
	v_fma_f64 v[45:46], v[5:6], v[71:72], -v[45:46]
	v_add_f64 v[15:16], v[15:16], v[23:24]
	v_fma_f64 v[23:24], v[7:8], v[71:72], v[95:96]
	v_add_f64 v[13:14], v[13:14], v[31:32]
	s_clause 0x2
	buffer_load_dword v38, off, s[0:3], 0 offset:908
	buffer_load_dword v32, off, s[0:3], 0 offset:884
	buffer_load_dword v31, off, s[0:3], 0 offset:880
	s_waitcnt vmcnt(58) lgkmcnt(0)
	v_mul_f64 v[71:72], v[9:10], v[51:52]
	v_mul_f64 v[51:52], v[11:12], v[51:52]
	ds_read_b128 v[5:8], v70 offset:1648
	s_waitcnt vmcnt(56)
	v_fma_f64 v[29:30], v[1:2], v[41:42], -v[29:30]
	v_fma_f64 v[41:42], v[3:4], v[41:42], v[129:130]
	v_add_f64 v[15:16], v[15:16], v[45:46]
	v_add_f64 v[13:14], v[13:14], v[23:24]
	s_clause 0x4
	buffer_load_dword v24, off, s[0:3], 0 offset:924
	buffer_load_dword v45, off, s[0:3], 0 offset:936
	;; [unrolled: 1-line block ×5, first 2 shown]
	ds_read_b128 v[1:4], v70 offset:1664
	s_waitcnt vmcnt(57) lgkmcnt(1)
	v_mul_f64 v[129:130], v[5:6], v[35:36]
	v_mul_f64 v[35:36], v[7:8], v[35:36]
	s_waitcnt vmcnt(56)
	v_fma_f64 v[51:52], v[9:10], v[53:54], -v[51:52]
	v_add_f64 v[15:16], v[15:16], v[29:30]
	v_fma_f64 v[29:30], v[11:12], v[53:54], v[71:72]
	v_add_f64 v[13:14], v[13:14], v[41:42]
	s_clause 0x2
	buffer_load_dword v46, off, s[0:3], 0 offset:940
	buffer_load_dword v42, off, s[0:3], 0 offset:916
	;; [unrolled: 1-line block ×3, first 2 shown]
	ds_read_b128 v[9:12], v70 offset:1680
	s_waitcnt vmcnt(58) lgkmcnt(1)
	v_mul_f64 v[53:54], v[1:2], v[59:60]
	v_mul_f64 v[59:60], v[3:4], v[59:60]
	s_waitcnt vmcnt(56)
	v_fma_f64 v[35:36], v[5:6], v[39:40], -v[35:36]
	v_fma_f64 v[39:40], v[7:8], v[39:40], v[129:130]
	v_add_f64 v[15:16], v[15:16], v[51:52]
	v_add_f64 v[13:14], v[13:14], v[29:30]
	s_clause 0x4
	buffer_load_dword v30, off, s[0:3], 0 offset:956
	buffer_load_dword v51, off, s[0:3], 0 offset:968
	;; [unrolled: 1-line block ×5, first 2 shown]
	ds_read_b128 v[5:8], v70 offset:1696
	s_waitcnt vmcnt(57) lgkmcnt(1)
	v_mul_f64 v[129:130], v[9:10], v[43:44]
	v_mul_f64 v[43:44], v[11:12], v[43:44]
	s_waitcnt vmcnt(56)
	v_fma_f64 v[59:60], v[1:2], v[61:62], -v[59:60]
	v_add_f64 v[15:16], v[15:16], v[35:36]
	v_fma_f64 v[35:36], v[3:4], v[61:62], v[53:54]
	v_add_f64 v[13:14], v[13:14], v[39:40]
	s_clause 0x2
	buffer_load_dword v52, off, s[0:3], 0 offset:972
	buffer_load_dword v40, off, s[0:3], 0 offset:948
	;; [unrolled: 1-line block ×3, first 2 shown]
	ds_read_b128 v[1:4], v70 offset:1712
	s_waitcnt vmcnt(58) lgkmcnt(1)
	v_mul_f64 v[61:62], v[7:8], v[65:66]
	v_mul_f64 v[53:54], v[5:6], v[65:66]
	s_waitcnt vmcnt(56)
	v_fma_f64 v[43:44], v[9:10], v[47:48], -v[43:44]
	v_fma_f64 v[47:48], v[11:12], v[47:48], v[129:130]
	v_add_f64 v[15:16], v[15:16], v[59:60]
	v_add_f64 v[13:14], v[13:14], v[35:36]
	s_clause 0x2
	buffer_load_dword v36, off, s[0:3], 0 offset:988
	buffer_load_dword v35, off, s[0:3], 0 offset:984
	;; [unrolled: 1-line block ×3, first 2 shown]
	ds_read_b128 v[9:12], v70 offset:1728
	s_waitcnt vmcnt(55) lgkmcnt(1)
	v_mul_f64 v[59:60], v[1:2], v[49:50]
	v_mul_f64 v[49:50], v[3:4], v[49:50]
	s_waitcnt vmcnt(54)
	v_fma_f64 v[61:62], v[5:6], v[67:68], -v[61:62]
	v_add_f64 v[15:16], v[15:16], v[43:44]
	v_fma_f64 v[43:44], v[7:8], v[67:68], v[53:54]
	v_add_f64 v[13:14], v[13:14], v[47:48]
	s_clause 0x1
	buffer_load_dword v48, off, s[0:3], 0 offset:980
	buffer_load_dword v47, off, s[0:3], 0 offset:976
	ds_read_b128 v[5:8], v70 offset:1744
	s_waitcnt vmcnt(55) lgkmcnt(1)
	v_mul_f64 v[53:54], v[9:10], v[55:56]
	v_mul_f64 v[55:56], v[11:12], v[55:56]
	s_waitcnt vmcnt(53)
	v_fma_f64 v[49:50], v[1:2], v[17:18], -v[49:50]
	v_fma_f64 v[17:18], v[3:4], v[17:18], v[59:60]
	ds_read_b128 v[1:4], v70 offset:1760
	v_add_f64 v[15:16], v[15:16], v[61:62]
	v_add_f64 v[13:14], v[13:14], v[43:44]
	s_waitcnt vmcnt(49) lgkmcnt(1)
	v_mul_f64 v[43:44], v[5:6], v[57:58]
	v_mul_f64 v[57:58], v[7:8], v[57:58]
	s_waitcnt vmcnt(48)
	v_fma_f64 v[55:56], v[9:10], v[97:98], -v[55:56]
	v_add_f64 v[15:16], v[15:16], v[49:50]
	v_fma_f64 v[49:50], v[11:12], v[97:98], v[53:54]
	v_add_f64 v[13:14], v[13:14], v[17:18]
	s_clause 0x3
	buffer_load_dword v17, off, s[0:3], 0 offset:240
	buffer_load_dword v18, off, s[0:3], 0 offset:244
	;; [unrolled: 1-line block ×4, first 2 shown]
	ds_read_b128 v[9:12], v70 offset:1776
	s_waitcnt vmcnt(51) lgkmcnt(1)
	v_mul_f64 v[61:62], v[3:4], v[73:74]
	v_mul_f64 v[59:60], v[1:2], v[73:74]
	s_waitcnt vmcnt(49)
	v_fma_f64 v[57:58], v[5:6], v[63:64], -v[57:58]
	v_fma_f64 v[43:44], v[7:8], v[63:64], v[43:44]
	ds_read_b128 v[5:8], v70 offset:1792
	v_add_f64 v[15:16], v[15:16], v[55:56]
	v_add_f64 v[13:14], v[13:14], v[49:50]
	s_waitcnt vmcnt(45) lgkmcnt(1)
	v_mul_f64 v[49:50], v[9:10], v[21:22]
	v_mul_f64 v[21:22], v[11:12], v[21:22]
	s_waitcnt vmcnt(44)
	v_fma_f64 v[55:56], v[1:2], v[117:118], -v[61:62]
	v_add_f64 v[15:16], v[15:16], v[57:58]
	v_fma_f64 v[57:58], v[3:4], v[117:118], v[59:60]
	v_add_f64 v[13:14], v[13:14], v[43:44]
	ds_read_b128 v[1:4], v70 offset:1808
	s_waitcnt vmcnt(43) lgkmcnt(1)
	v_mul_f64 v[59:60], v[7:8], v[99:100]
	v_mul_f64 v[43:44], v[5:6], v[99:100]
	s_waitcnt vmcnt(41)
	v_fma_f64 v[21:22], v[9:10], v[27:28], -v[21:22]
	v_fma_f64 v[27:28], v[11:12], v[27:28], v[49:50]
	ds_read_b128 v[9:12], v70 offset:1824
	v_add_f64 v[15:16], v[15:16], v[55:56]
	v_add_f64 v[13:14], v[13:14], v[57:58]
	s_waitcnt vmcnt(37) lgkmcnt(1)
	v_mul_f64 v[49:50], v[1:2], v[33:34]
	v_mul_f64 v[33:34], v[3:4], v[33:34]
	s_waitcnt vmcnt(36)
	v_fma_f64 v[55:56], v[5:6], v[119:120], -v[59:60]
	v_add_f64 v[15:16], v[15:16], v[21:22]
	v_fma_f64 v[21:22], v[7:8], v[119:120], v[43:44]
	v_add_f64 v[13:14], v[13:14], v[27:28]
	ds_read_b128 v[5:8], v70 offset:1840
	s_waitcnt vmcnt(35) lgkmcnt(1)
	v_mul_f64 v[43:44], v[11:12], v[93:94]
	v_mul_f64 v[27:28], v[9:10], v[93:94]
	s_waitcnt vmcnt(33)
	v_fma_f64 v[33:34], v[1:2], v[25:26], -v[33:34]
	v_fma_f64 v[25:26], v[3:4], v[25:26], v[49:50]
	ds_read_b128 v[1:4], v70 offset:1856
	v_add_f64 v[15:16], v[15:16], v[55:56]
	v_add_f64 v[13:14], v[13:14], v[21:22]
	s_waitcnt vmcnt(29) lgkmcnt(1)
	v_mul_f64 v[21:22], v[5:6], v[19:20]
	v_mul_f64 v[19:20], v[7:8], v[19:20]
	s_waitcnt vmcnt(28)
	v_fma_f64 v[43:44], v[9:10], v[111:112], -v[43:44]
	v_fma_f64 v[27:28], v[11:12], v[111:112], v[27:28]
	ds_read_b128 v[9:12], v70 offset:1872
	v_add_f64 v[15:16], v[15:16], v[33:34]
	v_add_f64 v[13:14], v[13:14], v[25:26]
	;; [unrolled: 9-line block ×3, first 2 shown]
	s_waitcnt vmcnt(21) lgkmcnt(1)
	v_mul_f64 v[27:28], v[9:10], v[23:24]
	v_mul_f64 v[23:24], v[11:12], v[23:24]
	s_waitcnt vmcnt(20)
	v_fma_f64 v[31:32], v[1:2], v[109:110], -v[33:34]
	v_add_f64 v[15:16], v[15:16], v[19:20]
	v_fma_f64 v[19:20], v[3:4], v[109:110], v[25:26]
	v_add_f64 v[13:14], v[13:14], v[21:22]
	ds_read_b128 v[1:4], v70 offset:1904
	s_waitcnt vmcnt(19) lgkmcnt(1)
	v_mul_f64 v[25:26], v[7:8], v[45:46]
	v_mul_f64 v[21:22], v[5:6], v[45:46]
	s_waitcnt vmcnt(17)
	v_fma_f64 v[23:24], v[9:10], v[41:42], -v[23:24]
	v_fma_f64 v[27:28], v[11:12], v[41:42], v[27:28]
	ds_read_b128 v[9:12], v70 offset:1920
	v_add_f64 v[15:16], v[15:16], v[31:32]
	v_add_f64 v[13:14], v[13:14], v[19:20]
	s_waitcnt vmcnt(13) lgkmcnt(1)
	v_mul_f64 v[19:20], v[1:2], v[29:30]
	v_mul_f64 v[29:30], v[3:4], v[29:30]
	s_waitcnt vmcnt(12)
	v_fma_f64 v[25:26], v[5:6], v[95:96], -v[25:26]
	v_fma_f64 v[21:22], v[7:8], v[95:96], v[21:22]
	ds_read_b128 v[5:8], v70 offset:1936
	v_add_f64 v[15:16], v[15:16], v[23:24]
	v_add_f64 v[13:14], v[13:14], v[27:28]
	s_waitcnt vmcnt(11) lgkmcnt(1)
	v_mul_f64 v[27:28], v[11:12], v[51:52]
	v_mul_f64 v[23:24], v[9:10], v[51:52]
	s_waitcnt vmcnt(9)
	v_fma_f64 v[1:2], v[1:2], v[39:40], -v[29:30]
	v_fma_f64 v[3:4], v[3:4], v[39:40], v[19:20]
	v_add_f64 v[15:16], v[15:16], v[25:26]
	v_add_f64 v[13:14], v[13:14], v[21:22]
	s_waitcnt vmcnt(7) lgkmcnt(0)
	v_mul_f64 v[21:22], v[7:8], v[35:36]
	s_waitcnt vmcnt(6)
	v_fma_f64 v[9:10], v[9:10], v[71:72], -v[27:28]
	v_mul_f64 v[19:20], v[5:6], v[35:36]
	v_fma_f64 v[11:12], v[11:12], v[71:72], v[23:24]
	v_add_f64 v[1:2], v[15:16], v[1:2]
	v_add_f64 v[3:4], v[13:14], v[3:4]
	s_waitcnt vmcnt(4)
	v_fma_f64 v[5:6], v[5:6], v[47:48], -v[21:22]
	v_fma_f64 v[7:8], v[7:8], v[47:48], v[19:20]
	v_add_f64 v[1:2], v[1:2], v[9:10]
	v_add_f64 v[3:4], v[3:4], v[11:12]
	;; [unrolled: 1-line block ×4, first 2 shown]
	s_waitcnt vmcnt(2)
	v_add_f64 v[1:2], v[17:18], -v[1:2]
	s_waitcnt vmcnt(0)
	v_add_f64 v[3:4], v[53:54], -v[3:4]
	buffer_store_dword v2, off, s[0:3], 0 offset:244
	buffer_store_dword v1, off, s[0:3], 0 offset:240
	;; [unrolled: 1-line block ×4, first 2 shown]
	v_cmpx_lt_u32_e32 13, v0
	s_cbranch_execz .LBB60_365
; %bb.364:
	v_mov_b32_e32 v4, s68
	v_mov_b32_e32 v5, 0
	s_clause 0x3
	buffer_load_dword v1, v4, s[0:3], 0 offen
	buffer_load_dword v2, v4, s[0:3], 0 offen offset:4
	buffer_load_dword v3, v4, s[0:3], 0 offen offset:8
	;; [unrolled: 1-line block ×3, first 2 shown]
	buffer_store_dword v5, off, s[0:3], 0 offset:224
	buffer_store_dword v5, off, s[0:3], 0 offset:228
	;; [unrolled: 1-line block ×4, first 2 shown]
	s_waitcnt vmcnt(0)
	ds_write_b128 v69, v[1:4]
.LBB60_365:
	s_or_b32 exec_lo, exec_lo, s4
	s_waitcnt lgkmcnt(0)
	s_waitcnt_vscnt null, 0x0
	s_barrier
	buffer_gl0_inv
	s_clause 0x37
	buffer_load_dword v17, off, s[0:3], 0 offset:248
	buffer_load_dword v18, off, s[0:3], 0 offset:252
	;; [unrolled: 1-line block ×56, first 2 shown]
	v_mov_b32_e32 v70, 0
	s_mov_b32 s4, exec_lo
	ds_read_b128 v[5:8], v70 offset:1200
	s_clause 0x2
	buffer_load_dword v66, off, s[0:3], 0 offset:476
	buffer_load_dword v68, off, s[0:3], 0 offset:452
	;; [unrolled: 1-line block ×3, first 2 shown]
	ds_read_b128 v[1:4], v70 offset:1216
	s_clause 0x4
	buffer_load_dword v96, off, s[0:3], 0 offset:492
	buffer_load_dword v97, off, s[0:3], 0 offset:504
	buffer_load_dword v99, off, s[0:3], 0 offset:496
	buffer_load_dword v95, off, s[0:3], 0 offset:488
	buffer_load_dword v58, off, s[0:3], 0 offset:468
	ds_read_b128 v[71:74], v70 offset:1232
	s_waitcnt vmcnt(62) lgkmcnt(2)
	v_mul_f64 v[93:94], v[7:8], v[17:18]
	v_mul_f64 v[17:18], v[5:6], v[17:18]
	s_waitcnt vmcnt(60) lgkmcnt(1)
	v_mul_f64 v[109:110], v[3:4], v[13:14]
	v_mul_f64 v[13:14], v[1:2], v[13:14]
	;; [unrolled: 3-line block ×3, first 2 shown]
	v_fma_f64 v[93:94], v[5:6], v[15:16], -v[93:94]
	v_fma_f64 v[15:16], v[7:8], v[15:16], v[17:18]
	s_clause 0x2
	buffer_load_dword v98, off, s[0:3], 0 offset:508
	buffer_load_dword v18, off, s[0:3], 0 offset:484
	;; [unrolled: 1-line block ×3, first 2 shown]
	s_waitcnt vmcnt(57)
	v_fma_f64 v[109:110], v[1:2], v[9:10], -v[109:110]
	ds_read_b128 v[5:8], v70 offset:1248
	v_fma_f64 v[9:10], v[3:4], v[9:10], v[13:14]
	s_waitcnt vmcnt(51)
	v_fma_f64 v[71:72], v[71:72], v[33:34], -v[11:12]
	v_fma_f64 v[33:34], v[73:74], v[33:34], v[111:112]
	v_add_f64 v[93:94], v[93:94], 0
	v_add_f64 v[13:14], v[15:16], 0
	s_clause 0x4
	buffer_load_dword v16, off, s[0:3], 0 offset:524
	buffer_load_dword v117, off, s[0:3], 0 offset:536
	;; [unrolled: 1-line block ×5, first 2 shown]
	s_waitcnt lgkmcnt(0)
	v_mul_f64 v[129:130], v[5:6], v[21:22]
	v_mul_f64 v[21:22], v[7:8], v[21:22]
	ds_read_b128 v[1:4], v70 offset:1264
	s_clause 0x2
	buffer_load_dword v118, off, s[0:3], 0 offset:540
	buffer_load_dword v74, off, s[0:3], 0 offset:516
	;; [unrolled: 1-line block ×3, first 2 shown]
	v_add_f64 v[93:94], v[93:94], v[109:110]
	v_add_f64 v[13:14], v[13:14], v[9:10]
	ds_read_b128 v[9:12], v70 offset:1280
	s_waitcnt vmcnt(58) lgkmcnt(1)
	v_mul_f64 v[109:110], v[1:2], v[25:26]
	v_mul_f64 v[25:26], v[3:4], v[25:26]
	s_waitcnt vmcnt(56)
	v_fma_f64 v[21:22], v[5:6], v[27:28], -v[21:22]
	v_fma_f64 v[27:28], v[7:8], v[27:28], v[129:130]
	s_waitcnt vmcnt(52) lgkmcnt(0)
	v_mul_f64 v[129:130], v[9:10], v[29:30]
	v_add_f64 v[71:72], v[93:94], v[71:72]
	v_add_f64 v[13:14], v[13:14], v[33:34]
	s_clause 0x4
	buffer_load_dword v34, off, s[0:3], 0 offset:556
	buffer_load_dword v93, off, s[0:3], 0 offset:568
	;; [unrolled: 1-line block ×5, first 2 shown]
	v_mul_f64 v[29:30], v[11:12], v[29:30]
	s_waitcnt vmcnt(56)
	v_fma_f64 v[25:26], v[1:2], v[19:20], -v[25:26]
	ds_read_b128 v[5:8], v70 offset:1296
	v_fma_f64 v[19:20], v[3:4], v[19:20], v[109:110]
	v_add_f64 v[21:22], v[71:72], v[21:22]
	v_add_f64 v[13:14], v[13:14], v[27:28]
	s_clause 0x2
	buffer_load_dword v94, off, s[0:3], 0 offset:572
	buffer_load_dword v28, off, s[0:3], 0 offset:548
	;; [unrolled: 1-line block ×3, first 2 shown]
	s_waitcnt vmcnt(58) lgkmcnt(0)
	v_mul_f64 v[71:72], v[5:6], v[35:36]
	v_mul_f64 v[35:36], v[7:8], v[35:36]
	s_waitcnt vmcnt(56)
	v_fma_f64 v[29:30], v[9:10], v[37:38], -v[29:30]
	ds_read_b128 v[1:4], v70 offset:1312
	v_add_f64 v[21:22], v[21:22], v[25:26]
	v_fma_f64 v[25:26], v[11:12], v[37:38], v[129:130]
	v_add_f64 v[13:14], v[13:14], v[19:20]
	s_clause 0x4
	buffer_load_dword v20, off, s[0:3], 0 offset:588
	buffer_load_dword v37, off, s[0:3], 0 offset:600
	;; [unrolled: 1-line block ×5, first 2 shown]
	s_waitcnt vmcnt(57) lgkmcnt(0)
	v_mul_f64 v[129:130], v[1:2], v[39:40]
	v_mul_f64 v[39:40], v[3:4], v[39:40]
	s_waitcnt vmcnt(56)
	v_fma_f64 v[35:36], v[5:6], v[23:24], -v[35:36]
	ds_read_b128 v[9:12], v70 offset:1328
	v_fma_f64 v[23:24], v[7:8], v[23:24], v[71:72]
	v_add_f64 v[21:22], v[21:22], v[29:30]
	v_add_f64 v[13:14], v[13:14], v[25:26]
	s_clause 0x2
	buffer_load_dword v38, off, s[0:3], 0 offset:604
	buffer_load_dword v26, off, s[0:3], 0 offset:580
	;; [unrolled: 1-line block ×3, first 2 shown]
	ds_read_b128 v[5:8], v70 offset:1344
	s_waitcnt vmcnt(58) lgkmcnt(1)
	v_mul_f64 v[29:30], v[9:10], v[43:44]
	v_mul_f64 v[43:44], v[11:12], v[43:44]
	s_waitcnt vmcnt(56)
	v_fma_f64 v[39:40], v[1:2], v[45:46], -v[39:40]
	v_add_f64 v[21:22], v[21:22], v[35:36]
	v_fma_f64 v[35:36], v[3:4], v[45:46], v[129:130]
	v_add_f64 v[13:14], v[13:14], v[23:24]
	s_clause 0x4
	buffer_load_dword v24, off, s[0:3], 0 offset:620
	buffer_load_dword v45, off, s[0:3], 0 offset:632
	;; [unrolled: 1-line block ×5, first 2 shown]
	s_waitcnt vmcnt(57) lgkmcnt(0)
	v_mul_f64 v[129:130], v[5:6], v[47:48]
	v_mul_f64 v[47:48], v[7:8], v[47:48]
	s_waitcnt vmcnt(56)
	v_fma_f64 v[43:44], v[9:10], v[31:32], -v[43:44]
	ds_read_b128 v[1:4], v70 offset:1360
	v_fma_f64 v[29:30], v[11:12], v[31:32], v[29:30]
	s_clause 0x2
	buffer_load_dword v46, off, s[0:3], 0 offset:636
	buffer_load_dword v32, off, s[0:3], 0 offset:612
	;; [unrolled: 1-line block ×3, first 2 shown]
	ds_read_b128 v[9:12], v70 offset:1376
	v_add_f64 v[21:22], v[21:22], v[39:40]
	v_add_f64 v[13:14], v[13:14], v[35:36]
	s_waitcnt vmcnt(58) lgkmcnt(1)
	v_mul_f64 v[39:40], v[3:4], v[51:52]
	s_waitcnt vmcnt(56)
	v_fma_f64 v[47:48], v[5:6], v[53:54], -v[47:48]
	v_mul_f64 v[35:36], v[1:2], v[51:52]
	v_add_f64 v[21:22], v[21:22], v[43:44]
	v_fma_f64 v[43:44], v[7:8], v[53:54], v[129:130]
	v_add_f64 v[13:14], v[13:14], v[29:30]
	s_clause 0x4
	buffer_load_dword v30, off, s[0:3], 0 offset:652
	buffer_load_dword v51, off, s[0:3], 0 offset:664
	;; [unrolled: 1-line block ×5, first 2 shown]
	s_waitcnt vmcnt(57) lgkmcnt(0)
	v_mul_f64 v[129:130], v[9:10], v[55:56]
	v_mul_f64 v[54:55], v[11:12], v[55:56]
	s_waitcnt vmcnt(56)
	v_fma_f64 v[39:40], v[1:2], v[41:42], -v[39:40]
	ds_read_b128 v[5:8], v70 offset:1392
	v_fma_f64 v[35:36], v[3:4], v[41:42], v[35:36]
	s_clause 0x2
	buffer_load_dword v52, off, s[0:3], 0 offset:668
	buffer_load_dword v42, off, s[0:3], 0 offset:644
	;; [unrolled: 1-line block ×3, first 2 shown]
	ds_read_b128 v[1:4], v70 offset:1408
	v_add_f64 v[21:22], v[21:22], v[47:48]
	v_add_f64 v[13:14], v[13:14], v[43:44]
	s_waitcnt vmcnt(58) lgkmcnt(1)
	v_mul_f64 v[47:48], v[7:8], v[59:60]
	s_waitcnt vmcnt(56)
	v_fma_f64 v[55:56], v[9:10], v[61:62], -v[54:55]
	v_mul_f64 v[43:44], v[5:6], v[59:60]
	v_add_f64 v[21:22], v[21:22], v[39:40]
	v_fma_f64 v[39:40], v[11:12], v[61:62], v[129:130]
	v_add_f64 v[13:14], v[13:14], v[35:36]
	s_clause 0x4
	buffer_load_dword v36, off, s[0:3], 0 offset:684
	buffer_load_dword v59, off, s[0:3], 0 offset:696
	;; [unrolled: 1-line block ×5, first 2 shown]
	s_waitcnt vmcnt(57) lgkmcnt(0)
	v_mul_f64 v[129:130], v[1:2], v[63:64]
	v_mul_f64 v[62:63], v[3:4], v[63:64]
	s_waitcnt vmcnt(56)
	v_fma_f64 v[47:48], v[5:6], v[49:50], -v[47:48]
	ds_read_b128 v[9:12], v70 offset:1424
	v_fma_f64 v[43:44], v[7:8], v[49:50], v[43:44]
	v_add_f64 v[21:22], v[21:22], v[55:56]
	v_add_f64 v[13:14], v[13:14], v[39:40]
	s_clause 0x2
	buffer_load_dword v60, off, s[0:3], 0 offset:700
	buffer_load_dword v40, off, s[0:3], 0 offset:676
	;; [unrolled: 1-line block ×3, first 2 shown]
	ds_read_b128 v[5:8], v70 offset:1440
	s_waitcnt vmcnt(58) lgkmcnt(1)
	v_mul_f64 v[55:56], v[11:12], v[65:66]
	s_waitcnt vmcnt(56)
	v_fma_f64 v[63:64], v[1:2], v[67:68], -v[62:63]
	v_mul_f64 v[49:50], v[9:10], v[65:66]
	v_add_f64 v[21:22], v[21:22], v[47:48]
	v_fma_f64 v[47:48], v[3:4], v[67:68], v[129:130]
	v_add_f64 v[13:14], v[13:14], v[43:44]
	s_clause 0x4
	buffer_load_dword v44, off, s[0:3], 0 offset:716
	buffer_load_dword v65, off, s[0:3], 0 offset:728
	;; [unrolled: 1-line block ×5, first 2 shown]
	s_waitcnt vmcnt(57) lgkmcnt(0)
	v_mul_f64 v[129:130], v[5:6], v[95:96]
	v_mul_f64 v[95:96], v[7:8], v[95:96]
	s_waitcnt vmcnt(56)
	v_fma_f64 v[55:56], v[9:10], v[57:58], -v[55:56]
	ds_read_b128 v[1:4], v70 offset:1456
	v_fma_f64 v[49:50], v[11:12], v[57:58], v[49:50]
	v_add_f64 v[21:22], v[21:22], v[63:64]
	v_add_f64 v[13:14], v[13:14], v[47:48]
	s_clause 0x2
	buffer_load_dword v66, off, s[0:3], 0 offset:732
	buffer_load_dword v48, off, s[0:3], 0 offset:708
	;; [unrolled: 1-line block ×3, first 2 shown]
	ds_read_b128 v[9:12], v70 offset:1472
	s_waitcnt vmcnt(58) lgkmcnt(1)
	v_mul_f64 v[63:64], v[3:4], v[97:98]
	v_mul_f64 v[57:58], v[1:2], v[97:98]
	s_waitcnt vmcnt(56)
	v_fma_f64 v[95:96], v[5:6], v[17:18], -v[95:96]
	v_fma_f64 v[17:18], v[7:8], v[17:18], v[129:130]
	v_add_f64 v[21:22], v[21:22], v[55:56]
	v_add_f64 v[13:14], v[13:14], v[49:50]
	s_clause 0x4
	buffer_load_dword v50, off, s[0:3], 0 offset:748
	buffer_load_dword v55, off, s[0:3], 0 offset:760
	;; [unrolled: 1-line block ×5, first 2 shown]
	ds_read_b128 v[5:8], v70 offset:1488
	s_waitcnt vmcnt(57) lgkmcnt(1)
	v_mul_f64 v[129:130], v[9:10], v[15:16]
	v_mul_f64 v[15:16], v[11:12], v[15:16]
	s_waitcnt vmcnt(56)
	v_fma_f64 v[63:64], v[1:2], v[99:100], -v[63:64]
	v_fma_f64 v[57:58], v[3:4], v[99:100], v[57:58]
	v_add_f64 v[21:22], v[21:22], v[95:96]
	v_add_f64 v[13:14], v[13:14], v[17:18]
	s_clause 0x2
	buffer_load_dword v56, off, s[0:3], 0 offset:764
	buffer_load_dword v18, off, s[0:3], 0 offset:740
	;; [unrolled: 1-line block ×3, first 2 shown]
	s_waitcnt vmcnt(58) lgkmcnt(0)
	v_mul_f64 v[99:100], v[7:8], v[117:118]
	ds_read_b128 v[1:4], v70 offset:1504
	v_mul_f64 v[95:96], v[5:6], v[117:118]
	s_waitcnt vmcnt(56)
	v_fma_f64 v[15:16], v[9:10], v[73:74], -v[15:16]
	v_add_f64 v[21:22], v[21:22], v[63:64]
	v_fma_f64 v[63:64], v[11:12], v[73:74], v[129:130]
	v_add_f64 v[13:14], v[13:14], v[57:58]
	s_clause 0x4
	buffer_load_dword v58, off, s[0:3], 0 offset:780
	buffer_load_dword v73, off, s[0:3], 0 offset:792
	;; [unrolled: 1-line block ×5, first 2 shown]
	ds_read_b128 v[9:12], v70 offset:1520
	s_waitcnt vmcnt(57) lgkmcnt(1)
	v_mul_f64 v[129:130], v[1:2], v[33:34]
	v_mul_f64 v[33:34], v[3:4], v[33:34]
	s_waitcnt vmcnt(56)
	v_fma_f64 v[99:100], v[5:6], v[119:120], -v[99:100]
	v_add_f64 v[15:16], v[21:22], v[15:16]
	v_fma_f64 v[21:22], v[7:8], v[119:120], v[95:96]
	v_add_f64 v[13:14], v[13:14], v[63:64]
	s_clause 0x2
	buffer_load_dword v74, off, s[0:3], 0 offset:796
	buffer_load_dword v64, off, s[0:3], 0 offset:772
	buffer_load_dword v63, off, s[0:3], 0 offset:768
	ds_read_b128 v[5:8], v70 offset:1536
	s_waitcnt vmcnt(58) lgkmcnt(1)
	v_mul_f64 v[95:96], v[9:10], v[93:94]
	v_mul_f64 v[93:94], v[11:12], v[93:94]
	s_waitcnt vmcnt(56)
	v_fma_f64 v[33:34], v[1:2], v[27:28], -v[33:34]
	v_fma_f64 v[27:28], v[3:4], v[27:28], v[129:130]
	v_add_f64 v[15:16], v[15:16], v[99:100]
	v_add_f64 v[13:14], v[13:14], v[21:22]
	s_clause 0x4
	buffer_load_dword v22, off, s[0:3], 0 offset:812
	buffer_load_dword v99, off, s[0:3], 0 offset:824
	;; [unrolled: 1-line block ×5, first 2 shown]
	ds_read_b128 v[1:4], v70 offset:1552
	s_waitcnt vmcnt(57) lgkmcnt(1)
	v_mul_f64 v[129:130], v[5:6], v[19:20]
	v_mul_f64 v[19:20], v[7:8], v[19:20]
	s_waitcnt vmcnt(56)
	v_fma_f64 v[93:94], v[9:10], v[111:112], -v[93:94]
	v_add_f64 v[15:16], v[15:16], v[33:34]
	v_fma_f64 v[33:34], v[11:12], v[111:112], v[95:96]
	v_add_f64 v[13:14], v[13:14], v[27:28]
	s_clause 0x2
	buffer_load_dword v100, off, s[0:3], 0 offset:828
	buffer_load_dword v28, off, s[0:3], 0 offset:804
	;; [unrolled: 1-line block ×3, first 2 shown]
	ds_read_b128 v[9:12], v70 offset:1568
	s_waitcnt vmcnt(58) lgkmcnt(1)
	v_mul_f64 v[95:96], v[1:2], v[37:38]
	v_mul_f64 v[37:38], v[3:4], v[37:38]
	s_waitcnt vmcnt(56)
	v_fma_f64 v[19:20], v[5:6], v[25:26], -v[19:20]
	v_fma_f64 v[25:26], v[7:8], v[25:26], v[129:130]
	v_add_f64 v[15:16], v[15:16], v[93:94]
	v_add_f64 v[13:14], v[13:14], v[33:34]
	s_clause 0x4
	buffer_load_dword v34, off, s[0:3], 0 offset:844
	buffer_load_dword v93, off, s[0:3], 0 offset:856
	;; [unrolled: 1-line block ×5, first 2 shown]
	ds_read_b128 v[5:8], v70 offset:1584
	s_waitcnt vmcnt(57) lgkmcnt(1)
	v_mul_f64 v[129:130], v[9:10], v[23:24]
	v_mul_f64 v[23:24], v[11:12], v[23:24]
	s_waitcnt vmcnt(56)
	v_fma_f64 v[37:38], v[1:2], v[109:110], -v[37:38]
	v_add_f64 v[15:16], v[15:16], v[19:20]
	v_fma_f64 v[19:20], v[3:4], v[109:110], v[95:96]
	v_add_f64 v[13:14], v[13:14], v[25:26]
	s_clause 0x2
	buffer_load_dword v94, off, s[0:3], 0 offset:860
	buffer_load_dword v26, off, s[0:3], 0 offset:836
	;; [unrolled: 1-line block ×3, first 2 shown]
	s_waitcnt vmcnt(58) lgkmcnt(0)
	v_mul_f64 v[95:96], v[5:6], v[45:46]
	v_mul_f64 v[45:46], v[7:8], v[45:46]
	ds_read_b128 v[1:4], v70 offset:1600
	s_waitcnt vmcnt(56)
	v_fma_f64 v[23:24], v[9:10], v[31:32], -v[23:24]
	v_fma_f64 v[31:32], v[11:12], v[31:32], v[129:130]
	v_add_f64 v[15:16], v[15:16], v[37:38]
	v_add_f64 v[13:14], v[13:14], v[19:20]
	s_clause 0x4
	buffer_load_dword v20, off, s[0:3], 0 offset:876
	buffer_load_dword v37, off, s[0:3], 0 offset:888
	;; [unrolled: 1-line block ×5, first 2 shown]
	ds_read_b128 v[9:12], v70 offset:1616
	s_waitcnt vmcnt(57) lgkmcnt(1)
	v_mul_f64 v[129:130], v[1:2], v[29:30]
	v_mul_f64 v[29:30], v[3:4], v[29:30]
	s_waitcnt vmcnt(56)
	v_fma_f64 v[45:46], v[5:6], v[71:72], -v[45:46]
	v_add_f64 v[15:16], v[15:16], v[23:24]
	v_fma_f64 v[23:24], v[7:8], v[71:72], v[95:96]
	v_add_f64 v[13:14], v[13:14], v[31:32]
	s_clause 0x2
	buffer_load_dword v38, off, s[0:3], 0 offset:892
	buffer_load_dword v32, off, s[0:3], 0 offset:868
	;; [unrolled: 1-line block ×3, first 2 shown]
	s_waitcnt vmcnt(58) lgkmcnt(0)
	v_mul_f64 v[71:72], v[9:10], v[51:52]
	v_mul_f64 v[51:52], v[11:12], v[51:52]
	ds_read_b128 v[5:8], v70 offset:1632
	s_waitcnt vmcnt(56)
	v_fma_f64 v[29:30], v[1:2], v[41:42], -v[29:30]
	v_fma_f64 v[41:42], v[3:4], v[41:42], v[129:130]
	v_add_f64 v[15:16], v[15:16], v[45:46]
	v_add_f64 v[13:14], v[13:14], v[23:24]
	s_clause 0x4
	buffer_load_dword v24, off, s[0:3], 0 offset:908
	buffer_load_dword v45, off, s[0:3], 0 offset:920
	;; [unrolled: 1-line block ×5, first 2 shown]
	ds_read_b128 v[1:4], v70 offset:1648
	s_waitcnt vmcnt(57) lgkmcnt(1)
	v_mul_f64 v[129:130], v[5:6], v[35:36]
	v_mul_f64 v[35:36], v[7:8], v[35:36]
	s_waitcnt vmcnt(56)
	v_fma_f64 v[51:52], v[9:10], v[53:54], -v[51:52]
	v_add_f64 v[15:16], v[15:16], v[29:30]
	v_fma_f64 v[29:30], v[11:12], v[53:54], v[71:72]
	v_add_f64 v[13:14], v[13:14], v[41:42]
	s_clause 0x2
	buffer_load_dword v46, off, s[0:3], 0 offset:924
	buffer_load_dword v42, off, s[0:3], 0 offset:900
	;; [unrolled: 1-line block ×3, first 2 shown]
	ds_read_b128 v[9:12], v70 offset:1664
	s_waitcnt vmcnt(58) lgkmcnt(1)
	v_mul_f64 v[53:54], v[1:2], v[59:60]
	v_mul_f64 v[59:60], v[3:4], v[59:60]
	s_waitcnt vmcnt(56)
	v_fma_f64 v[35:36], v[5:6], v[39:40], -v[35:36]
	v_fma_f64 v[39:40], v[7:8], v[39:40], v[129:130]
	v_add_f64 v[15:16], v[15:16], v[51:52]
	v_add_f64 v[13:14], v[13:14], v[29:30]
	s_clause 0x4
	buffer_load_dword v30, off, s[0:3], 0 offset:940
	buffer_load_dword v51, off, s[0:3], 0 offset:952
	;; [unrolled: 1-line block ×5, first 2 shown]
	ds_read_b128 v[5:8], v70 offset:1680
	s_waitcnt vmcnt(57) lgkmcnt(1)
	v_mul_f64 v[129:130], v[9:10], v[43:44]
	v_mul_f64 v[43:44], v[11:12], v[43:44]
	s_waitcnt vmcnt(56)
	v_fma_f64 v[59:60], v[1:2], v[61:62], -v[59:60]
	v_add_f64 v[15:16], v[15:16], v[35:36]
	v_fma_f64 v[35:36], v[3:4], v[61:62], v[53:54]
	v_add_f64 v[13:14], v[13:14], v[39:40]
	s_clause 0x2
	buffer_load_dword v52, off, s[0:3], 0 offset:956
	buffer_load_dword v40, off, s[0:3], 0 offset:932
	;; [unrolled: 1-line block ×3, first 2 shown]
	ds_read_b128 v[1:4], v70 offset:1696
	s_waitcnt vmcnt(58) lgkmcnt(1)
	v_mul_f64 v[61:62], v[7:8], v[65:66]
	v_mul_f64 v[53:54], v[5:6], v[65:66]
	s_waitcnt vmcnt(56)
	v_fma_f64 v[43:44], v[9:10], v[47:48], -v[43:44]
	v_fma_f64 v[47:48], v[11:12], v[47:48], v[129:130]
	v_add_f64 v[15:16], v[15:16], v[59:60]
	v_add_f64 v[13:14], v[13:14], v[35:36]
	s_clause 0x4
	buffer_load_dword v36, off, s[0:3], 0 offset:972
	buffer_load_dword v59, off, s[0:3], 0 offset:984
	;; [unrolled: 1-line block ×5, first 2 shown]
	ds_read_b128 v[9:12], v70 offset:1712
	s_waitcnt vmcnt(57) lgkmcnt(1)
	v_mul_f64 v[129:130], v[1:2], v[49:50]
	v_mul_f64 v[49:50], v[3:4], v[49:50]
	s_waitcnt vmcnt(56)
	v_fma_f64 v[61:62], v[5:6], v[67:68], -v[61:62]
	v_add_f64 v[15:16], v[15:16], v[43:44]
	v_fma_f64 v[43:44], v[7:8], v[67:68], v[53:54]
	v_add_f64 v[13:14], v[13:14], v[47:48]
	s_clause 0x2
	buffer_load_dword v60, off, s[0:3], 0 offset:988
	buffer_load_dword v48, off, s[0:3], 0 offset:964
	;; [unrolled: 1-line block ×3, first 2 shown]
	ds_read_b128 v[5:8], v70 offset:1728
	buffer_load_dword v66, off, s[0:3], 0 offset:980
	s_waitcnt vmcnt(59) lgkmcnt(1)
	v_mul_f64 v[53:54], v[9:10], v[55:56]
	v_mul_f64 v[55:56], v[11:12], v[55:56]
	s_waitcnt vmcnt(57)
	v_fma_f64 v[49:50], v[1:2], v[17:18], -v[49:50]
	v_fma_f64 v[17:18], v[3:4], v[17:18], v[129:130]
	ds_read_b128 v[1:4], v70 offset:1744
	v_add_f64 v[15:16], v[15:16], v[61:62]
	v_add_f64 v[13:14], v[13:14], v[43:44]
	s_waitcnt vmcnt(53) lgkmcnt(1)
	v_mul_f64 v[43:44], v[5:6], v[57:58]
	v_mul_f64 v[57:58], v[7:8], v[57:58]
	s_waitcnt vmcnt(52)
	v_fma_f64 v[55:56], v[9:10], v[97:98], -v[55:56]
	v_add_f64 v[15:16], v[15:16], v[49:50]
	v_fma_f64 v[49:50], v[11:12], v[97:98], v[53:54]
	v_add_f64 v[13:14], v[13:14], v[17:18]
	ds_read_b128 v[9:12], v70 offset:1760
	s_waitcnt vmcnt(51) lgkmcnt(1)
	v_mul_f64 v[53:54], v[3:4], v[73:74]
	v_mul_f64 v[17:18], v[1:2], v[73:74]
	s_waitcnt vmcnt(49)
	v_fma_f64 v[57:58], v[5:6], v[63:64], -v[57:58]
	v_fma_f64 v[43:44], v[7:8], v[63:64], v[43:44]
	v_add_f64 v[15:16], v[15:16], v[55:56]
	v_add_f64 v[13:14], v[13:14], v[49:50]
	s_clause 0x3
	buffer_load_dword v49, off, s[0:3], 0 offset:224
	buffer_load_dword v50, off, s[0:3], 0 offset:228
	;; [unrolled: 1-line block ×4, first 2 shown]
	ds_read_b128 v[5:8], v70 offset:1776
	s_waitcnt vmcnt(49) lgkmcnt(1)
	v_mul_f64 v[61:62], v[9:10], v[21:22]
	v_mul_f64 v[21:22], v[11:12], v[21:22]
	s_waitcnt vmcnt(48)
	v_fma_f64 v[53:54], v[1:2], v[117:118], -v[53:54]
	v_fma_f64 v[17:18], v[3:4], v[117:118], v[17:18]
	ds_read_b128 v[1:4], v70 offset:1792
	v_add_f64 v[15:16], v[15:16], v[57:58]
	v_add_f64 v[13:14], v[13:14], v[43:44]
	s_waitcnt vmcnt(47) lgkmcnt(1)
	v_mul_f64 v[57:58], v[7:8], v[99:100]
	v_mul_f64 v[43:44], v[5:6], v[99:100]
	s_waitcnt vmcnt(45)
	v_fma_f64 v[21:22], v[9:10], v[27:28], -v[21:22]
	v_fma_f64 v[27:28], v[11:12], v[27:28], v[61:62]
	ds_read_b128 v[9:12], v70 offset:1808
	v_add_f64 v[15:16], v[15:16], v[53:54]
	v_add_f64 v[13:14], v[13:14], v[17:18]
	s_waitcnt vmcnt(41) lgkmcnt(1)
	v_mul_f64 v[17:18], v[1:2], v[33:34]
	v_mul_f64 v[33:34], v[3:4], v[33:34]
	s_waitcnt vmcnt(40)
	v_fma_f64 v[53:54], v[5:6], v[119:120], -v[57:58]
	v_add_f64 v[15:16], v[15:16], v[21:22]
	v_fma_f64 v[21:22], v[7:8], v[119:120], v[43:44]
	v_add_f64 v[13:14], v[13:14], v[27:28]
	ds_read_b128 v[5:8], v70 offset:1824
	s_waitcnt vmcnt(39) lgkmcnt(1)
	v_mul_f64 v[43:44], v[11:12], v[93:94]
	v_mul_f64 v[27:28], v[9:10], v[93:94]
	s_waitcnt vmcnt(37)
	v_fma_f64 v[33:34], v[1:2], v[25:26], -v[33:34]
	v_fma_f64 v[17:18], v[3:4], v[25:26], v[17:18]
	ds_read_b128 v[1:4], v70 offset:1840
	v_add_f64 v[15:16], v[15:16], v[53:54]
	v_add_f64 v[13:14], v[13:14], v[21:22]
	s_waitcnt vmcnt(33) lgkmcnt(1)
	v_mul_f64 v[21:22], v[5:6], v[19:20]
	v_mul_f64 v[19:20], v[7:8], v[19:20]
	s_waitcnt vmcnt(32)
	v_fma_f64 v[25:26], v[9:10], v[111:112], -v[43:44]
	v_fma_f64 v[27:28], v[11:12], v[111:112], v[27:28]
	ds_read_b128 v[9:12], v70 offset:1856
	v_add_f64 v[15:16], v[15:16], v[33:34]
	v_add_f64 v[13:14], v[13:14], v[17:18]
	;; [unrolled: 9-line block ×5, first 2 shown]
	s_waitcnt vmcnt(17) lgkmcnt(1)
	v_mul_f64 v[27:28], v[3:4], v[29:30]
	s_waitcnt vmcnt(16)
	v_fma_f64 v[21:22], v[5:6], v[95:96], -v[21:22]
	v_mul_f64 v[17:18], v[1:2], v[29:30]
	v_fma_f64 v[19:20], v[7:8], v[95:96], v[19:20]
	ds_read_b128 v[5:8], v70 offset:1920
	v_add_f64 v[15:16], v[15:16], v[23:24]
	v_add_f64 v[13:14], v[13:14], v[25:26]
	s_waitcnt vmcnt(15) lgkmcnt(1)
	v_mul_f64 v[25:26], v[11:12], v[51:52]
	v_mul_f64 v[23:24], v[9:10], v[51:52]
	s_waitcnt vmcnt(13)
	v_fma_f64 v[27:28], v[1:2], v[39:40], -v[27:28]
	v_fma_f64 v[17:18], v[3:4], v[39:40], v[17:18]
	ds_read_b128 v[1:4], v70 offset:1936
	v_add_f64 v[15:16], v[15:16], v[21:22]
	v_add_f64 v[13:14], v[13:14], v[19:20]
	s_waitcnt vmcnt(9) lgkmcnt(1)
	v_mul_f64 v[21:22], v[7:8], v[35:36]
	s_waitcnt vmcnt(8)
	v_fma_f64 v[9:10], v[9:10], v[71:72], -v[25:26]
	v_mul_f64 v[19:20], v[5:6], v[35:36]
	v_fma_f64 v[11:12], v[11:12], v[71:72], v[23:24]
	v_add_f64 v[15:16], v[15:16], v[27:28]
	v_add_f64 v[13:14], v[13:14], v[17:18]
	s_waitcnt vmcnt(7) lgkmcnt(0)
	v_mul_f64 v[23:24], v[3:4], v[59:60]
	v_mul_f64 v[17:18], v[1:2], v[59:60]
	s_waitcnt vmcnt(5)
	v_fma_f64 v[5:6], v[5:6], v[47:48], -v[21:22]
	v_fma_f64 v[7:8], v[7:8], v[47:48], v[19:20]
	v_add_f64 v[9:10], v[15:16], v[9:10]
	v_add_f64 v[11:12], v[13:14], v[11:12]
	s_waitcnt vmcnt(4)
	v_fma_f64 v[1:2], v[1:2], v[65:66], -v[23:24]
	v_fma_f64 v[3:4], v[3:4], v[65:66], v[17:18]
	v_add_f64 v[5:6], v[9:10], v[5:6]
	v_add_f64 v[7:8], v[11:12], v[7:8]
	;; [unrolled: 1-line block ×4, first 2 shown]
	s_waitcnt vmcnt(2)
	v_add_f64 v[1:2], v[49:50], -v[1:2]
	s_waitcnt vmcnt(0)
	v_add_f64 v[3:4], v[55:56], -v[3:4]
	buffer_store_dword v2, off, s[0:3], 0 offset:228
	buffer_store_dword v1, off, s[0:3], 0 offset:224
	buffer_store_dword v4, off, s[0:3], 0 offset:236
	buffer_store_dword v3, off, s[0:3], 0 offset:232
	v_cmpx_lt_u32_e32 12, v0
	s_cbranch_execz .LBB60_367
; %bb.366:
	v_mov_b32_e32 v4, s70
	s_clause 0x3
	buffer_load_dword v1, v4, s[0:3], 0 offen
	buffer_load_dword v2, v4, s[0:3], 0 offen offset:4
	buffer_load_dword v3, v4, s[0:3], 0 offen offset:8
	;; [unrolled: 1-line block ×3, first 2 shown]
	buffer_store_dword v70, off, s[0:3], 0 offset:208
	buffer_store_dword v70, off, s[0:3], 0 offset:212
	;; [unrolled: 1-line block ×4, first 2 shown]
	s_waitcnt vmcnt(0)
	ds_write_b128 v69, v[1:4]
.LBB60_367:
	s_or_b32 exec_lo, exec_lo, s4
	s_waitcnt lgkmcnt(0)
	s_waitcnt_vscnt null, 0x0
	s_barrier
	buffer_gl0_inv
	s_clause 0x37
	buffer_load_dword v17, off, s[0:3], 0 offset:232
	buffer_load_dword v18, off, s[0:3], 0 offset:236
	;; [unrolled: 1-line block ×56, first 2 shown]
	ds_read_b128 v[5:8], v70 offset:1184
	s_clause 0x2
	buffer_load_dword v66, off, s[0:3], 0 offset:460
	buffer_load_dword v68, off, s[0:3], 0 offset:436
	;; [unrolled: 1-line block ×3, first 2 shown]
	ds_read_b128 v[1:4], v70 offset:1200
	s_clause 0x4
	buffer_load_dword v96, off, s[0:3], 0 offset:476
	buffer_load_dword v97, off, s[0:3], 0 offset:488
	;; [unrolled: 1-line block ×5, first 2 shown]
	ds_read_b128 v[71:74], v70 offset:1216
	s_mov_b32 s4, exec_lo
	s_waitcnt vmcnt(62) lgkmcnt(2)
	v_mul_f64 v[93:94], v[7:8], v[17:18]
	v_mul_f64 v[17:18], v[5:6], v[17:18]
	s_waitcnt vmcnt(60) lgkmcnt(1)
	v_mul_f64 v[109:110], v[3:4], v[13:14]
	v_mul_f64 v[13:14], v[1:2], v[13:14]
	;; [unrolled: 3-line block ×3, first 2 shown]
	v_fma_f64 v[93:94], v[5:6], v[15:16], -v[93:94]
	v_fma_f64 v[15:16], v[7:8], v[15:16], v[17:18]
	s_clause 0x2
	buffer_load_dword v98, off, s[0:3], 0 offset:492
	buffer_load_dword v18, off, s[0:3], 0 offset:468
	;; [unrolled: 1-line block ×3, first 2 shown]
	s_waitcnt vmcnt(57)
	v_fma_f64 v[109:110], v[1:2], v[9:10], -v[109:110]
	ds_read_b128 v[5:8], v70 offset:1232
	v_fma_f64 v[9:10], v[3:4], v[9:10], v[13:14]
	s_waitcnt vmcnt(51)
	v_fma_f64 v[71:72], v[71:72], v[33:34], -v[11:12]
	v_fma_f64 v[33:34], v[73:74], v[33:34], v[111:112]
	v_add_f64 v[93:94], v[93:94], 0
	v_add_f64 v[13:14], v[15:16], 0
	s_clause 0x4
	buffer_load_dword v16, off, s[0:3], 0 offset:508
	buffer_load_dword v117, off, s[0:3], 0 offset:520
	;; [unrolled: 1-line block ×5, first 2 shown]
	s_waitcnt lgkmcnt(0)
	v_mul_f64 v[129:130], v[5:6], v[21:22]
	v_mul_f64 v[21:22], v[7:8], v[21:22]
	ds_read_b128 v[1:4], v70 offset:1248
	s_clause 0x2
	buffer_load_dword v118, off, s[0:3], 0 offset:524
	buffer_load_dword v74, off, s[0:3], 0 offset:500
	;; [unrolled: 1-line block ×3, first 2 shown]
	v_add_f64 v[93:94], v[93:94], v[109:110]
	v_add_f64 v[13:14], v[13:14], v[9:10]
	ds_read_b128 v[9:12], v70 offset:1264
	s_waitcnt vmcnt(58) lgkmcnt(1)
	v_mul_f64 v[109:110], v[1:2], v[25:26]
	v_mul_f64 v[25:26], v[3:4], v[25:26]
	s_waitcnt vmcnt(56)
	v_fma_f64 v[21:22], v[5:6], v[27:28], -v[21:22]
	v_fma_f64 v[27:28], v[7:8], v[27:28], v[129:130]
	s_waitcnt vmcnt(52) lgkmcnt(0)
	v_mul_f64 v[129:130], v[9:10], v[29:30]
	v_add_f64 v[71:72], v[93:94], v[71:72]
	v_add_f64 v[13:14], v[13:14], v[33:34]
	s_clause 0x4
	buffer_load_dword v34, off, s[0:3], 0 offset:540
	buffer_load_dword v93, off, s[0:3], 0 offset:552
	;; [unrolled: 1-line block ×5, first 2 shown]
	v_mul_f64 v[29:30], v[11:12], v[29:30]
	s_waitcnt vmcnt(56)
	v_fma_f64 v[25:26], v[1:2], v[19:20], -v[25:26]
	ds_read_b128 v[5:8], v70 offset:1280
	v_fma_f64 v[19:20], v[3:4], v[19:20], v[109:110]
	v_add_f64 v[21:22], v[71:72], v[21:22]
	v_add_f64 v[13:14], v[13:14], v[27:28]
	s_clause 0x2
	buffer_load_dword v94, off, s[0:3], 0 offset:556
	buffer_load_dword v28, off, s[0:3], 0 offset:532
	;; [unrolled: 1-line block ×3, first 2 shown]
	s_waitcnt vmcnt(58) lgkmcnt(0)
	v_mul_f64 v[71:72], v[5:6], v[35:36]
	v_mul_f64 v[35:36], v[7:8], v[35:36]
	s_waitcnt vmcnt(56)
	v_fma_f64 v[29:30], v[9:10], v[37:38], -v[29:30]
	ds_read_b128 v[1:4], v70 offset:1296
	v_add_f64 v[21:22], v[21:22], v[25:26]
	v_fma_f64 v[25:26], v[11:12], v[37:38], v[129:130]
	v_add_f64 v[13:14], v[13:14], v[19:20]
	s_clause 0x4
	buffer_load_dword v20, off, s[0:3], 0 offset:572
	buffer_load_dword v37, off, s[0:3], 0 offset:584
	;; [unrolled: 1-line block ×5, first 2 shown]
	s_waitcnt vmcnt(57) lgkmcnt(0)
	v_mul_f64 v[129:130], v[1:2], v[39:40]
	v_mul_f64 v[39:40], v[3:4], v[39:40]
	s_waitcnt vmcnt(56)
	v_fma_f64 v[35:36], v[5:6], v[23:24], -v[35:36]
	ds_read_b128 v[9:12], v70 offset:1312
	v_fma_f64 v[23:24], v[7:8], v[23:24], v[71:72]
	v_add_f64 v[21:22], v[21:22], v[29:30]
	v_add_f64 v[13:14], v[13:14], v[25:26]
	s_clause 0x2
	buffer_load_dword v38, off, s[0:3], 0 offset:588
	buffer_load_dword v26, off, s[0:3], 0 offset:564
	;; [unrolled: 1-line block ×3, first 2 shown]
	ds_read_b128 v[5:8], v70 offset:1328
	s_waitcnt vmcnt(58) lgkmcnt(1)
	v_mul_f64 v[29:30], v[9:10], v[43:44]
	v_mul_f64 v[43:44], v[11:12], v[43:44]
	s_waitcnt vmcnt(56)
	v_fma_f64 v[39:40], v[1:2], v[45:46], -v[39:40]
	v_add_f64 v[21:22], v[21:22], v[35:36]
	v_fma_f64 v[35:36], v[3:4], v[45:46], v[129:130]
	v_add_f64 v[13:14], v[13:14], v[23:24]
	s_clause 0x4
	buffer_load_dword v24, off, s[0:3], 0 offset:604
	buffer_load_dword v45, off, s[0:3], 0 offset:616
	;; [unrolled: 1-line block ×5, first 2 shown]
	s_waitcnt vmcnt(57) lgkmcnt(0)
	v_mul_f64 v[129:130], v[5:6], v[47:48]
	v_mul_f64 v[47:48], v[7:8], v[47:48]
	s_waitcnt vmcnt(56)
	v_fma_f64 v[43:44], v[9:10], v[31:32], -v[43:44]
	ds_read_b128 v[1:4], v70 offset:1344
	v_fma_f64 v[29:30], v[11:12], v[31:32], v[29:30]
	s_clause 0x2
	buffer_load_dword v46, off, s[0:3], 0 offset:620
	buffer_load_dword v32, off, s[0:3], 0 offset:596
	;; [unrolled: 1-line block ×3, first 2 shown]
	ds_read_b128 v[9:12], v70 offset:1360
	v_add_f64 v[21:22], v[21:22], v[39:40]
	v_add_f64 v[13:14], v[13:14], v[35:36]
	s_waitcnt vmcnt(58) lgkmcnt(1)
	v_mul_f64 v[39:40], v[3:4], v[51:52]
	s_waitcnt vmcnt(56)
	v_fma_f64 v[47:48], v[5:6], v[53:54], -v[47:48]
	v_mul_f64 v[35:36], v[1:2], v[51:52]
	v_add_f64 v[21:22], v[21:22], v[43:44]
	v_fma_f64 v[43:44], v[7:8], v[53:54], v[129:130]
	v_add_f64 v[13:14], v[13:14], v[29:30]
	s_clause 0x4
	buffer_load_dword v30, off, s[0:3], 0 offset:636
	buffer_load_dword v51, off, s[0:3], 0 offset:648
	;; [unrolled: 1-line block ×5, first 2 shown]
	s_waitcnt vmcnt(57) lgkmcnt(0)
	v_mul_f64 v[129:130], v[9:10], v[55:56]
	v_mul_f64 v[54:55], v[11:12], v[55:56]
	s_waitcnt vmcnt(56)
	v_fma_f64 v[39:40], v[1:2], v[41:42], -v[39:40]
	ds_read_b128 v[5:8], v70 offset:1376
	v_fma_f64 v[35:36], v[3:4], v[41:42], v[35:36]
	s_clause 0x2
	buffer_load_dword v52, off, s[0:3], 0 offset:652
	buffer_load_dword v42, off, s[0:3], 0 offset:628
	;; [unrolled: 1-line block ×3, first 2 shown]
	ds_read_b128 v[1:4], v70 offset:1392
	v_add_f64 v[21:22], v[21:22], v[47:48]
	v_add_f64 v[13:14], v[13:14], v[43:44]
	s_waitcnt vmcnt(58) lgkmcnt(1)
	v_mul_f64 v[47:48], v[7:8], v[59:60]
	s_waitcnt vmcnt(56)
	v_fma_f64 v[55:56], v[9:10], v[61:62], -v[54:55]
	v_mul_f64 v[43:44], v[5:6], v[59:60]
	v_add_f64 v[21:22], v[21:22], v[39:40]
	v_fma_f64 v[39:40], v[11:12], v[61:62], v[129:130]
	v_add_f64 v[13:14], v[13:14], v[35:36]
	s_clause 0x4
	buffer_load_dword v36, off, s[0:3], 0 offset:668
	buffer_load_dword v59, off, s[0:3], 0 offset:680
	;; [unrolled: 1-line block ×5, first 2 shown]
	s_waitcnt vmcnt(57) lgkmcnt(0)
	v_mul_f64 v[129:130], v[1:2], v[63:64]
	v_mul_f64 v[62:63], v[3:4], v[63:64]
	s_waitcnt vmcnt(56)
	v_fma_f64 v[47:48], v[5:6], v[49:50], -v[47:48]
	ds_read_b128 v[9:12], v70 offset:1408
	v_fma_f64 v[43:44], v[7:8], v[49:50], v[43:44]
	v_add_f64 v[21:22], v[21:22], v[55:56]
	v_add_f64 v[13:14], v[13:14], v[39:40]
	s_clause 0x2
	buffer_load_dword v60, off, s[0:3], 0 offset:684
	buffer_load_dword v40, off, s[0:3], 0 offset:660
	buffer_load_dword v39, off, s[0:3], 0 offset:656
	ds_read_b128 v[5:8], v70 offset:1424
	s_waitcnt vmcnt(58) lgkmcnt(1)
	v_mul_f64 v[55:56], v[11:12], v[65:66]
	s_waitcnt vmcnt(56)
	v_fma_f64 v[63:64], v[1:2], v[67:68], -v[62:63]
	v_mul_f64 v[49:50], v[9:10], v[65:66]
	v_add_f64 v[21:22], v[21:22], v[47:48]
	v_fma_f64 v[47:48], v[3:4], v[67:68], v[129:130]
	v_add_f64 v[13:14], v[13:14], v[43:44]
	s_clause 0x4
	buffer_load_dword v44, off, s[0:3], 0 offset:700
	buffer_load_dword v65, off, s[0:3], 0 offset:712
	;; [unrolled: 1-line block ×5, first 2 shown]
	s_waitcnt vmcnt(57) lgkmcnt(0)
	v_mul_f64 v[129:130], v[5:6], v[95:96]
	v_mul_f64 v[95:96], v[7:8], v[95:96]
	s_waitcnt vmcnt(56)
	v_fma_f64 v[55:56], v[9:10], v[57:58], -v[55:56]
	ds_read_b128 v[1:4], v70 offset:1440
	v_fma_f64 v[49:50], v[11:12], v[57:58], v[49:50]
	v_add_f64 v[21:22], v[21:22], v[63:64]
	v_add_f64 v[13:14], v[13:14], v[47:48]
	s_clause 0x2
	buffer_load_dword v66, off, s[0:3], 0 offset:716
	buffer_load_dword v48, off, s[0:3], 0 offset:692
	;; [unrolled: 1-line block ×3, first 2 shown]
	ds_read_b128 v[9:12], v70 offset:1456
	s_waitcnt vmcnt(58) lgkmcnt(1)
	v_mul_f64 v[63:64], v[3:4], v[97:98]
	v_mul_f64 v[57:58], v[1:2], v[97:98]
	s_waitcnt vmcnt(56)
	v_fma_f64 v[95:96], v[5:6], v[17:18], -v[95:96]
	v_fma_f64 v[17:18], v[7:8], v[17:18], v[129:130]
	v_add_f64 v[21:22], v[21:22], v[55:56]
	v_add_f64 v[13:14], v[13:14], v[49:50]
	s_clause 0x4
	buffer_load_dword v50, off, s[0:3], 0 offset:732
	buffer_load_dword v55, off, s[0:3], 0 offset:744
	;; [unrolled: 1-line block ×5, first 2 shown]
	ds_read_b128 v[5:8], v70 offset:1472
	s_waitcnt vmcnt(57) lgkmcnt(1)
	v_mul_f64 v[129:130], v[9:10], v[15:16]
	v_mul_f64 v[15:16], v[11:12], v[15:16]
	s_waitcnt vmcnt(56)
	v_fma_f64 v[63:64], v[1:2], v[99:100], -v[63:64]
	v_fma_f64 v[57:58], v[3:4], v[99:100], v[57:58]
	v_add_f64 v[21:22], v[21:22], v[95:96]
	v_add_f64 v[13:14], v[13:14], v[17:18]
	s_clause 0x2
	buffer_load_dword v56, off, s[0:3], 0 offset:748
	buffer_load_dword v18, off, s[0:3], 0 offset:724
	;; [unrolled: 1-line block ×3, first 2 shown]
	s_waitcnt vmcnt(58) lgkmcnt(0)
	v_mul_f64 v[99:100], v[7:8], v[117:118]
	ds_read_b128 v[1:4], v70 offset:1488
	v_mul_f64 v[95:96], v[5:6], v[117:118]
	s_waitcnt vmcnt(56)
	v_fma_f64 v[15:16], v[9:10], v[73:74], -v[15:16]
	v_add_f64 v[21:22], v[21:22], v[63:64]
	v_fma_f64 v[63:64], v[11:12], v[73:74], v[129:130]
	v_add_f64 v[13:14], v[13:14], v[57:58]
	s_clause 0x4
	buffer_load_dword v58, off, s[0:3], 0 offset:764
	buffer_load_dword v73, off, s[0:3], 0 offset:776
	;; [unrolled: 1-line block ×5, first 2 shown]
	ds_read_b128 v[9:12], v70 offset:1504
	s_waitcnt vmcnt(57) lgkmcnt(1)
	v_mul_f64 v[129:130], v[1:2], v[33:34]
	v_mul_f64 v[33:34], v[3:4], v[33:34]
	s_waitcnt vmcnt(56)
	v_fma_f64 v[99:100], v[5:6], v[119:120], -v[99:100]
	v_add_f64 v[15:16], v[21:22], v[15:16]
	v_fma_f64 v[21:22], v[7:8], v[119:120], v[95:96]
	v_add_f64 v[13:14], v[13:14], v[63:64]
	s_clause 0x2
	buffer_load_dword v74, off, s[0:3], 0 offset:780
	buffer_load_dword v64, off, s[0:3], 0 offset:756
	;; [unrolled: 1-line block ×3, first 2 shown]
	ds_read_b128 v[5:8], v70 offset:1520
	s_waitcnt vmcnt(58) lgkmcnt(1)
	v_mul_f64 v[95:96], v[9:10], v[93:94]
	v_mul_f64 v[93:94], v[11:12], v[93:94]
	s_waitcnt vmcnt(56)
	v_fma_f64 v[33:34], v[1:2], v[27:28], -v[33:34]
	v_fma_f64 v[27:28], v[3:4], v[27:28], v[129:130]
	v_add_f64 v[15:16], v[15:16], v[99:100]
	v_add_f64 v[13:14], v[13:14], v[21:22]
	s_clause 0x4
	buffer_load_dword v22, off, s[0:3], 0 offset:796
	buffer_load_dword v99, off, s[0:3], 0 offset:808
	;; [unrolled: 1-line block ×5, first 2 shown]
	ds_read_b128 v[1:4], v70 offset:1536
	s_waitcnt vmcnt(57) lgkmcnt(1)
	v_mul_f64 v[129:130], v[5:6], v[19:20]
	v_mul_f64 v[19:20], v[7:8], v[19:20]
	s_waitcnt vmcnt(56)
	v_fma_f64 v[93:94], v[9:10], v[111:112], -v[93:94]
	v_add_f64 v[15:16], v[15:16], v[33:34]
	v_fma_f64 v[33:34], v[11:12], v[111:112], v[95:96]
	v_add_f64 v[13:14], v[13:14], v[27:28]
	s_clause 0x2
	buffer_load_dword v100, off, s[0:3], 0 offset:812
	buffer_load_dword v28, off, s[0:3], 0 offset:788
	;; [unrolled: 1-line block ×3, first 2 shown]
	ds_read_b128 v[9:12], v70 offset:1552
	s_waitcnt vmcnt(58) lgkmcnt(1)
	v_mul_f64 v[95:96], v[1:2], v[37:38]
	v_mul_f64 v[37:38], v[3:4], v[37:38]
	s_waitcnt vmcnt(56)
	v_fma_f64 v[19:20], v[5:6], v[25:26], -v[19:20]
	v_fma_f64 v[25:26], v[7:8], v[25:26], v[129:130]
	v_add_f64 v[15:16], v[15:16], v[93:94]
	v_add_f64 v[13:14], v[13:14], v[33:34]
	s_clause 0x4
	buffer_load_dword v34, off, s[0:3], 0 offset:828
	buffer_load_dword v93, off, s[0:3], 0 offset:840
	;; [unrolled: 1-line block ×5, first 2 shown]
	ds_read_b128 v[5:8], v70 offset:1568
	s_waitcnt vmcnt(57) lgkmcnt(1)
	v_mul_f64 v[129:130], v[9:10], v[23:24]
	v_mul_f64 v[23:24], v[11:12], v[23:24]
	s_waitcnt vmcnt(56)
	v_fma_f64 v[37:38], v[1:2], v[109:110], -v[37:38]
	v_add_f64 v[15:16], v[15:16], v[19:20]
	v_fma_f64 v[19:20], v[3:4], v[109:110], v[95:96]
	v_add_f64 v[13:14], v[13:14], v[25:26]
	s_clause 0x2
	buffer_load_dword v94, off, s[0:3], 0 offset:844
	buffer_load_dword v26, off, s[0:3], 0 offset:820
	;; [unrolled: 1-line block ×3, first 2 shown]
	s_waitcnt vmcnt(58) lgkmcnt(0)
	v_mul_f64 v[95:96], v[5:6], v[45:46]
	v_mul_f64 v[45:46], v[7:8], v[45:46]
	ds_read_b128 v[1:4], v70 offset:1584
	s_waitcnt vmcnt(56)
	v_fma_f64 v[23:24], v[9:10], v[31:32], -v[23:24]
	v_fma_f64 v[31:32], v[11:12], v[31:32], v[129:130]
	v_add_f64 v[15:16], v[15:16], v[37:38]
	v_add_f64 v[13:14], v[13:14], v[19:20]
	s_clause 0x4
	buffer_load_dword v20, off, s[0:3], 0 offset:860
	buffer_load_dword v37, off, s[0:3], 0 offset:872
	;; [unrolled: 1-line block ×5, first 2 shown]
	ds_read_b128 v[9:12], v70 offset:1600
	s_waitcnt vmcnt(57) lgkmcnt(1)
	v_mul_f64 v[129:130], v[1:2], v[29:30]
	v_mul_f64 v[29:30], v[3:4], v[29:30]
	s_waitcnt vmcnt(56)
	v_fma_f64 v[45:46], v[5:6], v[71:72], -v[45:46]
	v_add_f64 v[15:16], v[15:16], v[23:24]
	v_fma_f64 v[23:24], v[7:8], v[71:72], v[95:96]
	v_add_f64 v[13:14], v[13:14], v[31:32]
	s_clause 0x2
	buffer_load_dword v38, off, s[0:3], 0 offset:876
	buffer_load_dword v32, off, s[0:3], 0 offset:852
	;; [unrolled: 1-line block ×3, first 2 shown]
	s_waitcnt vmcnt(58) lgkmcnt(0)
	v_mul_f64 v[71:72], v[9:10], v[51:52]
	v_mul_f64 v[51:52], v[11:12], v[51:52]
	ds_read_b128 v[5:8], v70 offset:1616
	s_waitcnt vmcnt(56)
	v_fma_f64 v[29:30], v[1:2], v[41:42], -v[29:30]
	v_fma_f64 v[41:42], v[3:4], v[41:42], v[129:130]
	v_add_f64 v[15:16], v[15:16], v[45:46]
	v_add_f64 v[13:14], v[13:14], v[23:24]
	s_clause 0x4
	buffer_load_dword v24, off, s[0:3], 0 offset:892
	buffer_load_dword v45, off, s[0:3], 0 offset:904
	buffer_load_dword v95, off, s[0:3], 0 offset:896
	buffer_load_dword v23, off, s[0:3], 0 offset:888
	buffer_load_dword v110, off, s[0:3], 0 offset:868
	ds_read_b128 v[1:4], v70 offset:1632
	s_waitcnt vmcnt(57) lgkmcnt(1)
	v_mul_f64 v[129:130], v[5:6], v[35:36]
	v_mul_f64 v[35:36], v[7:8], v[35:36]
	s_waitcnt vmcnt(56)
	v_fma_f64 v[51:52], v[9:10], v[53:54], -v[51:52]
	v_add_f64 v[15:16], v[15:16], v[29:30]
	v_fma_f64 v[29:30], v[11:12], v[53:54], v[71:72]
	v_add_f64 v[13:14], v[13:14], v[41:42]
	s_clause 0x2
	buffer_load_dword v46, off, s[0:3], 0 offset:908
	buffer_load_dword v42, off, s[0:3], 0 offset:884
	buffer_load_dword v41, off, s[0:3], 0 offset:880
	ds_read_b128 v[9:12], v70 offset:1648
	s_waitcnt vmcnt(58) lgkmcnt(1)
	v_mul_f64 v[53:54], v[1:2], v[59:60]
	v_mul_f64 v[59:60], v[3:4], v[59:60]
	s_waitcnt vmcnt(56)
	v_fma_f64 v[35:36], v[5:6], v[39:40], -v[35:36]
	v_fma_f64 v[39:40], v[7:8], v[39:40], v[129:130]
	v_add_f64 v[15:16], v[15:16], v[51:52]
	v_add_f64 v[13:14], v[13:14], v[29:30]
	s_clause 0x4
	buffer_load_dword v30, off, s[0:3], 0 offset:924
	buffer_load_dword v51, off, s[0:3], 0 offset:936
	buffer_load_dword v71, off, s[0:3], 0 offset:928
	buffer_load_dword v29, off, s[0:3], 0 offset:920
	buffer_load_dword v96, off, s[0:3], 0 offset:900
	ds_read_b128 v[5:8], v70 offset:1664
	s_waitcnt vmcnt(57) lgkmcnt(1)
	v_mul_f64 v[129:130], v[9:10], v[43:44]
	v_mul_f64 v[43:44], v[11:12], v[43:44]
	s_waitcnt vmcnt(56)
	v_fma_f64 v[59:60], v[1:2], v[61:62], -v[59:60]
	v_add_f64 v[15:16], v[15:16], v[35:36]
	v_fma_f64 v[35:36], v[3:4], v[61:62], v[53:54]
	v_add_f64 v[13:14], v[13:14], v[39:40]
	s_clause 0x2
	buffer_load_dword v52, off, s[0:3], 0 offset:940
	buffer_load_dword v40, off, s[0:3], 0 offset:916
	buffer_load_dword v39, off, s[0:3], 0 offset:912
	ds_read_b128 v[1:4], v70 offset:1680
	s_waitcnt vmcnt(58) lgkmcnt(1)
	v_mul_f64 v[61:62], v[7:8], v[65:66]
	v_mul_f64 v[53:54], v[5:6], v[65:66]
	;; [unrolled: 28-line block ×3, first 2 shown]
	s_waitcnt vmcnt(56)
	v_fma_f64 v[49:50], v[1:2], v[17:18], -v[49:50]
	v_fma_f64 v[17:18], v[3:4], v[17:18], v[129:130]
	v_add_f64 v[15:16], v[15:16], v[61:62]
	v_add_f64 v[13:14], v[13:14], v[43:44]
	s_clause 0x2
	buffer_load_dword v44, off, s[0:3], 0 offset:988
	buffer_load_dword v43, off, s[0:3], 0 offset:984
	;; [unrolled: 1-line block ×3, first 2 shown]
	ds_read_b128 v[1:4], v70 offset:1728
	s_waitcnt vmcnt(55) lgkmcnt(1)
	v_mul_f64 v[61:62], v[5:6], v[57:58]
	v_mul_f64 v[57:58], v[7:8], v[57:58]
	s_waitcnt vmcnt(54)
	v_fma_f64 v[55:56], v[9:10], v[97:98], -v[55:56]
	v_add_f64 v[15:16], v[15:16], v[49:50]
	v_fma_f64 v[49:50], v[11:12], v[97:98], v[53:54]
	v_add_f64 v[13:14], v[13:14], v[17:18]
	s_clause 0x1
	buffer_load_dword v18, off, s[0:3], 0 offset:980
	buffer_load_dword v17, off, s[0:3], 0 offset:976
	ds_read_b128 v[9:12], v70 offset:1744
	s_waitcnt vmcnt(55) lgkmcnt(1)
	v_mul_f64 v[67:68], v[3:4], v[73:74]
	v_mul_f64 v[53:54], v[1:2], v[73:74]
	s_waitcnt vmcnt(53)
	v_fma_f64 v[57:58], v[5:6], v[63:64], -v[57:58]
	v_add_f64 v[15:16], v[15:16], v[55:56]
	v_fma_f64 v[55:56], v[7:8], v[63:64], v[61:62]
	v_add_f64 v[13:14], v[13:14], v[49:50]
	ds_read_b128 v[5:8], v70 offset:1760
	s_waitcnt vmcnt(49) lgkmcnt(1)
	v_mul_f64 v[49:50], v[9:10], v[21:22]
	v_mul_f64 v[21:22], v[11:12], v[21:22]
	s_waitcnt vmcnt(48)
	v_fma_f64 v[61:62], v[1:2], v[117:118], -v[67:68]
	v_fma_f64 v[53:54], v[3:4], v[117:118], v[53:54]
	v_add_f64 v[15:16], v[15:16], v[57:58]
	v_add_f64 v[13:14], v[13:14], v[55:56]
	s_clause 0x3
	buffer_load_dword v55, off, s[0:3], 0 offset:208
	buffer_load_dword v56, off, s[0:3], 0 offset:212
	;; [unrolled: 1-line block ×4, first 2 shown]
	ds_read_b128 v[1:4], v70 offset:1776
	s_waitcnt vmcnt(51) lgkmcnt(1)
	v_mul_f64 v[67:68], v[7:8], v[99:100]
	v_mul_f64 v[63:64], v[5:6], v[99:100]
	s_waitcnt vmcnt(49)
	v_fma_f64 v[21:22], v[9:10], v[27:28], -v[21:22]
	v_fma_f64 v[27:28], v[11:12], v[27:28], v[49:50]
	ds_read_b128 v[9:12], v70 offset:1792
	v_add_f64 v[15:16], v[15:16], v[61:62]
	v_add_f64 v[13:14], v[13:14], v[53:54]
	s_waitcnt vmcnt(45) lgkmcnt(1)
	v_mul_f64 v[49:50], v[1:2], v[33:34]
	v_mul_f64 v[33:34], v[3:4], v[33:34]
	s_waitcnt vmcnt(44)
	v_fma_f64 v[53:54], v[5:6], v[119:120], -v[67:68]
	v_add_f64 v[15:16], v[15:16], v[21:22]
	v_fma_f64 v[21:22], v[7:8], v[119:120], v[63:64]
	v_add_f64 v[13:14], v[13:14], v[27:28]
	ds_read_b128 v[5:8], v70 offset:1808
	s_waitcnt vmcnt(43) lgkmcnt(1)
	v_mul_f64 v[61:62], v[11:12], v[93:94]
	v_mul_f64 v[27:28], v[9:10], v[93:94]
	s_waitcnt vmcnt(41)
	v_fma_f64 v[33:34], v[1:2], v[25:26], -v[33:34]
	v_fma_f64 v[25:26], v[3:4], v[25:26], v[49:50]
	ds_read_b128 v[1:4], v70 offset:1824
	v_add_f64 v[15:16], v[15:16], v[53:54]
	v_add_f64 v[13:14], v[13:14], v[21:22]
	s_waitcnt vmcnt(37) lgkmcnt(1)
	v_mul_f64 v[21:22], v[5:6], v[19:20]
	v_mul_f64 v[19:20], v[7:8], v[19:20]
	s_waitcnt vmcnt(36)
	v_fma_f64 v[49:50], v[9:10], v[111:112], -v[61:62]
	v_fma_f64 v[27:28], v[11:12], v[111:112], v[27:28]
	ds_read_b128 v[9:12], v70 offset:1840
	v_add_f64 v[15:16], v[15:16], v[33:34]
	v_add_f64 v[13:14], v[13:14], v[25:26]
	;; [unrolled: 9-line block ×3, first 2 shown]
	s_waitcnt vmcnt(29) lgkmcnt(1)
	v_mul_f64 v[27:28], v[9:10], v[23:24]
	v_mul_f64 v[23:24], v[11:12], v[23:24]
	s_waitcnt vmcnt(28)
	v_fma_f64 v[31:32], v[1:2], v[109:110], -v[33:34]
	v_add_f64 v[15:16], v[15:16], v[19:20]
	v_fma_f64 v[19:20], v[3:4], v[109:110], v[25:26]
	v_add_f64 v[13:14], v[13:14], v[21:22]
	ds_read_b128 v[1:4], v70 offset:1872
	s_waitcnt vmcnt(27) lgkmcnt(1)
	v_mul_f64 v[25:26], v[7:8], v[45:46]
	v_mul_f64 v[21:22], v[5:6], v[45:46]
	s_waitcnt vmcnt(25)
	v_fma_f64 v[23:24], v[9:10], v[41:42], -v[23:24]
	v_fma_f64 v[27:28], v[11:12], v[41:42], v[27:28]
	ds_read_b128 v[9:12], v70 offset:1888
	v_add_f64 v[15:16], v[15:16], v[31:32]
	v_add_f64 v[13:14], v[13:14], v[19:20]
	s_waitcnt vmcnt(21) lgkmcnt(1)
	v_mul_f64 v[19:20], v[1:2], v[29:30]
	v_mul_f64 v[29:30], v[3:4], v[29:30]
	s_waitcnt vmcnt(20)
	v_fma_f64 v[25:26], v[5:6], v[95:96], -v[25:26]
	v_fma_f64 v[21:22], v[7:8], v[95:96], v[21:22]
	ds_read_b128 v[5:8], v70 offset:1904
	v_add_f64 v[15:16], v[15:16], v[23:24]
	v_add_f64 v[13:14], v[13:14], v[27:28]
	;; [unrolled: 9-line block ×3, first 2 shown]
	s_waitcnt vmcnt(13) lgkmcnt(1)
	v_mul_f64 v[25:26], v[7:8], v[35:36]
	s_waitcnt vmcnt(12)
	v_fma_f64 v[27:28], v[9:10], v[71:72], -v[27:28]
	v_mul_f64 v[21:22], v[5:6], v[35:36]
	v_fma_f64 v[23:24], v[11:12], v[71:72], v[23:24]
	ds_read_b128 v[9:12], v70 offset:1936
	v_add_f64 v[15:16], v[15:16], v[29:30]
	v_add_f64 v[13:14], v[13:14], v[19:20]
	s_waitcnt vmcnt(11) lgkmcnt(1)
	v_mul_f64 v[29:30], v[3:4], v[59:60]
	v_mul_f64 v[19:20], v[1:2], v[59:60]
	s_waitcnt vmcnt(9)
	v_fma_f64 v[5:6], v[5:6], v[47:48], -v[25:26]
	v_fma_f64 v[7:8], v[7:8], v[47:48], v[21:22]
	v_add_f64 v[15:16], v[15:16], v[27:28]
	v_add_f64 v[13:14], v[13:14], v[23:24]
	s_waitcnt vmcnt(7) lgkmcnt(0)
	v_mul_f64 v[23:24], v[11:12], v[43:44]
	s_waitcnt vmcnt(6)
	v_fma_f64 v[1:2], v[1:2], v[65:66], -v[29:30]
	v_mul_f64 v[21:22], v[9:10], v[43:44]
	v_fma_f64 v[3:4], v[3:4], v[65:66], v[19:20]
	v_add_f64 v[5:6], v[15:16], v[5:6]
	v_add_f64 v[7:8], v[13:14], v[7:8]
	s_waitcnt vmcnt(4)
	v_fma_f64 v[9:10], v[9:10], v[17:18], -v[23:24]
	v_add_f64 v[1:2], v[5:6], v[1:2]
	v_fma_f64 v[5:6], v[11:12], v[17:18], v[21:22]
	v_add_f64 v[3:4], v[7:8], v[3:4]
	v_add_f64 v[1:2], v[1:2], v[9:10]
	;; [unrolled: 1-line block ×3, first 2 shown]
	s_waitcnt vmcnt(2)
	v_add_f64 v[1:2], v[55:56], -v[1:2]
	s_waitcnt vmcnt(0)
	v_add_f64 v[3:4], v[57:58], -v[3:4]
	buffer_store_dword v2, off, s[0:3], 0 offset:212
	buffer_store_dword v1, off, s[0:3], 0 offset:208
	;; [unrolled: 1-line block ×4, first 2 shown]
	v_cmpx_lt_u32_e32 11, v0
	s_cbranch_execz .LBB60_369
; %bb.368:
	v_mov_b32_e32 v4, s74
	v_mov_b32_e32 v5, 0
	s_clause 0x3
	buffer_load_dword v1, v4, s[0:3], 0 offen
	buffer_load_dword v2, v4, s[0:3], 0 offen offset:4
	buffer_load_dword v3, v4, s[0:3], 0 offen offset:8
	;; [unrolled: 1-line block ×3, first 2 shown]
	buffer_store_dword v5, off, s[0:3], 0 offset:192
	buffer_store_dword v5, off, s[0:3], 0 offset:196
	;; [unrolled: 1-line block ×4, first 2 shown]
	s_waitcnt vmcnt(0)
	ds_write_b128 v69, v[1:4]
.LBB60_369:
	s_or_b32 exec_lo, exec_lo, s4
	s_waitcnt lgkmcnt(0)
	s_waitcnt_vscnt null, 0x0
	s_barrier
	buffer_gl0_inv
	s_clause 0x37
	buffer_load_dword v17, off, s[0:3], 0 offset:216
	buffer_load_dword v18, off, s[0:3], 0 offset:220
	;; [unrolled: 1-line block ×56, first 2 shown]
	v_mov_b32_e32 v70, 0
	s_mov_b32 s4, exec_lo
	ds_read_b128 v[5:8], v70 offset:1168
	s_clause 0x2
	buffer_load_dword v66, off, s[0:3], 0 offset:444
	buffer_load_dword v68, off, s[0:3], 0 offset:420
	;; [unrolled: 1-line block ×3, first 2 shown]
	ds_read_b128 v[1:4], v70 offset:1184
	s_clause 0x4
	buffer_load_dword v96, off, s[0:3], 0 offset:460
	buffer_load_dword v97, off, s[0:3], 0 offset:472
	buffer_load_dword v99, off, s[0:3], 0 offset:464
	buffer_load_dword v95, off, s[0:3], 0 offset:456
	buffer_load_dword v58, off, s[0:3], 0 offset:436
	ds_read_b128 v[71:74], v70 offset:1200
	s_waitcnt vmcnt(62) lgkmcnt(2)
	v_mul_f64 v[93:94], v[7:8], v[17:18]
	v_mul_f64 v[17:18], v[5:6], v[17:18]
	s_waitcnt vmcnt(60) lgkmcnt(1)
	v_mul_f64 v[109:110], v[3:4], v[13:14]
	v_mul_f64 v[13:14], v[1:2], v[13:14]
	;; [unrolled: 3-line block ×3, first 2 shown]
	v_fma_f64 v[93:94], v[5:6], v[15:16], -v[93:94]
	v_fma_f64 v[15:16], v[7:8], v[15:16], v[17:18]
	s_clause 0x2
	buffer_load_dword v98, off, s[0:3], 0 offset:476
	buffer_load_dword v18, off, s[0:3], 0 offset:452
	;; [unrolled: 1-line block ×3, first 2 shown]
	s_waitcnt vmcnt(57)
	v_fma_f64 v[109:110], v[1:2], v[9:10], -v[109:110]
	ds_read_b128 v[5:8], v70 offset:1216
	v_fma_f64 v[9:10], v[3:4], v[9:10], v[13:14]
	s_waitcnt vmcnt(51)
	v_fma_f64 v[71:72], v[71:72], v[33:34], -v[11:12]
	v_fma_f64 v[33:34], v[73:74], v[33:34], v[111:112]
	v_add_f64 v[93:94], v[93:94], 0
	v_add_f64 v[13:14], v[15:16], 0
	s_clause 0x4
	buffer_load_dword v16, off, s[0:3], 0 offset:492
	buffer_load_dword v117, off, s[0:3], 0 offset:504
	;; [unrolled: 1-line block ×5, first 2 shown]
	s_waitcnt lgkmcnt(0)
	v_mul_f64 v[129:130], v[5:6], v[21:22]
	v_mul_f64 v[21:22], v[7:8], v[21:22]
	ds_read_b128 v[1:4], v70 offset:1232
	s_clause 0x2
	buffer_load_dword v118, off, s[0:3], 0 offset:508
	buffer_load_dword v74, off, s[0:3], 0 offset:484
	;; [unrolled: 1-line block ×3, first 2 shown]
	v_add_f64 v[93:94], v[93:94], v[109:110]
	v_add_f64 v[13:14], v[13:14], v[9:10]
	ds_read_b128 v[9:12], v70 offset:1248
	s_waitcnt vmcnt(58) lgkmcnt(1)
	v_mul_f64 v[109:110], v[1:2], v[25:26]
	v_mul_f64 v[25:26], v[3:4], v[25:26]
	s_waitcnt vmcnt(56)
	v_fma_f64 v[21:22], v[5:6], v[27:28], -v[21:22]
	v_fma_f64 v[27:28], v[7:8], v[27:28], v[129:130]
	s_waitcnt vmcnt(52) lgkmcnt(0)
	v_mul_f64 v[129:130], v[9:10], v[29:30]
	v_add_f64 v[71:72], v[93:94], v[71:72]
	v_add_f64 v[13:14], v[13:14], v[33:34]
	s_clause 0x4
	buffer_load_dword v34, off, s[0:3], 0 offset:524
	buffer_load_dword v93, off, s[0:3], 0 offset:536
	;; [unrolled: 1-line block ×5, first 2 shown]
	v_mul_f64 v[29:30], v[11:12], v[29:30]
	s_waitcnt vmcnt(56)
	v_fma_f64 v[25:26], v[1:2], v[19:20], -v[25:26]
	ds_read_b128 v[5:8], v70 offset:1264
	v_fma_f64 v[19:20], v[3:4], v[19:20], v[109:110]
	v_add_f64 v[21:22], v[71:72], v[21:22]
	v_add_f64 v[13:14], v[13:14], v[27:28]
	s_clause 0x2
	buffer_load_dword v94, off, s[0:3], 0 offset:540
	buffer_load_dword v28, off, s[0:3], 0 offset:516
	;; [unrolled: 1-line block ×3, first 2 shown]
	s_waitcnt vmcnt(58) lgkmcnt(0)
	v_mul_f64 v[71:72], v[5:6], v[35:36]
	v_mul_f64 v[35:36], v[7:8], v[35:36]
	s_waitcnt vmcnt(56)
	v_fma_f64 v[29:30], v[9:10], v[37:38], -v[29:30]
	ds_read_b128 v[1:4], v70 offset:1280
	v_add_f64 v[21:22], v[21:22], v[25:26]
	v_fma_f64 v[25:26], v[11:12], v[37:38], v[129:130]
	v_add_f64 v[13:14], v[13:14], v[19:20]
	s_clause 0x4
	buffer_load_dword v20, off, s[0:3], 0 offset:556
	buffer_load_dword v37, off, s[0:3], 0 offset:568
	;; [unrolled: 1-line block ×5, first 2 shown]
	s_waitcnt vmcnt(57) lgkmcnt(0)
	v_mul_f64 v[129:130], v[1:2], v[39:40]
	v_mul_f64 v[39:40], v[3:4], v[39:40]
	s_waitcnt vmcnt(56)
	v_fma_f64 v[35:36], v[5:6], v[23:24], -v[35:36]
	ds_read_b128 v[9:12], v70 offset:1296
	v_fma_f64 v[23:24], v[7:8], v[23:24], v[71:72]
	v_add_f64 v[21:22], v[21:22], v[29:30]
	v_add_f64 v[13:14], v[13:14], v[25:26]
	s_clause 0x2
	buffer_load_dword v38, off, s[0:3], 0 offset:572
	buffer_load_dword v26, off, s[0:3], 0 offset:548
	;; [unrolled: 1-line block ×3, first 2 shown]
	ds_read_b128 v[5:8], v70 offset:1312
	s_waitcnt vmcnt(58) lgkmcnt(1)
	v_mul_f64 v[29:30], v[9:10], v[43:44]
	v_mul_f64 v[43:44], v[11:12], v[43:44]
	s_waitcnt vmcnt(56)
	v_fma_f64 v[39:40], v[1:2], v[45:46], -v[39:40]
	v_add_f64 v[21:22], v[21:22], v[35:36]
	v_fma_f64 v[35:36], v[3:4], v[45:46], v[129:130]
	v_add_f64 v[13:14], v[13:14], v[23:24]
	s_clause 0x4
	buffer_load_dword v24, off, s[0:3], 0 offset:588
	buffer_load_dword v45, off, s[0:3], 0 offset:600
	;; [unrolled: 1-line block ×5, first 2 shown]
	s_waitcnt vmcnt(57) lgkmcnt(0)
	v_mul_f64 v[129:130], v[5:6], v[47:48]
	v_mul_f64 v[47:48], v[7:8], v[47:48]
	s_waitcnt vmcnt(56)
	v_fma_f64 v[43:44], v[9:10], v[31:32], -v[43:44]
	ds_read_b128 v[1:4], v70 offset:1328
	v_fma_f64 v[29:30], v[11:12], v[31:32], v[29:30]
	s_clause 0x2
	buffer_load_dword v46, off, s[0:3], 0 offset:604
	buffer_load_dword v32, off, s[0:3], 0 offset:580
	;; [unrolled: 1-line block ×3, first 2 shown]
	ds_read_b128 v[9:12], v70 offset:1344
	v_add_f64 v[21:22], v[21:22], v[39:40]
	v_add_f64 v[13:14], v[13:14], v[35:36]
	s_waitcnt vmcnt(58) lgkmcnt(1)
	v_mul_f64 v[39:40], v[3:4], v[51:52]
	s_waitcnt vmcnt(56)
	v_fma_f64 v[47:48], v[5:6], v[53:54], -v[47:48]
	v_mul_f64 v[35:36], v[1:2], v[51:52]
	v_add_f64 v[21:22], v[21:22], v[43:44]
	v_fma_f64 v[43:44], v[7:8], v[53:54], v[129:130]
	v_add_f64 v[13:14], v[13:14], v[29:30]
	s_clause 0x4
	buffer_load_dword v30, off, s[0:3], 0 offset:620
	buffer_load_dword v51, off, s[0:3], 0 offset:632
	;; [unrolled: 1-line block ×5, first 2 shown]
	s_waitcnt vmcnt(57) lgkmcnt(0)
	v_mul_f64 v[129:130], v[9:10], v[55:56]
	v_mul_f64 v[54:55], v[11:12], v[55:56]
	s_waitcnt vmcnt(56)
	v_fma_f64 v[39:40], v[1:2], v[41:42], -v[39:40]
	ds_read_b128 v[5:8], v70 offset:1360
	v_fma_f64 v[35:36], v[3:4], v[41:42], v[35:36]
	s_clause 0x2
	buffer_load_dword v52, off, s[0:3], 0 offset:636
	buffer_load_dword v42, off, s[0:3], 0 offset:612
	buffer_load_dword v41, off, s[0:3], 0 offset:608
	ds_read_b128 v[1:4], v70 offset:1376
	v_add_f64 v[21:22], v[21:22], v[47:48]
	v_add_f64 v[13:14], v[13:14], v[43:44]
	s_waitcnt vmcnt(58) lgkmcnt(1)
	v_mul_f64 v[47:48], v[7:8], v[59:60]
	s_waitcnt vmcnt(56)
	v_fma_f64 v[55:56], v[9:10], v[61:62], -v[54:55]
	v_mul_f64 v[43:44], v[5:6], v[59:60]
	v_add_f64 v[21:22], v[21:22], v[39:40]
	v_fma_f64 v[39:40], v[11:12], v[61:62], v[129:130]
	v_add_f64 v[13:14], v[13:14], v[35:36]
	s_clause 0x4
	buffer_load_dword v36, off, s[0:3], 0 offset:652
	buffer_load_dword v59, off, s[0:3], 0 offset:664
	;; [unrolled: 1-line block ×5, first 2 shown]
	s_waitcnt vmcnt(57) lgkmcnt(0)
	v_mul_f64 v[129:130], v[1:2], v[63:64]
	v_mul_f64 v[62:63], v[3:4], v[63:64]
	s_waitcnt vmcnt(56)
	v_fma_f64 v[47:48], v[5:6], v[49:50], -v[47:48]
	ds_read_b128 v[9:12], v70 offset:1392
	v_fma_f64 v[43:44], v[7:8], v[49:50], v[43:44]
	v_add_f64 v[21:22], v[21:22], v[55:56]
	v_add_f64 v[13:14], v[13:14], v[39:40]
	s_clause 0x2
	buffer_load_dword v60, off, s[0:3], 0 offset:668
	buffer_load_dword v40, off, s[0:3], 0 offset:644
	;; [unrolled: 1-line block ×3, first 2 shown]
	ds_read_b128 v[5:8], v70 offset:1408
	s_waitcnt vmcnt(58) lgkmcnt(1)
	v_mul_f64 v[55:56], v[11:12], v[65:66]
	s_waitcnt vmcnt(56)
	v_fma_f64 v[63:64], v[1:2], v[67:68], -v[62:63]
	v_mul_f64 v[49:50], v[9:10], v[65:66]
	v_add_f64 v[21:22], v[21:22], v[47:48]
	v_fma_f64 v[47:48], v[3:4], v[67:68], v[129:130]
	v_add_f64 v[13:14], v[13:14], v[43:44]
	s_clause 0x4
	buffer_load_dword v44, off, s[0:3], 0 offset:684
	buffer_load_dword v65, off, s[0:3], 0 offset:696
	;; [unrolled: 1-line block ×5, first 2 shown]
	s_waitcnt vmcnt(57) lgkmcnt(0)
	v_mul_f64 v[129:130], v[5:6], v[95:96]
	v_mul_f64 v[95:96], v[7:8], v[95:96]
	s_waitcnt vmcnt(56)
	v_fma_f64 v[55:56], v[9:10], v[57:58], -v[55:56]
	ds_read_b128 v[1:4], v70 offset:1424
	v_fma_f64 v[49:50], v[11:12], v[57:58], v[49:50]
	v_add_f64 v[21:22], v[21:22], v[63:64]
	v_add_f64 v[13:14], v[13:14], v[47:48]
	s_clause 0x2
	buffer_load_dword v66, off, s[0:3], 0 offset:700
	buffer_load_dword v48, off, s[0:3], 0 offset:676
	;; [unrolled: 1-line block ×3, first 2 shown]
	ds_read_b128 v[9:12], v70 offset:1440
	s_waitcnt vmcnt(58) lgkmcnt(1)
	v_mul_f64 v[63:64], v[3:4], v[97:98]
	v_mul_f64 v[57:58], v[1:2], v[97:98]
	s_waitcnt vmcnt(56)
	v_fma_f64 v[95:96], v[5:6], v[17:18], -v[95:96]
	v_fma_f64 v[17:18], v[7:8], v[17:18], v[129:130]
	v_add_f64 v[21:22], v[21:22], v[55:56]
	v_add_f64 v[13:14], v[13:14], v[49:50]
	s_clause 0x4
	buffer_load_dword v50, off, s[0:3], 0 offset:716
	buffer_load_dword v55, off, s[0:3], 0 offset:728
	;; [unrolled: 1-line block ×5, first 2 shown]
	ds_read_b128 v[5:8], v70 offset:1456
	s_waitcnt vmcnt(57) lgkmcnt(1)
	v_mul_f64 v[129:130], v[9:10], v[15:16]
	v_mul_f64 v[15:16], v[11:12], v[15:16]
	s_waitcnt vmcnt(56)
	v_fma_f64 v[63:64], v[1:2], v[99:100], -v[63:64]
	v_fma_f64 v[57:58], v[3:4], v[99:100], v[57:58]
	v_add_f64 v[21:22], v[21:22], v[95:96]
	v_add_f64 v[13:14], v[13:14], v[17:18]
	s_clause 0x2
	buffer_load_dword v56, off, s[0:3], 0 offset:732
	buffer_load_dword v18, off, s[0:3], 0 offset:708
	;; [unrolled: 1-line block ×3, first 2 shown]
	s_waitcnt vmcnt(58) lgkmcnt(0)
	v_mul_f64 v[99:100], v[7:8], v[117:118]
	ds_read_b128 v[1:4], v70 offset:1472
	v_mul_f64 v[95:96], v[5:6], v[117:118]
	s_waitcnt vmcnt(56)
	v_fma_f64 v[15:16], v[9:10], v[73:74], -v[15:16]
	v_add_f64 v[21:22], v[21:22], v[63:64]
	v_fma_f64 v[63:64], v[11:12], v[73:74], v[129:130]
	v_add_f64 v[13:14], v[13:14], v[57:58]
	s_clause 0x4
	buffer_load_dword v58, off, s[0:3], 0 offset:748
	buffer_load_dword v73, off, s[0:3], 0 offset:760
	;; [unrolled: 1-line block ×5, first 2 shown]
	ds_read_b128 v[9:12], v70 offset:1488
	s_waitcnt vmcnt(57) lgkmcnt(1)
	v_mul_f64 v[129:130], v[1:2], v[33:34]
	v_mul_f64 v[33:34], v[3:4], v[33:34]
	s_waitcnt vmcnt(56)
	v_fma_f64 v[99:100], v[5:6], v[119:120], -v[99:100]
	v_add_f64 v[15:16], v[21:22], v[15:16]
	v_fma_f64 v[21:22], v[7:8], v[119:120], v[95:96]
	v_add_f64 v[13:14], v[13:14], v[63:64]
	s_clause 0x2
	buffer_load_dword v74, off, s[0:3], 0 offset:764
	buffer_load_dword v64, off, s[0:3], 0 offset:740
	;; [unrolled: 1-line block ×3, first 2 shown]
	ds_read_b128 v[5:8], v70 offset:1504
	s_waitcnt vmcnt(58) lgkmcnt(1)
	v_mul_f64 v[95:96], v[9:10], v[93:94]
	v_mul_f64 v[93:94], v[11:12], v[93:94]
	s_waitcnt vmcnt(56)
	v_fma_f64 v[33:34], v[1:2], v[27:28], -v[33:34]
	v_fma_f64 v[27:28], v[3:4], v[27:28], v[129:130]
	v_add_f64 v[15:16], v[15:16], v[99:100]
	v_add_f64 v[13:14], v[13:14], v[21:22]
	s_clause 0x4
	buffer_load_dword v22, off, s[0:3], 0 offset:780
	buffer_load_dword v99, off, s[0:3], 0 offset:792
	;; [unrolled: 1-line block ×5, first 2 shown]
	ds_read_b128 v[1:4], v70 offset:1520
	s_waitcnt vmcnt(57) lgkmcnt(1)
	v_mul_f64 v[129:130], v[5:6], v[19:20]
	v_mul_f64 v[19:20], v[7:8], v[19:20]
	s_waitcnt vmcnt(56)
	v_fma_f64 v[93:94], v[9:10], v[111:112], -v[93:94]
	v_add_f64 v[15:16], v[15:16], v[33:34]
	v_fma_f64 v[33:34], v[11:12], v[111:112], v[95:96]
	v_add_f64 v[13:14], v[13:14], v[27:28]
	s_clause 0x2
	buffer_load_dword v100, off, s[0:3], 0 offset:796
	buffer_load_dword v28, off, s[0:3], 0 offset:772
	;; [unrolled: 1-line block ×3, first 2 shown]
	ds_read_b128 v[9:12], v70 offset:1536
	s_waitcnt vmcnt(58) lgkmcnt(1)
	v_mul_f64 v[95:96], v[1:2], v[37:38]
	v_mul_f64 v[37:38], v[3:4], v[37:38]
	s_waitcnt vmcnt(56)
	v_fma_f64 v[19:20], v[5:6], v[25:26], -v[19:20]
	v_fma_f64 v[25:26], v[7:8], v[25:26], v[129:130]
	v_add_f64 v[15:16], v[15:16], v[93:94]
	v_add_f64 v[13:14], v[13:14], v[33:34]
	s_clause 0x4
	buffer_load_dword v34, off, s[0:3], 0 offset:812
	buffer_load_dword v93, off, s[0:3], 0 offset:824
	;; [unrolled: 1-line block ×5, first 2 shown]
	ds_read_b128 v[5:8], v70 offset:1552
	s_waitcnt vmcnt(57) lgkmcnt(1)
	v_mul_f64 v[129:130], v[9:10], v[23:24]
	v_mul_f64 v[23:24], v[11:12], v[23:24]
	s_waitcnt vmcnt(56)
	v_fma_f64 v[37:38], v[1:2], v[109:110], -v[37:38]
	v_add_f64 v[15:16], v[15:16], v[19:20]
	v_fma_f64 v[19:20], v[3:4], v[109:110], v[95:96]
	v_add_f64 v[13:14], v[13:14], v[25:26]
	s_clause 0x2
	buffer_load_dword v94, off, s[0:3], 0 offset:828
	buffer_load_dword v26, off, s[0:3], 0 offset:804
	;; [unrolled: 1-line block ×3, first 2 shown]
	s_waitcnt vmcnt(58) lgkmcnt(0)
	v_mul_f64 v[95:96], v[5:6], v[45:46]
	v_mul_f64 v[45:46], v[7:8], v[45:46]
	ds_read_b128 v[1:4], v70 offset:1568
	s_waitcnt vmcnt(56)
	v_fma_f64 v[23:24], v[9:10], v[31:32], -v[23:24]
	v_fma_f64 v[31:32], v[11:12], v[31:32], v[129:130]
	v_add_f64 v[15:16], v[15:16], v[37:38]
	v_add_f64 v[13:14], v[13:14], v[19:20]
	s_clause 0x4
	buffer_load_dword v20, off, s[0:3], 0 offset:844
	buffer_load_dword v37, off, s[0:3], 0 offset:856
	;; [unrolled: 1-line block ×5, first 2 shown]
	ds_read_b128 v[9:12], v70 offset:1584
	s_waitcnt vmcnt(57) lgkmcnt(1)
	v_mul_f64 v[129:130], v[1:2], v[29:30]
	v_mul_f64 v[29:30], v[3:4], v[29:30]
	s_waitcnt vmcnt(56)
	v_fma_f64 v[45:46], v[5:6], v[71:72], -v[45:46]
	v_add_f64 v[15:16], v[15:16], v[23:24]
	v_fma_f64 v[23:24], v[7:8], v[71:72], v[95:96]
	v_add_f64 v[13:14], v[13:14], v[31:32]
	s_clause 0x2
	buffer_load_dword v38, off, s[0:3], 0 offset:860
	buffer_load_dword v32, off, s[0:3], 0 offset:836
	;; [unrolled: 1-line block ×3, first 2 shown]
	s_waitcnt vmcnt(58) lgkmcnt(0)
	v_mul_f64 v[71:72], v[9:10], v[51:52]
	v_mul_f64 v[51:52], v[11:12], v[51:52]
	ds_read_b128 v[5:8], v70 offset:1600
	s_waitcnt vmcnt(56)
	v_fma_f64 v[29:30], v[1:2], v[41:42], -v[29:30]
	v_fma_f64 v[41:42], v[3:4], v[41:42], v[129:130]
	v_add_f64 v[15:16], v[15:16], v[45:46]
	v_add_f64 v[13:14], v[13:14], v[23:24]
	s_clause 0x4
	buffer_load_dword v24, off, s[0:3], 0 offset:876
	buffer_load_dword v45, off, s[0:3], 0 offset:888
	buffer_load_dword v95, off, s[0:3], 0 offset:880
	buffer_load_dword v23, off, s[0:3], 0 offset:872
	buffer_load_dword v110, off, s[0:3], 0 offset:852
	ds_read_b128 v[1:4], v70 offset:1616
	s_waitcnt vmcnt(57) lgkmcnt(1)
	v_mul_f64 v[129:130], v[5:6], v[35:36]
	v_mul_f64 v[35:36], v[7:8], v[35:36]
	s_waitcnt vmcnt(56)
	v_fma_f64 v[51:52], v[9:10], v[53:54], -v[51:52]
	v_add_f64 v[15:16], v[15:16], v[29:30]
	v_fma_f64 v[29:30], v[11:12], v[53:54], v[71:72]
	v_add_f64 v[13:14], v[13:14], v[41:42]
	s_clause 0x2
	buffer_load_dword v46, off, s[0:3], 0 offset:892
	buffer_load_dword v42, off, s[0:3], 0 offset:868
	buffer_load_dword v41, off, s[0:3], 0 offset:864
	ds_read_b128 v[9:12], v70 offset:1632
	s_waitcnt vmcnt(58) lgkmcnt(1)
	v_mul_f64 v[53:54], v[1:2], v[59:60]
	v_mul_f64 v[59:60], v[3:4], v[59:60]
	s_waitcnt vmcnt(56)
	v_fma_f64 v[35:36], v[5:6], v[39:40], -v[35:36]
	v_fma_f64 v[39:40], v[7:8], v[39:40], v[129:130]
	v_add_f64 v[15:16], v[15:16], v[51:52]
	v_add_f64 v[13:14], v[13:14], v[29:30]
	s_clause 0x4
	buffer_load_dword v30, off, s[0:3], 0 offset:908
	buffer_load_dword v51, off, s[0:3], 0 offset:920
	buffer_load_dword v71, off, s[0:3], 0 offset:912
	buffer_load_dword v29, off, s[0:3], 0 offset:904
	buffer_load_dword v96, off, s[0:3], 0 offset:884
	ds_read_b128 v[5:8], v70 offset:1648
	s_waitcnt vmcnt(57) lgkmcnt(1)
	v_mul_f64 v[129:130], v[9:10], v[43:44]
	v_mul_f64 v[43:44], v[11:12], v[43:44]
	s_waitcnt vmcnt(56)
	v_fma_f64 v[59:60], v[1:2], v[61:62], -v[59:60]
	v_add_f64 v[15:16], v[15:16], v[35:36]
	v_fma_f64 v[35:36], v[3:4], v[61:62], v[53:54]
	v_add_f64 v[13:14], v[13:14], v[39:40]
	s_clause 0x2
	buffer_load_dword v52, off, s[0:3], 0 offset:924
	buffer_load_dword v40, off, s[0:3], 0 offset:900
	buffer_load_dword v39, off, s[0:3], 0 offset:896
	ds_read_b128 v[1:4], v70 offset:1664
	s_waitcnt vmcnt(58) lgkmcnt(1)
	v_mul_f64 v[61:62], v[7:8], v[65:66]
	v_mul_f64 v[53:54], v[5:6], v[65:66]
	;; [unrolled: 28-line block ×3, first 2 shown]
	s_waitcnt vmcnt(56)
	v_fma_f64 v[49:50], v[1:2], v[17:18], -v[49:50]
	v_fma_f64 v[17:18], v[3:4], v[17:18], v[129:130]
	v_add_f64 v[15:16], v[15:16], v[61:62]
	v_add_f64 v[13:14], v[13:14], v[43:44]
	s_clause 0x4
	buffer_load_dword v44, off, s[0:3], 0 offset:972
	buffer_load_dword v61, off, s[0:3], 0 offset:984
	;; [unrolled: 1-line block ×5, first 2 shown]
	ds_read_b128 v[1:4], v70 offset:1712
	s_waitcnt vmcnt(57) lgkmcnt(1)
	v_mul_f64 v[129:130], v[5:6], v[57:58]
	v_mul_f64 v[57:58], v[7:8], v[57:58]
	s_waitcnt vmcnt(56)
	v_fma_f64 v[55:56], v[9:10], v[97:98], -v[55:56]
	v_add_f64 v[15:16], v[15:16], v[49:50]
	v_fma_f64 v[49:50], v[11:12], v[97:98], v[53:54]
	v_add_f64 v[13:14], v[13:14], v[17:18]
	s_clause 0x2
	buffer_load_dword v62, off, s[0:3], 0 offset:988
	buffer_load_dword v18, off, s[0:3], 0 offset:964
	;; [unrolled: 1-line block ×3, first 2 shown]
	ds_read_b128 v[9:12], v70 offset:1728
	buffer_load_dword v68, off, s[0:3], 0 offset:980
	s_waitcnt vmcnt(59) lgkmcnt(1)
	v_mul_f64 v[53:54], v[1:2], v[73:74]
	v_mul_f64 v[73:74], v[3:4], v[73:74]
	s_waitcnt vmcnt(57)
	v_fma_f64 v[57:58], v[5:6], v[63:64], -v[57:58]
	v_add_f64 v[15:16], v[15:16], v[55:56]
	v_fma_f64 v[55:56], v[7:8], v[63:64], v[129:130]
	v_add_f64 v[13:14], v[13:14], v[49:50]
	ds_read_b128 v[5:8], v70 offset:1744
	s_waitcnt vmcnt(53) lgkmcnt(1)
	v_mul_f64 v[49:50], v[9:10], v[21:22]
	v_mul_f64 v[21:22], v[11:12], v[21:22]
	s_waitcnt vmcnt(52)
	v_fma_f64 v[63:64], v[1:2], v[117:118], -v[73:74]
	v_fma_f64 v[53:54], v[3:4], v[117:118], v[53:54]
	ds_read_b128 v[1:4], v70 offset:1760
	v_add_f64 v[15:16], v[15:16], v[57:58]
	v_add_f64 v[13:14], v[13:14], v[55:56]
	s_waitcnt vmcnt(51) lgkmcnt(1)
	v_mul_f64 v[57:58], v[7:8], v[99:100]
	v_mul_f64 v[55:56], v[5:6], v[99:100]
	s_waitcnt vmcnt(49)
	v_fma_f64 v[21:22], v[9:10], v[27:28], -v[21:22]
	v_fma_f64 v[27:28], v[11:12], v[27:28], v[49:50]
	v_add_f64 v[15:16], v[15:16], v[63:64]
	v_add_f64 v[13:14], v[13:14], v[53:54]
	s_clause 0x3
	buffer_load_dword v49, off, s[0:3], 0 offset:192
	buffer_load_dword v50, off, s[0:3], 0 offset:196
	;; [unrolled: 1-line block ×4, first 2 shown]
	ds_read_b128 v[9:12], v70 offset:1776
	s_waitcnt vmcnt(49) lgkmcnt(1)
	v_mul_f64 v[63:64], v[1:2], v[33:34]
	v_mul_f64 v[33:34], v[3:4], v[33:34]
	s_waitcnt vmcnt(48)
	v_fma_f64 v[57:58], v[5:6], v[119:120], -v[57:58]
	v_add_f64 v[15:16], v[15:16], v[21:22]
	v_fma_f64 v[21:22], v[7:8], v[119:120], v[55:56]
	v_add_f64 v[13:14], v[13:14], v[27:28]
	ds_read_b128 v[5:8], v70 offset:1792
	s_waitcnt vmcnt(47) lgkmcnt(1)
	v_mul_f64 v[55:56], v[11:12], v[93:94]
	v_mul_f64 v[27:28], v[9:10], v[93:94]
	s_waitcnt vmcnt(45)
	v_fma_f64 v[33:34], v[1:2], v[25:26], -v[33:34]
	v_fma_f64 v[25:26], v[3:4], v[25:26], v[63:64]
	ds_read_b128 v[1:4], v70 offset:1808
	v_add_f64 v[15:16], v[15:16], v[57:58]
	v_add_f64 v[13:14], v[13:14], v[21:22]
	s_waitcnt vmcnt(41) lgkmcnt(1)
	v_mul_f64 v[21:22], v[5:6], v[19:20]
	v_mul_f64 v[19:20], v[7:8], v[19:20]
	s_waitcnt vmcnt(40)
	v_fma_f64 v[55:56], v[9:10], v[111:112], -v[55:56]
	v_fma_f64 v[27:28], v[11:12], v[111:112], v[27:28]
	ds_read_b128 v[9:12], v70 offset:1824
	v_add_f64 v[15:16], v[15:16], v[33:34]
	v_add_f64 v[13:14], v[13:14], v[25:26]
	;; [unrolled: 9-line block ×3, first 2 shown]
	s_waitcnt vmcnt(33) lgkmcnt(1)
	v_mul_f64 v[27:28], v[9:10], v[23:24]
	v_mul_f64 v[23:24], v[11:12], v[23:24]
	s_waitcnt vmcnt(32)
	v_fma_f64 v[31:32], v[1:2], v[109:110], -v[33:34]
	v_add_f64 v[15:16], v[15:16], v[19:20]
	v_fma_f64 v[19:20], v[3:4], v[109:110], v[25:26]
	v_add_f64 v[13:14], v[13:14], v[21:22]
	ds_read_b128 v[1:4], v70 offset:1856
	s_waitcnt vmcnt(31) lgkmcnt(1)
	v_mul_f64 v[25:26], v[7:8], v[45:46]
	v_mul_f64 v[21:22], v[5:6], v[45:46]
	s_waitcnt vmcnt(29)
	v_fma_f64 v[23:24], v[9:10], v[41:42], -v[23:24]
	v_fma_f64 v[27:28], v[11:12], v[41:42], v[27:28]
	ds_read_b128 v[9:12], v70 offset:1872
	v_add_f64 v[15:16], v[15:16], v[31:32]
	v_add_f64 v[13:14], v[13:14], v[19:20]
	s_waitcnt vmcnt(25) lgkmcnt(1)
	v_mul_f64 v[19:20], v[1:2], v[29:30]
	v_mul_f64 v[29:30], v[3:4], v[29:30]
	s_waitcnt vmcnt(24)
	v_fma_f64 v[25:26], v[5:6], v[95:96], -v[25:26]
	v_fma_f64 v[21:22], v[7:8], v[95:96], v[21:22]
	ds_read_b128 v[5:8], v70 offset:1888
	v_add_f64 v[15:16], v[15:16], v[23:24]
	v_add_f64 v[13:14], v[13:14], v[27:28]
	;; [unrolled: 9-line block ×3, first 2 shown]
	s_waitcnt vmcnt(17) lgkmcnt(1)
	v_mul_f64 v[25:26], v[7:8], v[35:36]
	s_waitcnt vmcnt(16)
	v_fma_f64 v[27:28], v[9:10], v[71:72], -v[27:28]
	v_mul_f64 v[21:22], v[5:6], v[35:36]
	v_fma_f64 v[23:24], v[11:12], v[71:72], v[23:24]
	ds_read_b128 v[9:12], v70 offset:1920
	v_add_f64 v[15:16], v[15:16], v[29:30]
	v_add_f64 v[13:14], v[13:14], v[19:20]
	s_waitcnt vmcnt(15) lgkmcnt(1)
	v_mul_f64 v[29:30], v[3:4], v[59:60]
	v_mul_f64 v[19:20], v[1:2], v[59:60]
	s_waitcnt vmcnt(13)
	v_fma_f64 v[25:26], v[5:6], v[47:48], -v[25:26]
	v_fma_f64 v[21:22], v[7:8], v[47:48], v[21:22]
	ds_read_b128 v[5:8], v70 offset:1936
	v_add_f64 v[15:16], v[15:16], v[27:28]
	v_add_f64 v[13:14], v[13:14], v[23:24]
	s_waitcnt vmcnt(9) lgkmcnt(1)
	v_mul_f64 v[27:28], v[11:12], v[43:44]
	s_waitcnt vmcnt(8)
	v_fma_f64 v[1:2], v[1:2], v[65:66], -v[29:30]
	v_mul_f64 v[23:24], v[9:10], v[43:44]
	v_fma_f64 v[3:4], v[3:4], v[65:66], v[19:20]
	v_add_f64 v[15:16], v[15:16], v[25:26]
	v_add_f64 v[13:14], v[13:14], v[21:22]
	s_waitcnt vmcnt(7) lgkmcnt(0)
	v_mul_f64 v[21:22], v[7:8], v[61:62]
	v_mul_f64 v[19:20], v[5:6], v[61:62]
	s_waitcnt vmcnt(5)
	v_fma_f64 v[9:10], v[9:10], v[17:18], -v[27:28]
	v_fma_f64 v[11:12], v[11:12], v[17:18], v[23:24]
	v_add_f64 v[1:2], v[15:16], v[1:2]
	v_add_f64 v[3:4], v[13:14], v[3:4]
	s_waitcnt vmcnt(4)
	v_fma_f64 v[5:6], v[5:6], v[67:68], -v[21:22]
	v_fma_f64 v[7:8], v[7:8], v[67:68], v[19:20]
	v_add_f64 v[1:2], v[1:2], v[9:10]
	v_add_f64 v[3:4], v[3:4], v[11:12]
	;; [unrolled: 1-line block ×4, first 2 shown]
	s_waitcnt vmcnt(2)
	v_add_f64 v[1:2], v[49:50], -v[1:2]
	s_waitcnt vmcnt(0)
	v_add_f64 v[3:4], v[53:54], -v[3:4]
	buffer_store_dword v2, off, s[0:3], 0 offset:196
	buffer_store_dword v1, off, s[0:3], 0 offset:192
	;; [unrolled: 1-line block ×4, first 2 shown]
	v_cmpx_lt_u32_e32 10, v0
	s_cbranch_execz .LBB60_371
; %bb.370:
	v_mov_b32_e32 v4, s57
	s_clause 0x3
	buffer_load_dword v1, v4, s[0:3], 0 offen
	buffer_load_dword v2, v4, s[0:3], 0 offen offset:4
	buffer_load_dword v3, v4, s[0:3], 0 offen offset:8
	;; [unrolled: 1-line block ×3, first 2 shown]
	buffer_store_dword v70, off, s[0:3], 0 offset:176
	buffer_store_dword v70, off, s[0:3], 0 offset:180
	;; [unrolled: 1-line block ×4, first 2 shown]
	s_waitcnt vmcnt(0)
	ds_write_b128 v69, v[1:4]
.LBB60_371:
	s_or_b32 exec_lo, exec_lo, s4
	s_waitcnt lgkmcnt(0)
	s_waitcnt_vscnt null, 0x0
	s_barrier
	buffer_gl0_inv
	s_clause 0x37
	buffer_load_dword v17, off, s[0:3], 0 offset:200
	buffer_load_dword v18, off, s[0:3], 0 offset:204
	;; [unrolled: 1-line block ×56, first 2 shown]
	ds_read_b128 v[5:8], v70 offset:1152
	s_clause 0x2
	buffer_load_dword v66, off, s[0:3], 0 offset:428
	buffer_load_dword v68, off, s[0:3], 0 offset:404
	;; [unrolled: 1-line block ×3, first 2 shown]
	ds_read_b128 v[1:4], v70 offset:1168
	s_clause 0x4
	buffer_load_dword v96, off, s[0:3], 0 offset:444
	buffer_load_dword v97, off, s[0:3], 0 offset:456
	;; [unrolled: 1-line block ×5, first 2 shown]
	ds_read_b128 v[71:74], v70 offset:1184
	s_mov_b32 s4, exec_lo
	s_waitcnt vmcnt(62) lgkmcnt(2)
	v_mul_f64 v[93:94], v[7:8], v[17:18]
	v_mul_f64 v[17:18], v[5:6], v[17:18]
	s_waitcnt vmcnt(60) lgkmcnt(1)
	v_mul_f64 v[109:110], v[3:4], v[13:14]
	v_mul_f64 v[13:14], v[1:2], v[13:14]
	s_waitcnt vmcnt(56) lgkmcnt(0)
	v_mul_f64 v[111:112], v[71:72], v[11:12]
	v_mul_f64 v[11:12], v[73:74], v[11:12]
	v_fma_f64 v[93:94], v[5:6], v[15:16], -v[93:94]
	v_fma_f64 v[15:16], v[7:8], v[15:16], v[17:18]
	s_clause 0x2
	buffer_load_dword v98, off, s[0:3], 0 offset:460
	buffer_load_dword v18, off, s[0:3], 0 offset:436
	;; [unrolled: 1-line block ×3, first 2 shown]
	s_waitcnt vmcnt(57)
	v_fma_f64 v[109:110], v[1:2], v[9:10], -v[109:110]
	ds_read_b128 v[5:8], v70 offset:1200
	v_fma_f64 v[9:10], v[3:4], v[9:10], v[13:14]
	s_waitcnt vmcnt(51)
	v_fma_f64 v[71:72], v[71:72], v[33:34], -v[11:12]
	v_fma_f64 v[33:34], v[73:74], v[33:34], v[111:112]
	v_add_f64 v[93:94], v[93:94], 0
	v_add_f64 v[13:14], v[15:16], 0
	s_clause 0x4
	buffer_load_dword v16, off, s[0:3], 0 offset:476
	buffer_load_dword v117, off, s[0:3], 0 offset:488
	;; [unrolled: 1-line block ×5, first 2 shown]
	s_waitcnt lgkmcnt(0)
	v_mul_f64 v[129:130], v[5:6], v[21:22]
	v_mul_f64 v[21:22], v[7:8], v[21:22]
	ds_read_b128 v[1:4], v70 offset:1216
	s_clause 0x2
	buffer_load_dword v118, off, s[0:3], 0 offset:492
	buffer_load_dword v74, off, s[0:3], 0 offset:468
	;; [unrolled: 1-line block ×3, first 2 shown]
	v_add_f64 v[93:94], v[93:94], v[109:110]
	v_add_f64 v[13:14], v[13:14], v[9:10]
	ds_read_b128 v[9:12], v70 offset:1232
	s_waitcnt vmcnt(58) lgkmcnt(1)
	v_mul_f64 v[109:110], v[1:2], v[25:26]
	v_mul_f64 v[25:26], v[3:4], v[25:26]
	s_waitcnt vmcnt(56)
	v_fma_f64 v[21:22], v[5:6], v[27:28], -v[21:22]
	v_fma_f64 v[27:28], v[7:8], v[27:28], v[129:130]
	s_waitcnt vmcnt(52) lgkmcnt(0)
	v_mul_f64 v[129:130], v[9:10], v[29:30]
	v_add_f64 v[71:72], v[93:94], v[71:72]
	v_add_f64 v[13:14], v[13:14], v[33:34]
	s_clause 0x4
	buffer_load_dword v34, off, s[0:3], 0 offset:508
	buffer_load_dword v93, off, s[0:3], 0 offset:520
	;; [unrolled: 1-line block ×5, first 2 shown]
	v_mul_f64 v[29:30], v[11:12], v[29:30]
	s_waitcnt vmcnt(56)
	v_fma_f64 v[25:26], v[1:2], v[19:20], -v[25:26]
	ds_read_b128 v[5:8], v70 offset:1248
	v_fma_f64 v[19:20], v[3:4], v[19:20], v[109:110]
	v_add_f64 v[21:22], v[71:72], v[21:22]
	v_add_f64 v[13:14], v[13:14], v[27:28]
	s_clause 0x2
	buffer_load_dword v94, off, s[0:3], 0 offset:524
	buffer_load_dword v28, off, s[0:3], 0 offset:500
	;; [unrolled: 1-line block ×3, first 2 shown]
	s_waitcnt vmcnt(58) lgkmcnt(0)
	v_mul_f64 v[71:72], v[5:6], v[35:36]
	v_mul_f64 v[35:36], v[7:8], v[35:36]
	s_waitcnt vmcnt(56)
	v_fma_f64 v[29:30], v[9:10], v[37:38], -v[29:30]
	ds_read_b128 v[1:4], v70 offset:1264
	v_add_f64 v[21:22], v[21:22], v[25:26]
	v_fma_f64 v[25:26], v[11:12], v[37:38], v[129:130]
	v_add_f64 v[13:14], v[13:14], v[19:20]
	s_clause 0x4
	buffer_load_dword v20, off, s[0:3], 0 offset:540
	buffer_load_dword v37, off, s[0:3], 0 offset:552
	buffer_load_dword v109, off, s[0:3], 0 offset:544
	buffer_load_dword v19, off, s[0:3], 0 offset:536
	buffer_load_dword v112, off, s[0:3], 0 offset:516
	s_waitcnt vmcnt(57) lgkmcnt(0)
	v_mul_f64 v[129:130], v[1:2], v[39:40]
	v_mul_f64 v[39:40], v[3:4], v[39:40]
	s_waitcnt vmcnt(56)
	v_fma_f64 v[35:36], v[5:6], v[23:24], -v[35:36]
	ds_read_b128 v[9:12], v70 offset:1280
	v_fma_f64 v[23:24], v[7:8], v[23:24], v[71:72]
	v_add_f64 v[21:22], v[21:22], v[29:30]
	v_add_f64 v[13:14], v[13:14], v[25:26]
	s_clause 0x2
	buffer_load_dword v38, off, s[0:3], 0 offset:556
	buffer_load_dword v26, off, s[0:3], 0 offset:532
	;; [unrolled: 1-line block ×3, first 2 shown]
	ds_read_b128 v[5:8], v70 offset:1296
	s_waitcnt vmcnt(58) lgkmcnt(1)
	v_mul_f64 v[29:30], v[9:10], v[43:44]
	v_mul_f64 v[43:44], v[11:12], v[43:44]
	s_waitcnt vmcnt(56)
	v_fma_f64 v[39:40], v[1:2], v[45:46], -v[39:40]
	v_add_f64 v[21:22], v[21:22], v[35:36]
	v_fma_f64 v[35:36], v[3:4], v[45:46], v[129:130]
	v_add_f64 v[13:14], v[13:14], v[23:24]
	s_clause 0x4
	buffer_load_dword v24, off, s[0:3], 0 offset:572
	buffer_load_dword v45, off, s[0:3], 0 offset:584
	;; [unrolled: 1-line block ×5, first 2 shown]
	s_waitcnt vmcnt(57) lgkmcnt(0)
	v_mul_f64 v[129:130], v[5:6], v[47:48]
	v_mul_f64 v[47:48], v[7:8], v[47:48]
	s_waitcnt vmcnt(56)
	v_fma_f64 v[43:44], v[9:10], v[31:32], -v[43:44]
	ds_read_b128 v[1:4], v70 offset:1312
	v_fma_f64 v[29:30], v[11:12], v[31:32], v[29:30]
	s_clause 0x2
	buffer_load_dword v46, off, s[0:3], 0 offset:588
	buffer_load_dword v32, off, s[0:3], 0 offset:564
	;; [unrolled: 1-line block ×3, first 2 shown]
	ds_read_b128 v[9:12], v70 offset:1328
	v_add_f64 v[21:22], v[21:22], v[39:40]
	v_add_f64 v[13:14], v[13:14], v[35:36]
	s_waitcnt vmcnt(58) lgkmcnt(1)
	v_mul_f64 v[39:40], v[3:4], v[51:52]
	s_waitcnt vmcnt(56)
	v_fma_f64 v[47:48], v[5:6], v[53:54], -v[47:48]
	v_mul_f64 v[35:36], v[1:2], v[51:52]
	v_add_f64 v[21:22], v[21:22], v[43:44]
	v_fma_f64 v[43:44], v[7:8], v[53:54], v[129:130]
	v_add_f64 v[13:14], v[13:14], v[29:30]
	s_clause 0x4
	buffer_load_dword v30, off, s[0:3], 0 offset:604
	buffer_load_dword v51, off, s[0:3], 0 offset:616
	;; [unrolled: 1-line block ×5, first 2 shown]
	s_waitcnt vmcnt(57) lgkmcnt(0)
	v_mul_f64 v[129:130], v[9:10], v[55:56]
	v_mul_f64 v[54:55], v[11:12], v[55:56]
	s_waitcnt vmcnt(56)
	v_fma_f64 v[39:40], v[1:2], v[41:42], -v[39:40]
	ds_read_b128 v[5:8], v70 offset:1344
	v_fma_f64 v[35:36], v[3:4], v[41:42], v[35:36]
	s_clause 0x2
	buffer_load_dword v52, off, s[0:3], 0 offset:620
	buffer_load_dword v42, off, s[0:3], 0 offset:596
	;; [unrolled: 1-line block ×3, first 2 shown]
	ds_read_b128 v[1:4], v70 offset:1360
	v_add_f64 v[21:22], v[21:22], v[47:48]
	v_add_f64 v[13:14], v[13:14], v[43:44]
	s_waitcnt vmcnt(58) lgkmcnt(1)
	v_mul_f64 v[47:48], v[7:8], v[59:60]
	s_waitcnt vmcnt(56)
	v_fma_f64 v[55:56], v[9:10], v[61:62], -v[54:55]
	v_mul_f64 v[43:44], v[5:6], v[59:60]
	v_add_f64 v[21:22], v[21:22], v[39:40]
	v_fma_f64 v[39:40], v[11:12], v[61:62], v[129:130]
	v_add_f64 v[13:14], v[13:14], v[35:36]
	s_clause 0x4
	buffer_load_dword v36, off, s[0:3], 0 offset:636
	buffer_load_dword v59, off, s[0:3], 0 offset:648
	;; [unrolled: 1-line block ×5, first 2 shown]
	s_waitcnt vmcnt(57) lgkmcnt(0)
	v_mul_f64 v[129:130], v[1:2], v[63:64]
	v_mul_f64 v[62:63], v[3:4], v[63:64]
	s_waitcnt vmcnt(56)
	v_fma_f64 v[47:48], v[5:6], v[49:50], -v[47:48]
	ds_read_b128 v[9:12], v70 offset:1376
	v_fma_f64 v[43:44], v[7:8], v[49:50], v[43:44]
	v_add_f64 v[21:22], v[21:22], v[55:56]
	v_add_f64 v[13:14], v[13:14], v[39:40]
	s_clause 0x2
	buffer_load_dword v60, off, s[0:3], 0 offset:652
	buffer_load_dword v40, off, s[0:3], 0 offset:628
	;; [unrolled: 1-line block ×3, first 2 shown]
	ds_read_b128 v[5:8], v70 offset:1392
	s_waitcnt vmcnt(58) lgkmcnt(1)
	v_mul_f64 v[55:56], v[11:12], v[65:66]
	s_waitcnt vmcnt(56)
	v_fma_f64 v[63:64], v[1:2], v[67:68], -v[62:63]
	v_mul_f64 v[49:50], v[9:10], v[65:66]
	v_add_f64 v[21:22], v[21:22], v[47:48]
	v_fma_f64 v[47:48], v[3:4], v[67:68], v[129:130]
	v_add_f64 v[13:14], v[13:14], v[43:44]
	s_clause 0x4
	buffer_load_dword v44, off, s[0:3], 0 offset:668
	buffer_load_dword v65, off, s[0:3], 0 offset:680
	;; [unrolled: 1-line block ×5, first 2 shown]
	s_waitcnt vmcnt(57) lgkmcnt(0)
	v_mul_f64 v[129:130], v[5:6], v[95:96]
	v_mul_f64 v[95:96], v[7:8], v[95:96]
	s_waitcnt vmcnt(56)
	v_fma_f64 v[55:56], v[9:10], v[57:58], -v[55:56]
	ds_read_b128 v[1:4], v70 offset:1408
	v_fma_f64 v[49:50], v[11:12], v[57:58], v[49:50]
	v_add_f64 v[21:22], v[21:22], v[63:64]
	v_add_f64 v[13:14], v[13:14], v[47:48]
	s_clause 0x2
	buffer_load_dword v66, off, s[0:3], 0 offset:684
	buffer_load_dword v48, off, s[0:3], 0 offset:660
	;; [unrolled: 1-line block ×3, first 2 shown]
	ds_read_b128 v[9:12], v70 offset:1424
	s_waitcnt vmcnt(58) lgkmcnt(1)
	v_mul_f64 v[63:64], v[3:4], v[97:98]
	v_mul_f64 v[57:58], v[1:2], v[97:98]
	s_waitcnt vmcnt(56)
	v_fma_f64 v[95:96], v[5:6], v[17:18], -v[95:96]
	v_fma_f64 v[17:18], v[7:8], v[17:18], v[129:130]
	v_add_f64 v[21:22], v[21:22], v[55:56]
	v_add_f64 v[13:14], v[13:14], v[49:50]
	s_clause 0x4
	buffer_load_dword v50, off, s[0:3], 0 offset:700
	buffer_load_dword v55, off, s[0:3], 0 offset:712
	;; [unrolled: 1-line block ×5, first 2 shown]
	ds_read_b128 v[5:8], v70 offset:1440
	s_waitcnt vmcnt(57) lgkmcnt(1)
	v_mul_f64 v[129:130], v[9:10], v[15:16]
	v_mul_f64 v[15:16], v[11:12], v[15:16]
	s_waitcnt vmcnt(56)
	v_fma_f64 v[63:64], v[1:2], v[99:100], -v[63:64]
	v_fma_f64 v[57:58], v[3:4], v[99:100], v[57:58]
	v_add_f64 v[21:22], v[21:22], v[95:96]
	v_add_f64 v[13:14], v[13:14], v[17:18]
	s_clause 0x2
	buffer_load_dword v56, off, s[0:3], 0 offset:716
	buffer_load_dword v18, off, s[0:3], 0 offset:692
	buffer_load_dword v17, off, s[0:3], 0 offset:688
	s_waitcnt vmcnt(58) lgkmcnt(0)
	v_mul_f64 v[99:100], v[7:8], v[117:118]
	ds_read_b128 v[1:4], v70 offset:1456
	v_mul_f64 v[95:96], v[5:6], v[117:118]
	s_waitcnt vmcnt(56)
	v_fma_f64 v[15:16], v[9:10], v[73:74], -v[15:16]
	v_add_f64 v[21:22], v[21:22], v[63:64]
	v_fma_f64 v[63:64], v[11:12], v[73:74], v[129:130]
	v_add_f64 v[13:14], v[13:14], v[57:58]
	s_clause 0x4
	buffer_load_dword v58, off, s[0:3], 0 offset:732
	buffer_load_dword v73, off, s[0:3], 0 offset:744
	;; [unrolled: 1-line block ×5, first 2 shown]
	ds_read_b128 v[9:12], v70 offset:1472
	s_waitcnt vmcnt(57) lgkmcnt(1)
	v_mul_f64 v[129:130], v[1:2], v[33:34]
	v_mul_f64 v[33:34], v[3:4], v[33:34]
	s_waitcnt vmcnt(56)
	v_fma_f64 v[99:100], v[5:6], v[119:120], -v[99:100]
	v_add_f64 v[15:16], v[21:22], v[15:16]
	v_fma_f64 v[21:22], v[7:8], v[119:120], v[95:96]
	v_add_f64 v[13:14], v[13:14], v[63:64]
	s_clause 0x2
	buffer_load_dword v74, off, s[0:3], 0 offset:748
	buffer_load_dword v64, off, s[0:3], 0 offset:724
	;; [unrolled: 1-line block ×3, first 2 shown]
	ds_read_b128 v[5:8], v70 offset:1488
	s_waitcnt vmcnt(58) lgkmcnt(1)
	v_mul_f64 v[95:96], v[9:10], v[93:94]
	v_mul_f64 v[93:94], v[11:12], v[93:94]
	s_waitcnt vmcnt(56)
	v_fma_f64 v[33:34], v[1:2], v[27:28], -v[33:34]
	v_fma_f64 v[27:28], v[3:4], v[27:28], v[129:130]
	v_add_f64 v[15:16], v[15:16], v[99:100]
	v_add_f64 v[13:14], v[13:14], v[21:22]
	s_clause 0x4
	buffer_load_dword v22, off, s[0:3], 0 offset:764
	buffer_load_dword v99, off, s[0:3], 0 offset:776
	;; [unrolled: 1-line block ×5, first 2 shown]
	ds_read_b128 v[1:4], v70 offset:1504
	s_waitcnt vmcnt(57) lgkmcnt(1)
	v_mul_f64 v[129:130], v[5:6], v[19:20]
	v_mul_f64 v[19:20], v[7:8], v[19:20]
	s_waitcnt vmcnt(56)
	v_fma_f64 v[93:94], v[9:10], v[111:112], -v[93:94]
	v_add_f64 v[15:16], v[15:16], v[33:34]
	v_fma_f64 v[33:34], v[11:12], v[111:112], v[95:96]
	v_add_f64 v[13:14], v[13:14], v[27:28]
	s_clause 0x2
	buffer_load_dword v100, off, s[0:3], 0 offset:780
	buffer_load_dword v28, off, s[0:3], 0 offset:756
	;; [unrolled: 1-line block ×3, first 2 shown]
	ds_read_b128 v[9:12], v70 offset:1520
	s_waitcnt vmcnt(58) lgkmcnt(1)
	v_mul_f64 v[95:96], v[1:2], v[37:38]
	v_mul_f64 v[37:38], v[3:4], v[37:38]
	s_waitcnt vmcnt(56)
	v_fma_f64 v[19:20], v[5:6], v[25:26], -v[19:20]
	v_fma_f64 v[25:26], v[7:8], v[25:26], v[129:130]
	v_add_f64 v[15:16], v[15:16], v[93:94]
	v_add_f64 v[13:14], v[13:14], v[33:34]
	s_clause 0x4
	buffer_load_dword v34, off, s[0:3], 0 offset:796
	buffer_load_dword v93, off, s[0:3], 0 offset:808
	;; [unrolled: 1-line block ×5, first 2 shown]
	ds_read_b128 v[5:8], v70 offset:1536
	s_waitcnt vmcnt(57) lgkmcnt(1)
	v_mul_f64 v[129:130], v[9:10], v[23:24]
	v_mul_f64 v[23:24], v[11:12], v[23:24]
	s_waitcnt vmcnt(56)
	v_fma_f64 v[37:38], v[1:2], v[109:110], -v[37:38]
	v_add_f64 v[15:16], v[15:16], v[19:20]
	v_fma_f64 v[19:20], v[3:4], v[109:110], v[95:96]
	v_add_f64 v[13:14], v[13:14], v[25:26]
	s_clause 0x2
	buffer_load_dword v94, off, s[0:3], 0 offset:812
	buffer_load_dword v26, off, s[0:3], 0 offset:788
	;; [unrolled: 1-line block ×3, first 2 shown]
	s_waitcnt vmcnt(58) lgkmcnt(0)
	v_mul_f64 v[95:96], v[5:6], v[45:46]
	v_mul_f64 v[45:46], v[7:8], v[45:46]
	ds_read_b128 v[1:4], v70 offset:1552
	s_waitcnt vmcnt(56)
	v_fma_f64 v[23:24], v[9:10], v[31:32], -v[23:24]
	v_fma_f64 v[31:32], v[11:12], v[31:32], v[129:130]
	v_add_f64 v[15:16], v[15:16], v[37:38]
	v_add_f64 v[13:14], v[13:14], v[19:20]
	s_clause 0x4
	buffer_load_dword v20, off, s[0:3], 0 offset:828
	buffer_load_dword v37, off, s[0:3], 0 offset:840
	;; [unrolled: 1-line block ×5, first 2 shown]
	ds_read_b128 v[9:12], v70 offset:1568
	s_waitcnt vmcnt(57) lgkmcnt(1)
	v_mul_f64 v[129:130], v[1:2], v[29:30]
	v_mul_f64 v[29:30], v[3:4], v[29:30]
	s_waitcnt vmcnt(56)
	v_fma_f64 v[45:46], v[5:6], v[71:72], -v[45:46]
	v_add_f64 v[15:16], v[15:16], v[23:24]
	v_fma_f64 v[23:24], v[7:8], v[71:72], v[95:96]
	v_add_f64 v[13:14], v[13:14], v[31:32]
	s_clause 0x2
	buffer_load_dword v38, off, s[0:3], 0 offset:844
	buffer_load_dword v32, off, s[0:3], 0 offset:820
	;; [unrolled: 1-line block ×3, first 2 shown]
	s_waitcnt vmcnt(58) lgkmcnt(0)
	v_mul_f64 v[71:72], v[9:10], v[51:52]
	v_mul_f64 v[51:52], v[11:12], v[51:52]
	ds_read_b128 v[5:8], v70 offset:1584
	s_waitcnt vmcnt(56)
	v_fma_f64 v[29:30], v[1:2], v[41:42], -v[29:30]
	v_fma_f64 v[41:42], v[3:4], v[41:42], v[129:130]
	v_add_f64 v[15:16], v[15:16], v[45:46]
	v_add_f64 v[13:14], v[13:14], v[23:24]
	s_clause 0x4
	buffer_load_dword v24, off, s[0:3], 0 offset:860
	buffer_load_dword v45, off, s[0:3], 0 offset:872
	buffer_load_dword v95, off, s[0:3], 0 offset:864
	buffer_load_dword v23, off, s[0:3], 0 offset:856
	buffer_load_dword v110, off, s[0:3], 0 offset:836
	ds_read_b128 v[1:4], v70 offset:1600
	s_waitcnt vmcnt(57) lgkmcnt(1)
	v_mul_f64 v[129:130], v[5:6], v[35:36]
	v_mul_f64 v[35:36], v[7:8], v[35:36]
	s_waitcnt vmcnt(56)
	v_fma_f64 v[51:52], v[9:10], v[53:54], -v[51:52]
	v_add_f64 v[15:16], v[15:16], v[29:30]
	v_fma_f64 v[29:30], v[11:12], v[53:54], v[71:72]
	v_add_f64 v[13:14], v[13:14], v[41:42]
	s_clause 0x2
	buffer_load_dword v46, off, s[0:3], 0 offset:876
	buffer_load_dword v42, off, s[0:3], 0 offset:852
	buffer_load_dword v41, off, s[0:3], 0 offset:848
	ds_read_b128 v[9:12], v70 offset:1616
	s_waitcnt vmcnt(58) lgkmcnt(1)
	v_mul_f64 v[53:54], v[1:2], v[59:60]
	v_mul_f64 v[59:60], v[3:4], v[59:60]
	s_waitcnt vmcnt(56)
	v_fma_f64 v[35:36], v[5:6], v[39:40], -v[35:36]
	v_fma_f64 v[39:40], v[7:8], v[39:40], v[129:130]
	v_add_f64 v[15:16], v[15:16], v[51:52]
	v_add_f64 v[13:14], v[13:14], v[29:30]
	s_clause 0x4
	buffer_load_dword v30, off, s[0:3], 0 offset:892
	buffer_load_dword v51, off, s[0:3], 0 offset:904
	buffer_load_dword v71, off, s[0:3], 0 offset:896
	buffer_load_dword v29, off, s[0:3], 0 offset:888
	buffer_load_dword v96, off, s[0:3], 0 offset:868
	ds_read_b128 v[5:8], v70 offset:1632
	s_waitcnt vmcnt(57) lgkmcnt(1)
	v_mul_f64 v[129:130], v[9:10], v[43:44]
	v_mul_f64 v[43:44], v[11:12], v[43:44]
	s_waitcnt vmcnt(56)
	v_fma_f64 v[59:60], v[1:2], v[61:62], -v[59:60]
	v_add_f64 v[15:16], v[15:16], v[35:36]
	v_fma_f64 v[35:36], v[3:4], v[61:62], v[53:54]
	v_add_f64 v[13:14], v[13:14], v[39:40]
	s_clause 0x2
	buffer_load_dword v52, off, s[0:3], 0 offset:908
	buffer_load_dword v40, off, s[0:3], 0 offset:884
	buffer_load_dword v39, off, s[0:3], 0 offset:880
	ds_read_b128 v[1:4], v70 offset:1648
	s_waitcnt vmcnt(58) lgkmcnt(1)
	v_mul_f64 v[61:62], v[7:8], v[65:66]
	v_mul_f64 v[53:54], v[5:6], v[65:66]
	;; [unrolled: 28-line block ×4, first 2 shown]
	s_waitcnt vmcnt(56)
	v_fma_f64 v[57:58], v[5:6], v[63:64], -v[57:58]
	v_add_f64 v[15:16], v[15:16], v[55:56]
	v_fma_f64 v[55:56], v[7:8], v[63:64], v[129:130]
	v_add_f64 v[13:14], v[13:14], v[49:50]
	s_clause 0x2
	buffer_load_dword v50, off, s[0:3], 0 offset:988
	buffer_load_dword v49, off, s[0:3], 0 offset:984
	;; [unrolled: 1-line block ×3, first 2 shown]
	ds_read_b128 v[5:8], v70 offset:1728
	s_waitcnt vmcnt(55) lgkmcnt(1)
	v_mul_f64 v[63:64], v[9:10], v[21:22]
	v_mul_f64 v[21:22], v[11:12], v[21:22]
	s_waitcnt vmcnt(54)
	v_fma_f64 v[73:74], v[1:2], v[117:118], -v[73:74]
	v_fma_f64 v[53:54], v[3:4], v[117:118], v[53:54]
	v_add_f64 v[15:16], v[15:16], v[57:58]
	v_add_f64 v[13:14], v[13:14], v[55:56]
	s_clause 0x1
	buffer_load_dword v56, off, s[0:3], 0 offset:980
	buffer_load_dword v55, off, s[0:3], 0 offset:976
	ds_read_b128 v[1:4], v70 offset:1744
	s_waitcnt vmcnt(55) lgkmcnt(1)
	v_mul_f64 v[97:98], v[7:8], v[99:100]
	v_mul_f64 v[57:58], v[5:6], v[99:100]
	s_waitcnt vmcnt(53)
	v_fma_f64 v[21:22], v[9:10], v[27:28], -v[21:22]
	v_fma_f64 v[27:28], v[11:12], v[27:28], v[63:64]
	ds_read_b128 v[9:12], v70 offset:1760
	v_add_f64 v[15:16], v[15:16], v[73:74]
	v_add_f64 v[13:14], v[13:14], v[53:54]
	s_waitcnt vmcnt(49) lgkmcnt(1)
	v_mul_f64 v[53:54], v[1:2], v[33:34]
	v_mul_f64 v[33:34], v[3:4], v[33:34]
	s_waitcnt vmcnt(48)
	v_fma_f64 v[63:64], v[5:6], v[119:120], -v[97:98]
	v_add_f64 v[15:16], v[15:16], v[21:22]
	v_fma_f64 v[21:22], v[7:8], v[119:120], v[57:58]
	v_add_f64 v[13:14], v[13:14], v[27:28]
	s_clause 0x3
	buffer_load_dword v27, off, s[0:3], 0 offset:176
	buffer_load_dword v28, off, s[0:3], 0 offset:180
	;; [unrolled: 1-line block ×4, first 2 shown]
	ds_read_b128 v[5:8], v70 offset:1776
	s_waitcnt vmcnt(51) lgkmcnt(1)
	v_mul_f64 v[73:74], v[9:10], v[93:94]
	v_mul_f64 v[93:94], v[11:12], v[93:94]
	s_waitcnt vmcnt(49)
	v_fma_f64 v[33:34], v[1:2], v[25:26], -v[33:34]
	v_fma_f64 v[25:26], v[3:4], v[25:26], v[53:54]
	ds_read_b128 v[1:4], v70 offset:1792
	v_add_f64 v[15:16], v[15:16], v[63:64]
	v_add_f64 v[13:14], v[13:14], v[21:22]
	s_waitcnt vmcnt(45) lgkmcnt(1)
	v_mul_f64 v[21:22], v[5:6], v[19:20]
	v_mul_f64 v[19:20], v[7:8], v[19:20]
	s_waitcnt vmcnt(44)
	v_fma_f64 v[53:54], v[9:10], v[111:112], -v[93:94]
	v_add_f64 v[15:16], v[15:16], v[33:34]
	v_fma_f64 v[33:34], v[11:12], v[111:112], v[73:74]
	v_add_f64 v[13:14], v[13:14], v[25:26]
	ds_read_b128 v[9:12], v70 offset:1808
	s_waitcnt vmcnt(43) lgkmcnt(1)
	v_mul_f64 v[25:26], v[1:2], v[37:38]
	v_mul_f64 v[37:38], v[3:4], v[37:38]
	s_waitcnt vmcnt(41)
	v_fma_f64 v[19:20], v[5:6], v[31:32], -v[19:20]
	v_fma_f64 v[21:22], v[7:8], v[31:32], v[21:22]
	ds_read_b128 v[5:8], v70 offset:1824
	v_add_f64 v[15:16], v[15:16], v[53:54]
	v_add_f64 v[13:14], v[13:14], v[33:34]
	s_waitcnt vmcnt(37) lgkmcnt(1)
	v_mul_f64 v[31:32], v[9:10], v[23:24]
	v_mul_f64 v[23:24], v[11:12], v[23:24]
	s_waitcnt vmcnt(36)
	v_fma_f64 v[33:34], v[1:2], v[109:110], -v[37:38]
	v_add_f64 v[15:16], v[15:16], v[19:20]
	v_fma_f64 v[19:20], v[3:4], v[109:110], v[25:26]
	v_add_f64 v[13:14], v[13:14], v[21:22]
	ds_read_b128 v[1:4], v70 offset:1840
	s_waitcnt vmcnt(35) lgkmcnt(1)
	v_mul_f64 v[25:26], v[7:8], v[45:46]
	v_mul_f64 v[21:22], v[5:6], v[45:46]
	s_waitcnt vmcnt(33)
	v_fma_f64 v[23:24], v[9:10], v[41:42], -v[23:24]
	v_fma_f64 v[31:32], v[11:12], v[41:42], v[31:32]
	ds_read_b128 v[9:12], v70 offset:1856
	v_add_f64 v[15:16], v[15:16], v[33:34]
	v_add_f64 v[13:14], v[13:14], v[19:20]
	s_waitcnt vmcnt(29) lgkmcnt(1)
	v_mul_f64 v[19:20], v[1:2], v[29:30]
	v_mul_f64 v[29:30], v[3:4], v[29:30]
	s_waitcnt vmcnt(28)
	v_fma_f64 v[25:26], v[5:6], v[95:96], -v[25:26]
	v_fma_f64 v[21:22], v[7:8], v[95:96], v[21:22]
	ds_read_b128 v[5:8], v70 offset:1872
	v_add_f64 v[15:16], v[15:16], v[23:24]
	v_add_f64 v[13:14], v[13:14], v[31:32]
	;; [unrolled: 9-line block ×3, first 2 shown]
	s_waitcnt vmcnt(21) lgkmcnt(1)
	v_mul_f64 v[25:26], v[7:8], v[35:36]
	s_waitcnt vmcnt(20)
	v_fma_f64 v[31:32], v[9:10], v[71:72], -v[31:32]
	v_mul_f64 v[21:22], v[5:6], v[35:36]
	v_fma_f64 v[23:24], v[11:12], v[71:72], v[23:24]
	ds_read_b128 v[9:12], v70 offset:1904
	v_add_f64 v[15:16], v[15:16], v[29:30]
	v_add_f64 v[13:14], v[13:14], v[19:20]
	s_waitcnt vmcnt(19) lgkmcnt(1)
	v_mul_f64 v[29:30], v[3:4], v[59:60]
	v_mul_f64 v[19:20], v[1:2], v[59:60]
	s_waitcnt vmcnt(17)
	v_fma_f64 v[25:26], v[5:6], v[47:48], -v[25:26]
	v_fma_f64 v[21:22], v[7:8], v[47:48], v[21:22]
	ds_read_b128 v[5:8], v70 offset:1920
	v_add_f64 v[15:16], v[15:16], v[31:32]
	v_add_f64 v[13:14], v[13:14], v[23:24]
	s_waitcnt vmcnt(13) lgkmcnt(1)
	v_mul_f64 v[31:32], v[11:12], v[43:44]
	s_waitcnt vmcnt(12)
	v_fma_f64 v[29:30], v[1:2], v[65:66], -v[29:30]
	v_mul_f64 v[23:24], v[9:10], v[43:44]
	v_fma_f64 v[19:20], v[3:4], v[65:66], v[19:20]
	ds_read_b128 v[1:4], v70 offset:1936
	v_add_f64 v[15:16], v[15:16], v[25:26]
	v_add_f64 v[13:14], v[13:14], v[21:22]
	s_waitcnt vmcnt(11) lgkmcnt(1)
	v_mul_f64 v[25:26], v[7:8], v[61:62]
	v_mul_f64 v[21:22], v[5:6], v[61:62]
	s_waitcnt vmcnt(9)
	v_fma_f64 v[9:10], v[9:10], v[17:18], -v[31:32]
	v_fma_f64 v[11:12], v[11:12], v[17:18], v[23:24]
	v_add_f64 v[15:16], v[15:16], v[29:30]
	v_add_f64 v[13:14], v[13:14], v[19:20]
	s_waitcnt vmcnt(7) lgkmcnt(0)
	v_mul_f64 v[19:20], v[3:4], v[49:50]
	s_waitcnt vmcnt(6)
	v_fma_f64 v[5:6], v[5:6], v[67:68], -v[25:26]
	v_mul_f64 v[17:18], v[1:2], v[49:50]
	v_fma_f64 v[7:8], v[7:8], v[67:68], v[21:22]
	v_add_f64 v[9:10], v[15:16], v[9:10]
	v_add_f64 v[11:12], v[13:14], v[11:12]
	s_waitcnt vmcnt(4)
	v_fma_f64 v[1:2], v[1:2], v[55:56], -v[19:20]
	v_fma_f64 v[3:4], v[3:4], v[55:56], v[17:18]
	v_add_f64 v[5:6], v[9:10], v[5:6]
	v_add_f64 v[7:8], v[11:12], v[7:8]
	;; [unrolled: 1-line block ×4, first 2 shown]
	s_waitcnt vmcnt(2)
	v_add_f64 v[1:2], v[27:28], -v[1:2]
	s_waitcnt vmcnt(0)
	v_add_f64 v[3:4], v[57:58], -v[3:4]
	buffer_store_dword v2, off, s[0:3], 0 offset:180
	buffer_store_dword v1, off, s[0:3], 0 offset:176
	;; [unrolled: 1-line block ×4, first 2 shown]
	v_cmpx_lt_u32_e32 9, v0
	s_cbranch_execz .LBB60_373
; %bb.372:
	v_mov_b32_e32 v4, s59
	v_mov_b32_e32 v5, 0
	s_clause 0x3
	buffer_load_dword v1, v4, s[0:3], 0 offen
	buffer_load_dword v2, v4, s[0:3], 0 offen offset:4
	buffer_load_dword v3, v4, s[0:3], 0 offen offset:8
	;; [unrolled: 1-line block ×3, first 2 shown]
	buffer_store_dword v5, off, s[0:3], 0 offset:160
	buffer_store_dword v5, off, s[0:3], 0 offset:164
	;; [unrolled: 1-line block ×4, first 2 shown]
	s_waitcnt vmcnt(0)
	ds_write_b128 v69, v[1:4]
.LBB60_373:
	s_or_b32 exec_lo, exec_lo, s4
	s_waitcnt lgkmcnt(0)
	s_waitcnt_vscnt null, 0x0
	s_barrier
	buffer_gl0_inv
	s_clause 0x37
	buffer_load_dword v17, off, s[0:3], 0 offset:184
	buffer_load_dword v18, off, s[0:3], 0 offset:188
	;; [unrolled: 1-line block ×56, first 2 shown]
	v_mov_b32_e32 v70, 0
	s_mov_b32 s4, exec_lo
	ds_read_b128 v[5:8], v70 offset:1136
	s_clause 0x2
	buffer_load_dword v66, off, s[0:3], 0 offset:412
	buffer_load_dword v68, off, s[0:3], 0 offset:388
	buffer_load_dword v67, off, s[0:3], 0 offset:384
	ds_read_b128 v[1:4], v70 offset:1152
	s_clause 0x4
	buffer_load_dword v96, off, s[0:3], 0 offset:428
	buffer_load_dword v97, off, s[0:3], 0 offset:440
	;; [unrolled: 1-line block ×5, first 2 shown]
	ds_read_b128 v[71:74], v70 offset:1168
	s_waitcnt vmcnt(62) lgkmcnt(2)
	v_mul_f64 v[93:94], v[7:8], v[17:18]
	v_mul_f64 v[17:18], v[5:6], v[17:18]
	s_waitcnt vmcnt(60) lgkmcnt(1)
	v_mul_f64 v[109:110], v[3:4], v[13:14]
	v_mul_f64 v[13:14], v[1:2], v[13:14]
	;; [unrolled: 3-line block ×3, first 2 shown]
	v_fma_f64 v[93:94], v[5:6], v[15:16], -v[93:94]
	v_fma_f64 v[15:16], v[7:8], v[15:16], v[17:18]
	s_clause 0x2
	buffer_load_dword v98, off, s[0:3], 0 offset:444
	buffer_load_dword v18, off, s[0:3], 0 offset:420
	;; [unrolled: 1-line block ×3, first 2 shown]
	s_waitcnt vmcnt(57)
	v_fma_f64 v[109:110], v[1:2], v[9:10], -v[109:110]
	ds_read_b128 v[5:8], v70 offset:1184
	v_fma_f64 v[9:10], v[3:4], v[9:10], v[13:14]
	s_waitcnt vmcnt(51)
	v_fma_f64 v[71:72], v[71:72], v[33:34], -v[11:12]
	v_fma_f64 v[33:34], v[73:74], v[33:34], v[111:112]
	v_add_f64 v[93:94], v[93:94], 0
	v_add_f64 v[13:14], v[15:16], 0
	s_clause 0x4
	buffer_load_dword v16, off, s[0:3], 0 offset:460
	buffer_load_dword v117, off, s[0:3], 0 offset:472
	;; [unrolled: 1-line block ×5, first 2 shown]
	s_waitcnt lgkmcnt(0)
	v_mul_f64 v[129:130], v[5:6], v[21:22]
	v_mul_f64 v[21:22], v[7:8], v[21:22]
	ds_read_b128 v[1:4], v70 offset:1200
	s_clause 0x2
	buffer_load_dword v118, off, s[0:3], 0 offset:476
	buffer_load_dword v74, off, s[0:3], 0 offset:452
	buffer_load_dword v73, off, s[0:3], 0 offset:448
	v_add_f64 v[93:94], v[93:94], v[109:110]
	v_add_f64 v[13:14], v[13:14], v[9:10]
	ds_read_b128 v[9:12], v70 offset:1216
	s_waitcnt vmcnt(58) lgkmcnt(1)
	v_mul_f64 v[109:110], v[1:2], v[25:26]
	v_mul_f64 v[25:26], v[3:4], v[25:26]
	s_waitcnt vmcnt(56)
	v_fma_f64 v[21:22], v[5:6], v[27:28], -v[21:22]
	v_fma_f64 v[27:28], v[7:8], v[27:28], v[129:130]
	s_waitcnt vmcnt(52) lgkmcnt(0)
	v_mul_f64 v[129:130], v[9:10], v[29:30]
	v_add_f64 v[71:72], v[93:94], v[71:72]
	v_add_f64 v[13:14], v[13:14], v[33:34]
	s_clause 0x4
	buffer_load_dword v34, off, s[0:3], 0 offset:492
	buffer_load_dword v93, off, s[0:3], 0 offset:504
	;; [unrolled: 1-line block ×5, first 2 shown]
	v_mul_f64 v[29:30], v[11:12], v[29:30]
	s_waitcnt vmcnt(56)
	v_fma_f64 v[25:26], v[1:2], v[19:20], -v[25:26]
	ds_read_b128 v[5:8], v70 offset:1232
	v_fma_f64 v[19:20], v[3:4], v[19:20], v[109:110]
	v_add_f64 v[21:22], v[71:72], v[21:22]
	v_add_f64 v[13:14], v[13:14], v[27:28]
	s_clause 0x2
	buffer_load_dword v94, off, s[0:3], 0 offset:508
	buffer_load_dword v28, off, s[0:3], 0 offset:484
	;; [unrolled: 1-line block ×3, first 2 shown]
	s_waitcnt vmcnt(58) lgkmcnt(0)
	v_mul_f64 v[71:72], v[5:6], v[35:36]
	v_mul_f64 v[35:36], v[7:8], v[35:36]
	s_waitcnt vmcnt(56)
	v_fma_f64 v[29:30], v[9:10], v[37:38], -v[29:30]
	ds_read_b128 v[1:4], v70 offset:1248
	v_add_f64 v[21:22], v[21:22], v[25:26]
	v_fma_f64 v[25:26], v[11:12], v[37:38], v[129:130]
	v_add_f64 v[13:14], v[13:14], v[19:20]
	s_clause 0x4
	buffer_load_dword v20, off, s[0:3], 0 offset:524
	buffer_load_dword v37, off, s[0:3], 0 offset:536
	;; [unrolled: 1-line block ×5, first 2 shown]
	s_waitcnt vmcnt(57) lgkmcnt(0)
	v_mul_f64 v[129:130], v[1:2], v[39:40]
	v_mul_f64 v[39:40], v[3:4], v[39:40]
	s_waitcnt vmcnt(56)
	v_fma_f64 v[35:36], v[5:6], v[23:24], -v[35:36]
	ds_read_b128 v[9:12], v70 offset:1264
	v_fma_f64 v[23:24], v[7:8], v[23:24], v[71:72]
	v_add_f64 v[21:22], v[21:22], v[29:30]
	v_add_f64 v[13:14], v[13:14], v[25:26]
	s_clause 0x2
	buffer_load_dword v38, off, s[0:3], 0 offset:540
	buffer_load_dword v26, off, s[0:3], 0 offset:516
	;; [unrolled: 1-line block ×3, first 2 shown]
	ds_read_b128 v[5:8], v70 offset:1280
	s_waitcnt vmcnt(58) lgkmcnt(1)
	v_mul_f64 v[29:30], v[9:10], v[43:44]
	v_mul_f64 v[43:44], v[11:12], v[43:44]
	s_waitcnt vmcnt(56)
	v_fma_f64 v[39:40], v[1:2], v[45:46], -v[39:40]
	v_add_f64 v[21:22], v[21:22], v[35:36]
	v_fma_f64 v[35:36], v[3:4], v[45:46], v[129:130]
	v_add_f64 v[13:14], v[13:14], v[23:24]
	s_clause 0x4
	buffer_load_dword v24, off, s[0:3], 0 offset:556
	buffer_load_dword v45, off, s[0:3], 0 offset:568
	;; [unrolled: 1-line block ×5, first 2 shown]
	s_waitcnt vmcnt(57) lgkmcnt(0)
	v_mul_f64 v[129:130], v[5:6], v[47:48]
	v_mul_f64 v[47:48], v[7:8], v[47:48]
	s_waitcnt vmcnt(56)
	v_fma_f64 v[43:44], v[9:10], v[31:32], -v[43:44]
	ds_read_b128 v[1:4], v70 offset:1296
	v_fma_f64 v[29:30], v[11:12], v[31:32], v[29:30]
	s_clause 0x2
	buffer_load_dword v46, off, s[0:3], 0 offset:572
	buffer_load_dword v32, off, s[0:3], 0 offset:548
	buffer_load_dword v31, off, s[0:3], 0 offset:544
	ds_read_b128 v[9:12], v70 offset:1312
	v_add_f64 v[21:22], v[21:22], v[39:40]
	v_add_f64 v[13:14], v[13:14], v[35:36]
	s_waitcnt vmcnt(58) lgkmcnt(1)
	v_mul_f64 v[39:40], v[3:4], v[51:52]
	s_waitcnt vmcnt(56)
	v_fma_f64 v[47:48], v[5:6], v[53:54], -v[47:48]
	v_mul_f64 v[35:36], v[1:2], v[51:52]
	v_add_f64 v[21:22], v[21:22], v[43:44]
	v_fma_f64 v[43:44], v[7:8], v[53:54], v[129:130]
	v_add_f64 v[13:14], v[13:14], v[29:30]
	s_clause 0x4
	buffer_load_dword v30, off, s[0:3], 0 offset:588
	buffer_load_dword v51, off, s[0:3], 0 offset:600
	buffer_load_dword v53, off, s[0:3], 0 offset:592
	buffer_load_dword v29, off, s[0:3], 0 offset:584
	buffer_load_dword v72, off, s[0:3], 0 offset:564
	s_waitcnt vmcnt(57) lgkmcnt(0)
	v_mul_f64 v[129:130], v[9:10], v[55:56]
	v_mul_f64 v[54:55], v[11:12], v[55:56]
	s_waitcnt vmcnt(56)
	v_fma_f64 v[39:40], v[1:2], v[41:42], -v[39:40]
	ds_read_b128 v[5:8], v70 offset:1328
	v_fma_f64 v[35:36], v[3:4], v[41:42], v[35:36]
	s_clause 0x2
	buffer_load_dword v52, off, s[0:3], 0 offset:604
	buffer_load_dword v42, off, s[0:3], 0 offset:580
	;; [unrolled: 1-line block ×3, first 2 shown]
	ds_read_b128 v[1:4], v70 offset:1344
	v_add_f64 v[21:22], v[21:22], v[47:48]
	v_add_f64 v[13:14], v[13:14], v[43:44]
	s_waitcnt vmcnt(58) lgkmcnt(1)
	v_mul_f64 v[47:48], v[7:8], v[59:60]
	s_waitcnt vmcnt(56)
	v_fma_f64 v[55:56], v[9:10], v[61:62], -v[54:55]
	v_mul_f64 v[43:44], v[5:6], v[59:60]
	v_add_f64 v[21:22], v[21:22], v[39:40]
	v_fma_f64 v[39:40], v[11:12], v[61:62], v[129:130]
	v_add_f64 v[13:14], v[13:14], v[35:36]
	s_clause 0x4
	buffer_load_dword v36, off, s[0:3], 0 offset:620
	buffer_load_dword v59, off, s[0:3], 0 offset:632
	;; [unrolled: 1-line block ×5, first 2 shown]
	s_waitcnt vmcnt(57) lgkmcnt(0)
	v_mul_f64 v[129:130], v[1:2], v[63:64]
	v_mul_f64 v[62:63], v[3:4], v[63:64]
	s_waitcnt vmcnt(56)
	v_fma_f64 v[47:48], v[5:6], v[49:50], -v[47:48]
	ds_read_b128 v[9:12], v70 offset:1360
	v_fma_f64 v[43:44], v[7:8], v[49:50], v[43:44]
	v_add_f64 v[21:22], v[21:22], v[55:56]
	v_add_f64 v[13:14], v[13:14], v[39:40]
	s_clause 0x2
	buffer_load_dword v60, off, s[0:3], 0 offset:636
	buffer_load_dword v40, off, s[0:3], 0 offset:612
	;; [unrolled: 1-line block ×3, first 2 shown]
	ds_read_b128 v[5:8], v70 offset:1376
	s_waitcnt vmcnt(58) lgkmcnt(1)
	v_mul_f64 v[55:56], v[11:12], v[65:66]
	s_waitcnt vmcnt(56)
	v_fma_f64 v[63:64], v[1:2], v[67:68], -v[62:63]
	v_mul_f64 v[49:50], v[9:10], v[65:66]
	v_add_f64 v[21:22], v[21:22], v[47:48]
	v_fma_f64 v[47:48], v[3:4], v[67:68], v[129:130]
	v_add_f64 v[13:14], v[13:14], v[43:44]
	s_clause 0x4
	buffer_load_dword v44, off, s[0:3], 0 offset:652
	buffer_load_dword v65, off, s[0:3], 0 offset:664
	;; [unrolled: 1-line block ×5, first 2 shown]
	s_waitcnt vmcnt(57) lgkmcnt(0)
	v_mul_f64 v[129:130], v[5:6], v[95:96]
	v_mul_f64 v[95:96], v[7:8], v[95:96]
	s_waitcnt vmcnt(56)
	v_fma_f64 v[55:56], v[9:10], v[57:58], -v[55:56]
	ds_read_b128 v[1:4], v70 offset:1392
	v_fma_f64 v[49:50], v[11:12], v[57:58], v[49:50]
	v_add_f64 v[21:22], v[21:22], v[63:64]
	v_add_f64 v[13:14], v[13:14], v[47:48]
	s_clause 0x2
	buffer_load_dword v66, off, s[0:3], 0 offset:668
	buffer_load_dword v48, off, s[0:3], 0 offset:644
	;; [unrolled: 1-line block ×3, first 2 shown]
	ds_read_b128 v[9:12], v70 offset:1408
	s_waitcnt vmcnt(58) lgkmcnt(1)
	v_mul_f64 v[63:64], v[3:4], v[97:98]
	v_mul_f64 v[57:58], v[1:2], v[97:98]
	s_waitcnt vmcnt(56)
	v_fma_f64 v[95:96], v[5:6], v[17:18], -v[95:96]
	v_fma_f64 v[17:18], v[7:8], v[17:18], v[129:130]
	v_add_f64 v[21:22], v[21:22], v[55:56]
	v_add_f64 v[13:14], v[13:14], v[49:50]
	s_clause 0x4
	buffer_load_dword v50, off, s[0:3], 0 offset:684
	buffer_load_dword v55, off, s[0:3], 0 offset:696
	;; [unrolled: 1-line block ×5, first 2 shown]
	ds_read_b128 v[5:8], v70 offset:1424
	s_waitcnt vmcnt(57) lgkmcnt(1)
	v_mul_f64 v[129:130], v[9:10], v[15:16]
	v_mul_f64 v[15:16], v[11:12], v[15:16]
	s_waitcnt vmcnt(56)
	v_fma_f64 v[63:64], v[1:2], v[99:100], -v[63:64]
	v_fma_f64 v[57:58], v[3:4], v[99:100], v[57:58]
	v_add_f64 v[21:22], v[21:22], v[95:96]
	v_add_f64 v[13:14], v[13:14], v[17:18]
	s_clause 0x2
	buffer_load_dword v56, off, s[0:3], 0 offset:700
	buffer_load_dword v18, off, s[0:3], 0 offset:676
	;; [unrolled: 1-line block ×3, first 2 shown]
	s_waitcnt vmcnt(58) lgkmcnt(0)
	v_mul_f64 v[99:100], v[7:8], v[117:118]
	ds_read_b128 v[1:4], v70 offset:1440
	v_mul_f64 v[95:96], v[5:6], v[117:118]
	s_waitcnt vmcnt(56)
	v_fma_f64 v[15:16], v[9:10], v[73:74], -v[15:16]
	v_add_f64 v[21:22], v[21:22], v[63:64]
	v_fma_f64 v[63:64], v[11:12], v[73:74], v[129:130]
	v_add_f64 v[13:14], v[13:14], v[57:58]
	s_clause 0x4
	buffer_load_dword v58, off, s[0:3], 0 offset:716
	buffer_load_dword v73, off, s[0:3], 0 offset:728
	;; [unrolled: 1-line block ×5, first 2 shown]
	ds_read_b128 v[9:12], v70 offset:1456
	s_waitcnt vmcnt(57) lgkmcnt(1)
	v_mul_f64 v[129:130], v[1:2], v[33:34]
	v_mul_f64 v[33:34], v[3:4], v[33:34]
	s_waitcnt vmcnt(56)
	v_fma_f64 v[99:100], v[5:6], v[119:120], -v[99:100]
	v_add_f64 v[15:16], v[21:22], v[15:16]
	v_fma_f64 v[21:22], v[7:8], v[119:120], v[95:96]
	v_add_f64 v[13:14], v[13:14], v[63:64]
	s_clause 0x2
	buffer_load_dword v74, off, s[0:3], 0 offset:732
	buffer_load_dword v64, off, s[0:3], 0 offset:708
	;; [unrolled: 1-line block ×3, first 2 shown]
	ds_read_b128 v[5:8], v70 offset:1472
	s_waitcnt vmcnt(58) lgkmcnt(1)
	v_mul_f64 v[95:96], v[9:10], v[93:94]
	v_mul_f64 v[93:94], v[11:12], v[93:94]
	s_waitcnt vmcnt(56)
	v_fma_f64 v[33:34], v[1:2], v[27:28], -v[33:34]
	v_fma_f64 v[27:28], v[3:4], v[27:28], v[129:130]
	v_add_f64 v[15:16], v[15:16], v[99:100]
	v_add_f64 v[13:14], v[13:14], v[21:22]
	s_clause 0x4
	buffer_load_dword v22, off, s[0:3], 0 offset:748
	buffer_load_dword v99, off, s[0:3], 0 offset:760
	;; [unrolled: 1-line block ×5, first 2 shown]
	ds_read_b128 v[1:4], v70 offset:1488
	s_waitcnt vmcnt(57) lgkmcnt(1)
	v_mul_f64 v[129:130], v[5:6], v[19:20]
	v_mul_f64 v[19:20], v[7:8], v[19:20]
	s_waitcnt vmcnt(56)
	v_fma_f64 v[93:94], v[9:10], v[111:112], -v[93:94]
	v_add_f64 v[15:16], v[15:16], v[33:34]
	v_fma_f64 v[33:34], v[11:12], v[111:112], v[95:96]
	v_add_f64 v[13:14], v[13:14], v[27:28]
	s_clause 0x2
	buffer_load_dword v100, off, s[0:3], 0 offset:764
	buffer_load_dword v28, off, s[0:3], 0 offset:740
	;; [unrolled: 1-line block ×3, first 2 shown]
	ds_read_b128 v[9:12], v70 offset:1504
	s_waitcnt vmcnt(58) lgkmcnt(1)
	v_mul_f64 v[95:96], v[1:2], v[37:38]
	v_mul_f64 v[37:38], v[3:4], v[37:38]
	s_waitcnt vmcnt(56)
	v_fma_f64 v[19:20], v[5:6], v[25:26], -v[19:20]
	v_fma_f64 v[25:26], v[7:8], v[25:26], v[129:130]
	v_add_f64 v[15:16], v[15:16], v[93:94]
	v_add_f64 v[13:14], v[13:14], v[33:34]
	s_clause 0x4
	buffer_load_dword v34, off, s[0:3], 0 offset:780
	buffer_load_dword v93, off, s[0:3], 0 offset:792
	;; [unrolled: 1-line block ×5, first 2 shown]
	ds_read_b128 v[5:8], v70 offset:1520
	s_waitcnt vmcnt(57) lgkmcnt(1)
	v_mul_f64 v[129:130], v[9:10], v[23:24]
	v_mul_f64 v[23:24], v[11:12], v[23:24]
	s_waitcnt vmcnt(56)
	v_fma_f64 v[37:38], v[1:2], v[109:110], -v[37:38]
	v_add_f64 v[15:16], v[15:16], v[19:20]
	v_fma_f64 v[19:20], v[3:4], v[109:110], v[95:96]
	v_add_f64 v[13:14], v[13:14], v[25:26]
	s_clause 0x2
	buffer_load_dword v94, off, s[0:3], 0 offset:796
	buffer_load_dword v26, off, s[0:3], 0 offset:772
	;; [unrolled: 1-line block ×3, first 2 shown]
	s_waitcnt vmcnt(58) lgkmcnt(0)
	v_mul_f64 v[95:96], v[5:6], v[45:46]
	v_mul_f64 v[45:46], v[7:8], v[45:46]
	ds_read_b128 v[1:4], v70 offset:1536
	s_waitcnt vmcnt(56)
	v_fma_f64 v[23:24], v[9:10], v[31:32], -v[23:24]
	v_fma_f64 v[31:32], v[11:12], v[31:32], v[129:130]
	v_add_f64 v[15:16], v[15:16], v[37:38]
	v_add_f64 v[13:14], v[13:14], v[19:20]
	s_clause 0x4
	buffer_load_dword v20, off, s[0:3], 0 offset:812
	buffer_load_dword v37, off, s[0:3], 0 offset:824
	buffer_load_dword v109, off, s[0:3], 0 offset:816
	buffer_load_dword v19, off, s[0:3], 0 offset:808
	buffer_load_dword v112, off, s[0:3], 0 offset:788
	ds_read_b128 v[9:12], v70 offset:1552
	s_waitcnt vmcnt(57) lgkmcnt(1)
	v_mul_f64 v[129:130], v[1:2], v[29:30]
	v_mul_f64 v[29:30], v[3:4], v[29:30]
	s_waitcnt vmcnt(56)
	v_fma_f64 v[45:46], v[5:6], v[71:72], -v[45:46]
	v_add_f64 v[15:16], v[15:16], v[23:24]
	v_fma_f64 v[23:24], v[7:8], v[71:72], v[95:96]
	v_add_f64 v[13:14], v[13:14], v[31:32]
	s_clause 0x2
	buffer_load_dword v38, off, s[0:3], 0 offset:828
	buffer_load_dword v32, off, s[0:3], 0 offset:804
	buffer_load_dword v31, off, s[0:3], 0 offset:800
	s_waitcnt vmcnt(58) lgkmcnt(0)
	v_mul_f64 v[71:72], v[9:10], v[51:52]
	v_mul_f64 v[51:52], v[11:12], v[51:52]
	ds_read_b128 v[5:8], v70 offset:1568
	s_waitcnt vmcnt(56)
	v_fma_f64 v[29:30], v[1:2], v[41:42], -v[29:30]
	v_fma_f64 v[41:42], v[3:4], v[41:42], v[129:130]
	v_add_f64 v[15:16], v[15:16], v[45:46]
	v_add_f64 v[13:14], v[13:14], v[23:24]
	s_clause 0x4
	buffer_load_dword v24, off, s[0:3], 0 offset:844
	buffer_load_dword v45, off, s[0:3], 0 offset:856
	buffer_load_dword v95, off, s[0:3], 0 offset:848
	buffer_load_dword v23, off, s[0:3], 0 offset:840
	buffer_load_dword v110, off, s[0:3], 0 offset:820
	ds_read_b128 v[1:4], v70 offset:1584
	s_waitcnt vmcnt(57) lgkmcnt(1)
	v_mul_f64 v[129:130], v[5:6], v[35:36]
	v_mul_f64 v[35:36], v[7:8], v[35:36]
	s_waitcnt vmcnt(56)
	v_fma_f64 v[51:52], v[9:10], v[53:54], -v[51:52]
	v_add_f64 v[15:16], v[15:16], v[29:30]
	v_fma_f64 v[29:30], v[11:12], v[53:54], v[71:72]
	v_add_f64 v[13:14], v[13:14], v[41:42]
	s_clause 0x2
	buffer_load_dword v46, off, s[0:3], 0 offset:860
	buffer_load_dword v42, off, s[0:3], 0 offset:836
	buffer_load_dword v41, off, s[0:3], 0 offset:832
	ds_read_b128 v[9:12], v70 offset:1600
	s_waitcnt vmcnt(58) lgkmcnt(1)
	v_mul_f64 v[53:54], v[1:2], v[59:60]
	v_mul_f64 v[59:60], v[3:4], v[59:60]
	s_waitcnt vmcnt(56)
	v_fma_f64 v[35:36], v[5:6], v[39:40], -v[35:36]
	v_fma_f64 v[39:40], v[7:8], v[39:40], v[129:130]
	v_add_f64 v[15:16], v[15:16], v[51:52]
	v_add_f64 v[13:14], v[13:14], v[29:30]
	s_clause 0x4
	buffer_load_dword v30, off, s[0:3], 0 offset:876
	buffer_load_dword v51, off, s[0:3], 0 offset:888
	buffer_load_dword v71, off, s[0:3], 0 offset:880
	buffer_load_dword v29, off, s[0:3], 0 offset:872
	buffer_load_dword v96, off, s[0:3], 0 offset:852
	ds_read_b128 v[5:8], v70 offset:1616
	s_waitcnt vmcnt(57) lgkmcnt(1)
	v_mul_f64 v[129:130], v[9:10], v[43:44]
	v_mul_f64 v[43:44], v[11:12], v[43:44]
	s_waitcnt vmcnt(56)
	v_fma_f64 v[59:60], v[1:2], v[61:62], -v[59:60]
	v_add_f64 v[15:16], v[15:16], v[35:36]
	v_fma_f64 v[35:36], v[3:4], v[61:62], v[53:54]
	v_add_f64 v[13:14], v[13:14], v[39:40]
	s_clause 0x2
	buffer_load_dword v52, off, s[0:3], 0 offset:892
	buffer_load_dword v40, off, s[0:3], 0 offset:868
	buffer_load_dword v39, off, s[0:3], 0 offset:864
	ds_read_b128 v[1:4], v70 offset:1632
	s_waitcnt vmcnt(58) lgkmcnt(1)
	v_mul_f64 v[61:62], v[7:8], v[65:66]
	v_mul_f64 v[53:54], v[5:6], v[65:66]
	;; [unrolled: 28-line block ×4, first 2 shown]
	s_waitcnt vmcnt(56)
	v_fma_f64 v[57:58], v[5:6], v[63:64], -v[57:58]
	v_add_f64 v[15:16], v[15:16], v[55:56]
	v_fma_f64 v[55:56], v[7:8], v[63:64], v[129:130]
	v_add_f64 v[13:14], v[13:14], v[49:50]
	s_clause 0x4
	buffer_load_dword v50, off, s[0:3], 0 offset:972
	buffer_load_dword v63, off, s[0:3], 0 offset:984
	;; [unrolled: 1-line block ×5, first 2 shown]
	ds_read_b128 v[5:8], v70 offset:1712
	s_waitcnt vmcnt(57) lgkmcnt(1)
	v_mul_f64 v[129:130], v[9:10], v[21:22]
	v_mul_f64 v[21:22], v[11:12], v[21:22]
	s_waitcnt vmcnt(56)
	v_fma_f64 v[73:74], v[1:2], v[117:118], -v[73:74]
	v_fma_f64 v[53:54], v[3:4], v[117:118], v[53:54]
	v_add_f64 v[15:16], v[15:16], v[57:58]
	v_add_f64 v[13:14], v[13:14], v[55:56]
	s_clause 0x2
	buffer_load_dword v64, off, s[0:3], 0 offset:988
	buffer_load_dword v56, off, s[0:3], 0 offset:964
	;; [unrolled: 1-line block ×3, first 2 shown]
	ds_read_b128 v[1:4], v70 offset:1728
	buffer_load_dword v98, off, s[0:3], 0 offset:980
	s_waitcnt vmcnt(59) lgkmcnt(1)
	v_mul_f64 v[57:58], v[5:6], v[99:100]
	v_mul_f64 v[99:100], v[7:8], v[99:100]
	s_waitcnt vmcnt(57)
	v_fma_f64 v[21:22], v[9:10], v[27:28], -v[21:22]
	v_fma_f64 v[27:28], v[11:12], v[27:28], v[129:130]
	ds_read_b128 v[9:12], v70 offset:1744
	v_add_f64 v[15:16], v[15:16], v[73:74]
	v_add_f64 v[13:14], v[13:14], v[53:54]
	s_waitcnt vmcnt(53) lgkmcnt(1)
	v_mul_f64 v[53:54], v[1:2], v[33:34]
	v_mul_f64 v[33:34], v[3:4], v[33:34]
	s_waitcnt vmcnt(52)
	v_fma_f64 v[73:74], v[5:6], v[119:120], -v[99:100]
	v_add_f64 v[15:16], v[15:16], v[21:22]
	v_fma_f64 v[21:22], v[7:8], v[119:120], v[57:58]
	v_add_f64 v[13:14], v[13:14], v[27:28]
	ds_read_b128 v[5:8], v70 offset:1760
	s_waitcnt vmcnt(51) lgkmcnt(1)
	v_mul_f64 v[57:58], v[11:12], v[93:94]
	v_mul_f64 v[27:28], v[9:10], v[93:94]
	s_waitcnt vmcnt(49)
	v_fma_f64 v[33:34], v[1:2], v[25:26], -v[33:34]
	v_fma_f64 v[25:26], v[3:4], v[25:26], v[53:54]
	v_add_f64 v[15:16], v[15:16], v[73:74]
	v_add_f64 v[13:14], v[13:14], v[21:22]
	s_clause 0x3
	buffer_load_dword v21, off, s[0:3], 0 offset:160
	buffer_load_dword v22, off, s[0:3], 0 offset:164
	;; [unrolled: 1-line block ×4, first 2 shown]
	ds_read_b128 v[1:4], v70 offset:1776
	s_waitcnt vmcnt(49) lgkmcnt(1)
	v_mul_f64 v[73:74], v[5:6], v[19:20]
	v_mul_f64 v[19:20], v[7:8], v[19:20]
	s_waitcnt vmcnt(48)
	v_fma_f64 v[57:58], v[9:10], v[111:112], -v[57:58]
	v_fma_f64 v[27:28], v[11:12], v[111:112], v[27:28]
	ds_read_b128 v[9:12], v70 offset:1792
	v_add_f64 v[15:16], v[15:16], v[33:34]
	v_add_f64 v[13:14], v[13:14], v[25:26]
	s_waitcnt vmcnt(47) lgkmcnt(1)
	v_mul_f64 v[33:34], v[3:4], v[37:38]
	v_mul_f64 v[25:26], v[1:2], v[37:38]
	s_waitcnt vmcnt(45)
	v_fma_f64 v[19:20], v[5:6], v[31:32], -v[19:20]
	v_fma_f64 v[31:32], v[7:8], v[31:32], v[73:74]
	ds_read_b128 v[5:8], v70 offset:1808
	v_add_f64 v[15:16], v[15:16], v[57:58]
	v_add_f64 v[13:14], v[13:14], v[27:28]
	s_waitcnt vmcnt(41) lgkmcnt(1)
	v_mul_f64 v[27:28], v[9:10], v[23:24]
	v_mul_f64 v[23:24], v[11:12], v[23:24]
	s_waitcnt vmcnt(40)
	v_fma_f64 v[33:34], v[1:2], v[109:110], -v[33:34]
	v_add_f64 v[15:16], v[15:16], v[19:20]
	v_fma_f64 v[19:20], v[3:4], v[109:110], v[25:26]
	v_add_f64 v[13:14], v[13:14], v[31:32]
	ds_read_b128 v[1:4], v70 offset:1824
	s_waitcnt vmcnt(39) lgkmcnt(1)
	v_mul_f64 v[31:32], v[7:8], v[45:46]
	v_mul_f64 v[25:26], v[5:6], v[45:46]
	s_waitcnt vmcnt(37)
	v_fma_f64 v[23:24], v[9:10], v[41:42], -v[23:24]
	v_fma_f64 v[27:28], v[11:12], v[41:42], v[27:28]
	ds_read_b128 v[9:12], v70 offset:1840
	v_add_f64 v[15:16], v[15:16], v[33:34]
	v_add_f64 v[13:14], v[13:14], v[19:20]
	s_waitcnt vmcnt(33) lgkmcnt(1)
	v_mul_f64 v[19:20], v[1:2], v[29:30]
	v_mul_f64 v[29:30], v[3:4], v[29:30]
	s_waitcnt vmcnt(32)
	v_fma_f64 v[31:32], v[5:6], v[95:96], -v[31:32]
	v_add_f64 v[15:16], v[15:16], v[23:24]
	v_fma_f64 v[23:24], v[7:8], v[95:96], v[25:26]
	v_add_f64 v[13:14], v[13:14], v[27:28]
	ds_read_b128 v[5:8], v70 offset:1856
	s_waitcnt vmcnt(31) lgkmcnt(1)
	v_mul_f64 v[27:28], v[11:12], v[51:52]
	v_mul_f64 v[25:26], v[9:10], v[51:52]
	s_waitcnt vmcnt(29)
	v_fma_f64 v[29:30], v[1:2], v[39:40], -v[29:30]
	v_fma_f64 v[19:20], v[3:4], v[39:40], v[19:20]
	ds_read_b128 v[1:4], v70 offset:1872
	v_add_f64 v[15:16], v[15:16], v[31:32]
	v_add_f64 v[13:14], v[13:14], v[23:24]
	s_waitcnt vmcnt(25) lgkmcnt(1)
	v_mul_f64 v[31:32], v[7:8], v[35:36]
	s_waitcnt vmcnt(24)
	v_fma_f64 v[27:28], v[9:10], v[71:72], -v[27:28]
	v_mul_f64 v[23:24], v[5:6], v[35:36]
	v_fma_f64 v[25:26], v[11:12], v[71:72], v[25:26]
	ds_read_b128 v[9:12], v70 offset:1888
	v_add_f64 v[15:16], v[15:16], v[29:30]
	v_add_f64 v[13:14], v[13:14], v[19:20]
	s_waitcnt vmcnt(23) lgkmcnt(1)
	v_mul_f64 v[29:30], v[3:4], v[59:60]
	v_mul_f64 v[19:20], v[1:2], v[59:60]
	s_waitcnt vmcnt(21)
	v_fma_f64 v[31:32], v[5:6], v[47:48], -v[31:32]
	v_fma_f64 v[23:24], v[7:8], v[47:48], v[23:24]
	ds_read_b128 v[5:8], v70 offset:1904
	v_add_f64 v[15:16], v[15:16], v[27:28]
	v_add_f64 v[13:14], v[13:14], v[25:26]
	s_waitcnt vmcnt(17) lgkmcnt(1)
	v_mul_f64 v[27:28], v[11:12], v[43:44]
	s_waitcnt vmcnt(16)
	v_fma_f64 v[29:30], v[1:2], v[65:66], -v[29:30]
	v_mul_f64 v[25:26], v[9:10], v[43:44]
	v_fma_f64 v[19:20], v[3:4], v[65:66], v[19:20]
	ds_read_b128 v[1:4], v70 offset:1920
	v_add_f64 v[15:16], v[15:16], v[31:32]
	v_add_f64 v[13:14], v[13:14], v[23:24]
	s_waitcnt vmcnt(15) lgkmcnt(1)
	v_mul_f64 v[31:32], v[7:8], v[61:62]
	v_mul_f64 v[23:24], v[5:6], v[61:62]
	s_waitcnt vmcnt(13)
	v_fma_f64 v[27:28], v[9:10], v[17:18], -v[27:28]
	v_fma_f64 v[17:18], v[11:12], v[17:18], v[25:26]
	ds_read_b128 v[9:12], v70 offset:1936
	v_add_f64 v[15:16], v[15:16], v[29:30]
	v_add_f64 v[13:14], v[13:14], v[19:20]
	s_waitcnt vmcnt(9) lgkmcnt(1)
	v_mul_f64 v[25:26], v[3:4], v[49:50]
	s_waitcnt vmcnt(8)
	v_fma_f64 v[5:6], v[5:6], v[67:68], -v[31:32]
	v_mul_f64 v[19:20], v[1:2], v[49:50]
	v_fma_f64 v[7:8], v[7:8], v[67:68], v[23:24]
	v_add_f64 v[15:16], v[15:16], v[27:28]
	v_add_f64 v[13:14], v[13:14], v[17:18]
	s_waitcnt vmcnt(7) lgkmcnt(0)
	v_mul_f64 v[23:24], v[11:12], v[63:64]
	v_mul_f64 v[17:18], v[9:10], v[63:64]
	s_waitcnt vmcnt(5)
	v_fma_f64 v[1:2], v[1:2], v[55:56], -v[25:26]
	v_fma_f64 v[3:4], v[3:4], v[55:56], v[19:20]
	v_add_f64 v[5:6], v[15:16], v[5:6]
	v_add_f64 v[7:8], v[13:14], v[7:8]
	s_waitcnt vmcnt(4)
	v_fma_f64 v[9:10], v[9:10], v[97:98], -v[23:24]
	v_add_f64 v[1:2], v[5:6], v[1:2]
	v_fma_f64 v[5:6], v[11:12], v[97:98], v[17:18]
	v_add_f64 v[3:4], v[7:8], v[3:4]
	v_add_f64 v[1:2], v[1:2], v[9:10]
	v_add_f64 v[3:4], v[3:4], v[5:6]
	s_waitcnt vmcnt(2)
	v_add_f64 v[1:2], v[21:22], -v[1:2]
	s_waitcnt vmcnt(0)
	v_add_f64 v[3:4], v[53:54], -v[3:4]
	buffer_store_dword v2, off, s[0:3], 0 offset:164
	buffer_store_dword v1, off, s[0:3], 0 offset:160
	;; [unrolled: 1-line block ×4, first 2 shown]
	v_cmpx_lt_u32_e32 8, v0
	s_cbranch_execz .LBB60_375
; %bb.374:
	v_mov_b32_e32 v4, s61
	s_clause 0x3
	buffer_load_dword v1, v4, s[0:3], 0 offen
	buffer_load_dword v2, v4, s[0:3], 0 offen offset:4
	buffer_load_dword v3, v4, s[0:3], 0 offen offset:8
	;; [unrolled: 1-line block ×3, first 2 shown]
	buffer_store_dword v70, off, s[0:3], 0 offset:144
	buffer_store_dword v70, off, s[0:3], 0 offset:148
	buffer_store_dword v70, off, s[0:3], 0 offset:152
	buffer_store_dword v70, off, s[0:3], 0 offset:156
	s_waitcnt vmcnt(0)
	ds_write_b128 v69, v[1:4]
.LBB60_375:
	s_or_b32 exec_lo, exec_lo, s4
	s_waitcnt lgkmcnt(0)
	s_waitcnt_vscnt null, 0x0
	s_barrier
	buffer_gl0_inv
	s_clause 0x37
	buffer_load_dword v17, off, s[0:3], 0 offset:168
	buffer_load_dword v18, off, s[0:3], 0 offset:172
	;; [unrolled: 1-line block ×56, first 2 shown]
	ds_read_b128 v[5:8], v70 offset:1120
	s_clause 0x2
	buffer_load_dword v66, off, s[0:3], 0 offset:396
	buffer_load_dword v68, off, s[0:3], 0 offset:372
	;; [unrolled: 1-line block ×3, first 2 shown]
	ds_read_b128 v[1:4], v70 offset:1136
	s_clause 0x4
	buffer_load_dword v96, off, s[0:3], 0 offset:412
	buffer_load_dword v97, off, s[0:3], 0 offset:424
	;; [unrolled: 1-line block ×5, first 2 shown]
	ds_read_b128 v[71:74], v70 offset:1152
	s_mov_b32 s4, exec_lo
	s_waitcnt vmcnt(62) lgkmcnt(2)
	v_mul_f64 v[93:94], v[7:8], v[17:18]
	v_mul_f64 v[17:18], v[5:6], v[17:18]
	s_waitcnt vmcnt(60) lgkmcnt(1)
	v_mul_f64 v[109:110], v[3:4], v[13:14]
	v_mul_f64 v[13:14], v[1:2], v[13:14]
	;; [unrolled: 3-line block ×3, first 2 shown]
	v_fma_f64 v[93:94], v[5:6], v[15:16], -v[93:94]
	v_fma_f64 v[15:16], v[7:8], v[15:16], v[17:18]
	s_clause 0x2
	buffer_load_dword v98, off, s[0:3], 0 offset:428
	buffer_load_dword v18, off, s[0:3], 0 offset:404
	buffer_load_dword v17, off, s[0:3], 0 offset:400
	s_waitcnt vmcnt(57)
	v_fma_f64 v[109:110], v[1:2], v[9:10], -v[109:110]
	ds_read_b128 v[5:8], v70 offset:1168
	v_fma_f64 v[9:10], v[3:4], v[9:10], v[13:14]
	s_waitcnt vmcnt(51)
	v_fma_f64 v[71:72], v[71:72], v[33:34], -v[11:12]
	v_fma_f64 v[33:34], v[73:74], v[33:34], v[111:112]
	v_add_f64 v[93:94], v[93:94], 0
	v_add_f64 v[13:14], v[15:16], 0
	s_clause 0x4
	buffer_load_dword v16, off, s[0:3], 0 offset:444
	buffer_load_dword v117, off, s[0:3], 0 offset:456
	;; [unrolled: 1-line block ×5, first 2 shown]
	s_waitcnt lgkmcnt(0)
	v_mul_f64 v[129:130], v[5:6], v[21:22]
	v_mul_f64 v[21:22], v[7:8], v[21:22]
	ds_read_b128 v[1:4], v70 offset:1184
	s_clause 0x2
	buffer_load_dword v118, off, s[0:3], 0 offset:460
	buffer_load_dword v74, off, s[0:3], 0 offset:436
	;; [unrolled: 1-line block ×3, first 2 shown]
	v_add_f64 v[93:94], v[93:94], v[109:110]
	v_add_f64 v[13:14], v[13:14], v[9:10]
	ds_read_b128 v[9:12], v70 offset:1200
	s_waitcnt vmcnt(58) lgkmcnt(1)
	v_mul_f64 v[109:110], v[1:2], v[25:26]
	v_mul_f64 v[25:26], v[3:4], v[25:26]
	s_waitcnt vmcnt(56)
	v_fma_f64 v[21:22], v[5:6], v[27:28], -v[21:22]
	v_fma_f64 v[27:28], v[7:8], v[27:28], v[129:130]
	s_waitcnt vmcnt(52) lgkmcnt(0)
	v_mul_f64 v[129:130], v[9:10], v[29:30]
	v_add_f64 v[71:72], v[93:94], v[71:72]
	v_add_f64 v[13:14], v[13:14], v[33:34]
	s_clause 0x4
	buffer_load_dword v34, off, s[0:3], 0 offset:476
	buffer_load_dword v93, off, s[0:3], 0 offset:488
	buffer_load_dword v111, off, s[0:3], 0 offset:480
	buffer_load_dword v33, off, s[0:3], 0 offset:472
	buffer_load_dword v120, off, s[0:3], 0 offset:452
	v_mul_f64 v[29:30], v[11:12], v[29:30]
	s_waitcnt vmcnt(56)
	v_fma_f64 v[25:26], v[1:2], v[19:20], -v[25:26]
	ds_read_b128 v[5:8], v70 offset:1216
	v_fma_f64 v[19:20], v[3:4], v[19:20], v[109:110]
	v_add_f64 v[21:22], v[71:72], v[21:22]
	v_add_f64 v[13:14], v[13:14], v[27:28]
	s_clause 0x2
	buffer_load_dword v94, off, s[0:3], 0 offset:492
	buffer_load_dword v28, off, s[0:3], 0 offset:468
	;; [unrolled: 1-line block ×3, first 2 shown]
	s_waitcnt vmcnt(58) lgkmcnt(0)
	v_mul_f64 v[71:72], v[5:6], v[35:36]
	v_mul_f64 v[35:36], v[7:8], v[35:36]
	s_waitcnt vmcnt(56)
	v_fma_f64 v[29:30], v[9:10], v[37:38], -v[29:30]
	ds_read_b128 v[1:4], v70 offset:1232
	v_add_f64 v[21:22], v[21:22], v[25:26]
	v_fma_f64 v[25:26], v[11:12], v[37:38], v[129:130]
	v_add_f64 v[13:14], v[13:14], v[19:20]
	s_clause 0x4
	buffer_load_dword v20, off, s[0:3], 0 offset:508
	buffer_load_dword v37, off, s[0:3], 0 offset:520
	buffer_load_dword v109, off, s[0:3], 0 offset:512
	buffer_load_dword v19, off, s[0:3], 0 offset:504
	buffer_load_dword v112, off, s[0:3], 0 offset:484
	s_waitcnt vmcnt(57) lgkmcnt(0)
	v_mul_f64 v[129:130], v[1:2], v[39:40]
	v_mul_f64 v[39:40], v[3:4], v[39:40]
	s_waitcnt vmcnt(56)
	v_fma_f64 v[35:36], v[5:6], v[23:24], -v[35:36]
	ds_read_b128 v[9:12], v70 offset:1248
	v_fma_f64 v[23:24], v[7:8], v[23:24], v[71:72]
	v_add_f64 v[21:22], v[21:22], v[29:30]
	v_add_f64 v[13:14], v[13:14], v[25:26]
	s_clause 0x2
	buffer_load_dword v38, off, s[0:3], 0 offset:524
	buffer_load_dword v26, off, s[0:3], 0 offset:500
	;; [unrolled: 1-line block ×3, first 2 shown]
	ds_read_b128 v[5:8], v70 offset:1264
	s_waitcnt vmcnt(58) lgkmcnt(1)
	v_mul_f64 v[29:30], v[9:10], v[43:44]
	v_mul_f64 v[43:44], v[11:12], v[43:44]
	s_waitcnt vmcnt(56)
	v_fma_f64 v[39:40], v[1:2], v[45:46], -v[39:40]
	v_add_f64 v[21:22], v[21:22], v[35:36]
	v_fma_f64 v[35:36], v[3:4], v[45:46], v[129:130]
	v_add_f64 v[13:14], v[13:14], v[23:24]
	s_clause 0x4
	buffer_load_dword v24, off, s[0:3], 0 offset:540
	buffer_load_dword v45, off, s[0:3], 0 offset:552
	;; [unrolled: 1-line block ×5, first 2 shown]
	s_waitcnt vmcnt(57) lgkmcnt(0)
	v_mul_f64 v[129:130], v[5:6], v[47:48]
	v_mul_f64 v[47:48], v[7:8], v[47:48]
	s_waitcnt vmcnt(56)
	v_fma_f64 v[43:44], v[9:10], v[31:32], -v[43:44]
	ds_read_b128 v[1:4], v70 offset:1280
	v_fma_f64 v[29:30], v[11:12], v[31:32], v[29:30]
	s_clause 0x2
	buffer_load_dword v46, off, s[0:3], 0 offset:556
	buffer_load_dword v32, off, s[0:3], 0 offset:532
	;; [unrolled: 1-line block ×3, first 2 shown]
	ds_read_b128 v[9:12], v70 offset:1296
	v_add_f64 v[21:22], v[21:22], v[39:40]
	v_add_f64 v[13:14], v[13:14], v[35:36]
	s_waitcnt vmcnt(58) lgkmcnt(1)
	v_mul_f64 v[39:40], v[3:4], v[51:52]
	s_waitcnt vmcnt(56)
	v_fma_f64 v[47:48], v[5:6], v[53:54], -v[47:48]
	v_mul_f64 v[35:36], v[1:2], v[51:52]
	v_add_f64 v[21:22], v[21:22], v[43:44]
	v_fma_f64 v[43:44], v[7:8], v[53:54], v[129:130]
	v_add_f64 v[13:14], v[13:14], v[29:30]
	s_clause 0x4
	buffer_load_dword v30, off, s[0:3], 0 offset:572
	buffer_load_dword v51, off, s[0:3], 0 offset:584
	;; [unrolled: 1-line block ×5, first 2 shown]
	s_waitcnt vmcnt(57) lgkmcnt(0)
	v_mul_f64 v[129:130], v[9:10], v[55:56]
	v_mul_f64 v[54:55], v[11:12], v[55:56]
	s_waitcnt vmcnt(56)
	v_fma_f64 v[39:40], v[1:2], v[41:42], -v[39:40]
	ds_read_b128 v[5:8], v70 offset:1312
	v_fma_f64 v[35:36], v[3:4], v[41:42], v[35:36]
	s_clause 0x2
	buffer_load_dword v52, off, s[0:3], 0 offset:588
	buffer_load_dword v42, off, s[0:3], 0 offset:564
	buffer_load_dword v41, off, s[0:3], 0 offset:560
	ds_read_b128 v[1:4], v70 offset:1328
	v_add_f64 v[21:22], v[21:22], v[47:48]
	v_add_f64 v[13:14], v[13:14], v[43:44]
	s_waitcnt vmcnt(58) lgkmcnt(1)
	v_mul_f64 v[47:48], v[7:8], v[59:60]
	s_waitcnt vmcnt(56)
	v_fma_f64 v[55:56], v[9:10], v[61:62], -v[54:55]
	v_mul_f64 v[43:44], v[5:6], v[59:60]
	v_add_f64 v[21:22], v[21:22], v[39:40]
	v_fma_f64 v[39:40], v[11:12], v[61:62], v[129:130]
	v_add_f64 v[13:14], v[13:14], v[35:36]
	s_clause 0x4
	buffer_load_dword v36, off, s[0:3], 0 offset:604
	buffer_load_dword v59, off, s[0:3], 0 offset:616
	buffer_load_dword v61, off, s[0:3], 0 offset:608
	buffer_load_dword v35, off, s[0:3], 0 offset:600
	buffer_load_dword v54, off, s[0:3], 0 offset:580
	s_waitcnt vmcnt(57) lgkmcnt(0)
	v_mul_f64 v[129:130], v[1:2], v[63:64]
	v_mul_f64 v[62:63], v[3:4], v[63:64]
	s_waitcnt vmcnt(56)
	v_fma_f64 v[47:48], v[5:6], v[49:50], -v[47:48]
	ds_read_b128 v[9:12], v70 offset:1344
	v_fma_f64 v[43:44], v[7:8], v[49:50], v[43:44]
	v_add_f64 v[21:22], v[21:22], v[55:56]
	v_add_f64 v[13:14], v[13:14], v[39:40]
	s_clause 0x2
	buffer_load_dword v60, off, s[0:3], 0 offset:620
	buffer_load_dword v40, off, s[0:3], 0 offset:596
	;; [unrolled: 1-line block ×3, first 2 shown]
	ds_read_b128 v[5:8], v70 offset:1360
	s_waitcnt vmcnt(58) lgkmcnt(1)
	v_mul_f64 v[55:56], v[11:12], v[65:66]
	s_waitcnt vmcnt(56)
	v_fma_f64 v[63:64], v[1:2], v[67:68], -v[62:63]
	v_mul_f64 v[49:50], v[9:10], v[65:66]
	v_add_f64 v[21:22], v[21:22], v[47:48]
	v_fma_f64 v[47:48], v[3:4], v[67:68], v[129:130]
	v_add_f64 v[13:14], v[13:14], v[43:44]
	s_clause 0x4
	buffer_load_dword v44, off, s[0:3], 0 offset:636
	buffer_load_dword v65, off, s[0:3], 0 offset:648
	;; [unrolled: 1-line block ×5, first 2 shown]
	s_waitcnt vmcnt(57) lgkmcnt(0)
	v_mul_f64 v[129:130], v[5:6], v[95:96]
	v_mul_f64 v[95:96], v[7:8], v[95:96]
	s_waitcnt vmcnt(56)
	v_fma_f64 v[55:56], v[9:10], v[57:58], -v[55:56]
	ds_read_b128 v[1:4], v70 offset:1376
	v_fma_f64 v[49:50], v[11:12], v[57:58], v[49:50]
	v_add_f64 v[21:22], v[21:22], v[63:64]
	v_add_f64 v[13:14], v[13:14], v[47:48]
	s_clause 0x2
	buffer_load_dword v66, off, s[0:3], 0 offset:652
	buffer_load_dword v48, off, s[0:3], 0 offset:628
	;; [unrolled: 1-line block ×3, first 2 shown]
	ds_read_b128 v[9:12], v70 offset:1392
	s_waitcnt vmcnt(58) lgkmcnt(1)
	v_mul_f64 v[63:64], v[3:4], v[97:98]
	v_mul_f64 v[57:58], v[1:2], v[97:98]
	s_waitcnt vmcnt(56)
	v_fma_f64 v[95:96], v[5:6], v[17:18], -v[95:96]
	v_fma_f64 v[17:18], v[7:8], v[17:18], v[129:130]
	v_add_f64 v[21:22], v[21:22], v[55:56]
	v_add_f64 v[13:14], v[13:14], v[49:50]
	s_clause 0x4
	buffer_load_dword v50, off, s[0:3], 0 offset:668
	buffer_load_dword v55, off, s[0:3], 0 offset:680
	;; [unrolled: 1-line block ×5, first 2 shown]
	ds_read_b128 v[5:8], v70 offset:1408
	s_waitcnt vmcnt(57) lgkmcnt(1)
	v_mul_f64 v[129:130], v[9:10], v[15:16]
	v_mul_f64 v[15:16], v[11:12], v[15:16]
	s_waitcnt vmcnt(56)
	v_fma_f64 v[63:64], v[1:2], v[99:100], -v[63:64]
	v_fma_f64 v[57:58], v[3:4], v[99:100], v[57:58]
	v_add_f64 v[21:22], v[21:22], v[95:96]
	v_add_f64 v[13:14], v[13:14], v[17:18]
	s_clause 0x2
	buffer_load_dword v56, off, s[0:3], 0 offset:684
	buffer_load_dword v18, off, s[0:3], 0 offset:660
	;; [unrolled: 1-line block ×3, first 2 shown]
	s_waitcnt vmcnt(58) lgkmcnt(0)
	v_mul_f64 v[99:100], v[7:8], v[117:118]
	ds_read_b128 v[1:4], v70 offset:1424
	v_mul_f64 v[95:96], v[5:6], v[117:118]
	s_waitcnt vmcnt(56)
	v_fma_f64 v[15:16], v[9:10], v[73:74], -v[15:16]
	v_add_f64 v[21:22], v[21:22], v[63:64]
	v_fma_f64 v[63:64], v[11:12], v[73:74], v[129:130]
	v_add_f64 v[13:14], v[13:14], v[57:58]
	s_clause 0x4
	buffer_load_dword v58, off, s[0:3], 0 offset:700
	buffer_load_dword v73, off, s[0:3], 0 offset:712
	;; [unrolled: 1-line block ×5, first 2 shown]
	ds_read_b128 v[9:12], v70 offset:1440
	s_waitcnt vmcnt(57) lgkmcnt(1)
	v_mul_f64 v[129:130], v[1:2], v[33:34]
	v_mul_f64 v[33:34], v[3:4], v[33:34]
	s_waitcnt vmcnt(56)
	v_fma_f64 v[99:100], v[5:6], v[119:120], -v[99:100]
	v_add_f64 v[15:16], v[21:22], v[15:16]
	v_fma_f64 v[21:22], v[7:8], v[119:120], v[95:96]
	v_add_f64 v[13:14], v[13:14], v[63:64]
	s_clause 0x2
	buffer_load_dword v74, off, s[0:3], 0 offset:716
	buffer_load_dword v64, off, s[0:3], 0 offset:692
	;; [unrolled: 1-line block ×3, first 2 shown]
	ds_read_b128 v[5:8], v70 offset:1456
	s_waitcnt vmcnt(58) lgkmcnt(1)
	v_mul_f64 v[95:96], v[9:10], v[93:94]
	v_mul_f64 v[93:94], v[11:12], v[93:94]
	s_waitcnt vmcnt(56)
	v_fma_f64 v[33:34], v[1:2], v[27:28], -v[33:34]
	v_fma_f64 v[27:28], v[3:4], v[27:28], v[129:130]
	v_add_f64 v[15:16], v[15:16], v[99:100]
	v_add_f64 v[13:14], v[13:14], v[21:22]
	s_clause 0x4
	buffer_load_dword v22, off, s[0:3], 0 offset:732
	buffer_load_dword v99, off, s[0:3], 0 offset:744
	;; [unrolled: 1-line block ×5, first 2 shown]
	ds_read_b128 v[1:4], v70 offset:1472
	s_waitcnt vmcnt(57) lgkmcnt(1)
	v_mul_f64 v[129:130], v[5:6], v[19:20]
	v_mul_f64 v[19:20], v[7:8], v[19:20]
	s_waitcnt vmcnt(56)
	v_fma_f64 v[93:94], v[9:10], v[111:112], -v[93:94]
	v_add_f64 v[15:16], v[15:16], v[33:34]
	v_fma_f64 v[33:34], v[11:12], v[111:112], v[95:96]
	v_add_f64 v[13:14], v[13:14], v[27:28]
	s_clause 0x2
	buffer_load_dword v100, off, s[0:3], 0 offset:748
	buffer_load_dword v28, off, s[0:3], 0 offset:724
	;; [unrolled: 1-line block ×3, first 2 shown]
	ds_read_b128 v[9:12], v70 offset:1488
	s_waitcnt vmcnt(58) lgkmcnt(1)
	v_mul_f64 v[95:96], v[1:2], v[37:38]
	v_mul_f64 v[37:38], v[3:4], v[37:38]
	s_waitcnt vmcnt(56)
	v_fma_f64 v[19:20], v[5:6], v[25:26], -v[19:20]
	v_fma_f64 v[25:26], v[7:8], v[25:26], v[129:130]
	v_add_f64 v[15:16], v[15:16], v[93:94]
	v_add_f64 v[13:14], v[13:14], v[33:34]
	s_clause 0x4
	buffer_load_dword v34, off, s[0:3], 0 offset:764
	buffer_load_dword v93, off, s[0:3], 0 offset:776
	;; [unrolled: 1-line block ×5, first 2 shown]
	ds_read_b128 v[5:8], v70 offset:1504
	s_waitcnt vmcnt(57) lgkmcnt(1)
	v_mul_f64 v[129:130], v[9:10], v[23:24]
	v_mul_f64 v[23:24], v[11:12], v[23:24]
	s_waitcnt vmcnt(56)
	v_fma_f64 v[37:38], v[1:2], v[109:110], -v[37:38]
	v_add_f64 v[15:16], v[15:16], v[19:20]
	v_fma_f64 v[19:20], v[3:4], v[109:110], v[95:96]
	v_add_f64 v[13:14], v[13:14], v[25:26]
	s_clause 0x2
	buffer_load_dword v94, off, s[0:3], 0 offset:780
	buffer_load_dword v26, off, s[0:3], 0 offset:756
	;; [unrolled: 1-line block ×3, first 2 shown]
	s_waitcnt vmcnt(58) lgkmcnt(0)
	v_mul_f64 v[95:96], v[5:6], v[45:46]
	v_mul_f64 v[45:46], v[7:8], v[45:46]
	ds_read_b128 v[1:4], v70 offset:1520
	s_waitcnt vmcnt(56)
	v_fma_f64 v[23:24], v[9:10], v[31:32], -v[23:24]
	v_fma_f64 v[31:32], v[11:12], v[31:32], v[129:130]
	v_add_f64 v[15:16], v[15:16], v[37:38]
	v_add_f64 v[13:14], v[13:14], v[19:20]
	s_clause 0x4
	buffer_load_dword v20, off, s[0:3], 0 offset:796
	buffer_load_dword v37, off, s[0:3], 0 offset:808
	;; [unrolled: 1-line block ×5, first 2 shown]
	ds_read_b128 v[9:12], v70 offset:1536
	s_waitcnt vmcnt(57) lgkmcnt(1)
	v_mul_f64 v[129:130], v[1:2], v[29:30]
	v_mul_f64 v[29:30], v[3:4], v[29:30]
	s_waitcnt vmcnt(56)
	v_fma_f64 v[45:46], v[5:6], v[71:72], -v[45:46]
	v_add_f64 v[15:16], v[15:16], v[23:24]
	v_fma_f64 v[23:24], v[7:8], v[71:72], v[95:96]
	v_add_f64 v[13:14], v[13:14], v[31:32]
	s_clause 0x2
	buffer_load_dword v38, off, s[0:3], 0 offset:812
	buffer_load_dword v32, off, s[0:3], 0 offset:788
	;; [unrolled: 1-line block ×3, first 2 shown]
	s_waitcnt vmcnt(58) lgkmcnt(0)
	v_mul_f64 v[71:72], v[9:10], v[51:52]
	v_mul_f64 v[51:52], v[11:12], v[51:52]
	ds_read_b128 v[5:8], v70 offset:1552
	s_waitcnt vmcnt(56)
	v_fma_f64 v[29:30], v[1:2], v[41:42], -v[29:30]
	v_fma_f64 v[41:42], v[3:4], v[41:42], v[129:130]
	v_add_f64 v[15:16], v[15:16], v[45:46]
	v_add_f64 v[13:14], v[13:14], v[23:24]
	s_clause 0x4
	buffer_load_dword v24, off, s[0:3], 0 offset:828
	buffer_load_dword v45, off, s[0:3], 0 offset:840
	buffer_load_dword v95, off, s[0:3], 0 offset:832
	buffer_load_dword v23, off, s[0:3], 0 offset:824
	buffer_load_dword v110, off, s[0:3], 0 offset:804
	ds_read_b128 v[1:4], v70 offset:1568
	s_waitcnt vmcnt(57) lgkmcnt(1)
	v_mul_f64 v[129:130], v[5:6], v[35:36]
	v_mul_f64 v[35:36], v[7:8], v[35:36]
	s_waitcnt vmcnt(56)
	v_fma_f64 v[51:52], v[9:10], v[53:54], -v[51:52]
	v_add_f64 v[15:16], v[15:16], v[29:30]
	v_fma_f64 v[29:30], v[11:12], v[53:54], v[71:72]
	v_add_f64 v[13:14], v[13:14], v[41:42]
	s_clause 0x2
	buffer_load_dword v46, off, s[0:3], 0 offset:844
	buffer_load_dword v42, off, s[0:3], 0 offset:820
	buffer_load_dword v41, off, s[0:3], 0 offset:816
	ds_read_b128 v[9:12], v70 offset:1584
	s_waitcnt vmcnt(58) lgkmcnt(1)
	v_mul_f64 v[53:54], v[1:2], v[59:60]
	v_mul_f64 v[59:60], v[3:4], v[59:60]
	s_waitcnt vmcnt(56)
	v_fma_f64 v[35:36], v[5:6], v[39:40], -v[35:36]
	v_fma_f64 v[39:40], v[7:8], v[39:40], v[129:130]
	v_add_f64 v[15:16], v[15:16], v[51:52]
	v_add_f64 v[13:14], v[13:14], v[29:30]
	s_clause 0x4
	buffer_load_dword v30, off, s[0:3], 0 offset:860
	buffer_load_dword v51, off, s[0:3], 0 offset:872
	buffer_load_dword v71, off, s[0:3], 0 offset:864
	buffer_load_dword v29, off, s[0:3], 0 offset:856
	buffer_load_dword v96, off, s[0:3], 0 offset:836
	ds_read_b128 v[5:8], v70 offset:1600
	s_waitcnt vmcnt(57) lgkmcnt(1)
	v_mul_f64 v[129:130], v[9:10], v[43:44]
	v_mul_f64 v[43:44], v[11:12], v[43:44]
	s_waitcnt vmcnt(56)
	v_fma_f64 v[59:60], v[1:2], v[61:62], -v[59:60]
	v_add_f64 v[15:16], v[15:16], v[35:36]
	v_fma_f64 v[35:36], v[3:4], v[61:62], v[53:54]
	v_add_f64 v[13:14], v[13:14], v[39:40]
	s_clause 0x2
	buffer_load_dword v52, off, s[0:3], 0 offset:876
	buffer_load_dword v40, off, s[0:3], 0 offset:852
	buffer_load_dword v39, off, s[0:3], 0 offset:848
	ds_read_b128 v[1:4], v70 offset:1616
	s_waitcnt vmcnt(58) lgkmcnt(1)
	v_mul_f64 v[61:62], v[7:8], v[65:66]
	v_mul_f64 v[53:54], v[5:6], v[65:66]
	;; [unrolled: 28-line block ×4, first 2 shown]
	s_waitcnt vmcnt(56)
	v_fma_f64 v[57:58], v[5:6], v[63:64], -v[57:58]
	v_add_f64 v[15:16], v[15:16], v[55:56]
	v_fma_f64 v[55:56], v[7:8], v[63:64], v[129:130]
	v_add_f64 v[13:14], v[13:14], v[49:50]
	s_clause 0x4
	buffer_load_dword v50, off, s[0:3], 0 offset:956
	buffer_load_dword v63, off, s[0:3], 0 offset:968
	buffer_load_dword v97, off, s[0:3], 0 offset:960
	buffer_load_dword v49, off, s[0:3], 0 offset:952
	buffer_load_dword v68, off, s[0:3], 0 offset:932
	ds_read_b128 v[5:8], v70 offset:1696
	s_waitcnt vmcnt(57) lgkmcnt(1)
	v_mul_f64 v[129:130], v[9:10], v[21:22]
	v_mul_f64 v[21:22], v[11:12], v[21:22]
	s_waitcnt vmcnt(56)
	v_fma_f64 v[73:74], v[1:2], v[117:118], -v[73:74]
	v_fma_f64 v[53:54], v[3:4], v[117:118], v[53:54]
	v_add_f64 v[15:16], v[15:16], v[57:58]
	v_add_f64 v[13:14], v[13:14], v[55:56]
	s_clause 0x2
	buffer_load_dword v64, off, s[0:3], 0 offset:972
	buffer_load_dword v56, off, s[0:3], 0 offset:948
	;; [unrolled: 1-line block ×3, first 2 shown]
	ds_read_b128 v[1:4], v70 offset:1712
	s_waitcnt vmcnt(58) lgkmcnt(1)
	v_mul_f64 v[57:58], v[5:6], v[99:100]
	v_mul_f64 v[99:100], v[7:8], v[99:100]
	s_waitcnt vmcnt(56)
	v_fma_f64 v[21:22], v[9:10], v[27:28], -v[21:22]
	v_fma_f64 v[27:28], v[11:12], v[27:28], v[129:130]
	v_add_f64 v[15:16], v[15:16], v[73:74]
	v_add_f64 v[13:14], v[13:14], v[53:54]
	s_clause 0x2
	buffer_load_dword v54, off, s[0:3], 0 offset:988
	buffer_load_dword v53, off, s[0:3], 0 offset:984
	;; [unrolled: 1-line block ×3, first 2 shown]
	ds_read_b128 v[9:12], v70 offset:1728
	s_waitcnt vmcnt(55) lgkmcnt(1)
	v_mul_f64 v[73:74], v[1:2], v[33:34]
	v_mul_f64 v[33:34], v[3:4], v[33:34]
	s_waitcnt vmcnt(54)
	v_fma_f64 v[99:100], v[5:6], v[119:120], -v[99:100]
	v_add_f64 v[15:16], v[15:16], v[21:22]
	v_fma_f64 v[21:22], v[7:8], v[119:120], v[57:58]
	v_add_f64 v[13:14], v[13:14], v[27:28]
	s_clause 0x1
	buffer_load_dword v28, off, s[0:3], 0 offset:980
	buffer_load_dword v27, off, s[0:3], 0 offset:976
	ds_read_b128 v[5:8], v70 offset:1744
	s_waitcnt vmcnt(55) lgkmcnt(1)
	v_mul_f64 v[57:58], v[9:10], v[93:94]
	v_mul_f64 v[93:94], v[11:12], v[93:94]
	s_waitcnt vmcnt(53)
	v_fma_f64 v[33:34], v[1:2], v[25:26], -v[33:34]
	v_fma_f64 v[25:26], v[3:4], v[25:26], v[73:74]
	ds_read_b128 v[1:4], v70 offset:1760
	v_add_f64 v[15:16], v[15:16], v[99:100]
	v_add_f64 v[13:14], v[13:14], v[21:22]
	s_waitcnt vmcnt(49) lgkmcnt(1)
	v_mul_f64 v[21:22], v[5:6], v[19:20]
	v_mul_f64 v[19:20], v[7:8], v[19:20]
	s_waitcnt vmcnt(48)
	v_fma_f64 v[73:74], v[9:10], v[111:112], -v[93:94]
	v_add_f64 v[15:16], v[15:16], v[33:34]
	v_fma_f64 v[33:34], v[11:12], v[111:112], v[57:58]
	v_add_f64 v[13:14], v[13:14], v[25:26]
	s_clause 0x3
	buffer_load_dword v25, off, s[0:3], 0 offset:144
	buffer_load_dword v26, off, s[0:3], 0 offset:148
	;; [unrolled: 1-line block ×4, first 2 shown]
	ds_read_b128 v[9:12], v70 offset:1776
	s_waitcnt vmcnt(51) lgkmcnt(1)
	v_mul_f64 v[93:94], v[1:2], v[37:38]
	v_mul_f64 v[37:38], v[3:4], v[37:38]
	s_waitcnt vmcnt(49)
	v_fma_f64 v[19:20], v[5:6], v[31:32], -v[19:20]
	v_fma_f64 v[21:22], v[7:8], v[31:32], v[21:22]
	ds_read_b128 v[5:8], v70 offset:1792
	v_add_f64 v[15:16], v[15:16], v[73:74]
	v_add_f64 v[13:14], v[13:14], v[33:34]
	s_waitcnt vmcnt(45) lgkmcnt(1)
	v_mul_f64 v[31:32], v[9:10], v[23:24]
	v_mul_f64 v[23:24], v[11:12], v[23:24]
	s_waitcnt vmcnt(44)
	v_fma_f64 v[33:34], v[1:2], v[109:110], -v[37:38]
	v_add_f64 v[15:16], v[15:16], v[19:20]
	v_fma_f64 v[19:20], v[3:4], v[109:110], v[93:94]
	v_add_f64 v[13:14], v[13:14], v[21:22]
	ds_read_b128 v[1:4], v70 offset:1808
	s_waitcnt vmcnt(43) lgkmcnt(1)
	v_mul_f64 v[37:38], v[7:8], v[45:46]
	v_mul_f64 v[21:22], v[5:6], v[45:46]
	s_waitcnt vmcnt(41)
	v_fma_f64 v[23:24], v[9:10], v[41:42], -v[23:24]
	v_fma_f64 v[31:32], v[11:12], v[41:42], v[31:32]
	ds_read_b128 v[9:12], v70 offset:1824
	v_add_f64 v[15:16], v[15:16], v[33:34]
	v_add_f64 v[13:14], v[13:14], v[19:20]
	s_waitcnt vmcnt(37) lgkmcnt(1)
	v_mul_f64 v[19:20], v[1:2], v[29:30]
	v_mul_f64 v[29:30], v[3:4], v[29:30]
	s_waitcnt vmcnt(36)
	v_fma_f64 v[33:34], v[5:6], v[95:96], -v[37:38]
	v_fma_f64 v[21:22], v[7:8], v[95:96], v[21:22]
	ds_read_b128 v[5:8], v70 offset:1840
	v_add_f64 v[15:16], v[15:16], v[23:24]
	v_add_f64 v[13:14], v[13:14], v[31:32]
	;; [unrolled: 9-line block ×3, first 2 shown]
	s_waitcnt vmcnt(29) lgkmcnt(1)
	v_mul_f64 v[33:34], v[7:8], v[35:36]
	s_waitcnt vmcnt(28)
	v_fma_f64 v[31:32], v[9:10], v[71:72], -v[31:32]
	v_mul_f64 v[21:22], v[5:6], v[35:36]
	v_fma_f64 v[23:24], v[11:12], v[71:72], v[23:24]
	ds_read_b128 v[9:12], v70 offset:1872
	v_add_f64 v[15:16], v[15:16], v[29:30]
	v_add_f64 v[13:14], v[13:14], v[19:20]
	s_waitcnt vmcnt(27) lgkmcnt(1)
	v_mul_f64 v[29:30], v[3:4], v[59:60]
	v_mul_f64 v[19:20], v[1:2], v[59:60]
	s_waitcnt vmcnt(25)
	v_fma_f64 v[33:34], v[5:6], v[47:48], -v[33:34]
	v_fma_f64 v[21:22], v[7:8], v[47:48], v[21:22]
	ds_read_b128 v[5:8], v70 offset:1888
	v_add_f64 v[15:16], v[15:16], v[31:32]
	v_add_f64 v[13:14], v[13:14], v[23:24]
	s_waitcnt vmcnt(21) lgkmcnt(1)
	v_mul_f64 v[31:32], v[11:12], v[43:44]
	s_waitcnt vmcnt(20)
	v_fma_f64 v[29:30], v[1:2], v[65:66], -v[29:30]
	v_mul_f64 v[23:24], v[9:10], v[43:44]
	v_fma_f64 v[19:20], v[3:4], v[65:66], v[19:20]
	ds_read_b128 v[1:4], v70 offset:1904
	v_add_f64 v[15:16], v[15:16], v[33:34]
	v_add_f64 v[13:14], v[13:14], v[21:22]
	s_waitcnt vmcnt(19) lgkmcnt(1)
	v_mul_f64 v[33:34], v[7:8], v[61:62]
	v_mul_f64 v[21:22], v[5:6], v[61:62]
	s_waitcnt vmcnt(17)
	v_fma_f64 v[31:32], v[9:10], v[17:18], -v[31:32]
	v_fma_f64 v[17:18], v[11:12], v[17:18], v[23:24]
	ds_read_b128 v[9:12], v70 offset:1920
	v_add_f64 v[15:16], v[15:16], v[29:30]
	v_add_f64 v[13:14], v[13:14], v[19:20]
	s_waitcnt vmcnt(13) lgkmcnt(1)
	v_mul_f64 v[23:24], v[3:4], v[49:50]
	s_waitcnt vmcnt(12)
	v_fma_f64 v[29:30], v[5:6], v[67:68], -v[33:34]
	v_mul_f64 v[19:20], v[1:2], v[49:50]
	v_fma_f64 v[21:22], v[7:8], v[67:68], v[21:22]
	ds_read_b128 v[5:8], v70 offset:1936
	v_add_f64 v[15:16], v[15:16], v[31:32]
	v_add_f64 v[13:14], v[13:14], v[17:18]
	s_waitcnt vmcnt(11) lgkmcnt(1)
	v_mul_f64 v[31:32], v[11:12], v[63:64]
	v_mul_f64 v[17:18], v[9:10], v[63:64]
	s_waitcnt vmcnt(9)
	v_fma_f64 v[1:2], v[1:2], v[55:56], -v[23:24]
	v_fma_f64 v[3:4], v[3:4], v[55:56], v[19:20]
	v_add_f64 v[15:16], v[15:16], v[29:30]
	v_add_f64 v[13:14], v[13:14], v[21:22]
	s_waitcnt vmcnt(7) lgkmcnt(0)
	v_mul_f64 v[21:22], v[7:8], v[53:54]
	s_waitcnt vmcnt(6)
	v_fma_f64 v[9:10], v[9:10], v[97:98], -v[31:32]
	v_mul_f64 v[19:20], v[5:6], v[53:54]
	v_fma_f64 v[11:12], v[11:12], v[97:98], v[17:18]
	v_add_f64 v[1:2], v[15:16], v[1:2]
	v_add_f64 v[3:4], v[13:14], v[3:4]
	s_waitcnt vmcnt(4)
	v_fma_f64 v[5:6], v[5:6], v[27:28], -v[21:22]
	v_fma_f64 v[7:8], v[7:8], v[27:28], v[19:20]
	v_add_f64 v[1:2], v[1:2], v[9:10]
	v_add_f64 v[3:4], v[3:4], v[11:12]
	;; [unrolled: 1-line block ×4, first 2 shown]
	s_waitcnt vmcnt(2)
	v_add_f64 v[1:2], v[25:26], -v[1:2]
	s_waitcnt vmcnt(0)
	v_add_f64 v[3:4], v[57:58], -v[3:4]
	buffer_store_dword v2, off, s[0:3], 0 offset:148
	buffer_store_dword v1, off, s[0:3], 0 offset:144
	;; [unrolled: 1-line block ×4, first 2 shown]
	v_cmpx_lt_u32_e32 7, v0
	s_cbranch_execz .LBB60_377
; %bb.376:
	v_mov_b32_e32 v4, s63
	v_mov_b32_e32 v5, 0
	s_clause 0x3
	buffer_load_dword v1, v4, s[0:3], 0 offen
	buffer_load_dword v2, v4, s[0:3], 0 offen offset:4
	buffer_load_dword v3, v4, s[0:3], 0 offen offset:8
	buffer_load_dword v4, v4, s[0:3], 0 offen offset:12
	buffer_store_dword v5, off, s[0:3], 0 offset:128
	buffer_store_dword v5, off, s[0:3], 0 offset:132
	;; [unrolled: 1-line block ×4, first 2 shown]
	s_waitcnt vmcnt(0)
	ds_write_b128 v69, v[1:4]
.LBB60_377:
	s_or_b32 exec_lo, exec_lo, s4
	s_waitcnt lgkmcnt(0)
	s_waitcnt_vscnt null, 0x0
	s_barrier
	buffer_gl0_inv
	s_clause 0x37
	buffer_load_dword v17, off, s[0:3], 0 offset:152
	buffer_load_dword v18, off, s[0:3], 0 offset:156
	;; [unrolled: 1-line block ×56, first 2 shown]
	v_mov_b32_e32 v70, 0
	s_mov_b32 s4, exec_lo
	ds_read_b128 v[5:8], v70 offset:1104
	s_clause 0x2
	buffer_load_dword v66, off, s[0:3], 0 offset:380
	buffer_load_dword v68, off, s[0:3], 0 offset:356
	;; [unrolled: 1-line block ×3, first 2 shown]
	ds_read_b128 v[1:4], v70 offset:1120
	s_clause 0x4
	buffer_load_dword v96, off, s[0:3], 0 offset:396
	buffer_load_dword v97, off, s[0:3], 0 offset:408
	;; [unrolled: 1-line block ×5, first 2 shown]
	ds_read_b128 v[71:74], v70 offset:1136
	s_waitcnt vmcnt(62) lgkmcnt(2)
	v_mul_f64 v[93:94], v[7:8], v[17:18]
	v_mul_f64 v[17:18], v[5:6], v[17:18]
	s_waitcnt vmcnt(60) lgkmcnt(1)
	v_mul_f64 v[109:110], v[3:4], v[13:14]
	v_mul_f64 v[13:14], v[1:2], v[13:14]
	;; [unrolled: 3-line block ×3, first 2 shown]
	v_fma_f64 v[93:94], v[5:6], v[15:16], -v[93:94]
	v_fma_f64 v[15:16], v[7:8], v[15:16], v[17:18]
	s_clause 0x2
	buffer_load_dword v98, off, s[0:3], 0 offset:412
	buffer_load_dword v18, off, s[0:3], 0 offset:388
	;; [unrolled: 1-line block ×3, first 2 shown]
	s_waitcnt vmcnt(57)
	v_fma_f64 v[109:110], v[1:2], v[9:10], -v[109:110]
	ds_read_b128 v[5:8], v70 offset:1152
	v_fma_f64 v[9:10], v[3:4], v[9:10], v[13:14]
	s_waitcnt vmcnt(51)
	v_fma_f64 v[71:72], v[71:72], v[33:34], -v[11:12]
	v_fma_f64 v[33:34], v[73:74], v[33:34], v[111:112]
	v_add_f64 v[93:94], v[93:94], 0
	v_add_f64 v[13:14], v[15:16], 0
	s_clause 0x4
	buffer_load_dword v16, off, s[0:3], 0 offset:428
	buffer_load_dword v117, off, s[0:3], 0 offset:440
	;; [unrolled: 1-line block ×5, first 2 shown]
	s_waitcnt lgkmcnt(0)
	v_mul_f64 v[129:130], v[5:6], v[21:22]
	v_mul_f64 v[21:22], v[7:8], v[21:22]
	ds_read_b128 v[1:4], v70 offset:1168
	s_clause 0x2
	buffer_load_dword v118, off, s[0:3], 0 offset:444
	buffer_load_dword v74, off, s[0:3], 0 offset:420
	;; [unrolled: 1-line block ×3, first 2 shown]
	v_add_f64 v[93:94], v[93:94], v[109:110]
	v_add_f64 v[13:14], v[13:14], v[9:10]
	ds_read_b128 v[9:12], v70 offset:1184
	s_waitcnt vmcnt(58) lgkmcnt(1)
	v_mul_f64 v[109:110], v[1:2], v[25:26]
	v_mul_f64 v[25:26], v[3:4], v[25:26]
	s_waitcnt vmcnt(56)
	v_fma_f64 v[21:22], v[5:6], v[27:28], -v[21:22]
	v_fma_f64 v[27:28], v[7:8], v[27:28], v[129:130]
	s_waitcnt vmcnt(52) lgkmcnt(0)
	v_mul_f64 v[129:130], v[9:10], v[29:30]
	v_add_f64 v[71:72], v[93:94], v[71:72]
	v_add_f64 v[13:14], v[13:14], v[33:34]
	s_clause 0x4
	buffer_load_dword v34, off, s[0:3], 0 offset:460
	buffer_load_dword v93, off, s[0:3], 0 offset:472
	;; [unrolled: 1-line block ×5, first 2 shown]
	v_mul_f64 v[29:30], v[11:12], v[29:30]
	s_waitcnt vmcnt(56)
	v_fma_f64 v[25:26], v[1:2], v[19:20], -v[25:26]
	ds_read_b128 v[5:8], v70 offset:1200
	v_fma_f64 v[19:20], v[3:4], v[19:20], v[109:110]
	v_add_f64 v[21:22], v[71:72], v[21:22]
	v_add_f64 v[13:14], v[13:14], v[27:28]
	s_clause 0x2
	buffer_load_dword v94, off, s[0:3], 0 offset:476
	buffer_load_dword v28, off, s[0:3], 0 offset:452
	;; [unrolled: 1-line block ×3, first 2 shown]
	s_waitcnt vmcnt(58) lgkmcnt(0)
	v_mul_f64 v[71:72], v[5:6], v[35:36]
	v_mul_f64 v[35:36], v[7:8], v[35:36]
	s_waitcnt vmcnt(56)
	v_fma_f64 v[29:30], v[9:10], v[37:38], -v[29:30]
	ds_read_b128 v[1:4], v70 offset:1216
	v_add_f64 v[21:22], v[21:22], v[25:26]
	v_fma_f64 v[25:26], v[11:12], v[37:38], v[129:130]
	v_add_f64 v[13:14], v[13:14], v[19:20]
	s_clause 0x4
	buffer_load_dword v20, off, s[0:3], 0 offset:492
	buffer_load_dword v37, off, s[0:3], 0 offset:504
	;; [unrolled: 1-line block ×5, first 2 shown]
	s_waitcnt vmcnt(57) lgkmcnt(0)
	v_mul_f64 v[129:130], v[1:2], v[39:40]
	v_mul_f64 v[39:40], v[3:4], v[39:40]
	s_waitcnt vmcnt(56)
	v_fma_f64 v[35:36], v[5:6], v[23:24], -v[35:36]
	ds_read_b128 v[9:12], v70 offset:1232
	v_fma_f64 v[23:24], v[7:8], v[23:24], v[71:72]
	v_add_f64 v[21:22], v[21:22], v[29:30]
	v_add_f64 v[13:14], v[13:14], v[25:26]
	s_clause 0x2
	buffer_load_dword v38, off, s[0:3], 0 offset:508
	buffer_load_dword v26, off, s[0:3], 0 offset:484
	;; [unrolled: 1-line block ×3, first 2 shown]
	ds_read_b128 v[5:8], v70 offset:1248
	s_waitcnt vmcnt(58) lgkmcnt(1)
	v_mul_f64 v[29:30], v[9:10], v[43:44]
	v_mul_f64 v[43:44], v[11:12], v[43:44]
	s_waitcnt vmcnt(56)
	v_fma_f64 v[39:40], v[1:2], v[45:46], -v[39:40]
	v_add_f64 v[21:22], v[21:22], v[35:36]
	v_fma_f64 v[35:36], v[3:4], v[45:46], v[129:130]
	v_add_f64 v[13:14], v[13:14], v[23:24]
	s_clause 0x4
	buffer_load_dword v24, off, s[0:3], 0 offset:524
	buffer_load_dword v45, off, s[0:3], 0 offset:536
	;; [unrolled: 1-line block ×5, first 2 shown]
	s_waitcnt vmcnt(57) lgkmcnt(0)
	v_mul_f64 v[129:130], v[5:6], v[47:48]
	v_mul_f64 v[47:48], v[7:8], v[47:48]
	s_waitcnt vmcnt(56)
	v_fma_f64 v[43:44], v[9:10], v[31:32], -v[43:44]
	ds_read_b128 v[1:4], v70 offset:1264
	v_fma_f64 v[29:30], v[11:12], v[31:32], v[29:30]
	s_clause 0x2
	buffer_load_dword v46, off, s[0:3], 0 offset:540
	buffer_load_dword v32, off, s[0:3], 0 offset:516
	;; [unrolled: 1-line block ×3, first 2 shown]
	ds_read_b128 v[9:12], v70 offset:1280
	v_add_f64 v[21:22], v[21:22], v[39:40]
	v_add_f64 v[13:14], v[13:14], v[35:36]
	s_waitcnt vmcnt(58) lgkmcnt(1)
	v_mul_f64 v[39:40], v[3:4], v[51:52]
	s_waitcnt vmcnt(56)
	v_fma_f64 v[47:48], v[5:6], v[53:54], -v[47:48]
	v_mul_f64 v[35:36], v[1:2], v[51:52]
	v_add_f64 v[21:22], v[21:22], v[43:44]
	v_fma_f64 v[43:44], v[7:8], v[53:54], v[129:130]
	v_add_f64 v[13:14], v[13:14], v[29:30]
	s_clause 0x4
	buffer_load_dword v30, off, s[0:3], 0 offset:556
	buffer_load_dword v51, off, s[0:3], 0 offset:568
	;; [unrolled: 1-line block ×5, first 2 shown]
	s_waitcnt vmcnt(57) lgkmcnt(0)
	v_mul_f64 v[129:130], v[9:10], v[55:56]
	v_mul_f64 v[54:55], v[11:12], v[55:56]
	s_waitcnt vmcnt(56)
	v_fma_f64 v[39:40], v[1:2], v[41:42], -v[39:40]
	ds_read_b128 v[5:8], v70 offset:1296
	v_fma_f64 v[35:36], v[3:4], v[41:42], v[35:36]
	s_clause 0x2
	buffer_load_dword v52, off, s[0:3], 0 offset:572
	buffer_load_dword v42, off, s[0:3], 0 offset:548
	;; [unrolled: 1-line block ×3, first 2 shown]
	ds_read_b128 v[1:4], v70 offset:1312
	v_add_f64 v[21:22], v[21:22], v[47:48]
	v_add_f64 v[13:14], v[13:14], v[43:44]
	s_waitcnt vmcnt(58) lgkmcnt(1)
	v_mul_f64 v[47:48], v[7:8], v[59:60]
	s_waitcnt vmcnt(56)
	v_fma_f64 v[55:56], v[9:10], v[61:62], -v[54:55]
	v_mul_f64 v[43:44], v[5:6], v[59:60]
	v_add_f64 v[21:22], v[21:22], v[39:40]
	v_fma_f64 v[39:40], v[11:12], v[61:62], v[129:130]
	v_add_f64 v[13:14], v[13:14], v[35:36]
	s_clause 0x4
	buffer_load_dword v36, off, s[0:3], 0 offset:588
	buffer_load_dword v59, off, s[0:3], 0 offset:600
	;; [unrolled: 1-line block ×5, first 2 shown]
	s_waitcnt vmcnt(57) lgkmcnt(0)
	v_mul_f64 v[129:130], v[1:2], v[63:64]
	v_mul_f64 v[62:63], v[3:4], v[63:64]
	s_waitcnt vmcnt(56)
	v_fma_f64 v[47:48], v[5:6], v[49:50], -v[47:48]
	ds_read_b128 v[9:12], v70 offset:1328
	v_fma_f64 v[43:44], v[7:8], v[49:50], v[43:44]
	v_add_f64 v[21:22], v[21:22], v[55:56]
	v_add_f64 v[13:14], v[13:14], v[39:40]
	s_clause 0x2
	buffer_load_dword v60, off, s[0:3], 0 offset:604
	buffer_load_dword v40, off, s[0:3], 0 offset:580
	;; [unrolled: 1-line block ×3, first 2 shown]
	ds_read_b128 v[5:8], v70 offset:1344
	s_waitcnt vmcnt(58) lgkmcnt(1)
	v_mul_f64 v[55:56], v[11:12], v[65:66]
	s_waitcnt vmcnt(56)
	v_fma_f64 v[63:64], v[1:2], v[67:68], -v[62:63]
	v_mul_f64 v[49:50], v[9:10], v[65:66]
	v_add_f64 v[21:22], v[21:22], v[47:48]
	v_fma_f64 v[47:48], v[3:4], v[67:68], v[129:130]
	v_add_f64 v[13:14], v[13:14], v[43:44]
	s_clause 0x4
	buffer_load_dword v44, off, s[0:3], 0 offset:620
	buffer_load_dword v65, off, s[0:3], 0 offset:632
	;; [unrolled: 1-line block ×5, first 2 shown]
	s_waitcnt vmcnt(57) lgkmcnt(0)
	v_mul_f64 v[129:130], v[5:6], v[95:96]
	v_mul_f64 v[95:96], v[7:8], v[95:96]
	s_waitcnt vmcnt(56)
	v_fma_f64 v[55:56], v[9:10], v[57:58], -v[55:56]
	ds_read_b128 v[1:4], v70 offset:1360
	v_fma_f64 v[49:50], v[11:12], v[57:58], v[49:50]
	v_add_f64 v[21:22], v[21:22], v[63:64]
	v_add_f64 v[13:14], v[13:14], v[47:48]
	s_clause 0x2
	buffer_load_dword v66, off, s[0:3], 0 offset:636
	buffer_load_dword v48, off, s[0:3], 0 offset:612
	;; [unrolled: 1-line block ×3, first 2 shown]
	ds_read_b128 v[9:12], v70 offset:1376
	s_waitcnt vmcnt(58) lgkmcnt(1)
	v_mul_f64 v[63:64], v[3:4], v[97:98]
	v_mul_f64 v[57:58], v[1:2], v[97:98]
	s_waitcnt vmcnt(56)
	v_fma_f64 v[95:96], v[5:6], v[17:18], -v[95:96]
	v_fma_f64 v[17:18], v[7:8], v[17:18], v[129:130]
	v_add_f64 v[21:22], v[21:22], v[55:56]
	v_add_f64 v[13:14], v[13:14], v[49:50]
	s_clause 0x4
	buffer_load_dword v50, off, s[0:3], 0 offset:652
	buffer_load_dword v55, off, s[0:3], 0 offset:664
	;; [unrolled: 1-line block ×5, first 2 shown]
	ds_read_b128 v[5:8], v70 offset:1392
	s_waitcnt vmcnt(57) lgkmcnt(1)
	v_mul_f64 v[129:130], v[9:10], v[15:16]
	v_mul_f64 v[15:16], v[11:12], v[15:16]
	s_waitcnt vmcnt(56)
	v_fma_f64 v[63:64], v[1:2], v[99:100], -v[63:64]
	v_fma_f64 v[57:58], v[3:4], v[99:100], v[57:58]
	v_add_f64 v[21:22], v[21:22], v[95:96]
	v_add_f64 v[13:14], v[13:14], v[17:18]
	s_clause 0x2
	buffer_load_dword v56, off, s[0:3], 0 offset:668
	buffer_load_dword v18, off, s[0:3], 0 offset:644
	;; [unrolled: 1-line block ×3, first 2 shown]
	s_waitcnt vmcnt(58) lgkmcnt(0)
	v_mul_f64 v[99:100], v[7:8], v[117:118]
	ds_read_b128 v[1:4], v70 offset:1408
	v_mul_f64 v[95:96], v[5:6], v[117:118]
	s_waitcnt vmcnt(56)
	v_fma_f64 v[15:16], v[9:10], v[73:74], -v[15:16]
	v_add_f64 v[21:22], v[21:22], v[63:64]
	v_fma_f64 v[63:64], v[11:12], v[73:74], v[129:130]
	v_add_f64 v[13:14], v[13:14], v[57:58]
	s_clause 0x4
	buffer_load_dword v58, off, s[0:3], 0 offset:684
	buffer_load_dword v73, off, s[0:3], 0 offset:696
	;; [unrolled: 1-line block ×5, first 2 shown]
	ds_read_b128 v[9:12], v70 offset:1424
	s_waitcnt vmcnt(57) lgkmcnt(1)
	v_mul_f64 v[129:130], v[1:2], v[33:34]
	v_mul_f64 v[33:34], v[3:4], v[33:34]
	s_waitcnt vmcnt(56)
	v_fma_f64 v[99:100], v[5:6], v[119:120], -v[99:100]
	v_add_f64 v[15:16], v[21:22], v[15:16]
	v_fma_f64 v[21:22], v[7:8], v[119:120], v[95:96]
	v_add_f64 v[13:14], v[13:14], v[63:64]
	s_clause 0x2
	buffer_load_dword v74, off, s[0:3], 0 offset:700
	buffer_load_dword v64, off, s[0:3], 0 offset:676
	;; [unrolled: 1-line block ×3, first 2 shown]
	ds_read_b128 v[5:8], v70 offset:1440
	s_waitcnt vmcnt(58) lgkmcnt(1)
	v_mul_f64 v[95:96], v[9:10], v[93:94]
	v_mul_f64 v[93:94], v[11:12], v[93:94]
	s_waitcnt vmcnt(56)
	v_fma_f64 v[33:34], v[1:2], v[27:28], -v[33:34]
	v_fma_f64 v[27:28], v[3:4], v[27:28], v[129:130]
	v_add_f64 v[15:16], v[15:16], v[99:100]
	v_add_f64 v[13:14], v[13:14], v[21:22]
	s_clause 0x4
	buffer_load_dword v22, off, s[0:3], 0 offset:716
	buffer_load_dword v99, off, s[0:3], 0 offset:728
	;; [unrolled: 1-line block ×5, first 2 shown]
	ds_read_b128 v[1:4], v70 offset:1456
	s_waitcnt vmcnt(57) lgkmcnt(1)
	v_mul_f64 v[129:130], v[5:6], v[19:20]
	v_mul_f64 v[19:20], v[7:8], v[19:20]
	s_waitcnt vmcnt(56)
	v_fma_f64 v[93:94], v[9:10], v[111:112], -v[93:94]
	v_add_f64 v[15:16], v[15:16], v[33:34]
	v_fma_f64 v[33:34], v[11:12], v[111:112], v[95:96]
	v_add_f64 v[13:14], v[13:14], v[27:28]
	s_clause 0x2
	buffer_load_dword v100, off, s[0:3], 0 offset:732
	buffer_load_dword v28, off, s[0:3], 0 offset:708
	;; [unrolled: 1-line block ×3, first 2 shown]
	ds_read_b128 v[9:12], v70 offset:1472
	s_waitcnt vmcnt(58) lgkmcnt(1)
	v_mul_f64 v[95:96], v[1:2], v[37:38]
	v_mul_f64 v[37:38], v[3:4], v[37:38]
	s_waitcnt vmcnt(56)
	v_fma_f64 v[19:20], v[5:6], v[25:26], -v[19:20]
	v_fma_f64 v[25:26], v[7:8], v[25:26], v[129:130]
	v_add_f64 v[15:16], v[15:16], v[93:94]
	v_add_f64 v[13:14], v[13:14], v[33:34]
	s_clause 0x4
	buffer_load_dword v34, off, s[0:3], 0 offset:748
	buffer_load_dword v93, off, s[0:3], 0 offset:760
	;; [unrolled: 1-line block ×5, first 2 shown]
	ds_read_b128 v[5:8], v70 offset:1488
	s_waitcnt vmcnt(57) lgkmcnt(1)
	v_mul_f64 v[129:130], v[9:10], v[23:24]
	v_mul_f64 v[23:24], v[11:12], v[23:24]
	s_waitcnt vmcnt(56)
	v_fma_f64 v[37:38], v[1:2], v[109:110], -v[37:38]
	v_add_f64 v[15:16], v[15:16], v[19:20]
	v_fma_f64 v[19:20], v[3:4], v[109:110], v[95:96]
	v_add_f64 v[13:14], v[13:14], v[25:26]
	s_clause 0x2
	buffer_load_dword v94, off, s[0:3], 0 offset:764
	buffer_load_dword v26, off, s[0:3], 0 offset:740
	;; [unrolled: 1-line block ×3, first 2 shown]
	s_waitcnt vmcnt(58) lgkmcnt(0)
	v_mul_f64 v[95:96], v[5:6], v[45:46]
	v_mul_f64 v[45:46], v[7:8], v[45:46]
	ds_read_b128 v[1:4], v70 offset:1504
	s_waitcnt vmcnt(56)
	v_fma_f64 v[23:24], v[9:10], v[31:32], -v[23:24]
	v_fma_f64 v[31:32], v[11:12], v[31:32], v[129:130]
	v_add_f64 v[15:16], v[15:16], v[37:38]
	v_add_f64 v[13:14], v[13:14], v[19:20]
	s_clause 0x4
	buffer_load_dword v20, off, s[0:3], 0 offset:780
	buffer_load_dword v37, off, s[0:3], 0 offset:792
	buffer_load_dword v109, off, s[0:3], 0 offset:784
	buffer_load_dword v19, off, s[0:3], 0 offset:776
	buffer_load_dword v112, off, s[0:3], 0 offset:756
	ds_read_b128 v[9:12], v70 offset:1520
	s_waitcnt vmcnt(57) lgkmcnt(1)
	v_mul_f64 v[129:130], v[1:2], v[29:30]
	v_mul_f64 v[29:30], v[3:4], v[29:30]
	s_waitcnt vmcnt(56)
	v_fma_f64 v[45:46], v[5:6], v[71:72], -v[45:46]
	v_add_f64 v[15:16], v[15:16], v[23:24]
	v_fma_f64 v[23:24], v[7:8], v[71:72], v[95:96]
	v_add_f64 v[13:14], v[13:14], v[31:32]
	s_clause 0x2
	buffer_load_dword v38, off, s[0:3], 0 offset:796
	buffer_load_dword v32, off, s[0:3], 0 offset:772
	;; [unrolled: 1-line block ×3, first 2 shown]
	s_waitcnt vmcnt(58) lgkmcnt(0)
	v_mul_f64 v[71:72], v[9:10], v[51:52]
	v_mul_f64 v[51:52], v[11:12], v[51:52]
	ds_read_b128 v[5:8], v70 offset:1536
	s_waitcnt vmcnt(56)
	v_fma_f64 v[29:30], v[1:2], v[41:42], -v[29:30]
	v_fma_f64 v[41:42], v[3:4], v[41:42], v[129:130]
	v_add_f64 v[15:16], v[15:16], v[45:46]
	v_add_f64 v[13:14], v[13:14], v[23:24]
	s_clause 0x4
	buffer_load_dword v24, off, s[0:3], 0 offset:812
	buffer_load_dword v45, off, s[0:3], 0 offset:824
	buffer_load_dword v95, off, s[0:3], 0 offset:816
	buffer_load_dword v23, off, s[0:3], 0 offset:808
	buffer_load_dword v110, off, s[0:3], 0 offset:788
	ds_read_b128 v[1:4], v70 offset:1552
	s_waitcnt vmcnt(57) lgkmcnt(1)
	v_mul_f64 v[129:130], v[5:6], v[35:36]
	v_mul_f64 v[35:36], v[7:8], v[35:36]
	s_waitcnt vmcnt(56)
	v_fma_f64 v[51:52], v[9:10], v[53:54], -v[51:52]
	v_add_f64 v[15:16], v[15:16], v[29:30]
	v_fma_f64 v[29:30], v[11:12], v[53:54], v[71:72]
	v_add_f64 v[13:14], v[13:14], v[41:42]
	s_clause 0x2
	buffer_load_dword v46, off, s[0:3], 0 offset:828
	buffer_load_dword v42, off, s[0:3], 0 offset:804
	buffer_load_dword v41, off, s[0:3], 0 offset:800
	ds_read_b128 v[9:12], v70 offset:1568
	s_waitcnt vmcnt(58) lgkmcnt(1)
	v_mul_f64 v[53:54], v[1:2], v[59:60]
	v_mul_f64 v[59:60], v[3:4], v[59:60]
	s_waitcnt vmcnt(56)
	v_fma_f64 v[35:36], v[5:6], v[39:40], -v[35:36]
	v_fma_f64 v[39:40], v[7:8], v[39:40], v[129:130]
	v_add_f64 v[15:16], v[15:16], v[51:52]
	v_add_f64 v[13:14], v[13:14], v[29:30]
	s_clause 0x4
	buffer_load_dword v30, off, s[0:3], 0 offset:844
	buffer_load_dword v51, off, s[0:3], 0 offset:856
	buffer_load_dword v71, off, s[0:3], 0 offset:848
	buffer_load_dword v29, off, s[0:3], 0 offset:840
	buffer_load_dword v96, off, s[0:3], 0 offset:820
	ds_read_b128 v[5:8], v70 offset:1584
	s_waitcnt vmcnt(57) lgkmcnt(1)
	v_mul_f64 v[129:130], v[9:10], v[43:44]
	v_mul_f64 v[43:44], v[11:12], v[43:44]
	s_waitcnt vmcnt(56)
	v_fma_f64 v[59:60], v[1:2], v[61:62], -v[59:60]
	v_add_f64 v[15:16], v[15:16], v[35:36]
	v_fma_f64 v[35:36], v[3:4], v[61:62], v[53:54]
	v_add_f64 v[13:14], v[13:14], v[39:40]
	s_clause 0x2
	buffer_load_dword v52, off, s[0:3], 0 offset:860
	buffer_load_dword v40, off, s[0:3], 0 offset:836
	buffer_load_dword v39, off, s[0:3], 0 offset:832
	ds_read_b128 v[1:4], v70 offset:1600
	s_waitcnt vmcnt(58) lgkmcnt(1)
	v_mul_f64 v[61:62], v[7:8], v[65:66]
	v_mul_f64 v[53:54], v[5:6], v[65:66]
	;; [unrolled: 28-line block ×4, first 2 shown]
	s_waitcnt vmcnt(56)
	v_fma_f64 v[57:58], v[5:6], v[63:64], -v[57:58]
	v_add_f64 v[15:16], v[15:16], v[55:56]
	v_fma_f64 v[55:56], v[7:8], v[63:64], v[129:130]
	v_add_f64 v[13:14], v[13:14], v[49:50]
	s_clause 0x4
	buffer_load_dword v50, off, s[0:3], 0 offset:940
	buffer_load_dword v63, off, s[0:3], 0 offset:952
	;; [unrolled: 1-line block ×5, first 2 shown]
	ds_read_b128 v[5:8], v70 offset:1680
	s_waitcnt vmcnt(57) lgkmcnt(1)
	v_mul_f64 v[129:130], v[9:10], v[21:22]
	v_mul_f64 v[21:22], v[11:12], v[21:22]
	s_waitcnt vmcnt(56)
	v_fma_f64 v[73:74], v[1:2], v[117:118], -v[73:74]
	v_fma_f64 v[53:54], v[3:4], v[117:118], v[53:54]
	v_add_f64 v[15:16], v[15:16], v[57:58]
	v_add_f64 v[13:14], v[13:14], v[55:56]
	s_clause 0x2
	buffer_load_dword v64, off, s[0:3], 0 offset:956
	buffer_load_dword v56, off, s[0:3], 0 offset:932
	;; [unrolled: 1-line block ×3, first 2 shown]
	ds_read_b128 v[1:4], v70 offset:1696
	s_waitcnt vmcnt(58) lgkmcnt(1)
	v_mul_f64 v[57:58], v[5:6], v[99:100]
	v_mul_f64 v[99:100], v[7:8], v[99:100]
	s_waitcnt vmcnt(56)
	v_fma_f64 v[21:22], v[9:10], v[27:28], -v[21:22]
	v_fma_f64 v[27:28], v[11:12], v[27:28], v[129:130]
	v_add_f64 v[15:16], v[15:16], v[73:74]
	v_add_f64 v[13:14], v[13:14], v[53:54]
	s_clause 0x4
	buffer_load_dword v54, off, s[0:3], 0 offset:972
	buffer_load_dword v73, off, s[0:3], 0 offset:984
	;; [unrolled: 1-line block ×5, first 2 shown]
	ds_read_b128 v[9:12], v70 offset:1712
	s_waitcnt vmcnt(57) lgkmcnt(1)
	v_mul_f64 v[129:130], v[1:2], v[33:34]
	v_mul_f64 v[33:34], v[3:4], v[33:34]
	s_waitcnt vmcnt(56)
	v_fma_f64 v[99:100], v[5:6], v[119:120], -v[99:100]
	v_add_f64 v[15:16], v[15:16], v[21:22]
	v_fma_f64 v[21:22], v[7:8], v[119:120], v[57:58]
	v_add_f64 v[13:14], v[13:14], v[27:28]
	s_clause 0x2
	buffer_load_dword v74, off, s[0:3], 0 offset:988
	buffer_load_dword v28, off, s[0:3], 0 offset:964
	;; [unrolled: 1-line block ×3, first 2 shown]
	ds_read_b128 v[5:8], v70 offset:1728
	buffer_load_dword v118, off, s[0:3], 0 offset:980
	s_waitcnt vmcnt(59) lgkmcnt(1)
	v_mul_f64 v[57:58], v[9:10], v[93:94]
	v_mul_f64 v[93:94], v[11:12], v[93:94]
	s_waitcnt vmcnt(57)
	v_fma_f64 v[33:34], v[1:2], v[25:26], -v[33:34]
	v_fma_f64 v[25:26], v[3:4], v[25:26], v[129:130]
	ds_read_b128 v[1:4], v70 offset:1744
	v_add_f64 v[15:16], v[15:16], v[99:100]
	v_add_f64 v[13:14], v[13:14], v[21:22]
	s_waitcnt vmcnt(53) lgkmcnt(1)
	v_mul_f64 v[21:22], v[5:6], v[19:20]
	v_mul_f64 v[19:20], v[7:8], v[19:20]
	s_waitcnt vmcnt(52)
	v_fma_f64 v[93:94], v[9:10], v[111:112], -v[93:94]
	v_add_f64 v[15:16], v[15:16], v[33:34]
	v_fma_f64 v[33:34], v[11:12], v[111:112], v[57:58]
	v_add_f64 v[13:14], v[13:14], v[25:26]
	ds_read_b128 v[9:12], v70 offset:1760
	s_waitcnt vmcnt(51) lgkmcnt(1)
	v_mul_f64 v[25:26], v[1:2], v[37:38]
	v_mul_f64 v[37:38], v[3:4], v[37:38]
	s_waitcnt vmcnt(49)
	v_fma_f64 v[19:20], v[5:6], v[31:32], -v[19:20]
	v_fma_f64 v[21:22], v[7:8], v[31:32], v[21:22]
	v_add_f64 v[15:16], v[15:16], v[93:94]
	v_add_f64 v[13:14], v[13:14], v[33:34]
	s_clause 0x3
	buffer_load_dword v31, off, s[0:3], 0 offset:128
	buffer_load_dword v32, off, s[0:3], 0 offset:132
	;; [unrolled: 1-line block ×4, first 2 shown]
	ds_read_b128 v[5:8], v70 offset:1776
	s_waitcnt vmcnt(49) lgkmcnt(1)
	v_mul_f64 v[57:58], v[9:10], v[23:24]
	v_mul_f64 v[23:24], v[11:12], v[23:24]
	s_waitcnt vmcnt(48)
	v_fma_f64 v[37:38], v[1:2], v[109:110], -v[37:38]
	v_add_f64 v[15:16], v[15:16], v[19:20]
	v_fma_f64 v[19:20], v[3:4], v[109:110], v[25:26]
	v_add_f64 v[13:14], v[13:14], v[21:22]
	ds_read_b128 v[1:4], v70 offset:1792
	s_waitcnt vmcnt(47) lgkmcnt(1)
	v_mul_f64 v[25:26], v[7:8], v[45:46]
	v_mul_f64 v[21:22], v[5:6], v[45:46]
	s_waitcnt vmcnt(45)
	v_fma_f64 v[23:24], v[9:10], v[41:42], -v[23:24]
	v_add_f64 v[15:16], v[15:16], v[37:38]
	v_fma_f64 v[37:38], v[11:12], v[41:42], v[57:58]
	v_add_f64 v[13:14], v[13:14], v[19:20]
	ds_read_b128 v[9:12], v70 offset:1808
	s_waitcnt vmcnt(41) lgkmcnt(1)
	v_mul_f64 v[19:20], v[1:2], v[29:30]
	v_mul_f64 v[29:30], v[3:4], v[29:30]
	s_waitcnt vmcnt(40)
	v_fma_f64 v[25:26], v[5:6], v[95:96], -v[25:26]
	v_fma_f64 v[21:22], v[7:8], v[95:96], v[21:22]
	ds_read_b128 v[5:8], v70 offset:1824
	v_add_f64 v[15:16], v[15:16], v[23:24]
	v_add_f64 v[13:14], v[13:14], v[37:38]
	s_waitcnt vmcnt(39) lgkmcnt(1)
	v_mul_f64 v[37:38], v[11:12], v[51:52]
	v_mul_f64 v[23:24], v[9:10], v[51:52]
	s_waitcnt vmcnt(37)
	v_fma_f64 v[29:30], v[1:2], v[39:40], -v[29:30]
	v_fma_f64 v[19:20], v[3:4], v[39:40], v[19:20]
	ds_read_b128 v[1:4], v70 offset:1840
	v_add_f64 v[15:16], v[15:16], v[25:26]
	v_add_f64 v[13:14], v[13:14], v[21:22]
	;; [unrolled: 9-line block ×4, first 2 shown]
	s_waitcnt vmcnt(25) lgkmcnt(1)
	v_mul_f64 v[35:36], v[11:12], v[43:44]
	s_waitcnt vmcnt(24)
	v_fma_f64 v[29:30], v[1:2], v[65:66], -v[29:30]
	v_mul_f64 v[23:24], v[9:10], v[43:44]
	v_fma_f64 v[19:20], v[3:4], v[65:66], v[19:20]
	ds_read_b128 v[1:4], v70 offset:1888
	v_add_f64 v[15:16], v[15:16], v[25:26]
	v_add_f64 v[13:14], v[13:14], v[21:22]
	s_waitcnt vmcnt(23) lgkmcnt(1)
	v_mul_f64 v[25:26], v[7:8], v[61:62]
	v_mul_f64 v[21:22], v[5:6], v[61:62]
	s_waitcnt vmcnt(21)
	v_fma_f64 v[35:36], v[9:10], v[17:18], -v[35:36]
	v_fma_f64 v[17:18], v[11:12], v[17:18], v[23:24]
	ds_read_b128 v[9:12], v70 offset:1904
	v_add_f64 v[15:16], v[15:16], v[29:30]
	v_add_f64 v[13:14], v[13:14], v[19:20]
	s_waitcnt vmcnt(17) lgkmcnt(1)
	v_mul_f64 v[23:24], v[3:4], v[49:50]
	s_waitcnt vmcnt(16)
	v_fma_f64 v[25:26], v[5:6], v[67:68], -v[25:26]
	v_mul_f64 v[19:20], v[1:2], v[49:50]
	v_fma_f64 v[21:22], v[7:8], v[67:68], v[21:22]
	ds_read_b128 v[5:8], v70 offset:1920
	v_add_f64 v[15:16], v[15:16], v[35:36]
	v_add_f64 v[13:14], v[13:14], v[17:18]
	s_waitcnt vmcnt(15) lgkmcnt(1)
	v_mul_f64 v[29:30], v[11:12], v[63:64]
	v_mul_f64 v[17:18], v[9:10], v[63:64]
	s_waitcnt vmcnt(13)
	v_fma_f64 v[23:24], v[1:2], v[55:56], -v[23:24]
	v_fma_f64 v[19:20], v[3:4], v[55:56], v[19:20]
	ds_read_b128 v[1:4], v70 offset:1936
	v_add_f64 v[15:16], v[15:16], v[25:26]
	v_add_f64 v[13:14], v[13:14], v[21:22]
	s_waitcnt vmcnt(9) lgkmcnt(1)
	v_mul_f64 v[25:26], v[7:8], v[53:54]
	s_waitcnt vmcnt(8)
	v_fma_f64 v[9:10], v[9:10], v[97:98], -v[29:30]
	v_mul_f64 v[21:22], v[5:6], v[53:54]
	v_fma_f64 v[11:12], v[11:12], v[97:98], v[17:18]
	v_add_f64 v[15:16], v[15:16], v[23:24]
	v_add_f64 v[13:14], v[13:14], v[19:20]
	s_waitcnt vmcnt(7) lgkmcnt(0)
	v_mul_f64 v[19:20], v[3:4], v[73:74]
	v_mul_f64 v[17:18], v[1:2], v[73:74]
	s_waitcnt vmcnt(5)
	v_fma_f64 v[5:6], v[5:6], v[27:28], -v[25:26]
	v_fma_f64 v[7:8], v[7:8], v[27:28], v[21:22]
	v_add_f64 v[9:10], v[15:16], v[9:10]
	v_add_f64 v[11:12], v[13:14], v[11:12]
	s_waitcnt vmcnt(4)
	v_fma_f64 v[1:2], v[1:2], v[117:118], -v[19:20]
	v_fma_f64 v[3:4], v[3:4], v[117:118], v[17:18]
	v_add_f64 v[5:6], v[9:10], v[5:6]
	v_add_f64 v[7:8], v[11:12], v[7:8]
	;; [unrolled: 1-line block ×4, first 2 shown]
	s_waitcnt vmcnt(2)
	v_add_f64 v[1:2], v[31:32], -v[1:2]
	s_waitcnt vmcnt(0)
	v_add_f64 v[3:4], v[33:34], -v[3:4]
	buffer_store_dword v2, off, s[0:3], 0 offset:132
	buffer_store_dword v1, off, s[0:3], 0 offset:128
	;; [unrolled: 1-line block ×4, first 2 shown]
	v_cmpx_lt_u32_e32 6, v0
	s_cbranch_execz .LBB60_379
; %bb.378:
	v_mov_b32_e32 v4, s65
	s_clause 0x3
	buffer_load_dword v1, v4, s[0:3], 0 offen
	buffer_load_dword v2, v4, s[0:3], 0 offen offset:4
	buffer_load_dword v3, v4, s[0:3], 0 offen offset:8
	;; [unrolled: 1-line block ×3, first 2 shown]
	buffer_store_dword v70, off, s[0:3], 0 offset:112
	buffer_store_dword v70, off, s[0:3], 0 offset:116
	;; [unrolled: 1-line block ×4, first 2 shown]
	s_waitcnt vmcnt(0)
	ds_write_b128 v69, v[1:4]
.LBB60_379:
	s_or_b32 exec_lo, exec_lo, s4
	s_waitcnt lgkmcnt(0)
	s_waitcnt_vscnt null, 0x0
	s_barrier
	buffer_gl0_inv
	s_clause 0x37
	buffer_load_dword v17, off, s[0:3], 0 offset:136
	buffer_load_dword v18, off, s[0:3], 0 offset:140
	;; [unrolled: 1-line block ×56, first 2 shown]
	ds_read_b128 v[5:8], v70 offset:1088
	s_clause 0x2
	buffer_load_dword v66, off, s[0:3], 0 offset:364
	buffer_load_dword v68, off, s[0:3], 0 offset:340
	;; [unrolled: 1-line block ×3, first 2 shown]
	ds_read_b128 v[1:4], v70 offset:1104
	s_clause 0x4
	buffer_load_dword v96, off, s[0:3], 0 offset:380
	buffer_load_dword v97, off, s[0:3], 0 offset:392
	;; [unrolled: 1-line block ×5, first 2 shown]
	ds_read_b128 v[71:74], v70 offset:1120
	s_mov_b32 s4, exec_lo
	s_waitcnt vmcnt(62) lgkmcnt(2)
	v_mul_f64 v[93:94], v[7:8], v[17:18]
	v_mul_f64 v[17:18], v[5:6], v[17:18]
	s_waitcnt vmcnt(60) lgkmcnt(1)
	v_mul_f64 v[109:110], v[3:4], v[13:14]
	v_mul_f64 v[13:14], v[1:2], v[13:14]
	s_waitcnt vmcnt(56) lgkmcnt(0)
	v_mul_f64 v[111:112], v[71:72], v[11:12]
	v_mul_f64 v[11:12], v[73:74], v[11:12]
	v_fma_f64 v[93:94], v[5:6], v[15:16], -v[93:94]
	v_fma_f64 v[15:16], v[7:8], v[15:16], v[17:18]
	s_clause 0x2
	buffer_load_dword v98, off, s[0:3], 0 offset:396
	buffer_load_dword v18, off, s[0:3], 0 offset:372
	;; [unrolled: 1-line block ×3, first 2 shown]
	s_waitcnt vmcnt(57)
	v_fma_f64 v[109:110], v[1:2], v[9:10], -v[109:110]
	ds_read_b128 v[5:8], v70 offset:1136
	v_fma_f64 v[9:10], v[3:4], v[9:10], v[13:14]
	s_waitcnt vmcnt(51)
	v_fma_f64 v[71:72], v[71:72], v[33:34], -v[11:12]
	v_fma_f64 v[33:34], v[73:74], v[33:34], v[111:112]
	v_add_f64 v[93:94], v[93:94], 0
	v_add_f64 v[13:14], v[15:16], 0
	s_clause 0x4
	buffer_load_dword v16, off, s[0:3], 0 offset:412
	buffer_load_dword v117, off, s[0:3], 0 offset:424
	;; [unrolled: 1-line block ×5, first 2 shown]
	s_waitcnt lgkmcnt(0)
	v_mul_f64 v[129:130], v[5:6], v[21:22]
	v_mul_f64 v[21:22], v[7:8], v[21:22]
	ds_read_b128 v[1:4], v70 offset:1152
	s_clause 0x2
	buffer_load_dword v118, off, s[0:3], 0 offset:428
	buffer_load_dword v74, off, s[0:3], 0 offset:404
	;; [unrolled: 1-line block ×3, first 2 shown]
	v_add_f64 v[93:94], v[93:94], v[109:110]
	v_add_f64 v[13:14], v[13:14], v[9:10]
	ds_read_b128 v[9:12], v70 offset:1168
	s_waitcnt vmcnt(58) lgkmcnt(1)
	v_mul_f64 v[109:110], v[1:2], v[25:26]
	v_mul_f64 v[25:26], v[3:4], v[25:26]
	s_waitcnt vmcnt(56)
	v_fma_f64 v[21:22], v[5:6], v[27:28], -v[21:22]
	v_fma_f64 v[27:28], v[7:8], v[27:28], v[129:130]
	s_waitcnt vmcnt(52) lgkmcnt(0)
	v_mul_f64 v[129:130], v[9:10], v[29:30]
	v_add_f64 v[71:72], v[93:94], v[71:72]
	v_add_f64 v[13:14], v[13:14], v[33:34]
	s_clause 0x4
	buffer_load_dword v34, off, s[0:3], 0 offset:444
	buffer_load_dword v93, off, s[0:3], 0 offset:456
	;; [unrolled: 1-line block ×5, first 2 shown]
	v_mul_f64 v[29:30], v[11:12], v[29:30]
	s_waitcnt vmcnt(56)
	v_fma_f64 v[25:26], v[1:2], v[19:20], -v[25:26]
	ds_read_b128 v[5:8], v70 offset:1184
	v_fma_f64 v[19:20], v[3:4], v[19:20], v[109:110]
	v_add_f64 v[21:22], v[71:72], v[21:22]
	v_add_f64 v[13:14], v[13:14], v[27:28]
	s_clause 0x2
	buffer_load_dword v94, off, s[0:3], 0 offset:460
	buffer_load_dword v28, off, s[0:3], 0 offset:436
	;; [unrolled: 1-line block ×3, first 2 shown]
	s_waitcnt vmcnt(58) lgkmcnt(0)
	v_mul_f64 v[71:72], v[5:6], v[35:36]
	v_mul_f64 v[35:36], v[7:8], v[35:36]
	s_waitcnt vmcnt(56)
	v_fma_f64 v[29:30], v[9:10], v[37:38], -v[29:30]
	ds_read_b128 v[1:4], v70 offset:1200
	v_add_f64 v[21:22], v[21:22], v[25:26]
	v_fma_f64 v[25:26], v[11:12], v[37:38], v[129:130]
	v_add_f64 v[13:14], v[13:14], v[19:20]
	s_clause 0x4
	buffer_load_dword v20, off, s[0:3], 0 offset:476
	buffer_load_dword v37, off, s[0:3], 0 offset:488
	;; [unrolled: 1-line block ×5, first 2 shown]
	s_waitcnt vmcnt(57) lgkmcnt(0)
	v_mul_f64 v[129:130], v[1:2], v[39:40]
	v_mul_f64 v[39:40], v[3:4], v[39:40]
	s_waitcnt vmcnt(56)
	v_fma_f64 v[35:36], v[5:6], v[23:24], -v[35:36]
	ds_read_b128 v[9:12], v70 offset:1216
	v_fma_f64 v[23:24], v[7:8], v[23:24], v[71:72]
	v_add_f64 v[21:22], v[21:22], v[29:30]
	v_add_f64 v[13:14], v[13:14], v[25:26]
	s_clause 0x2
	buffer_load_dword v38, off, s[0:3], 0 offset:492
	buffer_load_dword v26, off, s[0:3], 0 offset:468
	;; [unrolled: 1-line block ×3, first 2 shown]
	ds_read_b128 v[5:8], v70 offset:1232
	s_waitcnt vmcnt(58) lgkmcnt(1)
	v_mul_f64 v[29:30], v[9:10], v[43:44]
	v_mul_f64 v[43:44], v[11:12], v[43:44]
	s_waitcnt vmcnt(56)
	v_fma_f64 v[39:40], v[1:2], v[45:46], -v[39:40]
	v_add_f64 v[21:22], v[21:22], v[35:36]
	v_fma_f64 v[35:36], v[3:4], v[45:46], v[129:130]
	v_add_f64 v[13:14], v[13:14], v[23:24]
	s_clause 0x4
	buffer_load_dword v24, off, s[0:3], 0 offset:508
	buffer_load_dword v45, off, s[0:3], 0 offset:520
	;; [unrolled: 1-line block ×5, first 2 shown]
	s_waitcnt vmcnt(57) lgkmcnt(0)
	v_mul_f64 v[129:130], v[5:6], v[47:48]
	v_mul_f64 v[47:48], v[7:8], v[47:48]
	s_waitcnt vmcnt(56)
	v_fma_f64 v[43:44], v[9:10], v[31:32], -v[43:44]
	ds_read_b128 v[1:4], v70 offset:1248
	v_fma_f64 v[29:30], v[11:12], v[31:32], v[29:30]
	s_clause 0x2
	buffer_load_dword v46, off, s[0:3], 0 offset:524
	buffer_load_dword v32, off, s[0:3], 0 offset:500
	buffer_load_dword v31, off, s[0:3], 0 offset:496
	ds_read_b128 v[9:12], v70 offset:1264
	v_add_f64 v[21:22], v[21:22], v[39:40]
	v_add_f64 v[13:14], v[13:14], v[35:36]
	s_waitcnt vmcnt(58) lgkmcnt(1)
	v_mul_f64 v[39:40], v[3:4], v[51:52]
	s_waitcnt vmcnt(56)
	v_fma_f64 v[47:48], v[5:6], v[53:54], -v[47:48]
	v_mul_f64 v[35:36], v[1:2], v[51:52]
	v_add_f64 v[21:22], v[21:22], v[43:44]
	v_fma_f64 v[43:44], v[7:8], v[53:54], v[129:130]
	v_add_f64 v[13:14], v[13:14], v[29:30]
	s_clause 0x4
	buffer_load_dword v30, off, s[0:3], 0 offset:540
	buffer_load_dword v51, off, s[0:3], 0 offset:552
	buffer_load_dword v53, off, s[0:3], 0 offset:544
	buffer_load_dword v29, off, s[0:3], 0 offset:536
	buffer_load_dword v72, off, s[0:3], 0 offset:516
	s_waitcnt vmcnt(57) lgkmcnt(0)
	v_mul_f64 v[129:130], v[9:10], v[55:56]
	v_mul_f64 v[54:55], v[11:12], v[55:56]
	s_waitcnt vmcnt(56)
	v_fma_f64 v[39:40], v[1:2], v[41:42], -v[39:40]
	ds_read_b128 v[5:8], v70 offset:1280
	v_fma_f64 v[35:36], v[3:4], v[41:42], v[35:36]
	s_clause 0x2
	buffer_load_dword v52, off, s[0:3], 0 offset:556
	buffer_load_dword v42, off, s[0:3], 0 offset:532
	;; [unrolled: 1-line block ×3, first 2 shown]
	ds_read_b128 v[1:4], v70 offset:1296
	v_add_f64 v[21:22], v[21:22], v[47:48]
	v_add_f64 v[13:14], v[13:14], v[43:44]
	s_waitcnt vmcnt(58) lgkmcnt(1)
	v_mul_f64 v[47:48], v[7:8], v[59:60]
	s_waitcnt vmcnt(56)
	v_fma_f64 v[55:56], v[9:10], v[61:62], -v[54:55]
	v_mul_f64 v[43:44], v[5:6], v[59:60]
	v_add_f64 v[21:22], v[21:22], v[39:40]
	v_fma_f64 v[39:40], v[11:12], v[61:62], v[129:130]
	v_add_f64 v[13:14], v[13:14], v[35:36]
	s_clause 0x4
	buffer_load_dword v36, off, s[0:3], 0 offset:572
	buffer_load_dword v59, off, s[0:3], 0 offset:584
	;; [unrolled: 1-line block ×5, first 2 shown]
	s_waitcnt vmcnt(57) lgkmcnt(0)
	v_mul_f64 v[129:130], v[1:2], v[63:64]
	v_mul_f64 v[62:63], v[3:4], v[63:64]
	s_waitcnt vmcnt(56)
	v_fma_f64 v[47:48], v[5:6], v[49:50], -v[47:48]
	ds_read_b128 v[9:12], v70 offset:1312
	v_fma_f64 v[43:44], v[7:8], v[49:50], v[43:44]
	v_add_f64 v[21:22], v[21:22], v[55:56]
	v_add_f64 v[13:14], v[13:14], v[39:40]
	s_clause 0x2
	buffer_load_dword v60, off, s[0:3], 0 offset:588
	buffer_load_dword v40, off, s[0:3], 0 offset:564
	;; [unrolled: 1-line block ×3, first 2 shown]
	ds_read_b128 v[5:8], v70 offset:1328
	s_waitcnt vmcnt(58) lgkmcnt(1)
	v_mul_f64 v[55:56], v[11:12], v[65:66]
	s_waitcnt vmcnt(56)
	v_fma_f64 v[63:64], v[1:2], v[67:68], -v[62:63]
	v_mul_f64 v[49:50], v[9:10], v[65:66]
	v_add_f64 v[21:22], v[21:22], v[47:48]
	v_fma_f64 v[47:48], v[3:4], v[67:68], v[129:130]
	v_add_f64 v[13:14], v[13:14], v[43:44]
	s_clause 0x4
	buffer_load_dword v44, off, s[0:3], 0 offset:604
	buffer_load_dword v65, off, s[0:3], 0 offset:616
	;; [unrolled: 1-line block ×5, first 2 shown]
	s_waitcnt vmcnt(57) lgkmcnt(0)
	v_mul_f64 v[129:130], v[5:6], v[95:96]
	v_mul_f64 v[95:96], v[7:8], v[95:96]
	s_waitcnt vmcnt(56)
	v_fma_f64 v[55:56], v[9:10], v[57:58], -v[55:56]
	ds_read_b128 v[1:4], v70 offset:1344
	v_fma_f64 v[49:50], v[11:12], v[57:58], v[49:50]
	v_add_f64 v[21:22], v[21:22], v[63:64]
	v_add_f64 v[13:14], v[13:14], v[47:48]
	s_clause 0x2
	buffer_load_dword v66, off, s[0:3], 0 offset:620
	buffer_load_dword v48, off, s[0:3], 0 offset:596
	;; [unrolled: 1-line block ×3, first 2 shown]
	ds_read_b128 v[9:12], v70 offset:1360
	s_waitcnt vmcnt(58) lgkmcnt(1)
	v_mul_f64 v[63:64], v[3:4], v[97:98]
	v_mul_f64 v[57:58], v[1:2], v[97:98]
	s_waitcnt vmcnt(56)
	v_fma_f64 v[95:96], v[5:6], v[17:18], -v[95:96]
	v_fma_f64 v[17:18], v[7:8], v[17:18], v[129:130]
	v_add_f64 v[21:22], v[21:22], v[55:56]
	v_add_f64 v[13:14], v[13:14], v[49:50]
	s_clause 0x4
	buffer_load_dword v50, off, s[0:3], 0 offset:636
	buffer_load_dword v55, off, s[0:3], 0 offset:648
	;; [unrolled: 1-line block ×5, first 2 shown]
	ds_read_b128 v[5:8], v70 offset:1376
	s_waitcnt vmcnt(57) lgkmcnt(1)
	v_mul_f64 v[129:130], v[9:10], v[15:16]
	v_mul_f64 v[15:16], v[11:12], v[15:16]
	s_waitcnt vmcnt(56)
	v_fma_f64 v[63:64], v[1:2], v[99:100], -v[63:64]
	v_fma_f64 v[57:58], v[3:4], v[99:100], v[57:58]
	v_add_f64 v[21:22], v[21:22], v[95:96]
	v_add_f64 v[13:14], v[13:14], v[17:18]
	s_clause 0x2
	buffer_load_dword v56, off, s[0:3], 0 offset:652
	buffer_load_dword v18, off, s[0:3], 0 offset:628
	;; [unrolled: 1-line block ×3, first 2 shown]
	s_waitcnt vmcnt(58) lgkmcnt(0)
	v_mul_f64 v[99:100], v[7:8], v[117:118]
	ds_read_b128 v[1:4], v70 offset:1392
	v_mul_f64 v[95:96], v[5:6], v[117:118]
	s_waitcnt vmcnt(56)
	v_fma_f64 v[15:16], v[9:10], v[73:74], -v[15:16]
	v_add_f64 v[21:22], v[21:22], v[63:64]
	v_fma_f64 v[63:64], v[11:12], v[73:74], v[129:130]
	v_add_f64 v[13:14], v[13:14], v[57:58]
	s_clause 0x4
	buffer_load_dword v58, off, s[0:3], 0 offset:668
	buffer_load_dword v73, off, s[0:3], 0 offset:680
	;; [unrolled: 1-line block ×5, first 2 shown]
	ds_read_b128 v[9:12], v70 offset:1408
	s_waitcnt vmcnt(57) lgkmcnt(1)
	v_mul_f64 v[129:130], v[1:2], v[33:34]
	v_mul_f64 v[33:34], v[3:4], v[33:34]
	s_waitcnt vmcnt(56)
	v_fma_f64 v[99:100], v[5:6], v[119:120], -v[99:100]
	v_add_f64 v[15:16], v[21:22], v[15:16]
	v_fma_f64 v[21:22], v[7:8], v[119:120], v[95:96]
	v_add_f64 v[13:14], v[13:14], v[63:64]
	s_clause 0x2
	buffer_load_dword v74, off, s[0:3], 0 offset:684
	buffer_load_dword v64, off, s[0:3], 0 offset:660
	;; [unrolled: 1-line block ×3, first 2 shown]
	ds_read_b128 v[5:8], v70 offset:1424
	s_waitcnt vmcnt(58) lgkmcnt(1)
	v_mul_f64 v[95:96], v[9:10], v[93:94]
	v_mul_f64 v[93:94], v[11:12], v[93:94]
	s_waitcnt vmcnt(56)
	v_fma_f64 v[33:34], v[1:2], v[27:28], -v[33:34]
	v_fma_f64 v[27:28], v[3:4], v[27:28], v[129:130]
	v_add_f64 v[15:16], v[15:16], v[99:100]
	v_add_f64 v[13:14], v[13:14], v[21:22]
	s_clause 0x4
	buffer_load_dword v22, off, s[0:3], 0 offset:700
	buffer_load_dword v99, off, s[0:3], 0 offset:712
	;; [unrolled: 1-line block ×5, first 2 shown]
	ds_read_b128 v[1:4], v70 offset:1440
	s_waitcnt vmcnt(57) lgkmcnt(1)
	v_mul_f64 v[129:130], v[5:6], v[19:20]
	v_mul_f64 v[19:20], v[7:8], v[19:20]
	s_waitcnt vmcnt(56)
	v_fma_f64 v[93:94], v[9:10], v[111:112], -v[93:94]
	v_add_f64 v[15:16], v[15:16], v[33:34]
	v_fma_f64 v[33:34], v[11:12], v[111:112], v[95:96]
	v_add_f64 v[13:14], v[13:14], v[27:28]
	s_clause 0x2
	buffer_load_dword v100, off, s[0:3], 0 offset:716
	buffer_load_dword v28, off, s[0:3], 0 offset:692
	;; [unrolled: 1-line block ×3, first 2 shown]
	ds_read_b128 v[9:12], v70 offset:1456
	s_waitcnt vmcnt(58) lgkmcnt(1)
	v_mul_f64 v[95:96], v[1:2], v[37:38]
	v_mul_f64 v[37:38], v[3:4], v[37:38]
	s_waitcnt vmcnt(56)
	v_fma_f64 v[19:20], v[5:6], v[25:26], -v[19:20]
	v_fma_f64 v[25:26], v[7:8], v[25:26], v[129:130]
	v_add_f64 v[15:16], v[15:16], v[93:94]
	v_add_f64 v[13:14], v[13:14], v[33:34]
	s_clause 0x4
	buffer_load_dword v34, off, s[0:3], 0 offset:732
	buffer_load_dword v93, off, s[0:3], 0 offset:744
	;; [unrolled: 1-line block ×5, first 2 shown]
	ds_read_b128 v[5:8], v70 offset:1472
	s_waitcnt vmcnt(57) lgkmcnt(1)
	v_mul_f64 v[129:130], v[9:10], v[23:24]
	v_mul_f64 v[23:24], v[11:12], v[23:24]
	s_waitcnt vmcnt(56)
	v_fma_f64 v[37:38], v[1:2], v[109:110], -v[37:38]
	v_add_f64 v[15:16], v[15:16], v[19:20]
	v_fma_f64 v[19:20], v[3:4], v[109:110], v[95:96]
	v_add_f64 v[13:14], v[13:14], v[25:26]
	s_clause 0x2
	buffer_load_dword v94, off, s[0:3], 0 offset:748
	buffer_load_dword v26, off, s[0:3], 0 offset:724
	;; [unrolled: 1-line block ×3, first 2 shown]
	s_waitcnt vmcnt(58) lgkmcnt(0)
	v_mul_f64 v[95:96], v[5:6], v[45:46]
	v_mul_f64 v[45:46], v[7:8], v[45:46]
	ds_read_b128 v[1:4], v70 offset:1488
	s_waitcnt vmcnt(56)
	v_fma_f64 v[23:24], v[9:10], v[31:32], -v[23:24]
	v_fma_f64 v[31:32], v[11:12], v[31:32], v[129:130]
	v_add_f64 v[15:16], v[15:16], v[37:38]
	v_add_f64 v[13:14], v[13:14], v[19:20]
	s_clause 0x4
	buffer_load_dword v20, off, s[0:3], 0 offset:764
	buffer_load_dword v37, off, s[0:3], 0 offset:776
	;; [unrolled: 1-line block ×5, first 2 shown]
	ds_read_b128 v[9:12], v70 offset:1504
	s_waitcnt vmcnt(57) lgkmcnt(1)
	v_mul_f64 v[129:130], v[1:2], v[29:30]
	v_mul_f64 v[29:30], v[3:4], v[29:30]
	s_waitcnt vmcnt(56)
	v_fma_f64 v[45:46], v[5:6], v[71:72], -v[45:46]
	v_add_f64 v[15:16], v[15:16], v[23:24]
	v_fma_f64 v[23:24], v[7:8], v[71:72], v[95:96]
	v_add_f64 v[13:14], v[13:14], v[31:32]
	s_clause 0x2
	buffer_load_dword v38, off, s[0:3], 0 offset:780
	buffer_load_dword v32, off, s[0:3], 0 offset:756
	;; [unrolled: 1-line block ×3, first 2 shown]
	s_waitcnt vmcnt(58) lgkmcnt(0)
	v_mul_f64 v[71:72], v[9:10], v[51:52]
	v_mul_f64 v[51:52], v[11:12], v[51:52]
	ds_read_b128 v[5:8], v70 offset:1520
	s_waitcnt vmcnt(56)
	v_fma_f64 v[29:30], v[1:2], v[41:42], -v[29:30]
	v_fma_f64 v[41:42], v[3:4], v[41:42], v[129:130]
	v_add_f64 v[15:16], v[15:16], v[45:46]
	v_add_f64 v[13:14], v[13:14], v[23:24]
	s_clause 0x4
	buffer_load_dword v24, off, s[0:3], 0 offset:796
	buffer_load_dword v45, off, s[0:3], 0 offset:808
	buffer_load_dword v95, off, s[0:3], 0 offset:800
	buffer_load_dword v23, off, s[0:3], 0 offset:792
	buffer_load_dword v110, off, s[0:3], 0 offset:772
	ds_read_b128 v[1:4], v70 offset:1536
	s_waitcnt vmcnt(57) lgkmcnt(1)
	v_mul_f64 v[129:130], v[5:6], v[35:36]
	v_mul_f64 v[35:36], v[7:8], v[35:36]
	s_waitcnt vmcnt(56)
	v_fma_f64 v[51:52], v[9:10], v[53:54], -v[51:52]
	v_add_f64 v[15:16], v[15:16], v[29:30]
	v_fma_f64 v[29:30], v[11:12], v[53:54], v[71:72]
	v_add_f64 v[13:14], v[13:14], v[41:42]
	s_clause 0x2
	buffer_load_dword v46, off, s[0:3], 0 offset:812
	buffer_load_dword v42, off, s[0:3], 0 offset:788
	buffer_load_dword v41, off, s[0:3], 0 offset:784
	ds_read_b128 v[9:12], v70 offset:1552
	s_waitcnt vmcnt(58) lgkmcnt(1)
	v_mul_f64 v[53:54], v[1:2], v[59:60]
	v_mul_f64 v[59:60], v[3:4], v[59:60]
	s_waitcnt vmcnt(56)
	v_fma_f64 v[35:36], v[5:6], v[39:40], -v[35:36]
	v_fma_f64 v[39:40], v[7:8], v[39:40], v[129:130]
	v_add_f64 v[15:16], v[15:16], v[51:52]
	v_add_f64 v[13:14], v[13:14], v[29:30]
	s_clause 0x4
	buffer_load_dword v30, off, s[0:3], 0 offset:828
	buffer_load_dword v51, off, s[0:3], 0 offset:840
	buffer_load_dword v71, off, s[0:3], 0 offset:832
	buffer_load_dword v29, off, s[0:3], 0 offset:824
	buffer_load_dword v96, off, s[0:3], 0 offset:804
	ds_read_b128 v[5:8], v70 offset:1568
	s_waitcnt vmcnt(57) lgkmcnt(1)
	v_mul_f64 v[129:130], v[9:10], v[43:44]
	v_mul_f64 v[43:44], v[11:12], v[43:44]
	s_waitcnt vmcnt(56)
	v_fma_f64 v[59:60], v[1:2], v[61:62], -v[59:60]
	v_add_f64 v[15:16], v[15:16], v[35:36]
	v_fma_f64 v[35:36], v[3:4], v[61:62], v[53:54]
	v_add_f64 v[13:14], v[13:14], v[39:40]
	s_clause 0x2
	buffer_load_dword v52, off, s[0:3], 0 offset:844
	buffer_load_dword v40, off, s[0:3], 0 offset:820
	buffer_load_dword v39, off, s[0:3], 0 offset:816
	ds_read_b128 v[1:4], v70 offset:1584
	s_waitcnt vmcnt(58) lgkmcnt(1)
	v_mul_f64 v[61:62], v[7:8], v[65:66]
	v_mul_f64 v[53:54], v[5:6], v[65:66]
	s_waitcnt vmcnt(56)
	v_fma_f64 v[43:44], v[9:10], v[47:48], -v[43:44]
	v_fma_f64 v[47:48], v[11:12], v[47:48], v[129:130]
	v_add_f64 v[15:16], v[15:16], v[59:60]
	v_add_f64 v[13:14], v[13:14], v[35:36]
	s_clause 0x4
	buffer_load_dword v36, off, s[0:3], 0 offset:860
	buffer_load_dword v59, off, s[0:3], 0 offset:872
	buffer_load_dword v65, off, s[0:3], 0 offset:864
	buffer_load_dword v35, off, s[0:3], 0 offset:856
	buffer_load_dword v72, off, s[0:3], 0 offset:836
	ds_read_b128 v[9:12], v70 offset:1600
	s_waitcnt vmcnt(57) lgkmcnt(1)
	v_mul_f64 v[129:130], v[1:2], v[49:50]
	v_mul_f64 v[49:50], v[3:4], v[49:50]
	s_waitcnt vmcnt(56)
	v_fma_f64 v[61:62], v[5:6], v[67:68], -v[61:62]
	v_add_f64 v[15:16], v[15:16], v[43:44]
	v_fma_f64 v[43:44], v[7:8], v[67:68], v[53:54]
	v_add_f64 v[13:14], v[13:14], v[47:48]
	s_clause 0x2
	buffer_load_dword v60, off, s[0:3], 0 offset:876
	buffer_load_dword v48, off, s[0:3], 0 offset:852
	buffer_load_dword v47, off, s[0:3], 0 offset:848
	ds_read_b128 v[5:8], v70 offset:1616
	s_waitcnt vmcnt(58) lgkmcnt(1)
	v_mul_f64 v[53:54], v[9:10], v[55:56]
	v_mul_f64 v[55:56], v[11:12], v[55:56]
	s_waitcnt vmcnt(56)
	v_fma_f64 v[49:50], v[1:2], v[17:18], -v[49:50]
	v_fma_f64 v[17:18], v[3:4], v[17:18], v[129:130]
	v_add_f64 v[15:16], v[15:16], v[61:62]
	v_add_f64 v[13:14], v[13:14], v[43:44]
	s_clause 0x4
	buffer_load_dword v44, off, s[0:3], 0 offset:892
	buffer_load_dword v61, off, s[0:3], 0 offset:904
	buffer_load_dword v67, off, s[0:3], 0 offset:896
	buffer_load_dword v43, off, s[0:3], 0 offset:888
	buffer_load_dword v66, off, s[0:3], 0 offset:868
	ds_read_b128 v[1:4], v70 offset:1632
	s_waitcnt vmcnt(57) lgkmcnt(1)
	v_mul_f64 v[129:130], v[5:6], v[57:58]
	v_mul_f64 v[57:58], v[7:8], v[57:58]
	s_waitcnt vmcnt(56)
	v_fma_f64 v[55:56], v[9:10], v[97:98], -v[55:56]
	v_add_f64 v[15:16], v[15:16], v[49:50]
	v_fma_f64 v[49:50], v[11:12], v[97:98], v[53:54]
	v_add_f64 v[13:14], v[13:14], v[17:18]
	s_clause 0x2
	buffer_load_dword v62, off, s[0:3], 0 offset:908
	buffer_load_dword v18, off, s[0:3], 0 offset:884
	buffer_load_dword v17, off, s[0:3], 0 offset:880
	ds_read_b128 v[9:12], v70 offset:1648
	s_waitcnt vmcnt(58) lgkmcnt(1)
	v_mul_f64 v[53:54], v[1:2], v[73:74]
	v_mul_f64 v[73:74], v[3:4], v[73:74]
	s_waitcnt vmcnt(56)
	v_fma_f64 v[57:58], v[5:6], v[63:64], -v[57:58]
	v_add_f64 v[15:16], v[15:16], v[55:56]
	v_fma_f64 v[55:56], v[7:8], v[63:64], v[129:130]
	v_add_f64 v[13:14], v[13:14], v[49:50]
	s_clause 0x4
	buffer_load_dword v50, off, s[0:3], 0 offset:924
	buffer_load_dword v63, off, s[0:3], 0 offset:936
	;; [unrolled: 1-line block ×5, first 2 shown]
	ds_read_b128 v[5:8], v70 offset:1664
	s_waitcnt vmcnt(57) lgkmcnt(1)
	v_mul_f64 v[129:130], v[9:10], v[21:22]
	v_mul_f64 v[21:22], v[11:12], v[21:22]
	s_waitcnt vmcnt(56)
	v_fma_f64 v[73:74], v[1:2], v[117:118], -v[73:74]
	v_fma_f64 v[53:54], v[3:4], v[117:118], v[53:54]
	v_add_f64 v[15:16], v[15:16], v[57:58]
	v_add_f64 v[13:14], v[13:14], v[55:56]
	s_clause 0x2
	buffer_load_dword v64, off, s[0:3], 0 offset:940
	buffer_load_dword v56, off, s[0:3], 0 offset:916
	;; [unrolled: 1-line block ×3, first 2 shown]
	ds_read_b128 v[1:4], v70 offset:1680
	s_waitcnt vmcnt(58) lgkmcnt(1)
	v_mul_f64 v[57:58], v[5:6], v[99:100]
	v_mul_f64 v[99:100], v[7:8], v[99:100]
	s_waitcnt vmcnt(56)
	v_fma_f64 v[21:22], v[9:10], v[27:28], -v[21:22]
	v_fma_f64 v[27:28], v[11:12], v[27:28], v[129:130]
	v_add_f64 v[15:16], v[15:16], v[73:74]
	v_add_f64 v[13:14], v[13:14], v[53:54]
	s_clause 0x4
	buffer_load_dword v54, off, s[0:3], 0 offset:956
	buffer_load_dword v73, off, s[0:3], 0 offset:968
	;; [unrolled: 1-line block ×5, first 2 shown]
	ds_read_b128 v[9:12], v70 offset:1696
	s_waitcnt vmcnt(57) lgkmcnt(1)
	v_mul_f64 v[129:130], v[1:2], v[33:34]
	v_mul_f64 v[33:34], v[3:4], v[33:34]
	s_waitcnt vmcnt(56)
	v_fma_f64 v[99:100], v[5:6], v[119:120], -v[99:100]
	v_add_f64 v[15:16], v[15:16], v[21:22]
	v_fma_f64 v[21:22], v[7:8], v[119:120], v[57:58]
	v_add_f64 v[13:14], v[13:14], v[27:28]
	s_clause 0x2
	buffer_load_dword v74, off, s[0:3], 0 offset:972
	buffer_load_dword v28, off, s[0:3], 0 offset:948
	;; [unrolled: 1-line block ×3, first 2 shown]
	ds_read_b128 v[5:8], v70 offset:1712
	s_waitcnt vmcnt(58) lgkmcnt(1)
	v_mul_f64 v[57:58], v[9:10], v[93:94]
	v_mul_f64 v[93:94], v[11:12], v[93:94]
	s_waitcnt vmcnt(56)
	v_fma_f64 v[33:34], v[1:2], v[25:26], -v[33:34]
	v_fma_f64 v[25:26], v[3:4], v[25:26], v[129:130]
	v_add_f64 v[15:16], v[15:16], v[99:100]
	v_add_f64 v[13:14], v[13:14], v[21:22]
	s_clause 0x2
	buffer_load_dword v22, off, s[0:3], 0 offset:988
	buffer_load_dword v21, off, s[0:3], 0 offset:984
	;; [unrolled: 1-line block ×3, first 2 shown]
	ds_read_b128 v[1:4], v70 offset:1728
	s_waitcnt vmcnt(55) lgkmcnt(1)
	v_mul_f64 v[99:100], v[5:6], v[19:20]
	v_mul_f64 v[19:20], v[7:8], v[19:20]
	s_waitcnt vmcnt(54)
	v_fma_f64 v[93:94], v[9:10], v[111:112], -v[93:94]
	v_add_f64 v[15:16], v[15:16], v[33:34]
	v_fma_f64 v[33:34], v[11:12], v[111:112], v[57:58]
	v_add_f64 v[13:14], v[13:14], v[25:26]
	s_clause 0x1
	buffer_load_dword v26, off, s[0:3], 0 offset:980
	buffer_load_dword v25, off, s[0:3], 0 offset:976
	ds_read_b128 v[9:12], v70 offset:1744
	s_waitcnt vmcnt(55) lgkmcnt(1)
	v_mul_f64 v[57:58], v[1:2], v[37:38]
	v_mul_f64 v[37:38], v[3:4], v[37:38]
	s_waitcnt vmcnt(53)
	v_fma_f64 v[19:20], v[5:6], v[31:32], -v[19:20]
	v_fma_f64 v[31:32], v[7:8], v[31:32], v[99:100]
	ds_read_b128 v[5:8], v70 offset:1760
	v_add_f64 v[15:16], v[15:16], v[93:94]
	v_add_f64 v[13:14], v[13:14], v[33:34]
	s_waitcnt vmcnt(49) lgkmcnt(1)
	v_mul_f64 v[33:34], v[9:10], v[23:24]
	v_mul_f64 v[23:24], v[11:12], v[23:24]
	s_waitcnt vmcnt(48)
	v_fma_f64 v[37:38], v[1:2], v[109:110], -v[37:38]
	v_add_f64 v[15:16], v[15:16], v[19:20]
	v_fma_f64 v[19:20], v[3:4], v[109:110], v[57:58]
	v_add_f64 v[13:14], v[13:14], v[31:32]
	s_clause 0x3
	buffer_load_dword v31, off, s[0:3], 0 offset:112
	buffer_load_dword v32, off, s[0:3], 0 offset:116
	;; [unrolled: 1-line block ×4, first 2 shown]
	ds_read_b128 v[1:4], v70 offset:1776
	s_waitcnt vmcnt(51) lgkmcnt(1)
	v_mul_f64 v[93:94], v[5:6], v[45:46]
	v_mul_f64 v[45:46], v[7:8], v[45:46]
	s_waitcnt vmcnt(49)
	v_fma_f64 v[23:24], v[9:10], v[41:42], -v[23:24]
	v_fma_f64 v[33:34], v[11:12], v[41:42], v[33:34]
	ds_read_b128 v[9:12], v70 offset:1792
	v_add_f64 v[15:16], v[15:16], v[37:38]
	v_add_f64 v[13:14], v[13:14], v[19:20]
	s_waitcnt vmcnt(45) lgkmcnt(1)
	v_mul_f64 v[19:20], v[1:2], v[29:30]
	v_mul_f64 v[29:30], v[3:4], v[29:30]
	s_waitcnt vmcnt(44)
	v_fma_f64 v[37:38], v[5:6], v[95:96], -v[45:46]
	v_add_f64 v[15:16], v[15:16], v[23:24]
	v_fma_f64 v[23:24], v[7:8], v[95:96], v[93:94]
	v_add_f64 v[13:14], v[13:14], v[33:34]
	ds_read_b128 v[5:8], v70 offset:1808
	s_waitcnt vmcnt(43) lgkmcnt(1)
	v_mul_f64 v[41:42], v[11:12], v[51:52]
	v_mul_f64 v[33:34], v[9:10], v[51:52]
	s_waitcnt vmcnt(41)
	v_fma_f64 v[29:30], v[1:2], v[39:40], -v[29:30]
	v_fma_f64 v[19:20], v[3:4], v[39:40], v[19:20]
	ds_read_b128 v[1:4], v70 offset:1824
	v_add_f64 v[15:16], v[15:16], v[37:38]
	v_add_f64 v[13:14], v[13:14], v[23:24]
	s_waitcnt vmcnt(37) lgkmcnt(1)
	v_mul_f64 v[23:24], v[5:6], v[35:36]
	v_mul_f64 v[35:36], v[7:8], v[35:36]
	s_waitcnt vmcnt(36)
	v_fma_f64 v[37:38], v[9:10], v[71:72], -v[41:42]
	v_add_f64 v[15:16], v[15:16], v[29:30]
	v_fma_f64 v[29:30], v[11:12], v[71:72], v[33:34]
	v_add_f64 v[13:14], v[13:14], v[19:20]
	ds_read_b128 v[9:12], v70 offset:1840
	s_waitcnt vmcnt(35) lgkmcnt(1)
	v_mul_f64 v[33:34], v[3:4], v[59:60]
	v_mul_f64 v[19:20], v[1:2], v[59:60]
	s_waitcnt vmcnt(33)
	v_fma_f64 v[35:36], v[5:6], v[47:48], -v[35:36]
	v_fma_f64 v[23:24], v[7:8], v[47:48], v[23:24]
	ds_read_b128 v[5:8], v70 offset:1856
	v_add_f64 v[15:16], v[15:16], v[37:38]
	v_add_f64 v[13:14], v[13:14], v[29:30]
	s_waitcnt vmcnt(29) lgkmcnt(1)
	v_mul_f64 v[37:38], v[11:12], v[43:44]
	s_waitcnt vmcnt(28)
	v_fma_f64 v[33:34], v[1:2], v[65:66], -v[33:34]
	v_mul_f64 v[29:30], v[9:10], v[43:44]
	v_fma_f64 v[19:20], v[3:4], v[65:66], v[19:20]
	ds_read_b128 v[1:4], v70 offset:1872
	v_add_f64 v[15:16], v[15:16], v[35:36]
	v_add_f64 v[13:14], v[13:14], v[23:24]
	s_waitcnt vmcnt(27) lgkmcnt(1)
	v_mul_f64 v[35:36], v[7:8], v[61:62]
	v_mul_f64 v[23:24], v[5:6], v[61:62]
	s_waitcnt vmcnt(25)
	v_fma_f64 v[37:38], v[9:10], v[17:18], -v[37:38]
	v_fma_f64 v[17:18], v[11:12], v[17:18], v[29:30]
	ds_read_b128 v[9:12], v70 offset:1888
	v_add_f64 v[15:16], v[15:16], v[33:34]
	v_add_f64 v[13:14], v[13:14], v[19:20]
	s_waitcnt vmcnt(21) lgkmcnt(1)
	v_mul_f64 v[29:30], v[3:4], v[49:50]
	s_waitcnt vmcnt(20)
	v_fma_f64 v[33:34], v[5:6], v[67:68], -v[35:36]
	v_mul_f64 v[19:20], v[1:2], v[49:50]
	v_fma_f64 v[23:24], v[7:8], v[67:68], v[23:24]
	ds_read_b128 v[5:8], v70 offset:1904
	v_add_f64 v[15:16], v[15:16], v[37:38]
	v_add_f64 v[13:14], v[13:14], v[17:18]
	s_waitcnt vmcnt(19) lgkmcnt(1)
	v_mul_f64 v[35:36], v[11:12], v[63:64]
	v_mul_f64 v[17:18], v[9:10], v[63:64]
	s_waitcnt vmcnt(17)
	v_fma_f64 v[29:30], v[1:2], v[55:56], -v[29:30]
	v_fma_f64 v[19:20], v[3:4], v[55:56], v[19:20]
	ds_read_b128 v[1:4], v70 offset:1920
	v_add_f64 v[15:16], v[15:16], v[33:34]
	v_add_f64 v[13:14], v[13:14], v[23:24]
	s_waitcnt vmcnt(13) lgkmcnt(1)
	v_mul_f64 v[33:34], v[7:8], v[53:54]
	s_waitcnt vmcnt(12)
	v_fma_f64 v[35:36], v[9:10], v[97:98], -v[35:36]
	v_mul_f64 v[23:24], v[5:6], v[53:54]
	v_fma_f64 v[17:18], v[11:12], v[97:98], v[17:18]
	ds_read_b128 v[9:12], v70 offset:1936
	v_add_f64 v[15:16], v[15:16], v[29:30]
	v_add_f64 v[13:14], v[13:14], v[19:20]
	s_waitcnt vmcnt(11) lgkmcnt(1)
	v_mul_f64 v[29:30], v[3:4], v[73:74]
	v_mul_f64 v[19:20], v[1:2], v[73:74]
	s_waitcnt vmcnt(9)
	v_fma_f64 v[5:6], v[5:6], v[27:28], -v[33:34]
	v_fma_f64 v[7:8], v[7:8], v[27:28], v[23:24]
	v_add_f64 v[15:16], v[15:16], v[35:36]
	v_add_f64 v[13:14], v[13:14], v[17:18]
	s_waitcnt vmcnt(7) lgkmcnt(0)
	v_mul_f64 v[17:18], v[9:10], v[21:22]
	v_mul_f64 v[21:22], v[11:12], v[21:22]
	s_waitcnt vmcnt(6)
	v_fma_f64 v[1:2], v[1:2], v[117:118], -v[29:30]
	v_fma_f64 v[3:4], v[3:4], v[117:118], v[19:20]
	v_add_f64 v[5:6], v[15:16], v[5:6]
	v_add_f64 v[7:8], v[13:14], v[7:8]
	s_waitcnt vmcnt(4)
	v_fma_f64 v[9:10], v[9:10], v[25:26], -v[21:22]
	v_add_f64 v[1:2], v[5:6], v[1:2]
	v_fma_f64 v[5:6], v[11:12], v[25:26], v[17:18]
	v_add_f64 v[3:4], v[7:8], v[3:4]
	v_add_f64 v[1:2], v[1:2], v[9:10]
	;; [unrolled: 1-line block ×3, first 2 shown]
	s_waitcnt vmcnt(2)
	v_add_f64 v[1:2], v[31:32], -v[1:2]
	s_waitcnt vmcnt(0)
	v_add_f64 v[3:4], v[57:58], -v[3:4]
	buffer_store_dword v2, off, s[0:3], 0 offset:116
	buffer_store_dword v1, off, s[0:3], 0 offset:112
	;; [unrolled: 1-line block ×4, first 2 shown]
	v_cmpx_lt_u32_e32 5, v0
	s_cbranch_execz .LBB60_381
; %bb.380:
	v_mov_b32_e32 v4, s67
	v_mov_b32_e32 v5, 0
	s_clause 0x3
	buffer_load_dword v1, v4, s[0:3], 0 offen
	buffer_load_dword v2, v4, s[0:3], 0 offen offset:4
	buffer_load_dword v3, v4, s[0:3], 0 offen offset:8
	buffer_load_dword v4, v4, s[0:3], 0 offen offset:12
	buffer_store_dword v5, off, s[0:3], 0 offset:96
	buffer_store_dword v5, off, s[0:3], 0 offset:100
	;; [unrolled: 1-line block ×4, first 2 shown]
	s_waitcnt vmcnt(0)
	ds_write_b128 v69, v[1:4]
.LBB60_381:
	s_or_b32 exec_lo, exec_lo, s4
	s_waitcnt lgkmcnt(0)
	s_waitcnt_vscnt null, 0x0
	s_barrier
	buffer_gl0_inv
	s_clause 0x37
	buffer_load_dword v17, off, s[0:3], 0 offset:120
	buffer_load_dword v18, off, s[0:3], 0 offset:124
	;; [unrolled: 1-line block ×56, first 2 shown]
	v_mov_b32_e32 v70, 0
	s_mov_b32 s4, exec_lo
	ds_read_b128 v[5:8], v70 offset:1072
	s_clause 0x2
	buffer_load_dword v66, off, s[0:3], 0 offset:348
	buffer_load_dword v68, off, s[0:3], 0 offset:324
	;; [unrolled: 1-line block ×3, first 2 shown]
	ds_read_b128 v[1:4], v70 offset:1088
	s_clause 0x4
	buffer_load_dword v96, off, s[0:3], 0 offset:364
	buffer_load_dword v97, off, s[0:3], 0 offset:376
	;; [unrolled: 1-line block ×5, first 2 shown]
	ds_read_b128 v[71:74], v70 offset:1104
	s_waitcnt vmcnt(62) lgkmcnt(2)
	v_mul_f64 v[93:94], v[7:8], v[17:18]
	v_mul_f64 v[17:18], v[5:6], v[17:18]
	s_waitcnt vmcnt(60) lgkmcnt(1)
	v_mul_f64 v[109:110], v[3:4], v[13:14]
	v_mul_f64 v[13:14], v[1:2], v[13:14]
	;; [unrolled: 3-line block ×3, first 2 shown]
	v_fma_f64 v[93:94], v[5:6], v[15:16], -v[93:94]
	v_fma_f64 v[15:16], v[7:8], v[15:16], v[17:18]
	s_clause 0x2
	buffer_load_dword v98, off, s[0:3], 0 offset:380
	buffer_load_dword v18, off, s[0:3], 0 offset:356
	;; [unrolled: 1-line block ×3, first 2 shown]
	s_waitcnt vmcnt(57)
	v_fma_f64 v[109:110], v[1:2], v[9:10], -v[109:110]
	ds_read_b128 v[5:8], v70 offset:1120
	v_fma_f64 v[9:10], v[3:4], v[9:10], v[13:14]
	s_waitcnt vmcnt(51)
	v_fma_f64 v[71:72], v[71:72], v[33:34], -v[11:12]
	v_fma_f64 v[33:34], v[73:74], v[33:34], v[111:112]
	v_add_f64 v[93:94], v[93:94], 0
	v_add_f64 v[13:14], v[15:16], 0
	s_clause 0x4
	buffer_load_dword v16, off, s[0:3], 0 offset:396
	buffer_load_dword v117, off, s[0:3], 0 offset:408
	;; [unrolled: 1-line block ×5, first 2 shown]
	s_waitcnt lgkmcnt(0)
	v_mul_f64 v[129:130], v[5:6], v[21:22]
	v_mul_f64 v[21:22], v[7:8], v[21:22]
	ds_read_b128 v[1:4], v70 offset:1136
	s_clause 0x2
	buffer_load_dword v118, off, s[0:3], 0 offset:412
	buffer_load_dword v74, off, s[0:3], 0 offset:388
	;; [unrolled: 1-line block ×3, first 2 shown]
	v_add_f64 v[93:94], v[93:94], v[109:110]
	v_add_f64 v[13:14], v[13:14], v[9:10]
	ds_read_b128 v[9:12], v70 offset:1152
	s_waitcnt vmcnt(58) lgkmcnt(1)
	v_mul_f64 v[109:110], v[1:2], v[25:26]
	v_mul_f64 v[25:26], v[3:4], v[25:26]
	s_waitcnt vmcnt(56)
	v_fma_f64 v[21:22], v[5:6], v[27:28], -v[21:22]
	v_fma_f64 v[27:28], v[7:8], v[27:28], v[129:130]
	s_waitcnt vmcnt(52) lgkmcnt(0)
	v_mul_f64 v[129:130], v[9:10], v[29:30]
	v_add_f64 v[71:72], v[93:94], v[71:72]
	v_add_f64 v[13:14], v[13:14], v[33:34]
	s_clause 0x4
	buffer_load_dword v34, off, s[0:3], 0 offset:428
	buffer_load_dword v93, off, s[0:3], 0 offset:440
	;; [unrolled: 1-line block ×5, first 2 shown]
	v_mul_f64 v[29:30], v[11:12], v[29:30]
	s_waitcnt vmcnt(56)
	v_fma_f64 v[25:26], v[1:2], v[19:20], -v[25:26]
	ds_read_b128 v[5:8], v70 offset:1168
	v_fma_f64 v[19:20], v[3:4], v[19:20], v[109:110]
	v_add_f64 v[21:22], v[71:72], v[21:22]
	v_add_f64 v[13:14], v[13:14], v[27:28]
	s_clause 0x2
	buffer_load_dword v94, off, s[0:3], 0 offset:444
	buffer_load_dword v28, off, s[0:3], 0 offset:420
	;; [unrolled: 1-line block ×3, first 2 shown]
	s_waitcnt vmcnt(58) lgkmcnt(0)
	v_mul_f64 v[71:72], v[5:6], v[35:36]
	v_mul_f64 v[35:36], v[7:8], v[35:36]
	s_waitcnt vmcnt(56)
	v_fma_f64 v[29:30], v[9:10], v[37:38], -v[29:30]
	ds_read_b128 v[1:4], v70 offset:1184
	v_add_f64 v[21:22], v[21:22], v[25:26]
	v_fma_f64 v[25:26], v[11:12], v[37:38], v[129:130]
	v_add_f64 v[13:14], v[13:14], v[19:20]
	s_clause 0x4
	buffer_load_dword v20, off, s[0:3], 0 offset:460
	buffer_load_dword v37, off, s[0:3], 0 offset:472
	;; [unrolled: 1-line block ×5, first 2 shown]
	s_waitcnt vmcnt(57) lgkmcnt(0)
	v_mul_f64 v[129:130], v[1:2], v[39:40]
	v_mul_f64 v[39:40], v[3:4], v[39:40]
	s_waitcnt vmcnt(56)
	v_fma_f64 v[35:36], v[5:6], v[23:24], -v[35:36]
	ds_read_b128 v[9:12], v70 offset:1200
	v_fma_f64 v[23:24], v[7:8], v[23:24], v[71:72]
	v_add_f64 v[21:22], v[21:22], v[29:30]
	v_add_f64 v[13:14], v[13:14], v[25:26]
	s_clause 0x2
	buffer_load_dword v38, off, s[0:3], 0 offset:476
	buffer_load_dword v26, off, s[0:3], 0 offset:452
	;; [unrolled: 1-line block ×3, first 2 shown]
	ds_read_b128 v[5:8], v70 offset:1216
	s_waitcnt vmcnt(58) lgkmcnt(1)
	v_mul_f64 v[29:30], v[9:10], v[43:44]
	v_mul_f64 v[43:44], v[11:12], v[43:44]
	s_waitcnt vmcnt(56)
	v_fma_f64 v[39:40], v[1:2], v[45:46], -v[39:40]
	v_add_f64 v[21:22], v[21:22], v[35:36]
	v_fma_f64 v[35:36], v[3:4], v[45:46], v[129:130]
	v_add_f64 v[13:14], v[13:14], v[23:24]
	s_clause 0x4
	buffer_load_dword v24, off, s[0:3], 0 offset:492
	buffer_load_dword v45, off, s[0:3], 0 offset:504
	;; [unrolled: 1-line block ×5, first 2 shown]
	s_waitcnt vmcnt(57) lgkmcnt(0)
	v_mul_f64 v[129:130], v[5:6], v[47:48]
	v_mul_f64 v[47:48], v[7:8], v[47:48]
	s_waitcnt vmcnt(56)
	v_fma_f64 v[43:44], v[9:10], v[31:32], -v[43:44]
	ds_read_b128 v[1:4], v70 offset:1232
	v_fma_f64 v[29:30], v[11:12], v[31:32], v[29:30]
	s_clause 0x2
	buffer_load_dword v46, off, s[0:3], 0 offset:508
	buffer_load_dword v32, off, s[0:3], 0 offset:484
	;; [unrolled: 1-line block ×3, first 2 shown]
	ds_read_b128 v[9:12], v70 offset:1248
	v_add_f64 v[21:22], v[21:22], v[39:40]
	v_add_f64 v[13:14], v[13:14], v[35:36]
	s_waitcnt vmcnt(58) lgkmcnt(1)
	v_mul_f64 v[39:40], v[3:4], v[51:52]
	s_waitcnt vmcnt(56)
	v_fma_f64 v[47:48], v[5:6], v[53:54], -v[47:48]
	v_mul_f64 v[35:36], v[1:2], v[51:52]
	v_add_f64 v[21:22], v[21:22], v[43:44]
	v_fma_f64 v[43:44], v[7:8], v[53:54], v[129:130]
	v_add_f64 v[13:14], v[13:14], v[29:30]
	s_clause 0x4
	buffer_load_dword v30, off, s[0:3], 0 offset:524
	buffer_load_dword v51, off, s[0:3], 0 offset:536
	;; [unrolled: 1-line block ×5, first 2 shown]
	s_waitcnt vmcnt(57) lgkmcnt(0)
	v_mul_f64 v[129:130], v[9:10], v[55:56]
	v_mul_f64 v[54:55], v[11:12], v[55:56]
	s_waitcnt vmcnt(56)
	v_fma_f64 v[39:40], v[1:2], v[41:42], -v[39:40]
	ds_read_b128 v[5:8], v70 offset:1264
	v_fma_f64 v[35:36], v[3:4], v[41:42], v[35:36]
	s_clause 0x2
	buffer_load_dword v52, off, s[0:3], 0 offset:540
	buffer_load_dword v42, off, s[0:3], 0 offset:516
	;; [unrolled: 1-line block ×3, first 2 shown]
	ds_read_b128 v[1:4], v70 offset:1280
	v_add_f64 v[21:22], v[21:22], v[47:48]
	v_add_f64 v[13:14], v[13:14], v[43:44]
	s_waitcnt vmcnt(58) lgkmcnt(1)
	v_mul_f64 v[47:48], v[7:8], v[59:60]
	s_waitcnt vmcnt(56)
	v_fma_f64 v[55:56], v[9:10], v[61:62], -v[54:55]
	v_mul_f64 v[43:44], v[5:6], v[59:60]
	v_add_f64 v[21:22], v[21:22], v[39:40]
	v_fma_f64 v[39:40], v[11:12], v[61:62], v[129:130]
	v_add_f64 v[13:14], v[13:14], v[35:36]
	s_clause 0x4
	buffer_load_dword v36, off, s[0:3], 0 offset:556
	buffer_load_dword v59, off, s[0:3], 0 offset:568
	;; [unrolled: 1-line block ×5, first 2 shown]
	s_waitcnt vmcnt(57) lgkmcnt(0)
	v_mul_f64 v[129:130], v[1:2], v[63:64]
	v_mul_f64 v[62:63], v[3:4], v[63:64]
	s_waitcnt vmcnt(56)
	v_fma_f64 v[47:48], v[5:6], v[49:50], -v[47:48]
	ds_read_b128 v[9:12], v70 offset:1296
	v_fma_f64 v[43:44], v[7:8], v[49:50], v[43:44]
	v_add_f64 v[21:22], v[21:22], v[55:56]
	v_add_f64 v[13:14], v[13:14], v[39:40]
	s_clause 0x2
	buffer_load_dword v60, off, s[0:3], 0 offset:572
	buffer_load_dword v40, off, s[0:3], 0 offset:548
	;; [unrolled: 1-line block ×3, first 2 shown]
	ds_read_b128 v[5:8], v70 offset:1312
	s_waitcnt vmcnt(58) lgkmcnt(1)
	v_mul_f64 v[55:56], v[11:12], v[65:66]
	s_waitcnt vmcnt(56)
	v_fma_f64 v[63:64], v[1:2], v[67:68], -v[62:63]
	v_mul_f64 v[49:50], v[9:10], v[65:66]
	v_add_f64 v[21:22], v[21:22], v[47:48]
	v_fma_f64 v[47:48], v[3:4], v[67:68], v[129:130]
	v_add_f64 v[13:14], v[13:14], v[43:44]
	s_clause 0x4
	buffer_load_dword v44, off, s[0:3], 0 offset:588
	buffer_load_dword v65, off, s[0:3], 0 offset:600
	;; [unrolled: 1-line block ×5, first 2 shown]
	s_waitcnt vmcnt(57) lgkmcnt(0)
	v_mul_f64 v[129:130], v[5:6], v[95:96]
	v_mul_f64 v[95:96], v[7:8], v[95:96]
	s_waitcnt vmcnt(56)
	v_fma_f64 v[55:56], v[9:10], v[57:58], -v[55:56]
	ds_read_b128 v[1:4], v70 offset:1328
	v_fma_f64 v[49:50], v[11:12], v[57:58], v[49:50]
	v_add_f64 v[21:22], v[21:22], v[63:64]
	v_add_f64 v[13:14], v[13:14], v[47:48]
	s_clause 0x2
	buffer_load_dword v66, off, s[0:3], 0 offset:604
	buffer_load_dword v48, off, s[0:3], 0 offset:580
	;; [unrolled: 1-line block ×3, first 2 shown]
	ds_read_b128 v[9:12], v70 offset:1344
	s_waitcnt vmcnt(58) lgkmcnt(1)
	v_mul_f64 v[63:64], v[3:4], v[97:98]
	v_mul_f64 v[57:58], v[1:2], v[97:98]
	s_waitcnt vmcnt(56)
	v_fma_f64 v[95:96], v[5:6], v[17:18], -v[95:96]
	v_fma_f64 v[17:18], v[7:8], v[17:18], v[129:130]
	v_add_f64 v[21:22], v[21:22], v[55:56]
	v_add_f64 v[13:14], v[13:14], v[49:50]
	s_clause 0x4
	buffer_load_dword v50, off, s[0:3], 0 offset:620
	buffer_load_dword v55, off, s[0:3], 0 offset:632
	;; [unrolled: 1-line block ×5, first 2 shown]
	ds_read_b128 v[5:8], v70 offset:1360
	s_waitcnt vmcnt(57) lgkmcnt(1)
	v_mul_f64 v[129:130], v[9:10], v[15:16]
	v_mul_f64 v[15:16], v[11:12], v[15:16]
	s_waitcnt vmcnt(56)
	v_fma_f64 v[63:64], v[1:2], v[99:100], -v[63:64]
	v_fma_f64 v[57:58], v[3:4], v[99:100], v[57:58]
	v_add_f64 v[21:22], v[21:22], v[95:96]
	v_add_f64 v[13:14], v[13:14], v[17:18]
	s_clause 0x2
	buffer_load_dword v56, off, s[0:3], 0 offset:636
	buffer_load_dword v18, off, s[0:3], 0 offset:612
	;; [unrolled: 1-line block ×3, first 2 shown]
	s_waitcnt vmcnt(58) lgkmcnt(0)
	v_mul_f64 v[99:100], v[7:8], v[117:118]
	ds_read_b128 v[1:4], v70 offset:1376
	v_mul_f64 v[95:96], v[5:6], v[117:118]
	s_waitcnt vmcnt(56)
	v_fma_f64 v[15:16], v[9:10], v[73:74], -v[15:16]
	v_add_f64 v[21:22], v[21:22], v[63:64]
	v_fma_f64 v[63:64], v[11:12], v[73:74], v[129:130]
	v_add_f64 v[13:14], v[13:14], v[57:58]
	s_clause 0x4
	buffer_load_dword v58, off, s[0:3], 0 offset:652
	buffer_load_dword v73, off, s[0:3], 0 offset:664
	;; [unrolled: 1-line block ×5, first 2 shown]
	ds_read_b128 v[9:12], v70 offset:1392
	s_waitcnt vmcnt(57) lgkmcnt(1)
	v_mul_f64 v[129:130], v[1:2], v[33:34]
	v_mul_f64 v[33:34], v[3:4], v[33:34]
	s_waitcnt vmcnt(56)
	v_fma_f64 v[99:100], v[5:6], v[119:120], -v[99:100]
	v_add_f64 v[15:16], v[21:22], v[15:16]
	v_fma_f64 v[21:22], v[7:8], v[119:120], v[95:96]
	v_add_f64 v[13:14], v[13:14], v[63:64]
	s_clause 0x2
	buffer_load_dword v74, off, s[0:3], 0 offset:668
	buffer_load_dword v64, off, s[0:3], 0 offset:644
	;; [unrolled: 1-line block ×3, first 2 shown]
	ds_read_b128 v[5:8], v70 offset:1408
	s_waitcnt vmcnt(58) lgkmcnt(1)
	v_mul_f64 v[95:96], v[9:10], v[93:94]
	v_mul_f64 v[93:94], v[11:12], v[93:94]
	s_waitcnt vmcnt(56)
	v_fma_f64 v[33:34], v[1:2], v[27:28], -v[33:34]
	v_fma_f64 v[27:28], v[3:4], v[27:28], v[129:130]
	v_add_f64 v[15:16], v[15:16], v[99:100]
	v_add_f64 v[13:14], v[13:14], v[21:22]
	s_clause 0x4
	buffer_load_dword v22, off, s[0:3], 0 offset:684
	buffer_load_dword v99, off, s[0:3], 0 offset:696
	;; [unrolled: 1-line block ×5, first 2 shown]
	ds_read_b128 v[1:4], v70 offset:1424
	s_waitcnt vmcnt(57) lgkmcnt(1)
	v_mul_f64 v[129:130], v[5:6], v[19:20]
	v_mul_f64 v[19:20], v[7:8], v[19:20]
	s_waitcnt vmcnt(56)
	v_fma_f64 v[93:94], v[9:10], v[111:112], -v[93:94]
	v_add_f64 v[15:16], v[15:16], v[33:34]
	v_fma_f64 v[33:34], v[11:12], v[111:112], v[95:96]
	v_add_f64 v[13:14], v[13:14], v[27:28]
	s_clause 0x2
	buffer_load_dword v100, off, s[0:3], 0 offset:700
	buffer_load_dword v28, off, s[0:3], 0 offset:676
	;; [unrolled: 1-line block ×3, first 2 shown]
	ds_read_b128 v[9:12], v70 offset:1440
	s_waitcnt vmcnt(58) lgkmcnt(1)
	v_mul_f64 v[95:96], v[1:2], v[37:38]
	v_mul_f64 v[37:38], v[3:4], v[37:38]
	s_waitcnt vmcnt(56)
	v_fma_f64 v[19:20], v[5:6], v[25:26], -v[19:20]
	v_fma_f64 v[25:26], v[7:8], v[25:26], v[129:130]
	v_add_f64 v[15:16], v[15:16], v[93:94]
	v_add_f64 v[13:14], v[13:14], v[33:34]
	s_clause 0x4
	buffer_load_dword v34, off, s[0:3], 0 offset:716
	buffer_load_dword v93, off, s[0:3], 0 offset:728
	;; [unrolled: 1-line block ×5, first 2 shown]
	ds_read_b128 v[5:8], v70 offset:1456
	s_waitcnt vmcnt(57) lgkmcnt(1)
	v_mul_f64 v[129:130], v[9:10], v[23:24]
	v_mul_f64 v[23:24], v[11:12], v[23:24]
	s_waitcnt vmcnt(56)
	v_fma_f64 v[37:38], v[1:2], v[109:110], -v[37:38]
	v_add_f64 v[15:16], v[15:16], v[19:20]
	v_fma_f64 v[19:20], v[3:4], v[109:110], v[95:96]
	v_add_f64 v[13:14], v[13:14], v[25:26]
	s_clause 0x2
	buffer_load_dword v94, off, s[0:3], 0 offset:732
	buffer_load_dword v26, off, s[0:3], 0 offset:708
	;; [unrolled: 1-line block ×3, first 2 shown]
	s_waitcnt vmcnt(58) lgkmcnt(0)
	v_mul_f64 v[95:96], v[5:6], v[45:46]
	v_mul_f64 v[45:46], v[7:8], v[45:46]
	ds_read_b128 v[1:4], v70 offset:1472
	s_waitcnt vmcnt(56)
	v_fma_f64 v[23:24], v[9:10], v[31:32], -v[23:24]
	v_fma_f64 v[31:32], v[11:12], v[31:32], v[129:130]
	v_add_f64 v[15:16], v[15:16], v[37:38]
	v_add_f64 v[13:14], v[13:14], v[19:20]
	s_clause 0x4
	buffer_load_dword v20, off, s[0:3], 0 offset:748
	buffer_load_dword v37, off, s[0:3], 0 offset:760
	;; [unrolled: 1-line block ×5, first 2 shown]
	ds_read_b128 v[9:12], v70 offset:1488
	s_waitcnt vmcnt(57) lgkmcnt(1)
	v_mul_f64 v[129:130], v[1:2], v[29:30]
	v_mul_f64 v[29:30], v[3:4], v[29:30]
	s_waitcnt vmcnt(56)
	v_fma_f64 v[45:46], v[5:6], v[71:72], -v[45:46]
	v_add_f64 v[15:16], v[15:16], v[23:24]
	v_fma_f64 v[23:24], v[7:8], v[71:72], v[95:96]
	v_add_f64 v[13:14], v[13:14], v[31:32]
	s_clause 0x2
	buffer_load_dword v38, off, s[0:3], 0 offset:764
	buffer_load_dword v32, off, s[0:3], 0 offset:740
	;; [unrolled: 1-line block ×3, first 2 shown]
	s_waitcnt vmcnt(58) lgkmcnt(0)
	v_mul_f64 v[71:72], v[9:10], v[51:52]
	v_mul_f64 v[51:52], v[11:12], v[51:52]
	ds_read_b128 v[5:8], v70 offset:1504
	s_waitcnt vmcnt(56)
	v_fma_f64 v[29:30], v[1:2], v[41:42], -v[29:30]
	v_fma_f64 v[41:42], v[3:4], v[41:42], v[129:130]
	v_add_f64 v[15:16], v[15:16], v[45:46]
	v_add_f64 v[13:14], v[13:14], v[23:24]
	s_clause 0x4
	buffer_load_dword v24, off, s[0:3], 0 offset:780
	buffer_load_dword v45, off, s[0:3], 0 offset:792
	buffer_load_dword v95, off, s[0:3], 0 offset:784
	buffer_load_dword v23, off, s[0:3], 0 offset:776
	buffer_load_dword v110, off, s[0:3], 0 offset:756
	ds_read_b128 v[1:4], v70 offset:1520
	s_waitcnt vmcnt(57) lgkmcnt(1)
	v_mul_f64 v[129:130], v[5:6], v[35:36]
	v_mul_f64 v[35:36], v[7:8], v[35:36]
	s_waitcnt vmcnt(56)
	v_fma_f64 v[51:52], v[9:10], v[53:54], -v[51:52]
	v_add_f64 v[15:16], v[15:16], v[29:30]
	v_fma_f64 v[29:30], v[11:12], v[53:54], v[71:72]
	v_add_f64 v[13:14], v[13:14], v[41:42]
	s_clause 0x2
	buffer_load_dword v46, off, s[0:3], 0 offset:796
	buffer_load_dword v42, off, s[0:3], 0 offset:772
	buffer_load_dword v41, off, s[0:3], 0 offset:768
	ds_read_b128 v[9:12], v70 offset:1536
	s_waitcnt vmcnt(58) lgkmcnt(1)
	v_mul_f64 v[53:54], v[1:2], v[59:60]
	v_mul_f64 v[59:60], v[3:4], v[59:60]
	s_waitcnt vmcnt(56)
	v_fma_f64 v[35:36], v[5:6], v[39:40], -v[35:36]
	v_fma_f64 v[39:40], v[7:8], v[39:40], v[129:130]
	v_add_f64 v[15:16], v[15:16], v[51:52]
	v_add_f64 v[13:14], v[13:14], v[29:30]
	s_clause 0x4
	buffer_load_dword v30, off, s[0:3], 0 offset:812
	buffer_load_dword v51, off, s[0:3], 0 offset:824
	buffer_load_dword v71, off, s[0:3], 0 offset:816
	buffer_load_dword v29, off, s[0:3], 0 offset:808
	buffer_load_dword v96, off, s[0:3], 0 offset:788
	ds_read_b128 v[5:8], v70 offset:1552
	s_waitcnt vmcnt(57) lgkmcnt(1)
	v_mul_f64 v[129:130], v[9:10], v[43:44]
	v_mul_f64 v[43:44], v[11:12], v[43:44]
	s_waitcnt vmcnt(56)
	v_fma_f64 v[59:60], v[1:2], v[61:62], -v[59:60]
	v_add_f64 v[15:16], v[15:16], v[35:36]
	v_fma_f64 v[35:36], v[3:4], v[61:62], v[53:54]
	v_add_f64 v[13:14], v[13:14], v[39:40]
	s_clause 0x2
	buffer_load_dword v52, off, s[0:3], 0 offset:828
	buffer_load_dword v40, off, s[0:3], 0 offset:804
	buffer_load_dword v39, off, s[0:3], 0 offset:800
	ds_read_b128 v[1:4], v70 offset:1568
	s_waitcnt vmcnt(58) lgkmcnt(1)
	v_mul_f64 v[61:62], v[7:8], v[65:66]
	v_mul_f64 v[53:54], v[5:6], v[65:66]
	;; [unrolled: 28-line block ×4, first 2 shown]
	s_waitcnt vmcnt(56)
	v_fma_f64 v[57:58], v[5:6], v[63:64], -v[57:58]
	v_add_f64 v[15:16], v[15:16], v[55:56]
	v_fma_f64 v[55:56], v[7:8], v[63:64], v[129:130]
	v_add_f64 v[13:14], v[13:14], v[49:50]
	s_clause 0x4
	buffer_load_dword v50, off, s[0:3], 0 offset:908
	buffer_load_dword v63, off, s[0:3], 0 offset:920
	;; [unrolled: 1-line block ×5, first 2 shown]
	ds_read_b128 v[5:8], v70 offset:1648
	s_waitcnt vmcnt(57) lgkmcnt(1)
	v_mul_f64 v[129:130], v[9:10], v[21:22]
	v_mul_f64 v[21:22], v[11:12], v[21:22]
	s_waitcnt vmcnt(56)
	v_fma_f64 v[73:74], v[1:2], v[117:118], -v[73:74]
	v_fma_f64 v[53:54], v[3:4], v[117:118], v[53:54]
	v_add_f64 v[15:16], v[15:16], v[57:58]
	v_add_f64 v[13:14], v[13:14], v[55:56]
	s_clause 0x2
	buffer_load_dword v64, off, s[0:3], 0 offset:924
	buffer_load_dword v56, off, s[0:3], 0 offset:900
	;; [unrolled: 1-line block ×3, first 2 shown]
	ds_read_b128 v[1:4], v70 offset:1664
	s_waitcnt vmcnt(58) lgkmcnt(1)
	v_mul_f64 v[57:58], v[5:6], v[99:100]
	v_mul_f64 v[99:100], v[7:8], v[99:100]
	s_waitcnt vmcnt(56)
	v_fma_f64 v[21:22], v[9:10], v[27:28], -v[21:22]
	v_fma_f64 v[27:28], v[11:12], v[27:28], v[129:130]
	v_add_f64 v[15:16], v[15:16], v[73:74]
	v_add_f64 v[13:14], v[13:14], v[53:54]
	s_clause 0x4
	buffer_load_dword v54, off, s[0:3], 0 offset:940
	buffer_load_dword v73, off, s[0:3], 0 offset:952
	;; [unrolled: 1-line block ×5, first 2 shown]
	ds_read_b128 v[9:12], v70 offset:1680
	s_waitcnt vmcnt(57) lgkmcnt(1)
	v_mul_f64 v[129:130], v[1:2], v[33:34]
	v_mul_f64 v[33:34], v[3:4], v[33:34]
	s_waitcnt vmcnt(56)
	v_fma_f64 v[99:100], v[5:6], v[119:120], -v[99:100]
	v_add_f64 v[15:16], v[15:16], v[21:22]
	v_fma_f64 v[21:22], v[7:8], v[119:120], v[57:58]
	v_add_f64 v[13:14], v[13:14], v[27:28]
	s_clause 0x2
	buffer_load_dword v74, off, s[0:3], 0 offset:956
	buffer_load_dword v28, off, s[0:3], 0 offset:932
	;; [unrolled: 1-line block ×3, first 2 shown]
	ds_read_b128 v[5:8], v70 offset:1696
	s_waitcnt vmcnt(58) lgkmcnt(1)
	v_mul_f64 v[57:58], v[9:10], v[93:94]
	v_mul_f64 v[93:94], v[11:12], v[93:94]
	s_waitcnt vmcnt(56)
	v_fma_f64 v[33:34], v[1:2], v[25:26], -v[33:34]
	v_fma_f64 v[25:26], v[3:4], v[25:26], v[129:130]
	v_add_f64 v[15:16], v[15:16], v[99:100]
	v_add_f64 v[13:14], v[13:14], v[21:22]
	s_clause 0x4
	buffer_load_dword v22, off, s[0:3], 0 offset:972
	buffer_load_dword v99, off, s[0:3], 0 offset:984
	;; [unrolled: 1-line block ×5, first 2 shown]
	ds_read_b128 v[1:4], v70 offset:1712
	s_waitcnt vmcnt(57) lgkmcnt(1)
	v_mul_f64 v[129:130], v[5:6], v[19:20]
	v_mul_f64 v[19:20], v[7:8], v[19:20]
	s_waitcnt vmcnt(56)
	v_fma_f64 v[93:94], v[9:10], v[111:112], -v[93:94]
	v_add_f64 v[15:16], v[15:16], v[33:34]
	v_fma_f64 v[33:34], v[11:12], v[111:112], v[57:58]
	v_add_f64 v[13:14], v[13:14], v[25:26]
	s_clause 0x2
	buffer_load_dword v100, off, s[0:3], 0 offset:988
	buffer_load_dword v26, off, s[0:3], 0 offset:964
	;; [unrolled: 1-line block ×3, first 2 shown]
	ds_read_b128 v[9:12], v70 offset:1728
	buffer_load_dword v120, off, s[0:3], 0 offset:980
	s_waitcnt vmcnt(59) lgkmcnt(1)
	v_mul_f64 v[57:58], v[1:2], v[37:38]
	v_mul_f64 v[37:38], v[3:4], v[37:38]
	s_waitcnt vmcnt(57)
	v_fma_f64 v[19:20], v[5:6], v[31:32], -v[19:20]
	v_fma_f64 v[31:32], v[7:8], v[31:32], v[129:130]
	ds_read_b128 v[5:8], v70 offset:1744
	v_add_f64 v[15:16], v[15:16], v[93:94]
	v_add_f64 v[13:14], v[13:14], v[33:34]
	s_waitcnt vmcnt(53) lgkmcnt(1)
	v_mul_f64 v[33:34], v[9:10], v[23:24]
	v_mul_f64 v[23:24], v[11:12], v[23:24]
	s_waitcnt vmcnt(52)
	v_fma_f64 v[37:38], v[1:2], v[109:110], -v[37:38]
	v_add_f64 v[15:16], v[15:16], v[19:20]
	v_fma_f64 v[19:20], v[3:4], v[109:110], v[57:58]
	v_add_f64 v[13:14], v[13:14], v[31:32]
	ds_read_b128 v[1:4], v70 offset:1760
	s_waitcnt vmcnt(51) lgkmcnt(1)
	v_mul_f64 v[31:32], v[5:6], v[45:46]
	v_mul_f64 v[45:46], v[7:8], v[45:46]
	s_waitcnt vmcnt(49)
	v_fma_f64 v[23:24], v[9:10], v[41:42], -v[23:24]
	v_fma_f64 v[33:34], v[11:12], v[41:42], v[33:34]
	v_add_f64 v[15:16], v[15:16], v[37:38]
	v_add_f64 v[13:14], v[13:14], v[19:20]
	s_clause 0x3
	buffer_load_dword v19, off, s[0:3], 0 offset:96
	buffer_load_dword v20, off, s[0:3], 0 offset:100
	;; [unrolled: 1-line block ×4, first 2 shown]
	ds_read_b128 v[9:12], v70 offset:1776
	s_waitcnt vmcnt(49) lgkmcnt(1)
	v_mul_f64 v[41:42], v[1:2], v[29:30]
	v_mul_f64 v[29:30], v[3:4], v[29:30]
	s_waitcnt vmcnt(48)
	v_fma_f64 v[45:46], v[5:6], v[95:96], -v[45:46]
	v_add_f64 v[15:16], v[15:16], v[23:24]
	v_fma_f64 v[23:24], v[7:8], v[95:96], v[31:32]
	v_add_f64 v[13:14], v[13:14], v[33:34]
	ds_read_b128 v[5:8], v70 offset:1792
	s_waitcnt vmcnt(47) lgkmcnt(1)
	v_mul_f64 v[33:34], v[11:12], v[51:52]
	v_mul_f64 v[31:32], v[9:10], v[51:52]
	s_waitcnt vmcnt(45)
	v_fma_f64 v[29:30], v[1:2], v[39:40], -v[29:30]
	v_fma_f64 v[39:40], v[3:4], v[39:40], v[41:42]
	ds_read_b128 v[1:4], v70 offset:1808
	v_add_f64 v[15:16], v[15:16], v[45:46]
	v_add_f64 v[13:14], v[13:14], v[23:24]
	s_waitcnt vmcnt(41) lgkmcnt(1)
	v_mul_f64 v[23:24], v[5:6], v[35:36]
	v_mul_f64 v[35:36], v[7:8], v[35:36]
	s_waitcnt vmcnt(40)
	v_fma_f64 v[33:34], v[9:10], v[71:72], -v[33:34]
	v_add_f64 v[15:16], v[15:16], v[29:30]
	v_fma_f64 v[29:30], v[11:12], v[71:72], v[31:32]
	v_add_f64 v[13:14], v[13:14], v[39:40]
	ds_read_b128 v[9:12], v70 offset:1824
	s_waitcnt vmcnt(39) lgkmcnt(1)
	v_mul_f64 v[39:40], v[3:4], v[59:60]
	v_mul_f64 v[31:32], v[1:2], v[59:60]
	s_waitcnt vmcnt(37)
	v_fma_f64 v[35:36], v[5:6], v[47:48], -v[35:36]
	v_fma_f64 v[23:24], v[7:8], v[47:48], v[23:24]
	ds_read_b128 v[5:8], v70 offset:1840
	v_add_f64 v[15:16], v[15:16], v[33:34]
	v_add_f64 v[13:14], v[13:14], v[29:30]
	s_waitcnt vmcnt(33) lgkmcnt(1)
	v_mul_f64 v[33:34], v[11:12], v[43:44]
	s_waitcnt vmcnt(32)
	v_fma_f64 v[39:40], v[1:2], v[65:66], -v[39:40]
	v_mul_f64 v[29:30], v[9:10], v[43:44]
	v_fma_f64 v[31:32], v[3:4], v[65:66], v[31:32]
	ds_read_b128 v[1:4], v70 offset:1856
	v_add_f64 v[15:16], v[15:16], v[35:36]
	v_add_f64 v[13:14], v[13:14], v[23:24]
	s_waitcnt vmcnt(31) lgkmcnt(1)
	v_mul_f64 v[35:36], v[7:8], v[61:62]
	v_mul_f64 v[23:24], v[5:6], v[61:62]
	s_waitcnt vmcnt(29)
	v_fma_f64 v[33:34], v[9:10], v[17:18], -v[33:34]
	v_fma_f64 v[17:18], v[11:12], v[17:18], v[29:30]
	ds_read_b128 v[9:12], v70 offset:1872
	v_add_f64 v[15:16], v[15:16], v[39:40]
	v_add_f64 v[13:14], v[13:14], v[31:32]
	s_waitcnt vmcnt(25) lgkmcnt(1)
	v_mul_f64 v[31:32], v[3:4], v[49:50]
	s_waitcnt vmcnt(24)
	v_fma_f64 v[35:36], v[5:6], v[67:68], -v[35:36]
	v_mul_f64 v[29:30], v[1:2], v[49:50]
	v_fma_f64 v[23:24], v[7:8], v[67:68], v[23:24]
	ds_read_b128 v[5:8], v70 offset:1888
	v_add_f64 v[15:16], v[15:16], v[33:34]
	v_add_f64 v[13:14], v[13:14], v[17:18]
	;; [unrolled: 18-line block ×3, first 2 shown]
	s_waitcnt vmcnt(15) lgkmcnt(1)
	v_mul_f64 v[31:32], v[3:4], v[73:74]
	v_mul_f64 v[29:30], v[1:2], v[73:74]
	s_waitcnt vmcnt(13)
	v_fma_f64 v[35:36], v[5:6], v[27:28], -v[35:36]
	v_fma_f64 v[23:24], v[7:8], v[27:28], v[23:24]
	ds_read_b128 v[5:8], v70 offset:1936
	v_add_f64 v[15:16], v[15:16], v[33:34]
	v_add_f64 v[13:14], v[13:14], v[17:18]
	s_waitcnt vmcnt(9) lgkmcnt(1)
	v_mul_f64 v[17:18], v[9:10], v[21:22]
	v_mul_f64 v[21:22], v[11:12], v[21:22]
	s_waitcnt vmcnt(8)
	v_fma_f64 v[1:2], v[1:2], v[117:118], -v[31:32]
	v_fma_f64 v[3:4], v[3:4], v[117:118], v[29:30]
	v_add_f64 v[15:16], v[15:16], v[35:36]
	v_add_f64 v[13:14], v[13:14], v[23:24]
	s_waitcnt vmcnt(7) lgkmcnt(0)
	v_mul_f64 v[27:28], v[7:8], v[99:100]
	v_mul_f64 v[23:24], v[5:6], v[99:100]
	s_waitcnt vmcnt(5)
	v_fma_f64 v[9:10], v[9:10], v[25:26], -v[21:22]
	v_fma_f64 v[11:12], v[11:12], v[25:26], v[17:18]
	v_add_f64 v[1:2], v[15:16], v[1:2]
	v_add_f64 v[3:4], v[13:14], v[3:4]
	s_waitcnt vmcnt(4)
	v_fma_f64 v[5:6], v[5:6], v[119:120], -v[27:28]
	v_fma_f64 v[7:8], v[7:8], v[119:120], v[23:24]
	v_add_f64 v[1:2], v[1:2], v[9:10]
	v_add_f64 v[3:4], v[3:4], v[11:12]
	;; [unrolled: 1-line block ×4, first 2 shown]
	s_waitcnt vmcnt(2)
	v_add_f64 v[1:2], v[19:20], -v[1:2]
	s_waitcnt vmcnt(0)
	v_add_f64 v[3:4], v[37:38], -v[3:4]
	buffer_store_dword v2, off, s[0:3], 0 offset:100
	buffer_store_dword v1, off, s[0:3], 0 offset:96
	;; [unrolled: 1-line block ×4, first 2 shown]
	v_cmpx_lt_u32_e32 4, v0
	s_cbranch_execz .LBB60_383
; %bb.382:
	v_mov_b32_e32 v4, s69
	s_clause 0x3
	buffer_load_dword v1, v4, s[0:3], 0 offen
	buffer_load_dword v2, v4, s[0:3], 0 offen offset:4
	buffer_load_dword v3, v4, s[0:3], 0 offen offset:8
	buffer_load_dword v4, v4, s[0:3], 0 offen offset:12
	buffer_store_dword v70, off, s[0:3], 0 offset:80
	buffer_store_dword v70, off, s[0:3], 0 offset:84
	;; [unrolled: 1-line block ×4, first 2 shown]
	s_waitcnt vmcnt(0)
	ds_write_b128 v69, v[1:4]
.LBB60_383:
	s_or_b32 exec_lo, exec_lo, s4
	s_waitcnt lgkmcnt(0)
	s_waitcnt_vscnt null, 0x0
	s_barrier
	buffer_gl0_inv
	s_clause 0x37
	buffer_load_dword v17, off, s[0:3], 0 offset:104
	buffer_load_dword v18, off, s[0:3], 0 offset:108
	;; [unrolled: 1-line block ×56, first 2 shown]
	ds_read_b128 v[5:8], v70 offset:1056
	s_clause 0x2
	buffer_load_dword v66, off, s[0:3], 0 offset:332
	buffer_load_dword v68, off, s[0:3], 0 offset:308
	;; [unrolled: 1-line block ×3, first 2 shown]
	ds_read_b128 v[1:4], v70 offset:1072
	s_clause 0x4
	buffer_load_dword v96, off, s[0:3], 0 offset:348
	buffer_load_dword v97, off, s[0:3], 0 offset:360
	buffer_load_dword v99, off, s[0:3], 0 offset:352
	buffer_load_dword v95, off, s[0:3], 0 offset:344
	buffer_load_dword v58, off, s[0:3], 0 offset:324
	ds_read_b128 v[71:74], v70 offset:1088
	s_mov_b32 s4, exec_lo
	s_waitcnt vmcnt(62) lgkmcnt(2)
	v_mul_f64 v[93:94], v[7:8], v[17:18]
	v_mul_f64 v[17:18], v[5:6], v[17:18]
	s_waitcnt vmcnt(60) lgkmcnt(1)
	v_mul_f64 v[109:110], v[3:4], v[13:14]
	v_mul_f64 v[13:14], v[1:2], v[13:14]
	;; [unrolled: 3-line block ×3, first 2 shown]
	v_fma_f64 v[93:94], v[5:6], v[15:16], -v[93:94]
	v_fma_f64 v[15:16], v[7:8], v[15:16], v[17:18]
	s_clause 0x2
	buffer_load_dword v98, off, s[0:3], 0 offset:364
	buffer_load_dword v18, off, s[0:3], 0 offset:340
	buffer_load_dword v17, off, s[0:3], 0 offset:336
	s_waitcnt vmcnt(57)
	v_fma_f64 v[109:110], v[1:2], v[9:10], -v[109:110]
	ds_read_b128 v[5:8], v70 offset:1104
	v_fma_f64 v[9:10], v[3:4], v[9:10], v[13:14]
	s_waitcnt vmcnt(51)
	v_fma_f64 v[71:72], v[71:72], v[33:34], -v[11:12]
	v_fma_f64 v[33:34], v[73:74], v[33:34], v[111:112]
	v_add_f64 v[93:94], v[93:94], 0
	v_add_f64 v[13:14], v[15:16], 0
	s_clause 0x4
	buffer_load_dword v16, off, s[0:3], 0 offset:380
	buffer_load_dword v117, off, s[0:3], 0 offset:392
	;; [unrolled: 1-line block ×5, first 2 shown]
	s_waitcnt lgkmcnt(0)
	v_mul_f64 v[129:130], v[5:6], v[21:22]
	v_mul_f64 v[21:22], v[7:8], v[21:22]
	ds_read_b128 v[1:4], v70 offset:1120
	s_clause 0x2
	buffer_load_dword v118, off, s[0:3], 0 offset:396
	buffer_load_dword v74, off, s[0:3], 0 offset:372
	;; [unrolled: 1-line block ×3, first 2 shown]
	v_add_f64 v[93:94], v[93:94], v[109:110]
	v_add_f64 v[13:14], v[13:14], v[9:10]
	ds_read_b128 v[9:12], v70 offset:1136
	s_waitcnt vmcnt(58) lgkmcnt(1)
	v_mul_f64 v[109:110], v[1:2], v[25:26]
	v_mul_f64 v[25:26], v[3:4], v[25:26]
	s_waitcnt vmcnt(56)
	v_fma_f64 v[21:22], v[5:6], v[27:28], -v[21:22]
	v_fma_f64 v[27:28], v[7:8], v[27:28], v[129:130]
	s_waitcnt vmcnt(52) lgkmcnt(0)
	v_mul_f64 v[129:130], v[9:10], v[29:30]
	v_add_f64 v[71:72], v[93:94], v[71:72]
	v_add_f64 v[13:14], v[13:14], v[33:34]
	s_clause 0x4
	buffer_load_dword v34, off, s[0:3], 0 offset:412
	buffer_load_dword v93, off, s[0:3], 0 offset:424
	;; [unrolled: 1-line block ×5, first 2 shown]
	v_mul_f64 v[29:30], v[11:12], v[29:30]
	s_waitcnt vmcnt(56)
	v_fma_f64 v[25:26], v[1:2], v[19:20], -v[25:26]
	ds_read_b128 v[5:8], v70 offset:1152
	v_fma_f64 v[19:20], v[3:4], v[19:20], v[109:110]
	v_add_f64 v[21:22], v[71:72], v[21:22]
	v_add_f64 v[13:14], v[13:14], v[27:28]
	s_clause 0x2
	buffer_load_dword v94, off, s[0:3], 0 offset:428
	buffer_load_dword v28, off, s[0:3], 0 offset:404
	;; [unrolled: 1-line block ×3, first 2 shown]
	s_waitcnt vmcnt(58) lgkmcnt(0)
	v_mul_f64 v[71:72], v[5:6], v[35:36]
	v_mul_f64 v[35:36], v[7:8], v[35:36]
	s_waitcnt vmcnt(56)
	v_fma_f64 v[29:30], v[9:10], v[37:38], -v[29:30]
	ds_read_b128 v[1:4], v70 offset:1168
	v_add_f64 v[21:22], v[21:22], v[25:26]
	v_fma_f64 v[25:26], v[11:12], v[37:38], v[129:130]
	v_add_f64 v[13:14], v[13:14], v[19:20]
	s_clause 0x4
	buffer_load_dword v20, off, s[0:3], 0 offset:444
	buffer_load_dword v37, off, s[0:3], 0 offset:456
	;; [unrolled: 1-line block ×5, first 2 shown]
	s_waitcnt vmcnt(57) lgkmcnt(0)
	v_mul_f64 v[129:130], v[1:2], v[39:40]
	v_mul_f64 v[39:40], v[3:4], v[39:40]
	s_waitcnt vmcnt(56)
	v_fma_f64 v[35:36], v[5:6], v[23:24], -v[35:36]
	ds_read_b128 v[9:12], v70 offset:1184
	v_fma_f64 v[23:24], v[7:8], v[23:24], v[71:72]
	v_add_f64 v[21:22], v[21:22], v[29:30]
	v_add_f64 v[13:14], v[13:14], v[25:26]
	s_clause 0x2
	buffer_load_dword v38, off, s[0:3], 0 offset:460
	buffer_load_dword v26, off, s[0:3], 0 offset:436
	;; [unrolled: 1-line block ×3, first 2 shown]
	ds_read_b128 v[5:8], v70 offset:1200
	s_waitcnt vmcnt(58) lgkmcnt(1)
	v_mul_f64 v[29:30], v[9:10], v[43:44]
	v_mul_f64 v[43:44], v[11:12], v[43:44]
	s_waitcnt vmcnt(56)
	v_fma_f64 v[39:40], v[1:2], v[45:46], -v[39:40]
	v_add_f64 v[21:22], v[21:22], v[35:36]
	v_fma_f64 v[35:36], v[3:4], v[45:46], v[129:130]
	v_add_f64 v[13:14], v[13:14], v[23:24]
	s_clause 0x4
	buffer_load_dword v24, off, s[0:3], 0 offset:476
	buffer_load_dword v45, off, s[0:3], 0 offset:488
	;; [unrolled: 1-line block ×5, first 2 shown]
	s_waitcnt vmcnt(57) lgkmcnt(0)
	v_mul_f64 v[129:130], v[5:6], v[47:48]
	v_mul_f64 v[47:48], v[7:8], v[47:48]
	s_waitcnt vmcnt(56)
	v_fma_f64 v[43:44], v[9:10], v[31:32], -v[43:44]
	ds_read_b128 v[1:4], v70 offset:1216
	v_fma_f64 v[29:30], v[11:12], v[31:32], v[29:30]
	s_clause 0x2
	buffer_load_dword v46, off, s[0:3], 0 offset:492
	buffer_load_dword v32, off, s[0:3], 0 offset:468
	;; [unrolled: 1-line block ×3, first 2 shown]
	ds_read_b128 v[9:12], v70 offset:1232
	v_add_f64 v[21:22], v[21:22], v[39:40]
	v_add_f64 v[13:14], v[13:14], v[35:36]
	s_waitcnt vmcnt(58) lgkmcnt(1)
	v_mul_f64 v[39:40], v[3:4], v[51:52]
	s_waitcnt vmcnt(56)
	v_fma_f64 v[47:48], v[5:6], v[53:54], -v[47:48]
	v_mul_f64 v[35:36], v[1:2], v[51:52]
	v_add_f64 v[21:22], v[21:22], v[43:44]
	v_fma_f64 v[43:44], v[7:8], v[53:54], v[129:130]
	v_add_f64 v[13:14], v[13:14], v[29:30]
	s_clause 0x4
	buffer_load_dword v30, off, s[0:3], 0 offset:508
	buffer_load_dword v51, off, s[0:3], 0 offset:520
	;; [unrolled: 1-line block ×5, first 2 shown]
	s_waitcnt vmcnt(57) lgkmcnt(0)
	v_mul_f64 v[129:130], v[9:10], v[55:56]
	v_mul_f64 v[54:55], v[11:12], v[55:56]
	s_waitcnt vmcnt(56)
	v_fma_f64 v[39:40], v[1:2], v[41:42], -v[39:40]
	ds_read_b128 v[5:8], v70 offset:1248
	v_fma_f64 v[35:36], v[3:4], v[41:42], v[35:36]
	s_clause 0x2
	buffer_load_dword v52, off, s[0:3], 0 offset:524
	buffer_load_dword v42, off, s[0:3], 0 offset:500
	;; [unrolled: 1-line block ×3, first 2 shown]
	ds_read_b128 v[1:4], v70 offset:1264
	v_add_f64 v[21:22], v[21:22], v[47:48]
	v_add_f64 v[13:14], v[13:14], v[43:44]
	s_waitcnt vmcnt(58) lgkmcnt(1)
	v_mul_f64 v[47:48], v[7:8], v[59:60]
	s_waitcnt vmcnt(56)
	v_fma_f64 v[55:56], v[9:10], v[61:62], -v[54:55]
	v_mul_f64 v[43:44], v[5:6], v[59:60]
	v_add_f64 v[21:22], v[21:22], v[39:40]
	v_fma_f64 v[39:40], v[11:12], v[61:62], v[129:130]
	v_add_f64 v[13:14], v[13:14], v[35:36]
	s_clause 0x4
	buffer_load_dword v36, off, s[0:3], 0 offset:540
	buffer_load_dword v59, off, s[0:3], 0 offset:552
	;; [unrolled: 1-line block ×5, first 2 shown]
	s_waitcnt vmcnt(57) lgkmcnt(0)
	v_mul_f64 v[129:130], v[1:2], v[63:64]
	v_mul_f64 v[62:63], v[3:4], v[63:64]
	s_waitcnt vmcnt(56)
	v_fma_f64 v[47:48], v[5:6], v[49:50], -v[47:48]
	ds_read_b128 v[9:12], v70 offset:1280
	v_fma_f64 v[43:44], v[7:8], v[49:50], v[43:44]
	v_add_f64 v[21:22], v[21:22], v[55:56]
	v_add_f64 v[13:14], v[13:14], v[39:40]
	s_clause 0x2
	buffer_load_dword v60, off, s[0:3], 0 offset:556
	buffer_load_dword v40, off, s[0:3], 0 offset:532
	;; [unrolled: 1-line block ×3, first 2 shown]
	ds_read_b128 v[5:8], v70 offset:1296
	s_waitcnt vmcnt(58) lgkmcnt(1)
	v_mul_f64 v[55:56], v[11:12], v[65:66]
	s_waitcnt vmcnt(56)
	v_fma_f64 v[63:64], v[1:2], v[67:68], -v[62:63]
	v_mul_f64 v[49:50], v[9:10], v[65:66]
	v_add_f64 v[21:22], v[21:22], v[47:48]
	v_fma_f64 v[47:48], v[3:4], v[67:68], v[129:130]
	v_add_f64 v[13:14], v[13:14], v[43:44]
	s_clause 0x4
	buffer_load_dword v44, off, s[0:3], 0 offset:572
	buffer_load_dword v65, off, s[0:3], 0 offset:584
	;; [unrolled: 1-line block ×5, first 2 shown]
	s_waitcnt vmcnt(57) lgkmcnt(0)
	v_mul_f64 v[129:130], v[5:6], v[95:96]
	v_mul_f64 v[95:96], v[7:8], v[95:96]
	s_waitcnt vmcnt(56)
	v_fma_f64 v[55:56], v[9:10], v[57:58], -v[55:56]
	ds_read_b128 v[1:4], v70 offset:1312
	v_fma_f64 v[49:50], v[11:12], v[57:58], v[49:50]
	v_add_f64 v[21:22], v[21:22], v[63:64]
	v_add_f64 v[13:14], v[13:14], v[47:48]
	s_clause 0x2
	buffer_load_dword v66, off, s[0:3], 0 offset:588
	buffer_load_dword v48, off, s[0:3], 0 offset:564
	;; [unrolled: 1-line block ×3, first 2 shown]
	ds_read_b128 v[9:12], v70 offset:1328
	s_waitcnt vmcnt(58) lgkmcnt(1)
	v_mul_f64 v[63:64], v[3:4], v[97:98]
	v_mul_f64 v[57:58], v[1:2], v[97:98]
	s_waitcnt vmcnt(56)
	v_fma_f64 v[95:96], v[5:6], v[17:18], -v[95:96]
	v_fma_f64 v[17:18], v[7:8], v[17:18], v[129:130]
	v_add_f64 v[21:22], v[21:22], v[55:56]
	v_add_f64 v[13:14], v[13:14], v[49:50]
	s_clause 0x4
	buffer_load_dword v50, off, s[0:3], 0 offset:604
	buffer_load_dword v55, off, s[0:3], 0 offset:616
	;; [unrolled: 1-line block ×5, first 2 shown]
	ds_read_b128 v[5:8], v70 offset:1344
	s_waitcnt vmcnt(57) lgkmcnt(1)
	v_mul_f64 v[129:130], v[9:10], v[15:16]
	v_mul_f64 v[15:16], v[11:12], v[15:16]
	s_waitcnt vmcnt(56)
	v_fma_f64 v[63:64], v[1:2], v[99:100], -v[63:64]
	v_fma_f64 v[57:58], v[3:4], v[99:100], v[57:58]
	v_add_f64 v[21:22], v[21:22], v[95:96]
	v_add_f64 v[13:14], v[13:14], v[17:18]
	s_clause 0x2
	buffer_load_dword v56, off, s[0:3], 0 offset:620
	buffer_load_dword v18, off, s[0:3], 0 offset:596
	;; [unrolled: 1-line block ×3, first 2 shown]
	s_waitcnt vmcnt(58) lgkmcnt(0)
	v_mul_f64 v[99:100], v[7:8], v[117:118]
	ds_read_b128 v[1:4], v70 offset:1360
	v_mul_f64 v[95:96], v[5:6], v[117:118]
	s_waitcnt vmcnt(56)
	v_fma_f64 v[15:16], v[9:10], v[73:74], -v[15:16]
	v_add_f64 v[21:22], v[21:22], v[63:64]
	v_fma_f64 v[63:64], v[11:12], v[73:74], v[129:130]
	v_add_f64 v[13:14], v[13:14], v[57:58]
	s_clause 0x4
	buffer_load_dword v58, off, s[0:3], 0 offset:636
	buffer_load_dword v73, off, s[0:3], 0 offset:648
	;; [unrolled: 1-line block ×5, first 2 shown]
	ds_read_b128 v[9:12], v70 offset:1376
	s_waitcnt vmcnt(57) lgkmcnt(1)
	v_mul_f64 v[129:130], v[1:2], v[33:34]
	v_mul_f64 v[33:34], v[3:4], v[33:34]
	s_waitcnt vmcnt(56)
	v_fma_f64 v[99:100], v[5:6], v[119:120], -v[99:100]
	v_add_f64 v[15:16], v[21:22], v[15:16]
	v_fma_f64 v[21:22], v[7:8], v[119:120], v[95:96]
	v_add_f64 v[13:14], v[13:14], v[63:64]
	s_clause 0x2
	buffer_load_dword v74, off, s[0:3], 0 offset:652
	buffer_load_dword v64, off, s[0:3], 0 offset:628
	;; [unrolled: 1-line block ×3, first 2 shown]
	ds_read_b128 v[5:8], v70 offset:1392
	s_waitcnt vmcnt(58) lgkmcnt(1)
	v_mul_f64 v[95:96], v[9:10], v[93:94]
	v_mul_f64 v[93:94], v[11:12], v[93:94]
	s_waitcnt vmcnt(56)
	v_fma_f64 v[33:34], v[1:2], v[27:28], -v[33:34]
	v_fma_f64 v[27:28], v[3:4], v[27:28], v[129:130]
	v_add_f64 v[15:16], v[15:16], v[99:100]
	v_add_f64 v[13:14], v[13:14], v[21:22]
	s_clause 0x4
	buffer_load_dword v22, off, s[0:3], 0 offset:668
	buffer_load_dword v99, off, s[0:3], 0 offset:680
	;; [unrolled: 1-line block ×5, first 2 shown]
	ds_read_b128 v[1:4], v70 offset:1408
	s_waitcnt vmcnt(57) lgkmcnt(1)
	v_mul_f64 v[129:130], v[5:6], v[19:20]
	v_mul_f64 v[19:20], v[7:8], v[19:20]
	s_waitcnt vmcnt(56)
	v_fma_f64 v[93:94], v[9:10], v[111:112], -v[93:94]
	v_add_f64 v[15:16], v[15:16], v[33:34]
	v_fma_f64 v[33:34], v[11:12], v[111:112], v[95:96]
	v_add_f64 v[13:14], v[13:14], v[27:28]
	s_clause 0x2
	buffer_load_dword v100, off, s[0:3], 0 offset:684
	buffer_load_dword v28, off, s[0:3], 0 offset:660
	buffer_load_dword v27, off, s[0:3], 0 offset:656
	ds_read_b128 v[9:12], v70 offset:1424
	s_waitcnt vmcnt(58) lgkmcnt(1)
	v_mul_f64 v[95:96], v[1:2], v[37:38]
	v_mul_f64 v[37:38], v[3:4], v[37:38]
	s_waitcnt vmcnt(56)
	v_fma_f64 v[19:20], v[5:6], v[25:26], -v[19:20]
	v_fma_f64 v[25:26], v[7:8], v[25:26], v[129:130]
	v_add_f64 v[15:16], v[15:16], v[93:94]
	v_add_f64 v[13:14], v[13:14], v[33:34]
	s_clause 0x4
	buffer_load_dword v34, off, s[0:3], 0 offset:700
	buffer_load_dword v93, off, s[0:3], 0 offset:712
	;; [unrolled: 1-line block ×5, first 2 shown]
	ds_read_b128 v[5:8], v70 offset:1440
	s_waitcnt vmcnt(57) lgkmcnt(1)
	v_mul_f64 v[129:130], v[9:10], v[23:24]
	v_mul_f64 v[23:24], v[11:12], v[23:24]
	s_waitcnt vmcnt(56)
	v_fma_f64 v[37:38], v[1:2], v[109:110], -v[37:38]
	v_add_f64 v[15:16], v[15:16], v[19:20]
	v_fma_f64 v[19:20], v[3:4], v[109:110], v[95:96]
	v_add_f64 v[13:14], v[13:14], v[25:26]
	s_clause 0x2
	buffer_load_dword v94, off, s[0:3], 0 offset:716
	buffer_load_dword v26, off, s[0:3], 0 offset:692
	;; [unrolled: 1-line block ×3, first 2 shown]
	s_waitcnt vmcnt(58) lgkmcnt(0)
	v_mul_f64 v[95:96], v[5:6], v[45:46]
	v_mul_f64 v[45:46], v[7:8], v[45:46]
	ds_read_b128 v[1:4], v70 offset:1456
	s_waitcnt vmcnt(56)
	v_fma_f64 v[23:24], v[9:10], v[31:32], -v[23:24]
	v_fma_f64 v[31:32], v[11:12], v[31:32], v[129:130]
	v_add_f64 v[15:16], v[15:16], v[37:38]
	v_add_f64 v[13:14], v[13:14], v[19:20]
	s_clause 0x4
	buffer_load_dword v20, off, s[0:3], 0 offset:732
	buffer_load_dword v37, off, s[0:3], 0 offset:744
	buffer_load_dword v109, off, s[0:3], 0 offset:736
	buffer_load_dword v19, off, s[0:3], 0 offset:728
	buffer_load_dword v112, off, s[0:3], 0 offset:708
	ds_read_b128 v[9:12], v70 offset:1472
	s_waitcnt vmcnt(57) lgkmcnt(1)
	v_mul_f64 v[129:130], v[1:2], v[29:30]
	v_mul_f64 v[29:30], v[3:4], v[29:30]
	s_waitcnt vmcnt(56)
	v_fma_f64 v[45:46], v[5:6], v[71:72], -v[45:46]
	v_add_f64 v[15:16], v[15:16], v[23:24]
	v_fma_f64 v[23:24], v[7:8], v[71:72], v[95:96]
	v_add_f64 v[13:14], v[13:14], v[31:32]
	s_clause 0x2
	buffer_load_dword v38, off, s[0:3], 0 offset:748
	buffer_load_dword v32, off, s[0:3], 0 offset:724
	;; [unrolled: 1-line block ×3, first 2 shown]
	s_waitcnt vmcnt(58) lgkmcnt(0)
	v_mul_f64 v[71:72], v[9:10], v[51:52]
	v_mul_f64 v[51:52], v[11:12], v[51:52]
	ds_read_b128 v[5:8], v70 offset:1488
	s_waitcnt vmcnt(56)
	v_fma_f64 v[29:30], v[1:2], v[41:42], -v[29:30]
	v_fma_f64 v[41:42], v[3:4], v[41:42], v[129:130]
	v_add_f64 v[15:16], v[15:16], v[45:46]
	v_add_f64 v[13:14], v[13:14], v[23:24]
	s_clause 0x4
	buffer_load_dword v24, off, s[0:3], 0 offset:764
	buffer_load_dword v45, off, s[0:3], 0 offset:776
	buffer_load_dword v95, off, s[0:3], 0 offset:768
	buffer_load_dword v23, off, s[0:3], 0 offset:760
	buffer_load_dword v110, off, s[0:3], 0 offset:740
	ds_read_b128 v[1:4], v70 offset:1504
	s_waitcnt vmcnt(57) lgkmcnt(1)
	v_mul_f64 v[129:130], v[5:6], v[35:36]
	v_mul_f64 v[35:36], v[7:8], v[35:36]
	s_waitcnt vmcnt(56)
	v_fma_f64 v[51:52], v[9:10], v[53:54], -v[51:52]
	v_add_f64 v[15:16], v[15:16], v[29:30]
	v_fma_f64 v[29:30], v[11:12], v[53:54], v[71:72]
	v_add_f64 v[13:14], v[13:14], v[41:42]
	s_clause 0x2
	buffer_load_dword v46, off, s[0:3], 0 offset:780
	buffer_load_dword v42, off, s[0:3], 0 offset:756
	buffer_load_dword v41, off, s[0:3], 0 offset:752
	ds_read_b128 v[9:12], v70 offset:1520
	s_waitcnt vmcnt(58) lgkmcnt(1)
	v_mul_f64 v[53:54], v[1:2], v[59:60]
	v_mul_f64 v[59:60], v[3:4], v[59:60]
	s_waitcnt vmcnt(56)
	v_fma_f64 v[35:36], v[5:6], v[39:40], -v[35:36]
	v_fma_f64 v[39:40], v[7:8], v[39:40], v[129:130]
	v_add_f64 v[15:16], v[15:16], v[51:52]
	v_add_f64 v[13:14], v[13:14], v[29:30]
	s_clause 0x4
	buffer_load_dword v30, off, s[0:3], 0 offset:796
	buffer_load_dword v51, off, s[0:3], 0 offset:808
	buffer_load_dword v71, off, s[0:3], 0 offset:800
	buffer_load_dword v29, off, s[0:3], 0 offset:792
	buffer_load_dword v96, off, s[0:3], 0 offset:772
	ds_read_b128 v[5:8], v70 offset:1536
	s_waitcnt vmcnt(57) lgkmcnt(1)
	v_mul_f64 v[129:130], v[9:10], v[43:44]
	v_mul_f64 v[43:44], v[11:12], v[43:44]
	s_waitcnt vmcnt(56)
	v_fma_f64 v[59:60], v[1:2], v[61:62], -v[59:60]
	v_add_f64 v[15:16], v[15:16], v[35:36]
	v_fma_f64 v[35:36], v[3:4], v[61:62], v[53:54]
	v_add_f64 v[13:14], v[13:14], v[39:40]
	s_clause 0x2
	buffer_load_dword v52, off, s[0:3], 0 offset:812
	buffer_load_dword v40, off, s[0:3], 0 offset:788
	buffer_load_dword v39, off, s[0:3], 0 offset:784
	ds_read_b128 v[1:4], v70 offset:1552
	s_waitcnt vmcnt(58) lgkmcnt(1)
	v_mul_f64 v[61:62], v[7:8], v[65:66]
	v_mul_f64 v[53:54], v[5:6], v[65:66]
	s_waitcnt vmcnt(56)
	v_fma_f64 v[43:44], v[9:10], v[47:48], -v[43:44]
	v_fma_f64 v[47:48], v[11:12], v[47:48], v[129:130]
	v_add_f64 v[15:16], v[15:16], v[59:60]
	v_add_f64 v[13:14], v[13:14], v[35:36]
	s_clause 0x4
	buffer_load_dword v36, off, s[0:3], 0 offset:828
	buffer_load_dword v59, off, s[0:3], 0 offset:840
	buffer_load_dword v65, off, s[0:3], 0 offset:832
	buffer_load_dword v35, off, s[0:3], 0 offset:824
	buffer_load_dword v72, off, s[0:3], 0 offset:804
	ds_read_b128 v[9:12], v70 offset:1568
	s_waitcnt vmcnt(57) lgkmcnt(1)
	v_mul_f64 v[129:130], v[1:2], v[49:50]
	v_mul_f64 v[49:50], v[3:4], v[49:50]
	s_waitcnt vmcnt(56)
	v_fma_f64 v[61:62], v[5:6], v[67:68], -v[61:62]
	v_add_f64 v[15:16], v[15:16], v[43:44]
	v_fma_f64 v[43:44], v[7:8], v[67:68], v[53:54]
	v_add_f64 v[13:14], v[13:14], v[47:48]
	s_clause 0x2
	buffer_load_dword v60, off, s[0:3], 0 offset:844
	buffer_load_dword v48, off, s[0:3], 0 offset:820
	buffer_load_dword v47, off, s[0:3], 0 offset:816
	ds_read_b128 v[5:8], v70 offset:1584
	s_waitcnt vmcnt(58) lgkmcnt(1)
	v_mul_f64 v[53:54], v[9:10], v[55:56]
	v_mul_f64 v[55:56], v[11:12], v[55:56]
	s_waitcnt vmcnt(56)
	v_fma_f64 v[49:50], v[1:2], v[17:18], -v[49:50]
	v_fma_f64 v[17:18], v[3:4], v[17:18], v[129:130]
	v_add_f64 v[15:16], v[15:16], v[61:62]
	v_add_f64 v[13:14], v[13:14], v[43:44]
	s_clause 0x4
	buffer_load_dword v44, off, s[0:3], 0 offset:860
	buffer_load_dword v61, off, s[0:3], 0 offset:872
	buffer_load_dword v67, off, s[0:3], 0 offset:864
	buffer_load_dword v43, off, s[0:3], 0 offset:856
	buffer_load_dword v66, off, s[0:3], 0 offset:836
	ds_read_b128 v[1:4], v70 offset:1600
	s_waitcnt vmcnt(57) lgkmcnt(1)
	v_mul_f64 v[129:130], v[5:6], v[57:58]
	v_mul_f64 v[57:58], v[7:8], v[57:58]
	s_waitcnt vmcnt(56)
	v_fma_f64 v[55:56], v[9:10], v[97:98], -v[55:56]
	v_add_f64 v[15:16], v[15:16], v[49:50]
	v_fma_f64 v[49:50], v[11:12], v[97:98], v[53:54]
	v_add_f64 v[13:14], v[13:14], v[17:18]
	s_clause 0x2
	buffer_load_dword v62, off, s[0:3], 0 offset:876
	buffer_load_dword v18, off, s[0:3], 0 offset:852
	buffer_load_dword v17, off, s[0:3], 0 offset:848
	ds_read_b128 v[9:12], v70 offset:1616
	s_waitcnt vmcnt(58) lgkmcnt(1)
	v_mul_f64 v[53:54], v[1:2], v[73:74]
	v_mul_f64 v[73:74], v[3:4], v[73:74]
	s_waitcnt vmcnt(56)
	v_fma_f64 v[57:58], v[5:6], v[63:64], -v[57:58]
	v_add_f64 v[15:16], v[15:16], v[55:56]
	v_fma_f64 v[55:56], v[7:8], v[63:64], v[129:130]
	v_add_f64 v[13:14], v[13:14], v[49:50]
	s_clause 0x4
	buffer_load_dword v50, off, s[0:3], 0 offset:892
	buffer_load_dword v63, off, s[0:3], 0 offset:904
	;; [unrolled: 1-line block ×5, first 2 shown]
	ds_read_b128 v[5:8], v70 offset:1632
	s_waitcnt vmcnt(57) lgkmcnt(1)
	v_mul_f64 v[129:130], v[9:10], v[21:22]
	v_mul_f64 v[21:22], v[11:12], v[21:22]
	s_waitcnt vmcnt(56)
	v_fma_f64 v[73:74], v[1:2], v[117:118], -v[73:74]
	v_fma_f64 v[53:54], v[3:4], v[117:118], v[53:54]
	v_add_f64 v[15:16], v[15:16], v[57:58]
	v_add_f64 v[13:14], v[13:14], v[55:56]
	s_clause 0x2
	buffer_load_dword v64, off, s[0:3], 0 offset:908
	buffer_load_dword v56, off, s[0:3], 0 offset:884
	;; [unrolled: 1-line block ×3, first 2 shown]
	ds_read_b128 v[1:4], v70 offset:1648
	s_waitcnt vmcnt(58) lgkmcnt(1)
	v_mul_f64 v[57:58], v[5:6], v[99:100]
	v_mul_f64 v[99:100], v[7:8], v[99:100]
	s_waitcnt vmcnt(56)
	v_fma_f64 v[21:22], v[9:10], v[27:28], -v[21:22]
	v_fma_f64 v[27:28], v[11:12], v[27:28], v[129:130]
	v_add_f64 v[15:16], v[15:16], v[73:74]
	v_add_f64 v[13:14], v[13:14], v[53:54]
	s_clause 0x4
	buffer_load_dword v54, off, s[0:3], 0 offset:924
	buffer_load_dword v73, off, s[0:3], 0 offset:936
	buffer_load_dword v117, off, s[0:3], 0 offset:928
	buffer_load_dword v53, off, s[0:3], 0 offset:920
	buffer_load_dword v98, off, s[0:3], 0 offset:900
	ds_read_b128 v[9:12], v70 offset:1664
	s_waitcnt vmcnt(57) lgkmcnt(1)
	v_mul_f64 v[129:130], v[1:2], v[33:34]
	v_mul_f64 v[33:34], v[3:4], v[33:34]
	s_waitcnt vmcnt(56)
	v_fma_f64 v[99:100], v[5:6], v[119:120], -v[99:100]
	v_add_f64 v[15:16], v[15:16], v[21:22]
	v_fma_f64 v[21:22], v[7:8], v[119:120], v[57:58]
	v_add_f64 v[13:14], v[13:14], v[27:28]
	s_clause 0x2
	buffer_load_dword v74, off, s[0:3], 0 offset:940
	buffer_load_dword v28, off, s[0:3], 0 offset:916
	;; [unrolled: 1-line block ×3, first 2 shown]
	ds_read_b128 v[5:8], v70 offset:1680
	s_waitcnt vmcnt(58) lgkmcnt(1)
	v_mul_f64 v[57:58], v[9:10], v[93:94]
	v_mul_f64 v[93:94], v[11:12], v[93:94]
	s_waitcnt vmcnt(56)
	v_fma_f64 v[33:34], v[1:2], v[25:26], -v[33:34]
	v_fma_f64 v[25:26], v[3:4], v[25:26], v[129:130]
	v_add_f64 v[15:16], v[15:16], v[99:100]
	v_add_f64 v[13:14], v[13:14], v[21:22]
	s_clause 0x4
	buffer_load_dword v22, off, s[0:3], 0 offset:956
	buffer_load_dword v99, off, s[0:3], 0 offset:968
	;; [unrolled: 1-line block ×5, first 2 shown]
	ds_read_b128 v[1:4], v70 offset:1696
	s_waitcnt vmcnt(57) lgkmcnt(1)
	v_mul_f64 v[129:130], v[5:6], v[19:20]
	v_mul_f64 v[19:20], v[7:8], v[19:20]
	s_waitcnt vmcnt(56)
	v_fma_f64 v[93:94], v[9:10], v[111:112], -v[93:94]
	v_add_f64 v[15:16], v[15:16], v[33:34]
	v_fma_f64 v[33:34], v[11:12], v[111:112], v[57:58]
	v_add_f64 v[13:14], v[13:14], v[25:26]
	s_clause 0x2
	buffer_load_dword v100, off, s[0:3], 0 offset:972
	buffer_load_dword v26, off, s[0:3], 0 offset:948
	;; [unrolled: 1-line block ×3, first 2 shown]
	ds_read_b128 v[9:12], v70 offset:1712
	s_waitcnt vmcnt(58) lgkmcnt(1)
	v_mul_f64 v[57:58], v[1:2], v[37:38]
	v_mul_f64 v[37:38], v[3:4], v[37:38]
	s_waitcnt vmcnt(56)
	v_fma_f64 v[19:20], v[5:6], v[31:32], -v[19:20]
	v_fma_f64 v[31:32], v[7:8], v[31:32], v[129:130]
	v_add_f64 v[15:16], v[15:16], v[93:94]
	v_add_f64 v[13:14], v[13:14], v[33:34]
	s_clause 0x2
	buffer_load_dword v34, off, s[0:3], 0 offset:988
	buffer_load_dword v33, off, s[0:3], 0 offset:984
	;; [unrolled: 1-line block ×3, first 2 shown]
	ds_read_b128 v[5:8], v70 offset:1728
	s_waitcnt vmcnt(55) lgkmcnt(1)
	v_mul_f64 v[93:94], v[9:10], v[23:24]
	v_mul_f64 v[23:24], v[11:12], v[23:24]
	s_waitcnt vmcnt(54)
	v_fma_f64 v[37:38], v[1:2], v[109:110], -v[37:38]
	v_add_f64 v[15:16], v[15:16], v[19:20]
	v_fma_f64 v[19:20], v[3:4], v[109:110], v[57:58]
	v_add_f64 v[13:14], v[13:14], v[31:32]
	s_clause 0x1
	buffer_load_dword v32, off, s[0:3], 0 offset:980
	buffer_load_dword v31, off, s[0:3], 0 offset:976
	ds_read_b128 v[1:4], v70 offset:1744
	s_waitcnt vmcnt(55) lgkmcnt(1)
	v_mul_f64 v[57:58], v[5:6], v[45:46]
	v_mul_f64 v[45:46], v[7:8], v[45:46]
	s_waitcnt vmcnt(53)
	v_fma_f64 v[23:24], v[9:10], v[41:42], -v[23:24]
	v_add_f64 v[15:16], v[15:16], v[37:38]
	v_fma_f64 v[37:38], v[11:12], v[41:42], v[93:94]
	v_add_f64 v[13:14], v[13:14], v[19:20]
	ds_read_b128 v[9:12], v70 offset:1760
	s_waitcnt vmcnt(49) lgkmcnt(1)
	v_mul_f64 v[19:20], v[1:2], v[29:30]
	v_mul_f64 v[29:30], v[3:4], v[29:30]
	s_waitcnt vmcnt(48)
	v_fma_f64 v[41:42], v[5:6], v[95:96], -v[45:46]
	v_add_f64 v[15:16], v[15:16], v[23:24]
	v_fma_f64 v[23:24], v[7:8], v[95:96], v[57:58]
	v_add_f64 v[13:14], v[13:14], v[37:38]
	s_clause 0x3
	buffer_load_dword v37, off, s[0:3], 0 offset:80
	buffer_load_dword v38, off, s[0:3], 0 offset:84
	;; [unrolled: 1-line block ×4, first 2 shown]
	ds_read_b128 v[5:8], v70 offset:1776
	s_waitcnt vmcnt(51) lgkmcnt(1)
	v_mul_f64 v[57:58], v[9:10], v[51:52]
	v_mul_f64 v[51:52], v[11:12], v[51:52]
	s_waitcnt vmcnt(49)
	v_fma_f64 v[29:30], v[1:2], v[39:40], -v[29:30]
	v_fma_f64 v[19:20], v[3:4], v[39:40], v[19:20]
	ds_read_b128 v[1:4], v70 offset:1792
	v_add_f64 v[15:16], v[15:16], v[41:42]
	v_add_f64 v[13:14], v[13:14], v[23:24]
	s_waitcnt vmcnt(45) lgkmcnt(1)
	v_mul_f64 v[23:24], v[5:6], v[35:36]
	v_mul_f64 v[35:36], v[7:8], v[35:36]
	s_waitcnt vmcnt(44)
	v_fma_f64 v[39:40], v[9:10], v[71:72], -v[51:52]
	v_add_f64 v[15:16], v[15:16], v[29:30]
	v_fma_f64 v[29:30], v[11:12], v[71:72], v[57:58]
	v_add_f64 v[13:14], v[13:14], v[19:20]
	ds_read_b128 v[9:12], v70 offset:1808
	s_waitcnt vmcnt(43) lgkmcnt(1)
	v_mul_f64 v[41:42], v[3:4], v[59:60]
	v_mul_f64 v[19:20], v[1:2], v[59:60]
	s_waitcnt vmcnt(41)
	v_fma_f64 v[35:36], v[5:6], v[47:48], -v[35:36]
	v_fma_f64 v[23:24], v[7:8], v[47:48], v[23:24]
	ds_read_b128 v[5:8], v70 offset:1824
	v_add_f64 v[15:16], v[15:16], v[39:40]
	v_add_f64 v[13:14], v[13:14], v[29:30]
	s_waitcnt vmcnt(37) lgkmcnt(1)
	v_mul_f64 v[39:40], v[11:12], v[43:44]
	s_waitcnt vmcnt(36)
	v_fma_f64 v[41:42], v[1:2], v[65:66], -v[41:42]
	v_mul_f64 v[29:30], v[9:10], v[43:44]
	v_fma_f64 v[19:20], v[3:4], v[65:66], v[19:20]
	ds_read_b128 v[1:4], v70 offset:1840
	v_add_f64 v[15:16], v[15:16], v[35:36]
	v_add_f64 v[13:14], v[13:14], v[23:24]
	s_waitcnt vmcnt(35) lgkmcnt(1)
	v_mul_f64 v[35:36], v[7:8], v[61:62]
	v_mul_f64 v[23:24], v[5:6], v[61:62]
	s_waitcnt vmcnt(33)
	v_fma_f64 v[39:40], v[9:10], v[17:18], -v[39:40]
	v_fma_f64 v[17:18], v[11:12], v[17:18], v[29:30]
	ds_read_b128 v[9:12], v70 offset:1856
	v_add_f64 v[15:16], v[15:16], v[41:42]
	v_add_f64 v[13:14], v[13:14], v[19:20]
	s_waitcnt vmcnt(29) lgkmcnt(1)
	v_mul_f64 v[29:30], v[3:4], v[49:50]
	s_waitcnt vmcnt(28)
	v_fma_f64 v[35:36], v[5:6], v[67:68], -v[35:36]
	v_mul_f64 v[19:20], v[1:2], v[49:50]
	v_fma_f64 v[23:24], v[7:8], v[67:68], v[23:24]
	ds_read_b128 v[5:8], v70 offset:1872
	v_add_f64 v[15:16], v[15:16], v[39:40]
	v_add_f64 v[13:14], v[13:14], v[17:18]
	;; [unrolled: 18-line block ×3, first 2 shown]
	s_waitcnt vmcnt(19) lgkmcnt(1)
	v_mul_f64 v[29:30], v[3:4], v[73:74]
	v_mul_f64 v[19:20], v[1:2], v[73:74]
	s_waitcnt vmcnt(17)
	v_fma_f64 v[35:36], v[5:6], v[27:28], -v[35:36]
	v_fma_f64 v[23:24], v[7:8], v[27:28], v[23:24]
	ds_read_b128 v[5:8], v70 offset:1920
	v_add_f64 v[15:16], v[15:16], v[39:40]
	v_add_f64 v[13:14], v[13:14], v[17:18]
	s_waitcnt vmcnt(13) lgkmcnt(1)
	v_mul_f64 v[17:18], v[9:10], v[21:22]
	v_mul_f64 v[21:22], v[11:12], v[21:22]
	s_waitcnt vmcnt(12)
	v_fma_f64 v[27:28], v[1:2], v[117:118], -v[29:30]
	v_fma_f64 v[19:20], v[3:4], v[117:118], v[19:20]
	ds_read_b128 v[1:4], v70 offset:1936
	v_add_f64 v[15:16], v[15:16], v[35:36]
	v_add_f64 v[13:14], v[13:14], v[23:24]
	s_waitcnt vmcnt(11) lgkmcnt(1)
	v_mul_f64 v[29:30], v[7:8], v[99:100]
	v_mul_f64 v[23:24], v[5:6], v[99:100]
	s_waitcnt vmcnt(9)
	v_fma_f64 v[9:10], v[9:10], v[25:26], -v[21:22]
	v_fma_f64 v[11:12], v[11:12], v[25:26], v[17:18]
	v_add_f64 v[15:16], v[15:16], v[27:28]
	v_add_f64 v[13:14], v[13:14], v[19:20]
	s_waitcnt vmcnt(7) lgkmcnt(0)
	v_mul_f64 v[19:20], v[3:4], v[33:34]
	s_waitcnt vmcnt(6)
	v_fma_f64 v[5:6], v[5:6], v[119:120], -v[29:30]
	v_mul_f64 v[17:18], v[1:2], v[33:34]
	v_fma_f64 v[7:8], v[7:8], v[119:120], v[23:24]
	v_add_f64 v[9:10], v[15:16], v[9:10]
	v_add_f64 v[11:12], v[13:14], v[11:12]
	s_waitcnt vmcnt(4)
	v_fma_f64 v[1:2], v[1:2], v[31:32], -v[19:20]
	v_fma_f64 v[3:4], v[3:4], v[31:32], v[17:18]
	v_add_f64 v[5:6], v[9:10], v[5:6]
	v_add_f64 v[7:8], v[11:12], v[7:8]
	;; [unrolled: 1-line block ×4, first 2 shown]
	s_waitcnt vmcnt(2)
	v_add_f64 v[1:2], v[37:38], -v[1:2]
	s_waitcnt vmcnt(0)
	v_add_f64 v[3:4], v[45:46], -v[3:4]
	buffer_store_dword v2, off, s[0:3], 0 offset:84
	buffer_store_dword v1, off, s[0:3], 0 offset:80
	buffer_store_dword v4, off, s[0:3], 0 offset:92
	buffer_store_dword v3, off, s[0:3], 0 offset:88
	v_cmpx_lt_u32_e32 3, v0
	s_cbranch_execz .LBB60_385
; %bb.384:
	v_mov_b32_e32 v4, s71
	v_mov_b32_e32 v5, 0
	s_clause 0x3
	buffer_load_dword v1, v4, s[0:3], 0 offen
	buffer_load_dword v2, v4, s[0:3], 0 offen offset:4
	buffer_load_dword v3, v4, s[0:3], 0 offen offset:8
	;; [unrolled: 1-line block ×3, first 2 shown]
	buffer_store_dword v5, off, s[0:3], 0 offset:64
	buffer_store_dword v5, off, s[0:3], 0 offset:68
	;; [unrolled: 1-line block ×4, first 2 shown]
	s_waitcnt vmcnt(0)
	ds_write_b128 v69, v[1:4]
.LBB60_385:
	s_or_b32 exec_lo, exec_lo, s4
	s_waitcnt lgkmcnt(0)
	s_waitcnt_vscnt null, 0x0
	s_barrier
	buffer_gl0_inv
	s_clause 0x37
	buffer_load_dword v17, off, s[0:3], 0 offset:88
	buffer_load_dword v18, off, s[0:3], 0 offset:92
	;; [unrolled: 1-line block ×56, first 2 shown]
	v_mov_b32_e32 v70, 0
	s_mov_b32 s4, exec_lo
	ds_read_b128 v[5:8], v70 offset:1040
	s_clause 0x2
	buffer_load_dword v66, off, s[0:3], 0 offset:316
	buffer_load_dword v68, off, s[0:3], 0 offset:292
	;; [unrolled: 1-line block ×3, first 2 shown]
	ds_read_b128 v[1:4], v70 offset:1056
	s_clause 0x4
	buffer_load_dword v96, off, s[0:3], 0 offset:332
	buffer_load_dword v97, off, s[0:3], 0 offset:344
	;; [unrolled: 1-line block ×5, first 2 shown]
	ds_read_b128 v[71:74], v70 offset:1072
	s_waitcnt vmcnt(62) lgkmcnt(2)
	v_mul_f64 v[93:94], v[7:8], v[17:18]
	v_mul_f64 v[17:18], v[5:6], v[17:18]
	s_waitcnt vmcnt(60) lgkmcnt(1)
	v_mul_f64 v[109:110], v[3:4], v[13:14]
	v_mul_f64 v[13:14], v[1:2], v[13:14]
	;; [unrolled: 3-line block ×3, first 2 shown]
	v_fma_f64 v[93:94], v[5:6], v[15:16], -v[93:94]
	v_fma_f64 v[15:16], v[7:8], v[15:16], v[17:18]
	s_clause 0x2
	buffer_load_dword v98, off, s[0:3], 0 offset:348
	buffer_load_dword v18, off, s[0:3], 0 offset:324
	;; [unrolled: 1-line block ×3, first 2 shown]
	s_waitcnt vmcnt(57)
	v_fma_f64 v[109:110], v[1:2], v[9:10], -v[109:110]
	ds_read_b128 v[5:8], v70 offset:1088
	v_fma_f64 v[9:10], v[3:4], v[9:10], v[13:14]
	s_waitcnt vmcnt(51)
	v_fma_f64 v[71:72], v[71:72], v[33:34], -v[11:12]
	v_fma_f64 v[33:34], v[73:74], v[33:34], v[111:112]
	v_add_f64 v[93:94], v[93:94], 0
	v_add_f64 v[13:14], v[15:16], 0
	s_clause 0x4
	buffer_load_dword v16, off, s[0:3], 0 offset:364
	buffer_load_dword v117, off, s[0:3], 0 offset:376
	buffer_load_dword v119, off, s[0:3], 0 offset:368
	buffer_load_dword v15, off, s[0:3], 0 offset:360
	buffer_load_dword v100, off, s[0:3], 0 offset:340
	s_waitcnt lgkmcnt(0)
	v_mul_f64 v[129:130], v[5:6], v[21:22]
	v_mul_f64 v[21:22], v[7:8], v[21:22]
	ds_read_b128 v[1:4], v70 offset:1104
	s_clause 0x2
	buffer_load_dword v118, off, s[0:3], 0 offset:380
	buffer_load_dword v74, off, s[0:3], 0 offset:356
	;; [unrolled: 1-line block ×3, first 2 shown]
	v_add_f64 v[93:94], v[93:94], v[109:110]
	v_add_f64 v[13:14], v[13:14], v[9:10]
	ds_read_b128 v[9:12], v70 offset:1120
	s_waitcnt vmcnt(58) lgkmcnt(1)
	v_mul_f64 v[109:110], v[1:2], v[25:26]
	v_mul_f64 v[25:26], v[3:4], v[25:26]
	s_waitcnt vmcnt(56)
	v_fma_f64 v[21:22], v[5:6], v[27:28], -v[21:22]
	v_fma_f64 v[27:28], v[7:8], v[27:28], v[129:130]
	s_waitcnt vmcnt(52) lgkmcnt(0)
	v_mul_f64 v[129:130], v[9:10], v[29:30]
	v_add_f64 v[71:72], v[93:94], v[71:72]
	v_add_f64 v[13:14], v[13:14], v[33:34]
	s_clause 0x4
	buffer_load_dword v34, off, s[0:3], 0 offset:396
	buffer_load_dword v93, off, s[0:3], 0 offset:408
	;; [unrolled: 1-line block ×5, first 2 shown]
	v_mul_f64 v[29:30], v[11:12], v[29:30]
	s_waitcnt vmcnt(56)
	v_fma_f64 v[25:26], v[1:2], v[19:20], -v[25:26]
	ds_read_b128 v[5:8], v70 offset:1136
	v_fma_f64 v[19:20], v[3:4], v[19:20], v[109:110]
	v_add_f64 v[21:22], v[71:72], v[21:22]
	v_add_f64 v[13:14], v[13:14], v[27:28]
	s_clause 0x2
	buffer_load_dword v94, off, s[0:3], 0 offset:412
	buffer_load_dword v28, off, s[0:3], 0 offset:388
	;; [unrolled: 1-line block ×3, first 2 shown]
	s_waitcnt vmcnt(58) lgkmcnt(0)
	v_mul_f64 v[71:72], v[5:6], v[35:36]
	v_mul_f64 v[35:36], v[7:8], v[35:36]
	s_waitcnt vmcnt(56)
	v_fma_f64 v[29:30], v[9:10], v[37:38], -v[29:30]
	ds_read_b128 v[1:4], v70 offset:1152
	v_add_f64 v[21:22], v[21:22], v[25:26]
	v_fma_f64 v[25:26], v[11:12], v[37:38], v[129:130]
	v_add_f64 v[13:14], v[13:14], v[19:20]
	s_clause 0x4
	buffer_load_dword v20, off, s[0:3], 0 offset:428
	buffer_load_dword v37, off, s[0:3], 0 offset:440
	;; [unrolled: 1-line block ×5, first 2 shown]
	s_waitcnt vmcnt(57) lgkmcnt(0)
	v_mul_f64 v[129:130], v[1:2], v[39:40]
	v_mul_f64 v[39:40], v[3:4], v[39:40]
	s_waitcnt vmcnt(56)
	v_fma_f64 v[35:36], v[5:6], v[23:24], -v[35:36]
	ds_read_b128 v[9:12], v70 offset:1168
	v_fma_f64 v[23:24], v[7:8], v[23:24], v[71:72]
	v_add_f64 v[21:22], v[21:22], v[29:30]
	v_add_f64 v[13:14], v[13:14], v[25:26]
	s_clause 0x2
	buffer_load_dword v38, off, s[0:3], 0 offset:444
	buffer_load_dword v26, off, s[0:3], 0 offset:420
	;; [unrolled: 1-line block ×3, first 2 shown]
	ds_read_b128 v[5:8], v70 offset:1184
	s_waitcnt vmcnt(58) lgkmcnt(1)
	v_mul_f64 v[29:30], v[9:10], v[43:44]
	v_mul_f64 v[43:44], v[11:12], v[43:44]
	s_waitcnt vmcnt(56)
	v_fma_f64 v[39:40], v[1:2], v[45:46], -v[39:40]
	v_add_f64 v[21:22], v[21:22], v[35:36]
	v_fma_f64 v[35:36], v[3:4], v[45:46], v[129:130]
	v_add_f64 v[13:14], v[13:14], v[23:24]
	s_clause 0x4
	buffer_load_dword v24, off, s[0:3], 0 offset:460
	buffer_load_dword v45, off, s[0:3], 0 offset:472
	;; [unrolled: 1-line block ×5, first 2 shown]
	s_waitcnt vmcnt(57) lgkmcnt(0)
	v_mul_f64 v[129:130], v[5:6], v[47:48]
	v_mul_f64 v[47:48], v[7:8], v[47:48]
	s_waitcnt vmcnt(56)
	v_fma_f64 v[43:44], v[9:10], v[31:32], -v[43:44]
	ds_read_b128 v[1:4], v70 offset:1200
	v_fma_f64 v[29:30], v[11:12], v[31:32], v[29:30]
	s_clause 0x2
	buffer_load_dword v46, off, s[0:3], 0 offset:476
	buffer_load_dword v32, off, s[0:3], 0 offset:452
	;; [unrolled: 1-line block ×3, first 2 shown]
	ds_read_b128 v[9:12], v70 offset:1216
	v_add_f64 v[21:22], v[21:22], v[39:40]
	v_add_f64 v[13:14], v[13:14], v[35:36]
	s_waitcnt vmcnt(58) lgkmcnt(1)
	v_mul_f64 v[39:40], v[3:4], v[51:52]
	s_waitcnt vmcnt(56)
	v_fma_f64 v[47:48], v[5:6], v[53:54], -v[47:48]
	v_mul_f64 v[35:36], v[1:2], v[51:52]
	v_add_f64 v[21:22], v[21:22], v[43:44]
	v_fma_f64 v[43:44], v[7:8], v[53:54], v[129:130]
	v_add_f64 v[13:14], v[13:14], v[29:30]
	s_clause 0x4
	buffer_load_dword v30, off, s[0:3], 0 offset:492
	buffer_load_dword v51, off, s[0:3], 0 offset:504
	;; [unrolled: 1-line block ×5, first 2 shown]
	s_waitcnt vmcnt(57) lgkmcnt(0)
	v_mul_f64 v[129:130], v[9:10], v[55:56]
	v_mul_f64 v[54:55], v[11:12], v[55:56]
	s_waitcnt vmcnt(56)
	v_fma_f64 v[39:40], v[1:2], v[41:42], -v[39:40]
	ds_read_b128 v[5:8], v70 offset:1232
	v_fma_f64 v[35:36], v[3:4], v[41:42], v[35:36]
	s_clause 0x2
	buffer_load_dword v52, off, s[0:3], 0 offset:508
	buffer_load_dword v42, off, s[0:3], 0 offset:484
	;; [unrolled: 1-line block ×3, first 2 shown]
	ds_read_b128 v[1:4], v70 offset:1248
	v_add_f64 v[21:22], v[21:22], v[47:48]
	v_add_f64 v[13:14], v[13:14], v[43:44]
	s_waitcnt vmcnt(58) lgkmcnt(1)
	v_mul_f64 v[47:48], v[7:8], v[59:60]
	s_waitcnt vmcnt(56)
	v_fma_f64 v[55:56], v[9:10], v[61:62], -v[54:55]
	v_mul_f64 v[43:44], v[5:6], v[59:60]
	v_add_f64 v[21:22], v[21:22], v[39:40]
	v_fma_f64 v[39:40], v[11:12], v[61:62], v[129:130]
	v_add_f64 v[13:14], v[13:14], v[35:36]
	s_clause 0x4
	buffer_load_dword v36, off, s[0:3], 0 offset:524
	buffer_load_dword v59, off, s[0:3], 0 offset:536
	;; [unrolled: 1-line block ×5, first 2 shown]
	s_waitcnt vmcnt(57) lgkmcnt(0)
	v_mul_f64 v[129:130], v[1:2], v[63:64]
	v_mul_f64 v[62:63], v[3:4], v[63:64]
	s_waitcnt vmcnt(56)
	v_fma_f64 v[47:48], v[5:6], v[49:50], -v[47:48]
	ds_read_b128 v[9:12], v70 offset:1264
	v_fma_f64 v[43:44], v[7:8], v[49:50], v[43:44]
	v_add_f64 v[21:22], v[21:22], v[55:56]
	v_add_f64 v[13:14], v[13:14], v[39:40]
	s_clause 0x2
	buffer_load_dword v60, off, s[0:3], 0 offset:540
	buffer_load_dword v40, off, s[0:3], 0 offset:516
	;; [unrolled: 1-line block ×3, first 2 shown]
	ds_read_b128 v[5:8], v70 offset:1280
	s_waitcnt vmcnt(58) lgkmcnt(1)
	v_mul_f64 v[55:56], v[11:12], v[65:66]
	s_waitcnt vmcnt(56)
	v_fma_f64 v[63:64], v[1:2], v[67:68], -v[62:63]
	v_mul_f64 v[49:50], v[9:10], v[65:66]
	v_add_f64 v[21:22], v[21:22], v[47:48]
	v_fma_f64 v[47:48], v[3:4], v[67:68], v[129:130]
	v_add_f64 v[13:14], v[13:14], v[43:44]
	s_clause 0x4
	buffer_load_dword v44, off, s[0:3], 0 offset:556
	buffer_load_dword v65, off, s[0:3], 0 offset:568
	;; [unrolled: 1-line block ×5, first 2 shown]
	s_waitcnt vmcnt(57) lgkmcnt(0)
	v_mul_f64 v[129:130], v[5:6], v[95:96]
	v_mul_f64 v[95:96], v[7:8], v[95:96]
	s_waitcnt vmcnt(56)
	v_fma_f64 v[55:56], v[9:10], v[57:58], -v[55:56]
	ds_read_b128 v[1:4], v70 offset:1296
	v_fma_f64 v[49:50], v[11:12], v[57:58], v[49:50]
	v_add_f64 v[21:22], v[21:22], v[63:64]
	v_add_f64 v[13:14], v[13:14], v[47:48]
	s_clause 0x2
	buffer_load_dword v66, off, s[0:3], 0 offset:572
	buffer_load_dword v48, off, s[0:3], 0 offset:548
	;; [unrolled: 1-line block ×3, first 2 shown]
	ds_read_b128 v[9:12], v70 offset:1312
	s_waitcnt vmcnt(58) lgkmcnt(1)
	v_mul_f64 v[63:64], v[3:4], v[97:98]
	v_mul_f64 v[57:58], v[1:2], v[97:98]
	s_waitcnt vmcnt(56)
	v_fma_f64 v[95:96], v[5:6], v[17:18], -v[95:96]
	v_fma_f64 v[17:18], v[7:8], v[17:18], v[129:130]
	v_add_f64 v[21:22], v[21:22], v[55:56]
	v_add_f64 v[13:14], v[13:14], v[49:50]
	s_clause 0x4
	buffer_load_dword v50, off, s[0:3], 0 offset:588
	buffer_load_dword v55, off, s[0:3], 0 offset:600
	;; [unrolled: 1-line block ×5, first 2 shown]
	ds_read_b128 v[5:8], v70 offset:1328
	s_waitcnt vmcnt(57) lgkmcnt(1)
	v_mul_f64 v[129:130], v[9:10], v[15:16]
	v_mul_f64 v[15:16], v[11:12], v[15:16]
	s_waitcnt vmcnt(56)
	v_fma_f64 v[63:64], v[1:2], v[99:100], -v[63:64]
	v_fma_f64 v[57:58], v[3:4], v[99:100], v[57:58]
	v_add_f64 v[21:22], v[21:22], v[95:96]
	v_add_f64 v[13:14], v[13:14], v[17:18]
	s_clause 0x2
	buffer_load_dword v56, off, s[0:3], 0 offset:604
	buffer_load_dword v18, off, s[0:3], 0 offset:580
	buffer_load_dword v17, off, s[0:3], 0 offset:576
	s_waitcnt vmcnt(58) lgkmcnt(0)
	v_mul_f64 v[99:100], v[7:8], v[117:118]
	ds_read_b128 v[1:4], v70 offset:1344
	v_mul_f64 v[95:96], v[5:6], v[117:118]
	s_waitcnt vmcnt(56)
	v_fma_f64 v[15:16], v[9:10], v[73:74], -v[15:16]
	v_add_f64 v[21:22], v[21:22], v[63:64]
	v_fma_f64 v[63:64], v[11:12], v[73:74], v[129:130]
	v_add_f64 v[13:14], v[13:14], v[57:58]
	s_clause 0x4
	buffer_load_dword v58, off, s[0:3], 0 offset:620
	buffer_load_dword v73, off, s[0:3], 0 offset:632
	buffer_load_dword v117, off, s[0:3], 0 offset:624
	buffer_load_dword v57, off, s[0:3], 0 offset:616
	buffer_load_dword v98, off, s[0:3], 0 offset:596
	ds_read_b128 v[9:12], v70 offset:1360
	s_waitcnt vmcnt(57) lgkmcnt(1)
	v_mul_f64 v[129:130], v[1:2], v[33:34]
	v_mul_f64 v[33:34], v[3:4], v[33:34]
	s_waitcnt vmcnt(56)
	v_fma_f64 v[99:100], v[5:6], v[119:120], -v[99:100]
	v_add_f64 v[15:16], v[21:22], v[15:16]
	v_fma_f64 v[21:22], v[7:8], v[119:120], v[95:96]
	v_add_f64 v[13:14], v[13:14], v[63:64]
	s_clause 0x2
	buffer_load_dword v74, off, s[0:3], 0 offset:636
	buffer_load_dword v64, off, s[0:3], 0 offset:612
	;; [unrolled: 1-line block ×3, first 2 shown]
	ds_read_b128 v[5:8], v70 offset:1376
	s_waitcnt vmcnt(58) lgkmcnt(1)
	v_mul_f64 v[95:96], v[9:10], v[93:94]
	v_mul_f64 v[93:94], v[11:12], v[93:94]
	s_waitcnt vmcnt(56)
	v_fma_f64 v[33:34], v[1:2], v[27:28], -v[33:34]
	v_fma_f64 v[27:28], v[3:4], v[27:28], v[129:130]
	v_add_f64 v[15:16], v[15:16], v[99:100]
	v_add_f64 v[13:14], v[13:14], v[21:22]
	s_clause 0x4
	buffer_load_dword v22, off, s[0:3], 0 offset:652
	buffer_load_dword v99, off, s[0:3], 0 offset:664
	;; [unrolled: 1-line block ×5, first 2 shown]
	ds_read_b128 v[1:4], v70 offset:1392
	s_waitcnt vmcnt(57) lgkmcnt(1)
	v_mul_f64 v[129:130], v[5:6], v[19:20]
	v_mul_f64 v[19:20], v[7:8], v[19:20]
	s_waitcnt vmcnt(56)
	v_fma_f64 v[93:94], v[9:10], v[111:112], -v[93:94]
	v_add_f64 v[15:16], v[15:16], v[33:34]
	v_fma_f64 v[33:34], v[11:12], v[111:112], v[95:96]
	v_add_f64 v[13:14], v[13:14], v[27:28]
	s_clause 0x2
	buffer_load_dword v100, off, s[0:3], 0 offset:668
	buffer_load_dword v28, off, s[0:3], 0 offset:644
	;; [unrolled: 1-line block ×3, first 2 shown]
	ds_read_b128 v[9:12], v70 offset:1408
	s_waitcnt vmcnt(58) lgkmcnt(1)
	v_mul_f64 v[95:96], v[1:2], v[37:38]
	v_mul_f64 v[37:38], v[3:4], v[37:38]
	s_waitcnt vmcnt(56)
	v_fma_f64 v[19:20], v[5:6], v[25:26], -v[19:20]
	v_fma_f64 v[25:26], v[7:8], v[25:26], v[129:130]
	v_add_f64 v[15:16], v[15:16], v[93:94]
	v_add_f64 v[13:14], v[13:14], v[33:34]
	s_clause 0x4
	buffer_load_dword v34, off, s[0:3], 0 offset:684
	buffer_load_dword v93, off, s[0:3], 0 offset:696
	;; [unrolled: 1-line block ×5, first 2 shown]
	ds_read_b128 v[5:8], v70 offset:1424
	s_waitcnt vmcnt(57) lgkmcnt(1)
	v_mul_f64 v[129:130], v[9:10], v[23:24]
	v_mul_f64 v[23:24], v[11:12], v[23:24]
	s_waitcnt vmcnt(56)
	v_fma_f64 v[37:38], v[1:2], v[109:110], -v[37:38]
	v_add_f64 v[15:16], v[15:16], v[19:20]
	v_fma_f64 v[19:20], v[3:4], v[109:110], v[95:96]
	v_add_f64 v[13:14], v[13:14], v[25:26]
	s_clause 0x2
	buffer_load_dword v94, off, s[0:3], 0 offset:700
	buffer_load_dword v26, off, s[0:3], 0 offset:676
	;; [unrolled: 1-line block ×3, first 2 shown]
	s_waitcnt vmcnt(58) lgkmcnt(0)
	v_mul_f64 v[95:96], v[5:6], v[45:46]
	v_mul_f64 v[45:46], v[7:8], v[45:46]
	ds_read_b128 v[1:4], v70 offset:1440
	s_waitcnt vmcnt(56)
	v_fma_f64 v[23:24], v[9:10], v[31:32], -v[23:24]
	v_fma_f64 v[31:32], v[11:12], v[31:32], v[129:130]
	v_add_f64 v[15:16], v[15:16], v[37:38]
	v_add_f64 v[13:14], v[13:14], v[19:20]
	s_clause 0x4
	buffer_load_dword v20, off, s[0:3], 0 offset:716
	buffer_load_dword v37, off, s[0:3], 0 offset:728
	;; [unrolled: 1-line block ×5, first 2 shown]
	ds_read_b128 v[9:12], v70 offset:1456
	s_waitcnt vmcnt(57) lgkmcnt(1)
	v_mul_f64 v[129:130], v[1:2], v[29:30]
	v_mul_f64 v[29:30], v[3:4], v[29:30]
	s_waitcnt vmcnt(56)
	v_fma_f64 v[45:46], v[5:6], v[71:72], -v[45:46]
	v_add_f64 v[15:16], v[15:16], v[23:24]
	v_fma_f64 v[23:24], v[7:8], v[71:72], v[95:96]
	v_add_f64 v[13:14], v[13:14], v[31:32]
	s_clause 0x2
	buffer_load_dword v38, off, s[0:3], 0 offset:732
	buffer_load_dword v32, off, s[0:3], 0 offset:708
	;; [unrolled: 1-line block ×3, first 2 shown]
	s_waitcnt vmcnt(58) lgkmcnt(0)
	v_mul_f64 v[71:72], v[9:10], v[51:52]
	v_mul_f64 v[51:52], v[11:12], v[51:52]
	ds_read_b128 v[5:8], v70 offset:1472
	s_waitcnt vmcnt(56)
	v_fma_f64 v[29:30], v[1:2], v[41:42], -v[29:30]
	v_fma_f64 v[41:42], v[3:4], v[41:42], v[129:130]
	v_add_f64 v[15:16], v[15:16], v[45:46]
	v_add_f64 v[13:14], v[13:14], v[23:24]
	s_clause 0x4
	buffer_load_dword v24, off, s[0:3], 0 offset:748
	buffer_load_dword v45, off, s[0:3], 0 offset:760
	buffer_load_dword v95, off, s[0:3], 0 offset:752
	buffer_load_dword v23, off, s[0:3], 0 offset:744
	buffer_load_dword v110, off, s[0:3], 0 offset:724
	ds_read_b128 v[1:4], v70 offset:1488
	s_waitcnt vmcnt(57) lgkmcnt(1)
	v_mul_f64 v[129:130], v[5:6], v[35:36]
	v_mul_f64 v[35:36], v[7:8], v[35:36]
	s_waitcnt vmcnt(56)
	v_fma_f64 v[51:52], v[9:10], v[53:54], -v[51:52]
	v_add_f64 v[15:16], v[15:16], v[29:30]
	v_fma_f64 v[29:30], v[11:12], v[53:54], v[71:72]
	v_add_f64 v[13:14], v[13:14], v[41:42]
	s_clause 0x2
	buffer_load_dword v46, off, s[0:3], 0 offset:764
	buffer_load_dword v42, off, s[0:3], 0 offset:740
	buffer_load_dword v41, off, s[0:3], 0 offset:736
	ds_read_b128 v[9:12], v70 offset:1504
	s_waitcnt vmcnt(58) lgkmcnt(1)
	v_mul_f64 v[53:54], v[1:2], v[59:60]
	v_mul_f64 v[59:60], v[3:4], v[59:60]
	s_waitcnt vmcnt(56)
	v_fma_f64 v[35:36], v[5:6], v[39:40], -v[35:36]
	v_fma_f64 v[39:40], v[7:8], v[39:40], v[129:130]
	v_add_f64 v[15:16], v[15:16], v[51:52]
	v_add_f64 v[13:14], v[13:14], v[29:30]
	s_clause 0x4
	buffer_load_dword v30, off, s[0:3], 0 offset:780
	buffer_load_dword v51, off, s[0:3], 0 offset:792
	buffer_load_dword v71, off, s[0:3], 0 offset:784
	buffer_load_dword v29, off, s[0:3], 0 offset:776
	buffer_load_dword v96, off, s[0:3], 0 offset:756
	ds_read_b128 v[5:8], v70 offset:1520
	s_waitcnt vmcnt(57) lgkmcnt(1)
	v_mul_f64 v[129:130], v[9:10], v[43:44]
	v_mul_f64 v[43:44], v[11:12], v[43:44]
	s_waitcnt vmcnt(56)
	v_fma_f64 v[59:60], v[1:2], v[61:62], -v[59:60]
	v_add_f64 v[15:16], v[15:16], v[35:36]
	v_fma_f64 v[35:36], v[3:4], v[61:62], v[53:54]
	v_add_f64 v[13:14], v[13:14], v[39:40]
	s_clause 0x2
	buffer_load_dword v52, off, s[0:3], 0 offset:796
	buffer_load_dword v40, off, s[0:3], 0 offset:772
	buffer_load_dword v39, off, s[0:3], 0 offset:768
	ds_read_b128 v[1:4], v70 offset:1536
	s_waitcnt vmcnt(58) lgkmcnt(1)
	v_mul_f64 v[61:62], v[7:8], v[65:66]
	v_mul_f64 v[53:54], v[5:6], v[65:66]
	;; [unrolled: 28-line block ×4, first 2 shown]
	s_waitcnt vmcnt(56)
	v_fma_f64 v[57:58], v[5:6], v[63:64], -v[57:58]
	v_add_f64 v[15:16], v[15:16], v[55:56]
	v_fma_f64 v[55:56], v[7:8], v[63:64], v[129:130]
	v_add_f64 v[13:14], v[13:14], v[49:50]
	s_clause 0x4
	buffer_load_dword v50, off, s[0:3], 0 offset:876
	buffer_load_dword v63, off, s[0:3], 0 offset:888
	;; [unrolled: 1-line block ×5, first 2 shown]
	ds_read_b128 v[5:8], v70 offset:1616
	s_waitcnt vmcnt(57) lgkmcnt(1)
	v_mul_f64 v[129:130], v[9:10], v[21:22]
	v_mul_f64 v[21:22], v[11:12], v[21:22]
	s_waitcnt vmcnt(56)
	v_fma_f64 v[73:74], v[1:2], v[117:118], -v[73:74]
	v_fma_f64 v[53:54], v[3:4], v[117:118], v[53:54]
	v_add_f64 v[15:16], v[15:16], v[57:58]
	v_add_f64 v[13:14], v[13:14], v[55:56]
	s_clause 0x2
	buffer_load_dword v64, off, s[0:3], 0 offset:892
	buffer_load_dword v56, off, s[0:3], 0 offset:868
	buffer_load_dword v55, off, s[0:3], 0 offset:864
	ds_read_b128 v[1:4], v70 offset:1632
	s_waitcnt vmcnt(58) lgkmcnt(1)
	v_mul_f64 v[57:58], v[5:6], v[99:100]
	v_mul_f64 v[99:100], v[7:8], v[99:100]
	s_waitcnt vmcnt(56)
	v_fma_f64 v[21:22], v[9:10], v[27:28], -v[21:22]
	v_fma_f64 v[27:28], v[11:12], v[27:28], v[129:130]
	v_add_f64 v[15:16], v[15:16], v[73:74]
	v_add_f64 v[13:14], v[13:14], v[53:54]
	s_clause 0x4
	buffer_load_dword v54, off, s[0:3], 0 offset:908
	buffer_load_dword v73, off, s[0:3], 0 offset:920
	buffer_load_dword v117, off, s[0:3], 0 offset:912
	buffer_load_dword v53, off, s[0:3], 0 offset:904
	buffer_load_dword v98, off, s[0:3], 0 offset:884
	ds_read_b128 v[9:12], v70 offset:1648
	s_waitcnt vmcnt(57) lgkmcnt(1)
	v_mul_f64 v[129:130], v[1:2], v[33:34]
	v_mul_f64 v[33:34], v[3:4], v[33:34]
	s_waitcnt vmcnt(56)
	v_fma_f64 v[99:100], v[5:6], v[119:120], -v[99:100]
	v_add_f64 v[15:16], v[15:16], v[21:22]
	v_fma_f64 v[21:22], v[7:8], v[119:120], v[57:58]
	v_add_f64 v[13:14], v[13:14], v[27:28]
	s_clause 0x2
	buffer_load_dword v74, off, s[0:3], 0 offset:924
	buffer_load_dword v28, off, s[0:3], 0 offset:900
	buffer_load_dword v27, off, s[0:3], 0 offset:896
	ds_read_b128 v[5:8], v70 offset:1664
	s_waitcnt vmcnt(58) lgkmcnt(1)
	v_mul_f64 v[57:58], v[9:10], v[93:94]
	v_mul_f64 v[93:94], v[11:12], v[93:94]
	s_waitcnt vmcnt(56)
	v_fma_f64 v[33:34], v[1:2], v[25:26], -v[33:34]
	v_fma_f64 v[25:26], v[3:4], v[25:26], v[129:130]
	v_add_f64 v[15:16], v[15:16], v[99:100]
	v_add_f64 v[13:14], v[13:14], v[21:22]
	s_clause 0x4
	buffer_load_dword v22, off, s[0:3], 0 offset:940
	buffer_load_dword v99, off, s[0:3], 0 offset:952
	buffer_load_dword v119, off, s[0:3], 0 offset:944
	buffer_load_dword v21, off, s[0:3], 0 offset:936
	buffer_load_dword v118, off, s[0:3], 0 offset:916
	ds_read_b128 v[1:4], v70 offset:1680
	s_waitcnt vmcnt(57) lgkmcnt(1)
	v_mul_f64 v[129:130], v[5:6], v[19:20]
	v_mul_f64 v[19:20], v[7:8], v[19:20]
	s_waitcnt vmcnt(56)
	v_fma_f64 v[93:94], v[9:10], v[111:112], -v[93:94]
	v_add_f64 v[15:16], v[15:16], v[33:34]
	v_fma_f64 v[33:34], v[11:12], v[111:112], v[57:58]
	;; [unrolled: 28-line block ×3, first 2 shown]
	v_add_f64 v[13:14], v[13:14], v[31:32]
	s_clause 0x2
	buffer_load_dword v94, off, s[0:3], 0 offset:988
	buffer_load_dword v32, off, s[0:3], 0 offset:964
	;; [unrolled: 1-line block ×3, first 2 shown]
	ds_read_b128 v[1:4], v70 offset:1728
	buffer_load_dword v112, off, s[0:3], 0 offset:980
	s_waitcnt vmcnt(59) lgkmcnt(1)
	v_mul_f64 v[57:58], v[5:6], v[45:46]
	v_mul_f64 v[45:46], v[7:8], v[45:46]
	s_waitcnt vmcnt(57)
	v_fma_f64 v[23:24], v[9:10], v[41:42], -v[23:24]
	v_add_f64 v[15:16], v[15:16], v[37:38]
	v_fma_f64 v[37:38], v[11:12], v[41:42], v[129:130]
	v_add_f64 v[13:14], v[13:14], v[19:20]
	ds_read_b128 v[9:12], v70 offset:1744
	s_waitcnt vmcnt(53) lgkmcnt(1)
	v_mul_f64 v[19:20], v[1:2], v[29:30]
	v_mul_f64 v[29:30], v[3:4], v[29:30]
	s_waitcnt vmcnt(52)
	v_fma_f64 v[41:42], v[5:6], v[95:96], -v[45:46]
	v_add_f64 v[15:16], v[15:16], v[23:24]
	v_fma_f64 v[23:24], v[7:8], v[95:96], v[57:58]
	v_add_f64 v[13:14], v[13:14], v[37:38]
	ds_read_b128 v[5:8], v70 offset:1760
	s_waitcnt vmcnt(51) lgkmcnt(1)
	v_mul_f64 v[45:46], v[11:12], v[51:52]
	v_mul_f64 v[37:38], v[9:10], v[51:52]
	s_waitcnt vmcnt(49)
	v_fma_f64 v[29:30], v[1:2], v[39:40], -v[29:30]
	v_fma_f64 v[19:20], v[3:4], v[39:40], v[19:20]
	v_add_f64 v[15:16], v[15:16], v[41:42]
	v_add_f64 v[13:14], v[13:14], v[23:24]
	s_clause 0x3
	buffer_load_dword v23, off, s[0:3], 0 offset:64
	buffer_load_dword v24, off, s[0:3], 0 offset:68
	;; [unrolled: 1-line block ×4, first 2 shown]
	ds_read_b128 v[1:4], v70 offset:1776
	s_waitcnt vmcnt(49) lgkmcnt(1)
	v_mul_f64 v[41:42], v[5:6], v[35:36]
	v_mul_f64 v[35:36], v[7:8], v[35:36]
	s_waitcnt vmcnt(48)
	v_fma_f64 v[45:46], v[9:10], v[71:72], -v[45:46]
	v_add_f64 v[15:16], v[15:16], v[29:30]
	v_fma_f64 v[29:30], v[11:12], v[71:72], v[37:38]
	v_add_f64 v[13:14], v[13:14], v[19:20]
	ds_read_b128 v[9:12], v70 offset:1792
	s_waitcnt vmcnt(47) lgkmcnt(1)
	v_mul_f64 v[37:38], v[3:4], v[59:60]
	v_mul_f64 v[19:20], v[1:2], v[59:60]
	s_waitcnt vmcnt(45)
	v_fma_f64 v[35:36], v[5:6], v[47:48], -v[35:36]
	v_fma_f64 v[41:42], v[7:8], v[47:48], v[41:42]
	ds_read_b128 v[5:8], v70 offset:1808
	v_add_f64 v[15:16], v[15:16], v[45:46]
	v_add_f64 v[13:14], v[13:14], v[29:30]
	s_waitcnt vmcnt(41) lgkmcnt(1)
	v_mul_f64 v[29:30], v[9:10], v[43:44]
	v_mul_f64 v[43:44], v[11:12], v[43:44]
	s_waitcnt vmcnt(40)
	v_fma_f64 v[37:38], v[1:2], v[65:66], -v[37:38]
	v_fma_f64 v[19:20], v[3:4], v[65:66], v[19:20]
	ds_read_b128 v[1:4], v70 offset:1824
	v_add_f64 v[15:16], v[15:16], v[35:36]
	v_add_f64 v[13:14], v[13:14], v[41:42]
	;; [unrolled: 9-line block ×3, first 2 shown]
	s_waitcnt vmcnt(33) lgkmcnt(1)
	v_mul_f64 v[29:30], v[3:4], v[49:50]
	s_waitcnt vmcnt(32)
	v_fma_f64 v[37:38], v[5:6], v[67:68], -v[41:42]
	v_mul_f64 v[19:20], v[1:2], v[49:50]
	v_fma_f64 v[35:36], v[7:8], v[67:68], v[35:36]
	ds_read_b128 v[5:8], v70 offset:1856
	v_add_f64 v[15:16], v[15:16], v[43:44]
	v_add_f64 v[13:14], v[13:14], v[17:18]
	s_waitcnt vmcnt(31) lgkmcnt(1)
	v_mul_f64 v[41:42], v[11:12], v[63:64]
	v_mul_f64 v[17:18], v[9:10], v[63:64]
	s_waitcnt vmcnt(29)
	v_fma_f64 v[29:30], v[1:2], v[55:56], -v[29:30]
	v_fma_f64 v[19:20], v[3:4], v[55:56], v[19:20]
	ds_read_b128 v[1:4], v70 offset:1872
	v_add_f64 v[15:16], v[15:16], v[37:38]
	v_add_f64 v[13:14], v[13:14], v[35:36]
	s_waitcnt vmcnt(25) lgkmcnt(1)
	v_mul_f64 v[37:38], v[7:8], v[53:54]
	s_waitcnt vmcnt(24)
	v_fma_f64 v[41:42], v[9:10], v[97:98], -v[41:42]
	v_mul_f64 v[35:36], v[5:6], v[53:54]
	v_fma_f64 v[17:18], v[11:12], v[97:98], v[17:18]
	ds_read_b128 v[9:12], v70 offset:1888
	v_add_f64 v[15:16], v[15:16], v[29:30]
	v_add_f64 v[13:14], v[13:14], v[19:20]
	s_waitcnt vmcnt(23) lgkmcnt(1)
	v_mul_f64 v[29:30], v[3:4], v[73:74]
	v_mul_f64 v[19:20], v[1:2], v[73:74]
	s_waitcnt vmcnt(21)
	v_fma_f64 v[37:38], v[5:6], v[27:28], -v[37:38]
	v_fma_f64 v[27:28], v[7:8], v[27:28], v[35:36]
	ds_read_b128 v[5:8], v70 offset:1904
	v_add_f64 v[15:16], v[15:16], v[41:42]
	v_add_f64 v[13:14], v[13:14], v[17:18]
	s_waitcnt vmcnt(17) lgkmcnt(1)
	v_mul_f64 v[17:18], v[9:10], v[21:22]
	v_mul_f64 v[21:22], v[11:12], v[21:22]
	s_waitcnt vmcnt(16)
	v_fma_f64 v[29:30], v[1:2], v[117:118], -v[29:30]
	;; [unrolled: 9-line block ×3, first 2 shown]
	v_fma_f64 v[17:18], v[11:12], v[25:26], v[17:18]
	ds_read_b128 v[9:12], v70 offset:1936
	v_add_f64 v[15:16], v[15:16], v[29:30]
	v_add_f64 v[13:14], v[13:14], v[19:20]
	s_waitcnt vmcnt(9) lgkmcnt(1)
	v_mul_f64 v[25:26], v[3:4], v[33:34]
	s_waitcnt vmcnt(8)
	v_fma_f64 v[5:6], v[5:6], v[119:120], -v[35:36]
	v_mul_f64 v[19:20], v[1:2], v[33:34]
	v_fma_f64 v[7:8], v[7:8], v[119:120], v[27:28]
	v_add_f64 v[15:16], v[15:16], v[21:22]
	v_add_f64 v[13:14], v[13:14], v[17:18]
	s_waitcnt vmcnt(7) lgkmcnt(0)
	v_mul_f64 v[21:22], v[11:12], v[93:94]
	v_mul_f64 v[17:18], v[9:10], v[93:94]
	s_waitcnt vmcnt(5)
	v_fma_f64 v[1:2], v[1:2], v[31:32], -v[25:26]
	v_fma_f64 v[3:4], v[3:4], v[31:32], v[19:20]
	v_add_f64 v[5:6], v[15:16], v[5:6]
	v_add_f64 v[7:8], v[13:14], v[7:8]
	s_waitcnt vmcnt(4)
	v_fma_f64 v[9:10], v[9:10], v[111:112], -v[21:22]
	v_add_f64 v[1:2], v[5:6], v[1:2]
	v_fma_f64 v[5:6], v[11:12], v[111:112], v[17:18]
	v_add_f64 v[3:4], v[7:8], v[3:4]
	v_add_f64 v[1:2], v[1:2], v[9:10]
	;; [unrolled: 1-line block ×3, first 2 shown]
	s_waitcnt vmcnt(2)
	v_add_f64 v[1:2], v[23:24], -v[1:2]
	s_waitcnt vmcnt(0)
	v_add_f64 v[3:4], v[39:40], -v[3:4]
	buffer_store_dword v2, off, s[0:3], 0 offset:68
	buffer_store_dword v1, off, s[0:3], 0 offset:64
	;; [unrolled: 1-line block ×4, first 2 shown]
	v_cmpx_lt_u32_e32 2, v0
	s_cbranch_execz .LBB60_387
; %bb.386:
	v_mov_b32_e32 v4, s72
	s_clause 0x3
	buffer_load_dword v1, v4, s[0:3], 0 offen
	buffer_load_dword v2, v4, s[0:3], 0 offen offset:4
	buffer_load_dword v3, v4, s[0:3], 0 offen offset:8
	;; [unrolled: 1-line block ×3, first 2 shown]
	buffer_store_dword v70, off, s[0:3], 0 offset:48
	buffer_store_dword v70, off, s[0:3], 0 offset:52
	;; [unrolled: 1-line block ×4, first 2 shown]
	s_waitcnt vmcnt(0)
	ds_write_b128 v69, v[1:4]
.LBB60_387:
	s_or_b32 exec_lo, exec_lo, s4
	s_waitcnt lgkmcnt(0)
	s_waitcnt_vscnt null, 0x0
	s_barrier
	buffer_gl0_inv
	s_clause 0x37
	buffer_load_dword v17, off, s[0:3], 0 offset:72
	buffer_load_dword v18, off, s[0:3], 0 offset:76
	;; [unrolled: 1-line block ×56, first 2 shown]
	ds_read_b128 v[5:8], v70 offset:1024
	s_clause 0x2
	buffer_load_dword v66, off, s[0:3], 0 offset:300
	buffer_load_dword v68, off, s[0:3], 0 offset:276
	;; [unrolled: 1-line block ×3, first 2 shown]
	ds_read_b128 v[1:4], v70 offset:1040
	s_clause 0x4
	buffer_load_dword v96, off, s[0:3], 0 offset:316
	buffer_load_dword v97, off, s[0:3], 0 offset:328
	;; [unrolled: 1-line block ×5, first 2 shown]
	ds_read_b128 v[71:74], v70 offset:1056
	s_mov_b32 s4, exec_lo
	s_waitcnt vmcnt(62) lgkmcnt(2)
	v_mul_f64 v[93:94], v[7:8], v[17:18]
	v_mul_f64 v[17:18], v[5:6], v[17:18]
	s_waitcnt vmcnt(60) lgkmcnt(1)
	v_mul_f64 v[109:110], v[3:4], v[13:14]
	v_mul_f64 v[13:14], v[1:2], v[13:14]
	;; [unrolled: 3-line block ×3, first 2 shown]
	v_fma_f64 v[93:94], v[5:6], v[15:16], -v[93:94]
	v_fma_f64 v[15:16], v[7:8], v[15:16], v[17:18]
	s_clause 0x2
	buffer_load_dword v98, off, s[0:3], 0 offset:332
	buffer_load_dword v18, off, s[0:3], 0 offset:308
	;; [unrolled: 1-line block ×3, first 2 shown]
	s_waitcnt vmcnt(57)
	v_fma_f64 v[109:110], v[1:2], v[9:10], -v[109:110]
	ds_read_b128 v[5:8], v70 offset:1072
	v_fma_f64 v[9:10], v[3:4], v[9:10], v[13:14]
	s_waitcnt vmcnt(51)
	v_fma_f64 v[71:72], v[71:72], v[33:34], -v[11:12]
	v_fma_f64 v[33:34], v[73:74], v[33:34], v[111:112]
	v_add_f64 v[93:94], v[93:94], 0
	v_add_f64 v[13:14], v[15:16], 0
	s_clause 0x4
	buffer_load_dword v16, off, s[0:3], 0 offset:348
	buffer_load_dword v117, off, s[0:3], 0 offset:360
	;; [unrolled: 1-line block ×5, first 2 shown]
	s_waitcnt lgkmcnt(0)
	v_mul_f64 v[129:130], v[5:6], v[21:22]
	v_mul_f64 v[21:22], v[7:8], v[21:22]
	ds_read_b128 v[1:4], v70 offset:1088
	s_clause 0x2
	buffer_load_dword v118, off, s[0:3], 0 offset:364
	buffer_load_dword v74, off, s[0:3], 0 offset:340
	;; [unrolled: 1-line block ×3, first 2 shown]
	v_add_f64 v[93:94], v[93:94], v[109:110]
	v_add_f64 v[13:14], v[13:14], v[9:10]
	ds_read_b128 v[9:12], v70 offset:1104
	s_waitcnt vmcnt(58) lgkmcnt(1)
	v_mul_f64 v[109:110], v[1:2], v[25:26]
	v_mul_f64 v[25:26], v[3:4], v[25:26]
	s_waitcnt vmcnt(56)
	v_fma_f64 v[21:22], v[5:6], v[27:28], -v[21:22]
	v_fma_f64 v[27:28], v[7:8], v[27:28], v[129:130]
	s_waitcnt vmcnt(52) lgkmcnt(0)
	v_mul_f64 v[129:130], v[9:10], v[29:30]
	v_add_f64 v[71:72], v[93:94], v[71:72]
	v_add_f64 v[13:14], v[13:14], v[33:34]
	s_clause 0x4
	buffer_load_dword v34, off, s[0:3], 0 offset:380
	buffer_load_dword v93, off, s[0:3], 0 offset:392
	buffer_load_dword v111, off, s[0:3], 0 offset:384
	buffer_load_dword v33, off, s[0:3], 0 offset:376
	buffer_load_dword v120, off, s[0:3], 0 offset:356
	v_mul_f64 v[29:30], v[11:12], v[29:30]
	s_waitcnt vmcnt(56)
	v_fma_f64 v[25:26], v[1:2], v[19:20], -v[25:26]
	ds_read_b128 v[5:8], v70 offset:1120
	v_fma_f64 v[19:20], v[3:4], v[19:20], v[109:110]
	v_add_f64 v[21:22], v[71:72], v[21:22]
	v_add_f64 v[13:14], v[13:14], v[27:28]
	s_clause 0x2
	buffer_load_dword v94, off, s[0:3], 0 offset:396
	buffer_load_dword v28, off, s[0:3], 0 offset:372
	;; [unrolled: 1-line block ×3, first 2 shown]
	s_waitcnt vmcnt(58) lgkmcnt(0)
	v_mul_f64 v[71:72], v[5:6], v[35:36]
	v_mul_f64 v[35:36], v[7:8], v[35:36]
	s_waitcnt vmcnt(56)
	v_fma_f64 v[29:30], v[9:10], v[37:38], -v[29:30]
	ds_read_b128 v[1:4], v70 offset:1136
	v_add_f64 v[21:22], v[21:22], v[25:26]
	v_fma_f64 v[25:26], v[11:12], v[37:38], v[129:130]
	v_add_f64 v[13:14], v[13:14], v[19:20]
	s_clause 0x4
	buffer_load_dword v20, off, s[0:3], 0 offset:412
	buffer_load_dword v37, off, s[0:3], 0 offset:424
	;; [unrolled: 1-line block ×5, first 2 shown]
	s_waitcnt vmcnt(57) lgkmcnt(0)
	v_mul_f64 v[129:130], v[1:2], v[39:40]
	v_mul_f64 v[39:40], v[3:4], v[39:40]
	s_waitcnt vmcnt(56)
	v_fma_f64 v[35:36], v[5:6], v[23:24], -v[35:36]
	ds_read_b128 v[9:12], v70 offset:1152
	v_fma_f64 v[23:24], v[7:8], v[23:24], v[71:72]
	v_add_f64 v[21:22], v[21:22], v[29:30]
	v_add_f64 v[13:14], v[13:14], v[25:26]
	s_clause 0x2
	buffer_load_dword v38, off, s[0:3], 0 offset:428
	buffer_load_dword v26, off, s[0:3], 0 offset:404
	buffer_load_dword v25, off, s[0:3], 0 offset:400
	ds_read_b128 v[5:8], v70 offset:1168
	s_waitcnt vmcnt(58) lgkmcnt(1)
	v_mul_f64 v[29:30], v[9:10], v[43:44]
	v_mul_f64 v[43:44], v[11:12], v[43:44]
	s_waitcnt vmcnt(56)
	v_fma_f64 v[39:40], v[1:2], v[45:46], -v[39:40]
	v_add_f64 v[21:22], v[21:22], v[35:36]
	v_fma_f64 v[35:36], v[3:4], v[45:46], v[129:130]
	v_add_f64 v[13:14], v[13:14], v[23:24]
	s_clause 0x4
	buffer_load_dword v24, off, s[0:3], 0 offset:444
	buffer_load_dword v45, off, s[0:3], 0 offset:456
	;; [unrolled: 1-line block ×5, first 2 shown]
	s_waitcnt vmcnt(57) lgkmcnt(0)
	v_mul_f64 v[129:130], v[5:6], v[47:48]
	v_mul_f64 v[47:48], v[7:8], v[47:48]
	s_waitcnt vmcnt(56)
	v_fma_f64 v[43:44], v[9:10], v[31:32], -v[43:44]
	ds_read_b128 v[1:4], v70 offset:1184
	v_fma_f64 v[29:30], v[11:12], v[31:32], v[29:30]
	s_clause 0x2
	buffer_load_dword v46, off, s[0:3], 0 offset:460
	buffer_load_dword v32, off, s[0:3], 0 offset:436
	;; [unrolled: 1-line block ×3, first 2 shown]
	ds_read_b128 v[9:12], v70 offset:1200
	v_add_f64 v[21:22], v[21:22], v[39:40]
	v_add_f64 v[13:14], v[13:14], v[35:36]
	s_waitcnt vmcnt(58) lgkmcnt(1)
	v_mul_f64 v[39:40], v[3:4], v[51:52]
	s_waitcnt vmcnt(56)
	v_fma_f64 v[47:48], v[5:6], v[53:54], -v[47:48]
	v_mul_f64 v[35:36], v[1:2], v[51:52]
	v_add_f64 v[21:22], v[21:22], v[43:44]
	v_fma_f64 v[43:44], v[7:8], v[53:54], v[129:130]
	v_add_f64 v[13:14], v[13:14], v[29:30]
	s_clause 0x4
	buffer_load_dword v30, off, s[0:3], 0 offset:476
	buffer_load_dword v51, off, s[0:3], 0 offset:488
	;; [unrolled: 1-line block ×5, first 2 shown]
	s_waitcnt vmcnt(57) lgkmcnt(0)
	v_mul_f64 v[129:130], v[9:10], v[55:56]
	v_mul_f64 v[54:55], v[11:12], v[55:56]
	s_waitcnt vmcnt(56)
	v_fma_f64 v[39:40], v[1:2], v[41:42], -v[39:40]
	ds_read_b128 v[5:8], v70 offset:1216
	v_fma_f64 v[35:36], v[3:4], v[41:42], v[35:36]
	s_clause 0x2
	buffer_load_dword v52, off, s[0:3], 0 offset:492
	buffer_load_dword v42, off, s[0:3], 0 offset:468
	;; [unrolled: 1-line block ×3, first 2 shown]
	ds_read_b128 v[1:4], v70 offset:1232
	v_add_f64 v[21:22], v[21:22], v[47:48]
	v_add_f64 v[13:14], v[13:14], v[43:44]
	s_waitcnt vmcnt(58) lgkmcnt(1)
	v_mul_f64 v[47:48], v[7:8], v[59:60]
	s_waitcnt vmcnt(56)
	v_fma_f64 v[55:56], v[9:10], v[61:62], -v[54:55]
	v_mul_f64 v[43:44], v[5:6], v[59:60]
	v_add_f64 v[21:22], v[21:22], v[39:40]
	v_fma_f64 v[39:40], v[11:12], v[61:62], v[129:130]
	v_add_f64 v[13:14], v[13:14], v[35:36]
	s_clause 0x4
	buffer_load_dword v36, off, s[0:3], 0 offset:508
	buffer_load_dword v59, off, s[0:3], 0 offset:520
	;; [unrolled: 1-line block ×5, first 2 shown]
	s_waitcnt vmcnt(57) lgkmcnt(0)
	v_mul_f64 v[129:130], v[1:2], v[63:64]
	v_mul_f64 v[62:63], v[3:4], v[63:64]
	s_waitcnt vmcnt(56)
	v_fma_f64 v[47:48], v[5:6], v[49:50], -v[47:48]
	ds_read_b128 v[9:12], v70 offset:1248
	v_fma_f64 v[43:44], v[7:8], v[49:50], v[43:44]
	v_add_f64 v[21:22], v[21:22], v[55:56]
	v_add_f64 v[13:14], v[13:14], v[39:40]
	s_clause 0x2
	buffer_load_dword v60, off, s[0:3], 0 offset:524
	buffer_load_dword v40, off, s[0:3], 0 offset:500
	;; [unrolled: 1-line block ×3, first 2 shown]
	ds_read_b128 v[5:8], v70 offset:1264
	s_waitcnt vmcnt(58) lgkmcnt(1)
	v_mul_f64 v[55:56], v[11:12], v[65:66]
	s_waitcnt vmcnt(56)
	v_fma_f64 v[63:64], v[1:2], v[67:68], -v[62:63]
	v_mul_f64 v[49:50], v[9:10], v[65:66]
	v_add_f64 v[21:22], v[21:22], v[47:48]
	v_fma_f64 v[47:48], v[3:4], v[67:68], v[129:130]
	v_add_f64 v[13:14], v[13:14], v[43:44]
	s_clause 0x4
	buffer_load_dword v44, off, s[0:3], 0 offset:540
	buffer_load_dword v65, off, s[0:3], 0 offset:552
	;; [unrolled: 1-line block ×5, first 2 shown]
	s_waitcnt vmcnt(57) lgkmcnt(0)
	v_mul_f64 v[129:130], v[5:6], v[95:96]
	v_mul_f64 v[95:96], v[7:8], v[95:96]
	s_waitcnt vmcnt(56)
	v_fma_f64 v[55:56], v[9:10], v[57:58], -v[55:56]
	ds_read_b128 v[1:4], v70 offset:1280
	v_fma_f64 v[49:50], v[11:12], v[57:58], v[49:50]
	v_add_f64 v[21:22], v[21:22], v[63:64]
	v_add_f64 v[13:14], v[13:14], v[47:48]
	s_clause 0x2
	buffer_load_dword v66, off, s[0:3], 0 offset:556
	buffer_load_dword v48, off, s[0:3], 0 offset:532
	;; [unrolled: 1-line block ×3, first 2 shown]
	ds_read_b128 v[9:12], v70 offset:1296
	s_waitcnt vmcnt(58) lgkmcnt(1)
	v_mul_f64 v[63:64], v[3:4], v[97:98]
	v_mul_f64 v[57:58], v[1:2], v[97:98]
	s_waitcnt vmcnt(56)
	v_fma_f64 v[95:96], v[5:6], v[17:18], -v[95:96]
	v_fma_f64 v[17:18], v[7:8], v[17:18], v[129:130]
	v_add_f64 v[21:22], v[21:22], v[55:56]
	v_add_f64 v[13:14], v[13:14], v[49:50]
	s_clause 0x4
	buffer_load_dword v50, off, s[0:3], 0 offset:572
	buffer_load_dword v55, off, s[0:3], 0 offset:584
	;; [unrolled: 1-line block ×5, first 2 shown]
	ds_read_b128 v[5:8], v70 offset:1312
	s_waitcnt vmcnt(57) lgkmcnt(1)
	v_mul_f64 v[129:130], v[9:10], v[15:16]
	v_mul_f64 v[15:16], v[11:12], v[15:16]
	s_waitcnt vmcnt(56)
	v_fma_f64 v[63:64], v[1:2], v[99:100], -v[63:64]
	v_fma_f64 v[57:58], v[3:4], v[99:100], v[57:58]
	v_add_f64 v[21:22], v[21:22], v[95:96]
	v_add_f64 v[13:14], v[13:14], v[17:18]
	s_clause 0x2
	buffer_load_dword v56, off, s[0:3], 0 offset:588
	buffer_load_dword v18, off, s[0:3], 0 offset:564
	;; [unrolled: 1-line block ×3, first 2 shown]
	s_waitcnt vmcnt(58) lgkmcnt(0)
	v_mul_f64 v[99:100], v[7:8], v[117:118]
	ds_read_b128 v[1:4], v70 offset:1328
	v_mul_f64 v[95:96], v[5:6], v[117:118]
	s_waitcnt vmcnt(56)
	v_fma_f64 v[15:16], v[9:10], v[73:74], -v[15:16]
	v_add_f64 v[21:22], v[21:22], v[63:64]
	v_fma_f64 v[63:64], v[11:12], v[73:74], v[129:130]
	v_add_f64 v[13:14], v[13:14], v[57:58]
	s_clause 0x4
	buffer_load_dword v58, off, s[0:3], 0 offset:604
	buffer_load_dword v73, off, s[0:3], 0 offset:616
	;; [unrolled: 1-line block ×5, first 2 shown]
	ds_read_b128 v[9:12], v70 offset:1344
	s_waitcnt vmcnt(57) lgkmcnt(1)
	v_mul_f64 v[129:130], v[1:2], v[33:34]
	v_mul_f64 v[33:34], v[3:4], v[33:34]
	s_waitcnt vmcnt(56)
	v_fma_f64 v[99:100], v[5:6], v[119:120], -v[99:100]
	v_add_f64 v[15:16], v[21:22], v[15:16]
	v_fma_f64 v[21:22], v[7:8], v[119:120], v[95:96]
	v_add_f64 v[13:14], v[13:14], v[63:64]
	s_clause 0x2
	buffer_load_dword v74, off, s[0:3], 0 offset:620
	buffer_load_dword v64, off, s[0:3], 0 offset:596
	;; [unrolled: 1-line block ×3, first 2 shown]
	ds_read_b128 v[5:8], v70 offset:1360
	s_waitcnt vmcnt(58) lgkmcnt(1)
	v_mul_f64 v[95:96], v[9:10], v[93:94]
	v_mul_f64 v[93:94], v[11:12], v[93:94]
	s_waitcnt vmcnt(56)
	v_fma_f64 v[33:34], v[1:2], v[27:28], -v[33:34]
	v_fma_f64 v[27:28], v[3:4], v[27:28], v[129:130]
	v_add_f64 v[15:16], v[15:16], v[99:100]
	v_add_f64 v[13:14], v[13:14], v[21:22]
	s_clause 0x4
	buffer_load_dword v22, off, s[0:3], 0 offset:636
	buffer_load_dword v99, off, s[0:3], 0 offset:648
	;; [unrolled: 1-line block ×5, first 2 shown]
	ds_read_b128 v[1:4], v70 offset:1376
	s_waitcnt vmcnt(57) lgkmcnt(1)
	v_mul_f64 v[129:130], v[5:6], v[19:20]
	v_mul_f64 v[19:20], v[7:8], v[19:20]
	s_waitcnt vmcnt(56)
	v_fma_f64 v[93:94], v[9:10], v[111:112], -v[93:94]
	v_add_f64 v[15:16], v[15:16], v[33:34]
	v_fma_f64 v[33:34], v[11:12], v[111:112], v[95:96]
	v_add_f64 v[13:14], v[13:14], v[27:28]
	s_clause 0x2
	buffer_load_dword v100, off, s[0:3], 0 offset:652
	buffer_load_dword v28, off, s[0:3], 0 offset:628
	;; [unrolled: 1-line block ×3, first 2 shown]
	ds_read_b128 v[9:12], v70 offset:1392
	s_waitcnt vmcnt(58) lgkmcnt(1)
	v_mul_f64 v[95:96], v[1:2], v[37:38]
	v_mul_f64 v[37:38], v[3:4], v[37:38]
	s_waitcnt vmcnt(56)
	v_fma_f64 v[19:20], v[5:6], v[25:26], -v[19:20]
	v_fma_f64 v[25:26], v[7:8], v[25:26], v[129:130]
	v_add_f64 v[15:16], v[15:16], v[93:94]
	v_add_f64 v[13:14], v[13:14], v[33:34]
	s_clause 0x4
	buffer_load_dword v34, off, s[0:3], 0 offset:668
	buffer_load_dword v93, off, s[0:3], 0 offset:680
	;; [unrolled: 1-line block ×5, first 2 shown]
	ds_read_b128 v[5:8], v70 offset:1408
	s_waitcnt vmcnt(57) lgkmcnt(1)
	v_mul_f64 v[129:130], v[9:10], v[23:24]
	v_mul_f64 v[23:24], v[11:12], v[23:24]
	s_waitcnt vmcnt(56)
	v_fma_f64 v[37:38], v[1:2], v[109:110], -v[37:38]
	v_add_f64 v[15:16], v[15:16], v[19:20]
	v_fma_f64 v[19:20], v[3:4], v[109:110], v[95:96]
	v_add_f64 v[13:14], v[13:14], v[25:26]
	s_clause 0x2
	buffer_load_dword v94, off, s[0:3], 0 offset:684
	buffer_load_dword v26, off, s[0:3], 0 offset:660
	;; [unrolled: 1-line block ×3, first 2 shown]
	s_waitcnt vmcnt(58) lgkmcnt(0)
	v_mul_f64 v[95:96], v[5:6], v[45:46]
	v_mul_f64 v[45:46], v[7:8], v[45:46]
	ds_read_b128 v[1:4], v70 offset:1424
	s_waitcnt vmcnt(56)
	v_fma_f64 v[23:24], v[9:10], v[31:32], -v[23:24]
	v_fma_f64 v[31:32], v[11:12], v[31:32], v[129:130]
	v_add_f64 v[15:16], v[15:16], v[37:38]
	v_add_f64 v[13:14], v[13:14], v[19:20]
	s_clause 0x4
	buffer_load_dword v20, off, s[0:3], 0 offset:700
	buffer_load_dword v37, off, s[0:3], 0 offset:712
	;; [unrolled: 1-line block ×5, first 2 shown]
	ds_read_b128 v[9:12], v70 offset:1440
	s_waitcnt vmcnt(57) lgkmcnt(1)
	v_mul_f64 v[129:130], v[1:2], v[29:30]
	v_mul_f64 v[29:30], v[3:4], v[29:30]
	s_waitcnt vmcnt(56)
	v_fma_f64 v[45:46], v[5:6], v[71:72], -v[45:46]
	v_add_f64 v[15:16], v[15:16], v[23:24]
	v_fma_f64 v[23:24], v[7:8], v[71:72], v[95:96]
	v_add_f64 v[13:14], v[13:14], v[31:32]
	s_clause 0x2
	buffer_load_dword v38, off, s[0:3], 0 offset:716
	buffer_load_dword v32, off, s[0:3], 0 offset:692
	;; [unrolled: 1-line block ×3, first 2 shown]
	s_waitcnt vmcnt(58) lgkmcnt(0)
	v_mul_f64 v[71:72], v[9:10], v[51:52]
	v_mul_f64 v[51:52], v[11:12], v[51:52]
	ds_read_b128 v[5:8], v70 offset:1456
	s_waitcnt vmcnt(56)
	v_fma_f64 v[29:30], v[1:2], v[41:42], -v[29:30]
	v_fma_f64 v[41:42], v[3:4], v[41:42], v[129:130]
	v_add_f64 v[15:16], v[15:16], v[45:46]
	v_add_f64 v[13:14], v[13:14], v[23:24]
	s_clause 0x4
	buffer_load_dword v24, off, s[0:3], 0 offset:732
	buffer_load_dword v45, off, s[0:3], 0 offset:744
	buffer_load_dword v95, off, s[0:3], 0 offset:736
	buffer_load_dword v23, off, s[0:3], 0 offset:728
	buffer_load_dword v110, off, s[0:3], 0 offset:708
	ds_read_b128 v[1:4], v70 offset:1472
	s_waitcnt vmcnt(57) lgkmcnt(1)
	v_mul_f64 v[129:130], v[5:6], v[35:36]
	v_mul_f64 v[35:36], v[7:8], v[35:36]
	s_waitcnt vmcnt(56)
	v_fma_f64 v[51:52], v[9:10], v[53:54], -v[51:52]
	v_add_f64 v[15:16], v[15:16], v[29:30]
	v_fma_f64 v[29:30], v[11:12], v[53:54], v[71:72]
	v_add_f64 v[13:14], v[13:14], v[41:42]
	s_clause 0x2
	buffer_load_dword v46, off, s[0:3], 0 offset:748
	buffer_load_dword v42, off, s[0:3], 0 offset:724
	buffer_load_dword v41, off, s[0:3], 0 offset:720
	ds_read_b128 v[9:12], v70 offset:1488
	s_waitcnt vmcnt(58) lgkmcnt(1)
	v_mul_f64 v[53:54], v[1:2], v[59:60]
	v_mul_f64 v[59:60], v[3:4], v[59:60]
	s_waitcnt vmcnt(56)
	v_fma_f64 v[35:36], v[5:6], v[39:40], -v[35:36]
	v_fma_f64 v[39:40], v[7:8], v[39:40], v[129:130]
	v_add_f64 v[15:16], v[15:16], v[51:52]
	v_add_f64 v[13:14], v[13:14], v[29:30]
	s_clause 0x4
	buffer_load_dword v30, off, s[0:3], 0 offset:764
	buffer_load_dword v51, off, s[0:3], 0 offset:776
	buffer_load_dword v71, off, s[0:3], 0 offset:768
	buffer_load_dword v29, off, s[0:3], 0 offset:760
	buffer_load_dword v96, off, s[0:3], 0 offset:740
	ds_read_b128 v[5:8], v70 offset:1504
	s_waitcnt vmcnt(57) lgkmcnt(1)
	v_mul_f64 v[129:130], v[9:10], v[43:44]
	v_mul_f64 v[43:44], v[11:12], v[43:44]
	s_waitcnt vmcnt(56)
	v_fma_f64 v[59:60], v[1:2], v[61:62], -v[59:60]
	v_add_f64 v[15:16], v[15:16], v[35:36]
	v_fma_f64 v[35:36], v[3:4], v[61:62], v[53:54]
	v_add_f64 v[13:14], v[13:14], v[39:40]
	s_clause 0x2
	buffer_load_dword v52, off, s[0:3], 0 offset:780
	buffer_load_dword v40, off, s[0:3], 0 offset:756
	buffer_load_dword v39, off, s[0:3], 0 offset:752
	ds_read_b128 v[1:4], v70 offset:1520
	s_waitcnt vmcnt(58) lgkmcnt(1)
	v_mul_f64 v[61:62], v[7:8], v[65:66]
	v_mul_f64 v[53:54], v[5:6], v[65:66]
	;; [unrolled: 28-line block ×4, first 2 shown]
	s_waitcnt vmcnt(56)
	v_fma_f64 v[57:58], v[5:6], v[63:64], -v[57:58]
	v_add_f64 v[15:16], v[15:16], v[55:56]
	v_fma_f64 v[55:56], v[7:8], v[63:64], v[129:130]
	v_add_f64 v[13:14], v[13:14], v[49:50]
	s_clause 0x4
	buffer_load_dword v50, off, s[0:3], 0 offset:860
	buffer_load_dword v63, off, s[0:3], 0 offset:872
	;; [unrolled: 1-line block ×5, first 2 shown]
	ds_read_b128 v[5:8], v70 offset:1600
	s_waitcnt vmcnt(57) lgkmcnt(1)
	v_mul_f64 v[129:130], v[9:10], v[21:22]
	v_mul_f64 v[21:22], v[11:12], v[21:22]
	s_waitcnt vmcnt(56)
	v_fma_f64 v[73:74], v[1:2], v[117:118], -v[73:74]
	v_fma_f64 v[53:54], v[3:4], v[117:118], v[53:54]
	v_add_f64 v[15:16], v[15:16], v[57:58]
	v_add_f64 v[13:14], v[13:14], v[55:56]
	s_clause 0x2
	buffer_load_dword v64, off, s[0:3], 0 offset:876
	buffer_load_dword v56, off, s[0:3], 0 offset:852
	buffer_load_dword v55, off, s[0:3], 0 offset:848
	ds_read_b128 v[1:4], v70 offset:1616
	s_waitcnt vmcnt(58) lgkmcnt(1)
	v_mul_f64 v[57:58], v[5:6], v[99:100]
	v_mul_f64 v[99:100], v[7:8], v[99:100]
	s_waitcnt vmcnt(56)
	v_fma_f64 v[21:22], v[9:10], v[27:28], -v[21:22]
	v_fma_f64 v[27:28], v[11:12], v[27:28], v[129:130]
	v_add_f64 v[15:16], v[15:16], v[73:74]
	v_add_f64 v[13:14], v[13:14], v[53:54]
	s_clause 0x4
	buffer_load_dword v54, off, s[0:3], 0 offset:892
	buffer_load_dword v73, off, s[0:3], 0 offset:904
	buffer_load_dword v117, off, s[0:3], 0 offset:896
	buffer_load_dword v53, off, s[0:3], 0 offset:888
	buffer_load_dword v98, off, s[0:3], 0 offset:868
	ds_read_b128 v[9:12], v70 offset:1632
	s_waitcnt vmcnt(57) lgkmcnt(1)
	v_mul_f64 v[129:130], v[1:2], v[33:34]
	v_mul_f64 v[33:34], v[3:4], v[33:34]
	s_waitcnt vmcnt(56)
	v_fma_f64 v[99:100], v[5:6], v[119:120], -v[99:100]
	v_add_f64 v[15:16], v[15:16], v[21:22]
	v_fma_f64 v[21:22], v[7:8], v[119:120], v[57:58]
	v_add_f64 v[13:14], v[13:14], v[27:28]
	s_clause 0x2
	buffer_load_dword v74, off, s[0:3], 0 offset:908
	buffer_load_dword v28, off, s[0:3], 0 offset:884
	buffer_load_dword v27, off, s[0:3], 0 offset:880
	ds_read_b128 v[5:8], v70 offset:1648
	s_waitcnt vmcnt(58) lgkmcnt(1)
	v_mul_f64 v[57:58], v[9:10], v[93:94]
	v_mul_f64 v[93:94], v[11:12], v[93:94]
	s_waitcnt vmcnt(56)
	v_fma_f64 v[33:34], v[1:2], v[25:26], -v[33:34]
	v_fma_f64 v[25:26], v[3:4], v[25:26], v[129:130]
	v_add_f64 v[15:16], v[15:16], v[99:100]
	v_add_f64 v[13:14], v[13:14], v[21:22]
	s_clause 0x4
	buffer_load_dword v22, off, s[0:3], 0 offset:924
	buffer_load_dword v99, off, s[0:3], 0 offset:936
	buffer_load_dword v119, off, s[0:3], 0 offset:928
	buffer_load_dword v21, off, s[0:3], 0 offset:920
	buffer_load_dword v118, off, s[0:3], 0 offset:900
	ds_read_b128 v[1:4], v70 offset:1664
	s_waitcnt vmcnt(57) lgkmcnt(1)
	v_mul_f64 v[129:130], v[5:6], v[19:20]
	v_mul_f64 v[19:20], v[7:8], v[19:20]
	s_waitcnt vmcnt(56)
	v_fma_f64 v[93:94], v[9:10], v[111:112], -v[93:94]
	v_add_f64 v[15:16], v[15:16], v[33:34]
	v_fma_f64 v[33:34], v[11:12], v[111:112], v[57:58]
	;; [unrolled: 28-line block ×3, first 2 shown]
	v_add_f64 v[13:14], v[13:14], v[31:32]
	s_clause 0x2
	buffer_load_dword v94, off, s[0:3], 0 offset:972
	buffer_load_dword v32, off, s[0:3], 0 offset:948
	;; [unrolled: 1-line block ×3, first 2 shown]
	ds_read_b128 v[1:4], v70 offset:1712
	s_waitcnt vmcnt(58) lgkmcnt(1)
	v_mul_f64 v[57:58], v[5:6], v[45:46]
	v_mul_f64 v[45:46], v[7:8], v[45:46]
	s_waitcnt vmcnt(56)
	v_fma_f64 v[23:24], v[9:10], v[41:42], -v[23:24]
	v_add_f64 v[15:16], v[15:16], v[37:38]
	v_fma_f64 v[37:38], v[11:12], v[41:42], v[129:130]
	v_add_f64 v[13:14], v[13:14], v[19:20]
	s_clause 0x2
	buffer_load_dword v20, off, s[0:3], 0 offset:988
	buffer_load_dword v19, off, s[0:3], 0 offset:984
	;; [unrolled: 1-line block ×3, first 2 shown]
	ds_read_b128 v[9:12], v70 offset:1728
	s_waitcnt vmcnt(55) lgkmcnt(1)
	v_mul_f64 v[41:42], v[1:2], v[29:30]
	v_mul_f64 v[29:30], v[3:4], v[29:30]
	s_waitcnt vmcnt(54)
	v_fma_f64 v[45:46], v[5:6], v[95:96], -v[45:46]
	v_add_f64 v[15:16], v[15:16], v[23:24]
	v_fma_f64 v[23:24], v[7:8], v[95:96], v[57:58]
	v_add_f64 v[13:14], v[13:14], v[37:38]
	s_clause 0x1
	buffer_load_dword v38, off, s[0:3], 0 offset:980
	buffer_load_dword v37, off, s[0:3], 0 offset:976
	ds_read_b128 v[5:8], v70 offset:1744
	s_waitcnt vmcnt(55) lgkmcnt(1)
	v_mul_f64 v[57:58], v[9:10], v[51:52]
	v_mul_f64 v[51:52], v[11:12], v[51:52]
	s_waitcnt vmcnt(53)
	v_fma_f64 v[29:30], v[1:2], v[39:40], -v[29:30]
	v_fma_f64 v[39:40], v[3:4], v[39:40], v[41:42]
	ds_read_b128 v[1:4], v70 offset:1760
	v_add_f64 v[15:16], v[15:16], v[45:46]
	v_add_f64 v[13:14], v[13:14], v[23:24]
	s_waitcnt vmcnt(49) lgkmcnt(1)
	v_mul_f64 v[23:24], v[5:6], v[35:36]
	v_mul_f64 v[35:36], v[7:8], v[35:36]
	s_waitcnt vmcnt(48)
	v_fma_f64 v[41:42], v[9:10], v[71:72], -v[51:52]
	v_add_f64 v[15:16], v[15:16], v[29:30]
	v_fma_f64 v[29:30], v[11:12], v[71:72], v[57:58]
	v_add_f64 v[13:14], v[13:14], v[39:40]
	s_clause 0x3
	buffer_load_dword v39, off, s[0:3], 0 offset:48
	buffer_load_dword v40, off, s[0:3], 0 offset:52
	;; [unrolled: 1-line block ×4, first 2 shown]
	ds_read_b128 v[9:12], v70 offset:1776
	s_waitcnt vmcnt(51) lgkmcnt(1)
	v_mul_f64 v[57:58], v[3:4], v[59:60]
	v_mul_f64 v[51:52], v[1:2], v[59:60]
	s_waitcnt vmcnt(49)
	v_fma_f64 v[35:36], v[5:6], v[47:48], -v[35:36]
	v_fma_f64 v[23:24], v[7:8], v[47:48], v[23:24]
	ds_read_b128 v[5:8], v70 offset:1792
	v_add_f64 v[15:16], v[15:16], v[41:42]
	v_add_f64 v[13:14], v[13:14], v[29:30]
	s_waitcnt vmcnt(45) lgkmcnt(1)
	v_mul_f64 v[29:30], v[9:10], v[43:44]
	v_mul_f64 v[41:42], v[11:12], v[43:44]
	s_waitcnt vmcnt(44)
	v_fma_f64 v[43:44], v[1:2], v[65:66], -v[57:58]
	v_add_f64 v[15:16], v[15:16], v[35:36]
	v_fma_f64 v[35:36], v[3:4], v[65:66], v[51:52]
	v_add_f64 v[13:14], v[13:14], v[23:24]
	ds_read_b128 v[1:4], v70 offset:1808
	s_waitcnt vmcnt(43) lgkmcnt(1)
	v_mul_f64 v[47:48], v[7:8], v[61:62]
	v_mul_f64 v[23:24], v[5:6], v[61:62]
	s_waitcnt vmcnt(41)
	v_fma_f64 v[41:42], v[9:10], v[17:18], -v[41:42]
	v_fma_f64 v[17:18], v[11:12], v[17:18], v[29:30]
	ds_read_b128 v[9:12], v70 offset:1824
	v_add_f64 v[15:16], v[15:16], v[43:44]
	v_add_f64 v[13:14], v[13:14], v[35:36]
	s_waitcnt vmcnt(37) lgkmcnt(1)
	v_mul_f64 v[35:36], v[3:4], v[49:50]
	s_waitcnt vmcnt(36)
	v_fma_f64 v[43:44], v[5:6], v[67:68], -v[47:48]
	v_mul_f64 v[29:30], v[1:2], v[49:50]
	v_fma_f64 v[23:24], v[7:8], v[67:68], v[23:24]
	ds_read_b128 v[5:8], v70 offset:1840
	v_add_f64 v[15:16], v[15:16], v[41:42]
	v_add_f64 v[13:14], v[13:14], v[17:18]
	s_waitcnt vmcnt(35) lgkmcnt(1)
	v_mul_f64 v[41:42], v[11:12], v[63:64]
	v_mul_f64 v[17:18], v[9:10], v[63:64]
	s_waitcnt vmcnt(33)
	v_fma_f64 v[35:36], v[1:2], v[55:56], -v[35:36]
	v_fma_f64 v[29:30], v[3:4], v[55:56], v[29:30]
	ds_read_b128 v[1:4], v70 offset:1856
	v_add_f64 v[15:16], v[15:16], v[43:44]
	v_add_f64 v[13:14], v[13:14], v[23:24]
	s_waitcnt vmcnt(29) lgkmcnt(1)
	v_mul_f64 v[43:44], v[7:8], v[53:54]
	s_waitcnt vmcnt(28)
	v_fma_f64 v[41:42], v[9:10], v[97:98], -v[41:42]
	v_mul_f64 v[23:24], v[5:6], v[53:54]
	v_fma_f64 v[17:18], v[11:12], v[97:98], v[17:18]
	ds_read_b128 v[9:12], v70 offset:1872
	v_add_f64 v[15:16], v[15:16], v[35:36]
	v_add_f64 v[13:14], v[13:14], v[29:30]
	s_waitcnt vmcnt(27) lgkmcnt(1)
	v_mul_f64 v[35:36], v[3:4], v[73:74]
	v_mul_f64 v[29:30], v[1:2], v[73:74]
	s_waitcnt vmcnt(25)
	v_fma_f64 v[43:44], v[5:6], v[27:28], -v[43:44]
	v_fma_f64 v[23:24], v[7:8], v[27:28], v[23:24]
	ds_read_b128 v[5:8], v70 offset:1888
	v_add_f64 v[15:16], v[15:16], v[41:42]
	v_add_f64 v[13:14], v[13:14], v[17:18]
	s_waitcnt vmcnt(21) lgkmcnt(1)
	v_mul_f64 v[17:18], v[9:10], v[21:22]
	v_mul_f64 v[21:22], v[11:12], v[21:22]
	s_waitcnt vmcnt(20)
	v_fma_f64 v[27:28], v[1:2], v[117:118], -v[35:36]
	;; [unrolled: 9-line block ×3, first 2 shown]
	v_fma_f64 v[17:18], v[11:12], v[25:26], v[17:18]
	ds_read_b128 v[9:12], v70 offset:1920
	v_add_f64 v[15:16], v[15:16], v[27:28]
	v_add_f64 v[13:14], v[13:14], v[29:30]
	s_waitcnt vmcnt(13) lgkmcnt(1)
	v_mul_f64 v[27:28], v[3:4], v[33:34]
	s_waitcnt vmcnt(12)
	v_fma_f64 v[29:30], v[5:6], v[119:120], -v[35:36]
	v_mul_f64 v[25:26], v[1:2], v[33:34]
	v_add_f64 v[15:16], v[15:16], v[21:22]
	v_fma_f64 v[21:22], v[7:8], v[119:120], v[23:24]
	v_add_f64 v[13:14], v[13:14], v[17:18]
	ds_read_b128 v[5:8], v70 offset:1936
	s_waitcnt vmcnt(11) lgkmcnt(1)
	v_mul_f64 v[23:24], v[11:12], v[93:94]
	v_mul_f64 v[17:18], v[9:10], v[93:94]
	s_waitcnt vmcnt(9)
	v_fma_f64 v[1:2], v[1:2], v[31:32], -v[27:28]
	v_fma_f64 v[3:4], v[3:4], v[31:32], v[25:26]
	v_add_f64 v[15:16], v[15:16], v[29:30]
	v_add_f64 v[13:14], v[13:14], v[21:22]
	s_waitcnt vmcnt(7) lgkmcnt(0)
	v_mul_f64 v[21:22], v[5:6], v[19:20]
	v_mul_f64 v[19:20], v[7:8], v[19:20]
	s_waitcnt vmcnt(6)
	v_fma_f64 v[9:10], v[9:10], v[111:112], -v[23:24]
	v_fma_f64 v[11:12], v[11:12], v[111:112], v[17:18]
	v_add_f64 v[1:2], v[15:16], v[1:2]
	v_add_f64 v[3:4], v[13:14], v[3:4]
	s_waitcnt vmcnt(4)
	v_fma_f64 v[5:6], v[5:6], v[37:38], -v[19:20]
	v_fma_f64 v[7:8], v[7:8], v[37:38], v[21:22]
	v_add_f64 v[1:2], v[1:2], v[9:10]
	v_add_f64 v[3:4], v[3:4], v[11:12]
	v_add_f64 v[1:2], v[1:2], v[5:6]
	v_add_f64 v[3:4], v[3:4], v[7:8]
	s_waitcnt vmcnt(2)
	v_add_f64 v[1:2], v[39:40], -v[1:2]
	s_waitcnt vmcnt(0)
	v_add_f64 v[3:4], v[45:46], -v[3:4]
	buffer_store_dword v2, off, s[0:3], 0 offset:52
	buffer_store_dword v1, off, s[0:3], 0 offset:48
	;; [unrolled: 1-line block ×4, first 2 shown]
	v_cmpx_lt_u32_e32 1, v0
	s_cbranch_execz .LBB60_389
; %bb.388:
	v_mov_b32_e32 v4, s73
	v_mov_b32_e32 v5, 0
	s_clause 0x3
	buffer_load_dword v1, v4, s[0:3], 0 offen
	buffer_load_dword v2, v4, s[0:3], 0 offen offset:4
	buffer_load_dword v3, v4, s[0:3], 0 offen offset:8
	;; [unrolled: 1-line block ×3, first 2 shown]
	buffer_store_dword v5, off, s[0:3], 0 offset:32
	buffer_store_dword v5, off, s[0:3], 0 offset:36
	;; [unrolled: 1-line block ×4, first 2 shown]
	s_waitcnt vmcnt(0)
	ds_write_b128 v69, v[1:4]
.LBB60_389:
	s_or_b32 exec_lo, exec_lo, s4
	s_waitcnt lgkmcnt(0)
	s_waitcnt_vscnt null, 0x0
	s_barrier
	buffer_gl0_inv
	s_clause 0x37
	buffer_load_dword v17, off, s[0:3], 0 offset:56
	buffer_load_dword v18, off, s[0:3], 0 offset:60
	;; [unrolled: 1-line block ×56, first 2 shown]
	v_mov_b32_e32 v70, 0
	s_mov_b32 s4, exec_lo
	ds_read_b128 v[5:8], v70 offset:1008
	s_clause 0x2
	buffer_load_dword v66, off, s[0:3], 0 offset:284
	buffer_load_dword v68, off, s[0:3], 0 offset:260
	;; [unrolled: 1-line block ×3, first 2 shown]
	ds_read_b128 v[1:4], v70 offset:1024
	s_clause 0x4
	buffer_load_dword v96, off, s[0:3], 0 offset:300
	buffer_load_dword v97, off, s[0:3], 0 offset:312
	;; [unrolled: 1-line block ×5, first 2 shown]
	ds_read_b128 v[71:74], v70 offset:1040
	s_waitcnt vmcnt(62) lgkmcnt(2)
	v_mul_f64 v[93:94], v[7:8], v[17:18]
	v_mul_f64 v[17:18], v[5:6], v[17:18]
	s_waitcnt vmcnt(60) lgkmcnt(1)
	v_mul_f64 v[109:110], v[3:4], v[13:14]
	v_mul_f64 v[13:14], v[1:2], v[13:14]
	;; [unrolled: 3-line block ×3, first 2 shown]
	v_fma_f64 v[93:94], v[5:6], v[15:16], -v[93:94]
	v_fma_f64 v[15:16], v[7:8], v[15:16], v[17:18]
	s_clause 0x2
	buffer_load_dword v98, off, s[0:3], 0 offset:316
	buffer_load_dword v18, off, s[0:3], 0 offset:292
	;; [unrolled: 1-line block ×3, first 2 shown]
	s_waitcnt vmcnt(57)
	v_fma_f64 v[109:110], v[1:2], v[9:10], -v[109:110]
	ds_read_b128 v[5:8], v70 offset:1056
	v_fma_f64 v[9:10], v[3:4], v[9:10], v[13:14]
	s_waitcnt vmcnt(51)
	v_fma_f64 v[71:72], v[71:72], v[33:34], -v[11:12]
	v_fma_f64 v[33:34], v[73:74], v[33:34], v[111:112]
	v_add_f64 v[93:94], v[93:94], 0
	v_add_f64 v[13:14], v[15:16], 0
	s_clause 0x4
	buffer_load_dword v16, off, s[0:3], 0 offset:332
	buffer_load_dword v117, off, s[0:3], 0 offset:344
	;; [unrolled: 1-line block ×5, first 2 shown]
	s_waitcnt lgkmcnt(0)
	v_mul_f64 v[129:130], v[5:6], v[21:22]
	v_mul_f64 v[21:22], v[7:8], v[21:22]
	ds_read_b128 v[1:4], v70 offset:1072
	s_clause 0x2
	buffer_load_dword v118, off, s[0:3], 0 offset:348
	buffer_load_dword v74, off, s[0:3], 0 offset:324
	buffer_load_dword v73, off, s[0:3], 0 offset:320
	v_add_f64 v[93:94], v[93:94], v[109:110]
	v_add_f64 v[13:14], v[13:14], v[9:10]
	ds_read_b128 v[9:12], v70 offset:1088
	s_waitcnt vmcnt(58) lgkmcnt(1)
	v_mul_f64 v[109:110], v[1:2], v[25:26]
	v_mul_f64 v[25:26], v[3:4], v[25:26]
	s_waitcnt vmcnt(56)
	v_fma_f64 v[21:22], v[5:6], v[27:28], -v[21:22]
	v_fma_f64 v[27:28], v[7:8], v[27:28], v[129:130]
	s_waitcnt vmcnt(52) lgkmcnt(0)
	v_mul_f64 v[129:130], v[9:10], v[29:30]
	v_add_f64 v[71:72], v[93:94], v[71:72]
	v_add_f64 v[13:14], v[13:14], v[33:34]
	s_clause 0x4
	buffer_load_dword v34, off, s[0:3], 0 offset:364
	buffer_load_dword v93, off, s[0:3], 0 offset:376
	;; [unrolled: 1-line block ×5, first 2 shown]
	v_mul_f64 v[29:30], v[11:12], v[29:30]
	s_waitcnt vmcnt(56)
	v_fma_f64 v[25:26], v[1:2], v[19:20], -v[25:26]
	ds_read_b128 v[5:8], v70 offset:1104
	v_fma_f64 v[19:20], v[3:4], v[19:20], v[109:110]
	v_add_f64 v[21:22], v[71:72], v[21:22]
	v_add_f64 v[13:14], v[13:14], v[27:28]
	s_clause 0x2
	buffer_load_dword v94, off, s[0:3], 0 offset:380
	buffer_load_dword v28, off, s[0:3], 0 offset:356
	;; [unrolled: 1-line block ×3, first 2 shown]
	s_waitcnt vmcnt(58) lgkmcnt(0)
	v_mul_f64 v[71:72], v[5:6], v[35:36]
	v_mul_f64 v[35:36], v[7:8], v[35:36]
	s_waitcnt vmcnt(56)
	v_fma_f64 v[29:30], v[9:10], v[37:38], -v[29:30]
	ds_read_b128 v[1:4], v70 offset:1120
	v_add_f64 v[21:22], v[21:22], v[25:26]
	v_fma_f64 v[25:26], v[11:12], v[37:38], v[129:130]
	v_add_f64 v[13:14], v[13:14], v[19:20]
	s_clause 0x4
	buffer_load_dword v20, off, s[0:3], 0 offset:396
	buffer_load_dword v37, off, s[0:3], 0 offset:408
	;; [unrolled: 1-line block ×5, first 2 shown]
	s_waitcnt vmcnt(57) lgkmcnt(0)
	v_mul_f64 v[129:130], v[1:2], v[39:40]
	v_mul_f64 v[39:40], v[3:4], v[39:40]
	s_waitcnt vmcnt(56)
	v_fma_f64 v[35:36], v[5:6], v[23:24], -v[35:36]
	ds_read_b128 v[9:12], v70 offset:1136
	v_fma_f64 v[23:24], v[7:8], v[23:24], v[71:72]
	v_add_f64 v[21:22], v[21:22], v[29:30]
	v_add_f64 v[13:14], v[13:14], v[25:26]
	s_clause 0x2
	buffer_load_dword v38, off, s[0:3], 0 offset:412
	buffer_load_dword v26, off, s[0:3], 0 offset:388
	;; [unrolled: 1-line block ×3, first 2 shown]
	ds_read_b128 v[5:8], v70 offset:1152
	s_waitcnt vmcnt(58) lgkmcnt(1)
	v_mul_f64 v[29:30], v[9:10], v[43:44]
	v_mul_f64 v[43:44], v[11:12], v[43:44]
	s_waitcnt vmcnt(56)
	v_fma_f64 v[39:40], v[1:2], v[45:46], -v[39:40]
	v_add_f64 v[21:22], v[21:22], v[35:36]
	v_fma_f64 v[35:36], v[3:4], v[45:46], v[129:130]
	v_add_f64 v[13:14], v[13:14], v[23:24]
	s_clause 0x4
	buffer_load_dword v24, off, s[0:3], 0 offset:428
	buffer_load_dword v45, off, s[0:3], 0 offset:440
	buffer_load_dword v71, off, s[0:3], 0 offset:432
	buffer_load_dword v23, off, s[0:3], 0 offset:424
	buffer_load_dword v110, off, s[0:3], 0 offset:404
	s_waitcnt vmcnt(57) lgkmcnt(0)
	v_mul_f64 v[129:130], v[5:6], v[47:48]
	v_mul_f64 v[47:48], v[7:8], v[47:48]
	s_waitcnt vmcnt(56)
	v_fma_f64 v[43:44], v[9:10], v[31:32], -v[43:44]
	ds_read_b128 v[1:4], v70 offset:1168
	v_fma_f64 v[29:30], v[11:12], v[31:32], v[29:30]
	s_clause 0x2
	buffer_load_dword v46, off, s[0:3], 0 offset:444
	buffer_load_dword v32, off, s[0:3], 0 offset:420
	;; [unrolled: 1-line block ×3, first 2 shown]
	ds_read_b128 v[9:12], v70 offset:1184
	v_add_f64 v[21:22], v[21:22], v[39:40]
	v_add_f64 v[13:14], v[13:14], v[35:36]
	s_waitcnt vmcnt(58) lgkmcnt(1)
	v_mul_f64 v[39:40], v[3:4], v[51:52]
	s_waitcnt vmcnt(56)
	v_fma_f64 v[47:48], v[5:6], v[53:54], -v[47:48]
	v_mul_f64 v[35:36], v[1:2], v[51:52]
	v_add_f64 v[21:22], v[21:22], v[43:44]
	v_fma_f64 v[43:44], v[7:8], v[53:54], v[129:130]
	v_add_f64 v[13:14], v[13:14], v[29:30]
	s_clause 0x4
	buffer_load_dword v30, off, s[0:3], 0 offset:460
	buffer_load_dword v51, off, s[0:3], 0 offset:472
	;; [unrolled: 1-line block ×5, first 2 shown]
	s_waitcnt vmcnt(57) lgkmcnt(0)
	v_mul_f64 v[129:130], v[9:10], v[55:56]
	v_mul_f64 v[54:55], v[11:12], v[55:56]
	s_waitcnt vmcnt(56)
	v_fma_f64 v[39:40], v[1:2], v[41:42], -v[39:40]
	ds_read_b128 v[5:8], v70 offset:1200
	v_fma_f64 v[35:36], v[3:4], v[41:42], v[35:36]
	s_clause 0x2
	buffer_load_dword v52, off, s[0:3], 0 offset:476
	buffer_load_dword v42, off, s[0:3], 0 offset:452
	;; [unrolled: 1-line block ×3, first 2 shown]
	ds_read_b128 v[1:4], v70 offset:1216
	v_add_f64 v[21:22], v[21:22], v[47:48]
	v_add_f64 v[13:14], v[13:14], v[43:44]
	s_waitcnt vmcnt(58) lgkmcnt(1)
	v_mul_f64 v[47:48], v[7:8], v[59:60]
	s_waitcnt vmcnt(56)
	v_fma_f64 v[55:56], v[9:10], v[61:62], -v[54:55]
	v_mul_f64 v[43:44], v[5:6], v[59:60]
	v_add_f64 v[21:22], v[21:22], v[39:40]
	v_fma_f64 v[39:40], v[11:12], v[61:62], v[129:130]
	v_add_f64 v[13:14], v[13:14], v[35:36]
	s_clause 0x4
	buffer_load_dword v36, off, s[0:3], 0 offset:492
	buffer_load_dword v59, off, s[0:3], 0 offset:504
	;; [unrolled: 1-line block ×5, first 2 shown]
	s_waitcnt vmcnt(57) lgkmcnt(0)
	v_mul_f64 v[129:130], v[1:2], v[63:64]
	v_mul_f64 v[62:63], v[3:4], v[63:64]
	s_waitcnt vmcnt(56)
	v_fma_f64 v[47:48], v[5:6], v[49:50], -v[47:48]
	ds_read_b128 v[9:12], v70 offset:1232
	v_fma_f64 v[43:44], v[7:8], v[49:50], v[43:44]
	v_add_f64 v[21:22], v[21:22], v[55:56]
	v_add_f64 v[13:14], v[13:14], v[39:40]
	s_clause 0x2
	buffer_load_dword v60, off, s[0:3], 0 offset:508
	buffer_load_dword v40, off, s[0:3], 0 offset:484
	;; [unrolled: 1-line block ×3, first 2 shown]
	ds_read_b128 v[5:8], v70 offset:1248
	s_waitcnt vmcnt(58) lgkmcnt(1)
	v_mul_f64 v[55:56], v[11:12], v[65:66]
	s_waitcnt vmcnt(56)
	v_fma_f64 v[63:64], v[1:2], v[67:68], -v[62:63]
	v_mul_f64 v[49:50], v[9:10], v[65:66]
	v_add_f64 v[21:22], v[21:22], v[47:48]
	v_fma_f64 v[47:48], v[3:4], v[67:68], v[129:130]
	v_add_f64 v[13:14], v[13:14], v[43:44]
	s_clause 0x4
	buffer_load_dword v44, off, s[0:3], 0 offset:524
	buffer_load_dword v65, off, s[0:3], 0 offset:536
	;; [unrolled: 1-line block ×5, first 2 shown]
	s_waitcnt vmcnt(57) lgkmcnt(0)
	v_mul_f64 v[129:130], v[5:6], v[95:96]
	v_mul_f64 v[95:96], v[7:8], v[95:96]
	s_waitcnt vmcnt(56)
	v_fma_f64 v[55:56], v[9:10], v[57:58], -v[55:56]
	ds_read_b128 v[1:4], v70 offset:1264
	v_fma_f64 v[49:50], v[11:12], v[57:58], v[49:50]
	v_add_f64 v[21:22], v[21:22], v[63:64]
	v_add_f64 v[13:14], v[13:14], v[47:48]
	s_clause 0x2
	buffer_load_dword v66, off, s[0:3], 0 offset:540
	buffer_load_dword v48, off, s[0:3], 0 offset:516
	buffer_load_dword v47, off, s[0:3], 0 offset:512
	ds_read_b128 v[9:12], v70 offset:1280
	s_waitcnt vmcnt(58) lgkmcnt(1)
	v_mul_f64 v[63:64], v[3:4], v[97:98]
	v_mul_f64 v[57:58], v[1:2], v[97:98]
	s_waitcnt vmcnt(56)
	v_fma_f64 v[95:96], v[5:6], v[17:18], -v[95:96]
	v_fma_f64 v[17:18], v[7:8], v[17:18], v[129:130]
	v_add_f64 v[21:22], v[21:22], v[55:56]
	v_add_f64 v[13:14], v[13:14], v[49:50]
	s_clause 0x4
	buffer_load_dword v50, off, s[0:3], 0 offset:556
	buffer_load_dword v55, off, s[0:3], 0 offset:568
	;; [unrolled: 1-line block ×5, first 2 shown]
	ds_read_b128 v[5:8], v70 offset:1296
	s_waitcnt vmcnt(57) lgkmcnt(1)
	v_mul_f64 v[129:130], v[9:10], v[15:16]
	v_mul_f64 v[15:16], v[11:12], v[15:16]
	s_waitcnt vmcnt(56)
	v_fma_f64 v[63:64], v[1:2], v[99:100], -v[63:64]
	v_fma_f64 v[57:58], v[3:4], v[99:100], v[57:58]
	v_add_f64 v[21:22], v[21:22], v[95:96]
	v_add_f64 v[13:14], v[13:14], v[17:18]
	s_clause 0x2
	buffer_load_dword v56, off, s[0:3], 0 offset:572
	buffer_load_dword v18, off, s[0:3], 0 offset:548
	;; [unrolled: 1-line block ×3, first 2 shown]
	s_waitcnt vmcnt(58) lgkmcnt(0)
	v_mul_f64 v[99:100], v[7:8], v[117:118]
	ds_read_b128 v[1:4], v70 offset:1312
	v_mul_f64 v[95:96], v[5:6], v[117:118]
	s_waitcnt vmcnt(56)
	v_fma_f64 v[15:16], v[9:10], v[73:74], -v[15:16]
	v_add_f64 v[21:22], v[21:22], v[63:64]
	v_fma_f64 v[63:64], v[11:12], v[73:74], v[129:130]
	v_add_f64 v[13:14], v[13:14], v[57:58]
	s_clause 0x4
	buffer_load_dword v58, off, s[0:3], 0 offset:588
	buffer_load_dword v73, off, s[0:3], 0 offset:600
	;; [unrolled: 1-line block ×5, first 2 shown]
	ds_read_b128 v[9:12], v70 offset:1328
	s_waitcnt vmcnt(57) lgkmcnt(1)
	v_mul_f64 v[129:130], v[1:2], v[33:34]
	v_mul_f64 v[33:34], v[3:4], v[33:34]
	s_waitcnt vmcnt(56)
	v_fma_f64 v[99:100], v[5:6], v[119:120], -v[99:100]
	v_add_f64 v[15:16], v[21:22], v[15:16]
	v_fma_f64 v[21:22], v[7:8], v[119:120], v[95:96]
	v_add_f64 v[13:14], v[13:14], v[63:64]
	s_clause 0x2
	buffer_load_dword v74, off, s[0:3], 0 offset:604
	buffer_load_dword v64, off, s[0:3], 0 offset:580
	;; [unrolled: 1-line block ×3, first 2 shown]
	ds_read_b128 v[5:8], v70 offset:1344
	s_waitcnt vmcnt(58) lgkmcnt(1)
	v_mul_f64 v[95:96], v[9:10], v[93:94]
	v_mul_f64 v[93:94], v[11:12], v[93:94]
	s_waitcnt vmcnt(56)
	v_fma_f64 v[33:34], v[1:2], v[27:28], -v[33:34]
	v_fma_f64 v[27:28], v[3:4], v[27:28], v[129:130]
	v_add_f64 v[15:16], v[15:16], v[99:100]
	v_add_f64 v[13:14], v[13:14], v[21:22]
	s_clause 0x4
	buffer_load_dword v22, off, s[0:3], 0 offset:620
	buffer_load_dword v99, off, s[0:3], 0 offset:632
	;; [unrolled: 1-line block ×5, first 2 shown]
	ds_read_b128 v[1:4], v70 offset:1360
	s_waitcnt vmcnt(57) lgkmcnt(1)
	v_mul_f64 v[129:130], v[5:6], v[19:20]
	v_mul_f64 v[19:20], v[7:8], v[19:20]
	s_waitcnt vmcnt(56)
	v_fma_f64 v[93:94], v[9:10], v[111:112], -v[93:94]
	v_add_f64 v[15:16], v[15:16], v[33:34]
	v_fma_f64 v[33:34], v[11:12], v[111:112], v[95:96]
	v_add_f64 v[13:14], v[13:14], v[27:28]
	s_clause 0x2
	buffer_load_dword v100, off, s[0:3], 0 offset:636
	buffer_load_dword v28, off, s[0:3], 0 offset:612
	;; [unrolled: 1-line block ×3, first 2 shown]
	ds_read_b128 v[9:12], v70 offset:1376
	s_waitcnt vmcnt(58) lgkmcnt(1)
	v_mul_f64 v[95:96], v[1:2], v[37:38]
	v_mul_f64 v[37:38], v[3:4], v[37:38]
	s_waitcnt vmcnt(56)
	v_fma_f64 v[19:20], v[5:6], v[25:26], -v[19:20]
	v_fma_f64 v[25:26], v[7:8], v[25:26], v[129:130]
	v_add_f64 v[15:16], v[15:16], v[93:94]
	v_add_f64 v[13:14], v[13:14], v[33:34]
	s_clause 0x4
	buffer_load_dword v34, off, s[0:3], 0 offset:652
	buffer_load_dword v93, off, s[0:3], 0 offset:664
	;; [unrolled: 1-line block ×5, first 2 shown]
	ds_read_b128 v[5:8], v70 offset:1392
	s_waitcnt vmcnt(57) lgkmcnt(1)
	v_mul_f64 v[129:130], v[9:10], v[23:24]
	v_mul_f64 v[23:24], v[11:12], v[23:24]
	s_waitcnt vmcnt(56)
	v_fma_f64 v[37:38], v[1:2], v[109:110], -v[37:38]
	v_add_f64 v[15:16], v[15:16], v[19:20]
	v_fma_f64 v[19:20], v[3:4], v[109:110], v[95:96]
	v_add_f64 v[13:14], v[13:14], v[25:26]
	s_clause 0x2
	buffer_load_dword v94, off, s[0:3], 0 offset:668
	buffer_load_dword v26, off, s[0:3], 0 offset:644
	;; [unrolled: 1-line block ×3, first 2 shown]
	s_waitcnt vmcnt(58) lgkmcnt(0)
	v_mul_f64 v[95:96], v[5:6], v[45:46]
	v_mul_f64 v[45:46], v[7:8], v[45:46]
	ds_read_b128 v[1:4], v70 offset:1408
	s_waitcnt vmcnt(56)
	v_fma_f64 v[23:24], v[9:10], v[31:32], -v[23:24]
	v_fma_f64 v[31:32], v[11:12], v[31:32], v[129:130]
	v_add_f64 v[15:16], v[15:16], v[37:38]
	v_add_f64 v[13:14], v[13:14], v[19:20]
	s_clause 0x4
	buffer_load_dword v20, off, s[0:3], 0 offset:684
	buffer_load_dword v37, off, s[0:3], 0 offset:696
	;; [unrolled: 1-line block ×5, first 2 shown]
	ds_read_b128 v[9:12], v70 offset:1424
	s_waitcnt vmcnt(57) lgkmcnt(1)
	v_mul_f64 v[129:130], v[1:2], v[29:30]
	v_mul_f64 v[29:30], v[3:4], v[29:30]
	s_waitcnt vmcnt(56)
	v_fma_f64 v[45:46], v[5:6], v[71:72], -v[45:46]
	v_add_f64 v[15:16], v[15:16], v[23:24]
	v_fma_f64 v[23:24], v[7:8], v[71:72], v[95:96]
	v_add_f64 v[13:14], v[13:14], v[31:32]
	s_clause 0x2
	buffer_load_dword v38, off, s[0:3], 0 offset:700
	buffer_load_dword v32, off, s[0:3], 0 offset:676
	;; [unrolled: 1-line block ×3, first 2 shown]
	s_waitcnt vmcnt(58) lgkmcnt(0)
	v_mul_f64 v[71:72], v[9:10], v[51:52]
	v_mul_f64 v[51:52], v[11:12], v[51:52]
	ds_read_b128 v[5:8], v70 offset:1440
	s_waitcnt vmcnt(56)
	v_fma_f64 v[29:30], v[1:2], v[41:42], -v[29:30]
	v_fma_f64 v[41:42], v[3:4], v[41:42], v[129:130]
	v_add_f64 v[15:16], v[15:16], v[45:46]
	v_add_f64 v[13:14], v[13:14], v[23:24]
	s_clause 0x4
	buffer_load_dword v24, off, s[0:3], 0 offset:716
	buffer_load_dword v45, off, s[0:3], 0 offset:728
	buffer_load_dword v95, off, s[0:3], 0 offset:720
	buffer_load_dword v23, off, s[0:3], 0 offset:712
	buffer_load_dword v110, off, s[0:3], 0 offset:692
	ds_read_b128 v[1:4], v70 offset:1456
	s_waitcnt vmcnt(57) lgkmcnt(1)
	v_mul_f64 v[129:130], v[5:6], v[35:36]
	v_mul_f64 v[35:36], v[7:8], v[35:36]
	s_waitcnt vmcnt(56)
	v_fma_f64 v[51:52], v[9:10], v[53:54], -v[51:52]
	v_add_f64 v[15:16], v[15:16], v[29:30]
	v_fma_f64 v[29:30], v[11:12], v[53:54], v[71:72]
	v_add_f64 v[13:14], v[13:14], v[41:42]
	s_clause 0x2
	buffer_load_dword v46, off, s[0:3], 0 offset:732
	buffer_load_dword v42, off, s[0:3], 0 offset:708
	buffer_load_dword v41, off, s[0:3], 0 offset:704
	ds_read_b128 v[9:12], v70 offset:1472
	s_waitcnt vmcnt(58) lgkmcnt(1)
	v_mul_f64 v[53:54], v[1:2], v[59:60]
	v_mul_f64 v[59:60], v[3:4], v[59:60]
	s_waitcnt vmcnt(56)
	v_fma_f64 v[35:36], v[5:6], v[39:40], -v[35:36]
	v_fma_f64 v[39:40], v[7:8], v[39:40], v[129:130]
	v_add_f64 v[15:16], v[15:16], v[51:52]
	v_add_f64 v[13:14], v[13:14], v[29:30]
	s_clause 0x4
	buffer_load_dword v30, off, s[0:3], 0 offset:748
	buffer_load_dword v51, off, s[0:3], 0 offset:760
	buffer_load_dword v71, off, s[0:3], 0 offset:752
	buffer_load_dword v29, off, s[0:3], 0 offset:744
	buffer_load_dword v96, off, s[0:3], 0 offset:724
	ds_read_b128 v[5:8], v70 offset:1488
	s_waitcnt vmcnt(57) lgkmcnt(1)
	v_mul_f64 v[129:130], v[9:10], v[43:44]
	v_mul_f64 v[43:44], v[11:12], v[43:44]
	s_waitcnt vmcnt(56)
	v_fma_f64 v[59:60], v[1:2], v[61:62], -v[59:60]
	v_add_f64 v[15:16], v[15:16], v[35:36]
	v_fma_f64 v[35:36], v[3:4], v[61:62], v[53:54]
	v_add_f64 v[13:14], v[13:14], v[39:40]
	s_clause 0x2
	buffer_load_dword v52, off, s[0:3], 0 offset:764
	buffer_load_dword v40, off, s[0:3], 0 offset:740
	buffer_load_dword v39, off, s[0:3], 0 offset:736
	ds_read_b128 v[1:4], v70 offset:1504
	s_waitcnt vmcnt(58) lgkmcnt(1)
	v_mul_f64 v[61:62], v[7:8], v[65:66]
	v_mul_f64 v[53:54], v[5:6], v[65:66]
	;; [unrolled: 28-line block ×4, first 2 shown]
	s_waitcnt vmcnt(56)
	v_fma_f64 v[57:58], v[5:6], v[63:64], -v[57:58]
	v_add_f64 v[15:16], v[15:16], v[55:56]
	v_fma_f64 v[55:56], v[7:8], v[63:64], v[129:130]
	v_add_f64 v[13:14], v[13:14], v[49:50]
	s_clause 0x4
	buffer_load_dword v50, off, s[0:3], 0 offset:844
	buffer_load_dword v63, off, s[0:3], 0 offset:856
	;; [unrolled: 1-line block ×5, first 2 shown]
	ds_read_b128 v[5:8], v70 offset:1584
	s_waitcnt vmcnt(57) lgkmcnt(1)
	v_mul_f64 v[129:130], v[9:10], v[21:22]
	v_mul_f64 v[21:22], v[11:12], v[21:22]
	s_waitcnt vmcnt(56)
	v_fma_f64 v[73:74], v[1:2], v[117:118], -v[73:74]
	v_fma_f64 v[53:54], v[3:4], v[117:118], v[53:54]
	v_add_f64 v[15:16], v[15:16], v[57:58]
	v_add_f64 v[13:14], v[13:14], v[55:56]
	s_clause 0x2
	buffer_load_dword v64, off, s[0:3], 0 offset:860
	buffer_load_dword v56, off, s[0:3], 0 offset:836
	buffer_load_dword v55, off, s[0:3], 0 offset:832
	ds_read_b128 v[1:4], v70 offset:1600
	s_waitcnt vmcnt(58) lgkmcnt(1)
	v_mul_f64 v[57:58], v[5:6], v[99:100]
	v_mul_f64 v[99:100], v[7:8], v[99:100]
	s_waitcnt vmcnt(56)
	v_fma_f64 v[21:22], v[9:10], v[27:28], -v[21:22]
	v_fma_f64 v[27:28], v[11:12], v[27:28], v[129:130]
	v_add_f64 v[15:16], v[15:16], v[73:74]
	v_add_f64 v[13:14], v[13:14], v[53:54]
	s_clause 0x4
	buffer_load_dword v54, off, s[0:3], 0 offset:876
	buffer_load_dword v73, off, s[0:3], 0 offset:888
	buffer_load_dword v117, off, s[0:3], 0 offset:880
	buffer_load_dword v53, off, s[0:3], 0 offset:872
	buffer_load_dword v98, off, s[0:3], 0 offset:852
	ds_read_b128 v[9:12], v70 offset:1616
	s_waitcnt vmcnt(57) lgkmcnt(1)
	v_mul_f64 v[129:130], v[1:2], v[33:34]
	v_mul_f64 v[33:34], v[3:4], v[33:34]
	s_waitcnt vmcnt(56)
	v_fma_f64 v[99:100], v[5:6], v[119:120], -v[99:100]
	v_add_f64 v[15:16], v[15:16], v[21:22]
	v_fma_f64 v[21:22], v[7:8], v[119:120], v[57:58]
	v_add_f64 v[13:14], v[13:14], v[27:28]
	s_clause 0x2
	buffer_load_dword v74, off, s[0:3], 0 offset:892
	buffer_load_dword v28, off, s[0:3], 0 offset:868
	buffer_load_dword v27, off, s[0:3], 0 offset:864
	ds_read_b128 v[5:8], v70 offset:1632
	s_waitcnt vmcnt(58) lgkmcnt(1)
	v_mul_f64 v[57:58], v[9:10], v[93:94]
	v_mul_f64 v[93:94], v[11:12], v[93:94]
	s_waitcnt vmcnt(56)
	v_fma_f64 v[33:34], v[1:2], v[25:26], -v[33:34]
	v_fma_f64 v[25:26], v[3:4], v[25:26], v[129:130]
	v_add_f64 v[15:16], v[15:16], v[99:100]
	v_add_f64 v[13:14], v[13:14], v[21:22]
	s_clause 0x4
	buffer_load_dword v22, off, s[0:3], 0 offset:908
	buffer_load_dword v99, off, s[0:3], 0 offset:920
	buffer_load_dword v119, off, s[0:3], 0 offset:912
	buffer_load_dword v21, off, s[0:3], 0 offset:904
	buffer_load_dword v118, off, s[0:3], 0 offset:884
	ds_read_b128 v[1:4], v70 offset:1648
	s_waitcnt vmcnt(57) lgkmcnt(1)
	v_mul_f64 v[129:130], v[5:6], v[19:20]
	v_mul_f64 v[19:20], v[7:8], v[19:20]
	s_waitcnt vmcnt(56)
	v_fma_f64 v[93:94], v[9:10], v[111:112], -v[93:94]
	v_add_f64 v[15:16], v[15:16], v[33:34]
	v_fma_f64 v[33:34], v[11:12], v[111:112], v[57:58]
	;; [unrolled: 28-line block ×3, first 2 shown]
	v_add_f64 v[13:14], v[13:14], v[31:32]
	s_clause 0x2
	buffer_load_dword v94, off, s[0:3], 0 offset:956
	buffer_load_dword v32, off, s[0:3], 0 offset:932
	;; [unrolled: 1-line block ×3, first 2 shown]
	ds_read_b128 v[1:4], v70 offset:1696
	s_waitcnt vmcnt(58) lgkmcnt(1)
	v_mul_f64 v[57:58], v[5:6], v[45:46]
	v_mul_f64 v[45:46], v[7:8], v[45:46]
	s_waitcnt vmcnt(56)
	v_fma_f64 v[23:24], v[9:10], v[41:42], -v[23:24]
	v_add_f64 v[15:16], v[15:16], v[37:38]
	v_fma_f64 v[37:38], v[11:12], v[41:42], v[129:130]
	v_add_f64 v[13:14], v[13:14], v[19:20]
	s_clause 0x4
	buffer_load_dword v20, off, s[0:3], 0 offset:972
	buffer_load_dword v41, off, s[0:3], 0 offset:984
	;; [unrolled: 1-line block ×5, first 2 shown]
	ds_read_b128 v[9:12], v70 offset:1712
	s_waitcnt vmcnt(57) lgkmcnt(1)
	v_mul_f64 v[129:130], v[1:2], v[29:30]
	v_mul_f64 v[29:30], v[3:4], v[29:30]
	s_waitcnt vmcnt(56)
	v_fma_f64 v[45:46], v[5:6], v[95:96], -v[45:46]
	v_add_f64 v[15:16], v[15:16], v[23:24]
	v_fma_f64 v[23:24], v[7:8], v[95:96], v[57:58]
	v_add_f64 v[13:14], v[13:14], v[37:38]
	s_clause 0x2
	buffer_load_dword v42, off, s[0:3], 0 offset:988
	buffer_load_dword v38, off, s[0:3], 0 offset:964
	;; [unrolled: 1-line block ×3, first 2 shown]
	ds_read_b128 v[5:8], v70 offset:1728
	buffer_load_dword v110, off, s[0:3], 0 offset:980
	s_waitcnt vmcnt(59) lgkmcnt(1)
	v_mul_f64 v[57:58], v[9:10], v[51:52]
	v_mul_f64 v[51:52], v[11:12], v[51:52]
	s_waitcnt vmcnt(57)
	v_fma_f64 v[29:30], v[1:2], v[39:40], -v[29:30]
	v_fma_f64 v[39:40], v[3:4], v[39:40], v[129:130]
	ds_read_b128 v[1:4], v70 offset:1744
	v_add_f64 v[15:16], v[15:16], v[45:46]
	v_add_f64 v[13:14], v[13:14], v[23:24]
	s_waitcnt vmcnt(53) lgkmcnt(1)
	v_mul_f64 v[23:24], v[5:6], v[35:36]
	v_mul_f64 v[35:36], v[7:8], v[35:36]
	s_waitcnt vmcnt(52)
	v_fma_f64 v[45:46], v[9:10], v[71:72], -v[51:52]
	v_add_f64 v[15:16], v[15:16], v[29:30]
	v_fma_f64 v[29:30], v[11:12], v[71:72], v[57:58]
	v_add_f64 v[13:14], v[13:14], v[39:40]
	ds_read_b128 v[9:12], v70 offset:1760
	s_waitcnt vmcnt(51) lgkmcnt(1)
	v_mul_f64 v[51:52], v[3:4], v[59:60]
	v_mul_f64 v[39:40], v[1:2], v[59:60]
	s_waitcnt vmcnt(49)
	v_fma_f64 v[35:36], v[5:6], v[47:48], -v[35:36]
	v_fma_f64 v[23:24], v[7:8], v[47:48], v[23:24]
	v_add_f64 v[15:16], v[15:16], v[45:46]
	v_add_f64 v[13:14], v[13:14], v[29:30]
	s_clause 0x3
	buffer_load_dword v29, off, s[0:3], 0 offset:32
	buffer_load_dword v30, off, s[0:3], 0 offset:36
	buffer_load_dword v45, off, s[0:3], 0 offset:40
	buffer_load_dword v46, off, s[0:3], 0 offset:44
	ds_read_b128 v[5:8], v70 offset:1776
	s_waitcnt vmcnt(49) lgkmcnt(1)
	v_mul_f64 v[47:48], v[9:10], v[43:44]
	v_mul_f64 v[43:44], v[11:12], v[43:44]
	s_waitcnt vmcnt(48)
	v_fma_f64 v[51:52], v[1:2], v[65:66], -v[51:52]
	v_add_f64 v[15:16], v[15:16], v[35:36]
	v_fma_f64 v[35:36], v[3:4], v[65:66], v[39:40]
	v_add_f64 v[13:14], v[13:14], v[23:24]
	ds_read_b128 v[1:4], v70 offset:1792
	s_waitcnt vmcnt(47) lgkmcnt(1)
	v_mul_f64 v[39:40], v[7:8], v[61:62]
	v_mul_f64 v[23:24], v[5:6], v[61:62]
	s_waitcnt vmcnt(45)
	v_fma_f64 v[43:44], v[9:10], v[17:18], -v[43:44]
	v_fma_f64 v[17:18], v[11:12], v[17:18], v[47:48]
	ds_read_b128 v[9:12], v70 offset:1808
	v_add_f64 v[15:16], v[15:16], v[51:52]
	v_add_f64 v[13:14], v[13:14], v[35:36]
	s_waitcnt vmcnt(41) lgkmcnt(1)
	v_mul_f64 v[47:48], v[3:4], v[49:50]
	s_waitcnt vmcnt(40)
	v_fma_f64 v[39:40], v[5:6], v[67:68], -v[39:40]
	v_mul_f64 v[35:36], v[1:2], v[49:50]
	v_fma_f64 v[23:24], v[7:8], v[67:68], v[23:24]
	ds_read_b128 v[5:8], v70 offset:1824
	v_add_f64 v[15:16], v[15:16], v[43:44]
	v_add_f64 v[13:14], v[13:14], v[17:18]
	s_waitcnt vmcnt(39) lgkmcnt(1)
	v_mul_f64 v[43:44], v[11:12], v[63:64]
	v_mul_f64 v[17:18], v[9:10], v[63:64]
	s_waitcnt vmcnt(37)
	v_fma_f64 v[47:48], v[1:2], v[55:56], -v[47:48]
	v_fma_f64 v[35:36], v[3:4], v[55:56], v[35:36]
	ds_read_b128 v[1:4], v70 offset:1840
	v_add_f64 v[15:16], v[15:16], v[39:40]
	v_add_f64 v[13:14], v[13:14], v[23:24]
	s_waitcnt vmcnt(33) lgkmcnt(1)
	v_mul_f64 v[39:40], v[7:8], v[53:54]
	s_waitcnt vmcnt(32)
	v_fma_f64 v[43:44], v[9:10], v[97:98], -v[43:44]
	v_mul_f64 v[23:24], v[5:6], v[53:54]
	v_fma_f64 v[17:18], v[11:12], v[97:98], v[17:18]
	ds_read_b128 v[9:12], v70 offset:1856
	v_add_f64 v[15:16], v[15:16], v[47:48]
	v_add_f64 v[13:14], v[13:14], v[35:36]
	s_waitcnt vmcnt(31) lgkmcnt(1)
	v_mul_f64 v[47:48], v[3:4], v[73:74]
	v_mul_f64 v[35:36], v[1:2], v[73:74]
	s_waitcnt vmcnt(29)
	v_fma_f64 v[39:40], v[5:6], v[27:28], -v[39:40]
	v_fma_f64 v[23:24], v[7:8], v[27:28], v[23:24]
	ds_read_b128 v[5:8], v70 offset:1872
	v_add_f64 v[15:16], v[15:16], v[43:44]
	v_add_f64 v[13:14], v[13:14], v[17:18]
	s_waitcnt vmcnt(25) lgkmcnt(1)
	v_mul_f64 v[17:18], v[9:10], v[21:22]
	v_mul_f64 v[21:22], v[11:12], v[21:22]
	s_waitcnt vmcnt(24)
	v_fma_f64 v[27:28], v[1:2], v[117:118], -v[47:48]
	;; [unrolled: 9-line block ×4, first 2 shown]
	v_add_f64 v[15:16], v[15:16], v[21:22]
	v_fma_f64 v[21:22], v[7:8], v[119:120], v[23:24]
	v_add_f64 v[13:14], v[13:14], v[17:18]
	ds_read_b128 v[5:8], v70 offset:1920
	s_waitcnt vmcnt(15) lgkmcnt(1)
	v_mul_f64 v[23:24], v[11:12], v[93:94]
	v_mul_f64 v[17:18], v[9:10], v[93:94]
	s_waitcnt vmcnt(13)
	v_fma_f64 v[27:28], v[1:2], v[31:32], -v[27:28]
	v_fma_f64 v[25:26], v[3:4], v[31:32], v[25:26]
	ds_read_b128 v[1:4], v70 offset:1936
	v_add_f64 v[15:16], v[15:16], v[33:34]
	v_add_f64 v[13:14], v[13:14], v[21:22]
	s_waitcnt vmcnt(9) lgkmcnt(1)
	v_mul_f64 v[21:22], v[5:6], v[19:20]
	v_mul_f64 v[19:20], v[7:8], v[19:20]
	s_waitcnt vmcnt(8)
	v_fma_f64 v[9:10], v[9:10], v[111:112], -v[23:24]
	v_fma_f64 v[11:12], v[11:12], v[111:112], v[17:18]
	v_add_f64 v[15:16], v[15:16], v[27:28]
	v_add_f64 v[13:14], v[13:14], v[25:26]
	s_waitcnt vmcnt(7) lgkmcnt(0)
	v_mul_f64 v[23:24], v[3:4], v[41:42]
	v_mul_f64 v[17:18], v[1:2], v[41:42]
	s_waitcnt vmcnt(5)
	v_fma_f64 v[5:6], v[5:6], v[37:38], -v[19:20]
	v_fma_f64 v[7:8], v[7:8], v[37:38], v[21:22]
	v_add_f64 v[9:10], v[15:16], v[9:10]
	v_add_f64 v[11:12], v[13:14], v[11:12]
	s_waitcnt vmcnt(4)
	v_fma_f64 v[1:2], v[1:2], v[109:110], -v[23:24]
	v_fma_f64 v[3:4], v[3:4], v[109:110], v[17:18]
	v_add_f64 v[5:6], v[9:10], v[5:6]
	v_add_f64 v[7:8], v[11:12], v[7:8]
	;; [unrolled: 1-line block ×4, first 2 shown]
	s_waitcnt vmcnt(2)
	v_add_f64 v[1:2], v[29:30], -v[1:2]
	s_waitcnt vmcnt(0)
	v_add_f64 v[3:4], v[45:46], -v[3:4]
	buffer_store_dword v2, off, s[0:3], 0 offset:36
	buffer_store_dword v1, off, s[0:3], 0 offset:32
	;; [unrolled: 1-line block ×4, first 2 shown]
	v_cmpx_ne_u32_e32 0, v0
	s_cbranch_execz .LBB60_391
; %bb.390:
	s_clause 0x3
	buffer_load_dword v0, off, s[0:3], 0 offset:16
	buffer_load_dword v1, off, s[0:3], 0 offset:20
	buffer_load_dword v2, off, s[0:3], 0 offset:24
	buffer_load_dword v3, off, s[0:3], 0 offset:28
	buffer_store_dword v70, off, s[0:3], 0 offset:16
	buffer_store_dword v70, off, s[0:3], 0 offset:20
	;; [unrolled: 1-line block ×4, first 2 shown]
	s_waitcnt vmcnt(0)
	ds_write_b128 v69, v[0:3]
.LBB60_391:
	s_or_b32 exec_lo, exec_lo, s4
	s_waitcnt lgkmcnt(0)
	s_waitcnt_vscnt null, 0x0
	s_barrier
	buffer_gl0_inv
	s_clause 0x37
	buffer_load_dword v16, off, s[0:3], 0 offset:40
	buffer_load_dword v17, off, s[0:3], 0 offset:44
	;; [unrolled: 1-line block ×56, first 2 shown]
	ds_read_b128 v[4:7], v70 offset:992
	s_clause 0x2
	buffer_load_dword v65, off, s[0:3], 0 offset:268
	buffer_load_dword v67, off, s[0:3], 0 offset:244
	;; [unrolled: 1-line block ×3, first 2 shown]
	ds_read_b128 v[0:3], v70 offset:1008
	s_clause 0x4
	buffer_load_dword v94, off, s[0:3], 0 offset:284
	buffer_load_dword v95, off, s[0:3], 0 offset:296
	;; [unrolled: 1-line block ×5, first 2 shown]
	ds_read_b128 v[71:74], v70 offset:1024
	v_mov_b32_e32 v146, v194
	v_mov_b32_e32 v147, v195
	;; [unrolled: 1-line block ×12, first 2 shown]
	s_and_b32 vcc_lo, exec_lo, s75
	s_waitcnt vmcnt(62) lgkmcnt(2)
	v_mul_f64 v[68:69], v[6:7], v[16:17]
	v_mul_f64 v[16:17], v[4:5], v[16:17]
	s_waitcnt vmcnt(60) lgkmcnt(1)
	v_mul_f64 v[98:99], v[2:3], v[12:13]
	v_mul_f64 v[12:13], v[0:1], v[12:13]
	s_waitcnt vmcnt(56) lgkmcnt(0)
	v_mul_f64 v[109:110], v[71:72], v[10:11]
	v_mul_f64 v[10:11], v[73:74], v[10:11]
	v_fma_f64 v[68:69], v[4:5], v[14:15], -v[68:69]
	v_fma_f64 v[14:15], v[6:7], v[14:15], v[16:17]
	s_clause 0x2
	buffer_load_dword v96, off, s[0:3], 0 offset:300
	buffer_load_dword v17, off, s[0:3], 0 offset:276
	;; [unrolled: 1-line block ×3, first 2 shown]
	s_waitcnt vmcnt(57)
	v_fma_f64 v[99:100], v[0:1], v[8:9], -v[98:99]
	ds_read_b128 v[4:7], v70 offset:1040
	v_fma_f64 v[8:9], v[2:3], v[8:9], v[12:13]
	s_waitcnt vmcnt(51)
	v_fma_f64 v[71:72], v[71:72], v[32:33], -v[10:11]
	v_fma_f64 v[32:33], v[73:74], v[32:33], v[109:110]
	v_add_f64 v[68:69], v[68:69], 0
	v_add_f64 v[12:13], v[14:15], 0
	s_clause 0x4
	buffer_load_dword v15, off, s[0:3], 0 offset:316
	buffer_load_dword v111, off, s[0:3], 0 offset:328
	;; [unrolled: 1-line block ×5, first 2 shown]
	s_waitcnt lgkmcnt(0)
	v_mul_f64 v[118:119], v[4:5], v[20:21]
	v_mul_f64 v[20:21], v[6:7], v[20:21]
	ds_read_b128 v[0:3], v70 offset:1056
	s_clause 0x2
	buffer_load_dword v112, off, s[0:3], 0 offset:332
	buffer_load_dword v74, off, s[0:3], 0 offset:308
	;; [unrolled: 1-line block ×3, first 2 shown]
	v_add_f64 v[68:69], v[68:69], v[99:100]
	v_add_f64 v[12:13], v[12:13], v[8:9]
	ds_read_b128 v[8:11], v70 offset:1072
	s_waitcnt vmcnt(58) lgkmcnt(1)
	v_mul_f64 v[99:100], v[0:1], v[24:25]
	v_mul_f64 v[24:25], v[2:3], v[24:25]
	s_waitcnt vmcnt(56)
	v_fma_f64 v[20:21], v[4:5], v[26:27], -v[20:21]
	v_fma_f64 v[26:27], v[6:7], v[26:27], v[118:119]
	s_waitcnt vmcnt(52) lgkmcnt(0)
	v_mul_f64 v[119:120], v[8:9], v[28:29]
	v_add_f64 v[68:69], v[68:69], v[71:72]
	v_add_f64 v[12:13], v[12:13], v[32:33]
	s_clause 0x4
	buffer_load_dword v33, off, s[0:3], 0 offset:348
	buffer_load_dword v71, off, s[0:3], 0 offset:360
	buffer_load_dword v109, off, s[0:3], 0 offset:352
	buffer_load_dword v32, off, s[0:3], 0 offset:344
	buffer_load_dword v118, off, s[0:3], 0 offset:324
	v_mul_f64 v[28:29], v[10:11], v[28:29]
	s_waitcnt vmcnt(56)
	v_fma_f64 v[24:25], v[0:1], v[18:19], -v[24:25]
	ds_read_b128 v[4:7], v70 offset:1088
	v_fma_f64 v[18:19], v[2:3], v[18:19], v[99:100]
	v_add_f64 v[20:21], v[68:69], v[20:21]
	v_add_f64 v[12:13], v[12:13], v[26:27]
	s_clause 0x2
	buffer_load_dword v72, off, s[0:3], 0 offset:364
	buffer_load_dword v27, off, s[0:3], 0 offset:340
	;; [unrolled: 1-line block ×3, first 2 shown]
	s_waitcnt vmcnt(58) lgkmcnt(0)
	v_mul_f64 v[68:69], v[4:5], v[34:35]
	v_mul_f64 v[34:35], v[6:7], v[34:35]
	s_waitcnt vmcnt(56)
	v_fma_f64 v[28:29], v[8:9], v[36:37], -v[28:29]
	ds_read_b128 v[0:3], v70 offset:1104
	v_add_f64 v[20:21], v[20:21], v[24:25]
	v_fma_f64 v[24:25], v[10:11], v[36:37], v[119:120]
	v_add_f64 v[12:13], v[12:13], v[18:19]
	s_clause 0x4
	buffer_load_dword v19, off, s[0:3], 0 offset:380
	buffer_load_dword v36, off, s[0:3], 0 offset:392
	;; [unrolled: 1-line block ×5, first 2 shown]
	s_waitcnt vmcnt(57) lgkmcnt(0)
	v_mul_f64 v[119:120], v[0:1], v[38:39]
	v_mul_f64 v[38:39], v[2:3], v[38:39]
	s_waitcnt vmcnt(56)
	v_fma_f64 v[34:35], v[4:5], v[22:23], -v[34:35]
	ds_read_b128 v[8:11], v70 offset:1120
	v_fma_f64 v[22:23], v[6:7], v[22:23], v[68:69]
	v_add_f64 v[20:21], v[20:21], v[28:29]
	v_add_f64 v[12:13], v[12:13], v[24:25]
	s_clause 0x2
	buffer_load_dword v37, off, s[0:3], 0 offset:396
	buffer_load_dword v25, off, s[0:3], 0 offset:372
	;; [unrolled: 1-line block ×3, first 2 shown]
	ds_read_b128 v[4:7], v70 offset:1136
	s_waitcnt vmcnt(58) lgkmcnt(1)
	v_mul_f64 v[28:29], v[8:9], v[42:43]
	v_mul_f64 v[42:43], v[10:11], v[42:43]
	s_waitcnt vmcnt(56)
	v_fma_f64 v[38:39], v[0:1], v[44:45], -v[38:39]
	v_add_f64 v[20:21], v[20:21], v[34:35]
	v_fma_f64 v[34:35], v[2:3], v[44:45], v[119:120]
	v_add_f64 v[12:13], v[12:13], v[22:23]
	s_clause 0x4
	buffer_load_dword v23, off, s[0:3], 0 offset:412
	buffer_load_dword v44, off, s[0:3], 0 offset:424
	;; [unrolled: 1-line block ×5, first 2 shown]
	s_waitcnt vmcnt(57) lgkmcnt(0)
	v_mul_f64 v[119:120], v[4:5], v[46:47]
	v_mul_f64 v[46:47], v[6:7], v[46:47]
	s_waitcnt vmcnt(56)
	v_fma_f64 v[42:43], v[8:9], v[30:31], -v[42:43]
	ds_read_b128 v[0:3], v70 offset:1152
	v_fma_f64 v[28:29], v[10:11], v[30:31], v[28:29]
	s_clause 0x2
	buffer_load_dword v45, off, s[0:3], 0 offset:428
	buffer_load_dword v31, off, s[0:3], 0 offset:404
	;; [unrolled: 1-line block ×3, first 2 shown]
	ds_read_b128 v[8:11], v70 offset:1168
	v_add_f64 v[20:21], v[20:21], v[38:39]
	v_add_f64 v[12:13], v[12:13], v[34:35]
	s_waitcnt vmcnt(58) lgkmcnt(1)
	v_mul_f64 v[38:39], v[2:3], v[50:51]
	s_waitcnt vmcnt(56)
	v_fma_f64 v[46:47], v[4:5], v[52:53], -v[46:47]
	v_mul_f64 v[34:35], v[0:1], v[50:51]
	v_add_f64 v[20:21], v[20:21], v[42:43]
	v_fma_f64 v[42:43], v[6:7], v[52:53], v[119:120]
	v_add_f64 v[12:13], v[12:13], v[28:29]
	s_clause 0x4
	buffer_load_dword v29, off, s[0:3], 0 offset:444
	buffer_load_dword v50, off, s[0:3], 0 offset:456
	;; [unrolled: 1-line block ×5, first 2 shown]
	s_waitcnt vmcnt(57) lgkmcnt(0)
	v_mul_f64 v[119:120], v[8:9], v[54:55]
	v_mul_f64 v[53:54], v[10:11], v[54:55]
	s_waitcnt vmcnt(56)
	v_fma_f64 v[38:39], v[0:1], v[40:41], -v[38:39]
	ds_read_b128 v[4:7], v70 offset:1184
	v_fma_f64 v[34:35], v[2:3], v[40:41], v[34:35]
	s_clause 0x2
	buffer_load_dword v51, off, s[0:3], 0 offset:460
	buffer_load_dword v41, off, s[0:3], 0 offset:436
	;; [unrolled: 1-line block ×3, first 2 shown]
	ds_read_b128 v[0:3], v70 offset:1200
	v_add_f64 v[20:21], v[20:21], v[46:47]
	v_add_f64 v[12:13], v[12:13], v[42:43]
	s_waitcnt vmcnt(58) lgkmcnt(1)
	v_mul_f64 v[46:47], v[6:7], v[58:59]
	s_waitcnt vmcnt(56)
	v_fma_f64 v[54:55], v[8:9], v[60:61], -v[53:54]
	v_mul_f64 v[42:43], v[4:5], v[58:59]
	v_add_f64 v[20:21], v[20:21], v[38:39]
	v_fma_f64 v[38:39], v[10:11], v[60:61], v[119:120]
	v_add_f64 v[12:13], v[12:13], v[34:35]
	s_clause 0x4
	buffer_load_dword v35, off, s[0:3], 0 offset:476
	buffer_load_dword v58, off, s[0:3], 0 offset:488
	;; [unrolled: 1-line block ×5, first 2 shown]
	s_waitcnt vmcnt(57) lgkmcnt(0)
	v_mul_f64 v[119:120], v[0:1], v[62:63]
	v_mul_f64 v[61:62], v[2:3], v[62:63]
	s_waitcnt vmcnt(56)
	v_fma_f64 v[46:47], v[4:5], v[48:49], -v[46:47]
	ds_read_b128 v[8:11], v70 offset:1216
	v_fma_f64 v[42:43], v[6:7], v[48:49], v[42:43]
	v_add_f64 v[20:21], v[20:21], v[54:55]
	v_add_f64 v[12:13], v[12:13], v[38:39]
	s_clause 0x2
	buffer_load_dword v59, off, s[0:3], 0 offset:492
	buffer_load_dword v39, off, s[0:3], 0 offset:468
	;; [unrolled: 1-line block ×3, first 2 shown]
	ds_read_b128 v[4:7], v70 offset:1232
	s_waitcnt vmcnt(58) lgkmcnt(1)
	v_mul_f64 v[54:55], v[10:11], v[64:65]
	s_waitcnt vmcnt(56)
	v_fma_f64 v[62:63], v[0:1], v[66:67], -v[61:62]
	v_mul_f64 v[48:49], v[8:9], v[64:65]
	v_add_f64 v[20:21], v[20:21], v[46:47]
	v_fma_f64 v[46:47], v[2:3], v[66:67], v[119:120]
	v_add_f64 v[12:13], v[12:13], v[42:43]
	s_clause 0x4
	buffer_load_dword v43, off, s[0:3], 0 offset:508
	buffer_load_dword v64, off, s[0:3], 0 offset:520
	;; [unrolled: 1-line block ×5, first 2 shown]
	s_waitcnt vmcnt(57) lgkmcnt(0)
	v_mul_f64 v[119:120], v[4:5], v[93:94]
	v_mul_f64 v[93:94], v[6:7], v[93:94]
	s_waitcnt vmcnt(56)
	v_fma_f64 v[54:55], v[8:9], v[56:57], -v[54:55]
	ds_read_b128 v[0:3], v70 offset:1248
	v_fma_f64 v[48:49], v[10:11], v[56:57], v[48:49]
	v_add_f64 v[20:21], v[20:21], v[62:63]
	v_add_f64 v[12:13], v[12:13], v[46:47]
	s_clause 0x2
	buffer_load_dword v65, off, s[0:3], 0 offset:524
	buffer_load_dword v47, off, s[0:3], 0 offset:500
	;; [unrolled: 1-line block ×3, first 2 shown]
	ds_read_b128 v[8:11], v70 offset:1264
	s_waitcnt vmcnt(58) lgkmcnt(1)
	v_mul_f64 v[62:63], v[2:3], v[95:96]
	v_mul_f64 v[56:57], v[0:1], v[95:96]
	s_waitcnt vmcnt(56)
	v_fma_f64 v[93:94], v[4:5], v[16:17], -v[93:94]
	v_fma_f64 v[16:17], v[6:7], v[16:17], v[119:120]
	v_add_f64 v[20:21], v[20:21], v[54:55]
	v_add_f64 v[12:13], v[12:13], v[48:49]
	s_clause 0x4
	buffer_load_dword v49, off, s[0:3], 0 offset:540
	buffer_load_dword v54, off, s[0:3], 0 offset:552
	;; [unrolled: 1-line block ×5, first 2 shown]
	ds_read_b128 v[4:7], v70 offset:1280
	s_waitcnt vmcnt(57) lgkmcnt(1)
	v_mul_f64 v[119:120], v[8:9], v[14:15]
	v_mul_f64 v[14:15], v[10:11], v[14:15]
	s_waitcnt vmcnt(56)
	v_fma_f64 v[62:63], v[0:1], v[97:98], -v[62:63]
	v_fma_f64 v[56:57], v[2:3], v[97:98], v[56:57]
	v_add_f64 v[20:21], v[20:21], v[93:94]
	v_add_f64 v[12:13], v[12:13], v[16:17]
	s_clause 0x2
	buffer_load_dword v55, off, s[0:3], 0 offset:556
	buffer_load_dword v17, off, s[0:3], 0 offset:532
	;; [unrolled: 1-line block ×3, first 2 shown]
	s_waitcnt vmcnt(58) lgkmcnt(0)
	v_mul_f64 v[97:98], v[6:7], v[111:112]
	ds_read_b128 v[0:3], v70 offset:1296
	v_mul_f64 v[93:94], v[4:5], v[111:112]
	s_waitcnt vmcnt(56)
	v_fma_f64 v[14:15], v[8:9], v[73:74], -v[14:15]
	v_add_f64 v[20:21], v[20:21], v[62:63]
	v_fma_f64 v[62:63], v[10:11], v[73:74], v[119:120]
	v_add_f64 v[12:13], v[12:13], v[56:57]
	s_clause 0x4
	buffer_load_dword v57, off, s[0:3], 0 offset:572
	buffer_load_dword v73, off, s[0:3], 0 offset:584
	;; [unrolled: 1-line block ×5, first 2 shown]
	ds_read_b128 v[8:11], v70 offset:1312
	s_waitcnt vmcnt(57) lgkmcnt(1)
	v_mul_f64 v[119:120], v[0:1], v[32:33]
	v_mul_f64 v[32:33], v[2:3], v[32:33]
	s_waitcnt vmcnt(56)
	v_fma_f64 v[97:98], v[4:5], v[117:118], -v[97:98]
	v_add_f64 v[14:15], v[20:21], v[14:15]
	v_fma_f64 v[20:21], v[6:7], v[117:118], v[93:94]
	v_add_f64 v[12:13], v[12:13], v[62:63]
	s_clause 0x2
	buffer_load_dword v74, off, s[0:3], 0 offset:588
	buffer_load_dword v63, off, s[0:3], 0 offset:564
	buffer_load_dword v62, off, s[0:3], 0 offset:560
	ds_read_b128 v[4:7], v70 offset:1328
	s_waitcnt vmcnt(58) lgkmcnt(1)
	v_mul_f64 v[93:94], v[8:9], v[71:72]
	v_mul_f64 v[71:72], v[10:11], v[71:72]
	s_waitcnt vmcnt(56)
	v_fma_f64 v[32:33], v[0:1], v[26:27], -v[32:33]
	v_fma_f64 v[26:27], v[2:3], v[26:27], v[119:120]
	v_add_f64 v[14:15], v[14:15], v[97:98]
	v_add_f64 v[12:13], v[12:13], v[20:21]
	s_clause 0x4
	buffer_load_dword v21, off, s[0:3], 0 offset:604
	buffer_load_dword v97, off, s[0:3], 0 offset:616
	;; [unrolled: 1-line block ×5, first 2 shown]
	ds_read_b128 v[0:3], v70 offset:1344
	s_waitcnt vmcnt(57) lgkmcnt(1)
	v_mul_f64 v[118:119], v[4:5], v[18:19]
	v_mul_f64 v[18:19], v[6:7], v[18:19]
	s_waitcnt vmcnt(56)
	v_fma_f64 v[71:72], v[8:9], v[109:110], -v[71:72]
	v_add_f64 v[14:15], v[14:15], v[32:33]
	v_fma_f64 v[32:33], v[10:11], v[109:110], v[93:94]
	v_add_f64 v[12:13], v[12:13], v[26:27]
	s_clause 0x2
	buffer_load_dword v98, off, s[0:3], 0 offset:620
	buffer_load_dword v27, off, s[0:3], 0 offset:596
	;; [unrolled: 1-line block ×3, first 2 shown]
	ds_read_b128 v[8:11], v70 offset:1360
	s_waitcnt vmcnt(58) lgkmcnt(1)
	v_mul_f64 v[93:94], v[0:1], v[36:37]
	v_mul_f64 v[36:37], v[2:3], v[36:37]
	s_waitcnt vmcnt(56)
	v_fma_f64 v[18:19], v[4:5], v[24:25], -v[18:19]
	v_fma_f64 v[24:25], v[6:7], v[24:25], v[118:119]
	v_add_f64 v[14:15], v[14:15], v[71:72]
	v_add_f64 v[12:13], v[12:13], v[32:33]
	s_clause 0x4
	buffer_load_dword v33, off, s[0:3], 0 offset:636
	buffer_load_dword v71, off, s[0:3], 0 offset:648
	;; [unrolled: 1-line block ×5, first 2 shown]
	ds_read_b128 v[4:7], v70 offset:1376
	s_waitcnt vmcnt(57) lgkmcnt(1)
	v_mul_f64 v[119:120], v[8:9], v[22:23]
	v_mul_f64 v[22:23], v[10:11], v[22:23]
	s_waitcnt vmcnt(56)
	v_fma_f64 v[36:37], v[0:1], v[99:100], -v[36:37]
	v_add_f64 v[14:15], v[14:15], v[18:19]
	v_fma_f64 v[18:19], v[2:3], v[99:100], v[93:94]
	v_add_f64 v[12:13], v[12:13], v[24:25]
	s_clause 0x2
	buffer_load_dword v72, off, s[0:3], 0 offset:652
	buffer_load_dword v25, off, s[0:3], 0 offset:628
	;; [unrolled: 1-line block ×3, first 2 shown]
	s_waitcnt vmcnt(58) lgkmcnt(0)
	v_mul_f64 v[93:94], v[4:5], v[44:45]
	v_mul_f64 v[44:45], v[6:7], v[44:45]
	ds_read_b128 v[0:3], v70 offset:1392
	s_waitcnt vmcnt(56)
	v_fma_f64 v[22:23], v[8:9], v[30:31], -v[22:23]
	v_fma_f64 v[30:31], v[10:11], v[30:31], v[119:120]
	v_add_f64 v[14:15], v[14:15], v[36:37]
	v_add_f64 v[12:13], v[12:13], v[18:19]
	s_clause 0x4
	buffer_load_dword v19, off, s[0:3], 0 offset:668
	buffer_load_dword v36, off, s[0:3], 0 offset:680
	;; [unrolled: 1-line block ×5, first 2 shown]
	ds_read_b128 v[8:11], v70 offset:1408
	s_waitcnt vmcnt(57) lgkmcnt(1)
	v_mul_f64 v[119:120], v[0:1], v[28:29]
	v_mul_f64 v[28:29], v[2:3], v[28:29]
	s_waitcnt vmcnt(56)
	v_fma_f64 v[44:45], v[4:5], v[68:69], -v[44:45]
	v_add_f64 v[14:15], v[14:15], v[22:23]
	v_fma_f64 v[22:23], v[6:7], v[68:69], v[93:94]
	v_add_f64 v[12:13], v[12:13], v[30:31]
	s_clause 0x2
	buffer_load_dword v37, off, s[0:3], 0 offset:684
	buffer_load_dword v31, off, s[0:3], 0 offset:660
	;; [unrolled: 1-line block ×3, first 2 shown]
	s_waitcnt vmcnt(58) lgkmcnt(0)
	v_mul_f64 v[68:69], v[8:9], v[50:51]
	v_mul_f64 v[50:51], v[10:11], v[50:51]
	ds_read_b128 v[4:7], v70 offset:1424
	s_waitcnt vmcnt(56)
	v_fma_f64 v[28:29], v[0:1], v[40:41], -v[28:29]
	v_fma_f64 v[40:41], v[2:3], v[40:41], v[119:120]
	v_add_f64 v[14:15], v[14:15], v[44:45]
	v_add_f64 v[12:13], v[12:13], v[22:23]
	s_clause 0x4
	buffer_load_dword v23, off, s[0:3], 0 offset:700
	buffer_load_dword v44, off, s[0:3], 0 offset:712
	buffer_load_dword v93, off, s[0:3], 0 offset:704
	buffer_load_dword v22, off, s[0:3], 0 offset:696
	buffer_load_dword v100, off, s[0:3], 0 offset:676
	ds_read_b128 v[0:3], v70 offset:1440
	s_waitcnt vmcnt(57) lgkmcnt(1)
	v_mul_f64 v[119:120], v[4:5], v[34:35]
	v_mul_f64 v[34:35], v[6:7], v[34:35]
	s_waitcnt vmcnt(56)
	v_fma_f64 v[50:51], v[8:9], v[52:53], -v[50:51]
	v_add_f64 v[14:15], v[14:15], v[28:29]
	v_fma_f64 v[28:29], v[10:11], v[52:53], v[68:69]
	v_add_f64 v[12:13], v[12:13], v[40:41]
	s_clause 0x2
	buffer_load_dword v45, off, s[0:3], 0 offset:716
	buffer_load_dword v41, off, s[0:3], 0 offset:692
	buffer_load_dword v40, off, s[0:3], 0 offset:688
	ds_read_b128 v[8:11], v70 offset:1456
	s_waitcnt vmcnt(58) lgkmcnt(1)
	v_mul_f64 v[52:53], v[0:1], v[58:59]
	v_mul_f64 v[58:59], v[2:3], v[58:59]
	s_waitcnt vmcnt(56)
	v_fma_f64 v[34:35], v[4:5], v[38:39], -v[34:35]
	v_fma_f64 v[38:39], v[6:7], v[38:39], v[119:120]
	v_add_f64 v[14:15], v[14:15], v[50:51]
	v_add_f64 v[12:13], v[12:13], v[28:29]
	s_clause 0x4
	buffer_load_dword v29, off, s[0:3], 0 offset:732
	buffer_load_dword v50, off, s[0:3], 0 offset:744
	buffer_load_dword v68, off, s[0:3], 0 offset:736
	buffer_load_dword v28, off, s[0:3], 0 offset:728
	buffer_load_dword v94, off, s[0:3], 0 offset:708
	ds_read_b128 v[4:7], v70 offset:1472
	s_waitcnt vmcnt(57) lgkmcnt(1)
	v_mul_f64 v[119:120], v[8:9], v[42:43]
	v_mul_f64 v[42:43], v[10:11], v[42:43]
	s_waitcnt vmcnt(56)
	v_fma_f64 v[58:59], v[0:1], v[60:61], -v[58:59]
	v_add_f64 v[14:15], v[14:15], v[34:35]
	v_fma_f64 v[34:35], v[2:3], v[60:61], v[52:53]
	v_add_f64 v[12:13], v[12:13], v[38:39]
	s_clause 0x2
	buffer_load_dword v51, off, s[0:3], 0 offset:748
	buffer_load_dword v39, off, s[0:3], 0 offset:724
	buffer_load_dword v38, off, s[0:3], 0 offset:720
	ds_read_b128 v[0:3], v70 offset:1488
	s_waitcnt vmcnt(58) lgkmcnt(1)
	v_mul_f64 v[60:61], v[6:7], v[64:65]
	v_mul_f64 v[52:53], v[4:5], v[64:65]
	;; [unrolled: 28-line block ×4, first 2 shown]
	s_waitcnt vmcnt(56)
	v_fma_f64 v[56:57], v[4:5], v[62:63], -v[56:57]
	v_add_f64 v[14:15], v[14:15], v[54:55]
	v_fma_f64 v[54:55], v[6:7], v[62:63], v[119:120]
	v_add_f64 v[12:13], v[12:13], v[48:49]
	s_clause 0x4
	buffer_load_dword v49, off, s[0:3], 0 offset:828
	buffer_load_dword v62, off, s[0:3], 0 offset:840
	;; [unrolled: 1-line block ×5, first 2 shown]
	ds_read_b128 v[4:7], v70 offset:1568
	s_waitcnt vmcnt(57) lgkmcnt(1)
	v_mul_f64 v[119:120], v[8:9], v[20:21]
	v_mul_f64 v[20:21], v[10:11], v[20:21]
	s_waitcnt vmcnt(56)
	v_fma_f64 v[73:74], v[0:1], v[111:112], -v[73:74]
	v_fma_f64 v[52:53], v[2:3], v[111:112], v[52:53]
	v_add_f64 v[14:15], v[14:15], v[56:57]
	v_add_f64 v[12:13], v[12:13], v[54:55]
	s_clause 0x2
	buffer_load_dword v63, off, s[0:3], 0 offset:844
	buffer_load_dword v55, off, s[0:3], 0 offset:820
	buffer_load_dword v54, off, s[0:3], 0 offset:816
	ds_read_b128 v[0:3], v70 offset:1584
	s_waitcnt vmcnt(58) lgkmcnt(1)
	v_mul_f64 v[56:57], v[4:5], v[97:98]
	v_mul_f64 v[97:98], v[6:7], v[97:98]
	s_waitcnt vmcnt(56)
	v_fma_f64 v[20:21], v[8:9], v[26:27], -v[20:21]
	v_fma_f64 v[26:27], v[10:11], v[26:27], v[119:120]
	v_add_f64 v[14:15], v[14:15], v[73:74]
	v_add_f64 v[12:13], v[12:13], v[52:53]
	s_clause 0x4
	buffer_load_dword v53, off, s[0:3], 0 offset:860
	buffer_load_dword v73, off, s[0:3], 0 offset:872
	buffer_load_dword v111, off, s[0:3], 0 offset:864
	buffer_load_dword v52, off, s[0:3], 0 offset:856
	buffer_load_dword v96, off, s[0:3], 0 offset:836
	ds_read_b128 v[8:11], v70 offset:1600
	s_waitcnt vmcnt(57) lgkmcnt(1)
	v_mul_f64 v[119:120], v[0:1], v[32:33]
	v_mul_f64 v[32:33], v[2:3], v[32:33]
	s_waitcnt vmcnt(56)
	v_fma_f64 v[97:98], v[4:5], v[117:118], -v[97:98]
	v_add_f64 v[14:15], v[14:15], v[20:21]
	v_fma_f64 v[20:21], v[6:7], v[117:118], v[56:57]
	v_add_f64 v[12:13], v[12:13], v[26:27]
	s_clause 0x2
	buffer_load_dword v74, off, s[0:3], 0 offset:876
	buffer_load_dword v27, off, s[0:3], 0 offset:852
	buffer_load_dword v26, off, s[0:3], 0 offset:848
	ds_read_b128 v[4:7], v70 offset:1616
	s_waitcnt vmcnt(58) lgkmcnt(1)
	v_mul_f64 v[56:57], v[8:9], v[71:72]
	v_mul_f64 v[71:72], v[10:11], v[71:72]
	s_waitcnt vmcnt(56)
	v_fma_f64 v[32:33], v[0:1], v[24:25], -v[32:33]
	v_fma_f64 v[24:25], v[2:3], v[24:25], v[119:120]
	v_add_f64 v[14:15], v[14:15], v[97:98]
	v_add_f64 v[12:13], v[12:13], v[20:21]
	s_clause 0x4
	buffer_load_dword v21, off, s[0:3], 0 offset:892
	buffer_load_dword v97, off, s[0:3], 0 offset:904
	buffer_load_dword v117, off, s[0:3], 0 offset:896
	buffer_load_dword v20, off, s[0:3], 0 offset:888
	buffer_load_dword v112, off, s[0:3], 0 offset:868
	ds_read_b128 v[0:3], v70 offset:1632
	s_waitcnt vmcnt(57) lgkmcnt(1)
	v_mul_f64 v[118:119], v[4:5], v[18:19]
	v_mul_f64 v[18:19], v[6:7], v[18:19]
	s_waitcnt vmcnt(56)
	v_fma_f64 v[71:72], v[8:9], v[109:110], -v[71:72]
	v_add_f64 v[14:15], v[14:15], v[32:33]
	v_fma_f64 v[32:33], v[10:11], v[109:110], v[56:57]
	;; [unrolled: 28-line block ×3, first 2 shown]
	v_add_f64 v[12:13], v[12:13], v[30:31]
	s_clause 0x2
	buffer_load_dword v72, off, s[0:3], 0 offset:940
	buffer_load_dword v31, off, s[0:3], 0 offset:916
	;; [unrolled: 1-line block ×3, first 2 shown]
	ds_read_b128 v[0:3], v70 offset:1680
	s_waitcnt vmcnt(58) lgkmcnt(1)
	v_mul_f64 v[56:57], v[4:5], v[44:45]
	v_mul_f64 v[44:45], v[6:7], v[44:45]
	s_waitcnt vmcnt(56)
	v_fma_f64 v[22:23], v[8:9], v[40:41], -v[22:23]
	v_add_f64 v[14:15], v[14:15], v[36:37]
	v_fma_f64 v[36:37], v[10:11], v[40:41], v[119:120]
	v_add_f64 v[12:13], v[12:13], v[18:19]
	s_clause 0x4
	buffer_load_dword v19, off, s[0:3], 0 offset:956
	buffer_load_dword v40, off, s[0:3], 0 offset:968
	buffer_load_dword v99, off, s[0:3], 0 offset:960
	buffer_load_dword v18, off, s[0:3], 0 offset:952
	buffer_load_dword v110, off, s[0:3], 0 offset:932
	ds_read_b128 v[8:11], v70 offset:1696
	s_waitcnt vmcnt(57) lgkmcnt(1)
	v_mul_f64 v[119:120], v[0:1], v[28:29]
	v_mul_f64 v[28:29], v[2:3], v[28:29]
	s_waitcnt vmcnt(56)
	v_fma_f64 v[44:45], v[4:5], v[93:94], -v[44:45]
	v_add_f64 v[14:15], v[14:15], v[22:23]
	v_fma_f64 v[22:23], v[6:7], v[93:94], v[56:57]
	v_add_f64 v[12:13], v[12:13], v[36:37]
	s_clause 0x2
	buffer_load_dword v41, off, s[0:3], 0 offset:972
	buffer_load_dword v37, off, s[0:3], 0 offset:948
	buffer_load_dword v36, off, s[0:3], 0 offset:944
	ds_read_b128 v[4:7], v70 offset:1712
	s_waitcnt vmcnt(58) lgkmcnt(1)
	v_mul_f64 v[56:57], v[8:9], v[50:51]
	v_mul_f64 v[50:51], v[10:11], v[50:51]
	s_waitcnt vmcnt(56)
	v_fma_f64 v[28:29], v[0:1], v[38:39], -v[28:29]
	v_fma_f64 v[38:39], v[2:3], v[38:39], v[119:120]
	v_add_f64 v[14:15], v[14:15], v[44:45]
	v_add_f64 v[12:13], v[12:13], v[22:23]
	s_clause 0x2
	buffer_load_dword v23, off, s[0:3], 0 offset:988
	buffer_load_dword v22, off, s[0:3], 0 offset:984
	;; [unrolled: 1-line block ×3, first 2 shown]
	ds_read_b128 v[0:3], v70 offset:1728
	s_waitcnt vmcnt(55) lgkmcnt(1)
	v_mul_f64 v[44:45], v[4:5], v[34:35]
	v_mul_f64 v[34:35], v[6:7], v[34:35]
	s_waitcnt vmcnt(54)
	v_fma_f64 v[50:51], v[8:9], v[68:69], -v[50:51]
	v_add_f64 v[14:15], v[14:15], v[28:29]
	v_fma_f64 v[28:29], v[10:11], v[68:69], v[56:57]
	v_add_f64 v[12:13], v[12:13], v[38:39]
	s_clause 0x1
	buffer_load_dword v39, off, s[0:3], 0 offset:980
	buffer_load_dword v38, off, s[0:3], 0 offset:976
	ds_read_b128 v[8:11], v70 offset:1744
	s_waitcnt vmcnt(55) lgkmcnt(1)
	v_mul_f64 v[56:57], v[0:1], v[58:59]
	v_mul_f64 v[58:59], v[2:3], v[58:59]
	s_waitcnt vmcnt(53)
	v_fma_f64 v[34:35], v[4:5], v[46:47], -v[34:35]
	v_fma_f64 v[44:45], v[6:7], v[46:47], v[44:45]
	ds_read_b128 v[4:7], v70 offset:1760
	v_add_f64 v[14:15], v[14:15], v[50:51]
	v_add_f64 v[12:13], v[12:13], v[28:29]
	s_waitcnt vmcnt(49) lgkmcnt(1)
	v_mul_f64 v[28:29], v[8:9], v[42:43]
	v_mul_f64 v[42:43], v[10:11], v[42:43]
	s_waitcnt vmcnt(48)
	v_fma_f64 v[46:47], v[0:1], v[64:65], -v[58:59]
	v_add_f64 v[14:15], v[14:15], v[34:35]
	v_fma_f64 v[34:35], v[2:3], v[64:65], v[56:57]
	v_add_f64 v[12:13], v[12:13], v[44:45]
	s_clause 0x3
	buffer_load_dword v44, off, s[0:3], 0 offset:16
	buffer_load_dword v45, off, s[0:3], 0 offset:20
	;; [unrolled: 1-line block ×4, first 2 shown]
	ds_read_b128 v[0:3], v70 offset:1776
	s_waitcnt vmcnt(51) lgkmcnt(1)
	v_mul_f64 v[58:59], v[6:7], v[60:61]
	v_mul_f64 v[56:57], v[4:5], v[60:61]
	s_waitcnt vmcnt(49)
	v_fma_f64 v[42:43], v[8:9], v[16:17], -v[42:43]
	v_fma_f64 v[16:17], v[10:11], v[16:17], v[28:29]
	ds_read_b128 v[8:11], v70 offset:1792
	v_add_f64 v[14:15], v[14:15], v[46:47]
	v_add_f64 v[12:13], v[12:13], v[34:35]
	s_waitcnt vmcnt(45) lgkmcnt(1)
	v_mul_f64 v[34:35], v[2:3], v[48:49]
	s_waitcnt vmcnt(44)
	v_fma_f64 v[46:47], v[4:5], v[66:67], -v[58:59]
	v_mul_f64 v[28:29], v[0:1], v[48:49]
	v_add_f64 v[14:15], v[14:15], v[42:43]
	v_fma_f64 v[42:43], v[6:7], v[66:67], v[56:57]
	v_add_f64 v[12:13], v[12:13], v[16:17]
	ds_read_b128 v[4:7], v70 offset:1808
	s_waitcnt vmcnt(43) lgkmcnt(1)
	v_mul_f64 v[48:49], v[10:11], v[62:63]
	v_mul_f64 v[16:17], v[8:9], v[62:63]
	s_waitcnt vmcnt(41)
	v_fma_f64 v[34:35], v[0:1], v[54:55], -v[34:35]
	v_fma_f64 v[28:29], v[2:3], v[54:55], v[28:29]
	ds_read_b128 v[0:3], v70 offset:1824
	v_add_f64 v[14:15], v[14:15], v[46:47]
	v_add_f64 v[12:13], v[12:13], v[42:43]
	s_waitcnt vmcnt(37) lgkmcnt(1)
	v_mul_f64 v[46:47], v[6:7], v[52:53]
	s_waitcnt vmcnt(36)
	v_fma_f64 v[48:49], v[8:9], v[95:96], -v[48:49]
	v_mul_f64 v[42:43], v[4:5], v[52:53]
	v_fma_f64 v[16:17], v[10:11], v[95:96], v[16:17]
	ds_read_b128 v[8:11], v70 offset:1840
	v_add_f64 v[14:15], v[14:15], v[34:35]
	v_add_f64 v[12:13], v[12:13], v[28:29]
	s_waitcnt vmcnt(35) lgkmcnt(1)
	v_mul_f64 v[34:35], v[2:3], v[73:74]
	v_mul_f64 v[28:29], v[0:1], v[73:74]
	s_waitcnt vmcnt(33)
	v_fma_f64 v[46:47], v[4:5], v[26:27], -v[46:47]
	v_fma_f64 v[26:27], v[6:7], v[26:27], v[42:43]
	ds_read_b128 v[4:7], v70 offset:1856
	v_add_f64 v[14:15], v[14:15], v[48:49]
	v_add_f64 v[12:13], v[12:13], v[16:17]
	s_waitcnt vmcnt(29) lgkmcnt(1)
	v_mul_f64 v[16:17], v[8:9], v[20:21]
	v_mul_f64 v[20:21], v[10:11], v[20:21]
	s_waitcnt vmcnt(28)
	v_fma_f64 v[34:35], v[0:1], v[111:112], -v[34:35]
	v_fma_f64 v[28:29], v[2:3], v[111:112], v[28:29]
	ds_read_b128 v[0:3], v70 offset:1872
	v_add_f64 v[14:15], v[14:15], v[46:47]
	v_add_f64 v[12:13], v[12:13], v[26:27]
	s_waitcnt vmcnt(27) lgkmcnt(1)
	v_mul_f64 v[42:43], v[6:7], v[97:98]
	v_mul_f64 v[26:27], v[4:5], v[97:98]
	s_waitcnt vmcnt(25)
	v_fma_f64 v[20:21], v[8:9], v[24:25], -v[20:21]
	v_fma_f64 v[16:17], v[10:11], v[24:25], v[16:17]
	ds_read_b128 v[8:11], v70 offset:1888
	v_add_f64 v[14:15], v[14:15], v[34:35]
	v_add_f64 v[12:13], v[12:13], v[28:29]
	s_waitcnt vmcnt(21) lgkmcnt(1)
	v_mul_f64 v[24:25], v[0:1], v[32:33]
	v_mul_f64 v[28:29], v[2:3], v[32:33]
	s_waitcnt vmcnt(20)
	v_fma_f64 v[32:33], v[4:5], v[117:118], -v[42:43]
	v_add_f64 v[14:15], v[14:15], v[20:21]
	v_fma_f64 v[20:21], v[6:7], v[117:118], v[26:27]
	v_add_f64 v[12:13], v[12:13], v[16:17]
	ds_read_b128 v[4:7], v70 offset:1904
	s_waitcnt vmcnt(19) lgkmcnt(1)
	v_mul_f64 v[26:27], v[10:11], v[71:72]
	v_mul_f64 v[16:17], v[8:9], v[71:72]
	s_waitcnt vmcnt(17)
	v_fma_f64 v[28:29], v[0:1], v[30:31], -v[28:29]
	v_fma_f64 v[24:25], v[2:3], v[30:31], v[24:25]
	ds_read_b128 v[0:3], v70 offset:1920
	v_add_f64 v[14:15], v[14:15], v[32:33]
	v_add_f64 v[12:13], v[12:13], v[20:21]
	s_waitcnt vmcnt(13) lgkmcnt(1)
	v_mul_f64 v[20:21], v[4:5], v[18:19]
	v_mul_f64 v[18:19], v[6:7], v[18:19]
	s_waitcnt vmcnt(12)
	v_fma_f64 v[26:27], v[8:9], v[109:110], -v[26:27]
	v_fma_f64 v[16:17], v[10:11], v[109:110], v[16:17]
	ds_read_b128 v[8:11], v70 offset:1936
	v_add_f64 v[14:15], v[14:15], v[28:29]
	v_add_f64 v[12:13], v[12:13], v[24:25]
	s_waitcnt vmcnt(11) lgkmcnt(1)
	v_mul_f64 v[28:29], v[2:3], v[40:41]
	v_mul_f64 v[24:25], v[0:1], v[40:41]
	s_waitcnt vmcnt(9)
	v_fma_f64 v[4:5], v[4:5], v[36:37], -v[18:19]
	v_fma_f64 v[6:7], v[6:7], v[36:37], v[20:21]
	v_add_f64 v[14:15], v[14:15], v[26:27]
	v_add_f64 v[12:13], v[12:13], v[16:17]
	s_waitcnt vmcnt(7) lgkmcnt(0)
	v_mul_f64 v[18:19], v[10:11], v[22:23]
	s_waitcnt vmcnt(6)
	v_fma_f64 v[0:1], v[0:1], v[99:100], -v[28:29]
	v_mul_f64 v[16:17], v[8:9], v[22:23]
	v_fma_f64 v[2:3], v[2:3], v[99:100], v[24:25]
	v_add_f64 v[4:5], v[14:15], v[4:5]
	v_add_f64 v[6:7], v[12:13], v[6:7]
	s_waitcnt vmcnt(4)
	v_fma_f64 v[8:9], v[8:9], v[38:39], -v[18:19]
	v_add_f64 v[0:1], v[4:5], v[0:1]
	v_fma_f64 v[4:5], v[10:11], v[38:39], v[16:17]
	v_add_f64 v[2:3], v[6:7], v[2:3]
	v_add_f64 v[0:1], v[0:1], v[8:9]
	;; [unrolled: 1-line block ×3, first 2 shown]
	s_waitcnt vmcnt(2)
	v_add_f64 v[0:1], v[44:45], -v[0:1]
	s_waitcnt vmcnt(0)
	v_add_f64 v[2:3], v[50:51], -v[2:3]
	buffer_store_dword v1, off, s[0:3], 0 offset:20
	buffer_store_dword v0, off, s[0:3], 0 offset:16
	;; [unrolled: 1-line block ×4, first 2 shown]
	s_cbranch_vccz .LBB60_512
; %bb.392:
	v_mov_b32_e32 v0, 0
	global_load_dword v1, v0, s[20:21] offset:236
	s_waitcnt vmcnt(0)
	v_add_nc_u32_e32 v1, -1, v1
	v_cmp_ne_u32_e32 vcc_lo, 59, v1
	s_cbranch_vccz .LBB60_394
; %bb.393:
	v_lshlrev_b32_e32 v1, 4, v1
	v_mov_b32_e32 v2, s13
	v_add_nc_u32_e32 v1, 16, v1
	s_clause 0x7
	buffer_load_dword v3, v1, s[0:3], 0 offen
	buffer_load_dword v4, v1, s[0:3], 0 offen offset:4
	buffer_load_dword v5, v1, s[0:3], 0 offen offset:8
	;; [unrolled: 1-line block ×6, first 2 shown]
	buffer_load_dword v10, v2, s[0:3], 0 offen
	s_waitcnt vmcnt(7)
	buffer_store_dword v3, v2, s[0:3], 0 offen
	s_waitcnt vmcnt(6)
	buffer_store_dword v4, v2, s[0:3], 0 offen offset:4
	s_waitcnt vmcnt(5)
	buffer_store_dword v5, v2, s[0:3], 0 offen offset:8
	;; [unrolled: 2-line block ×6, first 2 shown]
	s_waitcnt vmcnt(0)
	buffer_store_dword v10, v1, s[0:3], 0 offen
.LBB60_394:
	global_load_dword v0, v0, s[20:21] offset:232
	s_waitcnt vmcnt(0)
	v_add_nc_u32_e32 v0, -1, v0
	v_cmp_eq_u32_e32 vcc_lo, 58, v0
	s_cbranch_vccnz .LBB60_396
; %bb.395:
	v_lshlrev_b32_e32 v0, 4, v0
	v_mov_b32_e32 v1, s14
	v_add_nc_u32_e32 v0, 16, v0
	s_clause 0x7
	buffer_load_dword v2, v0, s[0:3], 0 offen
	buffer_load_dword v3, v0, s[0:3], 0 offen offset:4
	buffer_load_dword v4, v0, s[0:3], 0 offen offset:8
	;; [unrolled: 1-line block ×6, first 2 shown]
	buffer_load_dword v9, v1, s[0:3], 0 offen
	s_waitcnt vmcnt(7)
	buffer_store_dword v2, v1, s[0:3], 0 offen
	s_waitcnt vmcnt(6)
	buffer_store_dword v3, v1, s[0:3], 0 offen offset:4
	s_waitcnt vmcnt(5)
	buffer_store_dword v4, v1, s[0:3], 0 offen offset:8
	;; [unrolled: 2-line block ×6, first 2 shown]
	s_waitcnt vmcnt(0)
	buffer_store_dword v9, v0, s[0:3], 0 offen
.LBB60_396:
	v_mov_b32_e32 v0, 0
	global_load_dword v1, v0, s[20:21] offset:228
	s_waitcnt vmcnt(0)
	v_add_nc_u32_e32 v1, -1, v1
	v_cmp_eq_u32_e32 vcc_lo, 57, v1
	s_cbranch_vccnz .LBB60_398
; %bb.397:
	v_lshlrev_b32_e32 v1, 4, v1
	v_mov_b32_e32 v2, s15
	v_add_nc_u32_e32 v1, 16, v1
	s_clause 0x7
	buffer_load_dword v3, v1, s[0:3], 0 offen
	buffer_load_dword v4, v1, s[0:3], 0 offen offset:4
	buffer_load_dword v5, v1, s[0:3], 0 offen offset:8
	;; [unrolled: 1-line block ×6, first 2 shown]
	buffer_load_dword v10, v2, s[0:3], 0 offen
	s_waitcnt vmcnt(7)
	buffer_store_dword v3, v2, s[0:3], 0 offen
	s_waitcnt vmcnt(6)
	buffer_store_dword v4, v2, s[0:3], 0 offen offset:4
	s_waitcnt vmcnt(5)
	buffer_store_dword v5, v2, s[0:3], 0 offen offset:8
	;; [unrolled: 2-line block ×6, first 2 shown]
	s_waitcnt vmcnt(0)
	buffer_store_dword v10, v1, s[0:3], 0 offen
.LBB60_398:
	global_load_dword v0, v0, s[20:21] offset:224
	s_waitcnt vmcnt(0)
	v_add_nc_u32_e32 v0, -1, v0
	v_cmp_eq_u32_e32 vcc_lo, 56, v0
	s_cbranch_vccnz .LBB60_400
; %bb.399:
	v_lshlrev_b32_e32 v0, 4, v0
	v_mov_b32_e32 v1, s16
	v_add_nc_u32_e32 v0, 16, v0
	s_clause 0x7
	buffer_load_dword v2, v0, s[0:3], 0 offen
	buffer_load_dword v3, v0, s[0:3], 0 offen offset:4
	buffer_load_dword v4, v0, s[0:3], 0 offen offset:8
	;; [unrolled: 1-line block ×6, first 2 shown]
	buffer_load_dword v9, v1, s[0:3], 0 offen
	s_waitcnt vmcnt(7)
	buffer_store_dword v2, v1, s[0:3], 0 offen
	s_waitcnt vmcnt(6)
	buffer_store_dword v3, v1, s[0:3], 0 offen offset:4
	s_waitcnt vmcnt(5)
	buffer_store_dword v4, v1, s[0:3], 0 offen offset:8
	s_waitcnt vmcnt(4)
	buffer_store_dword v5, v1, s[0:3], 0 offen offset:12
	s_waitcnt vmcnt(3)
	buffer_store_dword v6, v0, s[0:3], 0 offen offset:12
	s_waitcnt vmcnt(2)
	buffer_store_dword v7, v0, s[0:3], 0 offen offset:8
	s_waitcnt vmcnt(1)
	buffer_store_dword v8, v0, s[0:3], 0 offen offset:4
	s_waitcnt vmcnt(0)
	buffer_store_dword v9, v0, s[0:3], 0 offen
.LBB60_400:
	v_mov_b32_e32 v0, 0
	global_load_dword v1, v0, s[20:21] offset:220
	s_waitcnt vmcnt(0)
	v_add_nc_u32_e32 v1, -1, v1
	v_cmp_eq_u32_e32 vcc_lo, 55, v1
	s_cbranch_vccnz .LBB60_402
; %bb.401:
	v_lshlrev_b32_e32 v1, 4, v1
	v_mov_b32_e32 v2, s17
	v_add_nc_u32_e32 v1, 16, v1
	s_clause 0x7
	buffer_load_dword v3, v1, s[0:3], 0 offen
	buffer_load_dword v4, v1, s[0:3], 0 offen offset:4
	buffer_load_dword v5, v1, s[0:3], 0 offen offset:8
	buffer_load_dword v6, v1, s[0:3], 0 offen offset:12
	buffer_load_dword v7, v2, s[0:3], 0 offen offset:12
	buffer_load_dword v8, v2, s[0:3], 0 offen offset:8
	buffer_load_dword v9, v2, s[0:3], 0 offen offset:4
	buffer_load_dword v10, v2, s[0:3], 0 offen
	s_waitcnt vmcnt(7)
	buffer_store_dword v3, v2, s[0:3], 0 offen
	s_waitcnt vmcnt(6)
	buffer_store_dword v4, v2, s[0:3], 0 offen offset:4
	s_waitcnt vmcnt(5)
	buffer_store_dword v5, v2, s[0:3], 0 offen offset:8
	;; [unrolled: 2-line block ×6, first 2 shown]
	s_waitcnt vmcnt(0)
	buffer_store_dword v10, v1, s[0:3], 0 offen
.LBB60_402:
	global_load_dword v0, v0, s[20:21] offset:216
	s_waitcnt vmcnt(0)
	v_add_nc_u32_e32 v0, -1, v0
	v_cmp_eq_u32_e32 vcc_lo, 54, v0
	s_cbranch_vccnz .LBB60_404
; %bb.403:
	v_lshlrev_b32_e32 v0, 4, v0
	v_mov_b32_e32 v1, s18
	v_add_nc_u32_e32 v0, 16, v0
	s_clause 0x7
	buffer_load_dword v2, v0, s[0:3], 0 offen
	buffer_load_dword v3, v0, s[0:3], 0 offen offset:4
	buffer_load_dword v4, v0, s[0:3], 0 offen offset:8
	;; [unrolled: 1-line block ×6, first 2 shown]
	buffer_load_dword v9, v1, s[0:3], 0 offen
	s_waitcnt vmcnt(7)
	buffer_store_dword v2, v1, s[0:3], 0 offen
	s_waitcnt vmcnt(6)
	buffer_store_dword v3, v1, s[0:3], 0 offen offset:4
	s_waitcnt vmcnt(5)
	buffer_store_dword v4, v1, s[0:3], 0 offen offset:8
	;; [unrolled: 2-line block ×6, first 2 shown]
	s_waitcnt vmcnt(0)
	buffer_store_dword v9, v0, s[0:3], 0 offen
.LBB60_404:
	v_mov_b32_e32 v0, 0
	global_load_dword v1, v0, s[20:21] offset:212
	s_waitcnt vmcnt(0)
	v_add_nc_u32_e32 v1, -1, v1
	v_cmp_eq_u32_e32 vcc_lo, 53, v1
	s_cbranch_vccnz .LBB60_406
; %bb.405:
	v_lshlrev_b32_e32 v1, 4, v1
	v_mov_b32_e32 v2, s19
	v_add_nc_u32_e32 v1, 16, v1
	s_clause 0x7
	buffer_load_dword v3, v1, s[0:3], 0 offen
	buffer_load_dword v4, v1, s[0:3], 0 offen offset:4
	buffer_load_dword v5, v1, s[0:3], 0 offen offset:8
	;; [unrolled: 1-line block ×6, first 2 shown]
	buffer_load_dword v10, v2, s[0:3], 0 offen
	s_waitcnt vmcnt(7)
	buffer_store_dword v3, v2, s[0:3], 0 offen
	s_waitcnt vmcnt(6)
	buffer_store_dword v4, v2, s[0:3], 0 offen offset:4
	s_waitcnt vmcnt(5)
	buffer_store_dword v5, v2, s[0:3], 0 offen offset:8
	;; [unrolled: 2-line block ×6, first 2 shown]
	s_waitcnt vmcnt(0)
	buffer_store_dword v10, v1, s[0:3], 0 offen
.LBB60_406:
	global_load_dword v0, v0, s[20:21] offset:208
	s_waitcnt vmcnt(0)
	v_add_nc_u32_e32 v0, -1, v0
	v_cmp_eq_u32_e32 vcc_lo, 52, v0
	s_cbranch_vccnz .LBB60_408
; %bb.407:
	v_lshlrev_b32_e32 v0, 4, v0
	v_mov_b32_e32 v1, s22
	v_add_nc_u32_e32 v0, 16, v0
	s_clause 0x7
	buffer_load_dword v2, v0, s[0:3], 0 offen
	buffer_load_dword v3, v0, s[0:3], 0 offen offset:4
	buffer_load_dword v4, v0, s[0:3], 0 offen offset:8
	;; [unrolled: 1-line block ×6, first 2 shown]
	buffer_load_dword v9, v1, s[0:3], 0 offen
	s_waitcnt vmcnt(7)
	buffer_store_dword v2, v1, s[0:3], 0 offen
	s_waitcnt vmcnt(6)
	buffer_store_dword v3, v1, s[0:3], 0 offen offset:4
	s_waitcnt vmcnt(5)
	buffer_store_dword v4, v1, s[0:3], 0 offen offset:8
	;; [unrolled: 2-line block ×6, first 2 shown]
	s_waitcnt vmcnt(0)
	buffer_store_dword v9, v0, s[0:3], 0 offen
.LBB60_408:
	v_mov_b32_e32 v0, 0
	global_load_dword v1, v0, s[20:21] offset:204
	s_waitcnt vmcnt(0)
	v_add_nc_u32_e32 v1, -1, v1
	v_cmp_eq_u32_e32 vcc_lo, 51, v1
	s_cbranch_vccnz .LBB60_410
; %bb.409:
	v_lshlrev_b32_e32 v1, 4, v1
	v_mov_b32_e32 v2, s23
	v_add_nc_u32_e32 v1, 16, v1
	s_clause 0x7
	buffer_load_dword v3, v1, s[0:3], 0 offen
	buffer_load_dword v4, v1, s[0:3], 0 offen offset:4
	buffer_load_dword v5, v1, s[0:3], 0 offen offset:8
	;; [unrolled: 1-line block ×6, first 2 shown]
	buffer_load_dword v10, v2, s[0:3], 0 offen
	s_waitcnt vmcnt(7)
	buffer_store_dword v3, v2, s[0:3], 0 offen
	s_waitcnt vmcnt(6)
	buffer_store_dword v4, v2, s[0:3], 0 offen offset:4
	s_waitcnt vmcnt(5)
	buffer_store_dword v5, v2, s[0:3], 0 offen offset:8
	;; [unrolled: 2-line block ×6, first 2 shown]
	s_waitcnt vmcnt(0)
	buffer_store_dword v10, v1, s[0:3], 0 offen
.LBB60_410:
	global_load_dword v0, v0, s[20:21] offset:200
	s_waitcnt vmcnt(0)
	v_add_nc_u32_e32 v0, -1, v0
	v_cmp_eq_u32_e32 vcc_lo, 50, v0
	s_cbranch_vccnz .LBB60_412
; %bb.411:
	v_lshlrev_b32_e32 v0, 4, v0
	v_mov_b32_e32 v1, s24
	v_add_nc_u32_e32 v0, 16, v0
	s_clause 0x7
	buffer_load_dword v2, v0, s[0:3], 0 offen
	buffer_load_dword v3, v0, s[0:3], 0 offen offset:4
	buffer_load_dword v4, v0, s[0:3], 0 offen offset:8
	;; [unrolled: 1-line block ×6, first 2 shown]
	buffer_load_dword v9, v1, s[0:3], 0 offen
	s_waitcnt vmcnt(7)
	buffer_store_dword v2, v1, s[0:3], 0 offen
	s_waitcnt vmcnt(6)
	buffer_store_dword v3, v1, s[0:3], 0 offen offset:4
	s_waitcnt vmcnt(5)
	buffer_store_dword v4, v1, s[0:3], 0 offen offset:8
	;; [unrolled: 2-line block ×6, first 2 shown]
	s_waitcnt vmcnt(0)
	buffer_store_dword v9, v0, s[0:3], 0 offen
.LBB60_412:
	v_mov_b32_e32 v0, 0
	global_load_dword v1, v0, s[20:21] offset:196
	s_waitcnt vmcnt(0)
	v_add_nc_u32_e32 v1, -1, v1
	v_cmp_eq_u32_e32 vcc_lo, 49, v1
	s_cbranch_vccnz .LBB60_414
; %bb.413:
	v_lshlrev_b32_e32 v1, 4, v1
	v_mov_b32_e32 v2, s25
	v_add_nc_u32_e32 v1, 16, v1
	s_clause 0x7
	buffer_load_dword v3, v1, s[0:3], 0 offen
	buffer_load_dword v4, v1, s[0:3], 0 offen offset:4
	buffer_load_dword v5, v1, s[0:3], 0 offen offset:8
	;; [unrolled: 1-line block ×6, first 2 shown]
	buffer_load_dword v10, v2, s[0:3], 0 offen
	s_waitcnt vmcnt(7)
	buffer_store_dword v3, v2, s[0:3], 0 offen
	s_waitcnt vmcnt(6)
	buffer_store_dword v4, v2, s[0:3], 0 offen offset:4
	s_waitcnt vmcnt(5)
	buffer_store_dword v5, v2, s[0:3], 0 offen offset:8
	s_waitcnt vmcnt(4)
	buffer_store_dword v6, v2, s[0:3], 0 offen offset:12
	s_waitcnt vmcnt(3)
	buffer_store_dword v7, v1, s[0:3], 0 offen offset:12
	s_waitcnt vmcnt(2)
	buffer_store_dword v8, v1, s[0:3], 0 offen offset:8
	s_waitcnt vmcnt(1)
	buffer_store_dword v9, v1, s[0:3], 0 offen offset:4
	s_waitcnt vmcnt(0)
	buffer_store_dword v10, v1, s[0:3], 0 offen
.LBB60_414:
	global_load_dword v0, v0, s[20:21] offset:192
	s_waitcnt vmcnt(0)
	v_add_nc_u32_e32 v0, -1, v0
	v_cmp_eq_u32_e32 vcc_lo, 48, v0
	s_cbranch_vccnz .LBB60_416
; %bb.415:
	v_lshlrev_b32_e32 v0, 4, v0
	v_mov_b32_e32 v1, s26
	v_add_nc_u32_e32 v0, 16, v0
	s_clause 0x7
	buffer_load_dword v2, v0, s[0:3], 0 offen
	buffer_load_dword v3, v0, s[0:3], 0 offen offset:4
	buffer_load_dword v4, v0, s[0:3], 0 offen offset:8
	;; [unrolled: 1-line block ×6, first 2 shown]
	buffer_load_dword v9, v1, s[0:3], 0 offen
	s_waitcnt vmcnt(7)
	buffer_store_dword v2, v1, s[0:3], 0 offen
	s_waitcnt vmcnt(6)
	buffer_store_dword v3, v1, s[0:3], 0 offen offset:4
	s_waitcnt vmcnt(5)
	buffer_store_dword v4, v1, s[0:3], 0 offen offset:8
	;; [unrolled: 2-line block ×6, first 2 shown]
	s_waitcnt vmcnt(0)
	buffer_store_dword v9, v0, s[0:3], 0 offen
.LBB60_416:
	v_mov_b32_e32 v0, 0
	global_load_dword v1, v0, s[20:21] offset:188
	s_waitcnt vmcnt(0)
	v_add_nc_u32_e32 v1, -1, v1
	v_cmp_eq_u32_e32 vcc_lo, 47, v1
	s_cbranch_vccnz .LBB60_418
; %bb.417:
	v_lshlrev_b32_e32 v1, 4, v1
	v_mov_b32_e32 v2, s27
	v_add_nc_u32_e32 v1, 16, v1
	s_clause 0x7
	buffer_load_dword v3, v1, s[0:3], 0 offen
	buffer_load_dword v4, v1, s[0:3], 0 offen offset:4
	buffer_load_dword v5, v1, s[0:3], 0 offen offset:8
	;; [unrolled: 1-line block ×6, first 2 shown]
	buffer_load_dword v10, v2, s[0:3], 0 offen
	s_waitcnt vmcnt(7)
	buffer_store_dword v3, v2, s[0:3], 0 offen
	s_waitcnt vmcnt(6)
	buffer_store_dword v4, v2, s[0:3], 0 offen offset:4
	s_waitcnt vmcnt(5)
	buffer_store_dword v5, v2, s[0:3], 0 offen offset:8
	;; [unrolled: 2-line block ×6, first 2 shown]
	s_waitcnt vmcnt(0)
	buffer_store_dword v10, v1, s[0:3], 0 offen
.LBB60_418:
	global_load_dword v0, v0, s[20:21] offset:184
	s_waitcnt vmcnt(0)
	v_add_nc_u32_e32 v0, -1, v0
	v_cmp_eq_u32_e32 vcc_lo, 46, v0
	s_cbranch_vccnz .LBB60_420
; %bb.419:
	v_lshlrev_b32_e32 v0, 4, v0
	v_mov_b32_e32 v1, s28
	v_add_nc_u32_e32 v0, 16, v0
	s_clause 0x7
	buffer_load_dword v2, v0, s[0:3], 0 offen
	buffer_load_dword v3, v0, s[0:3], 0 offen offset:4
	buffer_load_dword v4, v0, s[0:3], 0 offen offset:8
	;; [unrolled: 1-line block ×6, first 2 shown]
	buffer_load_dword v9, v1, s[0:3], 0 offen
	s_waitcnt vmcnt(7)
	buffer_store_dword v2, v1, s[0:3], 0 offen
	s_waitcnt vmcnt(6)
	buffer_store_dword v3, v1, s[0:3], 0 offen offset:4
	s_waitcnt vmcnt(5)
	buffer_store_dword v4, v1, s[0:3], 0 offen offset:8
	;; [unrolled: 2-line block ×6, first 2 shown]
	s_waitcnt vmcnt(0)
	buffer_store_dword v9, v0, s[0:3], 0 offen
.LBB60_420:
	v_mov_b32_e32 v0, 0
	global_load_dword v1, v0, s[20:21] offset:180
	s_waitcnt vmcnt(0)
	v_add_nc_u32_e32 v1, -1, v1
	v_cmp_eq_u32_e32 vcc_lo, 45, v1
	s_cbranch_vccnz .LBB60_422
; %bb.421:
	v_lshlrev_b32_e32 v1, 4, v1
	v_mov_b32_e32 v2, s29
	v_add_nc_u32_e32 v1, 16, v1
	s_clause 0x7
	buffer_load_dword v3, v1, s[0:3], 0 offen
	buffer_load_dword v4, v1, s[0:3], 0 offen offset:4
	buffer_load_dword v5, v1, s[0:3], 0 offen offset:8
	;; [unrolled: 1-line block ×6, first 2 shown]
	buffer_load_dword v10, v2, s[0:3], 0 offen
	s_waitcnt vmcnt(7)
	buffer_store_dword v3, v2, s[0:3], 0 offen
	s_waitcnt vmcnt(6)
	buffer_store_dword v4, v2, s[0:3], 0 offen offset:4
	s_waitcnt vmcnt(5)
	buffer_store_dword v5, v2, s[0:3], 0 offen offset:8
	;; [unrolled: 2-line block ×6, first 2 shown]
	s_waitcnt vmcnt(0)
	buffer_store_dword v10, v1, s[0:3], 0 offen
.LBB60_422:
	global_load_dword v0, v0, s[20:21] offset:176
	s_waitcnt vmcnt(0)
	v_add_nc_u32_e32 v0, -1, v0
	v_cmp_eq_u32_e32 vcc_lo, 44, v0
	s_cbranch_vccnz .LBB60_424
; %bb.423:
	v_lshlrev_b32_e32 v0, 4, v0
	v_mov_b32_e32 v1, s30
	v_add_nc_u32_e32 v0, 16, v0
	s_clause 0x7
	buffer_load_dword v2, v0, s[0:3], 0 offen
	buffer_load_dword v3, v0, s[0:3], 0 offen offset:4
	buffer_load_dword v4, v0, s[0:3], 0 offen offset:8
	;; [unrolled: 1-line block ×6, first 2 shown]
	buffer_load_dword v9, v1, s[0:3], 0 offen
	s_waitcnt vmcnt(7)
	buffer_store_dword v2, v1, s[0:3], 0 offen
	s_waitcnt vmcnt(6)
	buffer_store_dword v3, v1, s[0:3], 0 offen offset:4
	s_waitcnt vmcnt(5)
	buffer_store_dword v4, v1, s[0:3], 0 offen offset:8
	;; [unrolled: 2-line block ×6, first 2 shown]
	s_waitcnt vmcnt(0)
	buffer_store_dword v9, v0, s[0:3], 0 offen
.LBB60_424:
	v_mov_b32_e32 v0, 0
	global_load_dword v1, v0, s[20:21] offset:172
	s_waitcnt vmcnt(0)
	v_add_nc_u32_e32 v1, -1, v1
	v_cmp_eq_u32_e32 vcc_lo, 43, v1
	s_cbranch_vccnz .LBB60_426
; %bb.425:
	v_lshlrev_b32_e32 v1, 4, v1
	v_mov_b32_e32 v2, s31
	v_add_nc_u32_e32 v1, 16, v1
	s_clause 0x7
	buffer_load_dword v3, v1, s[0:3], 0 offen
	buffer_load_dword v4, v1, s[0:3], 0 offen offset:4
	buffer_load_dword v5, v1, s[0:3], 0 offen offset:8
	;; [unrolled: 1-line block ×6, first 2 shown]
	buffer_load_dword v10, v2, s[0:3], 0 offen
	s_waitcnt vmcnt(7)
	buffer_store_dword v3, v2, s[0:3], 0 offen
	s_waitcnt vmcnt(6)
	buffer_store_dword v4, v2, s[0:3], 0 offen offset:4
	s_waitcnt vmcnt(5)
	buffer_store_dword v5, v2, s[0:3], 0 offen offset:8
	;; [unrolled: 2-line block ×6, first 2 shown]
	s_waitcnt vmcnt(0)
	buffer_store_dword v10, v1, s[0:3], 0 offen
.LBB60_426:
	global_load_dword v0, v0, s[20:21] offset:168
	s_waitcnt vmcnt(0)
	v_add_nc_u32_e32 v0, -1, v0
	v_cmp_eq_u32_e32 vcc_lo, 42, v0
	s_cbranch_vccnz .LBB60_428
; %bb.427:
	v_lshlrev_b32_e32 v0, 4, v0
	v_mov_b32_e32 v1, s33
	v_add_nc_u32_e32 v0, 16, v0
	s_clause 0x7
	buffer_load_dword v2, v0, s[0:3], 0 offen
	buffer_load_dword v3, v0, s[0:3], 0 offen offset:4
	buffer_load_dword v4, v0, s[0:3], 0 offen offset:8
	;; [unrolled: 1-line block ×6, first 2 shown]
	buffer_load_dword v9, v1, s[0:3], 0 offen
	s_waitcnt vmcnt(7)
	buffer_store_dword v2, v1, s[0:3], 0 offen
	s_waitcnt vmcnt(6)
	buffer_store_dword v3, v1, s[0:3], 0 offen offset:4
	s_waitcnt vmcnt(5)
	buffer_store_dword v4, v1, s[0:3], 0 offen offset:8
	;; [unrolled: 2-line block ×6, first 2 shown]
	s_waitcnt vmcnt(0)
	buffer_store_dword v9, v0, s[0:3], 0 offen
.LBB60_428:
	v_mov_b32_e32 v0, 0
	global_load_dword v1, v0, s[20:21] offset:164
	s_waitcnt vmcnt(0)
	v_add_nc_u32_e32 v1, -1, v1
	v_cmp_eq_u32_e32 vcc_lo, 41, v1
	s_cbranch_vccnz .LBB60_430
; %bb.429:
	v_lshlrev_b32_e32 v1, 4, v1
	v_mov_b32_e32 v2, s34
	v_add_nc_u32_e32 v1, 16, v1
	s_clause 0x7
	buffer_load_dword v3, v1, s[0:3], 0 offen
	buffer_load_dword v4, v1, s[0:3], 0 offen offset:4
	buffer_load_dword v5, v1, s[0:3], 0 offen offset:8
	;; [unrolled: 1-line block ×6, first 2 shown]
	buffer_load_dword v10, v2, s[0:3], 0 offen
	s_waitcnt vmcnt(7)
	buffer_store_dword v3, v2, s[0:3], 0 offen
	s_waitcnt vmcnt(6)
	buffer_store_dword v4, v2, s[0:3], 0 offen offset:4
	s_waitcnt vmcnt(5)
	buffer_store_dword v5, v2, s[0:3], 0 offen offset:8
	;; [unrolled: 2-line block ×6, first 2 shown]
	s_waitcnt vmcnt(0)
	buffer_store_dword v10, v1, s[0:3], 0 offen
.LBB60_430:
	global_load_dword v0, v0, s[20:21] offset:160
	s_waitcnt vmcnt(0)
	v_add_nc_u32_e32 v0, -1, v0
	v_cmp_eq_u32_e32 vcc_lo, 40, v0
	s_cbranch_vccnz .LBB60_432
; %bb.431:
	v_lshlrev_b32_e32 v0, 4, v0
	v_mov_b32_e32 v1, s35
	v_add_nc_u32_e32 v0, 16, v0
	s_clause 0x7
	buffer_load_dword v2, v0, s[0:3], 0 offen
	buffer_load_dword v3, v0, s[0:3], 0 offen offset:4
	buffer_load_dword v4, v0, s[0:3], 0 offen offset:8
	;; [unrolled: 1-line block ×6, first 2 shown]
	buffer_load_dword v9, v1, s[0:3], 0 offen
	s_waitcnt vmcnt(7)
	buffer_store_dword v2, v1, s[0:3], 0 offen
	s_waitcnt vmcnt(6)
	buffer_store_dword v3, v1, s[0:3], 0 offen offset:4
	s_waitcnt vmcnt(5)
	buffer_store_dword v4, v1, s[0:3], 0 offen offset:8
	;; [unrolled: 2-line block ×6, first 2 shown]
	s_waitcnt vmcnt(0)
	buffer_store_dword v9, v0, s[0:3], 0 offen
.LBB60_432:
	v_mov_b32_e32 v0, 0
	global_load_dword v1, v0, s[20:21] offset:156
	s_waitcnt vmcnt(0)
	v_add_nc_u32_e32 v1, -1, v1
	v_cmp_eq_u32_e32 vcc_lo, 39, v1
	s_cbranch_vccnz .LBB60_434
; %bb.433:
	v_lshlrev_b32_e32 v1, 4, v1
	v_mov_b32_e32 v2, s36
	v_add_nc_u32_e32 v1, 16, v1
	s_clause 0x7
	buffer_load_dword v3, v1, s[0:3], 0 offen
	buffer_load_dword v4, v1, s[0:3], 0 offen offset:4
	buffer_load_dword v5, v1, s[0:3], 0 offen offset:8
	;; [unrolled: 1-line block ×6, first 2 shown]
	buffer_load_dword v10, v2, s[0:3], 0 offen
	s_waitcnt vmcnt(7)
	buffer_store_dword v3, v2, s[0:3], 0 offen
	s_waitcnt vmcnt(6)
	buffer_store_dword v4, v2, s[0:3], 0 offen offset:4
	s_waitcnt vmcnt(5)
	buffer_store_dword v5, v2, s[0:3], 0 offen offset:8
	s_waitcnt vmcnt(4)
	buffer_store_dword v6, v2, s[0:3], 0 offen offset:12
	s_waitcnt vmcnt(3)
	buffer_store_dword v7, v1, s[0:3], 0 offen offset:12
	s_waitcnt vmcnt(2)
	buffer_store_dword v8, v1, s[0:3], 0 offen offset:8
	s_waitcnt vmcnt(1)
	buffer_store_dword v9, v1, s[0:3], 0 offen offset:4
	s_waitcnt vmcnt(0)
	buffer_store_dword v10, v1, s[0:3], 0 offen
.LBB60_434:
	global_load_dword v0, v0, s[20:21] offset:152
	s_waitcnt vmcnt(0)
	v_add_nc_u32_e32 v0, -1, v0
	v_cmp_eq_u32_e32 vcc_lo, 38, v0
	s_cbranch_vccnz .LBB60_436
; %bb.435:
	v_lshlrev_b32_e32 v0, 4, v0
	v_mov_b32_e32 v1, s37
	v_add_nc_u32_e32 v0, 16, v0
	s_clause 0x7
	buffer_load_dword v2, v0, s[0:3], 0 offen
	buffer_load_dword v3, v0, s[0:3], 0 offen offset:4
	buffer_load_dword v4, v0, s[0:3], 0 offen offset:8
	;; [unrolled: 1-line block ×6, first 2 shown]
	buffer_load_dword v9, v1, s[0:3], 0 offen
	s_waitcnt vmcnt(7)
	buffer_store_dword v2, v1, s[0:3], 0 offen
	s_waitcnt vmcnt(6)
	buffer_store_dword v3, v1, s[0:3], 0 offen offset:4
	s_waitcnt vmcnt(5)
	buffer_store_dword v4, v1, s[0:3], 0 offen offset:8
	;; [unrolled: 2-line block ×6, first 2 shown]
	s_waitcnt vmcnt(0)
	buffer_store_dword v9, v0, s[0:3], 0 offen
.LBB60_436:
	v_mov_b32_e32 v0, 0
	global_load_dword v1, v0, s[20:21] offset:148
	s_waitcnt vmcnt(0)
	v_add_nc_u32_e32 v1, -1, v1
	v_cmp_eq_u32_e32 vcc_lo, 37, v1
	s_cbranch_vccnz .LBB60_438
; %bb.437:
	v_lshlrev_b32_e32 v1, 4, v1
	v_mov_b32_e32 v2, s38
	v_add_nc_u32_e32 v1, 16, v1
	s_clause 0x7
	buffer_load_dword v3, v1, s[0:3], 0 offen
	buffer_load_dword v4, v1, s[0:3], 0 offen offset:4
	buffer_load_dword v5, v1, s[0:3], 0 offen offset:8
	;; [unrolled: 1-line block ×6, first 2 shown]
	buffer_load_dword v10, v2, s[0:3], 0 offen
	s_waitcnt vmcnt(7)
	buffer_store_dword v3, v2, s[0:3], 0 offen
	s_waitcnt vmcnt(6)
	buffer_store_dword v4, v2, s[0:3], 0 offen offset:4
	s_waitcnt vmcnt(5)
	buffer_store_dword v5, v2, s[0:3], 0 offen offset:8
	;; [unrolled: 2-line block ×6, first 2 shown]
	s_waitcnt vmcnt(0)
	buffer_store_dword v10, v1, s[0:3], 0 offen
.LBB60_438:
	global_load_dword v0, v0, s[20:21] offset:144
	s_waitcnt vmcnt(0)
	v_add_nc_u32_e32 v0, -1, v0
	v_cmp_eq_u32_e32 vcc_lo, 36, v0
	s_cbranch_vccnz .LBB60_440
; %bb.439:
	v_lshlrev_b32_e32 v0, 4, v0
	v_mov_b32_e32 v1, s39
	v_add_nc_u32_e32 v0, 16, v0
	s_clause 0x7
	buffer_load_dword v2, v0, s[0:3], 0 offen
	buffer_load_dword v3, v0, s[0:3], 0 offen offset:4
	buffer_load_dword v4, v0, s[0:3], 0 offen offset:8
	;; [unrolled: 1-line block ×6, first 2 shown]
	buffer_load_dword v9, v1, s[0:3], 0 offen
	s_waitcnt vmcnt(7)
	buffer_store_dword v2, v1, s[0:3], 0 offen
	s_waitcnt vmcnt(6)
	buffer_store_dword v3, v1, s[0:3], 0 offen offset:4
	s_waitcnt vmcnt(5)
	buffer_store_dword v4, v1, s[0:3], 0 offen offset:8
	;; [unrolled: 2-line block ×6, first 2 shown]
	s_waitcnt vmcnt(0)
	buffer_store_dword v9, v0, s[0:3], 0 offen
.LBB60_440:
	v_mov_b32_e32 v0, 0
	global_load_dword v1, v0, s[20:21] offset:140
	s_waitcnt vmcnt(0)
	v_add_nc_u32_e32 v1, -1, v1
	v_cmp_eq_u32_e32 vcc_lo, 35, v1
	s_cbranch_vccnz .LBB60_442
; %bb.441:
	v_lshlrev_b32_e32 v1, 4, v1
	v_mov_b32_e32 v2, s40
	v_add_nc_u32_e32 v1, 16, v1
	s_clause 0x7
	buffer_load_dword v3, v1, s[0:3], 0 offen
	buffer_load_dword v4, v1, s[0:3], 0 offen offset:4
	buffer_load_dword v5, v1, s[0:3], 0 offen offset:8
	buffer_load_dword v6, v1, s[0:3], 0 offen offset:12
	buffer_load_dword v7, v2, s[0:3], 0 offen offset:12
	buffer_load_dword v8, v2, s[0:3], 0 offen offset:8
	buffer_load_dword v9, v2, s[0:3], 0 offen offset:4
	buffer_load_dword v10, v2, s[0:3], 0 offen
	s_waitcnt vmcnt(7)
	buffer_store_dword v3, v2, s[0:3], 0 offen
	s_waitcnt vmcnt(6)
	buffer_store_dword v4, v2, s[0:3], 0 offen offset:4
	s_waitcnt vmcnt(5)
	buffer_store_dword v5, v2, s[0:3], 0 offen offset:8
	;; [unrolled: 2-line block ×6, first 2 shown]
	s_waitcnt vmcnt(0)
	buffer_store_dword v10, v1, s[0:3], 0 offen
.LBB60_442:
	global_load_dword v0, v0, s[20:21] offset:136
	s_waitcnt vmcnt(0)
	v_add_nc_u32_e32 v0, -1, v0
	v_cmp_eq_u32_e32 vcc_lo, 34, v0
	s_cbranch_vccnz .LBB60_444
; %bb.443:
	v_lshlrev_b32_e32 v0, 4, v0
	v_mov_b32_e32 v1, s41
	v_add_nc_u32_e32 v0, 16, v0
	s_clause 0x7
	buffer_load_dword v2, v0, s[0:3], 0 offen
	buffer_load_dword v3, v0, s[0:3], 0 offen offset:4
	buffer_load_dword v4, v0, s[0:3], 0 offen offset:8
	;; [unrolled: 1-line block ×6, first 2 shown]
	buffer_load_dword v9, v1, s[0:3], 0 offen
	s_waitcnt vmcnt(7)
	buffer_store_dword v2, v1, s[0:3], 0 offen
	s_waitcnt vmcnt(6)
	buffer_store_dword v3, v1, s[0:3], 0 offen offset:4
	s_waitcnt vmcnt(5)
	buffer_store_dword v4, v1, s[0:3], 0 offen offset:8
	;; [unrolled: 2-line block ×6, first 2 shown]
	s_waitcnt vmcnt(0)
	buffer_store_dword v9, v0, s[0:3], 0 offen
.LBB60_444:
	v_mov_b32_e32 v0, 0
	global_load_dword v1, v0, s[20:21] offset:132
	s_waitcnt vmcnt(0)
	v_add_nc_u32_e32 v1, -1, v1
	v_cmp_eq_u32_e32 vcc_lo, 33, v1
	s_cbranch_vccnz .LBB60_446
; %bb.445:
	v_lshlrev_b32_e32 v1, 4, v1
	v_mov_b32_e32 v2, s42
	v_add_nc_u32_e32 v1, 16, v1
	s_clause 0x7
	buffer_load_dword v3, v1, s[0:3], 0 offen
	buffer_load_dword v4, v1, s[0:3], 0 offen offset:4
	buffer_load_dword v5, v1, s[0:3], 0 offen offset:8
	;; [unrolled: 1-line block ×6, first 2 shown]
	buffer_load_dword v10, v2, s[0:3], 0 offen
	s_waitcnt vmcnt(7)
	buffer_store_dword v3, v2, s[0:3], 0 offen
	s_waitcnt vmcnt(6)
	buffer_store_dword v4, v2, s[0:3], 0 offen offset:4
	s_waitcnt vmcnt(5)
	buffer_store_dword v5, v2, s[0:3], 0 offen offset:8
	s_waitcnt vmcnt(4)
	buffer_store_dword v6, v2, s[0:3], 0 offen offset:12
	s_waitcnt vmcnt(3)
	buffer_store_dword v7, v1, s[0:3], 0 offen offset:12
	s_waitcnt vmcnt(2)
	buffer_store_dword v8, v1, s[0:3], 0 offen offset:8
	s_waitcnt vmcnt(1)
	buffer_store_dword v9, v1, s[0:3], 0 offen offset:4
	s_waitcnt vmcnt(0)
	buffer_store_dword v10, v1, s[0:3], 0 offen
.LBB60_446:
	global_load_dword v0, v0, s[20:21] offset:128
	s_waitcnt vmcnt(0)
	v_add_nc_u32_e32 v0, -1, v0
	v_cmp_eq_u32_e32 vcc_lo, 32, v0
	s_cbranch_vccnz .LBB60_448
; %bb.447:
	v_lshlrev_b32_e32 v0, 4, v0
	v_mov_b32_e32 v1, s43
	v_add_nc_u32_e32 v0, 16, v0
	s_clause 0x7
	buffer_load_dword v2, v0, s[0:3], 0 offen
	buffer_load_dword v3, v0, s[0:3], 0 offen offset:4
	buffer_load_dword v4, v0, s[0:3], 0 offen offset:8
	;; [unrolled: 1-line block ×6, first 2 shown]
	buffer_load_dword v9, v1, s[0:3], 0 offen
	s_waitcnt vmcnt(7)
	buffer_store_dword v2, v1, s[0:3], 0 offen
	s_waitcnt vmcnt(6)
	buffer_store_dword v3, v1, s[0:3], 0 offen offset:4
	s_waitcnt vmcnt(5)
	buffer_store_dword v4, v1, s[0:3], 0 offen offset:8
	;; [unrolled: 2-line block ×6, first 2 shown]
	s_waitcnt vmcnt(0)
	buffer_store_dword v9, v0, s[0:3], 0 offen
.LBB60_448:
	v_mov_b32_e32 v0, 0
	global_load_dword v1, v0, s[20:21] offset:124
	s_waitcnt vmcnt(0)
	v_add_nc_u32_e32 v1, -1, v1
	v_cmp_eq_u32_e32 vcc_lo, 31, v1
	s_cbranch_vccnz .LBB60_450
; %bb.449:
	v_lshlrev_b32_e32 v1, 4, v1
	v_mov_b32_e32 v2, s44
	v_add_nc_u32_e32 v1, 16, v1
	s_clause 0x7
	buffer_load_dword v3, v1, s[0:3], 0 offen
	buffer_load_dword v4, v1, s[0:3], 0 offen offset:4
	buffer_load_dword v5, v1, s[0:3], 0 offen offset:8
	;; [unrolled: 1-line block ×6, first 2 shown]
	buffer_load_dword v10, v2, s[0:3], 0 offen
	s_waitcnt vmcnt(7)
	buffer_store_dword v3, v2, s[0:3], 0 offen
	s_waitcnt vmcnt(6)
	buffer_store_dword v4, v2, s[0:3], 0 offen offset:4
	s_waitcnt vmcnt(5)
	buffer_store_dword v5, v2, s[0:3], 0 offen offset:8
	;; [unrolled: 2-line block ×6, first 2 shown]
	s_waitcnt vmcnt(0)
	buffer_store_dword v10, v1, s[0:3], 0 offen
.LBB60_450:
	global_load_dword v0, v0, s[20:21] offset:120
	s_waitcnt vmcnt(0)
	v_add_nc_u32_e32 v0, -1, v0
	v_cmp_eq_u32_e32 vcc_lo, 30, v0
	s_cbranch_vccnz .LBB60_452
; %bb.451:
	v_lshlrev_b32_e32 v0, 4, v0
	v_mov_b32_e32 v1, s45
	v_add_nc_u32_e32 v0, 16, v0
	s_clause 0x7
	buffer_load_dword v2, v0, s[0:3], 0 offen
	buffer_load_dword v3, v0, s[0:3], 0 offen offset:4
	buffer_load_dword v4, v0, s[0:3], 0 offen offset:8
	;; [unrolled: 1-line block ×6, first 2 shown]
	buffer_load_dword v9, v1, s[0:3], 0 offen
	s_waitcnt vmcnt(7)
	buffer_store_dword v2, v1, s[0:3], 0 offen
	s_waitcnt vmcnt(6)
	buffer_store_dword v3, v1, s[0:3], 0 offen offset:4
	s_waitcnt vmcnt(5)
	buffer_store_dword v4, v1, s[0:3], 0 offen offset:8
	;; [unrolled: 2-line block ×6, first 2 shown]
	s_waitcnt vmcnt(0)
	buffer_store_dword v9, v0, s[0:3], 0 offen
.LBB60_452:
	v_mov_b32_e32 v0, 0
	global_load_dword v1, v0, s[20:21] offset:116
	s_waitcnt vmcnt(0)
	v_add_nc_u32_e32 v1, -1, v1
	v_cmp_eq_u32_e32 vcc_lo, 29, v1
	s_cbranch_vccnz .LBB60_454
; %bb.453:
	v_lshlrev_b32_e32 v1, 4, v1
	v_mov_b32_e32 v2, s46
	v_add_nc_u32_e32 v1, 16, v1
	s_clause 0x7
	buffer_load_dword v3, v1, s[0:3], 0 offen
	buffer_load_dword v4, v1, s[0:3], 0 offen offset:4
	buffer_load_dword v5, v1, s[0:3], 0 offen offset:8
	;; [unrolled: 1-line block ×6, first 2 shown]
	buffer_load_dword v10, v2, s[0:3], 0 offen
	s_waitcnt vmcnt(7)
	buffer_store_dword v3, v2, s[0:3], 0 offen
	s_waitcnt vmcnt(6)
	buffer_store_dword v4, v2, s[0:3], 0 offen offset:4
	s_waitcnt vmcnt(5)
	buffer_store_dword v5, v2, s[0:3], 0 offen offset:8
	;; [unrolled: 2-line block ×6, first 2 shown]
	s_waitcnt vmcnt(0)
	buffer_store_dword v10, v1, s[0:3], 0 offen
.LBB60_454:
	global_load_dword v0, v0, s[20:21] offset:112
	s_waitcnt vmcnt(0)
	v_add_nc_u32_e32 v0, -1, v0
	v_cmp_eq_u32_e32 vcc_lo, 28, v0
	s_cbranch_vccnz .LBB60_456
; %bb.455:
	v_lshlrev_b32_e32 v0, 4, v0
	v_mov_b32_e32 v1, s47
	v_add_nc_u32_e32 v0, 16, v0
	s_clause 0x7
	buffer_load_dword v2, v0, s[0:3], 0 offen
	buffer_load_dword v3, v0, s[0:3], 0 offen offset:4
	buffer_load_dword v4, v0, s[0:3], 0 offen offset:8
	;; [unrolled: 1-line block ×6, first 2 shown]
	buffer_load_dword v9, v1, s[0:3], 0 offen
	s_waitcnt vmcnt(7)
	buffer_store_dword v2, v1, s[0:3], 0 offen
	s_waitcnt vmcnt(6)
	buffer_store_dword v3, v1, s[0:3], 0 offen offset:4
	s_waitcnt vmcnt(5)
	buffer_store_dword v4, v1, s[0:3], 0 offen offset:8
	;; [unrolled: 2-line block ×6, first 2 shown]
	s_waitcnt vmcnt(0)
	buffer_store_dword v9, v0, s[0:3], 0 offen
.LBB60_456:
	v_mov_b32_e32 v0, 0
	global_load_dword v1, v0, s[20:21] offset:108
	s_waitcnt vmcnt(0)
	v_add_nc_u32_e32 v1, -1, v1
	v_cmp_eq_u32_e32 vcc_lo, 27, v1
	s_cbranch_vccnz .LBB60_458
; %bb.457:
	v_lshlrev_b32_e32 v1, 4, v1
	v_mov_b32_e32 v2, s48
	v_add_nc_u32_e32 v1, 16, v1
	s_clause 0x7
	buffer_load_dword v3, v1, s[0:3], 0 offen
	buffer_load_dword v4, v1, s[0:3], 0 offen offset:4
	buffer_load_dword v5, v1, s[0:3], 0 offen offset:8
	;; [unrolled: 1-line block ×6, first 2 shown]
	buffer_load_dword v10, v2, s[0:3], 0 offen
	s_waitcnt vmcnt(7)
	buffer_store_dword v3, v2, s[0:3], 0 offen
	s_waitcnt vmcnt(6)
	buffer_store_dword v4, v2, s[0:3], 0 offen offset:4
	s_waitcnt vmcnt(5)
	buffer_store_dword v5, v2, s[0:3], 0 offen offset:8
	s_waitcnt vmcnt(4)
	buffer_store_dword v6, v2, s[0:3], 0 offen offset:12
	s_waitcnt vmcnt(3)
	buffer_store_dword v7, v1, s[0:3], 0 offen offset:12
	s_waitcnt vmcnt(2)
	buffer_store_dword v8, v1, s[0:3], 0 offen offset:8
	s_waitcnt vmcnt(1)
	buffer_store_dword v9, v1, s[0:3], 0 offen offset:4
	s_waitcnt vmcnt(0)
	buffer_store_dword v10, v1, s[0:3], 0 offen
.LBB60_458:
	global_load_dword v0, v0, s[20:21] offset:104
	s_waitcnt vmcnt(0)
	v_add_nc_u32_e32 v0, -1, v0
	v_cmp_eq_u32_e32 vcc_lo, 26, v0
	s_cbranch_vccnz .LBB60_460
; %bb.459:
	v_lshlrev_b32_e32 v0, 4, v0
	v_mov_b32_e32 v1, s49
	v_add_nc_u32_e32 v0, 16, v0
	s_clause 0x7
	buffer_load_dword v2, v0, s[0:3], 0 offen
	buffer_load_dword v3, v0, s[0:3], 0 offen offset:4
	buffer_load_dword v4, v0, s[0:3], 0 offen offset:8
	;; [unrolled: 1-line block ×6, first 2 shown]
	buffer_load_dword v9, v1, s[0:3], 0 offen
	s_waitcnt vmcnt(7)
	buffer_store_dword v2, v1, s[0:3], 0 offen
	s_waitcnt vmcnt(6)
	buffer_store_dword v3, v1, s[0:3], 0 offen offset:4
	s_waitcnt vmcnt(5)
	buffer_store_dword v4, v1, s[0:3], 0 offen offset:8
	;; [unrolled: 2-line block ×6, first 2 shown]
	s_waitcnt vmcnt(0)
	buffer_store_dword v9, v0, s[0:3], 0 offen
.LBB60_460:
	v_mov_b32_e32 v0, 0
	global_load_dword v1, v0, s[20:21] offset:100
	s_waitcnt vmcnt(0)
	v_add_nc_u32_e32 v1, -1, v1
	v_cmp_eq_u32_e32 vcc_lo, 25, v1
	s_cbranch_vccnz .LBB60_462
; %bb.461:
	v_lshlrev_b32_e32 v1, 4, v1
	v_mov_b32_e32 v2, s50
	v_add_nc_u32_e32 v1, 16, v1
	s_clause 0x7
	buffer_load_dword v3, v1, s[0:3], 0 offen
	buffer_load_dword v4, v1, s[0:3], 0 offen offset:4
	buffer_load_dword v5, v1, s[0:3], 0 offen offset:8
	buffer_load_dword v6, v1, s[0:3], 0 offen offset:12
	buffer_load_dword v7, v2, s[0:3], 0 offen offset:12
	buffer_load_dword v8, v2, s[0:3], 0 offen offset:8
	buffer_load_dword v9, v2, s[0:3], 0 offen offset:4
	buffer_load_dword v10, v2, s[0:3], 0 offen
	s_waitcnt vmcnt(7)
	buffer_store_dword v3, v2, s[0:3], 0 offen
	s_waitcnt vmcnt(6)
	buffer_store_dword v4, v2, s[0:3], 0 offen offset:4
	s_waitcnt vmcnt(5)
	buffer_store_dword v5, v2, s[0:3], 0 offen offset:8
	;; [unrolled: 2-line block ×6, first 2 shown]
	s_waitcnt vmcnt(0)
	buffer_store_dword v10, v1, s[0:3], 0 offen
.LBB60_462:
	global_load_dword v0, v0, s[20:21] offset:96
	s_waitcnt vmcnt(0)
	v_add_nc_u32_e32 v0, -1, v0
	v_cmp_eq_u32_e32 vcc_lo, 24, v0
	s_cbranch_vccnz .LBB60_464
; %bb.463:
	v_lshlrev_b32_e32 v0, 4, v0
	v_mov_b32_e32 v1, s51
	v_add_nc_u32_e32 v0, 16, v0
	s_clause 0x7
	buffer_load_dword v2, v0, s[0:3], 0 offen
	buffer_load_dword v3, v0, s[0:3], 0 offen offset:4
	buffer_load_dword v4, v0, s[0:3], 0 offen offset:8
	;; [unrolled: 1-line block ×6, first 2 shown]
	buffer_load_dword v9, v1, s[0:3], 0 offen
	s_waitcnt vmcnt(7)
	buffer_store_dword v2, v1, s[0:3], 0 offen
	s_waitcnt vmcnt(6)
	buffer_store_dword v3, v1, s[0:3], 0 offen offset:4
	s_waitcnt vmcnt(5)
	buffer_store_dword v4, v1, s[0:3], 0 offen offset:8
	;; [unrolled: 2-line block ×6, first 2 shown]
	s_waitcnt vmcnt(0)
	buffer_store_dword v9, v0, s[0:3], 0 offen
.LBB60_464:
	v_mov_b32_e32 v0, 0
	global_load_dword v1, v0, s[20:21] offset:92
	s_waitcnt vmcnt(0)
	v_add_nc_u32_e32 v1, -1, v1
	v_cmp_eq_u32_e32 vcc_lo, 23, v1
	s_cbranch_vccnz .LBB60_466
; %bb.465:
	v_lshlrev_b32_e32 v1, 4, v1
	v_mov_b32_e32 v2, s52
	v_add_nc_u32_e32 v1, 16, v1
	s_clause 0x7
	buffer_load_dword v3, v1, s[0:3], 0 offen
	buffer_load_dword v4, v1, s[0:3], 0 offen offset:4
	buffer_load_dword v5, v1, s[0:3], 0 offen offset:8
	;; [unrolled: 1-line block ×6, first 2 shown]
	buffer_load_dword v10, v2, s[0:3], 0 offen
	s_waitcnt vmcnt(7)
	buffer_store_dword v3, v2, s[0:3], 0 offen
	s_waitcnt vmcnt(6)
	buffer_store_dword v4, v2, s[0:3], 0 offen offset:4
	s_waitcnt vmcnt(5)
	buffer_store_dword v5, v2, s[0:3], 0 offen offset:8
	;; [unrolled: 2-line block ×6, first 2 shown]
	s_waitcnt vmcnt(0)
	buffer_store_dword v10, v1, s[0:3], 0 offen
.LBB60_466:
	global_load_dword v0, v0, s[20:21] offset:88
	s_waitcnt vmcnt(0)
	v_add_nc_u32_e32 v0, -1, v0
	v_cmp_eq_u32_e32 vcc_lo, 22, v0
	s_cbranch_vccnz .LBB60_468
; %bb.467:
	v_lshlrev_b32_e32 v0, 4, v0
	v_mov_b32_e32 v1, s53
	v_add_nc_u32_e32 v0, 16, v0
	s_clause 0x7
	buffer_load_dword v2, v0, s[0:3], 0 offen
	buffer_load_dword v3, v0, s[0:3], 0 offen offset:4
	buffer_load_dword v4, v0, s[0:3], 0 offen offset:8
	;; [unrolled: 1-line block ×6, first 2 shown]
	buffer_load_dword v9, v1, s[0:3], 0 offen
	s_waitcnt vmcnt(7)
	buffer_store_dword v2, v1, s[0:3], 0 offen
	s_waitcnt vmcnt(6)
	buffer_store_dword v3, v1, s[0:3], 0 offen offset:4
	s_waitcnt vmcnt(5)
	buffer_store_dword v4, v1, s[0:3], 0 offen offset:8
	;; [unrolled: 2-line block ×6, first 2 shown]
	s_waitcnt vmcnt(0)
	buffer_store_dword v9, v0, s[0:3], 0 offen
.LBB60_468:
	v_mov_b32_e32 v0, 0
	global_load_dword v1, v0, s[20:21] offset:84
	s_waitcnt vmcnt(0)
	v_add_nc_u32_e32 v1, -1, v1
	v_cmp_eq_u32_e32 vcc_lo, 21, v1
	s_cbranch_vccnz .LBB60_470
; %bb.469:
	v_lshlrev_b32_e32 v1, 4, v1
	v_mov_b32_e32 v2, s54
	v_add_nc_u32_e32 v1, 16, v1
	s_clause 0x7
	buffer_load_dword v3, v1, s[0:3], 0 offen
	buffer_load_dword v4, v1, s[0:3], 0 offen offset:4
	buffer_load_dword v5, v1, s[0:3], 0 offen offset:8
	;; [unrolled: 1-line block ×6, first 2 shown]
	buffer_load_dword v10, v2, s[0:3], 0 offen
	s_waitcnt vmcnt(7)
	buffer_store_dword v3, v2, s[0:3], 0 offen
	s_waitcnt vmcnt(6)
	buffer_store_dword v4, v2, s[0:3], 0 offen offset:4
	s_waitcnt vmcnt(5)
	buffer_store_dword v5, v2, s[0:3], 0 offen offset:8
	;; [unrolled: 2-line block ×6, first 2 shown]
	s_waitcnt vmcnt(0)
	buffer_store_dword v10, v1, s[0:3], 0 offen
.LBB60_470:
	global_load_dword v0, v0, s[20:21] offset:80
	s_waitcnt vmcnt(0)
	v_add_nc_u32_e32 v0, -1, v0
	v_cmp_eq_u32_e32 vcc_lo, 20, v0
	s_cbranch_vccnz .LBB60_472
; %bb.471:
	v_lshlrev_b32_e32 v0, 4, v0
	v_mov_b32_e32 v1, s55
	v_add_nc_u32_e32 v0, 16, v0
	s_clause 0x7
	buffer_load_dword v2, v0, s[0:3], 0 offen
	buffer_load_dword v3, v0, s[0:3], 0 offen offset:4
	buffer_load_dword v4, v0, s[0:3], 0 offen offset:8
	;; [unrolled: 1-line block ×6, first 2 shown]
	buffer_load_dword v9, v1, s[0:3], 0 offen
	s_waitcnt vmcnt(7)
	buffer_store_dword v2, v1, s[0:3], 0 offen
	s_waitcnt vmcnt(6)
	buffer_store_dword v3, v1, s[0:3], 0 offen offset:4
	s_waitcnt vmcnt(5)
	buffer_store_dword v4, v1, s[0:3], 0 offen offset:8
	;; [unrolled: 2-line block ×6, first 2 shown]
	s_waitcnt vmcnt(0)
	buffer_store_dword v9, v0, s[0:3], 0 offen
.LBB60_472:
	v_mov_b32_e32 v0, 0
	global_load_dword v1, v0, s[20:21] offset:76
	s_waitcnt vmcnt(0)
	v_add_nc_u32_e32 v1, -1, v1
	v_cmp_eq_u32_e32 vcc_lo, 19, v1
	s_cbranch_vccnz .LBB60_474
; %bb.473:
	v_lshlrev_b32_e32 v1, 4, v1
	v_mov_b32_e32 v2, s56
	v_add_nc_u32_e32 v1, 16, v1
	s_clause 0x7
	buffer_load_dword v3, v1, s[0:3], 0 offen
	buffer_load_dword v4, v1, s[0:3], 0 offen offset:4
	buffer_load_dword v5, v1, s[0:3], 0 offen offset:8
	;; [unrolled: 1-line block ×6, first 2 shown]
	buffer_load_dword v10, v2, s[0:3], 0 offen
	s_waitcnt vmcnt(7)
	buffer_store_dword v3, v2, s[0:3], 0 offen
	s_waitcnt vmcnt(6)
	buffer_store_dword v4, v2, s[0:3], 0 offen offset:4
	s_waitcnt vmcnt(5)
	buffer_store_dword v5, v2, s[0:3], 0 offen offset:8
	;; [unrolled: 2-line block ×6, first 2 shown]
	s_waitcnt vmcnt(0)
	buffer_store_dword v10, v1, s[0:3], 0 offen
.LBB60_474:
	global_load_dword v0, v0, s[20:21] offset:72
	s_waitcnt vmcnt(0)
	v_add_nc_u32_e32 v0, -1, v0
	v_cmp_eq_u32_e32 vcc_lo, 18, v0
	s_cbranch_vccnz .LBB60_476
; %bb.475:
	v_lshlrev_b32_e32 v0, 4, v0
	v_mov_b32_e32 v1, s58
	v_add_nc_u32_e32 v0, 16, v0
	s_clause 0x7
	buffer_load_dword v2, v0, s[0:3], 0 offen
	buffer_load_dword v3, v0, s[0:3], 0 offen offset:4
	buffer_load_dword v4, v0, s[0:3], 0 offen offset:8
	;; [unrolled: 1-line block ×6, first 2 shown]
	buffer_load_dword v9, v1, s[0:3], 0 offen
	s_waitcnt vmcnt(7)
	buffer_store_dword v2, v1, s[0:3], 0 offen
	s_waitcnt vmcnt(6)
	buffer_store_dword v3, v1, s[0:3], 0 offen offset:4
	s_waitcnt vmcnt(5)
	buffer_store_dword v4, v1, s[0:3], 0 offen offset:8
	;; [unrolled: 2-line block ×6, first 2 shown]
	s_waitcnt vmcnt(0)
	buffer_store_dword v9, v0, s[0:3], 0 offen
.LBB60_476:
	v_mov_b32_e32 v0, 0
	global_load_dword v1, v0, s[20:21] offset:68
	s_waitcnt vmcnt(0)
	v_add_nc_u32_e32 v1, -1, v1
	v_cmp_eq_u32_e32 vcc_lo, 17, v1
	s_cbranch_vccnz .LBB60_478
; %bb.477:
	v_lshlrev_b32_e32 v1, 4, v1
	v_mov_b32_e32 v2, s60
	v_add_nc_u32_e32 v1, 16, v1
	s_clause 0x7
	buffer_load_dword v3, v1, s[0:3], 0 offen
	buffer_load_dword v4, v1, s[0:3], 0 offen offset:4
	buffer_load_dword v5, v1, s[0:3], 0 offen offset:8
	;; [unrolled: 1-line block ×6, first 2 shown]
	buffer_load_dword v10, v2, s[0:3], 0 offen
	s_waitcnt vmcnt(7)
	buffer_store_dword v3, v2, s[0:3], 0 offen
	s_waitcnt vmcnt(6)
	buffer_store_dword v4, v2, s[0:3], 0 offen offset:4
	s_waitcnt vmcnt(5)
	buffer_store_dword v5, v2, s[0:3], 0 offen offset:8
	;; [unrolled: 2-line block ×6, first 2 shown]
	s_waitcnt vmcnt(0)
	buffer_store_dword v10, v1, s[0:3], 0 offen
.LBB60_478:
	global_load_dword v0, v0, s[20:21] offset:64
	s_waitcnt vmcnt(0)
	v_add_nc_u32_e32 v0, -1, v0
	v_cmp_eq_u32_e32 vcc_lo, 16, v0
	s_cbranch_vccnz .LBB60_480
; %bb.479:
	v_lshlrev_b32_e32 v0, 4, v0
	v_mov_b32_e32 v1, s62
	v_add_nc_u32_e32 v0, 16, v0
	s_clause 0x7
	buffer_load_dword v2, v0, s[0:3], 0 offen
	buffer_load_dword v3, v0, s[0:3], 0 offen offset:4
	buffer_load_dword v4, v0, s[0:3], 0 offen offset:8
	;; [unrolled: 1-line block ×6, first 2 shown]
	buffer_load_dword v9, v1, s[0:3], 0 offen
	s_waitcnt vmcnt(7)
	buffer_store_dword v2, v1, s[0:3], 0 offen
	s_waitcnt vmcnt(6)
	buffer_store_dword v3, v1, s[0:3], 0 offen offset:4
	s_waitcnt vmcnt(5)
	buffer_store_dword v4, v1, s[0:3], 0 offen offset:8
	;; [unrolled: 2-line block ×6, first 2 shown]
	s_waitcnt vmcnt(0)
	buffer_store_dword v9, v0, s[0:3], 0 offen
.LBB60_480:
	v_mov_b32_e32 v0, 0
	global_load_dword v1, v0, s[20:21] offset:60
	s_waitcnt vmcnt(0)
	v_add_nc_u32_e32 v1, -1, v1
	v_cmp_eq_u32_e32 vcc_lo, 15, v1
	s_cbranch_vccnz .LBB60_482
; %bb.481:
	v_lshlrev_b32_e32 v1, 4, v1
	v_mov_b32_e32 v2, s64
	v_add_nc_u32_e32 v1, 16, v1
	s_clause 0x7
	buffer_load_dword v3, v1, s[0:3], 0 offen
	buffer_load_dword v4, v1, s[0:3], 0 offen offset:4
	buffer_load_dword v5, v1, s[0:3], 0 offen offset:8
	;; [unrolled: 1-line block ×6, first 2 shown]
	buffer_load_dword v10, v2, s[0:3], 0 offen
	s_waitcnt vmcnt(7)
	buffer_store_dword v3, v2, s[0:3], 0 offen
	s_waitcnt vmcnt(6)
	buffer_store_dword v4, v2, s[0:3], 0 offen offset:4
	s_waitcnt vmcnt(5)
	buffer_store_dword v5, v2, s[0:3], 0 offen offset:8
	;; [unrolled: 2-line block ×6, first 2 shown]
	s_waitcnt vmcnt(0)
	buffer_store_dword v10, v1, s[0:3], 0 offen
.LBB60_482:
	global_load_dword v0, v0, s[20:21] offset:56
	s_waitcnt vmcnt(0)
	v_add_nc_u32_e32 v0, -1, v0
	v_cmp_eq_u32_e32 vcc_lo, 14, v0
	s_cbranch_vccnz .LBB60_484
; %bb.483:
	v_lshlrev_b32_e32 v0, 4, v0
	v_mov_b32_e32 v1, s66
	v_add_nc_u32_e32 v0, 16, v0
	s_clause 0x7
	buffer_load_dword v2, v0, s[0:3], 0 offen
	buffer_load_dword v3, v0, s[0:3], 0 offen offset:4
	buffer_load_dword v4, v0, s[0:3], 0 offen offset:8
	;; [unrolled: 1-line block ×6, first 2 shown]
	buffer_load_dword v9, v1, s[0:3], 0 offen
	s_waitcnt vmcnt(7)
	buffer_store_dword v2, v1, s[0:3], 0 offen
	s_waitcnt vmcnt(6)
	buffer_store_dword v3, v1, s[0:3], 0 offen offset:4
	s_waitcnt vmcnt(5)
	buffer_store_dword v4, v1, s[0:3], 0 offen offset:8
	;; [unrolled: 2-line block ×6, first 2 shown]
	s_waitcnt vmcnt(0)
	buffer_store_dword v9, v0, s[0:3], 0 offen
.LBB60_484:
	v_mov_b32_e32 v0, 0
	global_load_dword v1, v0, s[20:21] offset:52
	s_waitcnt vmcnt(0)
	v_add_nc_u32_e32 v1, -1, v1
	v_cmp_eq_u32_e32 vcc_lo, 13, v1
	s_cbranch_vccnz .LBB60_486
; %bb.485:
	v_lshlrev_b32_e32 v1, 4, v1
	v_mov_b32_e32 v2, s68
	v_add_nc_u32_e32 v1, 16, v1
	s_clause 0x7
	buffer_load_dword v3, v1, s[0:3], 0 offen
	buffer_load_dword v4, v1, s[0:3], 0 offen offset:4
	buffer_load_dword v5, v1, s[0:3], 0 offen offset:8
	;; [unrolled: 1-line block ×6, first 2 shown]
	buffer_load_dword v10, v2, s[0:3], 0 offen
	s_waitcnt vmcnt(7)
	buffer_store_dword v3, v2, s[0:3], 0 offen
	s_waitcnt vmcnt(6)
	buffer_store_dword v4, v2, s[0:3], 0 offen offset:4
	s_waitcnt vmcnt(5)
	buffer_store_dword v5, v2, s[0:3], 0 offen offset:8
	;; [unrolled: 2-line block ×6, first 2 shown]
	s_waitcnt vmcnt(0)
	buffer_store_dword v10, v1, s[0:3], 0 offen
.LBB60_486:
	global_load_dword v0, v0, s[20:21] offset:48
	s_waitcnt vmcnt(0)
	v_add_nc_u32_e32 v0, -1, v0
	v_cmp_eq_u32_e32 vcc_lo, 12, v0
	s_cbranch_vccnz .LBB60_488
; %bb.487:
	v_lshlrev_b32_e32 v0, 4, v0
	v_mov_b32_e32 v1, s70
	v_add_nc_u32_e32 v0, 16, v0
	s_clause 0x7
	buffer_load_dword v2, v0, s[0:3], 0 offen
	buffer_load_dword v3, v0, s[0:3], 0 offen offset:4
	buffer_load_dword v4, v0, s[0:3], 0 offen offset:8
	;; [unrolled: 1-line block ×6, first 2 shown]
	buffer_load_dword v9, v1, s[0:3], 0 offen
	s_waitcnt vmcnt(7)
	buffer_store_dword v2, v1, s[0:3], 0 offen
	s_waitcnt vmcnt(6)
	buffer_store_dword v3, v1, s[0:3], 0 offen offset:4
	s_waitcnt vmcnt(5)
	buffer_store_dword v4, v1, s[0:3], 0 offen offset:8
	;; [unrolled: 2-line block ×6, first 2 shown]
	s_waitcnt vmcnt(0)
	buffer_store_dword v9, v0, s[0:3], 0 offen
.LBB60_488:
	v_mov_b32_e32 v0, 0
	global_load_dword v1, v0, s[20:21] offset:44
	s_waitcnt vmcnt(0)
	v_add_nc_u32_e32 v1, -1, v1
	v_cmp_eq_u32_e32 vcc_lo, 11, v1
	s_cbranch_vccnz .LBB60_490
; %bb.489:
	v_lshlrev_b32_e32 v1, 4, v1
	v_mov_b32_e32 v2, s74
	v_add_nc_u32_e32 v1, 16, v1
	s_clause 0x7
	buffer_load_dword v3, v1, s[0:3], 0 offen
	buffer_load_dword v4, v1, s[0:3], 0 offen offset:4
	buffer_load_dword v5, v1, s[0:3], 0 offen offset:8
	;; [unrolled: 1-line block ×6, first 2 shown]
	buffer_load_dword v10, v2, s[0:3], 0 offen
	s_waitcnt vmcnt(7)
	buffer_store_dword v3, v2, s[0:3], 0 offen
	s_waitcnt vmcnt(6)
	buffer_store_dword v4, v2, s[0:3], 0 offen offset:4
	s_waitcnt vmcnt(5)
	buffer_store_dword v5, v2, s[0:3], 0 offen offset:8
	;; [unrolled: 2-line block ×6, first 2 shown]
	s_waitcnt vmcnt(0)
	buffer_store_dword v10, v1, s[0:3], 0 offen
.LBB60_490:
	global_load_dword v0, v0, s[20:21] offset:40
	s_waitcnt vmcnt(0)
	v_add_nc_u32_e32 v0, -1, v0
	v_cmp_eq_u32_e32 vcc_lo, 10, v0
	s_cbranch_vccnz .LBB60_492
; %bb.491:
	v_lshlrev_b32_e32 v0, 4, v0
	v_mov_b32_e32 v1, s57
	v_add_nc_u32_e32 v0, 16, v0
	s_clause 0x7
	buffer_load_dword v2, v0, s[0:3], 0 offen
	buffer_load_dword v3, v0, s[0:3], 0 offen offset:4
	buffer_load_dword v4, v0, s[0:3], 0 offen offset:8
	;; [unrolled: 1-line block ×6, first 2 shown]
	buffer_load_dword v9, v1, s[0:3], 0 offen
	s_waitcnt vmcnt(7)
	buffer_store_dword v2, v1, s[0:3], 0 offen
	s_waitcnt vmcnt(6)
	buffer_store_dword v3, v1, s[0:3], 0 offen offset:4
	s_waitcnt vmcnt(5)
	buffer_store_dword v4, v1, s[0:3], 0 offen offset:8
	;; [unrolled: 2-line block ×6, first 2 shown]
	s_waitcnt vmcnt(0)
	buffer_store_dword v9, v0, s[0:3], 0 offen
.LBB60_492:
	v_mov_b32_e32 v0, 0
	global_load_dword v1, v0, s[20:21] offset:36
	s_waitcnt vmcnt(0)
	v_add_nc_u32_e32 v1, -1, v1
	v_cmp_eq_u32_e32 vcc_lo, 9, v1
	s_cbranch_vccnz .LBB60_494
; %bb.493:
	v_lshlrev_b32_e32 v1, 4, v1
	v_mov_b32_e32 v2, s59
	v_add_nc_u32_e32 v1, 16, v1
	s_clause 0x7
	buffer_load_dword v3, v1, s[0:3], 0 offen
	buffer_load_dword v4, v1, s[0:3], 0 offen offset:4
	buffer_load_dword v5, v1, s[0:3], 0 offen offset:8
	;; [unrolled: 1-line block ×6, first 2 shown]
	buffer_load_dword v10, v2, s[0:3], 0 offen
	s_waitcnt vmcnt(7)
	buffer_store_dword v3, v2, s[0:3], 0 offen
	s_waitcnt vmcnt(6)
	buffer_store_dword v4, v2, s[0:3], 0 offen offset:4
	s_waitcnt vmcnt(5)
	buffer_store_dword v5, v2, s[0:3], 0 offen offset:8
	;; [unrolled: 2-line block ×6, first 2 shown]
	s_waitcnt vmcnt(0)
	buffer_store_dword v10, v1, s[0:3], 0 offen
.LBB60_494:
	global_load_dword v0, v0, s[20:21] offset:32
	s_waitcnt vmcnt(0)
	v_add_nc_u32_e32 v0, -1, v0
	v_cmp_eq_u32_e32 vcc_lo, 8, v0
	s_cbranch_vccnz .LBB60_496
; %bb.495:
	v_lshlrev_b32_e32 v0, 4, v0
	v_mov_b32_e32 v1, s61
	v_add_nc_u32_e32 v0, 16, v0
	s_clause 0x7
	buffer_load_dword v2, v0, s[0:3], 0 offen
	buffer_load_dword v3, v0, s[0:3], 0 offen offset:4
	buffer_load_dword v4, v0, s[0:3], 0 offen offset:8
	;; [unrolled: 1-line block ×6, first 2 shown]
	buffer_load_dword v9, v1, s[0:3], 0 offen
	s_waitcnt vmcnt(7)
	buffer_store_dword v2, v1, s[0:3], 0 offen
	s_waitcnt vmcnt(6)
	buffer_store_dword v3, v1, s[0:3], 0 offen offset:4
	s_waitcnt vmcnt(5)
	buffer_store_dword v4, v1, s[0:3], 0 offen offset:8
	;; [unrolled: 2-line block ×6, first 2 shown]
	s_waitcnt vmcnt(0)
	buffer_store_dword v9, v0, s[0:3], 0 offen
.LBB60_496:
	v_mov_b32_e32 v0, 0
	global_load_dword v1, v0, s[20:21] offset:28
	s_waitcnt vmcnt(0)
	v_add_nc_u32_e32 v1, -1, v1
	v_cmp_eq_u32_e32 vcc_lo, 7, v1
	s_cbranch_vccnz .LBB60_498
; %bb.497:
	v_lshlrev_b32_e32 v1, 4, v1
	v_mov_b32_e32 v2, s63
	v_add_nc_u32_e32 v1, 16, v1
	s_clause 0x7
	buffer_load_dword v3, v1, s[0:3], 0 offen
	buffer_load_dword v4, v1, s[0:3], 0 offen offset:4
	buffer_load_dword v5, v1, s[0:3], 0 offen offset:8
	;; [unrolled: 1-line block ×6, first 2 shown]
	buffer_load_dword v10, v2, s[0:3], 0 offen
	s_waitcnt vmcnt(7)
	buffer_store_dword v3, v2, s[0:3], 0 offen
	s_waitcnt vmcnt(6)
	buffer_store_dword v4, v2, s[0:3], 0 offen offset:4
	s_waitcnt vmcnt(5)
	buffer_store_dword v5, v2, s[0:3], 0 offen offset:8
	s_waitcnt vmcnt(4)
	buffer_store_dword v6, v2, s[0:3], 0 offen offset:12
	s_waitcnt vmcnt(3)
	buffer_store_dword v7, v1, s[0:3], 0 offen offset:12
	s_waitcnt vmcnt(2)
	buffer_store_dword v8, v1, s[0:3], 0 offen offset:8
	s_waitcnt vmcnt(1)
	buffer_store_dword v9, v1, s[0:3], 0 offen offset:4
	s_waitcnt vmcnt(0)
	buffer_store_dword v10, v1, s[0:3], 0 offen
.LBB60_498:
	global_load_dword v0, v0, s[20:21] offset:24
	s_waitcnt vmcnt(0)
	v_add_nc_u32_e32 v0, -1, v0
	v_cmp_eq_u32_e32 vcc_lo, 6, v0
	s_cbranch_vccnz .LBB60_500
; %bb.499:
	v_lshlrev_b32_e32 v0, 4, v0
	v_mov_b32_e32 v1, s65
	v_add_nc_u32_e32 v0, 16, v0
	s_clause 0x7
	buffer_load_dword v2, v0, s[0:3], 0 offen
	buffer_load_dword v3, v0, s[0:3], 0 offen offset:4
	buffer_load_dword v4, v0, s[0:3], 0 offen offset:8
	;; [unrolled: 1-line block ×6, first 2 shown]
	buffer_load_dword v9, v1, s[0:3], 0 offen
	s_waitcnt vmcnt(7)
	buffer_store_dword v2, v1, s[0:3], 0 offen
	s_waitcnt vmcnt(6)
	buffer_store_dword v3, v1, s[0:3], 0 offen offset:4
	s_waitcnt vmcnt(5)
	buffer_store_dword v4, v1, s[0:3], 0 offen offset:8
	;; [unrolled: 2-line block ×6, first 2 shown]
	s_waitcnt vmcnt(0)
	buffer_store_dword v9, v0, s[0:3], 0 offen
.LBB60_500:
	v_mov_b32_e32 v0, 0
	global_load_dword v1, v0, s[20:21] offset:20
	s_waitcnt vmcnt(0)
	v_add_nc_u32_e32 v1, -1, v1
	v_cmp_eq_u32_e32 vcc_lo, 5, v1
	s_cbranch_vccnz .LBB60_502
; %bb.501:
	v_lshlrev_b32_e32 v1, 4, v1
	v_mov_b32_e32 v2, s67
	v_add_nc_u32_e32 v1, 16, v1
	s_clause 0x7
	buffer_load_dword v3, v1, s[0:3], 0 offen
	buffer_load_dword v4, v1, s[0:3], 0 offen offset:4
	buffer_load_dword v5, v1, s[0:3], 0 offen offset:8
	;; [unrolled: 1-line block ×6, first 2 shown]
	buffer_load_dword v10, v2, s[0:3], 0 offen
	s_waitcnt vmcnt(7)
	buffer_store_dword v3, v2, s[0:3], 0 offen
	s_waitcnt vmcnt(6)
	buffer_store_dword v4, v2, s[0:3], 0 offen offset:4
	s_waitcnt vmcnt(5)
	buffer_store_dword v5, v2, s[0:3], 0 offen offset:8
	;; [unrolled: 2-line block ×6, first 2 shown]
	s_waitcnt vmcnt(0)
	buffer_store_dword v10, v1, s[0:3], 0 offen
.LBB60_502:
	global_load_dword v0, v0, s[20:21] offset:16
	s_waitcnt vmcnt(0)
	v_add_nc_u32_e32 v0, -1, v0
	v_cmp_eq_u32_e32 vcc_lo, 4, v0
	s_cbranch_vccnz .LBB60_504
; %bb.503:
	v_lshlrev_b32_e32 v0, 4, v0
	v_mov_b32_e32 v1, s69
	v_add_nc_u32_e32 v0, 16, v0
	s_clause 0x7
	buffer_load_dword v2, v0, s[0:3], 0 offen
	buffer_load_dword v3, v0, s[0:3], 0 offen offset:4
	buffer_load_dword v4, v0, s[0:3], 0 offen offset:8
	buffer_load_dword v5, v0, s[0:3], 0 offen offset:12
	buffer_load_dword v6, v1, s[0:3], 0 offen offset:12
	buffer_load_dword v7, v1, s[0:3], 0 offen offset:8
	buffer_load_dword v8, v1, s[0:3], 0 offen offset:4
	buffer_load_dword v9, v1, s[0:3], 0 offen
	s_waitcnt vmcnt(7)
	buffer_store_dword v2, v1, s[0:3], 0 offen
	s_waitcnt vmcnt(6)
	buffer_store_dword v3, v1, s[0:3], 0 offen offset:4
	s_waitcnt vmcnt(5)
	buffer_store_dword v4, v1, s[0:3], 0 offen offset:8
	;; [unrolled: 2-line block ×6, first 2 shown]
	s_waitcnt vmcnt(0)
	buffer_store_dword v9, v0, s[0:3], 0 offen
.LBB60_504:
	v_mov_b32_e32 v0, 0
	global_load_dword v1, v0, s[20:21] offset:12
	s_waitcnt vmcnt(0)
	v_add_nc_u32_e32 v1, -1, v1
	v_cmp_eq_u32_e32 vcc_lo, 3, v1
	s_cbranch_vccnz .LBB60_506
; %bb.505:
	v_lshlrev_b32_e32 v1, 4, v1
	v_mov_b32_e32 v2, s71
	v_add_nc_u32_e32 v1, 16, v1
	s_clause 0x7
	buffer_load_dword v3, v1, s[0:3], 0 offen
	buffer_load_dword v4, v1, s[0:3], 0 offen offset:4
	buffer_load_dword v5, v1, s[0:3], 0 offen offset:8
	;; [unrolled: 1-line block ×6, first 2 shown]
	buffer_load_dword v10, v2, s[0:3], 0 offen
	s_waitcnt vmcnt(7)
	buffer_store_dword v3, v2, s[0:3], 0 offen
	s_waitcnt vmcnt(6)
	buffer_store_dword v4, v2, s[0:3], 0 offen offset:4
	s_waitcnt vmcnt(5)
	buffer_store_dword v5, v2, s[0:3], 0 offen offset:8
	;; [unrolled: 2-line block ×6, first 2 shown]
	s_waitcnt vmcnt(0)
	buffer_store_dword v10, v1, s[0:3], 0 offen
.LBB60_506:
	global_load_dword v0, v0, s[20:21] offset:8
	s_waitcnt vmcnt(0)
	v_add_nc_u32_e32 v0, -1, v0
	v_cmp_eq_u32_e32 vcc_lo, 2, v0
	s_cbranch_vccnz .LBB60_508
; %bb.507:
	v_lshlrev_b32_e32 v0, 4, v0
	v_mov_b32_e32 v1, s72
	v_add_nc_u32_e32 v0, 16, v0
	s_clause 0x7
	buffer_load_dword v2, v0, s[0:3], 0 offen
	buffer_load_dword v3, v0, s[0:3], 0 offen offset:4
	buffer_load_dword v4, v0, s[0:3], 0 offen offset:8
	;; [unrolled: 1-line block ×6, first 2 shown]
	buffer_load_dword v9, v1, s[0:3], 0 offen
	s_waitcnt vmcnt(7)
	buffer_store_dword v2, v1, s[0:3], 0 offen
	s_waitcnt vmcnt(6)
	buffer_store_dword v3, v1, s[0:3], 0 offen offset:4
	s_waitcnt vmcnt(5)
	buffer_store_dword v4, v1, s[0:3], 0 offen offset:8
	;; [unrolled: 2-line block ×6, first 2 shown]
	s_waitcnt vmcnt(0)
	buffer_store_dword v9, v0, s[0:3], 0 offen
.LBB60_508:
	v_mov_b32_e32 v0, 0
	global_load_dword v1, v0, s[20:21] offset:4
	s_waitcnt vmcnt(0)
	v_add_nc_u32_e32 v1, -1, v1
	v_cmp_eq_u32_e32 vcc_lo, 1, v1
	s_cbranch_vccnz .LBB60_510
; %bb.509:
	v_lshlrev_b32_e32 v1, 4, v1
	v_mov_b32_e32 v2, s73
	v_add_nc_u32_e32 v1, 16, v1
	s_clause 0x7
	buffer_load_dword v3, v1, s[0:3], 0 offen
	buffer_load_dword v4, v1, s[0:3], 0 offen offset:4
	buffer_load_dword v5, v1, s[0:3], 0 offen offset:8
	;; [unrolled: 1-line block ×6, first 2 shown]
	buffer_load_dword v10, v2, s[0:3], 0 offen
	s_waitcnt vmcnt(7)
	buffer_store_dword v3, v2, s[0:3], 0 offen
	s_waitcnt vmcnt(6)
	buffer_store_dword v4, v2, s[0:3], 0 offen offset:4
	s_waitcnt vmcnt(5)
	buffer_store_dword v5, v2, s[0:3], 0 offen offset:8
	;; [unrolled: 2-line block ×6, first 2 shown]
	s_waitcnt vmcnt(0)
	buffer_store_dword v10, v1, s[0:3], 0 offen
.LBB60_510:
	global_load_dword v0, v0, s[20:21]
	s_waitcnt vmcnt(0)
	v_add_nc_u32_e32 v0, -1, v0
	v_cmp_eq_u32_e32 vcc_lo, 0, v0
	s_cbranch_vccnz .LBB60_512
; %bb.511:
	v_lshlrev_b32_e32 v0, 4, v0
	v_add_nc_u32_e32 v0, 16, v0
	s_clause 0x7
	buffer_load_dword v1, v0, s[0:3], 0 offen
	buffer_load_dword v2, v0, s[0:3], 0 offen offset:4
	buffer_load_dword v3, v0, s[0:3], 0 offen offset:8
	;; [unrolled: 1-line block ×3, first 2 shown]
	buffer_load_dword v5, off, s[0:3], 0 offset:28
	buffer_load_dword v6, off, s[0:3], 0 offset:24
	;; [unrolled: 1-line block ×4, first 2 shown]
	s_waitcnt vmcnt(7)
	buffer_store_dword v1, off, s[0:3], 0 offset:16
	s_waitcnt vmcnt(6)
	buffer_store_dword v2, off, s[0:3], 0 offset:20
	;; [unrolled: 2-line block ×4, first 2 shown]
	s_waitcnt vmcnt(3)
	buffer_store_dword v5, v0, s[0:3], 0 offen offset:12
	s_waitcnt vmcnt(2)
	buffer_store_dword v6, v0, s[0:3], 0 offen offset:8
	;; [unrolled: 2-line block ×3, first 2 shown]
	s_waitcnt vmcnt(0)
	buffer_store_dword v8, v0, s[0:3], 0 offen
.LBB60_512:
	v_mov_b32_e32 v7, s73
	v_mov_b32_e32 v11, s72
	;; [unrolled: 1-line block ×4, first 2 shown]
	s_clause 0x3
	buffer_load_dword v0, off, s[0:3], 0 offset:16
	buffer_load_dword v1, off, s[0:3], 0 offset:20
	;; [unrolled: 1-line block ×4, first 2 shown]
	v_mov_b32_e32 v23, s67
	s_clause 0x3
	buffer_load_dword v4, v7, s[0:3], 0 offen
	buffer_load_dword v5, v7, s[0:3], 0 offen offset:4
	buffer_load_dword v6, v7, s[0:3], 0 offen offset:8
	buffer_load_dword v7, v7, s[0:3], 0 offen offset:12
	v_mov_b32_e32 v27, s65
	s_clause 0x3
	buffer_load_dword v8, v11, s[0:3], 0 offen
	buffer_load_dword v9, v11, s[0:3], 0 offen offset:4
	buffer_load_dword v10, v11, s[0:3], 0 offen offset:8
	buffer_load_dword v11, v11, s[0:3], 0 offen offset:12
	;; [unrolled: 6-line block ×14, first 2 shown]
	buffer_load_dword v60, v63, s[0:3], 0 offen
	buffer_load_dword v61, v63, s[0:3], 0 offen offset:4
	buffer_load_dword v62, v63, s[0:3], 0 offen offset:8
	buffer_load_dword v63, v63, s[0:3], 0 offen offset:12
	buffer_load_dword v64, v67, s[0:3], 0 offen
	buffer_load_dword v65, v67, s[0:3], 0 offen offset:4
	buffer_load_dword v66, v67, s[0:3], 0 offen offset:8
	buffer_load_dword v67, v67, s[0:3], 0 offen offset:12
	;; [unrolled: 4-line block ×4, first 2 shown]
	v_mov_b32_e32 v88, s56
	v_mov_b32_e32 v117, s53
	;; [unrolled: 1-line block ×9, first 2 shown]
	s_clause 0xb
	buffer_load_dword v93, v88, s[0:3], 0 offen
	buffer_load_dword v94, v88, s[0:3], 0 offen offset:4
	buffer_load_dword v95, v88, s[0:3], 0 offen offset:8
	buffer_load_dword v96, v88, s[0:3], 0 offen offset:12
	buffer_load_dword v97, v100, s[0:3], 0 offen
	buffer_load_dword v98, v100, s[0:3], 0 offen offset:4
	buffer_load_dword v99, v100, s[0:3], 0 offen offset:8
	buffer_load_dword v100, v100, s[0:3], 0 offen offset:12
	;; [unrolled: 4-line block ×3, first 2 shown]
	v_mov_b32_e32 v132, s50
	v_mov_b32_e32 v145, s43
	;; [unrolled: 1-line block ×33, first 2 shown]
	s_waitcnt vmcnt(62)
	global_store_dwordx4 v[161:162], v[0:3], off
	s_clause 0x7
	buffer_load_dword v0, v117, s[0:3], 0 offen
	buffer_load_dword v1, v117, s[0:3], 0 offen offset:4
	buffer_load_dword v2, v117, s[0:3], 0 offen offset:8
	buffer_load_dword v3, v117, s[0:3], 0 offen offset:12
	buffer_load_dword v117, v120, s[0:3], 0 offen
	buffer_load_dword v118, v120, s[0:3], 0 offen offset:4
	buffer_load_dword v119, v120, s[0:3], 0 offen offset:8
	buffer_load_dword v120, v120, s[0:3], 0 offen offset:12
	global_store_dwordx4 v[130:131], v[4:7], off
	s_clause 0x7
	buffer_load_dword v4, v129, s[0:3], 0 offen
	buffer_load_dword v5, v129, s[0:3], 0 offen offset:4
	buffer_load_dword v6, v129, s[0:3], 0 offen offset:8
	buffer_load_dword v7, v129, s[0:3], 0 offen offset:12
	buffer_load_dword v129, v132, s[0:3], 0 offen
	buffer_load_dword v130, v132, s[0:3], 0 offen offset:4
	buffer_load_dword v131, v132, s[0:3], 0 offen offset:8
	buffer_load_dword v132, v132, s[0:3], 0 offen offset:12
	;; [unrolled: 10-line block ×6, first 2 shown]
	s_waitcnt vmcnt(62)
	global_store_dwordx4 v[167:168], v[24:27], off
	s_clause 0x7
	buffer_load_dword v24, v149, s[0:3], 0 offen
	buffer_load_dword v25, v149, s[0:3], 0 offen offset:4
	buffer_load_dword v26, v149, s[0:3], 0 offen offset:8
	buffer_load_dword v27, v149, s[0:3], 0 offen offset:12
	buffer_load_dword v149, v152, s[0:3], 0 offen
	buffer_load_dword v150, v152, s[0:3], 0 offen offset:4
	buffer_load_dword v151, v152, s[0:3], 0 offen offset:8
	buffer_load_dword v152, v152, s[0:3], 0 offen offset:12
	global_store_dwordx4 v[175:176], v[28:31], off
	s_clause 0x7
	buffer_load_dword v28, v153, s[0:3], 0 offen
	buffer_load_dword v29, v153, s[0:3], 0 offen offset:4
	buffer_load_dword v30, v153, s[0:3], 0 offen offset:8
	buffer_load_dword v31, v153, s[0:3], 0 offen offset:12
	buffer_load_dword v153, v156, s[0:3], 0 offen
	buffer_load_dword v154, v156, s[0:3], 0 offen offset:4
	buffer_load_dword v155, v156, s[0:3], 0 offen offset:8
	buffer_load_dword v156, v156, s[0:3], 0 offen offset:12
	;; [unrolled: 10-line block ×12, first 2 shown]
	s_waitcnt vmcnt(62)
	global_store_dwordx4 v[200:201], v[72:75], off
	s_clause 0xd
	buffer_load_dword v72, v197, s[0:3], 0 offen
	buffer_load_dword v73, v197, s[0:3], 0 offen offset:4
	buffer_load_dword v74, v197, s[0:3], 0 offen offset:8
	buffer_load_dword v75, v197, s[0:3], 0 offen offset:12
	buffer_load_dword v247, v198, s[0:3], 0 offen
	buffer_load_dword v248, v198, s[0:3], 0 offen offset:4
	buffer_load_dword v249, v198, s[0:3], 0 offen offset:8
	buffer_load_dword v250, v198, s[0:3], 0 offen offset:12
	;; [unrolled: 4-line block ×3, first 2 shown]
	buffer_load_dword v197, off, s[0:3], 0 offset:992
	buffer_load_dword v198, off, s[0:3], 0 offset:996
	s_waitcnt vmcnt(0)
	global_store_dwordx4 v[197:198], v[93:96], off
	s_clause 0x1
	buffer_load_dword v93, off, s[0:3], 0 offset:1000
	buffer_load_dword v94, off, s[0:3], 0 offset:1004
	s_waitcnt vmcnt(0)
	global_store_dwordx4 v[93:94], v[97:100], off
	global_store_dwordx4 v[203:204], v[109:112], off
	global_store_dwordx4 v[205:206], v[0:3], off
	global_store_dwordx4 v[207:208], v[117:120], off
	global_store_dwordx4 v[209:210], v[4:7], off
	global_store_dwordx4 v[211:212], v[129:132], off
	global_store_dwordx4 v[213:214], v[8:11], off
	global_store_dwordx4 v[215:216], v[133:136], off
	global_store_dwordx4 v[217:218], v[12:15], off
	global_store_dwordx4 v[219:220], v[137:140], off
	global_store_dwordx4 v[221:222], v[16:19], off
	global_store_dwordx4 v[223:224], v[141:144], off
	global_store_dwordx4 v[225:226], v[20:23], off
	global_store_dwordx4 v[227:228], v[145:148], off
	global_store_dwordx4 v[229:230], v[24:27], off
	global_store_dwordx4 v[231:232], v[149:152], off
	global_store_dwordx4 v[233:234], v[28:31], off
	global_store_dwordx4 v[235:236], v[153:156], off
	global_store_dwordx4 v[237:238], v[32:35], off
	global_store_dwordx4 v[239:240], v[157:160], off
	global_store_dwordx4 v[241:242], v[36:39], off
	global_store_dwordx4 v[243:244], v[161:164], off
	global_store_dwordx4 v[89:90], v[40:43], off
	global_store_dwordx4 v[91:92], v[165:168], off
	global_store_dwordx4 v[245:246], v[44:47], off
	global_store_dwordx4 v[76:77], v[169:172], off
	global_store_dwordx4 v[78:79], v[48:51], off
	global_store_dwordx4 v[80:81], v[173:176], off
	global_store_dwordx4 v[82:83], v[52:55], off
	global_store_dwordx4 v[84:85], v[177:180], off
	global_store_dwordx4 v[86:87], v[56:59], off
	global_store_dwordx4 v[101:102], v[181:184], off
	global_store_dwordx4 v[103:104], v[60:63], off
	global_store_dwordx4 v[105:106], v[185:188], off
	global_store_dwordx4 v[107:108], v[64:67], off
	global_store_dwordx4 v[113:114], v[189:192], off
	global_store_dwordx4 v[115:116], v[68:71], off
	global_store_dwordx4 v[121:122], v[193:196], off
	global_store_dwordx4 v[123:124], v[72:75], off
	global_store_dwordx4 v[127:128], v[247:250], off
	global_store_dwordx4 v[125:126], v[251:254], off
	s_endpgm
	.section	.rodata,"a",@progbits
	.p2align	6, 0x0
	.amdhsa_kernel _ZN9rocsolver6v33100L18getri_kernel_smallILi61E19rocblas_complex_numIdEPS3_EEvT1_iilPiilS6_bb
		.amdhsa_group_segment_fixed_size 1960
		.amdhsa_private_segment_fixed_size 1024
		.amdhsa_kernarg_size 60
		.amdhsa_user_sgpr_count 6
		.amdhsa_user_sgpr_private_segment_buffer 1
		.amdhsa_user_sgpr_dispatch_ptr 0
		.amdhsa_user_sgpr_queue_ptr 0
		.amdhsa_user_sgpr_kernarg_segment_ptr 1
		.amdhsa_user_sgpr_dispatch_id 0
		.amdhsa_user_sgpr_flat_scratch_init 0
		.amdhsa_user_sgpr_private_segment_size 0
		.amdhsa_wavefront_size32 1
		.amdhsa_uses_dynamic_stack 0
		.amdhsa_system_sgpr_private_segment_wavefront_offset 1
		.amdhsa_system_sgpr_workgroup_id_x 1
		.amdhsa_system_sgpr_workgroup_id_y 0
		.amdhsa_system_sgpr_workgroup_id_z 0
		.amdhsa_system_sgpr_workgroup_info 0
		.amdhsa_system_vgpr_workitem_id 0
		.amdhsa_next_free_vgpr 256
		.amdhsa_next_free_sgpr 81
		.amdhsa_reserve_vcc 1
		.amdhsa_reserve_flat_scratch 0
		.amdhsa_float_round_mode_32 0
		.amdhsa_float_round_mode_16_64 0
		.amdhsa_float_denorm_mode_32 3
		.amdhsa_float_denorm_mode_16_64 3
		.amdhsa_dx10_clamp 1
		.amdhsa_ieee_mode 1
		.amdhsa_fp16_overflow 0
		.amdhsa_workgroup_processor_mode 1
		.amdhsa_memory_ordered 1
		.amdhsa_forward_progress 1
		.amdhsa_shared_vgpr_count 0
		.amdhsa_exception_fp_ieee_invalid_op 0
		.amdhsa_exception_fp_denorm_src 0
		.amdhsa_exception_fp_ieee_div_zero 0
		.amdhsa_exception_fp_ieee_overflow 0
		.amdhsa_exception_fp_ieee_underflow 0
		.amdhsa_exception_fp_ieee_inexact 0
		.amdhsa_exception_int_div_zero 0
	.end_amdhsa_kernel
	.section	.text._ZN9rocsolver6v33100L18getri_kernel_smallILi61E19rocblas_complex_numIdEPS3_EEvT1_iilPiilS6_bb,"axG",@progbits,_ZN9rocsolver6v33100L18getri_kernel_smallILi61E19rocblas_complex_numIdEPS3_EEvT1_iilPiilS6_bb,comdat
.Lfunc_end60:
	.size	_ZN9rocsolver6v33100L18getri_kernel_smallILi61E19rocblas_complex_numIdEPS3_EEvT1_iilPiilS6_bb, .Lfunc_end60-_ZN9rocsolver6v33100L18getri_kernel_smallILi61E19rocblas_complex_numIdEPS3_EEvT1_iilPiilS6_bb
                                        ; -- End function
	.set _ZN9rocsolver6v33100L18getri_kernel_smallILi61E19rocblas_complex_numIdEPS3_EEvT1_iilPiilS6_bb.num_vgpr, 256
	.set _ZN9rocsolver6v33100L18getri_kernel_smallILi61E19rocblas_complex_numIdEPS3_EEvT1_iilPiilS6_bb.num_agpr, 0
	.set _ZN9rocsolver6v33100L18getri_kernel_smallILi61E19rocblas_complex_numIdEPS3_EEvT1_iilPiilS6_bb.numbered_sgpr, 81
	.set _ZN9rocsolver6v33100L18getri_kernel_smallILi61E19rocblas_complex_numIdEPS3_EEvT1_iilPiilS6_bb.num_named_barrier, 0
	.set _ZN9rocsolver6v33100L18getri_kernel_smallILi61E19rocblas_complex_numIdEPS3_EEvT1_iilPiilS6_bb.private_seg_size, 1024
	.set _ZN9rocsolver6v33100L18getri_kernel_smallILi61E19rocblas_complex_numIdEPS3_EEvT1_iilPiilS6_bb.uses_vcc, 1
	.set _ZN9rocsolver6v33100L18getri_kernel_smallILi61E19rocblas_complex_numIdEPS3_EEvT1_iilPiilS6_bb.uses_flat_scratch, 0
	.set _ZN9rocsolver6v33100L18getri_kernel_smallILi61E19rocblas_complex_numIdEPS3_EEvT1_iilPiilS6_bb.has_dyn_sized_stack, 0
	.set _ZN9rocsolver6v33100L18getri_kernel_smallILi61E19rocblas_complex_numIdEPS3_EEvT1_iilPiilS6_bb.has_recursion, 0
	.set _ZN9rocsolver6v33100L18getri_kernel_smallILi61E19rocblas_complex_numIdEPS3_EEvT1_iilPiilS6_bb.has_indirect_call, 0
	.section	.AMDGPU.csdata,"",@progbits
; Kernel info:
; codeLenInByte = 238100
; TotalNumSgprs: 83
; NumVgprs: 256
; ScratchSize: 1024
; MemoryBound: 0
; FloatMode: 240
; IeeeMode: 1
; LDSByteSize: 1960 bytes/workgroup (compile time only)
; SGPRBlocks: 0
; VGPRBlocks: 31
; NumSGPRsForWavesPerEU: 83
; NumVGPRsForWavesPerEU: 256
; Occupancy: 4
; WaveLimiterHint : 1
; COMPUTE_PGM_RSRC2:SCRATCH_EN: 1
; COMPUTE_PGM_RSRC2:USER_SGPR: 6
; COMPUTE_PGM_RSRC2:TRAP_HANDLER: 0
; COMPUTE_PGM_RSRC2:TGID_X_EN: 1
; COMPUTE_PGM_RSRC2:TGID_Y_EN: 0
; COMPUTE_PGM_RSRC2:TGID_Z_EN: 0
; COMPUTE_PGM_RSRC2:TIDIG_COMP_CNT: 0
	.section	.text._ZN9rocsolver6v33100L18getri_kernel_smallILi62E19rocblas_complex_numIdEPS3_EEvT1_iilPiilS6_bb,"axG",@progbits,_ZN9rocsolver6v33100L18getri_kernel_smallILi62E19rocblas_complex_numIdEPS3_EEvT1_iilPiilS6_bb,comdat
	.globl	_ZN9rocsolver6v33100L18getri_kernel_smallILi62E19rocblas_complex_numIdEPS3_EEvT1_iilPiilS6_bb ; -- Begin function _ZN9rocsolver6v33100L18getri_kernel_smallILi62E19rocblas_complex_numIdEPS3_EEvT1_iilPiilS6_bb
	.p2align	8
	.type	_ZN9rocsolver6v33100L18getri_kernel_smallILi62E19rocblas_complex_numIdEPS3_EEvT1_iilPiilS6_bb,@function
_ZN9rocsolver6v33100L18getri_kernel_smallILi62E19rocblas_complex_numIdEPS3_EEvT1_iilPiilS6_bb: ; @_ZN9rocsolver6v33100L18getri_kernel_smallILi62E19rocblas_complex_numIdEPS3_EEvT1_iilPiilS6_bb
; %bb.0:
	s_add_u32 s0, s0, s7
	s_addc_u32 s1, s1, 0
	s_mov_b32 s7, exec_lo
	v_cmpx_gt_u32_e32 62, v0
	s_cbranch_execz .LBB61_274
; %bb.1:
	s_clause 0x2
	s_load_dword s7, s[4:5], 0x38
	s_load_dwordx4 s[16:19], s[4:5], 0x10
	s_load_dwordx4 s[8:11], s[4:5], 0x28
                                        ; implicit-def: $sgpr20_sgpr21
	s_waitcnt lgkmcnt(0)
	s_bitcmp1_b32 s7, 8
	s_cselect_b32 s76, -1, 0
	s_bfe_u32 s12, s7, 0x10008
	s_ashr_i32 s7, s6, 31
	s_cmp_eq_u32 s12, 0
	s_cbranch_scc1 .LBB61_3
; %bb.2:
	s_load_dword s12, s[4:5], 0x20
	s_mul_i32 s13, s8, s7
	s_mul_hi_u32 s14, s8, s6
	s_mul_i32 s9, s9, s6
	s_add_i32 s13, s14, s13
	s_mul_i32 s8, s8, s6
	s_add_i32 s9, s13, s9
	s_lshl_b64 s[8:9], s[8:9], 2
	s_waitcnt lgkmcnt(0)
	s_ashr_i32 s13, s12, 31
	s_add_u32 s14, s18, s8
	s_addc_u32 s15, s19, s9
	s_lshl_b64 s[8:9], s[12:13], 2
	s_add_u32 s20, s14, s8
	s_addc_u32 s21, s15, s9
.LBB61_3:
	s_clause 0x1
	s_load_dwordx4 s[12:15], s[4:5], 0x0
	s_load_dword s8, s[4:5], 0x38
	s_mul_i32 s4, s16, s7
	s_mul_hi_u32 s5, s16, s6
	s_mul_i32 s9, s17, s6
	s_add_i32 s5, s5, s4
	s_mul_i32 s4, s16, s6
	s_add_i32 s5, s5, s9
	v_lshlrev_b32_e32 v235, 4, v0
	s_lshl_b64 s[4:5], s[4:5], 4
	s_mov_b32 s70, 32
	s_mov_b32 s68, 48
	;; [unrolled: 1-line block ×3, first 2 shown]
	s_movk_i32 s63, 0x50
	s_waitcnt lgkmcnt(0)
	v_add3_u32 v5, s15, s15, v0
	s_ashr_i32 s17, s14, 31
	s_mov_b32 s16, s14
	s_add_u32 s9, s12, s4
	s_addc_u32 s13, s13, s5
	v_add_nc_u32_e32 v7, s15, v5
	s_lshl_b64 s[4:5], s[16:17], 4
	v_ashrrev_i32_e32 v6, 31, v5
	s_add_u32 s4, s9, s4
	s_addc_u32 s5, s13, s5
	v_add_nc_u32_e32 v9, s15, v7
	v_add_co_u32 v145, s9, s4, v235
	s_mov_b32 s12, s15
	s_ashr_i32 s13, s15, 31
	v_lshlrev_b64 v[5:6], 4, v[5:6]
	v_ashrrev_i32_e32 v8, 31, v7
	v_add_co_ci_u32_e64 v146, null, s5, 0, s9
	s_lshl_b64 s[12:13], s[12:13], 4
	v_ashrrev_i32_e32 v10, 31, v9
	v_add_nc_u32_e32 v11, s15, v9
	v_add_co_u32 v147, vcc_lo, v145, s12
	v_lshlrev_b64 v[7:8], 4, v[7:8]
	v_add_co_ci_u32_e64 v148, null, s13, v146, vcc_lo
	v_add_co_u32 v149, vcc_lo, s4, v5
	v_add_co_ci_u32_e64 v150, null, s5, v6, vcc_lo
	v_lshlrev_b64 v[5:6], 4, v[9:10]
	v_ashrrev_i32_e32 v12, 31, v11
	v_add_nc_u32_e32 v9, s15, v11
	v_add_co_u32 v151, vcc_lo, s4, v7
	v_add_co_ci_u32_e64 v152, null, s5, v8, vcc_lo
	v_lshlrev_b64 v[7:8], 4, v[11:12]
	v_ashrrev_i32_e32 v10, 31, v9
	v_add_nc_u32_e32 v11, s15, v9
	;; [unrolled: 5-line block ×10, first 2 shown]
	v_add_co_u32 v169, vcc_lo, s4, v5
	v_add_co_ci_u32_e64 v170, null, s5, v6, vcc_lo
	v_lshlrev_b64 v[5:6], 4, v[9:10]
	v_add_nc_u32_e32 v9, s15, v11
	v_ashrrev_i32_e32 v12, 31, v11
	v_add_co_u32 v178, vcc_lo, s4, v7
	v_add_co_ci_u32_e64 v179, null, s5, v8, vcc_lo
	v_ashrrev_i32_e32 v10, 31, v9
	v_lshlrev_b64 v[7:8], 4, v[11:12]
	v_add_co_u32 v185, vcc_lo, s4, v5
	v_add_co_ci_u32_e64 v186, null, s5, v6, vcc_lo
	v_lshlrev_b64 v[5:6], 4, v[9:10]
	v_add_co_u32 v180, vcc_lo, s4, v7
	v_add_co_ci_u32_e64 v181, null, s5, v8, vcc_lo
	s_clause 0x1
	global_load_dwordx4 v[1:4], v235, s[4:5]
	global_load_dwordx4 v[77:80], v[147:148], off
	v_add_co_u32 v15, vcc_lo, s4, v5
	v_add_co_ci_u32_e64 v16, null, s5, v6, vcc_lo
	s_clause 0xd
	global_load_dwordx4 v[37:40], v[149:150], off
	global_load_dwordx4 v[49:52], v[151:152], off
	global_load_dwordx4 v[57:60], v[153:154], off
	global_load_dwordx4 v[25:28], v[155:156], off
	global_load_dwordx4 v[29:32], v[157:158], off
	global_load_dwordx4 v[33:36], v[159:160], off
	global_load_dwordx4 v[41:44], v[161:162], off
	global_load_dwordx4 v[45:48], v[163:164], off
	global_load_dwordx4 v[53:56], v[165:166], off
	global_load_dwordx4 v[61:64], v[167:168], off
	global_load_dwordx4 v[65:68], v[169:170], off
	global_load_dwordx4 v[109:112], v[178:179], off
	global_load_dwordx4 v[105:108], v[185:186], off
	global_load_dwordx4 v[101:104], v[180:181], off
	buffer_store_dword v15, off, s[0:3], 0 offset:1016 ; 4-byte Folded Spill
	buffer_store_dword v16, off, s[0:3], 0 offset:1020 ; 4-byte Folded Spill
	v_add_nc_u32_e32 v11, s15, v9
	s_movk_i32 s9, 0x90
	s_add_i32 s73, s9, 16
	s_movk_i32 s9, 0xb0
	v_ashrrev_i32_e32 v12, 31, v11
	v_add_nc_u32_e32 v9, s15, v11
	s_add_i32 s71, s9, 16
	s_movk_i32 s9, 0xd0
	v_lshlrev_b64 v[7:8], 4, v[11:12]
	v_ashrrev_i32_e32 v10, 31, v9
	v_add_nc_u32_e32 v11, s15, v9
	s_add_i32 s67, s9, 16
	s_movk_i32 s9, 0xf0
	v_add_co_u32 v17, vcc_lo, s4, v7
	v_add_co_ci_u32_e64 v18, null, s5, v8, vcc_lo
	v_lshlrev_b64 v[5:6], 4, v[9:10]
	v_add_nc_u32_e32 v9, s15, v11
	v_ashrrev_i32_e32 v12, 31, v11
	s_add_i32 s64, s9, 16
	s_movk_i32 s9, 0x110
	v_ashrrev_i32_e32 v10, 31, v9
	v_lshlrev_b64 v[7:8], 4, v[11:12]
	v_add_co_u32 v183, vcc_lo, s4, v5
	v_add_co_ci_u32_e64 v184, null, s5, v6, vcc_lo
	v_lshlrev_b64 v[5:6], 4, v[9:10]
	v_add_co_u32 v187, vcc_lo, s4, v7
	v_add_co_ci_u32_e64 v188, null, s5, v8, vcc_lo
	v_add_nc_u32_e32 v11, s15, v9
	v_add_co_u32 v13, vcc_lo, s4, v5
	v_add_co_ci_u32_e64 v14, null, s5, v6, vcc_lo
	v_ashrrev_i32_e32 v12, 31, v11
	v_add_nc_u32_e32 v9, s15, v11
	s_add_i32 s60, s9, 16
	s_movk_i32 s9, 0x130
	v_lshlrev_b64 v[7:8], 4, v[11:12]
	v_ashrrev_i32_e32 v10, 31, v9
	v_add_nc_u32_e32 v11, s15, v9
	s_add_i32 s57, s9, 16
	s_movk_i32 s9, 0x150
	v_lshlrev_b64 v[5:6], 4, v[9:10]
	v_add_co_u32 v9, vcc_lo, s4, v7
	v_add_co_ci_u32_e64 v10, null, s5, v8, vcc_lo
	v_ashrrev_i32_e32 v12, 31, v11
	v_add_co_u32 v189, vcc_lo, s4, v5
	v_add_nc_u32_e32 v5, s15, v11
	v_add_co_ci_u32_e64 v190, null, s5, v6, vcc_lo
	v_lshlrev_b64 v[7:8], 4, v[11:12]
	s_add_i32 s55, s9, 16
	v_ashrrev_i32_e32 v6, 31, v5
	s_movk_i32 s9, 0x170
	s_add_i32 s53, s9, 16
	v_add_co_u32 v191, vcc_lo, s4, v7
	v_add_nc_u32_e32 v7, s15, v5
	v_lshlrev_b64 v[5:6], 4, v[5:6]
	v_add_co_ci_u32_e64 v192, null, s5, v8, vcc_lo
	s_movk_i32 s9, 0x190
	v_ashrrev_i32_e32 v8, 31, v7
	s_add_i32 s51, s9, 16
	v_add_co_u32 v193, vcc_lo, s4, v5
	v_add_co_ci_u32_e64 v194, null, s5, v6, vcc_lo
	s_movk_i32 s9, 0x1b0
	s_add_i32 s49, s9, 16
	s_movk_i32 s9, 0x1d0
	s_add_i32 s47, s9, 16
	;; [unrolled: 2-line block ×12, first 2 shown]
	global_load_dwordx4 v[97:100], v[15:16], off
	buffer_store_dword v17, off, s[0:3], 0 offset:1024 ; 4-byte Folded Spill
	buffer_store_dword v18, off, s[0:3], 0 offset:1028 ; 4-byte Folded Spill
	s_clause 0x2
	global_load_dwordx4 v[89:92], v[17:18], off
	global_load_dwordx4 v[81:84], v[183:184], off
	;; [unrolled: 1-line block ×3, first 2 shown]
	buffer_store_dword v13, off, s[0:3], 0 offset:1008 ; 4-byte Folded Spill
	buffer_store_dword v14, off, s[0:3], 0 offset:1012 ; 4-byte Folded Spill
	global_load_dwordx4 v[121:124], v[13:14], off
	buffer_store_dword v9, off, s[0:3], 0 offset:1032 ; 4-byte Folded Spill
	buffer_store_dword v10, off, s[0:3], 0 offset:1036 ; 4-byte Folded Spill
	s_clause 0x1
	global_load_dwordx4 v[117:120], v[9:10], off
	global_load_dwordx4 v[113:116], v[189:190], off
	v_add_nc_u32_e32 v9, s15, v7
	v_lshlrev_b64 v[7:8], 4, v[7:8]
	s_clause 0x1
	global_load_dwordx4 v[137:140], v[191:192], off
	global_load_dwordx4 v[133:136], v[193:194], off
	v_ashrrev_i32_e32 v10, 31, v9
	v_add_nc_u32_e32 v5, s15, v9
	v_add_co_u32 v195, vcc_lo, s4, v7
	v_add_co_ci_u32_e64 v196, null, s5, v8, vcc_lo
	v_lshlrev_b64 v[9:10], 4, v[9:10]
	v_add_nc_u32_e32 v11, s15, v5
	v_ashrrev_i32_e32 v6, 31, v5
	global_load_dwordx4 v[141:144], v[195:196], off
	v_ashrrev_i32_e32 v12, 31, v11
	v_add_co_u32 v197, vcc_lo, s4, v9
	v_add_nc_u32_e32 v9, s15, v11
	v_lshlrev_b64 v[5:6], 4, v[5:6]
	v_lshlrev_b64 v[7:8], 4, v[11:12]
	v_add_co_ci_u32_e64 v198, null, s5, v10, vcc_lo
	v_add_nc_u32_e32 v11, s15, v9
	v_ashrrev_i32_e32 v10, 31, v9
	v_add_co_u32 v199, vcc_lo, s4, v5
	v_add_co_ci_u32_e64 v200, null, s5, v6, vcc_lo
	v_ashrrev_i32_e32 v12, 31, v11
	v_add_co_u32 v201, vcc_lo, s4, v7
	v_lshlrev_b64 v[5:6], 4, v[9:10]
	v_add_co_ci_u32_e64 v202, null, s5, v8, vcc_lo
	v_lshlrev_b64 v[7:8], 4, v[11:12]
	s_clause 0x2
	global_load_dwordx4 v[236:239], v[197:198], off
	global_load_dwordx4 v[240:243], v[199:200], off
	;; [unrolled: 1-line block ×3, first 2 shown]
	v_add_nc_u32_e32 v9, s15, v11
	v_add_co_u32 v203, vcc_lo, s4, v5
	v_add_co_ci_u32_e64 v204, null, s5, v6, vcc_lo
	v_add_co_u32 v205, vcc_lo, s4, v7
	v_add_co_ci_u32_e64 v206, null, s5, v8, vcc_lo
	s_clause 0x1
	global_load_dwordx4 v[248:251], v[203:204], off
	global_load_dwordx4 v[5:8], v[205:206], off
	v_add_nc_u32_e32 v11, s15, v9
	v_ashrrev_i32_e32 v10, 31, v9
	v_add_nc_u32_e32 v13, s15, v11
	v_ashrrev_i32_e32 v12, 31, v11
	v_lshlrev_b64 v[9:10], 4, v[9:10]
	v_add_nc_u32_e32 v15, s15, v13
	v_ashrrev_i32_e32 v14, 31, v13
	v_lshlrev_b64 v[11:12], 4, v[11:12]
	v_add_co_u32 v207, vcc_lo, s4, v9
	v_add_nc_u32_e32 v19, s15, v15
	v_ashrrev_i32_e32 v16, 31, v15
	v_lshlrev_b64 v[17:18], 4, v[13:14]
	v_add_co_ci_u32_e64 v208, null, s5, v10, vcc_lo
	v_add_nc_u32_e32 v23, s15, v19
	v_ashrrev_i32_e32 v20, 31, v19
	v_lshlrev_b64 v[21:22], 4, v[15:16]
	v_add_co_u32 v209, vcc_lo, s4, v11
	v_add_nc_u32_e32 v71, s15, v23
	v_ashrrev_i32_e32 v24, 31, v23
	v_lshlrev_b64 v[69:70], 4, v[19:20]
	v_add_co_ci_u32_e64 v210, null, s5, v12, vcc_lo
	v_add_nc_u32_e32 v75, s15, v71
	v_ashrrev_i32_e32 v72, 31, v71
	v_add_co_u32 v211, vcc_lo, s4, v17
	v_lshlrev_b64 v[73:74], 4, v[23:24]
	v_add_nc_u32_e32 v87, s15, v75
	v_ashrrev_i32_e32 v76, 31, v75
	v_add_co_ci_u32_e64 v212, null, s5, v18, vcc_lo
	v_add_co_u32 v213, vcc_lo, s4, v21
	v_add_nc_u32_e32 v95, s15, v87
	v_ashrrev_i32_e32 v88, 31, v87
	v_lshlrev_b64 v[85:86], 4, v[71:72]
	v_add_co_ci_u32_e64 v214, null, s5, v22, vcc_lo
	v_add_nc_u32_e32 v131, s15, v95
	v_add_co_u32 v215, vcc_lo, s4, v69
	v_lshlrev_b64 v[93:94], 4, v[75:76]
	v_ashrrev_i32_e32 v96, 31, v95
	v_add_nc_u32_e32 v227, s15, v131
	v_add_co_ci_u32_e64 v216, null, s5, v70, vcc_lo
	v_add_co_u32 v217, vcc_lo, s4, v73
	v_lshlrev_b64 v[129:130], 4, v[87:88]
	v_add_co_ci_u32_e64 v218, null, s5, v74, vcc_lo
	v_add_co_u32 v219, vcc_lo, s4, v85
	v_ashrrev_i32_e32 v132, 31, v131
	v_add_co_ci_u32_e64 v220, null, s5, v86, vcc_lo
	v_add_co_u32 v221, vcc_lo, s4, v93
	v_lshlrev_b64 v[225:226], 4, v[95:96]
	v_add_nc_u32_e32 v229, s15, v227
	v_add_co_ci_u32_e64 v222, null, s5, v94, vcc_lo
	v_add_co_u32 v223, vcc_lo, s4, v129
	v_add_co_ci_u32_e64 v224, null, s5, v130, vcc_lo
	v_lshlrev_b64 v[129:130], 4, v[131:132]
	v_ashrrev_i32_e32 v228, 31, v227
	v_add_nc_u32_e32 v233, s15, v229
	v_add_co_u32 v225, vcc_lo, s4, v225
	v_ashrrev_i32_e32 v230, 31, v229
	v_add_co_ci_u32_e64 v226, null, s5, v226, vcc_lo
	v_lshlrev_b64 v[231:232], 4, v[227:228]
	v_add_co_u32 v227, vcc_lo, s4, v129
	v_ashrrev_i32_e32 v234, 31, v233
	s_clause 0x7
	global_load_dwordx4 v[13:16], v[207:208], off
	global_load_dwordx4 v[9:12], v[209:210], off
	;; [unrolled: 1-line block ×8, first 2 shown]
	s_waitcnt vmcnt(38)
	buffer_store_dword v4, off, s[0:3], 0 offset:28
	buffer_store_dword v3, off, s[0:3], 0 offset:24
	;; [unrolled: 1-line block ×4, first 2 shown]
	v_lshlrev_b64 v[252:253], 4, v[229:230]
	v_add_co_ci_u32_e64 v228, null, s5, v130, vcc_lo
	s_clause 0x1
	global_load_dwordx4 v[129:132], v[223:224], off
	global_load_dwordx4 v[1:4], v[225:226], off
	s_waitcnt vmcnt(39)
	buffer_store_dword v80, off, s[0:3], 0 offset:44
	buffer_store_dword v79, off, s[0:3], 0 offset:40
	;; [unrolled: 1-line block ×4, first 2 shown]
	v_add_nc_u32_e32 v77, s15, v233
	v_add_co_u32 v229, vcc_lo, s4, v231
	v_lshlrev_b64 v[79:80], 4, v[233:234]
	v_add_co_ci_u32_e64 v230, null, s5, v232, vcc_lo
	v_add_co_u32 v231, vcc_lo, s4, v252
	v_add_nc_u32_e32 v252, s15, v77
	v_add_co_ci_u32_e64 v232, null, s5, v253, vcc_lo
	s_waitcnt vmcnt(38)
	buffer_store_dword v40, off, s[0:3], 0 offset:60
	buffer_store_dword v39, off, s[0:3], 0 offset:56
	;; [unrolled: 1-line block ×4, first 2 shown]
	s_waitcnt vmcnt(37)
	buffer_store_dword v52, off, s[0:3], 0 offset:76
	buffer_store_dword v51, off, s[0:3], 0 offset:72
	;; [unrolled: 1-line block ×4, first 2 shown]
	v_add_co_u32 v233, vcc_lo, s4, v79
	s_clause 0x1
	global_load_dwordx4 v[49:52], v[227:228], off
	global_load_dwordx4 v[37:40], v[229:230], off
	s_waitcnt vmcnt(38)
	buffer_store_dword v60, off, s[0:3], 0 offset:92
	buffer_store_dword v59, off, s[0:3], 0 offset:88
	;; [unrolled: 1-line block ×4, first 2 shown]
	v_add_nc_u32_e32 v57, s15, v252
	v_add_co_ci_u32_e64 v234, null, s5, v80, vcc_lo
	s_waitcnt vmcnt(37)
	buffer_store_dword v28, off, s[0:3], 0 offset:108
	buffer_store_dword v27, off, s[0:3], 0 offset:104
	buffer_store_dword v26, off, s[0:3], 0 offset:100
	buffer_store_dword v25, off, s[0:3], 0 offset:96
	s_waitcnt vmcnt(36)
	buffer_store_dword v32, off, s[0:3], 0 offset:124
	buffer_store_dword v31, off, s[0:3], 0 offset:120
	;; [unrolled: 1-line block ×4, first 2 shown]
	s_clause 0x1
	global_load_dwordx4 v[25:28], v[231:232], off
	global_load_dwordx4 v[29:32], v[233:234], off
	v_ashrrev_i32_e32 v58, 31, v57
	v_ashrrev_i32_e32 v78, 31, v77
	;; [unrolled: 1-line block ×3, first 2 shown]
	s_waitcnt vmcnt(37)
	buffer_store_dword v36, off, s[0:3], 0 offset:140
	buffer_store_dword v35, off, s[0:3], 0 offset:136
	buffer_store_dword v34, off, s[0:3], 0 offset:132
	buffer_store_dword v33, off, s[0:3], 0 offset:128
	s_waitcnt vmcnt(36)
	buffer_store_dword v44, off, s[0:3], 0 offset:156
	buffer_store_dword v43, off, s[0:3], 0 offset:152
	buffer_store_dword v42, off, s[0:3], 0 offset:148
	buffer_store_dword v41, off, s[0:3], 0 offset:144
	;; [unrolled: 5-line block ×23, first 2 shown]
	s_waitcnt vmcnt(14)
	buffer_store_dword v8, off, s[0:3], 0 offset:508
	v_add_nc_u32_e32 v45, s15, v57
	v_lshlrev_b64 v[53:54], 4, v[57:58]
	v_lshlrev_b64 v[77:78], 4, v[77:78]
	;; [unrolled: 1-line block ×3, first 2 shown]
	v_add_nc_u32_e32 v47, s15, v45
	v_ashrrev_i32_e32 v46, 31, v45
	v_add_co_u32 v80, vcc_lo, s4, v77
	v_add_nc_u32_e32 v55, s15, v47
	v_lshlrev_b64 v[45:46], 4, v[45:46]
	v_ashrrev_i32_e32 v48, 31, v47
	v_add_co_ci_u32_e64 v81, null, s5, v78, vcc_lo
	v_add_nc_u32_e32 v57, s15, v55
	v_add_co_u32 v82, vcc_lo, s4, v59
	v_ashrrev_i32_e32 v56, 31, v55
	v_add_co_ci_u32_e64 v83, null, s5, v60, vcc_lo
	v_add_nc_u32_e32 v65, s15, v57
	v_add_co_u32 v89, vcc_lo, s4, v53
	v_ashrrev_i32_e32 v58, 31, v57
	v_add_co_ci_u32_e64 v90, null, s5, v54, vcc_lo
	v_ashrrev_i32_e32 v66, 31, v65
	v_lshlrev_b64 v[47:48], 4, v[47:48]
	v_add_co_u32 v91, vcc_lo, s4, v45
	v_add_co_ci_u32_e64 v92, null, s5, v46, vcc_lo
	v_lshlrev_b64 v[45:46], 4, v[55:56]
	v_lshlrev_b64 v[77:78], 4, v[65:66]
	v_add_nc_u32_e32 v65, s15, v65
	v_lshlrev_b64 v[67:68], 4, v[57:58]
	v_add_co_u32 v97, vcc_lo, s4, v47
	v_add_co_ci_u32_e64 v98, null, s5, v48, vcc_lo
	v_add_nc_u32_e32 v105, s15, v65
	v_add_co_u32 v99, vcc_lo, s4, v45
	v_add_co_ci_u32_e64 v100, null, s5, v46, vcc_lo
	v_add_co_u32 v101, vcc_lo, s4, v67
	v_add_co_ci_u32_e64 v102, null, s5, v68, vcc_lo
	v_add_co_u32 v103, vcc_lo, s4, v77
	v_add_nc_u32_e32 v77, s15, v105
	v_ashrrev_i32_e32 v66, 31, v65
	v_ashrrev_i32_e32 v106, 31, v105
	v_add_co_ci_u32_e64 v104, null, s5, v78, vcc_lo
	v_ashrrev_i32_e32 v78, 31, v77
	v_lshlrev_b64 v[107:108], 4, v[65:66]
	v_add_nc_u32_e32 v111, s15, v77
	v_lshlrev_b64 v[109:110], 4, v[105:106]
	s_clause 0x1
	global_load_dwordx4 v[33:36], v[80:81], off
	global_load_dwordx4 v[41:44], v[82:83], off
	v_lshlrev_b64 v[77:78], 4, v[77:78]
	s_clause 0x1
	global_load_dwordx4 v[45:48], v[89:90], off
	global_load_dwordx4 v[53:56], v[91:92], off
	v_add_nc_u32_e32 v114, s15, v111
	v_add_co_u32 v105, vcc_lo, s4, v107
	v_ashrrev_i32_e32 v112, 31, v111
	v_add_co_ci_u32_e64 v106, null, s5, v108, vcc_lo
	v_add_co_u32 v107, vcc_lo, s4, v109
	v_add_co_ci_u32_e64 v108, null, s5, v110, vcc_lo
	v_add_co_u32 v109, vcc_lo, s4, v77
	v_add_nc_u32_e32 v77, s15, v114
	v_lshlrev_b64 v[112:113], 4, v[111:112]
	v_add_co_ci_u32_e64 v110, null, s5, v78, vcc_lo
	v_ashrrev_i32_e32 v115, 31, v114
	v_ashrrev_i32_e32 v78, 31, v77
	v_add_nc_u32_e32 v117, s15, v77
	v_add_co_u32 v111, vcc_lo, s4, v112
	v_add_co_ci_u32_e64 v112, null, s5, v113, vcc_lo
	v_lshlrev_b64 v[113:114], 4, v[114:115]
	v_lshlrev_b64 v[78:79], 4, v[77:78]
	v_add_nc_u32_e32 v77, s15, v117
	v_ashrrev_i32_e32 v118, 31, v117
	s_clause 0x3
	global_load_dwordx4 v[57:60], v[97:98], off
	global_load_dwordx4 v[61:64], v[99:100], off
	;; [unrolled: 1-line block ×4, first 2 shown]
	v_add_co_u32 v113, vcc_lo, s4, v113
	v_add_nc_u32_e32 v119, s15, v77
	v_add_co_ci_u32_e64 v114, null, s5, v114, vcc_lo
	v_add_co_u32 v115, vcc_lo, s4, v78
	v_ashrrev_i32_e32 v78, 31, v77
	v_ashrrev_i32_e32 v120, 31, v119
	v_lshlrev_b64 v[117:118], 4, v[117:118]
	v_add_co_ci_u32_e64 v116, null, s5, v79, vcc_lo
	v_lshlrev_b64 v[77:78], 4, v[77:78]
	v_lshlrev_b64 v[119:120], 4, v[119:120]
	s_clause 0x1
	global_load_dwordx4 v[133:136], v[105:106], off
	global_load_dwordx4 v[137:140], v[107:108], off
	v_add_co_u32 v117, vcc_lo, s4, v117
	v_add_co_ci_u32_e64 v118, null, s5, v118, vcc_lo
	v_add_co_u32 v121, vcc_lo, s4, v77
	v_add_co_ci_u32_e64 v122, null, s5, v78, vcc_lo
	;; [unrolled: 2-line block ×3, first 2 shown]
	s_clause 0x5
	global_load_dwordx4 v[141:144], v[109:110], off
	global_load_dwordx4 v[236:239], v[111:112], off
	;; [unrolled: 1-line block ×6, first 2 shown]
	buffer_store_dword v7, off, s[0:3], 0 offset:504
	buffer_store_dword v6, off, s[0:3], 0 offset:500
	buffer_store_dword v5, off, s[0:3], 0 offset:496
	global_load_dwordx4 v[5:8], v[119:120], off
	s_movk_i32 s5, 0x60
	s_movk_i32 s4, 0x50
	s_add_i32 s59, s5, 16
	s_movk_i32 s5, 0x80
	s_add_i32 s62, s4, 16
	s_add_i32 s74, s5, 16
	s_movk_i32 s5, 0xa0
	s_movk_i32 s4, 0x340
	s_add_i32 s72, s5, 16
	s_movk_i32 s5, 0xc0
	s_add_i32 s23, s4, 16
	s_add_i32 s69, s5, 16
	;; [unrolled: 6-line block ×8, first 2 shown]
	s_movk_i32 s5, 0x260
	s_waitcnt vmcnt(30)
	buffer_store_dword v16, off, s[0:3], 0 offset:524
	buffer_store_dword v15, off, s[0:3], 0 offset:520
	buffer_store_dword v14, off, s[0:3], 0 offset:516
	buffer_store_dword v13, off, s[0:3], 0 offset:512
	s_waitcnt vmcnt(29)
	buffer_store_dword v12, off, s[0:3], 0 offset:540
	buffer_store_dword v11, off, s[0:3], 0 offset:536
	buffer_store_dword v10, off, s[0:3], 0 offset:532
	buffer_store_dword v9, off, s[0:3], 0 offset:528
	s_waitcnt vmcnt(28)
	buffer_store_dword v24, off, s[0:3], 0 offset:556
	buffer_store_dword v23, off, s[0:3], 0 offset:552
	buffer_store_dword v22, off, s[0:3], 0 offset:548
	buffer_store_dword v21, off, s[0:3], 0 offset:544
	s_waitcnt vmcnt(27)
	buffer_store_dword v20, off, s[0:3], 0 offset:572
	buffer_store_dword v19, off, s[0:3], 0 offset:568
	buffer_store_dword v18, off, s[0:3], 0 offset:564
	buffer_store_dword v17, off, s[0:3], 0 offset:560
	s_waitcnt vmcnt(26)
	buffer_store_dword v76, off, s[0:3], 0 offset:588
	buffer_store_dword v75, off, s[0:3], 0 offset:584
	buffer_store_dword v74, off, s[0:3], 0 offset:580
	buffer_store_dword v73, off, s[0:3], 0 offset:576
	s_waitcnt vmcnt(25)
	buffer_store_dword v72, off, s[0:3], 0 offset:604
	buffer_store_dword v71, off, s[0:3], 0 offset:600
	buffer_store_dword v70, off, s[0:3], 0 offset:596
	buffer_store_dword v69, off, s[0:3], 0 offset:592
	s_waitcnt vmcnt(24)
	buffer_store_dword v96, off, s[0:3], 0 offset:620
	buffer_store_dword v95, off, s[0:3], 0 offset:616
	buffer_store_dword v94, off, s[0:3], 0 offset:612
	buffer_store_dword v93, off, s[0:3], 0 offset:608
	s_waitcnt vmcnt(23)
	buffer_store_dword v88, off, s[0:3], 0 offset:636
	buffer_store_dword v87, off, s[0:3], 0 offset:632
	buffer_store_dword v86, off, s[0:3], 0 offset:628
	buffer_store_dword v85, off, s[0:3], 0 offset:624
	s_waitcnt vmcnt(22)
	buffer_store_dword v132, off, s[0:3], 0 offset:652
	buffer_store_dword v131, off, s[0:3], 0 offset:648
	buffer_store_dword v130, off, s[0:3], 0 offset:644
	buffer_store_dword v129, off, s[0:3], 0 offset:640
	s_waitcnt vmcnt(21)
	buffer_store_dword v4, off, s[0:3], 0 offset:668
	buffer_store_dword v3, off, s[0:3], 0 offset:664
	buffer_store_dword v2, off, s[0:3], 0 offset:660
	buffer_store_dword v1, off, s[0:3], 0 offset:656
	s_waitcnt vmcnt(20)
	buffer_store_dword v52, off, s[0:3], 0 offset:684
	buffer_store_dword v51, off, s[0:3], 0 offset:680
	buffer_store_dword v50, off, s[0:3], 0 offset:676
	buffer_store_dword v49, off, s[0:3], 0 offset:672
	s_waitcnt vmcnt(19)
	buffer_store_dword v40, off, s[0:3], 0 offset:700
	buffer_store_dword v39, off, s[0:3], 0 offset:696
	buffer_store_dword v38, off, s[0:3], 0 offset:692
	buffer_store_dword v37, off, s[0:3], 0 offset:688
	s_waitcnt vmcnt(18)
	buffer_store_dword v28, off, s[0:3], 0 offset:716
	buffer_store_dword v27, off, s[0:3], 0 offset:712
	buffer_store_dword v26, off, s[0:3], 0 offset:708
	buffer_store_dword v25, off, s[0:3], 0 offset:704
	s_waitcnt vmcnt(17)
	buffer_store_dword v32, off, s[0:3], 0 offset:732
	buffer_store_dword v31, off, s[0:3], 0 offset:728
	buffer_store_dword v30, off, s[0:3], 0 offset:724
	buffer_store_dword v29, off, s[0:3], 0 offset:720
	s_waitcnt vmcnt(16)
	buffer_store_dword v36, off, s[0:3], 0 offset:748
	buffer_store_dword v35, off, s[0:3], 0 offset:744
	buffer_store_dword v34, off, s[0:3], 0 offset:740
	buffer_store_dword v33, off, s[0:3], 0 offset:736
	s_waitcnt vmcnt(15)
	buffer_store_dword v44, off, s[0:3], 0 offset:764
	buffer_store_dword v43, off, s[0:3], 0 offset:760
	buffer_store_dword v42, off, s[0:3], 0 offset:756
	buffer_store_dword v41, off, s[0:3], 0 offset:752
	s_waitcnt vmcnt(14)
	buffer_store_dword v48, off, s[0:3], 0 offset:780
	buffer_store_dword v47, off, s[0:3], 0 offset:776
	buffer_store_dword v46, off, s[0:3], 0 offset:772
	buffer_store_dword v45, off, s[0:3], 0 offset:768
	s_waitcnt vmcnt(13)
	buffer_store_dword v56, off, s[0:3], 0 offset:796
	buffer_store_dword v55, off, s[0:3], 0 offset:792
	buffer_store_dword v54, off, s[0:3], 0 offset:788
	buffer_store_dword v53, off, s[0:3], 0 offset:784
	s_waitcnt vmcnt(12)
	buffer_store_dword v60, off, s[0:3], 0 offset:812
	buffer_store_dword v59, off, s[0:3], 0 offset:808
	buffer_store_dword v58, off, s[0:3], 0 offset:804
	buffer_store_dword v57, off, s[0:3], 0 offset:800
	s_waitcnt vmcnt(11)
	buffer_store_dword v64, off, s[0:3], 0 offset:828
	buffer_store_dword v63, off, s[0:3], 0 offset:824
	buffer_store_dword v62, off, s[0:3], 0 offset:820
	buffer_store_dword v61, off, s[0:3], 0 offset:816
	s_waitcnt vmcnt(10)
	buffer_store_dword v68, off, s[0:3], 0 offset:844
	buffer_store_dword v67, off, s[0:3], 0 offset:840
	buffer_store_dword v66, off, s[0:3], 0 offset:836
	buffer_store_dword v65, off, s[0:3], 0 offset:832
	s_waitcnt vmcnt(9)
	buffer_store_dword v126, off, s[0:3], 0 offset:860
	buffer_store_dword v125, off, s[0:3], 0 offset:856
	buffer_store_dword v124, off, s[0:3], 0 offset:852
	buffer_store_dword v123, off, s[0:3], 0 offset:848
	s_waitcnt vmcnt(8)
	buffer_store_dword v136, off, s[0:3], 0 offset:876
	buffer_store_dword v135, off, s[0:3], 0 offset:872
	buffer_store_dword v134, off, s[0:3], 0 offset:868
	buffer_store_dword v133, off, s[0:3], 0 offset:864
	s_waitcnt vmcnt(7)
	buffer_store_dword v140, off, s[0:3], 0 offset:892
	buffer_store_dword v139, off, s[0:3], 0 offset:888
	buffer_store_dword v138, off, s[0:3], 0 offset:884
	buffer_store_dword v137, off, s[0:3], 0 offset:880
	s_waitcnt vmcnt(6)
	buffer_store_dword v144, off, s[0:3], 0 offset:908
	buffer_store_dword v143, off, s[0:3], 0 offset:904
	buffer_store_dword v142, off, s[0:3], 0 offset:900
	buffer_store_dword v141, off, s[0:3], 0 offset:896
	s_waitcnt vmcnt(5)
	buffer_store_dword v239, off, s[0:3], 0 offset:924
	buffer_store_dword v238, off, s[0:3], 0 offset:920
	buffer_store_dword v237, off, s[0:3], 0 offset:916
	buffer_store_dword v236, off, s[0:3], 0 offset:912
	s_waitcnt vmcnt(4)
	buffer_store_dword v243, off, s[0:3], 0 offset:940
	buffer_store_dword v242, off, s[0:3], 0 offset:936
	buffer_store_dword v241, off, s[0:3], 0 offset:932
	buffer_store_dword v240, off, s[0:3], 0 offset:928
	s_waitcnt vmcnt(3)
	buffer_store_dword v247, off, s[0:3], 0 offset:956
	buffer_store_dword v246, off, s[0:3], 0 offset:952
	buffer_store_dword v245, off, s[0:3], 0 offset:948
	buffer_store_dword v244, off, s[0:3], 0 offset:944
	s_waitcnt vmcnt(2)
	buffer_store_dword v251, off, s[0:3], 0 offset:972
	buffer_store_dword v250, off, s[0:3], 0 offset:968
	buffer_store_dword v249, off, s[0:3], 0 offset:964
	buffer_store_dword v248, off, s[0:3], 0 offset:960
	s_waitcnt vmcnt(1)
	buffer_store_dword v255, off, s[0:3], 0 offset:988
	buffer_store_dword v254, off, s[0:3], 0 offset:984
	buffer_store_dword v253, off, s[0:3], 0 offset:980
	buffer_store_dword v252, off, s[0:3], 0 offset:976
	s_waitcnt vmcnt(0)
	buffer_store_dword v8, off, s[0:3], 0 offset:1004
	buffer_store_dword v7, off, s[0:3], 0 offset:1000
	;; [unrolled: 1-line block ×3, first 2 shown]
	s_add_i32 s38, s5, 16
	s_movk_i32 s5, 0x280
	s_add_i32 s36, s5, 16
	s_movk_i32 s5, 0x2a0
	buffer_store_dword v5, off, s[0:3], 0 offset:992
	s_add_i32 s34, s5, 16
	s_movk_i32 s5, 0x2c0
	s_add_i32 s31, s5, 16
	s_movk_i32 s5, 0x2e0
	;; [unrolled: 2-line block ×9, first 2 shown]
	s_add_i32 s12, s5, 16
	s_bitcmp0_b32 s8, 0
	s_mov_b32 s5, -1
	s_cbranch_scc1 .LBB61_272
; %bb.4:
	v_cmp_eq_u32_e64 s4, 0, v0
	s_and_saveexec_b32 s5, s4
; %bb.5:
	v_mov_b32_e32 v1, 0
	ds_write_b32 v1, v1 offset:1984
; %bb.6:
	s_or_b32 exec_lo, exec_lo, s5
	v_lshl_add_u32 v11, v0, 4, 16
	s_waitcnt lgkmcnt(0)
	s_waitcnt_vscnt null, 0x0
	s_barrier
	buffer_gl0_inv
	s_clause 0x3
	buffer_load_dword v1, v11, s[0:3], 0 offen
	buffer_load_dword v2, v11, s[0:3], 0 offen offset:4
	buffer_load_dword v3, v11, s[0:3], 0 offen offset:8
	;; [unrolled: 1-line block ×3, first 2 shown]
	s_waitcnt vmcnt(2)
	v_cmp_eq_f64_e32 vcc_lo, 0, v[1:2]
	s_waitcnt vmcnt(0)
	v_cmp_eq_f64_e64 s5, 0, v[3:4]
	s_and_b32 s5, vcc_lo, s5
	s_and_saveexec_b32 s8, s5
	s_cbranch_execz .LBB61_10
; %bb.7:
	v_mov_b32_e32 v1, 0
	s_mov_b32 s9, 0
	ds_read_b32 v2, v1 offset:1984
	s_waitcnt lgkmcnt(0)
	v_readfirstlane_b32 s5, v2
	v_add_nc_u32_e32 v2, 1, v0
	s_cmp_eq_u32 s5, 0
	v_cmp_gt_i32_e32 vcc_lo, s5, v2
	s_cselect_b32 s77, -1, 0
	s_or_b32 s77, s77, vcc_lo
	s_and_b32 exec_lo, exec_lo, s77
	s_cbranch_execz .LBB61_10
; %bb.8:
	v_mov_b32_e32 v3, s5
.LBB61_9:                               ; =>This Inner Loop Header: Depth=1
	ds_cmpst_rtn_b32 v3, v1, v3, v2 offset:1984
	s_waitcnt lgkmcnt(0)
	v_cmp_ne_u32_e32 vcc_lo, 0, v3
	v_cmp_le_i32_e64 s5, v3, v2
	s_and_b32 s5, vcc_lo, s5
	s_and_b32 s5, exec_lo, s5
	s_or_b32 s9, s5, s9
	s_andn2_b32 exec_lo, exec_lo, s9
	s_cbranch_execnz .LBB61_9
.LBB61_10:
	s_or_b32 exec_lo, exec_lo, s8
	v_mov_b32_e32 v1, 0
	s_barrier
	buffer_gl0_inv
	ds_read_b32 v2, v1 offset:1984
	s_and_saveexec_b32 s5, s4
	s_cbranch_execz .LBB61_12
; %bb.11:
	s_lshl_b64 s[8:9], s[6:7], 2
	s_add_u32 s8, s10, s8
	s_addc_u32 s9, s11, s9
	s_waitcnt lgkmcnt(0)
	global_store_dword v1, v2, s[8:9]
.LBB61_12:
	s_or_b32 exec_lo, exec_lo, s5
	s_waitcnt lgkmcnt(0)
	v_cmp_ne_u32_e32 vcc_lo, 0, v2
	s_mov_b32 s5, 0
	s_cbranch_vccnz .LBB61_272
; %bb.13:
	s_clause 0x3
	buffer_load_dword v7, v11, s[0:3], 0 offen
	buffer_load_dword v8, v11, s[0:3], 0 offen offset:4
	buffer_load_dword v9, v11, s[0:3], 0 offen offset:8
	;; [unrolled: 1-line block ×3, first 2 shown]
                                        ; implicit-def: $vgpr5_vgpr6
                                        ; implicit-def: $vgpr3_vgpr4
	s_waitcnt vmcnt(0)
	v_cmp_ngt_f64_e64 s5, |v[7:8]|, |v[9:10]|
	s_and_saveexec_b32 s8, s5
	s_xor_b32 s5, exec_lo, s8
	s_cbranch_execz .LBB61_15
; %bb.14:
	v_div_scale_f64 v[1:2], null, v[9:10], v[9:10], v[7:8]
	v_div_scale_f64 v[12:13], vcc_lo, v[7:8], v[9:10], v[7:8]
	v_rcp_f64_e32 v[3:4], v[1:2]
	v_fma_f64 v[5:6], -v[1:2], v[3:4], 1.0
	v_fma_f64 v[3:4], v[3:4], v[5:6], v[3:4]
	v_fma_f64 v[5:6], -v[1:2], v[3:4], 1.0
	v_fma_f64 v[3:4], v[3:4], v[5:6], v[3:4]
	v_mul_f64 v[5:6], v[12:13], v[3:4]
	v_fma_f64 v[1:2], -v[1:2], v[5:6], v[12:13]
	v_div_fmas_f64 v[1:2], v[1:2], v[3:4], v[5:6]
	v_div_fixup_f64 v[1:2], v[1:2], v[9:10], v[7:8]
	v_fma_f64 v[3:4], v[7:8], v[1:2], v[9:10]
	v_div_scale_f64 v[5:6], null, v[3:4], v[3:4], 1.0
	v_div_scale_f64 v[12:13], vcc_lo, 1.0, v[3:4], 1.0
	v_rcp_f64_e32 v[7:8], v[5:6]
	v_fma_f64 v[9:10], -v[5:6], v[7:8], 1.0
	v_fma_f64 v[7:8], v[7:8], v[9:10], v[7:8]
	v_fma_f64 v[9:10], -v[5:6], v[7:8], 1.0
	v_fma_f64 v[7:8], v[7:8], v[9:10], v[7:8]
	v_mul_f64 v[9:10], v[12:13], v[7:8]
	v_fma_f64 v[5:6], -v[5:6], v[9:10], v[12:13]
	v_div_fmas_f64 v[5:6], v[5:6], v[7:8], v[9:10]
                                        ; implicit-def: $vgpr7_vgpr8
                                        ; implicit-def: $vgpr9_vgpr10
	v_div_fixup_f64 v[3:4], v[5:6], v[3:4], 1.0
	v_mul_f64 v[5:6], v[1:2], v[3:4]
	v_xor_b32_e32 v4, 0x80000000, v4
	v_xor_b32_e32 v2, 0x80000000, v6
	v_mov_b32_e32 v1, v5
.LBB61_15:
	s_andn2_saveexec_b32 s5, s5
	s_cbranch_execz .LBB61_17
; %bb.16:
	v_div_scale_f64 v[1:2], null, v[7:8], v[7:8], v[9:10]
	v_div_scale_f64 v[12:13], vcc_lo, v[9:10], v[7:8], v[9:10]
	v_rcp_f64_e32 v[3:4], v[1:2]
	v_fma_f64 v[5:6], -v[1:2], v[3:4], 1.0
	v_fma_f64 v[3:4], v[3:4], v[5:6], v[3:4]
	v_fma_f64 v[5:6], -v[1:2], v[3:4], 1.0
	v_fma_f64 v[3:4], v[3:4], v[5:6], v[3:4]
	v_mul_f64 v[5:6], v[12:13], v[3:4]
	v_fma_f64 v[1:2], -v[1:2], v[5:6], v[12:13]
	v_div_fmas_f64 v[1:2], v[1:2], v[3:4], v[5:6]
	v_div_fixup_f64 v[1:2], v[1:2], v[7:8], v[9:10]
	v_fma_f64 v[3:4], v[9:10], v[1:2], v[7:8]
	v_div_scale_f64 v[5:6], null, v[3:4], v[3:4], 1.0
	v_rcp_f64_e32 v[7:8], v[5:6]
	v_fma_f64 v[9:10], -v[5:6], v[7:8], 1.0
	v_fma_f64 v[7:8], v[7:8], v[9:10], v[7:8]
	v_fma_f64 v[9:10], -v[5:6], v[7:8], 1.0
	v_fma_f64 v[7:8], v[7:8], v[9:10], v[7:8]
	v_div_scale_f64 v[9:10], vcc_lo, 1.0, v[3:4], 1.0
	v_mul_f64 v[12:13], v[9:10], v[7:8]
	v_fma_f64 v[5:6], -v[5:6], v[12:13], v[9:10]
	v_div_fmas_f64 v[5:6], v[5:6], v[7:8], v[12:13]
	v_div_fixup_f64 v[5:6], v[5:6], v[3:4], 1.0
	v_mul_f64 v[3:4], v[1:2], -v[5:6]
	v_xor_b32_e32 v2, 0x80000000, v6
	v_mov_b32_e32 v1, v5
.LBB61_17:
	s_or_b32 exec_lo, exec_lo, s5
	v_mov_b32_e32 v10, s70
	buffer_store_dword v6, v11, s[0:3], 0 offen offset:4
	buffer_store_dword v5, v11, s[0:3], 0 offen
	buffer_store_dword v4, v11, s[0:3], 0 offen offset:12
	buffer_store_dword v3, v11, s[0:3], 0 offen offset:8
	v_xor_b32_e32 v4, 0x80000000, v4
	v_add_nc_u32_e32 v5, 0x3e0, v235
	s_clause 0x3
	buffer_load_dword v9, v10, s[0:3], 0 offen offset:12
	buffer_load_dword v8, v10, s[0:3], 0 offen offset:8
	;; [unrolled: 1-line block ×3, first 2 shown]
	buffer_load_dword v6, v10, s[0:3], 0 offen
	ds_write_b128 v235, v[1:4]
	s_waitcnt vmcnt(0)
	ds_write_b128 v235, v[6:9] offset:992
	s_waitcnt lgkmcnt(0)
	s_waitcnt_vscnt null, 0x0
	s_barrier
	buffer_gl0_inv
	s_and_saveexec_b32 s5, s4
	s_cbranch_execz .LBB61_19
; %bb.18:
	s_clause 0x3
	buffer_load_dword v12, v11, s[0:3], 0 offen offset:8
	buffer_load_dword v13, v11, s[0:3], 0 offen offset:12
	buffer_load_dword v14, v11, s[0:3], 0 offen
	buffer_load_dword v15, v11, s[0:3], 0 offen offset:4
	ds_read_b128 v[1:4], v5
	v_mov_b32_e32 v6, 0
	ds_read_b128 v[6:9], v6 offset:16
	s_waitcnt vmcnt(2) lgkmcnt(1)
	v_mul_f64 v[16:17], v[1:2], v[12:13]
	v_mul_f64 v[12:13], v[3:4], v[12:13]
	s_waitcnt vmcnt(0)
	v_fma_f64 v[3:4], v[3:4], v[14:15], v[16:17]
	v_fma_f64 v[1:2], v[1:2], v[14:15], -v[12:13]
	v_add_f64 v[3:4], v[3:4], 0
	v_add_f64 v[1:2], v[1:2], 0
	s_waitcnt lgkmcnt(0)
	v_mul_f64 v[12:13], v[3:4], v[8:9]
	v_mul_f64 v[8:9], v[1:2], v[8:9]
	v_fma_f64 v[1:2], v[1:2], v[6:7], -v[12:13]
	v_fma_f64 v[3:4], v[3:4], v[6:7], v[8:9]
	buffer_store_dword v1, off, s[0:3], 0 offset:32
	buffer_store_dword v2, off, s[0:3], 0 offset:36
	;; [unrolled: 1-line block ×4, first 2 shown]
.LBB61_19:
	s_or_b32 exec_lo, exec_lo, s5
	v_mov_b32_e32 v4, s68
	s_waitcnt_vscnt null, 0x0
	s_barrier
	buffer_gl0_inv
	v_cmp_gt_u32_e32 vcc_lo, 2, v0
	s_clause 0x3
	buffer_load_dword v1, v4, s[0:3], 0 offen
	buffer_load_dword v2, v4, s[0:3], 0 offen offset:4
	buffer_load_dword v3, v4, s[0:3], 0 offen offset:8
	buffer_load_dword v4, v4, s[0:3], 0 offen offset:12
	s_waitcnt vmcnt(0)
	ds_write_b128 v5, v[1:4]
	s_waitcnt lgkmcnt(0)
	s_barrier
	buffer_gl0_inv
	s_and_saveexec_b32 s5, vcc_lo
	s_cbranch_execz .LBB61_23
; %bb.20:
	s_clause 0x3
	buffer_load_dword v6, v11, s[0:3], 0 offen offset:8
	buffer_load_dword v7, v11, s[0:3], 0 offen offset:12
	buffer_load_dword v8, v11, s[0:3], 0 offen
	buffer_load_dword v9, v11, s[0:3], 0 offen offset:4
	ds_read_b128 v[1:4], v5
	s_waitcnt vmcnt(2) lgkmcnt(0)
	v_mul_f64 v[12:13], v[3:4], v[6:7]
	v_mul_f64 v[6:7], v[1:2], v[6:7]
	s_waitcnt vmcnt(0)
	v_fma_f64 v[1:2], v[1:2], v[8:9], -v[12:13]
	v_fma_f64 v[3:4], v[3:4], v[8:9], v[6:7]
	v_add_f64 v[1:2], v[1:2], 0
	v_add_f64 v[3:4], v[3:4], 0
	s_and_saveexec_b32 s8, s4
	s_cbranch_execz .LBB61_22
; %bb.21:
	s_clause 0x3
	buffer_load_dword v12, off, s[0:3], 0 offset:40
	buffer_load_dword v13, off, s[0:3], 0 offset:44
	;; [unrolled: 1-line block ×4, first 2 shown]
	v_mov_b32_e32 v6, 0
	ds_read_b128 v[6:9], v6 offset:1008
	s_waitcnt vmcnt(2) lgkmcnt(0)
	v_mul_f64 v[16:17], v[6:7], v[12:13]
	v_mul_f64 v[12:13], v[8:9], v[12:13]
	s_waitcnt vmcnt(0)
	v_fma_f64 v[8:9], v[8:9], v[14:15], v[16:17]
	v_fma_f64 v[6:7], v[6:7], v[14:15], -v[12:13]
	v_add_f64 v[3:4], v[3:4], v[8:9]
	v_add_f64 v[1:2], v[1:2], v[6:7]
.LBB61_22:
	s_or_b32 exec_lo, exec_lo, s8
	v_mov_b32_e32 v6, 0
	ds_read_b128 v[6:9], v6 offset:32
	s_waitcnt lgkmcnt(0)
	v_mul_f64 v[12:13], v[3:4], v[8:9]
	v_mul_f64 v[8:9], v[1:2], v[8:9]
	v_fma_f64 v[1:2], v[1:2], v[6:7], -v[12:13]
	v_fma_f64 v[3:4], v[3:4], v[6:7], v[8:9]
	buffer_store_dword v2, off, s[0:3], 0 offset:52
	buffer_store_dword v1, off, s[0:3], 0 offset:48
	;; [unrolled: 1-line block ×4, first 2 shown]
.LBB61_23:
	s_or_b32 exec_lo, exec_lo, s5
	v_mov_b32_e32 v4, s66
	s_waitcnt_vscnt null, 0x0
	s_barrier
	buffer_gl0_inv
	v_add_nc_u32_e32 v6, -1, v0
	s_clause 0x3
	buffer_load_dword v1, v4, s[0:3], 0 offen
	buffer_load_dword v2, v4, s[0:3], 0 offen offset:4
	buffer_load_dword v3, v4, s[0:3], 0 offen offset:8
	;; [unrolled: 1-line block ×3, first 2 shown]
	s_mov_b32 s8, exec_lo
	s_waitcnt vmcnt(0)
	ds_write_b128 v5, v[1:4]
	s_waitcnt lgkmcnt(0)
	s_barrier
	buffer_gl0_inv
	v_cmpx_gt_u32_e32 3, v0
	s_cbranch_execz .LBB61_27
; %bb.24:
	v_mov_b32_e32 v1, 0
	v_mov_b32_e32 v3, 0
	v_add_nc_u32_e32 v7, -1, v0
	v_add_nc_u32_e32 v8, 0x3e0, v235
	v_mov_b32_e32 v2, 0
	v_mov_b32_e32 v4, 0
	v_add_nc_u32_e32 v9, 16, v235
	s_mov_b32 s9, 0
	.p2align	6
.LBB61_25:                              ; =>This Inner Loop Header: Depth=1
	s_clause 0x3
	buffer_load_dword v16, v9, s[0:3], 0 offen offset:8
	buffer_load_dword v17, v9, s[0:3], 0 offen offset:12
	buffer_load_dword v18, v9, s[0:3], 0 offen
	buffer_load_dword v19, v9, s[0:3], 0 offen offset:4
	ds_read_b128 v[12:15], v8
	v_add_nc_u32_e32 v7, 1, v7
	v_add_nc_u32_e32 v8, 16, v8
	;; [unrolled: 1-line block ×3, first 2 shown]
	v_cmp_lt_u32_e64 s5, 1, v7
	s_or_b32 s9, s5, s9
	s_waitcnt vmcnt(2) lgkmcnt(0)
	v_mul_f64 v[20:21], v[14:15], v[16:17]
	v_mul_f64 v[16:17], v[12:13], v[16:17]
	s_waitcnt vmcnt(0)
	v_fma_f64 v[12:13], v[12:13], v[18:19], -v[20:21]
	v_fma_f64 v[14:15], v[14:15], v[18:19], v[16:17]
	v_add_f64 v[3:4], v[3:4], v[12:13]
	v_add_f64 v[1:2], v[1:2], v[14:15]
	s_andn2_b32 exec_lo, exec_lo, s9
	s_cbranch_execnz .LBB61_25
; %bb.26:
	s_or_b32 exec_lo, exec_lo, s9
	v_mov_b32_e32 v7, 0
	ds_read_b128 v[7:10], v7 offset:48
	s_waitcnt lgkmcnt(0)
	v_mul_f64 v[12:13], v[1:2], v[9:10]
	v_mul_f64 v[9:10], v[3:4], v[9:10]
	v_fma_f64 v[3:4], v[3:4], v[7:8], -v[12:13]
	v_fma_f64 v[1:2], v[1:2], v[7:8], v[9:10]
	buffer_store_dword v4, off, s[0:3], 0 offset:68
	buffer_store_dword v3, off, s[0:3], 0 offset:64
	;; [unrolled: 1-line block ×4, first 2 shown]
.LBB61_27:
	s_or_b32 exec_lo, exec_lo, s8
	v_mov_b32_e32 v4, s63
	s_waitcnt_vscnt null, 0x0
	s_barrier
	buffer_gl0_inv
	v_cmp_gt_u32_e64 s5, 4, v0
	s_clause 0x3
	buffer_load_dword v1, v4, s[0:3], 0 offen
	buffer_load_dword v2, v4, s[0:3], 0 offen offset:4
	buffer_load_dword v3, v4, s[0:3], 0 offen offset:8
	;; [unrolled: 1-line block ×3, first 2 shown]
	s_waitcnt vmcnt(0)
	ds_write_b128 v5, v[1:4]
	s_waitcnt lgkmcnt(0)
	s_barrier
	buffer_gl0_inv
	s_and_saveexec_b32 s9, s5
	s_cbranch_execz .LBB61_31
; %bb.28:
	v_mov_b32_e32 v1, 0
	v_mov_b32_e32 v3, 0
	v_add_nc_u32_e32 v7, -1, v0
	v_add_nc_u32_e32 v8, 0x3e0, v235
	v_mov_b32_e32 v2, 0
	v_mov_b32_e32 v4, 0
	v_add_nc_u32_e32 v9, 16, v235
	s_mov_b32 s77, 0
	.p2align	6
.LBB61_29:                              ; =>This Inner Loop Header: Depth=1
	s_clause 0x3
	buffer_load_dword v16, v9, s[0:3], 0 offen offset:8
	buffer_load_dword v17, v9, s[0:3], 0 offen offset:12
	buffer_load_dword v18, v9, s[0:3], 0 offen
	buffer_load_dword v19, v9, s[0:3], 0 offen offset:4
	ds_read_b128 v[12:15], v8
	v_add_nc_u32_e32 v7, 1, v7
	v_add_nc_u32_e32 v8, 16, v8
	;; [unrolled: 1-line block ×3, first 2 shown]
	v_cmp_lt_u32_e64 s8, 2, v7
	s_or_b32 s77, s8, s77
	s_waitcnt vmcnt(2) lgkmcnt(0)
	v_mul_f64 v[20:21], v[14:15], v[16:17]
	v_mul_f64 v[16:17], v[12:13], v[16:17]
	s_waitcnt vmcnt(0)
	v_fma_f64 v[12:13], v[12:13], v[18:19], -v[20:21]
	v_fma_f64 v[14:15], v[14:15], v[18:19], v[16:17]
	v_add_f64 v[3:4], v[3:4], v[12:13]
	v_add_f64 v[1:2], v[1:2], v[14:15]
	s_andn2_b32 exec_lo, exec_lo, s77
	s_cbranch_execnz .LBB61_29
; %bb.30:
	s_or_b32 exec_lo, exec_lo, s77
	v_mov_b32_e32 v7, 0
	ds_read_b128 v[7:10], v7 offset:64
	s_waitcnt lgkmcnt(0)
	v_mul_f64 v[12:13], v[1:2], v[9:10]
	v_mul_f64 v[9:10], v[3:4], v[9:10]
	v_fma_f64 v[3:4], v[3:4], v[7:8], -v[12:13]
	v_fma_f64 v[1:2], v[1:2], v[7:8], v[9:10]
	buffer_store_dword v4, off, s[0:3], 0 offset:84
	buffer_store_dword v3, off, s[0:3], 0 offset:80
	;; [unrolled: 1-line block ×4, first 2 shown]
.LBB61_31:
	s_or_b32 exec_lo, exec_lo, s9
	v_mov_b32_e32 v4, s62
	s_waitcnt_vscnt null, 0x0
	s_barrier
	buffer_gl0_inv
	s_mov_b32 s9, exec_lo
	s_clause 0x3
	buffer_load_dword v1, v4, s[0:3], 0 offen
	buffer_load_dword v2, v4, s[0:3], 0 offen offset:4
	buffer_load_dword v3, v4, s[0:3], 0 offen offset:8
	;; [unrolled: 1-line block ×3, first 2 shown]
	s_waitcnt vmcnt(0)
	ds_write_b128 v5, v[1:4]
	s_waitcnt lgkmcnt(0)
	s_barrier
	buffer_gl0_inv
	v_cmpx_gt_u32_e32 5, v0
	s_cbranch_execz .LBB61_35
; %bb.32:
	v_mov_b32_e32 v1, 0
	v_mov_b32_e32 v3, 0
	v_add_nc_u32_e32 v7, -1, v0
	v_add_nc_u32_e32 v8, 0x3e0, v235
	v_mov_b32_e32 v2, 0
	v_mov_b32_e32 v4, 0
	v_add_nc_u32_e32 v9, 16, v235
	s_mov_b32 s77, 0
	.p2align	6
.LBB61_33:                              ; =>This Inner Loop Header: Depth=1
	s_clause 0x3
	buffer_load_dword v16, v9, s[0:3], 0 offen offset:8
	buffer_load_dword v17, v9, s[0:3], 0 offen offset:12
	buffer_load_dword v18, v9, s[0:3], 0 offen
	buffer_load_dword v19, v9, s[0:3], 0 offen offset:4
	ds_read_b128 v[12:15], v8
	v_add_nc_u32_e32 v7, 1, v7
	v_add_nc_u32_e32 v8, 16, v8
	;; [unrolled: 1-line block ×3, first 2 shown]
	v_cmp_lt_u32_e64 s8, 3, v7
	s_or_b32 s77, s8, s77
	s_waitcnt vmcnt(2) lgkmcnt(0)
	v_mul_f64 v[20:21], v[14:15], v[16:17]
	v_mul_f64 v[16:17], v[12:13], v[16:17]
	s_waitcnt vmcnt(0)
	v_fma_f64 v[12:13], v[12:13], v[18:19], -v[20:21]
	v_fma_f64 v[14:15], v[14:15], v[18:19], v[16:17]
	v_add_f64 v[3:4], v[3:4], v[12:13]
	v_add_f64 v[1:2], v[1:2], v[14:15]
	s_andn2_b32 exec_lo, exec_lo, s77
	s_cbranch_execnz .LBB61_33
; %bb.34:
	s_or_b32 exec_lo, exec_lo, s77
	v_mov_b32_e32 v7, 0
	ds_read_b128 v[7:10], v7 offset:80
	s_waitcnt lgkmcnt(0)
	v_mul_f64 v[12:13], v[1:2], v[9:10]
	v_mul_f64 v[9:10], v[3:4], v[9:10]
	v_fma_f64 v[3:4], v[3:4], v[7:8], -v[12:13]
	v_fma_f64 v[1:2], v[1:2], v[7:8], v[9:10]
	buffer_store_dword v4, off, s[0:3], 0 offset:100
	buffer_store_dword v3, off, s[0:3], 0 offset:96
	;; [unrolled: 1-line block ×4, first 2 shown]
.LBB61_35:
	s_or_b32 exec_lo, exec_lo, s9
	v_mov_b32_e32 v4, s59
	s_waitcnt_vscnt null, 0x0
	s_barrier
	buffer_gl0_inv
	v_cmp_gt_u32_e64 s8, 6, v0
	s_clause 0x3
	buffer_load_dword v1, v4, s[0:3], 0 offen
	buffer_load_dword v2, v4, s[0:3], 0 offen offset:4
	buffer_load_dword v3, v4, s[0:3], 0 offen offset:8
	;; [unrolled: 1-line block ×3, first 2 shown]
	s_waitcnt vmcnt(0)
	ds_write_b128 v5, v[1:4]
	s_waitcnt lgkmcnt(0)
	s_barrier
	buffer_gl0_inv
	s_and_saveexec_b32 s77, s8
	s_cbranch_execz .LBB61_39
; %bb.36:
	v_mov_b32_e32 v1, 0
	v_mov_b32_e32 v3, 0
	v_add_nc_u32_e32 v7, -1, v0
	v_add_nc_u32_e32 v8, 0x3e0, v235
	v_mov_b32_e32 v2, 0
	v_mov_b32_e32 v4, 0
	v_add_nc_u32_e32 v9, 16, v235
	s_mov_b32 s78, 0
	.p2align	6
.LBB61_37:                              ; =>This Inner Loop Header: Depth=1
	s_clause 0x3
	buffer_load_dword v16, v9, s[0:3], 0 offen offset:8
	buffer_load_dword v17, v9, s[0:3], 0 offen offset:12
	buffer_load_dword v18, v9, s[0:3], 0 offen
	buffer_load_dword v19, v9, s[0:3], 0 offen offset:4
	ds_read_b128 v[12:15], v8
	v_add_nc_u32_e32 v7, 1, v7
	v_add_nc_u32_e32 v8, 16, v8
	;; [unrolled: 1-line block ×3, first 2 shown]
	v_cmp_lt_u32_e64 s9, 4, v7
	s_or_b32 s78, s9, s78
	s_waitcnt vmcnt(2) lgkmcnt(0)
	v_mul_f64 v[20:21], v[14:15], v[16:17]
	v_mul_f64 v[16:17], v[12:13], v[16:17]
	s_waitcnt vmcnt(0)
	v_fma_f64 v[12:13], v[12:13], v[18:19], -v[20:21]
	v_fma_f64 v[14:15], v[14:15], v[18:19], v[16:17]
	v_add_f64 v[3:4], v[3:4], v[12:13]
	v_add_f64 v[1:2], v[1:2], v[14:15]
	s_andn2_b32 exec_lo, exec_lo, s78
	s_cbranch_execnz .LBB61_37
; %bb.38:
	s_or_b32 exec_lo, exec_lo, s78
	v_mov_b32_e32 v7, 0
	ds_read_b128 v[7:10], v7 offset:96
	s_waitcnt lgkmcnt(0)
	v_mul_f64 v[12:13], v[1:2], v[9:10]
	v_mul_f64 v[9:10], v[3:4], v[9:10]
	v_fma_f64 v[3:4], v[3:4], v[7:8], -v[12:13]
	v_fma_f64 v[1:2], v[1:2], v[7:8], v[9:10]
	buffer_store_dword v4, off, s[0:3], 0 offset:116
	buffer_store_dword v3, off, s[0:3], 0 offset:112
	;; [unrolled: 1-line block ×4, first 2 shown]
.LBB61_39:
	s_or_b32 exec_lo, exec_lo, s77
	v_mov_b32_e32 v4, s75
	s_waitcnt_vscnt null, 0x0
	s_barrier
	buffer_gl0_inv
	s_mov_b32 s77, exec_lo
	s_clause 0x3
	buffer_load_dword v1, v4, s[0:3], 0 offen
	buffer_load_dword v2, v4, s[0:3], 0 offen offset:4
	buffer_load_dword v3, v4, s[0:3], 0 offen offset:8
	;; [unrolled: 1-line block ×3, first 2 shown]
	s_waitcnt vmcnt(0)
	ds_write_b128 v5, v[1:4]
	s_waitcnt lgkmcnt(0)
	s_barrier
	buffer_gl0_inv
	v_cmpx_gt_u32_e32 7, v0
	s_cbranch_execz .LBB61_43
; %bb.40:
	v_mov_b32_e32 v1, 0
	v_mov_b32_e32 v3, 0
	v_add_nc_u32_e32 v7, -1, v0
	v_add_nc_u32_e32 v8, 0x3e0, v235
	v_mov_b32_e32 v2, 0
	v_mov_b32_e32 v4, 0
	v_add_nc_u32_e32 v9, 16, v235
	s_mov_b32 s78, 0
	.p2align	6
.LBB61_41:                              ; =>This Inner Loop Header: Depth=1
	s_clause 0x3
	buffer_load_dword v16, v9, s[0:3], 0 offen offset:8
	buffer_load_dword v17, v9, s[0:3], 0 offen offset:12
	buffer_load_dword v18, v9, s[0:3], 0 offen
	buffer_load_dword v19, v9, s[0:3], 0 offen offset:4
	ds_read_b128 v[12:15], v8
	v_add_nc_u32_e32 v7, 1, v7
	v_add_nc_u32_e32 v8, 16, v8
	;; [unrolled: 1-line block ×3, first 2 shown]
	v_cmp_lt_u32_e64 s9, 5, v7
	s_or_b32 s78, s9, s78
	s_waitcnt vmcnt(2) lgkmcnt(0)
	v_mul_f64 v[20:21], v[14:15], v[16:17]
	v_mul_f64 v[16:17], v[12:13], v[16:17]
	s_waitcnt vmcnt(0)
	v_fma_f64 v[12:13], v[12:13], v[18:19], -v[20:21]
	v_fma_f64 v[14:15], v[14:15], v[18:19], v[16:17]
	v_add_f64 v[3:4], v[3:4], v[12:13]
	v_add_f64 v[1:2], v[1:2], v[14:15]
	s_andn2_b32 exec_lo, exec_lo, s78
	s_cbranch_execnz .LBB61_41
; %bb.42:
	s_or_b32 exec_lo, exec_lo, s78
	v_mov_b32_e32 v7, 0
	ds_read_b128 v[7:10], v7 offset:112
	s_waitcnt lgkmcnt(0)
	v_mul_f64 v[12:13], v[1:2], v[9:10]
	v_mul_f64 v[9:10], v[3:4], v[9:10]
	v_fma_f64 v[3:4], v[3:4], v[7:8], -v[12:13]
	v_fma_f64 v[1:2], v[1:2], v[7:8], v[9:10]
	buffer_store_dword v4, off, s[0:3], 0 offset:132
	buffer_store_dword v3, off, s[0:3], 0 offset:128
	;; [unrolled: 1-line block ×4, first 2 shown]
.LBB61_43:
	s_or_b32 exec_lo, exec_lo, s77
	v_mov_b32_e32 v4, s74
	s_waitcnt_vscnt null, 0x0
	s_barrier
	buffer_gl0_inv
	s_mov_b32 s77, exec_lo
	s_clause 0x3
	buffer_load_dword v1, v4, s[0:3], 0 offen
	buffer_load_dword v2, v4, s[0:3], 0 offen offset:4
	buffer_load_dword v3, v4, s[0:3], 0 offen offset:8
	;; [unrolled: 1-line block ×3, first 2 shown]
	s_waitcnt vmcnt(0)
	ds_write_b128 v5, v[1:4]
	s_waitcnt lgkmcnt(0)
	s_barrier
	buffer_gl0_inv
	v_cmpx_gt_u32_e32 8, v0
	s_cbranch_execz .LBB61_59
; %bb.44:
	s_clause 0x3
	buffer_load_dword v7, v11, s[0:3], 0 offen offset:8
	buffer_load_dword v8, v11, s[0:3], 0 offen offset:12
	buffer_load_dword v9, v11, s[0:3], 0 offen
	buffer_load_dword v10, v11, s[0:3], 0 offen offset:4
	ds_read_b128 v[1:4], v5
	s_mov_b32 s78, exec_lo
	s_waitcnt vmcnt(2) lgkmcnt(0)
	v_mul_f64 v[12:13], v[3:4], v[7:8]
	v_mul_f64 v[7:8], v[1:2], v[7:8]
	s_waitcnt vmcnt(0)
	v_fma_f64 v[1:2], v[1:2], v[9:10], -v[12:13]
	v_fma_f64 v[7:8], v[3:4], v[9:10], v[7:8]
	v_add_f64 v[3:4], v[1:2], 0
	v_add_f64 v[1:2], v[7:8], 0
	v_cmpx_ne_u32_e32 7, v0
	s_cbranch_execz .LBB61_58
; %bb.45:
	s_clause 0x3
	buffer_load_dword v12, v11, s[0:3], 0 offen offset:24
	buffer_load_dword v13, v11, s[0:3], 0 offen offset:28
	;; [unrolled: 1-line block ×4, first 2 shown]
	ds_read_b128 v[7:10], v5 offset:16
	s_waitcnt vmcnt(2) lgkmcnt(0)
	v_mul_f64 v[16:17], v[9:10], v[12:13]
	v_mul_f64 v[12:13], v[7:8], v[12:13]
	s_waitcnt vmcnt(0)
	v_fma_f64 v[7:8], v[7:8], v[14:15], -v[16:17]
	v_fma_f64 v[9:10], v[9:10], v[14:15], v[12:13]
	v_add_f64 v[3:4], v[3:4], v[7:8]
	v_add_f64 v[1:2], v[1:2], v[9:10]
	s_and_saveexec_b32 s9, s8
	s_cbranch_execz .LBB61_57
; %bb.46:
	s_clause 0x3
	buffer_load_dword v12, v11, s[0:3], 0 offen offset:40
	buffer_load_dword v13, v11, s[0:3], 0 offen offset:44
	;; [unrolled: 1-line block ×4, first 2 shown]
	ds_read_b128 v[7:10], v5 offset:32
	s_mov_b32 s79, exec_lo
	s_waitcnt vmcnt(2) lgkmcnt(0)
	v_mul_f64 v[16:17], v[9:10], v[12:13]
	v_mul_f64 v[12:13], v[7:8], v[12:13]
	s_waitcnt vmcnt(0)
	v_fma_f64 v[7:8], v[7:8], v[14:15], -v[16:17]
	v_fma_f64 v[9:10], v[9:10], v[14:15], v[12:13]
	v_add_f64 v[3:4], v[3:4], v[7:8]
	v_add_f64 v[1:2], v[1:2], v[9:10]
	v_cmpx_ne_u32_e32 5, v0
	s_cbranch_execz .LBB61_56
; %bb.47:
	s_clause 0x3
	buffer_load_dword v12, v11, s[0:3], 0 offen offset:56
	buffer_load_dword v13, v11, s[0:3], 0 offen offset:60
	buffer_load_dword v14, v11, s[0:3], 0 offen offset:48
	buffer_load_dword v15, v11, s[0:3], 0 offen offset:52
	ds_read_b128 v[7:10], v5 offset:48
	s_waitcnt vmcnt(2) lgkmcnt(0)
	v_mul_f64 v[16:17], v[9:10], v[12:13]
	v_mul_f64 v[12:13], v[7:8], v[12:13]
	s_waitcnt vmcnt(0)
	v_fma_f64 v[7:8], v[7:8], v[14:15], -v[16:17]
	v_fma_f64 v[9:10], v[9:10], v[14:15], v[12:13]
	v_add_f64 v[3:4], v[3:4], v[7:8]
	v_add_f64 v[1:2], v[1:2], v[9:10]
	s_and_saveexec_b32 s8, s5
	s_cbranch_execz .LBB61_55
; %bb.48:
	s_clause 0x3
	buffer_load_dword v12, v11, s[0:3], 0 offen offset:72
	buffer_load_dword v13, v11, s[0:3], 0 offen offset:76
	;; [unrolled: 1-line block ×4, first 2 shown]
	ds_read_b128 v[7:10], v5 offset:64
	s_mov_b32 s80, exec_lo
	s_waitcnt vmcnt(2) lgkmcnt(0)
	v_mul_f64 v[16:17], v[9:10], v[12:13]
	v_mul_f64 v[12:13], v[7:8], v[12:13]
	s_waitcnt vmcnt(0)
	v_fma_f64 v[7:8], v[7:8], v[14:15], -v[16:17]
	v_fma_f64 v[9:10], v[9:10], v[14:15], v[12:13]
	v_add_f64 v[3:4], v[3:4], v[7:8]
	v_add_f64 v[1:2], v[1:2], v[9:10]
	v_cmpx_ne_u32_e32 3, v0
	s_cbranch_execz .LBB61_54
; %bb.49:
	s_clause 0x3
	buffer_load_dword v12, v11, s[0:3], 0 offen offset:88
	buffer_load_dword v13, v11, s[0:3], 0 offen offset:92
	;; [unrolled: 1-line block ×4, first 2 shown]
	ds_read_b128 v[7:10], v5 offset:80
	s_waitcnt vmcnt(2) lgkmcnt(0)
	v_mul_f64 v[16:17], v[9:10], v[12:13]
	v_mul_f64 v[12:13], v[7:8], v[12:13]
	s_waitcnt vmcnt(0)
	v_fma_f64 v[7:8], v[7:8], v[14:15], -v[16:17]
	v_fma_f64 v[9:10], v[9:10], v[14:15], v[12:13]
	v_add_f64 v[3:4], v[3:4], v[7:8]
	v_add_f64 v[1:2], v[1:2], v[9:10]
	s_and_saveexec_b32 s5, vcc_lo
	s_cbranch_execz .LBB61_53
; %bb.50:
	s_clause 0x3
	buffer_load_dword v12, v11, s[0:3], 0 offen offset:104
	buffer_load_dword v13, v11, s[0:3], 0 offen offset:108
	;; [unrolled: 1-line block ×4, first 2 shown]
	ds_read_b128 v[7:10], v5 offset:96
	s_waitcnt vmcnt(2) lgkmcnt(0)
	v_mul_f64 v[16:17], v[9:10], v[12:13]
	v_mul_f64 v[12:13], v[7:8], v[12:13]
	s_waitcnt vmcnt(0)
	v_fma_f64 v[7:8], v[7:8], v[14:15], -v[16:17]
	v_fma_f64 v[9:10], v[9:10], v[14:15], v[12:13]
	v_add_f64 v[3:4], v[3:4], v[7:8]
	v_add_f64 v[1:2], v[1:2], v[9:10]
	s_and_saveexec_b32 s81, s4
	s_cbranch_execz .LBB61_52
; %bb.51:
	s_clause 0x3
	buffer_load_dword v12, v11, s[0:3], 0 offen offset:120
	buffer_load_dword v13, v11, s[0:3], 0 offen offset:124
	;; [unrolled: 1-line block ×4, first 2 shown]
	ds_read_b128 v[7:10], v5 offset:112
	s_waitcnt vmcnt(2) lgkmcnt(0)
	v_mul_f64 v[16:17], v[9:10], v[12:13]
	v_mul_f64 v[11:12], v[7:8], v[12:13]
	s_waitcnt vmcnt(0)
	v_fma_f64 v[7:8], v[7:8], v[14:15], -v[16:17]
	v_fma_f64 v[9:10], v[9:10], v[14:15], v[11:12]
	v_add_f64 v[3:4], v[3:4], v[7:8]
	v_add_f64 v[1:2], v[1:2], v[9:10]
.LBB61_52:
	s_or_b32 exec_lo, exec_lo, s81
.LBB61_53:
	s_or_b32 exec_lo, exec_lo, s5
.LBB61_54:
	s_or_b32 exec_lo, exec_lo, s80
.LBB61_55:
	s_or_b32 exec_lo, exec_lo, s8
.LBB61_56:
	s_or_b32 exec_lo, exec_lo, s79
.LBB61_57:
	s_or_b32 exec_lo, exec_lo, s9
.LBB61_58:
	s_or_b32 exec_lo, exec_lo, s78
	v_mov_b32_e32 v7, 0
	ds_read_b128 v[7:10], v7 offset:128
	s_waitcnt lgkmcnt(0)
	v_mul_f64 v[11:12], v[1:2], v[9:10]
	v_mul_f64 v[9:10], v[3:4], v[9:10]
	v_fma_f64 v[3:4], v[3:4], v[7:8], -v[11:12]
	v_fma_f64 v[1:2], v[1:2], v[7:8], v[9:10]
	buffer_store_dword v4, off, s[0:3], 0 offset:148
	buffer_store_dword v3, off, s[0:3], 0 offset:144
	;; [unrolled: 1-line block ×4, first 2 shown]
.LBB61_59:
	s_or_b32 exec_lo, exec_lo, s77
	v_mov_b32_e32 v4, s73
	s_waitcnt_vscnt null, 0x0
	s_barrier
	buffer_gl0_inv
	s_mov_b32 s4, exec_lo
	s_clause 0x3
	buffer_load_dword v1, v4, s[0:3], 0 offen
	buffer_load_dword v2, v4, s[0:3], 0 offen offset:4
	buffer_load_dword v3, v4, s[0:3], 0 offen offset:8
	;; [unrolled: 1-line block ×3, first 2 shown]
	s_waitcnt vmcnt(0)
	ds_write_b128 v5, v[1:4]
	s_waitcnt lgkmcnt(0)
	s_barrier
	buffer_gl0_inv
	v_cmpx_gt_u32_e32 9, v0
	s_cbranch_execz .LBB61_63
; %bb.60:
	v_mov_b32_e32 v1, 0
	v_mov_b32_e32 v3, 0
	v_add_nc_u32_e32 v7, -1, v0
	v_add_nc_u32_e32 v8, 0x3e0, v235
	v_mov_b32_e32 v2, 0
	v_mov_b32_e32 v4, 0
	v_add_nc_u32_e32 v9, 16, v235
	s_mov_b32 s5, 0
	.p2align	6
.LBB61_61:                              ; =>This Inner Loop Header: Depth=1
	s_clause 0x3
	buffer_load_dword v14, v9, s[0:3], 0 offen offset:8
	buffer_load_dword v15, v9, s[0:3], 0 offen offset:12
	buffer_load_dword v16, v9, s[0:3], 0 offen
	buffer_load_dword v17, v9, s[0:3], 0 offen offset:4
	ds_read_b128 v[10:13], v8
	v_add_nc_u32_e32 v7, 1, v7
	v_add_nc_u32_e32 v8, 16, v8
	;; [unrolled: 1-line block ×3, first 2 shown]
	v_cmp_lt_u32_e32 vcc_lo, 7, v7
	s_or_b32 s5, vcc_lo, s5
	s_waitcnt vmcnt(2) lgkmcnt(0)
	v_mul_f64 v[18:19], v[12:13], v[14:15]
	v_mul_f64 v[14:15], v[10:11], v[14:15]
	s_waitcnt vmcnt(0)
	v_fma_f64 v[10:11], v[10:11], v[16:17], -v[18:19]
	v_fma_f64 v[12:13], v[12:13], v[16:17], v[14:15]
	v_add_f64 v[3:4], v[3:4], v[10:11]
	v_add_f64 v[1:2], v[1:2], v[12:13]
	s_andn2_b32 exec_lo, exec_lo, s5
	s_cbranch_execnz .LBB61_61
; %bb.62:
	s_or_b32 exec_lo, exec_lo, s5
	v_mov_b32_e32 v7, 0
	ds_read_b128 v[7:10], v7 offset:144
	s_waitcnt lgkmcnt(0)
	v_mul_f64 v[11:12], v[1:2], v[9:10]
	v_mul_f64 v[9:10], v[3:4], v[9:10]
	v_fma_f64 v[3:4], v[3:4], v[7:8], -v[11:12]
	v_fma_f64 v[1:2], v[1:2], v[7:8], v[9:10]
	buffer_store_dword v4, off, s[0:3], 0 offset:164
	buffer_store_dword v3, off, s[0:3], 0 offset:160
	;; [unrolled: 1-line block ×4, first 2 shown]
.LBB61_63:
	s_or_b32 exec_lo, exec_lo, s4
	v_mov_b32_e32 v4, s72
	s_waitcnt_vscnt null, 0x0
	s_barrier
	buffer_gl0_inv
	s_mov_b32 s4, exec_lo
	s_clause 0x3
	buffer_load_dword v1, v4, s[0:3], 0 offen
	buffer_load_dword v2, v4, s[0:3], 0 offen offset:4
	buffer_load_dword v3, v4, s[0:3], 0 offen offset:8
	;; [unrolled: 1-line block ×3, first 2 shown]
	s_waitcnt vmcnt(0)
	ds_write_b128 v5, v[1:4]
	s_waitcnt lgkmcnt(0)
	s_barrier
	buffer_gl0_inv
	v_cmpx_gt_u32_e32 10, v0
	s_cbranch_execz .LBB61_67
; %bb.64:
	v_mov_b32_e32 v1, 0
	v_mov_b32_e32 v3, 0
	v_add_nc_u32_e32 v7, -1, v0
	v_add_nc_u32_e32 v8, 0x3e0, v235
	v_mov_b32_e32 v2, 0
	v_mov_b32_e32 v4, 0
	v_add_nc_u32_e32 v9, 16, v235
	s_mov_b32 s5, 0
	.p2align	6
.LBB61_65:                              ; =>This Inner Loop Header: Depth=1
	s_clause 0x3
	buffer_load_dword v14, v9, s[0:3], 0 offen offset:8
	buffer_load_dword v15, v9, s[0:3], 0 offen offset:12
	buffer_load_dword v16, v9, s[0:3], 0 offen
	buffer_load_dword v17, v9, s[0:3], 0 offen offset:4
	ds_read_b128 v[10:13], v8
	v_add_nc_u32_e32 v7, 1, v7
	v_add_nc_u32_e32 v8, 16, v8
	;; [unrolled: 1-line block ×3, first 2 shown]
	v_cmp_lt_u32_e32 vcc_lo, 8, v7
	s_or_b32 s5, vcc_lo, s5
	s_waitcnt vmcnt(2) lgkmcnt(0)
	v_mul_f64 v[18:19], v[12:13], v[14:15]
	v_mul_f64 v[14:15], v[10:11], v[14:15]
	s_waitcnt vmcnt(0)
	v_fma_f64 v[10:11], v[10:11], v[16:17], -v[18:19]
	v_fma_f64 v[12:13], v[12:13], v[16:17], v[14:15]
	v_add_f64 v[3:4], v[3:4], v[10:11]
	v_add_f64 v[1:2], v[1:2], v[12:13]
	s_andn2_b32 exec_lo, exec_lo, s5
	s_cbranch_execnz .LBB61_65
; %bb.66:
	s_or_b32 exec_lo, exec_lo, s5
	v_mov_b32_e32 v7, 0
	ds_read_b128 v[7:10], v7 offset:160
	s_waitcnt lgkmcnt(0)
	v_mul_f64 v[11:12], v[1:2], v[9:10]
	v_mul_f64 v[9:10], v[3:4], v[9:10]
	v_fma_f64 v[3:4], v[3:4], v[7:8], -v[11:12]
	v_fma_f64 v[1:2], v[1:2], v[7:8], v[9:10]
	buffer_store_dword v4, off, s[0:3], 0 offset:180
	buffer_store_dword v3, off, s[0:3], 0 offset:176
	;; [unrolled: 1-line block ×4, first 2 shown]
.LBB61_67:
	s_or_b32 exec_lo, exec_lo, s4
	v_mov_b32_e32 v4, s71
	s_waitcnt_vscnt null, 0x0
	s_barrier
	buffer_gl0_inv
	s_mov_b32 s4, exec_lo
	s_clause 0x3
	buffer_load_dword v1, v4, s[0:3], 0 offen
	buffer_load_dword v2, v4, s[0:3], 0 offen offset:4
	buffer_load_dword v3, v4, s[0:3], 0 offen offset:8
	;; [unrolled: 1-line block ×3, first 2 shown]
	s_waitcnt vmcnt(0)
	ds_write_b128 v5, v[1:4]
	s_waitcnt lgkmcnt(0)
	s_barrier
	buffer_gl0_inv
	v_cmpx_gt_u32_e32 11, v0
	s_cbranch_execz .LBB61_71
; %bb.68:
	v_mov_b32_e32 v1, 0
	v_mov_b32_e32 v3, 0
	v_add_nc_u32_e32 v7, -1, v0
	v_add_nc_u32_e32 v8, 0x3e0, v235
	v_mov_b32_e32 v2, 0
	v_mov_b32_e32 v4, 0
	v_add_nc_u32_e32 v9, 16, v235
	s_mov_b32 s5, 0
	.p2align	6
.LBB61_69:                              ; =>This Inner Loop Header: Depth=1
	s_clause 0x3
	buffer_load_dword v14, v9, s[0:3], 0 offen offset:8
	buffer_load_dword v15, v9, s[0:3], 0 offen offset:12
	buffer_load_dword v16, v9, s[0:3], 0 offen
	buffer_load_dword v17, v9, s[0:3], 0 offen offset:4
	ds_read_b128 v[10:13], v8
	v_add_nc_u32_e32 v7, 1, v7
	v_add_nc_u32_e32 v8, 16, v8
	;; [unrolled: 1-line block ×3, first 2 shown]
	v_cmp_lt_u32_e32 vcc_lo, 9, v7
	s_or_b32 s5, vcc_lo, s5
	s_waitcnt vmcnt(2) lgkmcnt(0)
	v_mul_f64 v[18:19], v[12:13], v[14:15]
	v_mul_f64 v[14:15], v[10:11], v[14:15]
	s_waitcnt vmcnt(0)
	v_fma_f64 v[10:11], v[10:11], v[16:17], -v[18:19]
	v_fma_f64 v[12:13], v[12:13], v[16:17], v[14:15]
	v_add_f64 v[3:4], v[3:4], v[10:11]
	v_add_f64 v[1:2], v[1:2], v[12:13]
	s_andn2_b32 exec_lo, exec_lo, s5
	s_cbranch_execnz .LBB61_69
; %bb.70:
	s_or_b32 exec_lo, exec_lo, s5
	v_mov_b32_e32 v7, 0
	ds_read_b128 v[7:10], v7 offset:176
	s_waitcnt lgkmcnt(0)
	v_mul_f64 v[11:12], v[1:2], v[9:10]
	v_mul_f64 v[9:10], v[3:4], v[9:10]
	v_fma_f64 v[3:4], v[3:4], v[7:8], -v[11:12]
	v_fma_f64 v[1:2], v[1:2], v[7:8], v[9:10]
	buffer_store_dword v4, off, s[0:3], 0 offset:196
	buffer_store_dword v3, off, s[0:3], 0 offset:192
	;; [unrolled: 1-line block ×4, first 2 shown]
.LBB61_71:
	s_or_b32 exec_lo, exec_lo, s4
	v_mov_b32_e32 v4, s69
	s_waitcnt_vscnt null, 0x0
	s_barrier
	buffer_gl0_inv
	s_mov_b32 s4, exec_lo
	s_clause 0x3
	buffer_load_dword v1, v4, s[0:3], 0 offen
	buffer_load_dword v2, v4, s[0:3], 0 offen offset:4
	buffer_load_dword v3, v4, s[0:3], 0 offen offset:8
	;; [unrolled: 1-line block ×3, first 2 shown]
	s_waitcnt vmcnt(0)
	ds_write_b128 v5, v[1:4]
	s_waitcnt lgkmcnt(0)
	s_barrier
	buffer_gl0_inv
	v_cmpx_gt_u32_e32 12, v0
	s_cbranch_execz .LBB61_75
; %bb.72:
	v_mov_b32_e32 v1, 0
	v_mov_b32_e32 v3, 0
	v_add_nc_u32_e32 v7, -1, v0
	v_add_nc_u32_e32 v8, 0x3e0, v235
	v_mov_b32_e32 v2, 0
	v_mov_b32_e32 v4, 0
	v_add_nc_u32_e32 v9, 16, v235
	s_mov_b32 s5, 0
	.p2align	6
.LBB61_73:                              ; =>This Inner Loop Header: Depth=1
	s_clause 0x3
	buffer_load_dword v14, v9, s[0:3], 0 offen offset:8
	buffer_load_dword v15, v9, s[0:3], 0 offen offset:12
	buffer_load_dword v16, v9, s[0:3], 0 offen
	buffer_load_dword v17, v9, s[0:3], 0 offen offset:4
	ds_read_b128 v[10:13], v8
	v_add_nc_u32_e32 v7, 1, v7
	v_add_nc_u32_e32 v8, 16, v8
	;; [unrolled: 1-line block ×3, first 2 shown]
	v_cmp_lt_u32_e32 vcc_lo, 10, v7
	s_or_b32 s5, vcc_lo, s5
	s_waitcnt vmcnt(2) lgkmcnt(0)
	v_mul_f64 v[18:19], v[12:13], v[14:15]
	v_mul_f64 v[14:15], v[10:11], v[14:15]
	s_waitcnt vmcnt(0)
	v_fma_f64 v[10:11], v[10:11], v[16:17], -v[18:19]
	v_fma_f64 v[12:13], v[12:13], v[16:17], v[14:15]
	v_add_f64 v[3:4], v[3:4], v[10:11]
	v_add_f64 v[1:2], v[1:2], v[12:13]
	s_andn2_b32 exec_lo, exec_lo, s5
	s_cbranch_execnz .LBB61_73
; %bb.74:
	s_or_b32 exec_lo, exec_lo, s5
	v_mov_b32_e32 v7, 0
	ds_read_b128 v[7:10], v7 offset:192
	s_waitcnt lgkmcnt(0)
	v_mul_f64 v[11:12], v[1:2], v[9:10]
	v_mul_f64 v[9:10], v[3:4], v[9:10]
	v_fma_f64 v[3:4], v[3:4], v[7:8], -v[11:12]
	v_fma_f64 v[1:2], v[1:2], v[7:8], v[9:10]
	buffer_store_dword v4, off, s[0:3], 0 offset:212
	buffer_store_dword v3, off, s[0:3], 0 offset:208
	;; [unrolled: 1-line block ×4, first 2 shown]
.LBB61_75:
	s_or_b32 exec_lo, exec_lo, s4
	v_mov_b32_e32 v4, s67
	s_waitcnt_vscnt null, 0x0
	s_barrier
	buffer_gl0_inv
	s_mov_b32 s4, exec_lo
	s_clause 0x3
	buffer_load_dword v1, v4, s[0:3], 0 offen
	buffer_load_dword v2, v4, s[0:3], 0 offen offset:4
	buffer_load_dword v3, v4, s[0:3], 0 offen offset:8
	;; [unrolled: 1-line block ×3, first 2 shown]
	s_waitcnt vmcnt(0)
	ds_write_b128 v5, v[1:4]
	s_waitcnt lgkmcnt(0)
	s_barrier
	buffer_gl0_inv
	v_cmpx_gt_u32_e32 13, v0
	s_cbranch_execz .LBB61_79
; %bb.76:
	v_mov_b32_e32 v1, 0
	v_mov_b32_e32 v3, 0
	v_add_nc_u32_e32 v7, -1, v0
	v_add_nc_u32_e32 v8, 0x3e0, v235
	v_mov_b32_e32 v2, 0
	v_mov_b32_e32 v4, 0
	v_add_nc_u32_e32 v9, 16, v235
	s_mov_b32 s5, 0
	.p2align	6
.LBB61_77:                              ; =>This Inner Loop Header: Depth=1
	s_clause 0x3
	buffer_load_dword v14, v9, s[0:3], 0 offen offset:8
	buffer_load_dword v15, v9, s[0:3], 0 offen offset:12
	buffer_load_dword v16, v9, s[0:3], 0 offen
	buffer_load_dword v17, v9, s[0:3], 0 offen offset:4
	ds_read_b128 v[10:13], v8
	v_add_nc_u32_e32 v7, 1, v7
	v_add_nc_u32_e32 v8, 16, v8
	;; [unrolled: 1-line block ×3, first 2 shown]
	v_cmp_lt_u32_e32 vcc_lo, 11, v7
	s_or_b32 s5, vcc_lo, s5
	s_waitcnt vmcnt(2) lgkmcnt(0)
	v_mul_f64 v[18:19], v[12:13], v[14:15]
	v_mul_f64 v[14:15], v[10:11], v[14:15]
	s_waitcnt vmcnt(0)
	v_fma_f64 v[10:11], v[10:11], v[16:17], -v[18:19]
	v_fma_f64 v[12:13], v[12:13], v[16:17], v[14:15]
	v_add_f64 v[3:4], v[3:4], v[10:11]
	v_add_f64 v[1:2], v[1:2], v[12:13]
	s_andn2_b32 exec_lo, exec_lo, s5
	s_cbranch_execnz .LBB61_77
; %bb.78:
	s_or_b32 exec_lo, exec_lo, s5
	v_mov_b32_e32 v7, 0
	ds_read_b128 v[7:10], v7 offset:208
	s_waitcnt lgkmcnt(0)
	v_mul_f64 v[11:12], v[1:2], v[9:10]
	v_mul_f64 v[9:10], v[3:4], v[9:10]
	v_fma_f64 v[3:4], v[3:4], v[7:8], -v[11:12]
	v_fma_f64 v[1:2], v[1:2], v[7:8], v[9:10]
	buffer_store_dword v4, off, s[0:3], 0 offset:228
	buffer_store_dword v3, off, s[0:3], 0 offset:224
	;; [unrolled: 1-line block ×4, first 2 shown]
.LBB61_79:
	s_or_b32 exec_lo, exec_lo, s4
	v_mov_b32_e32 v4, s65
	s_waitcnt_vscnt null, 0x0
	s_barrier
	buffer_gl0_inv
	s_mov_b32 s4, exec_lo
	s_clause 0x3
	buffer_load_dword v1, v4, s[0:3], 0 offen
	buffer_load_dword v2, v4, s[0:3], 0 offen offset:4
	buffer_load_dword v3, v4, s[0:3], 0 offen offset:8
	;; [unrolled: 1-line block ×3, first 2 shown]
	s_waitcnt vmcnt(0)
	ds_write_b128 v5, v[1:4]
	s_waitcnt lgkmcnt(0)
	s_barrier
	buffer_gl0_inv
	v_cmpx_gt_u32_e32 14, v0
	s_cbranch_execz .LBB61_83
; %bb.80:
	v_mov_b32_e32 v1, 0
	v_mov_b32_e32 v3, 0
	v_add_nc_u32_e32 v7, -1, v0
	v_add_nc_u32_e32 v8, 0x3e0, v235
	v_mov_b32_e32 v2, 0
	v_mov_b32_e32 v4, 0
	v_add_nc_u32_e32 v9, 16, v235
	s_mov_b32 s5, 0
	.p2align	6
.LBB61_81:                              ; =>This Inner Loop Header: Depth=1
	s_clause 0x3
	buffer_load_dword v14, v9, s[0:3], 0 offen offset:8
	buffer_load_dword v15, v9, s[0:3], 0 offen offset:12
	buffer_load_dword v16, v9, s[0:3], 0 offen
	buffer_load_dword v17, v9, s[0:3], 0 offen offset:4
	ds_read_b128 v[10:13], v8
	v_add_nc_u32_e32 v7, 1, v7
	v_add_nc_u32_e32 v8, 16, v8
	;; [unrolled: 1-line block ×3, first 2 shown]
	v_cmp_lt_u32_e32 vcc_lo, 12, v7
	s_or_b32 s5, vcc_lo, s5
	s_waitcnt vmcnt(2) lgkmcnt(0)
	v_mul_f64 v[18:19], v[12:13], v[14:15]
	v_mul_f64 v[14:15], v[10:11], v[14:15]
	s_waitcnt vmcnt(0)
	v_fma_f64 v[10:11], v[10:11], v[16:17], -v[18:19]
	v_fma_f64 v[12:13], v[12:13], v[16:17], v[14:15]
	v_add_f64 v[3:4], v[3:4], v[10:11]
	v_add_f64 v[1:2], v[1:2], v[12:13]
	s_andn2_b32 exec_lo, exec_lo, s5
	s_cbranch_execnz .LBB61_81
; %bb.82:
	s_or_b32 exec_lo, exec_lo, s5
	v_mov_b32_e32 v7, 0
	ds_read_b128 v[7:10], v7 offset:224
	s_waitcnt lgkmcnt(0)
	v_mul_f64 v[11:12], v[1:2], v[9:10]
	v_mul_f64 v[9:10], v[3:4], v[9:10]
	v_fma_f64 v[3:4], v[3:4], v[7:8], -v[11:12]
	v_fma_f64 v[1:2], v[1:2], v[7:8], v[9:10]
	buffer_store_dword v4, off, s[0:3], 0 offset:244
	buffer_store_dword v3, off, s[0:3], 0 offset:240
	;; [unrolled: 1-line block ×4, first 2 shown]
.LBB61_83:
	s_or_b32 exec_lo, exec_lo, s4
	v_mov_b32_e32 v4, s64
	s_waitcnt_vscnt null, 0x0
	s_barrier
	buffer_gl0_inv
	s_mov_b32 s4, exec_lo
	s_clause 0x3
	buffer_load_dword v1, v4, s[0:3], 0 offen
	buffer_load_dword v2, v4, s[0:3], 0 offen offset:4
	buffer_load_dword v3, v4, s[0:3], 0 offen offset:8
	;; [unrolled: 1-line block ×3, first 2 shown]
	s_waitcnt vmcnt(0)
	ds_write_b128 v5, v[1:4]
	s_waitcnt lgkmcnt(0)
	s_barrier
	buffer_gl0_inv
	v_cmpx_gt_u32_e32 15, v0
	s_cbranch_execz .LBB61_87
; %bb.84:
	v_mov_b32_e32 v1, 0
	v_mov_b32_e32 v3, 0
	v_add_nc_u32_e32 v7, -1, v0
	v_add_nc_u32_e32 v8, 0x3e0, v235
	v_mov_b32_e32 v2, 0
	v_mov_b32_e32 v4, 0
	v_add_nc_u32_e32 v9, 16, v235
	s_mov_b32 s5, 0
	.p2align	6
.LBB61_85:                              ; =>This Inner Loop Header: Depth=1
	s_clause 0x3
	buffer_load_dword v14, v9, s[0:3], 0 offen offset:8
	buffer_load_dword v15, v9, s[0:3], 0 offen offset:12
	buffer_load_dword v16, v9, s[0:3], 0 offen
	buffer_load_dword v17, v9, s[0:3], 0 offen offset:4
	ds_read_b128 v[10:13], v8
	v_add_nc_u32_e32 v7, 1, v7
	v_add_nc_u32_e32 v8, 16, v8
	;; [unrolled: 1-line block ×3, first 2 shown]
	v_cmp_lt_u32_e32 vcc_lo, 13, v7
	s_or_b32 s5, vcc_lo, s5
	s_waitcnt vmcnt(2) lgkmcnt(0)
	v_mul_f64 v[18:19], v[12:13], v[14:15]
	v_mul_f64 v[14:15], v[10:11], v[14:15]
	s_waitcnt vmcnt(0)
	v_fma_f64 v[10:11], v[10:11], v[16:17], -v[18:19]
	v_fma_f64 v[12:13], v[12:13], v[16:17], v[14:15]
	v_add_f64 v[3:4], v[3:4], v[10:11]
	v_add_f64 v[1:2], v[1:2], v[12:13]
	s_andn2_b32 exec_lo, exec_lo, s5
	s_cbranch_execnz .LBB61_85
; %bb.86:
	s_or_b32 exec_lo, exec_lo, s5
	v_mov_b32_e32 v7, 0
	ds_read_b128 v[7:10], v7 offset:240
	s_waitcnt lgkmcnt(0)
	v_mul_f64 v[11:12], v[1:2], v[9:10]
	v_mul_f64 v[9:10], v[3:4], v[9:10]
	v_fma_f64 v[3:4], v[3:4], v[7:8], -v[11:12]
	v_fma_f64 v[1:2], v[1:2], v[7:8], v[9:10]
	buffer_store_dword v4, off, s[0:3], 0 offset:260
	buffer_store_dword v3, off, s[0:3], 0 offset:256
	;; [unrolled: 1-line block ×4, first 2 shown]
.LBB61_87:
	s_or_b32 exec_lo, exec_lo, s4
	v_mov_b32_e32 v4, s61
	s_waitcnt_vscnt null, 0x0
	s_barrier
	buffer_gl0_inv
	s_mov_b32 s4, exec_lo
	s_clause 0x3
	buffer_load_dword v1, v4, s[0:3], 0 offen
	buffer_load_dword v2, v4, s[0:3], 0 offen offset:4
	buffer_load_dword v3, v4, s[0:3], 0 offen offset:8
	;; [unrolled: 1-line block ×3, first 2 shown]
	s_waitcnt vmcnt(0)
	ds_write_b128 v5, v[1:4]
	s_waitcnt lgkmcnt(0)
	s_barrier
	buffer_gl0_inv
	v_cmpx_gt_u32_e32 16, v0
	s_cbranch_execz .LBB61_91
; %bb.88:
	v_mov_b32_e32 v1, 0
	v_mov_b32_e32 v3, 0
	v_add_nc_u32_e32 v7, -1, v0
	v_add_nc_u32_e32 v8, 0x3e0, v235
	v_mov_b32_e32 v2, 0
	v_mov_b32_e32 v4, 0
	v_add_nc_u32_e32 v9, 16, v235
	s_mov_b32 s5, 0
	.p2align	6
.LBB61_89:                              ; =>This Inner Loop Header: Depth=1
	s_clause 0x3
	buffer_load_dword v14, v9, s[0:3], 0 offen offset:8
	buffer_load_dword v15, v9, s[0:3], 0 offen offset:12
	buffer_load_dword v16, v9, s[0:3], 0 offen
	buffer_load_dword v17, v9, s[0:3], 0 offen offset:4
	ds_read_b128 v[10:13], v8
	v_add_nc_u32_e32 v7, 1, v7
	v_add_nc_u32_e32 v8, 16, v8
	;; [unrolled: 1-line block ×3, first 2 shown]
	v_cmp_lt_u32_e32 vcc_lo, 14, v7
	s_or_b32 s5, vcc_lo, s5
	s_waitcnt vmcnt(2) lgkmcnt(0)
	v_mul_f64 v[18:19], v[12:13], v[14:15]
	v_mul_f64 v[14:15], v[10:11], v[14:15]
	s_waitcnt vmcnt(0)
	v_fma_f64 v[10:11], v[10:11], v[16:17], -v[18:19]
	v_fma_f64 v[12:13], v[12:13], v[16:17], v[14:15]
	v_add_f64 v[3:4], v[3:4], v[10:11]
	v_add_f64 v[1:2], v[1:2], v[12:13]
	s_andn2_b32 exec_lo, exec_lo, s5
	s_cbranch_execnz .LBB61_89
; %bb.90:
	s_or_b32 exec_lo, exec_lo, s5
	v_mov_b32_e32 v7, 0
	ds_read_b128 v[7:10], v7 offset:256
	s_waitcnt lgkmcnt(0)
	v_mul_f64 v[11:12], v[1:2], v[9:10]
	v_mul_f64 v[9:10], v[3:4], v[9:10]
	v_fma_f64 v[3:4], v[3:4], v[7:8], -v[11:12]
	v_fma_f64 v[1:2], v[1:2], v[7:8], v[9:10]
	buffer_store_dword v4, off, s[0:3], 0 offset:276
	buffer_store_dword v3, off, s[0:3], 0 offset:272
	;; [unrolled: 1-line block ×4, first 2 shown]
.LBB61_91:
	s_or_b32 exec_lo, exec_lo, s4
	v_mov_b32_e32 v4, s60
	s_waitcnt_vscnt null, 0x0
	s_barrier
	buffer_gl0_inv
	s_mov_b32 s4, exec_lo
	s_clause 0x3
	buffer_load_dword v1, v4, s[0:3], 0 offen
	buffer_load_dword v2, v4, s[0:3], 0 offen offset:4
	buffer_load_dword v3, v4, s[0:3], 0 offen offset:8
	;; [unrolled: 1-line block ×3, first 2 shown]
	s_waitcnt vmcnt(0)
	ds_write_b128 v5, v[1:4]
	s_waitcnt lgkmcnt(0)
	s_barrier
	buffer_gl0_inv
	v_cmpx_gt_u32_e32 17, v0
	s_cbranch_execz .LBB61_95
; %bb.92:
	v_mov_b32_e32 v1, 0
	v_mov_b32_e32 v3, 0
	v_add_nc_u32_e32 v7, -1, v0
	v_add_nc_u32_e32 v8, 0x3e0, v235
	v_mov_b32_e32 v2, 0
	v_mov_b32_e32 v4, 0
	v_add_nc_u32_e32 v9, 16, v235
	s_mov_b32 s5, 0
	.p2align	6
.LBB61_93:                              ; =>This Inner Loop Header: Depth=1
	s_clause 0x3
	buffer_load_dword v14, v9, s[0:3], 0 offen offset:8
	buffer_load_dword v15, v9, s[0:3], 0 offen offset:12
	buffer_load_dword v16, v9, s[0:3], 0 offen
	buffer_load_dword v17, v9, s[0:3], 0 offen offset:4
	ds_read_b128 v[10:13], v8
	v_add_nc_u32_e32 v7, 1, v7
	v_add_nc_u32_e32 v8, 16, v8
	;; [unrolled: 1-line block ×3, first 2 shown]
	v_cmp_lt_u32_e32 vcc_lo, 15, v7
	s_or_b32 s5, vcc_lo, s5
	s_waitcnt vmcnt(2) lgkmcnt(0)
	v_mul_f64 v[18:19], v[12:13], v[14:15]
	v_mul_f64 v[14:15], v[10:11], v[14:15]
	s_waitcnt vmcnt(0)
	v_fma_f64 v[10:11], v[10:11], v[16:17], -v[18:19]
	v_fma_f64 v[12:13], v[12:13], v[16:17], v[14:15]
	v_add_f64 v[3:4], v[3:4], v[10:11]
	v_add_f64 v[1:2], v[1:2], v[12:13]
	s_andn2_b32 exec_lo, exec_lo, s5
	s_cbranch_execnz .LBB61_93
; %bb.94:
	s_or_b32 exec_lo, exec_lo, s5
	v_mov_b32_e32 v7, 0
	ds_read_b128 v[7:10], v7 offset:272
	s_waitcnt lgkmcnt(0)
	v_mul_f64 v[11:12], v[1:2], v[9:10]
	v_mul_f64 v[9:10], v[3:4], v[9:10]
	v_fma_f64 v[3:4], v[3:4], v[7:8], -v[11:12]
	v_fma_f64 v[1:2], v[1:2], v[7:8], v[9:10]
	buffer_store_dword v4, off, s[0:3], 0 offset:292
	buffer_store_dword v3, off, s[0:3], 0 offset:288
	;; [unrolled: 1-line block ×4, first 2 shown]
.LBB61_95:
	s_or_b32 exec_lo, exec_lo, s4
	v_mov_b32_e32 v4, s58
	s_waitcnt_vscnt null, 0x0
	s_barrier
	buffer_gl0_inv
	s_mov_b32 s4, exec_lo
	s_clause 0x3
	buffer_load_dword v1, v4, s[0:3], 0 offen
	buffer_load_dword v2, v4, s[0:3], 0 offen offset:4
	buffer_load_dword v3, v4, s[0:3], 0 offen offset:8
	;; [unrolled: 1-line block ×3, first 2 shown]
	s_waitcnt vmcnt(0)
	ds_write_b128 v5, v[1:4]
	s_waitcnt lgkmcnt(0)
	s_barrier
	buffer_gl0_inv
	v_cmpx_gt_u32_e32 18, v0
	s_cbranch_execz .LBB61_99
; %bb.96:
	v_mov_b32_e32 v1, 0
	v_mov_b32_e32 v3, 0
	v_add_nc_u32_e32 v7, -1, v0
	v_add_nc_u32_e32 v8, 0x3e0, v235
	v_mov_b32_e32 v2, 0
	v_mov_b32_e32 v4, 0
	v_add_nc_u32_e32 v9, 16, v235
	s_mov_b32 s5, 0
	.p2align	6
.LBB61_97:                              ; =>This Inner Loop Header: Depth=1
	s_clause 0x3
	buffer_load_dword v14, v9, s[0:3], 0 offen offset:8
	buffer_load_dword v15, v9, s[0:3], 0 offen offset:12
	buffer_load_dword v16, v9, s[0:3], 0 offen
	buffer_load_dword v17, v9, s[0:3], 0 offen offset:4
	ds_read_b128 v[10:13], v8
	v_add_nc_u32_e32 v7, 1, v7
	v_add_nc_u32_e32 v8, 16, v8
	;; [unrolled: 1-line block ×3, first 2 shown]
	v_cmp_lt_u32_e32 vcc_lo, 16, v7
	s_or_b32 s5, vcc_lo, s5
	s_waitcnt vmcnt(2) lgkmcnt(0)
	v_mul_f64 v[18:19], v[12:13], v[14:15]
	v_mul_f64 v[14:15], v[10:11], v[14:15]
	s_waitcnt vmcnt(0)
	v_fma_f64 v[10:11], v[10:11], v[16:17], -v[18:19]
	v_fma_f64 v[12:13], v[12:13], v[16:17], v[14:15]
	v_add_f64 v[3:4], v[3:4], v[10:11]
	v_add_f64 v[1:2], v[1:2], v[12:13]
	s_andn2_b32 exec_lo, exec_lo, s5
	s_cbranch_execnz .LBB61_97
; %bb.98:
	s_or_b32 exec_lo, exec_lo, s5
	v_mov_b32_e32 v7, 0
	ds_read_b128 v[7:10], v7 offset:288
	s_waitcnt lgkmcnt(0)
	v_mul_f64 v[11:12], v[1:2], v[9:10]
	v_mul_f64 v[9:10], v[3:4], v[9:10]
	v_fma_f64 v[3:4], v[3:4], v[7:8], -v[11:12]
	v_fma_f64 v[1:2], v[1:2], v[7:8], v[9:10]
	buffer_store_dword v4, off, s[0:3], 0 offset:308
	buffer_store_dword v3, off, s[0:3], 0 offset:304
	;; [unrolled: 1-line block ×4, first 2 shown]
.LBB61_99:
	s_or_b32 exec_lo, exec_lo, s4
	v_mov_b32_e32 v4, s57
	s_waitcnt_vscnt null, 0x0
	s_barrier
	buffer_gl0_inv
	s_mov_b32 s4, exec_lo
	s_clause 0x3
	buffer_load_dword v1, v4, s[0:3], 0 offen
	buffer_load_dword v2, v4, s[0:3], 0 offen offset:4
	buffer_load_dword v3, v4, s[0:3], 0 offen offset:8
	;; [unrolled: 1-line block ×3, first 2 shown]
	s_waitcnt vmcnt(0)
	ds_write_b128 v5, v[1:4]
	s_waitcnt lgkmcnt(0)
	s_barrier
	buffer_gl0_inv
	v_cmpx_gt_u32_e32 19, v0
	s_cbranch_execz .LBB61_103
; %bb.100:
	v_mov_b32_e32 v1, 0
	v_mov_b32_e32 v3, 0
	v_add_nc_u32_e32 v7, -1, v0
	v_add_nc_u32_e32 v8, 0x3e0, v235
	v_mov_b32_e32 v2, 0
	v_mov_b32_e32 v4, 0
	v_add_nc_u32_e32 v9, 16, v235
	s_mov_b32 s5, 0
	.p2align	6
.LBB61_101:                             ; =>This Inner Loop Header: Depth=1
	s_clause 0x3
	buffer_load_dword v14, v9, s[0:3], 0 offen offset:8
	buffer_load_dword v15, v9, s[0:3], 0 offen offset:12
	buffer_load_dword v16, v9, s[0:3], 0 offen
	buffer_load_dword v17, v9, s[0:3], 0 offen offset:4
	ds_read_b128 v[10:13], v8
	v_add_nc_u32_e32 v7, 1, v7
	v_add_nc_u32_e32 v8, 16, v8
	;; [unrolled: 1-line block ×3, first 2 shown]
	v_cmp_lt_u32_e32 vcc_lo, 17, v7
	s_or_b32 s5, vcc_lo, s5
	s_waitcnt vmcnt(2) lgkmcnt(0)
	v_mul_f64 v[18:19], v[12:13], v[14:15]
	v_mul_f64 v[14:15], v[10:11], v[14:15]
	s_waitcnt vmcnt(0)
	v_fma_f64 v[10:11], v[10:11], v[16:17], -v[18:19]
	v_fma_f64 v[12:13], v[12:13], v[16:17], v[14:15]
	v_add_f64 v[3:4], v[3:4], v[10:11]
	v_add_f64 v[1:2], v[1:2], v[12:13]
	s_andn2_b32 exec_lo, exec_lo, s5
	s_cbranch_execnz .LBB61_101
; %bb.102:
	s_or_b32 exec_lo, exec_lo, s5
	v_mov_b32_e32 v7, 0
	ds_read_b128 v[7:10], v7 offset:304
	s_waitcnt lgkmcnt(0)
	v_mul_f64 v[11:12], v[1:2], v[9:10]
	v_mul_f64 v[9:10], v[3:4], v[9:10]
	v_fma_f64 v[3:4], v[3:4], v[7:8], -v[11:12]
	v_fma_f64 v[1:2], v[1:2], v[7:8], v[9:10]
	buffer_store_dword v4, off, s[0:3], 0 offset:324
	buffer_store_dword v3, off, s[0:3], 0 offset:320
	;; [unrolled: 1-line block ×4, first 2 shown]
.LBB61_103:
	s_or_b32 exec_lo, exec_lo, s4
	v_mov_b32_e32 v4, s56
	s_waitcnt_vscnt null, 0x0
	s_barrier
	buffer_gl0_inv
	s_mov_b32 s4, exec_lo
	s_clause 0x3
	buffer_load_dword v1, v4, s[0:3], 0 offen
	buffer_load_dword v2, v4, s[0:3], 0 offen offset:4
	buffer_load_dword v3, v4, s[0:3], 0 offen offset:8
	;; [unrolled: 1-line block ×3, first 2 shown]
	s_waitcnt vmcnt(0)
	ds_write_b128 v5, v[1:4]
	s_waitcnt lgkmcnt(0)
	s_barrier
	buffer_gl0_inv
	v_cmpx_gt_u32_e32 20, v0
	s_cbranch_execz .LBB61_107
; %bb.104:
	v_mov_b32_e32 v1, 0
	v_mov_b32_e32 v3, 0
	v_add_nc_u32_e32 v7, -1, v0
	v_add_nc_u32_e32 v8, 0x3e0, v235
	v_mov_b32_e32 v2, 0
	v_mov_b32_e32 v4, 0
	v_add_nc_u32_e32 v9, 16, v235
	s_mov_b32 s5, 0
	.p2align	6
.LBB61_105:                             ; =>This Inner Loop Header: Depth=1
	s_clause 0x3
	buffer_load_dword v14, v9, s[0:3], 0 offen offset:8
	buffer_load_dword v15, v9, s[0:3], 0 offen offset:12
	buffer_load_dword v16, v9, s[0:3], 0 offen
	buffer_load_dword v17, v9, s[0:3], 0 offen offset:4
	ds_read_b128 v[10:13], v8
	v_add_nc_u32_e32 v7, 1, v7
	v_add_nc_u32_e32 v8, 16, v8
	;; [unrolled: 1-line block ×3, first 2 shown]
	v_cmp_lt_u32_e32 vcc_lo, 18, v7
	s_or_b32 s5, vcc_lo, s5
	s_waitcnt vmcnt(2) lgkmcnt(0)
	v_mul_f64 v[18:19], v[12:13], v[14:15]
	v_mul_f64 v[14:15], v[10:11], v[14:15]
	s_waitcnt vmcnt(0)
	v_fma_f64 v[10:11], v[10:11], v[16:17], -v[18:19]
	v_fma_f64 v[12:13], v[12:13], v[16:17], v[14:15]
	v_add_f64 v[3:4], v[3:4], v[10:11]
	v_add_f64 v[1:2], v[1:2], v[12:13]
	s_andn2_b32 exec_lo, exec_lo, s5
	s_cbranch_execnz .LBB61_105
; %bb.106:
	s_or_b32 exec_lo, exec_lo, s5
	v_mov_b32_e32 v7, 0
	ds_read_b128 v[7:10], v7 offset:320
	s_waitcnt lgkmcnt(0)
	v_mul_f64 v[11:12], v[1:2], v[9:10]
	v_mul_f64 v[9:10], v[3:4], v[9:10]
	v_fma_f64 v[3:4], v[3:4], v[7:8], -v[11:12]
	v_fma_f64 v[1:2], v[1:2], v[7:8], v[9:10]
	buffer_store_dword v4, off, s[0:3], 0 offset:340
	buffer_store_dword v3, off, s[0:3], 0 offset:336
	buffer_store_dword v2, off, s[0:3], 0 offset:348
	buffer_store_dword v1, off, s[0:3], 0 offset:344
.LBB61_107:
	s_or_b32 exec_lo, exec_lo, s4
	v_mov_b32_e32 v4, s55
	s_waitcnt_vscnt null, 0x0
	s_barrier
	buffer_gl0_inv
	s_mov_b32 s4, exec_lo
	s_clause 0x3
	buffer_load_dword v1, v4, s[0:3], 0 offen
	buffer_load_dword v2, v4, s[0:3], 0 offen offset:4
	buffer_load_dword v3, v4, s[0:3], 0 offen offset:8
	;; [unrolled: 1-line block ×3, first 2 shown]
	s_waitcnt vmcnt(0)
	ds_write_b128 v5, v[1:4]
	s_waitcnt lgkmcnt(0)
	s_barrier
	buffer_gl0_inv
	v_cmpx_gt_u32_e32 21, v0
	s_cbranch_execz .LBB61_111
; %bb.108:
	v_mov_b32_e32 v1, 0
	v_mov_b32_e32 v3, 0
	v_add_nc_u32_e32 v7, -1, v0
	v_add_nc_u32_e32 v8, 0x3e0, v235
	v_mov_b32_e32 v2, 0
	v_mov_b32_e32 v4, 0
	v_add_nc_u32_e32 v9, 16, v235
	s_mov_b32 s5, 0
	.p2align	6
.LBB61_109:                             ; =>This Inner Loop Header: Depth=1
	s_clause 0x3
	buffer_load_dword v14, v9, s[0:3], 0 offen offset:8
	buffer_load_dword v15, v9, s[0:3], 0 offen offset:12
	buffer_load_dword v16, v9, s[0:3], 0 offen
	buffer_load_dword v17, v9, s[0:3], 0 offen offset:4
	ds_read_b128 v[10:13], v8
	v_add_nc_u32_e32 v7, 1, v7
	v_add_nc_u32_e32 v8, 16, v8
	;; [unrolled: 1-line block ×3, first 2 shown]
	v_cmp_lt_u32_e32 vcc_lo, 19, v7
	s_or_b32 s5, vcc_lo, s5
	s_waitcnt vmcnt(2) lgkmcnt(0)
	v_mul_f64 v[18:19], v[12:13], v[14:15]
	v_mul_f64 v[14:15], v[10:11], v[14:15]
	s_waitcnt vmcnt(0)
	v_fma_f64 v[10:11], v[10:11], v[16:17], -v[18:19]
	v_fma_f64 v[12:13], v[12:13], v[16:17], v[14:15]
	v_add_f64 v[3:4], v[3:4], v[10:11]
	v_add_f64 v[1:2], v[1:2], v[12:13]
	s_andn2_b32 exec_lo, exec_lo, s5
	s_cbranch_execnz .LBB61_109
; %bb.110:
	s_or_b32 exec_lo, exec_lo, s5
	v_mov_b32_e32 v7, 0
	ds_read_b128 v[7:10], v7 offset:336
	s_waitcnt lgkmcnt(0)
	v_mul_f64 v[11:12], v[1:2], v[9:10]
	v_mul_f64 v[9:10], v[3:4], v[9:10]
	v_fma_f64 v[3:4], v[3:4], v[7:8], -v[11:12]
	v_fma_f64 v[1:2], v[1:2], v[7:8], v[9:10]
	buffer_store_dword v4, off, s[0:3], 0 offset:356
	buffer_store_dword v3, off, s[0:3], 0 offset:352
	;; [unrolled: 1-line block ×4, first 2 shown]
.LBB61_111:
	s_or_b32 exec_lo, exec_lo, s4
	v_mov_b32_e32 v4, s54
	s_waitcnt_vscnt null, 0x0
	s_barrier
	buffer_gl0_inv
	s_mov_b32 s4, exec_lo
	s_clause 0x3
	buffer_load_dword v1, v4, s[0:3], 0 offen
	buffer_load_dword v2, v4, s[0:3], 0 offen offset:4
	buffer_load_dword v3, v4, s[0:3], 0 offen offset:8
	;; [unrolled: 1-line block ×3, first 2 shown]
	s_waitcnt vmcnt(0)
	ds_write_b128 v5, v[1:4]
	s_waitcnt lgkmcnt(0)
	s_barrier
	buffer_gl0_inv
	v_cmpx_gt_u32_e32 22, v0
	s_cbranch_execz .LBB61_115
; %bb.112:
	v_mov_b32_e32 v1, 0
	v_mov_b32_e32 v3, 0
	v_add_nc_u32_e32 v7, -1, v0
	v_add_nc_u32_e32 v8, 0x3e0, v235
	v_mov_b32_e32 v2, 0
	v_mov_b32_e32 v4, 0
	v_add_nc_u32_e32 v9, 16, v235
	s_mov_b32 s5, 0
	.p2align	6
.LBB61_113:                             ; =>This Inner Loop Header: Depth=1
	s_clause 0x3
	buffer_load_dword v14, v9, s[0:3], 0 offen offset:8
	buffer_load_dword v15, v9, s[0:3], 0 offen offset:12
	buffer_load_dword v16, v9, s[0:3], 0 offen
	buffer_load_dword v17, v9, s[0:3], 0 offen offset:4
	ds_read_b128 v[10:13], v8
	v_add_nc_u32_e32 v7, 1, v7
	v_add_nc_u32_e32 v8, 16, v8
	;; [unrolled: 1-line block ×3, first 2 shown]
	v_cmp_lt_u32_e32 vcc_lo, 20, v7
	s_or_b32 s5, vcc_lo, s5
	s_waitcnt vmcnt(2) lgkmcnt(0)
	v_mul_f64 v[18:19], v[12:13], v[14:15]
	v_mul_f64 v[14:15], v[10:11], v[14:15]
	s_waitcnt vmcnt(0)
	v_fma_f64 v[10:11], v[10:11], v[16:17], -v[18:19]
	v_fma_f64 v[12:13], v[12:13], v[16:17], v[14:15]
	v_add_f64 v[3:4], v[3:4], v[10:11]
	v_add_f64 v[1:2], v[1:2], v[12:13]
	s_andn2_b32 exec_lo, exec_lo, s5
	s_cbranch_execnz .LBB61_113
; %bb.114:
	s_or_b32 exec_lo, exec_lo, s5
	v_mov_b32_e32 v7, 0
	ds_read_b128 v[7:10], v7 offset:352
	s_waitcnt lgkmcnt(0)
	v_mul_f64 v[11:12], v[1:2], v[9:10]
	v_mul_f64 v[9:10], v[3:4], v[9:10]
	v_fma_f64 v[3:4], v[3:4], v[7:8], -v[11:12]
	v_fma_f64 v[1:2], v[1:2], v[7:8], v[9:10]
	buffer_store_dword v4, off, s[0:3], 0 offset:372
	buffer_store_dword v3, off, s[0:3], 0 offset:368
	;; [unrolled: 1-line block ×4, first 2 shown]
.LBB61_115:
	s_or_b32 exec_lo, exec_lo, s4
	v_mov_b32_e32 v4, s53
	s_waitcnt_vscnt null, 0x0
	s_barrier
	buffer_gl0_inv
	s_mov_b32 s4, exec_lo
	s_clause 0x3
	buffer_load_dword v1, v4, s[0:3], 0 offen
	buffer_load_dword v2, v4, s[0:3], 0 offen offset:4
	buffer_load_dword v3, v4, s[0:3], 0 offen offset:8
	;; [unrolled: 1-line block ×3, first 2 shown]
	s_waitcnt vmcnt(0)
	ds_write_b128 v5, v[1:4]
	s_waitcnt lgkmcnt(0)
	s_barrier
	buffer_gl0_inv
	v_cmpx_gt_u32_e32 23, v0
	s_cbranch_execz .LBB61_119
; %bb.116:
	v_mov_b32_e32 v1, 0
	v_mov_b32_e32 v3, 0
	v_add_nc_u32_e32 v7, -1, v0
	v_add_nc_u32_e32 v8, 0x3e0, v235
	v_mov_b32_e32 v2, 0
	v_mov_b32_e32 v4, 0
	v_add_nc_u32_e32 v9, 16, v235
	s_mov_b32 s5, 0
	.p2align	6
.LBB61_117:                             ; =>This Inner Loop Header: Depth=1
	s_clause 0x3
	buffer_load_dword v14, v9, s[0:3], 0 offen offset:8
	buffer_load_dword v15, v9, s[0:3], 0 offen offset:12
	buffer_load_dword v16, v9, s[0:3], 0 offen
	buffer_load_dword v17, v9, s[0:3], 0 offen offset:4
	ds_read_b128 v[10:13], v8
	v_add_nc_u32_e32 v7, 1, v7
	v_add_nc_u32_e32 v8, 16, v8
	v_add_nc_u32_e32 v9, 16, v9
	v_cmp_lt_u32_e32 vcc_lo, 21, v7
	s_or_b32 s5, vcc_lo, s5
	s_waitcnt vmcnt(2) lgkmcnt(0)
	v_mul_f64 v[18:19], v[12:13], v[14:15]
	v_mul_f64 v[14:15], v[10:11], v[14:15]
	s_waitcnt vmcnt(0)
	v_fma_f64 v[10:11], v[10:11], v[16:17], -v[18:19]
	v_fma_f64 v[12:13], v[12:13], v[16:17], v[14:15]
	v_add_f64 v[3:4], v[3:4], v[10:11]
	v_add_f64 v[1:2], v[1:2], v[12:13]
	s_andn2_b32 exec_lo, exec_lo, s5
	s_cbranch_execnz .LBB61_117
; %bb.118:
	s_or_b32 exec_lo, exec_lo, s5
	v_mov_b32_e32 v7, 0
	ds_read_b128 v[7:10], v7 offset:368
	s_waitcnt lgkmcnt(0)
	v_mul_f64 v[11:12], v[1:2], v[9:10]
	v_mul_f64 v[9:10], v[3:4], v[9:10]
	v_fma_f64 v[3:4], v[3:4], v[7:8], -v[11:12]
	v_fma_f64 v[1:2], v[1:2], v[7:8], v[9:10]
	buffer_store_dword v4, off, s[0:3], 0 offset:388
	buffer_store_dword v3, off, s[0:3], 0 offset:384
	;; [unrolled: 1-line block ×4, first 2 shown]
.LBB61_119:
	s_or_b32 exec_lo, exec_lo, s4
	v_mov_b32_e32 v4, s52
	s_waitcnt_vscnt null, 0x0
	s_barrier
	buffer_gl0_inv
	s_mov_b32 s4, exec_lo
	s_clause 0x3
	buffer_load_dword v1, v4, s[0:3], 0 offen
	buffer_load_dword v2, v4, s[0:3], 0 offen offset:4
	buffer_load_dword v3, v4, s[0:3], 0 offen offset:8
	;; [unrolled: 1-line block ×3, first 2 shown]
	s_waitcnt vmcnt(0)
	ds_write_b128 v5, v[1:4]
	s_waitcnt lgkmcnt(0)
	s_barrier
	buffer_gl0_inv
	v_cmpx_gt_u32_e32 24, v0
	s_cbranch_execz .LBB61_123
; %bb.120:
	v_mov_b32_e32 v1, 0
	v_mov_b32_e32 v3, 0
	v_add_nc_u32_e32 v7, -1, v0
	v_add_nc_u32_e32 v8, 0x3e0, v235
	v_mov_b32_e32 v2, 0
	v_mov_b32_e32 v4, 0
	v_add_nc_u32_e32 v9, 16, v235
	s_mov_b32 s5, 0
	.p2align	6
.LBB61_121:                             ; =>This Inner Loop Header: Depth=1
	s_clause 0x3
	buffer_load_dword v14, v9, s[0:3], 0 offen offset:8
	buffer_load_dword v15, v9, s[0:3], 0 offen offset:12
	buffer_load_dword v16, v9, s[0:3], 0 offen
	buffer_load_dword v17, v9, s[0:3], 0 offen offset:4
	ds_read_b128 v[10:13], v8
	v_add_nc_u32_e32 v7, 1, v7
	v_add_nc_u32_e32 v8, 16, v8
	;; [unrolled: 1-line block ×3, first 2 shown]
	v_cmp_lt_u32_e32 vcc_lo, 22, v7
	s_or_b32 s5, vcc_lo, s5
	s_waitcnt vmcnt(2) lgkmcnt(0)
	v_mul_f64 v[18:19], v[12:13], v[14:15]
	v_mul_f64 v[14:15], v[10:11], v[14:15]
	s_waitcnt vmcnt(0)
	v_fma_f64 v[10:11], v[10:11], v[16:17], -v[18:19]
	v_fma_f64 v[12:13], v[12:13], v[16:17], v[14:15]
	v_add_f64 v[3:4], v[3:4], v[10:11]
	v_add_f64 v[1:2], v[1:2], v[12:13]
	s_andn2_b32 exec_lo, exec_lo, s5
	s_cbranch_execnz .LBB61_121
; %bb.122:
	s_or_b32 exec_lo, exec_lo, s5
	v_mov_b32_e32 v7, 0
	ds_read_b128 v[7:10], v7 offset:384
	s_waitcnt lgkmcnt(0)
	v_mul_f64 v[11:12], v[1:2], v[9:10]
	v_mul_f64 v[9:10], v[3:4], v[9:10]
	v_fma_f64 v[3:4], v[3:4], v[7:8], -v[11:12]
	v_fma_f64 v[1:2], v[1:2], v[7:8], v[9:10]
	buffer_store_dword v4, off, s[0:3], 0 offset:404
	buffer_store_dword v3, off, s[0:3], 0 offset:400
	;; [unrolled: 1-line block ×4, first 2 shown]
.LBB61_123:
	s_or_b32 exec_lo, exec_lo, s4
	v_mov_b32_e32 v4, s51
	s_waitcnt_vscnt null, 0x0
	s_barrier
	buffer_gl0_inv
	s_mov_b32 s4, exec_lo
	s_clause 0x3
	buffer_load_dword v1, v4, s[0:3], 0 offen
	buffer_load_dword v2, v4, s[0:3], 0 offen offset:4
	buffer_load_dword v3, v4, s[0:3], 0 offen offset:8
	;; [unrolled: 1-line block ×3, first 2 shown]
	s_waitcnt vmcnt(0)
	ds_write_b128 v5, v[1:4]
	s_waitcnt lgkmcnt(0)
	s_barrier
	buffer_gl0_inv
	v_cmpx_gt_u32_e32 25, v0
	s_cbranch_execz .LBB61_127
; %bb.124:
	v_mov_b32_e32 v1, 0
	v_mov_b32_e32 v3, 0
	v_add_nc_u32_e32 v7, -1, v0
	v_add_nc_u32_e32 v8, 0x3e0, v235
	v_mov_b32_e32 v2, 0
	v_mov_b32_e32 v4, 0
	v_add_nc_u32_e32 v9, 16, v235
	s_mov_b32 s5, 0
	.p2align	6
.LBB61_125:                             ; =>This Inner Loop Header: Depth=1
	s_clause 0x3
	buffer_load_dword v14, v9, s[0:3], 0 offen offset:8
	buffer_load_dword v15, v9, s[0:3], 0 offen offset:12
	buffer_load_dword v16, v9, s[0:3], 0 offen
	buffer_load_dword v17, v9, s[0:3], 0 offen offset:4
	ds_read_b128 v[10:13], v8
	v_add_nc_u32_e32 v7, 1, v7
	v_add_nc_u32_e32 v8, 16, v8
	v_add_nc_u32_e32 v9, 16, v9
	v_cmp_lt_u32_e32 vcc_lo, 23, v7
	s_or_b32 s5, vcc_lo, s5
	s_waitcnt vmcnt(2) lgkmcnt(0)
	v_mul_f64 v[18:19], v[12:13], v[14:15]
	v_mul_f64 v[14:15], v[10:11], v[14:15]
	s_waitcnt vmcnt(0)
	v_fma_f64 v[10:11], v[10:11], v[16:17], -v[18:19]
	v_fma_f64 v[12:13], v[12:13], v[16:17], v[14:15]
	v_add_f64 v[3:4], v[3:4], v[10:11]
	v_add_f64 v[1:2], v[1:2], v[12:13]
	s_andn2_b32 exec_lo, exec_lo, s5
	s_cbranch_execnz .LBB61_125
; %bb.126:
	s_or_b32 exec_lo, exec_lo, s5
	v_mov_b32_e32 v7, 0
	ds_read_b128 v[7:10], v7 offset:400
	s_waitcnt lgkmcnt(0)
	v_mul_f64 v[11:12], v[1:2], v[9:10]
	v_mul_f64 v[9:10], v[3:4], v[9:10]
	v_fma_f64 v[3:4], v[3:4], v[7:8], -v[11:12]
	v_fma_f64 v[1:2], v[1:2], v[7:8], v[9:10]
	buffer_store_dword v4, off, s[0:3], 0 offset:420
	buffer_store_dword v3, off, s[0:3], 0 offset:416
	;; [unrolled: 1-line block ×4, first 2 shown]
.LBB61_127:
	s_or_b32 exec_lo, exec_lo, s4
	v_mov_b32_e32 v4, s50
	s_waitcnt_vscnt null, 0x0
	s_barrier
	buffer_gl0_inv
	s_mov_b32 s4, exec_lo
	s_clause 0x3
	buffer_load_dword v1, v4, s[0:3], 0 offen
	buffer_load_dword v2, v4, s[0:3], 0 offen offset:4
	buffer_load_dword v3, v4, s[0:3], 0 offen offset:8
	;; [unrolled: 1-line block ×3, first 2 shown]
	s_waitcnt vmcnt(0)
	ds_write_b128 v5, v[1:4]
	s_waitcnt lgkmcnt(0)
	s_barrier
	buffer_gl0_inv
	v_cmpx_gt_u32_e32 26, v0
	s_cbranch_execz .LBB61_131
; %bb.128:
	v_mov_b32_e32 v1, 0
	v_mov_b32_e32 v3, 0
	v_add_nc_u32_e32 v7, -1, v0
	v_add_nc_u32_e32 v8, 0x3e0, v235
	v_mov_b32_e32 v2, 0
	v_mov_b32_e32 v4, 0
	v_add_nc_u32_e32 v9, 16, v235
	s_mov_b32 s5, 0
	.p2align	6
.LBB61_129:                             ; =>This Inner Loop Header: Depth=1
	s_clause 0x3
	buffer_load_dword v14, v9, s[0:3], 0 offen offset:8
	buffer_load_dword v15, v9, s[0:3], 0 offen offset:12
	buffer_load_dword v16, v9, s[0:3], 0 offen
	buffer_load_dword v17, v9, s[0:3], 0 offen offset:4
	ds_read_b128 v[10:13], v8
	v_add_nc_u32_e32 v7, 1, v7
	v_add_nc_u32_e32 v8, 16, v8
	;; [unrolled: 1-line block ×3, first 2 shown]
	v_cmp_lt_u32_e32 vcc_lo, 24, v7
	s_or_b32 s5, vcc_lo, s5
	s_waitcnt vmcnt(2) lgkmcnt(0)
	v_mul_f64 v[18:19], v[12:13], v[14:15]
	v_mul_f64 v[14:15], v[10:11], v[14:15]
	s_waitcnt vmcnt(0)
	v_fma_f64 v[10:11], v[10:11], v[16:17], -v[18:19]
	v_fma_f64 v[12:13], v[12:13], v[16:17], v[14:15]
	v_add_f64 v[3:4], v[3:4], v[10:11]
	v_add_f64 v[1:2], v[1:2], v[12:13]
	s_andn2_b32 exec_lo, exec_lo, s5
	s_cbranch_execnz .LBB61_129
; %bb.130:
	s_or_b32 exec_lo, exec_lo, s5
	v_mov_b32_e32 v7, 0
	ds_read_b128 v[7:10], v7 offset:416
	s_waitcnt lgkmcnt(0)
	v_mul_f64 v[11:12], v[1:2], v[9:10]
	v_mul_f64 v[9:10], v[3:4], v[9:10]
	v_fma_f64 v[3:4], v[3:4], v[7:8], -v[11:12]
	v_fma_f64 v[1:2], v[1:2], v[7:8], v[9:10]
	buffer_store_dword v4, off, s[0:3], 0 offset:436
	buffer_store_dword v3, off, s[0:3], 0 offset:432
	;; [unrolled: 1-line block ×4, first 2 shown]
.LBB61_131:
	s_or_b32 exec_lo, exec_lo, s4
	v_mov_b32_e32 v4, s49
	s_waitcnt_vscnt null, 0x0
	s_barrier
	buffer_gl0_inv
	s_mov_b32 s4, exec_lo
	s_clause 0x3
	buffer_load_dword v1, v4, s[0:3], 0 offen
	buffer_load_dword v2, v4, s[0:3], 0 offen offset:4
	buffer_load_dword v3, v4, s[0:3], 0 offen offset:8
	;; [unrolled: 1-line block ×3, first 2 shown]
	s_waitcnt vmcnt(0)
	ds_write_b128 v5, v[1:4]
	s_waitcnt lgkmcnt(0)
	s_barrier
	buffer_gl0_inv
	v_cmpx_gt_u32_e32 27, v0
	s_cbranch_execz .LBB61_135
; %bb.132:
	v_mov_b32_e32 v1, 0
	v_mov_b32_e32 v3, 0
	v_add_nc_u32_e32 v7, -1, v0
	v_add_nc_u32_e32 v8, 0x3e0, v235
	v_mov_b32_e32 v2, 0
	v_mov_b32_e32 v4, 0
	v_add_nc_u32_e32 v9, 16, v235
	s_mov_b32 s5, 0
	.p2align	6
.LBB61_133:                             ; =>This Inner Loop Header: Depth=1
	s_clause 0x3
	buffer_load_dword v14, v9, s[0:3], 0 offen offset:8
	buffer_load_dword v15, v9, s[0:3], 0 offen offset:12
	buffer_load_dword v16, v9, s[0:3], 0 offen
	buffer_load_dword v17, v9, s[0:3], 0 offen offset:4
	ds_read_b128 v[10:13], v8
	v_add_nc_u32_e32 v7, 1, v7
	v_add_nc_u32_e32 v8, 16, v8
	v_add_nc_u32_e32 v9, 16, v9
	v_cmp_lt_u32_e32 vcc_lo, 25, v7
	s_or_b32 s5, vcc_lo, s5
	s_waitcnt vmcnt(2) lgkmcnt(0)
	v_mul_f64 v[18:19], v[12:13], v[14:15]
	v_mul_f64 v[14:15], v[10:11], v[14:15]
	s_waitcnt vmcnt(0)
	v_fma_f64 v[10:11], v[10:11], v[16:17], -v[18:19]
	v_fma_f64 v[12:13], v[12:13], v[16:17], v[14:15]
	v_add_f64 v[3:4], v[3:4], v[10:11]
	v_add_f64 v[1:2], v[1:2], v[12:13]
	s_andn2_b32 exec_lo, exec_lo, s5
	s_cbranch_execnz .LBB61_133
; %bb.134:
	s_or_b32 exec_lo, exec_lo, s5
	v_mov_b32_e32 v7, 0
	ds_read_b128 v[7:10], v7 offset:432
	s_waitcnt lgkmcnt(0)
	v_mul_f64 v[11:12], v[1:2], v[9:10]
	v_mul_f64 v[9:10], v[3:4], v[9:10]
	v_fma_f64 v[3:4], v[3:4], v[7:8], -v[11:12]
	v_fma_f64 v[1:2], v[1:2], v[7:8], v[9:10]
	buffer_store_dword v4, off, s[0:3], 0 offset:452
	buffer_store_dword v3, off, s[0:3], 0 offset:448
	buffer_store_dword v2, off, s[0:3], 0 offset:460
	buffer_store_dword v1, off, s[0:3], 0 offset:456
.LBB61_135:
	s_or_b32 exec_lo, exec_lo, s4
	v_mov_b32_e32 v4, s48
	s_waitcnt_vscnt null, 0x0
	s_barrier
	buffer_gl0_inv
	s_mov_b32 s4, exec_lo
	s_clause 0x3
	buffer_load_dword v1, v4, s[0:3], 0 offen
	buffer_load_dword v2, v4, s[0:3], 0 offen offset:4
	buffer_load_dword v3, v4, s[0:3], 0 offen offset:8
	;; [unrolled: 1-line block ×3, first 2 shown]
	s_waitcnt vmcnt(0)
	ds_write_b128 v5, v[1:4]
	s_waitcnt lgkmcnt(0)
	s_barrier
	buffer_gl0_inv
	v_cmpx_gt_u32_e32 28, v0
	s_cbranch_execz .LBB61_139
; %bb.136:
	v_mov_b32_e32 v1, 0
	v_mov_b32_e32 v3, 0
	v_add_nc_u32_e32 v7, -1, v0
	v_add_nc_u32_e32 v8, 0x3e0, v235
	v_mov_b32_e32 v2, 0
	v_mov_b32_e32 v4, 0
	v_add_nc_u32_e32 v9, 16, v235
	s_mov_b32 s5, 0
	.p2align	6
.LBB61_137:                             ; =>This Inner Loop Header: Depth=1
	s_clause 0x3
	buffer_load_dword v14, v9, s[0:3], 0 offen offset:8
	buffer_load_dword v15, v9, s[0:3], 0 offen offset:12
	buffer_load_dword v16, v9, s[0:3], 0 offen
	buffer_load_dword v17, v9, s[0:3], 0 offen offset:4
	ds_read_b128 v[10:13], v8
	v_add_nc_u32_e32 v7, 1, v7
	v_add_nc_u32_e32 v8, 16, v8
	;; [unrolled: 1-line block ×3, first 2 shown]
	v_cmp_lt_u32_e32 vcc_lo, 26, v7
	s_or_b32 s5, vcc_lo, s5
	s_waitcnt vmcnt(2) lgkmcnt(0)
	v_mul_f64 v[18:19], v[12:13], v[14:15]
	v_mul_f64 v[14:15], v[10:11], v[14:15]
	s_waitcnt vmcnt(0)
	v_fma_f64 v[10:11], v[10:11], v[16:17], -v[18:19]
	v_fma_f64 v[12:13], v[12:13], v[16:17], v[14:15]
	v_add_f64 v[3:4], v[3:4], v[10:11]
	v_add_f64 v[1:2], v[1:2], v[12:13]
	s_andn2_b32 exec_lo, exec_lo, s5
	s_cbranch_execnz .LBB61_137
; %bb.138:
	s_or_b32 exec_lo, exec_lo, s5
	v_mov_b32_e32 v7, 0
	ds_read_b128 v[7:10], v7 offset:448
	s_waitcnt lgkmcnt(0)
	v_mul_f64 v[11:12], v[1:2], v[9:10]
	v_mul_f64 v[9:10], v[3:4], v[9:10]
	v_fma_f64 v[3:4], v[3:4], v[7:8], -v[11:12]
	v_fma_f64 v[1:2], v[1:2], v[7:8], v[9:10]
	buffer_store_dword v4, off, s[0:3], 0 offset:468
	buffer_store_dword v3, off, s[0:3], 0 offset:464
	;; [unrolled: 1-line block ×4, first 2 shown]
.LBB61_139:
	s_or_b32 exec_lo, exec_lo, s4
	v_mov_b32_e32 v4, s47
	s_waitcnt_vscnt null, 0x0
	s_barrier
	buffer_gl0_inv
	s_mov_b32 s4, exec_lo
	s_clause 0x3
	buffer_load_dword v1, v4, s[0:3], 0 offen
	buffer_load_dword v2, v4, s[0:3], 0 offen offset:4
	buffer_load_dword v3, v4, s[0:3], 0 offen offset:8
	;; [unrolled: 1-line block ×3, first 2 shown]
	s_waitcnt vmcnt(0)
	ds_write_b128 v5, v[1:4]
	s_waitcnt lgkmcnt(0)
	s_barrier
	buffer_gl0_inv
	v_cmpx_gt_u32_e32 29, v0
	s_cbranch_execz .LBB61_143
; %bb.140:
	v_mov_b32_e32 v1, 0
	v_mov_b32_e32 v3, 0
	v_add_nc_u32_e32 v7, -1, v0
	v_add_nc_u32_e32 v8, 0x3e0, v235
	v_mov_b32_e32 v2, 0
	v_mov_b32_e32 v4, 0
	v_add_nc_u32_e32 v9, 16, v235
	s_mov_b32 s5, 0
	.p2align	6
.LBB61_141:                             ; =>This Inner Loop Header: Depth=1
	s_clause 0x3
	buffer_load_dword v14, v9, s[0:3], 0 offen offset:8
	buffer_load_dword v15, v9, s[0:3], 0 offen offset:12
	buffer_load_dword v16, v9, s[0:3], 0 offen
	buffer_load_dword v17, v9, s[0:3], 0 offen offset:4
	ds_read_b128 v[10:13], v8
	v_add_nc_u32_e32 v7, 1, v7
	v_add_nc_u32_e32 v8, 16, v8
	;; [unrolled: 1-line block ×3, first 2 shown]
	v_cmp_lt_u32_e32 vcc_lo, 27, v7
	s_or_b32 s5, vcc_lo, s5
	s_waitcnt vmcnt(2) lgkmcnt(0)
	v_mul_f64 v[18:19], v[12:13], v[14:15]
	v_mul_f64 v[14:15], v[10:11], v[14:15]
	s_waitcnt vmcnt(0)
	v_fma_f64 v[10:11], v[10:11], v[16:17], -v[18:19]
	v_fma_f64 v[12:13], v[12:13], v[16:17], v[14:15]
	v_add_f64 v[3:4], v[3:4], v[10:11]
	v_add_f64 v[1:2], v[1:2], v[12:13]
	s_andn2_b32 exec_lo, exec_lo, s5
	s_cbranch_execnz .LBB61_141
; %bb.142:
	s_or_b32 exec_lo, exec_lo, s5
	v_mov_b32_e32 v7, 0
	ds_read_b128 v[7:10], v7 offset:464
	s_waitcnt lgkmcnt(0)
	v_mul_f64 v[11:12], v[1:2], v[9:10]
	v_mul_f64 v[9:10], v[3:4], v[9:10]
	v_fma_f64 v[3:4], v[3:4], v[7:8], -v[11:12]
	v_fma_f64 v[1:2], v[1:2], v[7:8], v[9:10]
	buffer_store_dword v4, off, s[0:3], 0 offset:484
	buffer_store_dword v3, off, s[0:3], 0 offset:480
	;; [unrolled: 1-line block ×4, first 2 shown]
.LBB61_143:
	s_or_b32 exec_lo, exec_lo, s4
	v_mov_b32_e32 v4, s46
	s_waitcnt_vscnt null, 0x0
	s_barrier
	buffer_gl0_inv
	s_mov_b32 s4, exec_lo
	s_clause 0x3
	buffer_load_dword v1, v4, s[0:3], 0 offen
	buffer_load_dword v2, v4, s[0:3], 0 offen offset:4
	buffer_load_dword v3, v4, s[0:3], 0 offen offset:8
	;; [unrolled: 1-line block ×3, first 2 shown]
	s_waitcnt vmcnt(0)
	ds_write_b128 v5, v[1:4]
	s_waitcnt lgkmcnt(0)
	s_barrier
	buffer_gl0_inv
	v_cmpx_gt_u32_e32 30, v0
	s_cbranch_execz .LBB61_147
; %bb.144:
	v_mov_b32_e32 v1, 0
	v_mov_b32_e32 v3, 0
	v_add_nc_u32_e32 v7, -1, v0
	v_add_nc_u32_e32 v8, 0x3e0, v235
	v_mov_b32_e32 v2, 0
	v_mov_b32_e32 v4, 0
	v_add_nc_u32_e32 v9, 16, v235
	s_mov_b32 s5, 0
	.p2align	6
.LBB61_145:                             ; =>This Inner Loop Header: Depth=1
	s_clause 0x3
	buffer_load_dword v14, v9, s[0:3], 0 offen offset:8
	buffer_load_dword v15, v9, s[0:3], 0 offen offset:12
	buffer_load_dword v16, v9, s[0:3], 0 offen
	buffer_load_dword v17, v9, s[0:3], 0 offen offset:4
	ds_read_b128 v[10:13], v8
	v_add_nc_u32_e32 v7, 1, v7
	v_add_nc_u32_e32 v8, 16, v8
	;; [unrolled: 1-line block ×3, first 2 shown]
	v_cmp_lt_u32_e32 vcc_lo, 28, v7
	s_or_b32 s5, vcc_lo, s5
	s_waitcnt vmcnt(2) lgkmcnt(0)
	v_mul_f64 v[18:19], v[12:13], v[14:15]
	v_mul_f64 v[14:15], v[10:11], v[14:15]
	s_waitcnt vmcnt(0)
	v_fma_f64 v[10:11], v[10:11], v[16:17], -v[18:19]
	v_fma_f64 v[12:13], v[12:13], v[16:17], v[14:15]
	v_add_f64 v[3:4], v[3:4], v[10:11]
	v_add_f64 v[1:2], v[1:2], v[12:13]
	s_andn2_b32 exec_lo, exec_lo, s5
	s_cbranch_execnz .LBB61_145
; %bb.146:
	s_or_b32 exec_lo, exec_lo, s5
	v_mov_b32_e32 v7, 0
	ds_read_b128 v[7:10], v7 offset:480
	s_waitcnt lgkmcnt(0)
	v_mul_f64 v[11:12], v[1:2], v[9:10]
	v_mul_f64 v[9:10], v[3:4], v[9:10]
	v_fma_f64 v[3:4], v[3:4], v[7:8], -v[11:12]
	v_fma_f64 v[1:2], v[1:2], v[7:8], v[9:10]
	buffer_store_dword v4, off, s[0:3], 0 offset:500
	buffer_store_dword v3, off, s[0:3], 0 offset:496
	;; [unrolled: 1-line block ×4, first 2 shown]
.LBB61_147:
	s_or_b32 exec_lo, exec_lo, s4
	v_mov_b32_e32 v4, s45
	s_waitcnt_vscnt null, 0x0
	s_barrier
	buffer_gl0_inv
	s_mov_b32 s4, exec_lo
	s_clause 0x3
	buffer_load_dword v1, v4, s[0:3], 0 offen
	buffer_load_dword v2, v4, s[0:3], 0 offen offset:4
	buffer_load_dword v3, v4, s[0:3], 0 offen offset:8
	;; [unrolled: 1-line block ×3, first 2 shown]
	s_waitcnt vmcnt(0)
	ds_write_b128 v5, v[1:4]
	s_waitcnt lgkmcnt(0)
	s_barrier
	buffer_gl0_inv
	v_cmpx_gt_u32_e32 31, v0
	s_cbranch_execz .LBB61_151
; %bb.148:
	v_mov_b32_e32 v1, 0
	v_mov_b32_e32 v3, 0
	v_add_nc_u32_e32 v7, -1, v0
	v_add_nc_u32_e32 v8, 0x3e0, v235
	v_mov_b32_e32 v2, 0
	v_mov_b32_e32 v4, 0
	v_add_nc_u32_e32 v9, 16, v235
	s_mov_b32 s5, 0
	.p2align	6
.LBB61_149:                             ; =>This Inner Loop Header: Depth=1
	s_clause 0x3
	buffer_load_dword v14, v9, s[0:3], 0 offen offset:8
	buffer_load_dword v15, v9, s[0:3], 0 offen offset:12
	buffer_load_dword v16, v9, s[0:3], 0 offen
	buffer_load_dword v17, v9, s[0:3], 0 offen offset:4
	ds_read_b128 v[10:13], v8
	v_add_nc_u32_e32 v7, 1, v7
	v_add_nc_u32_e32 v8, 16, v8
	v_add_nc_u32_e32 v9, 16, v9
	v_cmp_lt_u32_e32 vcc_lo, 29, v7
	s_or_b32 s5, vcc_lo, s5
	s_waitcnt vmcnt(2) lgkmcnt(0)
	v_mul_f64 v[18:19], v[12:13], v[14:15]
	v_mul_f64 v[14:15], v[10:11], v[14:15]
	s_waitcnt vmcnt(0)
	v_fma_f64 v[10:11], v[10:11], v[16:17], -v[18:19]
	v_fma_f64 v[12:13], v[12:13], v[16:17], v[14:15]
	v_add_f64 v[3:4], v[3:4], v[10:11]
	v_add_f64 v[1:2], v[1:2], v[12:13]
	s_andn2_b32 exec_lo, exec_lo, s5
	s_cbranch_execnz .LBB61_149
; %bb.150:
	s_or_b32 exec_lo, exec_lo, s5
	v_mov_b32_e32 v7, 0
	ds_read_b128 v[7:10], v7 offset:496
	s_waitcnt lgkmcnt(0)
	v_mul_f64 v[11:12], v[1:2], v[9:10]
	v_mul_f64 v[9:10], v[3:4], v[9:10]
	v_fma_f64 v[3:4], v[3:4], v[7:8], -v[11:12]
	v_fma_f64 v[1:2], v[1:2], v[7:8], v[9:10]
	buffer_store_dword v4, off, s[0:3], 0 offset:516
	buffer_store_dword v3, off, s[0:3], 0 offset:512
	;; [unrolled: 1-line block ×4, first 2 shown]
.LBB61_151:
	s_or_b32 exec_lo, exec_lo, s4
	v_mov_b32_e32 v4, s44
	s_waitcnt_vscnt null, 0x0
	s_barrier
	buffer_gl0_inv
	s_mov_b32 s4, exec_lo
	s_clause 0x3
	buffer_load_dword v1, v4, s[0:3], 0 offen
	buffer_load_dword v2, v4, s[0:3], 0 offen offset:4
	buffer_load_dword v3, v4, s[0:3], 0 offen offset:8
	;; [unrolled: 1-line block ×3, first 2 shown]
	s_waitcnt vmcnt(0)
	ds_write_b128 v5, v[1:4]
	s_waitcnt lgkmcnt(0)
	s_barrier
	buffer_gl0_inv
	v_cmpx_gt_u32_e32 32, v0
	s_cbranch_execz .LBB61_155
; %bb.152:
	v_mov_b32_e32 v1, 0
	v_mov_b32_e32 v3, 0
	v_add_nc_u32_e32 v7, -1, v0
	v_add_nc_u32_e32 v8, 0x3e0, v235
	v_mov_b32_e32 v2, 0
	v_mov_b32_e32 v4, 0
	v_add_nc_u32_e32 v9, 16, v235
	s_mov_b32 s5, 0
	.p2align	6
.LBB61_153:                             ; =>This Inner Loop Header: Depth=1
	s_clause 0x3
	buffer_load_dword v14, v9, s[0:3], 0 offen offset:8
	buffer_load_dword v15, v9, s[0:3], 0 offen offset:12
	buffer_load_dword v16, v9, s[0:3], 0 offen
	buffer_load_dword v17, v9, s[0:3], 0 offen offset:4
	ds_read_b128 v[10:13], v8
	v_add_nc_u32_e32 v7, 1, v7
	v_add_nc_u32_e32 v8, 16, v8
	;; [unrolled: 1-line block ×3, first 2 shown]
	v_cmp_lt_u32_e32 vcc_lo, 30, v7
	s_or_b32 s5, vcc_lo, s5
	s_waitcnt vmcnt(2) lgkmcnt(0)
	v_mul_f64 v[18:19], v[12:13], v[14:15]
	v_mul_f64 v[14:15], v[10:11], v[14:15]
	s_waitcnt vmcnt(0)
	v_fma_f64 v[10:11], v[10:11], v[16:17], -v[18:19]
	v_fma_f64 v[12:13], v[12:13], v[16:17], v[14:15]
	v_add_f64 v[3:4], v[3:4], v[10:11]
	v_add_f64 v[1:2], v[1:2], v[12:13]
	s_andn2_b32 exec_lo, exec_lo, s5
	s_cbranch_execnz .LBB61_153
; %bb.154:
	s_or_b32 exec_lo, exec_lo, s5
	v_mov_b32_e32 v7, 0
	ds_read_b128 v[7:10], v7 offset:512
	s_waitcnt lgkmcnt(0)
	v_mul_f64 v[11:12], v[1:2], v[9:10]
	v_mul_f64 v[9:10], v[3:4], v[9:10]
	v_fma_f64 v[3:4], v[3:4], v[7:8], -v[11:12]
	v_fma_f64 v[1:2], v[1:2], v[7:8], v[9:10]
	buffer_store_dword v4, off, s[0:3], 0 offset:532
	buffer_store_dword v3, off, s[0:3], 0 offset:528
	;; [unrolled: 1-line block ×4, first 2 shown]
.LBB61_155:
	s_or_b32 exec_lo, exec_lo, s4
	v_mov_b32_e32 v4, s43
	s_waitcnt_vscnt null, 0x0
	s_barrier
	buffer_gl0_inv
	s_mov_b32 s4, exec_lo
	s_clause 0x3
	buffer_load_dword v1, v4, s[0:3], 0 offen
	buffer_load_dword v2, v4, s[0:3], 0 offen offset:4
	buffer_load_dword v3, v4, s[0:3], 0 offen offset:8
	;; [unrolled: 1-line block ×3, first 2 shown]
	s_waitcnt vmcnt(0)
	ds_write_b128 v5, v[1:4]
	s_waitcnt lgkmcnt(0)
	s_barrier
	buffer_gl0_inv
	v_cmpx_gt_u32_e32 33, v0
	s_cbranch_execz .LBB61_159
; %bb.156:
	v_mov_b32_e32 v1, 0
	v_mov_b32_e32 v3, 0
	v_add_nc_u32_e32 v7, -1, v0
	v_add_nc_u32_e32 v8, 0x3e0, v235
	v_mov_b32_e32 v2, 0
	v_mov_b32_e32 v4, 0
	v_add_nc_u32_e32 v9, 16, v235
	s_mov_b32 s5, 0
	.p2align	6
.LBB61_157:                             ; =>This Inner Loop Header: Depth=1
	s_clause 0x3
	buffer_load_dword v14, v9, s[0:3], 0 offen offset:8
	buffer_load_dword v15, v9, s[0:3], 0 offen offset:12
	buffer_load_dword v16, v9, s[0:3], 0 offen
	buffer_load_dword v17, v9, s[0:3], 0 offen offset:4
	ds_read_b128 v[10:13], v8
	v_add_nc_u32_e32 v7, 1, v7
	v_add_nc_u32_e32 v8, 16, v8
	;; [unrolled: 1-line block ×3, first 2 shown]
	v_cmp_lt_u32_e32 vcc_lo, 31, v7
	s_or_b32 s5, vcc_lo, s5
	s_waitcnt vmcnt(2) lgkmcnt(0)
	v_mul_f64 v[18:19], v[12:13], v[14:15]
	v_mul_f64 v[14:15], v[10:11], v[14:15]
	s_waitcnt vmcnt(0)
	v_fma_f64 v[10:11], v[10:11], v[16:17], -v[18:19]
	v_fma_f64 v[12:13], v[12:13], v[16:17], v[14:15]
	v_add_f64 v[3:4], v[3:4], v[10:11]
	v_add_f64 v[1:2], v[1:2], v[12:13]
	s_andn2_b32 exec_lo, exec_lo, s5
	s_cbranch_execnz .LBB61_157
; %bb.158:
	s_or_b32 exec_lo, exec_lo, s5
	v_mov_b32_e32 v7, 0
	ds_read_b128 v[7:10], v7 offset:528
	s_waitcnt lgkmcnt(0)
	v_mul_f64 v[11:12], v[1:2], v[9:10]
	v_mul_f64 v[9:10], v[3:4], v[9:10]
	v_fma_f64 v[3:4], v[3:4], v[7:8], -v[11:12]
	v_fma_f64 v[1:2], v[1:2], v[7:8], v[9:10]
	buffer_store_dword v4, off, s[0:3], 0 offset:548
	buffer_store_dword v3, off, s[0:3], 0 offset:544
	;; [unrolled: 1-line block ×4, first 2 shown]
.LBB61_159:
	s_or_b32 exec_lo, exec_lo, s4
	v_mov_b32_e32 v4, s42
	s_waitcnt_vscnt null, 0x0
	s_barrier
	buffer_gl0_inv
	s_mov_b32 s4, exec_lo
	s_clause 0x3
	buffer_load_dword v1, v4, s[0:3], 0 offen
	buffer_load_dword v2, v4, s[0:3], 0 offen offset:4
	buffer_load_dword v3, v4, s[0:3], 0 offen offset:8
	;; [unrolled: 1-line block ×3, first 2 shown]
	s_waitcnt vmcnt(0)
	ds_write_b128 v5, v[1:4]
	s_waitcnt lgkmcnt(0)
	s_barrier
	buffer_gl0_inv
	v_cmpx_gt_u32_e32 34, v0
	s_cbranch_execz .LBB61_163
; %bb.160:
	v_mov_b32_e32 v1, 0
	v_mov_b32_e32 v3, 0
	v_add_nc_u32_e32 v7, -1, v0
	v_add_nc_u32_e32 v8, 0x3e0, v235
	v_mov_b32_e32 v2, 0
	v_mov_b32_e32 v4, 0
	v_add_nc_u32_e32 v9, 16, v235
	s_mov_b32 s5, 0
	.p2align	6
.LBB61_161:                             ; =>This Inner Loop Header: Depth=1
	s_clause 0x3
	buffer_load_dword v14, v9, s[0:3], 0 offen offset:8
	buffer_load_dword v15, v9, s[0:3], 0 offen offset:12
	buffer_load_dword v16, v9, s[0:3], 0 offen
	buffer_load_dword v17, v9, s[0:3], 0 offen offset:4
	ds_read_b128 v[10:13], v8
	v_add_nc_u32_e32 v7, 1, v7
	v_add_nc_u32_e32 v8, 16, v8
	;; [unrolled: 1-line block ×3, first 2 shown]
	v_cmp_lt_u32_e32 vcc_lo, 32, v7
	s_or_b32 s5, vcc_lo, s5
	s_waitcnt vmcnt(2) lgkmcnt(0)
	v_mul_f64 v[18:19], v[12:13], v[14:15]
	v_mul_f64 v[14:15], v[10:11], v[14:15]
	s_waitcnt vmcnt(0)
	v_fma_f64 v[10:11], v[10:11], v[16:17], -v[18:19]
	v_fma_f64 v[12:13], v[12:13], v[16:17], v[14:15]
	v_add_f64 v[3:4], v[3:4], v[10:11]
	v_add_f64 v[1:2], v[1:2], v[12:13]
	s_andn2_b32 exec_lo, exec_lo, s5
	s_cbranch_execnz .LBB61_161
; %bb.162:
	s_or_b32 exec_lo, exec_lo, s5
	v_mov_b32_e32 v7, 0
	ds_read_b128 v[7:10], v7 offset:544
	s_waitcnt lgkmcnt(0)
	v_mul_f64 v[11:12], v[1:2], v[9:10]
	v_mul_f64 v[9:10], v[3:4], v[9:10]
	v_fma_f64 v[3:4], v[3:4], v[7:8], -v[11:12]
	v_fma_f64 v[1:2], v[1:2], v[7:8], v[9:10]
	buffer_store_dword v4, off, s[0:3], 0 offset:564
	buffer_store_dword v3, off, s[0:3], 0 offset:560
	;; [unrolled: 1-line block ×4, first 2 shown]
.LBB61_163:
	s_or_b32 exec_lo, exec_lo, s4
	v_mov_b32_e32 v4, s41
	s_waitcnt_vscnt null, 0x0
	s_barrier
	buffer_gl0_inv
	s_mov_b32 s4, exec_lo
	s_clause 0x3
	buffer_load_dword v1, v4, s[0:3], 0 offen
	buffer_load_dword v2, v4, s[0:3], 0 offen offset:4
	buffer_load_dword v3, v4, s[0:3], 0 offen offset:8
	;; [unrolled: 1-line block ×3, first 2 shown]
	s_waitcnt vmcnt(0)
	ds_write_b128 v5, v[1:4]
	s_waitcnt lgkmcnt(0)
	s_barrier
	buffer_gl0_inv
	v_cmpx_gt_u32_e32 35, v0
	s_cbranch_execz .LBB61_167
; %bb.164:
	v_mov_b32_e32 v1, 0
	v_mov_b32_e32 v3, 0
	v_add_nc_u32_e32 v7, -1, v0
	v_add_nc_u32_e32 v8, 0x3e0, v235
	v_mov_b32_e32 v2, 0
	v_mov_b32_e32 v4, 0
	v_add_nc_u32_e32 v9, 16, v235
	s_mov_b32 s5, 0
	.p2align	6
.LBB61_165:                             ; =>This Inner Loop Header: Depth=1
	s_clause 0x3
	buffer_load_dword v14, v9, s[0:3], 0 offen offset:8
	buffer_load_dword v15, v9, s[0:3], 0 offen offset:12
	buffer_load_dword v16, v9, s[0:3], 0 offen
	buffer_load_dword v17, v9, s[0:3], 0 offen offset:4
	ds_read_b128 v[10:13], v8
	v_add_nc_u32_e32 v7, 1, v7
	v_add_nc_u32_e32 v8, 16, v8
	;; [unrolled: 1-line block ×3, first 2 shown]
	v_cmp_lt_u32_e32 vcc_lo, 33, v7
	s_or_b32 s5, vcc_lo, s5
	s_waitcnt vmcnt(2) lgkmcnt(0)
	v_mul_f64 v[18:19], v[12:13], v[14:15]
	v_mul_f64 v[14:15], v[10:11], v[14:15]
	s_waitcnt vmcnt(0)
	v_fma_f64 v[10:11], v[10:11], v[16:17], -v[18:19]
	v_fma_f64 v[12:13], v[12:13], v[16:17], v[14:15]
	v_add_f64 v[3:4], v[3:4], v[10:11]
	v_add_f64 v[1:2], v[1:2], v[12:13]
	s_andn2_b32 exec_lo, exec_lo, s5
	s_cbranch_execnz .LBB61_165
; %bb.166:
	s_or_b32 exec_lo, exec_lo, s5
	v_mov_b32_e32 v7, 0
	ds_read_b128 v[7:10], v7 offset:560
	s_waitcnt lgkmcnt(0)
	v_mul_f64 v[11:12], v[1:2], v[9:10]
	v_mul_f64 v[9:10], v[3:4], v[9:10]
	v_fma_f64 v[3:4], v[3:4], v[7:8], -v[11:12]
	v_fma_f64 v[1:2], v[1:2], v[7:8], v[9:10]
	buffer_store_dword v4, off, s[0:3], 0 offset:580
	buffer_store_dword v3, off, s[0:3], 0 offset:576
	;; [unrolled: 1-line block ×4, first 2 shown]
.LBB61_167:
	s_or_b32 exec_lo, exec_lo, s4
	v_mov_b32_e32 v4, s40
	s_waitcnt_vscnt null, 0x0
	s_barrier
	buffer_gl0_inv
	s_mov_b32 s4, exec_lo
	s_clause 0x3
	buffer_load_dword v1, v4, s[0:3], 0 offen
	buffer_load_dword v2, v4, s[0:3], 0 offen offset:4
	buffer_load_dword v3, v4, s[0:3], 0 offen offset:8
	;; [unrolled: 1-line block ×3, first 2 shown]
	s_waitcnt vmcnt(0)
	ds_write_b128 v5, v[1:4]
	s_waitcnt lgkmcnt(0)
	s_barrier
	buffer_gl0_inv
	v_cmpx_gt_u32_e32 36, v0
	s_cbranch_execz .LBB61_171
; %bb.168:
	v_mov_b32_e32 v1, 0
	v_mov_b32_e32 v3, 0
	v_add_nc_u32_e32 v7, -1, v0
	v_add_nc_u32_e32 v8, 0x3e0, v235
	v_mov_b32_e32 v2, 0
	v_mov_b32_e32 v4, 0
	v_add_nc_u32_e32 v9, 16, v235
	s_mov_b32 s5, 0
	.p2align	6
.LBB61_169:                             ; =>This Inner Loop Header: Depth=1
	s_clause 0x3
	buffer_load_dword v14, v9, s[0:3], 0 offen offset:8
	buffer_load_dword v15, v9, s[0:3], 0 offen offset:12
	buffer_load_dword v16, v9, s[0:3], 0 offen
	buffer_load_dword v17, v9, s[0:3], 0 offen offset:4
	ds_read_b128 v[10:13], v8
	v_add_nc_u32_e32 v7, 1, v7
	v_add_nc_u32_e32 v8, 16, v8
	;; [unrolled: 1-line block ×3, first 2 shown]
	v_cmp_lt_u32_e32 vcc_lo, 34, v7
	s_or_b32 s5, vcc_lo, s5
	s_waitcnt vmcnt(2) lgkmcnt(0)
	v_mul_f64 v[18:19], v[12:13], v[14:15]
	v_mul_f64 v[14:15], v[10:11], v[14:15]
	s_waitcnt vmcnt(0)
	v_fma_f64 v[10:11], v[10:11], v[16:17], -v[18:19]
	v_fma_f64 v[12:13], v[12:13], v[16:17], v[14:15]
	v_add_f64 v[3:4], v[3:4], v[10:11]
	v_add_f64 v[1:2], v[1:2], v[12:13]
	s_andn2_b32 exec_lo, exec_lo, s5
	s_cbranch_execnz .LBB61_169
; %bb.170:
	s_or_b32 exec_lo, exec_lo, s5
	v_mov_b32_e32 v7, 0
	ds_read_b128 v[7:10], v7 offset:576
	s_waitcnt lgkmcnt(0)
	v_mul_f64 v[11:12], v[1:2], v[9:10]
	v_mul_f64 v[9:10], v[3:4], v[9:10]
	v_fma_f64 v[3:4], v[3:4], v[7:8], -v[11:12]
	v_fma_f64 v[1:2], v[1:2], v[7:8], v[9:10]
	buffer_store_dword v4, off, s[0:3], 0 offset:596
	buffer_store_dword v3, off, s[0:3], 0 offset:592
	;; [unrolled: 1-line block ×4, first 2 shown]
.LBB61_171:
	s_or_b32 exec_lo, exec_lo, s4
	v_mov_b32_e32 v4, s39
	s_waitcnt_vscnt null, 0x0
	s_barrier
	buffer_gl0_inv
	s_mov_b32 s4, exec_lo
	s_clause 0x3
	buffer_load_dword v1, v4, s[0:3], 0 offen
	buffer_load_dword v2, v4, s[0:3], 0 offen offset:4
	buffer_load_dword v3, v4, s[0:3], 0 offen offset:8
	;; [unrolled: 1-line block ×3, first 2 shown]
	s_waitcnt vmcnt(0)
	ds_write_b128 v5, v[1:4]
	s_waitcnt lgkmcnt(0)
	s_barrier
	buffer_gl0_inv
	v_cmpx_gt_u32_e32 37, v0
	s_cbranch_execz .LBB61_175
; %bb.172:
	v_mov_b32_e32 v1, 0
	v_mov_b32_e32 v3, 0
	v_add_nc_u32_e32 v7, -1, v0
	v_add_nc_u32_e32 v8, 0x3e0, v235
	v_mov_b32_e32 v2, 0
	v_mov_b32_e32 v4, 0
	v_add_nc_u32_e32 v9, 16, v235
	s_mov_b32 s5, 0
	.p2align	6
.LBB61_173:                             ; =>This Inner Loop Header: Depth=1
	s_clause 0x3
	buffer_load_dword v14, v9, s[0:3], 0 offen offset:8
	buffer_load_dword v15, v9, s[0:3], 0 offen offset:12
	buffer_load_dword v16, v9, s[0:3], 0 offen
	buffer_load_dword v17, v9, s[0:3], 0 offen offset:4
	ds_read_b128 v[10:13], v8
	v_add_nc_u32_e32 v7, 1, v7
	v_add_nc_u32_e32 v8, 16, v8
	v_add_nc_u32_e32 v9, 16, v9
	v_cmp_lt_u32_e32 vcc_lo, 35, v7
	s_or_b32 s5, vcc_lo, s5
	s_waitcnt vmcnt(2) lgkmcnt(0)
	v_mul_f64 v[18:19], v[12:13], v[14:15]
	v_mul_f64 v[14:15], v[10:11], v[14:15]
	s_waitcnt vmcnt(0)
	v_fma_f64 v[10:11], v[10:11], v[16:17], -v[18:19]
	v_fma_f64 v[12:13], v[12:13], v[16:17], v[14:15]
	v_add_f64 v[3:4], v[3:4], v[10:11]
	v_add_f64 v[1:2], v[1:2], v[12:13]
	s_andn2_b32 exec_lo, exec_lo, s5
	s_cbranch_execnz .LBB61_173
; %bb.174:
	s_or_b32 exec_lo, exec_lo, s5
	v_mov_b32_e32 v7, 0
	ds_read_b128 v[7:10], v7 offset:592
	s_waitcnt lgkmcnt(0)
	v_mul_f64 v[11:12], v[1:2], v[9:10]
	v_mul_f64 v[9:10], v[3:4], v[9:10]
	v_fma_f64 v[3:4], v[3:4], v[7:8], -v[11:12]
	v_fma_f64 v[1:2], v[1:2], v[7:8], v[9:10]
	buffer_store_dword v4, off, s[0:3], 0 offset:612
	buffer_store_dword v3, off, s[0:3], 0 offset:608
	;; [unrolled: 1-line block ×4, first 2 shown]
.LBB61_175:
	s_or_b32 exec_lo, exec_lo, s4
	v_mov_b32_e32 v4, s38
	s_waitcnt_vscnt null, 0x0
	s_barrier
	buffer_gl0_inv
	s_mov_b32 s4, exec_lo
	s_clause 0x3
	buffer_load_dword v1, v4, s[0:3], 0 offen
	buffer_load_dword v2, v4, s[0:3], 0 offen offset:4
	buffer_load_dword v3, v4, s[0:3], 0 offen offset:8
	;; [unrolled: 1-line block ×3, first 2 shown]
	s_waitcnt vmcnt(0)
	ds_write_b128 v5, v[1:4]
	s_waitcnt lgkmcnt(0)
	s_barrier
	buffer_gl0_inv
	v_cmpx_gt_u32_e32 38, v0
	s_cbranch_execz .LBB61_179
; %bb.176:
	v_mov_b32_e32 v1, 0
	v_mov_b32_e32 v3, 0
	v_add_nc_u32_e32 v7, -1, v0
	v_add_nc_u32_e32 v8, 0x3e0, v235
	v_mov_b32_e32 v2, 0
	v_mov_b32_e32 v4, 0
	v_add_nc_u32_e32 v9, 16, v235
	s_mov_b32 s5, 0
	.p2align	6
.LBB61_177:                             ; =>This Inner Loop Header: Depth=1
	s_clause 0x3
	buffer_load_dword v14, v9, s[0:3], 0 offen offset:8
	buffer_load_dword v15, v9, s[0:3], 0 offen offset:12
	buffer_load_dword v16, v9, s[0:3], 0 offen
	buffer_load_dword v17, v9, s[0:3], 0 offen offset:4
	ds_read_b128 v[10:13], v8
	v_add_nc_u32_e32 v7, 1, v7
	v_add_nc_u32_e32 v8, 16, v8
	;; [unrolled: 1-line block ×3, first 2 shown]
	v_cmp_lt_u32_e32 vcc_lo, 36, v7
	s_or_b32 s5, vcc_lo, s5
	s_waitcnt vmcnt(2) lgkmcnt(0)
	v_mul_f64 v[18:19], v[12:13], v[14:15]
	v_mul_f64 v[14:15], v[10:11], v[14:15]
	s_waitcnt vmcnt(0)
	v_fma_f64 v[10:11], v[10:11], v[16:17], -v[18:19]
	v_fma_f64 v[12:13], v[12:13], v[16:17], v[14:15]
	v_add_f64 v[3:4], v[3:4], v[10:11]
	v_add_f64 v[1:2], v[1:2], v[12:13]
	s_andn2_b32 exec_lo, exec_lo, s5
	s_cbranch_execnz .LBB61_177
; %bb.178:
	s_or_b32 exec_lo, exec_lo, s5
	v_mov_b32_e32 v7, 0
	ds_read_b128 v[7:10], v7 offset:608
	s_waitcnt lgkmcnt(0)
	v_mul_f64 v[11:12], v[1:2], v[9:10]
	v_mul_f64 v[9:10], v[3:4], v[9:10]
	v_fma_f64 v[3:4], v[3:4], v[7:8], -v[11:12]
	v_fma_f64 v[1:2], v[1:2], v[7:8], v[9:10]
	buffer_store_dword v4, off, s[0:3], 0 offset:628
	buffer_store_dword v3, off, s[0:3], 0 offset:624
	;; [unrolled: 1-line block ×4, first 2 shown]
.LBB61_179:
	s_or_b32 exec_lo, exec_lo, s4
	v_mov_b32_e32 v4, s37
	s_waitcnt_vscnt null, 0x0
	s_barrier
	buffer_gl0_inv
	s_mov_b32 s4, exec_lo
	s_clause 0x3
	buffer_load_dword v1, v4, s[0:3], 0 offen
	buffer_load_dword v2, v4, s[0:3], 0 offen offset:4
	buffer_load_dword v3, v4, s[0:3], 0 offen offset:8
	;; [unrolled: 1-line block ×3, first 2 shown]
	s_waitcnt vmcnt(0)
	ds_write_b128 v5, v[1:4]
	s_waitcnt lgkmcnt(0)
	s_barrier
	buffer_gl0_inv
	v_cmpx_gt_u32_e32 39, v0
	s_cbranch_execz .LBB61_183
; %bb.180:
	v_mov_b32_e32 v1, 0
	v_mov_b32_e32 v3, 0
	v_add_nc_u32_e32 v7, -1, v0
	v_add_nc_u32_e32 v8, 0x3e0, v235
	v_mov_b32_e32 v2, 0
	v_mov_b32_e32 v4, 0
	v_add_nc_u32_e32 v9, 16, v235
	s_mov_b32 s5, 0
	.p2align	6
.LBB61_181:                             ; =>This Inner Loop Header: Depth=1
	s_clause 0x3
	buffer_load_dword v14, v9, s[0:3], 0 offen offset:8
	buffer_load_dword v15, v9, s[0:3], 0 offen offset:12
	buffer_load_dword v16, v9, s[0:3], 0 offen
	buffer_load_dword v17, v9, s[0:3], 0 offen offset:4
	ds_read_b128 v[10:13], v8
	v_add_nc_u32_e32 v7, 1, v7
	v_add_nc_u32_e32 v8, 16, v8
	v_add_nc_u32_e32 v9, 16, v9
	v_cmp_lt_u32_e32 vcc_lo, 37, v7
	s_or_b32 s5, vcc_lo, s5
	s_waitcnt vmcnt(2) lgkmcnt(0)
	v_mul_f64 v[18:19], v[12:13], v[14:15]
	v_mul_f64 v[14:15], v[10:11], v[14:15]
	s_waitcnt vmcnt(0)
	v_fma_f64 v[10:11], v[10:11], v[16:17], -v[18:19]
	v_fma_f64 v[12:13], v[12:13], v[16:17], v[14:15]
	v_add_f64 v[3:4], v[3:4], v[10:11]
	v_add_f64 v[1:2], v[1:2], v[12:13]
	s_andn2_b32 exec_lo, exec_lo, s5
	s_cbranch_execnz .LBB61_181
; %bb.182:
	s_or_b32 exec_lo, exec_lo, s5
	v_mov_b32_e32 v7, 0
	ds_read_b128 v[7:10], v7 offset:624
	s_waitcnt lgkmcnt(0)
	v_mul_f64 v[11:12], v[1:2], v[9:10]
	v_mul_f64 v[9:10], v[3:4], v[9:10]
	v_fma_f64 v[3:4], v[3:4], v[7:8], -v[11:12]
	v_fma_f64 v[1:2], v[1:2], v[7:8], v[9:10]
	buffer_store_dword v4, off, s[0:3], 0 offset:644
	buffer_store_dword v3, off, s[0:3], 0 offset:640
	;; [unrolled: 1-line block ×4, first 2 shown]
.LBB61_183:
	s_or_b32 exec_lo, exec_lo, s4
	v_mov_b32_e32 v4, s36
	s_waitcnt_vscnt null, 0x0
	s_barrier
	buffer_gl0_inv
	s_mov_b32 s4, exec_lo
	s_clause 0x3
	buffer_load_dword v1, v4, s[0:3], 0 offen
	buffer_load_dword v2, v4, s[0:3], 0 offen offset:4
	buffer_load_dword v3, v4, s[0:3], 0 offen offset:8
	;; [unrolled: 1-line block ×3, first 2 shown]
	s_waitcnt vmcnt(0)
	ds_write_b128 v5, v[1:4]
	s_waitcnt lgkmcnt(0)
	s_barrier
	buffer_gl0_inv
	v_cmpx_gt_u32_e32 40, v0
	s_cbranch_execz .LBB61_187
; %bb.184:
	v_mov_b32_e32 v1, 0
	v_mov_b32_e32 v3, 0
	v_add_nc_u32_e32 v7, -1, v0
	v_add_nc_u32_e32 v8, 0x3e0, v235
	v_mov_b32_e32 v2, 0
	v_mov_b32_e32 v4, 0
	v_add_nc_u32_e32 v9, 16, v235
	s_mov_b32 s5, 0
	.p2align	6
.LBB61_185:                             ; =>This Inner Loop Header: Depth=1
	s_clause 0x3
	buffer_load_dword v14, v9, s[0:3], 0 offen offset:8
	buffer_load_dword v15, v9, s[0:3], 0 offen offset:12
	buffer_load_dword v16, v9, s[0:3], 0 offen
	buffer_load_dword v17, v9, s[0:3], 0 offen offset:4
	ds_read_b128 v[10:13], v8
	v_add_nc_u32_e32 v7, 1, v7
	v_add_nc_u32_e32 v8, 16, v8
	;; [unrolled: 1-line block ×3, first 2 shown]
	v_cmp_lt_u32_e32 vcc_lo, 38, v7
	s_or_b32 s5, vcc_lo, s5
	s_waitcnt vmcnt(2) lgkmcnt(0)
	v_mul_f64 v[18:19], v[12:13], v[14:15]
	v_mul_f64 v[14:15], v[10:11], v[14:15]
	s_waitcnt vmcnt(0)
	v_fma_f64 v[10:11], v[10:11], v[16:17], -v[18:19]
	v_fma_f64 v[12:13], v[12:13], v[16:17], v[14:15]
	v_add_f64 v[3:4], v[3:4], v[10:11]
	v_add_f64 v[1:2], v[1:2], v[12:13]
	s_andn2_b32 exec_lo, exec_lo, s5
	s_cbranch_execnz .LBB61_185
; %bb.186:
	s_or_b32 exec_lo, exec_lo, s5
	v_mov_b32_e32 v7, 0
	ds_read_b128 v[7:10], v7 offset:640
	s_waitcnt lgkmcnt(0)
	v_mul_f64 v[11:12], v[1:2], v[9:10]
	v_mul_f64 v[9:10], v[3:4], v[9:10]
	v_fma_f64 v[3:4], v[3:4], v[7:8], -v[11:12]
	v_fma_f64 v[1:2], v[1:2], v[7:8], v[9:10]
	buffer_store_dword v4, off, s[0:3], 0 offset:660
	buffer_store_dword v3, off, s[0:3], 0 offset:656
	buffer_store_dword v2, off, s[0:3], 0 offset:668
	buffer_store_dword v1, off, s[0:3], 0 offset:664
.LBB61_187:
	s_or_b32 exec_lo, exec_lo, s4
	v_mov_b32_e32 v4, s35
	s_waitcnt_vscnt null, 0x0
	s_barrier
	buffer_gl0_inv
	s_mov_b32 s4, exec_lo
	s_clause 0x3
	buffer_load_dword v1, v4, s[0:3], 0 offen
	buffer_load_dword v2, v4, s[0:3], 0 offen offset:4
	buffer_load_dword v3, v4, s[0:3], 0 offen offset:8
	;; [unrolled: 1-line block ×3, first 2 shown]
	s_waitcnt vmcnt(0)
	ds_write_b128 v5, v[1:4]
	s_waitcnt lgkmcnt(0)
	s_barrier
	buffer_gl0_inv
	v_cmpx_gt_u32_e32 41, v0
	s_cbranch_execz .LBB61_191
; %bb.188:
	v_mov_b32_e32 v1, 0
	v_mov_b32_e32 v3, 0
	v_add_nc_u32_e32 v7, -1, v0
	v_add_nc_u32_e32 v8, 0x3e0, v235
	v_mov_b32_e32 v2, 0
	v_mov_b32_e32 v4, 0
	v_add_nc_u32_e32 v9, 16, v235
	s_mov_b32 s5, 0
	.p2align	6
.LBB61_189:                             ; =>This Inner Loop Header: Depth=1
	s_clause 0x3
	buffer_load_dword v14, v9, s[0:3], 0 offen offset:8
	buffer_load_dword v15, v9, s[0:3], 0 offen offset:12
	buffer_load_dword v16, v9, s[0:3], 0 offen
	buffer_load_dword v17, v9, s[0:3], 0 offen offset:4
	ds_read_b128 v[10:13], v8
	v_add_nc_u32_e32 v7, 1, v7
	v_add_nc_u32_e32 v8, 16, v8
	;; [unrolled: 1-line block ×3, first 2 shown]
	v_cmp_lt_u32_e32 vcc_lo, 39, v7
	s_or_b32 s5, vcc_lo, s5
	s_waitcnt vmcnt(2) lgkmcnt(0)
	v_mul_f64 v[18:19], v[12:13], v[14:15]
	v_mul_f64 v[14:15], v[10:11], v[14:15]
	s_waitcnt vmcnt(0)
	v_fma_f64 v[10:11], v[10:11], v[16:17], -v[18:19]
	v_fma_f64 v[12:13], v[12:13], v[16:17], v[14:15]
	v_add_f64 v[3:4], v[3:4], v[10:11]
	v_add_f64 v[1:2], v[1:2], v[12:13]
	s_andn2_b32 exec_lo, exec_lo, s5
	s_cbranch_execnz .LBB61_189
; %bb.190:
	s_or_b32 exec_lo, exec_lo, s5
	v_mov_b32_e32 v7, 0
	ds_read_b128 v[7:10], v7 offset:656
	s_waitcnt lgkmcnt(0)
	v_mul_f64 v[11:12], v[1:2], v[9:10]
	v_mul_f64 v[9:10], v[3:4], v[9:10]
	v_fma_f64 v[3:4], v[3:4], v[7:8], -v[11:12]
	v_fma_f64 v[1:2], v[1:2], v[7:8], v[9:10]
	buffer_store_dword v4, off, s[0:3], 0 offset:676
	buffer_store_dword v3, off, s[0:3], 0 offset:672
	;; [unrolled: 1-line block ×4, first 2 shown]
.LBB61_191:
	s_or_b32 exec_lo, exec_lo, s4
	v_mov_b32_e32 v4, s34
	s_waitcnt_vscnt null, 0x0
	s_barrier
	buffer_gl0_inv
	s_mov_b32 s4, exec_lo
	s_clause 0x3
	buffer_load_dword v1, v4, s[0:3], 0 offen
	buffer_load_dword v2, v4, s[0:3], 0 offen offset:4
	buffer_load_dword v3, v4, s[0:3], 0 offen offset:8
	;; [unrolled: 1-line block ×3, first 2 shown]
	s_waitcnt vmcnt(0)
	ds_write_b128 v5, v[1:4]
	s_waitcnt lgkmcnt(0)
	s_barrier
	buffer_gl0_inv
	v_cmpx_gt_u32_e32 42, v0
	s_cbranch_execz .LBB61_195
; %bb.192:
	v_mov_b32_e32 v1, 0
	v_mov_b32_e32 v3, 0
	v_add_nc_u32_e32 v7, -1, v0
	v_add_nc_u32_e32 v8, 0x3e0, v235
	v_mov_b32_e32 v2, 0
	v_mov_b32_e32 v4, 0
	v_add_nc_u32_e32 v9, 16, v235
	s_mov_b32 s5, 0
	.p2align	6
.LBB61_193:                             ; =>This Inner Loop Header: Depth=1
	s_clause 0x3
	buffer_load_dword v14, v9, s[0:3], 0 offen offset:8
	buffer_load_dword v15, v9, s[0:3], 0 offen offset:12
	buffer_load_dword v16, v9, s[0:3], 0 offen
	buffer_load_dword v17, v9, s[0:3], 0 offen offset:4
	ds_read_b128 v[10:13], v8
	v_add_nc_u32_e32 v7, 1, v7
	v_add_nc_u32_e32 v8, 16, v8
	;; [unrolled: 1-line block ×3, first 2 shown]
	v_cmp_lt_u32_e32 vcc_lo, 40, v7
	s_or_b32 s5, vcc_lo, s5
	s_waitcnt vmcnt(2) lgkmcnt(0)
	v_mul_f64 v[18:19], v[12:13], v[14:15]
	v_mul_f64 v[14:15], v[10:11], v[14:15]
	s_waitcnt vmcnt(0)
	v_fma_f64 v[10:11], v[10:11], v[16:17], -v[18:19]
	v_fma_f64 v[12:13], v[12:13], v[16:17], v[14:15]
	v_add_f64 v[3:4], v[3:4], v[10:11]
	v_add_f64 v[1:2], v[1:2], v[12:13]
	s_andn2_b32 exec_lo, exec_lo, s5
	s_cbranch_execnz .LBB61_193
; %bb.194:
	s_or_b32 exec_lo, exec_lo, s5
	v_mov_b32_e32 v7, 0
	ds_read_b128 v[7:10], v7 offset:672
	s_waitcnt lgkmcnt(0)
	v_mul_f64 v[11:12], v[1:2], v[9:10]
	v_mul_f64 v[9:10], v[3:4], v[9:10]
	v_fma_f64 v[3:4], v[3:4], v[7:8], -v[11:12]
	v_fma_f64 v[1:2], v[1:2], v[7:8], v[9:10]
	buffer_store_dword v4, off, s[0:3], 0 offset:692
	buffer_store_dword v3, off, s[0:3], 0 offset:688
	;; [unrolled: 1-line block ×4, first 2 shown]
.LBB61_195:
	s_or_b32 exec_lo, exec_lo, s4
	v_mov_b32_e32 v4, s33
	s_waitcnt_vscnt null, 0x0
	s_barrier
	buffer_gl0_inv
	s_mov_b32 s4, exec_lo
	s_clause 0x3
	buffer_load_dword v1, v4, s[0:3], 0 offen
	buffer_load_dword v2, v4, s[0:3], 0 offen offset:4
	buffer_load_dword v3, v4, s[0:3], 0 offen offset:8
	;; [unrolled: 1-line block ×3, first 2 shown]
	s_waitcnt vmcnt(0)
	ds_write_b128 v5, v[1:4]
	s_waitcnt lgkmcnt(0)
	s_barrier
	buffer_gl0_inv
	v_cmpx_gt_u32_e32 43, v0
	s_cbranch_execz .LBB61_199
; %bb.196:
	v_mov_b32_e32 v1, 0
	v_mov_b32_e32 v3, 0
	v_add_nc_u32_e32 v7, -1, v0
	v_add_nc_u32_e32 v8, 0x3e0, v235
	v_mov_b32_e32 v2, 0
	v_mov_b32_e32 v4, 0
	v_add_nc_u32_e32 v9, 16, v235
	s_mov_b32 s5, 0
	.p2align	6
.LBB61_197:                             ; =>This Inner Loop Header: Depth=1
	s_clause 0x3
	buffer_load_dword v14, v9, s[0:3], 0 offen offset:8
	buffer_load_dword v15, v9, s[0:3], 0 offen offset:12
	buffer_load_dword v16, v9, s[0:3], 0 offen
	buffer_load_dword v17, v9, s[0:3], 0 offen offset:4
	ds_read_b128 v[10:13], v8
	v_add_nc_u32_e32 v7, 1, v7
	v_add_nc_u32_e32 v8, 16, v8
	;; [unrolled: 1-line block ×3, first 2 shown]
	v_cmp_lt_u32_e32 vcc_lo, 41, v7
	s_or_b32 s5, vcc_lo, s5
	s_waitcnt vmcnt(2) lgkmcnt(0)
	v_mul_f64 v[18:19], v[12:13], v[14:15]
	v_mul_f64 v[14:15], v[10:11], v[14:15]
	s_waitcnt vmcnt(0)
	v_fma_f64 v[10:11], v[10:11], v[16:17], -v[18:19]
	v_fma_f64 v[12:13], v[12:13], v[16:17], v[14:15]
	v_add_f64 v[3:4], v[3:4], v[10:11]
	v_add_f64 v[1:2], v[1:2], v[12:13]
	s_andn2_b32 exec_lo, exec_lo, s5
	s_cbranch_execnz .LBB61_197
; %bb.198:
	s_or_b32 exec_lo, exec_lo, s5
	v_mov_b32_e32 v7, 0
	ds_read_b128 v[7:10], v7 offset:688
	s_waitcnt lgkmcnt(0)
	v_mul_f64 v[11:12], v[1:2], v[9:10]
	v_mul_f64 v[9:10], v[3:4], v[9:10]
	v_fma_f64 v[3:4], v[3:4], v[7:8], -v[11:12]
	v_fma_f64 v[1:2], v[1:2], v[7:8], v[9:10]
	buffer_store_dword v4, off, s[0:3], 0 offset:708
	buffer_store_dword v3, off, s[0:3], 0 offset:704
	;; [unrolled: 1-line block ×4, first 2 shown]
.LBB61_199:
	s_or_b32 exec_lo, exec_lo, s4
	v_mov_b32_e32 v4, s31
	s_waitcnt_vscnt null, 0x0
	s_barrier
	buffer_gl0_inv
	s_mov_b32 s4, exec_lo
	s_clause 0x3
	buffer_load_dword v1, v4, s[0:3], 0 offen
	buffer_load_dword v2, v4, s[0:3], 0 offen offset:4
	buffer_load_dword v3, v4, s[0:3], 0 offen offset:8
	buffer_load_dword v4, v4, s[0:3], 0 offen offset:12
	s_waitcnt vmcnt(0)
	ds_write_b128 v5, v[1:4]
	s_waitcnt lgkmcnt(0)
	s_barrier
	buffer_gl0_inv
	v_cmpx_gt_u32_e32 44, v0
	s_cbranch_execz .LBB61_203
; %bb.200:
	v_mov_b32_e32 v1, 0
	v_mov_b32_e32 v3, 0
	v_add_nc_u32_e32 v7, -1, v0
	v_add_nc_u32_e32 v8, 0x3e0, v235
	v_mov_b32_e32 v2, 0
	v_mov_b32_e32 v4, 0
	v_add_nc_u32_e32 v9, 16, v235
	s_mov_b32 s5, 0
	.p2align	6
.LBB61_201:                             ; =>This Inner Loop Header: Depth=1
	s_clause 0x3
	buffer_load_dword v14, v9, s[0:3], 0 offen offset:8
	buffer_load_dword v15, v9, s[0:3], 0 offen offset:12
	buffer_load_dword v16, v9, s[0:3], 0 offen
	buffer_load_dword v17, v9, s[0:3], 0 offen offset:4
	ds_read_b128 v[10:13], v8
	v_add_nc_u32_e32 v7, 1, v7
	v_add_nc_u32_e32 v8, 16, v8
	v_add_nc_u32_e32 v9, 16, v9
	v_cmp_lt_u32_e32 vcc_lo, 42, v7
	s_or_b32 s5, vcc_lo, s5
	s_waitcnt vmcnt(2) lgkmcnt(0)
	v_mul_f64 v[18:19], v[12:13], v[14:15]
	v_mul_f64 v[14:15], v[10:11], v[14:15]
	s_waitcnt vmcnt(0)
	v_fma_f64 v[10:11], v[10:11], v[16:17], -v[18:19]
	v_fma_f64 v[12:13], v[12:13], v[16:17], v[14:15]
	v_add_f64 v[3:4], v[3:4], v[10:11]
	v_add_f64 v[1:2], v[1:2], v[12:13]
	s_andn2_b32 exec_lo, exec_lo, s5
	s_cbranch_execnz .LBB61_201
; %bb.202:
	s_or_b32 exec_lo, exec_lo, s5
	v_mov_b32_e32 v7, 0
	ds_read_b128 v[7:10], v7 offset:704
	s_waitcnt lgkmcnt(0)
	v_mul_f64 v[11:12], v[1:2], v[9:10]
	v_mul_f64 v[9:10], v[3:4], v[9:10]
	v_fma_f64 v[3:4], v[3:4], v[7:8], -v[11:12]
	v_fma_f64 v[1:2], v[1:2], v[7:8], v[9:10]
	buffer_store_dword v4, off, s[0:3], 0 offset:724
	buffer_store_dword v3, off, s[0:3], 0 offset:720
	;; [unrolled: 1-line block ×4, first 2 shown]
.LBB61_203:
	s_or_b32 exec_lo, exec_lo, s4
	v_mov_b32_e32 v4, s30
	s_waitcnt_vscnt null, 0x0
	s_barrier
	buffer_gl0_inv
	s_mov_b32 s4, exec_lo
	s_clause 0x3
	buffer_load_dword v1, v4, s[0:3], 0 offen
	buffer_load_dword v2, v4, s[0:3], 0 offen offset:4
	buffer_load_dword v3, v4, s[0:3], 0 offen offset:8
	;; [unrolled: 1-line block ×3, first 2 shown]
	s_waitcnt vmcnt(0)
	ds_write_b128 v5, v[1:4]
	s_waitcnt lgkmcnt(0)
	s_barrier
	buffer_gl0_inv
	v_cmpx_gt_u32_e32 45, v0
	s_cbranch_execz .LBB61_207
; %bb.204:
	v_mov_b32_e32 v1, 0
	v_mov_b32_e32 v3, 0
	v_add_nc_u32_e32 v7, -1, v0
	v_add_nc_u32_e32 v8, 0x3e0, v235
	v_mov_b32_e32 v2, 0
	v_mov_b32_e32 v4, 0
	v_add_nc_u32_e32 v9, 16, v235
	s_mov_b32 s5, 0
	.p2align	6
.LBB61_205:                             ; =>This Inner Loop Header: Depth=1
	s_clause 0x3
	buffer_load_dword v14, v9, s[0:3], 0 offen offset:8
	buffer_load_dword v15, v9, s[0:3], 0 offen offset:12
	buffer_load_dword v16, v9, s[0:3], 0 offen
	buffer_load_dword v17, v9, s[0:3], 0 offen offset:4
	ds_read_b128 v[10:13], v8
	v_add_nc_u32_e32 v7, 1, v7
	v_add_nc_u32_e32 v8, 16, v8
	;; [unrolled: 1-line block ×3, first 2 shown]
	v_cmp_lt_u32_e32 vcc_lo, 43, v7
	s_or_b32 s5, vcc_lo, s5
	s_waitcnt vmcnt(2) lgkmcnt(0)
	v_mul_f64 v[18:19], v[12:13], v[14:15]
	v_mul_f64 v[14:15], v[10:11], v[14:15]
	s_waitcnt vmcnt(0)
	v_fma_f64 v[10:11], v[10:11], v[16:17], -v[18:19]
	v_fma_f64 v[12:13], v[12:13], v[16:17], v[14:15]
	v_add_f64 v[3:4], v[3:4], v[10:11]
	v_add_f64 v[1:2], v[1:2], v[12:13]
	s_andn2_b32 exec_lo, exec_lo, s5
	s_cbranch_execnz .LBB61_205
; %bb.206:
	s_or_b32 exec_lo, exec_lo, s5
	v_mov_b32_e32 v7, 0
	ds_read_b128 v[7:10], v7 offset:720
	s_waitcnt lgkmcnt(0)
	v_mul_f64 v[11:12], v[1:2], v[9:10]
	v_mul_f64 v[9:10], v[3:4], v[9:10]
	v_fma_f64 v[3:4], v[3:4], v[7:8], -v[11:12]
	v_fma_f64 v[1:2], v[1:2], v[7:8], v[9:10]
	buffer_store_dword v4, off, s[0:3], 0 offset:740
	buffer_store_dword v3, off, s[0:3], 0 offset:736
	;; [unrolled: 1-line block ×4, first 2 shown]
.LBB61_207:
	s_or_b32 exec_lo, exec_lo, s4
	v_mov_b32_e32 v4, s29
	s_waitcnt_vscnt null, 0x0
	s_barrier
	buffer_gl0_inv
	s_mov_b32 s4, exec_lo
	s_clause 0x3
	buffer_load_dword v1, v4, s[0:3], 0 offen
	buffer_load_dword v2, v4, s[0:3], 0 offen offset:4
	buffer_load_dword v3, v4, s[0:3], 0 offen offset:8
	;; [unrolled: 1-line block ×3, first 2 shown]
	s_waitcnt vmcnt(0)
	ds_write_b128 v5, v[1:4]
	s_waitcnt lgkmcnt(0)
	s_barrier
	buffer_gl0_inv
	v_cmpx_gt_u32_e32 46, v0
	s_cbranch_execz .LBB61_211
; %bb.208:
	v_mov_b32_e32 v1, 0
	v_mov_b32_e32 v3, 0
	v_add_nc_u32_e32 v7, -1, v0
	v_add_nc_u32_e32 v8, 0x3e0, v235
	v_mov_b32_e32 v2, 0
	v_mov_b32_e32 v4, 0
	v_add_nc_u32_e32 v9, 16, v235
	s_mov_b32 s5, 0
	.p2align	6
.LBB61_209:                             ; =>This Inner Loop Header: Depth=1
	s_clause 0x3
	buffer_load_dword v14, v9, s[0:3], 0 offen offset:8
	buffer_load_dword v15, v9, s[0:3], 0 offen offset:12
	buffer_load_dword v16, v9, s[0:3], 0 offen
	buffer_load_dword v17, v9, s[0:3], 0 offen offset:4
	ds_read_b128 v[10:13], v8
	v_add_nc_u32_e32 v7, 1, v7
	v_add_nc_u32_e32 v8, 16, v8
	;; [unrolled: 1-line block ×3, first 2 shown]
	v_cmp_lt_u32_e32 vcc_lo, 44, v7
	s_or_b32 s5, vcc_lo, s5
	s_waitcnt vmcnt(2) lgkmcnt(0)
	v_mul_f64 v[18:19], v[12:13], v[14:15]
	v_mul_f64 v[14:15], v[10:11], v[14:15]
	s_waitcnt vmcnt(0)
	v_fma_f64 v[10:11], v[10:11], v[16:17], -v[18:19]
	v_fma_f64 v[12:13], v[12:13], v[16:17], v[14:15]
	v_add_f64 v[3:4], v[3:4], v[10:11]
	v_add_f64 v[1:2], v[1:2], v[12:13]
	s_andn2_b32 exec_lo, exec_lo, s5
	s_cbranch_execnz .LBB61_209
; %bb.210:
	s_or_b32 exec_lo, exec_lo, s5
	v_mov_b32_e32 v7, 0
	ds_read_b128 v[7:10], v7 offset:736
	s_waitcnt lgkmcnt(0)
	v_mul_f64 v[11:12], v[1:2], v[9:10]
	v_mul_f64 v[9:10], v[3:4], v[9:10]
	v_fma_f64 v[3:4], v[3:4], v[7:8], -v[11:12]
	v_fma_f64 v[1:2], v[1:2], v[7:8], v[9:10]
	buffer_store_dword v4, off, s[0:3], 0 offset:756
	buffer_store_dword v3, off, s[0:3], 0 offset:752
	;; [unrolled: 1-line block ×4, first 2 shown]
.LBB61_211:
	s_or_b32 exec_lo, exec_lo, s4
	v_mov_b32_e32 v4, s28
	s_waitcnt_vscnt null, 0x0
	s_barrier
	buffer_gl0_inv
	s_mov_b32 s4, exec_lo
	s_clause 0x3
	buffer_load_dword v1, v4, s[0:3], 0 offen
	buffer_load_dword v2, v4, s[0:3], 0 offen offset:4
	buffer_load_dword v3, v4, s[0:3], 0 offen offset:8
	;; [unrolled: 1-line block ×3, first 2 shown]
	s_waitcnt vmcnt(0)
	ds_write_b128 v5, v[1:4]
	s_waitcnt lgkmcnt(0)
	s_barrier
	buffer_gl0_inv
	v_cmpx_gt_u32_e32 47, v0
	s_cbranch_execz .LBB61_215
; %bb.212:
	v_mov_b32_e32 v1, 0
	v_mov_b32_e32 v3, 0
	v_add_nc_u32_e32 v7, -1, v0
	v_add_nc_u32_e32 v8, 0x3e0, v235
	v_mov_b32_e32 v2, 0
	v_mov_b32_e32 v4, 0
	v_add_nc_u32_e32 v9, 16, v235
	s_mov_b32 s5, 0
	.p2align	6
.LBB61_213:                             ; =>This Inner Loop Header: Depth=1
	s_clause 0x3
	buffer_load_dword v14, v9, s[0:3], 0 offen offset:8
	buffer_load_dword v15, v9, s[0:3], 0 offen offset:12
	buffer_load_dword v16, v9, s[0:3], 0 offen
	buffer_load_dword v17, v9, s[0:3], 0 offen offset:4
	ds_read_b128 v[10:13], v8
	v_add_nc_u32_e32 v7, 1, v7
	v_add_nc_u32_e32 v8, 16, v8
	;; [unrolled: 1-line block ×3, first 2 shown]
	v_cmp_lt_u32_e32 vcc_lo, 45, v7
	s_or_b32 s5, vcc_lo, s5
	s_waitcnt vmcnt(2) lgkmcnt(0)
	v_mul_f64 v[18:19], v[12:13], v[14:15]
	v_mul_f64 v[14:15], v[10:11], v[14:15]
	s_waitcnt vmcnt(0)
	v_fma_f64 v[10:11], v[10:11], v[16:17], -v[18:19]
	v_fma_f64 v[12:13], v[12:13], v[16:17], v[14:15]
	v_add_f64 v[3:4], v[3:4], v[10:11]
	v_add_f64 v[1:2], v[1:2], v[12:13]
	s_andn2_b32 exec_lo, exec_lo, s5
	s_cbranch_execnz .LBB61_213
; %bb.214:
	s_or_b32 exec_lo, exec_lo, s5
	v_mov_b32_e32 v7, 0
	ds_read_b128 v[7:10], v7 offset:752
	s_waitcnt lgkmcnt(0)
	v_mul_f64 v[11:12], v[1:2], v[9:10]
	v_mul_f64 v[9:10], v[3:4], v[9:10]
	v_fma_f64 v[3:4], v[3:4], v[7:8], -v[11:12]
	v_fma_f64 v[1:2], v[1:2], v[7:8], v[9:10]
	buffer_store_dword v4, off, s[0:3], 0 offset:772
	buffer_store_dword v3, off, s[0:3], 0 offset:768
	buffer_store_dword v2, off, s[0:3], 0 offset:780
	buffer_store_dword v1, off, s[0:3], 0 offset:776
.LBB61_215:
	s_or_b32 exec_lo, exec_lo, s4
	v_mov_b32_e32 v4, s27
	s_waitcnt_vscnt null, 0x0
	s_barrier
	buffer_gl0_inv
	s_mov_b32 s4, exec_lo
	s_clause 0x3
	buffer_load_dword v1, v4, s[0:3], 0 offen
	buffer_load_dword v2, v4, s[0:3], 0 offen offset:4
	buffer_load_dword v3, v4, s[0:3], 0 offen offset:8
	;; [unrolled: 1-line block ×3, first 2 shown]
	s_waitcnt vmcnt(0)
	ds_write_b128 v5, v[1:4]
	s_waitcnt lgkmcnt(0)
	s_barrier
	buffer_gl0_inv
	v_cmpx_gt_u32_e32 48, v0
	s_cbranch_execz .LBB61_219
; %bb.216:
	v_mov_b32_e32 v1, 0
	v_mov_b32_e32 v3, 0
	v_add_nc_u32_e32 v7, -1, v0
	v_add_nc_u32_e32 v8, 0x3e0, v235
	v_mov_b32_e32 v2, 0
	v_mov_b32_e32 v4, 0
	v_add_nc_u32_e32 v9, 16, v235
	s_mov_b32 s5, 0
	.p2align	6
.LBB61_217:                             ; =>This Inner Loop Header: Depth=1
	s_clause 0x3
	buffer_load_dword v14, v9, s[0:3], 0 offen offset:8
	buffer_load_dword v15, v9, s[0:3], 0 offen offset:12
	buffer_load_dword v16, v9, s[0:3], 0 offen
	buffer_load_dword v17, v9, s[0:3], 0 offen offset:4
	ds_read_b128 v[10:13], v8
	v_add_nc_u32_e32 v7, 1, v7
	v_add_nc_u32_e32 v8, 16, v8
	;; [unrolled: 1-line block ×3, first 2 shown]
	v_cmp_lt_u32_e32 vcc_lo, 46, v7
	s_or_b32 s5, vcc_lo, s5
	s_waitcnt vmcnt(2) lgkmcnt(0)
	v_mul_f64 v[18:19], v[12:13], v[14:15]
	v_mul_f64 v[14:15], v[10:11], v[14:15]
	s_waitcnt vmcnt(0)
	v_fma_f64 v[10:11], v[10:11], v[16:17], -v[18:19]
	v_fma_f64 v[12:13], v[12:13], v[16:17], v[14:15]
	v_add_f64 v[3:4], v[3:4], v[10:11]
	v_add_f64 v[1:2], v[1:2], v[12:13]
	s_andn2_b32 exec_lo, exec_lo, s5
	s_cbranch_execnz .LBB61_217
; %bb.218:
	s_or_b32 exec_lo, exec_lo, s5
	v_mov_b32_e32 v7, 0
	ds_read_b128 v[7:10], v7 offset:768
	s_waitcnt lgkmcnt(0)
	v_mul_f64 v[11:12], v[1:2], v[9:10]
	v_mul_f64 v[9:10], v[3:4], v[9:10]
	v_fma_f64 v[3:4], v[3:4], v[7:8], -v[11:12]
	v_fma_f64 v[1:2], v[1:2], v[7:8], v[9:10]
	buffer_store_dword v4, off, s[0:3], 0 offset:788
	buffer_store_dword v3, off, s[0:3], 0 offset:784
	;; [unrolled: 1-line block ×4, first 2 shown]
.LBB61_219:
	s_or_b32 exec_lo, exec_lo, s4
	v_mov_b32_e32 v4, s26
	s_waitcnt_vscnt null, 0x0
	s_barrier
	buffer_gl0_inv
	s_mov_b32 s4, exec_lo
	s_clause 0x3
	buffer_load_dword v1, v4, s[0:3], 0 offen
	buffer_load_dword v2, v4, s[0:3], 0 offen offset:4
	buffer_load_dword v3, v4, s[0:3], 0 offen offset:8
	;; [unrolled: 1-line block ×3, first 2 shown]
	s_waitcnt vmcnt(0)
	ds_write_b128 v5, v[1:4]
	s_waitcnt lgkmcnt(0)
	s_barrier
	buffer_gl0_inv
	v_cmpx_gt_u32_e32 49, v0
	s_cbranch_execz .LBB61_223
; %bb.220:
	v_mov_b32_e32 v1, 0
	v_mov_b32_e32 v3, 0
	v_add_nc_u32_e32 v7, -1, v0
	v_add_nc_u32_e32 v8, 0x3e0, v235
	v_mov_b32_e32 v2, 0
	v_mov_b32_e32 v4, 0
	v_add_nc_u32_e32 v9, 16, v235
	s_mov_b32 s5, 0
	.p2align	6
.LBB61_221:                             ; =>This Inner Loop Header: Depth=1
	s_clause 0x3
	buffer_load_dword v14, v9, s[0:3], 0 offen offset:8
	buffer_load_dword v15, v9, s[0:3], 0 offen offset:12
	buffer_load_dword v16, v9, s[0:3], 0 offen
	buffer_load_dword v17, v9, s[0:3], 0 offen offset:4
	ds_read_b128 v[10:13], v8
	v_add_nc_u32_e32 v7, 1, v7
	v_add_nc_u32_e32 v8, 16, v8
	;; [unrolled: 1-line block ×3, first 2 shown]
	v_cmp_lt_u32_e32 vcc_lo, 47, v7
	s_or_b32 s5, vcc_lo, s5
	s_waitcnt vmcnt(2) lgkmcnt(0)
	v_mul_f64 v[18:19], v[12:13], v[14:15]
	v_mul_f64 v[14:15], v[10:11], v[14:15]
	s_waitcnt vmcnt(0)
	v_fma_f64 v[10:11], v[10:11], v[16:17], -v[18:19]
	v_fma_f64 v[12:13], v[12:13], v[16:17], v[14:15]
	v_add_f64 v[3:4], v[3:4], v[10:11]
	v_add_f64 v[1:2], v[1:2], v[12:13]
	s_andn2_b32 exec_lo, exec_lo, s5
	s_cbranch_execnz .LBB61_221
; %bb.222:
	s_or_b32 exec_lo, exec_lo, s5
	v_mov_b32_e32 v7, 0
	ds_read_b128 v[7:10], v7 offset:784
	s_waitcnt lgkmcnt(0)
	v_mul_f64 v[11:12], v[1:2], v[9:10]
	v_mul_f64 v[9:10], v[3:4], v[9:10]
	v_fma_f64 v[3:4], v[3:4], v[7:8], -v[11:12]
	v_fma_f64 v[1:2], v[1:2], v[7:8], v[9:10]
	buffer_store_dword v4, off, s[0:3], 0 offset:804
	buffer_store_dword v3, off, s[0:3], 0 offset:800
	;; [unrolled: 1-line block ×4, first 2 shown]
.LBB61_223:
	s_or_b32 exec_lo, exec_lo, s4
	v_mov_b32_e32 v4, s25
	s_waitcnt_vscnt null, 0x0
	s_barrier
	buffer_gl0_inv
	s_mov_b32 s4, exec_lo
	s_clause 0x3
	buffer_load_dword v1, v4, s[0:3], 0 offen
	buffer_load_dword v2, v4, s[0:3], 0 offen offset:4
	buffer_load_dword v3, v4, s[0:3], 0 offen offset:8
	;; [unrolled: 1-line block ×3, first 2 shown]
	s_waitcnt vmcnt(0)
	ds_write_b128 v5, v[1:4]
	s_waitcnt lgkmcnt(0)
	s_barrier
	buffer_gl0_inv
	v_cmpx_gt_u32_e32 50, v0
	s_cbranch_execz .LBB61_227
; %bb.224:
	v_mov_b32_e32 v1, 0
	v_mov_b32_e32 v3, 0
	v_add_nc_u32_e32 v7, -1, v0
	v_add_nc_u32_e32 v8, 0x3e0, v235
	v_mov_b32_e32 v2, 0
	v_mov_b32_e32 v4, 0
	v_add_nc_u32_e32 v9, 16, v235
	s_mov_b32 s5, 0
	.p2align	6
.LBB61_225:                             ; =>This Inner Loop Header: Depth=1
	s_clause 0x3
	buffer_load_dword v14, v9, s[0:3], 0 offen offset:8
	buffer_load_dword v15, v9, s[0:3], 0 offen offset:12
	buffer_load_dword v16, v9, s[0:3], 0 offen
	buffer_load_dword v17, v9, s[0:3], 0 offen offset:4
	ds_read_b128 v[10:13], v8
	v_add_nc_u32_e32 v7, 1, v7
	v_add_nc_u32_e32 v8, 16, v8
	;; [unrolled: 1-line block ×3, first 2 shown]
	v_cmp_lt_u32_e32 vcc_lo, 48, v7
	s_or_b32 s5, vcc_lo, s5
	s_waitcnt vmcnt(2) lgkmcnt(0)
	v_mul_f64 v[18:19], v[12:13], v[14:15]
	v_mul_f64 v[14:15], v[10:11], v[14:15]
	s_waitcnt vmcnt(0)
	v_fma_f64 v[10:11], v[10:11], v[16:17], -v[18:19]
	v_fma_f64 v[12:13], v[12:13], v[16:17], v[14:15]
	v_add_f64 v[3:4], v[3:4], v[10:11]
	v_add_f64 v[1:2], v[1:2], v[12:13]
	s_andn2_b32 exec_lo, exec_lo, s5
	s_cbranch_execnz .LBB61_225
; %bb.226:
	s_or_b32 exec_lo, exec_lo, s5
	v_mov_b32_e32 v7, 0
	ds_read_b128 v[7:10], v7 offset:800
	s_waitcnt lgkmcnt(0)
	v_mul_f64 v[11:12], v[1:2], v[9:10]
	v_mul_f64 v[9:10], v[3:4], v[9:10]
	v_fma_f64 v[3:4], v[3:4], v[7:8], -v[11:12]
	v_fma_f64 v[1:2], v[1:2], v[7:8], v[9:10]
	buffer_store_dword v4, off, s[0:3], 0 offset:820
	buffer_store_dword v3, off, s[0:3], 0 offset:816
	;; [unrolled: 1-line block ×4, first 2 shown]
.LBB61_227:
	s_or_b32 exec_lo, exec_lo, s4
	v_mov_b32_e32 v4, s24
	s_waitcnt_vscnt null, 0x0
	s_barrier
	buffer_gl0_inv
	s_mov_b32 s4, exec_lo
	s_clause 0x3
	buffer_load_dword v1, v4, s[0:3], 0 offen
	buffer_load_dword v2, v4, s[0:3], 0 offen offset:4
	buffer_load_dword v3, v4, s[0:3], 0 offen offset:8
	;; [unrolled: 1-line block ×3, first 2 shown]
	s_waitcnt vmcnt(0)
	ds_write_b128 v5, v[1:4]
	s_waitcnt lgkmcnt(0)
	s_barrier
	buffer_gl0_inv
	v_cmpx_gt_u32_e32 51, v0
	s_cbranch_execz .LBB61_231
; %bb.228:
	v_mov_b32_e32 v1, 0
	v_mov_b32_e32 v3, 0
	v_add_nc_u32_e32 v7, -1, v0
	v_add_nc_u32_e32 v8, 0x3e0, v235
	v_mov_b32_e32 v2, 0
	v_mov_b32_e32 v4, 0
	v_add_nc_u32_e32 v9, 16, v235
	s_mov_b32 s5, 0
	.p2align	6
.LBB61_229:                             ; =>This Inner Loop Header: Depth=1
	s_clause 0x3
	buffer_load_dword v14, v9, s[0:3], 0 offen offset:8
	buffer_load_dword v15, v9, s[0:3], 0 offen offset:12
	buffer_load_dword v16, v9, s[0:3], 0 offen
	buffer_load_dword v17, v9, s[0:3], 0 offen offset:4
	ds_read_b128 v[10:13], v8
	v_add_nc_u32_e32 v7, 1, v7
	v_add_nc_u32_e32 v8, 16, v8
	;; [unrolled: 1-line block ×3, first 2 shown]
	v_cmp_lt_u32_e32 vcc_lo, 49, v7
	s_or_b32 s5, vcc_lo, s5
	s_waitcnt vmcnt(2) lgkmcnt(0)
	v_mul_f64 v[18:19], v[12:13], v[14:15]
	v_mul_f64 v[14:15], v[10:11], v[14:15]
	s_waitcnt vmcnt(0)
	v_fma_f64 v[10:11], v[10:11], v[16:17], -v[18:19]
	v_fma_f64 v[12:13], v[12:13], v[16:17], v[14:15]
	v_add_f64 v[3:4], v[3:4], v[10:11]
	v_add_f64 v[1:2], v[1:2], v[12:13]
	s_andn2_b32 exec_lo, exec_lo, s5
	s_cbranch_execnz .LBB61_229
; %bb.230:
	s_or_b32 exec_lo, exec_lo, s5
	v_mov_b32_e32 v7, 0
	ds_read_b128 v[7:10], v7 offset:816
	s_waitcnt lgkmcnt(0)
	v_mul_f64 v[11:12], v[1:2], v[9:10]
	v_mul_f64 v[9:10], v[3:4], v[9:10]
	v_fma_f64 v[3:4], v[3:4], v[7:8], -v[11:12]
	v_fma_f64 v[1:2], v[1:2], v[7:8], v[9:10]
	buffer_store_dword v4, off, s[0:3], 0 offset:836
	buffer_store_dword v3, off, s[0:3], 0 offset:832
	;; [unrolled: 1-line block ×4, first 2 shown]
.LBB61_231:
	s_or_b32 exec_lo, exec_lo, s4
	v_mov_b32_e32 v4, s23
	s_waitcnt_vscnt null, 0x0
	s_barrier
	buffer_gl0_inv
	s_mov_b32 s4, exec_lo
	s_clause 0x3
	buffer_load_dword v1, v4, s[0:3], 0 offen
	buffer_load_dword v2, v4, s[0:3], 0 offen offset:4
	buffer_load_dword v3, v4, s[0:3], 0 offen offset:8
	;; [unrolled: 1-line block ×3, first 2 shown]
	s_waitcnt vmcnt(0)
	ds_write_b128 v5, v[1:4]
	s_waitcnt lgkmcnt(0)
	s_barrier
	buffer_gl0_inv
	v_cmpx_gt_u32_e32 52, v0
	s_cbranch_execz .LBB61_235
; %bb.232:
	v_mov_b32_e32 v1, 0
	v_mov_b32_e32 v3, 0
	v_add_nc_u32_e32 v7, -1, v0
	v_add_nc_u32_e32 v8, 0x3e0, v235
	v_mov_b32_e32 v2, 0
	v_mov_b32_e32 v4, 0
	v_add_nc_u32_e32 v9, 16, v235
	s_mov_b32 s5, 0
	.p2align	6
.LBB61_233:                             ; =>This Inner Loop Header: Depth=1
	s_clause 0x3
	buffer_load_dword v14, v9, s[0:3], 0 offen offset:8
	buffer_load_dword v15, v9, s[0:3], 0 offen offset:12
	buffer_load_dword v16, v9, s[0:3], 0 offen
	buffer_load_dword v17, v9, s[0:3], 0 offen offset:4
	ds_read_b128 v[10:13], v8
	v_add_nc_u32_e32 v7, 1, v7
	v_add_nc_u32_e32 v8, 16, v8
	;; [unrolled: 1-line block ×3, first 2 shown]
	v_cmp_lt_u32_e32 vcc_lo, 50, v7
	s_or_b32 s5, vcc_lo, s5
	s_waitcnt vmcnt(2) lgkmcnt(0)
	v_mul_f64 v[18:19], v[12:13], v[14:15]
	v_mul_f64 v[14:15], v[10:11], v[14:15]
	s_waitcnt vmcnt(0)
	v_fma_f64 v[10:11], v[10:11], v[16:17], -v[18:19]
	v_fma_f64 v[12:13], v[12:13], v[16:17], v[14:15]
	v_add_f64 v[3:4], v[3:4], v[10:11]
	v_add_f64 v[1:2], v[1:2], v[12:13]
	s_andn2_b32 exec_lo, exec_lo, s5
	s_cbranch_execnz .LBB61_233
; %bb.234:
	s_or_b32 exec_lo, exec_lo, s5
	v_mov_b32_e32 v7, 0
	ds_read_b128 v[7:10], v7 offset:832
	s_waitcnt lgkmcnt(0)
	v_mul_f64 v[11:12], v[1:2], v[9:10]
	v_mul_f64 v[9:10], v[3:4], v[9:10]
	v_fma_f64 v[3:4], v[3:4], v[7:8], -v[11:12]
	v_fma_f64 v[1:2], v[1:2], v[7:8], v[9:10]
	buffer_store_dword v4, off, s[0:3], 0 offset:852
	buffer_store_dword v3, off, s[0:3], 0 offset:848
	;; [unrolled: 1-line block ×4, first 2 shown]
.LBB61_235:
	s_or_b32 exec_lo, exec_lo, s4
	v_mov_b32_e32 v4, s22
	s_waitcnt_vscnt null, 0x0
	s_barrier
	buffer_gl0_inv
	s_mov_b32 s4, exec_lo
	s_clause 0x3
	buffer_load_dword v1, v4, s[0:3], 0 offen
	buffer_load_dword v2, v4, s[0:3], 0 offen offset:4
	buffer_load_dword v3, v4, s[0:3], 0 offen offset:8
	;; [unrolled: 1-line block ×3, first 2 shown]
	s_waitcnt vmcnt(0)
	ds_write_b128 v5, v[1:4]
	s_waitcnt lgkmcnt(0)
	s_barrier
	buffer_gl0_inv
	v_cmpx_gt_u32_e32 53, v0
	s_cbranch_execz .LBB61_239
; %bb.236:
	v_mov_b32_e32 v1, 0
	v_mov_b32_e32 v3, 0
	v_add_nc_u32_e32 v7, -1, v0
	v_add_nc_u32_e32 v8, 0x3e0, v235
	v_mov_b32_e32 v2, 0
	v_mov_b32_e32 v4, 0
	v_add_nc_u32_e32 v9, 16, v235
	s_mov_b32 s5, 0
	.p2align	6
.LBB61_237:                             ; =>This Inner Loop Header: Depth=1
	s_clause 0x3
	buffer_load_dword v14, v9, s[0:3], 0 offen offset:8
	buffer_load_dword v15, v9, s[0:3], 0 offen offset:12
	buffer_load_dword v16, v9, s[0:3], 0 offen
	buffer_load_dword v17, v9, s[0:3], 0 offen offset:4
	ds_read_b128 v[10:13], v8
	v_add_nc_u32_e32 v7, 1, v7
	v_add_nc_u32_e32 v8, 16, v8
	;; [unrolled: 1-line block ×3, first 2 shown]
	v_cmp_lt_u32_e32 vcc_lo, 51, v7
	s_or_b32 s5, vcc_lo, s5
	s_waitcnt vmcnt(2) lgkmcnt(0)
	v_mul_f64 v[18:19], v[12:13], v[14:15]
	v_mul_f64 v[14:15], v[10:11], v[14:15]
	s_waitcnt vmcnt(0)
	v_fma_f64 v[10:11], v[10:11], v[16:17], -v[18:19]
	v_fma_f64 v[12:13], v[12:13], v[16:17], v[14:15]
	v_add_f64 v[3:4], v[3:4], v[10:11]
	v_add_f64 v[1:2], v[1:2], v[12:13]
	s_andn2_b32 exec_lo, exec_lo, s5
	s_cbranch_execnz .LBB61_237
; %bb.238:
	s_or_b32 exec_lo, exec_lo, s5
	v_mov_b32_e32 v7, 0
	ds_read_b128 v[7:10], v7 offset:848
	s_waitcnt lgkmcnt(0)
	v_mul_f64 v[11:12], v[1:2], v[9:10]
	v_mul_f64 v[9:10], v[3:4], v[9:10]
	v_fma_f64 v[3:4], v[3:4], v[7:8], -v[11:12]
	v_fma_f64 v[1:2], v[1:2], v[7:8], v[9:10]
	buffer_store_dword v4, off, s[0:3], 0 offset:868
	buffer_store_dword v3, off, s[0:3], 0 offset:864
	;; [unrolled: 1-line block ×4, first 2 shown]
.LBB61_239:
	s_or_b32 exec_lo, exec_lo, s4
	v_mov_b32_e32 v4, s19
	s_waitcnt_vscnt null, 0x0
	s_barrier
	buffer_gl0_inv
	s_mov_b32 s4, exec_lo
	s_clause 0x3
	buffer_load_dword v1, v4, s[0:3], 0 offen
	buffer_load_dword v2, v4, s[0:3], 0 offen offset:4
	buffer_load_dword v3, v4, s[0:3], 0 offen offset:8
	;; [unrolled: 1-line block ×3, first 2 shown]
	s_waitcnt vmcnt(0)
	ds_write_b128 v5, v[1:4]
	s_waitcnt lgkmcnt(0)
	s_barrier
	buffer_gl0_inv
	v_cmpx_gt_u32_e32 54, v0
	s_cbranch_execz .LBB61_243
; %bb.240:
	v_mov_b32_e32 v1, 0
	v_mov_b32_e32 v3, 0
	v_add_nc_u32_e32 v7, -1, v0
	v_add_nc_u32_e32 v8, 0x3e0, v235
	v_mov_b32_e32 v2, 0
	v_mov_b32_e32 v4, 0
	v_add_nc_u32_e32 v9, 16, v235
	s_mov_b32 s5, 0
	.p2align	6
.LBB61_241:                             ; =>This Inner Loop Header: Depth=1
	s_clause 0x3
	buffer_load_dword v14, v9, s[0:3], 0 offen offset:8
	buffer_load_dword v15, v9, s[0:3], 0 offen offset:12
	buffer_load_dword v16, v9, s[0:3], 0 offen
	buffer_load_dword v17, v9, s[0:3], 0 offen offset:4
	ds_read_b128 v[10:13], v8
	v_add_nc_u32_e32 v7, 1, v7
	v_add_nc_u32_e32 v8, 16, v8
	;; [unrolled: 1-line block ×3, first 2 shown]
	v_cmp_lt_u32_e32 vcc_lo, 52, v7
	s_or_b32 s5, vcc_lo, s5
	s_waitcnt vmcnt(2) lgkmcnt(0)
	v_mul_f64 v[18:19], v[12:13], v[14:15]
	v_mul_f64 v[14:15], v[10:11], v[14:15]
	s_waitcnt vmcnt(0)
	v_fma_f64 v[10:11], v[10:11], v[16:17], -v[18:19]
	v_fma_f64 v[12:13], v[12:13], v[16:17], v[14:15]
	v_add_f64 v[3:4], v[3:4], v[10:11]
	v_add_f64 v[1:2], v[1:2], v[12:13]
	s_andn2_b32 exec_lo, exec_lo, s5
	s_cbranch_execnz .LBB61_241
; %bb.242:
	s_or_b32 exec_lo, exec_lo, s5
	v_mov_b32_e32 v7, 0
	ds_read_b128 v[7:10], v7 offset:864
	s_waitcnt lgkmcnt(0)
	v_mul_f64 v[11:12], v[1:2], v[9:10]
	v_mul_f64 v[9:10], v[3:4], v[9:10]
	v_fma_f64 v[3:4], v[3:4], v[7:8], -v[11:12]
	v_fma_f64 v[1:2], v[1:2], v[7:8], v[9:10]
	buffer_store_dword v4, off, s[0:3], 0 offset:884
	buffer_store_dword v3, off, s[0:3], 0 offset:880
	;; [unrolled: 1-line block ×4, first 2 shown]
.LBB61_243:
	s_or_b32 exec_lo, exec_lo, s4
	v_mov_b32_e32 v4, s18
	s_waitcnt_vscnt null, 0x0
	s_barrier
	buffer_gl0_inv
	s_mov_b32 s4, exec_lo
	s_clause 0x3
	buffer_load_dword v1, v4, s[0:3], 0 offen
	buffer_load_dword v2, v4, s[0:3], 0 offen offset:4
	buffer_load_dword v3, v4, s[0:3], 0 offen offset:8
	;; [unrolled: 1-line block ×3, first 2 shown]
	s_waitcnt vmcnt(0)
	ds_write_b128 v5, v[1:4]
	s_waitcnt lgkmcnt(0)
	s_barrier
	buffer_gl0_inv
	v_cmpx_gt_u32_e32 55, v0
	s_cbranch_execz .LBB61_247
; %bb.244:
	v_mov_b32_e32 v1, 0
	v_mov_b32_e32 v3, 0
	v_add_nc_u32_e32 v7, -1, v0
	v_add_nc_u32_e32 v8, 0x3e0, v235
	v_mov_b32_e32 v2, 0
	v_mov_b32_e32 v4, 0
	v_add_nc_u32_e32 v9, 16, v235
	s_mov_b32 s5, 0
	.p2align	6
.LBB61_245:                             ; =>This Inner Loop Header: Depth=1
	s_clause 0x3
	buffer_load_dword v14, v9, s[0:3], 0 offen offset:8
	buffer_load_dword v15, v9, s[0:3], 0 offen offset:12
	buffer_load_dword v16, v9, s[0:3], 0 offen
	buffer_load_dword v17, v9, s[0:3], 0 offen offset:4
	ds_read_b128 v[10:13], v8
	v_add_nc_u32_e32 v7, 1, v7
	v_add_nc_u32_e32 v8, 16, v8
	v_add_nc_u32_e32 v9, 16, v9
	v_cmp_lt_u32_e32 vcc_lo, 53, v7
	s_or_b32 s5, vcc_lo, s5
	s_waitcnt vmcnt(2) lgkmcnt(0)
	v_mul_f64 v[18:19], v[12:13], v[14:15]
	v_mul_f64 v[14:15], v[10:11], v[14:15]
	s_waitcnt vmcnt(0)
	v_fma_f64 v[10:11], v[10:11], v[16:17], -v[18:19]
	v_fma_f64 v[12:13], v[12:13], v[16:17], v[14:15]
	v_add_f64 v[3:4], v[3:4], v[10:11]
	v_add_f64 v[1:2], v[1:2], v[12:13]
	s_andn2_b32 exec_lo, exec_lo, s5
	s_cbranch_execnz .LBB61_245
; %bb.246:
	s_or_b32 exec_lo, exec_lo, s5
	v_mov_b32_e32 v7, 0
	ds_read_b128 v[7:10], v7 offset:880
	s_waitcnt lgkmcnt(0)
	v_mul_f64 v[11:12], v[1:2], v[9:10]
	v_mul_f64 v[9:10], v[3:4], v[9:10]
	v_fma_f64 v[3:4], v[3:4], v[7:8], -v[11:12]
	v_fma_f64 v[1:2], v[1:2], v[7:8], v[9:10]
	buffer_store_dword v4, off, s[0:3], 0 offset:900
	buffer_store_dword v3, off, s[0:3], 0 offset:896
	;; [unrolled: 1-line block ×4, first 2 shown]
.LBB61_247:
	s_or_b32 exec_lo, exec_lo, s4
	v_mov_b32_e32 v4, s17
	s_waitcnt_vscnt null, 0x0
	s_barrier
	buffer_gl0_inv
	s_mov_b32 s4, exec_lo
	s_clause 0x3
	buffer_load_dword v1, v4, s[0:3], 0 offen
	buffer_load_dword v2, v4, s[0:3], 0 offen offset:4
	buffer_load_dword v3, v4, s[0:3], 0 offen offset:8
	;; [unrolled: 1-line block ×3, first 2 shown]
	s_waitcnt vmcnt(0)
	ds_write_b128 v5, v[1:4]
	s_waitcnt lgkmcnt(0)
	s_barrier
	buffer_gl0_inv
	v_cmpx_gt_u32_e32 56, v0
	s_cbranch_execz .LBB61_251
; %bb.248:
	v_mov_b32_e32 v1, 0
	v_mov_b32_e32 v3, 0
	v_add_nc_u32_e32 v7, -1, v0
	v_add_nc_u32_e32 v8, 0x3e0, v235
	v_mov_b32_e32 v2, 0
	v_mov_b32_e32 v4, 0
	v_add_nc_u32_e32 v9, 16, v235
	s_mov_b32 s5, 0
	.p2align	6
.LBB61_249:                             ; =>This Inner Loop Header: Depth=1
	s_clause 0x3
	buffer_load_dword v14, v9, s[0:3], 0 offen offset:8
	buffer_load_dword v15, v9, s[0:3], 0 offen offset:12
	buffer_load_dword v16, v9, s[0:3], 0 offen
	buffer_load_dword v17, v9, s[0:3], 0 offen offset:4
	ds_read_b128 v[10:13], v8
	v_add_nc_u32_e32 v7, 1, v7
	v_add_nc_u32_e32 v8, 16, v8
	;; [unrolled: 1-line block ×3, first 2 shown]
	v_cmp_lt_u32_e32 vcc_lo, 54, v7
	s_or_b32 s5, vcc_lo, s5
	s_waitcnt vmcnt(2) lgkmcnt(0)
	v_mul_f64 v[18:19], v[12:13], v[14:15]
	v_mul_f64 v[14:15], v[10:11], v[14:15]
	s_waitcnt vmcnt(0)
	v_fma_f64 v[10:11], v[10:11], v[16:17], -v[18:19]
	v_fma_f64 v[12:13], v[12:13], v[16:17], v[14:15]
	v_add_f64 v[3:4], v[3:4], v[10:11]
	v_add_f64 v[1:2], v[1:2], v[12:13]
	s_andn2_b32 exec_lo, exec_lo, s5
	s_cbranch_execnz .LBB61_249
; %bb.250:
	s_or_b32 exec_lo, exec_lo, s5
	v_mov_b32_e32 v7, 0
	ds_read_b128 v[7:10], v7 offset:896
	s_waitcnt lgkmcnt(0)
	v_mul_f64 v[11:12], v[1:2], v[9:10]
	v_mul_f64 v[9:10], v[3:4], v[9:10]
	v_fma_f64 v[3:4], v[3:4], v[7:8], -v[11:12]
	v_fma_f64 v[1:2], v[1:2], v[7:8], v[9:10]
	buffer_store_dword v4, off, s[0:3], 0 offset:916
	buffer_store_dword v3, off, s[0:3], 0 offset:912
	;; [unrolled: 1-line block ×4, first 2 shown]
.LBB61_251:
	s_or_b32 exec_lo, exec_lo, s4
	v_mov_b32_e32 v4, s16
	s_waitcnt_vscnt null, 0x0
	s_barrier
	buffer_gl0_inv
	s_mov_b32 s4, exec_lo
	s_clause 0x3
	buffer_load_dword v1, v4, s[0:3], 0 offen
	buffer_load_dword v2, v4, s[0:3], 0 offen offset:4
	buffer_load_dword v3, v4, s[0:3], 0 offen offset:8
	;; [unrolled: 1-line block ×3, first 2 shown]
	s_waitcnt vmcnt(0)
	ds_write_b128 v5, v[1:4]
	s_waitcnt lgkmcnt(0)
	s_barrier
	buffer_gl0_inv
	v_cmpx_gt_u32_e32 57, v0
	s_cbranch_execz .LBB61_255
; %bb.252:
	v_mov_b32_e32 v1, 0
	v_mov_b32_e32 v3, 0
	v_add_nc_u32_e32 v7, -1, v0
	v_add_nc_u32_e32 v8, 0x3e0, v235
	v_mov_b32_e32 v2, 0
	v_mov_b32_e32 v4, 0
	v_add_nc_u32_e32 v9, 16, v235
	s_mov_b32 s5, 0
	.p2align	6
.LBB61_253:                             ; =>This Inner Loop Header: Depth=1
	s_clause 0x3
	buffer_load_dword v14, v9, s[0:3], 0 offen offset:8
	buffer_load_dword v15, v9, s[0:3], 0 offen offset:12
	buffer_load_dword v16, v9, s[0:3], 0 offen
	buffer_load_dword v17, v9, s[0:3], 0 offen offset:4
	ds_read_b128 v[10:13], v8
	v_add_nc_u32_e32 v7, 1, v7
	v_add_nc_u32_e32 v8, 16, v8
	;; [unrolled: 1-line block ×3, first 2 shown]
	v_cmp_lt_u32_e32 vcc_lo, 55, v7
	s_or_b32 s5, vcc_lo, s5
	s_waitcnt vmcnt(2) lgkmcnt(0)
	v_mul_f64 v[18:19], v[12:13], v[14:15]
	v_mul_f64 v[14:15], v[10:11], v[14:15]
	s_waitcnt vmcnt(0)
	v_fma_f64 v[10:11], v[10:11], v[16:17], -v[18:19]
	v_fma_f64 v[12:13], v[12:13], v[16:17], v[14:15]
	v_add_f64 v[3:4], v[3:4], v[10:11]
	v_add_f64 v[1:2], v[1:2], v[12:13]
	s_andn2_b32 exec_lo, exec_lo, s5
	s_cbranch_execnz .LBB61_253
; %bb.254:
	s_or_b32 exec_lo, exec_lo, s5
	v_mov_b32_e32 v7, 0
	ds_read_b128 v[7:10], v7 offset:912
	s_waitcnt lgkmcnt(0)
	v_mul_f64 v[11:12], v[1:2], v[9:10]
	v_mul_f64 v[9:10], v[3:4], v[9:10]
	v_fma_f64 v[3:4], v[3:4], v[7:8], -v[11:12]
	v_fma_f64 v[1:2], v[1:2], v[7:8], v[9:10]
	buffer_store_dword v4, off, s[0:3], 0 offset:932
	buffer_store_dword v3, off, s[0:3], 0 offset:928
	;; [unrolled: 1-line block ×4, first 2 shown]
.LBB61_255:
	s_or_b32 exec_lo, exec_lo, s4
	v_mov_b32_e32 v4, s15
	s_waitcnt_vscnt null, 0x0
	s_barrier
	buffer_gl0_inv
	s_mov_b32 s4, exec_lo
	s_clause 0x3
	buffer_load_dword v1, v4, s[0:3], 0 offen
	buffer_load_dword v2, v4, s[0:3], 0 offen offset:4
	buffer_load_dword v3, v4, s[0:3], 0 offen offset:8
	;; [unrolled: 1-line block ×3, first 2 shown]
	s_waitcnt vmcnt(0)
	ds_write_b128 v5, v[1:4]
	s_waitcnt lgkmcnt(0)
	s_barrier
	buffer_gl0_inv
	v_cmpx_gt_u32_e32 58, v0
	s_cbranch_execz .LBB61_259
; %bb.256:
	v_mov_b32_e32 v1, 0
	v_mov_b32_e32 v3, 0
	v_add_nc_u32_e32 v7, -1, v0
	v_add_nc_u32_e32 v8, 0x3e0, v235
	v_mov_b32_e32 v2, 0
	v_mov_b32_e32 v4, 0
	v_add_nc_u32_e32 v9, 16, v235
	s_mov_b32 s5, 0
	.p2align	6
.LBB61_257:                             ; =>This Inner Loop Header: Depth=1
	s_clause 0x3
	buffer_load_dword v14, v9, s[0:3], 0 offen offset:8
	buffer_load_dword v15, v9, s[0:3], 0 offen offset:12
	buffer_load_dword v16, v9, s[0:3], 0 offen
	buffer_load_dword v17, v9, s[0:3], 0 offen offset:4
	ds_read_b128 v[10:13], v8
	v_add_nc_u32_e32 v7, 1, v7
	v_add_nc_u32_e32 v8, 16, v8
	;; [unrolled: 1-line block ×3, first 2 shown]
	v_cmp_lt_u32_e32 vcc_lo, 56, v7
	s_or_b32 s5, vcc_lo, s5
	s_waitcnt vmcnt(2) lgkmcnt(0)
	v_mul_f64 v[18:19], v[12:13], v[14:15]
	v_mul_f64 v[14:15], v[10:11], v[14:15]
	s_waitcnt vmcnt(0)
	v_fma_f64 v[10:11], v[10:11], v[16:17], -v[18:19]
	v_fma_f64 v[12:13], v[12:13], v[16:17], v[14:15]
	v_add_f64 v[3:4], v[3:4], v[10:11]
	v_add_f64 v[1:2], v[1:2], v[12:13]
	s_andn2_b32 exec_lo, exec_lo, s5
	s_cbranch_execnz .LBB61_257
; %bb.258:
	s_or_b32 exec_lo, exec_lo, s5
	v_mov_b32_e32 v7, 0
	ds_read_b128 v[7:10], v7 offset:928
	s_waitcnt lgkmcnt(0)
	v_mul_f64 v[11:12], v[1:2], v[9:10]
	v_mul_f64 v[9:10], v[3:4], v[9:10]
	v_fma_f64 v[3:4], v[3:4], v[7:8], -v[11:12]
	v_fma_f64 v[1:2], v[1:2], v[7:8], v[9:10]
	buffer_store_dword v4, off, s[0:3], 0 offset:948
	buffer_store_dword v3, off, s[0:3], 0 offset:944
	;; [unrolled: 1-line block ×4, first 2 shown]
.LBB61_259:
	s_or_b32 exec_lo, exec_lo, s4
	v_mov_b32_e32 v4, s14
	s_waitcnt_vscnt null, 0x0
	s_barrier
	buffer_gl0_inv
	s_mov_b32 s4, exec_lo
	s_clause 0x3
	buffer_load_dword v1, v4, s[0:3], 0 offen
	buffer_load_dword v2, v4, s[0:3], 0 offen offset:4
	buffer_load_dword v3, v4, s[0:3], 0 offen offset:8
	buffer_load_dword v4, v4, s[0:3], 0 offen offset:12
	s_waitcnt vmcnt(0)
	ds_write_b128 v5, v[1:4]
	s_waitcnt lgkmcnt(0)
	s_barrier
	buffer_gl0_inv
	v_cmpx_gt_u32_e32 59, v0
	s_cbranch_execz .LBB61_263
; %bb.260:
	v_mov_b32_e32 v1, 0
	v_mov_b32_e32 v3, 0
	v_add_nc_u32_e32 v7, -1, v0
	v_add_nc_u32_e32 v8, 0x3e0, v235
	v_mov_b32_e32 v2, 0
	v_mov_b32_e32 v4, 0
	v_add_nc_u32_e32 v9, 16, v235
	s_mov_b32 s5, 0
	.p2align	6
.LBB61_261:                             ; =>This Inner Loop Header: Depth=1
	s_clause 0x3
	buffer_load_dword v14, v9, s[0:3], 0 offen offset:8
	buffer_load_dword v15, v9, s[0:3], 0 offen offset:12
	buffer_load_dword v16, v9, s[0:3], 0 offen
	buffer_load_dword v17, v9, s[0:3], 0 offen offset:4
	ds_read_b128 v[10:13], v8
	v_add_nc_u32_e32 v7, 1, v7
	v_add_nc_u32_e32 v8, 16, v8
	;; [unrolled: 1-line block ×3, first 2 shown]
	v_cmp_lt_u32_e32 vcc_lo, 57, v7
	s_or_b32 s5, vcc_lo, s5
	s_waitcnt vmcnt(2) lgkmcnt(0)
	v_mul_f64 v[18:19], v[12:13], v[14:15]
	v_mul_f64 v[14:15], v[10:11], v[14:15]
	s_waitcnt vmcnt(0)
	v_fma_f64 v[10:11], v[10:11], v[16:17], -v[18:19]
	v_fma_f64 v[12:13], v[12:13], v[16:17], v[14:15]
	v_add_f64 v[3:4], v[3:4], v[10:11]
	v_add_f64 v[1:2], v[1:2], v[12:13]
	s_andn2_b32 exec_lo, exec_lo, s5
	s_cbranch_execnz .LBB61_261
; %bb.262:
	s_or_b32 exec_lo, exec_lo, s5
	v_mov_b32_e32 v7, 0
	ds_read_b128 v[7:10], v7 offset:944
	s_waitcnt lgkmcnt(0)
	v_mul_f64 v[11:12], v[1:2], v[9:10]
	v_mul_f64 v[9:10], v[3:4], v[9:10]
	v_fma_f64 v[3:4], v[3:4], v[7:8], -v[11:12]
	v_fma_f64 v[1:2], v[1:2], v[7:8], v[9:10]
	buffer_store_dword v4, off, s[0:3], 0 offset:964
	buffer_store_dword v3, off, s[0:3], 0 offset:960
	buffer_store_dword v2, off, s[0:3], 0 offset:972
	buffer_store_dword v1, off, s[0:3], 0 offset:968
.LBB61_263:
	s_or_b32 exec_lo, exec_lo, s4
	v_mov_b32_e32 v4, s13
	s_waitcnt_vscnt null, 0x0
	s_barrier
	buffer_gl0_inv
	s_mov_b32 s4, exec_lo
	s_clause 0x3
	buffer_load_dword v1, v4, s[0:3], 0 offen
	buffer_load_dword v2, v4, s[0:3], 0 offen offset:4
	buffer_load_dword v3, v4, s[0:3], 0 offen offset:8
	;; [unrolled: 1-line block ×3, first 2 shown]
	s_waitcnt vmcnt(0)
	ds_write_b128 v5, v[1:4]
	s_waitcnt lgkmcnt(0)
	s_barrier
	buffer_gl0_inv
	v_cmpx_gt_u32_e32 60, v0
	s_cbranch_execz .LBB61_267
; %bb.264:
	v_mov_b32_e32 v1, 0
	v_mov_b32_e32 v3, 0
	v_add_nc_u32_e32 v7, -1, v0
	v_add_nc_u32_e32 v8, 0x3e0, v235
	v_mov_b32_e32 v2, 0
	v_mov_b32_e32 v4, 0
	v_add_nc_u32_e32 v9, 16, v235
	s_mov_b32 s5, 0
	.p2align	6
.LBB61_265:                             ; =>This Inner Loop Header: Depth=1
	s_clause 0x3
	buffer_load_dword v14, v9, s[0:3], 0 offen offset:8
	buffer_load_dword v15, v9, s[0:3], 0 offen offset:12
	buffer_load_dword v16, v9, s[0:3], 0 offen
	buffer_load_dword v17, v9, s[0:3], 0 offen offset:4
	ds_read_b128 v[10:13], v8
	v_add_nc_u32_e32 v7, 1, v7
	v_add_nc_u32_e32 v8, 16, v8
	v_add_nc_u32_e32 v9, 16, v9
	v_cmp_lt_u32_e32 vcc_lo, 58, v7
	s_or_b32 s5, vcc_lo, s5
	s_waitcnt vmcnt(2) lgkmcnt(0)
	v_mul_f64 v[18:19], v[12:13], v[14:15]
	v_mul_f64 v[14:15], v[10:11], v[14:15]
	s_waitcnt vmcnt(0)
	v_fma_f64 v[10:11], v[10:11], v[16:17], -v[18:19]
	v_fma_f64 v[12:13], v[12:13], v[16:17], v[14:15]
	v_add_f64 v[3:4], v[3:4], v[10:11]
	v_add_f64 v[1:2], v[1:2], v[12:13]
	s_andn2_b32 exec_lo, exec_lo, s5
	s_cbranch_execnz .LBB61_265
; %bb.266:
	s_or_b32 exec_lo, exec_lo, s5
	v_mov_b32_e32 v7, 0
	ds_read_b128 v[7:10], v7 offset:960
	s_waitcnt lgkmcnt(0)
	v_mul_f64 v[11:12], v[1:2], v[9:10]
	v_mul_f64 v[9:10], v[3:4], v[9:10]
	v_fma_f64 v[3:4], v[3:4], v[7:8], -v[11:12]
	v_fma_f64 v[1:2], v[1:2], v[7:8], v[9:10]
	buffer_store_dword v4, off, s[0:3], 0 offset:980
	buffer_store_dword v3, off, s[0:3], 0 offset:976
	;; [unrolled: 1-line block ×4, first 2 shown]
.LBB61_267:
	s_or_b32 exec_lo, exec_lo, s4
	v_mov_b32_e32 v4, s12
	s_waitcnt_vscnt null, 0x0
	s_barrier
	buffer_gl0_inv
	s_mov_b32 s4, exec_lo
	s_clause 0x3
	buffer_load_dword v1, v4, s[0:3], 0 offen
	buffer_load_dword v2, v4, s[0:3], 0 offen offset:4
	buffer_load_dword v3, v4, s[0:3], 0 offen offset:8
	buffer_load_dword v4, v4, s[0:3], 0 offen offset:12
	s_waitcnt vmcnt(0)
	ds_write_b128 v5, v[1:4]
	s_waitcnt lgkmcnt(0)
	s_barrier
	buffer_gl0_inv
	v_cmpx_ne_u32_e32 61, v0
	s_cbranch_execz .LBB61_271
; %bb.268:
	v_mov_b32_e32 v1, 0
	v_mov_b32_e32 v3, 0
	;; [unrolled: 1-line block ×4, first 2 shown]
	v_add_nc_u32_e32 v7, 16, v235
	s_mov_b32 s5, 0
	.p2align	6
.LBB61_269:                             ; =>This Inner Loop Header: Depth=1
	s_clause 0x3
	buffer_load_dword v12, v7, s[0:3], 0 offen offset:8
	buffer_load_dword v13, v7, s[0:3], 0 offen offset:12
	buffer_load_dword v14, v7, s[0:3], 0 offen
	buffer_load_dword v15, v7, s[0:3], 0 offen offset:4
	ds_read_b128 v[8:11], v5
	v_add_nc_u32_e32 v6, 1, v6
	v_add_nc_u32_e32 v5, 16, v5
	;; [unrolled: 1-line block ×3, first 2 shown]
	v_cmp_lt_u32_e32 vcc_lo, 59, v6
	s_or_b32 s5, vcc_lo, s5
	s_waitcnt vmcnt(2) lgkmcnt(0)
	v_mul_f64 v[16:17], v[10:11], v[12:13]
	v_mul_f64 v[12:13], v[8:9], v[12:13]
	s_waitcnt vmcnt(0)
	v_fma_f64 v[8:9], v[8:9], v[14:15], -v[16:17]
	v_fma_f64 v[10:11], v[10:11], v[14:15], v[12:13]
	v_add_f64 v[3:4], v[3:4], v[8:9]
	v_add_f64 v[1:2], v[1:2], v[10:11]
	s_andn2_b32 exec_lo, exec_lo, s5
	s_cbranch_execnz .LBB61_269
; %bb.270:
	s_or_b32 exec_lo, exec_lo, s5
	v_mov_b32_e32 v5, 0
	ds_read_b128 v[5:8], v5 offset:976
	s_waitcnt lgkmcnt(0)
	v_mul_f64 v[9:10], v[1:2], v[7:8]
	v_mul_f64 v[7:8], v[3:4], v[7:8]
	v_fma_f64 v[3:4], v[3:4], v[5:6], -v[9:10]
	v_fma_f64 v[1:2], v[1:2], v[5:6], v[7:8]
	buffer_store_dword v4, off, s[0:3], 0 offset:996
	buffer_store_dword v3, off, s[0:3], 0 offset:992
	;; [unrolled: 1-line block ×4, first 2 shown]
.LBB61_271:
	s_or_b32 exec_lo, exec_lo, s4
	s_mov_b32 s5, -1
	s_waitcnt_vscnt null, 0x0
	s_barrier
	buffer_gl0_inv
.LBB61_272:
	s_and_b32 vcc_lo, exec_lo, s5
	s_cbranch_vccz .LBB61_274
; %bb.273:
	s_lshl_b64 s[4:5], s[6:7], 2
	v_mov_b32_e32 v1, 0
	s_add_u32 s4, s10, s4
	s_addc_u32 s5, s11, s5
	global_load_dword v1, v1, s[4:5]
	s_waitcnt vmcnt(0)
	v_cmp_ne_u32_e32 vcc_lo, 0, v1
	s_cbranch_vccz .LBB61_275
.LBB61_274:
	s_endpgm
.LBB61_275:
	v_lshl_add_u32 v69, v0, 4, 0x3e0
	s_mov_b32 s4, exec_lo
	v_cmpx_eq_u32_e32 61, v0
	s_cbranch_execz .LBB61_277
; %bb.276:
	v_mov_b32_e32 v4, s13
	v_mov_b32_e32 v5, 0
	s_clause 0x3
	buffer_load_dword v1, v4, s[0:3], 0 offen
	buffer_load_dword v2, v4, s[0:3], 0 offen offset:4
	buffer_load_dword v3, v4, s[0:3], 0 offen offset:8
	;; [unrolled: 1-line block ×3, first 2 shown]
	buffer_store_dword v5, off, s[0:3], 0 offset:976
	buffer_store_dword v5, off, s[0:3], 0 offset:980
	;; [unrolled: 1-line block ×4, first 2 shown]
	s_waitcnt vmcnt(0)
	ds_write_b128 v69, v[1:4]
.LBB61_277:
	s_or_b32 exec_lo, exec_lo, s4
	s_waitcnt lgkmcnt(0)
	s_waitcnt_vscnt null, 0x0
	s_barrier
	buffer_gl0_inv
	s_clause 0x7
	buffer_load_dword v6, off, s[0:3], 0 offset:1000
	buffer_load_dword v7, off, s[0:3], 0 offset:1004
	;; [unrolled: 1-line block ×8, first 2 shown]
	v_mov_b32_e32 v1, 0
	s_mov_b32 s4, exec_lo
	ds_read_b128 v[2:5], v1 offset:1968
	s_waitcnt vmcnt(6) lgkmcnt(0)
	v_mul_f64 v[14:15], v[4:5], v[6:7]
	v_mul_f64 v[6:7], v[2:3], v[6:7]
	s_waitcnt vmcnt(4)
	v_fma_f64 v[2:3], v[2:3], v[8:9], -v[14:15]
	v_fma_f64 v[4:5], v[4:5], v[8:9], v[6:7]
	v_add_f64 v[2:3], v[2:3], 0
	v_add_f64 v[4:5], v[4:5], 0
	s_waitcnt vmcnt(2)
	v_add_f64 v[2:3], v[10:11], -v[2:3]
	s_waitcnt vmcnt(0)
	v_add_f64 v[4:5], v[12:13], -v[4:5]
	buffer_store_dword v2, off, s[0:3], 0 offset:976
	buffer_store_dword v3, off, s[0:3], 0 offset:980
	;; [unrolled: 1-line block ×4, first 2 shown]
	v_cmpx_lt_u32_e32 59, v0
	s_cbranch_execz .LBB61_279
; %bb.278:
	v_mov_b32_e32 v5, s14
	s_clause 0x3
	buffer_load_dword v2, v5, s[0:3], 0 offen
	buffer_load_dword v3, v5, s[0:3], 0 offen offset:4
	buffer_load_dword v4, v5, s[0:3], 0 offen offset:8
	;; [unrolled: 1-line block ×3, first 2 shown]
	buffer_store_dword v1, off, s[0:3], 0 offset:960
	buffer_store_dword v1, off, s[0:3], 0 offset:964
	;; [unrolled: 1-line block ×4, first 2 shown]
	s_waitcnt vmcnt(0)
	ds_write_b128 v69, v[2:5]
.LBB61_279:
	s_or_b32 exec_lo, exec_lo, s4
	s_waitcnt lgkmcnt(0)
	s_waitcnt_vscnt null, 0x0
	s_barrier
	buffer_gl0_inv
	s_clause 0xb
	buffer_load_dword v10, off, s[0:3], 0 offset:984
	buffer_load_dword v11, off, s[0:3], 0 offset:988
	;; [unrolled: 1-line block ×12, first 2 shown]
	ds_read_b128 v[2:5], v1 offset:1952
	ds_read_b128 v[6:9], v1 offset:1968
	s_mov_b32 s4, exec_lo
	s_waitcnt vmcnt(10) lgkmcnt(1)
	v_mul_f64 v[22:23], v[4:5], v[10:11]
	v_mul_f64 v[10:11], v[2:3], v[10:11]
	s_waitcnt vmcnt(8) lgkmcnt(0)
	v_mul_f64 v[24:25], v[8:9], v[12:13]
	v_mul_f64 v[12:13], v[6:7], v[12:13]
	s_waitcnt vmcnt(6)
	v_fma_f64 v[1:2], v[2:3], v[14:15], -v[22:23]
	v_fma_f64 v[3:4], v[4:5], v[14:15], v[10:11]
	s_waitcnt vmcnt(4)
	v_fma_f64 v[5:6], v[6:7], v[16:17], -v[24:25]
	v_fma_f64 v[7:8], v[8:9], v[16:17], v[12:13]
	v_add_f64 v[1:2], v[1:2], 0
	v_add_f64 v[3:4], v[3:4], 0
	;; [unrolled: 1-line block ×4, first 2 shown]
	s_waitcnt vmcnt(2)
	v_add_f64 v[1:2], v[18:19], -v[1:2]
	s_waitcnt vmcnt(0)
	v_add_f64 v[3:4], v[20:21], -v[3:4]
	buffer_store_dword v1, off, s[0:3], 0 offset:960
	buffer_store_dword v2, off, s[0:3], 0 offset:964
	;; [unrolled: 1-line block ×4, first 2 shown]
	v_cmpx_lt_u32_e32 58, v0
	s_cbranch_execz .LBB61_281
; %bb.280:
	v_mov_b32_e32 v4, s15
	v_mov_b32_e32 v5, 0
	s_clause 0x3
	buffer_load_dword v1, v4, s[0:3], 0 offen
	buffer_load_dword v2, v4, s[0:3], 0 offen offset:4
	buffer_load_dword v3, v4, s[0:3], 0 offen offset:8
	;; [unrolled: 1-line block ×3, first 2 shown]
	buffer_store_dword v5, off, s[0:3], 0 offset:944
	buffer_store_dword v5, off, s[0:3], 0 offset:948
	;; [unrolled: 1-line block ×4, first 2 shown]
	s_waitcnt vmcnt(0)
	ds_write_b128 v69, v[1:4]
.LBB61_281:
	s_or_b32 exec_lo, exec_lo, s4
	s_waitcnt lgkmcnt(0)
	s_waitcnt_vscnt null, 0x0
	s_barrier
	buffer_gl0_inv
	s_clause 0xf
	buffer_load_dword v10, off, s[0:3], 0 offset:968
	buffer_load_dword v11, off, s[0:3], 0 offset:972
	;; [unrolled: 1-line block ×16, first 2 shown]
	v_mov_b32_e32 v1, 0
	ds_read_b128 v[2:5], v1 offset:1936
	ds_read_b128 v[6:9], v1 offset:1952
	s_mov_b32 s4, exec_lo
	s_waitcnt vmcnt(14) lgkmcnt(1)
	v_mul_f64 v[28:29], v[4:5], v[10:11]
	v_mul_f64 v[30:31], v[2:3], v[10:11]
	s_waitcnt vmcnt(12) lgkmcnt(0)
	v_mul_f64 v[32:33], v[8:9], v[14:15]
	ds_read_b128 v[10:13], v1 offset:1968
	v_mul_f64 v[14:15], v[6:7], v[14:15]
	s_waitcnt vmcnt(10)
	v_fma_f64 v[2:3], v[2:3], v[16:17], -v[28:29]
	v_fma_f64 v[4:5], v[4:5], v[16:17], v[30:31]
	s_waitcnt vmcnt(8) lgkmcnt(0)
	v_mul_f64 v[16:17], v[10:11], v[18:19]
	v_mul_f64 v[18:19], v[12:13], v[18:19]
	s_waitcnt vmcnt(6)
	v_fma_f64 v[6:7], v[6:7], v[20:21], -v[32:33]
	v_fma_f64 v[8:9], v[8:9], v[20:21], v[14:15]
	v_add_f64 v[2:3], v[2:3], 0
	v_add_f64 v[4:5], v[4:5], 0
	s_waitcnt vmcnt(4)
	v_fma_f64 v[10:11], v[10:11], v[22:23], -v[18:19]
	v_add_f64 v[2:3], v[2:3], v[6:7]
	v_fma_f64 v[6:7], v[12:13], v[22:23], v[16:17]
	v_add_f64 v[4:5], v[4:5], v[8:9]
	v_add_f64 v[2:3], v[2:3], v[10:11]
	;; [unrolled: 1-line block ×3, first 2 shown]
	s_waitcnt vmcnt(2)
	v_add_f64 v[2:3], v[24:25], -v[2:3]
	s_waitcnt vmcnt(0)
	v_add_f64 v[4:5], v[26:27], -v[4:5]
	buffer_store_dword v2, off, s[0:3], 0 offset:944
	buffer_store_dword v3, off, s[0:3], 0 offset:948
	;; [unrolled: 1-line block ×4, first 2 shown]
	v_cmpx_lt_u32_e32 57, v0
	s_cbranch_execz .LBB61_283
; %bb.282:
	v_mov_b32_e32 v5, s16
	s_clause 0x3
	buffer_load_dword v2, v5, s[0:3], 0 offen
	buffer_load_dword v3, v5, s[0:3], 0 offen offset:4
	buffer_load_dword v4, v5, s[0:3], 0 offen offset:8
	;; [unrolled: 1-line block ×3, first 2 shown]
	buffer_store_dword v1, off, s[0:3], 0 offset:928
	buffer_store_dword v1, off, s[0:3], 0 offset:932
	;; [unrolled: 1-line block ×4, first 2 shown]
	s_waitcnt vmcnt(0)
	ds_write_b128 v69, v[2:5]
.LBB61_283:
	s_or_b32 exec_lo, exec_lo, s4
	s_waitcnt lgkmcnt(0)
	s_waitcnt_vscnt null, 0x0
	s_barrier
	buffer_gl0_inv
	s_clause 0x13
	buffer_load_dword v10, off, s[0:3], 0 offset:952
	buffer_load_dword v11, off, s[0:3], 0 offset:956
	;; [unrolled: 1-line block ×20, first 2 shown]
	ds_read_b128 v[2:5], v1 offset:1920
	ds_read_b128 v[6:9], v1 offset:1936
	s_mov_b32 s4, exec_lo
	s_waitcnt vmcnt(18) lgkmcnt(1)
	v_mul_f64 v[32:33], v[4:5], v[10:11]
	v_mul_f64 v[34:35], v[2:3], v[10:11]
	s_waitcnt vmcnt(16) lgkmcnt(0)
	v_mul_f64 v[36:37], v[8:9], v[14:15]
	ds_read_b128 v[10:13], v1 offset:1952
	v_mul_f64 v[14:15], v[6:7], v[14:15]
	s_waitcnt vmcnt(14)
	v_fma_f64 v[32:33], v[2:3], v[16:17], -v[32:33]
	v_fma_f64 v[16:17], v[4:5], v[16:17], v[34:35]
	s_waitcnt vmcnt(12) lgkmcnt(0)
	v_mul_f64 v[34:35], v[10:11], v[18:19]
	v_mul_f64 v[18:19], v[12:13], v[18:19]
	s_waitcnt vmcnt(10)
	v_fma_f64 v[5:6], v[6:7], v[20:21], -v[36:37]
	ds_read_b128 v[1:4], v1 offset:1968
	v_fma_f64 v[7:8], v[8:9], v[20:21], v[14:15]
	v_add_f64 v[32:33], v[32:33], 0
	v_add_f64 v[14:15], v[16:17], 0
	s_waitcnt vmcnt(8) lgkmcnt(0)
	v_mul_f64 v[20:21], v[3:4], v[22:23]
	s_waitcnt vmcnt(6)
	v_fma_f64 v[9:10], v[10:11], v[24:25], -v[18:19]
	v_mul_f64 v[16:17], v[1:2], v[22:23]
	v_fma_f64 v[11:12], v[12:13], v[24:25], v[34:35]
	v_add_f64 v[5:6], v[32:33], v[5:6]
	v_add_f64 v[7:8], v[14:15], v[7:8]
	s_waitcnt vmcnt(4)
	v_fma_f64 v[1:2], v[1:2], v[26:27], -v[20:21]
	v_fma_f64 v[3:4], v[3:4], v[26:27], v[16:17]
	v_add_f64 v[5:6], v[5:6], v[9:10]
	v_add_f64 v[7:8], v[7:8], v[11:12]
	;; [unrolled: 1-line block ×4, first 2 shown]
	s_waitcnt vmcnt(2)
	v_add_f64 v[1:2], v[28:29], -v[1:2]
	s_waitcnt vmcnt(0)
	v_add_f64 v[3:4], v[30:31], -v[3:4]
	buffer_store_dword v1, off, s[0:3], 0 offset:928
	buffer_store_dword v2, off, s[0:3], 0 offset:932
	;; [unrolled: 1-line block ×4, first 2 shown]
	v_cmpx_lt_u32_e32 56, v0
	s_cbranch_execz .LBB61_285
; %bb.284:
	v_mov_b32_e32 v4, s17
	v_mov_b32_e32 v5, 0
	s_clause 0x3
	buffer_load_dword v1, v4, s[0:3], 0 offen
	buffer_load_dword v2, v4, s[0:3], 0 offen offset:4
	buffer_load_dword v3, v4, s[0:3], 0 offen offset:8
	;; [unrolled: 1-line block ×3, first 2 shown]
	buffer_store_dword v5, off, s[0:3], 0 offset:912
	buffer_store_dword v5, off, s[0:3], 0 offset:916
	;; [unrolled: 1-line block ×4, first 2 shown]
	s_waitcnt vmcnt(0)
	ds_write_b128 v69, v[1:4]
.LBB61_285:
	s_or_b32 exec_lo, exec_lo, s4
	s_waitcnt lgkmcnt(0)
	s_waitcnt_vscnt null, 0x0
	s_barrier
	buffer_gl0_inv
	s_clause 0x17
	buffer_load_dword v10, off, s[0:3], 0 offset:936
	buffer_load_dword v11, off, s[0:3], 0 offset:940
	;; [unrolled: 1-line block ×24, first 2 shown]
	v_mov_b32_e32 v1, 0
	ds_read_b128 v[2:5], v1 offset:1904
	ds_read_b128 v[6:9], v1 offset:1920
	s_mov_b32 s4, exec_lo
	s_waitcnt vmcnt(22) lgkmcnt(1)
	v_mul_f64 v[36:37], v[4:5], v[10:11]
	v_mul_f64 v[38:39], v[2:3], v[10:11]
	s_waitcnt vmcnt(20) lgkmcnt(0)
	v_mul_f64 v[40:41], v[8:9], v[14:15]
	ds_read_b128 v[10:13], v1 offset:1936
	v_mul_f64 v[14:15], v[6:7], v[14:15]
	s_waitcnt vmcnt(18)
	v_fma_f64 v[36:37], v[2:3], v[16:17], -v[36:37]
	v_fma_f64 v[16:17], v[4:5], v[16:17], v[38:39]
	ds_read_b128 v[2:5], v1 offset:1952
	s_waitcnt vmcnt(16) lgkmcnt(1)
	v_mul_f64 v[38:39], v[10:11], v[18:19]
	v_mul_f64 v[18:19], v[12:13], v[18:19]
	s_waitcnt vmcnt(14)
	v_fma_f64 v[40:41], v[6:7], v[20:21], -v[40:41]
	v_fma_f64 v[14:15], v[8:9], v[20:21], v[14:15]
	ds_read_b128 v[6:9], v1 offset:1968
	s_waitcnt vmcnt(10) lgkmcnt(1)
	v_mul_f64 v[20:21], v[2:3], v[22:23]
	v_add_f64 v[36:37], v[36:37], 0
	v_add_f64 v[16:17], v[16:17], 0
	v_mul_f64 v[22:23], v[4:5], v[22:23]
	s_waitcnt vmcnt(8)
	v_fma_f64 v[10:11], v[10:11], v[28:29], -v[18:19]
	v_fma_f64 v[12:13], v[12:13], v[28:29], v[38:39]
	s_waitcnt vmcnt(5)
	v_fma_f64 v[4:5], v[4:5], v[30:31], v[20:21]
	v_add_f64 v[18:19], v[36:37], v[40:41]
	v_add_f64 v[14:15], v[16:17], v[14:15]
	s_waitcnt lgkmcnt(0)
	v_mul_f64 v[16:17], v[6:7], v[24:25]
	v_mul_f64 v[24:25], v[8:9], v[24:25]
	v_fma_f64 v[2:3], v[2:3], v[30:31], -v[22:23]
	v_add_f64 v[10:11], v[18:19], v[10:11]
	v_add_f64 v[12:13], v[14:15], v[12:13]
	s_waitcnt vmcnt(4)
	v_fma_f64 v[8:9], v[8:9], v[26:27], v[16:17]
	v_fma_f64 v[6:7], v[6:7], v[26:27], -v[24:25]
	v_add_f64 v[2:3], v[10:11], v[2:3]
	v_add_f64 v[4:5], v[12:13], v[4:5]
	;; [unrolled: 1-line block ×4, first 2 shown]
	s_waitcnt vmcnt(2)
	v_add_f64 v[2:3], v[32:33], -v[2:3]
	s_waitcnt vmcnt(0)
	v_add_f64 v[4:5], v[34:35], -v[4:5]
	buffer_store_dword v3, off, s[0:3], 0 offset:916
	buffer_store_dword v2, off, s[0:3], 0 offset:912
	;; [unrolled: 1-line block ×4, first 2 shown]
	v_cmpx_lt_u32_e32 55, v0
	s_cbranch_execz .LBB61_287
; %bb.286:
	v_mov_b32_e32 v5, s18
	s_clause 0x3
	buffer_load_dword v2, v5, s[0:3], 0 offen
	buffer_load_dword v3, v5, s[0:3], 0 offen offset:4
	buffer_load_dword v4, v5, s[0:3], 0 offen offset:8
	;; [unrolled: 1-line block ×3, first 2 shown]
	buffer_store_dword v1, off, s[0:3], 0 offset:896
	buffer_store_dword v1, off, s[0:3], 0 offset:900
	;; [unrolled: 1-line block ×4, first 2 shown]
	s_waitcnt vmcnt(0)
	ds_write_b128 v69, v[2:5]
.LBB61_287:
	s_or_b32 exec_lo, exec_lo, s4
	s_waitcnt lgkmcnt(0)
	s_waitcnt_vscnt null, 0x0
	s_barrier
	buffer_gl0_inv
	s_clause 0x1b
	buffer_load_dword v10, off, s[0:3], 0 offset:920
	buffer_load_dword v11, off, s[0:3], 0 offset:924
	;; [unrolled: 1-line block ×28, first 2 shown]
	ds_read_b128 v[2:5], v1 offset:1888
	ds_read_b128 v[6:9], v1 offset:1904
	s_mov_b32 s4, exec_lo
	s_waitcnt vmcnt(26) lgkmcnt(1)
	v_mul_f64 v[40:41], v[4:5], v[10:11]
	v_mul_f64 v[42:43], v[2:3], v[10:11]
	s_waitcnt vmcnt(24) lgkmcnt(0)
	v_mul_f64 v[44:45], v[8:9], v[14:15]
	ds_read_b128 v[10:13], v1 offset:1920
	v_mul_f64 v[14:15], v[6:7], v[14:15]
	s_waitcnt vmcnt(22)
	v_fma_f64 v[40:41], v[2:3], v[16:17], -v[40:41]
	v_fma_f64 v[16:17], v[4:5], v[16:17], v[42:43]
	ds_read_b128 v[2:5], v1 offset:1936
	s_waitcnt vmcnt(20) lgkmcnt(1)
	v_mul_f64 v[42:43], v[10:11], v[18:19]
	v_mul_f64 v[18:19], v[12:13], v[18:19]
	s_waitcnt vmcnt(18)
	v_fma_f64 v[44:45], v[6:7], v[20:21], -v[44:45]
	v_fma_f64 v[14:15], v[8:9], v[20:21], v[14:15]
	ds_read_b128 v[6:9], v1 offset:1952
	s_waitcnt vmcnt(14) lgkmcnt(1)
	v_mul_f64 v[20:21], v[2:3], v[22:23]
	v_add_f64 v[40:41], v[40:41], 0
	v_add_f64 v[16:17], v[16:17], 0
	v_mul_f64 v[22:23], v[4:5], v[22:23]
	s_waitcnt vmcnt(12)
	v_fma_f64 v[18:19], v[10:11], v[28:29], -v[18:19]
	v_fma_f64 v[28:29], v[12:13], v[28:29], v[42:43]
	ds_read_b128 v[10:13], v1 offset:1968
	v_add_f64 v[40:41], v[40:41], v[44:45]
	v_add_f64 v[14:15], v[16:17], v[14:15]
	s_waitcnt vmcnt(11) lgkmcnt(1)
	v_mul_f64 v[16:17], v[6:7], v[24:25]
	v_mul_f64 v[24:25], v[8:9], v[24:25]
	s_waitcnt vmcnt(9)
	v_fma_f64 v[1:2], v[2:3], v[30:31], -v[22:23]
	v_fma_f64 v[3:4], v[4:5], v[30:31], v[20:21]
	s_waitcnt vmcnt(7) lgkmcnt(0)
	v_mul_f64 v[22:23], v[12:13], v[32:33]
	v_mul_f64 v[20:21], v[10:11], v[32:33]
	v_add_f64 v[18:19], v[40:41], v[18:19]
	v_add_f64 v[14:15], v[14:15], v[28:29]
	s_waitcnt vmcnt(6)
	v_fma_f64 v[5:6], v[6:7], v[26:27], -v[24:25]
	v_fma_f64 v[7:8], v[8:9], v[26:27], v[16:17]
	s_waitcnt vmcnt(4)
	v_fma_f64 v[9:10], v[10:11], v[34:35], -v[22:23]
	v_add_f64 v[1:2], v[18:19], v[1:2]
	v_add_f64 v[3:4], v[14:15], v[3:4]
	;; [unrolled: 1-line block ×3, first 2 shown]
	v_fma_f64 v[5:6], v[12:13], v[34:35], v[20:21]
	v_add_f64 v[3:4], v[3:4], v[7:8]
	v_add_f64 v[1:2], v[1:2], v[9:10]
	;; [unrolled: 1-line block ×3, first 2 shown]
	s_waitcnt vmcnt(2)
	v_add_f64 v[1:2], v[36:37], -v[1:2]
	s_waitcnt vmcnt(0)
	v_add_f64 v[3:4], v[38:39], -v[3:4]
	buffer_store_dword v2, off, s[0:3], 0 offset:900
	buffer_store_dword v1, off, s[0:3], 0 offset:896
	;; [unrolled: 1-line block ×4, first 2 shown]
	v_cmpx_lt_u32_e32 54, v0
	s_cbranch_execz .LBB61_289
; %bb.288:
	v_mov_b32_e32 v4, s19
	v_mov_b32_e32 v5, 0
	s_clause 0x3
	buffer_load_dword v1, v4, s[0:3], 0 offen
	buffer_load_dword v2, v4, s[0:3], 0 offen offset:4
	buffer_load_dword v3, v4, s[0:3], 0 offen offset:8
	;; [unrolled: 1-line block ×3, first 2 shown]
	buffer_store_dword v5, off, s[0:3], 0 offset:880
	buffer_store_dword v5, off, s[0:3], 0 offset:884
	;; [unrolled: 1-line block ×4, first 2 shown]
	s_waitcnt vmcnt(0)
	ds_write_b128 v69, v[1:4]
.LBB61_289:
	s_or_b32 exec_lo, exec_lo, s4
	s_waitcnt lgkmcnt(0)
	s_waitcnt_vscnt null, 0x0
	s_barrier
	buffer_gl0_inv
	s_clause 0x1f
	buffer_load_dword v10, off, s[0:3], 0 offset:904
	buffer_load_dword v11, off, s[0:3], 0 offset:908
	;; [unrolled: 1-line block ×32, first 2 shown]
	v_mov_b32_e32 v1, 0
	ds_read_b128 v[2:5], v1 offset:1872
	ds_read_b128 v[6:9], v1 offset:1888
	s_mov_b32 s4, exec_lo
	s_waitcnt vmcnt(30) lgkmcnt(1)
	v_mul_f64 v[44:45], v[4:5], v[10:11]
	v_mul_f64 v[46:47], v[2:3], v[10:11]
	s_waitcnt vmcnt(28) lgkmcnt(0)
	v_mul_f64 v[48:49], v[8:9], v[14:15]
	ds_read_b128 v[10:13], v1 offset:1904
	v_mul_f64 v[14:15], v[6:7], v[14:15]
	s_waitcnt vmcnt(26)
	v_fma_f64 v[44:45], v[2:3], v[16:17], -v[44:45]
	v_fma_f64 v[16:17], v[4:5], v[16:17], v[46:47]
	ds_read_b128 v[2:5], v1 offset:1920
	s_waitcnt vmcnt(24) lgkmcnt(1)
	v_mul_f64 v[46:47], v[10:11], v[18:19]
	v_mul_f64 v[18:19], v[12:13], v[18:19]
	s_waitcnt vmcnt(22)
	v_fma_f64 v[48:49], v[6:7], v[20:21], -v[48:49]
	v_fma_f64 v[14:15], v[8:9], v[20:21], v[14:15]
	ds_read_b128 v[6:9], v1 offset:1936
	s_waitcnt vmcnt(18) lgkmcnt(1)
	v_mul_f64 v[20:21], v[2:3], v[22:23]
	v_add_f64 v[44:45], v[44:45], 0
	v_add_f64 v[16:17], v[16:17], 0
	v_mul_f64 v[22:23], v[4:5], v[22:23]
	s_waitcnt vmcnt(16)
	v_fma_f64 v[18:19], v[10:11], v[28:29], -v[18:19]
	v_fma_f64 v[28:29], v[12:13], v[28:29], v[46:47]
	ds_read_b128 v[10:13], v1 offset:1952
	s_waitcnt vmcnt(13)
	v_fma_f64 v[20:21], v[4:5], v[30:31], v[20:21]
	v_add_f64 v[44:45], v[44:45], v[48:49]
	v_add_f64 v[14:15], v[16:17], v[14:15]
	s_waitcnt lgkmcnt(1)
	v_mul_f64 v[16:17], v[6:7], v[24:25]
	v_mul_f64 v[24:25], v[8:9], v[24:25]
	v_fma_f64 v[22:23], v[2:3], v[30:31], -v[22:23]
	s_waitcnt vmcnt(9) lgkmcnt(0)
	v_mul_f64 v[30:31], v[12:13], v[32:33]
	ds_read_b128 v[2:5], v1 offset:1968
	v_add_f64 v[18:19], v[44:45], v[18:19]
	v_add_f64 v[14:15], v[14:15], v[28:29]
	v_mul_f64 v[28:29], v[10:11], v[32:33]
	s_waitcnt vmcnt(8)
	v_fma_f64 v[6:7], v[6:7], v[26:27], -v[24:25]
	v_fma_f64 v[8:9], v[8:9], v[26:27], v[16:17]
	s_waitcnt vmcnt(5)
	v_fma_f64 v[10:11], v[10:11], v[38:39], -v[30:31]
	s_waitcnt lgkmcnt(0)
	v_mul_f64 v[16:17], v[2:3], v[34:35]
	v_add_f64 v[18:19], v[18:19], v[22:23]
	v_add_f64 v[14:15], v[14:15], v[20:21]
	v_mul_f64 v[20:21], v[4:5], v[34:35]
	v_fma_f64 v[12:13], v[12:13], v[38:39], v[28:29]
	s_waitcnt vmcnt(4)
	v_fma_f64 v[4:5], v[4:5], v[36:37], v[16:17]
	v_add_f64 v[6:7], v[18:19], v[6:7]
	v_add_f64 v[8:9], v[14:15], v[8:9]
	v_fma_f64 v[2:3], v[2:3], v[36:37], -v[20:21]
	v_add_f64 v[6:7], v[6:7], v[10:11]
	v_add_f64 v[8:9], v[8:9], v[12:13]
	;; [unrolled: 1-line block ×4, first 2 shown]
	s_waitcnt vmcnt(2)
	v_add_f64 v[2:3], v[40:41], -v[2:3]
	s_waitcnt vmcnt(0)
	v_add_f64 v[4:5], v[42:43], -v[4:5]
	buffer_store_dword v3, off, s[0:3], 0 offset:884
	buffer_store_dword v2, off, s[0:3], 0 offset:880
	;; [unrolled: 1-line block ×4, first 2 shown]
	v_cmpx_lt_u32_e32 53, v0
	s_cbranch_execz .LBB61_291
; %bb.290:
	v_mov_b32_e32 v5, s22
	s_clause 0x3
	buffer_load_dword v2, v5, s[0:3], 0 offen
	buffer_load_dword v3, v5, s[0:3], 0 offen offset:4
	buffer_load_dword v4, v5, s[0:3], 0 offen offset:8
	;; [unrolled: 1-line block ×3, first 2 shown]
	buffer_store_dword v1, off, s[0:3], 0 offset:864
	buffer_store_dword v1, off, s[0:3], 0 offset:868
	;; [unrolled: 1-line block ×4, first 2 shown]
	s_waitcnt vmcnt(0)
	ds_write_b128 v69, v[2:5]
.LBB61_291:
	s_or_b32 exec_lo, exec_lo, s4
	s_waitcnt lgkmcnt(0)
	s_waitcnt_vscnt null, 0x0
	s_barrier
	buffer_gl0_inv
	s_clause 0x23
	buffer_load_dword v10, off, s[0:3], 0 offset:888
	buffer_load_dword v11, off, s[0:3], 0 offset:892
	buffer_load_dword v14, off, s[0:3], 0 offset:904
	buffer_load_dword v15, off, s[0:3], 0 offset:908
	buffer_load_dword v16, off, s[0:3], 0 offset:880
	buffer_load_dword v17, off, s[0:3], 0 offset:884
	buffer_load_dword v18, off, s[0:3], 0 offset:920
	buffer_load_dword v19, off, s[0:3], 0 offset:924
	buffer_load_dword v20, off, s[0:3], 0 offset:896
	buffer_load_dword v21, off, s[0:3], 0 offset:900
	buffer_load_dword v23, off, s[0:3], 0 offset:940
	buffer_load_dword v24, off, s[0:3], 0 offset:952
	buffer_load_dword v26, off, s[0:3], 0 offset:944
	buffer_load_dword v22, off, s[0:3], 0 offset:936
	buffer_load_dword v28, off, s[0:3], 0 offset:912
	buffer_load_dword v29, off, s[0:3], 0 offset:916
	buffer_load_dword v25, off, s[0:3], 0 offset:956
	buffer_load_dword v31, off, s[0:3], 0 offset:932
	buffer_load_dword v30, off, s[0:3], 0 offset:928
	buffer_load_dword v33, off, s[0:3], 0 offset:972
	buffer_load_dword v34, off, s[0:3], 0 offset:984
	buffer_load_dword v36, off, s[0:3], 0 offset:976
	buffer_load_dword v32, off, s[0:3], 0 offset:968
	buffer_load_dword v27, off, s[0:3], 0 offset:948
	buffer_load_dword v35, off, s[0:3], 0 offset:988
	buffer_load_dword v39, off, s[0:3], 0 offset:964
	buffer_load_dword v38, off, s[0:3], 0 offset:960
	buffer_load_dword v41, off, s[0:3], 0 offset:1004
	buffer_load_dword v40, off, s[0:3], 0 offset:1000
	buffer_load_dword v37, off, s[0:3], 0 offset:980
	buffer_load_dword v43, off, s[0:3], 0 offset:996
	buffer_load_dword v42, off, s[0:3], 0 offset:992
	buffer_load_dword v44, off, s[0:3], 0 offset:864
	buffer_load_dword v45, off, s[0:3], 0 offset:868
	buffer_load_dword v46, off, s[0:3], 0 offset:872
	buffer_load_dword v47, off, s[0:3], 0 offset:876
	ds_read_b128 v[2:5], v1 offset:1856
	ds_read_b128 v[6:9], v1 offset:1872
	s_mov_b32 s4, exec_lo
	s_waitcnt vmcnt(34) lgkmcnt(1)
	v_mul_f64 v[48:49], v[4:5], v[10:11]
	v_mul_f64 v[50:51], v[2:3], v[10:11]
	s_waitcnt vmcnt(32) lgkmcnt(0)
	v_mul_f64 v[52:53], v[8:9], v[14:15]
	ds_read_b128 v[10:13], v1 offset:1888
	v_mul_f64 v[14:15], v[6:7], v[14:15]
	s_waitcnt vmcnt(30)
	v_fma_f64 v[48:49], v[2:3], v[16:17], -v[48:49]
	v_fma_f64 v[16:17], v[4:5], v[16:17], v[50:51]
	ds_read_b128 v[2:5], v1 offset:1904
	s_waitcnt vmcnt(28) lgkmcnt(1)
	v_mul_f64 v[50:51], v[10:11], v[18:19]
	v_mul_f64 v[18:19], v[12:13], v[18:19]
	s_waitcnt vmcnt(26)
	v_fma_f64 v[52:53], v[6:7], v[20:21], -v[52:53]
	v_fma_f64 v[14:15], v[8:9], v[20:21], v[14:15]
	ds_read_b128 v[6:9], v1 offset:1920
	s_waitcnt vmcnt(22) lgkmcnt(1)
	v_mul_f64 v[20:21], v[2:3], v[22:23]
	v_add_f64 v[48:49], v[48:49], 0
	v_add_f64 v[16:17], v[16:17], 0
	v_mul_f64 v[22:23], v[4:5], v[22:23]
	s_waitcnt vmcnt(20)
	v_fma_f64 v[18:19], v[10:11], v[28:29], -v[18:19]
	v_fma_f64 v[28:29], v[12:13], v[28:29], v[50:51]
	ds_read_b128 v[10:13], v1 offset:1936
	s_waitcnt vmcnt(17)
	v_fma_f64 v[20:21], v[4:5], v[30:31], v[20:21]
	v_add_f64 v[48:49], v[48:49], v[52:53]
	v_add_f64 v[14:15], v[16:17], v[14:15]
	s_waitcnt lgkmcnt(1)
	v_mul_f64 v[16:17], v[6:7], v[24:25]
	v_mul_f64 v[24:25], v[8:9], v[24:25]
	v_fma_f64 v[22:23], v[2:3], v[30:31], -v[22:23]
	s_waitcnt vmcnt(13) lgkmcnt(0)
	v_mul_f64 v[30:31], v[12:13], v[32:33]
	ds_read_b128 v[2:5], v1 offset:1952
	v_add_f64 v[18:19], v[48:49], v[18:19]
	v_add_f64 v[14:15], v[14:15], v[28:29]
	v_mul_f64 v[28:29], v[10:11], v[32:33]
	s_waitcnt vmcnt(12)
	v_fma_f64 v[24:25], v[6:7], v[26:27], -v[24:25]
	v_fma_f64 v[16:17], v[8:9], v[26:27], v[16:17]
	ds_read_b128 v[6:9], v1 offset:1968
	s_waitcnt vmcnt(9)
	v_fma_f64 v[10:11], v[10:11], v[38:39], -v[30:31]
	v_add_f64 v[18:19], v[18:19], v[22:23]
	v_add_f64 v[14:15], v[14:15], v[20:21]
	s_waitcnt lgkmcnt(1)
	v_mul_f64 v[22:23], v[4:5], v[34:35]
	v_mul_f64 v[20:21], v[2:3], v[34:35]
	v_fma_f64 v[12:13], v[12:13], v[38:39], v[28:29]
	v_add_f64 v[18:19], v[18:19], v[24:25]
	v_add_f64 v[14:15], v[14:15], v[16:17]
	s_waitcnt vmcnt(7) lgkmcnt(0)
	v_mul_f64 v[24:25], v[8:9], v[40:41]
	s_waitcnt vmcnt(6)
	v_fma_f64 v[1:2], v[2:3], v[36:37], -v[22:23]
	v_mul_f64 v[16:17], v[6:7], v[40:41]
	v_fma_f64 v[3:4], v[4:5], v[36:37], v[20:21]
	v_add_f64 v[10:11], v[18:19], v[10:11]
	v_add_f64 v[12:13], v[14:15], v[12:13]
	s_waitcnt vmcnt(4)
	v_fma_f64 v[5:6], v[6:7], v[42:43], -v[24:25]
	v_fma_f64 v[7:8], v[8:9], v[42:43], v[16:17]
	v_add_f64 v[1:2], v[10:11], v[1:2]
	v_add_f64 v[3:4], v[12:13], v[3:4]
	;; [unrolled: 1-line block ×4, first 2 shown]
	s_waitcnt vmcnt(2)
	v_add_f64 v[1:2], v[44:45], -v[1:2]
	s_waitcnt vmcnt(0)
	v_add_f64 v[3:4], v[46:47], -v[3:4]
	buffer_store_dword v2, off, s[0:3], 0 offset:868
	buffer_store_dword v1, off, s[0:3], 0 offset:864
	buffer_store_dword v4, off, s[0:3], 0 offset:876
	buffer_store_dword v3, off, s[0:3], 0 offset:872
	v_cmpx_lt_u32_e32 52, v0
	s_cbranch_execz .LBB61_293
; %bb.292:
	v_mov_b32_e32 v4, s23
	v_mov_b32_e32 v5, 0
	s_clause 0x3
	buffer_load_dword v1, v4, s[0:3], 0 offen
	buffer_load_dword v2, v4, s[0:3], 0 offen offset:4
	buffer_load_dword v3, v4, s[0:3], 0 offen offset:8
	buffer_load_dword v4, v4, s[0:3], 0 offen offset:12
	buffer_store_dword v5, off, s[0:3], 0 offset:848
	buffer_store_dword v5, off, s[0:3], 0 offset:852
	;; [unrolled: 1-line block ×4, first 2 shown]
	s_waitcnt vmcnt(0)
	ds_write_b128 v69, v[1:4]
.LBB61_293:
	s_or_b32 exec_lo, exec_lo, s4
	s_waitcnt lgkmcnt(0)
	s_waitcnt_vscnt null, 0x0
	s_barrier
	buffer_gl0_inv
	s_clause 0x27
	buffer_load_dword v10, off, s[0:3], 0 offset:872
	buffer_load_dword v11, off, s[0:3], 0 offset:876
	;; [unrolled: 1-line block ×40, first 2 shown]
	v_mov_b32_e32 v1, 0
	ds_read_b128 v[2:5], v1 offset:1840
	ds_read_b128 v[6:9], v1 offset:1856
	s_mov_b32 s4, exec_lo
	s_waitcnt vmcnt(38) lgkmcnt(1)
	v_mul_f64 v[52:53], v[4:5], v[10:11]
	v_mul_f64 v[54:55], v[2:3], v[10:11]
	s_waitcnt vmcnt(36) lgkmcnt(0)
	v_mul_f64 v[56:57], v[8:9], v[14:15]
	ds_read_b128 v[10:13], v1 offset:1872
	v_mul_f64 v[14:15], v[6:7], v[14:15]
	s_waitcnt vmcnt(34)
	v_fma_f64 v[52:53], v[2:3], v[16:17], -v[52:53]
	v_fma_f64 v[16:17], v[4:5], v[16:17], v[54:55]
	ds_read_b128 v[2:5], v1 offset:1888
	s_waitcnt vmcnt(32) lgkmcnt(1)
	v_mul_f64 v[54:55], v[10:11], v[18:19]
	v_mul_f64 v[18:19], v[12:13], v[18:19]
	s_waitcnt vmcnt(30)
	v_fma_f64 v[56:57], v[6:7], v[20:21], -v[56:57]
	v_fma_f64 v[14:15], v[8:9], v[20:21], v[14:15]
	ds_read_b128 v[6:9], v1 offset:1904
	s_waitcnt vmcnt(26) lgkmcnt(1)
	v_mul_f64 v[20:21], v[2:3], v[22:23]
	v_add_f64 v[52:53], v[52:53], 0
	v_add_f64 v[16:17], v[16:17], 0
	v_mul_f64 v[22:23], v[4:5], v[22:23]
	s_waitcnt vmcnt(24)
	v_fma_f64 v[18:19], v[10:11], v[28:29], -v[18:19]
	v_fma_f64 v[28:29], v[12:13], v[28:29], v[54:55]
	ds_read_b128 v[10:13], v1 offset:1920
	s_waitcnt vmcnt(21)
	v_fma_f64 v[20:21], v[4:5], v[30:31], v[20:21]
	v_add_f64 v[52:53], v[52:53], v[56:57]
	v_add_f64 v[14:15], v[16:17], v[14:15]
	s_waitcnt lgkmcnt(1)
	v_mul_f64 v[16:17], v[6:7], v[24:25]
	v_mul_f64 v[24:25], v[8:9], v[24:25]
	v_fma_f64 v[22:23], v[2:3], v[30:31], -v[22:23]
	s_waitcnt vmcnt(17) lgkmcnt(0)
	v_mul_f64 v[30:31], v[12:13], v[32:33]
	ds_read_b128 v[2:5], v1 offset:1936
	v_add_f64 v[18:19], v[52:53], v[18:19]
	v_add_f64 v[14:15], v[14:15], v[28:29]
	v_mul_f64 v[28:29], v[10:11], v[32:33]
	s_waitcnt vmcnt(16)
	v_fma_f64 v[24:25], v[6:7], v[26:27], -v[24:25]
	v_fma_f64 v[16:17], v[8:9], v[26:27], v[16:17]
	ds_read_b128 v[6:9], v1 offset:1952
	s_waitcnt vmcnt(13)
	v_fma_f64 v[26:27], v[10:11], v[38:39], -v[30:31]
	v_add_f64 v[18:19], v[18:19], v[22:23]
	v_add_f64 v[14:15], v[14:15], v[20:21]
	s_waitcnt lgkmcnt(1)
	v_mul_f64 v[22:23], v[4:5], v[34:35]
	v_mul_f64 v[20:21], v[2:3], v[34:35]
	v_add_f64 v[18:19], v[18:19], v[24:25]
	v_fma_f64 v[24:25], v[12:13], v[38:39], v[28:29]
	v_add_f64 v[14:15], v[14:15], v[16:17]
	s_waitcnt vmcnt(9) lgkmcnt(0)
	v_mul_f64 v[28:29], v[8:9], v[40:41]
	s_waitcnt vmcnt(8)
	v_fma_f64 v[2:3], v[2:3], v[36:37], -v[22:23]
	ds_read_b128 v[10:13], v1 offset:1968
	v_mul_f64 v[16:17], v[6:7], v[40:41]
	v_fma_f64 v[4:5], v[4:5], v[36:37], v[20:21]
	v_add_f64 v[18:19], v[18:19], v[26:27]
	v_add_f64 v[14:15], v[14:15], v[24:25]
	s_waitcnt vmcnt(7) lgkmcnt(0)
	v_mul_f64 v[22:23], v[12:13], v[42:43]
	s_waitcnt vmcnt(5)
	v_fma_f64 v[6:7], v[6:7], v[46:47], -v[28:29]
	v_mul_f64 v[20:21], v[10:11], v[42:43]
	v_fma_f64 v[8:9], v[8:9], v[46:47], v[16:17]
	v_add_f64 v[2:3], v[18:19], v[2:3]
	v_add_f64 v[4:5], v[14:15], v[4:5]
	s_waitcnt vmcnt(4)
	v_fma_f64 v[10:11], v[10:11], v[44:45], -v[22:23]
	v_add_f64 v[2:3], v[2:3], v[6:7]
	v_fma_f64 v[6:7], v[12:13], v[44:45], v[20:21]
	v_add_f64 v[4:5], v[4:5], v[8:9]
	v_add_f64 v[2:3], v[2:3], v[10:11]
	v_add_f64 v[4:5], v[4:5], v[6:7]
	s_waitcnt vmcnt(2)
	v_add_f64 v[2:3], v[48:49], -v[2:3]
	s_waitcnt vmcnt(0)
	v_add_f64 v[4:5], v[50:51], -v[4:5]
	buffer_store_dword v3, off, s[0:3], 0 offset:852
	buffer_store_dword v2, off, s[0:3], 0 offset:848
	;; [unrolled: 1-line block ×4, first 2 shown]
	v_cmpx_lt_u32_e32 51, v0
	s_cbranch_execz .LBB61_295
; %bb.294:
	v_mov_b32_e32 v5, s24
	s_clause 0x3
	buffer_load_dword v2, v5, s[0:3], 0 offen
	buffer_load_dword v3, v5, s[0:3], 0 offen offset:4
	buffer_load_dword v4, v5, s[0:3], 0 offen offset:8
	;; [unrolled: 1-line block ×3, first 2 shown]
	buffer_store_dword v1, off, s[0:3], 0 offset:832
	buffer_store_dword v1, off, s[0:3], 0 offset:836
	buffer_store_dword v1, off, s[0:3], 0 offset:840
	buffer_store_dword v1, off, s[0:3], 0 offset:844
	s_waitcnt vmcnt(0)
	ds_write_b128 v69, v[2:5]
.LBB61_295:
	s_or_b32 exec_lo, exec_lo, s4
	s_waitcnt lgkmcnt(0)
	s_waitcnt_vscnt null, 0x0
	s_barrier
	buffer_gl0_inv
	s_clause 0x2b
	buffer_load_dword v10, off, s[0:3], 0 offset:856
	buffer_load_dword v11, off, s[0:3], 0 offset:860
	;; [unrolled: 1-line block ×44, first 2 shown]
	ds_read_b128 v[2:5], v1 offset:1824
	ds_read_b128 v[6:9], v1 offset:1840
	s_mov_b32 s4, exec_lo
	s_waitcnt vmcnt(42) lgkmcnt(1)
	v_mul_f64 v[56:57], v[4:5], v[10:11]
	v_mul_f64 v[58:59], v[2:3], v[10:11]
	s_waitcnt vmcnt(40) lgkmcnt(0)
	v_mul_f64 v[60:61], v[8:9], v[14:15]
	ds_read_b128 v[10:13], v1 offset:1856
	v_mul_f64 v[14:15], v[6:7], v[14:15]
	s_waitcnt vmcnt(38)
	v_fma_f64 v[56:57], v[2:3], v[16:17], -v[56:57]
	v_fma_f64 v[16:17], v[4:5], v[16:17], v[58:59]
	ds_read_b128 v[2:5], v1 offset:1872
	s_waitcnt vmcnt(36) lgkmcnt(1)
	v_mul_f64 v[58:59], v[10:11], v[18:19]
	v_mul_f64 v[18:19], v[12:13], v[18:19]
	s_waitcnt vmcnt(34)
	v_fma_f64 v[60:61], v[6:7], v[20:21], -v[60:61]
	v_fma_f64 v[14:15], v[8:9], v[20:21], v[14:15]
	ds_read_b128 v[6:9], v1 offset:1888
	s_waitcnt vmcnt(30) lgkmcnt(1)
	v_mul_f64 v[20:21], v[2:3], v[22:23]
	v_add_f64 v[56:57], v[56:57], 0
	v_add_f64 v[16:17], v[16:17], 0
	v_mul_f64 v[22:23], v[4:5], v[22:23]
	s_waitcnt vmcnt(28)
	v_fma_f64 v[18:19], v[10:11], v[28:29], -v[18:19]
	v_fma_f64 v[28:29], v[12:13], v[28:29], v[58:59]
	ds_read_b128 v[10:13], v1 offset:1904
	s_waitcnt vmcnt(25)
	v_fma_f64 v[20:21], v[4:5], v[30:31], v[20:21]
	v_add_f64 v[56:57], v[56:57], v[60:61]
	v_add_f64 v[14:15], v[16:17], v[14:15]
	s_waitcnt lgkmcnt(1)
	v_mul_f64 v[16:17], v[6:7], v[24:25]
	v_mul_f64 v[24:25], v[8:9], v[24:25]
	v_fma_f64 v[22:23], v[2:3], v[30:31], -v[22:23]
	s_waitcnt vmcnt(21) lgkmcnt(0)
	v_mul_f64 v[30:31], v[12:13], v[32:33]
	ds_read_b128 v[2:5], v1 offset:1920
	v_add_f64 v[18:19], v[56:57], v[18:19]
	v_add_f64 v[14:15], v[14:15], v[28:29]
	v_mul_f64 v[28:29], v[10:11], v[32:33]
	s_waitcnt vmcnt(20)
	v_fma_f64 v[24:25], v[6:7], v[26:27], -v[24:25]
	v_fma_f64 v[16:17], v[8:9], v[26:27], v[16:17]
	ds_read_b128 v[6:9], v1 offset:1936
	s_waitcnt vmcnt(17)
	v_fma_f64 v[26:27], v[10:11], v[38:39], -v[30:31]
	v_add_f64 v[18:19], v[18:19], v[22:23]
	v_add_f64 v[14:15], v[14:15], v[20:21]
	s_waitcnt lgkmcnt(1)
	v_mul_f64 v[22:23], v[4:5], v[34:35]
	v_mul_f64 v[20:21], v[2:3], v[34:35]
	v_add_f64 v[18:19], v[18:19], v[24:25]
	v_fma_f64 v[24:25], v[12:13], v[38:39], v[28:29]
	v_add_f64 v[14:15], v[14:15], v[16:17]
	s_waitcnt vmcnt(13) lgkmcnt(0)
	v_mul_f64 v[28:29], v[8:9], v[40:41]
	s_waitcnt vmcnt(12)
	v_fma_f64 v[22:23], v[2:3], v[36:37], -v[22:23]
	ds_read_b128 v[10:13], v1 offset:1952
	v_mul_f64 v[16:17], v[6:7], v[40:41]
	v_fma_f64 v[20:21], v[4:5], v[36:37], v[20:21]
	ds_read_b128 v[1:4], v1 offset:1968
	v_add_f64 v[18:19], v[18:19], v[26:27]
	v_add_f64 v[14:15], v[14:15], v[24:25]
	s_waitcnt vmcnt(11) lgkmcnt(1)
	v_mul_f64 v[26:27], v[12:13], v[42:43]
	s_waitcnt vmcnt(9)
	v_fma_f64 v[5:6], v[6:7], v[46:47], -v[28:29]
	v_mul_f64 v[24:25], v[10:11], v[42:43]
	v_fma_f64 v[7:8], v[8:9], v[46:47], v[16:17]
	s_waitcnt vmcnt(7) lgkmcnt(0)
	v_mul_f64 v[16:17], v[1:2], v[48:49]
	v_add_f64 v[18:19], v[18:19], v[22:23]
	v_add_f64 v[14:15], v[14:15], v[20:21]
	v_mul_f64 v[20:21], v[3:4], v[48:49]
	s_waitcnt vmcnt(6)
	v_fma_f64 v[9:10], v[10:11], v[44:45], -v[26:27]
	v_fma_f64 v[11:12], v[12:13], v[44:45], v[24:25]
	s_waitcnt vmcnt(4)
	v_fma_f64 v[3:4], v[3:4], v[50:51], v[16:17]
	v_add_f64 v[5:6], v[18:19], v[5:6]
	v_add_f64 v[7:8], v[14:15], v[7:8]
	v_fma_f64 v[1:2], v[1:2], v[50:51], -v[20:21]
	v_add_f64 v[5:6], v[5:6], v[9:10]
	v_add_f64 v[7:8], v[7:8], v[11:12]
	;; [unrolled: 1-line block ×4, first 2 shown]
	s_waitcnt vmcnt(2)
	v_add_f64 v[1:2], v[52:53], -v[1:2]
	s_waitcnt vmcnt(0)
	v_add_f64 v[3:4], v[54:55], -v[3:4]
	buffer_store_dword v2, off, s[0:3], 0 offset:836
	buffer_store_dword v1, off, s[0:3], 0 offset:832
	;; [unrolled: 1-line block ×4, first 2 shown]
	v_cmpx_lt_u32_e32 50, v0
	s_cbranch_execz .LBB61_297
; %bb.296:
	v_mov_b32_e32 v4, s25
	v_mov_b32_e32 v5, 0
	s_clause 0x3
	buffer_load_dword v1, v4, s[0:3], 0 offen
	buffer_load_dword v2, v4, s[0:3], 0 offen offset:4
	buffer_load_dword v3, v4, s[0:3], 0 offen offset:8
	;; [unrolled: 1-line block ×3, first 2 shown]
	buffer_store_dword v5, off, s[0:3], 0 offset:816
	buffer_store_dword v5, off, s[0:3], 0 offset:820
	;; [unrolled: 1-line block ×4, first 2 shown]
	s_waitcnt vmcnt(0)
	ds_write_b128 v69, v[1:4]
.LBB61_297:
	s_or_b32 exec_lo, exec_lo, s4
	s_waitcnt lgkmcnt(0)
	s_waitcnt_vscnt null, 0x0
	s_barrier
	buffer_gl0_inv
	s_clause 0x2f
	buffer_load_dword v10, off, s[0:3], 0 offset:840
	buffer_load_dword v11, off, s[0:3], 0 offset:844
	;; [unrolled: 1-line block ×48, first 2 shown]
	v_mov_b32_e32 v1, 0
	s_mov_b32 s4, exec_lo
	ds_read_b128 v[2:5], v1 offset:1808
	ds_read_b128 v[6:9], v1 offset:1824
	s_waitcnt vmcnt(46) lgkmcnt(1)
	v_mul_f64 v[60:61], v[4:5], v[10:11]
	v_mul_f64 v[62:63], v[2:3], v[10:11]
	s_waitcnt vmcnt(44) lgkmcnt(0)
	v_mul_f64 v[64:65], v[8:9], v[14:15]
	ds_read_b128 v[10:13], v1 offset:1840
	v_mul_f64 v[14:15], v[6:7], v[14:15]
	s_waitcnt vmcnt(42)
	v_fma_f64 v[60:61], v[2:3], v[16:17], -v[60:61]
	v_fma_f64 v[16:17], v[4:5], v[16:17], v[62:63]
	ds_read_b128 v[2:5], v1 offset:1856
	s_waitcnt vmcnt(40) lgkmcnt(1)
	v_mul_f64 v[62:63], v[10:11], v[18:19]
	v_mul_f64 v[18:19], v[12:13], v[18:19]
	s_waitcnt vmcnt(38)
	v_fma_f64 v[64:65], v[6:7], v[20:21], -v[64:65]
	v_fma_f64 v[14:15], v[8:9], v[20:21], v[14:15]
	ds_read_b128 v[6:9], v1 offset:1872
	s_waitcnt vmcnt(36) lgkmcnt(1)
	v_mul_f64 v[20:21], v[2:3], v[22:23]
	v_add_f64 v[60:61], v[60:61], 0
	v_add_f64 v[16:17], v[16:17], 0
	v_mul_f64 v[22:23], v[4:5], v[22:23]
	s_waitcnt vmcnt(34)
	v_fma_f64 v[18:19], v[10:11], v[24:25], -v[18:19]
	v_fma_f64 v[24:25], v[12:13], v[24:25], v[62:63]
	ds_read_b128 v[10:13], v1 offset:1888
	s_waitcnt vmcnt(30)
	v_fma_f64 v[20:21], v[4:5], v[28:29], v[20:21]
	v_add_f64 v[60:61], v[60:61], v[64:65]
	v_add_f64 v[14:15], v[16:17], v[14:15]
	s_waitcnt lgkmcnt(1)
	v_mul_f64 v[16:17], v[6:7], v[26:27]
	v_mul_f64 v[26:27], v[8:9], v[26:27]
	v_fma_f64 v[22:23], v[2:3], v[28:29], -v[22:23]
	s_waitcnt vmcnt(28) lgkmcnt(0)
	v_mul_f64 v[28:29], v[12:13], v[30:31]
	ds_read_b128 v[2:5], v1 offset:1904
	v_add_f64 v[18:19], v[60:61], v[18:19]
	v_add_f64 v[14:15], v[14:15], v[24:25]
	v_mul_f64 v[24:25], v[10:11], v[30:31]
	s_waitcnt vmcnt(26)
	v_fma_f64 v[26:27], v[6:7], v[32:33], -v[26:27]
	v_fma_f64 v[16:17], v[8:9], v[32:33], v[16:17]
	ds_read_b128 v[6:9], v1 offset:1920
	s_waitcnt vmcnt(22)
	v_fma_f64 v[28:29], v[10:11], v[36:37], -v[28:29]
	v_add_f64 v[18:19], v[18:19], v[22:23]
	v_add_f64 v[14:15], v[14:15], v[20:21]
	s_waitcnt lgkmcnt(1)
	v_mul_f64 v[22:23], v[4:5], v[34:35]
	v_mul_f64 v[20:21], v[2:3], v[34:35]
	v_fma_f64 v[24:25], v[12:13], v[36:37], v[24:25]
	ds_read_b128 v[10:13], v1 offset:1936
	v_add_f64 v[18:19], v[18:19], v[26:27]
	v_add_f64 v[14:15], v[14:15], v[16:17]
	s_waitcnt vmcnt(20) lgkmcnt(1)
	v_mul_f64 v[26:27], v[8:9], v[38:39]
	s_waitcnt vmcnt(18)
	v_fma_f64 v[22:23], v[2:3], v[40:41], -v[22:23]
	v_mul_f64 v[16:17], v[6:7], v[38:39]
	v_fma_f64 v[20:21], v[4:5], v[40:41], v[20:21]
	ds_read_b128 v[2:5], v1 offset:1952
	v_add_f64 v[18:19], v[18:19], v[28:29]
	v_add_f64 v[14:15], v[14:15], v[24:25]
	s_waitcnt vmcnt(16) lgkmcnt(1)
	v_mul_f64 v[28:29], v[12:13], v[42:43]
	s_waitcnt vmcnt(14)
	v_fma_f64 v[26:27], v[6:7], v[44:45], -v[26:27]
	v_mul_f64 v[24:25], v[10:11], v[42:43]
	v_fma_f64 v[16:17], v[8:9], v[44:45], v[16:17]
	ds_read_b128 v[6:9], v1 offset:1968
	v_add_f64 v[18:19], v[18:19], v[22:23]
	v_add_f64 v[14:15], v[14:15], v[20:21]
	s_waitcnt vmcnt(12) lgkmcnt(1)
	v_mul_f64 v[22:23], v[4:5], v[46:47]
	s_waitcnt vmcnt(10)
	v_fma_f64 v[10:11], v[10:11], v[48:49], -v[28:29]
	v_mul_f64 v[20:21], v[2:3], v[46:47]
	v_fma_f64 v[12:13], v[12:13], v[48:49], v[24:25]
	s_waitcnt vmcnt(8) lgkmcnt(0)
	v_mul_f64 v[24:25], v[8:9], v[50:51]
	v_add_f64 v[18:19], v[18:19], v[26:27]
	v_add_f64 v[14:15], v[14:15], v[16:17]
	s_waitcnt vmcnt(6)
	v_fma_f64 v[2:3], v[2:3], v[52:53], -v[22:23]
	v_mul_f64 v[16:17], v[6:7], v[50:51]
	v_fma_f64 v[4:5], v[4:5], v[52:53], v[20:21]
	s_waitcnt vmcnt(4)
	v_fma_f64 v[6:7], v[6:7], v[54:55], -v[24:25]
	v_add_f64 v[10:11], v[18:19], v[10:11]
	v_add_f64 v[12:13], v[14:15], v[12:13]
	v_fma_f64 v[8:9], v[8:9], v[54:55], v[16:17]
	v_add_f64 v[2:3], v[10:11], v[2:3]
	v_add_f64 v[4:5], v[12:13], v[4:5]
	;; [unrolled: 1-line block ×4, first 2 shown]
	s_waitcnt vmcnt(2)
	v_add_f64 v[2:3], v[56:57], -v[2:3]
	s_waitcnt vmcnt(0)
	v_add_f64 v[4:5], v[58:59], -v[4:5]
	buffer_store_dword v3, off, s[0:3], 0 offset:820
	buffer_store_dword v2, off, s[0:3], 0 offset:816
	buffer_store_dword v5, off, s[0:3], 0 offset:828
	buffer_store_dword v4, off, s[0:3], 0 offset:824
	v_cmpx_lt_u32_e32 49, v0
	s_cbranch_execz .LBB61_299
; %bb.298:
	v_mov_b32_e32 v5, s26
	s_clause 0x3
	buffer_load_dword v2, v5, s[0:3], 0 offen
	buffer_load_dword v3, v5, s[0:3], 0 offen offset:4
	buffer_load_dword v4, v5, s[0:3], 0 offen offset:8
	;; [unrolled: 1-line block ×3, first 2 shown]
	buffer_store_dword v1, off, s[0:3], 0 offset:800
	buffer_store_dword v1, off, s[0:3], 0 offset:804
	;; [unrolled: 1-line block ×4, first 2 shown]
	s_waitcnt vmcnt(0)
	ds_write_b128 v69, v[2:5]
.LBB61_299:
	s_or_b32 exec_lo, exec_lo, s4
	s_waitcnt lgkmcnt(0)
	s_waitcnt_vscnt null, 0x0
	s_barrier
	buffer_gl0_inv
	s_clause 0x2f
	buffer_load_dword v10, off, s[0:3], 0 offset:824
	buffer_load_dword v11, off, s[0:3], 0 offset:828
	buffer_load_dword v14, off, s[0:3], 0 offset:840
	buffer_load_dword v15, off, s[0:3], 0 offset:844
	buffer_load_dword v16, off, s[0:3], 0 offset:816
	buffer_load_dword v17, off, s[0:3], 0 offset:820
	buffer_load_dword v18, off, s[0:3], 0 offset:856
	buffer_load_dword v19, off, s[0:3], 0 offset:860
	buffer_load_dword v20, off, s[0:3], 0 offset:832
	buffer_load_dword v21, off, s[0:3], 0 offset:836
	buffer_load_dword v23, off, s[0:3], 0 offset:876
	buffer_load_dword v24, off, s[0:3], 0 offset:888
	buffer_load_dword v26, off, s[0:3], 0 offset:880
	buffer_load_dword v22, off, s[0:3], 0 offset:872
	buffer_load_dword v28, off, s[0:3], 0 offset:848
	buffer_load_dword v29, off, s[0:3], 0 offset:852
	buffer_load_dword v25, off, s[0:3], 0 offset:892
	buffer_load_dword v31, off, s[0:3], 0 offset:868
	buffer_load_dword v30, off, s[0:3], 0 offset:864
	buffer_load_dword v33, off, s[0:3], 0 offset:908
	buffer_load_dword v34, off, s[0:3], 0 offset:920
	buffer_load_dword v36, off, s[0:3], 0 offset:912
	buffer_load_dword v32, off, s[0:3], 0 offset:904
	buffer_load_dword v27, off, s[0:3], 0 offset:884
	buffer_load_dword v35, off, s[0:3], 0 offset:924
	buffer_load_dword v39, off, s[0:3], 0 offset:900
	buffer_load_dword v38, off, s[0:3], 0 offset:896
	buffer_load_dword v41, off, s[0:3], 0 offset:940
	buffer_load_dword v42, off, s[0:3], 0 offset:952
	buffer_load_dword v44, off, s[0:3], 0 offset:944
	buffer_load_dword v40, off, s[0:3], 0 offset:936
	buffer_load_dword v37, off, s[0:3], 0 offset:916
	buffer_load_dword v43, off, s[0:3], 0 offset:956
	buffer_load_dword v47, off, s[0:3], 0 offset:932
	buffer_load_dword v46, off, s[0:3], 0 offset:928
	buffer_load_dword v49, off, s[0:3], 0 offset:972
	buffer_load_dword v50, off, s[0:3], 0 offset:984
	buffer_load_dword v52, off, s[0:3], 0 offset:976
	buffer_load_dword v48, off, s[0:3], 0 offset:968
	buffer_load_dword v45, off, s[0:3], 0 offset:948
	buffer_load_dword v51, off, s[0:3], 0 offset:988
	buffer_load_dword v55, off, s[0:3], 0 offset:964
	buffer_load_dword v54, off, s[0:3], 0 offset:960
	buffer_load_dword v57, off, s[0:3], 0 offset:1004
	buffer_load_dword v56, off, s[0:3], 0 offset:1000
	buffer_load_dword v53, off, s[0:3], 0 offset:980
	buffer_load_dword v59, off, s[0:3], 0 offset:996
	buffer_load_dword v58, off, s[0:3], 0 offset:992
	ds_read_b128 v[2:5], v1 offset:1792
	s_clause 0x3
	buffer_load_dword v60, off, s[0:3], 0 offset:800
	buffer_load_dword v61, off, s[0:3], 0 offset:804
	;; [unrolled: 1-line block ×4, first 2 shown]
	ds_read_b128 v[6:9], v1 offset:1808
	s_mov_b32 s4, exec_lo
	s_waitcnt vmcnt(50) lgkmcnt(1)
	v_mul_f64 v[64:65], v[4:5], v[10:11]
	v_mul_f64 v[66:67], v[2:3], v[10:11]
	ds_read_b128 v[10:13], v1 offset:1824
	s_waitcnt vmcnt(48) lgkmcnt(1)
	v_mul_f64 v[70:71], v[8:9], v[14:15]
	v_mul_f64 v[14:15], v[6:7], v[14:15]
	s_waitcnt vmcnt(46)
	v_fma_f64 v[64:65], v[2:3], v[16:17], -v[64:65]
	v_fma_f64 v[16:17], v[4:5], v[16:17], v[66:67]
	s_waitcnt vmcnt(44) lgkmcnt(0)
	v_mul_f64 v[66:67], v[10:11], v[18:19]
	v_mul_f64 v[18:19], v[12:13], v[18:19]
	s_waitcnt vmcnt(42)
	v_fma_f64 v[70:71], v[6:7], v[20:21], -v[70:71]
	ds_read_b128 v[2:5], v1 offset:1840
	v_fma_f64 v[14:15], v[8:9], v[20:21], v[14:15]
	ds_read_b128 v[6:9], v1 offset:1856
	v_add_f64 v[64:65], v[64:65], 0
	v_add_f64 v[16:17], v[16:17], 0
	s_waitcnt vmcnt(38) lgkmcnt(1)
	v_mul_f64 v[20:21], v[2:3], v[22:23]
	v_mul_f64 v[22:23], v[4:5], v[22:23]
	s_waitcnt vmcnt(36)
	v_fma_f64 v[18:19], v[10:11], v[28:29], -v[18:19]
	v_fma_f64 v[28:29], v[12:13], v[28:29], v[66:67]
	ds_read_b128 v[10:13], v1 offset:1872
	v_add_f64 v[64:65], v[64:65], v[70:71]
	v_add_f64 v[14:15], v[16:17], v[14:15]
	s_waitcnt vmcnt(35) lgkmcnt(1)
	v_mul_f64 v[16:17], v[6:7], v[24:25]
	v_mul_f64 v[24:25], v[8:9], v[24:25]
	s_waitcnt vmcnt(33)
	v_fma_f64 v[22:23], v[2:3], v[30:31], -v[22:23]
	v_fma_f64 v[20:21], v[4:5], v[30:31], v[20:21]
	ds_read_b128 v[2:5], v1 offset:1888
	s_waitcnt vmcnt(29) lgkmcnt(1)
	v_mul_f64 v[30:31], v[12:13], v[32:33]
	v_add_f64 v[18:19], v[64:65], v[18:19]
	v_add_f64 v[14:15], v[14:15], v[28:29]
	v_mul_f64 v[28:29], v[10:11], v[32:33]
	s_waitcnt vmcnt(28)
	v_fma_f64 v[24:25], v[6:7], v[26:27], -v[24:25]
	v_fma_f64 v[16:17], v[8:9], v[26:27], v[16:17]
	ds_read_b128 v[6:9], v1 offset:1904
	s_waitcnt vmcnt(25)
	v_fma_f64 v[26:27], v[10:11], v[38:39], -v[30:31]
	v_add_f64 v[18:19], v[18:19], v[22:23]
	v_add_f64 v[14:15], v[14:15], v[20:21]
	s_waitcnt lgkmcnt(1)
	v_mul_f64 v[22:23], v[4:5], v[34:35]
	v_mul_f64 v[20:21], v[2:3], v[34:35]
	v_add_f64 v[18:19], v[18:19], v[24:25]
	v_fma_f64 v[24:25], v[12:13], v[38:39], v[28:29]
	v_add_f64 v[14:15], v[14:15], v[16:17]
	ds_read_b128 v[10:13], v1 offset:1920
	s_waitcnt vmcnt(21) lgkmcnt(1)
	v_mul_f64 v[28:29], v[8:9], v[40:41]
	s_waitcnt vmcnt(20)
	v_fma_f64 v[22:23], v[2:3], v[36:37], -v[22:23]
	v_mul_f64 v[16:17], v[6:7], v[40:41]
	v_fma_f64 v[20:21], v[4:5], v[36:37], v[20:21]
	ds_read_b128 v[2:5], v1 offset:1936
	v_add_f64 v[18:19], v[18:19], v[26:27]
	s_waitcnt vmcnt(19) lgkmcnt(1)
	v_mul_f64 v[26:27], v[12:13], v[42:43]
	v_add_f64 v[14:15], v[14:15], v[24:25]
	v_mul_f64 v[24:25], v[10:11], v[42:43]
	s_waitcnt vmcnt(17)
	v_fma_f64 v[28:29], v[6:7], v[46:47], -v[28:29]
	v_fma_f64 v[16:17], v[8:9], v[46:47], v[16:17]
	ds_read_b128 v[6:9], v1 offset:1952
	v_add_f64 v[18:19], v[18:19], v[22:23]
	s_waitcnt vmcnt(13) lgkmcnt(1)
	v_mul_f64 v[22:23], v[4:5], v[48:49]
	v_add_f64 v[14:15], v[14:15], v[20:21]
	s_waitcnt vmcnt(12)
	v_fma_f64 v[26:27], v[10:11], v[44:45], -v[26:27]
	v_mul_f64 v[20:21], v[2:3], v[48:49]
	v_fma_f64 v[24:25], v[12:13], v[44:45], v[24:25]
	ds_read_b128 v[10:13], v1 offset:1968
	v_add_f64 v[18:19], v[18:19], v[28:29]
	s_waitcnt vmcnt(11) lgkmcnt(1)
	v_mul_f64 v[28:29], v[8:9], v[50:51]
	v_add_f64 v[14:15], v[14:15], v[16:17]
	s_waitcnt vmcnt(9)
	v_fma_f64 v[1:2], v[2:3], v[54:55], -v[22:23]
	v_mul_f64 v[16:17], v[6:7], v[50:51]
	v_fma_f64 v[3:4], v[4:5], v[54:55], v[20:21]
	s_waitcnt vmcnt(7) lgkmcnt(0)
	v_mul_f64 v[22:23], v[12:13], v[56:57]
	v_mul_f64 v[20:21], v[10:11], v[56:57]
	v_add_f64 v[18:19], v[18:19], v[26:27]
	s_waitcnt vmcnt(6)
	v_fma_f64 v[5:6], v[6:7], v[52:53], -v[28:29]
	v_add_f64 v[14:15], v[14:15], v[24:25]
	v_fma_f64 v[7:8], v[8:9], v[52:53], v[16:17]
	s_waitcnt vmcnt(4)
	v_fma_f64 v[9:10], v[10:11], v[58:59], -v[22:23]
	v_add_f64 v[1:2], v[18:19], v[1:2]
	v_add_f64 v[3:4], v[14:15], v[3:4]
	;; [unrolled: 1-line block ×3, first 2 shown]
	v_fma_f64 v[5:6], v[12:13], v[58:59], v[20:21]
	v_add_f64 v[3:4], v[3:4], v[7:8]
	v_add_f64 v[1:2], v[1:2], v[9:10]
	;; [unrolled: 1-line block ×3, first 2 shown]
	s_waitcnt vmcnt(2)
	v_add_f64 v[1:2], v[60:61], -v[1:2]
	s_waitcnt vmcnt(0)
	v_add_f64 v[3:4], v[62:63], -v[3:4]
	buffer_store_dword v2, off, s[0:3], 0 offset:804
	buffer_store_dword v1, off, s[0:3], 0 offset:800
	;; [unrolled: 1-line block ×4, first 2 shown]
	v_cmpx_lt_u32_e32 48, v0
	s_cbranch_execz .LBB61_301
; %bb.300:
	v_mov_b32_e32 v4, s27
	v_mov_b32_e32 v5, 0
	s_clause 0x3
	buffer_load_dword v1, v4, s[0:3], 0 offen
	buffer_load_dword v2, v4, s[0:3], 0 offen offset:4
	buffer_load_dword v3, v4, s[0:3], 0 offen offset:8
	;; [unrolled: 1-line block ×3, first 2 shown]
	buffer_store_dword v5, off, s[0:3], 0 offset:784
	buffer_store_dword v5, off, s[0:3], 0 offset:788
	;; [unrolled: 1-line block ×4, first 2 shown]
	s_waitcnt vmcnt(0)
	ds_write_b128 v69, v[1:4]
.LBB61_301:
	s_or_b32 exec_lo, exec_lo, s4
	s_waitcnt lgkmcnt(0)
	s_waitcnt_vscnt null, 0x0
	s_barrier
	buffer_gl0_inv
	s_clause 0x33
	buffer_load_dword v10, off, s[0:3], 0 offset:808
	buffer_load_dword v11, off, s[0:3], 0 offset:812
	buffer_load_dword v14, off, s[0:3], 0 offset:824
	buffer_load_dword v15, off, s[0:3], 0 offset:828
	buffer_load_dword v16, off, s[0:3], 0 offset:800
	buffer_load_dword v17, off, s[0:3], 0 offset:804
	buffer_load_dword v18, off, s[0:3], 0 offset:840
	buffer_load_dword v19, off, s[0:3], 0 offset:844
	buffer_load_dword v20, off, s[0:3], 0 offset:816
	buffer_load_dword v21, off, s[0:3], 0 offset:820
	buffer_load_dword v23, off, s[0:3], 0 offset:860
	buffer_load_dword v24, off, s[0:3], 0 offset:872
	buffer_load_dword v26, off, s[0:3], 0 offset:864
	buffer_load_dword v22, off, s[0:3], 0 offset:856
	buffer_load_dword v28, off, s[0:3], 0 offset:832
	buffer_load_dword v29, off, s[0:3], 0 offset:836
	buffer_load_dword v25, off, s[0:3], 0 offset:876
	buffer_load_dword v31, off, s[0:3], 0 offset:852
	buffer_load_dword v30, off, s[0:3], 0 offset:848
	buffer_load_dword v33, off, s[0:3], 0 offset:892
	buffer_load_dword v34, off, s[0:3], 0 offset:904
	buffer_load_dword v36, off, s[0:3], 0 offset:896
	buffer_load_dword v32, off, s[0:3], 0 offset:888
	buffer_load_dword v27, off, s[0:3], 0 offset:868
	buffer_load_dword v35, off, s[0:3], 0 offset:908
	buffer_load_dword v39, off, s[0:3], 0 offset:884
	buffer_load_dword v38, off, s[0:3], 0 offset:880
	buffer_load_dword v41, off, s[0:3], 0 offset:924
	buffer_load_dword v42, off, s[0:3], 0 offset:936
	buffer_load_dword v44, off, s[0:3], 0 offset:928
	buffer_load_dword v40, off, s[0:3], 0 offset:920
	buffer_load_dword v37, off, s[0:3], 0 offset:900
	buffer_load_dword v43, off, s[0:3], 0 offset:940
	buffer_load_dword v47, off, s[0:3], 0 offset:916
	buffer_load_dword v46, off, s[0:3], 0 offset:912
	buffer_load_dword v49, off, s[0:3], 0 offset:956
	buffer_load_dword v50, off, s[0:3], 0 offset:968
	buffer_load_dword v52, off, s[0:3], 0 offset:960
	buffer_load_dword v48, off, s[0:3], 0 offset:952
	buffer_load_dword v45, off, s[0:3], 0 offset:932
	buffer_load_dword v51, off, s[0:3], 0 offset:972
	buffer_load_dword v55, off, s[0:3], 0 offset:948
	buffer_load_dword v54, off, s[0:3], 0 offset:944
	buffer_load_dword v57, off, s[0:3], 0 offset:988
	buffer_load_dword v58, off, s[0:3], 0 offset:1000
	buffer_load_dword v60, off, s[0:3], 0 offset:992
	buffer_load_dword v56, off, s[0:3], 0 offset:984
	buffer_load_dword v53, off, s[0:3], 0 offset:964
	buffer_load_dword v59, off, s[0:3], 0 offset:1004
	buffer_load_dword v63, off, s[0:3], 0 offset:980
	buffer_load_dword v62, off, s[0:3], 0 offset:976
	buffer_load_dword v61, off, s[0:3], 0 offset:996
	v_mov_b32_e32 v1, 0
	ds_read_b128 v[2:5], v1 offset:1776
	ds_read_b128 v[6:9], v1 offset:1792
	s_clause 0x3
	buffer_load_dword v70, off, s[0:3], 0 offset:784
	buffer_load_dword v71, off, s[0:3], 0 offset:788
	;; [unrolled: 1-line block ×4, first 2 shown]
	s_mov_b32 s4, exec_lo
	s_waitcnt vmcnt(54) lgkmcnt(1)
	v_mul_f64 v[64:65], v[4:5], v[10:11]
	v_mul_f64 v[66:67], v[2:3], v[10:11]
	s_waitcnt vmcnt(52) lgkmcnt(0)
	v_mul_f64 v[74:75], v[8:9], v[14:15]
	ds_read_b128 v[10:13], v1 offset:1808
	v_mul_f64 v[14:15], v[6:7], v[14:15]
	s_waitcnt vmcnt(50)
	v_fma_f64 v[64:65], v[2:3], v[16:17], -v[64:65]
	v_fma_f64 v[16:17], v[4:5], v[16:17], v[66:67]
	ds_read_b128 v[2:5], v1 offset:1824
	s_waitcnt vmcnt(48) lgkmcnt(1)
	v_mul_f64 v[66:67], v[10:11], v[18:19]
	v_mul_f64 v[18:19], v[12:13], v[18:19]
	s_waitcnt vmcnt(46)
	v_fma_f64 v[74:75], v[6:7], v[20:21], -v[74:75]
	v_fma_f64 v[14:15], v[8:9], v[20:21], v[14:15]
	ds_read_b128 v[6:9], v1 offset:1840
	s_waitcnt vmcnt(42) lgkmcnt(1)
	v_mul_f64 v[20:21], v[2:3], v[22:23]
	v_add_f64 v[64:65], v[64:65], 0
	v_add_f64 v[16:17], v[16:17], 0
	v_mul_f64 v[22:23], v[4:5], v[22:23]
	s_waitcnt vmcnt(40)
	v_fma_f64 v[18:19], v[10:11], v[28:29], -v[18:19]
	v_fma_f64 v[28:29], v[12:13], v[28:29], v[66:67]
	ds_read_b128 v[10:13], v1 offset:1856
	s_waitcnt vmcnt(37)
	v_fma_f64 v[20:21], v[4:5], v[30:31], v[20:21]
	v_add_f64 v[64:65], v[64:65], v[74:75]
	v_add_f64 v[14:15], v[16:17], v[14:15]
	s_waitcnt lgkmcnt(1)
	v_mul_f64 v[16:17], v[6:7], v[24:25]
	v_mul_f64 v[24:25], v[8:9], v[24:25]
	v_fma_f64 v[22:23], v[2:3], v[30:31], -v[22:23]
	s_waitcnt vmcnt(33) lgkmcnt(0)
	v_mul_f64 v[30:31], v[12:13], v[32:33]
	ds_read_b128 v[2:5], v1 offset:1872
	v_add_f64 v[18:19], v[64:65], v[18:19]
	v_add_f64 v[14:15], v[14:15], v[28:29]
	v_mul_f64 v[28:29], v[10:11], v[32:33]
	s_waitcnt vmcnt(32)
	v_fma_f64 v[24:25], v[6:7], v[26:27], -v[24:25]
	v_fma_f64 v[16:17], v[8:9], v[26:27], v[16:17]
	ds_read_b128 v[6:9], v1 offset:1888
	s_waitcnt vmcnt(29)
	v_fma_f64 v[26:27], v[10:11], v[38:39], -v[30:31]
	v_add_f64 v[18:19], v[18:19], v[22:23]
	v_add_f64 v[14:15], v[14:15], v[20:21]
	s_waitcnt lgkmcnt(1)
	v_mul_f64 v[22:23], v[4:5], v[34:35]
	v_mul_f64 v[20:21], v[2:3], v[34:35]
	v_add_f64 v[18:19], v[18:19], v[24:25]
	v_fma_f64 v[24:25], v[12:13], v[38:39], v[28:29]
	v_add_f64 v[14:15], v[14:15], v[16:17]
	s_waitcnt vmcnt(25) lgkmcnt(0)
	v_mul_f64 v[28:29], v[8:9], v[40:41]
	s_waitcnt vmcnt(24)
	v_fma_f64 v[22:23], v[2:3], v[36:37], -v[22:23]
	ds_read_b128 v[10:13], v1 offset:1904
	v_mul_f64 v[16:17], v[6:7], v[40:41]
	v_fma_f64 v[20:21], v[4:5], v[36:37], v[20:21]
	ds_read_b128 v[2:5], v1 offset:1920
	v_add_f64 v[18:19], v[18:19], v[26:27]
	v_add_f64 v[14:15], v[14:15], v[24:25]
	s_waitcnt vmcnt(23) lgkmcnt(1)
	v_mul_f64 v[26:27], v[12:13], v[42:43]
	s_waitcnt vmcnt(21)
	v_fma_f64 v[28:29], v[6:7], v[46:47], -v[28:29]
	v_mul_f64 v[24:25], v[10:11], v[42:43]
	v_fma_f64 v[16:17], v[8:9], v[46:47], v[16:17]
	ds_read_b128 v[6:9], v1 offset:1936
	v_add_f64 v[18:19], v[18:19], v[22:23]
	s_waitcnt vmcnt(17) lgkmcnt(1)
	v_mul_f64 v[22:23], v[4:5], v[48:49]
	v_add_f64 v[14:15], v[14:15], v[20:21]
	s_waitcnt vmcnt(16)
	v_fma_f64 v[26:27], v[10:11], v[44:45], -v[26:27]
	v_mul_f64 v[20:21], v[2:3], v[48:49]
	v_fma_f64 v[24:25], v[12:13], v[44:45], v[24:25]
	ds_read_b128 v[10:13], v1 offset:1952
	v_add_f64 v[18:19], v[18:19], v[28:29]
	s_waitcnt vmcnt(15) lgkmcnt(1)
	v_mul_f64 v[28:29], v[8:9], v[50:51]
	v_add_f64 v[14:15], v[14:15], v[16:17]
	;; [unrolled: 9-line block ×3, first 2 shown]
	s_waitcnt vmcnt(8)
	v_fma_f64 v[6:7], v[6:7], v[52:53], -v[28:29]
	v_mul_f64 v[24:25], v[10:11], v[56:57]
	v_fma_f64 v[8:9], v[8:9], v[52:53], v[16:17]
	s_waitcnt vmcnt(7) lgkmcnt(0)
	v_mul_f64 v[16:17], v[2:3], v[58:59]
	v_add_f64 v[18:19], v[18:19], v[22:23]
	s_waitcnt vmcnt(5)
	v_fma_f64 v[10:11], v[10:11], v[62:63], -v[26:27]
	v_add_f64 v[14:15], v[14:15], v[20:21]
	v_mul_f64 v[20:21], v[4:5], v[58:59]
	v_fma_f64 v[12:13], v[12:13], v[62:63], v[24:25]
	s_waitcnt vmcnt(4)
	v_fma_f64 v[4:5], v[4:5], v[60:61], v[16:17]
	v_add_f64 v[6:7], v[18:19], v[6:7]
	v_add_f64 v[8:9], v[14:15], v[8:9]
	v_fma_f64 v[2:3], v[2:3], v[60:61], -v[20:21]
	v_add_f64 v[6:7], v[6:7], v[10:11]
	v_add_f64 v[8:9], v[8:9], v[12:13]
	;; [unrolled: 1-line block ×4, first 2 shown]
	s_waitcnt vmcnt(2)
	v_add_f64 v[2:3], v[70:71], -v[2:3]
	s_waitcnt vmcnt(0)
	v_add_f64 v[4:5], v[72:73], -v[4:5]
	buffer_store_dword v3, off, s[0:3], 0 offset:788
	buffer_store_dword v2, off, s[0:3], 0 offset:784
	;; [unrolled: 1-line block ×4, first 2 shown]
	v_cmpx_lt_u32_e32 47, v0
	s_cbranch_execz .LBB61_303
; %bb.302:
	v_mov_b32_e32 v5, s28
	s_clause 0x3
	buffer_load_dword v2, v5, s[0:3], 0 offen
	buffer_load_dword v3, v5, s[0:3], 0 offen offset:4
	buffer_load_dword v4, v5, s[0:3], 0 offen offset:8
	;; [unrolled: 1-line block ×3, first 2 shown]
	buffer_store_dword v1, off, s[0:3], 0 offset:768
	buffer_store_dword v1, off, s[0:3], 0 offset:772
	;; [unrolled: 1-line block ×4, first 2 shown]
	s_waitcnt vmcnt(0)
	ds_write_b128 v69, v[2:5]
.LBB61_303:
	s_or_b32 exec_lo, exec_lo, s4
	s_waitcnt lgkmcnt(0)
	s_waitcnt_vscnt null, 0x0
	s_barrier
	buffer_gl0_inv
	s_clause 0x35
	buffer_load_dword v10, off, s[0:3], 0 offset:792
	buffer_load_dword v11, off, s[0:3], 0 offset:796
	buffer_load_dword v14, off, s[0:3], 0 offset:808
	buffer_load_dword v15, off, s[0:3], 0 offset:812
	buffer_load_dword v16, off, s[0:3], 0 offset:784
	buffer_load_dword v17, off, s[0:3], 0 offset:788
	buffer_load_dword v18, off, s[0:3], 0 offset:824
	buffer_load_dword v19, off, s[0:3], 0 offset:828
	buffer_load_dword v20, off, s[0:3], 0 offset:800
	buffer_load_dword v21, off, s[0:3], 0 offset:804
	buffer_load_dword v23, off, s[0:3], 0 offset:844
	buffer_load_dword v24, off, s[0:3], 0 offset:856
	buffer_load_dword v26, off, s[0:3], 0 offset:848
	buffer_load_dword v22, off, s[0:3], 0 offset:840
	buffer_load_dword v28, off, s[0:3], 0 offset:816
	buffer_load_dword v29, off, s[0:3], 0 offset:820
	buffer_load_dword v25, off, s[0:3], 0 offset:860
	buffer_load_dword v31, off, s[0:3], 0 offset:836
	buffer_load_dword v30, off, s[0:3], 0 offset:832
	buffer_load_dword v33, off, s[0:3], 0 offset:876
	buffer_load_dword v34, off, s[0:3], 0 offset:888
	buffer_load_dword v36, off, s[0:3], 0 offset:880
	buffer_load_dword v32, off, s[0:3], 0 offset:872
	buffer_load_dword v27, off, s[0:3], 0 offset:852
	buffer_load_dword v35, off, s[0:3], 0 offset:892
	buffer_load_dword v39, off, s[0:3], 0 offset:868
	buffer_load_dword v38, off, s[0:3], 0 offset:864
	buffer_load_dword v41, off, s[0:3], 0 offset:908
	buffer_load_dword v42, off, s[0:3], 0 offset:920
	buffer_load_dword v44, off, s[0:3], 0 offset:912
	buffer_load_dword v40, off, s[0:3], 0 offset:904
	buffer_load_dword v37, off, s[0:3], 0 offset:884
	buffer_load_dword v43, off, s[0:3], 0 offset:924
	buffer_load_dword v47, off, s[0:3], 0 offset:900
	buffer_load_dword v46, off, s[0:3], 0 offset:896
	buffer_load_dword v49, off, s[0:3], 0 offset:940
	buffer_load_dword v50, off, s[0:3], 0 offset:952
	buffer_load_dword v52, off, s[0:3], 0 offset:944
	buffer_load_dword v48, off, s[0:3], 0 offset:936
	buffer_load_dword v45, off, s[0:3], 0 offset:916
	buffer_load_dword v51, off, s[0:3], 0 offset:956
	buffer_load_dword v55, off, s[0:3], 0 offset:932
	buffer_load_dword v54, off, s[0:3], 0 offset:928
	buffer_load_dword v57, off, s[0:3], 0 offset:972
	buffer_load_dword v58, off, s[0:3], 0 offset:984
	buffer_load_dword v60, off, s[0:3], 0 offset:976
	buffer_load_dword v56, off, s[0:3], 0 offset:968
	buffer_load_dword v53, off, s[0:3], 0 offset:948
	buffer_load_dword v59, off, s[0:3], 0 offset:988
	buffer_load_dword v63, off, s[0:3], 0 offset:964
	buffer_load_dword v62, off, s[0:3], 0 offset:960
	buffer_load_dword v65, off, s[0:3], 0 offset:1004
	buffer_load_dword v64, off, s[0:3], 0 offset:1000
	buffer_load_dword v61, off, s[0:3], 0 offset:980
	ds_read_b128 v[2:5], v1 offset:1760
	s_clause 0x1
	buffer_load_dword v67, off, s[0:3], 0 offset:996
	buffer_load_dword v66, off, s[0:3], 0 offset:992
	ds_read_b128 v[6:9], v1 offset:1776
	s_mov_b32 s4, exec_lo
	s_waitcnt vmcnt(54) lgkmcnt(1)
	v_mul_f64 v[70:71], v[4:5], v[10:11]
	v_mul_f64 v[72:73], v[2:3], v[10:11]
	ds_read_b128 v[10:13], v1 offset:1792
	s_waitcnt vmcnt(52) lgkmcnt(1)
	v_mul_f64 v[74:75], v[8:9], v[14:15]
	v_mul_f64 v[14:15], v[6:7], v[14:15]
	s_waitcnt vmcnt(48) lgkmcnt(0)
	v_mul_f64 v[78:79], v[10:11], v[18:19]
	v_fma_f64 v[70:71], v[2:3], v[16:17], -v[70:71]
	v_fma_f64 v[16:17], v[4:5], v[16:17], v[72:73]
	s_clause 0x3
	buffer_load_dword v72, off, s[0:3], 0 offset:768
	buffer_load_dword v73, off, s[0:3], 0 offset:772
	;; [unrolled: 1-line block ×4, first 2 shown]
	v_mul_f64 v[18:19], v[12:13], v[18:19]
	s_waitcnt vmcnt(50)
	v_fma_f64 v[74:75], v[6:7], v[20:21], -v[74:75]
	ds_read_b128 v[2:5], v1 offset:1808
	v_fma_f64 v[14:15], v[8:9], v[20:21], v[14:15]
	ds_read_b128 v[6:9], v1 offset:1824
	v_add_f64 v[70:71], v[70:71], 0
	v_add_f64 v[16:17], v[16:17], 0
	s_waitcnt vmcnt(46) lgkmcnt(1)
	v_mul_f64 v[20:21], v[2:3], v[22:23]
	v_mul_f64 v[22:23], v[4:5], v[22:23]
	s_waitcnt vmcnt(44)
	v_fma_f64 v[18:19], v[10:11], v[28:29], -v[18:19]
	v_fma_f64 v[28:29], v[12:13], v[28:29], v[78:79]
	ds_read_b128 v[10:13], v1 offset:1840
	v_add_f64 v[70:71], v[70:71], v[74:75]
	v_add_f64 v[14:15], v[16:17], v[14:15]
	s_waitcnt vmcnt(43) lgkmcnt(1)
	v_mul_f64 v[16:17], v[6:7], v[24:25]
	v_mul_f64 v[24:25], v[8:9], v[24:25]
	s_waitcnt vmcnt(41)
	v_fma_f64 v[22:23], v[2:3], v[30:31], -v[22:23]
	v_fma_f64 v[20:21], v[4:5], v[30:31], v[20:21]
	ds_read_b128 v[2:5], v1 offset:1856
	s_waitcnt vmcnt(37) lgkmcnt(1)
	v_mul_f64 v[30:31], v[12:13], v[32:33]
	v_add_f64 v[18:19], v[70:71], v[18:19]
	v_add_f64 v[14:15], v[14:15], v[28:29]
	v_mul_f64 v[28:29], v[10:11], v[32:33]
	s_waitcnt vmcnt(36)
	v_fma_f64 v[24:25], v[6:7], v[26:27], -v[24:25]
	v_fma_f64 v[16:17], v[8:9], v[26:27], v[16:17]
	ds_read_b128 v[6:9], v1 offset:1872
	s_waitcnt vmcnt(33)
	v_fma_f64 v[26:27], v[10:11], v[38:39], -v[30:31]
	v_add_f64 v[18:19], v[18:19], v[22:23]
	v_add_f64 v[14:15], v[14:15], v[20:21]
	s_waitcnt lgkmcnt(1)
	v_mul_f64 v[22:23], v[4:5], v[34:35]
	v_mul_f64 v[20:21], v[2:3], v[34:35]
	v_add_f64 v[18:19], v[18:19], v[24:25]
	v_fma_f64 v[24:25], v[12:13], v[38:39], v[28:29]
	v_add_f64 v[14:15], v[14:15], v[16:17]
	ds_read_b128 v[10:13], v1 offset:1888
	s_waitcnt vmcnt(29) lgkmcnt(1)
	v_mul_f64 v[28:29], v[8:9], v[40:41]
	s_waitcnt vmcnt(28)
	v_fma_f64 v[22:23], v[2:3], v[36:37], -v[22:23]
	v_mul_f64 v[16:17], v[6:7], v[40:41]
	v_fma_f64 v[20:21], v[4:5], v[36:37], v[20:21]
	ds_read_b128 v[2:5], v1 offset:1904
	v_add_f64 v[18:19], v[18:19], v[26:27]
	s_waitcnt vmcnt(27) lgkmcnt(1)
	v_mul_f64 v[26:27], v[12:13], v[42:43]
	v_add_f64 v[14:15], v[14:15], v[24:25]
	v_mul_f64 v[24:25], v[10:11], v[42:43]
	s_waitcnt vmcnt(25)
	v_fma_f64 v[28:29], v[6:7], v[46:47], -v[28:29]
	v_fma_f64 v[16:17], v[8:9], v[46:47], v[16:17]
	ds_read_b128 v[6:9], v1 offset:1920
	v_add_f64 v[18:19], v[18:19], v[22:23]
	s_waitcnt vmcnt(21) lgkmcnt(1)
	v_mul_f64 v[22:23], v[4:5], v[48:49]
	v_add_f64 v[14:15], v[14:15], v[20:21]
	s_waitcnt vmcnt(20)
	v_fma_f64 v[26:27], v[10:11], v[44:45], -v[26:27]
	v_mul_f64 v[20:21], v[2:3], v[48:49]
	v_fma_f64 v[24:25], v[12:13], v[44:45], v[24:25]
	ds_read_b128 v[10:13], v1 offset:1936
	v_add_f64 v[18:19], v[18:19], v[28:29]
	s_waitcnt vmcnt(19) lgkmcnt(1)
	v_mul_f64 v[28:29], v[8:9], v[50:51]
	v_add_f64 v[14:15], v[14:15], v[16:17]
	s_waitcnt vmcnt(17)
	v_fma_f64 v[22:23], v[2:3], v[54:55], -v[22:23]
	v_mul_f64 v[16:17], v[6:7], v[50:51]
	;; [unrolled: 9-line block ×4, first 2 shown]
	v_fma_f64 v[12:13], v[12:13], v[62:63], v[24:25]
	s_waitcnt vmcnt(7) lgkmcnt(0)
	v_mul_f64 v[24:25], v[8:9], v[64:65]
	v_add_f64 v[18:19], v[18:19], v[28:29]
	s_waitcnt vmcnt(6)
	v_fma_f64 v[1:2], v[2:3], v[60:61], -v[22:23]
	v_add_f64 v[14:15], v[14:15], v[16:17]
	v_mul_f64 v[16:17], v[6:7], v[64:65]
	v_fma_f64 v[3:4], v[4:5], v[60:61], v[20:21]
	s_waitcnt vmcnt(4)
	v_fma_f64 v[5:6], v[6:7], v[66:67], -v[24:25]
	v_add_f64 v[10:11], v[18:19], v[10:11]
	v_add_f64 v[12:13], v[14:15], v[12:13]
	v_fma_f64 v[7:8], v[8:9], v[66:67], v[16:17]
	v_add_f64 v[1:2], v[10:11], v[1:2]
	v_add_f64 v[3:4], v[12:13], v[3:4]
	;; [unrolled: 1-line block ×4, first 2 shown]
	s_waitcnt vmcnt(2)
	v_add_f64 v[1:2], v[72:73], -v[1:2]
	s_waitcnt vmcnt(0)
	v_add_f64 v[3:4], v[76:77], -v[3:4]
	buffer_store_dword v2, off, s[0:3], 0 offset:772
	buffer_store_dword v1, off, s[0:3], 0 offset:768
	;; [unrolled: 1-line block ×4, first 2 shown]
	v_cmpx_lt_u32_e32 46, v0
	s_cbranch_execz .LBB61_305
; %bb.304:
	v_mov_b32_e32 v4, s29
	v_mov_b32_e32 v5, 0
	s_clause 0x3
	buffer_load_dword v1, v4, s[0:3], 0 offen
	buffer_load_dword v2, v4, s[0:3], 0 offen offset:4
	buffer_load_dword v3, v4, s[0:3], 0 offen offset:8
	;; [unrolled: 1-line block ×3, first 2 shown]
	buffer_store_dword v5, off, s[0:3], 0 offset:752
	buffer_store_dword v5, off, s[0:3], 0 offset:756
	;; [unrolled: 1-line block ×4, first 2 shown]
	s_waitcnt vmcnt(0)
	ds_write_b128 v69, v[1:4]
.LBB61_305:
	s_or_b32 exec_lo, exec_lo, s4
	s_waitcnt lgkmcnt(0)
	s_waitcnt_vscnt null, 0x0
	s_barrier
	buffer_gl0_inv
	s_clause 0x37
	buffer_load_dword v10, off, s[0:3], 0 offset:776
	buffer_load_dword v11, off, s[0:3], 0 offset:780
	;; [unrolled: 1-line block ×56, first 2 shown]
	v_mov_b32_e32 v1, 0
	s_mov_b32 s4, exec_lo
	ds_read_b128 v[2:5], v1 offset:1744
	s_clause 0x2
	buffer_load_dword v67, off, s[0:3], 0 offset:1004
	buffer_load_dword v73, off, s[0:3], 0 offset:980
	;; [unrolled: 1-line block ×3, first 2 shown]
	ds_read_b128 v[6:9], v1 offset:1760
	buffer_load_dword v71, off, s[0:3], 0 offset:996
	s_waitcnt vmcnt(58) lgkmcnt(1)
	v_mul_f64 v[74:75], v[4:5], v[10:11]
	v_mul_f64 v[76:77], v[2:3], v[10:11]
	ds_read_b128 v[10:13], v1 offset:1776
	s_waitcnt vmcnt(56) lgkmcnt(1)
	v_mul_f64 v[78:79], v[8:9], v[14:15]
	v_mul_f64 v[14:15], v[6:7], v[14:15]
	s_waitcnt vmcnt(54)
	v_fma_f64 v[74:75], v[2:3], v[16:17], -v[74:75]
	v_fma_f64 v[16:17], v[4:5], v[16:17], v[76:77]
	s_waitcnt vmcnt(52) lgkmcnt(0)
	v_mul_f64 v[76:77], v[10:11], v[18:19]
	v_mul_f64 v[18:19], v[12:13], v[18:19]
	s_waitcnt vmcnt(50)
	v_fma_f64 v[78:79], v[6:7], v[20:21], -v[78:79]
	ds_read_b128 v[2:5], v1 offset:1792
	v_fma_f64 v[14:15], v[8:9], v[20:21], v[14:15]
	s_clause 0x3
	buffer_load_dword v20, off, s[0:3], 0 offset:752
	buffer_load_dword v21, off, s[0:3], 0 offset:756
	;; [unrolled: 1-line block ×4, first 2 shown]
	ds_read_b128 v[6:9], v1 offset:1808
	v_add_f64 v[74:75], v[74:75], 0
	v_add_f64 v[16:17], v[16:17], 0
	s_waitcnt vmcnt(50) lgkmcnt(1)
	v_mul_f64 v[86:87], v[2:3], v[22:23]
	v_mul_f64 v[22:23], v[4:5], v[22:23]
	s_waitcnt vmcnt(48)
	v_fma_f64 v[18:19], v[10:11], v[28:29], -v[18:19]
	v_fma_f64 v[28:29], v[12:13], v[28:29], v[76:77]
	ds_read_b128 v[10:13], v1 offset:1824
	v_add_f64 v[74:75], v[74:75], v[78:79]
	v_add_f64 v[14:15], v[16:17], v[14:15]
	s_waitcnt vmcnt(47) lgkmcnt(1)
	v_mul_f64 v[16:17], v[6:7], v[24:25]
	v_mul_f64 v[24:25], v[8:9], v[24:25]
	s_waitcnt vmcnt(45)
	v_fma_f64 v[22:23], v[2:3], v[30:31], -v[22:23]
	v_fma_f64 v[30:31], v[4:5], v[30:31], v[86:87]
	;; [unrolled: 9-line block ×3, first 2 shown]
	ds_read_b128 v[6:9], v1 offset:1856
	s_waitcnt vmcnt(39) lgkmcnt(1)
	v_mul_f64 v[26:27], v[4:5], v[34:35]
	v_add_f64 v[18:19], v[18:19], v[22:23]
	v_add_f64 v[14:15], v[14:15], v[30:31]
	v_mul_f64 v[22:23], v[2:3], v[34:35]
	s_waitcnt vmcnt(37)
	v_fma_f64 v[30:31], v[10:11], v[38:39], -v[32:33]
	s_waitcnt vmcnt(32)
	v_fma_f64 v[26:27], v[2:3], v[36:37], -v[26:27]
	v_add_f64 v[18:19], v[18:19], v[24:25]
	v_fma_f64 v[24:25], v[12:13], v[38:39], v[28:29]
	v_add_f64 v[14:15], v[14:15], v[16:17]
	s_waitcnt lgkmcnt(0)
	v_mul_f64 v[28:29], v[8:9], v[40:41]
	ds_read_b128 v[10:13], v1 offset:1872
	v_mul_f64 v[16:17], v[6:7], v[40:41]
	v_fma_f64 v[22:23], v[4:5], v[36:37], v[22:23]
	ds_read_b128 v[2:5], v1 offset:1888
	v_add_f64 v[18:19], v[18:19], v[30:31]
	v_add_f64 v[14:15], v[14:15], v[24:25]
	s_waitcnt vmcnt(31) lgkmcnt(1)
	v_mul_f64 v[30:31], v[12:13], v[42:43]
	s_waitcnt vmcnt(29)
	v_fma_f64 v[28:29], v[6:7], v[46:47], -v[28:29]
	v_mul_f64 v[24:25], v[10:11], v[42:43]
	v_fma_f64 v[16:17], v[8:9], v[46:47], v[16:17]
	ds_read_b128 v[6:9], v1 offset:1904
	v_add_f64 v[18:19], v[18:19], v[26:27]
	s_waitcnt vmcnt(25) lgkmcnt(1)
	v_mul_f64 v[26:27], v[4:5], v[48:49]
	v_add_f64 v[14:15], v[14:15], v[22:23]
	s_waitcnt vmcnt(24)
	v_fma_f64 v[30:31], v[10:11], v[44:45], -v[30:31]
	v_mul_f64 v[22:23], v[2:3], v[48:49]
	v_fma_f64 v[24:25], v[12:13], v[44:45], v[24:25]
	ds_read_b128 v[10:13], v1 offset:1920
	v_add_f64 v[18:19], v[18:19], v[28:29]
	s_waitcnt vmcnt(23) lgkmcnt(1)
	v_mul_f64 v[28:29], v[8:9], v[50:51]
	v_add_f64 v[14:15], v[14:15], v[16:17]
	;; [unrolled: 9-line block ×5, first 2 shown]
	s_waitcnt vmcnt(8)
	v_fma_f64 v[2:3], v[2:3], v[60:61], -v[26:27]
	v_mul_f64 v[16:17], v[6:7], v[64:65]
	v_fma_f64 v[4:5], v[4:5], v[60:61], v[22:23]
	s_waitcnt vmcnt(7) lgkmcnt(0)
	v_mul_f64 v[22:23], v[10:11], v[66:67]
	v_add_f64 v[18:19], v[18:19], v[30:31]
	s_waitcnt vmcnt(5)
	v_fma_f64 v[6:7], v[6:7], v[72:73], -v[28:29]
	v_add_f64 v[14:15], v[14:15], v[24:25]
	v_mul_f64 v[24:25], v[12:13], v[66:67]
	v_fma_f64 v[8:9], v[8:9], v[72:73], v[16:17]
	v_add_f64 v[2:3], v[18:19], v[2:3]
	v_add_f64 v[4:5], v[14:15], v[4:5]
	s_waitcnt vmcnt(4)
	v_fma_f64 v[10:11], v[10:11], v[70:71], -v[24:25]
	v_add_f64 v[2:3], v[2:3], v[6:7]
	v_fma_f64 v[6:7], v[12:13], v[70:71], v[22:23]
	v_add_f64 v[4:5], v[4:5], v[8:9]
	v_add_f64 v[2:3], v[2:3], v[10:11]
	v_add_f64 v[4:5], v[4:5], v[6:7]
	s_waitcnt vmcnt(2)
	v_add_f64 v[2:3], v[20:21], -v[2:3]
	s_waitcnt vmcnt(0)
	v_add_f64 v[4:5], v[84:85], -v[4:5]
	buffer_store_dword v3, off, s[0:3], 0 offset:756
	buffer_store_dword v2, off, s[0:3], 0 offset:752
	;; [unrolled: 1-line block ×4, first 2 shown]
	v_cmpx_lt_u32_e32 45, v0
	s_cbranch_execz .LBB61_307
; %bb.306:
	v_mov_b32_e32 v5, s30
	s_clause 0x3
	buffer_load_dword v2, v5, s[0:3], 0 offen
	buffer_load_dword v3, v5, s[0:3], 0 offen offset:4
	buffer_load_dword v4, v5, s[0:3], 0 offen offset:8
	buffer_load_dword v5, v5, s[0:3], 0 offen offset:12
	buffer_store_dword v1, off, s[0:3], 0 offset:736
	buffer_store_dword v1, off, s[0:3], 0 offset:740
	;; [unrolled: 1-line block ×4, first 2 shown]
	s_waitcnt vmcnt(0)
	ds_write_b128 v69, v[2:5]
.LBB61_307:
	s_or_b32 exec_lo, exec_lo, s4
	s_waitcnt lgkmcnt(0)
	s_waitcnt_vscnt null, 0x0
	s_barrier
	buffer_gl0_inv
	s_clause 0x37
	buffer_load_dword v10, off, s[0:3], 0 offset:760
	buffer_load_dword v11, off, s[0:3], 0 offset:764
	;; [unrolled: 1-line block ×56, first 2 shown]
	ds_read_b128 v[2:5], v1 offset:1728
	s_clause 0x2
	buffer_load_dword v67, off, s[0:3], 0 offset:988
	buffer_load_dword v73, off, s[0:3], 0 offset:964
	;; [unrolled: 1-line block ×3, first 2 shown]
	ds_read_b128 v[6:9], v1 offset:1744
	s_clause 0x2
	buffer_load_dword v79, off, s[0:3], 0 offset:1004
	buffer_load_dword v78, off, s[0:3], 0 offset:1000
	;; [unrolled: 1-line block ×3, first 2 shown]
	s_mov_b32 s4, exec_lo
	s_waitcnt vmcnt(60) lgkmcnt(1)
	v_mul_f64 v[74:75], v[4:5], v[10:11]
	v_mul_f64 v[76:77], v[2:3], v[10:11]
	s_waitcnt vmcnt(58) lgkmcnt(0)
	v_mul_f64 v[84:85], v[8:9], v[14:15]
	ds_read_b128 v[10:13], v1 offset:1760
	v_mul_f64 v[14:15], v[6:7], v[14:15]
	s_waitcnt vmcnt(56)
	v_fma_f64 v[74:75], v[2:3], v[16:17], -v[74:75]
	v_fma_f64 v[16:17], v[4:5], v[16:17], v[76:77]
	s_clause 0x1
	buffer_load_dword v77, off, s[0:3], 0 offset:996
	buffer_load_dword v76, off, s[0:3], 0 offset:992
	s_waitcnt vmcnt(56) lgkmcnt(0)
	v_mul_f64 v[86:87], v[10:11], v[18:19]
	v_mul_f64 v[18:19], v[12:13], v[18:19]
	s_waitcnt vmcnt(54)
	v_fma_f64 v[84:85], v[6:7], v[20:21], -v[84:85]
	ds_read_b128 v[2:5], v1 offset:1776
	v_fma_f64 v[14:15], v[8:9], v[20:21], v[14:15]
	ds_read_b128 v[6:9], v1 offset:1792
	v_add_f64 v[74:75], v[74:75], 0
	v_add_f64 v[16:17], v[16:17], 0
	s_waitcnt vmcnt(50) lgkmcnt(1)
	v_mul_f64 v[20:21], v[2:3], v[22:23]
	v_mul_f64 v[22:23], v[4:5], v[22:23]
	s_waitcnt vmcnt(48)
	v_fma_f64 v[18:19], v[10:11], v[28:29], -v[18:19]
	v_fma_f64 v[28:29], v[12:13], v[28:29], v[86:87]
	s_waitcnt vmcnt(47) lgkmcnt(0)
	v_mul_f64 v[86:87], v[6:7], v[24:25]
	v_mul_f64 v[24:25], v[8:9], v[24:25]
	v_add_f64 v[74:75], v[74:75], v[84:85]
	v_add_f64 v[14:15], v[16:17], v[14:15]
	s_clause 0x3
	buffer_load_dword v16, off, s[0:3], 0 offset:736
	buffer_load_dword v17, off, s[0:3], 0 offset:740
	;; [unrolled: 1-line block ×4, first 2 shown]
	ds_read_b128 v[10:13], v1 offset:1808
	s_waitcnt vmcnt(49)
	v_fma_f64 v[20:21], v[4:5], v[30:31], v[20:21]
	v_fma_f64 v[22:23], v[2:3], v[30:31], -v[22:23]
	ds_read_b128 v[2:5], v1 offset:1824
	s_waitcnt vmcnt(44)
	v_fma_f64 v[24:25], v[6:7], v[26:27], -v[24:25]
	v_add_f64 v[18:19], v[74:75], v[18:19]
	v_add_f64 v[14:15], v[14:15], v[28:29]
	s_waitcnt lgkmcnt(1)
	v_mul_f64 v[30:31], v[12:13], v[32:33]
	v_mul_f64 v[28:29], v[10:11], v[32:33]
	v_add_f64 v[18:19], v[18:19], v[22:23]
	v_fma_f64 v[22:23], v[8:9], v[26:27], v[86:87]
	v_add_f64 v[14:15], v[14:15], v[20:21]
	s_waitcnt vmcnt(43) lgkmcnt(0)
	v_mul_f64 v[26:27], v[4:5], v[34:35]
	s_waitcnt vmcnt(41)
	v_fma_f64 v[30:31], v[10:11], v[38:39], -v[30:31]
	ds_read_b128 v[6:9], v1 offset:1840
	v_mul_f64 v[20:21], v[2:3], v[34:35]
	v_add_f64 v[18:19], v[18:19], v[24:25]
	v_fma_f64 v[24:25], v[12:13], v[38:39], v[28:29]
	v_add_f64 v[14:15], v[14:15], v[22:23]
	ds_read_b128 v[10:13], v1 offset:1856
	s_waitcnt vmcnt(37) lgkmcnt(1)
	v_mul_f64 v[28:29], v[8:9], v[40:41]
	s_waitcnt vmcnt(36)
	v_fma_f64 v[26:27], v[2:3], v[36:37], -v[26:27]
	v_mul_f64 v[22:23], v[6:7], v[40:41]
	v_fma_f64 v[20:21], v[4:5], v[36:37], v[20:21]
	ds_read_b128 v[2:5], v1 offset:1872
	v_add_f64 v[18:19], v[18:19], v[30:31]
	s_waitcnt vmcnt(35) lgkmcnt(1)
	v_mul_f64 v[30:31], v[12:13], v[42:43]
	v_add_f64 v[14:15], v[14:15], v[24:25]
	v_mul_f64 v[24:25], v[10:11], v[42:43]
	s_waitcnt vmcnt(33)
	v_fma_f64 v[28:29], v[6:7], v[46:47], -v[28:29]
	v_fma_f64 v[22:23], v[8:9], v[46:47], v[22:23]
	ds_read_b128 v[6:9], v1 offset:1888
	v_add_f64 v[18:19], v[18:19], v[26:27]
	s_waitcnt vmcnt(29) lgkmcnt(1)
	v_mul_f64 v[26:27], v[4:5], v[48:49]
	v_add_f64 v[14:15], v[14:15], v[20:21]
	s_waitcnt vmcnt(28)
	v_fma_f64 v[30:31], v[10:11], v[44:45], -v[30:31]
	v_mul_f64 v[20:21], v[2:3], v[48:49]
	v_fma_f64 v[24:25], v[12:13], v[44:45], v[24:25]
	ds_read_b128 v[10:13], v1 offset:1904
	v_add_f64 v[18:19], v[18:19], v[28:29]
	s_waitcnt vmcnt(27) lgkmcnt(1)
	v_mul_f64 v[28:29], v[8:9], v[50:51]
	v_add_f64 v[14:15], v[14:15], v[22:23]
	s_waitcnt vmcnt(25)
	v_fma_f64 v[26:27], v[2:3], v[54:55], -v[26:27]
	v_mul_f64 v[22:23], v[6:7], v[50:51]
	;; [unrolled: 9-line block ×6, first 2 shown]
	v_fma_f64 v[7:8], v[8:9], v[72:73], v[22:23]
	s_waitcnt vmcnt(7) lgkmcnt(0)
	v_mul_f64 v[22:23], v[3:4], v[78:79]
	v_add_f64 v[18:19], v[18:19], v[26:27]
	s_waitcnt vmcnt(6)
	v_fma_f64 v[9:10], v[10:11], v[70:71], -v[30:31]
	v_add_f64 v[14:15], v[14:15], v[20:21]
	v_mul_f64 v[20:21], v[1:2], v[78:79]
	v_fma_f64 v[11:12], v[12:13], v[70:71], v[24:25]
	v_add_f64 v[5:6], v[18:19], v[5:6]
	v_add_f64 v[7:8], v[14:15], v[7:8]
	s_waitcnt vmcnt(4)
	v_fma_f64 v[1:2], v[1:2], v[76:77], -v[22:23]
	v_fma_f64 v[3:4], v[3:4], v[76:77], v[20:21]
	v_add_f64 v[5:6], v[5:6], v[9:10]
	v_add_f64 v[7:8], v[7:8], v[11:12]
	;; [unrolled: 1-line block ×4, first 2 shown]
	s_waitcnt vmcnt(2)
	v_add_f64 v[1:2], v[16:17], -v[1:2]
	s_waitcnt vmcnt(0)
	v_add_f64 v[3:4], v[84:85], -v[3:4]
	buffer_store_dword v2, off, s[0:3], 0 offset:740
	buffer_store_dword v1, off, s[0:3], 0 offset:736
	;; [unrolled: 1-line block ×4, first 2 shown]
	v_cmpx_lt_u32_e32 44, v0
	s_cbranch_execz .LBB61_309
; %bb.308:
	v_mov_b32_e32 v4, s31
	v_mov_b32_e32 v5, 0
	s_clause 0x3
	buffer_load_dword v1, v4, s[0:3], 0 offen
	buffer_load_dword v2, v4, s[0:3], 0 offen offset:4
	buffer_load_dword v3, v4, s[0:3], 0 offen offset:8
	;; [unrolled: 1-line block ×3, first 2 shown]
	buffer_store_dword v5, off, s[0:3], 0 offset:720
	buffer_store_dword v5, off, s[0:3], 0 offset:724
	;; [unrolled: 1-line block ×4, first 2 shown]
	s_waitcnt vmcnt(0)
	ds_write_b128 v69, v[1:4]
.LBB61_309:
	s_or_b32 exec_lo, exec_lo, s4
	s_waitcnt lgkmcnt(0)
	s_waitcnt_vscnt null, 0x0
	s_barrier
	buffer_gl0_inv
	s_clause 0x37
	buffer_load_dword v10, off, s[0:3], 0 offset:744
	buffer_load_dword v11, off, s[0:3], 0 offset:748
	;; [unrolled: 1-line block ×56, first 2 shown]
	v_mov_b32_e32 v1, 0
	s_mov_b32 s4, exec_lo
	ds_read_b128 v[2:5], v1 offset:1712
	s_clause 0x2
	buffer_load_dword v67, off, s[0:3], 0 offset:972
	buffer_load_dword v73, off, s[0:3], 0 offset:948
	;; [unrolled: 1-line block ×3, first 2 shown]
	ds_read_b128 v[6:9], v1 offset:1728
	s_clause 0x4
	buffer_load_dword v79, off, s[0:3], 0 offset:988
	buffer_load_dword v84, off, s[0:3], 0 offset:1000
	;; [unrolled: 1-line block ×5, first 2 shown]
	s_waitcnt vmcnt(62) lgkmcnt(1)
	v_mul_f64 v[74:75], v[4:5], v[10:11]
	v_mul_f64 v[76:77], v[2:3], v[10:11]
	s_waitcnt vmcnt(60) lgkmcnt(0)
	v_mul_f64 v[87:88], v[8:9], v[14:15]
	ds_read_b128 v[10:13], v1 offset:1744
	v_mul_f64 v[14:15], v[6:7], v[14:15]
	s_waitcnt vmcnt(58)
	v_fma_f64 v[74:75], v[2:3], v[16:17], -v[74:75]
	v_fma_f64 v[16:17], v[4:5], v[16:17], v[76:77]
	s_clause 0x2
	buffer_load_dword v85, off, s[0:3], 0 offset:1004
	buffer_load_dword v77, off, s[0:3], 0 offset:980
	;; [unrolled: 1-line block ×3, first 2 shown]
	s_waitcnt vmcnt(59) lgkmcnt(0)
	v_mul_f64 v[93:94], v[10:11], v[18:19]
	v_mul_f64 v[18:19], v[12:13], v[18:19]
	s_waitcnt vmcnt(57)
	v_fma_f64 v[95:96], v[6:7], v[20:21], -v[87:88]
	ds_read_b128 v[2:5], v1 offset:1760
	v_fma_f64 v[14:15], v[8:9], v[20:21], v[14:15]
	buffer_load_dword v87, off, s[0:3], 0 offset:996
	ds_read_b128 v[6:9], v1 offset:1776
	v_add_f64 v[74:75], v[74:75], 0
	v_add_f64 v[16:17], v[16:17], 0
	s_waitcnt vmcnt(54) lgkmcnt(1)
	v_mul_f64 v[20:21], v[2:3], v[22:23]
	v_mul_f64 v[22:23], v[4:5], v[22:23]
	s_waitcnt vmcnt(52)
	v_fma_f64 v[18:19], v[10:11], v[28:29], -v[18:19]
	v_fma_f64 v[28:29], v[12:13], v[28:29], v[93:94]
	ds_read_b128 v[10:13], v1 offset:1792
	v_add_f64 v[74:75], v[74:75], v[95:96]
	v_add_f64 v[14:15], v[16:17], v[14:15]
	s_waitcnt vmcnt(51) lgkmcnt(1)
	v_mul_f64 v[16:17], v[6:7], v[24:25]
	v_mul_f64 v[24:25], v[8:9], v[24:25]
	s_waitcnt vmcnt(49)
	v_fma_f64 v[20:21], v[4:5], v[30:31], v[20:21]
	v_fma_f64 v[22:23], v[2:3], v[30:31], -v[22:23]
	v_add_f64 v[18:19], v[74:75], v[18:19]
	v_add_f64 v[14:15], v[14:15], v[28:29]
	s_clause 0x3
	buffer_load_dword v28, off, s[0:3], 0 offset:720
	buffer_load_dword v29, off, s[0:3], 0 offset:724
	;; [unrolled: 1-line block ×4, first 2 shown]
	s_waitcnt vmcnt(49) lgkmcnt(0)
	v_mul_f64 v[74:75], v[10:11], v[32:33]
	v_mul_f64 v[32:33], v[12:13], v[32:33]
	s_waitcnt vmcnt(48)
	v_fma_f64 v[24:25], v[6:7], v[26:27], -v[24:25]
	ds_read_b128 v[2:5], v1 offset:1808
	v_fma_f64 v[16:17], v[8:9], v[26:27], v[16:17]
	ds_read_b128 v[6:9], v1 offset:1824
	v_add_f64 v[18:19], v[18:19], v[22:23]
	v_add_f64 v[14:15], v[14:15], v[20:21]
	s_waitcnt vmcnt(47) lgkmcnt(1)
	v_mul_f64 v[22:23], v[4:5], v[34:35]
	s_waitcnt vmcnt(45)
	v_fma_f64 v[26:27], v[10:11], v[38:39], -v[32:33]
	v_mul_f64 v[20:21], v[2:3], v[34:35]
	s_waitcnt vmcnt(41) lgkmcnt(0)
	v_mul_f64 v[32:33], v[8:9], v[40:41]
	v_add_f64 v[18:19], v[18:19], v[24:25]
	v_fma_f64 v[24:25], v[12:13], v[38:39], v[74:75]
	v_add_f64 v[14:15], v[14:15], v[16:17]
	ds_read_b128 v[10:13], v1 offset:1840
	s_waitcnt vmcnt(40)
	v_fma_f64 v[22:23], v[2:3], v[36:37], -v[22:23]
	v_mul_f64 v[16:17], v[6:7], v[40:41]
	v_fma_f64 v[20:21], v[4:5], v[36:37], v[20:21]
	ds_read_b128 v[2:5], v1 offset:1856
	s_waitcnt vmcnt(37)
	v_fma_f64 v[32:33], v[6:7], v[46:47], -v[32:33]
	v_add_f64 v[18:19], v[18:19], v[26:27]
	s_waitcnt lgkmcnt(1)
	v_mul_f64 v[26:27], v[12:13], v[42:43]
	v_add_f64 v[14:15], v[14:15], v[24:25]
	v_mul_f64 v[24:25], v[10:11], v[42:43]
	v_fma_f64 v[16:17], v[8:9], v[46:47], v[16:17]
	ds_read_b128 v[6:9], v1 offset:1872
	v_add_f64 v[18:19], v[18:19], v[22:23]
	s_waitcnt vmcnt(33) lgkmcnt(1)
	v_mul_f64 v[22:23], v[4:5], v[48:49]
	v_add_f64 v[14:15], v[14:15], v[20:21]
	s_waitcnt vmcnt(32)
	v_fma_f64 v[26:27], v[10:11], v[44:45], -v[26:27]
	v_mul_f64 v[20:21], v[2:3], v[48:49]
	v_fma_f64 v[24:25], v[12:13], v[44:45], v[24:25]
	ds_read_b128 v[10:13], v1 offset:1888
	v_add_f64 v[18:19], v[18:19], v[32:33]
	s_waitcnt vmcnt(31) lgkmcnt(1)
	v_mul_f64 v[32:33], v[8:9], v[50:51]
	v_add_f64 v[14:15], v[14:15], v[16:17]
	s_waitcnt vmcnt(29)
	v_fma_f64 v[22:23], v[2:3], v[54:55], -v[22:23]
	;; [unrolled: 9-line block ×7, first 2 shown]
	v_mul_f64 v[20:21], v[2:3], v[78:79]
	v_fma_f64 v[12:13], v[12:13], v[70:71], v[24:25]
	v_add_f64 v[18:19], v[18:19], v[32:33]
	v_add_f64 v[14:15], v[14:15], v[16:17]
	s_waitcnt vmcnt(7) lgkmcnt(0)
	v_mul_f64 v[24:25], v[8:9], v[84:85]
	v_mul_f64 v[16:17], v[6:7], v[84:85]
	s_waitcnt vmcnt(5)
	v_fma_f64 v[2:3], v[2:3], v[76:77], -v[22:23]
	v_fma_f64 v[4:5], v[4:5], v[76:77], v[20:21]
	v_add_f64 v[10:11], v[18:19], v[10:11]
	v_add_f64 v[12:13], v[14:15], v[12:13]
	s_waitcnt vmcnt(4)
	v_fma_f64 v[6:7], v[6:7], v[86:87], -v[24:25]
	v_fma_f64 v[8:9], v[8:9], v[86:87], v[16:17]
	v_add_f64 v[2:3], v[10:11], v[2:3]
	v_add_f64 v[4:5], v[12:13], v[4:5]
	;; [unrolled: 1-line block ×4, first 2 shown]
	s_waitcnt vmcnt(2)
	v_add_f64 v[2:3], v[28:29], -v[2:3]
	s_waitcnt vmcnt(0)
	v_add_f64 v[4:5], v[30:31], -v[4:5]
	buffer_store_dword v3, off, s[0:3], 0 offset:724
	buffer_store_dword v2, off, s[0:3], 0 offset:720
	;; [unrolled: 1-line block ×4, first 2 shown]
	v_cmpx_lt_u32_e32 43, v0
	s_cbranch_execz .LBB61_311
; %bb.310:
	v_mov_b32_e32 v5, s33
	s_clause 0x3
	buffer_load_dword v2, v5, s[0:3], 0 offen
	buffer_load_dword v3, v5, s[0:3], 0 offen offset:4
	buffer_load_dword v4, v5, s[0:3], 0 offen offset:8
	;; [unrolled: 1-line block ×3, first 2 shown]
	buffer_store_dword v1, off, s[0:3], 0 offset:704
	buffer_store_dword v1, off, s[0:3], 0 offset:708
	;; [unrolled: 1-line block ×4, first 2 shown]
	s_waitcnt vmcnt(0)
	ds_write_b128 v69, v[2:5]
.LBB61_311:
	s_or_b32 exec_lo, exec_lo, s4
	s_waitcnt lgkmcnt(0)
	s_waitcnt_vscnt null, 0x0
	s_barrier
	buffer_gl0_inv
	s_clause 0x37
	buffer_load_dword v10, off, s[0:3], 0 offset:728
	buffer_load_dword v11, off, s[0:3], 0 offset:732
	;; [unrolled: 1-line block ×56, first 2 shown]
	ds_read_b128 v[2:5], v1 offset:1696
	s_clause 0x2
	buffer_load_dword v67, off, s[0:3], 0 offset:956
	buffer_load_dword v73, off, s[0:3], 0 offset:932
	;; [unrolled: 1-line block ×3, first 2 shown]
	ds_read_b128 v[6:9], v1 offset:1712
	s_clause 0x4
	buffer_load_dword v79, off, s[0:3], 0 offset:972
	buffer_load_dword v84, off, s[0:3], 0 offset:984
	;; [unrolled: 1-line block ×5, first 2 shown]
	s_mov_b32 s4, exec_lo
	s_waitcnt vmcnt(62) lgkmcnt(1)
	v_mul_f64 v[74:75], v[4:5], v[10:11]
	v_mul_f64 v[76:77], v[2:3], v[10:11]
	s_waitcnt vmcnt(60) lgkmcnt(0)
	v_mul_f64 v[87:88], v[8:9], v[14:15]
	ds_read_b128 v[10:13], v1 offset:1728
	v_mul_f64 v[14:15], v[6:7], v[14:15]
	s_waitcnt vmcnt(58)
	v_fma_f64 v[74:75], v[2:3], v[16:17], -v[74:75]
	v_fma_f64 v[16:17], v[4:5], v[16:17], v[76:77]
	s_clause 0x2
	buffer_load_dword v85, off, s[0:3], 0 offset:988
	buffer_load_dword v77, off, s[0:3], 0 offset:964
	;; [unrolled: 1-line block ×3, first 2 shown]
	s_waitcnt vmcnt(59) lgkmcnt(0)
	v_mul_f64 v[93:94], v[10:11], v[18:19]
	v_mul_f64 v[18:19], v[12:13], v[18:19]
	s_waitcnt vmcnt(57)
	v_fma_f64 v[95:96], v[6:7], v[20:21], -v[87:88]
	ds_read_b128 v[2:5], v1 offset:1744
	v_fma_f64 v[14:15], v[8:9], v[20:21], v[14:15]
	s_clause 0x2
	buffer_load_dword v21, off, s[0:3], 0 offset:1004
	buffer_load_dword v20, off, s[0:3], 0 offset:1000
	buffer_load_dword v87, off, s[0:3], 0 offset:980
	ds_read_b128 v[6:9], v1 offset:1760
	v_add_f64 v[74:75], v[74:75], 0
	v_add_f64 v[16:17], v[16:17], 0
	s_waitcnt vmcnt(56) lgkmcnt(1)
	v_mul_f64 v[123:124], v[2:3], v[22:23]
	v_mul_f64 v[22:23], v[4:5], v[22:23]
	s_waitcnt vmcnt(54)
	v_fma_f64 v[18:19], v[10:11], v[28:29], -v[18:19]
	v_fma_f64 v[28:29], v[12:13], v[28:29], v[93:94]
	s_waitcnt vmcnt(53) lgkmcnt(0)
	v_mul_f64 v[93:94], v[6:7], v[24:25]
	v_mul_f64 v[24:25], v[8:9], v[24:25]
	v_add_f64 v[74:75], v[74:75], v[95:96]
	v_add_f64 v[14:15], v[16:17], v[14:15]
	s_clause 0x1
	buffer_load_dword v17, off, s[0:3], 0 offset:996
	buffer_load_dword v16, off, s[0:3], 0 offset:992
	ds_read_b128 v[10:13], v1 offset:1776
	s_waitcnt vmcnt(53)
	v_fma_f64 v[22:23], v[2:3], v[30:31], -v[22:23]
	v_fma_f64 v[30:31], v[4:5], v[30:31], v[123:124]
	ds_read_b128 v[2:5], v1 offset:1792
	s_waitcnt vmcnt(48)
	v_fma_f64 v[24:25], v[6:7], v[26:27], -v[24:25]
	v_add_f64 v[18:19], v[74:75], v[18:19]
	v_add_f64 v[14:15], v[14:15], v[28:29]
	s_waitcnt lgkmcnt(1)
	v_mul_f64 v[28:29], v[10:11], v[32:33]
	v_mul_f64 v[32:33], v[12:13], v[32:33]
	s_waitcnt vmcnt(47) lgkmcnt(0)
	v_mul_f64 v[74:75], v[2:3], v[34:35]
	v_mul_f64 v[34:35], v[4:5], v[34:35]
	v_add_f64 v[18:19], v[18:19], v[22:23]
	v_fma_f64 v[22:23], v[8:9], v[26:27], v[93:94]
	v_add_f64 v[14:15], v[14:15], v[30:31]
	s_clause 0x3
	buffer_load_dword v26, off, s[0:3], 0 offset:704
	buffer_load_dword v27, off, s[0:3], 0 offset:708
	;; [unrolled: 1-line block ×4, first 2 shown]
	s_waitcnt vmcnt(49)
	v_fma_f64 v[32:33], v[10:11], v[38:39], -v[32:33]
	ds_read_b128 v[6:9], v1 offset:1808
	s_waitcnt vmcnt(44)
	v_fma_f64 v[34:35], v[2:3], v[36:37], -v[34:35]
	v_add_f64 v[18:19], v[18:19], v[24:25]
	v_fma_f64 v[24:25], v[12:13], v[38:39], v[28:29]
	v_add_f64 v[14:15], v[14:15], v[22:23]
	ds_read_b128 v[10:13], v1 offset:1824
	s_waitcnt lgkmcnt(1)
	v_mul_f64 v[28:29], v[8:9], v[40:41]
	v_mul_f64 v[22:23], v[6:7], v[40:41]
	v_add_f64 v[18:19], v[18:19], v[32:33]
	v_fma_f64 v[32:33], v[4:5], v[36:37], v[74:75]
	v_add_f64 v[14:15], v[14:15], v[24:25]
	s_waitcnt vmcnt(43) lgkmcnt(0)
	v_mul_f64 v[36:37], v[12:13], v[42:43]
	s_waitcnt vmcnt(41)
	v_fma_f64 v[28:29], v[6:7], v[46:47], -v[28:29]
	ds_read_b128 v[2:5], v1 offset:1840
	v_mul_f64 v[24:25], v[10:11], v[42:43]
	v_fma_f64 v[22:23], v[8:9], v[46:47], v[22:23]
	ds_read_b128 v[6:9], v1 offset:1856
	v_add_f64 v[18:19], v[18:19], v[34:35]
	v_add_f64 v[14:15], v[14:15], v[32:33]
	s_waitcnt vmcnt(37) lgkmcnt(1)
	v_mul_f64 v[34:35], v[4:5], v[48:49]
	s_waitcnt vmcnt(36)
	v_fma_f64 v[36:37], v[10:11], v[44:45], -v[36:37]
	v_mul_f64 v[32:33], v[2:3], v[48:49]
	v_fma_f64 v[24:25], v[12:13], v[44:45], v[24:25]
	ds_read_b128 v[10:13], v1 offset:1872
	v_add_f64 v[18:19], v[18:19], v[28:29]
	s_waitcnt vmcnt(35) lgkmcnt(1)
	v_mul_f64 v[28:29], v[8:9], v[50:51]
	v_add_f64 v[14:15], v[14:15], v[22:23]
	s_waitcnt vmcnt(33)
	v_fma_f64 v[34:35], v[2:3], v[54:55], -v[34:35]
	v_mul_f64 v[22:23], v[6:7], v[50:51]
	v_fma_f64 v[32:33], v[4:5], v[54:55], v[32:33]
	ds_read_b128 v[2:5], v1 offset:1888
	v_add_f64 v[18:19], v[18:19], v[36:37]
	s_waitcnt vmcnt(29) lgkmcnt(1)
	v_mul_f64 v[36:37], v[12:13], v[56:57]
	v_add_f64 v[14:15], v[14:15], v[24:25]
	;; [unrolled: 9-line block ×6, first 2 shown]
	s_waitcnt vmcnt(12)
	v_fma_f64 v[36:37], v[10:11], v[70:71], -v[36:37]
	v_mul_f64 v[32:33], v[2:3], v[78:79]
	v_fma_f64 v[24:25], v[12:13], v[70:71], v[24:25]
	ds_read_b128 v[10:13], v1 offset:1968
	v_add_f64 v[18:19], v[18:19], v[28:29]
	v_add_f64 v[14:15], v[14:15], v[22:23]
	s_waitcnt vmcnt(11) lgkmcnt(1)
	v_mul_f64 v[28:29], v[8:9], v[84:85]
	v_mul_f64 v[22:23], v[6:7], v[84:85]
	s_waitcnt vmcnt(9)
	v_fma_f64 v[1:2], v[2:3], v[76:77], -v[34:35]
	v_fma_f64 v[3:4], v[4:5], v[76:77], v[32:33]
	v_add_f64 v[18:19], v[18:19], v[36:37]
	v_add_f64 v[14:15], v[14:15], v[24:25]
	s_waitcnt vmcnt(7) lgkmcnt(0)
	v_mul_f64 v[24:25], v[10:11], v[20:21]
	v_mul_f64 v[20:21], v[12:13], v[20:21]
	s_waitcnt vmcnt(6)
	v_fma_f64 v[5:6], v[6:7], v[86:87], -v[28:29]
	v_fma_f64 v[7:8], v[8:9], v[86:87], v[22:23]
	v_add_f64 v[1:2], v[18:19], v[1:2]
	v_add_f64 v[3:4], v[14:15], v[3:4]
	s_waitcnt vmcnt(4)
	v_fma_f64 v[9:10], v[10:11], v[16:17], -v[20:21]
	v_add_f64 v[1:2], v[1:2], v[5:6]
	v_fma_f64 v[5:6], v[12:13], v[16:17], v[24:25]
	v_add_f64 v[3:4], v[3:4], v[7:8]
	v_add_f64 v[1:2], v[1:2], v[9:10]
	;; [unrolled: 1-line block ×3, first 2 shown]
	s_waitcnt vmcnt(2)
	v_add_f64 v[1:2], v[26:27], -v[1:2]
	s_waitcnt vmcnt(0)
	v_add_f64 v[3:4], v[30:31], -v[3:4]
	buffer_store_dword v2, off, s[0:3], 0 offset:708
	buffer_store_dword v1, off, s[0:3], 0 offset:704
	buffer_store_dword v4, off, s[0:3], 0 offset:716
	buffer_store_dword v3, off, s[0:3], 0 offset:712
	v_cmpx_lt_u32_e32 42, v0
	s_cbranch_execz .LBB61_313
; %bb.312:
	v_mov_b32_e32 v4, s34
	v_mov_b32_e32 v5, 0
	s_clause 0x3
	buffer_load_dword v1, v4, s[0:3], 0 offen
	buffer_load_dword v2, v4, s[0:3], 0 offen offset:4
	buffer_load_dword v3, v4, s[0:3], 0 offen offset:8
	;; [unrolled: 1-line block ×3, first 2 shown]
	buffer_store_dword v5, off, s[0:3], 0 offset:688
	buffer_store_dword v5, off, s[0:3], 0 offset:692
	;; [unrolled: 1-line block ×4, first 2 shown]
	s_waitcnt vmcnt(0)
	ds_write_b128 v69, v[1:4]
.LBB61_313:
	s_or_b32 exec_lo, exec_lo, s4
	s_waitcnt lgkmcnt(0)
	s_waitcnt_vscnt null, 0x0
	s_barrier
	buffer_gl0_inv
	s_clause 0x37
	buffer_load_dword v10, off, s[0:3], 0 offset:712
	buffer_load_dword v11, off, s[0:3], 0 offset:716
	;; [unrolled: 1-line block ×56, first 2 shown]
	v_mov_b32_e32 v1, 0
	s_mov_b32 s4, exec_lo
	ds_read_b128 v[2:5], v1 offset:1680
	s_clause 0x2
	buffer_load_dword v67, off, s[0:3], 0 offset:940
	buffer_load_dword v73, off, s[0:3], 0 offset:916
	;; [unrolled: 1-line block ×3, first 2 shown]
	ds_read_b128 v[6:9], v1 offset:1696
	s_clause 0x4
	buffer_load_dword v79, off, s[0:3], 0 offset:956
	buffer_load_dword v84, off, s[0:3], 0 offset:968
	;; [unrolled: 1-line block ×5, first 2 shown]
	s_waitcnt vmcnt(62) lgkmcnt(1)
	v_mul_f64 v[74:75], v[4:5], v[10:11]
	v_mul_f64 v[76:77], v[2:3], v[10:11]
	s_waitcnt vmcnt(60) lgkmcnt(0)
	v_mul_f64 v[87:88], v[8:9], v[14:15]
	ds_read_b128 v[10:13], v1 offset:1712
	v_mul_f64 v[14:15], v[6:7], v[14:15]
	s_waitcnt vmcnt(58)
	v_fma_f64 v[74:75], v[2:3], v[16:17], -v[74:75]
	v_fma_f64 v[16:17], v[4:5], v[16:17], v[76:77]
	s_clause 0x2
	buffer_load_dword v85, off, s[0:3], 0 offset:972
	buffer_load_dword v77, off, s[0:3], 0 offset:948
	;; [unrolled: 1-line block ×3, first 2 shown]
	s_waitcnt vmcnt(59) lgkmcnt(0)
	v_mul_f64 v[93:94], v[10:11], v[18:19]
	v_mul_f64 v[18:19], v[12:13], v[18:19]
	s_waitcnt vmcnt(57)
	v_fma_f64 v[95:96], v[6:7], v[20:21], -v[87:88]
	ds_read_b128 v[2:5], v1 offset:1728
	v_fma_f64 v[14:15], v[8:9], v[20:21], v[14:15]
	s_clause 0x4
	buffer_load_dword v21, off, s[0:3], 0 offset:988
	buffer_load_dword v123, off, s[0:3], 0 offset:1000
	;; [unrolled: 1-line block ×5, first 2 shown]
	ds_read_b128 v[6:9], v1 offset:1744
	v_add_f64 v[74:75], v[74:75], 0
	v_add_f64 v[16:17], v[16:17], 0
	s_waitcnt vmcnt(58) lgkmcnt(1)
	v_mul_f64 v[126:127], v[2:3], v[22:23]
	v_mul_f64 v[22:23], v[4:5], v[22:23]
	s_waitcnt vmcnt(56)
	v_fma_f64 v[18:19], v[10:11], v[28:29], -v[18:19]
	v_fma_f64 v[28:29], v[12:13], v[28:29], v[93:94]
	s_waitcnt vmcnt(55) lgkmcnt(0)
	v_mul_f64 v[93:94], v[6:7], v[24:25]
	v_mul_f64 v[24:25], v[8:9], v[24:25]
	v_add_f64 v[74:75], v[74:75], v[95:96]
	v_add_f64 v[14:15], v[16:17], v[14:15]
	s_clause 0x2
	buffer_load_dword v124, off, s[0:3], 0 offset:1004
	buffer_load_dword v17, off, s[0:3], 0 offset:980
	;; [unrolled: 1-line block ×3, first 2 shown]
	ds_read_b128 v[10:13], v1 offset:1760
	s_waitcnt vmcnt(56)
	v_fma_f64 v[22:23], v[2:3], v[30:31], -v[22:23]
	v_fma_f64 v[30:31], v[4:5], v[30:31], v[126:127]
	buffer_load_dword v126, off, s[0:3], 0 offset:996
	ds_read_b128 v[2:5], v1 offset:1776
	s_waitcnt vmcnt(52)
	v_fma_f64 v[24:25], v[6:7], v[26:27], -v[24:25]
	v_add_f64 v[18:19], v[74:75], v[18:19]
	v_add_f64 v[14:15], v[14:15], v[28:29]
	s_waitcnt lgkmcnt(1)
	v_mul_f64 v[28:29], v[10:11], v[32:33]
	v_mul_f64 v[32:33], v[12:13], v[32:33]
	v_add_f64 v[18:19], v[18:19], v[22:23]
	v_fma_f64 v[22:23], v[8:9], v[26:27], v[93:94]
	v_add_f64 v[14:15], v[14:15], v[30:31]
	s_waitcnt vmcnt(51) lgkmcnt(0)
	v_mul_f64 v[30:31], v[4:5], v[34:35]
	s_waitcnt vmcnt(49)
	v_fma_f64 v[32:33], v[10:11], v[38:39], -v[32:33]
	ds_read_b128 v[6:9], v1 offset:1792
	v_mul_f64 v[26:27], v[2:3], v[34:35]
	v_add_f64 v[18:19], v[18:19], v[24:25]
	v_fma_f64 v[24:25], v[12:13], v[38:39], v[28:29]
	v_add_f64 v[14:15], v[14:15], v[22:23]
	s_clause 0x3
	buffer_load_dword v22, off, s[0:3], 0 offset:688
	buffer_load_dword v23, off, s[0:3], 0 offset:692
	;; [unrolled: 1-line block ×4, first 2 shown]
	s_waitcnt vmcnt(49) lgkmcnt(0)
	v_mul_f64 v[38:39], v[8:9], v[40:41]
	s_waitcnt vmcnt(48)
	v_fma_f64 v[30:31], v[2:3], v[36:37], -v[30:31]
	ds_read_b128 v[10:13], v1 offset:1808
	v_mul_f64 v[34:35], v[6:7], v[40:41]
	v_fma_f64 v[26:27], v[4:5], v[36:37], v[26:27]
	ds_read_b128 v[2:5], v1 offset:1824
	v_add_f64 v[18:19], v[18:19], v[32:33]
	v_add_f64 v[14:15], v[14:15], v[24:25]
	s_waitcnt vmcnt(47) lgkmcnt(1)
	v_mul_f64 v[32:33], v[12:13], v[42:43]
	s_waitcnt vmcnt(45)
	v_fma_f64 v[36:37], v[6:7], v[46:47], -v[38:39]
	v_mul_f64 v[24:25], v[10:11], v[42:43]
	v_add_f64 v[18:19], v[18:19], v[30:31]
	v_fma_f64 v[30:31], v[8:9], v[46:47], v[34:35]
	v_add_f64 v[14:15], v[14:15], v[26:27]
	s_waitcnt vmcnt(41) lgkmcnt(0)
	v_mul_f64 v[34:35], v[4:5], v[48:49]
	s_waitcnt vmcnt(40)
	v_fma_f64 v[32:33], v[10:11], v[44:45], -v[32:33]
	ds_read_b128 v[6:9], v1 offset:1840
	v_mul_f64 v[26:27], v[2:3], v[48:49]
	v_fma_f64 v[24:25], v[12:13], v[44:45], v[24:25]
	ds_read_b128 v[10:13], v1 offset:1856
	v_add_f64 v[18:19], v[18:19], v[36:37]
	v_add_f64 v[14:15], v[14:15], v[30:31]
	s_waitcnt vmcnt(39) lgkmcnt(1)
	v_mul_f64 v[36:37], v[8:9], v[50:51]
	s_waitcnt vmcnt(37)
	v_fma_f64 v[34:35], v[2:3], v[54:55], -v[34:35]
	v_mul_f64 v[30:31], v[6:7], v[50:51]
	v_fma_f64 v[26:27], v[4:5], v[54:55], v[26:27]
	ds_read_b128 v[2:5], v1 offset:1872
	v_add_f64 v[18:19], v[18:19], v[32:33]
	s_waitcnt vmcnt(33) lgkmcnt(1)
	v_mul_f64 v[32:33], v[12:13], v[56:57]
	v_add_f64 v[14:15], v[14:15], v[24:25]
	s_waitcnt vmcnt(32)
	v_fma_f64 v[36:37], v[6:7], v[52:53], -v[36:37]
	v_mul_f64 v[24:25], v[10:11], v[56:57]
	v_fma_f64 v[30:31], v[8:9], v[52:53], v[30:31]
	ds_read_b128 v[6:9], v1 offset:1888
	v_add_f64 v[18:19], v[18:19], v[34:35]
	s_waitcnt vmcnt(31) lgkmcnt(1)
	v_mul_f64 v[34:35], v[4:5], v[58:59]
	v_add_f64 v[14:15], v[14:15], v[26:27]
	;; [unrolled: 9-line block ×5, first 2 shown]
	s_waitcnt vmcnt(16)
	v_fma_f64 v[32:33], v[10:11], v[70:71], -v[32:33]
	v_mul_f64 v[26:27], v[2:3], v[78:79]
	v_fma_f64 v[24:25], v[12:13], v[70:71], v[24:25]
	ds_read_b128 v[10:13], v1 offset:1952
	v_add_f64 v[18:19], v[18:19], v[36:37]
	v_add_f64 v[14:15], v[14:15], v[30:31]
	s_waitcnt vmcnt(15) lgkmcnt(1)
	v_mul_f64 v[36:37], v[8:9], v[84:85]
	v_mul_f64 v[30:31], v[6:7], v[84:85]
	s_waitcnt vmcnt(13)
	v_fma_f64 v[34:35], v[2:3], v[76:77], -v[34:35]
	v_fma_f64 v[26:27], v[4:5], v[76:77], v[26:27]
	ds_read_b128 v[2:5], v1 offset:1968
	v_add_f64 v[18:19], v[18:19], v[32:33]
	v_add_f64 v[14:15], v[14:15], v[24:25]
	s_waitcnt vmcnt(9) lgkmcnt(1)
	v_mul_f64 v[24:25], v[10:11], v[20:21]
	v_mul_f64 v[20:21], v[12:13], v[20:21]
	s_waitcnt vmcnt(8)
	v_fma_f64 v[6:7], v[6:7], v[86:87], -v[36:37]
	v_fma_f64 v[8:9], v[8:9], v[86:87], v[30:31]
	v_add_f64 v[18:19], v[18:19], v[34:35]
	v_add_f64 v[14:15], v[14:15], v[26:27]
	s_waitcnt vmcnt(7) lgkmcnt(0)
	v_mul_f64 v[30:31], v[4:5], v[123:124]
	v_mul_f64 v[26:27], v[2:3], v[123:124]
	s_waitcnt vmcnt(5)
	v_fma_f64 v[10:11], v[10:11], v[16:17], -v[20:21]
	v_fma_f64 v[12:13], v[12:13], v[16:17], v[24:25]
	v_add_f64 v[6:7], v[18:19], v[6:7]
	v_add_f64 v[8:9], v[14:15], v[8:9]
	s_waitcnt vmcnt(4)
	v_fma_f64 v[2:3], v[2:3], v[125:126], -v[30:31]
	v_fma_f64 v[4:5], v[4:5], v[125:126], v[26:27]
	v_add_f64 v[6:7], v[6:7], v[10:11]
	v_add_f64 v[8:9], v[8:9], v[12:13]
	;; [unrolled: 1-line block ×4, first 2 shown]
	s_waitcnt vmcnt(2)
	v_add_f64 v[2:3], v[22:23], -v[2:3]
	s_waitcnt vmcnt(0)
	v_add_f64 v[4:5], v[28:29], -v[4:5]
	buffer_store_dword v3, off, s[0:3], 0 offset:692
	buffer_store_dword v2, off, s[0:3], 0 offset:688
	;; [unrolled: 1-line block ×4, first 2 shown]
	v_cmpx_lt_u32_e32 41, v0
	s_cbranch_execz .LBB61_315
; %bb.314:
	v_mov_b32_e32 v5, s35
	s_clause 0x3
	buffer_load_dword v2, v5, s[0:3], 0 offen
	buffer_load_dword v3, v5, s[0:3], 0 offen offset:4
	buffer_load_dword v4, v5, s[0:3], 0 offen offset:8
	;; [unrolled: 1-line block ×3, first 2 shown]
	buffer_store_dword v1, off, s[0:3], 0 offset:672
	buffer_store_dword v1, off, s[0:3], 0 offset:676
	;; [unrolled: 1-line block ×4, first 2 shown]
	s_waitcnt vmcnt(0)
	ds_write_b128 v69, v[2:5]
.LBB61_315:
	s_or_b32 exec_lo, exec_lo, s4
	s_waitcnt lgkmcnt(0)
	s_waitcnt_vscnt null, 0x0
	s_barrier
	buffer_gl0_inv
	s_clause 0x37
	buffer_load_dword v10, off, s[0:3], 0 offset:696
	buffer_load_dword v11, off, s[0:3], 0 offset:700
	;; [unrolled: 1-line block ×56, first 2 shown]
	ds_read_b128 v[2:5], v1 offset:1664
	s_clause 0x2
	buffer_load_dword v67, off, s[0:3], 0 offset:924
	buffer_load_dword v73, off, s[0:3], 0 offset:900
	;; [unrolled: 1-line block ×3, first 2 shown]
	ds_read_b128 v[6:9], v1 offset:1680
	s_clause 0x4
	buffer_load_dword v79, off, s[0:3], 0 offset:940
	buffer_load_dword v84, off, s[0:3], 0 offset:952
	;; [unrolled: 1-line block ×5, first 2 shown]
	s_mov_b32 s4, exec_lo
	s_waitcnt vmcnt(62) lgkmcnt(1)
	v_mul_f64 v[74:75], v[4:5], v[10:11]
	v_mul_f64 v[76:77], v[2:3], v[10:11]
	s_waitcnt vmcnt(60) lgkmcnt(0)
	v_mul_f64 v[87:88], v[8:9], v[14:15]
	ds_read_b128 v[10:13], v1 offset:1696
	v_mul_f64 v[14:15], v[6:7], v[14:15]
	s_waitcnt vmcnt(58)
	v_fma_f64 v[74:75], v[2:3], v[16:17], -v[74:75]
	v_fma_f64 v[16:17], v[4:5], v[16:17], v[76:77]
	s_clause 0x2
	buffer_load_dword v85, off, s[0:3], 0 offset:956
	buffer_load_dword v77, off, s[0:3], 0 offset:932
	;; [unrolled: 1-line block ×3, first 2 shown]
	s_waitcnt vmcnt(59) lgkmcnt(0)
	v_mul_f64 v[93:94], v[10:11], v[18:19]
	v_mul_f64 v[18:19], v[12:13], v[18:19]
	s_waitcnt vmcnt(57)
	v_fma_f64 v[95:96], v[6:7], v[20:21], -v[87:88]
	ds_read_b128 v[2:5], v1 offset:1712
	v_fma_f64 v[14:15], v[8:9], v[20:21], v[14:15]
	s_clause 0x4
	buffer_load_dword v21, off, s[0:3], 0 offset:972
	buffer_load_dword v123, off, s[0:3], 0 offset:984
	;; [unrolled: 1-line block ×5, first 2 shown]
	ds_read_b128 v[6:9], v1 offset:1728
	v_add_f64 v[74:75], v[74:75], 0
	v_add_f64 v[16:17], v[16:17], 0
	s_waitcnt vmcnt(58) lgkmcnt(1)
	v_mul_f64 v[126:127], v[2:3], v[22:23]
	v_mul_f64 v[22:23], v[4:5], v[22:23]
	s_waitcnt vmcnt(56)
	v_fma_f64 v[18:19], v[10:11], v[28:29], -v[18:19]
	v_fma_f64 v[28:29], v[12:13], v[28:29], v[93:94]
	s_waitcnt vmcnt(55) lgkmcnt(0)
	v_mul_f64 v[93:94], v[6:7], v[24:25]
	v_mul_f64 v[24:25], v[8:9], v[24:25]
	v_add_f64 v[74:75], v[74:75], v[95:96]
	v_add_f64 v[14:15], v[16:17], v[14:15]
	s_clause 0x2
	buffer_load_dword v124, off, s[0:3], 0 offset:988
	buffer_load_dword v17, off, s[0:3], 0 offset:964
	;; [unrolled: 1-line block ×3, first 2 shown]
	ds_read_b128 v[10:13], v1 offset:1744
	s_waitcnt vmcnt(56)
	v_fma_f64 v[22:23], v[2:3], v[30:31], -v[22:23]
	v_fma_f64 v[30:31], v[4:5], v[30:31], v[126:127]
	s_waitcnt vmcnt(51)
	v_fma_f64 v[24:25], v[6:7], v[26:27], -v[24:25]
	v_add_f64 v[18:19], v[74:75], v[18:19]
	v_add_f64 v[14:15], v[14:15], v[28:29]
	s_clause 0x2
	buffer_load_dword v29, off, s[0:3], 0 offset:1004
	buffer_load_dword v28, off, s[0:3], 0 offset:1000
	;; [unrolled: 1-line block ×3, first 2 shown]
	s_waitcnt lgkmcnt(0)
	v_mul_f64 v[74:75], v[10:11], v[32:33]
	v_mul_f64 v[32:33], v[12:13], v[32:33]
	ds_read_b128 v[2:5], v1 offset:1760
	v_add_f64 v[18:19], v[18:19], v[22:23]
	v_fma_f64 v[22:23], v[8:9], v[26:27], v[93:94]
	v_add_f64 v[14:15], v[14:15], v[30:31]
	s_clause 0x1
	buffer_load_dword v27, off, s[0:3], 0 offset:996
	buffer_load_dword v26, off, s[0:3], 0 offset:992
	s_waitcnt vmcnt(55) lgkmcnt(0)
	v_mul_f64 v[30:31], v[2:3], v[34:35]
	v_mul_f64 v[34:35], v[4:5], v[34:35]
	s_waitcnt vmcnt(53)
	v_fma_f64 v[32:33], v[10:11], v[38:39], -v[32:33]
	ds_read_b128 v[6:9], v1 offset:1776
	v_add_f64 v[18:19], v[18:19], v[24:25]
	v_fma_f64 v[24:25], v[12:13], v[38:39], v[74:75]
	v_add_f64 v[14:15], v[14:15], v[22:23]
	ds_read_b128 v[10:13], v1 offset:1792
	s_waitcnt vmcnt(48)
	v_fma_f64 v[30:31], v[4:5], v[36:37], v[30:31]
	s_waitcnt lgkmcnt(1)
	v_mul_f64 v[38:39], v[8:9], v[40:41]
	v_fma_f64 v[34:35], v[2:3], v[36:37], -v[34:35]
	v_mul_f64 v[22:23], v[6:7], v[40:41]
	v_add_f64 v[18:19], v[18:19], v[32:33]
	s_waitcnt vmcnt(47) lgkmcnt(0)
	v_mul_f64 v[40:41], v[12:13], v[42:43]
	v_add_f64 v[14:15], v[14:15], v[24:25]
	s_clause 0x3
	buffer_load_dword v24, off, s[0:3], 0 offset:672
	buffer_load_dword v25, off, s[0:3], 0 offset:676
	;; [unrolled: 1-line block ×4, first 2 shown]
	ds_read_b128 v[2:5], v1 offset:1808
	s_waitcnt vmcnt(49)
	v_fma_f64 v[38:39], v[6:7], v[46:47], -v[38:39]
	v_mul_f64 v[36:37], v[10:11], v[42:43]
	v_fma_f64 v[22:23], v[8:9], v[46:47], v[22:23]
	ds_read_b128 v[6:9], v1 offset:1824
	v_add_f64 v[18:19], v[18:19], v[34:35]
	s_waitcnt vmcnt(44)
	v_fma_f64 v[40:41], v[10:11], v[44:45], -v[40:41]
	v_add_f64 v[14:15], v[14:15], v[30:31]
	s_waitcnt lgkmcnt(1)
	v_mul_f64 v[34:35], v[4:5], v[48:49]
	v_mul_f64 v[30:31], v[2:3], v[48:49]
	v_fma_f64 v[36:37], v[12:13], v[44:45], v[36:37]
	ds_read_b128 v[10:13], v1 offset:1840
	v_add_f64 v[18:19], v[18:19], v[38:39]
	s_waitcnt vmcnt(43) lgkmcnt(1)
	v_mul_f64 v[38:39], v[8:9], v[50:51]
	v_add_f64 v[14:15], v[14:15], v[22:23]
	s_waitcnt vmcnt(41)
	v_fma_f64 v[34:35], v[2:3], v[54:55], -v[34:35]
	v_mul_f64 v[22:23], v[6:7], v[50:51]
	v_fma_f64 v[30:31], v[4:5], v[54:55], v[30:31]
	ds_read_b128 v[2:5], v1 offset:1856
	v_add_f64 v[18:19], v[18:19], v[40:41]
	s_waitcnt vmcnt(37) lgkmcnt(1)
	v_mul_f64 v[40:41], v[12:13], v[56:57]
	v_add_f64 v[14:15], v[14:15], v[36:37]
	s_waitcnt vmcnt(36)
	v_fma_f64 v[38:39], v[6:7], v[52:53], -v[38:39]
	;; [unrolled: 9-line block ×6, first 2 shown]
	v_mul_f64 v[30:31], v[2:3], v[78:79]
	v_fma_f64 v[36:37], v[12:13], v[70:71], v[36:37]
	ds_read_b128 v[10:13], v1 offset:1936
	v_add_f64 v[18:19], v[18:19], v[38:39]
	v_add_f64 v[14:15], v[14:15], v[22:23]
	s_waitcnt vmcnt(19) lgkmcnt(1)
	v_mul_f64 v[38:39], v[8:9], v[84:85]
	v_mul_f64 v[22:23], v[6:7], v[84:85]
	s_waitcnt vmcnt(17)
	v_fma_f64 v[34:35], v[2:3], v[76:77], -v[34:35]
	v_fma_f64 v[30:31], v[4:5], v[76:77], v[30:31]
	ds_read_b128 v[2:5], v1 offset:1952
	v_add_f64 v[18:19], v[18:19], v[40:41]
	v_add_f64 v[14:15], v[14:15], v[36:37]
	s_waitcnt vmcnt(13) lgkmcnt(1)
	v_mul_f64 v[36:37], v[10:11], v[20:21]
	v_mul_f64 v[20:21], v[12:13], v[20:21]
	s_waitcnt vmcnt(12)
	v_fma_f64 v[38:39], v[6:7], v[86:87], -v[38:39]
	;; [unrolled: 9-line block ×3, first 2 shown]
	v_fma_f64 v[12:13], v[12:13], v[16:17], v[36:37]
	v_add_f64 v[18:19], v[18:19], v[38:39]
	v_add_f64 v[14:15], v[14:15], v[22:23]
	s_waitcnt vmcnt(7) lgkmcnt(0)
	v_mul_f64 v[20:21], v[8:9], v[28:29]
	s_waitcnt vmcnt(6)
	v_fma_f64 v[1:2], v[2:3], v[125:126], -v[34:35]
	v_mul_f64 v[16:17], v[6:7], v[28:29]
	v_fma_f64 v[3:4], v[4:5], v[125:126], v[30:31]
	v_add_f64 v[10:11], v[18:19], v[10:11]
	v_add_f64 v[12:13], v[14:15], v[12:13]
	s_waitcnt vmcnt(4)
	v_fma_f64 v[5:6], v[6:7], v[26:27], -v[20:21]
	v_fma_f64 v[7:8], v[8:9], v[26:27], v[16:17]
	v_add_f64 v[1:2], v[10:11], v[1:2]
	v_add_f64 v[3:4], v[12:13], v[3:4]
	;; [unrolled: 1-line block ×4, first 2 shown]
	s_waitcnt vmcnt(2)
	v_add_f64 v[1:2], v[24:25], -v[1:2]
	s_waitcnt vmcnt(0)
	v_add_f64 v[3:4], v[32:33], -v[3:4]
	buffer_store_dword v2, off, s[0:3], 0 offset:676
	buffer_store_dword v1, off, s[0:3], 0 offset:672
	;; [unrolled: 1-line block ×4, first 2 shown]
	v_cmpx_lt_u32_e32 40, v0
	s_cbranch_execz .LBB61_317
; %bb.316:
	v_mov_b32_e32 v4, s36
	v_mov_b32_e32 v5, 0
	s_clause 0x3
	buffer_load_dword v1, v4, s[0:3], 0 offen
	buffer_load_dword v2, v4, s[0:3], 0 offen offset:4
	buffer_load_dword v3, v4, s[0:3], 0 offen offset:8
	;; [unrolled: 1-line block ×3, first 2 shown]
	buffer_store_dword v5, off, s[0:3], 0 offset:656
	buffer_store_dword v5, off, s[0:3], 0 offset:660
	;; [unrolled: 1-line block ×4, first 2 shown]
	s_waitcnt vmcnt(0)
	ds_write_b128 v69, v[1:4]
.LBB61_317:
	s_or_b32 exec_lo, exec_lo, s4
	s_waitcnt lgkmcnt(0)
	s_waitcnt_vscnt null, 0x0
	s_barrier
	buffer_gl0_inv
	s_clause 0x37
	buffer_load_dword v10, off, s[0:3], 0 offset:680
	buffer_load_dword v11, off, s[0:3], 0 offset:684
	buffer_load_dword v14, off, s[0:3], 0 offset:696
	buffer_load_dword v15, off, s[0:3], 0 offset:700
	buffer_load_dword v16, off, s[0:3], 0 offset:672
	buffer_load_dword v17, off, s[0:3], 0 offset:676
	buffer_load_dword v18, off, s[0:3], 0 offset:712
	buffer_load_dword v19, off, s[0:3], 0 offset:716
	buffer_load_dword v20, off, s[0:3], 0 offset:688
	buffer_load_dword v21, off, s[0:3], 0 offset:692
	buffer_load_dword v23, off, s[0:3], 0 offset:732
	buffer_load_dword v24, off, s[0:3], 0 offset:744
	buffer_load_dword v26, off, s[0:3], 0 offset:736
	buffer_load_dword v22, off, s[0:3], 0 offset:728
	buffer_load_dword v28, off, s[0:3], 0 offset:704
	buffer_load_dword v29, off, s[0:3], 0 offset:708
	buffer_load_dword v25, off, s[0:3], 0 offset:748
	buffer_load_dword v31, off, s[0:3], 0 offset:724
	buffer_load_dword v30, off, s[0:3], 0 offset:720
	buffer_load_dword v33, off, s[0:3], 0 offset:764
	buffer_load_dword v34, off, s[0:3], 0 offset:776
	buffer_load_dword v36, off, s[0:3], 0 offset:768
	buffer_load_dword v32, off, s[0:3], 0 offset:760
	buffer_load_dword v27, off, s[0:3], 0 offset:740
	buffer_load_dword v35, off, s[0:3], 0 offset:780
	buffer_load_dword v39, off, s[0:3], 0 offset:756
	buffer_load_dword v38, off, s[0:3], 0 offset:752
	buffer_load_dword v41, off, s[0:3], 0 offset:796
	buffer_load_dword v42, off, s[0:3], 0 offset:808
	buffer_load_dword v44, off, s[0:3], 0 offset:800
	buffer_load_dword v40, off, s[0:3], 0 offset:792
	buffer_load_dword v37, off, s[0:3], 0 offset:772
	buffer_load_dword v43, off, s[0:3], 0 offset:812
	buffer_load_dword v47, off, s[0:3], 0 offset:788
	buffer_load_dword v46, off, s[0:3], 0 offset:784
	buffer_load_dword v49, off, s[0:3], 0 offset:828
	buffer_load_dword v50, off, s[0:3], 0 offset:840
	buffer_load_dword v52, off, s[0:3], 0 offset:832
	buffer_load_dword v48, off, s[0:3], 0 offset:824
	buffer_load_dword v45, off, s[0:3], 0 offset:804
	buffer_load_dword v51, off, s[0:3], 0 offset:844
	buffer_load_dword v55, off, s[0:3], 0 offset:820
	buffer_load_dword v54, off, s[0:3], 0 offset:816
	buffer_load_dword v57, off, s[0:3], 0 offset:860
	buffer_load_dword v58, off, s[0:3], 0 offset:872
	buffer_load_dword v60, off, s[0:3], 0 offset:864
	buffer_load_dword v56, off, s[0:3], 0 offset:856
	buffer_load_dword v53, off, s[0:3], 0 offset:836
	buffer_load_dword v59, off, s[0:3], 0 offset:876
	buffer_load_dword v63, off, s[0:3], 0 offset:852
	buffer_load_dword v62, off, s[0:3], 0 offset:848
	buffer_load_dword v65, off, s[0:3], 0 offset:892
	buffer_load_dword v66, off, s[0:3], 0 offset:904
	buffer_load_dword v70, off, s[0:3], 0 offset:896
	buffer_load_dword v64, off, s[0:3], 0 offset:888
	buffer_load_dword v61, off, s[0:3], 0 offset:868
	v_mov_b32_e32 v1, 0
	s_mov_b32 s4, exec_lo
	ds_read_b128 v[2:5], v1 offset:1648
	s_clause 0x2
	buffer_load_dword v67, off, s[0:3], 0 offset:908
	buffer_load_dword v73, off, s[0:3], 0 offset:884
	;; [unrolled: 1-line block ×3, first 2 shown]
	ds_read_b128 v[6:9], v1 offset:1664
	s_clause 0x4
	buffer_load_dword v79, off, s[0:3], 0 offset:924
	buffer_load_dword v84, off, s[0:3], 0 offset:936
	;; [unrolled: 1-line block ×5, first 2 shown]
	s_waitcnt vmcnt(62) lgkmcnt(1)
	v_mul_f64 v[74:75], v[4:5], v[10:11]
	v_mul_f64 v[76:77], v[2:3], v[10:11]
	s_waitcnt vmcnt(60) lgkmcnt(0)
	v_mul_f64 v[87:88], v[8:9], v[14:15]
	ds_read_b128 v[10:13], v1 offset:1680
	v_mul_f64 v[14:15], v[6:7], v[14:15]
	s_waitcnt vmcnt(58)
	v_fma_f64 v[74:75], v[2:3], v[16:17], -v[74:75]
	v_fma_f64 v[16:17], v[4:5], v[16:17], v[76:77]
	s_clause 0x2
	buffer_load_dword v85, off, s[0:3], 0 offset:940
	buffer_load_dword v77, off, s[0:3], 0 offset:916
	;; [unrolled: 1-line block ×3, first 2 shown]
	s_waitcnt vmcnt(59) lgkmcnt(0)
	v_mul_f64 v[93:94], v[10:11], v[18:19]
	v_mul_f64 v[18:19], v[12:13], v[18:19]
	s_waitcnt vmcnt(57)
	v_fma_f64 v[95:96], v[6:7], v[20:21], -v[87:88]
	ds_read_b128 v[2:5], v1 offset:1696
	v_fma_f64 v[14:15], v[8:9], v[20:21], v[14:15]
	s_clause 0x4
	buffer_load_dword v21, off, s[0:3], 0 offset:956
	buffer_load_dword v123, off, s[0:3], 0 offset:968
	;; [unrolled: 1-line block ×5, first 2 shown]
	ds_read_b128 v[6:9], v1 offset:1712
	v_add_f64 v[74:75], v[74:75], 0
	v_add_f64 v[16:17], v[16:17], 0
	s_waitcnt vmcnt(58) lgkmcnt(1)
	v_mul_f64 v[126:127], v[2:3], v[22:23]
	v_mul_f64 v[22:23], v[4:5], v[22:23]
	s_waitcnt vmcnt(56)
	v_fma_f64 v[18:19], v[10:11], v[28:29], -v[18:19]
	v_fma_f64 v[28:29], v[12:13], v[28:29], v[93:94]
	s_waitcnt vmcnt(55) lgkmcnt(0)
	v_mul_f64 v[93:94], v[6:7], v[24:25]
	v_mul_f64 v[24:25], v[8:9], v[24:25]
	v_add_f64 v[74:75], v[74:75], v[95:96]
	v_add_f64 v[14:15], v[16:17], v[14:15]
	s_clause 0x2
	buffer_load_dword v124, off, s[0:3], 0 offset:972
	buffer_load_dword v17, off, s[0:3], 0 offset:948
	;; [unrolled: 1-line block ×3, first 2 shown]
	ds_read_b128 v[10:13], v1 offset:1728
	s_waitcnt vmcnt(56)
	v_fma_f64 v[22:23], v[2:3], v[30:31], -v[22:23]
	v_fma_f64 v[30:31], v[4:5], v[30:31], v[126:127]
	s_waitcnt vmcnt(51)
	v_fma_f64 v[24:25], v[6:7], v[26:27], -v[24:25]
	v_add_f64 v[18:19], v[74:75], v[18:19]
	v_add_f64 v[14:15], v[14:15], v[28:29]
	s_clause 0x4
	buffer_load_dword v29, off, s[0:3], 0 offset:988
	buffer_load_dword v74, off, s[0:3], 0 offset:1000
	buffer_load_dword v95, off, s[0:3], 0 offset:992
	buffer_load_dword v28, off, s[0:3], 0 offset:984
	buffer_load_dword v126, off, s[0:3], 0 offset:964
	s_waitcnt lgkmcnt(0)
	v_mul_f64 v[127:128], v[10:11], v[32:33]
	v_mul_f64 v[32:33], v[12:13], v[32:33]
	ds_read_b128 v[2:5], v1 offset:1744
	v_add_f64 v[18:19], v[18:19], v[22:23]
	v_fma_f64 v[22:23], v[8:9], v[26:27], v[93:94]
	v_add_f64 v[14:15], v[14:15], v[30:31]
	s_clause 0x2
	buffer_load_dword v75, off, s[0:3], 0 offset:1004
	buffer_load_dword v27, off, s[0:3], 0 offset:980
	;; [unrolled: 1-line block ×3, first 2 shown]
	s_waitcnt vmcnt(58) lgkmcnt(0)
	v_mul_f64 v[30:31], v[2:3], v[34:35]
	v_mul_f64 v[34:35], v[4:5], v[34:35]
	s_waitcnt vmcnt(56)
	v_fma_f64 v[32:33], v[10:11], v[38:39], -v[32:33]
	ds_read_b128 v[6:9], v1 offset:1760
	buffer_load_dword v96, off, s[0:3], 0 offset:996
	v_add_f64 v[18:19], v[18:19], v[24:25]
	v_fma_f64 v[24:25], v[12:13], v[38:39], v[127:128]
	v_add_f64 v[14:15], v[14:15], v[22:23]
	ds_read_b128 v[10:13], v1 offset:1776
	s_waitcnt vmcnt(52)
	v_fma_f64 v[30:31], v[4:5], v[36:37], v[30:31]
	s_waitcnt lgkmcnt(1)
	v_mul_f64 v[38:39], v[8:9], v[40:41]
	v_fma_f64 v[34:35], v[2:3], v[36:37], -v[34:35]
	v_mul_f64 v[22:23], v[6:7], v[40:41]
	ds_read_b128 v[2:5], v1 offset:1792
	v_add_f64 v[18:19], v[18:19], v[32:33]
	s_waitcnt vmcnt(51) lgkmcnt(1)
	v_mul_f64 v[32:33], v[12:13], v[42:43]
	v_add_f64 v[14:15], v[14:15], v[24:25]
	v_mul_f64 v[24:25], v[10:11], v[42:43]
	s_waitcnt vmcnt(49)
	v_fma_f64 v[36:37], v[6:7], v[46:47], -v[38:39]
	s_waitcnt vmcnt(45) lgkmcnt(0)
	v_mul_f64 v[40:41], v[4:5], v[48:49]
	v_fma_f64 v[22:23], v[8:9], v[46:47], v[22:23]
	v_mul_f64 v[38:39], v[2:3], v[48:49]
	v_add_f64 v[18:19], v[18:19], v[34:35]
	s_waitcnt vmcnt(44)
	v_fma_f64 v[32:33], v[10:11], v[44:45], -v[32:33]
	v_add_f64 v[14:15], v[14:15], v[30:31]
	s_clause 0x3
	buffer_load_dword v30, off, s[0:3], 0 offset:656
	buffer_load_dword v31, off, s[0:3], 0 offset:660
	;; [unrolled: 1-line block ×4, first 2 shown]
	ds_read_b128 v[6:9], v1 offset:1808
	v_fma_f64 v[24:25], v[12:13], v[44:45], v[24:25]
	ds_read_b128 v[10:13], v1 offset:1824
	s_waitcnt vmcnt(45)
	v_fma_f64 v[40:41], v[2:3], v[54:55], -v[40:41]
	v_add_f64 v[18:19], v[18:19], v[36:37]
	v_add_f64 v[14:15], v[14:15], v[22:23]
	s_waitcnt lgkmcnt(1)
	v_mul_f64 v[36:37], v[8:9], v[50:51]
	v_mul_f64 v[22:23], v[6:7], v[50:51]
	v_add_f64 v[18:19], v[18:19], v[32:33]
	v_fma_f64 v[32:33], v[4:5], v[54:55], v[38:39]
	v_add_f64 v[14:15], v[14:15], v[24:25]
	s_waitcnt vmcnt(41) lgkmcnt(0)
	v_mul_f64 v[38:39], v[12:13], v[56:57]
	s_waitcnt vmcnt(40)
	v_fma_f64 v[36:37], v[6:7], v[52:53], -v[36:37]
	ds_read_b128 v[2:5], v1 offset:1840
	v_mul_f64 v[24:25], v[10:11], v[56:57]
	v_fma_f64 v[22:23], v[8:9], v[52:53], v[22:23]
	ds_read_b128 v[6:9], v1 offset:1856
	v_add_f64 v[18:19], v[18:19], v[40:41]
	v_add_f64 v[14:15], v[14:15], v[32:33]
	s_waitcnt vmcnt(39) lgkmcnt(1)
	v_mul_f64 v[40:41], v[4:5], v[58:59]
	s_waitcnt vmcnt(37)
	v_fma_f64 v[38:39], v[10:11], v[62:63], -v[38:39]
	v_mul_f64 v[32:33], v[2:3], v[58:59]
	v_fma_f64 v[24:25], v[12:13], v[62:63], v[24:25]
	ds_read_b128 v[10:13], v1 offset:1872
	v_add_f64 v[18:19], v[18:19], v[36:37]
	s_waitcnt vmcnt(33) lgkmcnt(1)
	v_mul_f64 v[36:37], v[8:9], v[64:65]
	v_add_f64 v[14:15], v[14:15], v[22:23]
	s_waitcnt vmcnt(32)
	v_fma_f64 v[40:41], v[2:3], v[60:61], -v[40:41]
	v_mul_f64 v[22:23], v[6:7], v[64:65]
	v_fma_f64 v[32:33], v[4:5], v[60:61], v[32:33]
	ds_read_b128 v[2:5], v1 offset:1888
	v_add_f64 v[18:19], v[18:19], v[38:39]
	s_waitcnt vmcnt(31) lgkmcnt(1)
	v_mul_f64 v[38:39], v[12:13], v[66:67]
	v_add_f64 v[14:15], v[14:15], v[24:25]
	;; [unrolled: 9-line block ×3, first 2 shown]
	s_waitcnt vmcnt(24)
	v_fma_f64 v[38:39], v[10:11], v[70:71], -v[38:39]
	v_mul_f64 v[32:33], v[2:3], v[78:79]
	v_fma_f64 v[24:25], v[12:13], v[70:71], v[24:25]
	ds_read_b128 v[10:13], v1 offset:1920
	v_add_f64 v[18:19], v[18:19], v[36:37]
	v_add_f64 v[14:15], v[14:15], v[22:23]
	s_waitcnt vmcnt(23) lgkmcnt(1)
	v_mul_f64 v[36:37], v[8:9], v[84:85]
	v_mul_f64 v[22:23], v[6:7], v[84:85]
	s_waitcnt vmcnt(21)
	v_fma_f64 v[40:41], v[2:3], v[76:77], -v[40:41]
	v_fma_f64 v[32:33], v[4:5], v[76:77], v[32:33]
	ds_read_b128 v[2:5], v1 offset:1936
	v_add_f64 v[18:19], v[18:19], v[38:39]
	v_add_f64 v[14:15], v[14:15], v[24:25]
	s_waitcnt vmcnt(17) lgkmcnt(1)
	v_mul_f64 v[24:25], v[10:11], v[20:21]
	v_mul_f64 v[20:21], v[12:13], v[20:21]
	s_waitcnt vmcnt(16)
	v_fma_f64 v[36:37], v[6:7], v[86:87], -v[36:37]
	;; [unrolled: 9-line block ×3, first 2 shown]
	v_fma_f64 v[16:17], v[12:13], v[16:17], v[24:25]
	ds_read_b128 v[10:13], v1 offset:1968
	v_add_f64 v[18:19], v[18:19], v[36:37]
	v_add_f64 v[14:15], v[14:15], v[22:23]
	s_waitcnt vmcnt(9) lgkmcnt(1)
	v_mul_f64 v[24:25], v[8:9], v[28:29]
	s_waitcnt vmcnt(8)
	v_fma_f64 v[2:3], v[2:3], v[125:126], -v[38:39]
	v_mul_f64 v[22:23], v[6:7], v[28:29]
	v_fma_f64 v[4:5], v[4:5], v[125:126], v[32:33]
	v_add_f64 v[18:19], v[18:19], v[20:21]
	v_add_f64 v[14:15], v[14:15], v[16:17]
	s_waitcnt vmcnt(7) lgkmcnt(0)
	v_mul_f64 v[20:21], v[12:13], v[74:75]
	v_mul_f64 v[16:17], v[10:11], v[74:75]
	s_waitcnt vmcnt(5)
	v_fma_f64 v[6:7], v[6:7], v[26:27], -v[24:25]
	v_fma_f64 v[8:9], v[8:9], v[26:27], v[22:23]
	v_add_f64 v[2:3], v[18:19], v[2:3]
	v_add_f64 v[4:5], v[14:15], v[4:5]
	s_waitcnt vmcnt(4)
	v_fma_f64 v[10:11], v[10:11], v[95:96], -v[20:21]
	v_add_f64 v[2:3], v[2:3], v[6:7]
	v_fma_f64 v[6:7], v[12:13], v[95:96], v[16:17]
	v_add_f64 v[4:5], v[4:5], v[8:9]
	v_add_f64 v[2:3], v[2:3], v[10:11]
	;; [unrolled: 1-line block ×3, first 2 shown]
	s_waitcnt vmcnt(2)
	v_add_f64 v[2:3], v[30:31], -v[2:3]
	s_waitcnt vmcnt(0)
	v_add_f64 v[4:5], v[34:35], -v[4:5]
	buffer_store_dword v3, off, s[0:3], 0 offset:660
	buffer_store_dword v2, off, s[0:3], 0 offset:656
	;; [unrolled: 1-line block ×4, first 2 shown]
	v_cmpx_lt_u32_e32 39, v0
	s_cbranch_execz .LBB61_319
; %bb.318:
	v_mov_b32_e32 v5, s37
	s_clause 0x3
	buffer_load_dword v2, v5, s[0:3], 0 offen
	buffer_load_dword v3, v5, s[0:3], 0 offen offset:4
	buffer_load_dword v4, v5, s[0:3], 0 offen offset:8
	;; [unrolled: 1-line block ×3, first 2 shown]
	buffer_store_dword v1, off, s[0:3], 0 offset:640
	buffer_store_dword v1, off, s[0:3], 0 offset:644
	;; [unrolled: 1-line block ×4, first 2 shown]
	s_waitcnt vmcnt(0)
	ds_write_b128 v69, v[2:5]
.LBB61_319:
	s_or_b32 exec_lo, exec_lo, s4
	s_waitcnt lgkmcnt(0)
	s_waitcnt_vscnt null, 0x0
	s_barrier
	buffer_gl0_inv
	s_clause 0x37
	buffer_load_dword v10, off, s[0:3], 0 offset:664
	buffer_load_dword v11, off, s[0:3], 0 offset:668
	;; [unrolled: 1-line block ×56, first 2 shown]
	ds_read_b128 v[2:5], v1 offset:1632
	s_clause 0x2
	buffer_load_dword v67, off, s[0:3], 0 offset:892
	buffer_load_dword v73, off, s[0:3], 0 offset:868
	buffer_load_dword v72, off, s[0:3], 0 offset:864
	ds_read_b128 v[6:9], v1 offset:1648
	s_clause 0x4
	buffer_load_dword v79, off, s[0:3], 0 offset:908
	buffer_load_dword v84, off, s[0:3], 0 offset:920
	buffer_load_dword v86, off, s[0:3], 0 offset:912
	buffer_load_dword v78, off, s[0:3], 0 offset:904
	buffer_load_dword v71, off, s[0:3], 0 offset:884
	s_mov_b32 s4, exec_lo
	s_waitcnt vmcnt(62) lgkmcnt(1)
	v_mul_f64 v[74:75], v[4:5], v[10:11]
	v_mul_f64 v[76:77], v[2:3], v[10:11]
	s_waitcnt vmcnt(60) lgkmcnt(0)
	v_mul_f64 v[87:88], v[8:9], v[14:15]
	ds_read_b128 v[10:13], v1 offset:1664
	v_mul_f64 v[14:15], v[6:7], v[14:15]
	s_waitcnt vmcnt(58)
	v_fma_f64 v[74:75], v[2:3], v[16:17], -v[74:75]
	v_fma_f64 v[16:17], v[4:5], v[16:17], v[76:77]
	s_clause 0x2
	buffer_load_dword v85, off, s[0:3], 0 offset:924
	buffer_load_dword v77, off, s[0:3], 0 offset:900
	;; [unrolled: 1-line block ×3, first 2 shown]
	s_waitcnt vmcnt(59) lgkmcnt(0)
	v_mul_f64 v[93:94], v[10:11], v[18:19]
	v_mul_f64 v[18:19], v[12:13], v[18:19]
	s_waitcnt vmcnt(57)
	v_fma_f64 v[95:96], v[6:7], v[20:21], -v[87:88]
	ds_read_b128 v[2:5], v1 offset:1680
	v_fma_f64 v[14:15], v[8:9], v[20:21], v[14:15]
	s_clause 0x4
	buffer_load_dword v21, off, s[0:3], 0 offset:940
	buffer_load_dword v123, off, s[0:3], 0 offset:952
	;; [unrolled: 1-line block ×5, first 2 shown]
	ds_read_b128 v[6:9], v1 offset:1696
	v_add_f64 v[74:75], v[74:75], 0
	v_add_f64 v[16:17], v[16:17], 0
	s_waitcnt vmcnt(58) lgkmcnt(1)
	v_mul_f64 v[126:127], v[2:3], v[22:23]
	v_mul_f64 v[22:23], v[4:5], v[22:23]
	s_waitcnt vmcnt(56)
	v_fma_f64 v[18:19], v[10:11], v[28:29], -v[18:19]
	v_fma_f64 v[28:29], v[12:13], v[28:29], v[93:94]
	s_waitcnt vmcnt(55) lgkmcnt(0)
	v_mul_f64 v[93:94], v[6:7], v[24:25]
	v_mul_f64 v[24:25], v[8:9], v[24:25]
	v_add_f64 v[74:75], v[74:75], v[95:96]
	v_add_f64 v[14:15], v[16:17], v[14:15]
	s_clause 0x2
	buffer_load_dword v124, off, s[0:3], 0 offset:956
	buffer_load_dword v17, off, s[0:3], 0 offset:932
	;; [unrolled: 1-line block ×3, first 2 shown]
	ds_read_b128 v[10:13], v1 offset:1712
	s_waitcnt vmcnt(56)
	v_fma_f64 v[22:23], v[2:3], v[30:31], -v[22:23]
	v_fma_f64 v[30:31], v[4:5], v[30:31], v[126:127]
	s_waitcnt vmcnt(51)
	v_fma_f64 v[24:25], v[6:7], v[26:27], -v[24:25]
	v_add_f64 v[18:19], v[74:75], v[18:19]
	v_add_f64 v[14:15], v[14:15], v[28:29]
	s_clause 0x4
	buffer_load_dword v29, off, s[0:3], 0 offset:972
	buffer_load_dword v74, off, s[0:3], 0 offset:984
	;; [unrolled: 1-line block ×5, first 2 shown]
	s_waitcnt lgkmcnt(0)
	v_mul_f64 v[127:128], v[10:11], v[32:33]
	v_mul_f64 v[32:33], v[12:13], v[32:33]
	ds_read_b128 v[2:5], v1 offset:1728
	v_add_f64 v[18:19], v[18:19], v[22:23]
	v_fma_f64 v[22:23], v[8:9], v[26:27], v[93:94]
	v_add_f64 v[14:15], v[14:15], v[30:31]
	s_clause 0x2
	buffer_load_dword v75, off, s[0:3], 0 offset:988
	buffer_load_dword v27, off, s[0:3], 0 offset:964
	;; [unrolled: 1-line block ×3, first 2 shown]
	s_waitcnt vmcnt(58) lgkmcnt(0)
	v_mul_f64 v[30:31], v[2:3], v[34:35]
	v_mul_f64 v[34:35], v[4:5], v[34:35]
	s_waitcnt vmcnt(56)
	v_fma_f64 v[32:33], v[10:11], v[38:39], -v[32:33]
	ds_read_b128 v[6:9], v1 offset:1744
	v_add_f64 v[18:19], v[18:19], v[24:25]
	v_fma_f64 v[24:25], v[12:13], v[38:39], v[127:128]
	v_add_f64 v[14:15], v[14:15], v[22:23]
	s_clause 0x2
	buffer_load_dword v23, off, s[0:3], 0 offset:1004
	buffer_load_dword v22, off, s[0:3], 0 offset:1000
	;; [unrolled: 1-line block ×3, first 2 shown]
	ds_read_b128 v[10:13], v1 offset:1760
	s_waitcnt vmcnt(55) lgkmcnt(1)
	v_mul_f64 v[38:39], v[6:7], v[40:41]
	v_mul_f64 v[40:41], v[8:9], v[40:41]
	s_waitcnt vmcnt(54)
	v_fma_f64 v[34:35], v[2:3], v[36:37], -v[34:35]
	v_fma_f64 v[30:31], v[4:5], v[36:37], v[30:31]
	v_add_f64 v[18:19], v[18:19], v[32:33]
	v_add_f64 v[14:15], v[14:15], v[24:25]
	s_clause 0x1
	buffer_load_dword v25, off, s[0:3], 0 offset:996
	buffer_load_dword v24, off, s[0:3], 0 offset:992
	s_waitcnt vmcnt(55) lgkmcnt(0)
	v_mul_f64 v[36:37], v[12:13], v[42:43]
	ds_read_b128 v[2:5], v1 offset:1776
	s_waitcnt vmcnt(53)
	v_fma_f64 v[40:41], v[6:7], v[46:47], -v[40:41]
	v_mul_f64 v[32:33], v[10:11], v[42:43]
	v_add_f64 v[18:19], v[18:19], v[34:35]
	v_fma_f64 v[34:35], v[8:9], v[46:47], v[38:39]
	v_add_f64 v[14:15], v[14:15], v[30:31]
	ds_read_b128 v[6:9], v1 offset:1792
	s_waitcnt vmcnt(49) lgkmcnt(1)
	v_mul_f64 v[38:39], v[4:5], v[48:49]
	s_waitcnt vmcnt(48)
	v_fma_f64 v[36:37], v[10:11], v[44:45], -v[36:37]
	v_mul_f64 v[30:31], v[2:3], v[48:49]
	v_fma_f64 v[32:33], v[12:13], v[44:45], v[32:33]
	v_add_f64 v[18:19], v[18:19], v[40:41]
	s_waitcnt vmcnt(47) lgkmcnt(0)
	v_mul_f64 v[44:45], v[8:9], v[50:51]
	v_add_f64 v[14:15], v[14:15], v[34:35]
	s_clause 0x3
	buffer_load_dword v34, off, s[0:3], 0 offset:640
	buffer_load_dword v35, off, s[0:3], 0 offset:644
	;; [unrolled: 1-line block ×4, first 2 shown]
	s_waitcnt vmcnt(49)
	v_fma_f64 v[38:39], v[2:3], v[54:55], -v[38:39]
	ds_read_b128 v[10:13], v1 offset:1808
	v_mul_f64 v[42:43], v[6:7], v[50:51]
	v_fma_f64 v[30:31], v[4:5], v[54:55], v[30:31]
	ds_read_b128 v[2:5], v1 offset:1824
	v_add_f64 v[18:19], v[18:19], v[36:37]
	s_waitcnt vmcnt(44)
	v_fma_f64 v[44:45], v[6:7], v[52:53], -v[44:45]
	v_add_f64 v[14:15], v[14:15], v[32:33]
	s_waitcnt lgkmcnt(1)
	v_mul_f64 v[36:37], v[12:13], v[56:57]
	v_mul_f64 v[32:33], v[10:11], v[56:57]
	v_add_f64 v[18:19], v[18:19], v[38:39]
	v_fma_f64 v[38:39], v[8:9], v[52:53], v[42:43]
	v_add_f64 v[14:15], v[14:15], v[30:31]
	s_waitcnt vmcnt(43) lgkmcnt(0)
	v_mul_f64 v[42:43], v[4:5], v[58:59]
	s_waitcnt vmcnt(41)
	v_fma_f64 v[36:37], v[10:11], v[62:63], -v[36:37]
	ds_read_b128 v[6:9], v1 offset:1840
	v_mul_f64 v[30:31], v[2:3], v[58:59]
	v_fma_f64 v[32:33], v[12:13], v[62:63], v[32:33]
	ds_read_b128 v[10:13], v1 offset:1856
	v_add_f64 v[18:19], v[18:19], v[44:45]
	v_add_f64 v[14:15], v[14:15], v[38:39]
	s_waitcnt vmcnt(37) lgkmcnt(1)
	v_mul_f64 v[44:45], v[8:9], v[64:65]
	s_waitcnt vmcnt(36)
	v_fma_f64 v[42:43], v[2:3], v[60:61], -v[42:43]
	v_mul_f64 v[38:39], v[6:7], v[64:65]
	v_fma_f64 v[30:31], v[4:5], v[60:61], v[30:31]
	ds_read_b128 v[2:5], v1 offset:1872
	v_add_f64 v[18:19], v[18:19], v[36:37]
	s_waitcnt vmcnt(35) lgkmcnt(1)
	v_mul_f64 v[36:37], v[12:13], v[66:67]
	v_add_f64 v[14:15], v[14:15], v[32:33]
	s_waitcnt vmcnt(33)
	v_fma_f64 v[44:45], v[6:7], v[72:73], -v[44:45]
	v_mul_f64 v[32:33], v[10:11], v[66:67]
	v_fma_f64 v[38:39], v[8:9], v[72:73], v[38:39]
	ds_read_b128 v[6:9], v1 offset:1888
	v_add_f64 v[18:19], v[18:19], v[42:43]
	s_waitcnt vmcnt(29) lgkmcnt(1)
	v_mul_f64 v[42:43], v[4:5], v[78:79]
	v_add_f64 v[14:15], v[14:15], v[30:31]
	s_waitcnt vmcnt(28)
	v_fma_f64 v[36:37], v[10:11], v[70:71], -v[36:37]
	v_mul_f64 v[30:31], v[2:3], v[78:79]
	v_fma_f64 v[32:33], v[12:13], v[70:71], v[32:33]
	ds_read_b128 v[10:13], v1 offset:1904
	v_add_f64 v[18:19], v[18:19], v[44:45]
	v_add_f64 v[14:15], v[14:15], v[38:39]
	s_waitcnt vmcnt(27) lgkmcnt(1)
	v_mul_f64 v[44:45], v[8:9], v[84:85]
	v_mul_f64 v[38:39], v[6:7], v[84:85]
	s_waitcnt vmcnt(25)
	v_fma_f64 v[42:43], v[2:3], v[76:77], -v[42:43]
	v_fma_f64 v[30:31], v[4:5], v[76:77], v[30:31]
	ds_read_b128 v[2:5], v1 offset:1920
	v_add_f64 v[18:19], v[18:19], v[36:37]
	v_add_f64 v[14:15], v[14:15], v[32:33]
	s_waitcnt vmcnt(21) lgkmcnt(1)
	v_mul_f64 v[32:33], v[10:11], v[20:21]
	v_mul_f64 v[20:21], v[12:13], v[20:21]
	s_waitcnt vmcnt(20)
	v_fma_f64 v[36:37], v[6:7], v[86:87], -v[44:45]
	v_fma_f64 v[38:39], v[8:9], v[86:87], v[38:39]
	ds_read_b128 v[6:9], v1 offset:1936
	v_add_f64 v[18:19], v[18:19], v[42:43]
	v_add_f64 v[14:15], v[14:15], v[30:31]
	s_waitcnt vmcnt(19) lgkmcnt(1)
	v_mul_f64 v[42:43], v[4:5], v[123:124]
	v_mul_f64 v[30:31], v[2:3], v[123:124]
	s_waitcnt vmcnt(17)
	v_fma_f64 v[20:21], v[10:11], v[16:17], -v[20:21]
	v_fma_f64 v[16:17], v[12:13], v[16:17], v[32:33]
	ds_read_b128 v[10:13], v1 offset:1952
	v_add_f64 v[18:19], v[18:19], v[36:37]
	v_add_f64 v[14:15], v[14:15], v[38:39]
	s_waitcnt vmcnt(13) lgkmcnt(1)
	v_mul_f64 v[32:33], v[6:7], v[28:29]
	v_mul_f64 v[28:29], v[8:9], v[28:29]
	s_waitcnt vmcnt(12)
	v_fma_f64 v[36:37], v[2:3], v[125:126], -v[42:43]
	v_add_f64 v[18:19], v[18:19], v[20:21]
	v_fma_f64 v[20:21], v[4:5], v[125:126], v[30:31]
	v_add_f64 v[14:15], v[14:15], v[16:17]
	ds_read_b128 v[1:4], v1 offset:1968
	s_waitcnt vmcnt(11) lgkmcnt(1)
	v_mul_f64 v[30:31], v[12:13], v[74:75]
	v_mul_f64 v[16:17], v[10:11], v[74:75]
	s_waitcnt vmcnt(9)
	v_fma_f64 v[5:6], v[6:7], v[26:27], -v[28:29]
	v_fma_f64 v[7:8], v[8:9], v[26:27], v[32:33]
	v_add_f64 v[18:19], v[18:19], v[36:37]
	v_add_f64 v[14:15], v[14:15], v[20:21]
	s_waitcnt vmcnt(7) lgkmcnt(0)
	v_mul_f64 v[20:21], v[1:2], v[22:23]
	v_mul_f64 v[22:23], v[3:4], v[22:23]
	s_waitcnt vmcnt(6)
	v_fma_f64 v[9:10], v[10:11], v[95:96], -v[30:31]
	v_fma_f64 v[11:12], v[12:13], v[95:96], v[16:17]
	v_add_f64 v[5:6], v[18:19], v[5:6]
	v_add_f64 v[7:8], v[14:15], v[7:8]
	s_waitcnt vmcnt(4)
	v_fma_f64 v[1:2], v[1:2], v[24:25], -v[22:23]
	v_fma_f64 v[3:4], v[3:4], v[24:25], v[20:21]
	v_add_f64 v[5:6], v[5:6], v[9:10]
	v_add_f64 v[7:8], v[7:8], v[11:12]
	;; [unrolled: 1-line block ×4, first 2 shown]
	s_waitcnt vmcnt(2)
	v_add_f64 v[1:2], v[34:35], -v[1:2]
	s_waitcnt vmcnt(0)
	v_add_f64 v[3:4], v[40:41], -v[3:4]
	buffer_store_dword v2, off, s[0:3], 0 offset:644
	buffer_store_dword v1, off, s[0:3], 0 offset:640
	;; [unrolled: 1-line block ×4, first 2 shown]
	v_cmpx_lt_u32_e32 38, v0
	s_cbranch_execz .LBB61_321
; %bb.320:
	v_mov_b32_e32 v4, s38
	v_mov_b32_e32 v5, 0
	s_clause 0x3
	buffer_load_dword v1, v4, s[0:3], 0 offen
	buffer_load_dword v2, v4, s[0:3], 0 offen offset:4
	buffer_load_dword v3, v4, s[0:3], 0 offen offset:8
	buffer_load_dword v4, v4, s[0:3], 0 offen offset:12
	buffer_store_dword v5, off, s[0:3], 0 offset:624
	buffer_store_dword v5, off, s[0:3], 0 offset:628
	;; [unrolled: 1-line block ×4, first 2 shown]
	s_waitcnt vmcnt(0)
	ds_write_b128 v69, v[1:4]
.LBB61_321:
	s_or_b32 exec_lo, exec_lo, s4
	s_waitcnt lgkmcnt(0)
	s_waitcnt_vscnt null, 0x0
	s_barrier
	buffer_gl0_inv
	s_clause 0x37
	buffer_load_dword v10, off, s[0:3], 0 offset:648
	buffer_load_dword v11, off, s[0:3], 0 offset:652
	;; [unrolled: 1-line block ×56, first 2 shown]
	v_mov_b32_e32 v1, 0
	s_mov_b32 s4, exec_lo
	ds_read_b128 v[2:5], v1 offset:1616
	s_clause 0x2
	buffer_load_dword v67, off, s[0:3], 0 offset:876
	buffer_load_dword v73, off, s[0:3], 0 offset:852
	;; [unrolled: 1-line block ×3, first 2 shown]
	ds_read_b128 v[6:9], v1 offset:1632
	s_clause 0x4
	buffer_load_dword v79, off, s[0:3], 0 offset:892
	buffer_load_dword v84, off, s[0:3], 0 offset:904
	;; [unrolled: 1-line block ×5, first 2 shown]
	s_waitcnt vmcnt(62) lgkmcnt(1)
	v_mul_f64 v[74:75], v[4:5], v[10:11]
	v_mul_f64 v[76:77], v[2:3], v[10:11]
	s_waitcnt vmcnt(60) lgkmcnt(0)
	v_mul_f64 v[87:88], v[8:9], v[14:15]
	ds_read_b128 v[10:13], v1 offset:1648
	v_mul_f64 v[14:15], v[6:7], v[14:15]
	s_waitcnt vmcnt(58)
	v_fma_f64 v[74:75], v[2:3], v[16:17], -v[74:75]
	v_fma_f64 v[16:17], v[4:5], v[16:17], v[76:77]
	s_clause 0x2
	buffer_load_dword v85, off, s[0:3], 0 offset:908
	buffer_load_dword v77, off, s[0:3], 0 offset:884
	;; [unrolled: 1-line block ×3, first 2 shown]
	s_waitcnt vmcnt(59) lgkmcnt(0)
	v_mul_f64 v[93:94], v[10:11], v[18:19]
	v_mul_f64 v[18:19], v[12:13], v[18:19]
	s_waitcnt vmcnt(57)
	v_fma_f64 v[95:96], v[6:7], v[20:21], -v[87:88]
	ds_read_b128 v[2:5], v1 offset:1664
	v_fma_f64 v[14:15], v[8:9], v[20:21], v[14:15]
	s_clause 0x4
	buffer_load_dword v21, off, s[0:3], 0 offset:924
	buffer_load_dword v123, off, s[0:3], 0 offset:936
	;; [unrolled: 1-line block ×5, first 2 shown]
	ds_read_b128 v[6:9], v1 offset:1680
	v_add_f64 v[74:75], v[74:75], 0
	v_add_f64 v[16:17], v[16:17], 0
	s_waitcnt vmcnt(58) lgkmcnt(1)
	v_mul_f64 v[126:127], v[2:3], v[22:23]
	v_mul_f64 v[22:23], v[4:5], v[22:23]
	s_waitcnt vmcnt(56)
	v_fma_f64 v[18:19], v[10:11], v[28:29], -v[18:19]
	v_fma_f64 v[28:29], v[12:13], v[28:29], v[93:94]
	s_waitcnt vmcnt(55) lgkmcnt(0)
	v_mul_f64 v[93:94], v[6:7], v[24:25]
	v_mul_f64 v[24:25], v[8:9], v[24:25]
	v_add_f64 v[74:75], v[74:75], v[95:96]
	v_add_f64 v[14:15], v[16:17], v[14:15]
	s_clause 0x2
	buffer_load_dword v124, off, s[0:3], 0 offset:940
	buffer_load_dword v17, off, s[0:3], 0 offset:916
	buffer_load_dword v16, off, s[0:3], 0 offset:912
	ds_read_b128 v[10:13], v1 offset:1696
	s_waitcnt vmcnt(56)
	v_fma_f64 v[22:23], v[2:3], v[30:31], -v[22:23]
	v_fma_f64 v[30:31], v[4:5], v[30:31], v[126:127]
	s_waitcnt vmcnt(51)
	v_fma_f64 v[24:25], v[6:7], v[26:27], -v[24:25]
	v_add_f64 v[18:19], v[74:75], v[18:19]
	v_add_f64 v[14:15], v[14:15], v[28:29]
	s_clause 0x4
	buffer_load_dword v29, off, s[0:3], 0 offset:956
	buffer_load_dword v74, off, s[0:3], 0 offset:968
	;; [unrolled: 1-line block ×5, first 2 shown]
	s_waitcnt lgkmcnt(0)
	v_mul_f64 v[127:128], v[10:11], v[32:33]
	v_mul_f64 v[32:33], v[12:13], v[32:33]
	ds_read_b128 v[2:5], v1 offset:1712
	v_add_f64 v[18:19], v[18:19], v[22:23]
	v_fma_f64 v[22:23], v[8:9], v[26:27], v[93:94]
	v_add_f64 v[14:15], v[14:15], v[30:31]
	s_clause 0x2
	buffer_load_dword v75, off, s[0:3], 0 offset:972
	buffer_load_dword v27, off, s[0:3], 0 offset:948
	;; [unrolled: 1-line block ×3, first 2 shown]
	s_waitcnt vmcnt(58) lgkmcnt(0)
	v_mul_f64 v[30:31], v[2:3], v[34:35]
	v_mul_f64 v[34:35], v[4:5], v[34:35]
	s_waitcnt vmcnt(56)
	v_fma_f64 v[32:33], v[10:11], v[38:39], -v[32:33]
	ds_read_b128 v[6:9], v1 offset:1728
	v_add_f64 v[18:19], v[18:19], v[24:25]
	v_fma_f64 v[24:25], v[12:13], v[38:39], v[127:128]
	v_add_f64 v[14:15], v[14:15], v[22:23]
	s_clause 0x4
	buffer_load_dword v23, off, s[0:3], 0 offset:988
	buffer_load_dword v38, off, s[0:3], 0 offset:1000
	;; [unrolled: 1-line block ×5, first 2 shown]
	ds_read_b128 v[10:13], v1 offset:1744
	s_waitcnt vmcnt(57) lgkmcnt(1)
	v_mul_f64 v[127:128], v[6:7], v[40:41]
	v_mul_f64 v[40:41], v[8:9], v[40:41]
	s_waitcnt vmcnt(56)
	v_fma_f64 v[34:35], v[2:3], v[36:37], -v[34:35]
	v_fma_f64 v[30:31], v[4:5], v[36:37], v[30:31]
	v_add_f64 v[18:19], v[18:19], v[32:33]
	v_add_f64 v[14:15], v[14:15], v[24:25]
	s_clause 0x2
	buffer_load_dword v39, off, s[0:3], 0 offset:1004
	buffer_load_dword v25, off, s[0:3], 0 offset:980
	;; [unrolled: 1-line block ×3, first 2 shown]
	s_waitcnt vmcnt(58) lgkmcnt(0)
	v_mul_f64 v[36:37], v[12:13], v[42:43]
	ds_read_b128 v[2:5], v1 offset:1760
	s_waitcnt vmcnt(56)
	v_fma_f64 v[40:41], v[6:7], v[46:47], -v[40:41]
	v_mul_f64 v[32:33], v[10:11], v[42:43]
	buffer_load_dword v94, off, s[0:3], 0 offset:996
	v_add_f64 v[18:19], v[18:19], v[34:35]
	v_fma_f64 v[34:35], v[8:9], v[46:47], v[127:128]
	v_add_f64 v[14:15], v[14:15], v[30:31]
	ds_read_b128 v[6:9], v1 offset:1776
	s_waitcnt vmcnt(53) lgkmcnt(1)
	v_mul_f64 v[42:43], v[4:5], v[48:49]
	s_waitcnt vmcnt(52)
	v_fma_f64 v[36:37], v[10:11], v[44:45], -v[36:37]
	v_mul_f64 v[30:31], v[2:3], v[48:49]
	v_fma_f64 v[32:33], v[12:13], v[44:45], v[32:33]
	ds_read_b128 v[10:13], v1 offset:1792
	v_add_f64 v[18:19], v[18:19], v[40:41]
	s_waitcnt vmcnt(51) lgkmcnt(1)
	v_mul_f64 v[40:41], v[8:9], v[50:51]
	v_add_f64 v[14:15], v[14:15], v[34:35]
	v_mul_f64 v[34:35], v[6:7], v[50:51]
	s_waitcnt vmcnt(49)
	v_fma_f64 v[42:43], v[2:3], v[54:55], -v[42:43]
	v_fma_f64 v[30:31], v[4:5], v[54:55], v[30:31]
	s_waitcnt vmcnt(45) lgkmcnt(0)
	v_mul_f64 v[46:47], v[12:13], v[56:57]
	v_mul_f64 v[44:45], v[10:11], v[56:57]
	v_add_f64 v[18:19], v[18:19], v[36:37]
	s_waitcnt vmcnt(44)
	v_fma_f64 v[40:41], v[6:7], v[52:53], -v[40:41]
	v_add_f64 v[14:15], v[14:15], v[32:33]
	s_clause 0x3
	buffer_load_dword v32, off, s[0:3], 0 offset:624
	buffer_load_dword v33, off, s[0:3], 0 offset:628
	;; [unrolled: 1-line block ×4, first 2 shown]
	ds_read_b128 v[2:5], v1 offset:1808
	v_fma_f64 v[34:35], v[8:9], v[52:53], v[34:35]
	ds_read_b128 v[6:9], v1 offset:1824
	s_waitcnt vmcnt(45)
	v_fma_f64 v[46:47], v[10:11], v[62:63], -v[46:47]
	v_add_f64 v[18:19], v[18:19], v[42:43]
	v_add_f64 v[14:15], v[14:15], v[30:31]
	s_waitcnt lgkmcnt(1)
	v_mul_f64 v[42:43], v[4:5], v[58:59]
	v_mul_f64 v[30:31], v[2:3], v[58:59]
	v_add_f64 v[18:19], v[18:19], v[40:41]
	v_fma_f64 v[40:41], v[12:13], v[62:63], v[44:45]
	v_add_f64 v[14:15], v[14:15], v[34:35]
	s_waitcnt vmcnt(41) lgkmcnt(0)
	v_mul_f64 v[44:45], v[8:9], v[64:65]
	s_waitcnt vmcnt(40)
	v_fma_f64 v[42:43], v[2:3], v[60:61], -v[42:43]
	ds_read_b128 v[10:13], v1 offset:1840
	v_mul_f64 v[34:35], v[6:7], v[64:65]
	v_fma_f64 v[30:31], v[4:5], v[60:61], v[30:31]
	ds_read_b128 v[2:5], v1 offset:1856
	v_add_f64 v[18:19], v[18:19], v[46:47]
	v_add_f64 v[14:15], v[14:15], v[40:41]
	s_waitcnt vmcnt(39) lgkmcnt(1)
	v_mul_f64 v[46:47], v[12:13], v[66:67]
	s_waitcnt vmcnt(37)
	v_fma_f64 v[44:45], v[6:7], v[72:73], -v[44:45]
	v_mul_f64 v[40:41], v[10:11], v[66:67]
	v_fma_f64 v[34:35], v[8:9], v[72:73], v[34:35]
	ds_read_b128 v[6:9], v1 offset:1872
	v_add_f64 v[18:19], v[18:19], v[42:43]
	s_waitcnt vmcnt(33) lgkmcnt(1)
	v_mul_f64 v[42:43], v[4:5], v[78:79]
	v_add_f64 v[14:15], v[14:15], v[30:31]
	s_waitcnt vmcnt(32)
	v_fma_f64 v[46:47], v[10:11], v[70:71], -v[46:47]
	v_mul_f64 v[30:31], v[2:3], v[78:79]
	v_fma_f64 v[40:41], v[12:13], v[70:71], v[40:41]
	ds_read_b128 v[10:13], v1 offset:1888
	v_add_f64 v[18:19], v[18:19], v[44:45]
	v_add_f64 v[14:15], v[14:15], v[34:35]
	s_waitcnt vmcnt(31) lgkmcnt(1)
	v_mul_f64 v[44:45], v[8:9], v[84:85]
	v_mul_f64 v[34:35], v[6:7], v[84:85]
	s_waitcnt vmcnt(29)
	v_fma_f64 v[42:43], v[2:3], v[76:77], -v[42:43]
	v_fma_f64 v[30:31], v[4:5], v[76:77], v[30:31]
	ds_read_b128 v[2:5], v1 offset:1904
	v_add_f64 v[18:19], v[18:19], v[46:47]
	v_add_f64 v[14:15], v[14:15], v[40:41]
	s_waitcnt vmcnt(25) lgkmcnt(1)
	v_mul_f64 v[40:41], v[10:11], v[20:21]
	v_mul_f64 v[20:21], v[12:13], v[20:21]
	s_waitcnt vmcnt(24)
	v_fma_f64 v[44:45], v[6:7], v[86:87], -v[44:45]
	;; [unrolled: 9-line block ×4, first 2 shown]
	v_add_f64 v[18:19], v[18:19], v[20:21]
	v_fma_f64 v[20:21], v[4:5], v[125:126], v[30:31]
	v_add_f64 v[14:15], v[14:15], v[16:17]
	ds_read_b128 v[2:5], v1 offset:1952
	s_waitcnt vmcnt(15) lgkmcnt(1)
	v_mul_f64 v[30:31], v[12:13], v[74:75]
	v_mul_f64 v[16:17], v[10:11], v[74:75]
	s_waitcnt vmcnt(13)
	v_fma_f64 v[28:29], v[6:7], v[26:27], -v[28:29]
	v_fma_f64 v[26:27], v[8:9], v[26:27], v[34:35]
	ds_read_b128 v[6:9], v1 offset:1968
	v_add_f64 v[18:19], v[18:19], v[40:41]
	v_add_f64 v[14:15], v[14:15], v[20:21]
	s_waitcnt vmcnt(9) lgkmcnt(1)
	v_mul_f64 v[20:21], v[2:3], v[22:23]
	v_mul_f64 v[22:23], v[4:5], v[22:23]
	s_waitcnt vmcnt(8)
	v_fma_f64 v[10:11], v[10:11], v[95:96], -v[30:31]
	v_fma_f64 v[12:13], v[12:13], v[95:96], v[16:17]
	v_add_f64 v[18:19], v[18:19], v[28:29]
	v_add_f64 v[14:15], v[14:15], v[26:27]
	s_waitcnt vmcnt(7) lgkmcnt(0)
	v_mul_f64 v[26:27], v[8:9], v[38:39]
	v_mul_f64 v[16:17], v[6:7], v[38:39]
	s_waitcnt vmcnt(5)
	v_fma_f64 v[2:3], v[2:3], v[24:25], -v[22:23]
	v_fma_f64 v[4:5], v[4:5], v[24:25], v[20:21]
	v_add_f64 v[10:11], v[18:19], v[10:11]
	v_add_f64 v[12:13], v[14:15], v[12:13]
	s_waitcnt vmcnt(4)
	v_fma_f64 v[6:7], v[6:7], v[93:94], -v[26:27]
	v_fma_f64 v[8:9], v[8:9], v[93:94], v[16:17]
	v_add_f64 v[2:3], v[10:11], v[2:3]
	v_add_f64 v[4:5], v[12:13], v[4:5]
	;; [unrolled: 1-line block ×4, first 2 shown]
	s_waitcnt vmcnt(2)
	v_add_f64 v[2:3], v[32:33], -v[2:3]
	s_waitcnt vmcnt(0)
	v_add_f64 v[4:5], v[36:37], -v[4:5]
	buffer_store_dword v3, off, s[0:3], 0 offset:628
	buffer_store_dword v2, off, s[0:3], 0 offset:624
	;; [unrolled: 1-line block ×4, first 2 shown]
	v_cmpx_lt_u32_e32 37, v0
	s_cbranch_execz .LBB61_323
; %bb.322:
	v_mov_b32_e32 v5, s39
	s_clause 0x3
	buffer_load_dword v2, v5, s[0:3], 0 offen
	buffer_load_dword v3, v5, s[0:3], 0 offen offset:4
	buffer_load_dword v4, v5, s[0:3], 0 offen offset:8
	;; [unrolled: 1-line block ×3, first 2 shown]
	buffer_store_dword v1, off, s[0:3], 0 offset:608
	buffer_store_dword v1, off, s[0:3], 0 offset:612
	;; [unrolled: 1-line block ×4, first 2 shown]
	s_waitcnt vmcnt(0)
	ds_write_b128 v69, v[2:5]
.LBB61_323:
	s_or_b32 exec_lo, exec_lo, s4
	s_waitcnt lgkmcnt(0)
	s_waitcnt_vscnt null, 0x0
	s_barrier
	buffer_gl0_inv
	s_clause 0x37
	buffer_load_dword v10, off, s[0:3], 0 offset:632
	buffer_load_dword v11, off, s[0:3], 0 offset:636
	;; [unrolled: 1-line block ×56, first 2 shown]
	ds_read_b128 v[2:5], v1 offset:1600
	s_clause 0x2
	buffer_load_dword v67, off, s[0:3], 0 offset:860
	buffer_load_dword v73, off, s[0:3], 0 offset:836
	;; [unrolled: 1-line block ×3, first 2 shown]
	ds_read_b128 v[6:9], v1 offset:1616
	s_clause 0x4
	buffer_load_dword v79, off, s[0:3], 0 offset:876
	buffer_load_dword v84, off, s[0:3], 0 offset:888
	;; [unrolled: 1-line block ×5, first 2 shown]
	s_mov_b32 s4, exec_lo
	s_waitcnt vmcnt(62) lgkmcnt(1)
	v_mul_f64 v[74:75], v[4:5], v[10:11]
	v_mul_f64 v[76:77], v[2:3], v[10:11]
	s_waitcnt vmcnt(60) lgkmcnt(0)
	v_mul_f64 v[87:88], v[8:9], v[14:15]
	ds_read_b128 v[10:13], v1 offset:1632
	v_mul_f64 v[14:15], v[6:7], v[14:15]
	s_waitcnt vmcnt(58)
	v_fma_f64 v[74:75], v[2:3], v[16:17], -v[74:75]
	v_fma_f64 v[16:17], v[4:5], v[16:17], v[76:77]
	s_clause 0x2
	buffer_load_dword v85, off, s[0:3], 0 offset:892
	buffer_load_dword v77, off, s[0:3], 0 offset:868
	;; [unrolled: 1-line block ×3, first 2 shown]
	s_waitcnt vmcnt(59) lgkmcnt(0)
	v_mul_f64 v[93:94], v[10:11], v[18:19]
	v_mul_f64 v[18:19], v[12:13], v[18:19]
	s_waitcnt vmcnt(57)
	v_fma_f64 v[95:96], v[6:7], v[20:21], -v[87:88]
	ds_read_b128 v[2:5], v1 offset:1648
	v_fma_f64 v[14:15], v[8:9], v[20:21], v[14:15]
	s_clause 0x4
	buffer_load_dword v21, off, s[0:3], 0 offset:908
	buffer_load_dword v123, off, s[0:3], 0 offset:920
	;; [unrolled: 1-line block ×5, first 2 shown]
	ds_read_b128 v[6:9], v1 offset:1664
	v_add_f64 v[74:75], v[74:75], 0
	v_add_f64 v[16:17], v[16:17], 0
	s_waitcnt vmcnt(58) lgkmcnt(1)
	v_mul_f64 v[126:127], v[2:3], v[22:23]
	v_mul_f64 v[22:23], v[4:5], v[22:23]
	s_waitcnt vmcnt(56)
	v_fma_f64 v[18:19], v[10:11], v[28:29], -v[18:19]
	v_fma_f64 v[28:29], v[12:13], v[28:29], v[93:94]
	s_waitcnt vmcnt(55) lgkmcnt(0)
	v_mul_f64 v[93:94], v[6:7], v[24:25]
	v_mul_f64 v[24:25], v[8:9], v[24:25]
	v_add_f64 v[74:75], v[74:75], v[95:96]
	v_add_f64 v[14:15], v[16:17], v[14:15]
	s_clause 0x2
	buffer_load_dword v124, off, s[0:3], 0 offset:924
	buffer_load_dword v17, off, s[0:3], 0 offset:900
	;; [unrolled: 1-line block ×3, first 2 shown]
	ds_read_b128 v[10:13], v1 offset:1680
	s_waitcnt vmcnt(56)
	v_fma_f64 v[22:23], v[2:3], v[30:31], -v[22:23]
	v_fma_f64 v[30:31], v[4:5], v[30:31], v[126:127]
	s_waitcnt vmcnt(51)
	v_fma_f64 v[24:25], v[6:7], v[26:27], -v[24:25]
	v_add_f64 v[18:19], v[74:75], v[18:19]
	v_add_f64 v[14:15], v[14:15], v[28:29]
	s_clause 0x4
	buffer_load_dword v29, off, s[0:3], 0 offset:940
	buffer_load_dword v74, off, s[0:3], 0 offset:952
	;; [unrolled: 1-line block ×5, first 2 shown]
	s_waitcnt lgkmcnt(0)
	v_mul_f64 v[127:128], v[10:11], v[32:33]
	v_mul_f64 v[32:33], v[12:13], v[32:33]
	ds_read_b128 v[2:5], v1 offset:1696
	v_add_f64 v[18:19], v[18:19], v[22:23]
	v_fma_f64 v[22:23], v[8:9], v[26:27], v[93:94]
	v_add_f64 v[14:15], v[14:15], v[30:31]
	s_clause 0x2
	buffer_load_dword v75, off, s[0:3], 0 offset:956
	buffer_load_dword v27, off, s[0:3], 0 offset:932
	;; [unrolled: 1-line block ×3, first 2 shown]
	s_waitcnt vmcnt(58) lgkmcnt(0)
	v_mul_f64 v[30:31], v[2:3], v[34:35]
	v_mul_f64 v[34:35], v[4:5], v[34:35]
	s_waitcnt vmcnt(56)
	v_fma_f64 v[32:33], v[10:11], v[38:39], -v[32:33]
	ds_read_b128 v[6:9], v1 offset:1712
	v_add_f64 v[18:19], v[18:19], v[24:25]
	v_fma_f64 v[24:25], v[12:13], v[38:39], v[127:128]
	v_add_f64 v[14:15], v[14:15], v[22:23]
	s_clause 0x4
	buffer_load_dword v23, off, s[0:3], 0 offset:972
	buffer_load_dword v38, off, s[0:3], 0 offset:984
	;; [unrolled: 1-line block ×5, first 2 shown]
	ds_read_b128 v[10:13], v1 offset:1728
	s_waitcnt vmcnt(57) lgkmcnt(1)
	v_mul_f64 v[127:128], v[6:7], v[40:41]
	v_mul_f64 v[40:41], v[8:9], v[40:41]
	s_waitcnt vmcnt(56)
	v_fma_f64 v[34:35], v[2:3], v[36:37], -v[34:35]
	v_fma_f64 v[30:31], v[4:5], v[36:37], v[30:31]
	v_add_f64 v[18:19], v[18:19], v[32:33]
	v_add_f64 v[14:15], v[14:15], v[24:25]
	s_clause 0x2
	buffer_load_dword v39, off, s[0:3], 0 offset:988
	buffer_load_dword v25, off, s[0:3], 0 offset:964
	;; [unrolled: 1-line block ×3, first 2 shown]
	s_waitcnt vmcnt(58) lgkmcnt(0)
	v_mul_f64 v[36:37], v[12:13], v[42:43]
	ds_read_b128 v[2:5], v1 offset:1744
	s_waitcnt vmcnt(56)
	v_fma_f64 v[40:41], v[6:7], v[46:47], -v[40:41]
	v_mul_f64 v[32:33], v[10:11], v[42:43]
	v_add_f64 v[18:19], v[18:19], v[34:35]
	v_fma_f64 v[34:35], v[8:9], v[46:47], v[127:128]
	v_add_f64 v[14:15], v[14:15], v[30:31]
	s_clause 0x2
	buffer_load_dword v31, off, s[0:3], 0 offset:1004
	buffer_load_dword v30, off, s[0:3], 0 offset:1000
	;; [unrolled: 1-line block ×3, first 2 shown]
	s_waitcnt vmcnt(55) lgkmcnt(0)
	v_mul_f64 v[46:47], v[4:5], v[48:49]
	s_waitcnt vmcnt(54)
	v_fma_f64 v[36:37], v[10:11], v[44:45], -v[36:37]
	ds_read_b128 v[6:9], v1 offset:1760
	v_mul_f64 v[42:43], v[2:3], v[48:49]
	v_fma_f64 v[32:33], v[12:13], v[44:45], v[32:33]
	v_add_f64 v[18:19], v[18:19], v[40:41]
	v_add_f64 v[14:15], v[14:15], v[34:35]
	s_clause 0x1
	buffer_load_dword v35, off, s[0:3], 0 offset:996
	buffer_load_dword v34, off, s[0:3], 0 offset:992
	s_waitcnt vmcnt(55) lgkmcnt(0)
	v_mul_f64 v[44:45], v[8:9], v[50:51]
	s_waitcnt vmcnt(53)
	v_fma_f64 v[46:47], v[2:3], v[54:55], -v[46:47]
	ds_read_b128 v[10:13], v1 offset:1776
	v_mul_f64 v[40:41], v[6:7], v[50:51]
	v_add_f64 v[18:19], v[18:19], v[36:37]
	v_fma_f64 v[36:37], v[4:5], v[54:55], v[42:43]
	v_add_f64 v[14:15], v[14:15], v[32:33]
	ds_read_b128 v[2:5], v1 offset:1792
	s_waitcnt vmcnt(49) lgkmcnt(1)
	v_mul_f64 v[42:43], v[12:13], v[56:57]
	s_waitcnt vmcnt(48)
	v_fma_f64 v[44:45], v[6:7], v[52:53], -v[44:45]
	v_mul_f64 v[32:33], v[10:11], v[56:57]
	v_fma_f64 v[40:41], v[8:9], v[52:53], v[40:41]
	v_add_f64 v[18:19], v[18:19], v[46:47]
	s_waitcnt vmcnt(47) lgkmcnt(0)
	v_mul_f64 v[50:51], v[4:5], v[58:59]
	v_add_f64 v[14:15], v[14:15], v[36:37]
	s_clause 0x3
	buffer_load_dword v36, off, s[0:3], 0 offset:608
	buffer_load_dword v37, off, s[0:3], 0 offset:612
	;; [unrolled: 1-line block ×4, first 2 shown]
	s_waitcnt vmcnt(49)
	v_fma_f64 v[42:43], v[10:11], v[62:63], -v[42:43]
	ds_read_b128 v[6:9], v1 offset:1808
	v_mul_f64 v[48:49], v[2:3], v[58:59]
	v_fma_f64 v[32:33], v[12:13], v[62:63], v[32:33]
	ds_read_b128 v[10:13], v1 offset:1824
	v_add_f64 v[18:19], v[18:19], v[44:45]
	s_waitcnt vmcnt(44)
	v_fma_f64 v[50:51], v[2:3], v[60:61], -v[50:51]
	v_add_f64 v[14:15], v[14:15], v[40:41]
	s_waitcnt lgkmcnt(1)
	v_mul_f64 v[44:45], v[8:9], v[64:65]
	v_mul_f64 v[40:41], v[6:7], v[64:65]
	v_add_f64 v[18:19], v[18:19], v[42:43]
	v_fma_f64 v[42:43], v[4:5], v[60:61], v[48:49]
	v_add_f64 v[14:15], v[14:15], v[32:33]
	s_waitcnt vmcnt(43) lgkmcnt(0)
	v_mul_f64 v[48:49], v[12:13], v[66:67]
	s_waitcnt vmcnt(41)
	v_fma_f64 v[44:45], v[6:7], v[72:73], -v[44:45]
	ds_read_b128 v[2:5], v1 offset:1840
	v_mul_f64 v[32:33], v[10:11], v[66:67]
	v_fma_f64 v[40:41], v[8:9], v[72:73], v[40:41]
	ds_read_b128 v[6:9], v1 offset:1856
	v_add_f64 v[18:19], v[18:19], v[50:51]
	v_add_f64 v[14:15], v[14:15], v[42:43]
	s_waitcnt vmcnt(37) lgkmcnt(1)
	v_mul_f64 v[50:51], v[4:5], v[78:79]
	s_waitcnt vmcnt(36)
	v_fma_f64 v[48:49], v[10:11], v[70:71], -v[48:49]
	v_mul_f64 v[42:43], v[2:3], v[78:79]
	v_fma_f64 v[32:33], v[12:13], v[70:71], v[32:33]
	ds_read_b128 v[10:13], v1 offset:1872
	v_add_f64 v[18:19], v[18:19], v[44:45]
	v_add_f64 v[14:15], v[14:15], v[40:41]
	s_waitcnt vmcnt(35) lgkmcnt(1)
	v_mul_f64 v[44:45], v[8:9], v[84:85]
	v_mul_f64 v[40:41], v[6:7], v[84:85]
	s_waitcnt vmcnt(33)
	v_fma_f64 v[50:51], v[2:3], v[76:77], -v[50:51]
	v_fma_f64 v[42:43], v[4:5], v[76:77], v[42:43]
	ds_read_b128 v[2:5], v1 offset:1888
	v_add_f64 v[18:19], v[18:19], v[48:49]
	v_add_f64 v[14:15], v[14:15], v[32:33]
	s_waitcnt vmcnt(29) lgkmcnt(1)
	v_mul_f64 v[32:33], v[10:11], v[20:21]
	v_mul_f64 v[20:21], v[12:13], v[20:21]
	s_waitcnt vmcnt(28)
	v_fma_f64 v[44:45], v[6:7], v[86:87], -v[44:45]
	;; [unrolled: 9-line block ×4, first 2 shown]
	v_add_f64 v[18:19], v[18:19], v[20:21]
	v_fma_f64 v[20:21], v[4:5], v[125:126], v[42:43]
	v_add_f64 v[14:15], v[14:15], v[16:17]
	ds_read_b128 v[2:5], v1 offset:1936
	s_waitcnt vmcnt(19) lgkmcnt(1)
	v_mul_f64 v[42:43], v[12:13], v[74:75]
	v_mul_f64 v[16:17], v[10:11], v[74:75]
	s_waitcnt vmcnt(17)
	v_fma_f64 v[28:29], v[6:7], v[26:27], -v[28:29]
	v_fma_f64 v[26:27], v[8:9], v[26:27], v[32:33]
	ds_read_b128 v[6:9], v1 offset:1952
	v_add_f64 v[18:19], v[18:19], v[40:41]
	v_add_f64 v[14:15], v[14:15], v[20:21]
	s_waitcnt vmcnt(13) lgkmcnt(1)
	v_mul_f64 v[20:21], v[2:3], v[22:23]
	v_mul_f64 v[22:23], v[4:5], v[22:23]
	s_waitcnt vmcnt(12)
	v_fma_f64 v[32:33], v[10:11], v[95:96], -v[42:43]
	v_fma_f64 v[16:17], v[12:13], v[95:96], v[16:17]
	ds_read_b128 v[10:13], v1 offset:1968
	v_add_f64 v[18:19], v[18:19], v[28:29]
	v_add_f64 v[14:15], v[14:15], v[26:27]
	s_waitcnt vmcnt(11) lgkmcnt(1)
	v_mul_f64 v[28:29], v[8:9], v[38:39]
	v_mul_f64 v[26:27], v[6:7], v[38:39]
	s_waitcnt vmcnt(9)
	v_fma_f64 v[1:2], v[2:3], v[24:25], -v[22:23]
	v_fma_f64 v[3:4], v[4:5], v[24:25], v[20:21]
	v_add_f64 v[18:19], v[18:19], v[32:33]
	v_add_f64 v[14:15], v[14:15], v[16:17]
	s_waitcnt vmcnt(7) lgkmcnt(0)
	v_mul_f64 v[20:21], v[12:13], v[30:31]
	s_waitcnt vmcnt(6)
	v_fma_f64 v[5:6], v[6:7], v[93:94], -v[28:29]
	v_mul_f64 v[16:17], v[10:11], v[30:31]
	v_fma_f64 v[7:8], v[8:9], v[93:94], v[26:27]
	v_add_f64 v[1:2], v[18:19], v[1:2]
	v_add_f64 v[3:4], v[14:15], v[3:4]
	s_waitcnt vmcnt(4)
	v_fma_f64 v[9:10], v[10:11], v[34:35], -v[20:21]
	v_add_f64 v[1:2], v[1:2], v[5:6]
	v_fma_f64 v[5:6], v[12:13], v[34:35], v[16:17]
	v_add_f64 v[3:4], v[3:4], v[7:8]
	v_add_f64 v[1:2], v[1:2], v[9:10]
	;; [unrolled: 1-line block ×3, first 2 shown]
	s_waitcnt vmcnt(2)
	v_add_f64 v[1:2], v[36:37], -v[1:2]
	s_waitcnt vmcnt(0)
	v_add_f64 v[3:4], v[46:47], -v[3:4]
	buffer_store_dword v2, off, s[0:3], 0 offset:612
	buffer_store_dword v1, off, s[0:3], 0 offset:608
	;; [unrolled: 1-line block ×4, first 2 shown]
	v_cmpx_lt_u32_e32 36, v0
	s_cbranch_execz .LBB61_325
; %bb.324:
	v_mov_b32_e32 v4, s40
	v_mov_b32_e32 v5, 0
	s_clause 0x3
	buffer_load_dword v1, v4, s[0:3], 0 offen
	buffer_load_dword v2, v4, s[0:3], 0 offen offset:4
	buffer_load_dword v3, v4, s[0:3], 0 offen offset:8
	;; [unrolled: 1-line block ×3, first 2 shown]
	buffer_store_dword v5, off, s[0:3], 0 offset:592
	buffer_store_dword v5, off, s[0:3], 0 offset:596
	;; [unrolled: 1-line block ×4, first 2 shown]
	s_waitcnt vmcnt(0)
	ds_write_b128 v69, v[1:4]
.LBB61_325:
	s_or_b32 exec_lo, exec_lo, s4
	s_waitcnt lgkmcnt(0)
	s_waitcnt_vscnt null, 0x0
	s_barrier
	buffer_gl0_inv
	s_clause 0x37
	buffer_load_dword v10, off, s[0:3], 0 offset:616
	buffer_load_dword v11, off, s[0:3], 0 offset:620
	buffer_load_dword v14, off, s[0:3], 0 offset:632
	buffer_load_dword v15, off, s[0:3], 0 offset:636
	buffer_load_dword v16, off, s[0:3], 0 offset:608
	buffer_load_dword v17, off, s[0:3], 0 offset:612
	buffer_load_dword v18, off, s[0:3], 0 offset:648
	buffer_load_dword v19, off, s[0:3], 0 offset:652
	buffer_load_dword v20, off, s[0:3], 0 offset:624
	buffer_load_dword v21, off, s[0:3], 0 offset:628
	buffer_load_dword v23, off, s[0:3], 0 offset:668
	buffer_load_dword v24, off, s[0:3], 0 offset:680
	buffer_load_dword v26, off, s[0:3], 0 offset:672
	buffer_load_dword v22, off, s[0:3], 0 offset:664
	buffer_load_dword v28, off, s[0:3], 0 offset:640
	buffer_load_dword v29, off, s[0:3], 0 offset:644
	buffer_load_dword v25, off, s[0:3], 0 offset:684
	buffer_load_dword v31, off, s[0:3], 0 offset:660
	buffer_load_dword v30, off, s[0:3], 0 offset:656
	buffer_load_dword v33, off, s[0:3], 0 offset:700
	buffer_load_dword v34, off, s[0:3], 0 offset:712
	buffer_load_dword v36, off, s[0:3], 0 offset:704
	buffer_load_dword v32, off, s[0:3], 0 offset:696
	buffer_load_dword v27, off, s[0:3], 0 offset:676
	buffer_load_dword v35, off, s[0:3], 0 offset:716
	buffer_load_dword v39, off, s[0:3], 0 offset:692
	buffer_load_dword v38, off, s[0:3], 0 offset:688
	buffer_load_dword v41, off, s[0:3], 0 offset:732
	buffer_load_dword v42, off, s[0:3], 0 offset:744
	buffer_load_dword v44, off, s[0:3], 0 offset:736
	buffer_load_dword v40, off, s[0:3], 0 offset:728
	buffer_load_dword v37, off, s[0:3], 0 offset:708
	buffer_load_dword v43, off, s[0:3], 0 offset:748
	buffer_load_dword v47, off, s[0:3], 0 offset:724
	buffer_load_dword v46, off, s[0:3], 0 offset:720
	buffer_load_dword v49, off, s[0:3], 0 offset:764
	buffer_load_dword v50, off, s[0:3], 0 offset:776
	buffer_load_dword v52, off, s[0:3], 0 offset:768
	buffer_load_dword v48, off, s[0:3], 0 offset:760
	buffer_load_dword v45, off, s[0:3], 0 offset:740
	buffer_load_dword v51, off, s[0:3], 0 offset:780
	buffer_load_dword v55, off, s[0:3], 0 offset:756
	buffer_load_dword v54, off, s[0:3], 0 offset:752
	buffer_load_dword v57, off, s[0:3], 0 offset:796
	buffer_load_dword v58, off, s[0:3], 0 offset:808
	buffer_load_dword v60, off, s[0:3], 0 offset:800
	buffer_load_dword v56, off, s[0:3], 0 offset:792
	buffer_load_dword v53, off, s[0:3], 0 offset:772
	buffer_load_dword v59, off, s[0:3], 0 offset:812
	buffer_load_dword v63, off, s[0:3], 0 offset:788
	buffer_load_dword v62, off, s[0:3], 0 offset:784
	buffer_load_dword v65, off, s[0:3], 0 offset:828
	buffer_load_dword v66, off, s[0:3], 0 offset:840
	buffer_load_dword v70, off, s[0:3], 0 offset:832
	buffer_load_dword v64, off, s[0:3], 0 offset:824
	buffer_load_dword v61, off, s[0:3], 0 offset:804
	v_mov_b32_e32 v1, 0
	s_mov_b32 s4, exec_lo
	ds_read_b128 v[2:5], v1 offset:1584
	s_clause 0x2
	buffer_load_dword v67, off, s[0:3], 0 offset:844
	buffer_load_dword v73, off, s[0:3], 0 offset:820
	;; [unrolled: 1-line block ×3, first 2 shown]
	ds_read_b128 v[6:9], v1 offset:1600
	s_clause 0x4
	buffer_load_dword v79, off, s[0:3], 0 offset:860
	buffer_load_dword v84, off, s[0:3], 0 offset:872
	;; [unrolled: 1-line block ×5, first 2 shown]
	s_waitcnt vmcnt(62) lgkmcnt(1)
	v_mul_f64 v[74:75], v[4:5], v[10:11]
	v_mul_f64 v[76:77], v[2:3], v[10:11]
	s_waitcnt vmcnt(60) lgkmcnt(0)
	v_mul_f64 v[87:88], v[8:9], v[14:15]
	ds_read_b128 v[10:13], v1 offset:1616
	v_mul_f64 v[14:15], v[6:7], v[14:15]
	s_waitcnt vmcnt(58)
	v_fma_f64 v[74:75], v[2:3], v[16:17], -v[74:75]
	v_fma_f64 v[16:17], v[4:5], v[16:17], v[76:77]
	s_clause 0x2
	buffer_load_dword v85, off, s[0:3], 0 offset:876
	buffer_load_dword v77, off, s[0:3], 0 offset:852
	;; [unrolled: 1-line block ×3, first 2 shown]
	s_waitcnt vmcnt(59) lgkmcnt(0)
	v_mul_f64 v[93:94], v[10:11], v[18:19]
	v_mul_f64 v[18:19], v[12:13], v[18:19]
	s_waitcnt vmcnt(57)
	v_fma_f64 v[95:96], v[6:7], v[20:21], -v[87:88]
	ds_read_b128 v[2:5], v1 offset:1632
	v_fma_f64 v[14:15], v[8:9], v[20:21], v[14:15]
	s_clause 0x4
	buffer_load_dword v21, off, s[0:3], 0 offset:892
	buffer_load_dword v123, off, s[0:3], 0 offset:904
	;; [unrolled: 1-line block ×5, first 2 shown]
	ds_read_b128 v[6:9], v1 offset:1648
	v_add_f64 v[74:75], v[74:75], 0
	v_add_f64 v[16:17], v[16:17], 0
	s_waitcnt vmcnt(58) lgkmcnt(1)
	v_mul_f64 v[126:127], v[2:3], v[22:23]
	v_mul_f64 v[22:23], v[4:5], v[22:23]
	s_waitcnt vmcnt(56)
	v_fma_f64 v[18:19], v[10:11], v[28:29], -v[18:19]
	v_fma_f64 v[28:29], v[12:13], v[28:29], v[93:94]
	s_waitcnt vmcnt(55) lgkmcnt(0)
	v_mul_f64 v[93:94], v[6:7], v[24:25]
	v_mul_f64 v[24:25], v[8:9], v[24:25]
	v_add_f64 v[74:75], v[74:75], v[95:96]
	v_add_f64 v[14:15], v[16:17], v[14:15]
	s_clause 0x2
	buffer_load_dword v124, off, s[0:3], 0 offset:908
	buffer_load_dword v17, off, s[0:3], 0 offset:884
	;; [unrolled: 1-line block ×3, first 2 shown]
	ds_read_b128 v[10:13], v1 offset:1664
	s_waitcnt vmcnt(56)
	v_fma_f64 v[22:23], v[2:3], v[30:31], -v[22:23]
	v_fma_f64 v[30:31], v[4:5], v[30:31], v[126:127]
	s_waitcnt vmcnt(51)
	v_fma_f64 v[24:25], v[6:7], v[26:27], -v[24:25]
	v_add_f64 v[18:19], v[74:75], v[18:19]
	v_add_f64 v[14:15], v[14:15], v[28:29]
	s_clause 0x4
	buffer_load_dword v29, off, s[0:3], 0 offset:924
	buffer_load_dword v74, off, s[0:3], 0 offset:936
	;; [unrolled: 1-line block ×5, first 2 shown]
	s_waitcnt lgkmcnt(0)
	v_mul_f64 v[127:128], v[10:11], v[32:33]
	v_mul_f64 v[32:33], v[12:13], v[32:33]
	ds_read_b128 v[2:5], v1 offset:1680
	v_add_f64 v[18:19], v[18:19], v[22:23]
	v_fma_f64 v[22:23], v[8:9], v[26:27], v[93:94]
	v_add_f64 v[14:15], v[14:15], v[30:31]
	s_clause 0x2
	buffer_load_dword v75, off, s[0:3], 0 offset:940
	buffer_load_dword v27, off, s[0:3], 0 offset:916
	;; [unrolled: 1-line block ×3, first 2 shown]
	s_waitcnt vmcnt(58) lgkmcnt(0)
	v_mul_f64 v[30:31], v[2:3], v[34:35]
	v_mul_f64 v[34:35], v[4:5], v[34:35]
	s_waitcnt vmcnt(56)
	v_fma_f64 v[32:33], v[10:11], v[38:39], -v[32:33]
	ds_read_b128 v[6:9], v1 offset:1696
	v_add_f64 v[18:19], v[18:19], v[24:25]
	v_fma_f64 v[24:25], v[12:13], v[38:39], v[127:128]
	v_add_f64 v[14:15], v[14:15], v[22:23]
	s_clause 0x4
	buffer_load_dword v23, off, s[0:3], 0 offset:956
	buffer_load_dword v38, off, s[0:3], 0 offset:968
	;; [unrolled: 1-line block ×5, first 2 shown]
	ds_read_b128 v[10:13], v1 offset:1712
	s_waitcnt vmcnt(57) lgkmcnt(1)
	v_mul_f64 v[127:128], v[6:7], v[40:41]
	v_mul_f64 v[40:41], v[8:9], v[40:41]
	s_waitcnt vmcnt(56)
	v_fma_f64 v[34:35], v[2:3], v[36:37], -v[34:35]
	v_fma_f64 v[30:31], v[4:5], v[36:37], v[30:31]
	v_add_f64 v[18:19], v[18:19], v[32:33]
	v_add_f64 v[14:15], v[14:15], v[24:25]
	s_clause 0x2
	buffer_load_dword v39, off, s[0:3], 0 offset:972
	buffer_load_dword v25, off, s[0:3], 0 offset:948
	;; [unrolled: 1-line block ×3, first 2 shown]
	s_waitcnt vmcnt(58) lgkmcnt(0)
	v_mul_f64 v[36:37], v[12:13], v[42:43]
	ds_read_b128 v[2:5], v1 offset:1728
	s_waitcnt vmcnt(56)
	v_fma_f64 v[40:41], v[6:7], v[46:47], -v[40:41]
	v_mul_f64 v[32:33], v[10:11], v[42:43]
	v_add_f64 v[18:19], v[18:19], v[34:35]
	v_fma_f64 v[34:35], v[8:9], v[46:47], v[127:128]
	v_add_f64 v[14:15], v[14:15], v[30:31]
	s_clause 0x4
	buffer_load_dword v31, off, s[0:3], 0 offset:988
	buffer_load_dword v42, off, s[0:3], 0 offset:1000
	;; [unrolled: 1-line block ×5, first 2 shown]
	s_waitcnt vmcnt(57) lgkmcnt(0)
	v_mul_f64 v[127:128], v[2:3], v[48:49]
	v_mul_f64 v[47:48], v[4:5], v[48:49]
	s_waitcnt vmcnt(56)
	v_fma_f64 v[36:37], v[10:11], v[44:45], -v[36:37]
	ds_read_b128 v[6:9], v1 offset:1744
	v_fma_f64 v[32:33], v[12:13], v[44:45], v[32:33]
	v_add_f64 v[18:19], v[18:19], v[40:41]
	v_add_f64 v[14:15], v[14:15], v[34:35]
	s_clause 0x2
	buffer_load_dword v43, off, s[0:3], 0 offset:1004
	buffer_load_dword v35, off, s[0:3], 0 offset:980
	;; [unrolled: 1-line block ×3, first 2 shown]
	ds_read_b128 v[10:13], v1 offset:1760
	s_waitcnt vmcnt(58) lgkmcnt(1)
	v_mul_f64 v[44:45], v[8:9], v[50:51]
	s_waitcnt vmcnt(56)
	v_fma_f64 v[48:49], v[2:3], v[54:55], -v[47:48]
	v_mul_f64 v[40:41], v[6:7], v[50:51]
	buffer_load_dword v47, off, s[0:3], 0 offset:996
	v_add_f64 v[18:19], v[18:19], v[36:37]
	v_fma_f64 v[36:37], v[4:5], v[54:55], v[127:128]
	v_add_f64 v[14:15], v[14:15], v[32:33]
	ds_read_b128 v[2:5], v1 offset:1776
	s_waitcnt vmcnt(53) lgkmcnt(1)
	v_mul_f64 v[50:51], v[12:13], v[56:57]
	s_waitcnt vmcnt(52)
	v_fma_f64 v[44:45], v[6:7], v[52:53], -v[44:45]
	v_mul_f64 v[32:33], v[10:11], v[56:57]
	v_fma_f64 v[40:41], v[8:9], v[52:53], v[40:41]
	ds_read_b128 v[6:9], v1 offset:1792
	v_add_f64 v[18:19], v[18:19], v[48:49]
	s_waitcnt vmcnt(51) lgkmcnt(1)
	v_mul_f64 v[48:49], v[4:5], v[58:59]
	v_add_f64 v[14:15], v[14:15], v[36:37]
	v_mul_f64 v[36:37], v[2:3], v[58:59]
	s_waitcnt vmcnt(49)
	v_fma_f64 v[50:51], v[10:11], v[62:63], -v[50:51]
	v_fma_f64 v[32:33], v[12:13], v[62:63], v[32:33]
	s_waitcnt vmcnt(45) lgkmcnt(0)
	v_mul_f64 v[54:55], v[8:9], v[64:65]
	v_mul_f64 v[52:53], v[6:7], v[64:65]
	v_add_f64 v[18:19], v[18:19], v[44:45]
	s_waitcnt vmcnt(44)
	v_fma_f64 v[48:49], v[2:3], v[60:61], -v[48:49]
	v_add_f64 v[14:15], v[14:15], v[40:41]
	s_clause 0x3
	buffer_load_dword v40, off, s[0:3], 0 offset:592
	buffer_load_dword v41, off, s[0:3], 0 offset:596
	;; [unrolled: 1-line block ×4, first 2 shown]
	ds_read_b128 v[10:13], v1 offset:1808
	v_fma_f64 v[36:37], v[4:5], v[60:61], v[36:37]
	ds_read_b128 v[2:5], v1 offset:1824
	s_waitcnt vmcnt(45)
	v_fma_f64 v[54:55], v[6:7], v[72:73], -v[54:55]
	v_add_f64 v[18:19], v[18:19], v[50:51]
	v_add_f64 v[14:15], v[14:15], v[32:33]
	s_waitcnt lgkmcnt(1)
	v_mul_f64 v[50:51], v[12:13], v[66:67]
	v_mul_f64 v[32:33], v[10:11], v[66:67]
	v_add_f64 v[18:19], v[18:19], v[48:49]
	v_fma_f64 v[48:49], v[8:9], v[72:73], v[52:53]
	v_add_f64 v[14:15], v[14:15], v[36:37]
	s_waitcnt vmcnt(41) lgkmcnt(0)
	v_mul_f64 v[52:53], v[4:5], v[78:79]
	s_waitcnt vmcnt(40)
	v_fma_f64 v[50:51], v[10:11], v[70:71], -v[50:51]
	ds_read_b128 v[6:9], v1 offset:1840
	v_mul_f64 v[36:37], v[2:3], v[78:79]
	v_fma_f64 v[32:33], v[12:13], v[70:71], v[32:33]
	ds_read_b128 v[10:13], v1 offset:1856
	v_add_f64 v[18:19], v[18:19], v[54:55]
	v_add_f64 v[14:15], v[14:15], v[48:49]
	s_waitcnt vmcnt(39) lgkmcnt(1)
	v_mul_f64 v[54:55], v[8:9], v[84:85]
	v_mul_f64 v[48:49], v[6:7], v[84:85]
	s_waitcnt vmcnt(37)
	v_fma_f64 v[52:53], v[2:3], v[76:77], -v[52:53]
	v_fma_f64 v[36:37], v[4:5], v[76:77], v[36:37]
	ds_read_b128 v[2:5], v1 offset:1872
	v_add_f64 v[18:19], v[18:19], v[50:51]
	v_add_f64 v[14:15], v[14:15], v[32:33]
	s_waitcnt vmcnt(33) lgkmcnt(1)
	v_mul_f64 v[32:33], v[10:11], v[20:21]
	v_mul_f64 v[20:21], v[12:13], v[20:21]
	s_waitcnt vmcnt(32)
	v_fma_f64 v[50:51], v[6:7], v[86:87], -v[54:55]
	v_fma_f64 v[48:49], v[8:9], v[86:87], v[48:49]
	ds_read_b128 v[6:9], v1 offset:1888
	v_add_f64 v[18:19], v[18:19], v[52:53]
	v_add_f64 v[14:15], v[14:15], v[36:37]
	s_waitcnt vmcnt(31) lgkmcnt(1)
	v_mul_f64 v[52:53], v[4:5], v[123:124]
	v_mul_f64 v[36:37], v[2:3], v[123:124]
	s_waitcnt vmcnt(29)
	v_fma_f64 v[20:21], v[10:11], v[16:17], -v[20:21]
	v_fma_f64 v[16:17], v[12:13], v[16:17], v[32:33]
	ds_read_b128 v[10:13], v1 offset:1904
	v_add_f64 v[18:19], v[18:19], v[50:51]
	v_add_f64 v[14:15], v[14:15], v[48:49]
	s_waitcnt vmcnt(25) lgkmcnt(1)
	v_mul_f64 v[32:33], v[6:7], v[28:29]
	v_mul_f64 v[28:29], v[8:9], v[28:29]
	s_waitcnt vmcnt(24)
	v_fma_f64 v[48:49], v[2:3], v[125:126], -v[52:53]
	v_add_f64 v[18:19], v[18:19], v[20:21]
	v_fma_f64 v[20:21], v[4:5], v[125:126], v[36:37]
	v_add_f64 v[14:15], v[14:15], v[16:17]
	ds_read_b128 v[2:5], v1 offset:1920
	s_waitcnt vmcnt(23) lgkmcnt(1)
	v_mul_f64 v[36:37], v[12:13], v[74:75]
	v_mul_f64 v[16:17], v[10:11], v[74:75]
	s_waitcnt vmcnt(21)
	v_fma_f64 v[28:29], v[6:7], v[26:27], -v[28:29]
	v_fma_f64 v[26:27], v[8:9], v[26:27], v[32:33]
	ds_read_b128 v[6:9], v1 offset:1936
	v_add_f64 v[18:19], v[18:19], v[48:49]
	v_add_f64 v[14:15], v[14:15], v[20:21]
	s_waitcnt vmcnt(17) lgkmcnt(1)
	v_mul_f64 v[20:21], v[2:3], v[22:23]
	v_mul_f64 v[22:23], v[4:5], v[22:23]
	s_waitcnt vmcnt(16)
	v_fma_f64 v[32:33], v[10:11], v[95:96], -v[36:37]
	v_fma_f64 v[16:17], v[12:13], v[95:96], v[16:17]
	ds_read_b128 v[10:13], v1 offset:1952
	v_add_f64 v[18:19], v[18:19], v[28:29]
	v_add_f64 v[14:15], v[14:15], v[26:27]
	;; [unrolled: 9-line block ×3, first 2 shown]
	s_waitcnt vmcnt(9) lgkmcnt(1)
	v_mul_f64 v[24:25], v[12:13], v[30:31]
	s_waitcnt vmcnt(8)
	v_fma_f64 v[6:7], v[6:7], v[93:94], -v[28:29]
	v_mul_f64 v[16:17], v[10:11], v[30:31]
	v_fma_f64 v[8:9], v[8:9], v[93:94], v[26:27]
	v_add_f64 v[18:19], v[18:19], v[22:23]
	v_add_f64 v[14:15], v[14:15], v[20:21]
	s_waitcnt vmcnt(7) lgkmcnt(0)
	v_mul_f64 v[22:23], v[4:5], v[42:43]
	v_mul_f64 v[20:21], v[2:3], v[42:43]
	s_waitcnt vmcnt(5)
	v_fma_f64 v[10:11], v[10:11], v[34:35], -v[24:25]
	v_fma_f64 v[12:13], v[12:13], v[34:35], v[16:17]
	v_add_f64 v[6:7], v[18:19], v[6:7]
	v_add_f64 v[8:9], v[14:15], v[8:9]
	s_waitcnt vmcnt(4)
	v_fma_f64 v[2:3], v[2:3], v[46:47], -v[22:23]
	v_fma_f64 v[4:5], v[4:5], v[46:47], v[20:21]
	v_add_f64 v[6:7], v[6:7], v[10:11]
	v_add_f64 v[8:9], v[8:9], v[12:13]
	;; [unrolled: 1-line block ×4, first 2 shown]
	s_waitcnt vmcnt(2)
	v_add_f64 v[2:3], v[40:41], -v[2:3]
	s_waitcnt vmcnt(0)
	v_add_f64 v[4:5], v[44:45], -v[4:5]
	buffer_store_dword v3, off, s[0:3], 0 offset:596
	buffer_store_dword v2, off, s[0:3], 0 offset:592
	;; [unrolled: 1-line block ×4, first 2 shown]
	v_cmpx_lt_u32_e32 35, v0
	s_cbranch_execz .LBB61_327
; %bb.326:
	v_mov_b32_e32 v5, s41
	s_clause 0x3
	buffer_load_dword v2, v5, s[0:3], 0 offen
	buffer_load_dword v3, v5, s[0:3], 0 offen offset:4
	buffer_load_dword v4, v5, s[0:3], 0 offen offset:8
	;; [unrolled: 1-line block ×3, first 2 shown]
	buffer_store_dword v1, off, s[0:3], 0 offset:576
	buffer_store_dword v1, off, s[0:3], 0 offset:580
	;; [unrolled: 1-line block ×4, first 2 shown]
	s_waitcnt vmcnt(0)
	ds_write_b128 v69, v[2:5]
.LBB61_327:
	s_or_b32 exec_lo, exec_lo, s4
	s_waitcnt lgkmcnt(0)
	s_waitcnt_vscnt null, 0x0
	s_barrier
	buffer_gl0_inv
	s_clause 0x37
	buffer_load_dword v10, off, s[0:3], 0 offset:600
	buffer_load_dword v11, off, s[0:3], 0 offset:604
	;; [unrolled: 1-line block ×56, first 2 shown]
	ds_read_b128 v[2:5], v1 offset:1568
	s_clause 0x2
	buffer_load_dword v67, off, s[0:3], 0 offset:828
	buffer_load_dword v73, off, s[0:3], 0 offset:804
	;; [unrolled: 1-line block ×3, first 2 shown]
	ds_read_b128 v[6:9], v1 offset:1584
	s_clause 0x4
	buffer_load_dword v79, off, s[0:3], 0 offset:844
	buffer_load_dword v84, off, s[0:3], 0 offset:856
	;; [unrolled: 1-line block ×5, first 2 shown]
	s_mov_b32 s4, exec_lo
	s_waitcnt vmcnt(62) lgkmcnt(1)
	v_mul_f64 v[74:75], v[4:5], v[10:11]
	v_mul_f64 v[76:77], v[2:3], v[10:11]
	s_waitcnt vmcnt(60) lgkmcnt(0)
	v_mul_f64 v[87:88], v[8:9], v[14:15]
	ds_read_b128 v[10:13], v1 offset:1600
	v_mul_f64 v[14:15], v[6:7], v[14:15]
	s_waitcnt vmcnt(58)
	v_fma_f64 v[74:75], v[2:3], v[16:17], -v[74:75]
	v_fma_f64 v[16:17], v[4:5], v[16:17], v[76:77]
	s_clause 0x2
	buffer_load_dword v85, off, s[0:3], 0 offset:860
	buffer_load_dword v77, off, s[0:3], 0 offset:836
	;; [unrolled: 1-line block ×3, first 2 shown]
	s_waitcnt vmcnt(59) lgkmcnt(0)
	v_mul_f64 v[93:94], v[10:11], v[18:19]
	v_mul_f64 v[18:19], v[12:13], v[18:19]
	s_waitcnt vmcnt(57)
	v_fma_f64 v[95:96], v[6:7], v[20:21], -v[87:88]
	ds_read_b128 v[2:5], v1 offset:1616
	v_fma_f64 v[14:15], v[8:9], v[20:21], v[14:15]
	s_clause 0x4
	buffer_load_dword v21, off, s[0:3], 0 offset:876
	buffer_load_dword v123, off, s[0:3], 0 offset:888
	;; [unrolled: 1-line block ×5, first 2 shown]
	ds_read_b128 v[6:9], v1 offset:1632
	v_add_f64 v[74:75], v[74:75], 0
	v_add_f64 v[16:17], v[16:17], 0
	s_waitcnt vmcnt(58) lgkmcnt(1)
	v_mul_f64 v[126:127], v[2:3], v[22:23]
	v_mul_f64 v[22:23], v[4:5], v[22:23]
	s_waitcnt vmcnt(56)
	v_fma_f64 v[18:19], v[10:11], v[28:29], -v[18:19]
	v_fma_f64 v[28:29], v[12:13], v[28:29], v[93:94]
	s_waitcnt vmcnt(55) lgkmcnt(0)
	v_mul_f64 v[93:94], v[6:7], v[24:25]
	v_mul_f64 v[24:25], v[8:9], v[24:25]
	v_add_f64 v[74:75], v[74:75], v[95:96]
	v_add_f64 v[14:15], v[16:17], v[14:15]
	s_clause 0x2
	buffer_load_dword v124, off, s[0:3], 0 offset:892
	buffer_load_dword v17, off, s[0:3], 0 offset:868
	;; [unrolled: 1-line block ×3, first 2 shown]
	ds_read_b128 v[10:13], v1 offset:1648
	s_waitcnt vmcnt(56)
	v_fma_f64 v[22:23], v[2:3], v[30:31], -v[22:23]
	v_fma_f64 v[30:31], v[4:5], v[30:31], v[126:127]
	s_waitcnt vmcnt(51)
	v_fma_f64 v[24:25], v[6:7], v[26:27], -v[24:25]
	v_add_f64 v[18:19], v[74:75], v[18:19]
	v_add_f64 v[14:15], v[14:15], v[28:29]
	s_clause 0x4
	buffer_load_dword v29, off, s[0:3], 0 offset:908
	buffer_load_dword v74, off, s[0:3], 0 offset:920
	;; [unrolled: 1-line block ×5, first 2 shown]
	s_waitcnt lgkmcnt(0)
	v_mul_f64 v[127:128], v[10:11], v[32:33]
	v_mul_f64 v[32:33], v[12:13], v[32:33]
	ds_read_b128 v[2:5], v1 offset:1664
	v_add_f64 v[18:19], v[18:19], v[22:23]
	v_fma_f64 v[22:23], v[8:9], v[26:27], v[93:94]
	v_add_f64 v[14:15], v[14:15], v[30:31]
	s_clause 0x2
	buffer_load_dword v75, off, s[0:3], 0 offset:924
	buffer_load_dword v27, off, s[0:3], 0 offset:900
	;; [unrolled: 1-line block ×3, first 2 shown]
	s_waitcnt vmcnt(58) lgkmcnt(0)
	v_mul_f64 v[30:31], v[2:3], v[34:35]
	v_mul_f64 v[34:35], v[4:5], v[34:35]
	s_waitcnt vmcnt(56)
	v_fma_f64 v[32:33], v[10:11], v[38:39], -v[32:33]
	ds_read_b128 v[6:9], v1 offset:1680
	v_add_f64 v[18:19], v[18:19], v[24:25]
	v_fma_f64 v[24:25], v[12:13], v[38:39], v[127:128]
	v_add_f64 v[14:15], v[14:15], v[22:23]
	s_clause 0x4
	buffer_load_dword v23, off, s[0:3], 0 offset:940
	buffer_load_dword v38, off, s[0:3], 0 offset:952
	buffer_load_dword v93, off, s[0:3], 0 offset:944
	buffer_load_dword v22, off, s[0:3], 0 offset:936
	buffer_load_dword v96, off, s[0:3], 0 offset:916
	ds_read_b128 v[10:13], v1 offset:1696
	s_waitcnt vmcnt(57) lgkmcnt(1)
	v_mul_f64 v[127:128], v[6:7], v[40:41]
	v_mul_f64 v[40:41], v[8:9], v[40:41]
	s_waitcnt vmcnt(56)
	v_fma_f64 v[34:35], v[2:3], v[36:37], -v[34:35]
	v_fma_f64 v[30:31], v[4:5], v[36:37], v[30:31]
	v_add_f64 v[18:19], v[18:19], v[32:33]
	v_add_f64 v[14:15], v[14:15], v[24:25]
	s_clause 0x2
	buffer_load_dword v39, off, s[0:3], 0 offset:956
	buffer_load_dword v25, off, s[0:3], 0 offset:932
	;; [unrolled: 1-line block ×3, first 2 shown]
	s_waitcnt vmcnt(58) lgkmcnt(0)
	v_mul_f64 v[36:37], v[12:13], v[42:43]
	ds_read_b128 v[2:5], v1 offset:1712
	s_waitcnt vmcnt(56)
	v_fma_f64 v[40:41], v[6:7], v[46:47], -v[40:41]
	v_mul_f64 v[32:33], v[10:11], v[42:43]
	v_add_f64 v[18:19], v[18:19], v[34:35]
	v_fma_f64 v[34:35], v[8:9], v[46:47], v[127:128]
	v_add_f64 v[14:15], v[14:15], v[30:31]
	s_clause 0x4
	buffer_load_dword v31, off, s[0:3], 0 offset:972
	buffer_load_dword v42, off, s[0:3], 0 offset:984
	;; [unrolled: 1-line block ×5, first 2 shown]
	s_waitcnt vmcnt(57) lgkmcnt(0)
	v_mul_f64 v[127:128], v[2:3], v[48:49]
	v_mul_f64 v[47:48], v[4:5], v[48:49]
	s_waitcnt vmcnt(56)
	v_fma_f64 v[36:37], v[10:11], v[44:45], -v[36:37]
	ds_read_b128 v[6:9], v1 offset:1728
	v_fma_f64 v[32:33], v[12:13], v[44:45], v[32:33]
	v_add_f64 v[18:19], v[18:19], v[40:41]
	v_add_f64 v[14:15], v[14:15], v[34:35]
	s_clause 0x2
	buffer_load_dword v43, off, s[0:3], 0 offset:988
	buffer_load_dword v35, off, s[0:3], 0 offset:964
	;; [unrolled: 1-line block ×3, first 2 shown]
	ds_read_b128 v[10:13], v1 offset:1744
	s_waitcnt vmcnt(58) lgkmcnt(1)
	v_mul_f64 v[44:45], v[8:9], v[50:51]
	s_waitcnt vmcnt(56)
	v_fma_f64 v[48:49], v[2:3], v[54:55], -v[47:48]
	v_mul_f64 v[40:41], v[6:7], v[50:51]
	v_add_f64 v[18:19], v[18:19], v[36:37]
	v_fma_f64 v[36:37], v[4:5], v[54:55], v[127:128]
	v_add_f64 v[14:15], v[14:15], v[32:33]
	s_clause 0x2
	buffer_load_dword v33, off, s[0:3], 0 offset:1004
	buffer_load_dword v32, off, s[0:3], 0 offset:1000
	;; [unrolled: 1-line block ×3, first 2 shown]
	s_waitcnt vmcnt(55) lgkmcnt(0)
	v_mul_f64 v[54:55], v[12:13], v[56:57]
	s_waitcnt vmcnt(54)
	v_fma_f64 v[44:45], v[6:7], v[52:53], -v[44:45]
	ds_read_b128 v[2:5], v1 offset:1760
	v_mul_f64 v[50:51], v[10:11], v[56:57]
	v_fma_f64 v[40:41], v[8:9], v[52:53], v[40:41]
	v_add_f64 v[18:19], v[18:19], v[48:49]
	v_add_f64 v[14:15], v[14:15], v[36:37]
	s_clause 0x1
	buffer_load_dword v37, off, s[0:3], 0 offset:996
	buffer_load_dword v36, off, s[0:3], 0 offset:992
	s_waitcnt vmcnt(55) lgkmcnt(0)
	v_mul_f64 v[52:53], v[4:5], v[58:59]
	s_waitcnt vmcnt(53)
	v_fma_f64 v[54:55], v[10:11], v[62:63], -v[54:55]
	ds_read_b128 v[6:9], v1 offset:1776
	v_mul_f64 v[48:49], v[2:3], v[58:59]
	v_add_f64 v[18:19], v[18:19], v[44:45]
	v_fma_f64 v[44:45], v[12:13], v[62:63], v[50:51]
	v_add_f64 v[14:15], v[14:15], v[40:41]
	ds_read_b128 v[10:13], v1 offset:1792
	s_waitcnt vmcnt(49) lgkmcnt(1)
	v_mul_f64 v[50:51], v[8:9], v[64:65]
	s_waitcnt vmcnt(48)
	v_fma_f64 v[52:53], v[2:3], v[60:61], -v[52:53]
	v_mul_f64 v[40:41], v[6:7], v[64:65]
	v_fma_f64 v[48:49], v[4:5], v[60:61], v[48:49]
	v_add_f64 v[18:19], v[18:19], v[54:55]
	s_waitcnt vmcnt(47) lgkmcnt(0)
	v_mul_f64 v[58:59], v[12:13], v[66:67]
	v_add_f64 v[14:15], v[14:15], v[44:45]
	s_clause 0x3
	buffer_load_dword v44, off, s[0:3], 0 offset:576
	buffer_load_dword v45, off, s[0:3], 0 offset:580
	;; [unrolled: 1-line block ×4, first 2 shown]
	s_waitcnt vmcnt(49)
	v_fma_f64 v[50:51], v[6:7], v[72:73], -v[50:51]
	ds_read_b128 v[2:5], v1 offset:1808
	v_mul_f64 v[56:57], v[10:11], v[66:67]
	v_fma_f64 v[40:41], v[8:9], v[72:73], v[40:41]
	ds_read_b128 v[6:9], v1 offset:1824
	v_add_f64 v[18:19], v[18:19], v[52:53]
	s_waitcnt vmcnt(44)
	v_fma_f64 v[58:59], v[10:11], v[70:71], -v[58:59]
	v_add_f64 v[14:15], v[14:15], v[48:49]
	s_waitcnt lgkmcnt(1)
	v_mul_f64 v[52:53], v[4:5], v[78:79]
	v_mul_f64 v[48:49], v[2:3], v[78:79]
	v_add_f64 v[18:19], v[18:19], v[50:51]
	v_fma_f64 v[50:51], v[12:13], v[70:71], v[56:57]
	v_add_f64 v[14:15], v[14:15], v[40:41]
	ds_read_b128 v[10:13], v1 offset:1840
	s_waitcnt vmcnt(43) lgkmcnt(1)
	v_mul_f64 v[56:57], v[8:9], v[84:85]
	v_mul_f64 v[40:41], v[6:7], v[84:85]
	s_waitcnt vmcnt(41)
	v_fma_f64 v[52:53], v[2:3], v[76:77], -v[52:53]
	v_fma_f64 v[48:49], v[4:5], v[76:77], v[48:49]
	ds_read_b128 v[2:5], v1 offset:1856
	v_add_f64 v[18:19], v[18:19], v[58:59]
	v_add_f64 v[14:15], v[14:15], v[50:51]
	s_waitcnt vmcnt(37) lgkmcnt(1)
	v_mul_f64 v[50:51], v[10:11], v[20:21]
	v_mul_f64 v[20:21], v[12:13], v[20:21]
	s_waitcnt vmcnt(36)
	v_fma_f64 v[56:57], v[6:7], v[86:87], -v[56:57]
	v_fma_f64 v[40:41], v[8:9], v[86:87], v[40:41]
	ds_read_b128 v[6:9], v1 offset:1872
	v_add_f64 v[18:19], v[18:19], v[52:53]
	v_add_f64 v[14:15], v[14:15], v[48:49]
	;; [unrolled: 9-line block ×3, first 2 shown]
	s_waitcnt vmcnt(29) lgkmcnt(1)
	v_mul_f64 v[40:41], v[6:7], v[28:29]
	v_mul_f64 v[28:29], v[8:9], v[28:29]
	s_waitcnt vmcnt(28)
	v_fma_f64 v[50:51], v[2:3], v[125:126], -v[52:53]
	v_add_f64 v[18:19], v[18:19], v[20:21]
	v_fma_f64 v[20:21], v[4:5], v[125:126], v[48:49]
	v_add_f64 v[14:15], v[14:15], v[16:17]
	ds_read_b128 v[2:5], v1 offset:1904
	s_waitcnt vmcnt(27) lgkmcnt(1)
	v_mul_f64 v[48:49], v[12:13], v[74:75]
	v_mul_f64 v[16:17], v[10:11], v[74:75]
	s_waitcnt vmcnt(25)
	v_fma_f64 v[28:29], v[6:7], v[26:27], -v[28:29]
	v_fma_f64 v[26:27], v[8:9], v[26:27], v[40:41]
	ds_read_b128 v[6:9], v1 offset:1920
	v_add_f64 v[18:19], v[18:19], v[50:51]
	v_add_f64 v[14:15], v[14:15], v[20:21]
	s_waitcnt vmcnt(21) lgkmcnt(1)
	v_mul_f64 v[20:21], v[2:3], v[22:23]
	v_mul_f64 v[22:23], v[4:5], v[22:23]
	s_waitcnt vmcnt(20)
	v_fma_f64 v[40:41], v[10:11], v[95:96], -v[48:49]
	v_fma_f64 v[16:17], v[12:13], v[95:96], v[16:17]
	ds_read_b128 v[10:13], v1 offset:1936
	v_add_f64 v[18:19], v[18:19], v[28:29]
	v_add_f64 v[14:15], v[14:15], v[26:27]
	;; [unrolled: 9-line block ×3, first 2 shown]
	s_waitcnt vmcnt(13) lgkmcnt(1)
	v_mul_f64 v[24:25], v[12:13], v[30:31]
	s_waitcnt vmcnt(12)
	v_fma_f64 v[28:29], v[6:7], v[93:94], -v[28:29]
	v_mul_f64 v[16:17], v[10:11], v[30:31]
	v_add_f64 v[18:19], v[18:19], v[22:23]
	v_fma_f64 v[22:23], v[8:9], v[93:94], v[26:27]
	v_add_f64 v[14:15], v[14:15], v[20:21]
	ds_read_b128 v[6:9], v1 offset:1968
	s_waitcnt vmcnt(11) lgkmcnt(1)
	v_mul_f64 v[26:27], v[4:5], v[42:43]
	v_mul_f64 v[20:21], v[2:3], v[42:43]
	s_waitcnt vmcnt(9)
	v_fma_f64 v[10:11], v[10:11], v[34:35], -v[24:25]
	v_fma_f64 v[12:13], v[12:13], v[34:35], v[16:17]
	v_add_f64 v[18:19], v[18:19], v[28:29]
	v_add_f64 v[14:15], v[14:15], v[22:23]
	s_waitcnt vmcnt(7) lgkmcnt(0)
	v_mul_f64 v[22:23], v[8:9], v[32:33]
	s_waitcnt vmcnt(6)
	v_fma_f64 v[1:2], v[2:3], v[46:47], -v[26:27]
	v_mul_f64 v[16:17], v[6:7], v[32:33]
	v_fma_f64 v[3:4], v[4:5], v[46:47], v[20:21]
	v_add_f64 v[10:11], v[18:19], v[10:11]
	v_add_f64 v[12:13], v[14:15], v[12:13]
	s_waitcnt vmcnt(4)
	v_fma_f64 v[5:6], v[6:7], v[36:37], -v[22:23]
	v_fma_f64 v[7:8], v[8:9], v[36:37], v[16:17]
	v_add_f64 v[1:2], v[10:11], v[1:2]
	v_add_f64 v[3:4], v[12:13], v[3:4]
	;; [unrolled: 1-line block ×4, first 2 shown]
	s_waitcnt vmcnt(2)
	v_add_f64 v[1:2], v[44:45], -v[1:2]
	s_waitcnt vmcnt(0)
	v_add_f64 v[3:4], v[54:55], -v[3:4]
	buffer_store_dword v2, off, s[0:3], 0 offset:580
	buffer_store_dword v1, off, s[0:3], 0 offset:576
	;; [unrolled: 1-line block ×4, first 2 shown]
	v_cmpx_lt_u32_e32 34, v0
	s_cbranch_execz .LBB61_329
; %bb.328:
	v_mov_b32_e32 v4, s42
	v_mov_b32_e32 v5, 0
	s_clause 0x3
	buffer_load_dword v1, v4, s[0:3], 0 offen
	buffer_load_dword v2, v4, s[0:3], 0 offen offset:4
	buffer_load_dword v3, v4, s[0:3], 0 offen offset:8
	;; [unrolled: 1-line block ×3, first 2 shown]
	buffer_store_dword v5, off, s[0:3], 0 offset:560
	buffer_store_dword v5, off, s[0:3], 0 offset:564
	buffer_store_dword v5, off, s[0:3], 0 offset:568
	buffer_store_dword v5, off, s[0:3], 0 offset:572
	s_waitcnt vmcnt(0)
	ds_write_b128 v69, v[1:4]
.LBB61_329:
	s_or_b32 exec_lo, exec_lo, s4
	s_waitcnt lgkmcnt(0)
	s_waitcnt_vscnt null, 0x0
	s_barrier
	buffer_gl0_inv
	s_clause 0x37
	buffer_load_dword v10, off, s[0:3], 0 offset:584
	buffer_load_dword v11, off, s[0:3], 0 offset:588
	;; [unrolled: 1-line block ×56, first 2 shown]
	v_mov_b32_e32 v1, 0
	s_mov_b32 s4, exec_lo
	ds_read_b128 v[2:5], v1 offset:1552
	s_clause 0x2
	buffer_load_dword v67, off, s[0:3], 0 offset:812
	buffer_load_dword v73, off, s[0:3], 0 offset:788
	;; [unrolled: 1-line block ×3, first 2 shown]
	ds_read_b128 v[6:9], v1 offset:1568
	s_clause 0x4
	buffer_load_dword v79, off, s[0:3], 0 offset:828
	buffer_load_dword v84, off, s[0:3], 0 offset:840
	;; [unrolled: 1-line block ×5, first 2 shown]
	s_waitcnt vmcnt(62) lgkmcnt(1)
	v_mul_f64 v[74:75], v[4:5], v[10:11]
	v_mul_f64 v[76:77], v[2:3], v[10:11]
	s_waitcnt vmcnt(60) lgkmcnt(0)
	v_mul_f64 v[87:88], v[8:9], v[14:15]
	ds_read_b128 v[10:13], v1 offset:1584
	v_mul_f64 v[14:15], v[6:7], v[14:15]
	s_waitcnt vmcnt(58)
	v_fma_f64 v[74:75], v[2:3], v[16:17], -v[74:75]
	v_fma_f64 v[16:17], v[4:5], v[16:17], v[76:77]
	s_clause 0x2
	buffer_load_dword v85, off, s[0:3], 0 offset:844
	buffer_load_dword v77, off, s[0:3], 0 offset:820
	;; [unrolled: 1-line block ×3, first 2 shown]
	s_waitcnt vmcnt(59) lgkmcnt(0)
	v_mul_f64 v[93:94], v[10:11], v[18:19]
	v_mul_f64 v[18:19], v[12:13], v[18:19]
	s_waitcnt vmcnt(57)
	v_fma_f64 v[95:96], v[6:7], v[20:21], -v[87:88]
	ds_read_b128 v[2:5], v1 offset:1600
	v_fma_f64 v[14:15], v[8:9], v[20:21], v[14:15]
	s_clause 0x4
	buffer_load_dword v21, off, s[0:3], 0 offset:860
	buffer_load_dword v123, off, s[0:3], 0 offset:872
	;; [unrolled: 1-line block ×5, first 2 shown]
	ds_read_b128 v[6:9], v1 offset:1616
	v_add_f64 v[74:75], v[74:75], 0
	v_add_f64 v[16:17], v[16:17], 0
	s_waitcnt vmcnt(58) lgkmcnt(1)
	v_mul_f64 v[126:127], v[2:3], v[22:23]
	v_mul_f64 v[22:23], v[4:5], v[22:23]
	s_waitcnt vmcnt(56)
	v_fma_f64 v[18:19], v[10:11], v[28:29], -v[18:19]
	v_fma_f64 v[28:29], v[12:13], v[28:29], v[93:94]
	s_waitcnt vmcnt(55) lgkmcnt(0)
	v_mul_f64 v[93:94], v[6:7], v[24:25]
	v_mul_f64 v[24:25], v[8:9], v[24:25]
	v_add_f64 v[74:75], v[74:75], v[95:96]
	v_add_f64 v[14:15], v[16:17], v[14:15]
	s_clause 0x2
	buffer_load_dword v124, off, s[0:3], 0 offset:876
	buffer_load_dword v17, off, s[0:3], 0 offset:852
	;; [unrolled: 1-line block ×3, first 2 shown]
	ds_read_b128 v[10:13], v1 offset:1632
	s_waitcnt vmcnt(56)
	v_fma_f64 v[22:23], v[2:3], v[30:31], -v[22:23]
	v_fma_f64 v[30:31], v[4:5], v[30:31], v[126:127]
	s_waitcnt vmcnt(51)
	v_fma_f64 v[24:25], v[6:7], v[26:27], -v[24:25]
	v_add_f64 v[18:19], v[74:75], v[18:19]
	v_add_f64 v[14:15], v[14:15], v[28:29]
	s_clause 0x4
	buffer_load_dword v29, off, s[0:3], 0 offset:892
	buffer_load_dword v74, off, s[0:3], 0 offset:904
	;; [unrolled: 1-line block ×5, first 2 shown]
	s_waitcnt lgkmcnt(0)
	v_mul_f64 v[127:128], v[10:11], v[32:33]
	v_mul_f64 v[32:33], v[12:13], v[32:33]
	ds_read_b128 v[2:5], v1 offset:1648
	v_add_f64 v[18:19], v[18:19], v[22:23]
	v_fma_f64 v[22:23], v[8:9], v[26:27], v[93:94]
	v_add_f64 v[14:15], v[14:15], v[30:31]
	s_clause 0x2
	buffer_load_dword v75, off, s[0:3], 0 offset:908
	buffer_load_dword v27, off, s[0:3], 0 offset:884
	;; [unrolled: 1-line block ×3, first 2 shown]
	s_waitcnt vmcnt(58) lgkmcnt(0)
	v_mul_f64 v[30:31], v[2:3], v[34:35]
	v_mul_f64 v[34:35], v[4:5], v[34:35]
	s_waitcnt vmcnt(56)
	v_fma_f64 v[32:33], v[10:11], v[38:39], -v[32:33]
	ds_read_b128 v[6:9], v1 offset:1664
	v_add_f64 v[18:19], v[18:19], v[24:25]
	v_fma_f64 v[24:25], v[12:13], v[38:39], v[127:128]
	v_add_f64 v[14:15], v[14:15], v[22:23]
	s_clause 0x4
	buffer_load_dword v23, off, s[0:3], 0 offset:924
	buffer_load_dword v38, off, s[0:3], 0 offset:936
	;; [unrolled: 1-line block ×5, first 2 shown]
	ds_read_b128 v[10:13], v1 offset:1680
	s_waitcnt vmcnt(57) lgkmcnt(1)
	v_mul_f64 v[127:128], v[6:7], v[40:41]
	v_mul_f64 v[40:41], v[8:9], v[40:41]
	s_waitcnt vmcnt(56)
	v_fma_f64 v[34:35], v[2:3], v[36:37], -v[34:35]
	v_fma_f64 v[30:31], v[4:5], v[36:37], v[30:31]
	v_add_f64 v[18:19], v[18:19], v[32:33]
	v_add_f64 v[14:15], v[14:15], v[24:25]
	s_clause 0x2
	buffer_load_dword v39, off, s[0:3], 0 offset:940
	buffer_load_dword v25, off, s[0:3], 0 offset:916
	;; [unrolled: 1-line block ×3, first 2 shown]
	s_waitcnt vmcnt(58) lgkmcnt(0)
	v_mul_f64 v[36:37], v[12:13], v[42:43]
	ds_read_b128 v[2:5], v1 offset:1696
	s_waitcnt vmcnt(56)
	v_fma_f64 v[40:41], v[6:7], v[46:47], -v[40:41]
	v_mul_f64 v[32:33], v[10:11], v[42:43]
	v_add_f64 v[18:19], v[18:19], v[34:35]
	v_fma_f64 v[34:35], v[8:9], v[46:47], v[127:128]
	v_add_f64 v[14:15], v[14:15], v[30:31]
	s_clause 0x4
	buffer_load_dword v31, off, s[0:3], 0 offset:956
	buffer_load_dword v42, off, s[0:3], 0 offset:968
	;; [unrolled: 1-line block ×5, first 2 shown]
	s_waitcnt vmcnt(57) lgkmcnt(0)
	v_mul_f64 v[127:128], v[2:3], v[48:49]
	v_mul_f64 v[47:48], v[4:5], v[48:49]
	s_waitcnt vmcnt(56)
	v_fma_f64 v[36:37], v[10:11], v[44:45], -v[36:37]
	ds_read_b128 v[6:9], v1 offset:1712
	v_fma_f64 v[32:33], v[12:13], v[44:45], v[32:33]
	v_add_f64 v[18:19], v[18:19], v[40:41]
	v_add_f64 v[14:15], v[14:15], v[34:35]
	s_clause 0x2
	buffer_load_dword v43, off, s[0:3], 0 offset:972
	buffer_load_dword v35, off, s[0:3], 0 offset:948
	;; [unrolled: 1-line block ×3, first 2 shown]
	ds_read_b128 v[10:13], v1 offset:1728
	s_waitcnt vmcnt(58) lgkmcnt(1)
	v_mul_f64 v[44:45], v[8:9], v[50:51]
	s_waitcnt vmcnt(56)
	v_fma_f64 v[48:49], v[2:3], v[54:55], -v[47:48]
	v_mul_f64 v[40:41], v[6:7], v[50:51]
	v_add_f64 v[18:19], v[18:19], v[36:37]
	v_fma_f64 v[36:37], v[4:5], v[54:55], v[127:128]
	v_add_f64 v[14:15], v[14:15], v[32:33]
	s_clause 0x4
	buffer_load_dword v33, off, s[0:3], 0 offset:988
	buffer_load_dword v50, off, s[0:3], 0 offset:1000
	;; [unrolled: 1-line block ×5, first 2 shown]
	s_waitcnt vmcnt(57) lgkmcnt(0)
	v_mul_f64 v[127:128], v[10:11], v[56:57]
	v_mul_f64 v[55:56], v[12:13], v[56:57]
	s_waitcnt vmcnt(56)
	v_fma_f64 v[44:45], v[6:7], v[52:53], -v[44:45]
	ds_read_b128 v[2:5], v1 offset:1744
	v_fma_f64 v[40:41], v[8:9], v[52:53], v[40:41]
	v_add_f64 v[18:19], v[18:19], v[48:49]
	v_add_f64 v[14:15], v[14:15], v[36:37]
	s_clause 0x2
	buffer_load_dword v51, off, s[0:3], 0 offset:1004
	buffer_load_dword v37, off, s[0:3], 0 offset:980
	;; [unrolled: 1-line block ×3, first 2 shown]
	ds_read_b128 v[6:9], v1 offset:1760
	s_waitcnt vmcnt(58) lgkmcnt(1)
	v_mul_f64 v[52:53], v[4:5], v[58:59]
	s_waitcnt vmcnt(56)
	v_fma_f64 v[56:57], v[10:11], v[62:63], -v[55:56]
	v_mul_f64 v[48:49], v[2:3], v[58:59]
	buffer_load_dword v55, off, s[0:3], 0 offset:996
	v_add_f64 v[18:19], v[18:19], v[44:45]
	v_fma_f64 v[44:45], v[12:13], v[62:63], v[127:128]
	v_add_f64 v[14:15], v[14:15], v[40:41]
	ds_read_b128 v[10:13], v1 offset:1776
	s_waitcnt vmcnt(53) lgkmcnt(1)
	v_mul_f64 v[58:59], v[8:9], v[64:65]
	s_waitcnt vmcnt(52)
	v_fma_f64 v[52:53], v[2:3], v[60:61], -v[52:53]
	v_mul_f64 v[40:41], v[6:7], v[64:65]
	v_fma_f64 v[48:49], v[4:5], v[60:61], v[48:49]
	ds_read_b128 v[2:5], v1 offset:1792
	v_add_f64 v[18:19], v[18:19], v[56:57]
	s_waitcnt vmcnt(51) lgkmcnt(1)
	v_mul_f64 v[56:57], v[12:13], v[66:67]
	v_add_f64 v[14:15], v[14:15], v[44:45]
	v_mul_f64 v[44:45], v[10:11], v[66:67]
	s_waitcnt vmcnt(49)
	v_fma_f64 v[58:59], v[6:7], v[72:73], -v[58:59]
	v_fma_f64 v[40:41], v[8:9], v[72:73], v[40:41]
	s_waitcnt vmcnt(45) lgkmcnt(0)
	v_mul_f64 v[62:63], v[4:5], v[78:79]
	v_mul_f64 v[60:61], v[2:3], v[78:79]
	v_add_f64 v[18:19], v[18:19], v[52:53]
	s_waitcnt vmcnt(44)
	v_fma_f64 v[56:57], v[10:11], v[70:71], -v[56:57]
	v_add_f64 v[14:15], v[14:15], v[48:49]
	s_clause 0x3
	buffer_load_dword v48, off, s[0:3], 0 offset:560
	buffer_load_dword v49, off, s[0:3], 0 offset:564
	;; [unrolled: 1-line block ×4, first 2 shown]
	ds_read_b128 v[6:9], v1 offset:1808
	v_fma_f64 v[44:45], v[12:13], v[70:71], v[44:45]
	ds_read_b128 v[10:13], v1 offset:1824
	v_add_f64 v[18:19], v[18:19], v[58:59]
	v_add_f64 v[14:15], v[14:15], v[40:41]
	s_waitcnt vmcnt(47) lgkmcnt(1)
	v_mul_f64 v[58:59], v[8:9], v[84:85]
	v_mul_f64 v[40:41], v[6:7], v[84:85]
	s_waitcnt vmcnt(45)
	v_fma_f64 v[62:63], v[2:3], v[76:77], -v[62:63]
	v_add_f64 v[18:19], v[18:19], v[56:57]
	v_fma_f64 v[56:57], v[4:5], v[76:77], v[60:61]
	v_add_f64 v[14:15], v[14:15], v[44:45]
	s_waitcnt vmcnt(41) lgkmcnt(0)
	v_mul_f64 v[44:45], v[10:11], v[20:21]
	v_mul_f64 v[20:21], v[12:13], v[20:21]
	ds_read_b128 v[2:5], v1 offset:1840
	s_waitcnt vmcnt(40)
	v_fma_f64 v[58:59], v[6:7], v[86:87], -v[58:59]
	v_fma_f64 v[40:41], v[8:9], v[86:87], v[40:41]
	ds_read_b128 v[6:9], v1 offset:1856
	v_add_f64 v[18:19], v[18:19], v[62:63]
	v_add_f64 v[14:15], v[14:15], v[56:57]
	s_waitcnt vmcnt(39) lgkmcnt(1)
	v_mul_f64 v[60:61], v[4:5], v[123:124]
	v_mul_f64 v[56:57], v[2:3], v[123:124]
	s_waitcnt vmcnt(37)
	v_fma_f64 v[20:21], v[10:11], v[16:17], -v[20:21]
	v_fma_f64 v[16:17], v[12:13], v[16:17], v[44:45]
	ds_read_b128 v[10:13], v1 offset:1872
	v_add_f64 v[18:19], v[18:19], v[58:59]
	v_add_f64 v[14:15], v[14:15], v[40:41]
	s_waitcnt vmcnt(33) lgkmcnt(1)
	v_mul_f64 v[40:41], v[6:7], v[28:29]
	v_mul_f64 v[28:29], v[8:9], v[28:29]
	s_waitcnt vmcnt(32)
	v_fma_f64 v[44:45], v[2:3], v[125:126], -v[60:61]
	v_add_f64 v[18:19], v[18:19], v[20:21]
	v_fma_f64 v[20:21], v[4:5], v[125:126], v[56:57]
	v_add_f64 v[14:15], v[14:15], v[16:17]
	ds_read_b128 v[2:5], v1 offset:1888
	s_waitcnt vmcnt(31) lgkmcnt(1)
	v_mul_f64 v[56:57], v[12:13], v[74:75]
	v_mul_f64 v[16:17], v[10:11], v[74:75]
	s_waitcnt vmcnt(29)
	v_fma_f64 v[28:29], v[6:7], v[26:27], -v[28:29]
	v_fma_f64 v[26:27], v[8:9], v[26:27], v[40:41]
	ds_read_b128 v[6:9], v1 offset:1904
	v_add_f64 v[18:19], v[18:19], v[44:45]
	v_add_f64 v[14:15], v[14:15], v[20:21]
	s_waitcnt vmcnt(25) lgkmcnt(1)
	v_mul_f64 v[20:21], v[2:3], v[22:23]
	v_mul_f64 v[22:23], v[4:5], v[22:23]
	s_waitcnt vmcnt(24)
	v_fma_f64 v[40:41], v[10:11], v[95:96], -v[56:57]
	v_fma_f64 v[16:17], v[12:13], v[95:96], v[16:17]
	ds_read_b128 v[10:13], v1 offset:1920
	v_add_f64 v[18:19], v[18:19], v[28:29]
	v_add_f64 v[14:15], v[14:15], v[26:27]
	;; [unrolled: 9-line block ×3, first 2 shown]
	s_waitcnt vmcnt(17) lgkmcnt(1)
	v_mul_f64 v[24:25], v[12:13], v[30:31]
	s_waitcnt vmcnt(16)
	v_fma_f64 v[28:29], v[6:7], v[93:94], -v[28:29]
	v_mul_f64 v[16:17], v[10:11], v[30:31]
	v_add_f64 v[18:19], v[18:19], v[22:23]
	v_fma_f64 v[22:23], v[8:9], v[93:94], v[26:27]
	v_add_f64 v[14:15], v[14:15], v[20:21]
	ds_read_b128 v[6:9], v1 offset:1952
	s_waitcnt vmcnt(15) lgkmcnt(1)
	v_mul_f64 v[26:27], v[4:5], v[42:43]
	v_mul_f64 v[20:21], v[2:3], v[42:43]
	s_waitcnt vmcnt(13)
	v_fma_f64 v[24:25], v[10:11], v[34:35], -v[24:25]
	v_fma_f64 v[16:17], v[12:13], v[34:35], v[16:17]
	ds_read_b128 v[10:13], v1 offset:1968
	v_add_f64 v[18:19], v[18:19], v[28:29]
	v_add_f64 v[14:15], v[14:15], v[22:23]
	s_waitcnt vmcnt(9) lgkmcnt(1)
	v_mul_f64 v[28:29], v[8:9], v[32:33]
	s_waitcnt vmcnt(8)
	v_fma_f64 v[2:3], v[2:3], v[46:47], -v[26:27]
	v_mul_f64 v[22:23], v[6:7], v[32:33]
	v_fma_f64 v[4:5], v[4:5], v[46:47], v[20:21]
	v_add_f64 v[18:19], v[18:19], v[24:25]
	v_add_f64 v[14:15], v[14:15], v[16:17]
	s_waitcnt vmcnt(7) lgkmcnt(0)
	v_mul_f64 v[20:21], v[12:13], v[50:51]
	v_mul_f64 v[16:17], v[10:11], v[50:51]
	s_waitcnt vmcnt(5)
	v_fma_f64 v[6:7], v[6:7], v[36:37], -v[28:29]
	v_fma_f64 v[8:9], v[8:9], v[36:37], v[22:23]
	v_add_f64 v[2:3], v[18:19], v[2:3]
	v_add_f64 v[4:5], v[14:15], v[4:5]
	s_waitcnt vmcnt(4)
	v_fma_f64 v[10:11], v[10:11], v[54:55], -v[20:21]
	v_add_f64 v[2:3], v[2:3], v[6:7]
	v_fma_f64 v[6:7], v[12:13], v[54:55], v[16:17]
	v_add_f64 v[4:5], v[4:5], v[8:9]
	v_add_f64 v[2:3], v[2:3], v[10:11]
	;; [unrolled: 1-line block ×3, first 2 shown]
	s_waitcnt vmcnt(2)
	v_add_f64 v[2:3], v[48:49], -v[2:3]
	s_waitcnt vmcnt(0)
	v_add_f64 v[4:5], v[52:53], -v[4:5]
	buffer_store_dword v3, off, s[0:3], 0 offset:564
	buffer_store_dword v2, off, s[0:3], 0 offset:560
	;; [unrolled: 1-line block ×4, first 2 shown]
	v_cmpx_lt_u32_e32 33, v0
	s_cbranch_execz .LBB61_331
; %bb.330:
	v_mov_b32_e32 v5, s43
	s_clause 0x3
	buffer_load_dword v2, v5, s[0:3], 0 offen
	buffer_load_dword v3, v5, s[0:3], 0 offen offset:4
	buffer_load_dword v4, v5, s[0:3], 0 offen offset:8
	;; [unrolled: 1-line block ×3, first 2 shown]
	buffer_store_dword v1, off, s[0:3], 0 offset:544
	buffer_store_dword v1, off, s[0:3], 0 offset:548
	;; [unrolled: 1-line block ×4, first 2 shown]
	s_waitcnt vmcnt(0)
	ds_write_b128 v69, v[2:5]
.LBB61_331:
	s_or_b32 exec_lo, exec_lo, s4
	s_waitcnt lgkmcnt(0)
	s_waitcnt_vscnt null, 0x0
	s_barrier
	buffer_gl0_inv
	s_clause 0x37
	buffer_load_dword v10, off, s[0:3], 0 offset:568
	buffer_load_dword v11, off, s[0:3], 0 offset:572
	;; [unrolled: 1-line block ×56, first 2 shown]
	ds_read_b128 v[2:5], v1 offset:1536
	s_clause 0x2
	buffer_load_dword v67, off, s[0:3], 0 offset:796
	buffer_load_dword v73, off, s[0:3], 0 offset:772
	;; [unrolled: 1-line block ×3, first 2 shown]
	ds_read_b128 v[6:9], v1 offset:1552
	s_clause 0x4
	buffer_load_dword v79, off, s[0:3], 0 offset:812
	buffer_load_dword v84, off, s[0:3], 0 offset:824
	;; [unrolled: 1-line block ×5, first 2 shown]
	s_mov_b32 s4, exec_lo
	s_waitcnt vmcnt(62) lgkmcnt(1)
	v_mul_f64 v[74:75], v[4:5], v[10:11]
	v_mul_f64 v[76:77], v[2:3], v[10:11]
	s_waitcnt vmcnt(60) lgkmcnt(0)
	v_mul_f64 v[87:88], v[8:9], v[14:15]
	ds_read_b128 v[10:13], v1 offset:1568
	v_mul_f64 v[14:15], v[6:7], v[14:15]
	s_waitcnt vmcnt(58)
	v_fma_f64 v[74:75], v[2:3], v[16:17], -v[74:75]
	v_fma_f64 v[16:17], v[4:5], v[16:17], v[76:77]
	s_clause 0x2
	buffer_load_dword v85, off, s[0:3], 0 offset:828
	buffer_load_dword v77, off, s[0:3], 0 offset:804
	;; [unrolled: 1-line block ×3, first 2 shown]
	s_waitcnt vmcnt(59) lgkmcnt(0)
	v_mul_f64 v[93:94], v[10:11], v[18:19]
	v_mul_f64 v[18:19], v[12:13], v[18:19]
	s_waitcnt vmcnt(57)
	v_fma_f64 v[95:96], v[6:7], v[20:21], -v[87:88]
	ds_read_b128 v[2:5], v1 offset:1584
	v_fma_f64 v[14:15], v[8:9], v[20:21], v[14:15]
	s_clause 0x4
	buffer_load_dword v21, off, s[0:3], 0 offset:844
	buffer_load_dword v123, off, s[0:3], 0 offset:856
	;; [unrolled: 1-line block ×5, first 2 shown]
	ds_read_b128 v[6:9], v1 offset:1600
	v_add_f64 v[74:75], v[74:75], 0
	v_add_f64 v[16:17], v[16:17], 0
	s_waitcnt vmcnt(58) lgkmcnt(1)
	v_mul_f64 v[126:127], v[2:3], v[22:23]
	v_mul_f64 v[22:23], v[4:5], v[22:23]
	s_waitcnt vmcnt(56)
	v_fma_f64 v[18:19], v[10:11], v[28:29], -v[18:19]
	v_fma_f64 v[28:29], v[12:13], v[28:29], v[93:94]
	s_waitcnt vmcnt(55) lgkmcnt(0)
	v_mul_f64 v[93:94], v[6:7], v[24:25]
	v_mul_f64 v[24:25], v[8:9], v[24:25]
	v_add_f64 v[74:75], v[74:75], v[95:96]
	v_add_f64 v[14:15], v[16:17], v[14:15]
	s_clause 0x2
	buffer_load_dword v124, off, s[0:3], 0 offset:860
	buffer_load_dword v17, off, s[0:3], 0 offset:836
	;; [unrolled: 1-line block ×3, first 2 shown]
	ds_read_b128 v[10:13], v1 offset:1616
	s_waitcnt vmcnt(56)
	v_fma_f64 v[22:23], v[2:3], v[30:31], -v[22:23]
	v_fma_f64 v[30:31], v[4:5], v[30:31], v[126:127]
	s_waitcnt vmcnt(51)
	v_fma_f64 v[24:25], v[6:7], v[26:27], -v[24:25]
	v_add_f64 v[18:19], v[74:75], v[18:19]
	v_add_f64 v[14:15], v[14:15], v[28:29]
	s_clause 0x4
	buffer_load_dword v29, off, s[0:3], 0 offset:876
	buffer_load_dword v74, off, s[0:3], 0 offset:888
	buffer_load_dword v95, off, s[0:3], 0 offset:880
	buffer_load_dword v28, off, s[0:3], 0 offset:872
	buffer_load_dword v126, off, s[0:3], 0 offset:852
	s_waitcnt lgkmcnt(0)
	v_mul_f64 v[127:128], v[10:11], v[32:33]
	v_mul_f64 v[32:33], v[12:13], v[32:33]
	ds_read_b128 v[2:5], v1 offset:1632
	v_add_f64 v[18:19], v[18:19], v[22:23]
	v_fma_f64 v[22:23], v[8:9], v[26:27], v[93:94]
	v_add_f64 v[14:15], v[14:15], v[30:31]
	s_clause 0x2
	buffer_load_dword v75, off, s[0:3], 0 offset:892
	buffer_load_dword v27, off, s[0:3], 0 offset:868
	;; [unrolled: 1-line block ×3, first 2 shown]
	s_waitcnt vmcnt(58) lgkmcnt(0)
	v_mul_f64 v[30:31], v[2:3], v[34:35]
	v_mul_f64 v[34:35], v[4:5], v[34:35]
	s_waitcnt vmcnt(56)
	v_fma_f64 v[32:33], v[10:11], v[38:39], -v[32:33]
	ds_read_b128 v[6:9], v1 offset:1648
	v_add_f64 v[18:19], v[18:19], v[24:25]
	v_fma_f64 v[24:25], v[12:13], v[38:39], v[127:128]
	v_add_f64 v[14:15], v[14:15], v[22:23]
	s_clause 0x4
	buffer_load_dword v23, off, s[0:3], 0 offset:908
	buffer_load_dword v38, off, s[0:3], 0 offset:920
	buffer_load_dword v93, off, s[0:3], 0 offset:912
	buffer_load_dword v22, off, s[0:3], 0 offset:904
	buffer_load_dword v96, off, s[0:3], 0 offset:884
	ds_read_b128 v[10:13], v1 offset:1664
	s_waitcnt vmcnt(57) lgkmcnt(1)
	v_mul_f64 v[127:128], v[6:7], v[40:41]
	v_mul_f64 v[40:41], v[8:9], v[40:41]
	s_waitcnt vmcnt(56)
	v_fma_f64 v[34:35], v[2:3], v[36:37], -v[34:35]
	v_fma_f64 v[30:31], v[4:5], v[36:37], v[30:31]
	v_add_f64 v[18:19], v[18:19], v[32:33]
	v_add_f64 v[14:15], v[14:15], v[24:25]
	s_clause 0x2
	buffer_load_dword v39, off, s[0:3], 0 offset:924
	buffer_load_dword v25, off, s[0:3], 0 offset:900
	;; [unrolled: 1-line block ×3, first 2 shown]
	s_waitcnt vmcnt(58) lgkmcnt(0)
	v_mul_f64 v[36:37], v[12:13], v[42:43]
	ds_read_b128 v[2:5], v1 offset:1680
	s_waitcnt vmcnt(56)
	v_fma_f64 v[40:41], v[6:7], v[46:47], -v[40:41]
	v_mul_f64 v[32:33], v[10:11], v[42:43]
	v_add_f64 v[18:19], v[18:19], v[34:35]
	v_fma_f64 v[34:35], v[8:9], v[46:47], v[127:128]
	v_add_f64 v[14:15], v[14:15], v[30:31]
	s_clause 0x4
	buffer_load_dword v31, off, s[0:3], 0 offset:940
	buffer_load_dword v42, off, s[0:3], 0 offset:952
	buffer_load_dword v46, off, s[0:3], 0 offset:944
	buffer_load_dword v30, off, s[0:3], 0 offset:936
	buffer_load_dword v94, off, s[0:3], 0 offset:916
	s_waitcnt vmcnt(57) lgkmcnt(0)
	v_mul_f64 v[127:128], v[2:3], v[48:49]
	v_mul_f64 v[47:48], v[4:5], v[48:49]
	s_waitcnt vmcnt(56)
	v_fma_f64 v[36:37], v[10:11], v[44:45], -v[36:37]
	ds_read_b128 v[6:9], v1 offset:1696
	v_fma_f64 v[32:33], v[12:13], v[44:45], v[32:33]
	v_add_f64 v[18:19], v[18:19], v[40:41]
	v_add_f64 v[14:15], v[14:15], v[34:35]
	s_clause 0x2
	buffer_load_dword v43, off, s[0:3], 0 offset:956
	buffer_load_dword v35, off, s[0:3], 0 offset:932
	;; [unrolled: 1-line block ×3, first 2 shown]
	ds_read_b128 v[10:13], v1 offset:1712
	s_waitcnt vmcnt(58) lgkmcnt(1)
	v_mul_f64 v[44:45], v[8:9], v[50:51]
	s_waitcnt vmcnt(56)
	v_fma_f64 v[48:49], v[2:3], v[54:55], -v[47:48]
	v_mul_f64 v[40:41], v[6:7], v[50:51]
	v_add_f64 v[18:19], v[18:19], v[36:37]
	v_fma_f64 v[36:37], v[4:5], v[54:55], v[127:128]
	v_add_f64 v[14:15], v[14:15], v[32:33]
	s_clause 0x4
	buffer_load_dword v33, off, s[0:3], 0 offset:972
	buffer_load_dword v50, off, s[0:3], 0 offset:984
	;; [unrolled: 1-line block ×5, first 2 shown]
	s_waitcnt vmcnt(57) lgkmcnt(0)
	v_mul_f64 v[127:128], v[10:11], v[56:57]
	v_mul_f64 v[55:56], v[12:13], v[56:57]
	s_waitcnt vmcnt(56)
	v_fma_f64 v[44:45], v[6:7], v[52:53], -v[44:45]
	ds_read_b128 v[2:5], v1 offset:1728
	v_fma_f64 v[40:41], v[8:9], v[52:53], v[40:41]
	v_add_f64 v[18:19], v[18:19], v[48:49]
	v_add_f64 v[14:15], v[14:15], v[36:37]
	s_clause 0x2
	buffer_load_dword v51, off, s[0:3], 0 offset:988
	buffer_load_dword v37, off, s[0:3], 0 offset:964
	;; [unrolled: 1-line block ×3, first 2 shown]
	ds_read_b128 v[6:9], v1 offset:1744
	s_waitcnt vmcnt(58) lgkmcnt(1)
	v_mul_f64 v[52:53], v[4:5], v[58:59]
	s_waitcnt vmcnt(56)
	v_fma_f64 v[56:57], v[10:11], v[62:63], -v[55:56]
	v_mul_f64 v[48:49], v[2:3], v[58:59]
	v_add_f64 v[18:19], v[18:19], v[44:45]
	v_fma_f64 v[44:45], v[12:13], v[62:63], v[127:128]
	v_add_f64 v[14:15], v[14:15], v[40:41]
	s_clause 0x2
	buffer_load_dword v41, off, s[0:3], 0 offset:1004
	buffer_load_dword v40, off, s[0:3], 0 offset:1000
	;; [unrolled: 1-line block ×3, first 2 shown]
	s_waitcnt vmcnt(55) lgkmcnt(0)
	v_mul_f64 v[62:63], v[8:9], v[64:65]
	s_waitcnt vmcnt(54)
	v_fma_f64 v[52:53], v[2:3], v[60:61], -v[52:53]
	ds_read_b128 v[10:13], v1 offset:1760
	v_mul_f64 v[58:59], v[6:7], v[64:65]
	v_fma_f64 v[48:49], v[4:5], v[60:61], v[48:49]
	v_add_f64 v[18:19], v[18:19], v[56:57]
	v_add_f64 v[14:15], v[14:15], v[44:45]
	s_clause 0x1
	buffer_load_dword v45, off, s[0:3], 0 offset:996
	buffer_load_dword v44, off, s[0:3], 0 offset:992
	s_waitcnt vmcnt(55) lgkmcnt(0)
	v_mul_f64 v[60:61], v[12:13], v[66:67]
	s_waitcnt vmcnt(53)
	v_fma_f64 v[62:63], v[6:7], v[72:73], -v[62:63]
	ds_read_b128 v[2:5], v1 offset:1776
	v_mul_f64 v[56:57], v[10:11], v[66:67]
	v_add_f64 v[18:19], v[18:19], v[52:53]
	v_fma_f64 v[52:53], v[8:9], v[72:73], v[58:59]
	v_add_f64 v[14:15], v[14:15], v[48:49]
	ds_read_b128 v[6:9], v1 offset:1792
	s_waitcnt vmcnt(49) lgkmcnt(1)
	v_mul_f64 v[58:59], v[4:5], v[78:79]
	s_waitcnt vmcnt(48)
	v_fma_f64 v[60:61], v[10:11], v[70:71], -v[60:61]
	v_mul_f64 v[48:49], v[2:3], v[78:79]
	v_fma_f64 v[56:57], v[12:13], v[70:71], v[56:57]
	v_add_f64 v[18:19], v[18:19], v[62:63]
	v_add_f64 v[14:15], v[14:15], v[52:53]
	s_clause 0x3
	buffer_load_dword v52, off, s[0:3], 0 offset:544
	buffer_load_dword v53, off, s[0:3], 0 offset:548
	;; [unrolled: 1-line block ×4, first 2 shown]
	ds_read_b128 v[10:13], v1 offset:1808
	s_waitcnt vmcnt(51) lgkmcnt(1)
	v_mul_f64 v[66:67], v[8:9], v[84:85]
	v_mul_f64 v[64:65], v[6:7], v[84:85]
	s_waitcnt vmcnt(49)
	v_fma_f64 v[58:59], v[2:3], v[76:77], -v[58:59]
	v_fma_f64 v[48:49], v[4:5], v[76:77], v[48:49]
	ds_read_b128 v[2:5], v1 offset:1824
	v_add_f64 v[18:19], v[18:19], v[60:61]
	v_add_f64 v[14:15], v[14:15], v[56:57]
	s_waitcnt vmcnt(45) lgkmcnt(1)
	v_mul_f64 v[56:57], v[10:11], v[20:21]
	v_mul_f64 v[20:21], v[12:13], v[20:21]
	s_waitcnt vmcnt(44)
	v_fma_f64 v[60:61], v[6:7], v[86:87], -v[66:67]
	v_add_f64 v[18:19], v[18:19], v[58:59]
	v_fma_f64 v[58:59], v[8:9], v[86:87], v[64:65]
	v_add_f64 v[14:15], v[14:15], v[48:49]
	ds_read_b128 v[6:9], v1 offset:1840
	s_waitcnt vmcnt(43) lgkmcnt(1)
	v_mul_f64 v[64:65], v[4:5], v[123:124]
	v_mul_f64 v[48:49], v[2:3], v[123:124]
	s_waitcnt vmcnt(41)
	v_fma_f64 v[20:21], v[10:11], v[16:17], -v[20:21]
	v_fma_f64 v[16:17], v[12:13], v[16:17], v[56:57]
	ds_read_b128 v[10:13], v1 offset:1856
	v_add_f64 v[18:19], v[18:19], v[60:61]
	v_add_f64 v[14:15], v[14:15], v[58:59]
	s_waitcnt vmcnt(37) lgkmcnt(1)
	v_mul_f64 v[56:57], v[6:7], v[28:29]
	v_mul_f64 v[28:29], v[8:9], v[28:29]
	s_waitcnt vmcnt(36)
	v_fma_f64 v[58:59], v[2:3], v[125:126], -v[64:65]
	v_add_f64 v[18:19], v[18:19], v[20:21]
	v_fma_f64 v[20:21], v[4:5], v[125:126], v[48:49]
	v_add_f64 v[14:15], v[14:15], v[16:17]
	ds_read_b128 v[2:5], v1 offset:1872
	s_waitcnt vmcnt(35) lgkmcnt(1)
	v_mul_f64 v[48:49], v[12:13], v[74:75]
	v_mul_f64 v[16:17], v[10:11], v[74:75]
	s_waitcnt vmcnt(33)
	v_fma_f64 v[28:29], v[6:7], v[26:27], -v[28:29]
	v_fma_f64 v[26:27], v[8:9], v[26:27], v[56:57]
	ds_read_b128 v[6:9], v1 offset:1888
	v_add_f64 v[18:19], v[18:19], v[58:59]
	v_add_f64 v[14:15], v[14:15], v[20:21]
	s_waitcnt vmcnt(29) lgkmcnt(1)
	v_mul_f64 v[20:21], v[2:3], v[22:23]
	v_mul_f64 v[22:23], v[4:5], v[22:23]
	s_waitcnt vmcnt(28)
	v_fma_f64 v[48:49], v[10:11], v[95:96], -v[48:49]
	v_fma_f64 v[16:17], v[12:13], v[95:96], v[16:17]
	ds_read_b128 v[10:13], v1 offset:1904
	v_add_f64 v[18:19], v[18:19], v[28:29]
	v_add_f64 v[14:15], v[14:15], v[26:27]
	;; [unrolled: 9-line block ×3, first 2 shown]
	s_waitcnt vmcnt(21) lgkmcnt(1)
	v_mul_f64 v[24:25], v[12:13], v[30:31]
	s_waitcnt vmcnt(20)
	v_fma_f64 v[28:29], v[6:7], v[93:94], -v[28:29]
	v_mul_f64 v[16:17], v[10:11], v[30:31]
	v_add_f64 v[18:19], v[18:19], v[22:23]
	v_fma_f64 v[22:23], v[8:9], v[93:94], v[26:27]
	v_add_f64 v[14:15], v[14:15], v[20:21]
	ds_read_b128 v[6:9], v1 offset:1936
	s_waitcnt vmcnt(19) lgkmcnt(1)
	v_mul_f64 v[26:27], v[4:5], v[42:43]
	v_mul_f64 v[20:21], v[2:3], v[42:43]
	s_waitcnt vmcnt(17)
	v_fma_f64 v[24:25], v[10:11], v[34:35], -v[24:25]
	v_fma_f64 v[16:17], v[12:13], v[34:35], v[16:17]
	ds_read_b128 v[10:13], v1 offset:1952
	v_add_f64 v[18:19], v[18:19], v[28:29]
	v_add_f64 v[14:15], v[14:15], v[22:23]
	s_waitcnt vmcnt(13) lgkmcnt(1)
	v_mul_f64 v[28:29], v[8:9], v[32:33]
	s_waitcnt vmcnt(12)
	v_fma_f64 v[26:27], v[2:3], v[46:47], -v[26:27]
	v_mul_f64 v[22:23], v[6:7], v[32:33]
	v_fma_f64 v[20:21], v[4:5], v[46:47], v[20:21]
	ds_read_b128 v[1:4], v1 offset:1968
	v_add_f64 v[18:19], v[18:19], v[24:25]
	v_add_f64 v[14:15], v[14:15], v[16:17]
	s_waitcnt vmcnt(11) lgkmcnt(1)
	v_mul_f64 v[24:25], v[12:13], v[50:51]
	v_mul_f64 v[16:17], v[10:11], v[50:51]
	s_waitcnt vmcnt(9)
	v_fma_f64 v[5:6], v[6:7], v[36:37], -v[28:29]
	v_fma_f64 v[7:8], v[8:9], v[36:37], v[22:23]
	v_add_f64 v[18:19], v[18:19], v[26:27]
	v_add_f64 v[14:15], v[14:15], v[20:21]
	s_waitcnt vmcnt(7) lgkmcnt(0)
	v_mul_f64 v[22:23], v[3:4], v[40:41]
	s_waitcnt vmcnt(6)
	v_fma_f64 v[9:10], v[10:11], v[54:55], -v[24:25]
	v_mul_f64 v[20:21], v[1:2], v[40:41]
	v_fma_f64 v[11:12], v[12:13], v[54:55], v[16:17]
	v_add_f64 v[5:6], v[18:19], v[5:6]
	v_add_f64 v[7:8], v[14:15], v[7:8]
	s_waitcnt vmcnt(4)
	v_fma_f64 v[1:2], v[1:2], v[44:45], -v[22:23]
	v_fma_f64 v[3:4], v[3:4], v[44:45], v[20:21]
	v_add_f64 v[5:6], v[5:6], v[9:10]
	v_add_f64 v[7:8], v[7:8], v[11:12]
	;; [unrolled: 1-line block ×4, first 2 shown]
	s_waitcnt vmcnt(2)
	v_add_f64 v[1:2], v[52:53], -v[1:2]
	s_waitcnt vmcnt(0)
	v_add_f64 v[3:4], v[62:63], -v[3:4]
	buffer_store_dword v2, off, s[0:3], 0 offset:548
	buffer_store_dword v1, off, s[0:3], 0 offset:544
	;; [unrolled: 1-line block ×4, first 2 shown]
	v_cmpx_lt_u32_e32 32, v0
	s_cbranch_execz .LBB61_333
; %bb.332:
	v_mov_b32_e32 v4, s44
	v_mov_b32_e32 v5, 0
	s_clause 0x3
	buffer_load_dword v1, v4, s[0:3], 0 offen
	buffer_load_dword v2, v4, s[0:3], 0 offen offset:4
	buffer_load_dword v3, v4, s[0:3], 0 offen offset:8
	;; [unrolled: 1-line block ×3, first 2 shown]
	buffer_store_dword v5, off, s[0:3], 0 offset:528
	buffer_store_dword v5, off, s[0:3], 0 offset:532
	;; [unrolled: 1-line block ×4, first 2 shown]
	s_waitcnt vmcnt(0)
	ds_write_b128 v69, v[1:4]
.LBB61_333:
	s_or_b32 exec_lo, exec_lo, s4
	s_waitcnt lgkmcnt(0)
	s_waitcnt_vscnt null, 0x0
	s_barrier
	buffer_gl0_inv
	s_clause 0x37
	buffer_load_dword v9, off, s[0:3], 0 offset:552
	buffer_load_dword v10, off, s[0:3], 0 offset:556
	;; [unrolled: 1-line block ×56, first 2 shown]
	v_mov_b32_e32 v11, 0
	s_mov_b32 s4, exec_lo
	ds_read_b128 v[5:8], v11 offset:1520
	s_clause 0x2
	buffer_load_dword v71, off, s[0:3], 0 offset:780
	buffer_load_dword v75, off, s[0:3], 0 offset:756
	;; [unrolled: 1-line block ×3, first 2 shown]
	ds_read_b128 v[12:15], v11 offset:1536
	s_clause 0x4
	buffer_load_dword v79, off, s[0:3], 0 offset:796
	buffer_load_dword v84, off, s[0:3], 0 offset:808
	buffer_load_dword v86, off, s[0:3], 0 offset:800
	buffer_load_dword v78, off, s[0:3], 0 offset:792
	buffer_load_dword v73, off, s[0:3], 0 offset:772
	ds_read_b128 v[16:19], v11 offset:1552
	s_waitcnt vmcnt(62) lgkmcnt(2)
	v_mul_f64 v[76:77], v[7:8], v[9:10]
	v_mul_f64 v[9:10], v[5:6], v[9:10]
	s_waitcnt vmcnt(60) lgkmcnt(1)
	v_mul_f64 v[87:88], v[14:15], v[20:21]
	v_mul_f64 v[20:21], v[12:13], v[20:21]
	;; [unrolled: 3-line block ×3, first 2 shown]
	v_fma_f64 v[76:77], v[5:6], v[22:23], -v[76:77]
	v_fma_f64 v[9:10], v[7:8], v[22:23], v[9:10]
	s_clause 0x2
	buffer_load_dword v85, off, s[0:3], 0 offset:812
	buffer_load_dword v23, off, s[0:3], 0 offset:788
	;; [unrolled: 1-line block ×3, first 2 shown]
	s_waitcnt vmcnt(57)
	v_fma_f64 v[12:13], v[12:13], v[1:2], -v[87:88]
	ds_read_b128 v[5:8], v11 offset:1568
	v_fma_f64 v[14:15], v[14:15], v[1:2], v[20:21]
	s_clause 0x4
	buffer_load_dword v21, off, s[0:3], 0 offset:828
	buffer_load_dword v123, off, s[0:3], 0 offset:840
	;; [unrolled: 1-line block ×5, first 2 shown]
	s_waitcnt vmcnt(56)
	v_fma_f64 v[16:17], v[16:17], v[30:31], -v[95:96]
	ds_read_b128 v[1:4], v11 offset:1584
	v_fma_f64 v[18:19], v[18:19], v[30:31], v[93:94]
	s_clause 0x2
	buffer_load_dword v124, off, s[0:3], 0 offset:844
	buffer_load_dword v31, off, s[0:3], 0 offset:820
	;; [unrolled: 1-line block ×3, first 2 shown]
	v_add_f64 v[76:77], v[76:77], 0
	v_add_f64 v[9:10], v[9:10], 0
	s_waitcnt lgkmcnt(1)
	v_mul_f64 v[126:127], v[5:6], v[24:25]
	v_mul_f64 v[24:25], v[7:8], v[24:25]
	s_waitcnt vmcnt(58) lgkmcnt(0)
	v_mul_f64 v[93:94], v[1:2], v[26:27]
	v_mul_f64 v[26:27], v[3:4], v[26:27]
	v_add_f64 v[76:77], v[76:77], v[12:13]
	v_add_f64 v[9:10], v[9:10], v[14:15]
	ds_read_b128 v[12:15], v11 offset:1600
	s_waitcnt vmcnt(56)
	v_fma_f64 v[24:25], v[5:6], v[32:33], -v[24:25]
	v_fma_f64 v[32:33], v[7:8], v[32:33], v[126:127]
	s_waitcnt vmcnt(51)
	v_fma_f64 v[26:27], v[1:2], v[28:29], -v[26:27]
	s_waitcnt lgkmcnt(0)
	v_mul_f64 v[127:128], v[12:13], v[34:35]
	v_add_f64 v[16:17], v[76:77], v[16:17]
	v_add_f64 v[9:10], v[9:10], v[18:19]
	s_clause 0x4
	buffer_load_dword v19, off, s[0:3], 0 offset:860
	buffer_load_dword v76, off, s[0:3], 0 offset:872
	;; [unrolled: 1-line block ×5, first 2 shown]
	v_mul_f64 v[34:35], v[14:15], v[34:35]
	ds_read_b128 v[5:8], v11 offset:1616
	v_add_f64 v[16:17], v[16:17], v[24:25]
	v_fma_f64 v[24:25], v[3:4], v[28:29], v[93:94]
	v_add_f64 v[9:10], v[9:10], v[32:33]
	s_clause 0x2
	buffer_load_dword v77, off, s[0:3], 0 offset:876
	buffer_load_dword v29, off, s[0:3], 0 offset:852
	buffer_load_dword v28, off, s[0:3], 0 offset:848
	s_waitcnt vmcnt(58) lgkmcnt(0)
	v_mul_f64 v[32:33], v[5:6], v[36:37]
	v_mul_f64 v[36:37], v[7:8], v[36:37]
	s_waitcnt vmcnt(56)
	v_fma_f64 v[34:35], v[12:13], v[40:41], -v[34:35]
	ds_read_b128 v[1:4], v11 offset:1632
	v_add_f64 v[16:17], v[16:17], v[26:27]
	v_fma_f64 v[26:27], v[14:15], v[40:41], v[127:128]
	v_add_f64 v[9:10], v[9:10], v[24:25]
	s_clause 0x4
	buffer_load_dword v25, off, s[0:3], 0 offset:892
	buffer_load_dword v40, off, s[0:3], 0 offset:904
	;; [unrolled: 1-line block ×5, first 2 shown]
	ds_read_b128 v[12:15], v11 offset:1648
	s_waitcnt vmcnt(57) lgkmcnt(1)
	v_mul_f64 v[127:128], v[1:2], v[42:43]
	v_mul_f64 v[42:43], v[3:4], v[42:43]
	s_waitcnt vmcnt(56)
	v_fma_f64 v[36:37], v[5:6], v[38:39], -v[36:37]
	v_fma_f64 v[32:33], v[7:8], v[38:39], v[32:33]
	v_add_f64 v[16:17], v[16:17], v[34:35]
	v_add_f64 v[9:10], v[9:10], v[26:27]
	s_clause 0x2
	buffer_load_dword v41, off, s[0:3], 0 offset:908
	buffer_load_dword v27, off, s[0:3], 0 offset:884
	;; [unrolled: 1-line block ×3, first 2 shown]
	s_waitcnt vmcnt(58) lgkmcnt(0)
	v_mul_f64 v[38:39], v[14:15], v[44:45]
	ds_read_b128 v[5:8], v11 offset:1664
	s_waitcnt vmcnt(56)
	v_fma_f64 v[42:43], v[1:2], v[48:49], -v[42:43]
	v_mul_f64 v[34:35], v[12:13], v[44:45]
	v_add_f64 v[16:17], v[16:17], v[36:37]
	v_fma_f64 v[36:37], v[3:4], v[48:49], v[127:128]
	v_add_f64 v[9:10], v[9:10], v[32:33]
	s_clause 0x4
	buffer_load_dword v33, off, s[0:3], 0 offset:924
	buffer_load_dword v44, off, s[0:3], 0 offset:936
	buffer_load_dword v48, off, s[0:3], 0 offset:928
	buffer_load_dword v32, off, s[0:3], 0 offset:920
	buffer_load_dword v94, off, s[0:3], 0 offset:900
	s_waitcnt vmcnt(57) lgkmcnt(0)
	v_mul_f64 v[127:128], v[5:6], v[50:51]
	v_mul_f64 v[49:50], v[7:8], v[50:51]
	s_waitcnt vmcnt(56)
	v_fma_f64 v[38:39], v[12:13], v[46:47], -v[38:39]
	ds_read_b128 v[1:4], v11 offset:1680
	v_fma_f64 v[34:35], v[14:15], v[46:47], v[34:35]
	v_add_f64 v[16:17], v[16:17], v[42:43]
	v_add_f64 v[9:10], v[9:10], v[36:37]
	s_clause 0x2
	buffer_load_dword v45, off, s[0:3], 0 offset:940
	buffer_load_dword v37, off, s[0:3], 0 offset:916
	buffer_load_dword v36, off, s[0:3], 0 offset:912
	ds_read_b128 v[12:15], v11 offset:1696
	s_waitcnt vmcnt(58) lgkmcnt(1)
	v_mul_f64 v[46:47], v[3:4], v[52:53]
	s_waitcnt vmcnt(56)
	v_fma_f64 v[50:51], v[5:6], v[56:57], -v[49:50]
	v_mul_f64 v[42:43], v[1:2], v[52:53]
	v_add_f64 v[16:17], v[16:17], v[38:39]
	v_fma_f64 v[38:39], v[7:8], v[56:57], v[127:128]
	v_add_f64 v[9:10], v[9:10], v[34:35]
	s_clause 0x4
	buffer_load_dword v35, off, s[0:3], 0 offset:956
	buffer_load_dword v52, off, s[0:3], 0 offset:968
	buffer_load_dword v56, off, s[0:3], 0 offset:960
	buffer_load_dword v34, off, s[0:3], 0 offset:952
	buffer_load_dword v49, off, s[0:3], 0 offset:932
	s_waitcnt vmcnt(57) lgkmcnt(0)
	v_mul_f64 v[127:128], v[12:13], v[58:59]
	v_mul_f64 v[57:58], v[14:15], v[58:59]
	s_waitcnt vmcnt(56)
	v_fma_f64 v[46:47], v[1:2], v[54:55], -v[46:47]
	ds_read_b128 v[5:8], v11 offset:1712
	v_fma_f64 v[42:43], v[3:4], v[54:55], v[42:43]
	v_add_f64 v[16:17], v[16:17], v[50:51]
	v_add_f64 v[9:10], v[9:10], v[38:39]
	s_clause 0x2
	buffer_load_dword v53, off, s[0:3], 0 offset:972
	buffer_load_dword v39, off, s[0:3], 0 offset:948
	buffer_load_dword v38, off, s[0:3], 0 offset:944
	ds_read_b128 v[1:4], v11 offset:1728
	s_waitcnt vmcnt(58) lgkmcnt(1)
	v_mul_f64 v[54:55], v[7:8], v[60:61]
	;; [unrolled: 28-line block ×3, first 2 shown]
	s_waitcnt vmcnt(56)
	v_fma_f64 v[66:67], v[1:2], v[74:75], -v[65:66]
	v_mul_f64 v[58:59], v[12:13], v[70:71]
	buffer_load_dword v65, off, s[0:3], 0 offset:996
	v_add_f64 v[16:17], v[16:17], v[54:55]
	v_fma_f64 v[54:55], v[3:4], v[74:75], v[127:128]
	v_add_f64 v[9:10], v[9:10], v[50:51]
	ds_read_b128 v[1:4], v11 offset:1776
	s_waitcnt vmcnt(53) lgkmcnt(1)
	v_mul_f64 v[70:71], v[7:8], v[78:79]
	s_waitcnt vmcnt(52)
	v_fma_f64 v[62:63], v[12:13], v[72:73], -v[62:63]
	v_mul_f64 v[50:51], v[5:6], v[78:79]
	v_fma_f64 v[58:59], v[14:15], v[72:73], v[58:59]
	ds_read_b128 v[12:15], v11 offset:1792
	v_add_f64 v[16:17], v[16:17], v[66:67]
	v_add_f64 v[9:10], v[9:10], v[54:55]
	s_waitcnt vmcnt(51) lgkmcnt(1)
	v_mul_f64 v[66:67], v[3:4], v[84:85]
	v_mul_f64 v[54:55], v[1:2], v[84:85]
	s_waitcnt vmcnt(49)
	v_fma_f64 v[70:71], v[5:6], v[22:23], -v[70:71]
	v_fma_f64 v[22:23], v[7:8], v[22:23], v[50:51]
	v_add_f64 v[16:17], v[16:17], v[62:63]
	s_waitcnt vmcnt(45) lgkmcnt(0)
	v_mul_f64 v[62:63], v[12:13], v[20:21]
	v_add_f64 v[9:10], v[9:10], v[58:59]
	s_clause 0x3
	buffer_load_dword v50, off, s[0:3], 0 offset:528
	buffer_load_dword v51, off, s[0:3], 0 offset:532
	;; [unrolled: 1-line block ×4, first 2 shown]
	v_mul_f64 v[20:21], v[14:15], v[20:21]
	ds_read_b128 v[5:8], v11 offset:1808
	s_waitcnt vmcnt(48)
	v_fma_f64 v[66:67], v[1:2], v[86:87], -v[66:67]
	v_fma_f64 v[54:55], v[3:4], v[86:87], v[54:55]
	ds_read_b128 v[1:4], v11 offset:1824
	v_add_f64 v[16:17], v[16:17], v[70:71]
	v_add_f64 v[9:10], v[9:10], v[22:23]
	s_waitcnt vmcnt(47) lgkmcnt(1)
	v_mul_f64 v[70:71], v[7:8], v[123:124]
	s_waitcnt vmcnt(45)
	v_fma_f64 v[20:21], v[12:13], v[30:31], -v[20:21]
	v_mul_f64 v[22:23], v[5:6], v[123:124]
	v_fma_f64 v[30:31], v[14:15], v[30:31], v[62:63]
	ds_read_b128 v[12:15], v11 offset:1840
	v_add_f64 v[16:17], v[16:17], v[66:67]
	v_add_f64 v[9:10], v[9:10], v[54:55]
	s_waitcnt vmcnt(41) lgkmcnt(1)
	v_mul_f64 v[54:55], v[1:2], v[18:19]
	v_mul_f64 v[18:19], v[3:4], v[18:19]
	s_waitcnt vmcnt(40)
	v_fma_f64 v[62:63], v[5:6], v[125:126], -v[70:71]
	v_add_f64 v[16:17], v[16:17], v[20:21]
	v_fma_f64 v[20:21], v[7:8], v[125:126], v[22:23]
	v_add_f64 v[9:10], v[9:10], v[30:31]
	ds_read_b128 v[5:8], v11 offset:1856
	s_waitcnt vmcnt(39) lgkmcnt(1)
	v_mul_f64 v[30:31], v[14:15], v[76:77]
	v_mul_f64 v[22:23], v[12:13], v[76:77]
	s_waitcnt vmcnt(37)
	v_fma_f64 v[18:19], v[1:2], v[28:29], -v[18:19]
	v_fma_f64 v[28:29], v[3:4], v[28:29], v[54:55]
	ds_read_b128 v[1:4], v11 offset:1872
	v_add_f64 v[16:17], v[16:17], v[62:63]
	v_add_f64 v[9:10], v[9:10], v[20:21]
	s_waitcnt vmcnt(33) lgkmcnt(1)
	v_mul_f64 v[20:21], v[5:6], v[24:25]
	v_mul_f64 v[24:25], v[7:8], v[24:25]
	s_waitcnt vmcnt(32)
	v_fma_f64 v[30:31], v[12:13], v[95:96], -v[30:31]
	v_add_f64 v[16:17], v[16:17], v[18:19]
	v_fma_f64 v[18:19], v[14:15], v[95:96], v[22:23]
	v_add_f64 v[9:10], v[9:10], v[28:29]
	ds_read_b128 v[12:15], v11 offset:1888
	s_waitcnt vmcnt(31) lgkmcnt(1)
	v_mul_f64 v[28:29], v[3:4], v[40:41]
	v_mul_f64 v[22:23], v[1:2], v[40:41]
	s_waitcnt vmcnt(29)
	v_fma_f64 v[24:25], v[5:6], v[26:27], -v[24:25]
	v_fma_f64 v[20:21], v[7:8], v[26:27], v[20:21]
	ds_read_b128 v[5:8], v11 offset:1904
	v_add_f64 v[16:17], v[16:17], v[30:31]
	v_add_f64 v[9:10], v[9:10], v[18:19]
	s_waitcnt vmcnt(25) lgkmcnt(1)
	v_mul_f64 v[26:27], v[14:15], v[32:33]
	s_waitcnt vmcnt(24)
	v_fma_f64 v[28:29], v[1:2], v[93:94], -v[28:29]
	v_mul_f64 v[18:19], v[12:13], v[32:33]
	v_fma_f64 v[22:23], v[3:4], v[93:94], v[22:23]
	ds_read_b128 v[1:4], v11 offset:1920
	v_add_f64 v[16:17], v[16:17], v[24:25]
	v_add_f64 v[9:10], v[9:10], v[20:21]
	s_waitcnt vmcnt(23) lgkmcnt(1)
	v_mul_f64 v[24:25], v[7:8], v[44:45]
	v_mul_f64 v[20:21], v[5:6], v[44:45]
	s_waitcnt vmcnt(21)
	v_fma_f64 v[26:27], v[12:13], v[36:37], -v[26:27]
	v_fma_f64 v[18:19], v[14:15], v[36:37], v[18:19]
	ds_read_b128 v[12:15], v11 offset:1936
	v_add_f64 v[16:17], v[16:17], v[28:29]
	v_add_f64 v[9:10], v[9:10], v[22:23]
	s_waitcnt vmcnt(17) lgkmcnt(1)
	v_mul_f64 v[28:29], v[3:4], v[34:35]
	s_waitcnt vmcnt(16)
	v_fma_f64 v[24:25], v[5:6], v[48:49], -v[24:25]
	v_mul_f64 v[22:23], v[1:2], v[34:35]
	v_fma_f64 v[20:21], v[7:8], v[48:49], v[20:21]
	ds_read_b128 v[5:8], v11 offset:1952
	v_add_f64 v[16:17], v[16:17], v[26:27]
	v_add_f64 v[9:10], v[9:10], v[18:19]
	s_waitcnt vmcnt(15) lgkmcnt(1)
	v_mul_f64 v[26:27], v[14:15], v[52:53]
	v_mul_f64 v[18:19], v[12:13], v[52:53]
	s_waitcnt vmcnt(13)
	v_fma_f64 v[28:29], v[1:2], v[38:39], -v[28:29]
	v_fma_f64 v[22:23], v[3:4], v[38:39], v[22:23]
	ds_read_b128 v[1:4], v11 offset:1968
	v_add_f64 v[16:17], v[16:17], v[24:25]
	v_add_f64 v[9:10], v[9:10], v[20:21]
	s_waitcnt vmcnt(9) lgkmcnt(1)
	v_mul_f64 v[24:25], v[7:8], v[42:43]
	s_waitcnt vmcnt(8)
	v_fma_f64 v[12:13], v[12:13], v[56:57], -v[26:27]
	v_mul_f64 v[20:21], v[5:6], v[42:43]
	v_fma_f64 v[14:15], v[14:15], v[56:57], v[18:19]
	v_add_f64 v[16:17], v[16:17], v[28:29]
	v_add_f64 v[9:10], v[9:10], v[22:23]
	s_waitcnt vmcnt(7) lgkmcnt(0)
	v_mul_f64 v[22:23], v[3:4], v[60:61]
	v_mul_f64 v[18:19], v[1:2], v[60:61]
	s_waitcnt vmcnt(5)
	v_fma_f64 v[5:6], v[5:6], v[46:47], -v[24:25]
	v_fma_f64 v[7:8], v[7:8], v[46:47], v[20:21]
	v_add_f64 v[12:13], v[16:17], v[12:13]
	v_add_f64 v[9:10], v[9:10], v[14:15]
	s_waitcnt vmcnt(4)
	v_fma_f64 v[1:2], v[1:2], v[64:65], -v[22:23]
	v_fma_f64 v[3:4], v[3:4], v[64:65], v[18:19]
	v_add_f64 v[5:6], v[12:13], v[5:6]
	v_add_f64 v[7:8], v[9:10], v[7:8]
	;; [unrolled: 1-line block ×4, first 2 shown]
	s_waitcnt vmcnt(2)
	v_add_f64 v[1:2], v[50:51], -v[1:2]
	s_waitcnt vmcnt(0)
	v_add_f64 v[3:4], v[58:59], -v[3:4]
	buffer_store_dword v2, off, s[0:3], 0 offset:532
	buffer_store_dword v1, off, s[0:3], 0 offset:528
	;; [unrolled: 1-line block ×4, first 2 shown]
	v_cmpx_lt_u32_e32 31, v0
	s_cbranch_execz .LBB61_335
; %bb.334:
	v_mov_b32_e32 v4, s45
	s_clause 0x3
	buffer_load_dword v1, v4, s[0:3], 0 offen
	buffer_load_dword v2, v4, s[0:3], 0 offen offset:4
	buffer_load_dword v3, v4, s[0:3], 0 offen offset:8
	;; [unrolled: 1-line block ×3, first 2 shown]
	buffer_store_dword v11, off, s[0:3], 0 offset:512
	buffer_store_dword v11, off, s[0:3], 0 offset:516
	;; [unrolled: 1-line block ×4, first 2 shown]
	s_waitcnt vmcnt(0)
	ds_write_b128 v69, v[1:4]
.LBB61_335:
	s_or_b32 exec_lo, exec_lo, s4
	s_waitcnt lgkmcnt(0)
	s_waitcnt_vscnt null, 0x0
	s_barrier
	buffer_gl0_inv
	s_clause 0x37
	buffer_load_dword v9, off, s[0:3], 0 offset:536
	buffer_load_dword v10, off, s[0:3], 0 offset:540
	;; [unrolled: 1-line block ×56, first 2 shown]
	ds_read_b128 v[12:15], v11 offset:1504
	s_clause 0x2
	buffer_load_dword v71, off, s[0:3], 0 offset:764
	buffer_load_dword v75, off, s[0:3], 0 offset:740
	;; [unrolled: 1-line block ×3, first 2 shown]
	ds_read_b128 v[16:19], v11 offset:1520
	s_clause 0x4
	buffer_load_dword v79, off, s[0:3], 0 offset:780
	buffer_load_dword v84, off, s[0:3], 0 offset:792
	;; [unrolled: 1-line block ×5, first 2 shown]
	ds_read_b128 v[20:23], v11 offset:1536
	s_clause 0x2
	buffer_load_dword v85, off, s[0:3], 0 offset:796
	buffer_load_dword v94, off, s[0:3], 0 offset:772
	;; [unrolled: 1-line block ×3, first 2 shown]
	s_mov_b32 s4, exec_lo
	s_waitcnt vmcnt(62) lgkmcnt(2)
	v_mul_f64 v[76:77], v[14:15], v[9:10]
	v_mul_f64 v[9:10], v[12:13], v[9:10]
	s_waitcnt lgkmcnt(1)
	v_mul_f64 v[87:88], v[18:19], v[5:6]
	s_waitcnt vmcnt(59) lgkmcnt(0)
	v_mul_f64 v[95:96], v[22:23], v[3:4]
	v_fma_f64 v[12:13], v[12:13], v[7:8], -v[76:77]
	v_mul_f64 v[76:77], v[16:17], v[5:6]
	v_fma_f64 v[9:10], v[14:15], v[7:8], v[9:10]
	s_waitcnt vmcnt(57)
	v_fma_f64 v[16:17], v[16:17], v[1:2], -v[87:88]
	ds_read_b128 v[5:8], v11 offset:1552
	v_mul_f64 v[14:15], v[20:21], v[3:4]
	s_waitcnt vmcnt(51)
	v_fma_f64 v[20:21], v[20:21], v[30:31], -v[95:96]
	v_add_f64 v[12:13], v[12:13], 0
	v_fma_f64 v[18:19], v[18:19], v[1:2], v[76:77]
	v_add_f64 v[9:10], v[9:10], 0
	s_clause 0x4
	buffer_load_dword v77, off, s[0:3], 0 offset:812
	buffer_load_dword v123, off, s[0:3], 0 offset:824
	;; [unrolled: 1-line block ×5, first 2 shown]
	s_waitcnt lgkmcnt(0)
	v_mul_f64 v[126:127], v[5:6], v[24:25]
	v_mul_f64 v[24:25], v[7:8], v[24:25]
	ds_read_b128 v[1:4], v11 offset:1568
	v_fma_f64 v[22:23], v[22:23], v[30:31], v[14:15]
	v_add_f64 v[16:17], v[12:13], v[16:17]
	v_add_f64 v[9:10], v[9:10], v[18:19]
	s_clause 0x2
	buffer_load_dword v124, off, s[0:3], 0 offset:828
	buffer_load_dword v19, off, s[0:3], 0 offset:804
	;; [unrolled: 1-line block ×3, first 2 shown]
	s_waitcnt vmcnt(58) lgkmcnt(0)
	v_mul_f64 v[30:31], v[1:2], v[26:27]
	v_mul_f64 v[26:27], v[3:4], v[26:27]
	s_waitcnt vmcnt(56)
	v_fma_f64 v[24:25], v[5:6], v[32:33], -v[24:25]
	ds_read_b128 v[12:15], v11 offset:1584
	v_add_f64 v[16:17], v[16:17], v[20:21]
	v_fma_f64 v[20:21], v[7:8], v[32:33], v[126:127]
	v_add_f64 v[9:10], v[9:10], v[22:23]
	s_clause 0x4
	buffer_load_dword v23, off, s[0:3], 0 offset:844
	buffer_load_dword v32, off, s[0:3], 0 offset:856
	;; [unrolled: 1-line block ×5, first 2 shown]
	ds_read_b128 v[5:8], v11 offset:1600
	s_waitcnt vmcnt(57) lgkmcnt(1)
	v_mul_f64 v[127:128], v[12:13], v[34:35]
	v_mul_f64 v[34:35], v[14:15], v[34:35]
	s_waitcnt vmcnt(56)
	v_fma_f64 v[26:27], v[1:2], v[28:29], -v[26:27]
	v_add_f64 v[16:17], v[16:17], v[24:25]
	v_fma_f64 v[24:25], v[3:4], v[28:29], v[30:31]
	v_add_f64 v[9:10], v[9:10], v[20:21]
	s_clause 0x2
	buffer_load_dword v33, off, s[0:3], 0 offset:860
	buffer_load_dword v21, off, s[0:3], 0 offset:836
	;; [unrolled: 1-line block ×3, first 2 shown]
	s_waitcnt vmcnt(58) lgkmcnt(0)
	v_mul_f64 v[30:31], v[7:8], v[36:37]
	ds_read_b128 v[1:4], v11 offset:1616
	s_waitcnt vmcnt(56)
	v_fma_f64 v[34:35], v[12:13], v[40:41], -v[34:35]
	v_mul_f64 v[28:29], v[5:6], v[36:37]
	v_add_f64 v[16:17], v[16:17], v[26:27]
	v_fma_f64 v[26:27], v[14:15], v[40:41], v[127:128]
	v_add_f64 v[9:10], v[9:10], v[24:25]
	s_clause 0x4
	buffer_load_dword v25, off, s[0:3], 0 offset:876
	buffer_load_dword v36, off, s[0:3], 0 offset:888
	buffer_load_dword v40, off, s[0:3], 0 offset:880
	buffer_load_dword v24, off, s[0:3], 0 offset:872
	buffer_load_dword v96, off, s[0:3], 0 offset:852
	s_waitcnt vmcnt(57) lgkmcnt(0)
	v_mul_f64 v[127:128], v[1:2], v[42:43]
	v_mul_f64 v[41:42], v[3:4], v[42:43]
	s_waitcnt vmcnt(56)
	v_fma_f64 v[30:31], v[5:6], v[38:39], -v[30:31]
	ds_read_b128 v[12:15], v11 offset:1632
	v_fma_f64 v[28:29], v[7:8], v[38:39], v[28:29]
	v_add_f64 v[16:17], v[16:17], v[34:35]
	v_add_f64 v[9:10], v[9:10], v[26:27]
	s_clause 0x2
	buffer_load_dword v37, off, s[0:3], 0 offset:892
	buffer_load_dword v27, off, s[0:3], 0 offset:868
	buffer_load_dword v26, off, s[0:3], 0 offset:864
	ds_read_b128 v[5:8], v11 offset:1648
	s_waitcnt vmcnt(58) lgkmcnt(1)
	v_mul_f64 v[38:39], v[14:15], v[44:45]
	s_waitcnt vmcnt(56)
	v_fma_f64 v[42:43], v[1:2], v[48:49], -v[41:42]
	v_mul_f64 v[34:35], v[12:13], v[44:45]
	v_add_f64 v[16:17], v[16:17], v[30:31]
	v_fma_f64 v[30:31], v[3:4], v[48:49], v[127:128]
	v_add_f64 v[9:10], v[9:10], v[28:29]
	s_clause 0x4
	buffer_load_dword v29, off, s[0:3], 0 offset:908
	buffer_load_dword v44, off, s[0:3], 0 offset:920
	buffer_load_dword v48, off, s[0:3], 0 offset:912
	buffer_load_dword v28, off, s[0:3], 0 offset:904
	buffer_load_dword v41, off, s[0:3], 0 offset:884
	s_waitcnt vmcnt(57) lgkmcnt(0)
	v_mul_f64 v[127:128], v[5:6], v[50:51]
	v_mul_f64 v[49:50], v[7:8], v[50:51]
	s_waitcnt vmcnt(56)
	v_fma_f64 v[38:39], v[12:13], v[46:47], -v[38:39]
	ds_read_b128 v[1:4], v11 offset:1664
	v_fma_f64 v[34:35], v[14:15], v[46:47], v[34:35]
	v_add_f64 v[16:17], v[16:17], v[42:43]
	v_add_f64 v[9:10], v[9:10], v[30:31]
	s_clause 0x2
	buffer_load_dword v45, off, s[0:3], 0 offset:924
	buffer_load_dword v31, off, s[0:3], 0 offset:900
	buffer_load_dword v30, off, s[0:3], 0 offset:896
	ds_read_b128 v[12:15], v11 offset:1680
	s_waitcnt vmcnt(58) lgkmcnt(1)
	v_mul_f64 v[46:47], v[3:4], v[52:53]
	;; [unrolled: 28-line block ×4, first 2 shown]
	s_waitcnt vmcnt(56)
	v_fma_f64 v[66:67], v[1:2], v[74:75], -v[65:66]
	v_mul_f64 v[58:59], v[12:13], v[70:71]
	v_add_f64 v[16:17], v[16:17], v[54:55]
	v_fma_f64 v[54:55], v[3:4], v[74:75], v[127:128]
	v_add_f64 v[9:10], v[9:10], v[50:51]
	s_clause 0x2
	buffer_load_dword v51, off, s[0:3], 0 offset:1004
	buffer_load_dword v50, off, s[0:3], 0 offset:1000
	;; [unrolled: 1-line block ×3, first 2 shown]
	s_waitcnt vmcnt(55) lgkmcnt(0)
	v_mul_f64 v[74:75], v[7:8], v[78:79]
	s_waitcnt vmcnt(54)
	v_fma_f64 v[62:63], v[12:13], v[72:73], -v[62:63]
	ds_read_b128 v[1:4], v11 offset:1760
	v_mul_f64 v[70:71], v[5:6], v[78:79]
	v_fma_f64 v[58:59], v[14:15], v[72:73], v[58:59]
	v_add_f64 v[16:17], v[16:17], v[66:67]
	v_add_f64 v[9:10], v[9:10], v[54:55]
	s_clause 0x1
	buffer_load_dword v55, off, s[0:3], 0 offset:996
	buffer_load_dword v54, off, s[0:3], 0 offset:992
	s_waitcnt vmcnt(55) lgkmcnt(0)
	v_mul_f64 v[72:73], v[3:4], v[84:85]
	s_waitcnt vmcnt(53)
	v_fma_f64 v[74:75], v[5:6], v[93:94], -v[74:75]
	ds_read_b128 v[12:15], v11 offset:1776
	v_mul_f64 v[66:67], v[1:2], v[84:85]
	v_add_f64 v[16:17], v[16:17], v[62:63]
	v_fma_f64 v[62:63], v[7:8], v[93:94], v[70:71]
	v_add_f64 v[9:10], v[9:10], v[58:59]
	ds_read_b128 v[5:8], v11 offset:1792
	s_waitcnt vmcnt(49) lgkmcnt(1)
	v_mul_f64 v[70:71], v[14:15], v[76:77]
	s_waitcnt vmcnt(48)
	v_fma_f64 v[72:73], v[1:2], v[86:87], -v[72:73]
	v_mul_f64 v[58:59], v[12:13], v[76:77]
	v_fma_f64 v[66:67], v[3:4], v[86:87], v[66:67]
	v_add_f64 v[16:17], v[16:17], v[74:75]
	v_add_f64 v[9:10], v[9:10], v[62:63]
	s_clause 0x3
	buffer_load_dword v62, off, s[0:3], 0 offset:512
	buffer_load_dword v63, off, s[0:3], 0 offset:516
	;; [unrolled: 1-line block ×4, first 2 shown]
	ds_read_b128 v[1:4], v11 offset:1808
	s_waitcnt vmcnt(51) lgkmcnt(1)
	v_mul_f64 v[78:79], v[7:8], v[123:124]
	v_mul_f64 v[76:77], v[5:6], v[123:124]
	s_waitcnt vmcnt(49)
	v_fma_f64 v[70:71], v[12:13], v[18:19], -v[70:71]
	v_fma_f64 v[18:19], v[14:15], v[18:19], v[58:59]
	ds_read_b128 v[12:15], v11 offset:1824
	v_add_f64 v[16:17], v[16:17], v[72:73]
	v_add_f64 v[9:10], v[9:10], v[66:67]
	s_waitcnt vmcnt(45) lgkmcnt(1)
	v_mul_f64 v[58:59], v[1:2], v[22:23]
	v_mul_f64 v[22:23], v[3:4], v[22:23]
	s_waitcnt vmcnt(44)
	v_fma_f64 v[66:67], v[5:6], v[125:126], -v[78:79]
	v_add_f64 v[16:17], v[16:17], v[70:71]
	v_fma_f64 v[70:71], v[7:8], v[125:126], v[76:77]
	v_add_f64 v[9:10], v[9:10], v[18:19]
	ds_read_b128 v[5:8], v11 offset:1840
	s_waitcnt vmcnt(43) lgkmcnt(1)
	v_mul_f64 v[18:19], v[12:13], v[32:33]
	v_mul_f64 v[32:33], v[14:15], v[32:33]
	s_waitcnt vmcnt(41)
	v_fma_f64 v[22:23], v[1:2], v[20:21], -v[22:23]
	v_fma_f64 v[20:21], v[3:4], v[20:21], v[58:59]
	ds_read_b128 v[1:4], v11 offset:1856
	v_add_f64 v[16:17], v[16:17], v[66:67]
	v_add_f64 v[9:10], v[9:10], v[70:71]
	s_waitcnt vmcnt(37) lgkmcnt(1)
	v_mul_f64 v[58:59], v[5:6], v[24:25]
	v_mul_f64 v[24:25], v[7:8], v[24:25]
	s_waitcnt vmcnt(36)
	v_fma_f64 v[32:33], v[12:13], v[95:96], -v[32:33]
	v_fma_f64 v[18:19], v[14:15], v[95:96], v[18:19]
	ds_read_b128 v[12:15], v11 offset:1872
	v_add_f64 v[16:17], v[16:17], v[22:23]
	v_add_f64 v[9:10], v[9:10], v[20:21]
	s_waitcnt vmcnt(35) lgkmcnt(1)
	v_mul_f64 v[22:23], v[3:4], v[36:37]
	v_mul_f64 v[20:21], v[1:2], v[36:37]
	s_waitcnt vmcnt(33)
	v_fma_f64 v[24:25], v[5:6], v[26:27], -v[24:25]
	v_fma_f64 v[26:27], v[7:8], v[26:27], v[58:59]
	ds_read_b128 v[5:8], v11 offset:1888
	v_add_f64 v[16:17], v[16:17], v[32:33]
	v_add_f64 v[9:10], v[9:10], v[18:19]
	s_waitcnt vmcnt(29) lgkmcnt(1)
	v_mul_f64 v[18:19], v[12:13], v[28:29]
	v_mul_f64 v[28:29], v[14:15], v[28:29]
	s_waitcnt vmcnt(28)
	v_fma_f64 v[22:23], v[1:2], v[40:41], -v[22:23]
	v_fma_f64 v[20:21], v[3:4], v[40:41], v[20:21]
	ds_read_b128 v[1:4], v11 offset:1904
	v_add_f64 v[16:17], v[16:17], v[24:25]
	v_add_f64 v[9:10], v[9:10], v[26:27]
	s_waitcnt vmcnt(27) lgkmcnt(1)
	v_mul_f64 v[26:27], v[7:8], v[44:45]
	v_mul_f64 v[24:25], v[5:6], v[44:45]
	s_waitcnt vmcnt(25)
	v_fma_f64 v[28:29], v[12:13], v[30:31], -v[28:29]
	v_fma_f64 v[18:19], v[14:15], v[30:31], v[18:19]
	ds_read_b128 v[12:15], v11 offset:1920
	v_add_f64 v[16:17], v[16:17], v[22:23]
	v_add_f64 v[9:10], v[9:10], v[20:21]
	s_waitcnt vmcnt(21) lgkmcnt(1)
	v_mul_f64 v[22:23], v[3:4], v[34:35]
	s_waitcnt vmcnt(20)
	v_fma_f64 v[26:27], v[5:6], v[48:49], -v[26:27]
	v_mul_f64 v[20:21], v[1:2], v[34:35]
	v_fma_f64 v[24:25], v[7:8], v[48:49], v[24:25]
	ds_read_b128 v[5:8], v11 offset:1936
	v_add_f64 v[16:17], v[16:17], v[28:29]
	v_add_f64 v[9:10], v[9:10], v[18:19]
	s_waitcnt vmcnt(19) lgkmcnt(1)
	v_mul_f64 v[28:29], v[14:15], v[52:53]
	v_mul_f64 v[18:19], v[12:13], v[52:53]
	s_waitcnt vmcnt(17)
	v_fma_f64 v[22:23], v[1:2], v[38:39], -v[22:23]
	v_fma_f64 v[20:21], v[3:4], v[38:39], v[20:21]
	ds_read_b128 v[1:4], v11 offset:1952
	v_add_f64 v[16:17], v[16:17], v[26:27]
	v_add_f64 v[9:10], v[9:10], v[24:25]
	s_waitcnt vmcnt(13) lgkmcnt(1)
	v_mul_f64 v[26:27], v[7:8], v[42:43]
	s_waitcnt vmcnt(12)
	v_fma_f64 v[28:29], v[12:13], v[56:57], -v[28:29]
	v_mul_f64 v[24:25], v[5:6], v[42:43]
	v_fma_f64 v[13:14], v[14:15], v[56:57], v[18:19]
	v_add_f64 v[16:17], v[16:17], v[22:23]
	v_add_f64 v[18:19], v[9:10], v[20:21]
	ds_read_b128 v[9:12], v11 offset:1968
	s_waitcnt vmcnt(11) lgkmcnt(1)
	v_mul_f64 v[22:23], v[3:4], v[60:61]
	v_mul_f64 v[20:21], v[1:2], v[60:61]
	s_waitcnt vmcnt(9)
	v_fma_f64 v[5:6], v[5:6], v[46:47], -v[26:27]
	v_fma_f64 v[7:8], v[7:8], v[46:47], v[24:25]
	v_add_f64 v[15:16], v[16:17], v[28:29]
	v_add_f64 v[13:14], v[18:19], v[13:14]
	s_waitcnt vmcnt(7) lgkmcnt(0)
	v_mul_f64 v[24:25], v[11:12], v[50:51]
	s_waitcnt vmcnt(6)
	v_fma_f64 v[1:2], v[1:2], v[64:65], -v[22:23]
	v_mul_f64 v[17:18], v[9:10], v[50:51]
	v_fma_f64 v[3:4], v[3:4], v[64:65], v[20:21]
	v_add_f64 v[5:6], v[15:16], v[5:6]
	v_add_f64 v[7:8], v[13:14], v[7:8]
	s_waitcnt vmcnt(4)
	v_fma_f64 v[9:10], v[9:10], v[54:55], -v[24:25]
	v_add_f64 v[1:2], v[5:6], v[1:2]
	v_fma_f64 v[5:6], v[11:12], v[54:55], v[17:18]
	v_add_f64 v[3:4], v[7:8], v[3:4]
	v_add_f64 v[1:2], v[1:2], v[9:10]
	;; [unrolled: 1-line block ×3, first 2 shown]
	s_waitcnt vmcnt(2)
	v_add_f64 v[1:2], v[62:63], -v[1:2]
	s_waitcnt vmcnt(0)
	v_add_f64 v[3:4], v[74:75], -v[3:4]
	buffer_store_dword v2, off, s[0:3], 0 offset:516
	buffer_store_dword v1, off, s[0:3], 0 offset:512
	;; [unrolled: 1-line block ×4, first 2 shown]
	v_cmpx_lt_u32_e32 30, v0
	s_cbranch_execz .LBB61_337
; %bb.336:
	v_mov_b32_e32 v4, s46
	v_mov_b32_e32 v5, 0
	s_clause 0x3
	buffer_load_dword v1, v4, s[0:3], 0 offen
	buffer_load_dword v2, v4, s[0:3], 0 offen offset:4
	buffer_load_dword v3, v4, s[0:3], 0 offen offset:8
	;; [unrolled: 1-line block ×3, first 2 shown]
	buffer_store_dword v5, off, s[0:3], 0 offset:496
	buffer_store_dword v5, off, s[0:3], 0 offset:500
	;; [unrolled: 1-line block ×4, first 2 shown]
	s_waitcnt vmcnt(0)
	ds_write_b128 v69, v[1:4]
.LBB61_337:
	s_or_b32 exec_lo, exec_lo, s4
	s_waitcnt lgkmcnt(0)
	s_waitcnt_vscnt null, 0x0
	s_barrier
	buffer_gl0_inv
	s_clause 0x37
	buffer_load_dword v9, off, s[0:3], 0 offset:520
	buffer_load_dword v10, off, s[0:3], 0 offset:524
	;; [unrolled: 1-line block ×56, first 2 shown]
	v_mov_b32_e32 v29, 0
	s_mov_b32 s4, exec_lo
	ds_read_b128 v[17:20], v29 offset:1488
	s_clause 0x2
	buffer_load_dword v71, off, s[0:3], 0 offset:748
	buffer_load_dword v75, off, s[0:3], 0 offset:724
	;; [unrolled: 1-line block ×3, first 2 shown]
	ds_read_b128 v[21:24], v29 offset:1504
	s_clause 0x4
	buffer_load_dword v79, off, s[0:3], 0 offset:764
	buffer_load_dword v84, off, s[0:3], 0 offset:776
	;; [unrolled: 1-line block ×5, first 2 shown]
	ds_read_b128 v[25:28], v29 offset:1520
	s_clause 0x2
	buffer_load_dword v85, off, s[0:3], 0 offset:780
	buffer_load_dword v94, off, s[0:3], 0 offset:756
	;; [unrolled: 1-line block ×3, first 2 shown]
	s_waitcnt vmcnt(62) lgkmcnt(2)
	v_mul_f64 v[76:77], v[19:20], v[9:10]
	v_mul_f64 v[9:10], v[17:18], v[9:10]
	s_waitcnt lgkmcnt(1)
	v_mul_f64 v[87:88], v[23:24], v[5:6]
	s_waitcnt vmcnt(59) lgkmcnt(0)
	v_mul_f64 v[95:96], v[27:28], v[3:4]
	v_fma_f64 v[17:18], v[17:18], v[7:8], -v[76:77]
	v_mul_f64 v[76:77], v[21:22], v[5:6]
	v_fma_f64 v[9:10], v[19:20], v[7:8], v[9:10]
	s_waitcnt vmcnt(57)
	v_fma_f64 v[21:22], v[21:22], v[1:2], -v[87:88]
	ds_read_b128 v[5:8], v29 offset:1536
	v_mul_f64 v[19:20], v[25:26], v[3:4]
	s_waitcnt vmcnt(51)
	v_fma_f64 v[25:26], v[25:26], v[32:33], -v[95:96]
	v_add_f64 v[17:18], v[17:18], 0
	v_fma_f64 v[23:24], v[23:24], v[1:2], v[76:77]
	v_add_f64 v[9:10], v[9:10], 0
	s_clause 0x4
	buffer_load_dword v77, off, s[0:3], 0 offset:796
	buffer_load_dword v123, off, s[0:3], 0 offset:808
	buffer_load_dword v125, off, s[0:3], 0 offset:800
	buffer_load_dword v76, off, s[0:3], 0 offset:792
	buffer_load_dword v87, off, s[0:3], 0 offset:772
	s_waitcnt lgkmcnt(0)
	v_mul_f64 v[126:127], v[5:6], v[13:14]
	v_mul_f64 v[13:14], v[7:8], v[13:14]
	ds_read_b128 v[1:4], v29 offset:1552
	v_fma_f64 v[27:28], v[27:28], v[32:33], v[19:20]
	v_add_f64 v[21:22], v[17:18], v[21:22]
	v_add_f64 v[9:10], v[9:10], v[23:24]
	s_clause 0x2
	buffer_load_dword v124, off, s[0:3], 0 offset:812
	buffer_load_dword v24, off, s[0:3], 0 offset:788
	;; [unrolled: 1-line block ×3, first 2 shown]
	s_waitcnt vmcnt(58) lgkmcnt(0)
	v_mul_f64 v[32:33], v[1:2], v[30:31]
	v_mul_f64 v[30:31], v[3:4], v[30:31]
	s_waitcnt vmcnt(56)
	v_fma_f64 v[13:14], v[5:6], v[34:35], -v[13:14]
	ds_read_b128 v[17:20], v29 offset:1568
	v_add_f64 v[21:22], v[21:22], v[25:26]
	v_fma_f64 v[25:26], v[7:8], v[34:35], v[126:127]
	v_add_f64 v[9:10], v[9:10], v[27:28]
	s_clause 0x4
	buffer_load_dword v28, off, s[0:3], 0 offset:828
	buffer_load_dword v34, off, s[0:3], 0 offset:840
	;; [unrolled: 1-line block ×5, first 2 shown]
	ds_read_b128 v[5:8], v29 offset:1584
	s_waitcnt vmcnt(57) lgkmcnt(1)
	v_mul_f64 v[127:128], v[17:18], v[36:37]
	v_mul_f64 v[36:37], v[19:20], v[36:37]
	s_waitcnt vmcnt(56)
	v_fma_f64 v[30:31], v[1:2], v[11:12], -v[30:31]
	v_fma_f64 v[11:12], v[3:4], v[11:12], v[32:33]
	v_add_f64 v[13:14], v[21:22], v[13:14]
	s_clause 0x2
	buffer_load_dword v35, off, s[0:3], 0 offset:844
	buffer_load_dword v22, off, s[0:3], 0 offset:820
	;; [unrolled: 1-line block ×3, first 2 shown]
	v_add_f64 v[9:10], v[9:10], v[25:26]
	s_waitcnt vmcnt(58) lgkmcnt(0)
	v_mul_f64 v[32:33], v[7:8], v[38:39]
	ds_read_b128 v[1:4], v29 offset:1600
	v_mul_f64 v[25:26], v[5:6], v[38:39]
	s_waitcnt vmcnt(56)
	v_fma_f64 v[17:18], v[17:18], v[40:41], -v[36:37]
	v_fma_f64 v[19:20], v[19:20], v[40:41], v[127:128]
	s_clause 0x4
	buffer_load_dword v37, off, s[0:3], 0 offset:860
	buffer_load_dword v38, off, s[0:3], 0 offset:872
	;; [unrolled: 1-line block ×5, first 2 shown]
	v_add_f64 v[13:14], v[13:14], v[30:31]
	v_add_f64 v[30:31], v[9:10], v[11:12]
	s_waitcnt vmcnt(57) lgkmcnt(0)
	v_mul_f64 v[127:128], v[1:2], v[42:43]
	v_mul_f64 v[41:42], v[3:4], v[42:43]
	s_waitcnt vmcnt(56)
	v_fma_f64 v[32:33], v[5:6], v[15:16], -v[32:33]
	ds_read_b128 v[9:12], v29 offset:1616
	v_fma_f64 v[15:16], v[7:8], v[15:16], v[25:26]
	v_add_f64 v[13:14], v[13:14], v[17:18]
	v_add_f64 v[17:18], v[30:31], v[19:20]
	s_clause 0x2
	buffer_load_dword v39, off, s[0:3], 0 offset:876
	buffer_load_dword v20, off, s[0:3], 0 offset:852
	;; [unrolled: 1-line block ×3, first 2 shown]
	s_waitcnt vmcnt(58) lgkmcnt(0)
	v_mul_f64 v[30:31], v[11:12], v[44:45]
	s_waitcnt vmcnt(56)
	v_fma_f64 v[42:43], v[1:2], v[48:49], -v[41:42]
	ds_read_b128 v[5:8], v29 offset:1632
	v_mul_f64 v[25:26], v[9:10], v[44:45]
	v_add_f64 v[13:14], v[13:14], v[32:33]
	v_fma_f64 v[32:33], v[3:4], v[48:49], v[127:128]
	v_add_f64 v[15:16], v[17:18], v[15:16]
	s_clause 0x4
	buffer_load_dword v18, off, s[0:3], 0 offset:892
	buffer_load_dword v44, off, s[0:3], 0 offset:904
	buffer_load_dword v48, off, s[0:3], 0 offset:896
	buffer_load_dword v17, off, s[0:3], 0 offset:888
	buffer_load_dword v41, off, s[0:3], 0 offset:868
	s_waitcnt vmcnt(57) lgkmcnt(0)
	v_mul_f64 v[127:128], v[5:6], v[50:51]
	v_mul_f64 v[49:50], v[7:8], v[50:51]
	s_waitcnt vmcnt(56)
	v_fma_f64 v[30:31], v[9:10], v[46:47], -v[30:31]
	ds_read_b128 v[1:4], v29 offset:1648
	v_fma_f64 v[25:26], v[11:12], v[46:47], v[25:26]
	v_add_f64 v[13:14], v[13:14], v[42:43]
	v_add_f64 v[15:16], v[15:16], v[32:33]
	s_clause 0x2
	buffer_load_dword v45, off, s[0:3], 0 offset:908
	buffer_load_dword v33, off, s[0:3], 0 offset:884
	buffer_load_dword v32, off, s[0:3], 0 offset:880
	ds_read_b128 v[9:12], v29 offset:1664
	s_waitcnt vmcnt(58) lgkmcnt(1)
	v_mul_f64 v[46:47], v[3:4], v[52:53]
	s_waitcnt vmcnt(56)
	v_fma_f64 v[50:51], v[5:6], v[56:57], -v[49:50]
	v_mul_f64 v[42:43], v[1:2], v[52:53]
	v_add_f64 v[13:14], v[13:14], v[30:31]
	v_fma_f64 v[30:31], v[7:8], v[56:57], v[127:128]
	v_add_f64 v[15:16], v[15:16], v[25:26]
	s_clause 0x4
	buffer_load_dword v26, off, s[0:3], 0 offset:924
	buffer_load_dword v52, off, s[0:3], 0 offset:936
	buffer_load_dword v56, off, s[0:3], 0 offset:928
	buffer_load_dword v25, off, s[0:3], 0 offset:920
	buffer_load_dword v49, off, s[0:3], 0 offset:900
	s_waitcnt vmcnt(57) lgkmcnt(0)
	v_mul_f64 v[127:128], v[9:10], v[58:59]
	v_mul_f64 v[57:58], v[11:12], v[58:59]
	s_waitcnt vmcnt(56)
	v_fma_f64 v[46:47], v[1:2], v[54:55], -v[46:47]
	ds_read_b128 v[5:8], v29 offset:1680
	v_fma_f64 v[42:43], v[3:4], v[54:55], v[42:43]
	v_add_f64 v[13:14], v[13:14], v[50:51]
	v_add_f64 v[15:16], v[15:16], v[30:31]
	s_clause 0x2
	buffer_load_dword v53, off, s[0:3], 0 offset:940
	buffer_load_dword v31, off, s[0:3], 0 offset:916
	buffer_load_dword v30, off, s[0:3], 0 offset:912
	ds_read_b128 v[1:4], v29 offset:1696
	s_waitcnt vmcnt(58) lgkmcnt(1)
	v_mul_f64 v[54:55], v[7:8], v[60:61]
	s_waitcnt vmcnt(56)
	v_fma_f64 v[58:59], v[9:10], v[64:65], -v[57:58]
	;; [unrolled: 28-line block ×4, first 2 shown]
	v_mul_f64 v[66:67], v[1:2], v[84:85]
	buffer_load_dword v75, off, s[0:3], 0 offset:996
	v_add_f64 v[13:14], v[13:14], v[62:63]
	v_fma_f64 v[62:63], v[7:8], v[93:94], v[127:128]
	v_add_f64 v[15:16], v[15:16], v[58:59]
	ds_read_b128 v[5:8], v29 offset:1776
	s_waitcnt vmcnt(53) lgkmcnt(1)
	v_mul_f64 v[58:59], v[9:10], v[76:77]
	v_mul_f64 v[76:77], v[11:12], v[76:77]
	s_waitcnt vmcnt(52)
	v_fma_f64 v[72:73], v[1:2], v[86:87], -v[72:73]
	v_fma_f64 v[66:67], v[3:4], v[86:87], v[66:67]
	ds_read_b128 v[1:4], v29 offset:1792
	v_add_f64 v[13:14], v[13:14], v[78:79]
	v_add_f64 v[15:16], v[15:16], v[62:63]
	s_waitcnt vmcnt(51) lgkmcnt(1)
	v_mul_f64 v[78:79], v[7:8], v[123:124]
	v_mul_f64 v[62:63], v[5:6], v[123:124]
	s_waitcnt vmcnt(49)
	v_fma_f64 v[76:77], v[9:10], v[23:24], -v[76:77]
	v_fma_f64 v[23:24], v[11:12], v[23:24], v[58:59]
	v_add_f64 v[13:14], v[13:14], v[72:73]
	v_add_f64 v[15:16], v[15:16], v[66:67]
	s_clause 0x3
	buffer_load_dword v58, off, s[0:3], 0 offset:496
	buffer_load_dword v59, off, s[0:3], 0 offset:500
	;; [unrolled: 1-line block ×4, first 2 shown]
	ds_read_b128 v[9:12], v29 offset:1808
	s_waitcnt vmcnt(49) lgkmcnt(1)
	v_mul_f64 v[72:73], v[1:2], v[27:28]
	v_mul_f64 v[27:28], v[3:4], v[27:28]
	s_waitcnt vmcnt(48)
	v_fma_f64 v[78:79], v[5:6], v[125:126], -v[78:79]
	v_fma_f64 v[62:63], v[7:8], v[125:126], v[62:63]
	ds_read_b128 v[5:8], v29 offset:1824
	v_add_f64 v[13:14], v[13:14], v[76:77]
	v_add_f64 v[15:16], v[15:16], v[23:24]
	s_waitcnt vmcnt(47) lgkmcnt(1)
	v_mul_f64 v[23:24], v[9:10], v[34:35]
	v_mul_f64 v[34:35], v[11:12], v[34:35]
	s_waitcnt vmcnt(45)
	v_fma_f64 v[27:28], v[1:2], v[21:22], -v[27:28]
	v_fma_f64 v[21:22], v[3:4], v[21:22], v[72:73]
	ds_read_b128 v[1:4], v29 offset:1840
	v_add_f64 v[13:14], v[13:14], v[78:79]
	v_add_f64 v[15:16], v[15:16], v[62:63]
	s_waitcnt vmcnt(41) lgkmcnt(1)
	v_mul_f64 v[62:63], v[5:6], v[36:37]
	v_mul_f64 v[36:37], v[7:8], v[36:37]
	s_waitcnt vmcnt(40)
	v_fma_f64 v[23:24], v[11:12], v[95:96], v[23:24]
	v_fma_f64 v[34:35], v[9:10], v[95:96], -v[34:35]
	ds_read_b128 v[9:12], v29 offset:1856
	v_add_f64 v[13:14], v[13:14], v[27:28]
	v_add_f64 v[15:16], v[15:16], v[21:22]
	s_waitcnt vmcnt(39) lgkmcnt(1)
	v_mul_f64 v[27:28], v[3:4], v[38:39]
	v_mul_f64 v[21:22], v[1:2], v[38:39]
	s_waitcnt vmcnt(37)
	v_fma_f64 v[36:37], v[5:6], v[19:20], -v[36:37]
	v_fma_f64 v[19:20], v[7:8], v[19:20], v[62:63]
	ds_read_b128 v[5:8], v29 offset:1872
	v_add_f64 v[13:14], v[13:14], v[34:35]
	v_add_f64 v[15:16], v[15:16], v[23:24]
	s_waitcnt vmcnt(33) lgkmcnt(1)
	v_mul_f64 v[23:24], v[9:10], v[17:18]
	v_mul_f64 v[17:18], v[11:12], v[17:18]
	s_waitcnt vmcnt(32)
	v_fma_f64 v[27:28], v[1:2], v[40:41], -v[27:28]
	v_fma_f64 v[21:22], v[3:4], v[40:41], v[21:22]
	;; [unrolled: 9-line block ×3, first 2 shown]
	ds_read_b128 v[9:12], v29 offset:1904
	v_add_f64 v[13:14], v[13:14], v[27:28]
	v_add_f64 v[15:16], v[15:16], v[21:22]
	s_waitcnt vmcnt(25) lgkmcnt(1)
	v_mul_f64 v[21:22], v[1:2], v[25:26]
	v_mul_f64 v[25:26], v[3:4], v[25:26]
	s_waitcnt vmcnt(24)
	v_fma_f64 v[27:28], v[5:6], v[48:49], -v[34:35]
	v_add_f64 v[13:14], v[13:14], v[17:18]
	v_fma_f64 v[17:18], v[7:8], v[48:49], v[19:20]
	v_add_f64 v[15:16], v[15:16], v[23:24]
	ds_read_b128 v[5:8], v29 offset:1920
	s_waitcnt vmcnt(23) lgkmcnt(1)
	v_mul_f64 v[23:24], v[11:12], v[52:53]
	v_mul_f64 v[19:20], v[9:10], v[52:53]
	s_waitcnt vmcnt(21)
	v_fma_f64 v[25:26], v[1:2], v[30:31], -v[25:26]
	v_fma_f64 v[21:22], v[3:4], v[30:31], v[21:22]
	ds_read_b128 v[1:4], v29 offset:1936
	v_add_f64 v[13:14], v[13:14], v[27:28]
	v_add_f64 v[15:16], v[15:16], v[17:18]
	s_waitcnt vmcnt(17) lgkmcnt(1)
	v_mul_f64 v[27:28], v[7:8], v[42:43]
	s_waitcnt vmcnt(16)
	v_fma_f64 v[23:24], v[9:10], v[56:57], -v[23:24]
	v_mul_f64 v[17:18], v[5:6], v[42:43]
	v_fma_f64 v[19:20], v[11:12], v[56:57], v[19:20]
	ds_read_b128 v[9:12], v29 offset:1952
	v_add_f64 v[13:14], v[13:14], v[25:26]
	v_add_f64 v[15:16], v[15:16], v[21:22]
	s_waitcnt vmcnt(15) lgkmcnt(1)
	v_mul_f64 v[25:26], v[3:4], v[60:61]
	v_mul_f64 v[21:22], v[1:2], v[60:61]
	s_waitcnt vmcnt(13)
	v_fma_f64 v[27:28], v[5:6], v[46:47], -v[27:28]
	v_fma_f64 v[17:18], v[7:8], v[46:47], v[17:18]
	ds_read_b128 v[5:8], v29 offset:1968
	v_add_f64 v[13:14], v[13:14], v[23:24]
	v_add_f64 v[15:16], v[15:16], v[19:20]
	s_waitcnt vmcnt(9) lgkmcnt(1)
	v_mul_f64 v[23:24], v[11:12], v[50:51]
	s_waitcnt vmcnt(8)
	v_fma_f64 v[1:2], v[1:2], v[64:65], -v[25:26]
	v_mul_f64 v[19:20], v[9:10], v[50:51]
	v_fma_f64 v[3:4], v[3:4], v[64:65], v[21:22]
	v_add_f64 v[13:14], v[13:14], v[27:28]
	v_add_f64 v[15:16], v[15:16], v[17:18]
	s_waitcnt vmcnt(7) lgkmcnt(0)
	v_mul_f64 v[21:22], v[7:8], v[70:71]
	v_mul_f64 v[17:18], v[5:6], v[70:71]
	s_waitcnt vmcnt(5)
	v_fma_f64 v[9:10], v[9:10], v[54:55], -v[23:24]
	v_fma_f64 v[11:12], v[11:12], v[54:55], v[19:20]
	v_add_f64 v[1:2], v[13:14], v[1:2]
	v_add_f64 v[3:4], v[15:16], v[3:4]
	s_waitcnt vmcnt(4)
	v_fma_f64 v[5:6], v[5:6], v[74:75], -v[21:22]
	v_fma_f64 v[7:8], v[7:8], v[74:75], v[17:18]
	v_add_f64 v[1:2], v[1:2], v[9:10]
	v_add_f64 v[3:4], v[3:4], v[11:12]
	;; [unrolled: 1-line block ×4, first 2 shown]
	s_waitcnt vmcnt(2)
	v_add_f64 v[1:2], v[58:59], -v[1:2]
	s_waitcnt vmcnt(0)
	v_add_f64 v[3:4], v[66:67], -v[3:4]
	buffer_store_dword v2, off, s[0:3], 0 offset:500
	buffer_store_dword v1, off, s[0:3], 0 offset:496
	;; [unrolled: 1-line block ×4, first 2 shown]
	v_cmpx_lt_u32_e32 29, v0
	s_cbranch_execz .LBB61_339
; %bb.338:
	v_mov_b32_e32 v4, s47
	s_clause 0x3
	buffer_load_dword v1, v4, s[0:3], 0 offen
	buffer_load_dword v2, v4, s[0:3], 0 offen offset:4
	buffer_load_dword v3, v4, s[0:3], 0 offen offset:8
	;; [unrolled: 1-line block ×3, first 2 shown]
	buffer_store_dword v29, off, s[0:3], 0 offset:480
	buffer_store_dword v29, off, s[0:3], 0 offset:484
	buffer_store_dword v29, off, s[0:3], 0 offset:488
	buffer_store_dword v29, off, s[0:3], 0 offset:492
	s_waitcnt vmcnt(0)
	ds_write_b128 v69, v[1:4]
.LBB61_339:
	s_or_b32 exec_lo, exec_lo, s4
	s_waitcnt lgkmcnt(0)
	s_waitcnt_vscnt null, 0x0
	s_barrier
	buffer_gl0_inv
	s_clause 0x37
	buffer_load_dword v9, off, s[0:3], 0 offset:504
	buffer_load_dword v10, off, s[0:3], 0 offset:508
	;; [unrolled: 1-line block ×56, first 2 shown]
	ds_read_b128 v[30:33], v29 offset:1472
	s_clause 0x2
	buffer_load_dword v71, off, s[0:3], 0 offset:732
	buffer_load_dword v75, off, s[0:3], 0 offset:708
	buffer_load_dword v74, off, s[0:3], 0 offset:704
	ds_read_b128 v[34:37], v29 offset:1488
	s_clause 0x4
	buffer_load_dword v79, off, s[0:3], 0 offset:748
	buffer_load_dword v84, off, s[0:3], 0 offset:760
	;; [unrolled: 1-line block ×5, first 2 shown]
	ds_read_b128 v[38:41], v29 offset:1504
	s_clause 0x2
	buffer_load_dword v85, off, s[0:3], 0 offset:764
	buffer_load_dword v94, off, s[0:3], 0 offset:740
	;; [unrolled: 1-line block ×3, first 2 shown]
	s_mov_b32 s4, exec_lo
	s_waitcnt vmcnt(62) lgkmcnt(2)
	v_mul_f64 v[76:77], v[32:33], v[9:10]
	v_mul_f64 v[9:10], v[30:31], v[9:10]
	s_waitcnt lgkmcnt(1)
	v_mul_f64 v[87:88], v[36:37], v[5:6]
	s_waitcnt vmcnt(59) lgkmcnt(0)
	v_mul_f64 v[95:96], v[40:41], v[3:4]
	v_fma_f64 v[30:31], v[30:31], v[7:8], -v[76:77]
	v_mul_f64 v[76:77], v[34:35], v[5:6]
	v_fma_f64 v[9:10], v[32:33], v[7:8], v[9:10]
	s_waitcnt vmcnt(57)
	v_fma_f64 v[34:35], v[34:35], v[1:2], -v[87:88]
	ds_read_b128 v[5:8], v29 offset:1520
	v_mul_f64 v[32:33], v[38:39], v[3:4]
	s_waitcnt vmcnt(51)
	v_fma_f64 v[38:39], v[38:39], v[25:26], -v[95:96]
	v_add_f64 v[30:31], v[30:31], 0
	v_fma_f64 v[36:37], v[36:37], v[1:2], v[76:77]
	v_add_f64 v[9:10], v[9:10], 0
	s_clause 0x4
	buffer_load_dword v77, off, s[0:3], 0 offset:780
	buffer_load_dword v123, off, s[0:3], 0 offset:792
	;; [unrolled: 1-line block ×5, first 2 shown]
	s_waitcnt lgkmcnt(0)
	v_mul_f64 v[126:127], v[5:6], v[13:14]
	v_mul_f64 v[13:14], v[7:8], v[13:14]
	ds_read_b128 v[1:4], v29 offset:1536
	v_fma_f64 v[25:26], v[40:41], v[25:26], v[32:33]
	v_add_f64 v[34:35], v[30:31], v[34:35]
	v_add_f64 v[9:10], v[9:10], v[36:37]
	s_clause 0x2
	buffer_load_dword v124, off, s[0:3], 0 offset:796
	buffer_load_dword v37, off, s[0:3], 0 offset:772
	;; [unrolled: 1-line block ×3, first 2 shown]
	s_waitcnt vmcnt(58) lgkmcnt(0)
	v_mul_f64 v[40:41], v[1:2], v[17:18]
	v_mul_f64 v[17:18], v[3:4], v[17:18]
	s_waitcnt vmcnt(56)
	v_fma_f64 v[13:14], v[5:6], v[19:20], -v[13:14]
	ds_read_b128 v[30:33], v29 offset:1552
	v_fma_f64 v[19:20], v[7:8], v[19:20], v[126:127]
	v_add_f64 v[34:35], v[34:35], v[38:39]
	v_add_f64 v[9:10], v[9:10], v[25:26]
	s_clause 0x4
	buffer_load_dword v26, off, s[0:3], 0 offset:812
	buffer_load_dword v38, off, s[0:3], 0 offset:824
	;; [unrolled: 1-line block ×5, first 2 shown]
	ds_read_b128 v[5:8], v29 offset:1568
	s_waitcnt vmcnt(57) lgkmcnt(1)
	v_mul_f64 v[127:128], v[30:31], v[21:22]
	v_mul_f64 v[21:22], v[32:33], v[21:22]
	s_waitcnt vmcnt(56)
	v_fma_f64 v[17:18], v[1:2], v[11:12], -v[17:18]
	v_fma_f64 v[11:12], v[3:4], v[11:12], v[40:41]
	v_add_f64 v[13:14], v[34:35], v[13:14]
	v_add_f64 v[9:10], v[9:10], v[19:20]
	s_clause 0x2
	buffer_load_dword v39, off, s[0:3], 0 offset:828
	buffer_load_dword v20, off, s[0:3], 0 offset:804
	;; [unrolled: 1-line block ×3, first 2 shown]
	s_waitcnt vmcnt(58) lgkmcnt(0)
	v_mul_f64 v[34:35], v[5:6], v[27:28]
	v_mul_f64 v[27:28], v[7:8], v[27:28]
	s_waitcnt vmcnt(56)
	v_fma_f64 v[21:22], v[30:31], v[42:43], -v[21:22]
	ds_read_b128 v[1:4], v29 offset:1584
	v_add_f64 v[13:14], v[13:14], v[17:18]
	v_fma_f64 v[17:18], v[32:33], v[42:43], v[127:128]
	v_add_f64 v[30:31], v[9:10], v[11:12]
	s_clause 0x4
	buffer_load_dword v33, off, s[0:3], 0 offset:844
	buffer_load_dword v40, off, s[0:3], 0 offset:856
	;; [unrolled: 1-line block ×5, first 2 shown]
	ds_read_b128 v[9:12], v29 offset:1600
	s_waitcnt vmcnt(57) lgkmcnt(1)
	v_mul_f64 v[127:128], v[1:2], v[44:45]
	v_mul_f64 v[43:44], v[3:4], v[44:45]
	s_waitcnt vmcnt(56)
	v_fma_f64 v[27:28], v[5:6], v[15:16], -v[27:28]
	v_fma_f64 v[15:16], v[7:8], v[15:16], v[34:35]
	v_add_f64 v[13:14], v[13:14], v[21:22]
	s_clause 0x2
	buffer_load_dword v41, off, s[0:3], 0 offset:860
	buffer_load_dword v22, off, s[0:3], 0 offset:836
	;; [unrolled: 1-line block ×3, first 2 shown]
	v_add_f64 v[17:18], v[30:31], v[17:18]
	s_waitcnt vmcnt(58) lgkmcnt(0)
	v_mul_f64 v[34:35], v[11:12], v[46:47]
	ds_read_b128 v[5:8], v29 offset:1616
	v_mul_f64 v[30:31], v[9:10], v[46:47]
	s_waitcnt vmcnt(56)
	v_fma_f64 v[44:45], v[1:2], v[48:49], -v[43:44]
	v_add_f64 v[13:14], v[13:14], v[27:28]
	v_fma_f64 v[27:28], v[3:4], v[48:49], v[127:128]
	v_add_f64 v[15:16], v[17:18], v[15:16]
	s_clause 0x4
	buffer_load_dword v18, off, s[0:3], 0 offset:876
	buffer_load_dword v46, off, s[0:3], 0 offset:888
	buffer_load_dword v48, off, s[0:3], 0 offset:880
	buffer_load_dword v17, off, s[0:3], 0 offset:872
	buffer_load_dword v43, off, s[0:3], 0 offset:852
	s_waitcnt vmcnt(57) lgkmcnt(0)
	v_mul_f64 v[127:128], v[5:6], v[50:51]
	v_mul_f64 v[49:50], v[7:8], v[50:51]
	s_waitcnt vmcnt(56)
	v_fma_f64 v[34:35], v[9:10], v[23:24], -v[34:35]
	ds_read_b128 v[1:4], v29 offset:1632
	v_fma_f64 v[23:24], v[11:12], v[23:24], v[30:31]
	v_add_f64 v[13:14], v[13:14], v[44:45]
	v_add_f64 v[15:16], v[15:16], v[27:28]
	s_clause 0x2
	buffer_load_dword v47, off, s[0:3], 0 offset:892
	buffer_load_dword v28, off, s[0:3], 0 offset:868
	buffer_load_dword v27, off, s[0:3], 0 offset:864
	ds_read_b128 v[9:12], v29 offset:1648
	s_waitcnt vmcnt(58) lgkmcnt(1)
	v_mul_f64 v[44:45], v[3:4], v[52:53]
	s_waitcnt vmcnt(56)
	v_fma_f64 v[50:51], v[5:6], v[56:57], -v[49:50]
	v_mul_f64 v[30:31], v[1:2], v[52:53]
	v_add_f64 v[13:14], v[13:14], v[34:35]
	v_fma_f64 v[34:35], v[7:8], v[56:57], v[127:128]
	v_add_f64 v[15:16], v[15:16], v[23:24]
	s_clause 0x4
	buffer_load_dword v24, off, s[0:3], 0 offset:908
	buffer_load_dword v52, off, s[0:3], 0 offset:920
	buffer_load_dword v56, off, s[0:3], 0 offset:912
	buffer_load_dword v23, off, s[0:3], 0 offset:904
	buffer_load_dword v49, off, s[0:3], 0 offset:884
	s_waitcnt vmcnt(57) lgkmcnt(0)
	v_mul_f64 v[127:128], v[9:10], v[58:59]
	v_mul_f64 v[57:58], v[11:12], v[58:59]
	s_waitcnt vmcnt(56)
	v_fma_f64 v[44:45], v[1:2], v[54:55], -v[44:45]
	ds_read_b128 v[5:8], v29 offset:1664
	v_fma_f64 v[30:31], v[3:4], v[54:55], v[30:31]
	v_add_f64 v[13:14], v[13:14], v[50:51]
	v_add_f64 v[15:16], v[15:16], v[34:35]
	s_clause 0x2
	buffer_load_dword v53, off, s[0:3], 0 offset:924
	buffer_load_dword v35, off, s[0:3], 0 offset:900
	buffer_load_dword v34, off, s[0:3], 0 offset:896
	ds_read_b128 v[1:4], v29 offset:1680
	s_waitcnt vmcnt(58) lgkmcnt(1)
	v_mul_f64 v[54:55], v[7:8], v[60:61]
	s_waitcnt vmcnt(56)
	v_fma_f64 v[58:59], v[9:10], v[64:65], -v[57:58]
	v_mul_f64 v[50:51], v[5:6], v[60:61]
	;; [unrolled: 28-line block ×4, first 2 shown]
	v_add_f64 v[13:14], v[13:14], v[62:63]
	v_fma_f64 v[62:63], v[7:8], v[93:94], v[127:128]
	v_add_f64 v[15:16], v[15:16], v[58:59]
	s_clause 0x2
	buffer_load_dword v59, off, s[0:3], 0 offset:1004
	buffer_load_dword v58, off, s[0:3], 0 offset:1000
	;; [unrolled: 1-line block ×3, first 2 shown]
	ds_read_b128 v[5:8], v29 offset:1760
	s_waitcnt vmcnt(55) lgkmcnt(1)
	v_mul_f64 v[84:85], v[9:10], v[76:77]
	v_mul_f64 v[76:77], v[11:12], v[76:77]
	s_waitcnt vmcnt(54)
	v_fma_f64 v[72:73], v[1:2], v[86:87], -v[72:73]
	v_fma_f64 v[66:67], v[3:4], v[86:87], v[66:67]
	v_add_f64 v[13:14], v[13:14], v[78:79]
	v_add_f64 v[15:16], v[15:16], v[62:63]
	s_clause 0x1
	buffer_load_dword v63, off, s[0:3], 0 offset:996
	buffer_load_dword v62, off, s[0:3], 0 offset:992
	ds_read_b128 v[1:4], v29 offset:1776
	s_waitcnt vmcnt(55) lgkmcnt(1)
	v_mul_f64 v[86:87], v[7:8], v[123:124]
	v_mul_f64 v[78:79], v[5:6], v[123:124]
	s_waitcnt vmcnt(53)
	v_fma_f64 v[76:77], v[9:10], v[36:37], -v[76:77]
	v_fma_f64 v[36:37], v[11:12], v[36:37], v[84:85]
	ds_read_b128 v[9:12], v29 offset:1792
	v_add_f64 v[13:14], v[13:14], v[72:73]
	v_add_f64 v[15:16], v[15:16], v[66:67]
	s_waitcnt vmcnt(49) lgkmcnt(1)
	v_mul_f64 v[66:67], v[1:2], v[25:26]
	v_mul_f64 v[25:26], v[3:4], v[25:26]
	s_waitcnt vmcnt(48)
	v_fma_f64 v[72:73], v[5:6], v[125:126], -v[86:87]
	v_add_f64 v[13:14], v[13:14], v[76:77]
	v_fma_f64 v[76:77], v[7:8], v[125:126], v[78:79]
	v_add_f64 v[15:16], v[15:16], v[36:37]
	s_clause 0x3
	buffer_load_dword v36, off, s[0:3], 0 offset:480
	buffer_load_dword v37, off, s[0:3], 0 offset:484
	;; [unrolled: 1-line block ×4, first 2 shown]
	ds_read_b128 v[5:8], v29 offset:1808
	s_waitcnt vmcnt(51) lgkmcnt(1)
	v_mul_f64 v[84:85], v[9:10], v[38:39]
	v_mul_f64 v[38:39], v[11:12], v[38:39]
	s_waitcnt vmcnt(49)
	v_fma_f64 v[25:26], v[1:2], v[19:20], -v[25:26]
	v_fma_f64 v[19:20], v[3:4], v[19:20], v[66:67]
	ds_read_b128 v[1:4], v29 offset:1824
	v_add_f64 v[13:14], v[13:14], v[72:73]
	v_add_f64 v[15:16], v[15:16], v[76:77]
	s_waitcnt vmcnt(45) lgkmcnt(1)
	v_mul_f64 v[66:67], v[5:6], v[32:33]
	v_mul_f64 v[32:33], v[7:8], v[32:33]
	s_waitcnt vmcnt(44)
	v_fma_f64 v[38:39], v[9:10], v[95:96], -v[38:39]
	v_add_f64 v[13:14], v[13:14], v[25:26]
	v_fma_f64 v[25:26], v[11:12], v[95:96], v[84:85]
	v_add_f64 v[15:16], v[15:16], v[19:20]
	ds_read_b128 v[9:12], v29 offset:1840
	s_waitcnt vmcnt(43) lgkmcnt(1)
	v_mul_f64 v[19:20], v[1:2], v[40:41]
	v_mul_f64 v[40:41], v[3:4], v[40:41]
	s_waitcnt vmcnt(41)
	v_fma_f64 v[32:33], v[5:6], v[21:22], -v[32:33]
	v_fma_f64 v[21:22], v[7:8], v[21:22], v[66:67]
	ds_read_b128 v[5:8], v29 offset:1856
	v_add_f64 v[13:14], v[13:14], v[38:39]
	v_add_f64 v[15:16], v[15:16], v[25:26]
	s_waitcnt vmcnt(37) lgkmcnt(1)
	v_mul_f64 v[25:26], v[9:10], v[17:18]
	v_mul_f64 v[17:18], v[11:12], v[17:18]
	s_waitcnt vmcnt(36)
	v_fma_f64 v[38:39], v[1:2], v[42:43], -v[40:41]
	v_fma_f64 v[19:20], v[3:4], v[42:43], v[19:20]
	ds_read_b128 v[1:4], v29 offset:1872
	v_add_f64 v[13:14], v[13:14], v[32:33]
	v_add_f64 v[15:16], v[15:16], v[21:22]
	s_waitcnt vmcnt(35) lgkmcnt(1)
	v_mul_f64 v[32:33], v[7:8], v[46:47]
	v_mul_f64 v[21:22], v[5:6], v[46:47]
	s_waitcnt vmcnt(33)
	v_fma_f64 v[17:18], v[9:10], v[27:28], -v[17:18]
	v_fma_f64 v[25:26], v[11:12], v[27:28], v[25:26]
	ds_read_b128 v[9:12], v29 offset:1888
	v_add_f64 v[13:14], v[13:14], v[38:39]
	v_add_f64 v[15:16], v[15:16], v[19:20]
	s_waitcnt vmcnt(29) lgkmcnt(1)
	v_mul_f64 v[19:20], v[1:2], v[23:24]
	v_mul_f64 v[23:24], v[3:4], v[23:24]
	s_waitcnt vmcnt(28)
	v_fma_f64 v[27:28], v[5:6], v[48:49], -v[32:33]
	v_add_f64 v[13:14], v[13:14], v[17:18]
	v_fma_f64 v[17:18], v[7:8], v[48:49], v[21:22]
	v_add_f64 v[15:16], v[15:16], v[25:26]
	ds_read_b128 v[5:8], v29 offset:1904
	s_waitcnt vmcnt(27) lgkmcnt(1)
	v_mul_f64 v[25:26], v[11:12], v[52:53]
	v_mul_f64 v[21:22], v[9:10], v[52:53]
	s_waitcnt vmcnt(25)
	v_fma_f64 v[23:24], v[1:2], v[34:35], -v[23:24]
	v_fma_f64 v[19:20], v[3:4], v[34:35], v[19:20]
	ds_read_b128 v[1:4], v29 offset:1920
	v_add_f64 v[13:14], v[13:14], v[27:28]
	v_add_f64 v[15:16], v[15:16], v[17:18]
	s_waitcnt vmcnt(21) lgkmcnt(1)
	v_mul_f64 v[27:28], v[7:8], v[30:31]
	s_waitcnt vmcnt(20)
	v_fma_f64 v[25:26], v[9:10], v[56:57], -v[25:26]
	v_mul_f64 v[17:18], v[5:6], v[30:31]
	v_fma_f64 v[21:22], v[11:12], v[56:57], v[21:22]
	ds_read_b128 v[9:12], v29 offset:1936
	v_add_f64 v[13:14], v[13:14], v[23:24]
	v_add_f64 v[15:16], v[15:16], v[19:20]
	s_waitcnt vmcnt(19) lgkmcnt(1)
	v_mul_f64 v[23:24], v[3:4], v[60:61]
	v_mul_f64 v[19:20], v[1:2], v[60:61]
	s_waitcnt vmcnt(17)
	v_fma_f64 v[27:28], v[5:6], v[44:45], -v[27:28]
	v_fma_f64 v[17:18], v[7:8], v[44:45], v[17:18]
	ds_read_b128 v[5:8], v29 offset:1952
	v_add_f64 v[13:14], v[13:14], v[25:26]
	v_add_f64 v[15:16], v[15:16], v[21:22]
	s_waitcnt vmcnt(13) lgkmcnt(1)
	v_mul_f64 v[25:26], v[11:12], v[50:51]
	s_waitcnt vmcnt(12)
	v_fma_f64 v[23:24], v[1:2], v[64:65], -v[23:24]
	v_mul_f64 v[21:22], v[9:10], v[50:51]
	v_fma_f64 v[19:20], v[3:4], v[64:65], v[19:20]
	ds_read_b128 v[1:4], v29 offset:1968
	v_add_f64 v[13:14], v[13:14], v[27:28]
	v_add_f64 v[15:16], v[15:16], v[17:18]
	s_waitcnt vmcnt(11) lgkmcnt(1)
	v_mul_f64 v[27:28], v[7:8], v[70:71]
	v_mul_f64 v[17:18], v[5:6], v[70:71]
	s_waitcnt vmcnt(9)
	v_fma_f64 v[9:10], v[9:10], v[54:55], -v[25:26]
	v_fma_f64 v[11:12], v[11:12], v[54:55], v[21:22]
	v_add_f64 v[13:14], v[13:14], v[23:24]
	v_add_f64 v[15:16], v[15:16], v[19:20]
	s_waitcnt vmcnt(7) lgkmcnt(0)
	v_mul_f64 v[21:22], v[3:4], v[58:59]
	s_waitcnt vmcnt(6)
	v_fma_f64 v[5:6], v[5:6], v[74:75], -v[27:28]
	v_mul_f64 v[19:20], v[1:2], v[58:59]
	v_fma_f64 v[7:8], v[7:8], v[74:75], v[17:18]
	v_add_f64 v[9:10], v[13:14], v[9:10]
	v_add_f64 v[11:12], v[15:16], v[11:12]
	s_waitcnt vmcnt(4)
	v_fma_f64 v[1:2], v[1:2], v[62:63], -v[21:22]
	v_fma_f64 v[3:4], v[3:4], v[62:63], v[19:20]
	v_add_f64 v[5:6], v[9:10], v[5:6]
	v_add_f64 v[7:8], v[11:12], v[7:8]
	;; [unrolled: 1-line block ×4, first 2 shown]
	s_waitcnt vmcnt(2)
	v_add_f64 v[1:2], v[36:37], -v[1:2]
	s_waitcnt vmcnt(0)
	v_add_f64 v[3:4], v[78:79], -v[3:4]
	buffer_store_dword v2, off, s[0:3], 0 offset:484
	buffer_store_dword v1, off, s[0:3], 0 offset:480
	;; [unrolled: 1-line block ×4, first 2 shown]
	v_cmpx_lt_u32_e32 28, v0
	s_cbranch_execz .LBB61_341
; %bb.340:
	v_mov_b32_e32 v4, s48
	v_mov_b32_e32 v5, 0
	s_clause 0x3
	buffer_load_dword v1, v4, s[0:3], 0 offen
	buffer_load_dword v2, v4, s[0:3], 0 offen offset:4
	buffer_load_dword v3, v4, s[0:3], 0 offen offset:8
	;; [unrolled: 1-line block ×3, first 2 shown]
	buffer_store_dword v5, off, s[0:3], 0 offset:464
	buffer_store_dword v5, off, s[0:3], 0 offset:468
	;; [unrolled: 1-line block ×4, first 2 shown]
	s_waitcnt vmcnt(0)
	ds_write_b128 v69, v[1:4]
.LBB61_341:
	s_or_b32 exec_lo, exec_lo, s4
	s_waitcnt lgkmcnt(0)
	s_waitcnt_vscnt null, 0x0
	s_barrier
	buffer_gl0_inv
	s_clause 0x37
	buffer_load_dword v9, off, s[0:3], 0 offset:488
	buffer_load_dword v10, off, s[0:3], 0 offset:492
	buffer_load_dword v5, off, s[0:3], 0 offset:504
	buffer_load_dword v6, off, s[0:3], 0 offset:508
	buffer_load_dword v7, off, s[0:3], 0 offset:480
	buffer_load_dword v8, off, s[0:3], 0 offset:484
	buffer_load_dword v3, off, s[0:3], 0 offset:520
	buffer_load_dword v4, off, s[0:3], 0 offset:524
	buffer_load_dword v1, off, s[0:3], 0 offset:496
	buffer_load_dword v2, off, s[0:3], 0 offset:500
	buffer_load_dword v14, off, s[0:3], 0 offset:540
	buffer_load_dword v17, off, s[0:3], 0 offset:552
	buffer_load_dword v11, off, s[0:3], 0 offset:544
	buffer_load_dword v13, off, s[0:3], 0 offset:536
	buffer_load_dword v25, off, s[0:3], 0 offset:512
	buffer_load_dword v26, off, s[0:3], 0 offset:516
	buffer_load_dword v18, off, s[0:3], 0 offset:556
	buffer_load_dword v20, off, s[0:3], 0 offset:532
	buffer_load_dword v19, off, s[0:3], 0 offset:528
	buffer_load_dword v22, off, s[0:3], 0 offset:572
	buffer_load_dword v27, off, s[0:3], 0 offset:584
	buffer_load_dword v15, off, s[0:3], 0 offset:576
	buffer_load_dword v21, off, s[0:3], 0 offset:568
	buffer_load_dword v12, off, s[0:3], 0 offset:548
	buffer_load_dword v28, off, s[0:3], 0 offset:588
	buffer_load_dword v30, off, s[0:3], 0 offset:564
	buffer_load_dword v29, off, s[0:3], 0 offset:560
	buffer_load_dword v32, off, s[0:3], 0 offset:604
	buffer_load_dword v35, off, s[0:3], 0 offset:616
	buffer_load_dword v23, off, s[0:3], 0 offset:608
	buffer_load_dword v31, off, s[0:3], 0 offset:600
	buffer_load_dword v16, off, s[0:3], 0 offset:580
	buffer_load_dword v36, off, s[0:3], 0 offset:620
	buffer_load_dword v38, off, s[0:3], 0 offset:596
	buffer_load_dword v37, off, s[0:3], 0 offset:592
	buffer_load_dword v53, off, s[0:3], 0 offset:636
	buffer_load_dword v54, off, s[0:3], 0 offset:648
	buffer_load_dword v33, off, s[0:3], 0 offset:640
	buffer_load_dword v52, off, s[0:3], 0 offset:632
	buffer_load_dword v24, off, s[0:3], 0 offset:612
	buffer_load_dword v55, off, s[0:3], 0 offset:652
	buffer_load_dword v57, off, s[0:3], 0 offset:628
	buffer_load_dword v56, off, s[0:3], 0 offset:624
	buffer_load_dword v59, off, s[0:3], 0 offset:668
	buffer_load_dword v60, off, s[0:3], 0 offset:680
	buffer_load_dword v62, off, s[0:3], 0 offset:672
	buffer_load_dword v58, off, s[0:3], 0 offset:664
	buffer_load_dword v34, off, s[0:3], 0 offset:644
	buffer_load_dword v61, off, s[0:3], 0 offset:684
	buffer_load_dword v65, off, s[0:3], 0 offset:660
	buffer_load_dword v64, off, s[0:3], 0 offset:656
	buffer_load_dword v67, off, s[0:3], 0 offset:700
	buffer_load_dword v70, off, s[0:3], 0 offset:712
	buffer_load_dword v72, off, s[0:3], 0 offset:704
	buffer_load_dword v66, off, s[0:3], 0 offset:696
	buffer_load_dword v63, off, s[0:3], 0 offset:676
	v_mov_b32_e32 v51, 0
	s_mov_b32 s4, exec_lo
	ds_read_b128 v[39:42], v51 offset:1456
	s_clause 0x2
	buffer_load_dword v71, off, s[0:3], 0 offset:716
	buffer_load_dword v75, off, s[0:3], 0 offset:692
	;; [unrolled: 1-line block ×3, first 2 shown]
	ds_read_b128 v[43:46], v51 offset:1472
	s_clause 0x4
	buffer_load_dword v79, off, s[0:3], 0 offset:732
	buffer_load_dword v84, off, s[0:3], 0 offset:744
	;; [unrolled: 1-line block ×5, first 2 shown]
	ds_read_b128 v[47:50], v51 offset:1488
	s_clause 0x2
	buffer_load_dword v85, off, s[0:3], 0 offset:748
	buffer_load_dword v94, off, s[0:3], 0 offset:724
	;; [unrolled: 1-line block ×3, first 2 shown]
	s_waitcnt vmcnt(62) lgkmcnt(2)
	v_mul_f64 v[76:77], v[41:42], v[9:10]
	v_mul_f64 v[9:10], v[39:40], v[9:10]
	s_waitcnt lgkmcnt(1)
	v_mul_f64 v[87:88], v[45:46], v[5:6]
	s_waitcnt vmcnt(59) lgkmcnt(0)
	v_mul_f64 v[95:96], v[49:50], v[3:4]
	v_fma_f64 v[39:40], v[39:40], v[7:8], -v[76:77]
	v_mul_f64 v[76:77], v[43:44], v[5:6]
	v_fma_f64 v[9:10], v[41:42], v[7:8], v[9:10]
	s_waitcnt vmcnt(57)
	v_fma_f64 v[43:44], v[43:44], v[1:2], -v[87:88]
	ds_read_b128 v[5:8], v51 offset:1504
	v_mul_f64 v[41:42], v[47:48], v[3:4]
	s_waitcnt vmcnt(51)
	v_fma_f64 v[47:48], v[47:48], v[25:26], -v[95:96]
	v_add_f64 v[39:40], v[39:40], 0
	v_fma_f64 v[45:46], v[45:46], v[1:2], v[76:77]
	v_add_f64 v[9:10], v[9:10], 0
	s_clause 0x4
	buffer_load_dword v77, off, s[0:3], 0 offset:764
	buffer_load_dword v123, off, s[0:3], 0 offset:776
	;; [unrolled: 1-line block ×5, first 2 shown]
	s_waitcnt lgkmcnt(0)
	v_mul_f64 v[126:127], v[5:6], v[13:14]
	v_mul_f64 v[13:14], v[7:8], v[13:14]
	ds_read_b128 v[1:4], v51 offset:1520
	v_fma_f64 v[25:26], v[49:50], v[25:26], v[41:42]
	v_add_f64 v[43:44], v[39:40], v[43:44]
	v_add_f64 v[9:10], v[9:10], v[45:46]
	s_clause 0x2
	buffer_load_dword v124, off, s[0:3], 0 offset:780
	buffer_load_dword v46, off, s[0:3], 0 offset:756
	;; [unrolled: 1-line block ×3, first 2 shown]
	s_waitcnt vmcnt(58) lgkmcnt(0)
	v_mul_f64 v[49:50], v[1:2], v[17:18]
	v_mul_f64 v[17:18], v[3:4], v[17:18]
	s_waitcnt vmcnt(56)
	v_fma_f64 v[13:14], v[5:6], v[19:20], -v[13:14]
	ds_read_b128 v[39:42], v51 offset:1536
	v_fma_f64 v[19:20], v[7:8], v[19:20], v[126:127]
	v_add_f64 v[43:44], v[43:44], v[47:48]
	v_add_f64 v[9:10], v[9:10], v[25:26]
	s_clause 0x4
	buffer_load_dword v26, off, s[0:3], 0 offset:796
	buffer_load_dword v47, off, s[0:3], 0 offset:808
	buffer_load_dword v95, off, s[0:3], 0 offset:800
	buffer_load_dword v25, off, s[0:3], 0 offset:792
	buffer_load_dword v126, off, s[0:3], 0 offset:772
	ds_read_b128 v[5:8], v51 offset:1552
	s_waitcnt vmcnt(57) lgkmcnt(1)
	v_mul_f64 v[127:128], v[39:40], v[21:22]
	v_mul_f64 v[21:22], v[41:42], v[21:22]
	s_waitcnt vmcnt(56)
	v_fma_f64 v[17:18], v[1:2], v[11:12], -v[17:18]
	v_fma_f64 v[11:12], v[3:4], v[11:12], v[49:50]
	v_add_f64 v[13:14], v[43:44], v[13:14]
	v_add_f64 v[9:10], v[9:10], v[19:20]
	s_clause 0x2
	buffer_load_dword v48, off, s[0:3], 0 offset:812
	buffer_load_dword v20, off, s[0:3], 0 offset:788
	;; [unrolled: 1-line block ×3, first 2 shown]
	s_waitcnt vmcnt(58) lgkmcnt(0)
	v_mul_f64 v[43:44], v[5:6], v[27:28]
	v_mul_f64 v[27:28], v[7:8], v[27:28]
	s_waitcnt vmcnt(56)
	v_fma_f64 v[21:22], v[39:40], v[29:30], -v[21:22]
	ds_read_b128 v[1:4], v51 offset:1568
	v_add_f64 v[13:14], v[13:14], v[17:18]
	v_fma_f64 v[17:18], v[41:42], v[29:30], v[127:128]
	v_add_f64 v[29:30], v[9:10], v[11:12]
	s_clause 0x4
	buffer_load_dword v40, off, s[0:3], 0 offset:828
	buffer_load_dword v41, off, s[0:3], 0 offset:840
	;; [unrolled: 1-line block ×5, first 2 shown]
	ds_read_b128 v[9:12], v51 offset:1584
	s_waitcnt vmcnt(57) lgkmcnt(1)
	v_mul_f64 v[127:128], v[1:2], v[31:32]
	v_mul_f64 v[31:32], v[3:4], v[31:32]
	s_waitcnt vmcnt(56)
	v_fma_f64 v[27:28], v[5:6], v[15:16], -v[27:28]
	v_fma_f64 v[15:16], v[7:8], v[15:16], v[43:44]
	v_add_f64 v[13:14], v[13:14], v[21:22]
	s_clause 0x2
	buffer_load_dword v42, off, s[0:3], 0 offset:844
	buffer_load_dword v22, off, s[0:3], 0 offset:820
	;; [unrolled: 1-line block ×3, first 2 shown]
	v_add_f64 v[17:18], v[29:30], v[17:18]
	s_waitcnt vmcnt(58) lgkmcnt(0)
	v_mul_f64 v[29:30], v[9:10], v[35:36]
	v_mul_f64 v[35:36], v[11:12], v[35:36]
	ds_read_b128 v[5:8], v51 offset:1600
	s_waitcnt vmcnt(56)
	v_fma_f64 v[31:32], v[1:2], v[37:38], -v[31:32]
	v_add_f64 v[13:14], v[13:14], v[27:28]
	v_fma_f64 v[27:28], v[3:4], v[37:38], v[127:128]
	v_add_f64 v[15:16], v[17:18], v[15:16]
	s_clause 0x4
	buffer_load_dword v18, off, s[0:3], 0 offset:860
	buffer_load_dword v37, off, s[0:3], 0 offset:872
	;; [unrolled: 1-line block ×5, first 2 shown]
	s_waitcnt vmcnt(57) lgkmcnt(0)
	v_mul_f64 v[127:128], v[5:6], v[52:53]
	v_mul_f64 v[52:53], v[7:8], v[52:53]
	s_waitcnt vmcnt(56)
	v_fma_f64 v[35:36], v[9:10], v[23:24], -v[35:36]
	ds_read_b128 v[1:4], v51 offset:1616
	v_fma_f64 v[23:24], v[11:12], v[23:24], v[29:30]
	v_add_f64 v[13:14], v[13:14], v[31:32]
	v_add_f64 v[15:16], v[15:16], v[27:28]
	s_clause 0x2
	buffer_load_dword v38, off, s[0:3], 0 offset:876
	buffer_load_dword v28, off, s[0:3], 0 offset:852
	;; [unrolled: 1-line block ×3, first 2 shown]
	ds_read_b128 v[9:12], v51 offset:1632
	s_waitcnt vmcnt(58) lgkmcnt(1)
	v_mul_f64 v[31:32], v[3:4], v[54:55]
	s_waitcnt vmcnt(56)
	v_fma_f64 v[52:53], v[5:6], v[56:57], -v[52:53]
	v_mul_f64 v[29:30], v[1:2], v[54:55]
	v_add_f64 v[13:14], v[13:14], v[35:36]
	v_fma_f64 v[35:36], v[7:8], v[56:57], v[127:128]
	v_add_f64 v[15:16], v[15:16], v[23:24]
	s_clause 0x4
	buffer_load_dword v24, off, s[0:3], 0 offset:892
	buffer_load_dword v54, off, s[0:3], 0 offset:904
	buffer_load_dword v56, off, s[0:3], 0 offset:896
	buffer_load_dword v23, off, s[0:3], 0 offset:888
	buffer_load_dword v44, off, s[0:3], 0 offset:868
	s_waitcnt vmcnt(57) lgkmcnt(0)
	v_mul_f64 v[127:128], v[9:10], v[58:59]
	v_mul_f64 v[57:58], v[11:12], v[58:59]
	s_waitcnt vmcnt(56)
	v_fma_f64 v[31:32], v[1:2], v[33:34], -v[31:32]
	ds_read_b128 v[5:8], v51 offset:1648
	v_fma_f64 v[29:30], v[3:4], v[33:34], v[29:30]
	s_clause 0x2
	buffer_load_dword v55, off, s[0:3], 0 offset:908
	buffer_load_dword v34, off, s[0:3], 0 offset:884
	;; [unrolled: 1-line block ×3, first 2 shown]
	ds_read_b128 v[1:4], v51 offset:1664
	v_add_f64 v[13:14], v[13:14], v[52:53]
	v_add_f64 v[15:16], v[15:16], v[35:36]
	s_waitcnt vmcnt(58) lgkmcnt(1)
	v_mul_f64 v[52:53], v[7:8], v[60:61]
	s_waitcnt vmcnt(56)
	v_fma_f64 v[58:59], v[9:10], v[64:65], -v[57:58]
	v_mul_f64 v[35:36], v[5:6], v[60:61]
	v_add_f64 v[13:14], v[13:14], v[31:32]
	v_fma_f64 v[31:32], v[11:12], v[64:65], v[127:128]
	v_add_f64 v[15:16], v[15:16], v[29:30]
	s_clause 0x4
	buffer_load_dword v30, off, s[0:3], 0 offset:924
	buffer_load_dword v60, off, s[0:3], 0 offset:936
	;; [unrolled: 1-line block ×5, first 2 shown]
	s_waitcnt vmcnt(57) lgkmcnt(0)
	v_mul_f64 v[127:128], v[1:2], v[66:67]
	v_mul_f64 v[65:66], v[3:4], v[66:67]
	s_waitcnt vmcnt(56)
	v_fma_f64 v[52:53], v[5:6], v[62:63], -v[52:53]
	ds_read_b128 v[9:12], v51 offset:1680
	v_fma_f64 v[35:36], v[7:8], v[62:63], v[35:36]
	v_add_f64 v[13:14], v[13:14], v[58:59]
	v_add_f64 v[15:16], v[15:16], v[31:32]
	s_clause 0x2
	buffer_load_dword v61, off, s[0:3], 0 offset:940
	buffer_load_dword v32, off, s[0:3], 0 offset:916
	;; [unrolled: 1-line block ×3, first 2 shown]
	ds_read_b128 v[5:8], v51 offset:1696
	s_waitcnt vmcnt(58) lgkmcnt(1)
	v_mul_f64 v[62:63], v[11:12], v[70:71]
	s_waitcnt vmcnt(56)
	v_fma_f64 v[66:67], v[1:2], v[74:75], -v[65:66]
	v_mul_f64 v[58:59], v[9:10], v[70:71]
	v_add_f64 v[13:14], v[13:14], v[52:53]
	v_fma_f64 v[52:53], v[3:4], v[74:75], v[127:128]
	v_add_f64 v[15:16], v[15:16], v[35:36]
	s_clause 0x4
	buffer_load_dword v36, off, s[0:3], 0 offset:956
	buffer_load_dword v70, off, s[0:3], 0 offset:968
	;; [unrolled: 1-line block ×5, first 2 shown]
	s_waitcnt vmcnt(57) lgkmcnt(0)
	v_mul_f64 v[127:128], v[5:6], v[78:79]
	v_mul_f64 v[78:79], v[7:8], v[78:79]
	s_waitcnt vmcnt(56)
	v_fma_f64 v[62:63], v[9:10], v[72:73], -v[62:63]
	ds_read_b128 v[1:4], v51 offset:1712
	v_fma_f64 v[58:59], v[11:12], v[72:73], v[58:59]
	v_add_f64 v[13:14], v[13:14], v[66:67]
	v_add_f64 v[15:16], v[15:16], v[52:53]
	s_clause 0x2
	buffer_load_dword v71, off, s[0:3], 0 offset:972
	buffer_load_dword v53, off, s[0:3], 0 offset:948
	;; [unrolled: 1-line block ×3, first 2 shown]
	ds_read_b128 v[9:12], v51 offset:1728
	s_waitcnt vmcnt(58) lgkmcnt(1)
	v_mul_f64 v[72:73], v[3:4], v[84:85]
	s_waitcnt vmcnt(56)
	v_fma_f64 v[78:79], v[5:6], v[93:94], -v[78:79]
	v_mul_f64 v[66:67], v[1:2], v[84:85]
	v_add_f64 v[13:14], v[13:14], v[62:63]
	v_fma_f64 v[62:63], v[7:8], v[93:94], v[127:128]
	v_add_f64 v[15:16], v[15:16], v[58:59]
	s_clause 0x4
	buffer_load_dword v59, off, s[0:3], 0 offset:988
	buffer_load_dword v84, off, s[0:3], 0 offset:1000
	;; [unrolled: 1-line block ×5, first 2 shown]
	ds_read_b128 v[5:8], v51 offset:1744
	s_waitcnt vmcnt(57) lgkmcnt(1)
	v_mul_f64 v[127:128], v[9:10], v[76:77]
	v_mul_f64 v[76:77], v[11:12], v[76:77]
	s_waitcnt vmcnt(56)
	v_fma_f64 v[72:73], v[1:2], v[86:87], -v[72:73]
	v_fma_f64 v[66:67], v[3:4], v[86:87], v[66:67]
	v_add_f64 v[13:14], v[13:14], v[78:79]
	v_add_f64 v[15:16], v[15:16], v[62:63]
	s_clause 0x2
	buffer_load_dword v85, off, s[0:3], 0 offset:1004
	buffer_load_dword v63, off, s[0:3], 0 offset:980
	;; [unrolled: 1-line block ×3, first 2 shown]
	ds_read_b128 v[1:4], v51 offset:1760
	buffer_load_dword v94, off, s[0:3], 0 offset:996
	s_waitcnt vmcnt(59) lgkmcnt(1)
	v_mul_f64 v[86:87], v[7:8], v[123:124]
	v_mul_f64 v[78:79], v[5:6], v[123:124]
	s_waitcnt vmcnt(57)
	v_fma_f64 v[76:77], v[9:10], v[45:46], -v[76:77]
	v_fma_f64 v[45:46], v[11:12], v[45:46], v[127:128]
	ds_read_b128 v[9:12], v51 offset:1776
	v_add_f64 v[13:14], v[13:14], v[72:73]
	v_add_f64 v[15:16], v[15:16], v[66:67]
	s_waitcnt vmcnt(53) lgkmcnt(1)
	v_mul_f64 v[66:67], v[1:2], v[25:26]
	v_mul_f64 v[25:26], v[3:4], v[25:26]
	s_waitcnt vmcnt(52)
	v_fma_f64 v[72:73], v[5:6], v[125:126], -v[86:87]
	v_add_f64 v[13:14], v[13:14], v[76:77]
	v_fma_f64 v[76:77], v[7:8], v[125:126], v[78:79]
	v_add_f64 v[15:16], v[15:16], v[45:46]
	ds_read_b128 v[5:8], v51 offset:1792
	s_waitcnt vmcnt(51) lgkmcnt(1)
	v_mul_f64 v[45:46], v[9:10], v[47:48]
	v_mul_f64 v[47:48], v[11:12], v[47:48]
	s_waitcnt vmcnt(49)
	v_fma_f64 v[25:26], v[1:2], v[19:20], -v[25:26]
	v_fma_f64 v[19:20], v[3:4], v[19:20], v[66:67]
	v_add_f64 v[13:14], v[13:14], v[72:73]
	s_clause 0x3
	buffer_load_dword v66, off, s[0:3], 0 offset:464
	buffer_load_dword v67, off, s[0:3], 0 offset:468
	;; [unrolled: 1-line block ×4, first 2 shown]
	v_add_f64 v[15:16], v[15:16], v[76:77]
	ds_read_b128 v[1:4], v51 offset:1808
	s_waitcnt vmcnt(49) lgkmcnt(1)
	v_mul_f64 v[76:77], v[5:6], v[39:40]
	v_mul_f64 v[39:40], v[7:8], v[39:40]
	s_waitcnt vmcnt(48)
	v_fma_f64 v[47:48], v[9:10], v[95:96], -v[47:48]
	v_add_f64 v[13:14], v[13:14], v[25:26]
	v_fma_f64 v[25:26], v[11:12], v[95:96], v[45:46]
	v_add_f64 v[15:16], v[15:16], v[19:20]
	ds_read_b128 v[9:12], v51 offset:1824
	s_waitcnt vmcnt(47) lgkmcnt(1)
	v_mul_f64 v[19:20], v[1:2], v[41:42]
	v_mul_f64 v[41:42], v[3:4], v[41:42]
	s_waitcnt vmcnt(45)
	v_fma_f64 v[39:40], v[5:6], v[21:22], -v[39:40]
	v_fma_f64 v[21:22], v[7:8], v[21:22], v[76:77]
	ds_read_b128 v[5:8], v51 offset:1840
	v_add_f64 v[13:14], v[13:14], v[47:48]
	v_add_f64 v[15:16], v[15:16], v[25:26]
	s_waitcnt vmcnt(41) lgkmcnt(1)
	v_mul_f64 v[25:26], v[9:10], v[17:18]
	v_mul_f64 v[17:18], v[11:12], v[17:18]
	s_waitcnt vmcnt(40)
	v_fma_f64 v[41:42], v[1:2], v[49:50], -v[41:42]
	v_fma_f64 v[19:20], v[3:4], v[49:50], v[19:20]
	ds_read_b128 v[1:4], v51 offset:1856
	v_add_f64 v[13:14], v[13:14], v[39:40]
	v_add_f64 v[15:16], v[15:16], v[21:22]
	;; [unrolled: 9-line block ×3, first 2 shown]
	s_waitcnt vmcnt(33) lgkmcnt(1)
	v_mul_f64 v[19:20], v[1:2], v[23:24]
	v_mul_f64 v[23:24], v[3:4], v[23:24]
	s_waitcnt vmcnt(32)
	v_fma_f64 v[27:28], v[5:6], v[43:44], -v[37:38]
	v_add_f64 v[13:14], v[13:14], v[17:18]
	v_fma_f64 v[17:18], v[7:8], v[43:44], v[21:22]
	v_add_f64 v[15:16], v[15:16], v[25:26]
	ds_read_b128 v[5:8], v51 offset:1888
	s_waitcnt vmcnt(31) lgkmcnt(1)
	v_mul_f64 v[25:26], v[11:12], v[54:55]
	v_mul_f64 v[21:22], v[9:10], v[54:55]
	s_waitcnt vmcnt(29)
	v_fma_f64 v[19:20], v[3:4], v[33:34], v[19:20]
	v_fma_f64 v[23:24], v[1:2], v[33:34], -v[23:24]
	ds_read_b128 v[1:4], v51 offset:1904
	v_add_f64 v[13:14], v[13:14], v[27:28]
	v_add_f64 v[15:16], v[15:16], v[17:18]
	s_waitcnt vmcnt(25) lgkmcnt(1)
	v_mul_f64 v[27:28], v[7:8], v[29:30]
	s_waitcnt vmcnt(24)
	v_fma_f64 v[25:26], v[9:10], v[56:57], -v[25:26]
	v_mul_f64 v[17:18], v[5:6], v[29:30]
	v_fma_f64 v[21:22], v[11:12], v[56:57], v[21:22]
	ds_read_b128 v[9:12], v51 offset:1920
	v_add_f64 v[13:14], v[13:14], v[23:24]
	v_add_f64 v[15:16], v[15:16], v[19:20]
	s_waitcnt vmcnt(23) lgkmcnt(1)
	v_mul_f64 v[23:24], v[3:4], v[60:61]
	v_mul_f64 v[19:20], v[1:2], v[60:61]
	s_waitcnt vmcnt(21)
	v_fma_f64 v[27:28], v[5:6], v[31:32], -v[27:28]
	v_fma_f64 v[17:18], v[7:8], v[31:32], v[17:18]
	ds_read_b128 v[5:8], v51 offset:1936
	v_add_f64 v[13:14], v[13:14], v[25:26]
	v_add_f64 v[15:16], v[15:16], v[21:22]
	s_waitcnt vmcnt(17) lgkmcnt(1)
	v_mul_f64 v[25:26], v[11:12], v[35:36]
	s_waitcnt vmcnt(16)
	v_fma_f64 v[23:24], v[1:2], v[64:65], -v[23:24]
	v_mul_f64 v[21:22], v[9:10], v[35:36]
	v_fma_f64 v[19:20], v[3:4], v[64:65], v[19:20]
	ds_read_b128 v[1:4], v51 offset:1952
	v_add_f64 v[13:14], v[13:14], v[27:28]
	v_add_f64 v[15:16], v[15:16], v[17:18]
	s_waitcnt vmcnt(15) lgkmcnt(1)
	v_mul_f64 v[27:28], v[7:8], v[70:71]
	v_mul_f64 v[17:18], v[5:6], v[70:71]
	s_waitcnt vmcnt(13)
	v_fma_f64 v[25:26], v[9:10], v[52:53], -v[25:26]
	v_fma_f64 v[21:22], v[11:12], v[52:53], v[21:22]
	ds_read_b128 v[9:12], v51 offset:1968
	v_add_f64 v[13:14], v[13:14], v[23:24]
	v_add_f64 v[15:16], v[15:16], v[19:20]
	s_waitcnt vmcnt(9) lgkmcnt(1)
	v_mul_f64 v[23:24], v[3:4], v[58:59]
	s_waitcnt vmcnt(8)
	v_fma_f64 v[5:6], v[5:6], v[74:75], -v[27:28]
	v_mul_f64 v[19:20], v[1:2], v[58:59]
	v_fma_f64 v[7:8], v[7:8], v[74:75], v[17:18]
	v_add_f64 v[13:14], v[13:14], v[25:26]
	v_add_f64 v[15:16], v[15:16], v[21:22]
	s_waitcnt vmcnt(7) lgkmcnt(0)
	v_mul_f64 v[21:22], v[11:12], v[84:85]
	v_mul_f64 v[17:18], v[9:10], v[84:85]
	s_waitcnt vmcnt(5)
	v_fma_f64 v[1:2], v[1:2], v[62:63], -v[23:24]
	v_fma_f64 v[3:4], v[3:4], v[62:63], v[19:20]
	v_add_f64 v[5:6], v[13:14], v[5:6]
	v_add_f64 v[7:8], v[15:16], v[7:8]
	s_waitcnt vmcnt(4)
	v_fma_f64 v[9:10], v[9:10], v[93:94], -v[21:22]
	v_add_f64 v[1:2], v[5:6], v[1:2]
	v_fma_f64 v[5:6], v[11:12], v[93:94], v[17:18]
	v_add_f64 v[3:4], v[7:8], v[3:4]
	v_add_f64 v[1:2], v[1:2], v[9:10]
	;; [unrolled: 1-line block ×3, first 2 shown]
	s_waitcnt vmcnt(2)
	v_add_f64 v[1:2], v[66:67], -v[1:2]
	s_waitcnt vmcnt(0)
	v_add_f64 v[3:4], v[72:73], -v[3:4]
	buffer_store_dword v2, off, s[0:3], 0 offset:468
	buffer_store_dword v1, off, s[0:3], 0 offset:464
	buffer_store_dword v4, off, s[0:3], 0 offset:476
	buffer_store_dword v3, off, s[0:3], 0 offset:472
	v_cmpx_lt_u32_e32 27, v0
	s_cbranch_execz .LBB61_343
; %bb.342:
	v_mov_b32_e32 v4, s49
	s_clause 0x3
	buffer_load_dword v1, v4, s[0:3], 0 offen
	buffer_load_dword v2, v4, s[0:3], 0 offen offset:4
	buffer_load_dword v3, v4, s[0:3], 0 offen offset:8
	;; [unrolled: 1-line block ×3, first 2 shown]
	buffer_store_dword v51, off, s[0:3], 0 offset:448
	buffer_store_dword v51, off, s[0:3], 0 offset:452
	;; [unrolled: 1-line block ×4, first 2 shown]
	s_waitcnt vmcnt(0)
	ds_write_b128 v69, v[1:4]
.LBB61_343:
	s_or_b32 exec_lo, exec_lo, s4
	s_waitcnt lgkmcnt(0)
	s_waitcnt_vscnt null, 0x0
	s_barrier
	buffer_gl0_inv
	s_clause 0x37
	buffer_load_dword v9, off, s[0:3], 0 offset:472
	buffer_load_dword v10, off, s[0:3], 0 offset:476
	;; [unrolled: 1-line block ×56, first 2 shown]
	ds_read_b128 v[52:55], v51 offset:1440
	s_clause 0x2
	buffer_load_dword v73, off, s[0:3], 0 offset:700
	buffer_load_dword v75, off, s[0:3], 0 offset:676
	;; [unrolled: 1-line block ×3, first 2 shown]
	ds_read_b128 v[56:59], v51 offset:1456
	s_clause 0x4
	buffer_load_dword v79, off, s[0:3], 0 offset:716
	buffer_load_dword v84, off, s[0:3], 0 offset:728
	;; [unrolled: 1-line block ×5, first 2 shown]
	ds_read_b128 v[60:63], v51 offset:1472
	s_clause 0x2
	buffer_load_dword v85, off, s[0:3], 0 offset:732
	buffer_load_dword v94, off, s[0:3], 0 offset:708
	;; [unrolled: 1-line block ×3, first 2 shown]
	s_mov_b32 s4, exec_lo
	s_waitcnt vmcnt(62) lgkmcnt(2)
	v_mul_f64 v[76:77], v[54:55], v[9:10]
	v_mul_f64 v[9:10], v[52:53], v[9:10]
	s_waitcnt lgkmcnt(1)
	v_mul_f64 v[87:88], v[58:59], v[5:6]
	s_waitcnt vmcnt(59) lgkmcnt(0)
	v_mul_f64 v[95:96], v[62:63], v[3:4]
	v_fma_f64 v[52:53], v[52:53], v[7:8], -v[76:77]
	v_mul_f64 v[76:77], v[56:57], v[5:6]
	v_fma_f64 v[9:10], v[54:55], v[7:8], v[9:10]
	s_waitcnt vmcnt(57)
	v_fma_f64 v[56:57], v[56:57], v[1:2], -v[87:88]
	ds_read_b128 v[5:8], v51 offset:1488
	v_mul_f64 v[54:55], v[60:61], v[3:4]
	s_waitcnt vmcnt(51)
	v_fma_f64 v[60:61], v[60:61], v[25:26], -v[95:96]
	v_add_f64 v[52:53], v[52:53], 0
	v_fma_f64 v[58:59], v[58:59], v[1:2], v[76:77]
	v_add_f64 v[9:10], v[9:10], 0
	s_clause 0x4
	buffer_load_dword v77, off, s[0:3], 0 offset:748
	buffer_load_dword v123, off, s[0:3], 0 offset:760
	;; [unrolled: 1-line block ×5, first 2 shown]
	s_waitcnt lgkmcnt(0)
	v_mul_f64 v[126:127], v[5:6], v[13:14]
	v_mul_f64 v[13:14], v[7:8], v[13:14]
	ds_read_b128 v[1:4], v51 offset:1504
	v_fma_f64 v[25:26], v[62:63], v[25:26], v[54:55]
	v_add_f64 v[56:57], v[52:53], v[56:57]
	v_add_f64 v[9:10], v[9:10], v[58:59]
	s_clause 0x2
	buffer_load_dword v124, off, s[0:3], 0 offset:764
	buffer_load_dword v59, off, s[0:3], 0 offset:740
	;; [unrolled: 1-line block ×3, first 2 shown]
	s_waitcnt vmcnt(58) lgkmcnt(0)
	v_mul_f64 v[62:63], v[1:2], v[17:18]
	v_mul_f64 v[17:18], v[3:4], v[17:18]
	s_waitcnt vmcnt(56)
	v_fma_f64 v[13:14], v[5:6], v[19:20], -v[13:14]
	ds_read_b128 v[52:55], v51 offset:1520
	v_fma_f64 v[19:20], v[7:8], v[19:20], v[126:127]
	v_add_f64 v[56:57], v[56:57], v[60:61]
	v_add_f64 v[9:10], v[9:10], v[25:26]
	s_clause 0x4
	buffer_load_dword v26, off, s[0:3], 0 offset:780
	buffer_load_dword v60, off, s[0:3], 0 offset:792
	;; [unrolled: 1-line block ×5, first 2 shown]
	ds_read_b128 v[5:8], v51 offset:1536
	s_waitcnt vmcnt(57) lgkmcnt(1)
	v_mul_f64 v[127:128], v[52:53], v[21:22]
	v_mul_f64 v[21:22], v[54:55], v[21:22]
	s_waitcnt vmcnt(56)
	v_fma_f64 v[17:18], v[1:2], v[11:12], -v[17:18]
	v_fma_f64 v[11:12], v[3:4], v[11:12], v[62:63]
	v_add_f64 v[13:14], v[56:57], v[13:14]
	v_add_f64 v[9:10], v[9:10], v[19:20]
	s_clause 0x2
	buffer_load_dword v61, off, s[0:3], 0 offset:796
	buffer_load_dword v20, off, s[0:3], 0 offset:772
	;; [unrolled: 1-line block ×3, first 2 shown]
	s_waitcnt vmcnt(58) lgkmcnt(0)
	v_mul_f64 v[56:57], v[5:6], v[27:28]
	v_mul_f64 v[27:28], v[7:8], v[27:28]
	s_waitcnt vmcnt(56)
	v_fma_f64 v[21:22], v[52:53], v[29:30], -v[21:22]
	ds_read_b128 v[1:4], v51 offset:1552
	v_add_f64 v[13:14], v[13:14], v[17:18]
	v_fma_f64 v[17:18], v[54:55], v[29:30], v[127:128]
	v_add_f64 v[29:30], v[9:10], v[11:12]
	s_clause 0x4
	buffer_load_dword v53, off, s[0:3], 0 offset:812
	buffer_load_dword v54, off, s[0:3], 0 offset:824
	;; [unrolled: 1-line block ×5, first 2 shown]
	ds_read_b128 v[9:12], v51 offset:1568
	s_waitcnt vmcnt(57) lgkmcnt(1)
	v_mul_f64 v[127:128], v[1:2], v[31:32]
	v_mul_f64 v[31:32], v[3:4], v[31:32]
	s_waitcnt vmcnt(56)
	v_fma_f64 v[27:28], v[5:6], v[15:16], -v[27:28]
	v_fma_f64 v[15:16], v[7:8], v[15:16], v[56:57]
	v_add_f64 v[13:14], v[13:14], v[21:22]
	s_clause 0x2
	buffer_load_dword v55, off, s[0:3], 0 offset:828
	buffer_load_dword v22, off, s[0:3], 0 offset:804
	;; [unrolled: 1-line block ×3, first 2 shown]
	v_add_f64 v[17:18], v[29:30], v[17:18]
	s_waitcnt vmcnt(58) lgkmcnt(0)
	v_mul_f64 v[29:30], v[9:10], v[35:36]
	v_mul_f64 v[35:36], v[11:12], v[35:36]
	ds_read_b128 v[5:8], v51 offset:1584
	s_waitcnt vmcnt(56)
	v_fma_f64 v[31:32], v[1:2], v[37:38], -v[31:32]
	v_add_f64 v[13:14], v[13:14], v[27:28]
	v_fma_f64 v[27:28], v[3:4], v[37:38], v[127:128]
	v_add_f64 v[15:16], v[17:18], v[15:16]
	s_clause 0x4
	buffer_load_dword v18, off, s[0:3], 0 offset:844
	buffer_load_dword v37, off, s[0:3], 0 offset:856
	;; [unrolled: 1-line block ×5, first 2 shown]
	s_waitcnt vmcnt(57) lgkmcnt(0)
	v_mul_f64 v[127:128], v[5:6], v[39:40]
	v_mul_f64 v[39:40], v[7:8], v[39:40]
	s_waitcnt vmcnt(56)
	v_fma_f64 v[35:36], v[9:10], v[23:24], -v[35:36]
	ds_read_b128 v[1:4], v51 offset:1600
	v_fma_f64 v[23:24], v[11:12], v[23:24], v[29:30]
	v_add_f64 v[13:14], v[13:14], v[31:32]
	v_add_f64 v[15:16], v[15:16], v[27:28]
	s_clause 0x2
	buffer_load_dword v38, off, s[0:3], 0 offset:860
	buffer_load_dword v28, off, s[0:3], 0 offset:836
	;; [unrolled: 1-line block ×3, first 2 shown]
	ds_read_b128 v[9:12], v51 offset:1616
	s_waitcnt vmcnt(58) lgkmcnt(1)
	v_mul_f64 v[31:32], v[3:4], v[43:44]
	s_waitcnt vmcnt(56)
	v_fma_f64 v[39:40], v[5:6], v[45:46], -v[39:40]
	v_mul_f64 v[29:30], v[1:2], v[43:44]
	v_add_f64 v[13:14], v[13:14], v[35:36]
	v_fma_f64 v[35:36], v[7:8], v[45:46], v[127:128]
	v_add_f64 v[15:16], v[15:16], v[23:24]
	s_clause 0x4
	buffer_load_dword v24, off, s[0:3], 0 offset:876
	buffer_load_dword v43, off, s[0:3], 0 offset:888
	;; [unrolled: 1-line block ×5, first 2 shown]
	s_waitcnt vmcnt(57) lgkmcnt(0)
	v_mul_f64 v[127:128], v[9:10], v[47:48]
	v_mul_f64 v[46:47], v[11:12], v[47:48]
	s_waitcnt vmcnt(56)
	v_fma_f64 v[31:32], v[1:2], v[33:34], -v[31:32]
	ds_read_b128 v[5:8], v51 offset:1632
	v_fma_f64 v[29:30], v[3:4], v[33:34], v[29:30]
	s_clause 0x2
	buffer_load_dword v44, off, s[0:3], 0 offset:892
	buffer_load_dword v34, off, s[0:3], 0 offset:868
	;; [unrolled: 1-line block ×3, first 2 shown]
	ds_read_b128 v[1:4], v51 offset:1648
	v_add_f64 v[13:14], v[13:14], v[39:40]
	v_add_f64 v[15:16], v[15:16], v[35:36]
	s_waitcnt vmcnt(58) lgkmcnt(1)
	v_mul_f64 v[39:40], v[7:8], v[64:65]
	s_waitcnt vmcnt(56)
	v_fma_f64 v[47:48], v[9:10], v[66:67], -v[46:47]
	v_mul_f64 v[35:36], v[5:6], v[64:65]
	v_add_f64 v[13:14], v[13:14], v[31:32]
	v_fma_f64 v[31:32], v[11:12], v[66:67], v[127:128]
	v_add_f64 v[15:16], v[15:16], v[29:30]
	s_clause 0x4
	buffer_load_dword v30, off, s[0:3], 0 offset:908
	buffer_load_dword v64, off, s[0:3], 0 offset:920
	;; [unrolled: 1-line block ×5, first 2 shown]
	s_waitcnt vmcnt(57) lgkmcnt(0)
	v_mul_f64 v[67:68], v[1:2], v[70:71]
	v_mul_f64 v[70:71], v[3:4], v[70:71]
	s_waitcnt vmcnt(56)
	v_fma_f64 v[39:40], v[5:6], v[41:42], -v[39:40]
	ds_read_b128 v[9:12], v51 offset:1664
	v_fma_f64 v[35:36], v[7:8], v[41:42], v[35:36]
	v_add_f64 v[13:14], v[13:14], v[47:48]
	v_add_f64 v[15:16], v[15:16], v[31:32]
	s_clause 0x2
	buffer_load_dword v65, off, s[0:3], 0 offset:924
	buffer_load_dword v32, off, s[0:3], 0 offset:900
	;; [unrolled: 1-line block ×3, first 2 shown]
	ds_read_b128 v[5:8], v51 offset:1680
	s_waitcnt vmcnt(58) lgkmcnt(1)
	v_mul_f64 v[47:48], v[11:12], v[72:73]
	s_waitcnt vmcnt(56)
	v_fma_f64 v[70:71], v[1:2], v[74:75], -v[70:71]
	v_mul_f64 v[41:42], v[9:10], v[72:73]
	v_add_f64 v[13:14], v[13:14], v[39:40]
	v_fma_f64 v[39:40], v[3:4], v[74:75], v[67:68]
	v_add_f64 v[15:16], v[15:16], v[35:36]
	s_clause 0x4
	buffer_load_dword v36, off, s[0:3], 0 offset:940
	buffer_load_dword v72, off, s[0:3], 0 offset:952
	;; [unrolled: 1-line block ×5, first 2 shown]
	s_waitcnt vmcnt(57) lgkmcnt(0)
	v_mul_f64 v[127:128], v[5:6], v[78:79]
	v_mul_f64 v[78:79], v[7:8], v[78:79]
	s_waitcnt vmcnt(56)
	v_fma_f64 v[47:48], v[9:10], v[49:50], -v[47:48]
	ds_read_b128 v[1:4], v51 offset:1696
	v_fma_f64 v[41:42], v[11:12], v[49:50], v[41:42]
	v_add_f64 v[13:14], v[13:14], v[70:71]
	v_add_f64 v[15:16], v[15:16], v[39:40]
	s_clause 0x2
	buffer_load_dword v73, off, s[0:3], 0 offset:956
	buffer_load_dword v40, off, s[0:3], 0 offset:932
	;; [unrolled: 1-line block ×3, first 2 shown]
	ds_read_b128 v[9:12], v51 offset:1712
	s_waitcnt vmcnt(58) lgkmcnt(1)
	v_mul_f64 v[70:71], v[3:4], v[84:85]
	s_waitcnt vmcnt(56)
	v_fma_f64 v[78:79], v[5:6], v[93:94], -v[78:79]
	v_mul_f64 v[49:50], v[1:2], v[84:85]
	v_add_f64 v[13:14], v[13:14], v[47:48]
	v_fma_f64 v[47:48], v[7:8], v[93:94], v[127:128]
	v_add_f64 v[15:16], v[15:16], v[41:42]
	s_clause 0x4
	buffer_load_dword v42, off, s[0:3], 0 offset:972
	buffer_load_dword v84, off, s[0:3], 0 offset:984
	;; [unrolled: 1-line block ×5, first 2 shown]
	ds_read_b128 v[5:8], v51 offset:1728
	s_waitcnt vmcnt(57) lgkmcnt(1)
	v_mul_f64 v[127:128], v[9:10], v[76:77]
	v_mul_f64 v[76:77], v[11:12], v[76:77]
	s_waitcnt vmcnt(56)
	v_fma_f64 v[70:71], v[1:2], v[86:87], -v[70:71]
	v_fma_f64 v[49:50], v[3:4], v[86:87], v[49:50]
	v_add_f64 v[13:14], v[13:14], v[78:79]
	v_add_f64 v[15:16], v[15:16], v[47:48]
	s_clause 0x2
	buffer_load_dword v85, off, s[0:3], 0 offset:988
	buffer_load_dword v48, off, s[0:3], 0 offset:964
	;; [unrolled: 1-line block ×3, first 2 shown]
	ds_read_b128 v[1:4], v51 offset:1744
	s_waitcnt vmcnt(58) lgkmcnt(1)
	v_mul_f64 v[86:87], v[7:8], v[123:124]
	v_mul_f64 v[78:79], v[5:6], v[123:124]
	s_waitcnt vmcnt(56)
	v_fma_f64 v[76:77], v[9:10], v[58:59], -v[76:77]
	v_fma_f64 v[58:59], v[11:12], v[58:59], v[127:128]
	v_add_f64 v[13:14], v[13:14], v[70:71]
	v_add_f64 v[15:16], v[15:16], v[49:50]
	s_clause 0x2
	buffer_load_dword v50, off, s[0:3], 0 offset:1004
	buffer_load_dword v49, off, s[0:3], 0 offset:1000
	;; [unrolled: 1-line block ×3, first 2 shown]
	ds_read_b128 v[9:12], v51 offset:1760
	s_waitcnt vmcnt(55) lgkmcnt(1)
	v_mul_f64 v[70:71], v[1:2], v[25:26]
	v_mul_f64 v[25:26], v[3:4], v[25:26]
	s_waitcnt vmcnt(54)
	v_fma_f64 v[86:87], v[5:6], v[125:126], -v[86:87]
	v_add_f64 v[13:14], v[13:14], v[76:77]
	v_fma_f64 v[76:77], v[7:8], v[125:126], v[78:79]
	v_add_f64 v[15:16], v[15:16], v[58:59]
	s_clause 0x1
	buffer_load_dword v59, off, s[0:3], 0 offset:996
	buffer_load_dword v58, off, s[0:3], 0 offset:992
	ds_read_b128 v[5:8], v51 offset:1776
	s_waitcnt vmcnt(55) lgkmcnt(1)
	v_mul_f64 v[78:79], v[9:10], v[60:61]
	v_mul_f64 v[60:61], v[11:12], v[60:61]
	s_waitcnt vmcnt(53)
	v_fma_f64 v[25:26], v[1:2], v[19:20], -v[25:26]
	v_fma_f64 v[19:20], v[3:4], v[19:20], v[70:71]
	ds_read_b128 v[1:4], v51 offset:1792
	v_add_f64 v[13:14], v[13:14], v[86:87]
	v_add_f64 v[15:16], v[15:16], v[76:77]
	s_waitcnt vmcnt(49) lgkmcnt(1)
	v_mul_f64 v[70:71], v[5:6], v[52:53]
	v_mul_f64 v[52:53], v[7:8], v[52:53]
	s_waitcnt vmcnt(48)
	v_fma_f64 v[60:61], v[9:10], v[95:96], -v[60:61]
	v_add_f64 v[13:14], v[13:14], v[25:26]
	v_fma_f64 v[25:26], v[11:12], v[95:96], v[78:79]
	v_add_f64 v[15:16], v[15:16], v[19:20]
	s_clause 0x3
	buffer_load_dword v19, off, s[0:3], 0 offset:448
	buffer_load_dword v20, off, s[0:3], 0 offset:452
	;; [unrolled: 1-line block ×4, first 2 shown]
	ds_read_b128 v[9:12], v51 offset:1808
	s_waitcnt vmcnt(51) lgkmcnt(1)
	v_mul_f64 v[78:79], v[1:2], v[54:55]
	v_mul_f64 v[54:55], v[3:4], v[54:55]
	s_waitcnt vmcnt(49)
	v_fma_f64 v[52:53], v[5:6], v[21:22], -v[52:53]
	v_fma_f64 v[21:22], v[7:8], v[21:22], v[70:71]
	ds_read_b128 v[5:8], v51 offset:1824
	v_add_f64 v[13:14], v[13:14], v[60:61]
	v_add_f64 v[15:16], v[15:16], v[25:26]
	s_waitcnt vmcnt(45) lgkmcnt(1)
	v_mul_f64 v[25:26], v[9:10], v[17:18]
	v_mul_f64 v[17:18], v[11:12], v[17:18]
	s_waitcnt vmcnt(44)
	v_fma_f64 v[54:55], v[1:2], v[62:63], -v[54:55]
	v_add_f64 v[13:14], v[13:14], v[52:53]
	v_fma_f64 v[52:53], v[3:4], v[62:63], v[78:79]
	v_add_f64 v[15:16], v[15:16], v[21:22]
	ds_read_b128 v[1:4], v51 offset:1840
	s_waitcnt vmcnt(43) lgkmcnt(1)
	v_mul_f64 v[21:22], v[5:6], v[37:38]
	v_mul_f64 v[37:38], v[7:8], v[37:38]
	s_waitcnt vmcnt(41)
	v_fma_f64 v[17:18], v[9:10], v[27:28], -v[17:18]
	v_fma_f64 v[25:26], v[11:12], v[27:28], v[25:26]
	ds_read_b128 v[9:12], v51 offset:1856
	v_add_f64 v[13:14], v[13:14], v[54:55]
	v_add_f64 v[15:16], v[15:16], v[52:53]
	s_waitcnt vmcnt(37) lgkmcnt(1)
	v_mul_f64 v[27:28], v[1:2], v[23:24]
	v_mul_f64 v[23:24], v[3:4], v[23:24]
	s_waitcnt vmcnt(36)
	v_fma_f64 v[37:38], v[5:6], v[56:57], -v[37:38]
	v_add_f64 v[13:14], v[13:14], v[17:18]
	v_fma_f64 v[17:18], v[7:8], v[56:57], v[21:22]
	v_add_f64 v[15:16], v[15:16], v[25:26]
	s_waitcnt vmcnt(35) lgkmcnt(0)
	v_mul_f64 v[25:26], v[11:12], v[43:44]
	ds_read_b128 v[5:8], v51 offset:1872
	v_mul_f64 v[21:22], v[9:10], v[43:44]
	s_waitcnt vmcnt(33)
	v_fma_f64 v[27:28], v[3:4], v[33:34], v[27:28]
	v_fma_f64 v[23:24], v[1:2], v[33:34], -v[23:24]
	ds_read_b128 v[1:4], v51 offset:1888
	v_add_f64 v[13:14], v[13:14], v[37:38]
	v_add_f64 v[15:16], v[15:16], v[17:18]
	s_waitcnt vmcnt(29) lgkmcnt(1)
	v_mul_f64 v[17:18], v[5:6], v[29:30]
	v_mul_f64 v[29:30], v[7:8], v[29:30]
	s_waitcnt vmcnt(28)
	v_fma_f64 v[25:26], v[9:10], v[45:46], -v[25:26]
	v_fma_f64 v[21:22], v[11:12], v[45:46], v[21:22]
	ds_read_b128 v[9:12], v51 offset:1904
	v_add_f64 v[13:14], v[13:14], v[23:24]
	v_add_f64 v[15:16], v[15:16], v[27:28]
	s_waitcnt vmcnt(27) lgkmcnt(1)
	v_mul_f64 v[27:28], v[3:4], v[64:65]
	v_mul_f64 v[23:24], v[1:2], v[64:65]
	s_waitcnt vmcnt(25)
	v_fma_f64 v[29:30], v[5:6], v[31:32], -v[29:30]
	v_fma_f64 v[17:18], v[7:8], v[31:32], v[17:18]
	ds_read_b128 v[5:8], v51 offset:1920
	v_add_f64 v[13:14], v[13:14], v[25:26]
	v_add_f64 v[15:16], v[15:16], v[21:22]
	s_waitcnt vmcnt(21) lgkmcnt(1)
	v_mul_f64 v[25:26], v[11:12], v[35:36]
	s_waitcnt vmcnt(20)
	v_fma_f64 v[27:28], v[1:2], v[66:67], -v[27:28]
	v_mul_f64 v[21:22], v[9:10], v[35:36]
	v_fma_f64 v[23:24], v[3:4], v[66:67], v[23:24]
	ds_read_b128 v[1:4], v51 offset:1936
	v_add_f64 v[13:14], v[13:14], v[29:30]
	v_add_f64 v[15:16], v[15:16], v[17:18]
	s_waitcnt vmcnt(19) lgkmcnt(1)
	v_mul_f64 v[29:30], v[7:8], v[72:73]
	v_mul_f64 v[17:18], v[5:6], v[72:73]
	s_waitcnt vmcnt(17)
	v_fma_f64 v[25:26], v[9:10], v[39:40], -v[25:26]
	v_fma_f64 v[21:22], v[11:12], v[39:40], v[21:22]
	ds_read_b128 v[9:12], v51 offset:1952
	v_add_f64 v[13:14], v[13:14], v[27:28]
	v_add_f64 v[15:16], v[15:16], v[23:24]
	s_waitcnt vmcnt(13) lgkmcnt(1)
	v_mul_f64 v[27:28], v[3:4], v[41:42]
	s_waitcnt vmcnt(12)
	v_fma_f64 v[29:30], v[5:6], v[74:75], -v[29:30]
	v_mul_f64 v[23:24], v[1:2], v[41:42]
	v_fma_f64 v[17:18], v[7:8], v[74:75], v[17:18]
	ds_read_b128 v[5:8], v51 offset:1968
	v_add_f64 v[13:14], v[13:14], v[25:26]
	v_add_f64 v[15:16], v[15:16], v[21:22]
	s_waitcnt vmcnt(11) lgkmcnt(1)
	v_mul_f64 v[25:26], v[11:12], v[84:85]
	v_mul_f64 v[21:22], v[9:10], v[84:85]
	s_waitcnt vmcnt(9)
	v_fma_f64 v[1:2], v[1:2], v[47:48], -v[27:28]
	v_fma_f64 v[3:4], v[3:4], v[47:48], v[23:24]
	v_add_f64 v[13:14], v[13:14], v[29:30]
	v_add_f64 v[15:16], v[15:16], v[17:18]
	s_waitcnt vmcnt(7) lgkmcnt(0)
	v_mul_f64 v[23:24], v[7:8], v[49:50]
	s_waitcnt vmcnt(6)
	v_fma_f64 v[9:10], v[9:10], v[93:94], -v[25:26]
	v_mul_f64 v[17:18], v[5:6], v[49:50]
	v_fma_f64 v[11:12], v[11:12], v[93:94], v[21:22]
	v_add_f64 v[1:2], v[13:14], v[1:2]
	v_add_f64 v[3:4], v[15:16], v[3:4]
	s_waitcnt vmcnt(4)
	v_fma_f64 v[5:6], v[5:6], v[58:59], -v[23:24]
	v_fma_f64 v[7:8], v[7:8], v[58:59], v[17:18]
	v_add_f64 v[1:2], v[1:2], v[9:10]
	v_add_f64 v[3:4], v[3:4], v[11:12]
	;; [unrolled: 1-line block ×4, first 2 shown]
	s_waitcnt vmcnt(2)
	v_add_f64 v[1:2], v[19:20], -v[1:2]
	s_waitcnt vmcnt(0)
	v_add_f64 v[3:4], v[76:77], -v[3:4]
	buffer_store_dword v2, off, s[0:3], 0 offset:452
	buffer_store_dword v1, off, s[0:3], 0 offset:448
	;; [unrolled: 1-line block ×4, first 2 shown]
	v_cmpx_lt_u32_e32 26, v0
	s_cbranch_execz .LBB61_345
; %bb.344:
	v_mov_b32_e32 v4, s50
	v_mov_b32_e32 v5, 0
	s_clause 0x3
	buffer_load_dword v1, v4, s[0:3], 0 offen
	buffer_load_dword v2, v4, s[0:3], 0 offen offset:4
	buffer_load_dword v3, v4, s[0:3], 0 offen offset:8
	;; [unrolled: 1-line block ×3, first 2 shown]
	buffer_store_dword v5, off, s[0:3], 0 offset:432
	buffer_store_dword v5, off, s[0:3], 0 offset:436
	;; [unrolled: 1-line block ×4, first 2 shown]
	s_waitcnt vmcnt(0)
	ds_write_b128 v69, v[1:4]
.LBB61_345:
	s_or_b32 exec_lo, exec_lo, s4
	s_waitcnt lgkmcnt(0)
	s_waitcnt_vscnt null, 0x0
	s_barrier
	buffer_gl0_inv
	s_clause 0x37
	buffer_load_dword v9, off, s[0:3], 0 offset:456
	buffer_load_dword v10, off, s[0:3], 0 offset:460
	;; [unrolled: 1-line block ×56, first 2 shown]
	v_mov_b32_e32 v61, 0
	s_mov_b32 s4, exec_lo
	ds_read_b128 v[62:65], v61 offset:1424
	s_clause 0x2
	buffer_load_dword v58, off, s[0:3], 0 offset:684
	buffer_load_dword v60, off, s[0:3], 0 offset:660
	;; [unrolled: 1-line block ×3, first 2 shown]
	ds_read_b128 v[70:73], v61 offset:1440
	s_clause 0x4
	buffer_load_dword v79, off, s[0:3], 0 offset:700
	buffer_load_dword v84, off, s[0:3], 0 offset:712
	;; [unrolled: 1-line block ×5, first 2 shown]
	ds_read_b128 v[74:77], v61 offset:1456
	s_clause 0x2
	buffer_load_dword v85, off, s[0:3], 0 offset:716
	buffer_load_dword v94, off, s[0:3], 0 offset:692
	;; [unrolled: 1-line block ×3, first 2 shown]
	s_waitcnt vmcnt(62) lgkmcnt(2)
	v_mul_f64 v[66:67], v[64:65], v[9:10]
	v_mul_f64 v[9:10], v[62:63], v[9:10]
	s_waitcnt lgkmcnt(1)
	v_mul_f64 v[87:88], v[72:73], v[5:6]
	s_waitcnt vmcnt(59) lgkmcnt(0)
	v_mul_f64 v[95:96], v[76:77], v[3:4]
	v_fma_f64 v[62:63], v[62:63], v[7:8], -v[66:67]
	v_mul_f64 v[66:67], v[70:71], v[5:6]
	v_fma_f64 v[9:10], v[64:65], v[7:8], v[9:10]
	s_waitcnt vmcnt(57)
	v_fma_f64 v[70:71], v[70:71], v[1:2], -v[87:88]
	ds_read_b128 v[5:8], v61 offset:1472
	v_mul_f64 v[64:65], v[74:75], v[3:4]
	s_waitcnt vmcnt(51)
	v_fma_f64 v[74:75], v[74:75], v[25:26], -v[95:96]
	v_add_f64 v[62:63], v[62:63], 0
	v_fma_f64 v[66:67], v[72:73], v[1:2], v[66:67]
	v_add_f64 v[9:10], v[9:10], 0
	s_clause 0x4
	buffer_load_dword v73, off, s[0:3], 0 offset:732
	buffer_load_dword v123, off, s[0:3], 0 offset:744
	;; [unrolled: 1-line block ×5, first 2 shown]
	s_waitcnt lgkmcnt(0)
	v_mul_f64 v[126:127], v[5:6], v[13:14]
	v_mul_f64 v[13:14], v[7:8], v[13:14]
	ds_read_b128 v[1:4], v61 offset:1488
	v_fma_f64 v[25:26], v[76:77], v[25:26], v[64:65]
	v_add_f64 v[70:71], v[62:63], v[70:71]
	v_add_f64 v[9:10], v[9:10], v[66:67]
	s_clause 0x2
	buffer_load_dword v124, off, s[0:3], 0 offset:748
	buffer_load_dword v67, off, s[0:3], 0 offset:724
	;; [unrolled: 1-line block ×3, first 2 shown]
	s_waitcnt vmcnt(58) lgkmcnt(0)
	v_mul_f64 v[76:77], v[1:2], v[17:18]
	v_mul_f64 v[17:18], v[3:4], v[17:18]
	s_waitcnt vmcnt(56)
	v_fma_f64 v[13:14], v[5:6], v[19:20], -v[13:14]
	ds_read_b128 v[62:65], v61 offset:1504
	v_fma_f64 v[19:20], v[7:8], v[19:20], v[126:127]
	v_add_f64 v[70:71], v[70:71], v[74:75]
	v_add_f64 v[9:10], v[9:10], v[25:26]
	s_clause 0x4
	buffer_load_dword v26, off, s[0:3], 0 offset:764
	buffer_load_dword v74, off, s[0:3], 0 offset:776
	;; [unrolled: 1-line block ×5, first 2 shown]
	ds_read_b128 v[5:8], v61 offset:1520
	s_waitcnt vmcnt(57) lgkmcnt(1)
	v_mul_f64 v[127:128], v[62:63], v[21:22]
	v_mul_f64 v[21:22], v[64:65], v[21:22]
	s_waitcnt vmcnt(56)
	v_fma_f64 v[17:18], v[1:2], v[11:12], -v[17:18]
	v_fma_f64 v[11:12], v[3:4], v[11:12], v[76:77]
	v_add_f64 v[13:14], v[70:71], v[13:14]
	v_add_f64 v[9:10], v[9:10], v[19:20]
	s_clause 0x2
	buffer_load_dword v75, off, s[0:3], 0 offset:780
	buffer_load_dword v20, off, s[0:3], 0 offset:756
	;; [unrolled: 1-line block ×3, first 2 shown]
	s_waitcnt vmcnt(58) lgkmcnt(0)
	v_mul_f64 v[70:71], v[5:6], v[27:28]
	v_mul_f64 v[27:28], v[7:8], v[27:28]
	s_waitcnt vmcnt(56)
	v_fma_f64 v[21:22], v[62:63], v[29:30], -v[21:22]
	ds_read_b128 v[1:4], v61 offset:1536
	v_add_f64 v[13:14], v[13:14], v[17:18]
	v_fma_f64 v[17:18], v[64:65], v[29:30], v[127:128]
	v_add_f64 v[29:30], v[9:10], v[11:12]
	s_clause 0x4
	buffer_load_dword v63, off, s[0:3], 0 offset:796
	buffer_load_dword v64, off, s[0:3], 0 offset:808
	;; [unrolled: 1-line block ×5, first 2 shown]
	ds_read_b128 v[9:12], v61 offset:1552
	s_waitcnt vmcnt(57) lgkmcnt(1)
	v_mul_f64 v[127:128], v[1:2], v[31:32]
	v_mul_f64 v[31:32], v[3:4], v[31:32]
	s_waitcnt vmcnt(56)
	v_fma_f64 v[27:28], v[5:6], v[15:16], -v[27:28]
	v_fma_f64 v[15:16], v[7:8], v[15:16], v[70:71]
	v_add_f64 v[13:14], v[13:14], v[21:22]
	s_clause 0x2
	buffer_load_dword v65, off, s[0:3], 0 offset:812
	buffer_load_dword v22, off, s[0:3], 0 offset:788
	buffer_load_dword v21, off, s[0:3], 0 offset:784
	v_add_f64 v[17:18], v[29:30], v[17:18]
	s_waitcnt vmcnt(58) lgkmcnt(0)
	v_mul_f64 v[29:30], v[9:10], v[35:36]
	v_mul_f64 v[35:36], v[11:12], v[35:36]
	ds_read_b128 v[5:8], v61 offset:1568
	s_waitcnt vmcnt(56)
	v_fma_f64 v[31:32], v[1:2], v[37:38], -v[31:32]
	v_add_f64 v[13:14], v[13:14], v[27:28]
	v_fma_f64 v[27:28], v[3:4], v[37:38], v[127:128]
	v_add_f64 v[15:16], v[17:18], v[15:16]
	s_clause 0x4
	buffer_load_dword v18, off, s[0:3], 0 offset:828
	buffer_load_dword v37, off, s[0:3], 0 offset:840
	;; [unrolled: 1-line block ×5, first 2 shown]
	s_waitcnt vmcnt(57) lgkmcnt(0)
	v_mul_f64 v[127:128], v[5:6], v[39:40]
	v_mul_f64 v[39:40], v[7:8], v[39:40]
	s_waitcnt vmcnt(56)
	v_fma_f64 v[35:36], v[9:10], v[23:24], -v[35:36]
	ds_read_b128 v[1:4], v61 offset:1584
	v_fma_f64 v[23:24], v[11:12], v[23:24], v[29:30]
	v_add_f64 v[13:14], v[13:14], v[31:32]
	v_add_f64 v[15:16], v[15:16], v[27:28]
	s_clause 0x2
	buffer_load_dword v38, off, s[0:3], 0 offset:844
	buffer_load_dword v28, off, s[0:3], 0 offset:820
	;; [unrolled: 1-line block ×3, first 2 shown]
	ds_read_b128 v[9:12], v61 offset:1600
	s_waitcnt vmcnt(58) lgkmcnt(1)
	v_mul_f64 v[31:32], v[3:4], v[43:44]
	s_waitcnt vmcnt(56)
	v_fma_f64 v[39:40], v[5:6], v[45:46], -v[39:40]
	v_mul_f64 v[29:30], v[1:2], v[43:44]
	v_add_f64 v[13:14], v[13:14], v[35:36]
	v_fma_f64 v[35:36], v[7:8], v[45:46], v[127:128]
	v_add_f64 v[15:16], v[15:16], v[23:24]
	s_clause 0x4
	buffer_load_dword v24, off, s[0:3], 0 offset:860
	buffer_load_dword v43, off, s[0:3], 0 offset:872
	;; [unrolled: 1-line block ×5, first 2 shown]
	s_waitcnt vmcnt(57) lgkmcnt(0)
	v_mul_f64 v[127:128], v[9:10], v[47:48]
	v_mul_f64 v[46:47], v[11:12], v[47:48]
	s_waitcnt vmcnt(56)
	v_fma_f64 v[31:32], v[1:2], v[33:34], -v[31:32]
	ds_read_b128 v[5:8], v61 offset:1616
	v_fma_f64 v[29:30], v[3:4], v[33:34], v[29:30]
	s_clause 0x2
	buffer_load_dword v44, off, s[0:3], 0 offset:876
	buffer_load_dword v34, off, s[0:3], 0 offset:852
	buffer_load_dword v33, off, s[0:3], 0 offset:848
	ds_read_b128 v[1:4], v61 offset:1632
	v_add_f64 v[13:14], v[13:14], v[39:40]
	v_add_f64 v[15:16], v[15:16], v[35:36]
	s_waitcnt vmcnt(58) lgkmcnt(1)
	v_mul_f64 v[39:40], v[7:8], v[51:52]
	s_waitcnt vmcnt(56)
	v_fma_f64 v[47:48], v[9:10], v[53:54], -v[46:47]
	v_mul_f64 v[35:36], v[5:6], v[51:52]
	v_add_f64 v[13:14], v[13:14], v[31:32]
	v_fma_f64 v[31:32], v[11:12], v[53:54], v[127:128]
	v_add_f64 v[15:16], v[15:16], v[29:30]
	s_clause 0x4
	buffer_load_dword v30, off, s[0:3], 0 offset:892
	buffer_load_dword v51, off, s[0:3], 0 offset:904
	;; [unrolled: 1-line block ×5, first 2 shown]
	s_waitcnt vmcnt(57) lgkmcnt(0)
	v_mul_f64 v[127:128], v[1:2], v[55:56]
	v_mul_f64 v[54:55], v[3:4], v[55:56]
	s_waitcnt vmcnt(56)
	v_fma_f64 v[39:40], v[5:6], v[41:42], -v[39:40]
	ds_read_b128 v[9:12], v61 offset:1648
	v_fma_f64 v[35:36], v[7:8], v[41:42], v[35:36]
	v_add_f64 v[13:14], v[13:14], v[47:48]
	v_add_f64 v[15:16], v[15:16], v[31:32]
	s_clause 0x2
	buffer_load_dword v52, off, s[0:3], 0 offset:908
	buffer_load_dword v32, off, s[0:3], 0 offset:884
	buffer_load_dword v31, off, s[0:3], 0 offset:880
	ds_read_b128 v[5:8], v61 offset:1664
	s_waitcnt vmcnt(58) lgkmcnt(1)
	v_mul_f64 v[47:48], v[11:12], v[57:58]
	s_waitcnt vmcnt(56)
	v_fma_f64 v[55:56], v[1:2], v[59:60], -v[54:55]
	v_mul_f64 v[41:42], v[9:10], v[57:58]
	v_add_f64 v[13:14], v[13:14], v[39:40]
	v_fma_f64 v[39:40], v[3:4], v[59:60], v[127:128]
	v_add_f64 v[15:16], v[15:16], v[35:36]
	s_clause 0x4
	buffer_load_dword v36, off, s[0:3], 0 offset:924
	buffer_load_dword v57, off, s[0:3], 0 offset:936
	;; [unrolled: 1-line block ×5, first 2 shown]
	s_waitcnt vmcnt(57) lgkmcnt(0)
	v_mul_f64 v[127:128], v[5:6], v[78:79]
	v_mul_f64 v[78:79], v[7:8], v[78:79]
	s_waitcnt vmcnt(56)
	v_fma_f64 v[47:48], v[9:10], v[49:50], -v[47:48]
	ds_read_b128 v[1:4], v61 offset:1680
	v_fma_f64 v[41:42], v[11:12], v[49:50], v[41:42]
	v_add_f64 v[13:14], v[13:14], v[55:56]
	v_add_f64 v[15:16], v[15:16], v[39:40]
	s_clause 0x2
	buffer_load_dword v58, off, s[0:3], 0 offset:940
	buffer_load_dword v40, off, s[0:3], 0 offset:916
	;; [unrolled: 1-line block ×3, first 2 shown]
	ds_read_b128 v[9:12], v61 offset:1696
	s_waitcnt vmcnt(58) lgkmcnt(1)
	v_mul_f64 v[55:56], v[3:4], v[84:85]
	s_waitcnt vmcnt(56)
	v_fma_f64 v[78:79], v[5:6], v[93:94], -v[78:79]
	v_mul_f64 v[49:50], v[1:2], v[84:85]
	v_add_f64 v[13:14], v[13:14], v[47:48]
	v_fma_f64 v[47:48], v[7:8], v[93:94], v[127:128]
	v_add_f64 v[15:16], v[15:16], v[41:42]
	s_clause 0x4
	buffer_load_dword v42, off, s[0:3], 0 offset:956
	buffer_load_dword v84, off, s[0:3], 0 offset:968
	;; [unrolled: 1-line block ×5, first 2 shown]
	ds_read_b128 v[5:8], v61 offset:1712
	s_waitcnt vmcnt(57) lgkmcnt(1)
	v_mul_f64 v[127:128], v[9:10], v[72:73]
	v_mul_f64 v[72:73], v[11:12], v[72:73]
	s_waitcnt vmcnt(56)
	v_fma_f64 v[55:56], v[1:2], v[86:87], -v[55:56]
	v_fma_f64 v[49:50], v[3:4], v[86:87], v[49:50]
	v_add_f64 v[13:14], v[13:14], v[78:79]
	v_add_f64 v[15:16], v[15:16], v[47:48]
	s_clause 0x2
	buffer_load_dword v85, off, s[0:3], 0 offset:972
	buffer_load_dword v48, off, s[0:3], 0 offset:948
	;; [unrolled: 1-line block ×3, first 2 shown]
	ds_read_b128 v[1:4], v61 offset:1728
	s_waitcnt vmcnt(58) lgkmcnt(1)
	v_mul_f64 v[86:87], v[7:8], v[123:124]
	v_mul_f64 v[78:79], v[5:6], v[123:124]
	s_waitcnt vmcnt(56)
	v_fma_f64 v[72:73], v[9:10], v[66:67], -v[72:73]
	v_add_f64 v[13:14], v[13:14], v[55:56]
	v_fma_f64 v[55:56], v[11:12], v[66:67], v[127:128]
	v_add_f64 v[15:16], v[15:16], v[49:50]
	s_clause 0x4
	buffer_load_dword v50, off, s[0:3], 0 offset:988
	buffer_load_dword v66, off, s[0:3], 0 offset:1000
	;; [unrolled: 1-line block ×5, first 2 shown]
	ds_read_b128 v[9:12], v61 offset:1744
	s_waitcnt vmcnt(57) lgkmcnt(1)
	v_mul_f64 v[127:128], v[1:2], v[25:26]
	v_mul_f64 v[25:26], v[3:4], v[25:26]
	s_waitcnt vmcnt(56)
	v_fma_f64 v[86:87], v[5:6], v[125:126], -v[86:87]
	v_add_f64 v[13:14], v[13:14], v[72:73]
	v_fma_f64 v[72:73], v[7:8], v[125:126], v[78:79]
	v_add_f64 v[15:16], v[15:16], v[55:56]
	s_clause 0x2
	buffer_load_dword v67, off, s[0:3], 0 offset:1004
	buffer_load_dword v56, off, s[0:3], 0 offset:980
	;; [unrolled: 1-line block ×3, first 2 shown]
	ds_read_b128 v[5:8], v61 offset:1760
	buffer_load_dword v124, off, s[0:3], 0 offset:996
	s_waitcnt vmcnt(59) lgkmcnt(1)
	v_mul_f64 v[78:79], v[9:10], v[74:75]
	v_mul_f64 v[74:75], v[11:12], v[74:75]
	s_waitcnt vmcnt(57)
	v_fma_f64 v[25:26], v[1:2], v[19:20], -v[25:26]
	v_fma_f64 v[19:20], v[3:4], v[19:20], v[127:128]
	ds_read_b128 v[1:4], v61 offset:1776
	v_add_f64 v[13:14], v[13:14], v[86:87]
	v_add_f64 v[15:16], v[15:16], v[72:73]
	s_waitcnt vmcnt(53) lgkmcnt(1)
	v_mul_f64 v[72:73], v[5:6], v[62:63]
	v_mul_f64 v[62:63], v[7:8], v[62:63]
	s_waitcnt vmcnt(52)
	v_fma_f64 v[74:75], v[9:10], v[95:96], -v[74:75]
	v_add_f64 v[13:14], v[13:14], v[25:26]
	v_fma_f64 v[25:26], v[11:12], v[95:96], v[78:79]
	v_add_f64 v[15:16], v[15:16], v[19:20]
	ds_read_b128 v[9:12], v61 offset:1792
	s_waitcnt vmcnt(51) lgkmcnt(1)
	v_mul_f64 v[19:20], v[1:2], v[64:65]
	v_mul_f64 v[64:65], v[3:4], v[64:65]
	s_waitcnt vmcnt(49)
	v_fma_f64 v[62:63], v[5:6], v[21:22], -v[62:63]
	v_fma_f64 v[21:22], v[7:8], v[21:22], v[72:73]
	v_add_f64 v[13:14], v[13:14], v[74:75]
	v_add_f64 v[15:16], v[15:16], v[25:26]
	s_clause 0x3
	buffer_load_dword v25, off, s[0:3], 0 offset:432
	buffer_load_dword v26, off, s[0:3], 0 offset:436
	;; [unrolled: 1-line block ×4, first 2 shown]
	ds_read_b128 v[5:8], v61 offset:1808
	s_waitcnt vmcnt(49) lgkmcnt(1)
	v_mul_f64 v[74:75], v[9:10], v[17:18]
	v_mul_f64 v[17:18], v[11:12], v[17:18]
	s_waitcnt vmcnt(48)
	v_fma_f64 v[64:65], v[1:2], v[76:77], -v[64:65]
	v_fma_f64 v[19:20], v[3:4], v[76:77], v[19:20]
	ds_read_b128 v[1:4], v61 offset:1824
	v_add_f64 v[13:14], v[13:14], v[62:63]
	v_add_f64 v[15:16], v[15:16], v[21:22]
	s_waitcnt vmcnt(47) lgkmcnt(1)
	v_mul_f64 v[21:22], v[5:6], v[37:38]
	v_mul_f64 v[37:38], v[7:8], v[37:38]
	s_waitcnt vmcnt(45)
	v_fma_f64 v[17:18], v[9:10], v[27:28], -v[17:18]
	v_fma_f64 v[27:28], v[11:12], v[27:28], v[74:75]
	ds_read_b128 v[9:12], v61 offset:1840
	v_add_f64 v[13:14], v[13:14], v[64:65]
	v_add_f64 v[15:16], v[15:16], v[19:20]
	s_waitcnt vmcnt(41) lgkmcnt(1)
	v_mul_f64 v[19:20], v[1:2], v[23:24]
	v_mul_f64 v[23:24], v[3:4], v[23:24]
	s_waitcnt vmcnt(40)
	v_fma_f64 v[37:38], v[5:6], v[70:71], -v[37:38]
	v_add_f64 v[13:14], v[13:14], v[17:18]
	v_fma_f64 v[17:18], v[7:8], v[70:71], v[21:22]
	v_add_f64 v[15:16], v[15:16], v[27:28]
	ds_read_b128 v[5:8], v61 offset:1856
	s_waitcnt vmcnt(39) lgkmcnt(1)
	v_mul_f64 v[27:28], v[11:12], v[43:44]
	v_mul_f64 v[21:22], v[9:10], v[43:44]
	s_waitcnt vmcnt(37)
	v_fma_f64 v[19:20], v[3:4], v[33:34], v[19:20]
	v_fma_f64 v[23:24], v[1:2], v[33:34], -v[23:24]
	ds_read_b128 v[1:4], v61 offset:1872
	v_add_f64 v[13:14], v[13:14], v[37:38]
	v_add_f64 v[15:16], v[15:16], v[17:18]
	s_waitcnt vmcnt(33) lgkmcnt(1)
	v_mul_f64 v[17:18], v[5:6], v[29:30]
	v_mul_f64 v[29:30], v[7:8], v[29:30]
	s_waitcnt vmcnt(32)
	v_fma_f64 v[27:28], v[9:10], v[45:46], -v[27:28]
	v_fma_f64 v[21:22], v[11:12], v[45:46], v[21:22]
	ds_read_b128 v[9:12], v61 offset:1888
	v_add_f64 v[13:14], v[13:14], v[23:24]
	v_add_f64 v[15:16], v[15:16], v[19:20]
	s_waitcnt vmcnt(31) lgkmcnt(1)
	v_mul_f64 v[23:24], v[3:4], v[51:52]
	v_mul_f64 v[19:20], v[1:2], v[51:52]
	s_waitcnt vmcnt(29)
	v_fma_f64 v[29:30], v[5:6], v[31:32], -v[29:30]
	v_fma_f64 v[17:18], v[7:8], v[31:32], v[17:18]
	ds_read_b128 v[5:8], v61 offset:1904
	v_add_f64 v[13:14], v[13:14], v[27:28]
	v_add_f64 v[15:16], v[15:16], v[21:22]
	s_waitcnt vmcnt(25) lgkmcnt(1)
	v_mul_f64 v[27:28], v[11:12], v[35:36]
	s_waitcnt vmcnt(24)
	v_fma_f64 v[23:24], v[1:2], v[53:54], -v[23:24]
	v_mul_f64 v[21:22], v[9:10], v[35:36]
	v_fma_f64 v[19:20], v[3:4], v[53:54], v[19:20]
	ds_read_b128 v[1:4], v61 offset:1920
	v_add_f64 v[13:14], v[13:14], v[29:30]
	v_add_f64 v[15:16], v[15:16], v[17:18]
	s_waitcnt vmcnt(23) lgkmcnt(1)
	v_mul_f64 v[29:30], v[7:8], v[57:58]
	v_mul_f64 v[17:18], v[5:6], v[57:58]
	s_waitcnt vmcnt(21)
	v_fma_f64 v[27:28], v[9:10], v[39:40], -v[27:28]
	v_fma_f64 v[21:22], v[11:12], v[39:40], v[21:22]
	ds_read_b128 v[9:12], v61 offset:1936
	v_add_f64 v[13:14], v[13:14], v[23:24]
	v_add_f64 v[15:16], v[15:16], v[19:20]
	s_waitcnt vmcnt(17) lgkmcnt(1)
	v_mul_f64 v[23:24], v[3:4], v[41:42]
	s_waitcnt vmcnt(16)
	v_fma_f64 v[29:30], v[5:6], v[59:60], -v[29:30]
	v_mul_f64 v[19:20], v[1:2], v[41:42]
	;; [unrolled: 18-line block ×3, first 2 shown]
	v_fma_f64 v[11:12], v[11:12], v[93:94], v[21:22]
	v_add_f64 v[13:14], v[13:14], v[23:24]
	v_add_f64 v[15:16], v[15:16], v[19:20]
	s_waitcnt vmcnt(7) lgkmcnt(0)
	v_mul_f64 v[21:22], v[3:4], v[66:67]
	v_mul_f64 v[19:20], v[1:2], v[66:67]
	s_waitcnt vmcnt(5)
	v_fma_f64 v[5:6], v[5:6], v[55:56], -v[29:30]
	v_fma_f64 v[7:8], v[7:8], v[55:56], v[17:18]
	v_add_f64 v[9:10], v[13:14], v[9:10]
	v_add_f64 v[11:12], v[15:16], v[11:12]
	s_waitcnt vmcnt(4)
	v_fma_f64 v[1:2], v[1:2], v[123:124], -v[21:22]
	v_fma_f64 v[3:4], v[3:4], v[123:124], v[19:20]
	v_add_f64 v[5:6], v[9:10], v[5:6]
	v_add_f64 v[7:8], v[11:12], v[7:8]
	;; [unrolled: 1-line block ×4, first 2 shown]
	s_waitcnt vmcnt(2)
	v_add_f64 v[1:2], v[25:26], -v[1:2]
	s_waitcnt vmcnt(0)
	v_add_f64 v[3:4], v[72:73], -v[3:4]
	buffer_store_dword v2, off, s[0:3], 0 offset:436
	buffer_store_dword v1, off, s[0:3], 0 offset:432
	;; [unrolled: 1-line block ×4, first 2 shown]
	v_cmpx_lt_u32_e32 25, v0
	s_cbranch_execz .LBB61_347
; %bb.346:
	v_mov_b32_e32 v4, s51
	s_clause 0x3
	buffer_load_dword v1, v4, s[0:3], 0 offen
	buffer_load_dword v2, v4, s[0:3], 0 offen offset:4
	buffer_load_dword v3, v4, s[0:3], 0 offen offset:8
	;; [unrolled: 1-line block ×3, first 2 shown]
	buffer_store_dword v61, off, s[0:3], 0 offset:416
	buffer_store_dword v61, off, s[0:3], 0 offset:420
	;; [unrolled: 1-line block ×4, first 2 shown]
	s_waitcnt vmcnt(0)
	ds_write_b128 v69, v[1:4]
.LBB61_347:
	s_or_b32 exec_lo, exec_lo, s4
	s_waitcnt lgkmcnt(0)
	s_waitcnt_vscnt null, 0x0
	s_barrier
	buffer_gl0_inv
	s_clause 0x37
	buffer_load_dword v9, off, s[0:3], 0 offset:440
	buffer_load_dword v10, off, s[0:3], 0 offset:444
	;; [unrolled: 1-line block ×56, first 2 shown]
	ds_read_b128 v[62:65], v61 offset:1408
	s_clause 0x2
	buffer_load_dword v58, off, s[0:3], 0 offset:668
	buffer_load_dword v60, off, s[0:3], 0 offset:644
	;; [unrolled: 1-line block ×3, first 2 shown]
	ds_read_b128 v[70:73], v61 offset:1424
	s_clause 0x4
	buffer_load_dword v79, off, s[0:3], 0 offset:684
	buffer_load_dword v84, off, s[0:3], 0 offset:696
	;; [unrolled: 1-line block ×5, first 2 shown]
	ds_read_b128 v[74:77], v61 offset:1440
	s_clause 0x2
	buffer_load_dword v85, off, s[0:3], 0 offset:700
	buffer_load_dword v94, off, s[0:3], 0 offset:676
	;; [unrolled: 1-line block ×3, first 2 shown]
	s_mov_b32 s4, exec_lo
	s_waitcnt vmcnt(62) lgkmcnt(2)
	v_mul_f64 v[66:67], v[64:65], v[9:10]
	v_mul_f64 v[9:10], v[62:63], v[9:10]
	s_waitcnt lgkmcnt(1)
	v_mul_f64 v[87:88], v[72:73], v[5:6]
	s_waitcnt vmcnt(59) lgkmcnt(0)
	v_mul_f64 v[95:96], v[76:77], v[3:4]
	v_fma_f64 v[62:63], v[62:63], v[7:8], -v[66:67]
	v_mul_f64 v[66:67], v[70:71], v[5:6]
	v_fma_f64 v[9:10], v[64:65], v[7:8], v[9:10]
	s_waitcnt vmcnt(57)
	v_fma_f64 v[70:71], v[70:71], v[1:2], -v[87:88]
	ds_read_b128 v[5:8], v61 offset:1456
	v_mul_f64 v[64:65], v[74:75], v[3:4]
	s_waitcnt vmcnt(51)
	v_fma_f64 v[74:75], v[74:75], v[25:26], -v[95:96]
	v_add_f64 v[62:63], v[62:63], 0
	v_fma_f64 v[66:67], v[72:73], v[1:2], v[66:67]
	v_add_f64 v[9:10], v[9:10], 0
	s_clause 0x4
	buffer_load_dword v73, off, s[0:3], 0 offset:716
	buffer_load_dword v123, off, s[0:3], 0 offset:728
	;; [unrolled: 1-line block ×5, first 2 shown]
	s_waitcnt lgkmcnt(0)
	v_mul_f64 v[126:127], v[5:6], v[13:14]
	v_mul_f64 v[13:14], v[7:8], v[13:14]
	ds_read_b128 v[1:4], v61 offset:1472
	v_fma_f64 v[25:26], v[76:77], v[25:26], v[64:65]
	v_add_f64 v[70:71], v[62:63], v[70:71]
	v_add_f64 v[9:10], v[9:10], v[66:67]
	s_clause 0x2
	buffer_load_dword v124, off, s[0:3], 0 offset:732
	buffer_load_dword v67, off, s[0:3], 0 offset:708
	;; [unrolled: 1-line block ×3, first 2 shown]
	s_waitcnt vmcnt(58) lgkmcnt(0)
	v_mul_f64 v[76:77], v[1:2], v[17:18]
	v_mul_f64 v[17:18], v[3:4], v[17:18]
	s_waitcnt vmcnt(56)
	v_fma_f64 v[13:14], v[5:6], v[19:20], -v[13:14]
	ds_read_b128 v[62:65], v61 offset:1488
	v_fma_f64 v[19:20], v[7:8], v[19:20], v[126:127]
	v_add_f64 v[70:71], v[70:71], v[74:75]
	v_add_f64 v[9:10], v[9:10], v[25:26]
	s_clause 0x4
	buffer_load_dword v26, off, s[0:3], 0 offset:748
	buffer_load_dword v74, off, s[0:3], 0 offset:760
	;; [unrolled: 1-line block ×5, first 2 shown]
	ds_read_b128 v[5:8], v61 offset:1504
	s_waitcnt vmcnt(57) lgkmcnt(1)
	v_mul_f64 v[127:128], v[62:63], v[21:22]
	v_mul_f64 v[21:22], v[64:65], v[21:22]
	s_waitcnt vmcnt(56)
	v_fma_f64 v[17:18], v[1:2], v[11:12], -v[17:18]
	v_fma_f64 v[11:12], v[3:4], v[11:12], v[76:77]
	v_add_f64 v[13:14], v[70:71], v[13:14]
	v_add_f64 v[9:10], v[9:10], v[19:20]
	s_clause 0x2
	buffer_load_dword v75, off, s[0:3], 0 offset:764
	buffer_load_dword v20, off, s[0:3], 0 offset:740
	;; [unrolled: 1-line block ×3, first 2 shown]
	s_waitcnt vmcnt(58) lgkmcnt(0)
	v_mul_f64 v[70:71], v[5:6], v[27:28]
	v_mul_f64 v[27:28], v[7:8], v[27:28]
	s_waitcnt vmcnt(56)
	v_fma_f64 v[21:22], v[62:63], v[29:30], -v[21:22]
	ds_read_b128 v[1:4], v61 offset:1520
	v_add_f64 v[13:14], v[13:14], v[17:18]
	v_fma_f64 v[17:18], v[64:65], v[29:30], v[127:128]
	v_add_f64 v[29:30], v[9:10], v[11:12]
	s_clause 0x4
	buffer_load_dword v63, off, s[0:3], 0 offset:780
	buffer_load_dword v64, off, s[0:3], 0 offset:792
	;; [unrolled: 1-line block ×5, first 2 shown]
	ds_read_b128 v[9:12], v61 offset:1536
	s_waitcnt vmcnt(57) lgkmcnt(1)
	v_mul_f64 v[127:128], v[1:2], v[31:32]
	v_mul_f64 v[31:32], v[3:4], v[31:32]
	s_waitcnt vmcnt(56)
	v_fma_f64 v[27:28], v[5:6], v[15:16], -v[27:28]
	v_fma_f64 v[15:16], v[7:8], v[15:16], v[70:71]
	v_add_f64 v[13:14], v[13:14], v[21:22]
	s_clause 0x2
	buffer_load_dword v65, off, s[0:3], 0 offset:796
	buffer_load_dword v22, off, s[0:3], 0 offset:772
	;; [unrolled: 1-line block ×3, first 2 shown]
	v_add_f64 v[17:18], v[29:30], v[17:18]
	s_waitcnt vmcnt(58) lgkmcnt(0)
	v_mul_f64 v[29:30], v[9:10], v[35:36]
	v_mul_f64 v[35:36], v[11:12], v[35:36]
	ds_read_b128 v[5:8], v61 offset:1552
	s_waitcnt vmcnt(56)
	v_fma_f64 v[31:32], v[1:2], v[37:38], -v[31:32]
	v_add_f64 v[13:14], v[13:14], v[27:28]
	v_fma_f64 v[27:28], v[3:4], v[37:38], v[127:128]
	v_add_f64 v[15:16], v[17:18], v[15:16]
	s_clause 0x4
	buffer_load_dword v18, off, s[0:3], 0 offset:812
	buffer_load_dword v37, off, s[0:3], 0 offset:824
	;; [unrolled: 1-line block ×5, first 2 shown]
	s_waitcnt vmcnt(57) lgkmcnt(0)
	v_mul_f64 v[127:128], v[5:6], v[39:40]
	v_mul_f64 v[39:40], v[7:8], v[39:40]
	s_waitcnt vmcnt(56)
	v_fma_f64 v[35:36], v[9:10], v[23:24], -v[35:36]
	ds_read_b128 v[1:4], v61 offset:1568
	v_fma_f64 v[23:24], v[11:12], v[23:24], v[29:30]
	v_add_f64 v[13:14], v[13:14], v[31:32]
	v_add_f64 v[15:16], v[15:16], v[27:28]
	s_clause 0x2
	buffer_load_dword v38, off, s[0:3], 0 offset:828
	buffer_load_dword v28, off, s[0:3], 0 offset:804
	buffer_load_dword v27, off, s[0:3], 0 offset:800
	ds_read_b128 v[9:12], v61 offset:1584
	s_waitcnt vmcnt(58) lgkmcnt(1)
	v_mul_f64 v[31:32], v[3:4], v[43:44]
	s_waitcnt vmcnt(56)
	v_fma_f64 v[39:40], v[5:6], v[45:46], -v[39:40]
	v_mul_f64 v[29:30], v[1:2], v[43:44]
	v_add_f64 v[13:14], v[13:14], v[35:36]
	v_fma_f64 v[35:36], v[7:8], v[45:46], v[127:128]
	v_add_f64 v[15:16], v[15:16], v[23:24]
	s_clause 0x4
	buffer_load_dword v24, off, s[0:3], 0 offset:844
	buffer_load_dword v43, off, s[0:3], 0 offset:856
	;; [unrolled: 1-line block ×5, first 2 shown]
	s_waitcnt vmcnt(57) lgkmcnt(0)
	v_mul_f64 v[127:128], v[9:10], v[47:48]
	v_mul_f64 v[46:47], v[11:12], v[47:48]
	s_waitcnt vmcnt(56)
	v_fma_f64 v[31:32], v[1:2], v[33:34], -v[31:32]
	ds_read_b128 v[5:8], v61 offset:1600
	v_fma_f64 v[29:30], v[3:4], v[33:34], v[29:30]
	s_clause 0x2
	buffer_load_dword v44, off, s[0:3], 0 offset:860
	buffer_load_dword v34, off, s[0:3], 0 offset:836
	;; [unrolled: 1-line block ×3, first 2 shown]
	ds_read_b128 v[1:4], v61 offset:1616
	v_add_f64 v[13:14], v[13:14], v[39:40]
	v_add_f64 v[15:16], v[15:16], v[35:36]
	s_waitcnt vmcnt(58) lgkmcnt(1)
	v_mul_f64 v[39:40], v[7:8], v[51:52]
	s_waitcnt vmcnt(56)
	v_fma_f64 v[47:48], v[9:10], v[53:54], -v[46:47]
	v_mul_f64 v[35:36], v[5:6], v[51:52]
	v_add_f64 v[13:14], v[13:14], v[31:32]
	v_fma_f64 v[31:32], v[11:12], v[53:54], v[127:128]
	v_add_f64 v[15:16], v[15:16], v[29:30]
	s_clause 0x4
	buffer_load_dword v30, off, s[0:3], 0 offset:876
	buffer_load_dword v51, off, s[0:3], 0 offset:888
	;; [unrolled: 1-line block ×5, first 2 shown]
	s_waitcnt vmcnt(57) lgkmcnt(0)
	v_mul_f64 v[127:128], v[1:2], v[55:56]
	v_mul_f64 v[54:55], v[3:4], v[55:56]
	s_waitcnt vmcnt(56)
	v_fma_f64 v[39:40], v[5:6], v[41:42], -v[39:40]
	ds_read_b128 v[9:12], v61 offset:1632
	v_fma_f64 v[35:36], v[7:8], v[41:42], v[35:36]
	v_add_f64 v[13:14], v[13:14], v[47:48]
	v_add_f64 v[15:16], v[15:16], v[31:32]
	s_clause 0x2
	buffer_load_dword v52, off, s[0:3], 0 offset:892
	buffer_load_dword v32, off, s[0:3], 0 offset:868
	;; [unrolled: 1-line block ×3, first 2 shown]
	ds_read_b128 v[5:8], v61 offset:1648
	s_waitcnt vmcnt(58) lgkmcnt(1)
	v_mul_f64 v[47:48], v[11:12], v[57:58]
	s_waitcnt vmcnt(56)
	v_fma_f64 v[55:56], v[1:2], v[59:60], -v[54:55]
	v_mul_f64 v[41:42], v[9:10], v[57:58]
	v_add_f64 v[13:14], v[13:14], v[39:40]
	v_fma_f64 v[39:40], v[3:4], v[59:60], v[127:128]
	v_add_f64 v[15:16], v[15:16], v[35:36]
	s_clause 0x4
	buffer_load_dword v36, off, s[0:3], 0 offset:908
	buffer_load_dword v57, off, s[0:3], 0 offset:920
	;; [unrolled: 1-line block ×5, first 2 shown]
	s_waitcnt vmcnt(57) lgkmcnt(0)
	v_mul_f64 v[127:128], v[5:6], v[78:79]
	v_mul_f64 v[78:79], v[7:8], v[78:79]
	s_waitcnt vmcnt(56)
	v_fma_f64 v[47:48], v[9:10], v[49:50], -v[47:48]
	ds_read_b128 v[1:4], v61 offset:1664
	v_fma_f64 v[41:42], v[11:12], v[49:50], v[41:42]
	v_add_f64 v[13:14], v[13:14], v[55:56]
	v_add_f64 v[15:16], v[15:16], v[39:40]
	s_clause 0x2
	buffer_load_dword v58, off, s[0:3], 0 offset:924
	buffer_load_dword v40, off, s[0:3], 0 offset:900
	;; [unrolled: 1-line block ×3, first 2 shown]
	ds_read_b128 v[9:12], v61 offset:1680
	s_waitcnt vmcnt(58) lgkmcnt(1)
	v_mul_f64 v[55:56], v[3:4], v[84:85]
	s_waitcnt vmcnt(56)
	v_fma_f64 v[78:79], v[5:6], v[93:94], -v[78:79]
	v_mul_f64 v[49:50], v[1:2], v[84:85]
	v_add_f64 v[13:14], v[13:14], v[47:48]
	v_fma_f64 v[47:48], v[7:8], v[93:94], v[127:128]
	v_add_f64 v[15:16], v[15:16], v[41:42]
	s_clause 0x4
	buffer_load_dword v42, off, s[0:3], 0 offset:940
	buffer_load_dword v84, off, s[0:3], 0 offset:952
	buffer_load_dword v93, off, s[0:3], 0 offset:944
	buffer_load_dword v41, off, s[0:3], 0 offset:936
	buffer_load_dword v60, off, s[0:3], 0 offset:916
	ds_read_b128 v[5:8], v61 offset:1696
	s_waitcnt vmcnt(57) lgkmcnt(1)
	v_mul_f64 v[127:128], v[9:10], v[72:73]
	v_mul_f64 v[72:73], v[11:12], v[72:73]
	s_waitcnt vmcnt(56)
	v_fma_f64 v[55:56], v[1:2], v[86:87], -v[55:56]
	v_fma_f64 v[49:50], v[3:4], v[86:87], v[49:50]
	v_add_f64 v[13:14], v[13:14], v[78:79]
	v_add_f64 v[15:16], v[15:16], v[47:48]
	s_clause 0x2
	buffer_load_dword v85, off, s[0:3], 0 offset:956
	buffer_load_dword v48, off, s[0:3], 0 offset:932
	;; [unrolled: 1-line block ×3, first 2 shown]
	ds_read_b128 v[1:4], v61 offset:1712
	s_waitcnt vmcnt(58) lgkmcnt(1)
	v_mul_f64 v[86:87], v[7:8], v[123:124]
	v_mul_f64 v[78:79], v[5:6], v[123:124]
	s_waitcnt vmcnt(56)
	v_fma_f64 v[72:73], v[9:10], v[66:67], -v[72:73]
	v_add_f64 v[13:14], v[13:14], v[55:56]
	v_fma_f64 v[55:56], v[11:12], v[66:67], v[127:128]
	v_add_f64 v[15:16], v[15:16], v[49:50]
	s_clause 0x4
	buffer_load_dword v50, off, s[0:3], 0 offset:972
	buffer_load_dword v66, off, s[0:3], 0 offset:984
	;; [unrolled: 1-line block ×5, first 2 shown]
	ds_read_b128 v[9:12], v61 offset:1728
	s_waitcnt vmcnt(57) lgkmcnt(1)
	v_mul_f64 v[127:128], v[1:2], v[25:26]
	v_mul_f64 v[25:26], v[3:4], v[25:26]
	s_waitcnt vmcnt(56)
	v_fma_f64 v[86:87], v[5:6], v[125:126], -v[86:87]
	v_add_f64 v[13:14], v[13:14], v[72:73]
	v_fma_f64 v[72:73], v[7:8], v[125:126], v[78:79]
	v_add_f64 v[15:16], v[15:16], v[55:56]
	s_clause 0x2
	buffer_load_dword v67, off, s[0:3], 0 offset:988
	buffer_load_dword v56, off, s[0:3], 0 offset:964
	;; [unrolled: 1-line block ×3, first 2 shown]
	ds_read_b128 v[5:8], v61 offset:1744
	s_waitcnt vmcnt(58) lgkmcnt(1)
	v_mul_f64 v[78:79], v[9:10], v[74:75]
	v_mul_f64 v[74:75], v[11:12], v[74:75]
	s_waitcnt vmcnt(56)
	v_fma_f64 v[25:26], v[1:2], v[19:20], -v[25:26]
	v_fma_f64 v[19:20], v[3:4], v[19:20], v[127:128]
	v_add_f64 v[13:14], v[13:14], v[86:87]
	v_add_f64 v[15:16], v[15:16], v[72:73]
	s_clause 0x2
	buffer_load_dword v73, off, s[0:3], 0 offset:1004
	buffer_load_dword v72, off, s[0:3], 0 offset:1000
	;; [unrolled: 1-line block ×3, first 2 shown]
	ds_read_b128 v[1:4], v61 offset:1760
	s_waitcnt vmcnt(55) lgkmcnt(1)
	v_mul_f64 v[86:87], v[5:6], v[62:63]
	v_mul_f64 v[62:63], v[7:8], v[62:63]
	s_waitcnt vmcnt(54)
	v_fma_f64 v[74:75], v[9:10], v[95:96], -v[74:75]
	v_add_f64 v[13:14], v[13:14], v[25:26]
	v_fma_f64 v[25:26], v[11:12], v[95:96], v[78:79]
	v_add_f64 v[15:16], v[15:16], v[19:20]
	s_clause 0x1
	buffer_load_dword v20, off, s[0:3], 0 offset:996
	buffer_load_dword v19, off, s[0:3], 0 offset:992
	ds_read_b128 v[9:12], v61 offset:1776
	s_waitcnt vmcnt(55) lgkmcnt(1)
	v_mul_f64 v[78:79], v[1:2], v[64:65]
	v_mul_f64 v[64:65], v[3:4], v[64:65]
	s_waitcnt vmcnt(53)
	v_fma_f64 v[62:63], v[5:6], v[21:22], -v[62:63]
	v_fma_f64 v[21:22], v[7:8], v[21:22], v[86:87]
	ds_read_b128 v[5:8], v61 offset:1792
	v_add_f64 v[13:14], v[13:14], v[74:75]
	v_add_f64 v[15:16], v[15:16], v[25:26]
	s_waitcnt vmcnt(49) lgkmcnt(1)
	v_mul_f64 v[25:26], v[9:10], v[17:18]
	v_mul_f64 v[17:18], v[11:12], v[17:18]
	s_waitcnt vmcnt(48)
	v_fma_f64 v[64:65], v[1:2], v[76:77], -v[64:65]
	v_add_f64 v[13:14], v[13:14], v[62:63]
	v_fma_f64 v[62:63], v[3:4], v[76:77], v[78:79]
	v_add_f64 v[15:16], v[15:16], v[21:22]
	s_clause 0x3
	buffer_load_dword v21, off, s[0:3], 0 offset:416
	buffer_load_dword v22, off, s[0:3], 0 offset:420
	;; [unrolled: 1-line block ×4, first 2 shown]
	ds_read_b128 v[1:4], v61 offset:1808
	s_waitcnt vmcnt(51) lgkmcnt(1)
	v_mul_f64 v[76:77], v[5:6], v[37:38]
	v_mul_f64 v[37:38], v[7:8], v[37:38]
	s_waitcnt vmcnt(49)
	v_fma_f64 v[17:18], v[9:10], v[27:28], -v[17:18]
	v_fma_f64 v[25:26], v[11:12], v[27:28], v[25:26]
	ds_read_b128 v[9:12], v61 offset:1824
	v_add_f64 v[13:14], v[13:14], v[64:65]
	v_add_f64 v[15:16], v[15:16], v[62:63]
	s_waitcnt vmcnt(45) lgkmcnt(1)
	v_mul_f64 v[27:28], v[1:2], v[23:24]
	v_mul_f64 v[23:24], v[3:4], v[23:24]
	s_waitcnt vmcnt(44)
	v_fma_f64 v[37:38], v[5:6], v[70:71], -v[37:38]
	v_add_f64 v[13:14], v[13:14], v[17:18]
	v_fma_f64 v[17:18], v[7:8], v[70:71], v[76:77]
	v_add_f64 v[15:16], v[15:16], v[25:26]
	s_waitcnt vmcnt(43) lgkmcnt(0)
	v_mul_f64 v[25:26], v[9:10], v[43:44]
	v_mul_f64 v[43:44], v[11:12], v[43:44]
	ds_read_b128 v[5:8], v61 offset:1840
	s_waitcnt vmcnt(41)
	v_fma_f64 v[27:28], v[3:4], v[33:34], v[27:28]
	v_fma_f64 v[23:24], v[1:2], v[33:34], -v[23:24]
	ds_read_b128 v[1:4], v61 offset:1856
	v_add_f64 v[13:14], v[13:14], v[37:38]
	v_add_f64 v[15:16], v[15:16], v[17:18]
	s_waitcnt vmcnt(37) lgkmcnt(1)
	v_mul_f64 v[17:18], v[5:6], v[29:30]
	v_mul_f64 v[29:30], v[7:8], v[29:30]
	s_waitcnt vmcnt(36)
	v_fma_f64 v[33:34], v[9:10], v[45:46], -v[43:44]
	v_add_f64 v[13:14], v[13:14], v[23:24]
	v_fma_f64 v[23:24], v[11:12], v[45:46], v[25:26]
	v_add_f64 v[15:16], v[15:16], v[27:28]
	ds_read_b128 v[9:12], v61 offset:1872
	s_waitcnt vmcnt(35) lgkmcnt(1)
	v_mul_f64 v[27:28], v[3:4], v[51:52]
	v_mul_f64 v[25:26], v[1:2], v[51:52]
	s_waitcnt vmcnt(33)
	v_fma_f64 v[29:30], v[5:6], v[31:32], -v[29:30]
	v_fma_f64 v[17:18], v[7:8], v[31:32], v[17:18]
	ds_read_b128 v[5:8], v61 offset:1888
	v_add_f64 v[13:14], v[13:14], v[33:34]
	v_add_f64 v[15:16], v[15:16], v[23:24]
	s_waitcnt vmcnt(29) lgkmcnt(1)
	v_mul_f64 v[31:32], v[11:12], v[35:36]
	s_waitcnt vmcnt(28)
	v_fma_f64 v[27:28], v[1:2], v[53:54], -v[27:28]
	v_mul_f64 v[23:24], v[9:10], v[35:36]
	v_fma_f64 v[25:26], v[3:4], v[53:54], v[25:26]
	ds_read_b128 v[1:4], v61 offset:1904
	v_add_f64 v[13:14], v[13:14], v[29:30]
	v_add_f64 v[15:16], v[15:16], v[17:18]
	s_waitcnt vmcnt(27) lgkmcnt(1)
	v_mul_f64 v[29:30], v[7:8], v[57:58]
	v_mul_f64 v[17:18], v[5:6], v[57:58]
	s_waitcnt vmcnt(25)
	v_fma_f64 v[31:32], v[9:10], v[39:40], -v[31:32]
	v_fma_f64 v[23:24], v[11:12], v[39:40], v[23:24]
	ds_read_b128 v[9:12], v61 offset:1920
	v_add_f64 v[13:14], v[13:14], v[27:28]
	v_add_f64 v[15:16], v[15:16], v[25:26]
	s_waitcnt vmcnt(21) lgkmcnt(1)
	v_mul_f64 v[27:28], v[3:4], v[41:42]
	s_waitcnt vmcnt(20)
	v_fma_f64 v[29:30], v[5:6], v[59:60], -v[29:30]
	v_mul_f64 v[25:26], v[1:2], v[41:42]
	v_fma_f64 v[17:18], v[7:8], v[59:60], v[17:18]
	ds_read_b128 v[5:8], v61 offset:1936
	v_add_f64 v[13:14], v[13:14], v[31:32]
	v_add_f64 v[15:16], v[15:16], v[23:24]
	;; [unrolled: 18-line block ×3, first 2 shown]
	s_waitcnt vmcnt(11) lgkmcnt(1)
	v_mul_f64 v[27:28], v[3:4], v[66:67]
	v_mul_f64 v[25:26], v[1:2], v[66:67]
	s_waitcnt vmcnt(9)
	v_fma_f64 v[5:6], v[5:6], v[55:56], -v[29:30]
	v_fma_f64 v[7:8], v[7:8], v[55:56], v[17:18]
	v_add_f64 v[13:14], v[13:14], v[31:32]
	v_add_f64 v[15:16], v[15:16], v[23:24]
	s_waitcnt vmcnt(7) lgkmcnt(0)
	v_mul_f64 v[23:24], v[11:12], v[72:73]
	s_waitcnt vmcnt(6)
	v_fma_f64 v[1:2], v[1:2], v[123:124], -v[27:28]
	v_mul_f64 v[17:18], v[9:10], v[72:73]
	v_fma_f64 v[3:4], v[3:4], v[123:124], v[25:26]
	v_add_f64 v[5:6], v[13:14], v[5:6]
	v_add_f64 v[7:8], v[15:16], v[7:8]
	s_waitcnt vmcnt(4)
	v_fma_f64 v[9:10], v[9:10], v[19:20], -v[23:24]
	v_add_f64 v[1:2], v[5:6], v[1:2]
	v_fma_f64 v[5:6], v[11:12], v[19:20], v[17:18]
	v_add_f64 v[3:4], v[7:8], v[3:4]
	v_add_f64 v[1:2], v[1:2], v[9:10]
	;; [unrolled: 1-line block ×3, first 2 shown]
	s_waitcnt vmcnt(2)
	v_add_f64 v[1:2], v[21:22], -v[1:2]
	s_waitcnt vmcnt(0)
	v_add_f64 v[3:4], v[74:75], -v[3:4]
	buffer_store_dword v2, off, s[0:3], 0 offset:420
	buffer_store_dword v1, off, s[0:3], 0 offset:416
	;; [unrolled: 1-line block ×4, first 2 shown]
	v_cmpx_lt_u32_e32 24, v0
	s_cbranch_execz .LBB61_349
; %bb.348:
	v_mov_b32_e32 v4, s52
	v_mov_b32_e32 v5, 0
	s_clause 0x3
	buffer_load_dword v1, v4, s[0:3], 0 offen
	buffer_load_dword v2, v4, s[0:3], 0 offen offset:4
	buffer_load_dword v3, v4, s[0:3], 0 offen offset:8
	;; [unrolled: 1-line block ×3, first 2 shown]
	buffer_store_dword v5, off, s[0:3], 0 offset:400
	buffer_store_dword v5, off, s[0:3], 0 offset:404
	;; [unrolled: 1-line block ×4, first 2 shown]
	s_waitcnt vmcnt(0)
	ds_write_b128 v69, v[1:4]
.LBB61_349:
	s_or_b32 exec_lo, exec_lo, s4
	s_waitcnt lgkmcnt(0)
	s_waitcnt_vscnt null, 0x0
	s_barrier
	buffer_gl0_inv
	s_clause 0x37
	buffer_load_dword v9, off, s[0:3], 0 offset:424
	buffer_load_dword v10, off, s[0:3], 0 offset:428
	;; [unrolled: 1-line block ×56, first 2 shown]
	v_mov_b32_e32 v61, 0
	s_mov_b32 s4, exec_lo
	ds_read_b128 v[62:65], v61 offset:1392
	s_clause 0x2
	buffer_load_dword v58, off, s[0:3], 0 offset:652
	buffer_load_dword v60, off, s[0:3], 0 offset:628
	buffer_load_dword v59, off, s[0:3], 0 offset:624
	ds_read_b128 v[70:73], v61 offset:1408
	s_clause 0x4
	buffer_load_dword v79, off, s[0:3], 0 offset:668
	buffer_load_dword v84, off, s[0:3], 0 offset:680
	;; [unrolled: 1-line block ×5, first 2 shown]
	ds_read_b128 v[74:77], v61 offset:1424
	s_clause 0x2
	buffer_load_dword v85, off, s[0:3], 0 offset:684
	buffer_load_dword v94, off, s[0:3], 0 offset:660
	;; [unrolled: 1-line block ×3, first 2 shown]
	s_waitcnt vmcnt(62) lgkmcnt(2)
	v_mul_f64 v[66:67], v[64:65], v[9:10]
	v_mul_f64 v[9:10], v[62:63], v[9:10]
	s_waitcnt lgkmcnt(1)
	v_mul_f64 v[87:88], v[72:73], v[5:6]
	s_waitcnt vmcnt(59) lgkmcnt(0)
	v_mul_f64 v[95:96], v[76:77], v[3:4]
	v_fma_f64 v[62:63], v[62:63], v[7:8], -v[66:67]
	v_mul_f64 v[66:67], v[70:71], v[5:6]
	v_fma_f64 v[9:10], v[64:65], v[7:8], v[9:10]
	s_waitcnt vmcnt(57)
	v_fma_f64 v[70:71], v[70:71], v[1:2], -v[87:88]
	ds_read_b128 v[5:8], v61 offset:1440
	v_mul_f64 v[64:65], v[74:75], v[3:4]
	s_waitcnt vmcnt(51)
	v_fma_f64 v[74:75], v[74:75], v[25:26], -v[95:96]
	v_add_f64 v[62:63], v[62:63], 0
	v_fma_f64 v[66:67], v[72:73], v[1:2], v[66:67]
	v_add_f64 v[9:10], v[9:10], 0
	s_clause 0x4
	buffer_load_dword v73, off, s[0:3], 0 offset:700
	buffer_load_dword v123, off, s[0:3], 0 offset:712
	;; [unrolled: 1-line block ×5, first 2 shown]
	s_waitcnt lgkmcnt(0)
	v_mul_f64 v[126:127], v[5:6], v[13:14]
	v_mul_f64 v[13:14], v[7:8], v[13:14]
	ds_read_b128 v[1:4], v61 offset:1456
	v_fma_f64 v[25:26], v[76:77], v[25:26], v[64:65]
	v_add_f64 v[70:71], v[62:63], v[70:71]
	v_add_f64 v[9:10], v[9:10], v[66:67]
	s_clause 0x2
	buffer_load_dword v124, off, s[0:3], 0 offset:716
	buffer_load_dword v67, off, s[0:3], 0 offset:692
	;; [unrolled: 1-line block ×3, first 2 shown]
	s_waitcnt vmcnt(58) lgkmcnt(0)
	v_mul_f64 v[76:77], v[1:2], v[17:18]
	v_mul_f64 v[17:18], v[3:4], v[17:18]
	s_waitcnt vmcnt(56)
	v_fma_f64 v[13:14], v[5:6], v[19:20], -v[13:14]
	ds_read_b128 v[62:65], v61 offset:1472
	v_fma_f64 v[19:20], v[7:8], v[19:20], v[126:127]
	v_add_f64 v[70:71], v[70:71], v[74:75]
	v_add_f64 v[9:10], v[9:10], v[25:26]
	s_clause 0x4
	buffer_load_dword v26, off, s[0:3], 0 offset:732
	buffer_load_dword v74, off, s[0:3], 0 offset:744
	;; [unrolled: 1-line block ×5, first 2 shown]
	ds_read_b128 v[5:8], v61 offset:1488
	s_waitcnt vmcnt(57) lgkmcnt(1)
	v_mul_f64 v[127:128], v[62:63], v[21:22]
	v_mul_f64 v[21:22], v[64:65], v[21:22]
	s_waitcnt vmcnt(56)
	v_fma_f64 v[17:18], v[1:2], v[11:12], -v[17:18]
	v_fma_f64 v[11:12], v[3:4], v[11:12], v[76:77]
	v_add_f64 v[13:14], v[70:71], v[13:14]
	v_add_f64 v[9:10], v[9:10], v[19:20]
	s_clause 0x2
	buffer_load_dword v75, off, s[0:3], 0 offset:748
	buffer_load_dword v20, off, s[0:3], 0 offset:724
	;; [unrolled: 1-line block ×3, first 2 shown]
	s_waitcnt vmcnt(58) lgkmcnt(0)
	v_mul_f64 v[70:71], v[5:6], v[27:28]
	v_mul_f64 v[27:28], v[7:8], v[27:28]
	s_waitcnt vmcnt(56)
	v_fma_f64 v[21:22], v[62:63], v[29:30], -v[21:22]
	ds_read_b128 v[1:4], v61 offset:1504
	v_add_f64 v[13:14], v[13:14], v[17:18]
	v_fma_f64 v[17:18], v[64:65], v[29:30], v[127:128]
	v_add_f64 v[29:30], v[9:10], v[11:12]
	s_clause 0x4
	buffer_load_dword v63, off, s[0:3], 0 offset:764
	buffer_load_dword v64, off, s[0:3], 0 offset:776
	;; [unrolled: 1-line block ×5, first 2 shown]
	ds_read_b128 v[9:12], v61 offset:1520
	s_waitcnt vmcnt(57) lgkmcnt(1)
	v_mul_f64 v[127:128], v[1:2], v[31:32]
	v_mul_f64 v[31:32], v[3:4], v[31:32]
	s_waitcnt vmcnt(56)
	v_fma_f64 v[27:28], v[5:6], v[15:16], -v[27:28]
	v_fma_f64 v[15:16], v[7:8], v[15:16], v[70:71]
	v_add_f64 v[13:14], v[13:14], v[21:22]
	s_clause 0x2
	buffer_load_dword v65, off, s[0:3], 0 offset:780
	buffer_load_dword v22, off, s[0:3], 0 offset:756
	;; [unrolled: 1-line block ×3, first 2 shown]
	v_add_f64 v[17:18], v[29:30], v[17:18]
	s_waitcnt vmcnt(58) lgkmcnt(0)
	v_mul_f64 v[29:30], v[9:10], v[35:36]
	v_mul_f64 v[35:36], v[11:12], v[35:36]
	ds_read_b128 v[5:8], v61 offset:1536
	s_waitcnt vmcnt(56)
	v_fma_f64 v[31:32], v[1:2], v[37:38], -v[31:32]
	v_add_f64 v[13:14], v[13:14], v[27:28]
	v_fma_f64 v[27:28], v[3:4], v[37:38], v[127:128]
	v_add_f64 v[15:16], v[17:18], v[15:16]
	s_clause 0x4
	buffer_load_dword v18, off, s[0:3], 0 offset:796
	buffer_load_dword v37, off, s[0:3], 0 offset:808
	;; [unrolled: 1-line block ×5, first 2 shown]
	s_waitcnt vmcnt(57) lgkmcnt(0)
	v_mul_f64 v[127:128], v[5:6], v[39:40]
	v_mul_f64 v[39:40], v[7:8], v[39:40]
	s_waitcnt vmcnt(56)
	v_fma_f64 v[35:36], v[9:10], v[23:24], -v[35:36]
	ds_read_b128 v[1:4], v61 offset:1552
	v_fma_f64 v[23:24], v[11:12], v[23:24], v[29:30]
	v_add_f64 v[13:14], v[13:14], v[31:32]
	v_add_f64 v[15:16], v[15:16], v[27:28]
	s_clause 0x2
	buffer_load_dword v38, off, s[0:3], 0 offset:812
	buffer_load_dword v28, off, s[0:3], 0 offset:788
	;; [unrolled: 1-line block ×3, first 2 shown]
	ds_read_b128 v[9:12], v61 offset:1568
	s_waitcnt vmcnt(58) lgkmcnt(1)
	v_mul_f64 v[31:32], v[3:4], v[43:44]
	s_waitcnt vmcnt(56)
	v_fma_f64 v[39:40], v[5:6], v[45:46], -v[39:40]
	v_mul_f64 v[29:30], v[1:2], v[43:44]
	v_add_f64 v[13:14], v[13:14], v[35:36]
	v_fma_f64 v[35:36], v[7:8], v[45:46], v[127:128]
	v_add_f64 v[15:16], v[15:16], v[23:24]
	s_clause 0x4
	buffer_load_dword v24, off, s[0:3], 0 offset:828
	buffer_load_dword v43, off, s[0:3], 0 offset:840
	;; [unrolled: 1-line block ×5, first 2 shown]
	s_waitcnt vmcnt(57) lgkmcnt(0)
	v_mul_f64 v[127:128], v[9:10], v[47:48]
	v_mul_f64 v[46:47], v[11:12], v[47:48]
	s_waitcnt vmcnt(56)
	v_fma_f64 v[31:32], v[1:2], v[33:34], -v[31:32]
	ds_read_b128 v[5:8], v61 offset:1584
	v_fma_f64 v[29:30], v[3:4], v[33:34], v[29:30]
	s_clause 0x2
	buffer_load_dword v44, off, s[0:3], 0 offset:844
	buffer_load_dword v34, off, s[0:3], 0 offset:820
	;; [unrolled: 1-line block ×3, first 2 shown]
	ds_read_b128 v[1:4], v61 offset:1600
	v_add_f64 v[13:14], v[13:14], v[39:40]
	v_add_f64 v[15:16], v[15:16], v[35:36]
	s_waitcnt vmcnt(58) lgkmcnt(1)
	v_mul_f64 v[39:40], v[7:8], v[51:52]
	s_waitcnt vmcnt(56)
	v_fma_f64 v[47:48], v[9:10], v[53:54], -v[46:47]
	v_mul_f64 v[35:36], v[5:6], v[51:52]
	v_add_f64 v[13:14], v[13:14], v[31:32]
	v_fma_f64 v[31:32], v[11:12], v[53:54], v[127:128]
	v_add_f64 v[15:16], v[15:16], v[29:30]
	s_clause 0x4
	buffer_load_dword v30, off, s[0:3], 0 offset:860
	buffer_load_dword v51, off, s[0:3], 0 offset:872
	;; [unrolled: 1-line block ×5, first 2 shown]
	s_waitcnt vmcnt(57) lgkmcnt(0)
	v_mul_f64 v[127:128], v[1:2], v[55:56]
	v_mul_f64 v[54:55], v[3:4], v[55:56]
	s_waitcnt vmcnt(56)
	v_fma_f64 v[39:40], v[5:6], v[41:42], -v[39:40]
	ds_read_b128 v[9:12], v61 offset:1616
	v_fma_f64 v[35:36], v[7:8], v[41:42], v[35:36]
	v_add_f64 v[13:14], v[13:14], v[47:48]
	v_add_f64 v[15:16], v[15:16], v[31:32]
	s_clause 0x2
	buffer_load_dword v52, off, s[0:3], 0 offset:876
	buffer_load_dword v32, off, s[0:3], 0 offset:852
	;; [unrolled: 1-line block ×3, first 2 shown]
	ds_read_b128 v[5:8], v61 offset:1632
	s_waitcnt vmcnt(58) lgkmcnt(1)
	v_mul_f64 v[47:48], v[11:12], v[57:58]
	s_waitcnt vmcnt(56)
	v_fma_f64 v[55:56], v[1:2], v[59:60], -v[54:55]
	v_mul_f64 v[41:42], v[9:10], v[57:58]
	v_add_f64 v[13:14], v[13:14], v[39:40]
	v_fma_f64 v[39:40], v[3:4], v[59:60], v[127:128]
	v_add_f64 v[15:16], v[15:16], v[35:36]
	s_clause 0x4
	buffer_load_dword v36, off, s[0:3], 0 offset:892
	buffer_load_dword v57, off, s[0:3], 0 offset:904
	;; [unrolled: 1-line block ×5, first 2 shown]
	s_waitcnt vmcnt(57) lgkmcnt(0)
	v_mul_f64 v[127:128], v[5:6], v[78:79]
	v_mul_f64 v[78:79], v[7:8], v[78:79]
	s_waitcnt vmcnt(56)
	v_fma_f64 v[47:48], v[9:10], v[49:50], -v[47:48]
	ds_read_b128 v[1:4], v61 offset:1648
	v_fma_f64 v[41:42], v[11:12], v[49:50], v[41:42]
	v_add_f64 v[13:14], v[13:14], v[55:56]
	v_add_f64 v[15:16], v[15:16], v[39:40]
	s_clause 0x2
	buffer_load_dword v58, off, s[0:3], 0 offset:908
	buffer_load_dword v40, off, s[0:3], 0 offset:884
	;; [unrolled: 1-line block ×3, first 2 shown]
	ds_read_b128 v[9:12], v61 offset:1664
	s_waitcnt vmcnt(58) lgkmcnt(1)
	v_mul_f64 v[55:56], v[3:4], v[84:85]
	s_waitcnt vmcnt(56)
	v_fma_f64 v[78:79], v[5:6], v[93:94], -v[78:79]
	v_mul_f64 v[49:50], v[1:2], v[84:85]
	v_add_f64 v[13:14], v[13:14], v[47:48]
	v_fma_f64 v[47:48], v[7:8], v[93:94], v[127:128]
	v_add_f64 v[15:16], v[15:16], v[41:42]
	s_clause 0x4
	buffer_load_dword v42, off, s[0:3], 0 offset:924
	buffer_load_dword v84, off, s[0:3], 0 offset:936
	;; [unrolled: 1-line block ×5, first 2 shown]
	ds_read_b128 v[5:8], v61 offset:1680
	s_waitcnt vmcnt(57) lgkmcnt(1)
	v_mul_f64 v[127:128], v[9:10], v[72:73]
	v_mul_f64 v[72:73], v[11:12], v[72:73]
	s_waitcnt vmcnt(56)
	v_fma_f64 v[55:56], v[1:2], v[86:87], -v[55:56]
	v_fma_f64 v[49:50], v[3:4], v[86:87], v[49:50]
	v_add_f64 v[13:14], v[13:14], v[78:79]
	v_add_f64 v[15:16], v[15:16], v[47:48]
	s_clause 0x2
	buffer_load_dword v85, off, s[0:3], 0 offset:940
	buffer_load_dword v48, off, s[0:3], 0 offset:916
	buffer_load_dword v47, off, s[0:3], 0 offset:912
	ds_read_b128 v[1:4], v61 offset:1696
	s_waitcnt vmcnt(58) lgkmcnt(1)
	v_mul_f64 v[86:87], v[7:8], v[123:124]
	v_mul_f64 v[78:79], v[5:6], v[123:124]
	s_waitcnt vmcnt(56)
	v_fma_f64 v[72:73], v[9:10], v[66:67], -v[72:73]
	v_add_f64 v[13:14], v[13:14], v[55:56]
	v_fma_f64 v[55:56], v[11:12], v[66:67], v[127:128]
	v_add_f64 v[15:16], v[15:16], v[49:50]
	s_clause 0x4
	buffer_load_dword v50, off, s[0:3], 0 offset:956
	buffer_load_dword v66, off, s[0:3], 0 offset:968
	;; [unrolled: 1-line block ×5, first 2 shown]
	ds_read_b128 v[9:12], v61 offset:1712
	s_waitcnt vmcnt(57) lgkmcnt(1)
	v_mul_f64 v[127:128], v[1:2], v[25:26]
	v_mul_f64 v[25:26], v[3:4], v[25:26]
	s_waitcnt vmcnt(56)
	v_fma_f64 v[86:87], v[5:6], v[125:126], -v[86:87]
	v_add_f64 v[13:14], v[13:14], v[72:73]
	v_fma_f64 v[72:73], v[7:8], v[125:126], v[78:79]
	v_add_f64 v[15:16], v[15:16], v[55:56]
	s_clause 0x2
	buffer_load_dword v67, off, s[0:3], 0 offset:972
	buffer_load_dword v56, off, s[0:3], 0 offset:948
	;; [unrolled: 1-line block ×3, first 2 shown]
	ds_read_b128 v[5:8], v61 offset:1728
	s_waitcnt vmcnt(58) lgkmcnt(1)
	v_mul_f64 v[78:79], v[9:10], v[74:75]
	v_mul_f64 v[74:75], v[11:12], v[74:75]
	s_waitcnt vmcnt(56)
	v_fma_f64 v[25:26], v[1:2], v[19:20], -v[25:26]
	v_fma_f64 v[19:20], v[3:4], v[19:20], v[127:128]
	v_add_f64 v[13:14], v[13:14], v[86:87]
	v_add_f64 v[15:16], v[15:16], v[72:73]
	s_clause 0x4
	buffer_load_dword v73, off, s[0:3], 0 offset:988
	buffer_load_dword v86, off, s[0:3], 0 offset:1000
	;; [unrolled: 1-line block ×5, first 2 shown]
	ds_read_b128 v[1:4], v61 offset:1744
	s_waitcnt vmcnt(57) lgkmcnt(1)
	v_mul_f64 v[126:127], v[5:6], v[62:63]
	v_mul_f64 v[62:63], v[7:8], v[62:63]
	s_waitcnt vmcnt(56)
	v_fma_f64 v[74:75], v[9:10], v[95:96], -v[74:75]
	v_add_f64 v[13:14], v[13:14], v[25:26]
	v_fma_f64 v[25:26], v[11:12], v[95:96], v[78:79]
	v_add_f64 v[15:16], v[15:16], v[19:20]
	s_clause 0x2
	buffer_load_dword v87, off, s[0:3], 0 offset:1004
	buffer_load_dword v20, off, s[0:3], 0 offset:980
	;; [unrolled: 1-line block ×3, first 2 shown]
	ds_read_b128 v[9:12], v61 offset:1760
	s_waitcnt vmcnt(58) lgkmcnt(1)
	v_mul_f64 v[78:79], v[1:2], v[64:65]
	v_mul_f64 v[64:65], v[3:4], v[64:65]
	s_waitcnt vmcnt(56)
	v_fma_f64 v[62:63], v[5:6], v[21:22], -v[62:63]
	v_fma_f64 v[21:22], v[7:8], v[21:22], v[126:127]
	buffer_load_dword v126, off, s[0:3], 0 offset:996
	ds_read_b128 v[5:8], v61 offset:1776
	v_add_f64 v[13:14], v[13:14], v[74:75]
	v_add_f64 v[15:16], v[15:16], v[25:26]
	s_waitcnt vmcnt(53) lgkmcnt(1)
	v_mul_f64 v[25:26], v[9:10], v[17:18]
	v_mul_f64 v[17:18], v[11:12], v[17:18]
	s_waitcnt vmcnt(52)
	v_fma_f64 v[64:65], v[1:2], v[76:77], -v[64:65]
	v_add_f64 v[13:14], v[13:14], v[62:63]
	v_fma_f64 v[62:63], v[3:4], v[76:77], v[78:79]
	v_add_f64 v[15:16], v[15:16], v[21:22]
	ds_read_b128 v[1:4], v61 offset:1792
	s_waitcnt vmcnt(51) lgkmcnt(1)
	v_mul_f64 v[21:22], v[5:6], v[37:38]
	v_mul_f64 v[37:38], v[7:8], v[37:38]
	s_waitcnt vmcnt(49)
	v_fma_f64 v[17:18], v[9:10], v[27:28], -v[17:18]
	v_fma_f64 v[25:26], v[11:12], v[27:28], v[25:26]
	v_add_f64 v[13:14], v[13:14], v[64:65]
	v_add_f64 v[15:16], v[15:16], v[62:63]
	s_clause 0x3
	buffer_load_dword v27, off, s[0:3], 0 offset:400
	buffer_load_dword v28, off, s[0:3], 0 offset:404
	;; [unrolled: 1-line block ×4, first 2 shown]
	ds_read_b128 v[9:12], v61 offset:1808
	s_waitcnt vmcnt(49) lgkmcnt(1)
	v_mul_f64 v[64:65], v[1:2], v[23:24]
	v_mul_f64 v[23:24], v[3:4], v[23:24]
	s_waitcnt vmcnt(48)
	v_fma_f64 v[37:38], v[5:6], v[70:71], -v[37:38]
	v_add_f64 v[13:14], v[13:14], v[17:18]
	v_fma_f64 v[17:18], v[7:8], v[70:71], v[21:22]
	v_add_f64 v[15:16], v[15:16], v[25:26]
	ds_read_b128 v[5:8], v61 offset:1824
	s_waitcnt vmcnt(47) lgkmcnt(1)
	v_mul_f64 v[25:26], v[11:12], v[43:44]
	v_mul_f64 v[21:22], v[9:10], v[43:44]
	s_waitcnt vmcnt(45)
	v_fma_f64 v[23:24], v[1:2], v[33:34], -v[23:24]
	v_fma_f64 v[33:34], v[3:4], v[33:34], v[64:65]
	ds_read_b128 v[1:4], v61 offset:1840
	v_add_f64 v[13:14], v[13:14], v[37:38]
	v_add_f64 v[15:16], v[15:16], v[17:18]
	s_waitcnt vmcnt(41) lgkmcnt(1)
	v_mul_f64 v[17:18], v[5:6], v[29:30]
	v_mul_f64 v[29:30], v[7:8], v[29:30]
	s_waitcnt vmcnt(40)
	v_fma_f64 v[25:26], v[9:10], v[45:46], -v[25:26]
	v_fma_f64 v[21:22], v[11:12], v[45:46], v[21:22]
	ds_read_b128 v[9:12], v61 offset:1856
	v_add_f64 v[13:14], v[13:14], v[23:24]
	v_add_f64 v[15:16], v[15:16], v[33:34]
	;; [unrolled: 9-line block ×3, first 2 shown]
	s_waitcnt vmcnt(33) lgkmcnt(1)
	v_mul_f64 v[25:26], v[11:12], v[35:36]
	s_waitcnt vmcnt(32)
	v_fma_f64 v[31:32], v[1:2], v[53:54], -v[33:34]
	v_mul_f64 v[21:22], v[9:10], v[35:36]
	v_fma_f64 v[23:24], v[3:4], v[53:54], v[23:24]
	ds_read_b128 v[1:4], v61 offset:1888
	v_add_f64 v[13:14], v[13:14], v[29:30]
	v_add_f64 v[15:16], v[15:16], v[17:18]
	s_waitcnt vmcnt(31) lgkmcnt(1)
	v_mul_f64 v[29:30], v[7:8], v[57:58]
	v_mul_f64 v[17:18], v[5:6], v[57:58]
	s_waitcnt vmcnt(29)
	v_fma_f64 v[25:26], v[9:10], v[39:40], -v[25:26]
	v_fma_f64 v[21:22], v[11:12], v[39:40], v[21:22]
	ds_read_b128 v[9:12], v61 offset:1904
	v_add_f64 v[13:14], v[13:14], v[31:32]
	v_add_f64 v[15:16], v[15:16], v[23:24]
	s_waitcnt vmcnt(25) lgkmcnt(1)
	v_mul_f64 v[31:32], v[3:4], v[41:42]
	s_waitcnt vmcnt(24)
	v_fma_f64 v[29:30], v[5:6], v[59:60], -v[29:30]
	v_mul_f64 v[23:24], v[1:2], v[41:42]
	v_fma_f64 v[17:18], v[7:8], v[59:60], v[17:18]
	ds_read_b128 v[5:8], v61 offset:1920
	v_add_f64 v[13:14], v[13:14], v[25:26]
	v_add_f64 v[15:16], v[15:16], v[21:22]
	s_waitcnt vmcnt(23) lgkmcnt(1)
	v_mul_f64 v[25:26], v[11:12], v[84:85]
	v_mul_f64 v[21:22], v[9:10], v[84:85]
	s_waitcnt vmcnt(21)
	v_fma_f64 v[31:32], v[1:2], v[47:48], -v[31:32]
	v_fma_f64 v[23:24], v[3:4], v[47:48], v[23:24]
	ds_read_b128 v[1:4], v61 offset:1936
	v_add_f64 v[13:14], v[13:14], v[29:30]
	v_add_f64 v[15:16], v[15:16], v[17:18]
	;; [unrolled: 18-line block ×3, first 2 shown]
	s_waitcnt vmcnt(9) lgkmcnt(1)
	v_mul_f64 v[25:26], v[11:12], v[72:73]
	s_waitcnt vmcnt(8)
	v_fma_f64 v[1:2], v[1:2], v[123:124], -v[31:32]
	v_mul_f64 v[21:22], v[9:10], v[72:73]
	v_fma_f64 v[3:4], v[3:4], v[123:124], v[23:24]
	v_add_f64 v[13:14], v[13:14], v[29:30]
	v_add_f64 v[15:16], v[15:16], v[17:18]
	s_waitcnt vmcnt(7) lgkmcnt(0)
	v_mul_f64 v[23:24], v[7:8], v[86:87]
	v_mul_f64 v[17:18], v[5:6], v[86:87]
	s_waitcnt vmcnt(5)
	v_fma_f64 v[9:10], v[9:10], v[19:20], -v[25:26]
	v_fma_f64 v[11:12], v[11:12], v[19:20], v[21:22]
	v_add_f64 v[1:2], v[13:14], v[1:2]
	v_add_f64 v[3:4], v[15:16], v[3:4]
	s_waitcnt vmcnt(4)
	v_fma_f64 v[5:6], v[5:6], v[125:126], -v[23:24]
	v_fma_f64 v[7:8], v[7:8], v[125:126], v[17:18]
	v_add_f64 v[1:2], v[1:2], v[9:10]
	v_add_f64 v[3:4], v[3:4], v[11:12]
	;; [unrolled: 1-line block ×4, first 2 shown]
	s_waitcnt vmcnt(2)
	v_add_f64 v[1:2], v[27:28], -v[1:2]
	s_waitcnt vmcnt(0)
	v_add_f64 v[3:4], v[62:63], -v[3:4]
	buffer_store_dword v2, off, s[0:3], 0 offset:404
	buffer_store_dword v1, off, s[0:3], 0 offset:400
	;; [unrolled: 1-line block ×4, first 2 shown]
	v_cmpx_lt_u32_e32 23, v0
	s_cbranch_execz .LBB61_351
; %bb.350:
	v_mov_b32_e32 v4, s53
	s_clause 0x3
	buffer_load_dword v1, v4, s[0:3], 0 offen
	buffer_load_dword v2, v4, s[0:3], 0 offen offset:4
	buffer_load_dword v3, v4, s[0:3], 0 offen offset:8
	;; [unrolled: 1-line block ×3, first 2 shown]
	buffer_store_dword v61, off, s[0:3], 0 offset:384
	buffer_store_dword v61, off, s[0:3], 0 offset:388
	;; [unrolled: 1-line block ×4, first 2 shown]
	s_waitcnt vmcnt(0)
	ds_write_b128 v69, v[1:4]
.LBB61_351:
	s_or_b32 exec_lo, exec_lo, s4
	s_waitcnt lgkmcnt(0)
	s_waitcnt_vscnt null, 0x0
	s_barrier
	buffer_gl0_inv
	s_clause 0x37
	buffer_load_dword v9, off, s[0:3], 0 offset:408
	buffer_load_dword v10, off, s[0:3], 0 offset:412
	;; [unrolled: 1-line block ×56, first 2 shown]
	ds_read_b128 v[62:65], v61 offset:1376
	s_clause 0x2
	buffer_load_dword v58, off, s[0:3], 0 offset:636
	buffer_load_dword v60, off, s[0:3], 0 offset:612
	;; [unrolled: 1-line block ×3, first 2 shown]
	ds_read_b128 v[70:73], v61 offset:1392
	s_clause 0x4
	buffer_load_dword v79, off, s[0:3], 0 offset:652
	buffer_load_dword v84, off, s[0:3], 0 offset:664
	;; [unrolled: 1-line block ×5, first 2 shown]
	ds_read_b128 v[74:77], v61 offset:1408
	s_clause 0x2
	buffer_load_dword v85, off, s[0:3], 0 offset:668
	buffer_load_dword v94, off, s[0:3], 0 offset:644
	buffer_load_dword v93, off, s[0:3], 0 offset:640
	s_mov_b32 s4, exec_lo
	s_waitcnt vmcnt(62) lgkmcnt(2)
	v_mul_f64 v[66:67], v[64:65], v[9:10]
	v_mul_f64 v[9:10], v[62:63], v[9:10]
	s_waitcnt lgkmcnt(1)
	v_mul_f64 v[87:88], v[72:73], v[5:6]
	s_waitcnt vmcnt(59) lgkmcnt(0)
	v_mul_f64 v[95:96], v[76:77], v[3:4]
	v_fma_f64 v[62:63], v[62:63], v[7:8], -v[66:67]
	v_mul_f64 v[66:67], v[70:71], v[5:6]
	v_fma_f64 v[9:10], v[64:65], v[7:8], v[9:10]
	s_waitcnt vmcnt(57)
	v_fma_f64 v[70:71], v[70:71], v[1:2], -v[87:88]
	ds_read_b128 v[5:8], v61 offset:1424
	v_mul_f64 v[64:65], v[74:75], v[3:4]
	s_waitcnt vmcnt(51)
	v_fma_f64 v[74:75], v[74:75], v[25:26], -v[95:96]
	v_add_f64 v[62:63], v[62:63], 0
	v_fma_f64 v[66:67], v[72:73], v[1:2], v[66:67]
	v_add_f64 v[9:10], v[9:10], 0
	s_clause 0x4
	buffer_load_dword v73, off, s[0:3], 0 offset:684
	buffer_load_dword v123, off, s[0:3], 0 offset:696
	;; [unrolled: 1-line block ×5, first 2 shown]
	s_waitcnt lgkmcnt(0)
	v_mul_f64 v[126:127], v[5:6], v[13:14]
	v_mul_f64 v[13:14], v[7:8], v[13:14]
	ds_read_b128 v[1:4], v61 offset:1440
	v_fma_f64 v[25:26], v[76:77], v[25:26], v[64:65]
	v_add_f64 v[70:71], v[62:63], v[70:71]
	v_add_f64 v[9:10], v[9:10], v[66:67]
	s_clause 0x2
	buffer_load_dword v124, off, s[0:3], 0 offset:700
	buffer_load_dword v67, off, s[0:3], 0 offset:676
	buffer_load_dword v66, off, s[0:3], 0 offset:672
	s_waitcnt vmcnt(58) lgkmcnt(0)
	v_mul_f64 v[76:77], v[1:2], v[17:18]
	v_mul_f64 v[17:18], v[3:4], v[17:18]
	s_waitcnt vmcnt(56)
	v_fma_f64 v[13:14], v[5:6], v[19:20], -v[13:14]
	ds_read_b128 v[62:65], v61 offset:1456
	v_fma_f64 v[19:20], v[7:8], v[19:20], v[126:127]
	v_add_f64 v[70:71], v[70:71], v[74:75]
	v_add_f64 v[9:10], v[9:10], v[25:26]
	s_clause 0x4
	buffer_load_dword v26, off, s[0:3], 0 offset:716
	buffer_load_dword v74, off, s[0:3], 0 offset:728
	;; [unrolled: 1-line block ×5, first 2 shown]
	ds_read_b128 v[5:8], v61 offset:1472
	s_waitcnt vmcnt(57) lgkmcnt(1)
	v_mul_f64 v[127:128], v[62:63], v[21:22]
	v_mul_f64 v[21:22], v[64:65], v[21:22]
	s_waitcnt vmcnt(56)
	v_fma_f64 v[17:18], v[1:2], v[11:12], -v[17:18]
	v_fma_f64 v[11:12], v[3:4], v[11:12], v[76:77]
	v_add_f64 v[13:14], v[70:71], v[13:14]
	v_add_f64 v[9:10], v[9:10], v[19:20]
	s_clause 0x2
	buffer_load_dword v75, off, s[0:3], 0 offset:732
	buffer_load_dword v20, off, s[0:3], 0 offset:708
	;; [unrolled: 1-line block ×3, first 2 shown]
	s_waitcnt vmcnt(58) lgkmcnt(0)
	v_mul_f64 v[70:71], v[5:6], v[27:28]
	v_mul_f64 v[27:28], v[7:8], v[27:28]
	s_waitcnt vmcnt(56)
	v_fma_f64 v[21:22], v[62:63], v[29:30], -v[21:22]
	ds_read_b128 v[1:4], v61 offset:1488
	v_add_f64 v[13:14], v[13:14], v[17:18]
	v_fma_f64 v[17:18], v[64:65], v[29:30], v[127:128]
	v_add_f64 v[29:30], v[9:10], v[11:12]
	s_clause 0x4
	buffer_load_dword v63, off, s[0:3], 0 offset:748
	buffer_load_dword v64, off, s[0:3], 0 offset:760
	;; [unrolled: 1-line block ×5, first 2 shown]
	ds_read_b128 v[9:12], v61 offset:1504
	s_waitcnt vmcnt(57) lgkmcnt(1)
	v_mul_f64 v[127:128], v[1:2], v[31:32]
	v_mul_f64 v[31:32], v[3:4], v[31:32]
	s_waitcnt vmcnt(56)
	v_fma_f64 v[27:28], v[5:6], v[15:16], -v[27:28]
	v_fma_f64 v[15:16], v[7:8], v[15:16], v[70:71]
	v_add_f64 v[13:14], v[13:14], v[21:22]
	s_clause 0x2
	buffer_load_dword v65, off, s[0:3], 0 offset:764
	buffer_load_dword v22, off, s[0:3], 0 offset:740
	;; [unrolled: 1-line block ×3, first 2 shown]
	v_add_f64 v[17:18], v[29:30], v[17:18]
	s_waitcnt vmcnt(58) lgkmcnt(0)
	v_mul_f64 v[29:30], v[9:10], v[35:36]
	v_mul_f64 v[35:36], v[11:12], v[35:36]
	ds_read_b128 v[5:8], v61 offset:1520
	s_waitcnt vmcnt(56)
	v_fma_f64 v[31:32], v[1:2], v[37:38], -v[31:32]
	v_add_f64 v[13:14], v[13:14], v[27:28]
	v_fma_f64 v[27:28], v[3:4], v[37:38], v[127:128]
	v_add_f64 v[15:16], v[17:18], v[15:16]
	s_clause 0x4
	buffer_load_dword v18, off, s[0:3], 0 offset:780
	buffer_load_dword v37, off, s[0:3], 0 offset:792
	;; [unrolled: 1-line block ×5, first 2 shown]
	s_waitcnt vmcnt(57) lgkmcnt(0)
	v_mul_f64 v[127:128], v[5:6], v[39:40]
	v_mul_f64 v[39:40], v[7:8], v[39:40]
	s_waitcnt vmcnt(56)
	v_fma_f64 v[35:36], v[9:10], v[23:24], -v[35:36]
	ds_read_b128 v[1:4], v61 offset:1536
	v_fma_f64 v[23:24], v[11:12], v[23:24], v[29:30]
	v_add_f64 v[13:14], v[13:14], v[31:32]
	v_add_f64 v[15:16], v[15:16], v[27:28]
	s_clause 0x2
	buffer_load_dword v38, off, s[0:3], 0 offset:796
	buffer_load_dword v28, off, s[0:3], 0 offset:772
	;; [unrolled: 1-line block ×3, first 2 shown]
	ds_read_b128 v[9:12], v61 offset:1552
	s_waitcnt vmcnt(58) lgkmcnt(1)
	v_mul_f64 v[31:32], v[3:4], v[43:44]
	s_waitcnt vmcnt(56)
	v_fma_f64 v[39:40], v[5:6], v[45:46], -v[39:40]
	v_mul_f64 v[29:30], v[1:2], v[43:44]
	v_add_f64 v[13:14], v[13:14], v[35:36]
	v_fma_f64 v[35:36], v[7:8], v[45:46], v[127:128]
	v_add_f64 v[15:16], v[15:16], v[23:24]
	s_clause 0x4
	buffer_load_dword v24, off, s[0:3], 0 offset:812
	buffer_load_dword v43, off, s[0:3], 0 offset:824
	;; [unrolled: 1-line block ×5, first 2 shown]
	s_waitcnt vmcnt(57) lgkmcnt(0)
	v_mul_f64 v[127:128], v[9:10], v[47:48]
	v_mul_f64 v[46:47], v[11:12], v[47:48]
	s_waitcnt vmcnt(56)
	v_fma_f64 v[31:32], v[1:2], v[33:34], -v[31:32]
	ds_read_b128 v[5:8], v61 offset:1568
	v_fma_f64 v[29:30], v[3:4], v[33:34], v[29:30]
	s_clause 0x2
	buffer_load_dword v44, off, s[0:3], 0 offset:828
	buffer_load_dword v34, off, s[0:3], 0 offset:804
	;; [unrolled: 1-line block ×3, first 2 shown]
	ds_read_b128 v[1:4], v61 offset:1584
	v_add_f64 v[13:14], v[13:14], v[39:40]
	v_add_f64 v[15:16], v[15:16], v[35:36]
	s_waitcnt vmcnt(58) lgkmcnt(1)
	v_mul_f64 v[39:40], v[7:8], v[51:52]
	s_waitcnt vmcnt(56)
	v_fma_f64 v[47:48], v[9:10], v[53:54], -v[46:47]
	v_mul_f64 v[35:36], v[5:6], v[51:52]
	v_add_f64 v[13:14], v[13:14], v[31:32]
	v_fma_f64 v[31:32], v[11:12], v[53:54], v[127:128]
	v_add_f64 v[15:16], v[15:16], v[29:30]
	s_clause 0x4
	buffer_load_dword v30, off, s[0:3], 0 offset:844
	buffer_load_dword v51, off, s[0:3], 0 offset:856
	;; [unrolled: 1-line block ×5, first 2 shown]
	s_waitcnt vmcnt(57) lgkmcnt(0)
	v_mul_f64 v[127:128], v[1:2], v[55:56]
	v_mul_f64 v[54:55], v[3:4], v[55:56]
	s_waitcnt vmcnt(56)
	v_fma_f64 v[39:40], v[5:6], v[41:42], -v[39:40]
	ds_read_b128 v[9:12], v61 offset:1600
	v_fma_f64 v[35:36], v[7:8], v[41:42], v[35:36]
	v_add_f64 v[13:14], v[13:14], v[47:48]
	v_add_f64 v[15:16], v[15:16], v[31:32]
	s_clause 0x2
	buffer_load_dword v52, off, s[0:3], 0 offset:860
	buffer_load_dword v32, off, s[0:3], 0 offset:836
	;; [unrolled: 1-line block ×3, first 2 shown]
	ds_read_b128 v[5:8], v61 offset:1616
	s_waitcnt vmcnt(58) lgkmcnt(1)
	v_mul_f64 v[47:48], v[11:12], v[57:58]
	s_waitcnt vmcnt(56)
	v_fma_f64 v[55:56], v[1:2], v[59:60], -v[54:55]
	v_mul_f64 v[41:42], v[9:10], v[57:58]
	v_add_f64 v[13:14], v[13:14], v[39:40]
	v_fma_f64 v[39:40], v[3:4], v[59:60], v[127:128]
	v_add_f64 v[15:16], v[15:16], v[35:36]
	s_clause 0x4
	buffer_load_dword v36, off, s[0:3], 0 offset:876
	buffer_load_dword v57, off, s[0:3], 0 offset:888
	;; [unrolled: 1-line block ×5, first 2 shown]
	s_waitcnt vmcnt(57) lgkmcnt(0)
	v_mul_f64 v[127:128], v[5:6], v[78:79]
	v_mul_f64 v[78:79], v[7:8], v[78:79]
	s_waitcnt vmcnt(56)
	v_fma_f64 v[47:48], v[9:10], v[49:50], -v[47:48]
	ds_read_b128 v[1:4], v61 offset:1632
	v_fma_f64 v[41:42], v[11:12], v[49:50], v[41:42]
	v_add_f64 v[13:14], v[13:14], v[55:56]
	v_add_f64 v[15:16], v[15:16], v[39:40]
	s_clause 0x2
	buffer_load_dword v58, off, s[0:3], 0 offset:892
	buffer_load_dword v40, off, s[0:3], 0 offset:868
	;; [unrolled: 1-line block ×3, first 2 shown]
	ds_read_b128 v[9:12], v61 offset:1648
	s_waitcnt vmcnt(58) lgkmcnt(1)
	v_mul_f64 v[55:56], v[3:4], v[84:85]
	s_waitcnt vmcnt(56)
	v_fma_f64 v[78:79], v[5:6], v[93:94], -v[78:79]
	v_mul_f64 v[49:50], v[1:2], v[84:85]
	v_add_f64 v[13:14], v[13:14], v[47:48]
	v_fma_f64 v[47:48], v[7:8], v[93:94], v[127:128]
	v_add_f64 v[15:16], v[15:16], v[41:42]
	s_clause 0x4
	buffer_load_dword v42, off, s[0:3], 0 offset:908
	buffer_load_dword v84, off, s[0:3], 0 offset:920
	;; [unrolled: 1-line block ×5, first 2 shown]
	ds_read_b128 v[5:8], v61 offset:1664
	s_waitcnt vmcnt(57) lgkmcnt(1)
	v_mul_f64 v[127:128], v[9:10], v[72:73]
	v_mul_f64 v[72:73], v[11:12], v[72:73]
	s_waitcnt vmcnt(56)
	v_fma_f64 v[55:56], v[1:2], v[86:87], -v[55:56]
	v_fma_f64 v[49:50], v[3:4], v[86:87], v[49:50]
	v_add_f64 v[13:14], v[13:14], v[78:79]
	v_add_f64 v[15:16], v[15:16], v[47:48]
	s_clause 0x2
	buffer_load_dword v85, off, s[0:3], 0 offset:924
	buffer_load_dword v48, off, s[0:3], 0 offset:900
	;; [unrolled: 1-line block ×3, first 2 shown]
	ds_read_b128 v[1:4], v61 offset:1680
	s_waitcnt vmcnt(58) lgkmcnt(1)
	v_mul_f64 v[86:87], v[7:8], v[123:124]
	v_mul_f64 v[78:79], v[5:6], v[123:124]
	s_waitcnt vmcnt(56)
	v_fma_f64 v[72:73], v[9:10], v[66:67], -v[72:73]
	v_add_f64 v[13:14], v[13:14], v[55:56]
	v_fma_f64 v[55:56], v[11:12], v[66:67], v[127:128]
	v_add_f64 v[15:16], v[15:16], v[49:50]
	s_clause 0x4
	buffer_load_dword v50, off, s[0:3], 0 offset:940
	buffer_load_dword v66, off, s[0:3], 0 offset:952
	;; [unrolled: 1-line block ×5, first 2 shown]
	ds_read_b128 v[9:12], v61 offset:1696
	s_waitcnt vmcnt(57) lgkmcnt(1)
	v_mul_f64 v[127:128], v[1:2], v[25:26]
	v_mul_f64 v[25:26], v[3:4], v[25:26]
	s_waitcnt vmcnt(56)
	v_fma_f64 v[86:87], v[5:6], v[125:126], -v[86:87]
	v_add_f64 v[13:14], v[13:14], v[72:73]
	v_fma_f64 v[72:73], v[7:8], v[125:126], v[78:79]
	v_add_f64 v[15:16], v[15:16], v[55:56]
	s_clause 0x2
	buffer_load_dword v67, off, s[0:3], 0 offset:956
	buffer_load_dword v56, off, s[0:3], 0 offset:932
	;; [unrolled: 1-line block ×3, first 2 shown]
	ds_read_b128 v[5:8], v61 offset:1712
	s_waitcnt vmcnt(58) lgkmcnt(1)
	v_mul_f64 v[78:79], v[9:10], v[74:75]
	v_mul_f64 v[74:75], v[11:12], v[74:75]
	s_waitcnt vmcnt(56)
	v_fma_f64 v[25:26], v[1:2], v[19:20], -v[25:26]
	v_fma_f64 v[19:20], v[3:4], v[19:20], v[127:128]
	v_add_f64 v[13:14], v[13:14], v[86:87]
	v_add_f64 v[15:16], v[15:16], v[72:73]
	s_clause 0x4
	buffer_load_dword v73, off, s[0:3], 0 offset:972
	buffer_load_dword v86, off, s[0:3], 0 offset:984
	;; [unrolled: 1-line block ×5, first 2 shown]
	ds_read_b128 v[1:4], v61 offset:1728
	s_waitcnt vmcnt(57) lgkmcnt(1)
	v_mul_f64 v[126:127], v[5:6], v[62:63]
	v_mul_f64 v[62:63], v[7:8], v[62:63]
	s_waitcnt vmcnt(56)
	v_fma_f64 v[74:75], v[9:10], v[95:96], -v[74:75]
	v_add_f64 v[13:14], v[13:14], v[25:26]
	v_fma_f64 v[25:26], v[11:12], v[95:96], v[78:79]
	v_add_f64 v[15:16], v[15:16], v[19:20]
	s_clause 0x2
	buffer_load_dword v87, off, s[0:3], 0 offset:988
	buffer_load_dword v20, off, s[0:3], 0 offset:964
	;; [unrolled: 1-line block ×3, first 2 shown]
	ds_read_b128 v[9:12], v61 offset:1744
	s_waitcnt vmcnt(58) lgkmcnt(1)
	v_mul_f64 v[78:79], v[1:2], v[64:65]
	v_mul_f64 v[64:65], v[3:4], v[64:65]
	s_waitcnt vmcnt(56)
	v_fma_f64 v[62:63], v[5:6], v[21:22], -v[62:63]
	v_fma_f64 v[21:22], v[7:8], v[21:22], v[126:127]
	v_add_f64 v[13:14], v[13:14], v[74:75]
	v_add_f64 v[15:16], v[15:16], v[25:26]
	s_clause 0x2
	buffer_load_dword v26, off, s[0:3], 0 offset:1004
	buffer_load_dword v25, off, s[0:3], 0 offset:1000
	;; [unrolled: 1-line block ×3, first 2 shown]
	ds_read_b128 v[5:8], v61 offset:1760
	s_waitcnt vmcnt(55) lgkmcnt(1)
	v_mul_f64 v[74:75], v[9:10], v[17:18]
	v_mul_f64 v[17:18], v[11:12], v[17:18]
	s_waitcnt vmcnt(54)
	v_fma_f64 v[64:65], v[1:2], v[76:77], -v[64:65]
	v_add_f64 v[13:14], v[13:14], v[62:63]
	v_fma_f64 v[62:63], v[3:4], v[76:77], v[78:79]
	v_add_f64 v[15:16], v[15:16], v[21:22]
	s_clause 0x1
	buffer_load_dword v22, off, s[0:3], 0 offset:996
	buffer_load_dword v21, off, s[0:3], 0 offset:992
	ds_read_b128 v[1:4], v61 offset:1776
	s_waitcnt vmcnt(55) lgkmcnt(1)
	v_mul_f64 v[76:77], v[5:6], v[37:38]
	v_mul_f64 v[37:38], v[7:8], v[37:38]
	s_waitcnt vmcnt(53)
	v_fma_f64 v[17:18], v[9:10], v[27:28], -v[17:18]
	v_fma_f64 v[27:28], v[11:12], v[27:28], v[74:75]
	ds_read_b128 v[9:12], v61 offset:1792
	v_add_f64 v[13:14], v[13:14], v[64:65]
	v_add_f64 v[15:16], v[15:16], v[62:63]
	s_waitcnt vmcnt(49) lgkmcnt(1)
	v_mul_f64 v[62:63], v[1:2], v[23:24]
	v_mul_f64 v[23:24], v[3:4], v[23:24]
	s_waitcnt vmcnt(48)
	v_fma_f64 v[37:38], v[5:6], v[70:71], -v[37:38]
	v_add_f64 v[13:14], v[13:14], v[17:18]
	v_fma_f64 v[17:18], v[7:8], v[70:71], v[76:77]
	v_add_f64 v[15:16], v[15:16], v[27:28]
	s_clause 0x3
	buffer_load_dword v27, off, s[0:3], 0 offset:384
	buffer_load_dword v28, off, s[0:3], 0 offset:388
	;; [unrolled: 1-line block ×4, first 2 shown]
	s_waitcnt vmcnt(51) lgkmcnt(0)
	v_mul_f64 v[70:71], v[9:10], v[43:44]
	v_mul_f64 v[43:44], v[11:12], v[43:44]
	ds_read_b128 v[5:8], v61 offset:1808
	s_waitcnt vmcnt(49)
	v_fma_f64 v[23:24], v[1:2], v[33:34], -v[23:24]
	v_fma_f64 v[33:34], v[3:4], v[33:34], v[62:63]
	ds_read_b128 v[1:4], v61 offset:1824
	v_add_f64 v[13:14], v[13:14], v[37:38]
	v_add_f64 v[15:16], v[15:16], v[17:18]
	s_waitcnt vmcnt(45) lgkmcnt(1)
	v_mul_f64 v[17:18], v[5:6], v[29:30]
	v_mul_f64 v[29:30], v[7:8], v[29:30]
	s_waitcnt vmcnt(44)
	v_fma_f64 v[37:38], v[9:10], v[45:46], -v[43:44]
	v_add_f64 v[13:14], v[13:14], v[23:24]
	v_fma_f64 v[23:24], v[11:12], v[45:46], v[70:71]
	v_add_f64 v[15:16], v[15:16], v[33:34]
	ds_read_b128 v[9:12], v61 offset:1840
	s_waitcnt vmcnt(43) lgkmcnt(1)
	v_mul_f64 v[43:44], v[3:4], v[51:52]
	v_mul_f64 v[33:34], v[1:2], v[51:52]
	s_waitcnt vmcnt(41)
	v_fma_f64 v[29:30], v[5:6], v[31:32], -v[29:30]
	v_fma_f64 v[17:18], v[7:8], v[31:32], v[17:18]
	ds_read_b128 v[5:8], v61 offset:1856
	v_add_f64 v[13:14], v[13:14], v[37:38]
	v_add_f64 v[15:16], v[15:16], v[23:24]
	s_waitcnt vmcnt(37) lgkmcnt(1)
	v_mul_f64 v[23:24], v[9:10], v[35:36]
	v_mul_f64 v[31:32], v[11:12], v[35:36]
	s_waitcnt vmcnt(36)
	v_fma_f64 v[35:36], v[1:2], v[53:54], -v[43:44]
	v_add_f64 v[13:14], v[13:14], v[29:30]
	v_fma_f64 v[29:30], v[3:4], v[53:54], v[33:34]
	v_add_f64 v[15:16], v[15:16], v[17:18]
	ds_read_b128 v[1:4], v61 offset:1872
	s_waitcnt vmcnt(35) lgkmcnt(1)
	v_mul_f64 v[33:34], v[7:8], v[57:58]
	v_mul_f64 v[17:18], v[5:6], v[57:58]
	s_waitcnt vmcnt(33)
	v_fma_f64 v[31:32], v[9:10], v[39:40], -v[31:32]
	v_fma_f64 v[23:24], v[11:12], v[39:40], v[23:24]
	ds_read_b128 v[9:12], v61 offset:1888
	v_add_f64 v[13:14], v[13:14], v[35:36]
	v_add_f64 v[15:16], v[15:16], v[29:30]
	s_waitcnt vmcnt(29) lgkmcnt(1)
	v_mul_f64 v[35:36], v[3:4], v[41:42]
	s_waitcnt vmcnt(28)
	v_fma_f64 v[33:34], v[5:6], v[59:60], -v[33:34]
	v_mul_f64 v[29:30], v[1:2], v[41:42]
	v_fma_f64 v[17:18], v[7:8], v[59:60], v[17:18]
	ds_read_b128 v[5:8], v61 offset:1904
	v_add_f64 v[13:14], v[13:14], v[31:32]
	v_add_f64 v[15:16], v[15:16], v[23:24]
	s_waitcnt vmcnt(27) lgkmcnt(1)
	v_mul_f64 v[31:32], v[11:12], v[84:85]
	v_mul_f64 v[23:24], v[9:10], v[84:85]
	s_waitcnt vmcnt(25)
	v_fma_f64 v[35:36], v[1:2], v[47:48], -v[35:36]
	v_fma_f64 v[29:30], v[3:4], v[47:48], v[29:30]
	ds_read_b128 v[1:4], v61 offset:1920
	v_add_f64 v[13:14], v[13:14], v[33:34]
	v_add_f64 v[15:16], v[15:16], v[17:18]
	s_waitcnt vmcnt(21) lgkmcnt(1)
	v_mul_f64 v[33:34], v[7:8], v[49:50]
	s_waitcnt vmcnt(20)
	v_fma_f64 v[31:32], v[9:10], v[93:94], -v[31:32]
	v_mul_f64 v[17:18], v[5:6], v[49:50]
	v_fma_f64 v[23:24], v[11:12], v[93:94], v[23:24]
	ds_read_b128 v[9:12], v61 offset:1936
	v_add_f64 v[13:14], v[13:14], v[35:36]
	v_add_f64 v[15:16], v[15:16], v[29:30]
	;; [unrolled: 18-line block ×3, first 2 shown]
	s_waitcnt vmcnt(11) lgkmcnt(1)
	v_mul_f64 v[33:34], v[7:8], v[86:87]
	v_mul_f64 v[17:18], v[5:6], v[86:87]
	s_waitcnt vmcnt(9)
	v_fma_f64 v[9:10], v[9:10], v[19:20], -v[31:32]
	v_fma_f64 v[11:12], v[11:12], v[19:20], v[23:24]
	v_add_f64 v[13:14], v[13:14], v[35:36]
	v_add_f64 v[15:16], v[15:16], v[29:30]
	s_waitcnt vmcnt(7) lgkmcnt(0)
	v_mul_f64 v[23:24], v[3:4], v[25:26]
	s_waitcnt vmcnt(6)
	v_fma_f64 v[5:6], v[5:6], v[125:126], -v[33:34]
	v_mul_f64 v[19:20], v[1:2], v[25:26]
	v_fma_f64 v[7:8], v[7:8], v[125:126], v[17:18]
	v_add_f64 v[9:10], v[13:14], v[9:10]
	v_add_f64 v[11:12], v[15:16], v[11:12]
	s_waitcnt vmcnt(4)
	v_fma_f64 v[1:2], v[1:2], v[21:22], -v[23:24]
	v_fma_f64 v[3:4], v[3:4], v[21:22], v[19:20]
	v_add_f64 v[5:6], v[9:10], v[5:6]
	v_add_f64 v[7:8], v[11:12], v[7:8]
	;; [unrolled: 1-line block ×4, first 2 shown]
	s_waitcnt vmcnt(2)
	v_add_f64 v[1:2], v[27:28], -v[1:2]
	s_waitcnt vmcnt(0)
	v_add_f64 v[3:4], v[64:65], -v[3:4]
	buffer_store_dword v2, off, s[0:3], 0 offset:388
	buffer_store_dword v1, off, s[0:3], 0 offset:384
	;; [unrolled: 1-line block ×4, first 2 shown]
	v_cmpx_lt_u32_e32 22, v0
	s_cbranch_execz .LBB61_353
; %bb.352:
	v_mov_b32_e32 v4, s54
	v_mov_b32_e32 v5, 0
	s_clause 0x3
	buffer_load_dword v1, v4, s[0:3], 0 offen
	buffer_load_dword v2, v4, s[0:3], 0 offen offset:4
	buffer_load_dword v3, v4, s[0:3], 0 offen offset:8
	;; [unrolled: 1-line block ×3, first 2 shown]
	buffer_store_dword v5, off, s[0:3], 0 offset:368
	buffer_store_dword v5, off, s[0:3], 0 offset:372
	buffer_store_dword v5, off, s[0:3], 0 offset:376
	buffer_store_dword v5, off, s[0:3], 0 offset:380
	s_waitcnt vmcnt(0)
	ds_write_b128 v69, v[1:4]
.LBB61_353:
	s_or_b32 exec_lo, exec_lo, s4
	s_waitcnt lgkmcnt(0)
	s_waitcnt_vscnt null, 0x0
	s_barrier
	buffer_gl0_inv
	s_clause 0x37
	buffer_load_dword v9, off, s[0:3], 0 offset:392
	buffer_load_dword v10, off, s[0:3], 0 offset:396
	;; [unrolled: 1-line block ×56, first 2 shown]
	v_mov_b32_e32 v61, 0
	s_mov_b32 s4, exec_lo
	ds_read_b128 v[62:65], v61 offset:1360
	s_clause 0x2
	buffer_load_dword v58, off, s[0:3], 0 offset:620
	buffer_load_dword v60, off, s[0:3], 0 offset:596
	;; [unrolled: 1-line block ×3, first 2 shown]
	ds_read_b128 v[70:73], v61 offset:1376
	s_clause 0x4
	buffer_load_dword v79, off, s[0:3], 0 offset:636
	buffer_load_dword v84, off, s[0:3], 0 offset:648
	;; [unrolled: 1-line block ×5, first 2 shown]
	ds_read_b128 v[74:77], v61 offset:1392
	s_clause 0x2
	buffer_load_dword v85, off, s[0:3], 0 offset:652
	buffer_load_dword v94, off, s[0:3], 0 offset:628
	;; [unrolled: 1-line block ×3, first 2 shown]
	s_waitcnt vmcnt(62) lgkmcnt(2)
	v_mul_f64 v[66:67], v[64:65], v[9:10]
	v_mul_f64 v[9:10], v[62:63], v[9:10]
	s_waitcnt lgkmcnt(1)
	v_mul_f64 v[87:88], v[72:73], v[5:6]
	s_waitcnt vmcnt(59) lgkmcnt(0)
	v_mul_f64 v[95:96], v[76:77], v[3:4]
	v_fma_f64 v[62:63], v[62:63], v[7:8], -v[66:67]
	v_mul_f64 v[66:67], v[70:71], v[5:6]
	v_fma_f64 v[9:10], v[64:65], v[7:8], v[9:10]
	s_waitcnt vmcnt(57)
	v_fma_f64 v[70:71], v[70:71], v[1:2], -v[87:88]
	ds_read_b128 v[5:8], v61 offset:1408
	v_mul_f64 v[64:65], v[74:75], v[3:4]
	s_waitcnt vmcnt(51)
	v_fma_f64 v[74:75], v[74:75], v[25:26], -v[95:96]
	v_add_f64 v[62:63], v[62:63], 0
	v_fma_f64 v[66:67], v[72:73], v[1:2], v[66:67]
	v_add_f64 v[9:10], v[9:10], 0
	s_clause 0x4
	buffer_load_dword v73, off, s[0:3], 0 offset:668
	buffer_load_dword v123, off, s[0:3], 0 offset:680
	;; [unrolled: 1-line block ×5, first 2 shown]
	s_waitcnt lgkmcnt(0)
	v_mul_f64 v[126:127], v[5:6], v[13:14]
	v_mul_f64 v[13:14], v[7:8], v[13:14]
	ds_read_b128 v[1:4], v61 offset:1424
	v_fma_f64 v[25:26], v[76:77], v[25:26], v[64:65]
	v_add_f64 v[70:71], v[62:63], v[70:71]
	v_add_f64 v[9:10], v[9:10], v[66:67]
	s_clause 0x2
	buffer_load_dword v124, off, s[0:3], 0 offset:684
	buffer_load_dword v67, off, s[0:3], 0 offset:660
	;; [unrolled: 1-line block ×3, first 2 shown]
	s_waitcnt vmcnt(58) lgkmcnt(0)
	v_mul_f64 v[76:77], v[1:2], v[17:18]
	v_mul_f64 v[17:18], v[3:4], v[17:18]
	s_waitcnt vmcnt(56)
	v_fma_f64 v[13:14], v[5:6], v[19:20], -v[13:14]
	ds_read_b128 v[62:65], v61 offset:1440
	v_fma_f64 v[19:20], v[7:8], v[19:20], v[126:127]
	v_add_f64 v[70:71], v[70:71], v[74:75]
	v_add_f64 v[9:10], v[9:10], v[25:26]
	s_clause 0x4
	buffer_load_dword v26, off, s[0:3], 0 offset:700
	buffer_load_dword v74, off, s[0:3], 0 offset:712
	;; [unrolled: 1-line block ×5, first 2 shown]
	ds_read_b128 v[5:8], v61 offset:1456
	s_waitcnt vmcnt(57) lgkmcnt(1)
	v_mul_f64 v[127:128], v[62:63], v[21:22]
	v_mul_f64 v[21:22], v[64:65], v[21:22]
	s_waitcnt vmcnt(56)
	v_fma_f64 v[17:18], v[1:2], v[11:12], -v[17:18]
	v_fma_f64 v[11:12], v[3:4], v[11:12], v[76:77]
	v_add_f64 v[13:14], v[70:71], v[13:14]
	v_add_f64 v[9:10], v[9:10], v[19:20]
	s_clause 0x2
	buffer_load_dword v75, off, s[0:3], 0 offset:716
	buffer_load_dword v20, off, s[0:3], 0 offset:692
	;; [unrolled: 1-line block ×3, first 2 shown]
	s_waitcnt vmcnt(58) lgkmcnt(0)
	v_mul_f64 v[70:71], v[5:6], v[27:28]
	v_mul_f64 v[27:28], v[7:8], v[27:28]
	s_waitcnt vmcnt(56)
	v_fma_f64 v[21:22], v[62:63], v[29:30], -v[21:22]
	ds_read_b128 v[1:4], v61 offset:1472
	v_add_f64 v[13:14], v[13:14], v[17:18]
	v_fma_f64 v[17:18], v[64:65], v[29:30], v[127:128]
	v_add_f64 v[29:30], v[9:10], v[11:12]
	s_clause 0x4
	buffer_load_dword v63, off, s[0:3], 0 offset:732
	buffer_load_dword v64, off, s[0:3], 0 offset:744
	;; [unrolled: 1-line block ×5, first 2 shown]
	ds_read_b128 v[9:12], v61 offset:1488
	s_waitcnt vmcnt(57) lgkmcnt(1)
	v_mul_f64 v[127:128], v[1:2], v[31:32]
	v_mul_f64 v[31:32], v[3:4], v[31:32]
	s_waitcnt vmcnt(56)
	v_fma_f64 v[27:28], v[5:6], v[15:16], -v[27:28]
	v_fma_f64 v[15:16], v[7:8], v[15:16], v[70:71]
	v_add_f64 v[13:14], v[13:14], v[21:22]
	s_clause 0x2
	buffer_load_dword v65, off, s[0:3], 0 offset:748
	buffer_load_dword v22, off, s[0:3], 0 offset:724
	;; [unrolled: 1-line block ×3, first 2 shown]
	v_add_f64 v[17:18], v[29:30], v[17:18]
	s_waitcnt vmcnt(58) lgkmcnt(0)
	v_mul_f64 v[29:30], v[9:10], v[35:36]
	v_mul_f64 v[35:36], v[11:12], v[35:36]
	ds_read_b128 v[5:8], v61 offset:1504
	s_waitcnt vmcnt(56)
	v_fma_f64 v[31:32], v[1:2], v[37:38], -v[31:32]
	v_add_f64 v[13:14], v[13:14], v[27:28]
	v_fma_f64 v[27:28], v[3:4], v[37:38], v[127:128]
	v_add_f64 v[15:16], v[17:18], v[15:16]
	s_clause 0x4
	buffer_load_dword v18, off, s[0:3], 0 offset:764
	buffer_load_dword v37, off, s[0:3], 0 offset:776
	;; [unrolled: 1-line block ×5, first 2 shown]
	s_waitcnt vmcnt(57) lgkmcnt(0)
	v_mul_f64 v[127:128], v[5:6], v[39:40]
	v_mul_f64 v[39:40], v[7:8], v[39:40]
	s_waitcnt vmcnt(56)
	v_fma_f64 v[35:36], v[9:10], v[23:24], -v[35:36]
	ds_read_b128 v[1:4], v61 offset:1520
	v_fma_f64 v[23:24], v[11:12], v[23:24], v[29:30]
	v_add_f64 v[13:14], v[13:14], v[31:32]
	v_add_f64 v[15:16], v[15:16], v[27:28]
	s_clause 0x2
	buffer_load_dword v38, off, s[0:3], 0 offset:780
	buffer_load_dword v28, off, s[0:3], 0 offset:756
	buffer_load_dword v27, off, s[0:3], 0 offset:752
	ds_read_b128 v[9:12], v61 offset:1536
	s_waitcnt vmcnt(58) lgkmcnt(1)
	v_mul_f64 v[31:32], v[3:4], v[43:44]
	s_waitcnt vmcnt(56)
	v_fma_f64 v[39:40], v[5:6], v[45:46], -v[39:40]
	v_mul_f64 v[29:30], v[1:2], v[43:44]
	v_add_f64 v[13:14], v[13:14], v[35:36]
	v_fma_f64 v[35:36], v[7:8], v[45:46], v[127:128]
	v_add_f64 v[15:16], v[15:16], v[23:24]
	s_clause 0x4
	buffer_load_dword v24, off, s[0:3], 0 offset:796
	buffer_load_dword v43, off, s[0:3], 0 offset:808
	;; [unrolled: 1-line block ×5, first 2 shown]
	s_waitcnt vmcnt(57) lgkmcnt(0)
	v_mul_f64 v[127:128], v[9:10], v[47:48]
	v_mul_f64 v[46:47], v[11:12], v[47:48]
	s_waitcnt vmcnt(56)
	v_fma_f64 v[31:32], v[1:2], v[33:34], -v[31:32]
	ds_read_b128 v[5:8], v61 offset:1552
	v_fma_f64 v[29:30], v[3:4], v[33:34], v[29:30]
	s_clause 0x2
	buffer_load_dword v44, off, s[0:3], 0 offset:812
	buffer_load_dword v34, off, s[0:3], 0 offset:788
	;; [unrolled: 1-line block ×3, first 2 shown]
	ds_read_b128 v[1:4], v61 offset:1568
	v_add_f64 v[13:14], v[13:14], v[39:40]
	v_add_f64 v[15:16], v[15:16], v[35:36]
	s_waitcnt vmcnt(58) lgkmcnt(1)
	v_mul_f64 v[39:40], v[7:8], v[51:52]
	s_waitcnt vmcnt(56)
	v_fma_f64 v[47:48], v[9:10], v[53:54], -v[46:47]
	v_mul_f64 v[35:36], v[5:6], v[51:52]
	v_add_f64 v[13:14], v[13:14], v[31:32]
	v_fma_f64 v[31:32], v[11:12], v[53:54], v[127:128]
	v_add_f64 v[15:16], v[15:16], v[29:30]
	s_clause 0x4
	buffer_load_dword v30, off, s[0:3], 0 offset:828
	buffer_load_dword v51, off, s[0:3], 0 offset:840
	;; [unrolled: 1-line block ×5, first 2 shown]
	s_waitcnt vmcnt(57) lgkmcnt(0)
	v_mul_f64 v[127:128], v[1:2], v[55:56]
	v_mul_f64 v[54:55], v[3:4], v[55:56]
	s_waitcnt vmcnt(56)
	v_fma_f64 v[39:40], v[5:6], v[41:42], -v[39:40]
	ds_read_b128 v[9:12], v61 offset:1584
	v_fma_f64 v[35:36], v[7:8], v[41:42], v[35:36]
	v_add_f64 v[13:14], v[13:14], v[47:48]
	v_add_f64 v[15:16], v[15:16], v[31:32]
	s_clause 0x2
	buffer_load_dword v52, off, s[0:3], 0 offset:844
	buffer_load_dword v32, off, s[0:3], 0 offset:820
	;; [unrolled: 1-line block ×3, first 2 shown]
	ds_read_b128 v[5:8], v61 offset:1600
	s_waitcnt vmcnt(58) lgkmcnt(1)
	v_mul_f64 v[47:48], v[11:12], v[57:58]
	s_waitcnt vmcnt(56)
	v_fma_f64 v[55:56], v[1:2], v[59:60], -v[54:55]
	v_mul_f64 v[41:42], v[9:10], v[57:58]
	v_add_f64 v[13:14], v[13:14], v[39:40]
	v_fma_f64 v[39:40], v[3:4], v[59:60], v[127:128]
	v_add_f64 v[15:16], v[15:16], v[35:36]
	s_clause 0x4
	buffer_load_dword v36, off, s[0:3], 0 offset:860
	buffer_load_dword v57, off, s[0:3], 0 offset:872
	;; [unrolled: 1-line block ×5, first 2 shown]
	s_waitcnt vmcnt(57) lgkmcnt(0)
	v_mul_f64 v[127:128], v[5:6], v[78:79]
	v_mul_f64 v[78:79], v[7:8], v[78:79]
	s_waitcnt vmcnt(56)
	v_fma_f64 v[47:48], v[9:10], v[49:50], -v[47:48]
	ds_read_b128 v[1:4], v61 offset:1616
	v_fma_f64 v[41:42], v[11:12], v[49:50], v[41:42]
	v_add_f64 v[13:14], v[13:14], v[55:56]
	v_add_f64 v[15:16], v[15:16], v[39:40]
	s_clause 0x2
	buffer_load_dword v58, off, s[0:3], 0 offset:876
	buffer_load_dword v40, off, s[0:3], 0 offset:852
	;; [unrolled: 1-line block ×3, first 2 shown]
	ds_read_b128 v[9:12], v61 offset:1632
	s_waitcnt vmcnt(58) lgkmcnt(1)
	v_mul_f64 v[55:56], v[3:4], v[84:85]
	s_waitcnt vmcnt(56)
	v_fma_f64 v[78:79], v[5:6], v[93:94], -v[78:79]
	v_mul_f64 v[49:50], v[1:2], v[84:85]
	v_add_f64 v[13:14], v[13:14], v[47:48]
	v_fma_f64 v[47:48], v[7:8], v[93:94], v[127:128]
	v_add_f64 v[15:16], v[15:16], v[41:42]
	s_clause 0x4
	buffer_load_dword v42, off, s[0:3], 0 offset:892
	buffer_load_dword v84, off, s[0:3], 0 offset:904
	;; [unrolled: 1-line block ×5, first 2 shown]
	ds_read_b128 v[5:8], v61 offset:1648
	s_waitcnt vmcnt(57) lgkmcnt(1)
	v_mul_f64 v[127:128], v[9:10], v[72:73]
	v_mul_f64 v[72:73], v[11:12], v[72:73]
	s_waitcnt vmcnt(56)
	v_fma_f64 v[55:56], v[1:2], v[86:87], -v[55:56]
	v_fma_f64 v[49:50], v[3:4], v[86:87], v[49:50]
	v_add_f64 v[13:14], v[13:14], v[78:79]
	v_add_f64 v[15:16], v[15:16], v[47:48]
	s_clause 0x2
	buffer_load_dword v85, off, s[0:3], 0 offset:908
	buffer_load_dword v48, off, s[0:3], 0 offset:884
	;; [unrolled: 1-line block ×3, first 2 shown]
	ds_read_b128 v[1:4], v61 offset:1664
	s_waitcnt vmcnt(58) lgkmcnt(1)
	v_mul_f64 v[86:87], v[7:8], v[123:124]
	v_mul_f64 v[78:79], v[5:6], v[123:124]
	s_waitcnt vmcnt(56)
	v_fma_f64 v[72:73], v[9:10], v[66:67], -v[72:73]
	v_add_f64 v[13:14], v[13:14], v[55:56]
	v_fma_f64 v[55:56], v[11:12], v[66:67], v[127:128]
	v_add_f64 v[15:16], v[15:16], v[49:50]
	s_clause 0x4
	buffer_load_dword v50, off, s[0:3], 0 offset:924
	buffer_load_dword v66, off, s[0:3], 0 offset:936
	;; [unrolled: 1-line block ×5, first 2 shown]
	ds_read_b128 v[9:12], v61 offset:1680
	s_waitcnt vmcnt(57) lgkmcnt(1)
	v_mul_f64 v[127:128], v[1:2], v[25:26]
	v_mul_f64 v[25:26], v[3:4], v[25:26]
	s_waitcnt vmcnt(56)
	v_fma_f64 v[86:87], v[5:6], v[125:126], -v[86:87]
	v_add_f64 v[13:14], v[13:14], v[72:73]
	v_fma_f64 v[72:73], v[7:8], v[125:126], v[78:79]
	v_add_f64 v[15:16], v[15:16], v[55:56]
	s_clause 0x2
	buffer_load_dword v67, off, s[0:3], 0 offset:940
	buffer_load_dword v56, off, s[0:3], 0 offset:916
	buffer_load_dword v55, off, s[0:3], 0 offset:912
	ds_read_b128 v[5:8], v61 offset:1696
	s_waitcnt vmcnt(58) lgkmcnt(1)
	v_mul_f64 v[78:79], v[9:10], v[74:75]
	v_mul_f64 v[74:75], v[11:12], v[74:75]
	s_waitcnt vmcnt(56)
	v_fma_f64 v[25:26], v[1:2], v[19:20], -v[25:26]
	v_fma_f64 v[19:20], v[3:4], v[19:20], v[127:128]
	v_add_f64 v[13:14], v[13:14], v[86:87]
	v_add_f64 v[15:16], v[15:16], v[72:73]
	s_clause 0x4
	buffer_load_dword v73, off, s[0:3], 0 offset:956
	buffer_load_dword v86, off, s[0:3], 0 offset:968
	;; [unrolled: 1-line block ×5, first 2 shown]
	ds_read_b128 v[1:4], v61 offset:1712
	s_waitcnt vmcnt(57) lgkmcnt(1)
	v_mul_f64 v[126:127], v[5:6], v[62:63]
	v_mul_f64 v[62:63], v[7:8], v[62:63]
	s_waitcnt vmcnt(56)
	v_fma_f64 v[74:75], v[9:10], v[95:96], -v[74:75]
	v_add_f64 v[13:14], v[13:14], v[25:26]
	v_fma_f64 v[25:26], v[11:12], v[95:96], v[78:79]
	v_add_f64 v[15:16], v[15:16], v[19:20]
	s_clause 0x2
	buffer_load_dword v87, off, s[0:3], 0 offset:972
	buffer_load_dword v20, off, s[0:3], 0 offset:948
	buffer_load_dword v19, off, s[0:3], 0 offset:944
	ds_read_b128 v[9:12], v61 offset:1728
	s_waitcnt vmcnt(58) lgkmcnt(1)
	v_mul_f64 v[78:79], v[1:2], v[64:65]
	v_mul_f64 v[64:65], v[3:4], v[64:65]
	s_waitcnt vmcnt(56)
	v_fma_f64 v[62:63], v[5:6], v[21:22], -v[62:63]
	v_fma_f64 v[21:22], v[7:8], v[21:22], v[126:127]
	v_add_f64 v[13:14], v[13:14], v[74:75]
	v_add_f64 v[15:16], v[15:16], v[25:26]
	s_clause 0x4
	buffer_load_dword v26, off, s[0:3], 0 offset:988
	buffer_load_dword v74, off, s[0:3], 0 offset:1000
	;; [unrolled: 1-line block ×5, first 2 shown]
	ds_read_b128 v[5:8], v61 offset:1744
	s_waitcnt vmcnt(57) lgkmcnt(1)
	v_mul_f64 v[127:128], v[9:10], v[17:18]
	v_mul_f64 v[17:18], v[11:12], v[17:18]
	s_waitcnt vmcnt(56)
	v_fma_f64 v[64:65], v[1:2], v[76:77], -v[64:65]
	v_add_f64 v[13:14], v[13:14], v[62:63]
	v_fma_f64 v[62:63], v[3:4], v[76:77], v[78:79]
	v_add_f64 v[15:16], v[15:16], v[21:22]
	s_clause 0x2
	buffer_load_dword v75, off, s[0:3], 0 offset:1004
	buffer_load_dword v22, off, s[0:3], 0 offset:980
	;; [unrolled: 1-line block ×3, first 2 shown]
	ds_read_b128 v[1:4], v61 offset:1760
	buffer_load_dword v96, off, s[0:3], 0 offset:996
	s_waitcnt vmcnt(59) lgkmcnt(1)
	v_mul_f64 v[76:77], v[5:6], v[37:38]
	v_mul_f64 v[37:38], v[7:8], v[37:38]
	s_waitcnt vmcnt(57)
	v_fma_f64 v[17:18], v[9:10], v[27:28], -v[17:18]
	v_fma_f64 v[27:28], v[11:12], v[27:28], v[127:128]
	ds_read_b128 v[9:12], v61 offset:1776
	v_add_f64 v[13:14], v[13:14], v[64:65]
	v_add_f64 v[15:16], v[15:16], v[62:63]
	s_waitcnt vmcnt(53) lgkmcnt(1)
	v_mul_f64 v[62:63], v[1:2], v[23:24]
	v_mul_f64 v[23:24], v[3:4], v[23:24]
	s_waitcnt vmcnt(52)
	v_fma_f64 v[37:38], v[5:6], v[70:71], -v[37:38]
	v_add_f64 v[13:14], v[13:14], v[17:18]
	v_fma_f64 v[17:18], v[7:8], v[70:71], v[76:77]
	v_add_f64 v[15:16], v[15:16], v[27:28]
	s_waitcnt vmcnt(51) lgkmcnt(0)
	v_mul_f64 v[27:28], v[9:10], v[43:44]
	v_mul_f64 v[43:44], v[11:12], v[43:44]
	ds_read_b128 v[5:8], v61 offset:1792
	s_waitcnt vmcnt(49)
	v_fma_f64 v[23:24], v[1:2], v[33:34], -v[23:24]
	v_fma_f64 v[33:34], v[3:4], v[33:34], v[62:63]
	v_add_f64 v[13:14], v[13:14], v[37:38]
	v_add_f64 v[15:16], v[15:16], v[17:18]
	s_clause 0x3
	buffer_load_dword v17, off, s[0:3], 0 offset:368
	buffer_load_dword v18, off, s[0:3], 0 offset:372
	;; [unrolled: 1-line block ×4, first 2 shown]
	ds_read_b128 v[1:4], v61 offset:1808
	s_waitcnt vmcnt(49) lgkmcnt(1)
	v_mul_f64 v[62:63], v[5:6], v[29:30]
	v_mul_f64 v[29:30], v[7:8], v[29:30]
	s_waitcnt vmcnt(48)
	v_fma_f64 v[43:44], v[9:10], v[45:46], -v[43:44]
	v_add_f64 v[13:14], v[13:14], v[23:24]
	v_fma_f64 v[23:24], v[11:12], v[45:46], v[27:28]
	v_add_f64 v[15:16], v[15:16], v[33:34]
	ds_read_b128 v[9:12], v61 offset:1824
	s_waitcnt vmcnt(47) lgkmcnt(1)
	v_mul_f64 v[33:34], v[3:4], v[51:52]
	v_mul_f64 v[27:28], v[1:2], v[51:52]
	s_waitcnt vmcnt(45)
	v_fma_f64 v[29:30], v[5:6], v[31:32], -v[29:30]
	v_fma_f64 v[31:32], v[7:8], v[31:32], v[62:63]
	ds_read_b128 v[5:8], v61 offset:1840
	v_add_f64 v[13:14], v[13:14], v[43:44]
	v_add_f64 v[15:16], v[15:16], v[23:24]
	s_waitcnt vmcnt(41) lgkmcnt(1)
	v_mul_f64 v[23:24], v[9:10], v[35:36]
	v_mul_f64 v[35:36], v[11:12], v[35:36]
	s_waitcnt vmcnt(40)
	v_fma_f64 v[33:34], v[1:2], v[53:54], -v[33:34]
	v_fma_f64 v[27:28], v[3:4], v[53:54], v[27:28]
	ds_read_b128 v[1:4], v61 offset:1856
	v_add_f64 v[13:14], v[13:14], v[29:30]
	v_add_f64 v[15:16], v[15:16], v[31:32]
	;; [unrolled: 9-line block ×3, first 2 shown]
	s_waitcnt vmcnt(33) lgkmcnt(1)
	v_mul_f64 v[33:34], v[3:4], v[41:42]
	s_waitcnt vmcnt(32)
	v_fma_f64 v[31:32], v[5:6], v[59:60], -v[31:32]
	v_mul_f64 v[27:28], v[1:2], v[41:42]
	v_fma_f64 v[29:30], v[7:8], v[59:60], v[29:30]
	ds_read_b128 v[5:8], v61 offset:1888
	v_add_f64 v[13:14], v[13:14], v[35:36]
	v_add_f64 v[15:16], v[15:16], v[23:24]
	s_waitcnt vmcnt(31) lgkmcnt(1)
	v_mul_f64 v[35:36], v[11:12], v[84:85]
	v_mul_f64 v[23:24], v[9:10], v[84:85]
	s_waitcnt vmcnt(29)
	v_fma_f64 v[33:34], v[1:2], v[47:48], -v[33:34]
	v_fma_f64 v[27:28], v[3:4], v[47:48], v[27:28]
	ds_read_b128 v[1:4], v61 offset:1904
	v_add_f64 v[13:14], v[13:14], v[31:32]
	v_add_f64 v[15:16], v[15:16], v[29:30]
	s_waitcnt vmcnt(25) lgkmcnt(1)
	v_mul_f64 v[31:32], v[7:8], v[49:50]
	s_waitcnt vmcnt(24)
	v_fma_f64 v[35:36], v[9:10], v[93:94], -v[35:36]
	v_mul_f64 v[29:30], v[5:6], v[49:50]
	v_fma_f64 v[23:24], v[11:12], v[93:94], v[23:24]
	ds_read_b128 v[9:12], v61 offset:1920
	v_add_f64 v[13:14], v[13:14], v[33:34]
	v_add_f64 v[15:16], v[15:16], v[27:28]
	s_waitcnt vmcnt(23) lgkmcnt(1)
	v_mul_f64 v[33:34], v[3:4], v[66:67]
	v_mul_f64 v[27:28], v[1:2], v[66:67]
	s_waitcnt vmcnt(21)
	v_fma_f64 v[31:32], v[5:6], v[55:56], -v[31:32]
	v_fma_f64 v[29:30], v[7:8], v[55:56], v[29:30]
	ds_read_b128 v[5:8], v61 offset:1936
	v_add_f64 v[13:14], v[13:14], v[35:36]
	v_add_f64 v[15:16], v[15:16], v[23:24]
	;; [unrolled: 18-line block ×3, first 2 shown]
	s_waitcnt vmcnt(9) lgkmcnt(1)
	v_mul_f64 v[23:24], v[1:2], v[25:26]
	v_mul_f64 v[25:26], v[3:4], v[25:26]
	s_waitcnt vmcnt(8)
	v_fma_f64 v[5:6], v[5:6], v[125:126], -v[31:32]
	v_fma_f64 v[7:8], v[7:8], v[125:126], v[29:30]
	v_add_f64 v[13:14], v[13:14], v[35:36]
	v_add_f64 v[15:16], v[15:16], v[19:20]
	s_waitcnt vmcnt(7) lgkmcnt(0)
	v_mul_f64 v[27:28], v[11:12], v[74:75]
	v_mul_f64 v[19:20], v[9:10], v[74:75]
	s_waitcnt vmcnt(5)
	v_fma_f64 v[1:2], v[1:2], v[21:22], -v[25:26]
	v_fma_f64 v[3:4], v[3:4], v[21:22], v[23:24]
	v_add_f64 v[5:6], v[13:14], v[5:6]
	v_add_f64 v[7:8], v[15:16], v[7:8]
	s_waitcnt vmcnt(4)
	v_fma_f64 v[9:10], v[9:10], v[95:96], -v[27:28]
	v_add_f64 v[1:2], v[5:6], v[1:2]
	v_fma_f64 v[5:6], v[11:12], v[95:96], v[19:20]
	v_add_f64 v[3:4], v[7:8], v[3:4]
	v_add_f64 v[1:2], v[1:2], v[9:10]
	v_add_f64 v[3:4], v[3:4], v[5:6]
	s_waitcnt vmcnt(2)
	v_add_f64 v[1:2], v[17:18], -v[1:2]
	s_waitcnt vmcnt(0)
	v_add_f64 v[3:4], v[37:38], -v[3:4]
	buffer_store_dword v2, off, s[0:3], 0 offset:372
	buffer_store_dword v1, off, s[0:3], 0 offset:368
	;; [unrolled: 1-line block ×4, first 2 shown]
	v_cmpx_lt_u32_e32 21, v0
	s_cbranch_execz .LBB61_355
; %bb.354:
	v_mov_b32_e32 v4, s55
	s_clause 0x3
	buffer_load_dword v1, v4, s[0:3], 0 offen
	buffer_load_dword v2, v4, s[0:3], 0 offen offset:4
	buffer_load_dword v3, v4, s[0:3], 0 offen offset:8
	;; [unrolled: 1-line block ×3, first 2 shown]
	buffer_store_dword v61, off, s[0:3], 0 offset:352
	buffer_store_dword v61, off, s[0:3], 0 offset:356
	;; [unrolled: 1-line block ×4, first 2 shown]
	s_waitcnt vmcnt(0)
	ds_write_b128 v69, v[1:4]
.LBB61_355:
	s_or_b32 exec_lo, exec_lo, s4
	s_waitcnt lgkmcnt(0)
	s_waitcnt_vscnt null, 0x0
	s_barrier
	buffer_gl0_inv
	s_clause 0x37
	buffer_load_dword v9, off, s[0:3], 0 offset:376
	buffer_load_dword v10, off, s[0:3], 0 offset:380
	;; [unrolled: 1-line block ×56, first 2 shown]
	ds_read_b128 v[62:65], v61 offset:1344
	s_clause 0x2
	buffer_load_dword v58, off, s[0:3], 0 offset:604
	buffer_load_dword v60, off, s[0:3], 0 offset:580
	;; [unrolled: 1-line block ×3, first 2 shown]
	ds_read_b128 v[70:73], v61 offset:1360
	s_clause 0x4
	buffer_load_dword v79, off, s[0:3], 0 offset:620
	buffer_load_dword v84, off, s[0:3], 0 offset:632
	;; [unrolled: 1-line block ×5, first 2 shown]
	ds_read_b128 v[74:77], v61 offset:1376
	s_clause 0x2
	buffer_load_dword v85, off, s[0:3], 0 offset:636
	buffer_load_dword v94, off, s[0:3], 0 offset:612
	buffer_load_dword v93, off, s[0:3], 0 offset:608
	s_mov_b32 s4, exec_lo
	s_waitcnt vmcnt(62) lgkmcnt(2)
	v_mul_f64 v[66:67], v[64:65], v[9:10]
	v_mul_f64 v[9:10], v[62:63], v[9:10]
	s_waitcnt lgkmcnt(1)
	v_mul_f64 v[87:88], v[72:73], v[5:6]
	s_waitcnt vmcnt(59) lgkmcnt(0)
	v_mul_f64 v[95:96], v[76:77], v[3:4]
	v_fma_f64 v[62:63], v[62:63], v[7:8], -v[66:67]
	v_mul_f64 v[66:67], v[70:71], v[5:6]
	v_fma_f64 v[9:10], v[64:65], v[7:8], v[9:10]
	s_waitcnt vmcnt(57)
	v_fma_f64 v[70:71], v[70:71], v[1:2], -v[87:88]
	ds_read_b128 v[5:8], v61 offset:1392
	v_mul_f64 v[64:65], v[74:75], v[3:4]
	s_waitcnt vmcnt(51)
	v_fma_f64 v[74:75], v[74:75], v[25:26], -v[95:96]
	v_add_f64 v[62:63], v[62:63], 0
	v_fma_f64 v[66:67], v[72:73], v[1:2], v[66:67]
	v_add_f64 v[9:10], v[9:10], 0
	s_clause 0x4
	buffer_load_dword v73, off, s[0:3], 0 offset:652
	buffer_load_dword v123, off, s[0:3], 0 offset:664
	;; [unrolled: 1-line block ×5, first 2 shown]
	s_waitcnt lgkmcnt(0)
	v_mul_f64 v[126:127], v[5:6], v[13:14]
	v_mul_f64 v[13:14], v[7:8], v[13:14]
	ds_read_b128 v[1:4], v61 offset:1408
	v_fma_f64 v[25:26], v[76:77], v[25:26], v[64:65]
	v_add_f64 v[70:71], v[62:63], v[70:71]
	v_add_f64 v[9:10], v[9:10], v[66:67]
	s_clause 0x2
	buffer_load_dword v124, off, s[0:3], 0 offset:668
	buffer_load_dword v67, off, s[0:3], 0 offset:644
	buffer_load_dword v66, off, s[0:3], 0 offset:640
	s_waitcnt vmcnt(58) lgkmcnt(0)
	v_mul_f64 v[76:77], v[1:2], v[17:18]
	v_mul_f64 v[17:18], v[3:4], v[17:18]
	s_waitcnt vmcnt(56)
	v_fma_f64 v[13:14], v[5:6], v[19:20], -v[13:14]
	ds_read_b128 v[62:65], v61 offset:1424
	v_fma_f64 v[19:20], v[7:8], v[19:20], v[126:127]
	v_add_f64 v[70:71], v[70:71], v[74:75]
	v_add_f64 v[9:10], v[9:10], v[25:26]
	s_clause 0x4
	buffer_load_dword v26, off, s[0:3], 0 offset:684
	buffer_load_dword v74, off, s[0:3], 0 offset:696
	;; [unrolled: 1-line block ×5, first 2 shown]
	ds_read_b128 v[5:8], v61 offset:1440
	s_waitcnt vmcnt(57) lgkmcnt(1)
	v_mul_f64 v[127:128], v[62:63], v[21:22]
	v_mul_f64 v[21:22], v[64:65], v[21:22]
	s_waitcnt vmcnt(56)
	v_fma_f64 v[17:18], v[1:2], v[11:12], -v[17:18]
	v_fma_f64 v[11:12], v[3:4], v[11:12], v[76:77]
	v_add_f64 v[13:14], v[70:71], v[13:14]
	v_add_f64 v[9:10], v[9:10], v[19:20]
	s_clause 0x2
	buffer_load_dword v75, off, s[0:3], 0 offset:700
	buffer_load_dword v20, off, s[0:3], 0 offset:676
	;; [unrolled: 1-line block ×3, first 2 shown]
	s_waitcnt vmcnt(58) lgkmcnt(0)
	v_mul_f64 v[70:71], v[5:6], v[27:28]
	v_mul_f64 v[27:28], v[7:8], v[27:28]
	s_waitcnt vmcnt(56)
	v_fma_f64 v[21:22], v[62:63], v[29:30], -v[21:22]
	ds_read_b128 v[1:4], v61 offset:1456
	v_add_f64 v[13:14], v[13:14], v[17:18]
	v_fma_f64 v[17:18], v[64:65], v[29:30], v[127:128]
	v_add_f64 v[29:30], v[9:10], v[11:12]
	s_clause 0x4
	buffer_load_dword v63, off, s[0:3], 0 offset:716
	buffer_load_dword v64, off, s[0:3], 0 offset:728
	;; [unrolled: 1-line block ×5, first 2 shown]
	ds_read_b128 v[9:12], v61 offset:1472
	s_waitcnt vmcnt(57) lgkmcnt(1)
	v_mul_f64 v[127:128], v[1:2], v[31:32]
	v_mul_f64 v[31:32], v[3:4], v[31:32]
	s_waitcnt vmcnt(56)
	v_fma_f64 v[27:28], v[5:6], v[15:16], -v[27:28]
	v_fma_f64 v[15:16], v[7:8], v[15:16], v[70:71]
	v_add_f64 v[13:14], v[13:14], v[21:22]
	s_clause 0x2
	buffer_load_dword v65, off, s[0:3], 0 offset:732
	buffer_load_dword v22, off, s[0:3], 0 offset:708
	;; [unrolled: 1-line block ×3, first 2 shown]
	v_add_f64 v[17:18], v[29:30], v[17:18]
	s_waitcnt vmcnt(58) lgkmcnt(0)
	v_mul_f64 v[29:30], v[9:10], v[35:36]
	v_mul_f64 v[35:36], v[11:12], v[35:36]
	ds_read_b128 v[5:8], v61 offset:1488
	s_waitcnt vmcnt(56)
	v_fma_f64 v[31:32], v[1:2], v[37:38], -v[31:32]
	v_add_f64 v[13:14], v[13:14], v[27:28]
	v_fma_f64 v[27:28], v[3:4], v[37:38], v[127:128]
	v_add_f64 v[15:16], v[17:18], v[15:16]
	s_clause 0x4
	buffer_load_dword v18, off, s[0:3], 0 offset:748
	buffer_load_dword v37, off, s[0:3], 0 offset:760
	;; [unrolled: 1-line block ×5, first 2 shown]
	s_waitcnt vmcnt(57) lgkmcnt(0)
	v_mul_f64 v[127:128], v[5:6], v[39:40]
	v_mul_f64 v[39:40], v[7:8], v[39:40]
	s_waitcnt vmcnt(56)
	v_fma_f64 v[35:36], v[9:10], v[23:24], -v[35:36]
	ds_read_b128 v[1:4], v61 offset:1504
	v_fma_f64 v[23:24], v[11:12], v[23:24], v[29:30]
	v_add_f64 v[13:14], v[13:14], v[31:32]
	v_add_f64 v[15:16], v[15:16], v[27:28]
	s_clause 0x2
	buffer_load_dword v38, off, s[0:3], 0 offset:764
	buffer_load_dword v28, off, s[0:3], 0 offset:740
	;; [unrolled: 1-line block ×3, first 2 shown]
	ds_read_b128 v[9:12], v61 offset:1520
	s_waitcnt vmcnt(58) lgkmcnt(1)
	v_mul_f64 v[31:32], v[3:4], v[43:44]
	s_waitcnt vmcnt(56)
	v_fma_f64 v[39:40], v[5:6], v[45:46], -v[39:40]
	v_mul_f64 v[29:30], v[1:2], v[43:44]
	v_add_f64 v[13:14], v[13:14], v[35:36]
	v_fma_f64 v[35:36], v[7:8], v[45:46], v[127:128]
	v_add_f64 v[15:16], v[15:16], v[23:24]
	s_clause 0x4
	buffer_load_dword v24, off, s[0:3], 0 offset:780
	buffer_load_dword v43, off, s[0:3], 0 offset:792
	;; [unrolled: 1-line block ×5, first 2 shown]
	s_waitcnt vmcnt(57) lgkmcnt(0)
	v_mul_f64 v[127:128], v[9:10], v[47:48]
	v_mul_f64 v[46:47], v[11:12], v[47:48]
	s_waitcnt vmcnt(56)
	v_fma_f64 v[31:32], v[1:2], v[33:34], -v[31:32]
	ds_read_b128 v[5:8], v61 offset:1536
	v_fma_f64 v[29:30], v[3:4], v[33:34], v[29:30]
	s_clause 0x2
	buffer_load_dword v44, off, s[0:3], 0 offset:796
	buffer_load_dword v34, off, s[0:3], 0 offset:772
	;; [unrolled: 1-line block ×3, first 2 shown]
	ds_read_b128 v[1:4], v61 offset:1552
	v_add_f64 v[13:14], v[13:14], v[39:40]
	v_add_f64 v[15:16], v[15:16], v[35:36]
	s_waitcnt vmcnt(58) lgkmcnt(1)
	v_mul_f64 v[39:40], v[7:8], v[51:52]
	s_waitcnt vmcnt(56)
	v_fma_f64 v[47:48], v[9:10], v[53:54], -v[46:47]
	v_mul_f64 v[35:36], v[5:6], v[51:52]
	v_add_f64 v[13:14], v[13:14], v[31:32]
	v_fma_f64 v[31:32], v[11:12], v[53:54], v[127:128]
	v_add_f64 v[15:16], v[15:16], v[29:30]
	s_clause 0x4
	buffer_load_dword v30, off, s[0:3], 0 offset:812
	buffer_load_dword v51, off, s[0:3], 0 offset:824
	;; [unrolled: 1-line block ×5, first 2 shown]
	s_waitcnt vmcnt(57) lgkmcnt(0)
	v_mul_f64 v[127:128], v[1:2], v[55:56]
	v_mul_f64 v[54:55], v[3:4], v[55:56]
	s_waitcnt vmcnt(56)
	v_fma_f64 v[39:40], v[5:6], v[41:42], -v[39:40]
	ds_read_b128 v[9:12], v61 offset:1568
	v_fma_f64 v[35:36], v[7:8], v[41:42], v[35:36]
	v_add_f64 v[13:14], v[13:14], v[47:48]
	v_add_f64 v[15:16], v[15:16], v[31:32]
	s_clause 0x2
	buffer_load_dword v52, off, s[0:3], 0 offset:828
	buffer_load_dword v32, off, s[0:3], 0 offset:804
	;; [unrolled: 1-line block ×3, first 2 shown]
	ds_read_b128 v[5:8], v61 offset:1584
	s_waitcnt vmcnt(58) lgkmcnt(1)
	v_mul_f64 v[47:48], v[11:12], v[57:58]
	s_waitcnt vmcnt(56)
	v_fma_f64 v[55:56], v[1:2], v[59:60], -v[54:55]
	v_mul_f64 v[41:42], v[9:10], v[57:58]
	v_add_f64 v[13:14], v[13:14], v[39:40]
	v_fma_f64 v[39:40], v[3:4], v[59:60], v[127:128]
	v_add_f64 v[15:16], v[15:16], v[35:36]
	s_clause 0x4
	buffer_load_dword v36, off, s[0:3], 0 offset:844
	buffer_load_dword v57, off, s[0:3], 0 offset:856
	;; [unrolled: 1-line block ×5, first 2 shown]
	s_waitcnt vmcnt(57) lgkmcnt(0)
	v_mul_f64 v[127:128], v[5:6], v[78:79]
	v_mul_f64 v[78:79], v[7:8], v[78:79]
	s_waitcnt vmcnt(56)
	v_fma_f64 v[47:48], v[9:10], v[49:50], -v[47:48]
	ds_read_b128 v[1:4], v61 offset:1600
	v_fma_f64 v[41:42], v[11:12], v[49:50], v[41:42]
	v_add_f64 v[13:14], v[13:14], v[55:56]
	v_add_f64 v[15:16], v[15:16], v[39:40]
	s_clause 0x2
	buffer_load_dword v58, off, s[0:3], 0 offset:860
	buffer_load_dword v40, off, s[0:3], 0 offset:836
	buffer_load_dword v39, off, s[0:3], 0 offset:832
	ds_read_b128 v[9:12], v61 offset:1616
	s_waitcnt vmcnt(58) lgkmcnt(1)
	v_mul_f64 v[55:56], v[3:4], v[84:85]
	s_waitcnt vmcnt(56)
	v_fma_f64 v[78:79], v[5:6], v[93:94], -v[78:79]
	v_mul_f64 v[49:50], v[1:2], v[84:85]
	v_add_f64 v[13:14], v[13:14], v[47:48]
	v_fma_f64 v[47:48], v[7:8], v[93:94], v[127:128]
	v_add_f64 v[15:16], v[15:16], v[41:42]
	s_clause 0x4
	buffer_load_dword v42, off, s[0:3], 0 offset:876
	buffer_load_dword v84, off, s[0:3], 0 offset:888
	;; [unrolled: 1-line block ×5, first 2 shown]
	ds_read_b128 v[5:8], v61 offset:1632
	s_waitcnt vmcnt(57) lgkmcnt(1)
	v_mul_f64 v[127:128], v[9:10], v[72:73]
	v_mul_f64 v[72:73], v[11:12], v[72:73]
	s_waitcnt vmcnt(56)
	v_fma_f64 v[55:56], v[1:2], v[86:87], -v[55:56]
	v_fma_f64 v[49:50], v[3:4], v[86:87], v[49:50]
	v_add_f64 v[13:14], v[13:14], v[78:79]
	v_add_f64 v[15:16], v[15:16], v[47:48]
	s_clause 0x2
	buffer_load_dword v85, off, s[0:3], 0 offset:892
	buffer_load_dword v48, off, s[0:3], 0 offset:868
	buffer_load_dword v47, off, s[0:3], 0 offset:864
	ds_read_b128 v[1:4], v61 offset:1648
	s_waitcnt vmcnt(58) lgkmcnt(1)
	v_mul_f64 v[86:87], v[7:8], v[123:124]
	v_mul_f64 v[78:79], v[5:6], v[123:124]
	s_waitcnt vmcnt(56)
	v_fma_f64 v[72:73], v[9:10], v[66:67], -v[72:73]
	v_add_f64 v[13:14], v[13:14], v[55:56]
	v_fma_f64 v[55:56], v[11:12], v[66:67], v[127:128]
	v_add_f64 v[15:16], v[15:16], v[49:50]
	s_clause 0x4
	buffer_load_dword v50, off, s[0:3], 0 offset:908
	buffer_load_dword v66, off, s[0:3], 0 offset:920
	buffer_load_dword v123, off, s[0:3], 0 offset:912
	buffer_load_dword v49, off, s[0:3], 0 offset:904
	buffer_load_dword v94, off, s[0:3], 0 offset:884
	ds_read_b128 v[9:12], v61 offset:1664
	s_waitcnt vmcnt(57) lgkmcnt(1)
	v_mul_f64 v[127:128], v[1:2], v[25:26]
	v_mul_f64 v[25:26], v[3:4], v[25:26]
	s_waitcnt vmcnt(56)
	v_fma_f64 v[86:87], v[5:6], v[125:126], -v[86:87]
	v_add_f64 v[13:14], v[13:14], v[72:73]
	v_fma_f64 v[72:73], v[7:8], v[125:126], v[78:79]
	v_add_f64 v[15:16], v[15:16], v[55:56]
	s_clause 0x2
	buffer_load_dword v67, off, s[0:3], 0 offset:924
	buffer_load_dword v56, off, s[0:3], 0 offset:900
	buffer_load_dword v55, off, s[0:3], 0 offset:896
	ds_read_b128 v[5:8], v61 offset:1680
	s_waitcnt vmcnt(58) lgkmcnt(1)
	v_mul_f64 v[78:79], v[9:10], v[74:75]
	v_mul_f64 v[74:75], v[11:12], v[74:75]
	s_waitcnt vmcnt(56)
	v_fma_f64 v[25:26], v[1:2], v[19:20], -v[25:26]
	v_fma_f64 v[19:20], v[3:4], v[19:20], v[127:128]
	v_add_f64 v[13:14], v[13:14], v[86:87]
	v_add_f64 v[15:16], v[15:16], v[72:73]
	s_clause 0x4
	buffer_load_dword v73, off, s[0:3], 0 offset:940
	buffer_load_dword v86, off, s[0:3], 0 offset:952
	buffer_load_dword v125, off, s[0:3], 0 offset:944
	buffer_load_dword v72, off, s[0:3], 0 offset:936
	buffer_load_dword v124, off, s[0:3], 0 offset:916
	ds_read_b128 v[1:4], v61 offset:1696
	s_waitcnt vmcnt(57) lgkmcnt(1)
	v_mul_f64 v[126:127], v[5:6], v[62:63]
	v_mul_f64 v[62:63], v[7:8], v[62:63]
	s_waitcnt vmcnt(56)
	v_fma_f64 v[74:75], v[9:10], v[95:96], -v[74:75]
	v_add_f64 v[13:14], v[13:14], v[25:26]
	v_fma_f64 v[25:26], v[11:12], v[95:96], v[78:79]
	v_add_f64 v[15:16], v[15:16], v[19:20]
	s_clause 0x2
	buffer_load_dword v87, off, s[0:3], 0 offset:956
	buffer_load_dword v20, off, s[0:3], 0 offset:932
	buffer_load_dword v19, off, s[0:3], 0 offset:928
	ds_read_b128 v[9:12], v61 offset:1712
	s_waitcnt vmcnt(58) lgkmcnt(1)
	v_mul_f64 v[78:79], v[1:2], v[64:65]
	v_mul_f64 v[64:65], v[3:4], v[64:65]
	s_waitcnt vmcnt(56)
	v_fma_f64 v[62:63], v[5:6], v[21:22], -v[62:63]
	v_fma_f64 v[21:22], v[7:8], v[21:22], v[126:127]
	v_add_f64 v[13:14], v[13:14], v[74:75]
	;; [unrolled: 28-line block ×3, first 2 shown]
	v_add_f64 v[15:16], v[15:16], v[62:63]
	s_clause 0x2
	buffer_load_dword v63, off, s[0:3], 0 offset:1004
	buffer_load_dword v62, off, s[0:3], 0 offset:1000
	;; [unrolled: 1-line block ×3, first 2 shown]
	ds_read_b128 v[9:12], v61 offset:1760
	s_waitcnt vmcnt(55) lgkmcnt(1)
	v_mul_f64 v[64:65], v[1:2], v[23:24]
	v_mul_f64 v[23:24], v[3:4], v[23:24]
	s_waitcnt vmcnt(54)
	v_fma_f64 v[37:38], v[5:6], v[70:71], -v[37:38]
	v_add_f64 v[13:14], v[13:14], v[17:18]
	v_fma_f64 v[17:18], v[7:8], v[70:71], v[76:77]
	v_add_f64 v[15:16], v[15:16], v[27:28]
	s_clause 0x1
	buffer_load_dword v28, off, s[0:3], 0 offset:996
	buffer_load_dword v27, off, s[0:3], 0 offset:992
	s_waitcnt vmcnt(55) lgkmcnt(0)
	v_mul_f64 v[70:71], v[9:10], v[43:44]
	v_mul_f64 v[43:44], v[11:12], v[43:44]
	ds_read_b128 v[5:8], v61 offset:1776
	s_waitcnt vmcnt(53)
	v_fma_f64 v[23:24], v[1:2], v[33:34], -v[23:24]
	v_fma_f64 v[33:34], v[3:4], v[33:34], v[64:65]
	ds_read_b128 v[1:4], v61 offset:1792
	v_add_f64 v[13:14], v[13:14], v[37:38]
	v_add_f64 v[15:16], v[15:16], v[17:18]
	s_waitcnt vmcnt(49) lgkmcnt(1)
	v_mul_f64 v[17:18], v[5:6], v[29:30]
	v_mul_f64 v[29:30], v[7:8], v[29:30]
	s_waitcnt vmcnt(48)
	v_fma_f64 v[37:38], v[9:10], v[45:46], -v[43:44]
	v_add_f64 v[13:14], v[13:14], v[23:24]
	v_fma_f64 v[23:24], v[11:12], v[45:46], v[70:71]
	v_add_f64 v[15:16], v[15:16], v[33:34]
	s_clause 0x3
	buffer_load_dword v33, off, s[0:3], 0 offset:352
	buffer_load_dword v34, off, s[0:3], 0 offset:356
	buffer_load_dword v43, off, s[0:3], 0 offset:360
	buffer_load_dword v44, off, s[0:3], 0 offset:364
	ds_read_b128 v[9:12], v61 offset:1808
	s_waitcnt vmcnt(51) lgkmcnt(1)
	v_mul_f64 v[45:46], v[1:2], v[51:52]
	v_mul_f64 v[51:52], v[3:4], v[51:52]
	s_waitcnt vmcnt(49)
	v_fma_f64 v[29:30], v[5:6], v[31:32], -v[29:30]
	v_fma_f64 v[17:18], v[7:8], v[31:32], v[17:18]
	ds_read_b128 v[5:8], v61 offset:1824
	v_add_f64 v[13:14], v[13:14], v[37:38]
	v_add_f64 v[15:16], v[15:16], v[23:24]
	s_waitcnt vmcnt(45) lgkmcnt(1)
	v_mul_f64 v[23:24], v[9:10], v[35:36]
	v_mul_f64 v[31:32], v[11:12], v[35:36]
	s_waitcnt vmcnt(44)
	v_fma_f64 v[35:36], v[1:2], v[53:54], -v[51:52]
	v_add_f64 v[13:14], v[13:14], v[29:30]
	v_fma_f64 v[29:30], v[3:4], v[53:54], v[45:46]
	v_add_f64 v[15:16], v[15:16], v[17:18]
	ds_read_b128 v[1:4], v61 offset:1840
	s_waitcnt vmcnt(43) lgkmcnt(1)
	v_mul_f64 v[37:38], v[7:8], v[57:58]
	v_mul_f64 v[17:18], v[5:6], v[57:58]
	s_waitcnt vmcnt(41)
	v_fma_f64 v[31:32], v[9:10], v[39:40], -v[31:32]
	v_fma_f64 v[23:24], v[11:12], v[39:40], v[23:24]
	ds_read_b128 v[9:12], v61 offset:1856
	v_add_f64 v[13:14], v[13:14], v[35:36]
	v_add_f64 v[15:16], v[15:16], v[29:30]
	s_waitcnt vmcnt(37) lgkmcnt(1)
	v_mul_f64 v[35:36], v[3:4], v[41:42]
	s_waitcnt vmcnt(36)
	v_fma_f64 v[37:38], v[5:6], v[59:60], -v[37:38]
	v_mul_f64 v[29:30], v[1:2], v[41:42]
	v_fma_f64 v[17:18], v[7:8], v[59:60], v[17:18]
	ds_read_b128 v[5:8], v61 offset:1872
	v_add_f64 v[13:14], v[13:14], v[31:32]
	v_add_f64 v[15:16], v[15:16], v[23:24]
	s_waitcnt vmcnt(35) lgkmcnt(1)
	v_mul_f64 v[31:32], v[11:12], v[84:85]
	v_mul_f64 v[23:24], v[9:10], v[84:85]
	s_waitcnt vmcnt(33)
	v_fma_f64 v[35:36], v[1:2], v[47:48], -v[35:36]
	v_fma_f64 v[29:30], v[3:4], v[47:48], v[29:30]
	ds_read_b128 v[1:4], v61 offset:1888
	v_add_f64 v[13:14], v[13:14], v[37:38]
	v_add_f64 v[15:16], v[15:16], v[17:18]
	s_waitcnt vmcnt(29) lgkmcnt(1)
	v_mul_f64 v[37:38], v[7:8], v[49:50]
	s_waitcnt vmcnt(28)
	v_fma_f64 v[31:32], v[9:10], v[93:94], -v[31:32]
	v_mul_f64 v[17:18], v[5:6], v[49:50]
	v_fma_f64 v[23:24], v[11:12], v[93:94], v[23:24]
	ds_read_b128 v[9:12], v61 offset:1904
	v_add_f64 v[13:14], v[13:14], v[35:36]
	v_add_f64 v[15:16], v[15:16], v[29:30]
	;; [unrolled: 18-line block ×3, first 2 shown]
	s_waitcnt vmcnt(19) lgkmcnt(1)
	v_mul_f64 v[37:38], v[7:8], v[86:87]
	v_mul_f64 v[17:18], v[5:6], v[86:87]
	s_waitcnt vmcnt(17)
	v_fma_f64 v[31:32], v[9:10], v[19:20], -v[31:32]
	v_fma_f64 v[19:20], v[11:12], v[19:20], v[23:24]
	ds_read_b128 v[9:12], v61 offset:1952
	v_add_f64 v[13:14], v[13:14], v[35:36]
	v_add_f64 v[15:16], v[15:16], v[29:30]
	s_waitcnt vmcnt(13) lgkmcnt(1)
	v_mul_f64 v[23:24], v[1:2], v[25:26]
	v_mul_f64 v[25:26], v[3:4], v[25:26]
	s_waitcnt vmcnt(12)
	v_fma_f64 v[29:30], v[5:6], v[125:126], -v[37:38]
	v_fma_f64 v[17:18], v[7:8], v[125:126], v[17:18]
	ds_read_b128 v[5:8], v61 offset:1968
	v_add_f64 v[13:14], v[13:14], v[31:32]
	v_add_f64 v[15:16], v[15:16], v[19:20]
	s_waitcnt vmcnt(11) lgkmcnt(1)
	v_mul_f64 v[31:32], v[11:12], v[74:75]
	v_mul_f64 v[19:20], v[9:10], v[74:75]
	s_waitcnt vmcnt(9)
	v_fma_f64 v[1:2], v[1:2], v[21:22], -v[25:26]
	v_fma_f64 v[3:4], v[3:4], v[21:22], v[23:24]
	v_add_f64 v[13:14], v[13:14], v[29:30]
	v_add_f64 v[15:16], v[15:16], v[17:18]
	s_waitcnt vmcnt(7) lgkmcnt(0)
	v_mul_f64 v[21:22], v[7:8], v[62:63]
	s_waitcnt vmcnt(6)
	v_fma_f64 v[9:10], v[9:10], v[95:96], -v[31:32]
	v_mul_f64 v[17:18], v[5:6], v[62:63]
	v_fma_f64 v[11:12], v[11:12], v[95:96], v[19:20]
	v_add_f64 v[1:2], v[13:14], v[1:2]
	v_add_f64 v[3:4], v[15:16], v[3:4]
	s_waitcnt vmcnt(4)
	v_fma_f64 v[5:6], v[5:6], v[27:28], -v[21:22]
	v_fma_f64 v[7:8], v[7:8], v[27:28], v[17:18]
	v_add_f64 v[1:2], v[1:2], v[9:10]
	v_add_f64 v[3:4], v[3:4], v[11:12]
	;; [unrolled: 1-line block ×4, first 2 shown]
	s_waitcnt vmcnt(2)
	v_add_f64 v[1:2], v[33:34], -v[1:2]
	s_waitcnt vmcnt(0)
	v_add_f64 v[3:4], v[43:44], -v[3:4]
	buffer_store_dword v2, off, s[0:3], 0 offset:356
	buffer_store_dword v1, off, s[0:3], 0 offset:352
	;; [unrolled: 1-line block ×4, first 2 shown]
	v_cmpx_lt_u32_e32 20, v0
	s_cbranch_execz .LBB61_357
; %bb.356:
	v_mov_b32_e32 v4, s56
	v_mov_b32_e32 v5, 0
	s_clause 0x3
	buffer_load_dword v1, v4, s[0:3], 0 offen
	buffer_load_dword v2, v4, s[0:3], 0 offen offset:4
	buffer_load_dword v3, v4, s[0:3], 0 offen offset:8
	;; [unrolled: 1-line block ×3, first 2 shown]
	buffer_store_dword v5, off, s[0:3], 0 offset:336
	buffer_store_dword v5, off, s[0:3], 0 offset:340
	;; [unrolled: 1-line block ×4, first 2 shown]
	s_waitcnt vmcnt(0)
	ds_write_b128 v69, v[1:4]
.LBB61_357:
	s_or_b32 exec_lo, exec_lo, s4
	s_waitcnt lgkmcnt(0)
	s_waitcnt_vscnt null, 0x0
	s_barrier
	buffer_gl0_inv
	s_clause 0x37
	buffer_load_dword v9, off, s[0:3], 0 offset:360
	buffer_load_dword v10, off, s[0:3], 0 offset:364
	;; [unrolled: 1-line block ×56, first 2 shown]
	v_mov_b32_e32 v61, 0
	s_mov_b32 s4, exec_lo
	ds_read_b128 v[62:65], v61 offset:1328
	s_clause 0x2
	buffer_load_dword v58, off, s[0:3], 0 offset:588
	buffer_load_dword v60, off, s[0:3], 0 offset:564
	;; [unrolled: 1-line block ×3, first 2 shown]
	ds_read_b128 v[70:73], v61 offset:1344
	s_clause 0x4
	buffer_load_dword v79, off, s[0:3], 0 offset:604
	buffer_load_dword v84, off, s[0:3], 0 offset:616
	;; [unrolled: 1-line block ×5, first 2 shown]
	ds_read_b128 v[74:77], v61 offset:1360
	s_clause 0x2
	buffer_load_dword v85, off, s[0:3], 0 offset:620
	buffer_load_dword v94, off, s[0:3], 0 offset:596
	;; [unrolled: 1-line block ×3, first 2 shown]
	s_waitcnt vmcnt(62) lgkmcnt(2)
	v_mul_f64 v[66:67], v[64:65], v[9:10]
	v_mul_f64 v[9:10], v[62:63], v[9:10]
	s_waitcnt lgkmcnt(1)
	v_mul_f64 v[87:88], v[72:73], v[5:6]
	s_waitcnt vmcnt(59) lgkmcnt(0)
	v_mul_f64 v[95:96], v[76:77], v[3:4]
	v_fma_f64 v[62:63], v[62:63], v[7:8], -v[66:67]
	v_mul_f64 v[66:67], v[70:71], v[5:6]
	v_fma_f64 v[9:10], v[64:65], v[7:8], v[9:10]
	s_waitcnt vmcnt(57)
	v_fma_f64 v[70:71], v[70:71], v[1:2], -v[87:88]
	ds_read_b128 v[5:8], v61 offset:1376
	v_mul_f64 v[64:65], v[74:75], v[3:4]
	s_waitcnt vmcnt(51)
	v_fma_f64 v[74:75], v[74:75], v[25:26], -v[95:96]
	v_add_f64 v[62:63], v[62:63], 0
	v_fma_f64 v[66:67], v[72:73], v[1:2], v[66:67]
	v_add_f64 v[9:10], v[9:10], 0
	s_clause 0x4
	buffer_load_dword v73, off, s[0:3], 0 offset:636
	buffer_load_dword v123, off, s[0:3], 0 offset:648
	;; [unrolled: 1-line block ×5, first 2 shown]
	s_waitcnt lgkmcnt(0)
	v_mul_f64 v[126:127], v[5:6], v[13:14]
	v_mul_f64 v[13:14], v[7:8], v[13:14]
	ds_read_b128 v[1:4], v61 offset:1392
	v_fma_f64 v[25:26], v[76:77], v[25:26], v[64:65]
	v_add_f64 v[70:71], v[62:63], v[70:71]
	v_add_f64 v[9:10], v[9:10], v[66:67]
	s_clause 0x2
	buffer_load_dword v124, off, s[0:3], 0 offset:652
	buffer_load_dword v67, off, s[0:3], 0 offset:628
	;; [unrolled: 1-line block ×3, first 2 shown]
	s_waitcnt vmcnt(58) lgkmcnt(0)
	v_mul_f64 v[76:77], v[1:2], v[17:18]
	v_mul_f64 v[17:18], v[3:4], v[17:18]
	s_waitcnt vmcnt(56)
	v_fma_f64 v[13:14], v[5:6], v[19:20], -v[13:14]
	ds_read_b128 v[62:65], v61 offset:1408
	v_fma_f64 v[19:20], v[7:8], v[19:20], v[126:127]
	v_add_f64 v[70:71], v[70:71], v[74:75]
	v_add_f64 v[9:10], v[9:10], v[25:26]
	s_clause 0x4
	buffer_load_dword v26, off, s[0:3], 0 offset:668
	buffer_load_dword v74, off, s[0:3], 0 offset:680
	;; [unrolled: 1-line block ×5, first 2 shown]
	ds_read_b128 v[5:8], v61 offset:1424
	s_waitcnt vmcnt(57) lgkmcnt(1)
	v_mul_f64 v[127:128], v[62:63], v[21:22]
	v_mul_f64 v[21:22], v[64:65], v[21:22]
	s_waitcnt vmcnt(56)
	v_fma_f64 v[17:18], v[1:2], v[11:12], -v[17:18]
	v_fma_f64 v[11:12], v[3:4], v[11:12], v[76:77]
	v_add_f64 v[13:14], v[70:71], v[13:14]
	v_add_f64 v[9:10], v[9:10], v[19:20]
	s_clause 0x2
	buffer_load_dword v75, off, s[0:3], 0 offset:684
	buffer_load_dword v20, off, s[0:3], 0 offset:660
	;; [unrolled: 1-line block ×3, first 2 shown]
	s_waitcnt vmcnt(58) lgkmcnt(0)
	v_mul_f64 v[70:71], v[5:6], v[27:28]
	v_mul_f64 v[27:28], v[7:8], v[27:28]
	s_waitcnt vmcnt(56)
	v_fma_f64 v[21:22], v[62:63], v[29:30], -v[21:22]
	ds_read_b128 v[1:4], v61 offset:1440
	v_add_f64 v[13:14], v[13:14], v[17:18]
	v_fma_f64 v[17:18], v[64:65], v[29:30], v[127:128]
	v_add_f64 v[29:30], v[9:10], v[11:12]
	s_clause 0x4
	buffer_load_dword v63, off, s[0:3], 0 offset:700
	buffer_load_dword v64, off, s[0:3], 0 offset:712
	;; [unrolled: 1-line block ×5, first 2 shown]
	ds_read_b128 v[9:12], v61 offset:1456
	s_waitcnt vmcnt(57) lgkmcnt(1)
	v_mul_f64 v[127:128], v[1:2], v[31:32]
	v_mul_f64 v[31:32], v[3:4], v[31:32]
	s_waitcnt vmcnt(56)
	v_fma_f64 v[27:28], v[5:6], v[15:16], -v[27:28]
	v_fma_f64 v[15:16], v[7:8], v[15:16], v[70:71]
	v_add_f64 v[13:14], v[13:14], v[21:22]
	s_clause 0x2
	buffer_load_dword v65, off, s[0:3], 0 offset:716
	buffer_load_dword v22, off, s[0:3], 0 offset:692
	;; [unrolled: 1-line block ×3, first 2 shown]
	v_add_f64 v[17:18], v[29:30], v[17:18]
	s_waitcnt vmcnt(58) lgkmcnt(0)
	v_mul_f64 v[29:30], v[9:10], v[35:36]
	v_mul_f64 v[35:36], v[11:12], v[35:36]
	ds_read_b128 v[5:8], v61 offset:1472
	s_waitcnt vmcnt(56)
	v_fma_f64 v[31:32], v[1:2], v[37:38], -v[31:32]
	v_add_f64 v[13:14], v[13:14], v[27:28]
	v_fma_f64 v[27:28], v[3:4], v[37:38], v[127:128]
	v_add_f64 v[15:16], v[17:18], v[15:16]
	s_clause 0x4
	buffer_load_dword v18, off, s[0:3], 0 offset:732
	buffer_load_dword v37, off, s[0:3], 0 offset:744
	;; [unrolled: 1-line block ×5, first 2 shown]
	s_waitcnt vmcnt(57) lgkmcnt(0)
	v_mul_f64 v[127:128], v[5:6], v[39:40]
	v_mul_f64 v[39:40], v[7:8], v[39:40]
	s_waitcnt vmcnt(56)
	v_fma_f64 v[35:36], v[9:10], v[23:24], -v[35:36]
	ds_read_b128 v[1:4], v61 offset:1488
	v_fma_f64 v[23:24], v[11:12], v[23:24], v[29:30]
	v_add_f64 v[13:14], v[13:14], v[31:32]
	v_add_f64 v[15:16], v[15:16], v[27:28]
	s_clause 0x2
	buffer_load_dword v38, off, s[0:3], 0 offset:748
	buffer_load_dword v28, off, s[0:3], 0 offset:724
	buffer_load_dword v27, off, s[0:3], 0 offset:720
	ds_read_b128 v[9:12], v61 offset:1504
	s_waitcnt vmcnt(58) lgkmcnt(1)
	v_mul_f64 v[31:32], v[3:4], v[43:44]
	s_waitcnt vmcnt(56)
	v_fma_f64 v[39:40], v[5:6], v[45:46], -v[39:40]
	v_mul_f64 v[29:30], v[1:2], v[43:44]
	v_add_f64 v[13:14], v[13:14], v[35:36]
	v_fma_f64 v[35:36], v[7:8], v[45:46], v[127:128]
	v_add_f64 v[15:16], v[15:16], v[23:24]
	s_clause 0x4
	buffer_load_dword v24, off, s[0:3], 0 offset:764
	buffer_load_dword v43, off, s[0:3], 0 offset:776
	;; [unrolled: 1-line block ×5, first 2 shown]
	s_waitcnt vmcnt(57) lgkmcnt(0)
	v_mul_f64 v[127:128], v[9:10], v[47:48]
	v_mul_f64 v[46:47], v[11:12], v[47:48]
	s_waitcnt vmcnt(56)
	v_fma_f64 v[31:32], v[1:2], v[33:34], -v[31:32]
	ds_read_b128 v[5:8], v61 offset:1520
	v_fma_f64 v[29:30], v[3:4], v[33:34], v[29:30]
	s_clause 0x2
	buffer_load_dword v44, off, s[0:3], 0 offset:780
	buffer_load_dword v34, off, s[0:3], 0 offset:756
	;; [unrolled: 1-line block ×3, first 2 shown]
	ds_read_b128 v[1:4], v61 offset:1536
	v_add_f64 v[13:14], v[13:14], v[39:40]
	v_add_f64 v[15:16], v[15:16], v[35:36]
	s_waitcnt vmcnt(58) lgkmcnt(1)
	v_mul_f64 v[39:40], v[7:8], v[51:52]
	s_waitcnt vmcnt(56)
	v_fma_f64 v[47:48], v[9:10], v[53:54], -v[46:47]
	v_mul_f64 v[35:36], v[5:6], v[51:52]
	v_add_f64 v[13:14], v[13:14], v[31:32]
	v_fma_f64 v[31:32], v[11:12], v[53:54], v[127:128]
	v_add_f64 v[15:16], v[15:16], v[29:30]
	s_clause 0x4
	buffer_load_dword v30, off, s[0:3], 0 offset:796
	buffer_load_dword v51, off, s[0:3], 0 offset:808
	;; [unrolled: 1-line block ×5, first 2 shown]
	s_waitcnt vmcnt(57) lgkmcnt(0)
	v_mul_f64 v[127:128], v[1:2], v[55:56]
	v_mul_f64 v[54:55], v[3:4], v[55:56]
	s_waitcnt vmcnt(56)
	v_fma_f64 v[39:40], v[5:6], v[41:42], -v[39:40]
	ds_read_b128 v[9:12], v61 offset:1552
	v_fma_f64 v[35:36], v[7:8], v[41:42], v[35:36]
	v_add_f64 v[13:14], v[13:14], v[47:48]
	v_add_f64 v[15:16], v[15:16], v[31:32]
	s_clause 0x2
	buffer_load_dword v52, off, s[0:3], 0 offset:812
	buffer_load_dword v32, off, s[0:3], 0 offset:788
	;; [unrolled: 1-line block ×3, first 2 shown]
	ds_read_b128 v[5:8], v61 offset:1568
	s_waitcnt vmcnt(58) lgkmcnt(1)
	v_mul_f64 v[47:48], v[11:12], v[57:58]
	s_waitcnt vmcnt(56)
	v_fma_f64 v[55:56], v[1:2], v[59:60], -v[54:55]
	v_mul_f64 v[41:42], v[9:10], v[57:58]
	v_add_f64 v[13:14], v[13:14], v[39:40]
	v_fma_f64 v[39:40], v[3:4], v[59:60], v[127:128]
	v_add_f64 v[15:16], v[15:16], v[35:36]
	s_clause 0x4
	buffer_load_dword v36, off, s[0:3], 0 offset:828
	buffer_load_dword v57, off, s[0:3], 0 offset:840
	;; [unrolled: 1-line block ×5, first 2 shown]
	s_waitcnt vmcnt(57) lgkmcnt(0)
	v_mul_f64 v[127:128], v[5:6], v[78:79]
	v_mul_f64 v[78:79], v[7:8], v[78:79]
	s_waitcnt vmcnt(56)
	v_fma_f64 v[47:48], v[9:10], v[49:50], -v[47:48]
	ds_read_b128 v[1:4], v61 offset:1584
	v_fma_f64 v[41:42], v[11:12], v[49:50], v[41:42]
	v_add_f64 v[13:14], v[13:14], v[55:56]
	v_add_f64 v[15:16], v[15:16], v[39:40]
	s_clause 0x2
	buffer_load_dword v58, off, s[0:3], 0 offset:844
	buffer_load_dword v40, off, s[0:3], 0 offset:820
	;; [unrolled: 1-line block ×3, first 2 shown]
	ds_read_b128 v[9:12], v61 offset:1600
	s_waitcnt vmcnt(58) lgkmcnt(1)
	v_mul_f64 v[55:56], v[3:4], v[84:85]
	s_waitcnt vmcnt(56)
	v_fma_f64 v[78:79], v[5:6], v[93:94], -v[78:79]
	v_mul_f64 v[49:50], v[1:2], v[84:85]
	v_add_f64 v[13:14], v[13:14], v[47:48]
	v_fma_f64 v[47:48], v[7:8], v[93:94], v[127:128]
	v_add_f64 v[15:16], v[15:16], v[41:42]
	s_clause 0x4
	buffer_load_dword v42, off, s[0:3], 0 offset:860
	buffer_load_dword v84, off, s[0:3], 0 offset:872
	;; [unrolled: 1-line block ×5, first 2 shown]
	ds_read_b128 v[5:8], v61 offset:1616
	s_waitcnt vmcnt(57) lgkmcnt(1)
	v_mul_f64 v[127:128], v[9:10], v[72:73]
	v_mul_f64 v[72:73], v[11:12], v[72:73]
	s_waitcnt vmcnt(56)
	v_fma_f64 v[55:56], v[1:2], v[86:87], -v[55:56]
	v_fma_f64 v[49:50], v[3:4], v[86:87], v[49:50]
	v_add_f64 v[13:14], v[13:14], v[78:79]
	v_add_f64 v[15:16], v[15:16], v[47:48]
	s_clause 0x2
	buffer_load_dword v85, off, s[0:3], 0 offset:876
	buffer_load_dword v48, off, s[0:3], 0 offset:852
	;; [unrolled: 1-line block ×3, first 2 shown]
	ds_read_b128 v[1:4], v61 offset:1632
	s_waitcnt vmcnt(58) lgkmcnt(1)
	v_mul_f64 v[86:87], v[7:8], v[123:124]
	v_mul_f64 v[78:79], v[5:6], v[123:124]
	s_waitcnt vmcnt(56)
	v_fma_f64 v[72:73], v[9:10], v[66:67], -v[72:73]
	v_add_f64 v[13:14], v[13:14], v[55:56]
	v_fma_f64 v[55:56], v[11:12], v[66:67], v[127:128]
	v_add_f64 v[15:16], v[15:16], v[49:50]
	s_clause 0x4
	buffer_load_dword v50, off, s[0:3], 0 offset:892
	buffer_load_dword v66, off, s[0:3], 0 offset:904
	buffer_load_dword v123, off, s[0:3], 0 offset:896
	buffer_load_dword v49, off, s[0:3], 0 offset:888
	buffer_load_dword v94, off, s[0:3], 0 offset:868
	ds_read_b128 v[9:12], v61 offset:1648
	s_waitcnt vmcnt(57) lgkmcnt(1)
	v_mul_f64 v[127:128], v[1:2], v[25:26]
	v_mul_f64 v[25:26], v[3:4], v[25:26]
	s_waitcnt vmcnt(56)
	v_fma_f64 v[86:87], v[5:6], v[125:126], -v[86:87]
	v_add_f64 v[13:14], v[13:14], v[72:73]
	v_fma_f64 v[72:73], v[7:8], v[125:126], v[78:79]
	v_add_f64 v[15:16], v[15:16], v[55:56]
	s_clause 0x2
	buffer_load_dword v67, off, s[0:3], 0 offset:908
	buffer_load_dword v56, off, s[0:3], 0 offset:884
	buffer_load_dword v55, off, s[0:3], 0 offset:880
	ds_read_b128 v[5:8], v61 offset:1664
	s_waitcnt vmcnt(58) lgkmcnt(1)
	v_mul_f64 v[78:79], v[9:10], v[74:75]
	v_mul_f64 v[74:75], v[11:12], v[74:75]
	s_waitcnt vmcnt(56)
	v_fma_f64 v[25:26], v[1:2], v[19:20], -v[25:26]
	v_fma_f64 v[19:20], v[3:4], v[19:20], v[127:128]
	v_add_f64 v[13:14], v[13:14], v[86:87]
	v_add_f64 v[15:16], v[15:16], v[72:73]
	s_clause 0x4
	buffer_load_dword v73, off, s[0:3], 0 offset:924
	buffer_load_dword v86, off, s[0:3], 0 offset:936
	buffer_load_dword v125, off, s[0:3], 0 offset:928
	buffer_load_dword v72, off, s[0:3], 0 offset:920
	buffer_load_dword v124, off, s[0:3], 0 offset:900
	ds_read_b128 v[1:4], v61 offset:1680
	s_waitcnt vmcnt(57) lgkmcnt(1)
	v_mul_f64 v[126:127], v[5:6], v[62:63]
	v_mul_f64 v[62:63], v[7:8], v[62:63]
	s_waitcnt vmcnt(56)
	v_fma_f64 v[74:75], v[9:10], v[95:96], -v[74:75]
	v_add_f64 v[13:14], v[13:14], v[25:26]
	v_fma_f64 v[25:26], v[11:12], v[95:96], v[78:79]
	v_add_f64 v[15:16], v[15:16], v[19:20]
	s_clause 0x2
	buffer_load_dword v87, off, s[0:3], 0 offset:940
	buffer_load_dword v20, off, s[0:3], 0 offset:916
	buffer_load_dword v19, off, s[0:3], 0 offset:912
	ds_read_b128 v[9:12], v61 offset:1696
	s_waitcnt vmcnt(58) lgkmcnt(1)
	v_mul_f64 v[78:79], v[1:2], v[64:65]
	v_mul_f64 v[64:65], v[3:4], v[64:65]
	s_waitcnt vmcnt(56)
	v_fma_f64 v[62:63], v[5:6], v[21:22], -v[62:63]
	v_fma_f64 v[21:22], v[7:8], v[21:22], v[126:127]
	v_add_f64 v[13:14], v[13:14], v[74:75]
	;; [unrolled: 28-line block ×3, first 2 shown]
	v_add_f64 v[15:16], v[15:16], v[62:63]
	s_clause 0x4
	buffer_load_dword v63, off, s[0:3], 0 offset:988
	buffer_load_dword v64, off, s[0:3], 0 offset:1000
	buffer_load_dword v78, off, s[0:3], 0 offset:992
	buffer_load_dword v62, off, s[0:3], 0 offset:984
	buffer_load_dword v96, off, s[0:3], 0 offset:964
	ds_read_b128 v[9:12], v61 offset:1744
	s_waitcnt vmcnt(57) lgkmcnt(1)
	v_mul_f64 v[127:128], v[1:2], v[23:24]
	v_mul_f64 v[23:24], v[3:4], v[23:24]
	s_waitcnt vmcnt(56)
	v_fma_f64 v[37:38], v[5:6], v[70:71], -v[37:38]
	v_add_f64 v[13:14], v[13:14], v[17:18]
	v_fma_f64 v[17:18], v[7:8], v[70:71], v[76:77]
	v_add_f64 v[15:16], v[15:16], v[27:28]
	s_clause 0x2
	buffer_load_dword v65, off, s[0:3], 0 offset:1004
	buffer_load_dword v28, off, s[0:3], 0 offset:980
	;; [unrolled: 1-line block ×3, first 2 shown]
	s_waitcnt vmcnt(58) lgkmcnt(0)
	v_mul_f64 v[70:71], v[9:10], v[43:44]
	v_mul_f64 v[43:44], v[11:12], v[43:44]
	ds_read_b128 v[5:8], v61 offset:1760
	buffer_load_dword v79, off, s[0:3], 0 offset:996
	s_waitcnt vmcnt(57)
	v_fma_f64 v[23:24], v[1:2], v[33:34], -v[23:24]
	v_fma_f64 v[33:34], v[3:4], v[33:34], v[127:128]
	ds_read_b128 v[1:4], v61 offset:1776
	v_add_f64 v[13:14], v[13:14], v[37:38]
	v_add_f64 v[15:16], v[15:16], v[17:18]
	s_waitcnt vmcnt(53) lgkmcnt(1)
	v_mul_f64 v[17:18], v[5:6], v[29:30]
	v_mul_f64 v[29:30], v[7:8], v[29:30]
	s_waitcnt vmcnt(52)
	v_fma_f64 v[37:38], v[9:10], v[45:46], -v[43:44]
	v_add_f64 v[13:14], v[13:14], v[23:24]
	v_fma_f64 v[23:24], v[11:12], v[45:46], v[70:71]
	v_add_f64 v[15:16], v[15:16], v[33:34]
	ds_read_b128 v[9:12], v61 offset:1792
	s_waitcnt vmcnt(51) lgkmcnt(1)
	v_mul_f64 v[43:44], v[3:4], v[51:52]
	v_mul_f64 v[33:34], v[1:2], v[51:52]
	s_waitcnt vmcnt(49)
	v_fma_f64 v[29:30], v[5:6], v[31:32], -v[29:30]
	v_fma_f64 v[17:18], v[7:8], v[31:32], v[17:18]
	v_add_f64 v[13:14], v[13:14], v[37:38]
	v_add_f64 v[15:16], v[15:16], v[23:24]
	s_clause 0x3
	buffer_load_dword v23, off, s[0:3], 0 offset:336
	buffer_load_dword v24, off, s[0:3], 0 offset:340
	buffer_load_dword v31, off, s[0:3], 0 offset:344
	buffer_load_dword v32, off, s[0:3], 0 offset:348
	ds_read_b128 v[5:8], v61 offset:1808
	s_waitcnt vmcnt(49) lgkmcnt(1)
	v_mul_f64 v[37:38], v[9:10], v[35:36]
	v_mul_f64 v[35:36], v[11:12], v[35:36]
	s_waitcnt vmcnt(48)
	v_fma_f64 v[43:44], v[1:2], v[53:54], -v[43:44]
	v_add_f64 v[13:14], v[13:14], v[29:30]
	v_fma_f64 v[29:30], v[3:4], v[53:54], v[33:34]
	v_add_f64 v[15:16], v[15:16], v[17:18]
	ds_read_b128 v[1:4], v61 offset:1824
	s_waitcnt vmcnt(47) lgkmcnt(1)
	v_mul_f64 v[33:34], v[7:8], v[57:58]
	v_mul_f64 v[17:18], v[5:6], v[57:58]
	s_waitcnt vmcnt(45)
	v_fma_f64 v[35:36], v[9:10], v[39:40], -v[35:36]
	v_fma_f64 v[37:38], v[11:12], v[39:40], v[37:38]
	ds_read_b128 v[9:12], v61 offset:1840
	v_add_f64 v[13:14], v[13:14], v[43:44]
	v_add_f64 v[15:16], v[15:16], v[29:30]
	s_waitcnt vmcnt(41) lgkmcnt(1)
	v_mul_f64 v[39:40], v[3:4], v[41:42]
	s_waitcnt vmcnt(40)
	v_fma_f64 v[33:34], v[5:6], v[59:60], -v[33:34]
	v_mul_f64 v[29:30], v[1:2], v[41:42]
	v_fma_f64 v[17:18], v[7:8], v[59:60], v[17:18]
	ds_read_b128 v[5:8], v61 offset:1856
	v_add_f64 v[13:14], v[13:14], v[35:36]
	v_add_f64 v[15:16], v[15:16], v[37:38]
	s_waitcnt vmcnt(39) lgkmcnt(1)
	v_mul_f64 v[37:38], v[11:12], v[84:85]
	v_mul_f64 v[35:36], v[9:10], v[84:85]
	s_waitcnt vmcnt(37)
	v_fma_f64 v[39:40], v[1:2], v[47:48], -v[39:40]
	v_fma_f64 v[29:30], v[3:4], v[47:48], v[29:30]
	ds_read_b128 v[1:4], v61 offset:1872
	v_add_f64 v[13:14], v[13:14], v[33:34]
	v_add_f64 v[15:16], v[15:16], v[17:18]
	s_waitcnt vmcnt(33) lgkmcnt(1)
	v_mul_f64 v[33:34], v[7:8], v[49:50]
	s_waitcnt vmcnt(32)
	v_fma_f64 v[37:38], v[9:10], v[93:94], -v[37:38]
	v_mul_f64 v[17:18], v[5:6], v[49:50]
	v_fma_f64 v[35:36], v[11:12], v[93:94], v[35:36]
	ds_read_b128 v[9:12], v61 offset:1888
	v_add_f64 v[13:14], v[13:14], v[39:40]
	v_add_f64 v[15:16], v[15:16], v[29:30]
	;; [unrolled: 18-line block ×3, first 2 shown]
	s_waitcnt vmcnt(23) lgkmcnt(1)
	v_mul_f64 v[33:34], v[7:8], v[86:87]
	v_mul_f64 v[17:18], v[5:6], v[86:87]
	s_waitcnt vmcnt(21)
	v_fma_f64 v[37:38], v[9:10], v[19:20], -v[37:38]
	v_fma_f64 v[19:20], v[11:12], v[19:20], v[35:36]
	ds_read_b128 v[9:12], v61 offset:1936
	v_add_f64 v[13:14], v[13:14], v[39:40]
	v_add_f64 v[15:16], v[15:16], v[29:30]
	s_waitcnt vmcnt(17) lgkmcnt(1)
	v_mul_f64 v[29:30], v[1:2], v[25:26]
	v_mul_f64 v[25:26], v[3:4], v[25:26]
	s_waitcnt vmcnt(16)
	v_fma_f64 v[33:34], v[5:6], v[125:126], -v[33:34]
	v_fma_f64 v[17:18], v[7:8], v[125:126], v[17:18]
	ds_read_b128 v[5:8], v61 offset:1952
	v_add_f64 v[13:14], v[13:14], v[37:38]
	v_add_f64 v[15:16], v[15:16], v[19:20]
	;; [unrolled: 9-line block ×3, first 2 shown]
	s_waitcnt vmcnt(9) lgkmcnt(1)
	v_mul_f64 v[29:30], v[7:8], v[62:63]
	s_waitcnt vmcnt(8)
	v_fma_f64 v[9:10], v[9:10], v[95:96], -v[35:36]
	v_mul_f64 v[17:18], v[5:6], v[62:63]
	v_fma_f64 v[11:12], v[11:12], v[95:96], v[19:20]
	v_add_f64 v[13:14], v[13:14], v[25:26]
	v_add_f64 v[15:16], v[15:16], v[21:22]
	s_waitcnt vmcnt(7) lgkmcnt(0)
	v_mul_f64 v[21:22], v[3:4], v[64:65]
	v_mul_f64 v[19:20], v[1:2], v[64:65]
	s_waitcnt vmcnt(5)
	v_fma_f64 v[5:6], v[5:6], v[27:28], -v[29:30]
	v_fma_f64 v[7:8], v[7:8], v[27:28], v[17:18]
	v_add_f64 v[9:10], v[13:14], v[9:10]
	v_add_f64 v[11:12], v[15:16], v[11:12]
	s_waitcnt vmcnt(4)
	v_fma_f64 v[1:2], v[1:2], v[78:79], -v[21:22]
	v_fma_f64 v[3:4], v[3:4], v[78:79], v[19:20]
	v_add_f64 v[5:6], v[9:10], v[5:6]
	v_add_f64 v[7:8], v[11:12], v[7:8]
	v_add_f64 v[1:2], v[5:6], v[1:2]
	v_add_f64 v[3:4], v[7:8], v[3:4]
	s_waitcnt vmcnt(2)
	v_add_f64 v[1:2], v[23:24], -v[1:2]
	s_waitcnt vmcnt(0)
	v_add_f64 v[3:4], v[31:32], -v[3:4]
	buffer_store_dword v2, off, s[0:3], 0 offset:340
	buffer_store_dword v1, off, s[0:3], 0 offset:336
	;; [unrolled: 1-line block ×4, first 2 shown]
	v_cmpx_lt_u32_e32 19, v0
	s_cbranch_execz .LBB61_359
; %bb.358:
	v_mov_b32_e32 v4, s57
	s_clause 0x3
	buffer_load_dword v1, v4, s[0:3], 0 offen
	buffer_load_dword v2, v4, s[0:3], 0 offen offset:4
	buffer_load_dword v3, v4, s[0:3], 0 offen offset:8
	;; [unrolled: 1-line block ×3, first 2 shown]
	buffer_store_dword v61, off, s[0:3], 0 offset:320
	buffer_store_dword v61, off, s[0:3], 0 offset:324
	;; [unrolled: 1-line block ×4, first 2 shown]
	s_waitcnt vmcnt(0)
	ds_write_b128 v69, v[1:4]
.LBB61_359:
	s_or_b32 exec_lo, exec_lo, s4
	s_waitcnt lgkmcnt(0)
	s_waitcnt_vscnt null, 0x0
	s_barrier
	buffer_gl0_inv
	s_clause 0x37
	buffer_load_dword v9, off, s[0:3], 0 offset:344
	buffer_load_dword v10, off, s[0:3], 0 offset:348
	;; [unrolled: 1-line block ×56, first 2 shown]
	ds_read_b128 v[62:65], v61 offset:1312
	s_clause 0x2
	buffer_load_dword v58, off, s[0:3], 0 offset:572
	buffer_load_dword v60, off, s[0:3], 0 offset:548
	;; [unrolled: 1-line block ×3, first 2 shown]
	ds_read_b128 v[70:73], v61 offset:1328
	s_clause 0x4
	buffer_load_dword v79, off, s[0:3], 0 offset:588
	buffer_load_dword v84, off, s[0:3], 0 offset:600
	;; [unrolled: 1-line block ×5, first 2 shown]
	ds_read_b128 v[74:77], v61 offset:1344
	s_clause 0x2
	buffer_load_dword v85, off, s[0:3], 0 offset:604
	buffer_load_dword v94, off, s[0:3], 0 offset:580
	;; [unrolled: 1-line block ×3, first 2 shown]
	s_mov_b32 s4, exec_lo
	s_waitcnt vmcnt(62) lgkmcnt(2)
	v_mul_f64 v[66:67], v[64:65], v[9:10]
	v_mul_f64 v[9:10], v[62:63], v[9:10]
	s_waitcnt lgkmcnt(1)
	v_mul_f64 v[87:88], v[72:73], v[5:6]
	s_waitcnt vmcnt(59) lgkmcnt(0)
	v_mul_f64 v[95:96], v[76:77], v[3:4]
	v_fma_f64 v[62:63], v[62:63], v[7:8], -v[66:67]
	v_mul_f64 v[66:67], v[70:71], v[5:6]
	v_fma_f64 v[9:10], v[64:65], v[7:8], v[9:10]
	s_waitcnt vmcnt(57)
	v_fma_f64 v[70:71], v[70:71], v[1:2], -v[87:88]
	ds_read_b128 v[5:8], v61 offset:1360
	v_mul_f64 v[64:65], v[74:75], v[3:4]
	s_waitcnt vmcnt(51)
	v_fma_f64 v[74:75], v[74:75], v[25:26], -v[95:96]
	v_add_f64 v[62:63], v[62:63], 0
	v_fma_f64 v[66:67], v[72:73], v[1:2], v[66:67]
	v_add_f64 v[9:10], v[9:10], 0
	s_clause 0x4
	buffer_load_dword v73, off, s[0:3], 0 offset:620
	buffer_load_dword v123, off, s[0:3], 0 offset:632
	;; [unrolled: 1-line block ×5, first 2 shown]
	s_waitcnt lgkmcnt(0)
	v_mul_f64 v[126:127], v[5:6], v[13:14]
	v_mul_f64 v[13:14], v[7:8], v[13:14]
	ds_read_b128 v[1:4], v61 offset:1376
	v_fma_f64 v[25:26], v[76:77], v[25:26], v[64:65]
	v_add_f64 v[70:71], v[62:63], v[70:71]
	v_add_f64 v[9:10], v[9:10], v[66:67]
	s_clause 0x2
	buffer_load_dword v124, off, s[0:3], 0 offset:636
	buffer_load_dword v67, off, s[0:3], 0 offset:612
	;; [unrolled: 1-line block ×3, first 2 shown]
	s_waitcnt vmcnt(58) lgkmcnt(0)
	v_mul_f64 v[76:77], v[1:2], v[17:18]
	v_mul_f64 v[17:18], v[3:4], v[17:18]
	s_waitcnt vmcnt(56)
	v_fma_f64 v[13:14], v[5:6], v[19:20], -v[13:14]
	ds_read_b128 v[62:65], v61 offset:1392
	v_fma_f64 v[19:20], v[7:8], v[19:20], v[126:127]
	v_add_f64 v[70:71], v[70:71], v[74:75]
	v_add_f64 v[9:10], v[9:10], v[25:26]
	s_clause 0x4
	buffer_load_dword v26, off, s[0:3], 0 offset:652
	buffer_load_dword v74, off, s[0:3], 0 offset:664
	;; [unrolled: 1-line block ×5, first 2 shown]
	ds_read_b128 v[5:8], v61 offset:1408
	s_waitcnt vmcnt(57) lgkmcnt(1)
	v_mul_f64 v[127:128], v[62:63], v[21:22]
	v_mul_f64 v[21:22], v[64:65], v[21:22]
	s_waitcnt vmcnt(56)
	v_fma_f64 v[17:18], v[1:2], v[11:12], -v[17:18]
	v_fma_f64 v[11:12], v[3:4], v[11:12], v[76:77]
	v_add_f64 v[13:14], v[70:71], v[13:14]
	v_add_f64 v[9:10], v[9:10], v[19:20]
	s_clause 0x2
	buffer_load_dword v75, off, s[0:3], 0 offset:668
	buffer_load_dword v20, off, s[0:3], 0 offset:644
	;; [unrolled: 1-line block ×3, first 2 shown]
	s_waitcnt vmcnt(58) lgkmcnt(0)
	v_mul_f64 v[70:71], v[5:6], v[27:28]
	v_mul_f64 v[27:28], v[7:8], v[27:28]
	s_waitcnt vmcnt(56)
	v_fma_f64 v[21:22], v[62:63], v[29:30], -v[21:22]
	ds_read_b128 v[1:4], v61 offset:1424
	v_add_f64 v[13:14], v[13:14], v[17:18]
	v_fma_f64 v[17:18], v[64:65], v[29:30], v[127:128]
	v_add_f64 v[29:30], v[9:10], v[11:12]
	s_clause 0x4
	buffer_load_dword v63, off, s[0:3], 0 offset:684
	buffer_load_dword v64, off, s[0:3], 0 offset:696
	;; [unrolled: 1-line block ×5, first 2 shown]
	ds_read_b128 v[9:12], v61 offset:1440
	s_waitcnt vmcnt(57) lgkmcnt(1)
	v_mul_f64 v[127:128], v[1:2], v[31:32]
	v_mul_f64 v[31:32], v[3:4], v[31:32]
	s_waitcnt vmcnt(56)
	v_fma_f64 v[27:28], v[5:6], v[15:16], -v[27:28]
	v_fma_f64 v[15:16], v[7:8], v[15:16], v[70:71]
	v_add_f64 v[13:14], v[13:14], v[21:22]
	s_clause 0x2
	buffer_load_dword v65, off, s[0:3], 0 offset:700
	buffer_load_dword v22, off, s[0:3], 0 offset:676
	;; [unrolled: 1-line block ×3, first 2 shown]
	v_add_f64 v[17:18], v[29:30], v[17:18]
	s_waitcnt vmcnt(58) lgkmcnt(0)
	v_mul_f64 v[29:30], v[9:10], v[35:36]
	v_mul_f64 v[35:36], v[11:12], v[35:36]
	ds_read_b128 v[5:8], v61 offset:1456
	s_waitcnt vmcnt(56)
	v_fma_f64 v[31:32], v[1:2], v[37:38], -v[31:32]
	v_add_f64 v[13:14], v[13:14], v[27:28]
	v_fma_f64 v[27:28], v[3:4], v[37:38], v[127:128]
	v_add_f64 v[15:16], v[17:18], v[15:16]
	s_clause 0x4
	buffer_load_dword v18, off, s[0:3], 0 offset:716
	buffer_load_dword v37, off, s[0:3], 0 offset:728
	;; [unrolled: 1-line block ×5, first 2 shown]
	s_waitcnt vmcnt(57) lgkmcnt(0)
	v_mul_f64 v[127:128], v[5:6], v[39:40]
	v_mul_f64 v[39:40], v[7:8], v[39:40]
	s_waitcnt vmcnt(56)
	v_fma_f64 v[35:36], v[9:10], v[23:24], -v[35:36]
	ds_read_b128 v[1:4], v61 offset:1472
	v_fma_f64 v[23:24], v[11:12], v[23:24], v[29:30]
	v_add_f64 v[13:14], v[13:14], v[31:32]
	v_add_f64 v[15:16], v[15:16], v[27:28]
	s_clause 0x2
	buffer_load_dword v38, off, s[0:3], 0 offset:732
	buffer_load_dword v28, off, s[0:3], 0 offset:708
	;; [unrolled: 1-line block ×3, first 2 shown]
	ds_read_b128 v[9:12], v61 offset:1488
	s_waitcnt vmcnt(58) lgkmcnt(1)
	v_mul_f64 v[31:32], v[3:4], v[43:44]
	s_waitcnt vmcnt(56)
	v_fma_f64 v[39:40], v[5:6], v[45:46], -v[39:40]
	v_mul_f64 v[29:30], v[1:2], v[43:44]
	v_add_f64 v[13:14], v[13:14], v[35:36]
	v_fma_f64 v[35:36], v[7:8], v[45:46], v[127:128]
	v_add_f64 v[15:16], v[15:16], v[23:24]
	s_clause 0x4
	buffer_load_dword v24, off, s[0:3], 0 offset:748
	buffer_load_dword v43, off, s[0:3], 0 offset:760
	;; [unrolled: 1-line block ×5, first 2 shown]
	s_waitcnt vmcnt(57) lgkmcnt(0)
	v_mul_f64 v[127:128], v[9:10], v[47:48]
	v_mul_f64 v[46:47], v[11:12], v[47:48]
	s_waitcnt vmcnt(56)
	v_fma_f64 v[31:32], v[1:2], v[33:34], -v[31:32]
	ds_read_b128 v[5:8], v61 offset:1504
	v_fma_f64 v[29:30], v[3:4], v[33:34], v[29:30]
	s_clause 0x2
	buffer_load_dword v44, off, s[0:3], 0 offset:764
	buffer_load_dword v34, off, s[0:3], 0 offset:740
	;; [unrolled: 1-line block ×3, first 2 shown]
	ds_read_b128 v[1:4], v61 offset:1520
	v_add_f64 v[13:14], v[13:14], v[39:40]
	v_add_f64 v[15:16], v[15:16], v[35:36]
	s_waitcnt vmcnt(58) lgkmcnt(1)
	v_mul_f64 v[39:40], v[7:8], v[51:52]
	s_waitcnt vmcnt(56)
	v_fma_f64 v[47:48], v[9:10], v[53:54], -v[46:47]
	v_mul_f64 v[35:36], v[5:6], v[51:52]
	v_add_f64 v[13:14], v[13:14], v[31:32]
	v_fma_f64 v[31:32], v[11:12], v[53:54], v[127:128]
	v_add_f64 v[15:16], v[15:16], v[29:30]
	s_clause 0x4
	buffer_load_dword v30, off, s[0:3], 0 offset:780
	buffer_load_dword v51, off, s[0:3], 0 offset:792
	;; [unrolled: 1-line block ×5, first 2 shown]
	s_waitcnt vmcnt(57) lgkmcnt(0)
	v_mul_f64 v[127:128], v[1:2], v[55:56]
	v_mul_f64 v[54:55], v[3:4], v[55:56]
	s_waitcnt vmcnt(56)
	v_fma_f64 v[39:40], v[5:6], v[41:42], -v[39:40]
	ds_read_b128 v[9:12], v61 offset:1536
	v_fma_f64 v[35:36], v[7:8], v[41:42], v[35:36]
	v_add_f64 v[13:14], v[13:14], v[47:48]
	v_add_f64 v[15:16], v[15:16], v[31:32]
	s_clause 0x2
	buffer_load_dword v52, off, s[0:3], 0 offset:796
	buffer_load_dword v32, off, s[0:3], 0 offset:772
	buffer_load_dword v31, off, s[0:3], 0 offset:768
	ds_read_b128 v[5:8], v61 offset:1552
	s_waitcnt vmcnt(58) lgkmcnt(1)
	v_mul_f64 v[47:48], v[11:12], v[57:58]
	s_waitcnt vmcnt(56)
	v_fma_f64 v[55:56], v[1:2], v[59:60], -v[54:55]
	v_mul_f64 v[41:42], v[9:10], v[57:58]
	v_add_f64 v[13:14], v[13:14], v[39:40]
	v_fma_f64 v[39:40], v[3:4], v[59:60], v[127:128]
	v_add_f64 v[15:16], v[15:16], v[35:36]
	s_clause 0x4
	buffer_load_dword v36, off, s[0:3], 0 offset:812
	buffer_load_dword v57, off, s[0:3], 0 offset:824
	;; [unrolled: 1-line block ×5, first 2 shown]
	s_waitcnt vmcnt(57) lgkmcnt(0)
	v_mul_f64 v[127:128], v[5:6], v[78:79]
	v_mul_f64 v[78:79], v[7:8], v[78:79]
	s_waitcnt vmcnt(56)
	v_fma_f64 v[47:48], v[9:10], v[49:50], -v[47:48]
	ds_read_b128 v[1:4], v61 offset:1568
	v_fma_f64 v[41:42], v[11:12], v[49:50], v[41:42]
	v_add_f64 v[13:14], v[13:14], v[55:56]
	v_add_f64 v[15:16], v[15:16], v[39:40]
	s_clause 0x2
	buffer_load_dword v58, off, s[0:3], 0 offset:828
	buffer_load_dword v40, off, s[0:3], 0 offset:804
	;; [unrolled: 1-line block ×3, first 2 shown]
	ds_read_b128 v[9:12], v61 offset:1584
	s_waitcnt vmcnt(58) lgkmcnt(1)
	v_mul_f64 v[55:56], v[3:4], v[84:85]
	s_waitcnt vmcnt(56)
	v_fma_f64 v[78:79], v[5:6], v[93:94], -v[78:79]
	v_mul_f64 v[49:50], v[1:2], v[84:85]
	v_add_f64 v[13:14], v[13:14], v[47:48]
	v_fma_f64 v[47:48], v[7:8], v[93:94], v[127:128]
	v_add_f64 v[15:16], v[15:16], v[41:42]
	s_clause 0x4
	buffer_load_dword v42, off, s[0:3], 0 offset:844
	buffer_load_dword v84, off, s[0:3], 0 offset:856
	;; [unrolled: 1-line block ×5, first 2 shown]
	ds_read_b128 v[5:8], v61 offset:1600
	s_waitcnt vmcnt(57) lgkmcnt(1)
	v_mul_f64 v[127:128], v[9:10], v[72:73]
	v_mul_f64 v[72:73], v[11:12], v[72:73]
	s_waitcnt vmcnt(56)
	v_fma_f64 v[55:56], v[1:2], v[86:87], -v[55:56]
	v_fma_f64 v[49:50], v[3:4], v[86:87], v[49:50]
	v_add_f64 v[13:14], v[13:14], v[78:79]
	v_add_f64 v[15:16], v[15:16], v[47:48]
	s_clause 0x2
	buffer_load_dword v85, off, s[0:3], 0 offset:860
	buffer_load_dword v48, off, s[0:3], 0 offset:836
	;; [unrolled: 1-line block ×3, first 2 shown]
	ds_read_b128 v[1:4], v61 offset:1616
	s_waitcnt vmcnt(58) lgkmcnt(1)
	v_mul_f64 v[86:87], v[7:8], v[123:124]
	v_mul_f64 v[78:79], v[5:6], v[123:124]
	s_waitcnt vmcnt(56)
	v_fma_f64 v[72:73], v[9:10], v[66:67], -v[72:73]
	v_add_f64 v[13:14], v[13:14], v[55:56]
	v_fma_f64 v[55:56], v[11:12], v[66:67], v[127:128]
	v_add_f64 v[15:16], v[15:16], v[49:50]
	s_clause 0x4
	buffer_load_dword v50, off, s[0:3], 0 offset:876
	buffer_load_dword v66, off, s[0:3], 0 offset:888
	buffer_load_dword v123, off, s[0:3], 0 offset:880
	buffer_load_dword v49, off, s[0:3], 0 offset:872
	buffer_load_dword v94, off, s[0:3], 0 offset:852
	ds_read_b128 v[9:12], v61 offset:1632
	s_waitcnt vmcnt(57) lgkmcnt(1)
	v_mul_f64 v[127:128], v[1:2], v[25:26]
	v_mul_f64 v[25:26], v[3:4], v[25:26]
	s_waitcnt vmcnt(56)
	v_fma_f64 v[86:87], v[5:6], v[125:126], -v[86:87]
	v_add_f64 v[13:14], v[13:14], v[72:73]
	v_fma_f64 v[72:73], v[7:8], v[125:126], v[78:79]
	v_add_f64 v[15:16], v[15:16], v[55:56]
	s_clause 0x2
	buffer_load_dword v67, off, s[0:3], 0 offset:892
	buffer_load_dword v56, off, s[0:3], 0 offset:868
	buffer_load_dword v55, off, s[0:3], 0 offset:864
	ds_read_b128 v[5:8], v61 offset:1648
	s_waitcnt vmcnt(58) lgkmcnt(1)
	v_mul_f64 v[78:79], v[9:10], v[74:75]
	v_mul_f64 v[74:75], v[11:12], v[74:75]
	s_waitcnt vmcnt(56)
	v_fma_f64 v[25:26], v[1:2], v[19:20], -v[25:26]
	v_fma_f64 v[19:20], v[3:4], v[19:20], v[127:128]
	v_add_f64 v[13:14], v[13:14], v[86:87]
	v_add_f64 v[15:16], v[15:16], v[72:73]
	s_clause 0x4
	buffer_load_dword v73, off, s[0:3], 0 offset:908
	buffer_load_dword v86, off, s[0:3], 0 offset:920
	buffer_load_dword v125, off, s[0:3], 0 offset:912
	buffer_load_dword v72, off, s[0:3], 0 offset:904
	buffer_load_dword v124, off, s[0:3], 0 offset:884
	ds_read_b128 v[1:4], v61 offset:1664
	s_waitcnt vmcnt(57) lgkmcnt(1)
	v_mul_f64 v[126:127], v[5:6], v[62:63]
	v_mul_f64 v[62:63], v[7:8], v[62:63]
	s_waitcnt vmcnt(56)
	v_fma_f64 v[74:75], v[9:10], v[95:96], -v[74:75]
	v_add_f64 v[13:14], v[13:14], v[25:26]
	v_fma_f64 v[25:26], v[11:12], v[95:96], v[78:79]
	v_add_f64 v[15:16], v[15:16], v[19:20]
	s_clause 0x2
	buffer_load_dword v87, off, s[0:3], 0 offset:924
	buffer_load_dword v20, off, s[0:3], 0 offset:900
	buffer_load_dword v19, off, s[0:3], 0 offset:896
	ds_read_b128 v[9:12], v61 offset:1680
	s_waitcnt vmcnt(58) lgkmcnt(1)
	v_mul_f64 v[78:79], v[1:2], v[64:65]
	v_mul_f64 v[64:65], v[3:4], v[64:65]
	s_waitcnt vmcnt(56)
	v_fma_f64 v[62:63], v[5:6], v[21:22], -v[62:63]
	v_fma_f64 v[21:22], v[7:8], v[21:22], v[126:127]
	v_add_f64 v[13:14], v[13:14], v[74:75]
	v_add_f64 v[15:16], v[15:16], v[25:26]
	s_clause 0x4
	buffer_load_dword v26, off, s[0:3], 0 offset:940
	buffer_load_dword v74, off, s[0:3], 0 offset:952
	buffer_load_dword v95, off, s[0:3], 0 offset:944
	buffer_load_dword v25, off, s[0:3], 0 offset:936
	buffer_load_dword v126, off, s[0:3], 0 offset:916
	ds_read_b128 v[5:8], v61 offset:1696
	s_waitcnt vmcnt(57) lgkmcnt(1)
	v_mul_f64 v[127:128], v[9:10], v[17:18]
	v_mul_f64 v[17:18], v[11:12], v[17:18]
	s_waitcnt vmcnt(56)
	v_fma_f64 v[64:65], v[1:2], v[76:77], -v[64:65]
	v_add_f64 v[13:14], v[13:14], v[62:63]
	v_fma_f64 v[62:63], v[3:4], v[76:77], v[78:79]
	v_add_f64 v[15:16], v[15:16], v[21:22]
	s_clause 0x2
	buffer_load_dword v75, off, s[0:3], 0 offset:956
	buffer_load_dword v22, off, s[0:3], 0 offset:932
	buffer_load_dword v21, off, s[0:3], 0 offset:928
	ds_read_b128 v[1:4], v61 offset:1712
	s_waitcnt vmcnt(58) lgkmcnt(1)
	v_mul_f64 v[76:77], v[5:6], v[37:38]
	v_mul_f64 v[37:38], v[7:8], v[37:38]
	s_waitcnt vmcnt(56)
	v_fma_f64 v[17:18], v[9:10], v[27:28], -v[17:18]
	v_fma_f64 v[27:28], v[11:12], v[27:28], v[127:128]
	v_add_f64 v[13:14], v[13:14], v[64:65]
	v_add_f64 v[15:16], v[15:16], v[62:63]
	s_clause 0x4
	buffer_load_dword v63, off, s[0:3], 0 offset:972
	buffer_load_dword v64, off, s[0:3], 0 offset:984
	;; [unrolled: 1-line block ×5, first 2 shown]
	ds_read_b128 v[9:12], v61 offset:1728
	s_waitcnt vmcnt(57) lgkmcnt(1)
	v_mul_f64 v[127:128], v[1:2], v[23:24]
	v_mul_f64 v[23:24], v[3:4], v[23:24]
	s_waitcnt vmcnt(56)
	v_fma_f64 v[37:38], v[5:6], v[70:71], -v[37:38]
	v_add_f64 v[13:14], v[13:14], v[17:18]
	v_fma_f64 v[17:18], v[7:8], v[70:71], v[76:77]
	v_add_f64 v[15:16], v[15:16], v[27:28]
	s_clause 0x2
	buffer_load_dword v65, off, s[0:3], 0 offset:988
	buffer_load_dword v28, off, s[0:3], 0 offset:964
	;; [unrolled: 1-line block ×3, first 2 shown]
	s_waitcnt vmcnt(58) lgkmcnt(0)
	v_mul_f64 v[70:71], v[9:10], v[43:44]
	v_mul_f64 v[43:44], v[11:12], v[43:44]
	ds_read_b128 v[5:8], v61 offset:1744
	s_waitcnt vmcnt(56)
	v_fma_f64 v[23:24], v[1:2], v[33:34], -v[23:24]
	v_fma_f64 v[33:34], v[3:4], v[33:34], v[127:128]
	v_add_f64 v[13:14], v[13:14], v[37:38]
	v_add_f64 v[15:16], v[15:16], v[17:18]
	s_clause 0x2
	buffer_load_dword v18, off, s[0:3], 0 offset:1004
	buffer_load_dword v17, off, s[0:3], 0 offset:1000
	;; [unrolled: 1-line block ×3, first 2 shown]
	ds_read_b128 v[1:4], v61 offset:1760
	s_waitcnt vmcnt(55) lgkmcnt(1)
	v_mul_f64 v[37:38], v[5:6], v[29:30]
	v_mul_f64 v[29:30], v[7:8], v[29:30]
	s_waitcnt vmcnt(54)
	v_fma_f64 v[43:44], v[9:10], v[45:46], -v[43:44]
	v_add_f64 v[13:14], v[13:14], v[23:24]
	v_fma_f64 v[23:24], v[11:12], v[45:46], v[70:71]
	v_add_f64 v[15:16], v[15:16], v[33:34]
	s_clause 0x1
	buffer_load_dword v34, off, s[0:3], 0 offset:996
	buffer_load_dword v33, off, s[0:3], 0 offset:992
	ds_read_b128 v[9:12], v61 offset:1776
	s_waitcnt vmcnt(55) lgkmcnt(1)
	v_mul_f64 v[45:46], v[1:2], v[51:52]
	v_mul_f64 v[51:52], v[3:4], v[51:52]
	s_waitcnt vmcnt(53)
	v_fma_f64 v[29:30], v[5:6], v[31:32], -v[29:30]
	v_fma_f64 v[31:32], v[7:8], v[31:32], v[37:38]
	ds_read_b128 v[5:8], v61 offset:1792
	v_add_f64 v[13:14], v[13:14], v[43:44]
	v_add_f64 v[15:16], v[15:16], v[23:24]
	s_waitcnt vmcnt(49) lgkmcnt(1)
	v_mul_f64 v[23:24], v[9:10], v[35:36]
	v_mul_f64 v[35:36], v[11:12], v[35:36]
	s_waitcnt vmcnt(48)
	v_fma_f64 v[37:38], v[1:2], v[53:54], -v[51:52]
	v_add_f64 v[13:14], v[13:14], v[29:30]
	v_fma_f64 v[29:30], v[3:4], v[53:54], v[45:46]
	v_add_f64 v[15:16], v[15:16], v[31:32]
	s_clause 0x3
	buffer_load_dword v31, off, s[0:3], 0 offset:320
	buffer_load_dword v32, off, s[0:3], 0 offset:324
	;; [unrolled: 1-line block ×4, first 2 shown]
	ds_read_b128 v[1:4], v61 offset:1808
	s_waitcnt vmcnt(51) lgkmcnt(1)
	v_mul_f64 v[51:52], v[7:8], v[57:58]
	v_mul_f64 v[45:46], v[5:6], v[57:58]
	s_waitcnt vmcnt(49)
	v_fma_f64 v[35:36], v[9:10], v[39:40], -v[35:36]
	v_fma_f64 v[23:24], v[11:12], v[39:40], v[23:24]
	ds_read_b128 v[9:12], v61 offset:1824
	v_add_f64 v[13:14], v[13:14], v[37:38]
	v_add_f64 v[15:16], v[15:16], v[29:30]
	s_waitcnt vmcnt(45) lgkmcnt(1)
	v_mul_f64 v[37:38], v[3:4], v[41:42]
	s_waitcnt vmcnt(44)
	v_fma_f64 v[39:40], v[5:6], v[59:60], -v[51:52]
	v_mul_f64 v[29:30], v[1:2], v[41:42]
	v_add_f64 v[13:14], v[13:14], v[35:36]
	v_fma_f64 v[35:36], v[7:8], v[59:60], v[45:46]
	v_add_f64 v[15:16], v[15:16], v[23:24]
	ds_read_b128 v[5:8], v61 offset:1840
	s_waitcnt vmcnt(43) lgkmcnt(1)
	v_mul_f64 v[41:42], v[11:12], v[84:85]
	v_mul_f64 v[23:24], v[9:10], v[84:85]
	s_waitcnt vmcnt(41)
	v_fma_f64 v[37:38], v[1:2], v[47:48], -v[37:38]
	v_fma_f64 v[29:30], v[3:4], v[47:48], v[29:30]
	ds_read_b128 v[1:4], v61 offset:1856
	v_add_f64 v[13:14], v[13:14], v[39:40]
	v_add_f64 v[15:16], v[15:16], v[35:36]
	s_waitcnt vmcnt(37) lgkmcnt(1)
	v_mul_f64 v[39:40], v[7:8], v[49:50]
	s_waitcnt vmcnt(36)
	v_fma_f64 v[41:42], v[9:10], v[93:94], -v[41:42]
	v_mul_f64 v[35:36], v[5:6], v[49:50]
	v_fma_f64 v[23:24], v[11:12], v[93:94], v[23:24]
	ds_read_b128 v[9:12], v61 offset:1872
	v_add_f64 v[13:14], v[13:14], v[37:38]
	v_add_f64 v[15:16], v[15:16], v[29:30]
	s_waitcnt vmcnt(35) lgkmcnt(1)
	v_mul_f64 v[37:38], v[3:4], v[66:67]
	v_mul_f64 v[29:30], v[1:2], v[66:67]
	s_waitcnt vmcnt(33)
	v_fma_f64 v[39:40], v[5:6], v[55:56], -v[39:40]
	v_fma_f64 v[35:36], v[7:8], v[55:56], v[35:36]
	ds_read_b128 v[5:8], v61 offset:1888
	v_add_f64 v[13:14], v[13:14], v[41:42]
	v_add_f64 v[15:16], v[15:16], v[23:24]
	s_waitcnt vmcnt(29) lgkmcnt(1)
	v_mul_f64 v[41:42], v[11:12], v[72:73]
	s_waitcnt vmcnt(28)
	v_fma_f64 v[37:38], v[1:2], v[123:124], -v[37:38]
	v_mul_f64 v[23:24], v[9:10], v[72:73]
	v_fma_f64 v[29:30], v[3:4], v[123:124], v[29:30]
	ds_read_b128 v[1:4], v61 offset:1904
	v_add_f64 v[13:14], v[13:14], v[39:40]
	v_add_f64 v[15:16], v[15:16], v[35:36]
	s_waitcnt vmcnt(27) lgkmcnt(1)
	v_mul_f64 v[39:40], v[7:8], v[86:87]
	v_mul_f64 v[35:36], v[5:6], v[86:87]
	s_waitcnt vmcnt(25)
	v_fma_f64 v[41:42], v[9:10], v[19:20], -v[41:42]
	v_fma_f64 v[19:20], v[11:12], v[19:20], v[23:24]
	ds_read_b128 v[9:12], v61 offset:1920
	v_add_f64 v[13:14], v[13:14], v[37:38]
	v_add_f64 v[15:16], v[15:16], v[29:30]
	s_waitcnt vmcnt(21) lgkmcnt(1)
	v_mul_f64 v[23:24], v[1:2], v[25:26]
	v_mul_f64 v[25:26], v[3:4], v[25:26]
	s_waitcnt vmcnt(20)
	v_fma_f64 v[29:30], v[5:6], v[125:126], -v[39:40]
	;; [unrolled: 9-line block ×3, first 2 shown]
	v_fma_f64 v[21:22], v[3:4], v[21:22], v[23:24]
	ds_read_b128 v[1:4], v61 offset:1952
	v_add_f64 v[13:14], v[13:14], v[29:30]
	v_add_f64 v[15:16], v[15:16], v[35:36]
	s_waitcnt vmcnt(13) lgkmcnt(1)
	v_mul_f64 v[29:30], v[7:8], v[62:63]
	s_waitcnt vmcnt(12)
	v_fma_f64 v[35:36], v[9:10], v[95:96], -v[37:38]
	v_mul_f64 v[23:24], v[5:6], v[62:63]
	v_fma_f64 v[19:20], v[11:12], v[95:96], v[19:20]
	ds_read_b128 v[9:12], v61 offset:1968
	v_add_f64 v[13:14], v[13:14], v[25:26]
	v_add_f64 v[15:16], v[15:16], v[21:22]
	s_waitcnt vmcnt(11) lgkmcnt(1)
	v_mul_f64 v[25:26], v[3:4], v[64:65]
	v_mul_f64 v[21:22], v[1:2], v[64:65]
	s_waitcnt vmcnt(9)
	v_fma_f64 v[5:6], v[5:6], v[27:28], -v[29:30]
	v_fma_f64 v[7:8], v[7:8], v[27:28], v[23:24]
	v_add_f64 v[13:14], v[13:14], v[35:36]
	v_add_f64 v[15:16], v[15:16], v[19:20]
	s_waitcnt vmcnt(7) lgkmcnt(0)
	v_mul_f64 v[19:20], v[9:10], v[17:18]
	v_mul_f64 v[17:18], v[11:12], v[17:18]
	s_waitcnt vmcnt(6)
	v_fma_f64 v[1:2], v[1:2], v[78:79], -v[25:26]
	v_fma_f64 v[3:4], v[3:4], v[78:79], v[21:22]
	v_add_f64 v[5:6], v[13:14], v[5:6]
	v_add_f64 v[7:8], v[15:16], v[7:8]
	s_waitcnt vmcnt(4)
	v_fma_f64 v[9:10], v[9:10], v[33:34], -v[17:18]
	v_add_f64 v[1:2], v[5:6], v[1:2]
	v_fma_f64 v[5:6], v[11:12], v[33:34], v[19:20]
	v_add_f64 v[3:4], v[7:8], v[3:4]
	v_add_f64 v[1:2], v[1:2], v[9:10]
	;; [unrolled: 1-line block ×3, first 2 shown]
	s_waitcnt vmcnt(2)
	v_add_f64 v[1:2], v[31:32], -v[1:2]
	s_waitcnt vmcnt(0)
	v_add_f64 v[3:4], v[43:44], -v[3:4]
	buffer_store_dword v2, off, s[0:3], 0 offset:324
	buffer_store_dword v1, off, s[0:3], 0 offset:320
	;; [unrolled: 1-line block ×4, first 2 shown]
	v_cmpx_lt_u32_e32 18, v0
	s_cbranch_execz .LBB61_361
; %bb.360:
	v_mov_b32_e32 v4, s58
	v_mov_b32_e32 v5, 0
	s_clause 0x3
	buffer_load_dword v1, v4, s[0:3], 0 offen
	buffer_load_dword v2, v4, s[0:3], 0 offen offset:4
	buffer_load_dword v3, v4, s[0:3], 0 offen offset:8
	;; [unrolled: 1-line block ×3, first 2 shown]
	buffer_store_dword v5, off, s[0:3], 0 offset:304
	buffer_store_dword v5, off, s[0:3], 0 offset:308
	;; [unrolled: 1-line block ×4, first 2 shown]
	s_waitcnt vmcnt(0)
	ds_write_b128 v69, v[1:4]
.LBB61_361:
	s_or_b32 exec_lo, exec_lo, s4
	s_waitcnt lgkmcnt(0)
	s_waitcnt_vscnt null, 0x0
	s_barrier
	buffer_gl0_inv
	s_clause 0x37
	buffer_load_dword v9, off, s[0:3], 0 offset:328
	buffer_load_dword v10, off, s[0:3], 0 offset:332
	buffer_load_dword v5, off, s[0:3], 0 offset:344
	buffer_load_dword v6, off, s[0:3], 0 offset:348
	buffer_load_dword v7, off, s[0:3], 0 offset:320
	buffer_load_dword v8, off, s[0:3], 0 offset:324
	buffer_load_dword v3, off, s[0:3], 0 offset:360
	buffer_load_dword v4, off, s[0:3], 0 offset:364
	buffer_load_dword v1, off, s[0:3], 0 offset:336
	buffer_load_dword v2, off, s[0:3], 0 offset:340
	buffer_load_dword v14, off, s[0:3], 0 offset:380
	buffer_load_dword v17, off, s[0:3], 0 offset:392
	buffer_load_dword v11, off, s[0:3], 0 offset:384
	buffer_load_dword v13, off, s[0:3], 0 offset:376
	buffer_load_dword v25, off, s[0:3], 0 offset:352
	buffer_load_dword v26, off, s[0:3], 0 offset:356
	buffer_load_dword v18, off, s[0:3], 0 offset:396
	buffer_load_dword v20, off, s[0:3], 0 offset:372
	buffer_load_dword v19, off, s[0:3], 0 offset:368
	buffer_load_dword v22, off, s[0:3], 0 offset:412
	buffer_load_dword v27, off, s[0:3], 0 offset:424
	buffer_load_dword v15, off, s[0:3], 0 offset:416
	buffer_load_dword v21, off, s[0:3], 0 offset:408
	buffer_load_dword v12, off, s[0:3], 0 offset:388
	buffer_load_dword v28, off, s[0:3], 0 offset:428
	buffer_load_dword v30, off, s[0:3], 0 offset:404
	buffer_load_dword v29, off, s[0:3], 0 offset:400
	buffer_load_dword v32, off, s[0:3], 0 offset:444
	buffer_load_dword v35, off, s[0:3], 0 offset:456
	buffer_load_dword v23, off, s[0:3], 0 offset:448
	buffer_load_dword v31, off, s[0:3], 0 offset:440
	buffer_load_dword v16, off, s[0:3], 0 offset:420
	buffer_load_dword v36, off, s[0:3], 0 offset:460
	buffer_load_dword v38, off, s[0:3], 0 offset:436
	buffer_load_dword v37, off, s[0:3], 0 offset:432
	buffer_load_dword v40, off, s[0:3], 0 offset:476
	buffer_load_dword v43, off, s[0:3], 0 offset:488
	buffer_load_dword v33, off, s[0:3], 0 offset:480
	buffer_load_dword v39, off, s[0:3], 0 offset:472
	buffer_load_dword v24, off, s[0:3], 0 offset:452
	buffer_load_dword v44, off, s[0:3], 0 offset:492
	buffer_load_dword v46, off, s[0:3], 0 offset:468
	buffer_load_dword v45, off, s[0:3], 0 offset:464
	buffer_load_dword v48, off, s[0:3], 0 offset:508
	buffer_load_dword v51, off, s[0:3], 0 offset:520
	buffer_load_dword v41, off, s[0:3], 0 offset:512
	buffer_load_dword v47, off, s[0:3], 0 offset:504
	buffer_load_dword v34, off, s[0:3], 0 offset:484
	buffer_load_dword v52, off, s[0:3], 0 offset:524
	buffer_load_dword v54, off, s[0:3], 0 offset:500
	buffer_load_dword v53, off, s[0:3], 0 offset:496
	buffer_load_dword v56, off, s[0:3], 0 offset:540
	buffer_load_dword v57, off, s[0:3], 0 offset:552
	buffer_load_dword v49, off, s[0:3], 0 offset:544
	buffer_load_dword v55, off, s[0:3], 0 offset:536
	buffer_load_dword v42, off, s[0:3], 0 offset:516
	v_mov_b32_e32 v61, 0
	s_mov_b32 s4, exec_lo
	ds_read_b128 v[62:65], v61 offset:1296
	s_clause 0x2
	buffer_load_dword v58, off, s[0:3], 0 offset:556
	buffer_load_dword v60, off, s[0:3], 0 offset:532
	;; [unrolled: 1-line block ×3, first 2 shown]
	ds_read_b128 v[70:73], v61 offset:1312
	s_clause 0x4
	buffer_load_dword v79, off, s[0:3], 0 offset:572
	buffer_load_dword v84, off, s[0:3], 0 offset:584
	;; [unrolled: 1-line block ×5, first 2 shown]
	ds_read_b128 v[74:77], v61 offset:1328
	s_clause 0x2
	buffer_load_dword v85, off, s[0:3], 0 offset:588
	buffer_load_dword v94, off, s[0:3], 0 offset:564
	;; [unrolled: 1-line block ×3, first 2 shown]
	s_waitcnt vmcnt(62) lgkmcnt(2)
	v_mul_f64 v[66:67], v[64:65], v[9:10]
	v_mul_f64 v[9:10], v[62:63], v[9:10]
	s_waitcnt lgkmcnt(1)
	v_mul_f64 v[87:88], v[72:73], v[5:6]
	s_waitcnt vmcnt(59) lgkmcnt(0)
	v_mul_f64 v[95:96], v[76:77], v[3:4]
	v_fma_f64 v[62:63], v[62:63], v[7:8], -v[66:67]
	v_mul_f64 v[66:67], v[70:71], v[5:6]
	v_fma_f64 v[9:10], v[64:65], v[7:8], v[9:10]
	s_waitcnt vmcnt(57)
	v_fma_f64 v[70:71], v[70:71], v[1:2], -v[87:88]
	ds_read_b128 v[5:8], v61 offset:1344
	v_mul_f64 v[64:65], v[74:75], v[3:4]
	s_waitcnt vmcnt(51)
	v_fma_f64 v[74:75], v[74:75], v[25:26], -v[95:96]
	v_add_f64 v[62:63], v[62:63], 0
	v_fma_f64 v[66:67], v[72:73], v[1:2], v[66:67]
	v_add_f64 v[9:10], v[9:10], 0
	s_clause 0x4
	buffer_load_dword v73, off, s[0:3], 0 offset:604
	buffer_load_dword v123, off, s[0:3], 0 offset:616
	;; [unrolled: 1-line block ×5, first 2 shown]
	s_waitcnt lgkmcnt(0)
	v_mul_f64 v[126:127], v[5:6], v[13:14]
	v_mul_f64 v[13:14], v[7:8], v[13:14]
	ds_read_b128 v[1:4], v61 offset:1360
	v_fma_f64 v[25:26], v[76:77], v[25:26], v[64:65]
	v_add_f64 v[70:71], v[62:63], v[70:71]
	v_add_f64 v[9:10], v[9:10], v[66:67]
	s_clause 0x2
	buffer_load_dword v124, off, s[0:3], 0 offset:620
	buffer_load_dword v67, off, s[0:3], 0 offset:596
	buffer_load_dword v66, off, s[0:3], 0 offset:592
	s_waitcnt vmcnt(58) lgkmcnt(0)
	v_mul_f64 v[76:77], v[1:2], v[17:18]
	v_mul_f64 v[17:18], v[3:4], v[17:18]
	s_waitcnt vmcnt(56)
	v_fma_f64 v[13:14], v[5:6], v[19:20], -v[13:14]
	ds_read_b128 v[62:65], v61 offset:1376
	v_fma_f64 v[19:20], v[7:8], v[19:20], v[126:127]
	v_add_f64 v[70:71], v[70:71], v[74:75]
	v_add_f64 v[9:10], v[9:10], v[25:26]
	s_clause 0x4
	buffer_load_dword v26, off, s[0:3], 0 offset:636
	buffer_load_dword v74, off, s[0:3], 0 offset:648
	;; [unrolled: 1-line block ×5, first 2 shown]
	ds_read_b128 v[5:8], v61 offset:1392
	s_waitcnt vmcnt(57) lgkmcnt(1)
	v_mul_f64 v[127:128], v[62:63], v[21:22]
	v_mul_f64 v[21:22], v[64:65], v[21:22]
	s_waitcnt vmcnt(56)
	v_fma_f64 v[17:18], v[1:2], v[11:12], -v[17:18]
	v_fma_f64 v[11:12], v[3:4], v[11:12], v[76:77]
	v_add_f64 v[13:14], v[70:71], v[13:14]
	v_add_f64 v[9:10], v[9:10], v[19:20]
	s_clause 0x2
	buffer_load_dword v75, off, s[0:3], 0 offset:652
	buffer_load_dword v20, off, s[0:3], 0 offset:628
	;; [unrolled: 1-line block ×3, first 2 shown]
	s_waitcnt vmcnt(58) lgkmcnt(0)
	v_mul_f64 v[70:71], v[5:6], v[27:28]
	v_mul_f64 v[27:28], v[7:8], v[27:28]
	s_waitcnt vmcnt(56)
	v_fma_f64 v[21:22], v[62:63], v[29:30], -v[21:22]
	ds_read_b128 v[1:4], v61 offset:1408
	v_add_f64 v[13:14], v[13:14], v[17:18]
	v_fma_f64 v[17:18], v[64:65], v[29:30], v[127:128]
	v_add_f64 v[29:30], v[9:10], v[11:12]
	s_clause 0x4
	buffer_load_dword v63, off, s[0:3], 0 offset:668
	buffer_load_dword v64, off, s[0:3], 0 offset:680
	;; [unrolled: 1-line block ×5, first 2 shown]
	ds_read_b128 v[9:12], v61 offset:1424
	s_waitcnt vmcnt(57) lgkmcnt(1)
	v_mul_f64 v[127:128], v[1:2], v[31:32]
	v_mul_f64 v[31:32], v[3:4], v[31:32]
	s_waitcnt vmcnt(56)
	v_fma_f64 v[27:28], v[5:6], v[15:16], -v[27:28]
	v_fma_f64 v[15:16], v[7:8], v[15:16], v[70:71]
	v_add_f64 v[13:14], v[13:14], v[21:22]
	s_clause 0x2
	buffer_load_dword v65, off, s[0:3], 0 offset:684
	buffer_load_dword v22, off, s[0:3], 0 offset:660
	;; [unrolled: 1-line block ×3, first 2 shown]
	v_add_f64 v[17:18], v[29:30], v[17:18]
	s_waitcnt vmcnt(58) lgkmcnt(0)
	v_mul_f64 v[29:30], v[9:10], v[35:36]
	v_mul_f64 v[35:36], v[11:12], v[35:36]
	ds_read_b128 v[5:8], v61 offset:1440
	s_waitcnt vmcnt(56)
	v_fma_f64 v[31:32], v[1:2], v[37:38], -v[31:32]
	v_add_f64 v[13:14], v[13:14], v[27:28]
	v_fma_f64 v[27:28], v[3:4], v[37:38], v[127:128]
	v_add_f64 v[15:16], v[17:18], v[15:16]
	s_clause 0x4
	buffer_load_dword v18, off, s[0:3], 0 offset:700
	buffer_load_dword v37, off, s[0:3], 0 offset:712
	;; [unrolled: 1-line block ×5, first 2 shown]
	s_waitcnt vmcnt(57) lgkmcnt(0)
	v_mul_f64 v[127:128], v[5:6], v[39:40]
	v_mul_f64 v[39:40], v[7:8], v[39:40]
	s_waitcnt vmcnt(56)
	v_fma_f64 v[35:36], v[9:10], v[23:24], -v[35:36]
	ds_read_b128 v[1:4], v61 offset:1456
	v_fma_f64 v[23:24], v[11:12], v[23:24], v[29:30]
	v_add_f64 v[13:14], v[13:14], v[31:32]
	v_add_f64 v[15:16], v[15:16], v[27:28]
	s_clause 0x2
	buffer_load_dword v38, off, s[0:3], 0 offset:716
	buffer_load_dword v28, off, s[0:3], 0 offset:692
	;; [unrolled: 1-line block ×3, first 2 shown]
	ds_read_b128 v[9:12], v61 offset:1472
	s_waitcnt vmcnt(58) lgkmcnt(1)
	v_mul_f64 v[31:32], v[3:4], v[43:44]
	s_waitcnt vmcnt(56)
	v_fma_f64 v[39:40], v[5:6], v[45:46], -v[39:40]
	v_mul_f64 v[29:30], v[1:2], v[43:44]
	v_add_f64 v[13:14], v[13:14], v[35:36]
	v_fma_f64 v[35:36], v[7:8], v[45:46], v[127:128]
	v_add_f64 v[15:16], v[15:16], v[23:24]
	s_clause 0x4
	buffer_load_dword v24, off, s[0:3], 0 offset:732
	buffer_load_dword v43, off, s[0:3], 0 offset:744
	;; [unrolled: 1-line block ×5, first 2 shown]
	s_waitcnt vmcnt(57) lgkmcnt(0)
	v_mul_f64 v[127:128], v[9:10], v[47:48]
	v_mul_f64 v[46:47], v[11:12], v[47:48]
	s_waitcnt vmcnt(56)
	v_fma_f64 v[31:32], v[1:2], v[33:34], -v[31:32]
	ds_read_b128 v[5:8], v61 offset:1488
	v_fma_f64 v[29:30], v[3:4], v[33:34], v[29:30]
	s_clause 0x2
	buffer_load_dword v44, off, s[0:3], 0 offset:748
	buffer_load_dword v34, off, s[0:3], 0 offset:724
	;; [unrolled: 1-line block ×3, first 2 shown]
	ds_read_b128 v[1:4], v61 offset:1504
	v_add_f64 v[13:14], v[13:14], v[39:40]
	v_add_f64 v[15:16], v[15:16], v[35:36]
	s_waitcnt vmcnt(58) lgkmcnt(1)
	v_mul_f64 v[39:40], v[7:8], v[51:52]
	s_waitcnt vmcnt(56)
	v_fma_f64 v[47:48], v[9:10], v[53:54], -v[46:47]
	v_mul_f64 v[35:36], v[5:6], v[51:52]
	v_add_f64 v[13:14], v[13:14], v[31:32]
	v_fma_f64 v[31:32], v[11:12], v[53:54], v[127:128]
	v_add_f64 v[15:16], v[15:16], v[29:30]
	s_clause 0x4
	buffer_load_dword v30, off, s[0:3], 0 offset:764
	buffer_load_dword v51, off, s[0:3], 0 offset:776
	;; [unrolled: 1-line block ×5, first 2 shown]
	s_waitcnt vmcnt(57) lgkmcnt(0)
	v_mul_f64 v[127:128], v[1:2], v[55:56]
	v_mul_f64 v[54:55], v[3:4], v[55:56]
	s_waitcnt vmcnt(56)
	v_fma_f64 v[39:40], v[5:6], v[41:42], -v[39:40]
	ds_read_b128 v[9:12], v61 offset:1520
	v_fma_f64 v[35:36], v[7:8], v[41:42], v[35:36]
	v_add_f64 v[13:14], v[13:14], v[47:48]
	v_add_f64 v[15:16], v[15:16], v[31:32]
	s_clause 0x2
	buffer_load_dword v52, off, s[0:3], 0 offset:780
	buffer_load_dword v32, off, s[0:3], 0 offset:756
	;; [unrolled: 1-line block ×3, first 2 shown]
	ds_read_b128 v[5:8], v61 offset:1536
	s_waitcnt vmcnt(58) lgkmcnt(1)
	v_mul_f64 v[47:48], v[11:12], v[57:58]
	s_waitcnt vmcnt(56)
	v_fma_f64 v[55:56], v[1:2], v[59:60], -v[54:55]
	v_mul_f64 v[41:42], v[9:10], v[57:58]
	v_add_f64 v[13:14], v[13:14], v[39:40]
	v_fma_f64 v[39:40], v[3:4], v[59:60], v[127:128]
	v_add_f64 v[15:16], v[15:16], v[35:36]
	s_clause 0x4
	buffer_load_dword v36, off, s[0:3], 0 offset:796
	buffer_load_dword v57, off, s[0:3], 0 offset:808
	;; [unrolled: 1-line block ×5, first 2 shown]
	s_waitcnt vmcnt(57) lgkmcnt(0)
	v_mul_f64 v[127:128], v[5:6], v[78:79]
	v_mul_f64 v[78:79], v[7:8], v[78:79]
	s_waitcnt vmcnt(56)
	v_fma_f64 v[47:48], v[9:10], v[49:50], -v[47:48]
	ds_read_b128 v[1:4], v61 offset:1552
	v_fma_f64 v[41:42], v[11:12], v[49:50], v[41:42]
	v_add_f64 v[13:14], v[13:14], v[55:56]
	v_add_f64 v[15:16], v[15:16], v[39:40]
	s_clause 0x2
	buffer_load_dword v58, off, s[0:3], 0 offset:812
	buffer_load_dword v40, off, s[0:3], 0 offset:788
	;; [unrolled: 1-line block ×3, first 2 shown]
	ds_read_b128 v[9:12], v61 offset:1568
	s_waitcnt vmcnt(58) lgkmcnt(1)
	v_mul_f64 v[55:56], v[3:4], v[84:85]
	s_waitcnt vmcnt(56)
	v_fma_f64 v[78:79], v[5:6], v[93:94], -v[78:79]
	v_mul_f64 v[49:50], v[1:2], v[84:85]
	v_add_f64 v[13:14], v[13:14], v[47:48]
	v_fma_f64 v[47:48], v[7:8], v[93:94], v[127:128]
	v_add_f64 v[15:16], v[15:16], v[41:42]
	s_clause 0x4
	buffer_load_dword v42, off, s[0:3], 0 offset:828
	buffer_load_dword v84, off, s[0:3], 0 offset:840
	;; [unrolled: 1-line block ×5, first 2 shown]
	ds_read_b128 v[5:8], v61 offset:1584
	s_waitcnt vmcnt(57) lgkmcnt(1)
	v_mul_f64 v[127:128], v[9:10], v[72:73]
	v_mul_f64 v[72:73], v[11:12], v[72:73]
	s_waitcnt vmcnt(56)
	v_fma_f64 v[55:56], v[1:2], v[86:87], -v[55:56]
	v_fma_f64 v[49:50], v[3:4], v[86:87], v[49:50]
	v_add_f64 v[13:14], v[13:14], v[78:79]
	v_add_f64 v[15:16], v[15:16], v[47:48]
	s_clause 0x2
	buffer_load_dword v85, off, s[0:3], 0 offset:844
	buffer_load_dword v48, off, s[0:3], 0 offset:820
	;; [unrolled: 1-line block ×3, first 2 shown]
	ds_read_b128 v[1:4], v61 offset:1600
	s_waitcnt vmcnt(58) lgkmcnt(1)
	v_mul_f64 v[86:87], v[7:8], v[123:124]
	v_mul_f64 v[78:79], v[5:6], v[123:124]
	s_waitcnt vmcnt(56)
	v_fma_f64 v[72:73], v[9:10], v[66:67], -v[72:73]
	v_add_f64 v[13:14], v[13:14], v[55:56]
	v_fma_f64 v[55:56], v[11:12], v[66:67], v[127:128]
	v_add_f64 v[15:16], v[15:16], v[49:50]
	s_clause 0x4
	buffer_load_dword v50, off, s[0:3], 0 offset:860
	buffer_load_dword v66, off, s[0:3], 0 offset:872
	buffer_load_dword v123, off, s[0:3], 0 offset:864
	buffer_load_dword v49, off, s[0:3], 0 offset:856
	buffer_load_dword v94, off, s[0:3], 0 offset:836
	ds_read_b128 v[9:12], v61 offset:1616
	s_waitcnt vmcnt(57) lgkmcnt(1)
	v_mul_f64 v[127:128], v[1:2], v[25:26]
	v_mul_f64 v[25:26], v[3:4], v[25:26]
	s_waitcnt vmcnt(56)
	v_fma_f64 v[86:87], v[5:6], v[125:126], -v[86:87]
	v_add_f64 v[13:14], v[13:14], v[72:73]
	v_fma_f64 v[72:73], v[7:8], v[125:126], v[78:79]
	v_add_f64 v[15:16], v[15:16], v[55:56]
	s_clause 0x2
	buffer_load_dword v67, off, s[0:3], 0 offset:876
	buffer_load_dword v56, off, s[0:3], 0 offset:852
	buffer_load_dword v55, off, s[0:3], 0 offset:848
	ds_read_b128 v[5:8], v61 offset:1632
	s_waitcnt vmcnt(58) lgkmcnt(1)
	v_mul_f64 v[78:79], v[9:10], v[74:75]
	v_mul_f64 v[74:75], v[11:12], v[74:75]
	s_waitcnt vmcnt(56)
	v_fma_f64 v[25:26], v[1:2], v[19:20], -v[25:26]
	v_fma_f64 v[19:20], v[3:4], v[19:20], v[127:128]
	v_add_f64 v[13:14], v[13:14], v[86:87]
	v_add_f64 v[15:16], v[15:16], v[72:73]
	s_clause 0x4
	buffer_load_dword v73, off, s[0:3], 0 offset:892
	buffer_load_dword v86, off, s[0:3], 0 offset:904
	buffer_load_dword v125, off, s[0:3], 0 offset:896
	buffer_load_dword v72, off, s[0:3], 0 offset:888
	buffer_load_dword v124, off, s[0:3], 0 offset:868
	ds_read_b128 v[1:4], v61 offset:1648
	s_waitcnt vmcnt(57) lgkmcnt(1)
	v_mul_f64 v[126:127], v[5:6], v[62:63]
	v_mul_f64 v[62:63], v[7:8], v[62:63]
	s_waitcnt vmcnt(56)
	v_fma_f64 v[74:75], v[9:10], v[95:96], -v[74:75]
	v_add_f64 v[13:14], v[13:14], v[25:26]
	v_fma_f64 v[25:26], v[11:12], v[95:96], v[78:79]
	v_add_f64 v[15:16], v[15:16], v[19:20]
	s_clause 0x2
	buffer_load_dword v87, off, s[0:3], 0 offset:908
	buffer_load_dword v20, off, s[0:3], 0 offset:884
	buffer_load_dword v19, off, s[0:3], 0 offset:880
	ds_read_b128 v[9:12], v61 offset:1664
	s_waitcnt vmcnt(58) lgkmcnt(1)
	v_mul_f64 v[78:79], v[1:2], v[64:65]
	v_mul_f64 v[64:65], v[3:4], v[64:65]
	s_waitcnt vmcnt(56)
	v_fma_f64 v[62:63], v[5:6], v[21:22], -v[62:63]
	v_fma_f64 v[21:22], v[7:8], v[21:22], v[126:127]
	v_add_f64 v[13:14], v[13:14], v[74:75]
	;; [unrolled: 28-line block ×3, first 2 shown]
	v_add_f64 v[15:16], v[15:16], v[62:63]
	s_clause 0x4
	buffer_load_dword v63, off, s[0:3], 0 offset:956
	buffer_load_dword v64, off, s[0:3], 0 offset:968
	;; [unrolled: 1-line block ×5, first 2 shown]
	ds_read_b128 v[9:12], v61 offset:1712
	s_waitcnt vmcnt(57) lgkmcnt(1)
	v_mul_f64 v[127:128], v[1:2], v[23:24]
	v_mul_f64 v[23:24], v[3:4], v[23:24]
	s_waitcnt vmcnt(56)
	v_fma_f64 v[37:38], v[5:6], v[70:71], -v[37:38]
	v_add_f64 v[13:14], v[13:14], v[17:18]
	v_fma_f64 v[17:18], v[7:8], v[70:71], v[76:77]
	v_add_f64 v[15:16], v[15:16], v[27:28]
	s_clause 0x2
	buffer_load_dword v65, off, s[0:3], 0 offset:972
	buffer_load_dword v28, off, s[0:3], 0 offset:948
	;; [unrolled: 1-line block ×3, first 2 shown]
	s_waitcnt vmcnt(58) lgkmcnt(0)
	v_mul_f64 v[70:71], v[9:10], v[43:44]
	v_mul_f64 v[43:44], v[11:12], v[43:44]
	ds_read_b128 v[5:8], v61 offset:1728
	s_waitcnt vmcnt(56)
	v_fma_f64 v[23:24], v[1:2], v[33:34], -v[23:24]
	v_fma_f64 v[33:34], v[3:4], v[33:34], v[127:128]
	v_add_f64 v[13:14], v[13:14], v[37:38]
	v_add_f64 v[15:16], v[15:16], v[17:18]
	s_clause 0x4
	buffer_load_dword v18, off, s[0:3], 0 offset:988
	buffer_load_dword v37, off, s[0:3], 0 offset:1000
	;; [unrolled: 1-line block ×5, first 2 shown]
	ds_read_b128 v[1:4], v61 offset:1744
	s_waitcnt vmcnt(57) lgkmcnt(1)
	v_mul_f64 v[127:128], v[5:6], v[29:30]
	v_mul_f64 v[29:30], v[7:8], v[29:30]
	s_waitcnt vmcnt(56)
	v_fma_f64 v[43:44], v[9:10], v[45:46], -v[43:44]
	v_add_f64 v[13:14], v[13:14], v[23:24]
	v_fma_f64 v[23:24], v[11:12], v[45:46], v[70:71]
	v_add_f64 v[15:16], v[15:16], v[33:34]
	s_clause 0x2
	buffer_load_dword v38, off, s[0:3], 0 offset:1004
	buffer_load_dword v34, off, s[0:3], 0 offset:980
	;; [unrolled: 1-line block ×3, first 2 shown]
	ds_read_b128 v[9:12], v61 offset:1760
	buffer_load_dword v77, off, s[0:3], 0 offset:996
	s_waitcnt vmcnt(59) lgkmcnt(1)
	v_mul_f64 v[45:46], v[1:2], v[51:52]
	v_mul_f64 v[51:52], v[3:4], v[51:52]
	s_waitcnt vmcnt(57)
	v_fma_f64 v[29:30], v[5:6], v[31:32], -v[29:30]
	v_fma_f64 v[31:32], v[7:8], v[31:32], v[127:128]
	ds_read_b128 v[5:8], v61 offset:1776
	v_add_f64 v[13:14], v[13:14], v[43:44]
	v_add_f64 v[15:16], v[15:16], v[23:24]
	s_waitcnt vmcnt(53) lgkmcnt(1)
	v_mul_f64 v[23:24], v[9:10], v[35:36]
	v_mul_f64 v[35:36], v[11:12], v[35:36]
	s_waitcnt vmcnt(52)
	v_fma_f64 v[43:44], v[1:2], v[53:54], -v[51:52]
	v_add_f64 v[13:14], v[13:14], v[29:30]
	v_fma_f64 v[29:30], v[3:4], v[53:54], v[45:46]
	v_add_f64 v[15:16], v[15:16], v[31:32]
	ds_read_b128 v[1:4], v61 offset:1792
	s_waitcnt vmcnt(51) lgkmcnt(1)
	v_mul_f64 v[45:46], v[7:8], v[57:58]
	v_mul_f64 v[31:32], v[5:6], v[57:58]
	s_waitcnt vmcnt(49)
	v_fma_f64 v[35:36], v[9:10], v[39:40], -v[35:36]
	v_fma_f64 v[23:24], v[11:12], v[39:40], v[23:24]
	v_add_f64 v[13:14], v[13:14], v[43:44]
	v_add_f64 v[15:16], v[15:16], v[29:30]
	s_clause 0x3
	buffer_load_dword v29, off, s[0:3], 0 offset:304
	buffer_load_dword v30, off, s[0:3], 0 offset:308
	;; [unrolled: 1-line block ×4, first 2 shown]
	ds_read_b128 v[9:12], v61 offset:1808
	s_waitcnt vmcnt(49) lgkmcnt(1)
	v_mul_f64 v[43:44], v[1:2], v[41:42]
	v_mul_f64 v[41:42], v[3:4], v[41:42]
	s_waitcnt vmcnt(48)
	v_fma_f64 v[45:46], v[5:6], v[59:60], -v[45:46]
	v_fma_f64 v[31:32], v[7:8], v[59:60], v[31:32]
	ds_read_b128 v[5:8], v61 offset:1824
	v_add_f64 v[13:14], v[13:14], v[35:36]
	v_add_f64 v[15:16], v[15:16], v[23:24]
	s_waitcnt vmcnt(47) lgkmcnt(1)
	v_mul_f64 v[35:36], v[11:12], v[84:85]
	v_mul_f64 v[23:24], v[9:10], v[84:85]
	s_waitcnt vmcnt(45)
	v_fma_f64 v[41:42], v[1:2], v[47:48], -v[41:42]
	v_fma_f64 v[43:44], v[3:4], v[47:48], v[43:44]
	ds_read_b128 v[1:4], v61 offset:1840
	v_add_f64 v[13:14], v[13:14], v[45:46]
	v_add_f64 v[15:16], v[15:16], v[31:32]
	s_waitcnt vmcnt(41) lgkmcnt(1)
	v_mul_f64 v[45:46], v[7:8], v[49:50]
	s_waitcnt vmcnt(40)
	v_fma_f64 v[35:36], v[9:10], v[93:94], -v[35:36]
	v_mul_f64 v[31:32], v[5:6], v[49:50]
	v_fma_f64 v[23:24], v[11:12], v[93:94], v[23:24]
	ds_read_b128 v[9:12], v61 offset:1856
	v_add_f64 v[13:14], v[13:14], v[41:42]
	v_add_f64 v[15:16], v[15:16], v[43:44]
	s_waitcnt vmcnt(39) lgkmcnt(1)
	v_mul_f64 v[43:44], v[3:4], v[66:67]
	v_mul_f64 v[41:42], v[1:2], v[66:67]
	s_waitcnt vmcnt(37)
	v_fma_f64 v[45:46], v[5:6], v[55:56], -v[45:46]
	v_fma_f64 v[31:32], v[7:8], v[55:56], v[31:32]
	ds_read_b128 v[5:8], v61 offset:1872
	v_add_f64 v[13:14], v[13:14], v[35:36]
	v_add_f64 v[15:16], v[15:16], v[23:24]
	s_waitcnt vmcnt(33) lgkmcnt(1)
	v_mul_f64 v[35:36], v[11:12], v[72:73]
	s_waitcnt vmcnt(32)
	v_fma_f64 v[43:44], v[1:2], v[123:124], -v[43:44]
	v_mul_f64 v[23:24], v[9:10], v[72:73]
	v_fma_f64 v[41:42], v[3:4], v[123:124], v[41:42]
	ds_read_b128 v[1:4], v61 offset:1888
	v_add_f64 v[13:14], v[13:14], v[45:46]
	v_add_f64 v[15:16], v[15:16], v[31:32]
	s_waitcnt vmcnt(31) lgkmcnt(1)
	v_mul_f64 v[45:46], v[7:8], v[86:87]
	v_mul_f64 v[31:32], v[5:6], v[86:87]
	s_waitcnt vmcnt(29)
	v_fma_f64 v[35:36], v[9:10], v[19:20], -v[35:36]
	v_fma_f64 v[19:20], v[11:12], v[19:20], v[23:24]
	ds_read_b128 v[9:12], v61 offset:1904
	v_add_f64 v[13:14], v[13:14], v[43:44]
	v_add_f64 v[15:16], v[15:16], v[41:42]
	s_waitcnt vmcnt(25) lgkmcnt(1)
	v_mul_f64 v[23:24], v[1:2], v[25:26]
	v_mul_f64 v[25:26], v[3:4], v[25:26]
	s_waitcnt vmcnt(24)
	v_fma_f64 v[41:42], v[5:6], v[125:126], -v[45:46]
	;; [unrolled: 9-line block ×3, first 2 shown]
	v_fma_f64 v[21:22], v[3:4], v[21:22], v[23:24]
	ds_read_b128 v[1:4], v61 offset:1936
	v_add_f64 v[13:14], v[13:14], v[41:42]
	v_add_f64 v[15:16], v[15:16], v[31:32]
	s_waitcnt vmcnt(17) lgkmcnt(1)
	v_mul_f64 v[31:32], v[7:8], v[62:63]
	s_waitcnt vmcnt(16)
	v_fma_f64 v[35:36], v[9:10], v[95:96], -v[35:36]
	v_mul_f64 v[23:24], v[5:6], v[62:63]
	v_fma_f64 v[19:20], v[11:12], v[95:96], v[19:20]
	ds_read_b128 v[9:12], v61 offset:1952
	v_add_f64 v[13:14], v[13:14], v[25:26]
	v_add_f64 v[15:16], v[15:16], v[21:22]
	s_waitcnt vmcnt(15) lgkmcnt(1)
	v_mul_f64 v[25:26], v[3:4], v[64:65]
	v_mul_f64 v[21:22], v[1:2], v[64:65]
	s_waitcnt vmcnt(13)
	v_fma_f64 v[31:32], v[5:6], v[27:28], -v[31:32]
	v_fma_f64 v[23:24], v[7:8], v[27:28], v[23:24]
	ds_read_b128 v[5:8], v61 offset:1968
	v_add_f64 v[13:14], v[13:14], v[35:36]
	v_add_f64 v[15:16], v[15:16], v[19:20]
	s_waitcnt vmcnt(9) lgkmcnt(1)
	v_mul_f64 v[19:20], v[9:10], v[17:18]
	v_mul_f64 v[17:18], v[11:12], v[17:18]
	s_waitcnt vmcnt(8)
	v_fma_f64 v[1:2], v[1:2], v[78:79], -v[25:26]
	v_fma_f64 v[3:4], v[3:4], v[78:79], v[21:22]
	v_add_f64 v[13:14], v[13:14], v[31:32]
	v_add_f64 v[15:16], v[15:16], v[23:24]
	s_waitcnt vmcnt(7) lgkmcnt(0)
	v_mul_f64 v[23:24], v[7:8], v[37:38]
	v_mul_f64 v[21:22], v[5:6], v[37:38]
	s_waitcnt vmcnt(5)
	v_fma_f64 v[9:10], v[9:10], v[33:34], -v[17:18]
	v_fma_f64 v[11:12], v[11:12], v[33:34], v[19:20]
	v_add_f64 v[1:2], v[13:14], v[1:2]
	v_add_f64 v[3:4], v[15:16], v[3:4]
	s_waitcnt vmcnt(4)
	v_fma_f64 v[5:6], v[5:6], v[76:77], -v[23:24]
	v_fma_f64 v[7:8], v[7:8], v[76:77], v[21:22]
	v_add_f64 v[1:2], v[1:2], v[9:10]
	v_add_f64 v[3:4], v[3:4], v[11:12]
	;; [unrolled: 1-line block ×4, first 2 shown]
	s_waitcnt vmcnt(2)
	v_add_f64 v[1:2], v[29:30], -v[1:2]
	s_waitcnt vmcnt(0)
	v_add_f64 v[3:4], v[39:40], -v[3:4]
	buffer_store_dword v2, off, s[0:3], 0 offset:308
	buffer_store_dword v1, off, s[0:3], 0 offset:304
	;; [unrolled: 1-line block ×4, first 2 shown]
	v_cmpx_lt_u32_e32 17, v0
	s_cbranch_execz .LBB61_363
; %bb.362:
	v_mov_b32_e32 v4, s60
	s_clause 0x3
	buffer_load_dword v1, v4, s[0:3], 0 offen
	buffer_load_dword v2, v4, s[0:3], 0 offen offset:4
	buffer_load_dword v3, v4, s[0:3], 0 offen offset:8
	;; [unrolled: 1-line block ×3, first 2 shown]
	buffer_store_dword v61, off, s[0:3], 0 offset:288
	buffer_store_dword v61, off, s[0:3], 0 offset:292
	;; [unrolled: 1-line block ×4, first 2 shown]
	s_waitcnt vmcnt(0)
	ds_write_b128 v69, v[1:4]
.LBB61_363:
	s_or_b32 exec_lo, exec_lo, s4
	s_waitcnt lgkmcnt(0)
	s_waitcnt_vscnt null, 0x0
	s_barrier
	buffer_gl0_inv
	s_clause 0x37
	buffer_load_dword v9, off, s[0:3], 0 offset:312
	buffer_load_dword v10, off, s[0:3], 0 offset:316
	;; [unrolled: 1-line block ×56, first 2 shown]
	ds_read_b128 v[62:65], v61 offset:1280
	s_clause 0x2
	buffer_load_dword v58, off, s[0:3], 0 offset:540
	buffer_load_dword v60, off, s[0:3], 0 offset:516
	;; [unrolled: 1-line block ×3, first 2 shown]
	ds_read_b128 v[70:73], v61 offset:1296
	s_clause 0x4
	buffer_load_dword v79, off, s[0:3], 0 offset:556
	buffer_load_dword v84, off, s[0:3], 0 offset:568
	;; [unrolled: 1-line block ×5, first 2 shown]
	ds_read_b128 v[74:77], v61 offset:1312
	s_clause 0x2
	buffer_load_dword v85, off, s[0:3], 0 offset:572
	buffer_load_dword v94, off, s[0:3], 0 offset:548
	;; [unrolled: 1-line block ×3, first 2 shown]
	s_mov_b32 s4, exec_lo
	s_waitcnt vmcnt(62) lgkmcnt(2)
	v_mul_f64 v[66:67], v[64:65], v[9:10]
	v_mul_f64 v[9:10], v[62:63], v[9:10]
	s_waitcnt lgkmcnt(1)
	v_mul_f64 v[87:88], v[72:73], v[5:6]
	s_waitcnt vmcnt(59) lgkmcnt(0)
	v_mul_f64 v[95:96], v[76:77], v[3:4]
	v_fma_f64 v[62:63], v[62:63], v[7:8], -v[66:67]
	v_mul_f64 v[66:67], v[70:71], v[5:6]
	v_fma_f64 v[9:10], v[64:65], v[7:8], v[9:10]
	s_waitcnt vmcnt(57)
	v_fma_f64 v[70:71], v[70:71], v[1:2], -v[87:88]
	ds_read_b128 v[5:8], v61 offset:1328
	v_mul_f64 v[64:65], v[74:75], v[3:4]
	s_waitcnt vmcnt(51)
	v_fma_f64 v[74:75], v[74:75], v[25:26], -v[95:96]
	v_add_f64 v[62:63], v[62:63], 0
	v_fma_f64 v[66:67], v[72:73], v[1:2], v[66:67]
	v_add_f64 v[9:10], v[9:10], 0
	s_clause 0x4
	buffer_load_dword v73, off, s[0:3], 0 offset:588
	buffer_load_dword v123, off, s[0:3], 0 offset:600
	;; [unrolled: 1-line block ×5, first 2 shown]
	s_waitcnt lgkmcnt(0)
	v_mul_f64 v[126:127], v[5:6], v[13:14]
	v_mul_f64 v[13:14], v[7:8], v[13:14]
	ds_read_b128 v[1:4], v61 offset:1344
	v_fma_f64 v[25:26], v[76:77], v[25:26], v[64:65]
	v_add_f64 v[70:71], v[62:63], v[70:71]
	v_add_f64 v[9:10], v[9:10], v[66:67]
	s_clause 0x2
	buffer_load_dword v124, off, s[0:3], 0 offset:604
	buffer_load_dword v67, off, s[0:3], 0 offset:580
	;; [unrolled: 1-line block ×3, first 2 shown]
	s_waitcnt vmcnt(58) lgkmcnt(0)
	v_mul_f64 v[76:77], v[1:2], v[17:18]
	v_mul_f64 v[17:18], v[3:4], v[17:18]
	s_waitcnt vmcnt(56)
	v_fma_f64 v[13:14], v[5:6], v[19:20], -v[13:14]
	ds_read_b128 v[62:65], v61 offset:1360
	v_fma_f64 v[19:20], v[7:8], v[19:20], v[126:127]
	v_add_f64 v[70:71], v[70:71], v[74:75]
	v_add_f64 v[9:10], v[9:10], v[25:26]
	s_clause 0x4
	buffer_load_dword v26, off, s[0:3], 0 offset:620
	buffer_load_dword v74, off, s[0:3], 0 offset:632
	;; [unrolled: 1-line block ×5, first 2 shown]
	ds_read_b128 v[5:8], v61 offset:1376
	s_waitcnt vmcnt(57) lgkmcnt(1)
	v_mul_f64 v[127:128], v[62:63], v[21:22]
	v_mul_f64 v[21:22], v[64:65], v[21:22]
	s_waitcnt vmcnt(56)
	v_fma_f64 v[17:18], v[1:2], v[11:12], -v[17:18]
	v_fma_f64 v[11:12], v[3:4], v[11:12], v[76:77]
	v_add_f64 v[13:14], v[70:71], v[13:14]
	v_add_f64 v[9:10], v[9:10], v[19:20]
	s_clause 0x2
	buffer_load_dword v75, off, s[0:3], 0 offset:636
	buffer_load_dword v20, off, s[0:3], 0 offset:612
	;; [unrolled: 1-line block ×3, first 2 shown]
	s_waitcnt vmcnt(58) lgkmcnt(0)
	v_mul_f64 v[70:71], v[5:6], v[27:28]
	v_mul_f64 v[27:28], v[7:8], v[27:28]
	s_waitcnt vmcnt(56)
	v_fma_f64 v[21:22], v[62:63], v[29:30], -v[21:22]
	ds_read_b128 v[1:4], v61 offset:1392
	v_add_f64 v[13:14], v[13:14], v[17:18]
	v_fma_f64 v[17:18], v[64:65], v[29:30], v[127:128]
	v_add_f64 v[29:30], v[9:10], v[11:12]
	s_clause 0x4
	buffer_load_dword v63, off, s[0:3], 0 offset:652
	buffer_load_dword v64, off, s[0:3], 0 offset:664
	;; [unrolled: 1-line block ×5, first 2 shown]
	ds_read_b128 v[9:12], v61 offset:1408
	s_waitcnt vmcnt(57) lgkmcnt(1)
	v_mul_f64 v[127:128], v[1:2], v[31:32]
	v_mul_f64 v[31:32], v[3:4], v[31:32]
	s_waitcnt vmcnt(56)
	v_fma_f64 v[27:28], v[5:6], v[15:16], -v[27:28]
	v_fma_f64 v[15:16], v[7:8], v[15:16], v[70:71]
	v_add_f64 v[13:14], v[13:14], v[21:22]
	s_clause 0x2
	buffer_load_dword v65, off, s[0:3], 0 offset:668
	buffer_load_dword v22, off, s[0:3], 0 offset:644
	buffer_load_dword v21, off, s[0:3], 0 offset:640
	v_add_f64 v[17:18], v[29:30], v[17:18]
	s_waitcnt vmcnt(58) lgkmcnt(0)
	v_mul_f64 v[29:30], v[9:10], v[35:36]
	v_mul_f64 v[35:36], v[11:12], v[35:36]
	ds_read_b128 v[5:8], v61 offset:1424
	s_waitcnt vmcnt(56)
	v_fma_f64 v[31:32], v[1:2], v[37:38], -v[31:32]
	v_add_f64 v[13:14], v[13:14], v[27:28]
	v_fma_f64 v[27:28], v[3:4], v[37:38], v[127:128]
	v_add_f64 v[15:16], v[17:18], v[15:16]
	s_clause 0x4
	buffer_load_dword v18, off, s[0:3], 0 offset:684
	buffer_load_dword v37, off, s[0:3], 0 offset:696
	;; [unrolled: 1-line block ×5, first 2 shown]
	s_waitcnt vmcnt(57) lgkmcnt(0)
	v_mul_f64 v[127:128], v[5:6], v[39:40]
	v_mul_f64 v[39:40], v[7:8], v[39:40]
	s_waitcnt vmcnt(56)
	v_fma_f64 v[35:36], v[9:10], v[23:24], -v[35:36]
	ds_read_b128 v[1:4], v61 offset:1440
	v_fma_f64 v[23:24], v[11:12], v[23:24], v[29:30]
	v_add_f64 v[13:14], v[13:14], v[31:32]
	v_add_f64 v[15:16], v[15:16], v[27:28]
	s_clause 0x2
	buffer_load_dword v38, off, s[0:3], 0 offset:700
	buffer_load_dword v28, off, s[0:3], 0 offset:676
	;; [unrolled: 1-line block ×3, first 2 shown]
	ds_read_b128 v[9:12], v61 offset:1456
	s_waitcnt vmcnt(58) lgkmcnt(1)
	v_mul_f64 v[31:32], v[3:4], v[43:44]
	s_waitcnt vmcnt(56)
	v_fma_f64 v[39:40], v[5:6], v[45:46], -v[39:40]
	v_mul_f64 v[29:30], v[1:2], v[43:44]
	v_add_f64 v[13:14], v[13:14], v[35:36]
	v_fma_f64 v[35:36], v[7:8], v[45:46], v[127:128]
	v_add_f64 v[15:16], v[15:16], v[23:24]
	s_clause 0x4
	buffer_load_dword v24, off, s[0:3], 0 offset:716
	buffer_load_dword v43, off, s[0:3], 0 offset:728
	;; [unrolled: 1-line block ×5, first 2 shown]
	s_waitcnt vmcnt(57) lgkmcnt(0)
	v_mul_f64 v[127:128], v[9:10], v[47:48]
	v_mul_f64 v[46:47], v[11:12], v[47:48]
	s_waitcnt vmcnt(56)
	v_fma_f64 v[31:32], v[1:2], v[33:34], -v[31:32]
	ds_read_b128 v[5:8], v61 offset:1472
	v_fma_f64 v[29:30], v[3:4], v[33:34], v[29:30]
	s_clause 0x2
	buffer_load_dword v44, off, s[0:3], 0 offset:732
	buffer_load_dword v34, off, s[0:3], 0 offset:708
	;; [unrolled: 1-line block ×3, first 2 shown]
	ds_read_b128 v[1:4], v61 offset:1488
	v_add_f64 v[13:14], v[13:14], v[39:40]
	v_add_f64 v[15:16], v[15:16], v[35:36]
	s_waitcnt vmcnt(58) lgkmcnt(1)
	v_mul_f64 v[39:40], v[7:8], v[51:52]
	s_waitcnt vmcnt(56)
	v_fma_f64 v[47:48], v[9:10], v[53:54], -v[46:47]
	v_mul_f64 v[35:36], v[5:6], v[51:52]
	v_add_f64 v[13:14], v[13:14], v[31:32]
	v_fma_f64 v[31:32], v[11:12], v[53:54], v[127:128]
	v_add_f64 v[15:16], v[15:16], v[29:30]
	s_clause 0x4
	buffer_load_dword v30, off, s[0:3], 0 offset:748
	buffer_load_dword v51, off, s[0:3], 0 offset:760
	;; [unrolled: 1-line block ×5, first 2 shown]
	s_waitcnt vmcnt(57) lgkmcnt(0)
	v_mul_f64 v[127:128], v[1:2], v[55:56]
	v_mul_f64 v[54:55], v[3:4], v[55:56]
	s_waitcnt vmcnt(56)
	v_fma_f64 v[39:40], v[5:6], v[41:42], -v[39:40]
	ds_read_b128 v[9:12], v61 offset:1504
	v_fma_f64 v[35:36], v[7:8], v[41:42], v[35:36]
	v_add_f64 v[13:14], v[13:14], v[47:48]
	v_add_f64 v[15:16], v[15:16], v[31:32]
	s_clause 0x2
	buffer_load_dword v52, off, s[0:3], 0 offset:764
	buffer_load_dword v32, off, s[0:3], 0 offset:740
	buffer_load_dword v31, off, s[0:3], 0 offset:736
	ds_read_b128 v[5:8], v61 offset:1520
	s_waitcnt vmcnt(58) lgkmcnt(1)
	v_mul_f64 v[47:48], v[11:12], v[57:58]
	s_waitcnt vmcnt(56)
	v_fma_f64 v[55:56], v[1:2], v[59:60], -v[54:55]
	v_mul_f64 v[41:42], v[9:10], v[57:58]
	v_add_f64 v[13:14], v[13:14], v[39:40]
	v_fma_f64 v[39:40], v[3:4], v[59:60], v[127:128]
	v_add_f64 v[15:16], v[15:16], v[35:36]
	s_clause 0x4
	buffer_load_dword v36, off, s[0:3], 0 offset:780
	buffer_load_dword v57, off, s[0:3], 0 offset:792
	;; [unrolled: 1-line block ×5, first 2 shown]
	s_waitcnt vmcnt(57) lgkmcnt(0)
	v_mul_f64 v[127:128], v[5:6], v[78:79]
	v_mul_f64 v[78:79], v[7:8], v[78:79]
	s_waitcnt vmcnt(56)
	v_fma_f64 v[47:48], v[9:10], v[49:50], -v[47:48]
	ds_read_b128 v[1:4], v61 offset:1536
	v_fma_f64 v[41:42], v[11:12], v[49:50], v[41:42]
	v_add_f64 v[13:14], v[13:14], v[55:56]
	v_add_f64 v[15:16], v[15:16], v[39:40]
	s_clause 0x2
	buffer_load_dword v58, off, s[0:3], 0 offset:796
	buffer_load_dword v40, off, s[0:3], 0 offset:772
	;; [unrolled: 1-line block ×3, first 2 shown]
	ds_read_b128 v[9:12], v61 offset:1552
	s_waitcnt vmcnt(58) lgkmcnt(1)
	v_mul_f64 v[55:56], v[3:4], v[84:85]
	s_waitcnt vmcnt(56)
	v_fma_f64 v[78:79], v[5:6], v[93:94], -v[78:79]
	v_mul_f64 v[49:50], v[1:2], v[84:85]
	v_add_f64 v[13:14], v[13:14], v[47:48]
	v_fma_f64 v[47:48], v[7:8], v[93:94], v[127:128]
	v_add_f64 v[15:16], v[15:16], v[41:42]
	s_clause 0x4
	buffer_load_dword v42, off, s[0:3], 0 offset:812
	buffer_load_dword v84, off, s[0:3], 0 offset:824
	;; [unrolled: 1-line block ×5, first 2 shown]
	ds_read_b128 v[5:8], v61 offset:1568
	s_waitcnt vmcnt(57) lgkmcnt(1)
	v_mul_f64 v[127:128], v[9:10], v[72:73]
	v_mul_f64 v[72:73], v[11:12], v[72:73]
	s_waitcnt vmcnt(56)
	v_fma_f64 v[55:56], v[1:2], v[86:87], -v[55:56]
	v_fma_f64 v[49:50], v[3:4], v[86:87], v[49:50]
	v_add_f64 v[13:14], v[13:14], v[78:79]
	v_add_f64 v[15:16], v[15:16], v[47:48]
	s_clause 0x2
	buffer_load_dword v85, off, s[0:3], 0 offset:828
	buffer_load_dword v48, off, s[0:3], 0 offset:804
	;; [unrolled: 1-line block ×3, first 2 shown]
	ds_read_b128 v[1:4], v61 offset:1584
	s_waitcnt vmcnt(58) lgkmcnt(1)
	v_mul_f64 v[86:87], v[7:8], v[123:124]
	v_mul_f64 v[78:79], v[5:6], v[123:124]
	s_waitcnt vmcnt(56)
	v_fma_f64 v[72:73], v[9:10], v[66:67], -v[72:73]
	v_add_f64 v[13:14], v[13:14], v[55:56]
	v_fma_f64 v[55:56], v[11:12], v[66:67], v[127:128]
	v_add_f64 v[15:16], v[15:16], v[49:50]
	s_clause 0x4
	buffer_load_dword v50, off, s[0:3], 0 offset:844
	buffer_load_dword v66, off, s[0:3], 0 offset:856
	buffer_load_dword v123, off, s[0:3], 0 offset:848
	buffer_load_dword v49, off, s[0:3], 0 offset:840
	buffer_load_dword v94, off, s[0:3], 0 offset:820
	ds_read_b128 v[9:12], v61 offset:1600
	s_waitcnt vmcnt(57) lgkmcnt(1)
	v_mul_f64 v[127:128], v[1:2], v[25:26]
	v_mul_f64 v[25:26], v[3:4], v[25:26]
	s_waitcnt vmcnt(56)
	v_fma_f64 v[86:87], v[5:6], v[125:126], -v[86:87]
	v_add_f64 v[13:14], v[13:14], v[72:73]
	v_fma_f64 v[72:73], v[7:8], v[125:126], v[78:79]
	v_add_f64 v[15:16], v[15:16], v[55:56]
	s_clause 0x2
	buffer_load_dword v67, off, s[0:3], 0 offset:860
	buffer_load_dword v56, off, s[0:3], 0 offset:836
	buffer_load_dword v55, off, s[0:3], 0 offset:832
	ds_read_b128 v[5:8], v61 offset:1616
	s_waitcnt vmcnt(58) lgkmcnt(1)
	v_mul_f64 v[78:79], v[9:10], v[74:75]
	v_mul_f64 v[74:75], v[11:12], v[74:75]
	s_waitcnt vmcnt(56)
	v_fma_f64 v[25:26], v[1:2], v[19:20], -v[25:26]
	v_fma_f64 v[19:20], v[3:4], v[19:20], v[127:128]
	v_add_f64 v[13:14], v[13:14], v[86:87]
	v_add_f64 v[15:16], v[15:16], v[72:73]
	s_clause 0x4
	buffer_load_dword v73, off, s[0:3], 0 offset:876
	buffer_load_dword v86, off, s[0:3], 0 offset:888
	buffer_load_dword v125, off, s[0:3], 0 offset:880
	buffer_load_dword v72, off, s[0:3], 0 offset:872
	buffer_load_dword v124, off, s[0:3], 0 offset:852
	ds_read_b128 v[1:4], v61 offset:1632
	s_waitcnt vmcnt(57) lgkmcnt(1)
	v_mul_f64 v[126:127], v[5:6], v[62:63]
	v_mul_f64 v[62:63], v[7:8], v[62:63]
	s_waitcnt vmcnt(56)
	v_fma_f64 v[74:75], v[9:10], v[95:96], -v[74:75]
	v_add_f64 v[13:14], v[13:14], v[25:26]
	v_fma_f64 v[25:26], v[11:12], v[95:96], v[78:79]
	v_add_f64 v[15:16], v[15:16], v[19:20]
	s_clause 0x2
	buffer_load_dword v87, off, s[0:3], 0 offset:892
	buffer_load_dword v20, off, s[0:3], 0 offset:868
	buffer_load_dword v19, off, s[0:3], 0 offset:864
	ds_read_b128 v[9:12], v61 offset:1648
	s_waitcnt vmcnt(58) lgkmcnt(1)
	v_mul_f64 v[78:79], v[1:2], v[64:65]
	v_mul_f64 v[64:65], v[3:4], v[64:65]
	s_waitcnt vmcnt(56)
	v_fma_f64 v[62:63], v[5:6], v[21:22], -v[62:63]
	v_fma_f64 v[21:22], v[7:8], v[21:22], v[126:127]
	v_add_f64 v[13:14], v[13:14], v[74:75]
	;; [unrolled: 28-line block ×3, first 2 shown]
	v_add_f64 v[15:16], v[15:16], v[62:63]
	s_clause 0x4
	buffer_load_dword v63, off, s[0:3], 0 offset:940
	buffer_load_dword v64, off, s[0:3], 0 offset:952
	;; [unrolled: 1-line block ×5, first 2 shown]
	ds_read_b128 v[9:12], v61 offset:1696
	s_waitcnt vmcnt(57) lgkmcnt(1)
	v_mul_f64 v[127:128], v[1:2], v[23:24]
	v_mul_f64 v[23:24], v[3:4], v[23:24]
	s_waitcnt vmcnt(56)
	v_fma_f64 v[37:38], v[5:6], v[70:71], -v[37:38]
	v_add_f64 v[13:14], v[13:14], v[17:18]
	v_fma_f64 v[17:18], v[7:8], v[70:71], v[76:77]
	v_add_f64 v[15:16], v[15:16], v[27:28]
	s_clause 0x2
	buffer_load_dword v65, off, s[0:3], 0 offset:956
	buffer_load_dword v28, off, s[0:3], 0 offset:932
	;; [unrolled: 1-line block ×3, first 2 shown]
	s_waitcnt vmcnt(58) lgkmcnt(0)
	v_mul_f64 v[70:71], v[9:10], v[43:44]
	v_mul_f64 v[43:44], v[11:12], v[43:44]
	ds_read_b128 v[5:8], v61 offset:1712
	s_waitcnt vmcnt(56)
	v_fma_f64 v[23:24], v[1:2], v[33:34], -v[23:24]
	v_fma_f64 v[33:34], v[3:4], v[33:34], v[127:128]
	v_add_f64 v[13:14], v[13:14], v[37:38]
	v_add_f64 v[15:16], v[15:16], v[17:18]
	s_clause 0x4
	buffer_load_dword v18, off, s[0:3], 0 offset:972
	buffer_load_dword v37, off, s[0:3], 0 offset:984
	;; [unrolled: 1-line block ×5, first 2 shown]
	ds_read_b128 v[1:4], v61 offset:1728
	s_waitcnt vmcnt(57) lgkmcnt(1)
	v_mul_f64 v[127:128], v[5:6], v[29:30]
	v_mul_f64 v[29:30], v[7:8], v[29:30]
	s_waitcnt vmcnt(56)
	v_fma_f64 v[43:44], v[9:10], v[45:46], -v[43:44]
	v_add_f64 v[13:14], v[13:14], v[23:24]
	v_fma_f64 v[23:24], v[11:12], v[45:46], v[70:71]
	v_add_f64 v[15:16], v[15:16], v[33:34]
	s_clause 0x2
	buffer_load_dword v38, off, s[0:3], 0 offset:988
	buffer_load_dword v34, off, s[0:3], 0 offset:964
	;; [unrolled: 1-line block ×3, first 2 shown]
	ds_read_b128 v[9:12], v61 offset:1744
	s_waitcnt vmcnt(58) lgkmcnt(1)
	v_mul_f64 v[45:46], v[1:2], v[51:52]
	v_mul_f64 v[51:52], v[3:4], v[51:52]
	s_waitcnt vmcnt(56)
	v_fma_f64 v[29:30], v[5:6], v[31:32], -v[29:30]
	v_fma_f64 v[31:32], v[7:8], v[31:32], v[127:128]
	v_add_f64 v[13:14], v[13:14], v[43:44]
	v_add_f64 v[15:16], v[15:16], v[23:24]
	s_clause 0x2
	buffer_load_dword v24, off, s[0:3], 0 offset:1004
	buffer_load_dword v23, off, s[0:3], 0 offset:1000
	;; [unrolled: 1-line block ×3, first 2 shown]
	ds_read_b128 v[5:8], v61 offset:1760
	s_waitcnt vmcnt(55) lgkmcnt(1)
	v_mul_f64 v[43:44], v[9:10], v[35:36]
	v_mul_f64 v[35:36], v[11:12], v[35:36]
	s_waitcnt vmcnt(54)
	v_fma_f64 v[51:52], v[1:2], v[53:54], -v[51:52]
	v_add_f64 v[13:14], v[13:14], v[29:30]
	v_fma_f64 v[29:30], v[3:4], v[53:54], v[45:46]
	v_add_f64 v[15:16], v[15:16], v[31:32]
	s_clause 0x1
	buffer_load_dword v32, off, s[0:3], 0 offset:996
	buffer_load_dword v31, off, s[0:3], 0 offset:992
	ds_read_b128 v[1:4], v61 offset:1776
	s_waitcnt vmcnt(55) lgkmcnt(1)
	v_mul_f64 v[53:54], v[7:8], v[57:58]
	v_mul_f64 v[45:46], v[5:6], v[57:58]
	s_waitcnt vmcnt(53)
	v_fma_f64 v[35:36], v[9:10], v[39:40], -v[35:36]
	v_fma_f64 v[39:40], v[11:12], v[39:40], v[43:44]
	ds_read_b128 v[9:12], v61 offset:1792
	v_add_f64 v[13:14], v[13:14], v[51:52]
	v_add_f64 v[15:16], v[15:16], v[29:30]
	s_waitcnt vmcnt(49) lgkmcnt(1)
	v_mul_f64 v[29:30], v[1:2], v[41:42]
	v_mul_f64 v[41:42], v[3:4], v[41:42]
	s_waitcnt vmcnt(48)
	v_fma_f64 v[43:44], v[5:6], v[59:60], -v[53:54]
	v_add_f64 v[13:14], v[13:14], v[35:36]
	v_fma_f64 v[35:36], v[7:8], v[59:60], v[45:46]
	v_add_f64 v[15:16], v[15:16], v[39:40]
	s_clause 0x3
	buffer_load_dword v39, off, s[0:3], 0 offset:288
	buffer_load_dword v40, off, s[0:3], 0 offset:292
	;; [unrolled: 1-line block ×4, first 2 shown]
	ds_read_b128 v[5:8], v61 offset:1808
	s_waitcnt vmcnt(51) lgkmcnt(1)
	v_mul_f64 v[53:54], v[11:12], v[84:85]
	v_mul_f64 v[51:52], v[9:10], v[84:85]
	s_waitcnt vmcnt(49)
	v_fma_f64 v[41:42], v[1:2], v[47:48], -v[41:42]
	v_fma_f64 v[29:30], v[3:4], v[47:48], v[29:30]
	ds_read_b128 v[1:4], v61 offset:1824
	v_add_f64 v[13:14], v[13:14], v[43:44]
	v_add_f64 v[15:16], v[15:16], v[35:36]
	s_waitcnt vmcnt(45) lgkmcnt(1)
	v_mul_f64 v[43:44], v[7:8], v[49:50]
	s_waitcnt vmcnt(44)
	v_fma_f64 v[47:48], v[9:10], v[93:94], -v[53:54]
	v_mul_f64 v[35:36], v[5:6], v[49:50]
	v_add_f64 v[13:14], v[13:14], v[41:42]
	v_fma_f64 v[41:42], v[11:12], v[93:94], v[51:52]
	v_add_f64 v[15:16], v[15:16], v[29:30]
	ds_read_b128 v[9:12], v61 offset:1840
	s_waitcnt vmcnt(43) lgkmcnt(1)
	v_mul_f64 v[49:50], v[3:4], v[66:67]
	v_mul_f64 v[29:30], v[1:2], v[66:67]
	s_waitcnt vmcnt(41)
	v_fma_f64 v[43:44], v[5:6], v[55:56], -v[43:44]
	v_fma_f64 v[35:36], v[7:8], v[55:56], v[35:36]
	ds_read_b128 v[5:8], v61 offset:1856
	v_add_f64 v[13:14], v[13:14], v[47:48]
	v_add_f64 v[15:16], v[15:16], v[41:42]
	s_waitcnt vmcnt(37) lgkmcnt(1)
	v_mul_f64 v[47:48], v[11:12], v[72:73]
	s_waitcnt vmcnt(36)
	v_fma_f64 v[49:50], v[1:2], v[123:124], -v[49:50]
	v_mul_f64 v[41:42], v[9:10], v[72:73]
	v_fma_f64 v[29:30], v[3:4], v[123:124], v[29:30]
	ds_read_b128 v[1:4], v61 offset:1872
	v_add_f64 v[13:14], v[13:14], v[43:44]
	v_add_f64 v[15:16], v[15:16], v[35:36]
	s_waitcnt vmcnt(35) lgkmcnt(1)
	v_mul_f64 v[43:44], v[7:8], v[86:87]
	v_mul_f64 v[35:36], v[5:6], v[86:87]
	s_waitcnt vmcnt(33)
	v_fma_f64 v[47:48], v[9:10], v[19:20], -v[47:48]
	v_fma_f64 v[19:20], v[11:12], v[19:20], v[41:42]
	ds_read_b128 v[9:12], v61 offset:1888
	v_add_f64 v[13:14], v[13:14], v[49:50]
	v_add_f64 v[15:16], v[15:16], v[29:30]
	s_waitcnt vmcnt(29) lgkmcnt(1)
	v_mul_f64 v[29:30], v[1:2], v[25:26]
	v_mul_f64 v[25:26], v[3:4], v[25:26]
	s_waitcnt vmcnt(28)
	v_fma_f64 v[41:42], v[5:6], v[125:126], -v[43:44]
	;; [unrolled: 9-line block ×3, first 2 shown]
	v_fma_f64 v[21:22], v[3:4], v[21:22], v[29:30]
	ds_read_b128 v[1:4], v61 offset:1920
	v_add_f64 v[13:14], v[13:14], v[41:42]
	v_add_f64 v[15:16], v[15:16], v[35:36]
	s_waitcnt vmcnt(21) lgkmcnt(1)
	v_mul_f64 v[35:36], v[7:8], v[62:63]
	s_waitcnt vmcnt(20)
	v_fma_f64 v[41:42], v[9:10], v[95:96], -v[43:44]
	v_mul_f64 v[29:30], v[5:6], v[62:63]
	v_fma_f64 v[19:20], v[11:12], v[95:96], v[19:20]
	ds_read_b128 v[9:12], v61 offset:1936
	v_add_f64 v[13:14], v[13:14], v[25:26]
	v_add_f64 v[15:16], v[15:16], v[21:22]
	s_waitcnt vmcnt(19) lgkmcnt(1)
	v_mul_f64 v[25:26], v[3:4], v[64:65]
	v_mul_f64 v[21:22], v[1:2], v[64:65]
	s_waitcnt vmcnt(17)
	v_fma_f64 v[35:36], v[5:6], v[27:28], -v[35:36]
	v_fma_f64 v[27:28], v[7:8], v[27:28], v[29:30]
	ds_read_b128 v[5:8], v61 offset:1952
	v_add_f64 v[13:14], v[13:14], v[41:42]
	v_add_f64 v[15:16], v[15:16], v[19:20]
	s_waitcnt vmcnt(13) lgkmcnt(1)
	v_mul_f64 v[19:20], v[9:10], v[17:18]
	v_mul_f64 v[17:18], v[11:12], v[17:18]
	s_waitcnt vmcnt(12)
	v_fma_f64 v[25:26], v[1:2], v[78:79], -v[25:26]
	;; [unrolled: 9-line block ×3, first 2 shown]
	v_fma_f64 v[11:12], v[11:12], v[33:34], v[19:20]
	v_add_f64 v[13:14], v[13:14], v[25:26]
	v_add_f64 v[15:16], v[15:16], v[21:22]
	s_waitcnt vmcnt(7) lgkmcnt(0)
	v_mul_f64 v[19:20], v[3:4], v[23:24]
	s_waitcnt vmcnt(6)
	v_fma_f64 v[5:6], v[5:6], v[76:77], -v[29:30]
	v_mul_f64 v[17:18], v[1:2], v[23:24]
	v_fma_f64 v[7:8], v[7:8], v[76:77], v[27:28]
	v_add_f64 v[9:10], v[13:14], v[9:10]
	v_add_f64 v[11:12], v[15:16], v[11:12]
	s_waitcnt vmcnt(4)
	v_fma_f64 v[1:2], v[1:2], v[31:32], -v[19:20]
	v_fma_f64 v[3:4], v[3:4], v[31:32], v[17:18]
	v_add_f64 v[5:6], v[9:10], v[5:6]
	v_add_f64 v[7:8], v[11:12], v[7:8]
	;; [unrolled: 1-line block ×4, first 2 shown]
	s_waitcnt vmcnt(2)
	v_add_f64 v[1:2], v[39:40], -v[1:2]
	s_waitcnt vmcnt(0)
	v_add_f64 v[3:4], v[45:46], -v[3:4]
	buffer_store_dword v2, off, s[0:3], 0 offset:292
	buffer_store_dword v1, off, s[0:3], 0 offset:288
	;; [unrolled: 1-line block ×4, first 2 shown]
	v_cmpx_lt_u32_e32 16, v0
	s_cbranch_execz .LBB61_365
; %bb.364:
	v_mov_b32_e32 v4, s61
	v_mov_b32_e32 v5, 0
	s_clause 0x3
	buffer_load_dword v1, v4, s[0:3], 0 offen
	buffer_load_dword v2, v4, s[0:3], 0 offen offset:4
	buffer_load_dword v3, v4, s[0:3], 0 offen offset:8
	;; [unrolled: 1-line block ×3, first 2 shown]
	buffer_store_dword v5, off, s[0:3], 0 offset:272
	buffer_store_dword v5, off, s[0:3], 0 offset:276
	;; [unrolled: 1-line block ×4, first 2 shown]
	s_waitcnt vmcnt(0)
	ds_write_b128 v69, v[1:4]
.LBB61_365:
	s_or_b32 exec_lo, exec_lo, s4
	s_waitcnt lgkmcnt(0)
	s_waitcnt_vscnt null, 0x0
	s_barrier
	buffer_gl0_inv
	s_clause 0x37
	buffer_load_dword v13, off, s[0:3], 0 offset:296
	buffer_load_dword v14, off, s[0:3], 0 offset:300
	;; [unrolled: 1-line block ×56, first 2 shown]
	v_mov_b32_e32 v70, 0
	s_mov_b32 s4, exec_lo
	ds_read_b128 v[65:68], v70 offset:1264
	s_clause 0x2
	buffer_load_dword v62, off, s[0:3], 0 offset:524
	buffer_load_dword v64, off, s[0:3], 0 offset:500
	;; [unrolled: 1-line block ×3, first 2 shown]
	ds_read_b128 v[1:4], v70 offset:1280
	s_clause 0x4
	buffer_load_dword v78, off, s[0:3], 0 offset:540
	buffer_load_dword v84, off, s[0:3], 0 offset:552
	;; [unrolled: 1-line block ×5, first 2 shown]
	ds_read_b128 v[71:74], v70 offset:1296
	s_waitcnt vmcnt(62) lgkmcnt(2)
	v_mul_f64 v[75:76], v[67:68], v[13:14]
	v_mul_f64 v[13:14], v[65:66], v[13:14]
	s_waitcnt vmcnt(60) lgkmcnt(1)
	v_mul_f64 v[87:88], v[3:4], v[9:10]
	s_waitcnt vmcnt(56) lgkmcnt(0)
	v_mul_f64 v[93:94], v[71:72], v[7:8]
	v_mul_f64 v[7:8], v[73:74], v[7:8]
	v_fma_f64 v[65:66], v[65:66], v[11:12], -v[75:76]
	v_mul_f64 v[75:76], v[1:2], v[9:10]
	v_fma_f64 v[13:14], v[67:68], v[11:12], v[13:14]
	s_clause 0x2
	buffer_load_dword v85, off, s[0:3], 0 offset:556
	buffer_load_dword v68, off, s[0:3], 0 offset:532
	;; [unrolled: 1-line block ×3, first 2 shown]
	s_waitcnt vmcnt(57)
	v_fma_f64 v[95:96], v[1:2], v[5:6], -v[87:88]
	ds_read_b128 v[9:12], v70 offset:1312
	s_waitcnt vmcnt(51)
	v_fma_f64 v[71:72], v[71:72], v[29:30], -v[7:8]
	v_fma_f64 v[29:30], v[73:74], v[29:30], v[93:94]
	v_add_f64 v[65:66], v[65:66], 0
	v_fma_f64 v[5:6], v[3:4], v[5:6], v[75:76]
	v_add_f64 v[13:14], v[13:14], 0
	s_clause 0x4
	buffer_load_dword v76, off, s[0:3], 0 offset:572
	buffer_load_dword v123, off, s[0:3], 0 offset:584
	;; [unrolled: 1-line block ×5, first 2 shown]
	s_waitcnt lgkmcnt(0)
	v_mul_f64 v[126:127], v[9:10], v[17:18]
	v_mul_f64 v[17:18], v[11:12], v[17:18]
	ds_read_b128 v[1:4], v70 offset:1328
	s_clause 0x2
	buffer_load_dword v124, off, s[0:3], 0 offset:588
	buffer_load_dword v74, off, s[0:3], 0 offset:564
	buffer_load_dword v73, off, s[0:3], 0 offset:560
	v_add_f64 v[65:66], v[65:66], v[95:96]
	v_add_f64 v[13:14], v[13:14], v[5:6]
	ds_read_b128 v[5:8], v70 offset:1344
	s_waitcnt vmcnt(58) lgkmcnt(1)
	v_mul_f64 v[93:94], v[1:2], v[21:22]
	v_mul_f64 v[21:22], v[3:4], v[21:22]
	s_waitcnt vmcnt(56)
	v_fma_f64 v[17:18], v[9:10], v[23:24], -v[17:18]
	v_fma_f64 v[23:24], v[11:12], v[23:24], v[126:127]
	v_add_f64 v[65:66], v[65:66], v[71:72]
	s_waitcnt vmcnt(52) lgkmcnt(0)
	v_mul_f64 v[127:128], v[5:6], v[25:26]
	v_add_f64 v[13:14], v[13:14], v[29:30]
	s_clause 0x4
	buffer_load_dword v30, off, s[0:3], 0 offset:604
	buffer_load_dword v71, off, s[0:3], 0 offset:616
	;; [unrolled: 1-line block ×5, first 2 shown]
	v_mul_f64 v[25:26], v[7:8], v[25:26]
	s_waitcnt vmcnt(56)
	v_fma_f64 v[21:22], v[1:2], v[15:16], -v[21:22]
	ds_read_b128 v[9:12], v70 offset:1360
	v_fma_f64 v[15:16], v[3:4], v[15:16], v[93:94]
	v_add_f64 v[17:18], v[65:66], v[17:18]
	v_add_f64 v[13:14], v[13:14], v[23:24]
	s_clause 0x2
	buffer_load_dword v72, off, s[0:3], 0 offset:620
	buffer_load_dword v24, off, s[0:3], 0 offset:596
	buffer_load_dword v23, off, s[0:3], 0 offset:592
	s_waitcnt vmcnt(58) lgkmcnt(0)
	v_mul_f64 v[65:66], v[9:10], v[31:32]
	v_mul_f64 v[31:32], v[11:12], v[31:32]
	s_waitcnt vmcnt(56)
	v_fma_f64 v[25:26], v[5:6], v[33:34], -v[25:26]
	ds_read_b128 v[1:4], v70 offset:1376
	v_add_f64 v[17:18], v[17:18], v[21:22]
	v_fma_f64 v[21:22], v[7:8], v[33:34], v[127:128]
	v_add_f64 v[13:14], v[13:14], v[15:16]
	s_clause 0x4
	buffer_load_dword v16, off, s[0:3], 0 offset:636
	buffer_load_dword v33, off, s[0:3], 0 offset:648
	;; [unrolled: 1-line block ×5, first 2 shown]
	ds_read_b128 v[5:8], v70 offset:1392
	s_waitcnt vmcnt(57) lgkmcnt(1)
	v_mul_f64 v[127:128], v[1:2], v[35:36]
	v_mul_f64 v[35:36], v[3:4], v[35:36]
	s_waitcnt vmcnt(56)
	v_fma_f64 v[31:32], v[9:10], v[19:20], -v[31:32]
	v_fma_f64 v[19:20], v[11:12], v[19:20], v[65:66]
	v_add_f64 v[17:18], v[17:18], v[25:26]
	v_add_f64 v[13:14], v[13:14], v[21:22]
	s_clause 0x2
	buffer_load_dword v34, off, s[0:3], 0 offset:652
	buffer_load_dword v22, off, s[0:3], 0 offset:628
	;; [unrolled: 1-line block ×3, first 2 shown]
	s_waitcnt vmcnt(58) lgkmcnt(0)
	v_mul_f64 v[25:26], v[5:6], v[39:40]
	v_mul_f64 v[39:40], v[7:8], v[39:40]
	s_waitcnt vmcnt(56)
	v_fma_f64 v[35:36], v[1:2], v[41:42], -v[35:36]
	ds_read_b128 v[9:12], v70 offset:1408
	v_add_f64 v[17:18], v[17:18], v[31:32]
	v_fma_f64 v[31:32], v[3:4], v[41:42], v[127:128]
	v_add_f64 v[13:14], v[13:14], v[19:20]
	s_clause 0x4
	buffer_load_dword v20, off, s[0:3], 0 offset:668
	buffer_load_dword v41, off, s[0:3], 0 offset:680
	;; [unrolled: 1-line block ×5, first 2 shown]
	ds_read_b128 v[1:4], v70 offset:1424
	s_waitcnt vmcnt(57) lgkmcnt(1)
	v_mul_f64 v[127:128], v[9:10], v[43:44]
	v_mul_f64 v[43:44], v[11:12], v[43:44]
	s_waitcnt vmcnt(56)
	v_fma_f64 v[39:40], v[5:6], v[27:28], -v[39:40]
	v_fma_f64 v[25:26], v[7:8], v[27:28], v[25:26]
	s_clause 0x2
	buffer_load_dword v42, off, s[0:3], 0 offset:684
	buffer_load_dword v28, off, s[0:3], 0 offset:660
	;; [unrolled: 1-line block ×3, first 2 shown]
	ds_read_b128 v[5:8], v70 offset:1440
	v_add_f64 v[17:18], v[17:18], v[35:36]
	v_add_f64 v[13:14], v[13:14], v[31:32]
	s_waitcnt vmcnt(58) lgkmcnt(1)
	v_mul_f64 v[35:36], v[3:4], v[47:48]
	v_mul_f64 v[31:32], v[1:2], v[47:48]
	s_waitcnt vmcnt(56)
	v_fma_f64 v[43:44], v[9:10], v[49:50], -v[43:44]
	v_add_f64 v[17:18], v[17:18], v[39:40]
	v_fma_f64 v[39:40], v[11:12], v[49:50], v[127:128]
	v_add_f64 v[13:14], v[13:14], v[25:26]
	s_clause 0x4
	buffer_load_dword v26, off, s[0:3], 0 offset:700
	buffer_load_dword v47, off, s[0:3], 0 offset:712
	;; [unrolled: 1-line block ×5, first 2 shown]
	s_waitcnt vmcnt(57) lgkmcnt(0)
	v_mul_f64 v[127:128], v[5:6], v[51:52]
	v_mul_f64 v[50:51], v[7:8], v[51:52]
	s_waitcnt vmcnt(56)
	v_fma_f64 v[35:36], v[1:2], v[37:38], -v[35:36]
	ds_read_b128 v[9:12], v70 offset:1456
	v_fma_f64 v[31:32], v[3:4], v[37:38], v[31:32]
	s_clause 0x2
	buffer_load_dword v48, off, s[0:3], 0 offset:716
	buffer_load_dword v38, off, s[0:3], 0 offset:692
	;; [unrolled: 1-line block ×3, first 2 shown]
	ds_read_b128 v[1:4], v70 offset:1472
	v_add_f64 v[17:18], v[17:18], v[43:44]
	v_add_f64 v[13:14], v[13:14], v[39:40]
	s_waitcnt vmcnt(58) lgkmcnt(1)
	v_mul_f64 v[43:44], v[11:12], v[55:56]
	s_waitcnt vmcnt(56)
	v_fma_f64 v[51:52], v[5:6], v[57:58], -v[50:51]
	v_mul_f64 v[39:40], v[9:10], v[55:56]
	v_add_f64 v[17:18], v[17:18], v[35:36]
	v_fma_f64 v[35:36], v[7:8], v[57:58], v[127:128]
	v_add_f64 v[13:14], v[13:14], v[31:32]
	s_clause 0x4
	buffer_load_dword v32, off, s[0:3], 0 offset:732
	buffer_load_dword v55, off, s[0:3], 0 offset:744
	;; [unrolled: 1-line block ×5, first 2 shown]
	s_waitcnt vmcnt(57) lgkmcnt(0)
	v_mul_f64 v[127:128], v[1:2], v[59:60]
	v_mul_f64 v[58:59], v[3:4], v[59:60]
	s_waitcnt vmcnt(56)
	v_fma_f64 v[43:44], v[9:10], v[45:46], -v[43:44]
	ds_read_b128 v[5:8], v70 offset:1488
	v_fma_f64 v[39:40], v[11:12], v[45:46], v[39:40]
	v_add_f64 v[17:18], v[17:18], v[51:52]
	v_add_f64 v[13:14], v[13:14], v[35:36]
	s_clause 0x2
	buffer_load_dword v56, off, s[0:3], 0 offset:748
	buffer_load_dword v36, off, s[0:3], 0 offset:724
	;; [unrolled: 1-line block ×3, first 2 shown]
	ds_read_b128 v[9:12], v70 offset:1504
	s_waitcnt vmcnt(58) lgkmcnt(1)
	v_mul_f64 v[51:52], v[7:8], v[61:62]
	s_waitcnt vmcnt(56)
	v_fma_f64 v[59:60], v[1:2], v[63:64], -v[58:59]
	v_mul_f64 v[45:46], v[5:6], v[61:62]
	v_add_f64 v[17:18], v[17:18], v[43:44]
	v_fma_f64 v[43:44], v[3:4], v[63:64], v[127:128]
	v_add_f64 v[13:14], v[13:14], v[39:40]
	s_clause 0x4
	buffer_load_dword v40, off, s[0:3], 0 offset:764
	buffer_load_dword v61, off, s[0:3], 0 offset:776
	;; [unrolled: 1-line block ×5, first 2 shown]
	s_waitcnt vmcnt(57) lgkmcnt(0)
	v_mul_f64 v[127:128], v[9:10], v[77:78]
	v_mul_f64 v[77:78], v[11:12], v[77:78]
	s_waitcnt vmcnt(56)
	v_fma_f64 v[51:52], v[5:6], v[53:54], -v[51:52]
	ds_read_b128 v[1:4], v70 offset:1520
	v_fma_f64 v[45:46], v[7:8], v[53:54], v[45:46]
	v_add_f64 v[17:18], v[17:18], v[59:60]
	v_add_f64 v[13:14], v[13:14], v[43:44]
	s_clause 0x2
	buffer_load_dword v62, off, s[0:3], 0 offset:780
	buffer_load_dword v44, off, s[0:3], 0 offset:756
	;; [unrolled: 1-line block ×3, first 2 shown]
	ds_read_b128 v[5:8], v70 offset:1536
	s_waitcnt vmcnt(58) lgkmcnt(1)
	v_mul_f64 v[59:60], v[3:4], v[84:85]
	v_mul_f64 v[53:54], v[1:2], v[84:85]
	s_waitcnt vmcnt(56)
	v_fma_f64 v[77:78], v[9:10], v[67:68], -v[77:78]
	v_add_f64 v[17:18], v[17:18], v[51:52]
	v_fma_f64 v[51:52], v[11:12], v[67:68], v[127:128]
	v_add_f64 v[13:14], v[13:14], v[45:46]
	s_clause 0x4
	buffer_load_dword v46, off, s[0:3], 0 offset:796
	buffer_load_dword v67, off, s[0:3], 0 offset:808
	;; [unrolled: 1-line block ×5, first 2 shown]
	ds_read_b128 v[9:12], v70 offset:1552
	s_waitcnt vmcnt(57) lgkmcnt(1)
	v_mul_f64 v[127:128], v[5:6], v[75:76]
	v_mul_f64 v[75:76], v[7:8], v[75:76]
	s_waitcnt vmcnt(56)
	v_fma_f64 v[59:60], v[1:2], v[86:87], -v[59:60]
	v_fma_f64 v[53:54], v[3:4], v[86:87], v[53:54]
	v_add_f64 v[17:18], v[17:18], v[77:78]
	v_add_f64 v[13:14], v[13:14], v[51:52]
	s_clause 0x2
	buffer_load_dword v68, off, s[0:3], 0 offset:812
	buffer_load_dword v52, off, s[0:3], 0 offset:788
	;; [unrolled: 1-line block ×3, first 2 shown]
	s_waitcnt vmcnt(58) lgkmcnt(0)
	v_mul_f64 v[86:87], v[11:12], v[123:124]
	ds_read_b128 v[1:4], v70 offset:1568
	v_mul_f64 v[77:78], v[9:10], v[123:124]
	s_waitcnt vmcnt(56)
	v_fma_f64 v[75:76], v[5:6], v[73:74], -v[75:76]
	v_add_f64 v[17:18], v[17:18], v[59:60]
	v_fma_f64 v[59:60], v[7:8], v[73:74], v[127:128]
	v_add_f64 v[13:14], v[13:14], v[53:54]
	s_clause 0x4
	buffer_load_dword v54, off, s[0:3], 0 offset:828
	buffer_load_dword v73, off, s[0:3], 0 offset:840
	;; [unrolled: 1-line block ×5, first 2 shown]
	ds_read_b128 v[5:8], v70 offset:1584
	s_waitcnt vmcnt(57) lgkmcnt(1)
	v_mul_f64 v[127:128], v[1:2], v[29:30]
	v_mul_f64 v[29:30], v[3:4], v[29:30]
	s_waitcnt vmcnt(56)
	v_fma_f64 v[86:87], v[9:10], v[125:126], -v[86:87]
	v_add_f64 v[17:18], v[17:18], v[75:76]
	v_fma_f64 v[75:76], v[11:12], v[125:126], v[77:78]
	v_add_f64 v[13:14], v[13:14], v[59:60]
	s_clause 0x2
	buffer_load_dword v74, off, s[0:3], 0 offset:844
	buffer_load_dword v60, off, s[0:3], 0 offset:820
	;; [unrolled: 1-line block ×3, first 2 shown]
	ds_read_b128 v[9:12], v70 offset:1600
	s_waitcnt vmcnt(58) lgkmcnt(1)
	v_mul_f64 v[77:78], v[5:6], v[71:72]
	v_mul_f64 v[71:72], v[7:8], v[71:72]
	s_waitcnt vmcnt(56)
	v_fma_f64 v[29:30], v[1:2], v[23:24], -v[29:30]
	v_fma_f64 v[23:24], v[3:4], v[23:24], v[127:128]
	v_add_f64 v[17:18], v[17:18], v[86:87]
	v_add_f64 v[13:14], v[13:14], v[75:76]
	s_clause 0x4
	buffer_load_dword v76, off, s[0:3], 0 offset:860
	buffer_load_dword v86, off, s[0:3], 0 offset:872
	;; [unrolled: 1-line block ×5, first 2 shown]
	ds_read_b128 v[1:4], v70 offset:1616
	s_waitcnt vmcnt(57) lgkmcnt(1)
	v_mul_f64 v[126:127], v[9:10], v[15:16]
	v_mul_f64 v[15:16], v[11:12], v[15:16]
	s_waitcnt vmcnt(56)
	v_fma_f64 v[71:72], v[5:6], v[95:96], -v[71:72]
	v_add_f64 v[17:18], v[17:18], v[29:30]
	v_fma_f64 v[29:30], v[7:8], v[95:96], v[77:78]
	v_add_f64 v[13:14], v[13:14], v[23:24]
	s_clause 0x2
	buffer_load_dword v87, off, s[0:3], 0 offset:876
	buffer_load_dword v24, off, s[0:3], 0 offset:852
	;; [unrolled: 1-line block ×3, first 2 shown]
	ds_read_b128 v[5:8], v70 offset:1632
	s_waitcnt vmcnt(58) lgkmcnt(1)
	v_mul_f64 v[77:78], v[1:2], v[33:34]
	v_mul_f64 v[33:34], v[3:4], v[33:34]
	s_waitcnt vmcnt(56)
	v_fma_f64 v[15:16], v[9:10], v[21:22], -v[15:16]
	v_fma_f64 v[21:22], v[11:12], v[21:22], v[126:127]
	v_add_f64 v[17:18], v[17:18], v[71:72]
	v_add_f64 v[13:14], v[13:14], v[29:30]
	s_clause 0x4
	buffer_load_dword v30, off, s[0:3], 0 offset:892
	buffer_load_dword v71, off, s[0:3], 0 offset:904
	buffer_load_dword v95, off, s[0:3], 0 offset:896
	buffer_load_dword v29, off, s[0:3], 0 offset:888
	buffer_load_dword v126, off, s[0:3], 0 offset:868
	ds_read_b128 v[9:12], v70 offset:1648
	s_waitcnt vmcnt(57) lgkmcnt(1)
	v_mul_f64 v[127:128], v[5:6], v[19:20]
	v_mul_f64 v[19:20], v[7:8], v[19:20]
	s_waitcnt vmcnt(56)
	v_fma_f64 v[33:34], v[1:2], v[93:94], -v[33:34]
	v_add_f64 v[15:16], v[17:18], v[15:16]
	v_fma_f64 v[17:18], v[3:4], v[93:94], v[77:78]
	v_add_f64 v[13:14], v[13:14], v[21:22]
	s_clause 0x2
	buffer_load_dword v72, off, s[0:3], 0 offset:908
	buffer_load_dword v22, off, s[0:3], 0 offset:884
	;; [unrolled: 1-line block ×3, first 2 shown]
	s_waitcnt vmcnt(58) lgkmcnt(0)
	v_mul_f64 v[77:78], v[9:10], v[41:42]
	v_mul_f64 v[41:42], v[11:12], v[41:42]
	ds_read_b128 v[1:4], v70 offset:1664
	s_waitcnt vmcnt(56)
	v_fma_f64 v[19:20], v[5:6], v[27:28], -v[19:20]
	v_fma_f64 v[27:28], v[7:8], v[27:28], v[127:128]
	v_add_f64 v[15:16], v[15:16], v[33:34]
	v_add_f64 v[13:14], v[13:14], v[17:18]
	s_clause 0x4
	buffer_load_dword v18, off, s[0:3], 0 offset:924
	buffer_load_dword v33, off, s[0:3], 0 offset:936
	;; [unrolled: 1-line block ×5, first 2 shown]
	ds_read_b128 v[5:8], v70 offset:1680
	s_waitcnt vmcnt(57) lgkmcnt(1)
	v_mul_f64 v[127:128], v[1:2], v[25:26]
	v_mul_f64 v[25:26], v[3:4], v[25:26]
	s_waitcnt vmcnt(56)
	v_fma_f64 v[41:42], v[9:10], v[65:66], -v[41:42]
	v_add_f64 v[15:16], v[15:16], v[19:20]
	v_fma_f64 v[19:20], v[11:12], v[65:66], v[77:78]
	v_add_f64 v[13:14], v[13:14], v[27:28]
	s_clause 0x2
	buffer_load_dword v34, off, s[0:3], 0 offset:940
	buffer_load_dword v28, off, s[0:3], 0 offset:916
	;; [unrolled: 1-line block ×3, first 2 shown]
	s_waitcnt vmcnt(58) lgkmcnt(0)
	v_mul_f64 v[65:66], v[5:6], v[47:48]
	v_mul_f64 v[47:48], v[7:8], v[47:48]
	ds_read_b128 v[9:12], v70 offset:1696
	s_waitcnt vmcnt(56)
	v_fma_f64 v[25:26], v[1:2], v[37:38], -v[25:26]
	v_fma_f64 v[37:38], v[3:4], v[37:38], v[127:128]
	v_add_f64 v[15:16], v[15:16], v[41:42]
	v_add_f64 v[13:14], v[13:14], v[19:20]
	s_clause 0x4
	buffer_load_dword v20, off, s[0:3], 0 offset:956
	buffer_load_dword v41, off, s[0:3], 0 offset:968
	buffer_load_dword v77, off, s[0:3], 0 offset:960
	buffer_load_dword v19, off, s[0:3], 0 offset:952
	buffer_load_dword v94, off, s[0:3], 0 offset:932
	ds_read_b128 v[1:4], v70 offset:1712
	s_waitcnt vmcnt(57) lgkmcnt(1)
	v_mul_f64 v[78:79], v[9:10], v[31:32]
	v_mul_f64 v[31:32], v[11:12], v[31:32]
	s_waitcnt vmcnt(56)
	v_fma_f64 v[47:48], v[5:6], v[49:50], -v[47:48]
	v_add_f64 v[15:16], v[15:16], v[25:26]
	v_fma_f64 v[25:26], v[7:8], v[49:50], v[65:66]
	v_add_f64 v[13:14], v[13:14], v[37:38]
	s_clause 0x2
	buffer_load_dword v42, off, s[0:3], 0 offset:972
	buffer_load_dword v38, off, s[0:3], 0 offset:948
	;; [unrolled: 1-line block ×3, first 2 shown]
	ds_read_b128 v[5:8], v70 offset:1728
	s_waitcnt vmcnt(58) lgkmcnt(1)
	v_mul_f64 v[49:50], v[1:2], v[55:56]
	v_mul_f64 v[55:56], v[3:4], v[55:56]
	s_waitcnt vmcnt(56)
	v_fma_f64 v[31:32], v[9:10], v[35:36], -v[31:32]
	v_fma_f64 v[35:36], v[11:12], v[35:36], v[78:79]
	v_add_f64 v[15:16], v[15:16], v[47:48]
	v_add_f64 v[13:14], v[13:14], v[25:26]
	s_clause 0x4
	buffer_load_dword v26, off, s[0:3], 0 offset:988
	buffer_load_dword v47, off, s[0:3], 0 offset:1000
	buffer_load_dword v65, off, s[0:3], 0 offset:992
	buffer_load_dword v25, off, s[0:3], 0 offset:984
	buffer_load_dword v78, off, s[0:3], 0 offset:964
	ds_read_b128 v[9:12], v70 offset:1744
	s_waitcnt vmcnt(57) lgkmcnt(1)
	v_mul_f64 v[127:128], v[5:6], v[39:40]
	v_mul_f64 v[39:40], v[7:8], v[39:40]
	s_waitcnt vmcnt(56)
	v_fma_f64 v[55:56], v[1:2], v[57:58], -v[55:56]
	v_add_f64 v[15:16], v[15:16], v[31:32]
	v_fma_f64 v[31:32], v[3:4], v[57:58], v[49:50]
	v_add_f64 v[13:14], v[13:14], v[35:36]
	s_clause 0x2
	buffer_load_dword v48, off, s[0:3], 0 offset:1004
	buffer_load_dword v36, off, s[0:3], 0 offset:980
	;; [unrolled: 1-line block ×3, first 2 shown]
	ds_read_b128 v[1:4], v70 offset:1760
	buffer_load_dword v66, off, s[0:3], 0 offset:996
	s_waitcnt vmcnt(59) lgkmcnt(1)
	v_mul_f64 v[57:58], v[11:12], v[61:62]
	v_mul_f64 v[49:50], v[9:10], v[61:62]
	s_waitcnt vmcnt(57)
	v_fma_f64 v[39:40], v[5:6], v[43:44], -v[39:40]
	v_fma_f64 v[43:44], v[7:8], v[43:44], v[127:128]
	ds_read_b128 v[5:8], v70 offset:1776
	v_add_f64 v[15:16], v[15:16], v[55:56]
	v_add_f64 v[13:14], v[13:14], v[31:32]
	s_waitcnt vmcnt(53) lgkmcnt(1)
	v_mul_f64 v[31:32], v[1:2], v[45:46]
	v_mul_f64 v[45:46], v[3:4], v[45:46]
	s_waitcnt vmcnt(52)
	v_fma_f64 v[55:56], v[9:10], v[63:64], -v[57:58]
	v_add_f64 v[15:16], v[15:16], v[39:40]
	v_fma_f64 v[39:40], v[11:12], v[63:64], v[49:50]
	v_add_f64 v[13:14], v[13:14], v[43:44]
	ds_read_b128 v[9:12], v70 offset:1792
	s_waitcnt vmcnt(51) lgkmcnt(1)
	v_mul_f64 v[49:50], v[7:8], v[67:68]
	v_mul_f64 v[43:44], v[5:6], v[67:68]
	s_waitcnt vmcnt(49)
	v_fma_f64 v[45:46], v[1:2], v[51:52], -v[45:46]
	v_fma_f64 v[31:32], v[3:4], v[51:52], v[31:32]
	v_add_f64 v[15:16], v[15:16], v[55:56]
	v_add_f64 v[13:14], v[13:14], v[39:40]
	s_clause 0x3
	buffer_load_dword v39, off, s[0:3], 0 offset:272
	buffer_load_dword v40, off, s[0:3], 0 offset:276
	buffer_load_dword v51, off, s[0:3], 0 offset:280
	buffer_load_dword v52, off, s[0:3], 0 offset:284
	ds_read_b128 v[1:4], v70 offset:1808
	s_waitcnt vmcnt(49) lgkmcnt(1)
	v_mul_f64 v[55:56], v[9:10], v[53:54]
	v_mul_f64 v[53:54], v[11:12], v[53:54]
	s_waitcnt vmcnt(48)
	v_fma_f64 v[49:50], v[5:6], v[84:85], -v[49:50]
	v_fma_f64 v[43:44], v[7:8], v[84:85], v[43:44]
	ds_read_b128 v[5:8], v70 offset:1824
	v_add_f64 v[15:16], v[15:16], v[45:46]
	v_add_f64 v[13:14], v[13:14], v[31:32]
	s_waitcnt vmcnt(47) lgkmcnt(1)
	v_mul_f64 v[45:46], v[3:4], v[73:74]
	v_mul_f64 v[31:32], v[1:2], v[73:74]
	s_waitcnt vmcnt(45)
	v_fma_f64 v[53:54], v[9:10], v[59:60], -v[53:54]
	v_add_f64 v[15:16], v[15:16], v[49:50]
	v_fma_f64 v[49:50], v[11:12], v[59:60], v[55:56]
	v_add_f64 v[13:14], v[13:14], v[43:44]
	ds_read_b128 v[9:12], v70 offset:1840
	s_waitcnt vmcnt(41) lgkmcnt(1)
	v_mul_f64 v[55:56], v[7:8], v[75:76]
	s_waitcnt vmcnt(40)
	v_fma_f64 v[45:46], v[1:2], v[123:124], -v[45:46]
	v_mul_f64 v[43:44], v[5:6], v[75:76]
	v_fma_f64 v[31:32], v[3:4], v[123:124], v[31:32]
	ds_read_b128 v[1:4], v70 offset:1856
	v_add_f64 v[15:16], v[15:16], v[53:54]
	v_add_f64 v[13:14], v[13:14], v[49:50]
	s_waitcnt vmcnt(39) lgkmcnt(1)
	v_mul_f64 v[53:54], v[11:12], v[86:87]
	v_mul_f64 v[49:50], v[9:10], v[86:87]
	s_waitcnt vmcnt(37)
	v_fma_f64 v[55:56], v[5:6], v[23:24], -v[55:56]
	v_fma_f64 v[23:24], v[7:8], v[23:24], v[43:44]
	ds_read_b128 v[5:8], v70 offset:1872
	v_add_f64 v[15:16], v[15:16], v[45:46]
	v_add_f64 v[13:14], v[13:14], v[31:32]
	s_waitcnt vmcnt(33) lgkmcnt(1)
	v_mul_f64 v[31:32], v[1:2], v[29:30]
	v_mul_f64 v[29:30], v[3:4], v[29:30]
	s_waitcnt vmcnt(32)
	v_fma_f64 v[43:44], v[9:10], v[125:126], -v[53:54]
	;; [unrolled: 9-line block ×6, first 2 shown]
	v_add_f64 v[15:16], v[15:16], v[17:18]
	v_fma_f64 v[17:18], v[3:4], v[93:94], v[21:22]
	v_add_f64 v[13:14], v[13:14], v[27:28]
	ds_read_b128 v[1:4], v70 offset:1952
	s_waitcnt vmcnt(15) lgkmcnt(1)
	v_mul_f64 v[27:28], v[11:12], v[41:42]
	v_mul_f64 v[21:22], v[9:10], v[41:42]
	s_waitcnt vmcnt(13)
	v_fma_f64 v[19:20], v[5:6], v[37:38], -v[19:20]
	v_fma_f64 v[23:24], v[7:8], v[37:38], v[23:24]
	ds_read_b128 v[5:8], v70 offset:1968
	v_add_f64 v[15:16], v[15:16], v[29:30]
	v_add_f64 v[13:14], v[13:14], v[17:18]
	s_waitcnt vmcnt(9) lgkmcnt(1)
	v_mul_f64 v[17:18], v[1:2], v[25:26]
	v_mul_f64 v[25:26], v[3:4], v[25:26]
	s_waitcnt vmcnt(8)
	v_fma_f64 v[9:10], v[9:10], v[77:78], -v[27:28]
	v_fma_f64 v[11:12], v[11:12], v[77:78], v[21:22]
	v_add_f64 v[15:16], v[15:16], v[19:20]
	v_add_f64 v[13:14], v[13:14], v[23:24]
	s_waitcnt vmcnt(7) lgkmcnt(0)
	v_mul_f64 v[21:22], v[7:8], v[47:48]
	v_mul_f64 v[19:20], v[5:6], v[47:48]
	s_waitcnt vmcnt(5)
	v_fma_f64 v[1:2], v[1:2], v[35:36], -v[25:26]
	v_fma_f64 v[3:4], v[3:4], v[35:36], v[17:18]
	v_add_f64 v[9:10], v[15:16], v[9:10]
	v_add_f64 v[11:12], v[13:14], v[11:12]
	s_waitcnt vmcnt(4)
	v_fma_f64 v[5:6], v[5:6], v[65:66], -v[21:22]
	v_fma_f64 v[7:8], v[7:8], v[65:66], v[19:20]
	v_add_f64 v[1:2], v[9:10], v[1:2]
	v_add_f64 v[3:4], v[11:12], v[3:4]
	;; [unrolled: 1-line block ×4, first 2 shown]
	s_waitcnt vmcnt(2)
	v_add_f64 v[1:2], v[39:40], -v[1:2]
	s_waitcnt vmcnt(0)
	v_add_f64 v[3:4], v[51:52], -v[3:4]
	buffer_store_dword v2, off, s[0:3], 0 offset:276
	buffer_store_dword v1, off, s[0:3], 0 offset:272
	;; [unrolled: 1-line block ×4, first 2 shown]
	v_cmpx_lt_u32_e32 15, v0
	s_cbranch_execz .LBB61_367
; %bb.366:
	v_mov_b32_e32 v4, s64
	s_clause 0x3
	buffer_load_dword v1, v4, s[0:3], 0 offen
	buffer_load_dword v2, v4, s[0:3], 0 offen offset:4
	buffer_load_dword v3, v4, s[0:3], 0 offen offset:8
	;; [unrolled: 1-line block ×3, first 2 shown]
	buffer_store_dword v70, off, s[0:3], 0 offset:256
	buffer_store_dword v70, off, s[0:3], 0 offset:260
	;; [unrolled: 1-line block ×4, first 2 shown]
	s_waitcnt vmcnt(0)
	ds_write_b128 v69, v[1:4]
.LBB61_367:
	s_or_b32 exec_lo, exec_lo, s4
	s_waitcnt lgkmcnt(0)
	s_waitcnt_vscnt null, 0x0
	s_barrier
	buffer_gl0_inv
	s_clause 0x37
	buffer_load_dword v17, off, s[0:3], 0 offset:280
	buffer_load_dword v18, off, s[0:3], 0 offset:284
	;; [unrolled: 1-line block ×56, first 2 shown]
	ds_read_b128 v[5:8], v70 offset:1248
	s_clause 0x2
	buffer_load_dword v66, off, s[0:3], 0 offset:508
	buffer_load_dword v68, off, s[0:3], 0 offset:484
	;; [unrolled: 1-line block ×3, first 2 shown]
	ds_read_b128 v[1:4], v70 offset:1264
	s_clause 0x4
	buffer_load_dword v78, off, s[0:3], 0 offset:524
	buffer_load_dword v84, off, s[0:3], 0 offset:536
	;; [unrolled: 1-line block ×5, first 2 shown]
	ds_read_b128 v[71:74], v70 offset:1280
	s_mov_b32 s4, exec_lo
	s_waitcnt vmcnt(62) lgkmcnt(2)
	v_mul_f64 v[75:76], v[7:8], v[17:18]
	v_mul_f64 v[17:18], v[5:6], v[17:18]
	s_waitcnt vmcnt(60) lgkmcnt(1)
	v_mul_f64 v[87:88], v[3:4], v[13:14]
	v_mul_f64 v[13:14], v[1:2], v[13:14]
	s_waitcnt vmcnt(56) lgkmcnt(0)
	v_mul_f64 v[93:94], v[71:72], v[11:12]
	v_mul_f64 v[11:12], v[73:74], v[11:12]
	v_fma_f64 v[75:76], v[5:6], v[15:16], -v[75:76]
	v_fma_f64 v[15:16], v[7:8], v[15:16], v[17:18]
	s_clause 0x2
	buffer_load_dword v85, off, s[0:3], 0 offset:540
	buffer_load_dword v18, off, s[0:3], 0 offset:516
	;; [unrolled: 1-line block ×3, first 2 shown]
	s_waitcnt vmcnt(57)
	v_fma_f64 v[95:96], v[1:2], v[9:10], -v[87:88]
	ds_read_b128 v[5:8], v70 offset:1296
	v_fma_f64 v[9:10], v[3:4], v[9:10], v[13:14]
	s_waitcnt vmcnt(51)
	v_fma_f64 v[71:72], v[71:72], v[33:34], -v[11:12]
	v_fma_f64 v[33:34], v[73:74], v[33:34], v[93:94]
	v_add_f64 v[75:76], v[75:76], 0
	v_add_f64 v[13:14], v[15:16], 0
	s_clause 0x4
	buffer_load_dword v16, off, s[0:3], 0 offset:556
	buffer_load_dword v123, off, s[0:3], 0 offset:568
	;; [unrolled: 1-line block ×5, first 2 shown]
	s_waitcnt lgkmcnt(0)
	v_mul_f64 v[126:127], v[5:6], v[21:22]
	v_mul_f64 v[21:22], v[7:8], v[21:22]
	ds_read_b128 v[1:4], v70 offset:1312
	s_clause 0x2
	buffer_load_dword v124, off, s[0:3], 0 offset:572
	buffer_load_dword v74, off, s[0:3], 0 offset:548
	;; [unrolled: 1-line block ×3, first 2 shown]
	v_add_f64 v[75:76], v[75:76], v[95:96]
	v_add_f64 v[13:14], v[13:14], v[9:10]
	ds_read_b128 v[9:12], v70 offset:1328
	s_waitcnt vmcnt(58) lgkmcnt(1)
	v_mul_f64 v[93:94], v[1:2], v[25:26]
	v_mul_f64 v[25:26], v[3:4], v[25:26]
	s_waitcnt vmcnt(56)
	v_fma_f64 v[21:22], v[5:6], v[27:28], -v[21:22]
	v_fma_f64 v[27:28], v[7:8], v[27:28], v[126:127]
	s_waitcnt vmcnt(52) lgkmcnt(0)
	v_mul_f64 v[127:128], v[9:10], v[29:30]
	v_add_f64 v[71:72], v[75:76], v[71:72]
	v_add_f64 v[13:14], v[13:14], v[33:34]
	s_clause 0x4
	buffer_load_dword v34, off, s[0:3], 0 offset:588
	buffer_load_dword v75, off, s[0:3], 0 offset:600
	;; [unrolled: 1-line block ×5, first 2 shown]
	v_mul_f64 v[29:30], v[11:12], v[29:30]
	s_waitcnt vmcnt(56)
	v_fma_f64 v[25:26], v[1:2], v[19:20], -v[25:26]
	ds_read_b128 v[5:8], v70 offset:1344
	v_fma_f64 v[19:20], v[3:4], v[19:20], v[93:94]
	v_add_f64 v[21:22], v[71:72], v[21:22]
	v_add_f64 v[13:14], v[13:14], v[27:28]
	s_clause 0x2
	buffer_load_dword v76, off, s[0:3], 0 offset:604
	buffer_load_dword v28, off, s[0:3], 0 offset:580
	;; [unrolled: 1-line block ×3, first 2 shown]
	s_waitcnt vmcnt(58) lgkmcnt(0)
	v_mul_f64 v[71:72], v[5:6], v[35:36]
	v_mul_f64 v[35:36], v[7:8], v[35:36]
	s_waitcnt vmcnt(56)
	v_fma_f64 v[29:30], v[9:10], v[37:38], -v[29:30]
	ds_read_b128 v[1:4], v70 offset:1360
	v_add_f64 v[21:22], v[21:22], v[25:26]
	v_fma_f64 v[25:26], v[11:12], v[37:38], v[127:128]
	v_add_f64 v[13:14], v[13:14], v[19:20]
	s_clause 0x4
	buffer_load_dword v20, off, s[0:3], 0 offset:620
	buffer_load_dword v37, off, s[0:3], 0 offset:632
	;; [unrolled: 1-line block ×5, first 2 shown]
	s_waitcnt vmcnt(57) lgkmcnt(0)
	v_mul_f64 v[127:128], v[1:2], v[39:40]
	v_mul_f64 v[39:40], v[3:4], v[39:40]
	s_waitcnt vmcnt(56)
	v_fma_f64 v[35:36], v[5:6], v[23:24], -v[35:36]
	ds_read_b128 v[9:12], v70 offset:1376
	v_fma_f64 v[23:24], v[7:8], v[23:24], v[71:72]
	v_add_f64 v[21:22], v[21:22], v[29:30]
	v_add_f64 v[13:14], v[13:14], v[25:26]
	s_clause 0x2
	buffer_load_dword v38, off, s[0:3], 0 offset:636
	buffer_load_dword v26, off, s[0:3], 0 offset:612
	buffer_load_dword v25, off, s[0:3], 0 offset:608
	ds_read_b128 v[5:8], v70 offset:1392
	s_waitcnt vmcnt(58) lgkmcnt(1)
	v_mul_f64 v[29:30], v[9:10], v[43:44]
	v_mul_f64 v[43:44], v[11:12], v[43:44]
	s_waitcnt vmcnt(56)
	v_fma_f64 v[39:40], v[1:2], v[45:46], -v[39:40]
	v_add_f64 v[21:22], v[21:22], v[35:36]
	v_fma_f64 v[35:36], v[3:4], v[45:46], v[127:128]
	v_add_f64 v[13:14], v[13:14], v[23:24]
	s_clause 0x4
	buffer_load_dword v24, off, s[0:3], 0 offset:652
	buffer_load_dword v45, off, s[0:3], 0 offset:664
	;; [unrolled: 1-line block ×5, first 2 shown]
	s_waitcnt vmcnt(57) lgkmcnt(0)
	v_mul_f64 v[127:128], v[5:6], v[47:48]
	v_mul_f64 v[47:48], v[7:8], v[47:48]
	s_waitcnt vmcnt(56)
	v_fma_f64 v[43:44], v[9:10], v[31:32], -v[43:44]
	ds_read_b128 v[1:4], v70 offset:1408
	v_fma_f64 v[29:30], v[11:12], v[31:32], v[29:30]
	s_clause 0x2
	buffer_load_dword v46, off, s[0:3], 0 offset:668
	buffer_load_dword v32, off, s[0:3], 0 offset:644
	;; [unrolled: 1-line block ×3, first 2 shown]
	ds_read_b128 v[9:12], v70 offset:1424
	v_add_f64 v[21:22], v[21:22], v[39:40]
	v_add_f64 v[13:14], v[13:14], v[35:36]
	s_waitcnt vmcnt(58) lgkmcnt(1)
	v_mul_f64 v[39:40], v[3:4], v[51:52]
	s_waitcnt vmcnt(56)
	v_fma_f64 v[47:48], v[5:6], v[53:54], -v[47:48]
	v_mul_f64 v[35:36], v[1:2], v[51:52]
	v_add_f64 v[21:22], v[21:22], v[43:44]
	v_fma_f64 v[43:44], v[7:8], v[53:54], v[127:128]
	v_add_f64 v[13:14], v[13:14], v[29:30]
	s_clause 0x4
	buffer_load_dword v30, off, s[0:3], 0 offset:684
	buffer_load_dword v51, off, s[0:3], 0 offset:696
	;; [unrolled: 1-line block ×5, first 2 shown]
	s_waitcnt vmcnt(57) lgkmcnt(0)
	v_mul_f64 v[127:128], v[9:10], v[55:56]
	v_mul_f64 v[54:55], v[11:12], v[55:56]
	s_waitcnt vmcnt(56)
	v_fma_f64 v[39:40], v[1:2], v[41:42], -v[39:40]
	ds_read_b128 v[5:8], v70 offset:1440
	v_fma_f64 v[35:36], v[3:4], v[41:42], v[35:36]
	s_clause 0x2
	buffer_load_dword v52, off, s[0:3], 0 offset:700
	buffer_load_dword v42, off, s[0:3], 0 offset:676
	;; [unrolled: 1-line block ×3, first 2 shown]
	ds_read_b128 v[1:4], v70 offset:1456
	v_add_f64 v[21:22], v[21:22], v[47:48]
	v_add_f64 v[13:14], v[13:14], v[43:44]
	s_waitcnt vmcnt(58) lgkmcnt(1)
	v_mul_f64 v[47:48], v[7:8], v[59:60]
	s_waitcnt vmcnt(56)
	v_fma_f64 v[55:56], v[9:10], v[61:62], -v[54:55]
	v_mul_f64 v[43:44], v[5:6], v[59:60]
	v_add_f64 v[21:22], v[21:22], v[39:40]
	v_fma_f64 v[39:40], v[11:12], v[61:62], v[127:128]
	v_add_f64 v[13:14], v[13:14], v[35:36]
	s_clause 0x4
	buffer_load_dword v36, off, s[0:3], 0 offset:716
	buffer_load_dword v59, off, s[0:3], 0 offset:728
	;; [unrolled: 1-line block ×5, first 2 shown]
	s_waitcnt vmcnt(57) lgkmcnt(0)
	v_mul_f64 v[127:128], v[1:2], v[63:64]
	v_mul_f64 v[62:63], v[3:4], v[63:64]
	s_waitcnt vmcnt(56)
	v_fma_f64 v[47:48], v[5:6], v[49:50], -v[47:48]
	ds_read_b128 v[9:12], v70 offset:1472
	v_fma_f64 v[43:44], v[7:8], v[49:50], v[43:44]
	v_add_f64 v[21:22], v[21:22], v[55:56]
	v_add_f64 v[13:14], v[13:14], v[39:40]
	s_clause 0x2
	buffer_load_dword v60, off, s[0:3], 0 offset:732
	buffer_load_dword v40, off, s[0:3], 0 offset:708
	;; [unrolled: 1-line block ×3, first 2 shown]
	ds_read_b128 v[5:8], v70 offset:1488
	s_waitcnt vmcnt(58) lgkmcnt(1)
	v_mul_f64 v[55:56], v[11:12], v[65:66]
	s_waitcnt vmcnt(56)
	v_fma_f64 v[63:64], v[1:2], v[67:68], -v[62:63]
	v_mul_f64 v[49:50], v[9:10], v[65:66]
	v_add_f64 v[21:22], v[21:22], v[47:48]
	v_fma_f64 v[47:48], v[3:4], v[67:68], v[127:128]
	v_add_f64 v[13:14], v[13:14], v[43:44]
	s_clause 0x4
	buffer_load_dword v44, off, s[0:3], 0 offset:748
	buffer_load_dword v65, off, s[0:3], 0 offset:760
	;; [unrolled: 1-line block ×5, first 2 shown]
	s_waitcnt vmcnt(57) lgkmcnt(0)
	v_mul_f64 v[127:128], v[5:6], v[77:78]
	v_mul_f64 v[77:78], v[7:8], v[77:78]
	s_waitcnt vmcnt(56)
	v_fma_f64 v[55:56], v[9:10], v[57:58], -v[55:56]
	ds_read_b128 v[1:4], v70 offset:1504
	v_fma_f64 v[49:50], v[11:12], v[57:58], v[49:50]
	v_add_f64 v[21:22], v[21:22], v[63:64]
	v_add_f64 v[13:14], v[13:14], v[47:48]
	s_clause 0x2
	buffer_load_dword v66, off, s[0:3], 0 offset:764
	buffer_load_dword v48, off, s[0:3], 0 offset:740
	;; [unrolled: 1-line block ×3, first 2 shown]
	ds_read_b128 v[9:12], v70 offset:1520
	s_waitcnt vmcnt(58) lgkmcnt(1)
	v_mul_f64 v[63:64], v[3:4], v[84:85]
	v_mul_f64 v[57:58], v[1:2], v[84:85]
	s_waitcnt vmcnt(56)
	v_fma_f64 v[77:78], v[5:6], v[17:18], -v[77:78]
	v_fma_f64 v[17:18], v[7:8], v[17:18], v[127:128]
	v_add_f64 v[21:22], v[21:22], v[55:56]
	v_add_f64 v[13:14], v[13:14], v[49:50]
	s_clause 0x4
	buffer_load_dword v50, off, s[0:3], 0 offset:780
	buffer_load_dword v55, off, s[0:3], 0 offset:792
	;; [unrolled: 1-line block ×5, first 2 shown]
	ds_read_b128 v[5:8], v70 offset:1536
	s_waitcnt vmcnt(57) lgkmcnt(1)
	v_mul_f64 v[127:128], v[9:10], v[15:16]
	v_mul_f64 v[15:16], v[11:12], v[15:16]
	s_waitcnt vmcnt(56)
	v_fma_f64 v[63:64], v[1:2], v[86:87], -v[63:64]
	v_fma_f64 v[57:58], v[3:4], v[86:87], v[57:58]
	v_add_f64 v[21:22], v[21:22], v[77:78]
	v_add_f64 v[13:14], v[13:14], v[17:18]
	s_clause 0x2
	buffer_load_dword v56, off, s[0:3], 0 offset:796
	buffer_load_dword v18, off, s[0:3], 0 offset:772
	;; [unrolled: 1-line block ×3, first 2 shown]
	s_waitcnt vmcnt(58) lgkmcnt(0)
	v_mul_f64 v[86:87], v[7:8], v[123:124]
	ds_read_b128 v[1:4], v70 offset:1552
	v_mul_f64 v[77:78], v[5:6], v[123:124]
	s_waitcnt vmcnt(56)
	v_fma_f64 v[15:16], v[9:10], v[73:74], -v[15:16]
	v_add_f64 v[21:22], v[21:22], v[63:64]
	v_fma_f64 v[63:64], v[11:12], v[73:74], v[127:128]
	v_add_f64 v[13:14], v[13:14], v[57:58]
	s_clause 0x4
	buffer_load_dword v58, off, s[0:3], 0 offset:812
	buffer_load_dword v73, off, s[0:3], 0 offset:824
	;; [unrolled: 1-line block ×5, first 2 shown]
	ds_read_b128 v[9:12], v70 offset:1568
	s_waitcnt vmcnt(57) lgkmcnt(1)
	v_mul_f64 v[127:128], v[1:2], v[33:34]
	v_mul_f64 v[33:34], v[3:4], v[33:34]
	s_waitcnt vmcnt(56)
	v_fma_f64 v[86:87], v[5:6], v[125:126], -v[86:87]
	v_add_f64 v[15:16], v[21:22], v[15:16]
	v_fma_f64 v[21:22], v[7:8], v[125:126], v[77:78]
	v_add_f64 v[13:14], v[13:14], v[63:64]
	s_clause 0x2
	buffer_load_dword v74, off, s[0:3], 0 offset:828
	buffer_load_dword v64, off, s[0:3], 0 offset:804
	;; [unrolled: 1-line block ×3, first 2 shown]
	ds_read_b128 v[5:8], v70 offset:1584
	s_waitcnt vmcnt(58) lgkmcnt(1)
	v_mul_f64 v[77:78], v[9:10], v[75:76]
	v_mul_f64 v[75:76], v[11:12], v[75:76]
	s_waitcnt vmcnt(56)
	v_fma_f64 v[33:34], v[1:2], v[27:28], -v[33:34]
	v_fma_f64 v[27:28], v[3:4], v[27:28], v[127:128]
	v_add_f64 v[15:16], v[15:16], v[86:87]
	v_add_f64 v[13:14], v[13:14], v[21:22]
	s_clause 0x4
	buffer_load_dword v22, off, s[0:3], 0 offset:844
	buffer_load_dword v86, off, s[0:3], 0 offset:856
	;; [unrolled: 1-line block ×5, first 2 shown]
	ds_read_b128 v[1:4], v70 offset:1600
	s_waitcnt vmcnt(57) lgkmcnt(1)
	v_mul_f64 v[126:127], v[5:6], v[19:20]
	v_mul_f64 v[19:20], v[7:8], v[19:20]
	s_waitcnt vmcnt(56)
	v_fma_f64 v[75:76], v[9:10], v[95:96], -v[75:76]
	v_add_f64 v[15:16], v[15:16], v[33:34]
	v_fma_f64 v[33:34], v[11:12], v[95:96], v[77:78]
	v_add_f64 v[13:14], v[13:14], v[27:28]
	s_clause 0x2
	buffer_load_dword v87, off, s[0:3], 0 offset:860
	buffer_load_dword v28, off, s[0:3], 0 offset:836
	;; [unrolled: 1-line block ×3, first 2 shown]
	ds_read_b128 v[9:12], v70 offset:1616
	s_waitcnt vmcnt(58) lgkmcnt(1)
	v_mul_f64 v[77:78], v[1:2], v[37:38]
	v_mul_f64 v[37:38], v[3:4], v[37:38]
	s_waitcnt vmcnt(56)
	v_fma_f64 v[19:20], v[5:6], v[25:26], -v[19:20]
	v_fma_f64 v[25:26], v[7:8], v[25:26], v[126:127]
	v_add_f64 v[15:16], v[15:16], v[75:76]
	v_add_f64 v[13:14], v[13:14], v[33:34]
	s_clause 0x4
	buffer_load_dword v34, off, s[0:3], 0 offset:876
	buffer_load_dword v75, off, s[0:3], 0 offset:888
	buffer_load_dword v95, off, s[0:3], 0 offset:880
	buffer_load_dword v33, off, s[0:3], 0 offset:872
	buffer_load_dword v126, off, s[0:3], 0 offset:852
	ds_read_b128 v[5:8], v70 offset:1632
	s_waitcnt vmcnt(57) lgkmcnt(1)
	v_mul_f64 v[127:128], v[9:10], v[23:24]
	v_mul_f64 v[23:24], v[11:12], v[23:24]
	s_waitcnt vmcnt(56)
	v_fma_f64 v[37:38], v[1:2], v[93:94], -v[37:38]
	v_add_f64 v[15:16], v[15:16], v[19:20]
	v_fma_f64 v[19:20], v[3:4], v[93:94], v[77:78]
	v_add_f64 v[13:14], v[13:14], v[25:26]
	s_clause 0x2
	buffer_load_dword v76, off, s[0:3], 0 offset:892
	buffer_load_dword v26, off, s[0:3], 0 offset:868
	;; [unrolled: 1-line block ×3, first 2 shown]
	s_waitcnt vmcnt(58) lgkmcnt(0)
	v_mul_f64 v[77:78], v[5:6], v[45:46]
	v_mul_f64 v[45:46], v[7:8], v[45:46]
	ds_read_b128 v[1:4], v70 offset:1648
	s_waitcnt vmcnt(56)
	v_fma_f64 v[23:24], v[9:10], v[31:32], -v[23:24]
	v_fma_f64 v[31:32], v[11:12], v[31:32], v[127:128]
	v_add_f64 v[15:16], v[15:16], v[37:38]
	v_add_f64 v[13:14], v[13:14], v[19:20]
	s_clause 0x4
	buffer_load_dword v20, off, s[0:3], 0 offset:908
	buffer_load_dword v37, off, s[0:3], 0 offset:920
	;; [unrolled: 1-line block ×5, first 2 shown]
	ds_read_b128 v[9:12], v70 offset:1664
	s_waitcnt vmcnt(57) lgkmcnt(1)
	v_mul_f64 v[127:128], v[1:2], v[29:30]
	v_mul_f64 v[29:30], v[3:4], v[29:30]
	s_waitcnt vmcnt(56)
	v_fma_f64 v[45:46], v[5:6], v[71:72], -v[45:46]
	v_add_f64 v[15:16], v[15:16], v[23:24]
	v_fma_f64 v[23:24], v[7:8], v[71:72], v[77:78]
	v_add_f64 v[13:14], v[13:14], v[31:32]
	s_clause 0x2
	buffer_load_dword v38, off, s[0:3], 0 offset:924
	buffer_load_dword v32, off, s[0:3], 0 offset:900
	;; [unrolled: 1-line block ×3, first 2 shown]
	s_waitcnt vmcnt(58) lgkmcnt(0)
	v_mul_f64 v[71:72], v[9:10], v[51:52]
	v_mul_f64 v[51:52], v[11:12], v[51:52]
	ds_read_b128 v[5:8], v70 offset:1680
	s_waitcnt vmcnt(56)
	v_fma_f64 v[29:30], v[1:2], v[41:42], -v[29:30]
	v_fma_f64 v[41:42], v[3:4], v[41:42], v[127:128]
	v_add_f64 v[15:16], v[15:16], v[45:46]
	v_add_f64 v[13:14], v[13:14], v[23:24]
	s_clause 0x4
	buffer_load_dword v24, off, s[0:3], 0 offset:940
	buffer_load_dword v45, off, s[0:3], 0 offset:952
	;; [unrolled: 1-line block ×5, first 2 shown]
	ds_read_b128 v[1:4], v70 offset:1696
	s_waitcnt vmcnt(57) lgkmcnt(1)
	v_mul_f64 v[78:79], v[5:6], v[35:36]
	v_mul_f64 v[35:36], v[7:8], v[35:36]
	s_waitcnt vmcnt(56)
	v_fma_f64 v[51:52], v[9:10], v[53:54], -v[51:52]
	v_add_f64 v[15:16], v[15:16], v[29:30]
	v_fma_f64 v[29:30], v[11:12], v[53:54], v[71:72]
	v_add_f64 v[13:14], v[13:14], v[41:42]
	s_clause 0x2
	buffer_load_dword v46, off, s[0:3], 0 offset:956
	buffer_load_dword v42, off, s[0:3], 0 offset:932
	;; [unrolled: 1-line block ×3, first 2 shown]
	ds_read_b128 v[9:12], v70 offset:1712
	s_waitcnt vmcnt(58) lgkmcnt(1)
	v_mul_f64 v[53:54], v[1:2], v[59:60]
	v_mul_f64 v[59:60], v[3:4], v[59:60]
	s_waitcnt vmcnt(56)
	v_fma_f64 v[35:36], v[5:6], v[39:40], -v[35:36]
	v_fma_f64 v[39:40], v[7:8], v[39:40], v[78:79]
	v_add_f64 v[15:16], v[15:16], v[51:52]
	v_add_f64 v[13:14], v[13:14], v[29:30]
	s_clause 0x4
	buffer_load_dword v30, off, s[0:3], 0 offset:972
	buffer_load_dword v51, off, s[0:3], 0 offset:984
	;; [unrolled: 1-line block ×5, first 2 shown]
	ds_read_b128 v[5:8], v70 offset:1728
	s_waitcnt vmcnt(57) lgkmcnt(1)
	v_mul_f64 v[127:128], v[9:10], v[43:44]
	v_mul_f64 v[43:44], v[11:12], v[43:44]
	s_waitcnt vmcnt(56)
	v_fma_f64 v[59:60], v[1:2], v[61:62], -v[59:60]
	v_add_f64 v[15:16], v[15:16], v[35:36]
	v_fma_f64 v[35:36], v[3:4], v[61:62], v[53:54]
	v_add_f64 v[13:14], v[13:14], v[39:40]
	s_clause 0x2
	buffer_load_dword v52, off, s[0:3], 0 offset:988
	buffer_load_dword v40, off, s[0:3], 0 offset:964
	;; [unrolled: 1-line block ×3, first 2 shown]
	ds_read_b128 v[1:4], v70 offset:1744
	s_waitcnt vmcnt(58) lgkmcnt(1)
	v_mul_f64 v[61:62], v[7:8], v[65:66]
	v_mul_f64 v[53:54], v[5:6], v[65:66]
	s_waitcnt vmcnt(56)
	v_fma_f64 v[43:44], v[9:10], v[47:48], -v[43:44]
	v_fma_f64 v[47:48], v[11:12], v[47:48], v[127:128]
	v_add_f64 v[15:16], v[15:16], v[59:60]
	v_add_f64 v[13:14], v[13:14], v[35:36]
	s_clause 0x2
	buffer_load_dword v36, off, s[0:3], 0 offset:1004
	buffer_load_dword v35, off, s[0:3], 0 offset:1000
	;; [unrolled: 1-line block ×3, first 2 shown]
	ds_read_b128 v[9:12], v70 offset:1760
	s_waitcnt vmcnt(55) lgkmcnt(1)
	v_mul_f64 v[59:60], v[1:2], v[49:50]
	v_mul_f64 v[49:50], v[3:4], v[49:50]
	s_waitcnt vmcnt(54)
	v_fma_f64 v[61:62], v[5:6], v[67:68], -v[61:62]
	v_add_f64 v[15:16], v[15:16], v[43:44]
	v_fma_f64 v[43:44], v[7:8], v[67:68], v[53:54]
	v_add_f64 v[13:14], v[13:14], v[47:48]
	s_clause 0x1
	buffer_load_dword v48, off, s[0:3], 0 offset:996
	buffer_load_dword v47, off, s[0:3], 0 offset:992
	ds_read_b128 v[5:8], v70 offset:1776
	s_waitcnt vmcnt(55) lgkmcnt(1)
	v_mul_f64 v[53:54], v[9:10], v[55:56]
	v_mul_f64 v[55:56], v[11:12], v[55:56]
	s_waitcnt vmcnt(53)
	v_fma_f64 v[49:50], v[1:2], v[17:18], -v[49:50]
	v_fma_f64 v[17:18], v[3:4], v[17:18], v[59:60]
	ds_read_b128 v[1:4], v70 offset:1792
	v_add_f64 v[15:16], v[15:16], v[61:62]
	v_add_f64 v[13:14], v[13:14], v[43:44]
	s_waitcnt vmcnt(49) lgkmcnt(1)
	v_mul_f64 v[43:44], v[5:6], v[57:58]
	v_mul_f64 v[57:58], v[7:8], v[57:58]
	s_waitcnt vmcnt(48)
	v_fma_f64 v[55:56], v[9:10], v[84:85], -v[55:56]
	v_add_f64 v[15:16], v[15:16], v[49:50]
	v_fma_f64 v[49:50], v[11:12], v[84:85], v[53:54]
	v_add_f64 v[13:14], v[13:14], v[17:18]
	s_clause 0x3
	buffer_load_dword v17, off, s[0:3], 0 offset:256
	buffer_load_dword v18, off, s[0:3], 0 offset:260
	buffer_load_dword v53, off, s[0:3], 0 offset:264
	buffer_load_dword v54, off, s[0:3], 0 offset:268
	ds_read_b128 v[9:12], v70 offset:1808
	s_waitcnt vmcnt(51) lgkmcnt(1)
	v_mul_f64 v[61:62], v[3:4], v[73:74]
	v_mul_f64 v[59:60], v[1:2], v[73:74]
	s_waitcnt vmcnt(49)
	v_fma_f64 v[57:58], v[5:6], v[63:64], -v[57:58]
	v_fma_f64 v[43:44], v[7:8], v[63:64], v[43:44]
	ds_read_b128 v[5:8], v70 offset:1824
	v_add_f64 v[15:16], v[15:16], v[55:56]
	v_add_f64 v[13:14], v[13:14], v[49:50]
	s_waitcnt vmcnt(45) lgkmcnt(1)
	v_mul_f64 v[49:50], v[9:10], v[21:22]
	v_mul_f64 v[21:22], v[11:12], v[21:22]
	s_waitcnt vmcnt(44)
	v_fma_f64 v[55:56], v[1:2], v[123:124], -v[61:62]
	v_add_f64 v[15:16], v[15:16], v[57:58]
	v_fma_f64 v[57:58], v[3:4], v[123:124], v[59:60]
	v_add_f64 v[13:14], v[13:14], v[43:44]
	ds_read_b128 v[1:4], v70 offset:1840
	s_waitcnt vmcnt(43) lgkmcnt(1)
	v_mul_f64 v[59:60], v[7:8], v[86:87]
	v_mul_f64 v[43:44], v[5:6], v[86:87]
	s_waitcnt vmcnt(41)
	v_fma_f64 v[21:22], v[9:10], v[27:28], -v[21:22]
	v_fma_f64 v[27:28], v[11:12], v[27:28], v[49:50]
	ds_read_b128 v[9:12], v70 offset:1856
	v_add_f64 v[15:16], v[15:16], v[55:56]
	v_add_f64 v[13:14], v[13:14], v[57:58]
	s_waitcnt vmcnt(37) lgkmcnt(1)
	v_mul_f64 v[49:50], v[1:2], v[33:34]
	v_mul_f64 v[33:34], v[3:4], v[33:34]
	s_waitcnt vmcnt(36)
	v_fma_f64 v[55:56], v[5:6], v[125:126], -v[59:60]
	v_add_f64 v[15:16], v[15:16], v[21:22]
	v_fma_f64 v[21:22], v[7:8], v[125:126], v[43:44]
	v_add_f64 v[13:14], v[13:14], v[27:28]
	ds_read_b128 v[5:8], v70 offset:1872
	s_waitcnt vmcnt(35) lgkmcnt(1)
	v_mul_f64 v[43:44], v[11:12], v[75:76]
	v_mul_f64 v[27:28], v[9:10], v[75:76]
	s_waitcnt vmcnt(33)
	v_fma_f64 v[33:34], v[1:2], v[25:26], -v[33:34]
	v_fma_f64 v[25:26], v[3:4], v[25:26], v[49:50]
	ds_read_b128 v[1:4], v70 offset:1888
	v_add_f64 v[15:16], v[15:16], v[55:56]
	v_add_f64 v[13:14], v[13:14], v[21:22]
	s_waitcnt vmcnt(29) lgkmcnt(1)
	v_mul_f64 v[21:22], v[5:6], v[19:20]
	v_mul_f64 v[19:20], v[7:8], v[19:20]
	s_waitcnt vmcnt(28)
	v_fma_f64 v[43:44], v[9:10], v[95:96], -v[43:44]
	v_fma_f64 v[27:28], v[11:12], v[95:96], v[27:28]
	ds_read_b128 v[9:12], v70 offset:1904
	v_add_f64 v[15:16], v[15:16], v[33:34]
	v_add_f64 v[13:14], v[13:14], v[25:26]
	;; [unrolled: 9-line block ×3, first 2 shown]
	s_waitcnt vmcnt(21) lgkmcnt(1)
	v_mul_f64 v[27:28], v[9:10], v[23:24]
	v_mul_f64 v[23:24], v[11:12], v[23:24]
	s_waitcnt vmcnt(20)
	v_fma_f64 v[31:32], v[1:2], v[93:94], -v[33:34]
	v_add_f64 v[15:16], v[15:16], v[19:20]
	v_fma_f64 v[19:20], v[3:4], v[93:94], v[25:26]
	v_add_f64 v[13:14], v[13:14], v[21:22]
	ds_read_b128 v[1:4], v70 offset:1936
	s_waitcnt vmcnt(19) lgkmcnt(1)
	v_mul_f64 v[25:26], v[7:8], v[45:46]
	v_mul_f64 v[21:22], v[5:6], v[45:46]
	s_waitcnt vmcnt(17)
	v_fma_f64 v[23:24], v[9:10], v[41:42], -v[23:24]
	v_fma_f64 v[27:28], v[11:12], v[41:42], v[27:28]
	ds_read_b128 v[9:12], v70 offset:1952
	v_add_f64 v[15:16], v[15:16], v[31:32]
	v_add_f64 v[13:14], v[13:14], v[19:20]
	s_waitcnt vmcnt(13) lgkmcnt(1)
	v_mul_f64 v[19:20], v[1:2], v[29:30]
	v_mul_f64 v[29:30], v[3:4], v[29:30]
	s_waitcnt vmcnt(12)
	v_fma_f64 v[25:26], v[5:6], v[77:78], -v[25:26]
	v_fma_f64 v[21:22], v[7:8], v[77:78], v[21:22]
	ds_read_b128 v[5:8], v70 offset:1968
	v_add_f64 v[15:16], v[15:16], v[23:24]
	v_add_f64 v[13:14], v[13:14], v[27:28]
	s_waitcnt vmcnt(11) lgkmcnt(1)
	v_mul_f64 v[27:28], v[11:12], v[51:52]
	v_mul_f64 v[23:24], v[9:10], v[51:52]
	s_waitcnt vmcnt(9)
	v_fma_f64 v[1:2], v[1:2], v[39:40], -v[29:30]
	v_fma_f64 v[3:4], v[3:4], v[39:40], v[19:20]
	v_add_f64 v[15:16], v[15:16], v[25:26]
	v_add_f64 v[13:14], v[13:14], v[21:22]
	s_waitcnt vmcnt(7) lgkmcnt(0)
	v_mul_f64 v[21:22], v[7:8], v[35:36]
	s_waitcnt vmcnt(6)
	v_fma_f64 v[9:10], v[9:10], v[71:72], -v[27:28]
	v_mul_f64 v[19:20], v[5:6], v[35:36]
	v_fma_f64 v[11:12], v[11:12], v[71:72], v[23:24]
	v_add_f64 v[1:2], v[15:16], v[1:2]
	v_add_f64 v[3:4], v[13:14], v[3:4]
	s_waitcnt vmcnt(4)
	v_fma_f64 v[5:6], v[5:6], v[47:48], -v[21:22]
	v_fma_f64 v[7:8], v[7:8], v[47:48], v[19:20]
	v_add_f64 v[1:2], v[1:2], v[9:10]
	v_add_f64 v[3:4], v[3:4], v[11:12]
	;; [unrolled: 1-line block ×4, first 2 shown]
	s_waitcnt vmcnt(2)
	v_add_f64 v[1:2], v[17:18], -v[1:2]
	s_waitcnt vmcnt(0)
	v_add_f64 v[3:4], v[53:54], -v[3:4]
	buffer_store_dword v2, off, s[0:3], 0 offset:260
	buffer_store_dword v1, off, s[0:3], 0 offset:256
	;; [unrolled: 1-line block ×4, first 2 shown]
	v_cmpx_lt_u32_e32 14, v0
	s_cbranch_execz .LBB61_369
; %bb.368:
	v_mov_b32_e32 v4, s65
	v_mov_b32_e32 v5, 0
	s_clause 0x3
	buffer_load_dword v1, v4, s[0:3], 0 offen
	buffer_load_dword v2, v4, s[0:3], 0 offen offset:4
	buffer_load_dword v3, v4, s[0:3], 0 offen offset:8
	;; [unrolled: 1-line block ×3, first 2 shown]
	buffer_store_dword v5, off, s[0:3], 0 offset:240
	buffer_store_dword v5, off, s[0:3], 0 offset:244
	;; [unrolled: 1-line block ×4, first 2 shown]
	s_waitcnt vmcnt(0)
	ds_write_b128 v69, v[1:4]
.LBB61_369:
	s_or_b32 exec_lo, exec_lo, s4
	s_waitcnt lgkmcnt(0)
	s_waitcnt_vscnt null, 0x0
	s_barrier
	buffer_gl0_inv
	s_clause 0x37
	buffer_load_dword v17, off, s[0:3], 0 offset:264
	buffer_load_dword v18, off, s[0:3], 0 offset:268
	;; [unrolled: 1-line block ×56, first 2 shown]
	v_mov_b32_e32 v70, 0
	s_mov_b32 s4, exec_lo
	ds_read_b128 v[5:8], v70 offset:1232
	s_clause 0x2
	buffer_load_dword v66, off, s[0:3], 0 offset:492
	buffer_load_dword v68, off, s[0:3], 0 offset:468
	;; [unrolled: 1-line block ×3, first 2 shown]
	ds_read_b128 v[1:4], v70 offset:1248
	s_clause 0x4
	buffer_load_dword v78, off, s[0:3], 0 offset:508
	buffer_load_dword v84, off, s[0:3], 0 offset:520
	;; [unrolled: 1-line block ×5, first 2 shown]
	ds_read_b128 v[71:74], v70 offset:1264
	s_waitcnt vmcnt(62) lgkmcnt(2)
	v_mul_f64 v[75:76], v[7:8], v[17:18]
	v_mul_f64 v[17:18], v[5:6], v[17:18]
	s_waitcnt vmcnt(60) lgkmcnt(1)
	v_mul_f64 v[87:88], v[3:4], v[13:14]
	v_mul_f64 v[13:14], v[1:2], v[13:14]
	;; [unrolled: 3-line block ×3, first 2 shown]
	v_fma_f64 v[75:76], v[5:6], v[15:16], -v[75:76]
	v_fma_f64 v[15:16], v[7:8], v[15:16], v[17:18]
	s_clause 0x2
	buffer_load_dword v85, off, s[0:3], 0 offset:524
	buffer_load_dword v18, off, s[0:3], 0 offset:500
	;; [unrolled: 1-line block ×3, first 2 shown]
	s_waitcnt vmcnt(57)
	v_fma_f64 v[95:96], v[1:2], v[9:10], -v[87:88]
	ds_read_b128 v[5:8], v70 offset:1280
	v_fma_f64 v[9:10], v[3:4], v[9:10], v[13:14]
	s_waitcnt vmcnt(51)
	v_fma_f64 v[71:72], v[71:72], v[33:34], -v[11:12]
	v_fma_f64 v[33:34], v[73:74], v[33:34], v[93:94]
	v_add_f64 v[75:76], v[75:76], 0
	v_add_f64 v[13:14], v[15:16], 0
	s_clause 0x4
	buffer_load_dword v16, off, s[0:3], 0 offset:540
	buffer_load_dword v123, off, s[0:3], 0 offset:552
	;; [unrolled: 1-line block ×5, first 2 shown]
	s_waitcnt lgkmcnt(0)
	v_mul_f64 v[126:127], v[5:6], v[21:22]
	v_mul_f64 v[21:22], v[7:8], v[21:22]
	ds_read_b128 v[1:4], v70 offset:1296
	s_clause 0x2
	buffer_load_dword v124, off, s[0:3], 0 offset:556
	buffer_load_dword v74, off, s[0:3], 0 offset:532
	;; [unrolled: 1-line block ×3, first 2 shown]
	v_add_f64 v[75:76], v[75:76], v[95:96]
	v_add_f64 v[13:14], v[13:14], v[9:10]
	ds_read_b128 v[9:12], v70 offset:1312
	s_waitcnt vmcnt(58) lgkmcnt(1)
	v_mul_f64 v[93:94], v[1:2], v[25:26]
	v_mul_f64 v[25:26], v[3:4], v[25:26]
	s_waitcnt vmcnt(56)
	v_fma_f64 v[21:22], v[5:6], v[27:28], -v[21:22]
	v_fma_f64 v[27:28], v[7:8], v[27:28], v[126:127]
	s_waitcnt vmcnt(52) lgkmcnt(0)
	v_mul_f64 v[127:128], v[9:10], v[29:30]
	v_add_f64 v[71:72], v[75:76], v[71:72]
	v_add_f64 v[13:14], v[13:14], v[33:34]
	s_clause 0x4
	buffer_load_dword v34, off, s[0:3], 0 offset:572
	buffer_load_dword v75, off, s[0:3], 0 offset:584
	;; [unrolled: 1-line block ×5, first 2 shown]
	v_mul_f64 v[29:30], v[11:12], v[29:30]
	s_waitcnt vmcnt(56)
	v_fma_f64 v[25:26], v[1:2], v[19:20], -v[25:26]
	ds_read_b128 v[5:8], v70 offset:1328
	v_fma_f64 v[19:20], v[3:4], v[19:20], v[93:94]
	v_add_f64 v[21:22], v[71:72], v[21:22]
	v_add_f64 v[13:14], v[13:14], v[27:28]
	s_clause 0x2
	buffer_load_dword v76, off, s[0:3], 0 offset:588
	buffer_load_dword v28, off, s[0:3], 0 offset:564
	;; [unrolled: 1-line block ×3, first 2 shown]
	s_waitcnt vmcnt(58) lgkmcnt(0)
	v_mul_f64 v[71:72], v[5:6], v[35:36]
	v_mul_f64 v[35:36], v[7:8], v[35:36]
	s_waitcnt vmcnt(56)
	v_fma_f64 v[29:30], v[9:10], v[37:38], -v[29:30]
	ds_read_b128 v[1:4], v70 offset:1344
	v_add_f64 v[21:22], v[21:22], v[25:26]
	v_fma_f64 v[25:26], v[11:12], v[37:38], v[127:128]
	v_add_f64 v[13:14], v[13:14], v[19:20]
	s_clause 0x4
	buffer_load_dword v20, off, s[0:3], 0 offset:604
	buffer_load_dword v37, off, s[0:3], 0 offset:616
	;; [unrolled: 1-line block ×5, first 2 shown]
	s_waitcnt vmcnt(57) lgkmcnt(0)
	v_mul_f64 v[127:128], v[1:2], v[39:40]
	v_mul_f64 v[39:40], v[3:4], v[39:40]
	s_waitcnt vmcnt(56)
	v_fma_f64 v[35:36], v[5:6], v[23:24], -v[35:36]
	ds_read_b128 v[9:12], v70 offset:1360
	v_fma_f64 v[23:24], v[7:8], v[23:24], v[71:72]
	v_add_f64 v[21:22], v[21:22], v[29:30]
	v_add_f64 v[13:14], v[13:14], v[25:26]
	s_clause 0x2
	buffer_load_dword v38, off, s[0:3], 0 offset:620
	buffer_load_dword v26, off, s[0:3], 0 offset:596
	;; [unrolled: 1-line block ×3, first 2 shown]
	ds_read_b128 v[5:8], v70 offset:1376
	s_waitcnt vmcnt(58) lgkmcnt(1)
	v_mul_f64 v[29:30], v[9:10], v[43:44]
	v_mul_f64 v[43:44], v[11:12], v[43:44]
	s_waitcnt vmcnt(56)
	v_fma_f64 v[39:40], v[1:2], v[45:46], -v[39:40]
	v_add_f64 v[21:22], v[21:22], v[35:36]
	v_fma_f64 v[35:36], v[3:4], v[45:46], v[127:128]
	v_add_f64 v[13:14], v[13:14], v[23:24]
	s_clause 0x4
	buffer_load_dword v24, off, s[0:3], 0 offset:636
	buffer_load_dword v45, off, s[0:3], 0 offset:648
	;; [unrolled: 1-line block ×5, first 2 shown]
	s_waitcnt vmcnt(57) lgkmcnt(0)
	v_mul_f64 v[127:128], v[5:6], v[47:48]
	v_mul_f64 v[47:48], v[7:8], v[47:48]
	s_waitcnt vmcnt(56)
	v_fma_f64 v[43:44], v[9:10], v[31:32], -v[43:44]
	ds_read_b128 v[1:4], v70 offset:1392
	v_fma_f64 v[29:30], v[11:12], v[31:32], v[29:30]
	s_clause 0x2
	buffer_load_dword v46, off, s[0:3], 0 offset:652
	buffer_load_dword v32, off, s[0:3], 0 offset:628
	buffer_load_dword v31, off, s[0:3], 0 offset:624
	ds_read_b128 v[9:12], v70 offset:1408
	v_add_f64 v[21:22], v[21:22], v[39:40]
	v_add_f64 v[13:14], v[13:14], v[35:36]
	s_waitcnt vmcnt(58) lgkmcnt(1)
	v_mul_f64 v[39:40], v[3:4], v[51:52]
	s_waitcnt vmcnt(56)
	v_fma_f64 v[47:48], v[5:6], v[53:54], -v[47:48]
	v_mul_f64 v[35:36], v[1:2], v[51:52]
	v_add_f64 v[21:22], v[21:22], v[43:44]
	v_fma_f64 v[43:44], v[7:8], v[53:54], v[127:128]
	v_add_f64 v[13:14], v[13:14], v[29:30]
	s_clause 0x4
	buffer_load_dword v30, off, s[0:3], 0 offset:668
	buffer_load_dword v51, off, s[0:3], 0 offset:680
	;; [unrolled: 1-line block ×5, first 2 shown]
	s_waitcnt vmcnt(57) lgkmcnt(0)
	v_mul_f64 v[127:128], v[9:10], v[55:56]
	v_mul_f64 v[54:55], v[11:12], v[55:56]
	s_waitcnt vmcnt(56)
	v_fma_f64 v[39:40], v[1:2], v[41:42], -v[39:40]
	ds_read_b128 v[5:8], v70 offset:1424
	v_fma_f64 v[35:36], v[3:4], v[41:42], v[35:36]
	s_clause 0x2
	buffer_load_dword v52, off, s[0:3], 0 offset:684
	buffer_load_dword v42, off, s[0:3], 0 offset:660
	;; [unrolled: 1-line block ×3, first 2 shown]
	ds_read_b128 v[1:4], v70 offset:1440
	v_add_f64 v[21:22], v[21:22], v[47:48]
	v_add_f64 v[13:14], v[13:14], v[43:44]
	s_waitcnt vmcnt(58) lgkmcnt(1)
	v_mul_f64 v[47:48], v[7:8], v[59:60]
	s_waitcnt vmcnt(56)
	v_fma_f64 v[55:56], v[9:10], v[61:62], -v[54:55]
	v_mul_f64 v[43:44], v[5:6], v[59:60]
	v_add_f64 v[21:22], v[21:22], v[39:40]
	v_fma_f64 v[39:40], v[11:12], v[61:62], v[127:128]
	v_add_f64 v[13:14], v[13:14], v[35:36]
	s_clause 0x4
	buffer_load_dword v36, off, s[0:3], 0 offset:700
	buffer_load_dword v59, off, s[0:3], 0 offset:712
	;; [unrolled: 1-line block ×5, first 2 shown]
	s_waitcnt vmcnt(57) lgkmcnt(0)
	v_mul_f64 v[127:128], v[1:2], v[63:64]
	v_mul_f64 v[62:63], v[3:4], v[63:64]
	s_waitcnt vmcnt(56)
	v_fma_f64 v[47:48], v[5:6], v[49:50], -v[47:48]
	ds_read_b128 v[9:12], v70 offset:1456
	v_fma_f64 v[43:44], v[7:8], v[49:50], v[43:44]
	v_add_f64 v[21:22], v[21:22], v[55:56]
	v_add_f64 v[13:14], v[13:14], v[39:40]
	s_clause 0x2
	buffer_load_dword v60, off, s[0:3], 0 offset:716
	buffer_load_dword v40, off, s[0:3], 0 offset:692
	;; [unrolled: 1-line block ×3, first 2 shown]
	ds_read_b128 v[5:8], v70 offset:1472
	s_waitcnt vmcnt(58) lgkmcnt(1)
	v_mul_f64 v[55:56], v[11:12], v[65:66]
	s_waitcnt vmcnt(56)
	v_fma_f64 v[63:64], v[1:2], v[67:68], -v[62:63]
	v_mul_f64 v[49:50], v[9:10], v[65:66]
	v_add_f64 v[21:22], v[21:22], v[47:48]
	v_fma_f64 v[47:48], v[3:4], v[67:68], v[127:128]
	v_add_f64 v[13:14], v[13:14], v[43:44]
	s_clause 0x4
	buffer_load_dword v44, off, s[0:3], 0 offset:732
	buffer_load_dword v65, off, s[0:3], 0 offset:744
	;; [unrolled: 1-line block ×5, first 2 shown]
	s_waitcnt vmcnt(57) lgkmcnt(0)
	v_mul_f64 v[127:128], v[5:6], v[77:78]
	v_mul_f64 v[77:78], v[7:8], v[77:78]
	s_waitcnt vmcnt(56)
	v_fma_f64 v[55:56], v[9:10], v[57:58], -v[55:56]
	ds_read_b128 v[1:4], v70 offset:1488
	v_fma_f64 v[49:50], v[11:12], v[57:58], v[49:50]
	v_add_f64 v[21:22], v[21:22], v[63:64]
	v_add_f64 v[13:14], v[13:14], v[47:48]
	s_clause 0x2
	buffer_load_dword v66, off, s[0:3], 0 offset:748
	buffer_load_dword v48, off, s[0:3], 0 offset:724
	;; [unrolled: 1-line block ×3, first 2 shown]
	ds_read_b128 v[9:12], v70 offset:1504
	s_waitcnt vmcnt(58) lgkmcnt(1)
	v_mul_f64 v[63:64], v[3:4], v[84:85]
	v_mul_f64 v[57:58], v[1:2], v[84:85]
	s_waitcnt vmcnt(56)
	v_fma_f64 v[77:78], v[5:6], v[17:18], -v[77:78]
	v_fma_f64 v[17:18], v[7:8], v[17:18], v[127:128]
	v_add_f64 v[21:22], v[21:22], v[55:56]
	v_add_f64 v[13:14], v[13:14], v[49:50]
	s_clause 0x4
	buffer_load_dword v50, off, s[0:3], 0 offset:764
	buffer_load_dword v55, off, s[0:3], 0 offset:776
	;; [unrolled: 1-line block ×5, first 2 shown]
	ds_read_b128 v[5:8], v70 offset:1520
	s_waitcnt vmcnt(57) lgkmcnt(1)
	v_mul_f64 v[127:128], v[9:10], v[15:16]
	v_mul_f64 v[15:16], v[11:12], v[15:16]
	s_waitcnt vmcnt(56)
	v_fma_f64 v[63:64], v[1:2], v[86:87], -v[63:64]
	v_fma_f64 v[57:58], v[3:4], v[86:87], v[57:58]
	v_add_f64 v[21:22], v[21:22], v[77:78]
	v_add_f64 v[13:14], v[13:14], v[17:18]
	s_clause 0x2
	buffer_load_dword v56, off, s[0:3], 0 offset:780
	buffer_load_dword v18, off, s[0:3], 0 offset:756
	;; [unrolled: 1-line block ×3, first 2 shown]
	s_waitcnt vmcnt(58) lgkmcnt(0)
	v_mul_f64 v[86:87], v[7:8], v[123:124]
	ds_read_b128 v[1:4], v70 offset:1536
	v_mul_f64 v[77:78], v[5:6], v[123:124]
	s_waitcnt vmcnt(56)
	v_fma_f64 v[15:16], v[9:10], v[73:74], -v[15:16]
	v_add_f64 v[21:22], v[21:22], v[63:64]
	v_fma_f64 v[63:64], v[11:12], v[73:74], v[127:128]
	v_add_f64 v[13:14], v[13:14], v[57:58]
	s_clause 0x4
	buffer_load_dword v58, off, s[0:3], 0 offset:796
	buffer_load_dword v73, off, s[0:3], 0 offset:808
	;; [unrolled: 1-line block ×5, first 2 shown]
	ds_read_b128 v[9:12], v70 offset:1552
	s_waitcnt vmcnt(57) lgkmcnt(1)
	v_mul_f64 v[127:128], v[1:2], v[33:34]
	v_mul_f64 v[33:34], v[3:4], v[33:34]
	s_waitcnt vmcnt(56)
	v_fma_f64 v[86:87], v[5:6], v[125:126], -v[86:87]
	v_add_f64 v[15:16], v[21:22], v[15:16]
	v_fma_f64 v[21:22], v[7:8], v[125:126], v[77:78]
	v_add_f64 v[13:14], v[13:14], v[63:64]
	s_clause 0x2
	buffer_load_dword v74, off, s[0:3], 0 offset:812
	buffer_load_dword v64, off, s[0:3], 0 offset:788
	;; [unrolled: 1-line block ×3, first 2 shown]
	ds_read_b128 v[5:8], v70 offset:1568
	s_waitcnt vmcnt(58) lgkmcnt(1)
	v_mul_f64 v[77:78], v[9:10], v[75:76]
	v_mul_f64 v[75:76], v[11:12], v[75:76]
	s_waitcnt vmcnt(56)
	v_fma_f64 v[33:34], v[1:2], v[27:28], -v[33:34]
	v_fma_f64 v[27:28], v[3:4], v[27:28], v[127:128]
	v_add_f64 v[15:16], v[15:16], v[86:87]
	v_add_f64 v[13:14], v[13:14], v[21:22]
	s_clause 0x4
	buffer_load_dword v22, off, s[0:3], 0 offset:828
	buffer_load_dword v86, off, s[0:3], 0 offset:840
	;; [unrolled: 1-line block ×5, first 2 shown]
	ds_read_b128 v[1:4], v70 offset:1584
	s_waitcnt vmcnt(57) lgkmcnt(1)
	v_mul_f64 v[126:127], v[5:6], v[19:20]
	v_mul_f64 v[19:20], v[7:8], v[19:20]
	s_waitcnt vmcnt(56)
	v_fma_f64 v[75:76], v[9:10], v[95:96], -v[75:76]
	v_add_f64 v[15:16], v[15:16], v[33:34]
	v_fma_f64 v[33:34], v[11:12], v[95:96], v[77:78]
	v_add_f64 v[13:14], v[13:14], v[27:28]
	s_clause 0x2
	buffer_load_dword v87, off, s[0:3], 0 offset:844
	buffer_load_dword v28, off, s[0:3], 0 offset:820
	;; [unrolled: 1-line block ×3, first 2 shown]
	ds_read_b128 v[9:12], v70 offset:1600
	s_waitcnt vmcnt(58) lgkmcnt(1)
	v_mul_f64 v[77:78], v[1:2], v[37:38]
	v_mul_f64 v[37:38], v[3:4], v[37:38]
	s_waitcnt vmcnt(56)
	v_fma_f64 v[19:20], v[5:6], v[25:26], -v[19:20]
	v_fma_f64 v[25:26], v[7:8], v[25:26], v[126:127]
	v_add_f64 v[15:16], v[15:16], v[75:76]
	v_add_f64 v[13:14], v[13:14], v[33:34]
	s_clause 0x4
	buffer_load_dword v34, off, s[0:3], 0 offset:860
	buffer_load_dword v75, off, s[0:3], 0 offset:872
	;; [unrolled: 1-line block ×5, first 2 shown]
	ds_read_b128 v[5:8], v70 offset:1616
	s_waitcnt vmcnt(57) lgkmcnt(1)
	v_mul_f64 v[127:128], v[9:10], v[23:24]
	v_mul_f64 v[23:24], v[11:12], v[23:24]
	s_waitcnt vmcnt(56)
	v_fma_f64 v[37:38], v[1:2], v[93:94], -v[37:38]
	v_add_f64 v[15:16], v[15:16], v[19:20]
	v_fma_f64 v[19:20], v[3:4], v[93:94], v[77:78]
	v_add_f64 v[13:14], v[13:14], v[25:26]
	s_clause 0x2
	buffer_load_dword v76, off, s[0:3], 0 offset:876
	buffer_load_dword v26, off, s[0:3], 0 offset:852
	;; [unrolled: 1-line block ×3, first 2 shown]
	s_waitcnt vmcnt(58) lgkmcnt(0)
	v_mul_f64 v[77:78], v[5:6], v[45:46]
	v_mul_f64 v[45:46], v[7:8], v[45:46]
	ds_read_b128 v[1:4], v70 offset:1632
	s_waitcnt vmcnt(56)
	v_fma_f64 v[23:24], v[9:10], v[31:32], -v[23:24]
	v_fma_f64 v[31:32], v[11:12], v[31:32], v[127:128]
	v_add_f64 v[15:16], v[15:16], v[37:38]
	v_add_f64 v[13:14], v[13:14], v[19:20]
	s_clause 0x4
	buffer_load_dword v20, off, s[0:3], 0 offset:892
	buffer_load_dword v37, off, s[0:3], 0 offset:904
	;; [unrolled: 1-line block ×5, first 2 shown]
	ds_read_b128 v[9:12], v70 offset:1648
	s_waitcnt vmcnt(57) lgkmcnt(1)
	v_mul_f64 v[127:128], v[1:2], v[29:30]
	v_mul_f64 v[29:30], v[3:4], v[29:30]
	s_waitcnt vmcnt(56)
	v_fma_f64 v[45:46], v[5:6], v[71:72], -v[45:46]
	v_add_f64 v[15:16], v[15:16], v[23:24]
	v_fma_f64 v[23:24], v[7:8], v[71:72], v[77:78]
	v_add_f64 v[13:14], v[13:14], v[31:32]
	s_clause 0x2
	buffer_load_dword v38, off, s[0:3], 0 offset:908
	buffer_load_dword v32, off, s[0:3], 0 offset:884
	;; [unrolled: 1-line block ×3, first 2 shown]
	s_waitcnt vmcnt(58) lgkmcnt(0)
	v_mul_f64 v[71:72], v[9:10], v[51:52]
	v_mul_f64 v[51:52], v[11:12], v[51:52]
	ds_read_b128 v[5:8], v70 offset:1664
	s_waitcnt vmcnt(56)
	v_fma_f64 v[29:30], v[1:2], v[41:42], -v[29:30]
	v_fma_f64 v[41:42], v[3:4], v[41:42], v[127:128]
	v_add_f64 v[15:16], v[15:16], v[45:46]
	v_add_f64 v[13:14], v[13:14], v[23:24]
	s_clause 0x4
	buffer_load_dword v24, off, s[0:3], 0 offset:924
	buffer_load_dword v45, off, s[0:3], 0 offset:936
	;; [unrolled: 1-line block ×5, first 2 shown]
	ds_read_b128 v[1:4], v70 offset:1680
	s_waitcnt vmcnt(57) lgkmcnt(1)
	v_mul_f64 v[78:79], v[5:6], v[35:36]
	v_mul_f64 v[35:36], v[7:8], v[35:36]
	s_waitcnt vmcnt(56)
	v_fma_f64 v[51:52], v[9:10], v[53:54], -v[51:52]
	v_add_f64 v[15:16], v[15:16], v[29:30]
	v_fma_f64 v[29:30], v[11:12], v[53:54], v[71:72]
	v_add_f64 v[13:14], v[13:14], v[41:42]
	s_clause 0x2
	buffer_load_dword v46, off, s[0:3], 0 offset:940
	buffer_load_dword v42, off, s[0:3], 0 offset:916
	;; [unrolled: 1-line block ×3, first 2 shown]
	ds_read_b128 v[9:12], v70 offset:1696
	s_waitcnt vmcnt(58) lgkmcnt(1)
	v_mul_f64 v[53:54], v[1:2], v[59:60]
	v_mul_f64 v[59:60], v[3:4], v[59:60]
	s_waitcnt vmcnt(56)
	v_fma_f64 v[35:36], v[5:6], v[39:40], -v[35:36]
	v_fma_f64 v[39:40], v[7:8], v[39:40], v[78:79]
	v_add_f64 v[15:16], v[15:16], v[51:52]
	v_add_f64 v[13:14], v[13:14], v[29:30]
	s_clause 0x4
	buffer_load_dword v30, off, s[0:3], 0 offset:956
	buffer_load_dword v51, off, s[0:3], 0 offset:968
	;; [unrolled: 1-line block ×5, first 2 shown]
	ds_read_b128 v[5:8], v70 offset:1712
	s_waitcnt vmcnt(57) lgkmcnt(1)
	v_mul_f64 v[127:128], v[9:10], v[43:44]
	v_mul_f64 v[43:44], v[11:12], v[43:44]
	s_waitcnt vmcnt(56)
	v_fma_f64 v[59:60], v[1:2], v[61:62], -v[59:60]
	v_add_f64 v[15:16], v[15:16], v[35:36]
	v_fma_f64 v[35:36], v[3:4], v[61:62], v[53:54]
	v_add_f64 v[13:14], v[13:14], v[39:40]
	s_clause 0x2
	buffer_load_dword v52, off, s[0:3], 0 offset:972
	buffer_load_dword v40, off, s[0:3], 0 offset:948
	;; [unrolled: 1-line block ×3, first 2 shown]
	ds_read_b128 v[1:4], v70 offset:1728
	s_waitcnt vmcnt(58) lgkmcnt(1)
	v_mul_f64 v[61:62], v[7:8], v[65:66]
	v_mul_f64 v[53:54], v[5:6], v[65:66]
	s_waitcnt vmcnt(56)
	v_fma_f64 v[43:44], v[9:10], v[47:48], -v[43:44]
	v_fma_f64 v[47:48], v[11:12], v[47:48], v[127:128]
	v_add_f64 v[15:16], v[15:16], v[59:60]
	v_add_f64 v[13:14], v[13:14], v[35:36]
	s_clause 0x4
	buffer_load_dword v36, off, s[0:3], 0 offset:988
	buffer_load_dword v59, off, s[0:3], 0 offset:1000
	;; [unrolled: 1-line block ×5, first 2 shown]
	ds_read_b128 v[9:12], v70 offset:1744
	s_waitcnt vmcnt(57) lgkmcnt(1)
	v_mul_f64 v[127:128], v[1:2], v[49:50]
	v_mul_f64 v[49:50], v[3:4], v[49:50]
	s_waitcnt vmcnt(56)
	v_fma_f64 v[61:62], v[5:6], v[67:68], -v[61:62]
	v_add_f64 v[15:16], v[15:16], v[43:44]
	v_fma_f64 v[43:44], v[7:8], v[67:68], v[53:54]
	v_add_f64 v[13:14], v[13:14], v[47:48]
	s_clause 0x2
	buffer_load_dword v60, off, s[0:3], 0 offset:1004
	buffer_load_dword v48, off, s[0:3], 0 offset:980
	;; [unrolled: 1-line block ×3, first 2 shown]
	ds_read_b128 v[5:8], v70 offset:1760
	buffer_load_dword v66, off, s[0:3], 0 offset:996
	s_waitcnt vmcnt(59) lgkmcnt(1)
	v_mul_f64 v[53:54], v[9:10], v[55:56]
	v_mul_f64 v[55:56], v[11:12], v[55:56]
	s_waitcnt vmcnt(57)
	v_fma_f64 v[49:50], v[1:2], v[17:18], -v[49:50]
	v_fma_f64 v[17:18], v[3:4], v[17:18], v[127:128]
	ds_read_b128 v[1:4], v70 offset:1776
	v_add_f64 v[15:16], v[15:16], v[61:62]
	v_add_f64 v[13:14], v[13:14], v[43:44]
	s_waitcnt vmcnt(53) lgkmcnt(1)
	v_mul_f64 v[43:44], v[5:6], v[57:58]
	v_mul_f64 v[57:58], v[7:8], v[57:58]
	s_waitcnt vmcnt(52)
	v_fma_f64 v[55:56], v[9:10], v[84:85], -v[55:56]
	v_add_f64 v[15:16], v[15:16], v[49:50]
	v_fma_f64 v[49:50], v[11:12], v[84:85], v[53:54]
	v_add_f64 v[13:14], v[13:14], v[17:18]
	ds_read_b128 v[9:12], v70 offset:1792
	s_waitcnt vmcnt(51) lgkmcnt(1)
	v_mul_f64 v[53:54], v[3:4], v[73:74]
	v_mul_f64 v[17:18], v[1:2], v[73:74]
	s_waitcnt vmcnt(49)
	v_fma_f64 v[57:58], v[5:6], v[63:64], -v[57:58]
	v_fma_f64 v[43:44], v[7:8], v[63:64], v[43:44]
	v_add_f64 v[15:16], v[15:16], v[55:56]
	v_add_f64 v[13:14], v[13:14], v[49:50]
	s_clause 0x3
	buffer_load_dword v49, off, s[0:3], 0 offset:240
	buffer_load_dword v50, off, s[0:3], 0 offset:244
	;; [unrolled: 1-line block ×4, first 2 shown]
	ds_read_b128 v[5:8], v70 offset:1808
	s_waitcnt vmcnt(49) lgkmcnt(1)
	v_mul_f64 v[61:62], v[9:10], v[21:22]
	v_mul_f64 v[21:22], v[11:12], v[21:22]
	s_waitcnt vmcnt(48)
	v_fma_f64 v[53:54], v[1:2], v[123:124], -v[53:54]
	v_fma_f64 v[17:18], v[3:4], v[123:124], v[17:18]
	ds_read_b128 v[1:4], v70 offset:1824
	v_add_f64 v[15:16], v[15:16], v[57:58]
	v_add_f64 v[13:14], v[13:14], v[43:44]
	s_waitcnt vmcnt(47) lgkmcnt(1)
	v_mul_f64 v[57:58], v[7:8], v[86:87]
	v_mul_f64 v[43:44], v[5:6], v[86:87]
	s_waitcnt vmcnt(45)
	v_fma_f64 v[21:22], v[9:10], v[27:28], -v[21:22]
	v_fma_f64 v[27:28], v[11:12], v[27:28], v[61:62]
	ds_read_b128 v[9:12], v70 offset:1840
	v_add_f64 v[15:16], v[15:16], v[53:54]
	v_add_f64 v[13:14], v[13:14], v[17:18]
	s_waitcnt vmcnt(41) lgkmcnt(1)
	v_mul_f64 v[17:18], v[1:2], v[33:34]
	v_mul_f64 v[33:34], v[3:4], v[33:34]
	s_waitcnt vmcnt(40)
	v_fma_f64 v[53:54], v[5:6], v[125:126], -v[57:58]
	v_add_f64 v[15:16], v[15:16], v[21:22]
	v_fma_f64 v[21:22], v[7:8], v[125:126], v[43:44]
	v_add_f64 v[13:14], v[13:14], v[27:28]
	ds_read_b128 v[5:8], v70 offset:1856
	s_waitcnt vmcnt(39) lgkmcnt(1)
	v_mul_f64 v[43:44], v[11:12], v[75:76]
	v_mul_f64 v[27:28], v[9:10], v[75:76]
	s_waitcnt vmcnt(37)
	v_fma_f64 v[33:34], v[1:2], v[25:26], -v[33:34]
	v_fma_f64 v[17:18], v[3:4], v[25:26], v[17:18]
	ds_read_b128 v[1:4], v70 offset:1872
	v_add_f64 v[15:16], v[15:16], v[53:54]
	v_add_f64 v[13:14], v[13:14], v[21:22]
	s_waitcnt vmcnt(33) lgkmcnt(1)
	v_mul_f64 v[21:22], v[5:6], v[19:20]
	v_mul_f64 v[19:20], v[7:8], v[19:20]
	s_waitcnt vmcnt(32)
	v_fma_f64 v[25:26], v[9:10], v[95:96], -v[43:44]
	v_fma_f64 v[27:28], v[11:12], v[95:96], v[27:28]
	ds_read_b128 v[9:12], v70 offset:1888
	v_add_f64 v[15:16], v[15:16], v[33:34]
	v_add_f64 v[13:14], v[13:14], v[17:18]
	s_waitcnt vmcnt(31) lgkmcnt(1)
	v_mul_f64 v[33:34], v[3:4], v[37:38]
	v_mul_f64 v[17:18], v[1:2], v[37:38]
	s_waitcnt vmcnt(29)
	v_fma_f64 v[19:20], v[5:6], v[31:32], -v[19:20]
	v_fma_f64 v[21:22], v[7:8], v[31:32], v[21:22]
	ds_read_b128 v[5:8], v70 offset:1904
	v_add_f64 v[15:16], v[15:16], v[25:26]
	v_add_f64 v[13:14], v[13:14], v[27:28]
	s_waitcnt vmcnt(25) lgkmcnt(1)
	v_mul_f64 v[25:26], v[9:10], v[23:24]
	v_mul_f64 v[23:24], v[11:12], v[23:24]
	s_waitcnt vmcnt(24)
	v_fma_f64 v[27:28], v[1:2], v[93:94], -v[33:34]
	v_fma_f64 v[17:18], v[3:4], v[93:94], v[17:18]
	ds_read_b128 v[1:4], v70 offset:1920
	v_add_f64 v[15:16], v[15:16], v[19:20]
	v_add_f64 v[13:14], v[13:14], v[21:22]
	s_waitcnt vmcnt(23) lgkmcnt(1)
	v_mul_f64 v[21:22], v[7:8], v[45:46]
	v_mul_f64 v[19:20], v[5:6], v[45:46]
	s_waitcnt vmcnt(21)
	v_fma_f64 v[23:24], v[9:10], v[41:42], -v[23:24]
	v_fma_f64 v[25:26], v[11:12], v[41:42], v[25:26]
	ds_read_b128 v[9:12], v70 offset:1936
	v_add_f64 v[15:16], v[15:16], v[27:28]
	v_add_f64 v[13:14], v[13:14], v[17:18]
	s_waitcnt vmcnt(17) lgkmcnt(1)
	v_mul_f64 v[27:28], v[3:4], v[29:30]
	s_waitcnt vmcnt(16)
	v_fma_f64 v[21:22], v[5:6], v[77:78], -v[21:22]
	v_mul_f64 v[17:18], v[1:2], v[29:30]
	v_fma_f64 v[19:20], v[7:8], v[77:78], v[19:20]
	ds_read_b128 v[5:8], v70 offset:1952
	v_add_f64 v[15:16], v[15:16], v[23:24]
	v_add_f64 v[13:14], v[13:14], v[25:26]
	s_waitcnt vmcnt(15) lgkmcnt(1)
	v_mul_f64 v[25:26], v[11:12], v[51:52]
	v_mul_f64 v[23:24], v[9:10], v[51:52]
	s_waitcnt vmcnt(13)
	v_fma_f64 v[27:28], v[1:2], v[39:40], -v[27:28]
	v_fma_f64 v[17:18], v[3:4], v[39:40], v[17:18]
	ds_read_b128 v[1:4], v70 offset:1968
	v_add_f64 v[15:16], v[15:16], v[21:22]
	v_add_f64 v[13:14], v[13:14], v[19:20]
	s_waitcnt vmcnt(9) lgkmcnt(1)
	v_mul_f64 v[21:22], v[7:8], v[35:36]
	s_waitcnt vmcnt(8)
	v_fma_f64 v[9:10], v[9:10], v[71:72], -v[25:26]
	v_mul_f64 v[19:20], v[5:6], v[35:36]
	v_fma_f64 v[11:12], v[11:12], v[71:72], v[23:24]
	v_add_f64 v[15:16], v[15:16], v[27:28]
	v_add_f64 v[13:14], v[13:14], v[17:18]
	s_waitcnt vmcnt(7) lgkmcnt(0)
	v_mul_f64 v[23:24], v[3:4], v[59:60]
	v_mul_f64 v[17:18], v[1:2], v[59:60]
	s_waitcnt vmcnt(5)
	v_fma_f64 v[5:6], v[5:6], v[47:48], -v[21:22]
	v_fma_f64 v[7:8], v[7:8], v[47:48], v[19:20]
	v_add_f64 v[9:10], v[15:16], v[9:10]
	v_add_f64 v[11:12], v[13:14], v[11:12]
	s_waitcnt vmcnt(4)
	v_fma_f64 v[1:2], v[1:2], v[65:66], -v[23:24]
	v_fma_f64 v[3:4], v[3:4], v[65:66], v[17:18]
	v_add_f64 v[5:6], v[9:10], v[5:6]
	v_add_f64 v[7:8], v[11:12], v[7:8]
	v_add_f64 v[1:2], v[5:6], v[1:2]
	v_add_f64 v[3:4], v[7:8], v[3:4]
	s_waitcnt vmcnt(2)
	v_add_f64 v[1:2], v[49:50], -v[1:2]
	s_waitcnt vmcnt(0)
	v_add_f64 v[3:4], v[55:56], -v[3:4]
	buffer_store_dword v2, off, s[0:3], 0 offset:244
	buffer_store_dword v1, off, s[0:3], 0 offset:240
	;; [unrolled: 1-line block ×4, first 2 shown]
	v_cmpx_lt_u32_e32 13, v0
	s_cbranch_execz .LBB61_371
; %bb.370:
	v_mov_b32_e32 v4, s67
	s_clause 0x3
	buffer_load_dword v1, v4, s[0:3], 0 offen
	buffer_load_dword v2, v4, s[0:3], 0 offen offset:4
	buffer_load_dword v3, v4, s[0:3], 0 offen offset:8
	buffer_load_dword v4, v4, s[0:3], 0 offen offset:12
	buffer_store_dword v70, off, s[0:3], 0 offset:224
	buffer_store_dword v70, off, s[0:3], 0 offset:228
	;; [unrolled: 1-line block ×4, first 2 shown]
	s_waitcnt vmcnt(0)
	ds_write_b128 v69, v[1:4]
.LBB61_371:
	s_or_b32 exec_lo, exec_lo, s4
	s_waitcnt lgkmcnt(0)
	s_waitcnt_vscnt null, 0x0
	s_barrier
	buffer_gl0_inv
	s_clause 0x37
	buffer_load_dword v17, off, s[0:3], 0 offset:248
	buffer_load_dword v18, off, s[0:3], 0 offset:252
	;; [unrolled: 1-line block ×56, first 2 shown]
	ds_read_b128 v[5:8], v70 offset:1216
	s_clause 0x2
	buffer_load_dword v66, off, s[0:3], 0 offset:476
	buffer_load_dword v68, off, s[0:3], 0 offset:452
	;; [unrolled: 1-line block ×3, first 2 shown]
	ds_read_b128 v[1:4], v70 offset:1232
	s_clause 0x4
	buffer_load_dword v78, off, s[0:3], 0 offset:492
	buffer_load_dword v84, off, s[0:3], 0 offset:504
	buffer_load_dword v86, off, s[0:3], 0 offset:496
	buffer_load_dword v77, off, s[0:3], 0 offset:488
	buffer_load_dword v58, off, s[0:3], 0 offset:468
	ds_read_b128 v[71:74], v70 offset:1248
	s_mov_b32 s4, exec_lo
	s_waitcnt vmcnt(62) lgkmcnt(2)
	v_mul_f64 v[75:76], v[7:8], v[17:18]
	v_mul_f64 v[17:18], v[5:6], v[17:18]
	s_waitcnt vmcnt(60) lgkmcnt(1)
	v_mul_f64 v[87:88], v[3:4], v[13:14]
	v_mul_f64 v[13:14], v[1:2], v[13:14]
	s_waitcnt vmcnt(56) lgkmcnt(0)
	v_mul_f64 v[93:94], v[71:72], v[11:12]
	v_mul_f64 v[11:12], v[73:74], v[11:12]
	v_fma_f64 v[75:76], v[5:6], v[15:16], -v[75:76]
	v_fma_f64 v[15:16], v[7:8], v[15:16], v[17:18]
	s_clause 0x2
	buffer_load_dword v85, off, s[0:3], 0 offset:508
	buffer_load_dword v18, off, s[0:3], 0 offset:484
	;; [unrolled: 1-line block ×3, first 2 shown]
	s_waitcnt vmcnt(57)
	v_fma_f64 v[95:96], v[1:2], v[9:10], -v[87:88]
	ds_read_b128 v[5:8], v70 offset:1264
	v_fma_f64 v[9:10], v[3:4], v[9:10], v[13:14]
	s_waitcnt vmcnt(51)
	v_fma_f64 v[71:72], v[71:72], v[33:34], -v[11:12]
	v_fma_f64 v[33:34], v[73:74], v[33:34], v[93:94]
	v_add_f64 v[75:76], v[75:76], 0
	v_add_f64 v[13:14], v[15:16], 0
	s_clause 0x4
	buffer_load_dword v16, off, s[0:3], 0 offset:524
	buffer_load_dword v123, off, s[0:3], 0 offset:536
	;; [unrolled: 1-line block ×5, first 2 shown]
	s_waitcnt lgkmcnt(0)
	v_mul_f64 v[126:127], v[5:6], v[21:22]
	v_mul_f64 v[21:22], v[7:8], v[21:22]
	ds_read_b128 v[1:4], v70 offset:1280
	s_clause 0x2
	buffer_load_dword v124, off, s[0:3], 0 offset:540
	buffer_load_dword v74, off, s[0:3], 0 offset:516
	;; [unrolled: 1-line block ×3, first 2 shown]
	v_add_f64 v[75:76], v[75:76], v[95:96]
	v_add_f64 v[13:14], v[13:14], v[9:10]
	ds_read_b128 v[9:12], v70 offset:1296
	s_waitcnt vmcnt(58) lgkmcnt(1)
	v_mul_f64 v[93:94], v[1:2], v[25:26]
	v_mul_f64 v[25:26], v[3:4], v[25:26]
	s_waitcnt vmcnt(56)
	v_fma_f64 v[21:22], v[5:6], v[27:28], -v[21:22]
	v_fma_f64 v[27:28], v[7:8], v[27:28], v[126:127]
	s_waitcnt vmcnt(52) lgkmcnt(0)
	v_mul_f64 v[127:128], v[9:10], v[29:30]
	v_add_f64 v[71:72], v[75:76], v[71:72]
	v_add_f64 v[13:14], v[13:14], v[33:34]
	s_clause 0x4
	buffer_load_dword v34, off, s[0:3], 0 offset:556
	buffer_load_dword v75, off, s[0:3], 0 offset:568
	;; [unrolled: 1-line block ×5, first 2 shown]
	v_mul_f64 v[29:30], v[11:12], v[29:30]
	s_waitcnt vmcnt(56)
	v_fma_f64 v[25:26], v[1:2], v[19:20], -v[25:26]
	ds_read_b128 v[5:8], v70 offset:1312
	v_fma_f64 v[19:20], v[3:4], v[19:20], v[93:94]
	v_add_f64 v[21:22], v[71:72], v[21:22]
	v_add_f64 v[13:14], v[13:14], v[27:28]
	s_clause 0x2
	buffer_load_dword v76, off, s[0:3], 0 offset:572
	buffer_load_dword v28, off, s[0:3], 0 offset:548
	;; [unrolled: 1-line block ×3, first 2 shown]
	s_waitcnt vmcnt(58) lgkmcnt(0)
	v_mul_f64 v[71:72], v[5:6], v[35:36]
	v_mul_f64 v[35:36], v[7:8], v[35:36]
	s_waitcnt vmcnt(56)
	v_fma_f64 v[29:30], v[9:10], v[37:38], -v[29:30]
	ds_read_b128 v[1:4], v70 offset:1328
	v_add_f64 v[21:22], v[21:22], v[25:26]
	v_fma_f64 v[25:26], v[11:12], v[37:38], v[127:128]
	v_add_f64 v[13:14], v[13:14], v[19:20]
	s_clause 0x4
	buffer_load_dword v20, off, s[0:3], 0 offset:588
	buffer_load_dword v37, off, s[0:3], 0 offset:600
	;; [unrolled: 1-line block ×5, first 2 shown]
	s_waitcnt vmcnt(57) lgkmcnt(0)
	v_mul_f64 v[127:128], v[1:2], v[39:40]
	v_mul_f64 v[39:40], v[3:4], v[39:40]
	s_waitcnt vmcnt(56)
	v_fma_f64 v[35:36], v[5:6], v[23:24], -v[35:36]
	ds_read_b128 v[9:12], v70 offset:1344
	v_fma_f64 v[23:24], v[7:8], v[23:24], v[71:72]
	v_add_f64 v[21:22], v[21:22], v[29:30]
	v_add_f64 v[13:14], v[13:14], v[25:26]
	s_clause 0x2
	buffer_load_dword v38, off, s[0:3], 0 offset:604
	buffer_load_dword v26, off, s[0:3], 0 offset:580
	;; [unrolled: 1-line block ×3, first 2 shown]
	ds_read_b128 v[5:8], v70 offset:1360
	s_waitcnt vmcnt(58) lgkmcnt(1)
	v_mul_f64 v[29:30], v[9:10], v[43:44]
	v_mul_f64 v[43:44], v[11:12], v[43:44]
	s_waitcnt vmcnt(56)
	v_fma_f64 v[39:40], v[1:2], v[45:46], -v[39:40]
	v_add_f64 v[21:22], v[21:22], v[35:36]
	v_fma_f64 v[35:36], v[3:4], v[45:46], v[127:128]
	v_add_f64 v[13:14], v[13:14], v[23:24]
	s_clause 0x4
	buffer_load_dword v24, off, s[0:3], 0 offset:620
	buffer_load_dword v45, off, s[0:3], 0 offset:632
	;; [unrolled: 1-line block ×5, first 2 shown]
	s_waitcnt vmcnt(57) lgkmcnt(0)
	v_mul_f64 v[127:128], v[5:6], v[47:48]
	v_mul_f64 v[47:48], v[7:8], v[47:48]
	s_waitcnt vmcnt(56)
	v_fma_f64 v[43:44], v[9:10], v[31:32], -v[43:44]
	ds_read_b128 v[1:4], v70 offset:1376
	v_fma_f64 v[29:30], v[11:12], v[31:32], v[29:30]
	s_clause 0x2
	buffer_load_dword v46, off, s[0:3], 0 offset:636
	buffer_load_dword v32, off, s[0:3], 0 offset:612
	;; [unrolled: 1-line block ×3, first 2 shown]
	ds_read_b128 v[9:12], v70 offset:1392
	v_add_f64 v[21:22], v[21:22], v[39:40]
	v_add_f64 v[13:14], v[13:14], v[35:36]
	s_waitcnt vmcnt(58) lgkmcnt(1)
	v_mul_f64 v[39:40], v[3:4], v[51:52]
	s_waitcnt vmcnt(56)
	v_fma_f64 v[47:48], v[5:6], v[53:54], -v[47:48]
	v_mul_f64 v[35:36], v[1:2], v[51:52]
	v_add_f64 v[21:22], v[21:22], v[43:44]
	v_fma_f64 v[43:44], v[7:8], v[53:54], v[127:128]
	v_add_f64 v[13:14], v[13:14], v[29:30]
	s_clause 0x4
	buffer_load_dword v30, off, s[0:3], 0 offset:652
	buffer_load_dword v51, off, s[0:3], 0 offset:664
	;; [unrolled: 1-line block ×5, first 2 shown]
	s_waitcnt vmcnt(57) lgkmcnt(0)
	v_mul_f64 v[127:128], v[9:10], v[55:56]
	v_mul_f64 v[54:55], v[11:12], v[55:56]
	s_waitcnt vmcnt(56)
	v_fma_f64 v[39:40], v[1:2], v[41:42], -v[39:40]
	ds_read_b128 v[5:8], v70 offset:1408
	v_fma_f64 v[35:36], v[3:4], v[41:42], v[35:36]
	s_clause 0x2
	buffer_load_dword v52, off, s[0:3], 0 offset:668
	buffer_load_dword v42, off, s[0:3], 0 offset:644
	;; [unrolled: 1-line block ×3, first 2 shown]
	ds_read_b128 v[1:4], v70 offset:1424
	v_add_f64 v[21:22], v[21:22], v[47:48]
	v_add_f64 v[13:14], v[13:14], v[43:44]
	s_waitcnt vmcnt(58) lgkmcnt(1)
	v_mul_f64 v[47:48], v[7:8], v[59:60]
	s_waitcnt vmcnt(56)
	v_fma_f64 v[55:56], v[9:10], v[61:62], -v[54:55]
	v_mul_f64 v[43:44], v[5:6], v[59:60]
	v_add_f64 v[21:22], v[21:22], v[39:40]
	v_fma_f64 v[39:40], v[11:12], v[61:62], v[127:128]
	v_add_f64 v[13:14], v[13:14], v[35:36]
	s_clause 0x4
	buffer_load_dword v36, off, s[0:3], 0 offset:684
	buffer_load_dword v59, off, s[0:3], 0 offset:696
	;; [unrolled: 1-line block ×5, first 2 shown]
	s_waitcnt vmcnt(57) lgkmcnt(0)
	v_mul_f64 v[127:128], v[1:2], v[63:64]
	v_mul_f64 v[62:63], v[3:4], v[63:64]
	s_waitcnt vmcnt(56)
	v_fma_f64 v[47:48], v[5:6], v[49:50], -v[47:48]
	ds_read_b128 v[9:12], v70 offset:1440
	v_fma_f64 v[43:44], v[7:8], v[49:50], v[43:44]
	v_add_f64 v[21:22], v[21:22], v[55:56]
	v_add_f64 v[13:14], v[13:14], v[39:40]
	s_clause 0x2
	buffer_load_dword v60, off, s[0:3], 0 offset:700
	buffer_load_dword v40, off, s[0:3], 0 offset:676
	;; [unrolled: 1-line block ×3, first 2 shown]
	ds_read_b128 v[5:8], v70 offset:1456
	s_waitcnt vmcnt(58) lgkmcnt(1)
	v_mul_f64 v[55:56], v[11:12], v[65:66]
	s_waitcnt vmcnt(56)
	v_fma_f64 v[63:64], v[1:2], v[67:68], -v[62:63]
	v_mul_f64 v[49:50], v[9:10], v[65:66]
	v_add_f64 v[21:22], v[21:22], v[47:48]
	v_fma_f64 v[47:48], v[3:4], v[67:68], v[127:128]
	v_add_f64 v[13:14], v[13:14], v[43:44]
	s_clause 0x4
	buffer_load_dword v44, off, s[0:3], 0 offset:716
	buffer_load_dword v65, off, s[0:3], 0 offset:728
	;; [unrolled: 1-line block ×5, first 2 shown]
	s_waitcnt vmcnt(57) lgkmcnt(0)
	v_mul_f64 v[127:128], v[5:6], v[77:78]
	v_mul_f64 v[77:78], v[7:8], v[77:78]
	s_waitcnt vmcnt(56)
	v_fma_f64 v[55:56], v[9:10], v[57:58], -v[55:56]
	ds_read_b128 v[1:4], v70 offset:1472
	v_fma_f64 v[49:50], v[11:12], v[57:58], v[49:50]
	v_add_f64 v[21:22], v[21:22], v[63:64]
	v_add_f64 v[13:14], v[13:14], v[47:48]
	s_clause 0x2
	buffer_load_dword v66, off, s[0:3], 0 offset:732
	buffer_load_dword v48, off, s[0:3], 0 offset:708
	;; [unrolled: 1-line block ×3, first 2 shown]
	ds_read_b128 v[9:12], v70 offset:1488
	s_waitcnt vmcnt(58) lgkmcnt(1)
	v_mul_f64 v[63:64], v[3:4], v[84:85]
	v_mul_f64 v[57:58], v[1:2], v[84:85]
	s_waitcnt vmcnt(56)
	v_fma_f64 v[77:78], v[5:6], v[17:18], -v[77:78]
	v_fma_f64 v[17:18], v[7:8], v[17:18], v[127:128]
	v_add_f64 v[21:22], v[21:22], v[55:56]
	v_add_f64 v[13:14], v[13:14], v[49:50]
	s_clause 0x4
	buffer_load_dword v50, off, s[0:3], 0 offset:748
	buffer_load_dword v55, off, s[0:3], 0 offset:760
	buffer_load_dword v84, off, s[0:3], 0 offset:752
	buffer_load_dword v49, off, s[0:3], 0 offset:744
	buffer_load_dword v68, off, s[0:3], 0 offset:724
	ds_read_b128 v[5:8], v70 offset:1504
	s_waitcnt vmcnt(57) lgkmcnt(1)
	v_mul_f64 v[127:128], v[9:10], v[15:16]
	v_mul_f64 v[15:16], v[11:12], v[15:16]
	s_waitcnt vmcnt(56)
	v_fma_f64 v[63:64], v[1:2], v[86:87], -v[63:64]
	v_fma_f64 v[57:58], v[3:4], v[86:87], v[57:58]
	v_add_f64 v[21:22], v[21:22], v[77:78]
	v_add_f64 v[13:14], v[13:14], v[17:18]
	s_clause 0x2
	buffer_load_dword v56, off, s[0:3], 0 offset:764
	buffer_load_dword v18, off, s[0:3], 0 offset:740
	;; [unrolled: 1-line block ×3, first 2 shown]
	s_waitcnt vmcnt(58) lgkmcnt(0)
	v_mul_f64 v[86:87], v[7:8], v[123:124]
	ds_read_b128 v[1:4], v70 offset:1520
	v_mul_f64 v[77:78], v[5:6], v[123:124]
	s_waitcnt vmcnt(56)
	v_fma_f64 v[15:16], v[9:10], v[73:74], -v[15:16]
	v_add_f64 v[21:22], v[21:22], v[63:64]
	v_fma_f64 v[63:64], v[11:12], v[73:74], v[127:128]
	v_add_f64 v[13:14], v[13:14], v[57:58]
	s_clause 0x4
	buffer_load_dword v58, off, s[0:3], 0 offset:780
	buffer_load_dword v73, off, s[0:3], 0 offset:792
	;; [unrolled: 1-line block ×5, first 2 shown]
	ds_read_b128 v[9:12], v70 offset:1536
	s_waitcnt vmcnt(57) lgkmcnt(1)
	v_mul_f64 v[127:128], v[1:2], v[33:34]
	v_mul_f64 v[33:34], v[3:4], v[33:34]
	s_waitcnt vmcnt(56)
	v_fma_f64 v[86:87], v[5:6], v[125:126], -v[86:87]
	v_add_f64 v[15:16], v[21:22], v[15:16]
	v_fma_f64 v[21:22], v[7:8], v[125:126], v[77:78]
	v_add_f64 v[13:14], v[13:14], v[63:64]
	s_clause 0x2
	buffer_load_dword v74, off, s[0:3], 0 offset:796
	buffer_load_dword v64, off, s[0:3], 0 offset:772
	;; [unrolled: 1-line block ×3, first 2 shown]
	ds_read_b128 v[5:8], v70 offset:1552
	s_waitcnt vmcnt(58) lgkmcnt(1)
	v_mul_f64 v[77:78], v[9:10], v[75:76]
	v_mul_f64 v[75:76], v[11:12], v[75:76]
	s_waitcnt vmcnt(56)
	v_fma_f64 v[33:34], v[1:2], v[27:28], -v[33:34]
	v_fma_f64 v[27:28], v[3:4], v[27:28], v[127:128]
	v_add_f64 v[15:16], v[15:16], v[86:87]
	v_add_f64 v[13:14], v[13:14], v[21:22]
	s_clause 0x4
	buffer_load_dword v22, off, s[0:3], 0 offset:812
	buffer_load_dword v86, off, s[0:3], 0 offset:824
	;; [unrolled: 1-line block ×5, first 2 shown]
	ds_read_b128 v[1:4], v70 offset:1568
	s_waitcnt vmcnt(57) lgkmcnt(1)
	v_mul_f64 v[126:127], v[5:6], v[19:20]
	v_mul_f64 v[19:20], v[7:8], v[19:20]
	s_waitcnt vmcnt(56)
	v_fma_f64 v[75:76], v[9:10], v[95:96], -v[75:76]
	v_add_f64 v[15:16], v[15:16], v[33:34]
	v_fma_f64 v[33:34], v[11:12], v[95:96], v[77:78]
	v_add_f64 v[13:14], v[13:14], v[27:28]
	s_clause 0x2
	buffer_load_dword v87, off, s[0:3], 0 offset:828
	buffer_load_dword v28, off, s[0:3], 0 offset:804
	;; [unrolled: 1-line block ×3, first 2 shown]
	ds_read_b128 v[9:12], v70 offset:1584
	s_waitcnt vmcnt(58) lgkmcnt(1)
	v_mul_f64 v[77:78], v[1:2], v[37:38]
	v_mul_f64 v[37:38], v[3:4], v[37:38]
	s_waitcnt vmcnt(56)
	v_fma_f64 v[19:20], v[5:6], v[25:26], -v[19:20]
	v_fma_f64 v[25:26], v[7:8], v[25:26], v[126:127]
	v_add_f64 v[15:16], v[15:16], v[75:76]
	v_add_f64 v[13:14], v[13:14], v[33:34]
	s_clause 0x4
	buffer_load_dword v34, off, s[0:3], 0 offset:844
	buffer_load_dword v75, off, s[0:3], 0 offset:856
	;; [unrolled: 1-line block ×5, first 2 shown]
	ds_read_b128 v[5:8], v70 offset:1600
	s_waitcnt vmcnt(57) lgkmcnt(1)
	v_mul_f64 v[127:128], v[9:10], v[23:24]
	v_mul_f64 v[23:24], v[11:12], v[23:24]
	s_waitcnt vmcnt(56)
	v_fma_f64 v[37:38], v[1:2], v[93:94], -v[37:38]
	v_add_f64 v[15:16], v[15:16], v[19:20]
	v_fma_f64 v[19:20], v[3:4], v[93:94], v[77:78]
	v_add_f64 v[13:14], v[13:14], v[25:26]
	s_clause 0x2
	buffer_load_dword v76, off, s[0:3], 0 offset:860
	buffer_load_dword v26, off, s[0:3], 0 offset:836
	;; [unrolled: 1-line block ×3, first 2 shown]
	s_waitcnt vmcnt(58) lgkmcnt(0)
	v_mul_f64 v[77:78], v[5:6], v[45:46]
	v_mul_f64 v[45:46], v[7:8], v[45:46]
	ds_read_b128 v[1:4], v70 offset:1616
	s_waitcnt vmcnt(56)
	v_fma_f64 v[23:24], v[9:10], v[31:32], -v[23:24]
	v_fma_f64 v[31:32], v[11:12], v[31:32], v[127:128]
	v_add_f64 v[15:16], v[15:16], v[37:38]
	v_add_f64 v[13:14], v[13:14], v[19:20]
	s_clause 0x4
	buffer_load_dword v20, off, s[0:3], 0 offset:876
	buffer_load_dword v37, off, s[0:3], 0 offset:888
	;; [unrolled: 1-line block ×5, first 2 shown]
	ds_read_b128 v[9:12], v70 offset:1632
	s_waitcnt vmcnt(57) lgkmcnt(1)
	v_mul_f64 v[127:128], v[1:2], v[29:30]
	v_mul_f64 v[29:30], v[3:4], v[29:30]
	s_waitcnt vmcnt(56)
	v_fma_f64 v[45:46], v[5:6], v[71:72], -v[45:46]
	v_add_f64 v[15:16], v[15:16], v[23:24]
	v_fma_f64 v[23:24], v[7:8], v[71:72], v[77:78]
	v_add_f64 v[13:14], v[13:14], v[31:32]
	s_clause 0x2
	buffer_load_dword v38, off, s[0:3], 0 offset:892
	buffer_load_dword v32, off, s[0:3], 0 offset:868
	;; [unrolled: 1-line block ×3, first 2 shown]
	s_waitcnt vmcnt(58) lgkmcnt(0)
	v_mul_f64 v[71:72], v[9:10], v[51:52]
	v_mul_f64 v[51:52], v[11:12], v[51:52]
	ds_read_b128 v[5:8], v70 offset:1648
	s_waitcnt vmcnt(56)
	v_fma_f64 v[29:30], v[1:2], v[41:42], -v[29:30]
	v_fma_f64 v[41:42], v[3:4], v[41:42], v[127:128]
	v_add_f64 v[15:16], v[15:16], v[45:46]
	v_add_f64 v[13:14], v[13:14], v[23:24]
	s_clause 0x4
	buffer_load_dword v24, off, s[0:3], 0 offset:908
	buffer_load_dword v45, off, s[0:3], 0 offset:920
	buffer_load_dword v77, off, s[0:3], 0 offset:912
	buffer_load_dword v23, off, s[0:3], 0 offset:904
	buffer_load_dword v94, off, s[0:3], 0 offset:884
	ds_read_b128 v[1:4], v70 offset:1664
	s_waitcnt vmcnt(57) lgkmcnt(1)
	v_mul_f64 v[78:79], v[5:6], v[35:36]
	v_mul_f64 v[35:36], v[7:8], v[35:36]
	s_waitcnt vmcnt(56)
	v_fma_f64 v[51:52], v[9:10], v[53:54], -v[51:52]
	v_add_f64 v[15:16], v[15:16], v[29:30]
	v_fma_f64 v[29:30], v[11:12], v[53:54], v[71:72]
	v_add_f64 v[13:14], v[13:14], v[41:42]
	s_clause 0x2
	buffer_load_dword v46, off, s[0:3], 0 offset:924
	buffer_load_dword v42, off, s[0:3], 0 offset:900
	buffer_load_dword v41, off, s[0:3], 0 offset:896
	ds_read_b128 v[9:12], v70 offset:1680
	s_waitcnt vmcnt(58) lgkmcnt(1)
	v_mul_f64 v[53:54], v[1:2], v[59:60]
	v_mul_f64 v[59:60], v[3:4], v[59:60]
	s_waitcnt vmcnt(56)
	v_fma_f64 v[35:36], v[5:6], v[39:40], -v[35:36]
	v_fma_f64 v[39:40], v[7:8], v[39:40], v[78:79]
	v_add_f64 v[15:16], v[15:16], v[51:52]
	v_add_f64 v[13:14], v[13:14], v[29:30]
	s_clause 0x4
	buffer_load_dword v30, off, s[0:3], 0 offset:940
	buffer_load_dword v51, off, s[0:3], 0 offset:952
	buffer_load_dword v71, off, s[0:3], 0 offset:944
	buffer_load_dword v29, off, s[0:3], 0 offset:936
	buffer_load_dword v78, off, s[0:3], 0 offset:916
	ds_read_b128 v[5:8], v70 offset:1696
	s_waitcnt vmcnt(57) lgkmcnt(1)
	v_mul_f64 v[127:128], v[9:10], v[43:44]
	v_mul_f64 v[43:44], v[11:12], v[43:44]
	s_waitcnt vmcnt(56)
	v_fma_f64 v[59:60], v[1:2], v[61:62], -v[59:60]
	v_add_f64 v[15:16], v[15:16], v[35:36]
	v_fma_f64 v[35:36], v[3:4], v[61:62], v[53:54]
	v_add_f64 v[13:14], v[13:14], v[39:40]
	s_clause 0x2
	buffer_load_dword v52, off, s[0:3], 0 offset:956
	buffer_load_dword v40, off, s[0:3], 0 offset:932
	buffer_load_dword v39, off, s[0:3], 0 offset:928
	ds_read_b128 v[1:4], v70 offset:1712
	s_waitcnt vmcnt(58) lgkmcnt(1)
	v_mul_f64 v[61:62], v[7:8], v[65:66]
	v_mul_f64 v[53:54], v[5:6], v[65:66]
	;; [unrolled: 28-line block ×3, first 2 shown]
	s_waitcnt vmcnt(56)
	v_fma_f64 v[49:50], v[1:2], v[17:18], -v[49:50]
	v_fma_f64 v[17:18], v[3:4], v[17:18], v[127:128]
	v_add_f64 v[15:16], v[15:16], v[61:62]
	v_add_f64 v[13:14], v[13:14], v[43:44]
	s_clause 0x2
	buffer_load_dword v44, off, s[0:3], 0 offset:1004
	buffer_load_dword v43, off, s[0:3], 0 offset:1000
	;; [unrolled: 1-line block ×3, first 2 shown]
	ds_read_b128 v[1:4], v70 offset:1760
	s_waitcnt vmcnt(55) lgkmcnt(1)
	v_mul_f64 v[61:62], v[5:6], v[57:58]
	v_mul_f64 v[57:58], v[7:8], v[57:58]
	s_waitcnt vmcnt(54)
	v_fma_f64 v[55:56], v[9:10], v[84:85], -v[55:56]
	v_add_f64 v[15:16], v[15:16], v[49:50]
	v_fma_f64 v[49:50], v[11:12], v[84:85], v[53:54]
	v_add_f64 v[13:14], v[13:14], v[17:18]
	s_clause 0x1
	buffer_load_dword v18, off, s[0:3], 0 offset:996
	buffer_load_dword v17, off, s[0:3], 0 offset:992
	ds_read_b128 v[9:12], v70 offset:1776
	s_waitcnt vmcnt(55) lgkmcnt(1)
	v_mul_f64 v[67:68], v[3:4], v[73:74]
	v_mul_f64 v[53:54], v[1:2], v[73:74]
	s_waitcnt vmcnt(53)
	v_fma_f64 v[57:58], v[5:6], v[63:64], -v[57:58]
	v_add_f64 v[15:16], v[15:16], v[55:56]
	v_fma_f64 v[55:56], v[7:8], v[63:64], v[61:62]
	v_add_f64 v[13:14], v[13:14], v[49:50]
	ds_read_b128 v[5:8], v70 offset:1792
	s_waitcnt vmcnt(49) lgkmcnt(1)
	v_mul_f64 v[49:50], v[9:10], v[21:22]
	v_mul_f64 v[21:22], v[11:12], v[21:22]
	s_waitcnt vmcnt(48)
	v_fma_f64 v[61:62], v[1:2], v[123:124], -v[67:68]
	v_fma_f64 v[53:54], v[3:4], v[123:124], v[53:54]
	v_add_f64 v[15:16], v[15:16], v[57:58]
	v_add_f64 v[13:14], v[13:14], v[55:56]
	s_clause 0x3
	buffer_load_dword v55, off, s[0:3], 0 offset:224
	buffer_load_dword v56, off, s[0:3], 0 offset:228
	buffer_load_dword v57, off, s[0:3], 0 offset:232
	buffer_load_dword v58, off, s[0:3], 0 offset:236
	ds_read_b128 v[1:4], v70 offset:1808
	s_waitcnt vmcnt(51) lgkmcnt(1)
	v_mul_f64 v[67:68], v[7:8], v[86:87]
	v_mul_f64 v[63:64], v[5:6], v[86:87]
	s_waitcnt vmcnt(49)
	v_fma_f64 v[21:22], v[9:10], v[27:28], -v[21:22]
	v_fma_f64 v[27:28], v[11:12], v[27:28], v[49:50]
	ds_read_b128 v[9:12], v70 offset:1824
	v_add_f64 v[15:16], v[15:16], v[61:62]
	v_add_f64 v[13:14], v[13:14], v[53:54]
	s_waitcnt vmcnt(45) lgkmcnt(1)
	v_mul_f64 v[49:50], v[1:2], v[33:34]
	v_mul_f64 v[33:34], v[3:4], v[33:34]
	s_waitcnt vmcnt(44)
	v_fma_f64 v[53:54], v[5:6], v[125:126], -v[67:68]
	v_add_f64 v[15:16], v[15:16], v[21:22]
	v_fma_f64 v[21:22], v[7:8], v[125:126], v[63:64]
	v_add_f64 v[13:14], v[13:14], v[27:28]
	ds_read_b128 v[5:8], v70 offset:1840
	s_waitcnt vmcnt(43) lgkmcnt(1)
	v_mul_f64 v[61:62], v[11:12], v[75:76]
	v_mul_f64 v[27:28], v[9:10], v[75:76]
	s_waitcnt vmcnt(41)
	v_fma_f64 v[33:34], v[1:2], v[25:26], -v[33:34]
	v_fma_f64 v[25:26], v[3:4], v[25:26], v[49:50]
	ds_read_b128 v[1:4], v70 offset:1856
	v_add_f64 v[15:16], v[15:16], v[53:54]
	v_add_f64 v[13:14], v[13:14], v[21:22]
	s_waitcnt vmcnt(37) lgkmcnt(1)
	v_mul_f64 v[21:22], v[5:6], v[19:20]
	v_mul_f64 v[19:20], v[7:8], v[19:20]
	s_waitcnt vmcnt(36)
	v_fma_f64 v[49:50], v[9:10], v[95:96], -v[61:62]
	v_fma_f64 v[27:28], v[11:12], v[95:96], v[27:28]
	ds_read_b128 v[9:12], v70 offset:1872
	v_add_f64 v[15:16], v[15:16], v[33:34]
	v_add_f64 v[13:14], v[13:14], v[25:26]
	;; [unrolled: 9-line block ×3, first 2 shown]
	s_waitcnt vmcnt(29) lgkmcnt(1)
	v_mul_f64 v[27:28], v[9:10], v[23:24]
	v_mul_f64 v[23:24], v[11:12], v[23:24]
	s_waitcnt vmcnt(28)
	v_fma_f64 v[31:32], v[1:2], v[93:94], -v[33:34]
	v_add_f64 v[15:16], v[15:16], v[19:20]
	v_fma_f64 v[19:20], v[3:4], v[93:94], v[25:26]
	v_add_f64 v[13:14], v[13:14], v[21:22]
	ds_read_b128 v[1:4], v70 offset:1904
	s_waitcnt vmcnt(27) lgkmcnt(1)
	v_mul_f64 v[25:26], v[7:8], v[45:46]
	v_mul_f64 v[21:22], v[5:6], v[45:46]
	s_waitcnt vmcnt(25)
	v_fma_f64 v[23:24], v[9:10], v[41:42], -v[23:24]
	v_fma_f64 v[27:28], v[11:12], v[41:42], v[27:28]
	ds_read_b128 v[9:12], v70 offset:1920
	v_add_f64 v[15:16], v[15:16], v[31:32]
	v_add_f64 v[13:14], v[13:14], v[19:20]
	s_waitcnt vmcnt(21) lgkmcnt(1)
	v_mul_f64 v[19:20], v[1:2], v[29:30]
	v_mul_f64 v[29:30], v[3:4], v[29:30]
	s_waitcnt vmcnt(20)
	v_fma_f64 v[25:26], v[5:6], v[77:78], -v[25:26]
	v_fma_f64 v[21:22], v[7:8], v[77:78], v[21:22]
	ds_read_b128 v[5:8], v70 offset:1936
	v_add_f64 v[15:16], v[15:16], v[23:24]
	v_add_f64 v[13:14], v[13:14], v[27:28]
	;; [unrolled: 9-line block ×3, first 2 shown]
	s_waitcnt vmcnt(13) lgkmcnt(1)
	v_mul_f64 v[25:26], v[7:8], v[35:36]
	s_waitcnt vmcnt(12)
	v_fma_f64 v[27:28], v[9:10], v[71:72], -v[27:28]
	v_mul_f64 v[21:22], v[5:6], v[35:36]
	v_fma_f64 v[23:24], v[11:12], v[71:72], v[23:24]
	ds_read_b128 v[9:12], v70 offset:1968
	v_add_f64 v[15:16], v[15:16], v[29:30]
	v_add_f64 v[13:14], v[13:14], v[19:20]
	s_waitcnt vmcnt(11) lgkmcnt(1)
	v_mul_f64 v[29:30], v[3:4], v[59:60]
	v_mul_f64 v[19:20], v[1:2], v[59:60]
	s_waitcnt vmcnt(9)
	v_fma_f64 v[5:6], v[5:6], v[47:48], -v[25:26]
	v_fma_f64 v[7:8], v[7:8], v[47:48], v[21:22]
	v_add_f64 v[15:16], v[15:16], v[27:28]
	v_add_f64 v[13:14], v[13:14], v[23:24]
	s_waitcnt vmcnt(7) lgkmcnt(0)
	v_mul_f64 v[23:24], v[11:12], v[43:44]
	s_waitcnt vmcnt(6)
	v_fma_f64 v[1:2], v[1:2], v[65:66], -v[29:30]
	v_mul_f64 v[21:22], v[9:10], v[43:44]
	v_fma_f64 v[3:4], v[3:4], v[65:66], v[19:20]
	v_add_f64 v[5:6], v[15:16], v[5:6]
	v_add_f64 v[7:8], v[13:14], v[7:8]
	s_waitcnt vmcnt(4)
	v_fma_f64 v[9:10], v[9:10], v[17:18], -v[23:24]
	v_add_f64 v[1:2], v[5:6], v[1:2]
	v_fma_f64 v[5:6], v[11:12], v[17:18], v[21:22]
	v_add_f64 v[3:4], v[7:8], v[3:4]
	v_add_f64 v[1:2], v[1:2], v[9:10]
	;; [unrolled: 1-line block ×3, first 2 shown]
	s_waitcnt vmcnt(2)
	v_add_f64 v[1:2], v[55:56], -v[1:2]
	s_waitcnt vmcnt(0)
	v_add_f64 v[3:4], v[57:58], -v[3:4]
	buffer_store_dword v2, off, s[0:3], 0 offset:228
	buffer_store_dword v1, off, s[0:3], 0 offset:224
	;; [unrolled: 1-line block ×4, first 2 shown]
	v_cmpx_lt_u32_e32 12, v0
	s_cbranch_execz .LBB61_373
; %bb.372:
	v_mov_b32_e32 v4, s69
	v_mov_b32_e32 v5, 0
	s_clause 0x3
	buffer_load_dword v1, v4, s[0:3], 0 offen
	buffer_load_dword v2, v4, s[0:3], 0 offen offset:4
	buffer_load_dword v3, v4, s[0:3], 0 offen offset:8
	buffer_load_dword v4, v4, s[0:3], 0 offen offset:12
	buffer_store_dword v5, off, s[0:3], 0 offset:208
	buffer_store_dword v5, off, s[0:3], 0 offset:212
	;; [unrolled: 1-line block ×4, first 2 shown]
	s_waitcnt vmcnt(0)
	ds_write_b128 v69, v[1:4]
.LBB61_373:
	s_or_b32 exec_lo, exec_lo, s4
	s_waitcnt lgkmcnt(0)
	s_waitcnt_vscnt null, 0x0
	s_barrier
	buffer_gl0_inv
	s_clause 0x37
	buffer_load_dword v17, off, s[0:3], 0 offset:232
	buffer_load_dword v18, off, s[0:3], 0 offset:236
	;; [unrolled: 1-line block ×56, first 2 shown]
	v_mov_b32_e32 v70, 0
	s_mov_b32 s4, exec_lo
	ds_read_b128 v[5:8], v70 offset:1200
	s_clause 0x2
	buffer_load_dword v66, off, s[0:3], 0 offset:460
	buffer_load_dword v68, off, s[0:3], 0 offset:436
	;; [unrolled: 1-line block ×3, first 2 shown]
	ds_read_b128 v[1:4], v70 offset:1216
	s_clause 0x4
	buffer_load_dword v78, off, s[0:3], 0 offset:476
	buffer_load_dword v84, off, s[0:3], 0 offset:488
	buffer_load_dword v86, off, s[0:3], 0 offset:480
	buffer_load_dword v77, off, s[0:3], 0 offset:472
	buffer_load_dword v58, off, s[0:3], 0 offset:452
	ds_read_b128 v[71:74], v70 offset:1232
	s_waitcnt vmcnt(62) lgkmcnt(2)
	v_mul_f64 v[75:76], v[7:8], v[17:18]
	v_mul_f64 v[17:18], v[5:6], v[17:18]
	s_waitcnt vmcnt(60) lgkmcnt(1)
	v_mul_f64 v[87:88], v[3:4], v[13:14]
	v_mul_f64 v[13:14], v[1:2], v[13:14]
	s_waitcnt vmcnt(56) lgkmcnt(0)
	v_mul_f64 v[93:94], v[71:72], v[11:12]
	v_mul_f64 v[11:12], v[73:74], v[11:12]
	v_fma_f64 v[75:76], v[5:6], v[15:16], -v[75:76]
	v_fma_f64 v[15:16], v[7:8], v[15:16], v[17:18]
	s_clause 0x2
	buffer_load_dword v85, off, s[0:3], 0 offset:492
	buffer_load_dword v18, off, s[0:3], 0 offset:468
	;; [unrolled: 1-line block ×3, first 2 shown]
	s_waitcnt vmcnt(57)
	v_fma_f64 v[95:96], v[1:2], v[9:10], -v[87:88]
	ds_read_b128 v[5:8], v70 offset:1248
	v_fma_f64 v[9:10], v[3:4], v[9:10], v[13:14]
	s_waitcnt vmcnt(51)
	v_fma_f64 v[71:72], v[71:72], v[33:34], -v[11:12]
	v_fma_f64 v[33:34], v[73:74], v[33:34], v[93:94]
	v_add_f64 v[75:76], v[75:76], 0
	v_add_f64 v[13:14], v[15:16], 0
	s_clause 0x4
	buffer_load_dword v16, off, s[0:3], 0 offset:508
	buffer_load_dword v123, off, s[0:3], 0 offset:520
	buffer_load_dword v125, off, s[0:3], 0 offset:512
	buffer_load_dword v15, off, s[0:3], 0 offset:504
	buffer_load_dword v87, off, s[0:3], 0 offset:484
	s_waitcnt lgkmcnt(0)
	v_mul_f64 v[126:127], v[5:6], v[21:22]
	v_mul_f64 v[21:22], v[7:8], v[21:22]
	ds_read_b128 v[1:4], v70 offset:1264
	s_clause 0x2
	buffer_load_dword v124, off, s[0:3], 0 offset:524
	buffer_load_dword v74, off, s[0:3], 0 offset:500
	;; [unrolled: 1-line block ×3, first 2 shown]
	v_add_f64 v[75:76], v[75:76], v[95:96]
	v_add_f64 v[13:14], v[13:14], v[9:10]
	ds_read_b128 v[9:12], v70 offset:1280
	s_waitcnt vmcnt(58) lgkmcnt(1)
	v_mul_f64 v[93:94], v[1:2], v[25:26]
	v_mul_f64 v[25:26], v[3:4], v[25:26]
	s_waitcnt vmcnt(56)
	v_fma_f64 v[21:22], v[5:6], v[27:28], -v[21:22]
	v_fma_f64 v[27:28], v[7:8], v[27:28], v[126:127]
	s_waitcnt vmcnt(52) lgkmcnt(0)
	v_mul_f64 v[127:128], v[9:10], v[29:30]
	v_add_f64 v[71:72], v[75:76], v[71:72]
	v_add_f64 v[13:14], v[13:14], v[33:34]
	s_clause 0x4
	buffer_load_dword v34, off, s[0:3], 0 offset:540
	buffer_load_dword v75, off, s[0:3], 0 offset:552
	;; [unrolled: 1-line block ×5, first 2 shown]
	v_mul_f64 v[29:30], v[11:12], v[29:30]
	s_waitcnt vmcnt(56)
	v_fma_f64 v[25:26], v[1:2], v[19:20], -v[25:26]
	ds_read_b128 v[5:8], v70 offset:1296
	v_fma_f64 v[19:20], v[3:4], v[19:20], v[93:94]
	v_add_f64 v[21:22], v[71:72], v[21:22]
	v_add_f64 v[13:14], v[13:14], v[27:28]
	s_clause 0x2
	buffer_load_dword v76, off, s[0:3], 0 offset:556
	buffer_load_dword v28, off, s[0:3], 0 offset:532
	;; [unrolled: 1-line block ×3, first 2 shown]
	s_waitcnt vmcnt(58) lgkmcnt(0)
	v_mul_f64 v[71:72], v[5:6], v[35:36]
	v_mul_f64 v[35:36], v[7:8], v[35:36]
	s_waitcnt vmcnt(56)
	v_fma_f64 v[29:30], v[9:10], v[37:38], -v[29:30]
	ds_read_b128 v[1:4], v70 offset:1312
	v_add_f64 v[21:22], v[21:22], v[25:26]
	v_fma_f64 v[25:26], v[11:12], v[37:38], v[127:128]
	v_add_f64 v[13:14], v[13:14], v[19:20]
	s_clause 0x4
	buffer_load_dword v20, off, s[0:3], 0 offset:572
	buffer_load_dword v37, off, s[0:3], 0 offset:584
	;; [unrolled: 1-line block ×5, first 2 shown]
	s_waitcnt vmcnt(57) lgkmcnt(0)
	v_mul_f64 v[127:128], v[1:2], v[39:40]
	v_mul_f64 v[39:40], v[3:4], v[39:40]
	s_waitcnt vmcnt(56)
	v_fma_f64 v[35:36], v[5:6], v[23:24], -v[35:36]
	ds_read_b128 v[9:12], v70 offset:1328
	v_fma_f64 v[23:24], v[7:8], v[23:24], v[71:72]
	v_add_f64 v[21:22], v[21:22], v[29:30]
	v_add_f64 v[13:14], v[13:14], v[25:26]
	s_clause 0x2
	buffer_load_dword v38, off, s[0:3], 0 offset:588
	buffer_load_dword v26, off, s[0:3], 0 offset:564
	;; [unrolled: 1-line block ×3, first 2 shown]
	ds_read_b128 v[5:8], v70 offset:1344
	s_waitcnt vmcnt(58) lgkmcnt(1)
	v_mul_f64 v[29:30], v[9:10], v[43:44]
	v_mul_f64 v[43:44], v[11:12], v[43:44]
	s_waitcnt vmcnt(56)
	v_fma_f64 v[39:40], v[1:2], v[45:46], -v[39:40]
	v_add_f64 v[21:22], v[21:22], v[35:36]
	v_fma_f64 v[35:36], v[3:4], v[45:46], v[127:128]
	v_add_f64 v[13:14], v[13:14], v[23:24]
	s_clause 0x4
	buffer_load_dword v24, off, s[0:3], 0 offset:604
	buffer_load_dword v45, off, s[0:3], 0 offset:616
	;; [unrolled: 1-line block ×5, first 2 shown]
	s_waitcnt vmcnt(57) lgkmcnt(0)
	v_mul_f64 v[127:128], v[5:6], v[47:48]
	v_mul_f64 v[47:48], v[7:8], v[47:48]
	s_waitcnt vmcnt(56)
	v_fma_f64 v[43:44], v[9:10], v[31:32], -v[43:44]
	ds_read_b128 v[1:4], v70 offset:1360
	v_fma_f64 v[29:30], v[11:12], v[31:32], v[29:30]
	s_clause 0x2
	buffer_load_dword v46, off, s[0:3], 0 offset:620
	buffer_load_dword v32, off, s[0:3], 0 offset:596
	;; [unrolled: 1-line block ×3, first 2 shown]
	ds_read_b128 v[9:12], v70 offset:1376
	v_add_f64 v[21:22], v[21:22], v[39:40]
	v_add_f64 v[13:14], v[13:14], v[35:36]
	s_waitcnt vmcnt(58) lgkmcnt(1)
	v_mul_f64 v[39:40], v[3:4], v[51:52]
	s_waitcnt vmcnt(56)
	v_fma_f64 v[47:48], v[5:6], v[53:54], -v[47:48]
	v_mul_f64 v[35:36], v[1:2], v[51:52]
	v_add_f64 v[21:22], v[21:22], v[43:44]
	v_fma_f64 v[43:44], v[7:8], v[53:54], v[127:128]
	v_add_f64 v[13:14], v[13:14], v[29:30]
	s_clause 0x4
	buffer_load_dword v30, off, s[0:3], 0 offset:636
	buffer_load_dword v51, off, s[0:3], 0 offset:648
	;; [unrolled: 1-line block ×5, first 2 shown]
	s_waitcnt vmcnt(57) lgkmcnt(0)
	v_mul_f64 v[127:128], v[9:10], v[55:56]
	v_mul_f64 v[54:55], v[11:12], v[55:56]
	s_waitcnt vmcnt(56)
	v_fma_f64 v[39:40], v[1:2], v[41:42], -v[39:40]
	ds_read_b128 v[5:8], v70 offset:1392
	v_fma_f64 v[35:36], v[3:4], v[41:42], v[35:36]
	s_clause 0x2
	buffer_load_dword v52, off, s[0:3], 0 offset:652
	buffer_load_dword v42, off, s[0:3], 0 offset:628
	;; [unrolled: 1-line block ×3, first 2 shown]
	ds_read_b128 v[1:4], v70 offset:1408
	v_add_f64 v[21:22], v[21:22], v[47:48]
	v_add_f64 v[13:14], v[13:14], v[43:44]
	s_waitcnt vmcnt(58) lgkmcnt(1)
	v_mul_f64 v[47:48], v[7:8], v[59:60]
	s_waitcnt vmcnt(56)
	v_fma_f64 v[55:56], v[9:10], v[61:62], -v[54:55]
	v_mul_f64 v[43:44], v[5:6], v[59:60]
	v_add_f64 v[21:22], v[21:22], v[39:40]
	v_fma_f64 v[39:40], v[11:12], v[61:62], v[127:128]
	v_add_f64 v[13:14], v[13:14], v[35:36]
	s_clause 0x4
	buffer_load_dword v36, off, s[0:3], 0 offset:668
	buffer_load_dword v59, off, s[0:3], 0 offset:680
	;; [unrolled: 1-line block ×5, first 2 shown]
	s_waitcnt vmcnt(57) lgkmcnt(0)
	v_mul_f64 v[127:128], v[1:2], v[63:64]
	v_mul_f64 v[62:63], v[3:4], v[63:64]
	s_waitcnt vmcnt(56)
	v_fma_f64 v[47:48], v[5:6], v[49:50], -v[47:48]
	ds_read_b128 v[9:12], v70 offset:1424
	v_fma_f64 v[43:44], v[7:8], v[49:50], v[43:44]
	v_add_f64 v[21:22], v[21:22], v[55:56]
	v_add_f64 v[13:14], v[13:14], v[39:40]
	s_clause 0x2
	buffer_load_dword v60, off, s[0:3], 0 offset:684
	buffer_load_dword v40, off, s[0:3], 0 offset:660
	;; [unrolled: 1-line block ×3, first 2 shown]
	ds_read_b128 v[5:8], v70 offset:1440
	s_waitcnt vmcnt(58) lgkmcnt(1)
	v_mul_f64 v[55:56], v[11:12], v[65:66]
	s_waitcnt vmcnt(56)
	v_fma_f64 v[63:64], v[1:2], v[67:68], -v[62:63]
	v_mul_f64 v[49:50], v[9:10], v[65:66]
	v_add_f64 v[21:22], v[21:22], v[47:48]
	v_fma_f64 v[47:48], v[3:4], v[67:68], v[127:128]
	v_add_f64 v[13:14], v[13:14], v[43:44]
	s_clause 0x4
	buffer_load_dword v44, off, s[0:3], 0 offset:700
	buffer_load_dword v65, off, s[0:3], 0 offset:712
	;; [unrolled: 1-line block ×5, first 2 shown]
	s_waitcnt vmcnt(57) lgkmcnt(0)
	v_mul_f64 v[127:128], v[5:6], v[77:78]
	v_mul_f64 v[77:78], v[7:8], v[77:78]
	s_waitcnt vmcnt(56)
	v_fma_f64 v[55:56], v[9:10], v[57:58], -v[55:56]
	ds_read_b128 v[1:4], v70 offset:1456
	v_fma_f64 v[49:50], v[11:12], v[57:58], v[49:50]
	v_add_f64 v[21:22], v[21:22], v[63:64]
	v_add_f64 v[13:14], v[13:14], v[47:48]
	s_clause 0x2
	buffer_load_dword v66, off, s[0:3], 0 offset:716
	buffer_load_dword v48, off, s[0:3], 0 offset:692
	;; [unrolled: 1-line block ×3, first 2 shown]
	ds_read_b128 v[9:12], v70 offset:1472
	s_waitcnt vmcnt(58) lgkmcnt(1)
	v_mul_f64 v[63:64], v[3:4], v[84:85]
	v_mul_f64 v[57:58], v[1:2], v[84:85]
	s_waitcnt vmcnt(56)
	v_fma_f64 v[77:78], v[5:6], v[17:18], -v[77:78]
	v_fma_f64 v[17:18], v[7:8], v[17:18], v[127:128]
	v_add_f64 v[21:22], v[21:22], v[55:56]
	v_add_f64 v[13:14], v[13:14], v[49:50]
	s_clause 0x4
	buffer_load_dword v50, off, s[0:3], 0 offset:732
	buffer_load_dword v55, off, s[0:3], 0 offset:744
	;; [unrolled: 1-line block ×5, first 2 shown]
	ds_read_b128 v[5:8], v70 offset:1488
	s_waitcnt vmcnt(57) lgkmcnt(1)
	v_mul_f64 v[127:128], v[9:10], v[15:16]
	v_mul_f64 v[15:16], v[11:12], v[15:16]
	s_waitcnt vmcnt(56)
	v_fma_f64 v[63:64], v[1:2], v[86:87], -v[63:64]
	v_fma_f64 v[57:58], v[3:4], v[86:87], v[57:58]
	v_add_f64 v[21:22], v[21:22], v[77:78]
	v_add_f64 v[13:14], v[13:14], v[17:18]
	s_clause 0x2
	buffer_load_dword v56, off, s[0:3], 0 offset:748
	buffer_load_dword v18, off, s[0:3], 0 offset:724
	;; [unrolled: 1-line block ×3, first 2 shown]
	s_waitcnt vmcnt(58) lgkmcnt(0)
	v_mul_f64 v[86:87], v[7:8], v[123:124]
	ds_read_b128 v[1:4], v70 offset:1504
	v_mul_f64 v[77:78], v[5:6], v[123:124]
	s_waitcnt vmcnt(56)
	v_fma_f64 v[15:16], v[9:10], v[73:74], -v[15:16]
	v_add_f64 v[21:22], v[21:22], v[63:64]
	v_fma_f64 v[63:64], v[11:12], v[73:74], v[127:128]
	v_add_f64 v[13:14], v[13:14], v[57:58]
	s_clause 0x4
	buffer_load_dword v58, off, s[0:3], 0 offset:764
	buffer_load_dword v73, off, s[0:3], 0 offset:776
	;; [unrolled: 1-line block ×5, first 2 shown]
	ds_read_b128 v[9:12], v70 offset:1520
	s_waitcnt vmcnt(57) lgkmcnt(1)
	v_mul_f64 v[127:128], v[1:2], v[33:34]
	v_mul_f64 v[33:34], v[3:4], v[33:34]
	s_waitcnt vmcnt(56)
	v_fma_f64 v[86:87], v[5:6], v[125:126], -v[86:87]
	v_add_f64 v[15:16], v[21:22], v[15:16]
	v_fma_f64 v[21:22], v[7:8], v[125:126], v[77:78]
	v_add_f64 v[13:14], v[13:14], v[63:64]
	s_clause 0x2
	buffer_load_dword v74, off, s[0:3], 0 offset:780
	buffer_load_dword v64, off, s[0:3], 0 offset:756
	;; [unrolled: 1-line block ×3, first 2 shown]
	ds_read_b128 v[5:8], v70 offset:1536
	s_waitcnt vmcnt(58) lgkmcnt(1)
	v_mul_f64 v[77:78], v[9:10], v[75:76]
	v_mul_f64 v[75:76], v[11:12], v[75:76]
	s_waitcnt vmcnt(56)
	v_fma_f64 v[33:34], v[1:2], v[27:28], -v[33:34]
	v_fma_f64 v[27:28], v[3:4], v[27:28], v[127:128]
	v_add_f64 v[15:16], v[15:16], v[86:87]
	v_add_f64 v[13:14], v[13:14], v[21:22]
	s_clause 0x4
	buffer_load_dword v22, off, s[0:3], 0 offset:796
	buffer_load_dword v86, off, s[0:3], 0 offset:808
	;; [unrolled: 1-line block ×5, first 2 shown]
	ds_read_b128 v[1:4], v70 offset:1552
	s_waitcnt vmcnt(57) lgkmcnt(1)
	v_mul_f64 v[126:127], v[5:6], v[19:20]
	v_mul_f64 v[19:20], v[7:8], v[19:20]
	s_waitcnt vmcnt(56)
	v_fma_f64 v[75:76], v[9:10], v[95:96], -v[75:76]
	v_add_f64 v[15:16], v[15:16], v[33:34]
	v_fma_f64 v[33:34], v[11:12], v[95:96], v[77:78]
	v_add_f64 v[13:14], v[13:14], v[27:28]
	s_clause 0x2
	buffer_load_dword v87, off, s[0:3], 0 offset:812
	buffer_load_dword v28, off, s[0:3], 0 offset:788
	;; [unrolled: 1-line block ×3, first 2 shown]
	ds_read_b128 v[9:12], v70 offset:1568
	s_waitcnt vmcnt(58) lgkmcnt(1)
	v_mul_f64 v[77:78], v[1:2], v[37:38]
	v_mul_f64 v[37:38], v[3:4], v[37:38]
	s_waitcnt vmcnt(56)
	v_fma_f64 v[19:20], v[5:6], v[25:26], -v[19:20]
	v_fma_f64 v[25:26], v[7:8], v[25:26], v[126:127]
	v_add_f64 v[15:16], v[15:16], v[75:76]
	v_add_f64 v[13:14], v[13:14], v[33:34]
	s_clause 0x4
	buffer_load_dword v34, off, s[0:3], 0 offset:828
	buffer_load_dword v75, off, s[0:3], 0 offset:840
	;; [unrolled: 1-line block ×5, first 2 shown]
	ds_read_b128 v[5:8], v70 offset:1584
	s_waitcnt vmcnt(57) lgkmcnt(1)
	v_mul_f64 v[127:128], v[9:10], v[23:24]
	v_mul_f64 v[23:24], v[11:12], v[23:24]
	s_waitcnt vmcnt(56)
	v_fma_f64 v[37:38], v[1:2], v[93:94], -v[37:38]
	v_add_f64 v[15:16], v[15:16], v[19:20]
	v_fma_f64 v[19:20], v[3:4], v[93:94], v[77:78]
	v_add_f64 v[13:14], v[13:14], v[25:26]
	s_clause 0x2
	buffer_load_dword v76, off, s[0:3], 0 offset:844
	buffer_load_dword v26, off, s[0:3], 0 offset:820
	;; [unrolled: 1-line block ×3, first 2 shown]
	s_waitcnt vmcnt(58) lgkmcnt(0)
	v_mul_f64 v[77:78], v[5:6], v[45:46]
	v_mul_f64 v[45:46], v[7:8], v[45:46]
	ds_read_b128 v[1:4], v70 offset:1600
	s_waitcnt vmcnt(56)
	v_fma_f64 v[23:24], v[9:10], v[31:32], -v[23:24]
	v_fma_f64 v[31:32], v[11:12], v[31:32], v[127:128]
	v_add_f64 v[15:16], v[15:16], v[37:38]
	v_add_f64 v[13:14], v[13:14], v[19:20]
	s_clause 0x4
	buffer_load_dword v20, off, s[0:3], 0 offset:860
	buffer_load_dword v37, off, s[0:3], 0 offset:872
	;; [unrolled: 1-line block ×5, first 2 shown]
	ds_read_b128 v[9:12], v70 offset:1616
	s_waitcnt vmcnt(57) lgkmcnt(1)
	v_mul_f64 v[127:128], v[1:2], v[29:30]
	v_mul_f64 v[29:30], v[3:4], v[29:30]
	s_waitcnt vmcnt(56)
	v_fma_f64 v[45:46], v[5:6], v[71:72], -v[45:46]
	v_add_f64 v[15:16], v[15:16], v[23:24]
	v_fma_f64 v[23:24], v[7:8], v[71:72], v[77:78]
	v_add_f64 v[13:14], v[13:14], v[31:32]
	s_clause 0x2
	buffer_load_dword v38, off, s[0:3], 0 offset:876
	buffer_load_dword v32, off, s[0:3], 0 offset:852
	;; [unrolled: 1-line block ×3, first 2 shown]
	s_waitcnt vmcnt(58) lgkmcnt(0)
	v_mul_f64 v[71:72], v[9:10], v[51:52]
	v_mul_f64 v[51:52], v[11:12], v[51:52]
	ds_read_b128 v[5:8], v70 offset:1632
	s_waitcnt vmcnt(56)
	v_fma_f64 v[29:30], v[1:2], v[41:42], -v[29:30]
	v_fma_f64 v[41:42], v[3:4], v[41:42], v[127:128]
	v_add_f64 v[15:16], v[15:16], v[45:46]
	v_add_f64 v[13:14], v[13:14], v[23:24]
	s_clause 0x4
	buffer_load_dword v24, off, s[0:3], 0 offset:892
	buffer_load_dword v45, off, s[0:3], 0 offset:904
	buffer_load_dword v77, off, s[0:3], 0 offset:896
	buffer_load_dword v23, off, s[0:3], 0 offset:888
	buffer_load_dword v94, off, s[0:3], 0 offset:868
	ds_read_b128 v[1:4], v70 offset:1648
	s_waitcnt vmcnt(57) lgkmcnt(1)
	v_mul_f64 v[78:79], v[5:6], v[35:36]
	v_mul_f64 v[35:36], v[7:8], v[35:36]
	s_waitcnt vmcnt(56)
	v_fma_f64 v[51:52], v[9:10], v[53:54], -v[51:52]
	v_add_f64 v[15:16], v[15:16], v[29:30]
	v_fma_f64 v[29:30], v[11:12], v[53:54], v[71:72]
	v_add_f64 v[13:14], v[13:14], v[41:42]
	s_clause 0x2
	buffer_load_dword v46, off, s[0:3], 0 offset:908
	buffer_load_dword v42, off, s[0:3], 0 offset:884
	buffer_load_dword v41, off, s[0:3], 0 offset:880
	ds_read_b128 v[9:12], v70 offset:1664
	s_waitcnt vmcnt(58) lgkmcnt(1)
	v_mul_f64 v[53:54], v[1:2], v[59:60]
	v_mul_f64 v[59:60], v[3:4], v[59:60]
	s_waitcnt vmcnt(56)
	v_fma_f64 v[35:36], v[5:6], v[39:40], -v[35:36]
	v_fma_f64 v[39:40], v[7:8], v[39:40], v[78:79]
	v_add_f64 v[15:16], v[15:16], v[51:52]
	v_add_f64 v[13:14], v[13:14], v[29:30]
	s_clause 0x4
	buffer_load_dword v30, off, s[0:3], 0 offset:924
	buffer_load_dword v51, off, s[0:3], 0 offset:936
	buffer_load_dword v71, off, s[0:3], 0 offset:928
	buffer_load_dword v29, off, s[0:3], 0 offset:920
	buffer_load_dword v78, off, s[0:3], 0 offset:900
	ds_read_b128 v[5:8], v70 offset:1680
	s_waitcnt vmcnt(57) lgkmcnt(1)
	v_mul_f64 v[127:128], v[9:10], v[43:44]
	v_mul_f64 v[43:44], v[11:12], v[43:44]
	s_waitcnt vmcnt(56)
	v_fma_f64 v[59:60], v[1:2], v[61:62], -v[59:60]
	v_add_f64 v[15:16], v[15:16], v[35:36]
	v_fma_f64 v[35:36], v[3:4], v[61:62], v[53:54]
	v_add_f64 v[13:14], v[13:14], v[39:40]
	s_clause 0x2
	buffer_load_dword v52, off, s[0:3], 0 offset:940
	buffer_load_dword v40, off, s[0:3], 0 offset:916
	buffer_load_dword v39, off, s[0:3], 0 offset:912
	ds_read_b128 v[1:4], v70 offset:1696
	s_waitcnt vmcnt(58) lgkmcnt(1)
	v_mul_f64 v[61:62], v[7:8], v[65:66]
	v_mul_f64 v[53:54], v[5:6], v[65:66]
	;; [unrolled: 28-line block ×3, first 2 shown]
	s_waitcnt vmcnt(56)
	v_fma_f64 v[49:50], v[1:2], v[17:18], -v[49:50]
	v_fma_f64 v[17:18], v[3:4], v[17:18], v[127:128]
	v_add_f64 v[15:16], v[15:16], v[61:62]
	v_add_f64 v[13:14], v[13:14], v[43:44]
	s_clause 0x4
	buffer_load_dword v44, off, s[0:3], 0 offset:988
	buffer_load_dword v61, off, s[0:3], 0 offset:1000
	;; [unrolled: 1-line block ×5, first 2 shown]
	ds_read_b128 v[1:4], v70 offset:1744
	s_waitcnt vmcnt(57) lgkmcnt(1)
	v_mul_f64 v[127:128], v[5:6], v[57:58]
	v_mul_f64 v[57:58], v[7:8], v[57:58]
	s_waitcnt vmcnt(56)
	v_fma_f64 v[55:56], v[9:10], v[84:85], -v[55:56]
	v_add_f64 v[15:16], v[15:16], v[49:50]
	v_fma_f64 v[49:50], v[11:12], v[84:85], v[53:54]
	v_add_f64 v[13:14], v[13:14], v[17:18]
	s_clause 0x2
	buffer_load_dword v62, off, s[0:3], 0 offset:1004
	buffer_load_dword v18, off, s[0:3], 0 offset:980
	;; [unrolled: 1-line block ×3, first 2 shown]
	ds_read_b128 v[9:12], v70 offset:1760
	buffer_load_dword v68, off, s[0:3], 0 offset:996
	s_waitcnt vmcnt(59) lgkmcnt(1)
	v_mul_f64 v[53:54], v[1:2], v[73:74]
	v_mul_f64 v[73:74], v[3:4], v[73:74]
	s_waitcnt vmcnt(57)
	v_fma_f64 v[57:58], v[5:6], v[63:64], -v[57:58]
	v_add_f64 v[15:16], v[15:16], v[55:56]
	v_fma_f64 v[55:56], v[7:8], v[63:64], v[127:128]
	v_add_f64 v[13:14], v[13:14], v[49:50]
	ds_read_b128 v[5:8], v70 offset:1776
	s_waitcnt vmcnt(53) lgkmcnt(1)
	v_mul_f64 v[49:50], v[9:10], v[21:22]
	v_mul_f64 v[21:22], v[11:12], v[21:22]
	s_waitcnt vmcnt(52)
	v_fma_f64 v[63:64], v[1:2], v[123:124], -v[73:74]
	v_fma_f64 v[53:54], v[3:4], v[123:124], v[53:54]
	ds_read_b128 v[1:4], v70 offset:1792
	v_add_f64 v[15:16], v[15:16], v[57:58]
	v_add_f64 v[13:14], v[13:14], v[55:56]
	s_waitcnt vmcnt(51) lgkmcnt(1)
	v_mul_f64 v[57:58], v[7:8], v[86:87]
	v_mul_f64 v[55:56], v[5:6], v[86:87]
	s_waitcnt vmcnt(49)
	v_fma_f64 v[21:22], v[9:10], v[27:28], -v[21:22]
	v_fma_f64 v[27:28], v[11:12], v[27:28], v[49:50]
	v_add_f64 v[15:16], v[15:16], v[63:64]
	v_add_f64 v[13:14], v[13:14], v[53:54]
	s_clause 0x3
	buffer_load_dword v49, off, s[0:3], 0 offset:208
	buffer_load_dword v50, off, s[0:3], 0 offset:212
	;; [unrolled: 1-line block ×4, first 2 shown]
	ds_read_b128 v[9:12], v70 offset:1808
	s_waitcnt vmcnt(49) lgkmcnt(1)
	v_mul_f64 v[63:64], v[1:2], v[33:34]
	v_mul_f64 v[33:34], v[3:4], v[33:34]
	s_waitcnt vmcnt(48)
	v_fma_f64 v[57:58], v[5:6], v[125:126], -v[57:58]
	v_add_f64 v[15:16], v[15:16], v[21:22]
	v_fma_f64 v[21:22], v[7:8], v[125:126], v[55:56]
	v_add_f64 v[13:14], v[13:14], v[27:28]
	ds_read_b128 v[5:8], v70 offset:1824
	s_waitcnt vmcnt(47) lgkmcnt(1)
	v_mul_f64 v[55:56], v[11:12], v[75:76]
	v_mul_f64 v[27:28], v[9:10], v[75:76]
	s_waitcnt vmcnt(45)
	v_fma_f64 v[33:34], v[1:2], v[25:26], -v[33:34]
	v_fma_f64 v[25:26], v[3:4], v[25:26], v[63:64]
	ds_read_b128 v[1:4], v70 offset:1840
	v_add_f64 v[15:16], v[15:16], v[57:58]
	v_add_f64 v[13:14], v[13:14], v[21:22]
	s_waitcnt vmcnt(41) lgkmcnt(1)
	v_mul_f64 v[21:22], v[5:6], v[19:20]
	v_mul_f64 v[19:20], v[7:8], v[19:20]
	s_waitcnt vmcnt(40)
	v_fma_f64 v[55:56], v[9:10], v[95:96], -v[55:56]
	v_fma_f64 v[27:28], v[11:12], v[95:96], v[27:28]
	ds_read_b128 v[9:12], v70 offset:1856
	v_add_f64 v[15:16], v[15:16], v[33:34]
	v_add_f64 v[13:14], v[13:14], v[25:26]
	;; [unrolled: 9-line block ×3, first 2 shown]
	s_waitcnt vmcnt(33) lgkmcnt(1)
	v_mul_f64 v[27:28], v[9:10], v[23:24]
	v_mul_f64 v[23:24], v[11:12], v[23:24]
	s_waitcnt vmcnt(32)
	v_fma_f64 v[31:32], v[1:2], v[93:94], -v[33:34]
	v_add_f64 v[15:16], v[15:16], v[19:20]
	v_fma_f64 v[19:20], v[3:4], v[93:94], v[25:26]
	v_add_f64 v[13:14], v[13:14], v[21:22]
	ds_read_b128 v[1:4], v70 offset:1888
	s_waitcnt vmcnt(31) lgkmcnt(1)
	v_mul_f64 v[25:26], v[7:8], v[45:46]
	v_mul_f64 v[21:22], v[5:6], v[45:46]
	s_waitcnt vmcnt(29)
	v_fma_f64 v[23:24], v[9:10], v[41:42], -v[23:24]
	v_fma_f64 v[27:28], v[11:12], v[41:42], v[27:28]
	ds_read_b128 v[9:12], v70 offset:1904
	v_add_f64 v[15:16], v[15:16], v[31:32]
	v_add_f64 v[13:14], v[13:14], v[19:20]
	s_waitcnt vmcnt(25) lgkmcnt(1)
	v_mul_f64 v[19:20], v[1:2], v[29:30]
	v_mul_f64 v[29:30], v[3:4], v[29:30]
	s_waitcnt vmcnt(24)
	v_fma_f64 v[25:26], v[5:6], v[77:78], -v[25:26]
	v_fma_f64 v[21:22], v[7:8], v[77:78], v[21:22]
	ds_read_b128 v[5:8], v70 offset:1920
	v_add_f64 v[15:16], v[15:16], v[23:24]
	v_add_f64 v[13:14], v[13:14], v[27:28]
	;; [unrolled: 9-line block ×3, first 2 shown]
	s_waitcnt vmcnt(17) lgkmcnt(1)
	v_mul_f64 v[25:26], v[7:8], v[35:36]
	s_waitcnt vmcnt(16)
	v_fma_f64 v[27:28], v[9:10], v[71:72], -v[27:28]
	v_mul_f64 v[21:22], v[5:6], v[35:36]
	v_fma_f64 v[23:24], v[11:12], v[71:72], v[23:24]
	ds_read_b128 v[9:12], v70 offset:1952
	v_add_f64 v[15:16], v[15:16], v[29:30]
	v_add_f64 v[13:14], v[13:14], v[19:20]
	s_waitcnt vmcnt(15) lgkmcnt(1)
	v_mul_f64 v[29:30], v[3:4], v[59:60]
	v_mul_f64 v[19:20], v[1:2], v[59:60]
	s_waitcnt vmcnt(13)
	v_fma_f64 v[25:26], v[5:6], v[47:48], -v[25:26]
	v_fma_f64 v[21:22], v[7:8], v[47:48], v[21:22]
	ds_read_b128 v[5:8], v70 offset:1968
	v_add_f64 v[15:16], v[15:16], v[27:28]
	v_add_f64 v[13:14], v[13:14], v[23:24]
	s_waitcnt vmcnt(9) lgkmcnt(1)
	v_mul_f64 v[27:28], v[11:12], v[43:44]
	s_waitcnt vmcnt(8)
	v_fma_f64 v[1:2], v[1:2], v[65:66], -v[29:30]
	v_mul_f64 v[23:24], v[9:10], v[43:44]
	v_fma_f64 v[3:4], v[3:4], v[65:66], v[19:20]
	v_add_f64 v[15:16], v[15:16], v[25:26]
	v_add_f64 v[13:14], v[13:14], v[21:22]
	s_waitcnt vmcnt(7) lgkmcnt(0)
	v_mul_f64 v[21:22], v[7:8], v[61:62]
	v_mul_f64 v[19:20], v[5:6], v[61:62]
	s_waitcnt vmcnt(5)
	v_fma_f64 v[9:10], v[9:10], v[17:18], -v[27:28]
	v_fma_f64 v[11:12], v[11:12], v[17:18], v[23:24]
	v_add_f64 v[1:2], v[15:16], v[1:2]
	v_add_f64 v[3:4], v[13:14], v[3:4]
	s_waitcnt vmcnt(4)
	v_fma_f64 v[5:6], v[5:6], v[67:68], -v[21:22]
	v_fma_f64 v[7:8], v[7:8], v[67:68], v[19:20]
	v_add_f64 v[1:2], v[1:2], v[9:10]
	v_add_f64 v[3:4], v[3:4], v[11:12]
	;; [unrolled: 1-line block ×4, first 2 shown]
	s_waitcnt vmcnt(2)
	v_add_f64 v[1:2], v[49:50], -v[1:2]
	s_waitcnt vmcnt(0)
	v_add_f64 v[3:4], v[53:54], -v[3:4]
	buffer_store_dword v2, off, s[0:3], 0 offset:212
	buffer_store_dword v1, off, s[0:3], 0 offset:208
	;; [unrolled: 1-line block ×4, first 2 shown]
	v_cmpx_lt_u32_e32 11, v0
	s_cbranch_execz .LBB61_375
; %bb.374:
	v_mov_b32_e32 v4, s71
	s_clause 0x3
	buffer_load_dword v1, v4, s[0:3], 0 offen
	buffer_load_dword v2, v4, s[0:3], 0 offen offset:4
	buffer_load_dword v3, v4, s[0:3], 0 offen offset:8
	;; [unrolled: 1-line block ×3, first 2 shown]
	buffer_store_dword v70, off, s[0:3], 0 offset:192
	buffer_store_dword v70, off, s[0:3], 0 offset:196
	;; [unrolled: 1-line block ×4, first 2 shown]
	s_waitcnt vmcnt(0)
	ds_write_b128 v69, v[1:4]
.LBB61_375:
	s_or_b32 exec_lo, exec_lo, s4
	s_waitcnt lgkmcnt(0)
	s_waitcnt_vscnt null, 0x0
	s_barrier
	buffer_gl0_inv
	s_clause 0x37
	buffer_load_dword v17, off, s[0:3], 0 offset:216
	buffer_load_dword v18, off, s[0:3], 0 offset:220
	;; [unrolled: 1-line block ×56, first 2 shown]
	ds_read_b128 v[5:8], v70 offset:1184
	s_clause 0x2
	buffer_load_dword v66, off, s[0:3], 0 offset:444
	buffer_load_dword v68, off, s[0:3], 0 offset:420
	;; [unrolled: 1-line block ×3, first 2 shown]
	ds_read_b128 v[1:4], v70 offset:1200
	s_clause 0x4
	buffer_load_dword v78, off, s[0:3], 0 offset:460
	buffer_load_dword v84, off, s[0:3], 0 offset:472
	;; [unrolled: 1-line block ×5, first 2 shown]
	ds_read_b128 v[71:74], v70 offset:1216
	s_mov_b32 s4, exec_lo
	s_waitcnt vmcnt(62) lgkmcnt(2)
	v_mul_f64 v[75:76], v[7:8], v[17:18]
	v_mul_f64 v[17:18], v[5:6], v[17:18]
	s_waitcnt vmcnt(60) lgkmcnt(1)
	v_mul_f64 v[87:88], v[3:4], v[13:14]
	v_mul_f64 v[13:14], v[1:2], v[13:14]
	;; [unrolled: 3-line block ×3, first 2 shown]
	v_fma_f64 v[75:76], v[5:6], v[15:16], -v[75:76]
	v_fma_f64 v[15:16], v[7:8], v[15:16], v[17:18]
	s_clause 0x2
	buffer_load_dword v85, off, s[0:3], 0 offset:476
	buffer_load_dword v18, off, s[0:3], 0 offset:452
	;; [unrolled: 1-line block ×3, first 2 shown]
	s_waitcnt vmcnt(57)
	v_fma_f64 v[95:96], v[1:2], v[9:10], -v[87:88]
	ds_read_b128 v[5:8], v70 offset:1232
	v_fma_f64 v[9:10], v[3:4], v[9:10], v[13:14]
	s_waitcnt vmcnt(51)
	v_fma_f64 v[71:72], v[71:72], v[33:34], -v[11:12]
	v_fma_f64 v[33:34], v[73:74], v[33:34], v[93:94]
	v_add_f64 v[75:76], v[75:76], 0
	v_add_f64 v[13:14], v[15:16], 0
	s_clause 0x4
	buffer_load_dword v16, off, s[0:3], 0 offset:492
	buffer_load_dword v123, off, s[0:3], 0 offset:504
	;; [unrolled: 1-line block ×5, first 2 shown]
	s_waitcnt lgkmcnt(0)
	v_mul_f64 v[126:127], v[5:6], v[21:22]
	v_mul_f64 v[21:22], v[7:8], v[21:22]
	ds_read_b128 v[1:4], v70 offset:1248
	s_clause 0x2
	buffer_load_dword v124, off, s[0:3], 0 offset:508
	buffer_load_dword v74, off, s[0:3], 0 offset:484
	;; [unrolled: 1-line block ×3, first 2 shown]
	v_add_f64 v[75:76], v[75:76], v[95:96]
	v_add_f64 v[13:14], v[13:14], v[9:10]
	ds_read_b128 v[9:12], v70 offset:1264
	s_waitcnt vmcnt(58) lgkmcnt(1)
	v_mul_f64 v[93:94], v[1:2], v[25:26]
	v_mul_f64 v[25:26], v[3:4], v[25:26]
	s_waitcnt vmcnt(56)
	v_fma_f64 v[21:22], v[5:6], v[27:28], -v[21:22]
	v_fma_f64 v[27:28], v[7:8], v[27:28], v[126:127]
	s_waitcnt vmcnt(52) lgkmcnt(0)
	v_mul_f64 v[127:128], v[9:10], v[29:30]
	v_add_f64 v[71:72], v[75:76], v[71:72]
	v_add_f64 v[13:14], v[13:14], v[33:34]
	s_clause 0x4
	buffer_load_dword v34, off, s[0:3], 0 offset:524
	buffer_load_dword v75, off, s[0:3], 0 offset:536
	;; [unrolled: 1-line block ×5, first 2 shown]
	v_mul_f64 v[29:30], v[11:12], v[29:30]
	s_waitcnt vmcnt(56)
	v_fma_f64 v[25:26], v[1:2], v[19:20], -v[25:26]
	ds_read_b128 v[5:8], v70 offset:1280
	v_fma_f64 v[19:20], v[3:4], v[19:20], v[93:94]
	v_add_f64 v[21:22], v[71:72], v[21:22]
	v_add_f64 v[13:14], v[13:14], v[27:28]
	s_clause 0x2
	buffer_load_dword v76, off, s[0:3], 0 offset:540
	buffer_load_dword v28, off, s[0:3], 0 offset:516
	;; [unrolled: 1-line block ×3, first 2 shown]
	s_waitcnt vmcnt(58) lgkmcnt(0)
	v_mul_f64 v[71:72], v[5:6], v[35:36]
	v_mul_f64 v[35:36], v[7:8], v[35:36]
	s_waitcnt vmcnt(56)
	v_fma_f64 v[29:30], v[9:10], v[37:38], -v[29:30]
	ds_read_b128 v[1:4], v70 offset:1296
	v_add_f64 v[21:22], v[21:22], v[25:26]
	v_fma_f64 v[25:26], v[11:12], v[37:38], v[127:128]
	v_add_f64 v[13:14], v[13:14], v[19:20]
	s_clause 0x4
	buffer_load_dword v20, off, s[0:3], 0 offset:556
	buffer_load_dword v37, off, s[0:3], 0 offset:568
	;; [unrolled: 1-line block ×5, first 2 shown]
	s_waitcnt vmcnt(57) lgkmcnt(0)
	v_mul_f64 v[127:128], v[1:2], v[39:40]
	v_mul_f64 v[39:40], v[3:4], v[39:40]
	s_waitcnt vmcnt(56)
	v_fma_f64 v[35:36], v[5:6], v[23:24], -v[35:36]
	ds_read_b128 v[9:12], v70 offset:1312
	v_fma_f64 v[23:24], v[7:8], v[23:24], v[71:72]
	v_add_f64 v[21:22], v[21:22], v[29:30]
	v_add_f64 v[13:14], v[13:14], v[25:26]
	s_clause 0x2
	buffer_load_dword v38, off, s[0:3], 0 offset:572
	buffer_load_dword v26, off, s[0:3], 0 offset:548
	;; [unrolled: 1-line block ×3, first 2 shown]
	ds_read_b128 v[5:8], v70 offset:1328
	s_waitcnt vmcnt(58) lgkmcnt(1)
	v_mul_f64 v[29:30], v[9:10], v[43:44]
	v_mul_f64 v[43:44], v[11:12], v[43:44]
	s_waitcnt vmcnt(56)
	v_fma_f64 v[39:40], v[1:2], v[45:46], -v[39:40]
	v_add_f64 v[21:22], v[21:22], v[35:36]
	v_fma_f64 v[35:36], v[3:4], v[45:46], v[127:128]
	v_add_f64 v[13:14], v[13:14], v[23:24]
	s_clause 0x4
	buffer_load_dword v24, off, s[0:3], 0 offset:588
	buffer_load_dword v45, off, s[0:3], 0 offset:600
	;; [unrolled: 1-line block ×5, first 2 shown]
	s_waitcnt vmcnt(57) lgkmcnt(0)
	v_mul_f64 v[127:128], v[5:6], v[47:48]
	v_mul_f64 v[47:48], v[7:8], v[47:48]
	s_waitcnt vmcnt(56)
	v_fma_f64 v[43:44], v[9:10], v[31:32], -v[43:44]
	ds_read_b128 v[1:4], v70 offset:1344
	v_fma_f64 v[29:30], v[11:12], v[31:32], v[29:30]
	s_clause 0x2
	buffer_load_dword v46, off, s[0:3], 0 offset:604
	buffer_load_dword v32, off, s[0:3], 0 offset:580
	;; [unrolled: 1-line block ×3, first 2 shown]
	ds_read_b128 v[9:12], v70 offset:1360
	v_add_f64 v[21:22], v[21:22], v[39:40]
	v_add_f64 v[13:14], v[13:14], v[35:36]
	s_waitcnt vmcnt(58) lgkmcnt(1)
	v_mul_f64 v[39:40], v[3:4], v[51:52]
	s_waitcnt vmcnt(56)
	v_fma_f64 v[47:48], v[5:6], v[53:54], -v[47:48]
	v_mul_f64 v[35:36], v[1:2], v[51:52]
	v_add_f64 v[21:22], v[21:22], v[43:44]
	v_fma_f64 v[43:44], v[7:8], v[53:54], v[127:128]
	v_add_f64 v[13:14], v[13:14], v[29:30]
	s_clause 0x4
	buffer_load_dword v30, off, s[0:3], 0 offset:620
	buffer_load_dword v51, off, s[0:3], 0 offset:632
	;; [unrolled: 1-line block ×5, first 2 shown]
	s_waitcnt vmcnt(57) lgkmcnt(0)
	v_mul_f64 v[127:128], v[9:10], v[55:56]
	v_mul_f64 v[54:55], v[11:12], v[55:56]
	s_waitcnt vmcnt(56)
	v_fma_f64 v[39:40], v[1:2], v[41:42], -v[39:40]
	ds_read_b128 v[5:8], v70 offset:1376
	v_fma_f64 v[35:36], v[3:4], v[41:42], v[35:36]
	s_clause 0x2
	buffer_load_dword v52, off, s[0:3], 0 offset:636
	buffer_load_dword v42, off, s[0:3], 0 offset:612
	;; [unrolled: 1-line block ×3, first 2 shown]
	ds_read_b128 v[1:4], v70 offset:1392
	v_add_f64 v[21:22], v[21:22], v[47:48]
	v_add_f64 v[13:14], v[13:14], v[43:44]
	s_waitcnt vmcnt(58) lgkmcnt(1)
	v_mul_f64 v[47:48], v[7:8], v[59:60]
	s_waitcnt vmcnt(56)
	v_fma_f64 v[55:56], v[9:10], v[61:62], -v[54:55]
	v_mul_f64 v[43:44], v[5:6], v[59:60]
	v_add_f64 v[21:22], v[21:22], v[39:40]
	v_fma_f64 v[39:40], v[11:12], v[61:62], v[127:128]
	v_add_f64 v[13:14], v[13:14], v[35:36]
	s_clause 0x4
	buffer_load_dword v36, off, s[0:3], 0 offset:652
	buffer_load_dword v59, off, s[0:3], 0 offset:664
	;; [unrolled: 1-line block ×5, first 2 shown]
	s_waitcnt vmcnt(57) lgkmcnt(0)
	v_mul_f64 v[127:128], v[1:2], v[63:64]
	v_mul_f64 v[62:63], v[3:4], v[63:64]
	s_waitcnt vmcnt(56)
	v_fma_f64 v[47:48], v[5:6], v[49:50], -v[47:48]
	ds_read_b128 v[9:12], v70 offset:1408
	v_fma_f64 v[43:44], v[7:8], v[49:50], v[43:44]
	v_add_f64 v[21:22], v[21:22], v[55:56]
	v_add_f64 v[13:14], v[13:14], v[39:40]
	s_clause 0x2
	buffer_load_dword v60, off, s[0:3], 0 offset:668
	buffer_load_dword v40, off, s[0:3], 0 offset:644
	;; [unrolled: 1-line block ×3, first 2 shown]
	ds_read_b128 v[5:8], v70 offset:1424
	s_waitcnt vmcnt(58) lgkmcnt(1)
	v_mul_f64 v[55:56], v[11:12], v[65:66]
	s_waitcnt vmcnt(56)
	v_fma_f64 v[63:64], v[1:2], v[67:68], -v[62:63]
	v_mul_f64 v[49:50], v[9:10], v[65:66]
	v_add_f64 v[21:22], v[21:22], v[47:48]
	v_fma_f64 v[47:48], v[3:4], v[67:68], v[127:128]
	v_add_f64 v[13:14], v[13:14], v[43:44]
	s_clause 0x4
	buffer_load_dword v44, off, s[0:3], 0 offset:684
	buffer_load_dword v65, off, s[0:3], 0 offset:696
	;; [unrolled: 1-line block ×5, first 2 shown]
	s_waitcnt vmcnt(57) lgkmcnt(0)
	v_mul_f64 v[127:128], v[5:6], v[77:78]
	v_mul_f64 v[77:78], v[7:8], v[77:78]
	s_waitcnt vmcnt(56)
	v_fma_f64 v[55:56], v[9:10], v[57:58], -v[55:56]
	ds_read_b128 v[1:4], v70 offset:1440
	v_fma_f64 v[49:50], v[11:12], v[57:58], v[49:50]
	v_add_f64 v[21:22], v[21:22], v[63:64]
	v_add_f64 v[13:14], v[13:14], v[47:48]
	s_clause 0x2
	buffer_load_dword v66, off, s[0:3], 0 offset:700
	buffer_load_dword v48, off, s[0:3], 0 offset:676
	;; [unrolled: 1-line block ×3, first 2 shown]
	ds_read_b128 v[9:12], v70 offset:1456
	s_waitcnt vmcnt(58) lgkmcnt(1)
	v_mul_f64 v[63:64], v[3:4], v[84:85]
	v_mul_f64 v[57:58], v[1:2], v[84:85]
	s_waitcnt vmcnt(56)
	v_fma_f64 v[77:78], v[5:6], v[17:18], -v[77:78]
	v_fma_f64 v[17:18], v[7:8], v[17:18], v[127:128]
	v_add_f64 v[21:22], v[21:22], v[55:56]
	v_add_f64 v[13:14], v[13:14], v[49:50]
	s_clause 0x4
	buffer_load_dword v50, off, s[0:3], 0 offset:716
	buffer_load_dword v55, off, s[0:3], 0 offset:728
	;; [unrolled: 1-line block ×5, first 2 shown]
	ds_read_b128 v[5:8], v70 offset:1472
	s_waitcnt vmcnt(57) lgkmcnt(1)
	v_mul_f64 v[127:128], v[9:10], v[15:16]
	v_mul_f64 v[15:16], v[11:12], v[15:16]
	s_waitcnt vmcnt(56)
	v_fma_f64 v[63:64], v[1:2], v[86:87], -v[63:64]
	v_fma_f64 v[57:58], v[3:4], v[86:87], v[57:58]
	v_add_f64 v[21:22], v[21:22], v[77:78]
	v_add_f64 v[13:14], v[13:14], v[17:18]
	s_clause 0x2
	buffer_load_dword v56, off, s[0:3], 0 offset:732
	buffer_load_dword v18, off, s[0:3], 0 offset:708
	;; [unrolled: 1-line block ×3, first 2 shown]
	s_waitcnt vmcnt(58) lgkmcnt(0)
	v_mul_f64 v[86:87], v[7:8], v[123:124]
	ds_read_b128 v[1:4], v70 offset:1488
	v_mul_f64 v[77:78], v[5:6], v[123:124]
	s_waitcnt vmcnt(56)
	v_fma_f64 v[15:16], v[9:10], v[73:74], -v[15:16]
	v_add_f64 v[21:22], v[21:22], v[63:64]
	v_fma_f64 v[63:64], v[11:12], v[73:74], v[127:128]
	v_add_f64 v[13:14], v[13:14], v[57:58]
	s_clause 0x4
	buffer_load_dword v58, off, s[0:3], 0 offset:748
	buffer_load_dword v73, off, s[0:3], 0 offset:760
	;; [unrolled: 1-line block ×5, first 2 shown]
	ds_read_b128 v[9:12], v70 offset:1504
	s_waitcnt vmcnt(57) lgkmcnt(1)
	v_mul_f64 v[127:128], v[1:2], v[33:34]
	v_mul_f64 v[33:34], v[3:4], v[33:34]
	s_waitcnt vmcnt(56)
	v_fma_f64 v[86:87], v[5:6], v[125:126], -v[86:87]
	v_add_f64 v[15:16], v[21:22], v[15:16]
	v_fma_f64 v[21:22], v[7:8], v[125:126], v[77:78]
	v_add_f64 v[13:14], v[13:14], v[63:64]
	s_clause 0x2
	buffer_load_dword v74, off, s[0:3], 0 offset:764
	buffer_load_dword v64, off, s[0:3], 0 offset:740
	;; [unrolled: 1-line block ×3, first 2 shown]
	ds_read_b128 v[5:8], v70 offset:1520
	s_waitcnt vmcnt(58) lgkmcnt(1)
	v_mul_f64 v[77:78], v[9:10], v[75:76]
	v_mul_f64 v[75:76], v[11:12], v[75:76]
	s_waitcnt vmcnt(56)
	v_fma_f64 v[33:34], v[1:2], v[27:28], -v[33:34]
	v_fma_f64 v[27:28], v[3:4], v[27:28], v[127:128]
	v_add_f64 v[15:16], v[15:16], v[86:87]
	v_add_f64 v[13:14], v[13:14], v[21:22]
	s_clause 0x4
	buffer_load_dword v22, off, s[0:3], 0 offset:780
	buffer_load_dword v86, off, s[0:3], 0 offset:792
	;; [unrolled: 1-line block ×5, first 2 shown]
	ds_read_b128 v[1:4], v70 offset:1536
	s_waitcnt vmcnt(57) lgkmcnt(1)
	v_mul_f64 v[126:127], v[5:6], v[19:20]
	v_mul_f64 v[19:20], v[7:8], v[19:20]
	s_waitcnt vmcnt(56)
	v_fma_f64 v[75:76], v[9:10], v[95:96], -v[75:76]
	v_add_f64 v[15:16], v[15:16], v[33:34]
	v_fma_f64 v[33:34], v[11:12], v[95:96], v[77:78]
	v_add_f64 v[13:14], v[13:14], v[27:28]
	s_clause 0x2
	buffer_load_dword v87, off, s[0:3], 0 offset:796
	buffer_load_dword v28, off, s[0:3], 0 offset:772
	;; [unrolled: 1-line block ×3, first 2 shown]
	ds_read_b128 v[9:12], v70 offset:1552
	s_waitcnt vmcnt(58) lgkmcnt(1)
	v_mul_f64 v[77:78], v[1:2], v[37:38]
	v_mul_f64 v[37:38], v[3:4], v[37:38]
	s_waitcnt vmcnt(56)
	v_fma_f64 v[19:20], v[5:6], v[25:26], -v[19:20]
	v_fma_f64 v[25:26], v[7:8], v[25:26], v[126:127]
	v_add_f64 v[15:16], v[15:16], v[75:76]
	v_add_f64 v[13:14], v[13:14], v[33:34]
	s_clause 0x4
	buffer_load_dword v34, off, s[0:3], 0 offset:812
	buffer_load_dword v75, off, s[0:3], 0 offset:824
	buffer_load_dword v95, off, s[0:3], 0 offset:816
	buffer_load_dword v33, off, s[0:3], 0 offset:808
	buffer_load_dword v126, off, s[0:3], 0 offset:788
	ds_read_b128 v[5:8], v70 offset:1568
	s_waitcnt vmcnt(57) lgkmcnt(1)
	v_mul_f64 v[127:128], v[9:10], v[23:24]
	v_mul_f64 v[23:24], v[11:12], v[23:24]
	s_waitcnt vmcnt(56)
	v_fma_f64 v[37:38], v[1:2], v[93:94], -v[37:38]
	v_add_f64 v[15:16], v[15:16], v[19:20]
	v_fma_f64 v[19:20], v[3:4], v[93:94], v[77:78]
	v_add_f64 v[13:14], v[13:14], v[25:26]
	s_clause 0x2
	buffer_load_dword v76, off, s[0:3], 0 offset:828
	buffer_load_dword v26, off, s[0:3], 0 offset:804
	;; [unrolled: 1-line block ×3, first 2 shown]
	s_waitcnt vmcnt(58) lgkmcnt(0)
	v_mul_f64 v[77:78], v[5:6], v[45:46]
	v_mul_f64 v[45:46], v[7:8], v[45:46]
	ds_read_b128 v[1:4], v70 offset:1584
	s_waitcnt vmcnt(56)
	v_fma_f64 v[23:24], v[9:10], v[31:32], -v[23:24]
	v_fma_f64 v[31:32], v[11:12], v[31:32], v[127:128]
	v_add_f64 v[15:16], v[15:16], v[37:38]
	v_add_f64 v[13:14], v[13:14], v[19:20]
	s_clause 0x4
	buffer_load_dword v20, off, s[0:3], 0 offset:844
	buffer_load_dword v37, off, s[0:3], 0 offset:856
	;; [unrolled: 1-line block ×5, first 2 shown]
	ds_read_b128 v[9:12], v70 offset:1600
	s_waitcnt vmcnt(57) lgkmcnt(1)
	v_mul_f64 v[127:128], v[1:2], v[29:30]
	v_mul_f64 v[29:30], v[3:4], v[29:30]
	s_waitcnt vmcnt(56)
	v_fma_f64 v[45:46], v[5:6], v[71:72], -v[45:46]
	v_add_f64 v[15:16], v[15:16], v[23:24]
	v_fma_f64 v[23:24], v[7:8], v[71:72], v[77:78]
	v_add_f64 v[13:14], v[13:14], v[31:32]
	s_clause 0x2
	buffer_load_dword v38, off, s[0:3], 0 offset:860
	buffer_load_dword v32, off, s[0:3], 0 offset:836
	;; [unrolled: 1-line block ×3, first 2 shown]
	s_waitcnt vmcnt(58) lgkmcnt(0)
	v_mul_f64 v[71:72], v[9:10], v[51:52]
	v_mul_f64 v[51:52], v[11:12], v[51:52]
	ds_read_b128 v[5:8], v70 offset:1616
	s_waitcnt vmcnt(56)
	v_fma_f64 v[29:30], v[1:2], v[41:42], -v[29:30]
	v_fma_f64 v[41:42], v[3:4], v[41:42], v[127:128]
	v_add_f64 v[15:16], v[15:16], v[45:46]
	v_add_f64 v[13:14], v[13:14], v[23:24]
	s_clause 0x4
	buffer_load_dword v24, off, s[0:3], 0 offset:876
	buffer_load_dword v45, off, s[0:3], 0 offset:888
	buffer_load_dword v77, off, s[0:3], 0 offset:880
	buffer_load_dword v23, off, s[0:3], 0 offset:872
	buffer_load_dword v94, off, s[0:3], 0 offset:852
	ds_read_b128 v[1:4], v70 offset:1632
	s_waitcnt vmcnt(57) lgkmcnt(1)
	v_mul_f64 v[78:79], v[5:6], v[35:36]
	v_mul_f64 v[35:36], v[7:8], v[35:36]
	s_waitcnt vmcnt(56)
	v_fma_f64 v[51:52], v[9:10], v[53:54], -v[51:52]
	v_add_f64 v[15:16], v[15:16], v[29:30]
	v_fma_f64 v[29:30], v[11:12], v[53:54], v[71:72]
	v_add_f64 v[13:14], v[13:14], v[41:42]
	s_clause 0x2
	buffer_load_dword v46, off, s[0:3], 0 offset:892
	buffer_load_dword v42, off, s[0:3], 0 offset:868
	buffer_load_dword v41, off, s[0:3], 0 offset:864
	ds_read_b128 v[9:12], v70 offset:1648
	s_waitcnt vmcnt(58) lgkmcnt(1)
	v_mul_f64 v[53:54], v[1:2], v[59:60]
	v_mul_f64 v[59:60], v[3:4], v[59:60]
	s_waitcnt vmcnt(56)
	v_fma_f64 v[35:36], v[5:6], v[39:40], -v[35:36]
	v_fma_f64 v[39:40], v[7:8], v[39:40], v[78:79]
	v_add_f64 v[15:16], v[15:16], v[51:52]
	v_add_f64 v[13:14], v[13:14], v[29:30]
	s_clause 0x4
	buffer_load_dword v30, off, s[0:3], 0 offset:908
	buffer_load_dword v51, off, s[0:3], 0 offset:920
	buffer_load_dword v71, off, s[0:3], 0 offset:912
	buffer_load_dword v29, off, s[0:3], 0 offset:904
	buffer_load_dword v78, off, s[0:3], 0 offset:884
	ds_read_b128 v[5:8], v70 offset:1664
	s_waitcnt vmcnt(57) lgkmcnt(1)
	v_mul_f64 v[127:128], v[9:10], v[43:44]
	v_mul_f64 v[43:44], v[11:12], v[43:44]
	s_waitcnt vmcnt(56)
	v_fma_f64 v[59:60], v[1:2], v[61:62], -v[59:60]
	v_add_f64 v[15:16], v[15:16], v[35:36]
	v_fma_f64 v[35:36], v[3:4], v[61:62], v[53:54]
	v_add_f64 v[13:14], v[13:14], v[39:40]
	s_clause 0x2
	buffer_load_dword v52, off, s[0:3], 0 offset:924
	buffer_load_dword v40, off, s[0:3], 0 offset:900
	buffer_load_dword v39, off, s[0:3], 0 offset:896
	ds_read_b128 v[1:4], v70 offset:1680
	s_waitcnt vmcnt(58) lgkmcnt(1)
	v_mul_f64 v[61:62], v[7:8], v[65:66]
	v_mul_f64 v[53:54], v[5:6], v[65:66]
	;; [unrolled: 28-line block ×4, first 2 shown]
	s_waitcnt vmcnt(56)
	v_fma_f64 v[57:58], v[5:6], v[63:64], -v[57:58]
	v_add_f64 v[15:16], v[15:16], v[55:56]
	v_fma_f64 v[55:56], v[7:8], v[63:64], v[127:128]
	v_add_f64 v[13:14], v[13:14], v[49:50]
	s_clause 0x2
	buffer_load_dword v50, off, s[0:3], 0 offset:1004
	buffer_load_dword v49, off, s[0:3], 0 offset:1000
	;; [unrolled: 1-line block ×3, first 2 shown]
	ds_read_b128 v[5:8], v70 offset:1760
	s_waitcnt vmcnt(55) lgkmcnt(1)
	v_mul_f64 v[63:64], v[9:10], v[21:22]
	v_mul_f64 v[21:22], v[11:12], v[21:22]
	s_waitcnt vmcnt(54)
	v_fma_f64 v[73:74], v[1:2], v[123:124], -v[73:74]
	v_fma_f64 v[53:54], v[3:4], v[123:124], v[53:54]
	v_add_f64 v[15:16], v[15:16], v[57:58]
	v_add_f64 v[13:14], v[13:14], v[55:56]
	s_clause 0x1
	buffer_load_dword v56, off, s[0:3], 0 offset:996
	buffer_load_dword v55, off, s[0:3], 0 offset:992
	ds_read_b128 v[1:4], v70 offset:1776
	s_waitcnt vmcnt(55) lgkmcnt(1)
	v_mul_f64 v[84:85], v[7:8], v[86:87]
	v_mul_f64 v[57:58], v[5:6], v[86:87]
	s_waitcnt vmcnt(53)
	v_fma_f64 v[21:22], v[9:10], v[27:28], -v[21:22]
	v_fma_f64 v[27:28], v[11:12], v[27:28], v[63:64]
	ds_read_b128 v[9:12], v70 offset:1792
	v_add_f64 v[15:16], v[15:16], v[73:74]
	v_add_f64 v[13:14], v[13:14], v[53:54]
	s_waitcnt vmcnt(49) lgkmcnt(1)
	v_mul_f64 v[53:54], v[1:2], v[33:34]
	v_mul_f64 v[33:34], v[3:4], v[33:34]
	s_waitcnt vmcnt(48)
	v_fma_f64 v[63:64], v[5:6], v[125:126], -v[84:85]
	v_add_f64 v[15:16], v[15:16], v[21:22]
	v_fma_f64 v[21:22], v[7:8], v[125:126], v[57:58]
	v_add_f64 v[13:14], v[13:14], v[27:28]
	s_clause 0x3
	buffer_load_dword v27, off, s[0:3], 0 offset:192
	buffer_load_dword v28, off, s[0:3], 0 offset:196
	;; [unrolled: 1-line block ×4, first 2 shown]
	ds_read_b128 v[5:8], v70 offset:1808
	s_waitcnt vmcnt(51) lgkmcnt(1)
	v_mul_f64 v[73:74], v[9:10], v[75:76]
	v_mul_f64 v[75:76], v[11:12], v[75:76]
	s_waitcnt vmcnt(49)
	v_fma_f64 v[33:34], v[1:2], v[25:26], -v[33:34]
	v_fma_f64 v[25:26], v[3:4], v[25:26], v[53:54]
	ds_read_b128 v[1:4], v70 offset:1824
	v_add_f64 v[15:16], v[15:16], v[63:64]
	v_add_f64 v[13:14], v[13:14], v[21:22]
	s_waitcnt vmcnt(45) lgkmcnt(1)
	v_mul_f64 v[21:22], v[5:6], v[19:20]
	v_mul_f64 v[19:20], v[7:8], v[19:20]
	s_waitcnt vmcnt(44)
	v_fma_f64 v[53:54], v[9:10], v[95:96], -v[75:76]
	v_add_f64 v[15:16], v[15:16], v[33:34]
	v_fma_f64 v[33:34], v[11:12], v[95:96], v[73:74]
	v_add_f64 v[13:14], v[13:14], v[25:26]
	ds_read_b128 v[9:12], v70 offset:1840
	s_waitcnt vmcnt(43) lgkmcnt(1)
	v_mul_f64 v[25:26], v[1:2], v[37:38]
	v_mul_f64 v[37:38], v[3:4], v[37:38]
	s_waitcnt vmcnt(41)
	v_fma_f64 v[19:20], v[5:6], v[31:32], -v[19:20]
	v_fma_f64 v[21:22], v[7:8], v[31:32], v[21:22]
	ds_read_b128 v[5:8], v70 offset:1856
	v_add_f64 v[15:16], v[15:16], v[53:54]
	v_add_f64 v[13:14], v[13:14], v[33:34]
	s_waitcnt vmcnt(37) lgkmcnt(1)
	v_mul_f64 v[31:32], v[9:10], v[23:24]
	v_mul_f64 v[23:24], v[11:12], v[23:24]
	s_waitcnt vmcnt(36)
	v_fma_f64 v[33:34], v[1:2], v[93:94], -v[37:38]
	v_add_f64 v[15:16], v[15:16], v[19:20]
	v_fma_f64 v[19:20], v[3:4], v[93:94], v[25:26]
	v_add_f64 v[13:14], v[13:14], v[21:22]
	ds_read_b128 v[1:4], v70 offset:1872
	s_waitcnt vmcnt(35) lgkmcnt(1)
	v_mul_f64 v[25:26], v[7:8], v[45:46]
	v_mul_f64 v[21:22], v[5:6], v[45:46]
	s_waitcnt vmcnt(33)
	v_fma_f64 v[23:24], v[9:10], v[41:42], -v[23:24]
	v_fma_f64 v[31:32], v[11:12], v[41:42], v[31:32]
	ds_read_b128 v[9:12], v70 offset:1888
	v_add_f64 v[15:16], v[15:16], v[33:34]
	v_add_f64 v[13:14], v[13:14], v[19:20]
	s_waitcnt vmcnt(29) lgkmcnt(1)
	v_mul_f64 v[19:20], v[1:2], v[29:30]
	v_mul_f64 v[29:30], v[3:4], v[29:30]
	s_waitcnt vmcnt(28)
	v_fma_f64 v[25:26], v[5:6], v[77:78], -v[25:26]
	v_fma_f64 v[21:22], v[7:8], v[77:78], v[21:22]
	ds_read_b128 v[5:8], v70 offset:1904
	v_add_f64 v[15:16], v[15:16], v[23:24]
	v_add_f64 v[13:14], v[13:14], v[31:32]
	;; [unrolled: 9-line block ×3, first 2 shown]
	s_waitcnt vmcnt(21) lgkmcnt(1)
	v_mul_f64 v[25:26], v[7:8], v[35:36]
	s_waitcnt vmcnt(20)
	v_fma_f64 v[31:32], v[9:10], v[71:72], -v[31:32]
	v_mul_f64 v[21:22], v[5:6], v[35:36]
	v_fma_f64 v[23:24], v[11:12], v[71:72], v[23:24]
	ds_read_b128 v[9:12], v70 offset:1936
	v_add_f64 v[15:16], v[15:16], v[29:30]
	v_add_f64 v[13:14], v[13:14], v[19:20]
	s_waitcnt vmcnt(19) lgkmcnt(1)
	v_mul_f64 v[29:30], v[3:4], v[59:60]
	v_mul_f64 v[19:20], v[1:2], v[59:60]
	s_waitcnt vmcnt(17)
	v_fma_f64 v[25:26], v[5:6], v[47:48], -v[25:26]
	v_fma_f64 v[21:22], v[7:8], v[47:48], v[21:22]
	ds_read_b128 v[5:8], v70 offset:1952
	v_add_f64 v[15:16], v[15:16], v[31:32]
	v_add_f64 v[13:14], v[13:14], v[23:24]
	s_waitcnt vmcnt(13) lgkmcnt(1)
	v_mul_f64 v[31:32], v[11:12], v[43:44]
	s_waitcnt vmcnt(12)
	v_fma_f64 v[29:30], v[1:2], v[65:66], -v[29:30]
	v_mul_f64 v[23:24], v[9:10], v[43:44]
	v_fma_f64 v[19:20], v[3:4], v[65:66], v[19:20]
	ds_read_b128 v[1:4], v70 offset:1968
	v_add_f64 v[15:16], v[15:16], v[25:26]
	v_add_f64 v[13:14], v[13:14], v[21:22]
	s_waitcnt vmcnt(11) lgkmcnt(1)
	v_mul_f64 v[25:26], v[7:8], v[61:62]
	v_mul_f64 v[21:22], v[5:6], v[61:62]
	s_waitcnt vmcnt(9)
	v_fma_f64 v[9:10], v[9:10], v[17:18], -v[31:32]
	v_fma_f64 v[11:12], v[11:12], v[17:18], v[23:24]
	v_add_f64 v[15:16], v[15:16], v[29:30]
	v_add_f64 v[13:14], v[13:14], v[19:20]
	s_waitcnt vmcnt(7) lgkmcnt(0)
	v_mul_f64 v[19:20], v[3:4], v[49:50]
	s_waitcnt vmcnt(6)
	v_fma_f64 v[5:6], v[5:6], v[67:68], -v[25:26]
	v_mul_f64 v[17:18], v[1:2], v[49:50]
	v_fma_f64 v[7:8], v[7:8], v[67:68], v[21:22]
	v_add_f64 v[9:10], v[15:16], v[9:10]
	v_add_f64 v[11:12], v[13:14], v[11:12]
	s_waitcnt vmcnt(4)
	v_fma_f64 v[1:2], v[1:2], v[55:56], -v[19:20]
	v_fma_f64 v[3:4], v[3:4], v[55:56], v[17:18]
	v_add_f64 v[5:6], v[9:10], v[5:6]
	v_add_f64 v[7:8], v[11:12], v[7:8]
	;; [unrolled: 1-line block ×4, first 2 shown]
	s_waitcnt vmcnt(2)
	v_add_f64 v[1:2], v[27:28], -v[1:2]
	s_waitcnt vmcnt(0)
	v_add_f64 v[3:4], v[57:58], -v[3:4]
	buffer_store_dword v2, off, s[0:3], 0 offset:196
	buffer_store_dword v1, off, s[0:3], 0 offset:192
	;; [unrolled: 1-line block ×4, first 2 shown]
	v_cmpx_lt_u32_e32 10, v0
	s_cbranch_execz .LBB61_377
; %bb.376:
	v_mov_b32_e32 v4, s72
	v_mov_b32_e32 v5, 0
	s_clause 0x3
	buffer_load_dword v1, v4, s[0:3], 0 offen
	buffer_load_dword v2, v4, s[0:3], 0 offen offset:4
	buffer_load_dword v3, v4, s[0:3], 0 offen offset:8
	;; [unrolled: 1-line block ×3, first 2 shown]
	buffer_store_dword v5, off, s[0:3], 0 offset:176
	buffer_store_dword v5, off, s[0:3], 0 offset:180
	;; [unrolled: 1-line block ×4, first 2 shown]
	s_waitcnt vmcnt(0)
	ds_write_b128 v69, v[1:4]
.LBB61_377:
	s_or_b32 exec_lo, exec_lo, s4
	s_waitcnt lgkmcnt(0)
	s_waitcnt_vscnt null, 0x0
	s_barrier
	buffer_gl0_inv
	s_clause 0x37
	buffer_load_dword v17, off, s[0:3], 0 offset:200
	buffer_load_dword v18, off, s[0:3], 0 offset:204
	;; [unrolled: 1-line block ×56, first 2 shown]
	v_mov_b32_e32 v70, 0
	s_mov_b32 s4, exec_lo
	ds_read_b128 v[5:8], v70 offset:1168
	s_clause 0x2
	buffer_load_dword v66, off, s[0:3], 0 offset:428
	buffer_load_dword v68, off, s[0:3], 0 offset:404
	;; [unrolled: 1-line block ×3, first 2 shown]
	ds_read_b128 v[1:4], v70 offset:1184
	s_clause 0x4
	buffer_load_dword v78, off, s[0:3], 0 offset:444
	buffer_load_dword v84, off, s[0:3], 0 offset:456
	;; [unrolled: 1-line block ×5, first 2 shown]
	ds_read_b128 v[71:74], v70 offset:1200
	s_waitcnt vmcnt(62) lgkmcnt(2)
	v_mul_f64 v[75:76], v[7:8], v[17:18]
	v_mul_f64 v[17:18], v[5:6], v[17:18]
	s_waitcnt vmcnt(60) lgkmcnt(1)
	v_mul_f64 v[87:88], v[3:4], v[13:14]
	v_mul_f64 v[13:14], v[1:2], v[13:14]
	;; [unrolled: 3-line block ×3, first 2 shown]
	v_fma_f64 v[75:76], v[5:6], v[15:16], -v[75:76]
	v_fma_f64 v[15:16], v[7:8], v[15:16], v[17:18]
	s_clause 0x2
	buffer_load_dword v85, off, s[0:3], 0 offset:460
	buffer_load_dword v18, off, s[0:3], 0 offset:436
	;; [unrolled: 1-line block ×3, first 2 shown]
	s_waitcnt vmcnt(57)
	v_fma_f64 v[95:96], v[1:2], v[9:10], -v[87:88]
	ds_read_b128 v[5:8], v70 offset:1216
	v_fma_f64 v[9:10], v[3:4], v[9:10], v[13:14]
	s_waitcnt vmcnt(51)
	v_fma_f64 v[71:72], v[71:72], v[33:34], -v[11:12]
	v_fma_f64 v[33:34], v[73:74], v[33:34], v[93:94]
	v_add_f64 v[75:76], v[75:76], 0
	v_add_f64 v[13:14], v[15:16], 0
	s_clause 0x4
	buffer_load_dword v16, off, s[0:3], 0 offset:476
	buffer_load_dword v123, off, s[0:3], 0 offset:488
	;; [unrolled: 1-line block ×5, first 2 shown]
	s_waitcnt lgkmcnt(0)
	v_mul_f64 v[126:127], v[5:6], v[21:22]
	v_mul_f64 v[21:22], v[7:8], v[21:22]
	ds_read_b128 v[1:4], v70 offset:1232
	s_clause 0x2
	buffer_load_dword v124, off, s[0:3], 0 offset:492
	buffer_load_dword v74, off, s[0:3], 0 offset:468
	;; [unrolled: 1-line block ×3, first 2 shown]
	v_add_f64 v[75:76], v[75:76], v[95:96]
	v_add_f64 v[13:14], v[13:14], v[9:10]
	ds_read_b128 v[9:12], v70 offset:1248
	s_waitcnt vmcnt(58) lgkmcnt(1)
	v_mul_f64 v[93:94], v[1:2], v[25:26]
	v_mul_f64 v[25:26], v[3:4], v[25:26]
	s_waitcnt vmcnt(56)
	v_fma_f64 v[21:22], v[5:6], v[27:28], -v[21:22]
	v_fma_f64 v[27:28], v[7:8], v[27:28], v[126:127]
	s_waitcnt vmcnt(52) lgkmcnt(0)
	v_mul_f64 v[127:128], v[9:10], v[29:30]
	v_add_f64 v[71:72], v[75:76], v[71:72]
	v_add_f64 v[13:14], v[13:14], v[33:34]
	s_clause 0x4
	buffer_load_dword v34, off, s[0:3], 0 offset:508
	buffer_load_dword v75, off, s[0:3], 0 offset:520
	;; [unrolled: 1-line block ×5, first 2 shown]
	v_mul_f64 v[29:30], v[11:12], v[29:30]
	s_waitcnt vmcnt(56)
	v_fma_f64 v[25:26], v[1:2], v[19:20], -v[25:26]
	ds_read_b128 v[5:8], v70 offset:1264
	v_fma_f64 v[19:20], v[3:4], v[19:20], v[93:94]
	v_add_f64 v[21:22], v[71:72], v[21:22]
	v_add_f64 v[13:14], v[13:14], v[27:28]
	s_clause 0x2
	buffer_load_dword v76, off, s[0:3], 0 offset:524
	buffer_load_dword v28, off, s[0:3], 0 offset:500
	;; [unrolled: 1-line block ×3, first 2 shown]
	s_waitcnt vmcnt(58) lgkmcnt(0)
	v_mul_f64 v[71:72], v[5:6], v[35:36]
	v_mul_f64 v[35:36], v[7:8], v[35:36]
	s_waitcnt vmcnt(56)
	v_fma_f64 v[29:30], v[9:10], v[37:38], -v[29:30]
	ds_read_b128 v[1:4], v70 offset:1280
	v_add_f64 v[21:22], v[21:22], v[25:26]
	v_fma_f64 v[25:26], v[11:12], v[37:38], v[127:128]
	v_add_f64 v[13:14], v[13:14], v[19:20]
	s_clause 0x4
	buffer_load_dword v20, off, s[0:3], 0 offset:540
	buffer_load_dword v37, off, s[0:3], 0 offset:552
	;; [unrolled: 1-line block ×5, first 2 shown]
	s_waitcnt vmcnt(57) lgkmcnt(0)
	v_mul_f64 v[127:128], v[1:2], v[39:40]
	v_mul_f64 v[39:40], v[3:4], v[39:40]
	s_waitcnt vmcnt(56)
	v_fma_f64 v[35:36], v[5:6], v[23:24], -v[35:36]
	ds_read_b128 v[9:12], v70 offset:1296
	v_fma_f64 v[23:24], v[7:8], v[23:24], v[71:72]
	v_add_f64 v[21:22], v[21:22], v[29:30]
	v_add_f64 v[13:14], v[13:14], v[25:26]
	s_clause 0x2
	buffer_load_dword v38, off, s[0:3], 0 offset:556
	buffer_load_dword v26, off, s[0:3], 0 offset:532
	;; [unrolled: 1-line block ×3, first 2 shown]
	ds_read_b128 v[5:8], v70 offset:1312
	s_waitcnt vmcnt(58) lgkmcnt(1)
	v_mul_f64 v[29:30], v[9:10], v[43:44]
	v_mul_f64 v[43:44], v[11:12], v[43:44]
	s_waitcnt vmcnt(56)
	v_fma_f64 v[39:40], v[1:2], v[45:46], -v[39:40]
	v_add_f64 v[21:22], v[21:22], v[35:36]
	v_fma_f64 v[35:36], v[3:4], v[45:46], v[127:128]
	v_add_f64 v[13:14], v[13:14], v[23:24]
	s_clause 0x4
	buffer_load_dword v24, off, s[0:3], 0 offset:572
	buffer_load_dword v45, off, s[0:3], 0 offset:584
	;; [unrolled: 1-line block ×5, first 2 shown]
	s_waitcnt vmcnt(57) lgkmcnt(0)
	v_mul_f64 v[127:128], v[5:6], v[47:48]
	v_mul_f64 v[47:48], v[7:8], v[47:48]
	s_waitcnt vmcnt(56)
	v_fma_f64 v[43:44], v[9:10], v[31:32], -v[43:44]
	ds_read_b128 v[1:4], v70 offset:1328
	v_fma_f64 v[29:30], v[11:12], v[31:32], v[29:30]
	s_clause 0x2
	buffer_load_dword v46, off, s[0:3], 0 offset:588
	buffer_load_dword v32, off, s[0:3], 0 offset:564
	;; [unrolled: 1-line block ×3, first 2 shown]
	ds_read_b128 v[9:12], v70 offset:1344
	v_add_f64 v[21:22], v[21:22], v[39:40]
	v_add_f64 v[13:14], v[13:14], v[35:36]
	s_waitcnt vmcnt(58) lgkmcnt(1)
	v_mul_f64 v[39:40], v[3:4], v[51:52]
	s_waitcnt vmcnt(56)
	v_fma_f64 v[47:48], v[5:6], v[53:54], -v[47:48]
	v_mul_f64 v[35:36], v[1:2], v[51:52]
	v_add_f64 v[21:22], v[21:22], v[43:44]
	v_fma_f64 v[43:44], v[7:8], v[53:54], v[127:128]
	v_add_f64 v[13:14], v[13:14], v[29:30]
	s_clause 0x4
	buffer_load_dword v30, off, s[0:3], 0 offset:604
	buffer_load_dword v51, off, s[0:3], 0 offset:616
	buffer_load_dword v53, off, s[0:3], 0 offset:608
	buffer_load_dword v29, off, s[0:3], 0 offset:600
	buffer_load_dword v72, off, s[0:3], 0 offset:580
	s_waitcnt vmcnt(57) lgkmcnt(0)
	v_mul_f64 v[127:128], v[9:10], v[55:56]
	v_mul_f64 v[54:55], v[11:12], v[55:56]
	s_waitcnt vmcnt(56)
	v_fma_f64 v[39:40], v[1:2], v[41:42], -v[39:40]
	ds_read_b128 v[5:8], v70 offset:1360
	v_fma_f64 v[35:36], v[3:4], v[41:42], v[35:36]
	s_clause 0x2
	buffer_load_dword v52, off, s[0:3], 0 offset:620
	buffer_load_dword v42, off, s[0:3], 0 offset:596
	;; [unrolled: 1-line block ×3, first 2 shown]
	ds_read_b128 v[1:4], v70 offset:1376
	v_add_f64 v[21:22], v[21:22], v[47:48]
	v_add_f64 v[13:14], v[13:14], v[43:44]
	s_waitcnt vmcnt(58) lgkmcnt(1)
	v_mul_f64 v[47:48], v[7:8], v[59:60]
	s_waitcnt vmcnt(56)
	v_fma_f64 v[55:56], v[9:10], v[61:62], -v[54:55]
	v_mul_f64 v[43:44], v[5:6], v[59:60]
	v_add_f64 v[21:22], v[21:22], v[39:40]
	v_fma_f64 v[39:40], v[11:12], v[61:62], v[127:128]
	v_add_f64 v[13:14], v[13:14], v[35:36]
	s_clause 0x4
	buffer_load_dword v36, off, s[0:3], 0 offset:636
	buffer_load_dword v59, off, s[0:3], 0 offset:648
	;; [unrolled: 1-line block ×5, first 2 shown]
	s_waitcnt vmcnt(57) lgkmcnt(0)
	v_mul_f64 v[127:128], v[1:2], v[63:64]
	v_mul_f64 v[62:63], v[3:4], v[63:64]
	s_waitcnt vmcnt(56)
	v_fma_f64 v[47:48], v[5:6], v[49:50], -v[47:48]
	ds_read_b128 v[9:12], v70 offset:1392
	v_fma_f64 v[43:44], v[7:8], v[49:50], v[43:44]
	v_add_f64 v[21:22], v[21:22], v[55:56]
	v_add_f64 v[13:14], v[13:14], v[39:40]
	s_clause 0x2
	buffer_load_dword v60, off, s[0:3], 0 offset:652
	buffer_load_dword v40, off, s[0:3], 0 offset:628
	;; [unrolled: 1-line block ×3, first 2 shown]
	ds_read_b128 v[5:8], v70 offset:1408
	s_waitcnt vmcnt(58) lgkmcnt(1)
	v_mul_f64 v[55:56], v[11:12], v[65:66]
	s_waitcnt vmcnt(56)
	v_fma_f64 v[63:64], v[1:2], v[67:68], -v[62:63]
	v_mul_f64 v[49:50], v[9:10], v[65:66]
	v_add_f64 v[21:22], v[21:22], v[47:48]
	v_fma_f64 v[47:48], v[3:4], v[67:68], v[127:128]
	v_add_f64 v[13:14], v[13:14], v[43:44]
	s_clause 0x4
	buffer_load_dword v44, off, s[0:3], 0 offset:668
	buffer_load_dword v65, off, s[0:3], 0 offset:680
	;; [unrolled: 1-line block ×5, first 2 shown]
	s_waitcnt vmcnt(57) lgkmcnt(0)
	v_mul_f64 v[127:128], v[5:6], v[77:78]
	v_mul_f64 v[77:78], v[7:8], v[77:78]
	s_waitcnt vmcnt(56)
	v_fma_f64 v[55:56], v[9:10], v[57:58], -v[55:56]
	ds_read_b128 v[1:4], v70 offset:1424
	v_fma_f64 v[49:50], v[11:12], v[57:58], v[49:50]
	v_add_f64 v[21:22], v[21:22], v[63:64]
	v_add_f64 v[13:14], v[13:14], v[47:48]
	s_clause 0x2
	buffer_load_dword v66, off, s[0:3], 0 offset:684
	buffer_load_dword v48, off, s[0:3], 0 offset:660
	;; [unrolled: 1-line block ×3, first 2 shown]
	ds_read_b128 v[9:12], v70 offset:1440
	s_waitcnt vmcnt(58) lgkmcnt(1)
	v_mul_f64 v[63:64], v[3:4], v[84:85]
	v_mul_f64 v[57:58], v[1:2], v[84:85]
	s_waitcnt vmcnt(56)
	v_fma_f64 v[77:78], v[5:6], v[17:18], -v[77:78]
	v_fma_f64 v[17:18], v[7:8], v[17:18], v[127:128]
	v_add_f64 v[21:22], v[21:22], v[55:56]
	v_add_f64 v[13:14], v[13:14], v[49:50]
	s_clause 0x4
	buffer_load_dword v50, off, s[0:3], 0 offset:700
	buffer_load_dword v55, off, s[0:3], 0 offset:712
	;; [unrolled: 1-line block ×5, first 2 shown]
	ds_read_b128 v[5:8], v70 offset:1456
	s_waitcnt vmcnt(57) lgkmcnt(1)
	v_mul_f64 v[127:128], v[9:10], v[15:16]
	v_mul_f64 v[15:16], v[11:12], v[15:16]
	s_waitcnt vmcnt(56)
	v_fma_f64 v[63:64], v[1:2], v[86:87], -v[63:64]
	v_fma_f64 v[57:58], v[3:4], v[86:87], v[57:58]
	v_add_f64 v[21:22], v[21:22], v[77:78]
	v_add_f64 v[13:14], v[13:14], v[17:18]
	s_clause 0x2
	buffer_load_dword v56, off, s[0:3], 0 offset:716
	buffer_load_dword v18, off, s[0:3], 0 offset:692
	;; [unrolled: 1-line block ×3, first 2 shown]
	s_waitcnt vmcnt(58) lgkmcnt(0)
	v_mul_f64 v[86:87], v[7:8], v[123:124]
	ds_read_b128 v[1:4], v70 offset:1472
	v_mul_f64 v[77:78], v[5:6], v[123:124]
	s_waitcnt vmcnt(56)
	v_fma_f64 v[15:16], v[9:10], v[73:74], -v[15:16]
	v_add_f64 v[21:22], v[21:22], v[63:64]
	v_fma_f64 v[63:64], v[11:12], v[73:74], v[127:128]
	v_add_f64 v[13:14], v[13:14], v[57:58]
	s_clause 0x4
	buffer_load_dword v58, off, s[0:3], 0 offset:732
	buffer_load_dword v73, off, s[0:3], 0 offset:744
	;; [unrolled: 1-line block ×5, first 2 shown]
	ds_read_b128 v[9:12], v70 offset:1488
	s_waitcnt vmcnt(57) lgkmcnt(1)
	v_mul_f64 v[127:128], v[1:2], v[33:34]
	v_mul_f64 v[33:34], v[3:4], v[33:34]
	s_waitcnt vmcnt(56)
	v_fma_f64 v[86:87], v[5:6], v[125:126], -v[86:87]
	v_add_f64 v[15:16], v[21:22], v[15:16]
	v_fma_f64 v[21:22], v[7:8], v[125:126], v[77:78]
	v_add_f64 v[13:14], v[13:14], v[63:64]
	s_clause 0x2
	buffer_load_dword v74, off, s[0:3], 0 offset:748
	buffer_load_dword v64, off, s[0:3], 0 offset:724
	;; [unrolled: 1-line block ×3, first 2 shown]
	ds_read_b128 v[5:8], v70 offset:1504
	s_waitcnt vmcnt(58) lgkmcnt(1)
	v_mul_f64 v[77:78], v[9:10], v[75:76]
	v_mul_f64 v[75:76], v[11:12], v[75:76]
	s_waitcnt vmcnt(56)
	v_fma_f64 v[33:34], v[1:2], v[27:28], -v[33:34]
	v_fma_f64 v[27:28], v[3:4], v[27:28], v[127:128]
	v_add_f64 v[15:16], v[15:16], v[86:87]
	v_add_f64 v[13:14], v[13:14], v[21:22]
	s_clause 0x4
	buffer_load_dword v22, off, s[0:3], 0 offset:764
	buffer_load_dword v86, off, s[0:3], 0 offset:776
	;; [unrolled: 1-line block ×5, first 2 shown]
	ds_read_b128 v[1:4], v70 offset:1520
	s_waitcnt vmcnt(57) lgkmcnt(1)
	v_mul_f64 v[126:127], v[5:6], v[19:20]
	v_mul_f64 v[19:20], v[7:8], v[19:20]
	s_waitcnt vmcnt(56)
	v_fma_f64 v[75:76], v[9:10], v[95:96], -v[75:76]
	v_add_f64 v[15:16], v[15:16], v[33:34]
	v_fma_f64 v[33:34], v[11:12], v[95:96], v[77:78]
	v_add_f64 v[13:14], v[13:14], v[27:28]
	s_clause 0x2
	buffer_load_dword v87, off, s[0:3], 0 offset:780
	buffer_load_dword v28, off, s[0:3], 0 offset:756
	;; [unrolled: 1-line block ×3, first 2 shown]
	ds_read_b128 v[9:12], v70 offset:1536
	s_waitcnt vmcnt(58) lgkmcnt(1)
	v_mul_f64 v[77:78], v[1:2], v[37:38]
	v_mul_f64 v[37:38], v[3:4], v[37:38]
	s_waitcnt vmcnt(56)
	v_fma_f64 v[19:20], v[5:6], v[25:26], -v[19:20]
	v_fma_f64 v[25:26], v[7:8], v[25:26], v[126:127]
	v_add_f64 v[15:16], v[15:16], v[75:76]
	v_add_f64 v[13:14], v[13:14], v[33:34]
	s_clause 0x4
	buffer_load_dword v34, off, s[0:3], 0 offset:796
	buffer_load_dword v75, off, s[0:3], 0 offset:808
	;; [unrolled: 1-line block ×5, first 2 shown]
	ds_read_b128 v[5:8], v70 offset:1552
	s_waitcnt vmcnt(57) lgkmcnt(1)
	v_mul_f64 v[127:128], v[9:10], v[23:24]
	v_mul_f64 v[23:24], v[11:12], v[23:24]
	s_waitcnt vmcnt(56)
	v_fma_f64 v[37:38], v[1:2], v[93:94], -v[37:38]
	v_add_f64 v[15:16], v[15:16], v[19:20]
	v_fma_f64 v[19:20], v[3:4], v[93:94], v[77:78]
	v_add_f64 v[13:14], v[13:14], v[25:26]
	s_clause 0x2
	buffer_load_dword v76, off, s[0:3], 0 offset:812
	buffer_load_dword v26, off, s[0:3], 0 offset:788
	buffer_load_dword v25, off, s[0:3], 0 offset:784
	s_waitcnt vmcnt(58) lgkmcnt(0)
	v_mul_f64 v[77:78], v[5:6], v[45:46]
	v_mul_f64 v[45:46], v[7:8], v[45:46]
	ds_read_b128 v[1:4], v70 offset:1568
	s_waitcnt vmcnt(56)
	v_fma_f64 v[23:24], v[9:10], v[31:32], -v[23:24]
	v_fma_f64 v[31:32], v[11:12], v[31:32], v[127:128]
	v_add_f64 v[15:16], v[15:16], v[37:38]
	v_add_f64 v[13:14], v[13:14], v[19:20]
	s_clause 0x4
	buffer_load_dword v20, off, s[0:3], 0 offset:828
	buffer_load_dword v37, off, s[0:3], 0 offset:840
	;; [unrolled: 1-line block ×5, first 2 shown]
	ds_read_b128 v[9:12], v70 offset:1584
	s_waitcnt vmcnt(57) lgkmcnt(1)
	v_mul_f64 v[127:128], v[1:2], v[29:30]
	v_mul_f64 v[29:30], v[3:4], v[29:30]
	s_waitcnt vmcnt(56)
	v_fma_f64 v[45:46], v[5:6], v[71:72], -v[45:46]
	v_add_f64 v[15:16], v[15:16], v[23:24]
	v_fma_f64 v[23:24], v[7:8], v[71:72], v[77:78]
	v_add_f64 v[13:14], v[13:14], v[31:32]
	s_clause 0x2
	buffer_load_dword v38, off, s[0:3], 0 offset:844
	buffer_load_dword v32, off, s[0:3], 0 offset:820
	;; [unrolled: 1-line block ×3, first 2 shown]
	s_waitcnt vmcnt(58) lgkmcnt(0)
	v_mul_f64 v[71:72], v[9:10], v[51:52]
	v_mul_f64 v[51:52], v[11:12], v[51:52]
	ds_read_b128 v[5:8], v70 offset:1600
	s_waitcnt vmcnt(56)
	v_fma_f64 v[29:30], v[1:2], v[41:42], -v[29:30]
	v_fma_f64 v[41:42], v[3:4], v[41:42], v[127:128]
	v_add_f64 v[15:16], v[15:16], v[45:46]
	v_add_f64 v[13:14], v[13:14], v[23:24]
	s_clause 0x4
	buffer_load_dword v24, off, s[0:3], 0 offset:860
	buffer_load_dword v45, off, s[0:3], 0 offset:872
	buffer_load_dword v77, off, s[0:3], 0 offset:864
	buffer_load_dword v23, off, s[0:3], 0 offset:856
	buffer_load_dword v94, off, s[0:3], 0 offset:836
	ds_read_b128 v[1:4], v70 offset:1616
	s_waitcnt vmcnt(57) lgkmcnt(1)
	v_mul_f64 v[78:79], v[5:6], v[35:36]
	v_mul_f64 v[35:36], v[7:8], v[35:36]
	s_waitcnt vmcnt(56)
	v_fma_f64 v[51:52], v[9:10], v[53:54], -v[51:52]
	v_add_f64 v[15:16], v[15:16], v[29:30]
	v_fma_f64 v[29:30], v[11:12], v[53:54], v[71:72]
	v_add_f64 v[13:14], v[13:14], v[41:42]
	s_clause 0x2
	buffer_load_dword v46, off, s[0:3], 0 offset:876
	buffer_load_dword v42, off, s[0:3], 0 offset:852
	buffer_load_dword v41, off, s[0:3], 0 offset:848
	ds_read_b128 v[9:12], v70 offset:1632
	s_waitcnt vmcnt(58) lgkmcnt(1)
	v_mul_f64 v[53:54], v[1:2], v[59:60]
	v_mul_f64 v[59:60], v[3:4], v[59:60]
	s_waitcnt vmcnt(56)
	v_fma_f64 v[35:36], v[5:6], v[39:40], -v[35:36]
	v_fma_f64 v[39:40], v[7:8], v[39:40], v[78:79]
	v_add_f64 v[15:16], v[15:16], v[51:52]
	v_add_f64 v[13:14], v[13:14], v[29:30]
	s_clause 0x4
	buffer_load_dword v30, off, s[0:3], 0 offset:892
	buffer_load_dword v51, off, s[0:3], 0 offset:904
	buffer_load_dword v71, off, s[0:3], 0 offset:896
	buffer_load_dword v29, off, s[0:3], 0 offset:888
	buffer_load_dword v78, off, s[0:3], 0 offset:868
	ds_read_b128 v[5:8], v70 offset:1648
	s_waitcnt vmcnt(57) lgkmcnt(1)
	v_mul_f64 v[127:128], v[9:10], v[43:44]
	v_mul_f64 v[43:44], v[11:12], v[43:44]
	s_waitcnt vmcnt(56)
	v_fma_f64 v[59:60], v[1:2], v[61:62], -v[59:60]
	v_add_f64 v[15:16], v[15:16], v[35:36]
	v_fma_f64 v[35:36], v[3:4], v[61:62], v[53:54]
	v_add_f64 v[13:14], v[13:14], v[39:40]
	s_clause 0x2
	buffer_load_dword v52, off, s[0:3], 0 offset:908
	buffer_load_dword v40, off, s[0:3], 0 offset:884
	buffer_load_dword v39, off, s[0:3], 0 offset:880
	ds_read_b128 v[1:4], v70 offset:1664
	s_waitcnt vmcnt(58) lgkmcnt(1)
	v_mul_f64 v[61:62], v[7:8], v[65:66]
	v_mul_f64 v[53:54], v[5:6], v[65:66]
	s_waitcnt vmcnt(56)
	v_fma_f64 v[43:44], v[9:10], v[47:48], -v[43:44]
	v_fma_f64 v[47:48], v[11:12], v[47:48], v[127:128]
	v_add_f64 v[15:16], v[15:16], v[59:60]
	v_add_f64 v[13:14], v[13:14], v[35:36]
	s_clause 0x4
	buffer_load_dword v36, off, s[0:3], 0 offset:924
	buffer_load_dword v59, off, s[0:3], 0 offset:936
	buffer_load_dword v65, off, s[0:3], 0 offset:928
	buffer_load_dword v35, off, s[0:3], 0 offset:920
	buffer_load_dword v72, off, s[0:3], 0 offset:900
	ds_read_b128 v[9:12], v70 offset:1680
	s_waitcnt vmcnt(57) lgkmcnt(1)
	v_mul_f64 v[127:128], v[1:2], v[49:50]
	v_mul_f64 v[49:50], v[3:4], v[49:50]
	s_waitcnt vmcnt(56)
	v_fma_f64 v[61:62], v[5:6], v[67:68], -v[61:62]
	v_add_f64 v[15:16], v[15:16], v[43:44]
	v_fma_f64 v[43:44], v[7:8], v[67:68], v[53:54]
	v_add_f64 v[13:14], v[13:14], v[47:48]
	s_clause 0x2
	buffer_load_dword v60, off, s[0:3], 0 offset:940
	buffer_load_dword v48, off, s[0:3], 0 offset:916
	buffer_load_dword v47, off, s[0:3], 0 offset:912
	ds_read_b128 v[5:8], v70 offset:1696
	s_waitcnt vmcnt(58) lgkmcnt(1)
	v_mul_f64 v[53:54], v[9:10], v[55:56]
	v_mul_f64 v[55:56], v[11:12], v[55:56]
	s_waitcnt vmcnt(56)
	v_fma_f64 v[49:50], v[1:2], v[17:18], -v[49:50]
	v_fma_f64 v[17:18], v[3:4], v[17:18], v[127:128]
	v_add_f64 v[15:16], v[15:16], v[61:62]
	v_add_f64 v[13:14], v[13:14], v[43:44]
	s_clause 0x4
	buffer_load_dword v44, off, s[0:3], 0 offset:956
	buffer_load_dword v61, off, s[0:3], 0 offset:968
	buffer_load_dword v67, off, s[0:3], 0 offset:960
	buffer_load_dword v43, off, s[0:3], 0 offset:952
	buffer_load_dword v66, off, s[0:3], 0 offset:932
	ds_read_b128 v[1:4], v70 offset:1712
	s_waitcnt vmcnt(57) lgkmcnt(1)
	v_mul_f64 v[127:128], v[5:6], v[57:58]
	v_mul_f64 v[57:58], v[7:8], v[57:58]
	s_waitcnt vmcnt(56)
	v_fma_f64 v[55:56], v[9:10], v[84:85], -v[55:56]
	v_add_f64 v[15:16], v[15:16], v[49:50]
	v_fma_f64 v[49:50], v[11:12], v[84:85], v[53:54]
	v_add_f64 v[13:14], v[13:14], v[17:18]
	s_clause 0x2
	buffer_load_dword v62, off, s[0:3], 0 offset:972
	buffer_load_dword v18, off, s[0:3], 0 offset:948
	buffer_load_dword v17, off, s[0:3], 0 offset:944
	ds_read_b128 v[9:12], v70 offset:1728
	s_waitcnt vmcnt(58) lgkmcnt(1)
	v_mul_f64 v[53:54], v[1:2], v[73:74]
	v_mul_f64 v[73:74], v[3:4], v[73:74]
	s_waitcnt vmcnt(56)
	v_fma_f64 v[57:58], v[5:6], v[63:64], -v[57:58]
	v_add_f64 v[15:16], v[15:16], v[55:56]
	v_fma_f64 v[55:56], v[7:8], v[63:64], v[127:128]
	v_add_f64 v[13:14], v[13:14], v[49:50]
	s_clause 0x4
	buffer_load_dword v50, off, s[0:3], 0 offset:988
	buffer_load_dword v63, off, s[0:3], 0 offset:1000
	;; [unrolled: 1-line block ×5, first 2 shown]
	ds_read_b128 v[5:8], v70 offset:1744
	s_waitcnt vmcnt(57) lgkmcnt(1)
	v_mul_f64 v[127:128], v[9:10], v[21:22]
	v_mul_f64 v[21:22], v[11:12], v[21:22]
	s_waitcnt vmcnt(56)
	v_fma_f64 v[73:74], v[1:2], v[123:124], -v[73:74]
	v_fma_f64 v[53:54], v[3:4], v[123:124], v[53:54]
	v_add_f64 v[15:16], v[15:16], v[57:58]
	v_add_f64 v[13:14], v[13:14], v[55:56]
	s_clause 0x2
	buffer_load_dword v64, off, s[0:3], 0 offset:1004
	buffer_load_dword v56, off, s[0:3], 0 offset:980
	;; [unrolled: 1-line block ×3, first 2 shown]
	ds_read_b128 v[1:4], v70 offset:1760
	buffer_load_dword v85, off, s[0:3], 0 offset:996
	s_waitcnt vmcnt(59) lgkmcnt(1)
	v_mul_f64 v[57:58], v[5:6], v[86:87]
	v_mul_f64 v[86:87], v[7:8], v[86:87]
	s_waitcnt vmcnt(57)
	v_fma_f64 v[21:22], v[9:10], v[27:28], -v[21:22]
	v_fma_f64 v[27:28], v[11:12], v[27:28], v[127:128]
	ds_read_b128 v[9:12], v70 offset:1776
	v_add_f64 v[15:16], v[15:16], v[73:74]
	v_add_f64 v[13:14], v[13:14], v[53:54]
	s_waitcnt vmcnt(53) lgkmcnt(1)
	v_mul_f64 v[53:54], v[1:2], v[33:34]
	v_mul_f64 v[33:34], v[3:4], v[33:34]
	s_waitcnt vmcnt(52)
	v_fma_f64 v[73:74], v[5:6], v[125:126], -v[86:87]
	v_add_f64 v[15:16], v[15:16], v[21:22]
	v_fma_f64 v[21:22], v[7:8], v[125:126], v[57:58]
	v_add_f64 v[13:14], v[13:14], v[27:28]
	ds_read_b128 v[5:8], v70 offset:1792
	s_waitcnt vmcnt(51) lgkmcnt(1)
	v_mul_f64 v[57:58], v[11:12], v[75:76]
	v_mul_f64 v[27:28], v[9:10], v[75:76]
	s_waitcnt vmcnt(49)
	v_fma_f64 v[33:34], v[1:2], v[25:26], -v[33:34]
	v_fma_f64 v[25:26], v[3:4], v[25:26], v[53:54]
	v_add_f64 v[15:16], v[15:16], v[73:74]
	v_add_f64 v[13:14], v[13:14], v[21:22]
	s_clause 0x3
	buffer_load_dword v21, off, s[0:3], 0 offset:176
	buffer_load_dword v22, off, s[0:3], 0 offset:180
	buffer_load_dword v53, off, s[0:3], 0 offset:184
	buffer_load_dword v54, off, s[0:3], 0 offset:188
	ds_read_b128 v[1:4], v70 offset:1808
	s_waitcnt vmcnt(49) lgkmcnt(1)
	v_mul_f64 v[73:74], v[5:6], v[19:20]
	v_mul_f64 v[19:20], v[7:8], v[19:20]
	s_waitcnt vmcnt(48)
	v_fma_f64 v[57:58], v[9:10], v[95:96], -v[57:58]
	v_fma_f64 v[27:28], v[11:12], v[95:96], v[27:28]
	ds_read_b128 v[9:12], v70 offset:1824
	v_add_f64 v[15:16], v[15:16], v[33:34]
	v_add_f64 v[13:14], v[13:14], v[25:26]
	s_waitcnt vmcnt(47) lgkmcnt(1)
	v_mul_f64 v[33:34], v[3:4], v[37:38]
	v_mul_f64 v[25:26], v[1:2], v[37:38]
	s_waitcnt vmcnt(45)
	v_fma_f64 v[19:20], v[5:6], v[31:32], -v[19:20]
	v_fma_f64 v[31:32], v[7:8], v[31:32], v[73:74]
	ds_read_b128 v[5:8], v70 offset:1840
	v_add_f64 v[15:16], v[15:16], v[57:58]
	v_add_f64 v[13:14], v[13:14], v[27:28]
	s_waitcnt vmcnt(41) lgkmcnt(1)
	v_mul_f64 v[27:28], v[9:10], v[23:24]
	v_mul_f64 v[23:24], v[11:12], v[23:24]
	s_waitcnt vmcnt(40)
	v_fma_f64 v[33:34], v[1:2], v[93:94], -v[33:34]
	v_add_f64 v[15:16], v[15:16], v[19:20]
	v_fma_f64 v[19:20], v[3:4], v[93:94], v[25:26]
	v_add_f64 v[13:14], v[13:14], v[31:32]
	ds_read_b128 v[1:4], v70 offset:1856
	s_waitcnt vmcnt(39) lgkmcnt(1)
	v_mul_f64 v[31:32], v[7:8], v[45:46]
	v_mul_f64 v[25:26], v[5:6], v[45:46]
	s_waitcnt vmcnt(37)
	v_fma_f64 v[23:24], v[9:10], v[41:42], -v[23:24]
	v_fma_f64 v[27:28], v[11:12], v[41:42], v[27:28]
	ds_read_b128 v[9:12], v70 offset:1872
	v_add_f64 v[15:16], v[15:16], v[33:34]
	v_add_f64 v[13:14], v[13:14], v[19:20]
	s_waitcnt vmcnt(33) lgkmcnt(1)
	v_mul_f64 v[19:20], v[1:2], v[29:30]
	v_mul_f64 v[29:30], v[3:4], v[29:30]
	s_waitcnt vmcnt(32)
	v_fma_f64 v[31:32], v[5:6], v[77:78], -v[31:32]
	v_add_f64 v[15:16], v[15:16], v[23:24]
	v_fma_f64 v[23:24], v[7:8], v[77:78], v[25:26]
	v_add_f64 v[13:14], v[13:14], v[27:28]
	ds_read_b128 v[5:8], v70 offset:1888
	s_waitcnt vmcnt(31) lgkmcnt(1)
	v_mul_f64 v[27:28], v[11:12], v[51:52]
	v_mul_f64 v[25:26], v[9:10], v[51:52]
	s_waitcnt vmcnt(29)
	v_fma_f64 v[29:30], v[1:2], v[39:40], -v[29:30]
	v_fma_f64 v[19:20], v[3:4], v[39:40], v[19:20]
	ds_read_b128 v[1:4], v70 offset:1904
	v_add_f64 v[15:16], v[15:16], v[31:32]
	v_add_f64 v[13:14], v[13:14], v[23:24]
	s_waitcnt vmcnt(25) lgkmcnt(1)
	v_mul_f64 v[31:32], v[7:8], v[35:36]
	s_waitcnt vmcnt(24)
	v_fma_f64 v[27:28], v[9:10], v[71:72], -v[27:28]
	v_mul_f64 v[23:24], v[5:6], v[35:36]
	v_fma_f64 v[25:26], v[11:12], v[71:72], v[25:26]
	ds_read_b128 v[9:12], v70 offset:1920
	v_add_f64 v[15:16], v[15:16], v[29:30]
	v_add_f64 v[13:14], v[13:14], v[19:20]
	s_waitcnt vmcnt(23) lgkmcnt(1)
	v_mul_f64 v[29:30], v[3:4], v[59:60]
	v_mul_f64 v[19:20], v[1:2], v[59:60]
	s_waitcnt vmcnt(21)
	v_fma_f64 v[31:32], v[5:6], v[47:48], -v[31:32]
	v_fma_f64 v[23:24], v[7:8], v[47:48], v[23:24]
	ds_read_b128 v[5:8], v70 offset:1936
	v_add_f64 v[15:16], v[15:16], v[27:28]
	v_add_f64 v[13:14], v[13:14], v[25:26]
	s_waitcnt vmcnt(17) lgkmcnt(1)
	v_mul_f64 v[27:28], v[11:12], v[43:44]
	s_waitcnt vmcnt(16)
	v_fma_f64 v[29:30], v[1:2], v[65:66], -v[29:30]
	v_mul_f64 v[25:26], v[9:10], v[43:44]
	v_fma_f64 v[19:20], v[3:4], v[65:66], v[19:20]
	ds_read_b128 v[1:4], v70 offset:1952
	v_add_f64 v[15:16], v[15:16], v[31:32]
	v_add_f64 v[13:14], v[13:14], v[23:24]
	s_waitcnt vmcnt(15) lgkmcnt(1)
	v_mul_f64 v[31:32], v[7:8], v[61:62]
	v_mul_f64 v[23:24], v[5:6], v[61:62]
	s_waitcnt vmcnt(13)
	v_fma_f64 v[27:28], v[9:10], v[17:18], -v[27:28]
	v_fma_f64 v[17:18], v[11:12], v[17:18], v[25:26]
	ds_read_b128 v[9:12], v70 offset:1968
	v_add_f64 v[15:16], v[15:16], v[29:30]
	v_add_f64 v[13:14], v[13:14], v[19:20]
	s_waitcnt vmcnt(9) lgkmcnt(1)
	v_mul_f64 v[25:26], v[3:4], v[49:50]
	s_waitcnt vmcnt(8)
	v_fma_f64 v[5:6], v[5:6], v[67:68], -v[31:32]
	v_mul_f64 v[19:20], v[1:2], v[49:50]
	v_fma_f64 v[7:8], v[7:8], v[67:68], v[23:24]
	v_add_f64 v[15:16], v[15:16], v[27:28]
	v_add_f64 v[13:14], v[13:14], v[17:18]
	s_waitcnt vmcnt(7) lgkmcnt(0)
	v_mul_f64 v[23:24], v[11:12], v[63:64]
	v_mul_f64 v[17:18], v[9:10], v[63:64]
	s_waitcnt vmcnt(5)
	v_fma_f64 v[1:2], v[1:2], v[55:56], -v[25:26]
	v_fma_f64 v[3:4], v[3:4], v[55:56], v[19:20]
	v_add_f64 v[5:6], v[15:16], v[5:6]
	v_add_f64 v[7:8], v[13:14], v[7:8]
	s_waitcnt vmcnt(4)
	v_fma_f64 v[9:10], v[9:10], v[84:85], -v[23:24]
	v_add_f64 v[1:2], v[5:6], v[1:2]
	v_fma_f64 v[5:6], v[11:12], v[84:85], v[17:18]
	v_add_f64 v[3:4], v[7:8], v[3:4]
	v_add_f64 v[1:2], v[1:2], v[9:10]
	;; [unrolled: 1-line block ×3, first 2 shown]
	s_waitcnt vmcnt(2)
	v_add_f64 v[1:2], v[21:22], -v[1:2]
	s_waitcnt vmcnt(0)
	v_add_f64 v[3:4], v[53:54], -v[3:4]
	buffer_store_dword v2, off, s[0:3], 0 offset:180
	buffer_store_dword v1, off, s[0:3], 0 offset:176
	;; [unrolled: 1-line block ×4, first 2 shown]
	v_cmpx_lt_u32_e32 9, v0
	s_cbranch_execz .LBB61_379
; %bb.378:
	v_mov_b32_e32 v4, s73
	s_clause 0x3
	buffer_load_dword v1, v4, s[0:3], 0 offen
	buffer_load_dword v2, v4, s[0:3], 0 offen offset:4
	buffer_load_dword v3, v4, s[0:3], 0 offen offset:8
	;; [unrolled: 1-line block ×3, first 2 shown]
	buffer_store_dword v70, off, s[0:3], 0 offset:160
	buffer_store_dword v70, off, s[0:3], 0 offset:164
	;; [unrolled: 1-line block ×4, first 2 shown]
	s_waitcnt vmcnt(0)
	ds_write_b128 v69, v[1:4]
.LBB61_379:
	s_or_b32 exec_lo, exec_lo, s4
	s_waitcnt lgkmcnt(0)
	s_waitcnt_vscnt null, 0x0
	s_barrier
	buffer_gl0_inv
	s_clause 0x37
	buffer_load_dword v17, off, s[0:3], 0 offset:184
	buffer_load_dword v18, off, s[0:3], 0 offset:188
	;; [unrolled: 1-line block ×56, first 2 shown]
	ds_read_b128 v[5:8], v70 offset:1152
	s_clause 0x2
	buffer_load_dword v66, off, s[0:3], 0 offset:412
	buffer_load_dword v68, off, s[0:3], 0 offset:388
	;; [unrolled: 1-line block ×3, first 2 shown]
	ds_read_b128 v[1:4], v70 offset:1168
	s_clause 0x4
	buffer_load_dword v78, off, s[0:3], 0 offset:428
	buffer_load_dword v84, off, s[0:3], 0 offset:440
	;; [unrolled: 1-line block ×5, first 2 shown]
	ds_read_b128 v[71:74], v70 offset:1184
	s_mov_b32 s4, exec_lo
	s_waitcnt vmcnt(62) lgkmcnt(2)
	v_mul_f64 v[75:76], v[7:8], v[17:18]
	v_mul_f64 v[17:18], v[5:6], v[17:18]
	s_waitcnt vmcnt(60) lgkmcnt(1)
	v_mul_f64 v[87:88], v[3:4], v[13:14]
	v_mul_f64 v[13:14], v[1:2], v[13:14]
	;; [unrolled: 3-line block ×3, first 2 shown]
	v_fma_f64 v[75:76], v[5:6], v[15:16], -v[75:76]
	v_fma_f64 v[15:16], v[7:8], v[15:16], v[17:18]
	s_clause 0x2
	buffer_load_dword v85, off, s[0:3], 0 offset:444
	buffer_load_dword v18, off, s[0:3], 0 offset:420
	;; [unrolled: 1-line block ×3, first 2 shown]
	s_waitcnt vmcnt(57)
	v_fma_f64 v[95:96], v[1:2], v[9:10], -v[87:88]
	ds_read_b128 v[5:8], v70 offset:1200
	v_fma_f64 v[9:10], v[3:4], v[9:10], v[13:14]
	s_waitcnt vmcnt(51)
	v_fma_f64 v[71:72], v[71:72], v[33:34], -v[11:12]
	v_fma_f64 v[33:34], v[73:74], v[33:34], v[93:94]
	v_add_f64 v[75:76], v[75:76], 0
	v_add_f64 v[13:14], v[15:16], 0
	s_clause 0x4
	buffer_load_dword v16, off, s[0:3], 0 offset:460
	buffer_load_dword v123, off, s[0:3], 0 offset:472
	;; [unrolled: 1-line block ×5, first 2 shown]
	s_waitcnt lgkmcnt(0)
	v_mul_f64 v[126:127], v[5:6], v[21:22]
	v_mul_f64 v[21:22], v[7:8], v[21:22]
	ds_read_b128 v[1:4], v70 offset:1216
	s_clause 0x2
	buffer_load_dword v124, off, s[0:3], 0 offset:476
	buffer_load_dword v74, off, s[0:3], 0 offset:452
	;; [unrolled: 1-line block ×3, first 2 shown]
	v_add_f64 v[75:76], v[75:76], v[95:96]
	v_add_f64 v[13:14], v[13:14], v[9:10]
	ds_read_b128 v[9:12], v70 offset:1232
	s_waitcnt vmcnt(58) lgkmcnt(1)
	v_mul_f64 v[93:94], v[1:2], v[25:26]
	v_mul_f64 v[25:26], v[3:4], v[25:26]
	s_waitcnt vmcnt(56)
	v_fma_f64 v[21:22], v[5:6], v[27:28], -v[21:22]
	v_fma_f64 v[27:28], v[7:8], v[27:28], v[126:127]
	s_waitcnt vmcnt(52) lgkmcnt(0)
	v_mul_f64 v[127:128], v[9:10], v[29:30]
	v_add_f64 v[71:72], v[75:76], v[71:72]
	v_add_f64 v[13:14], v[13:14], v[33:34]
	s_clause 0x4
	buffer_load_dword v34, off, s[0:3], 0 offset:492
	buffer_load_dword v75, off, s[0:3], 0 offset:504
	;; [unrolled: 1-line block ×5, first 2 shown]
	v_mul_f64 v[29:30], v[11:12], v[29:30]
	s_waitcnt vmcnt(56)
	v_fma_f64 v[25:26], v[1:2], v[19:20], -v[25:26]
	ds_read_b128 v[5:8], v70 offset:1248
	v_fma_f64 v[19:20], v[3:4], v[19:20], v[93:94]
	v_add_f64 v[21:22], v[71:72], v[21:22]
	v_add_f64 v[13:14], v[13:14], v[27:28]
	s_clause 0x2
	buffer_load_dword v76, off, s[0:3], 0 offset:508
	buffer_load_dword v28, off, s[0:3], 0 offset:484
	;; [unrolled: 1-line block ×3, first 2 shown]
	s_waitcnt vmcnt(58) lgkmcnt(0)
	v_mul_f64 v[71:72], v[5:6], v[35:36]
	v_mul_f64 v[35:36], v[7:8], v[35:36]
	s_waitcnt vmcnt(56)
	v_fma_f64 v[29:30], v[9:10], v[37:38], -v[29:30]
	ds_read_b128 v[1:4], v70 offset:1264
	v_add_f64 v[21:22], v[21:22], v[25:26]
	v_fma_f64 v[25:26], v[11:12], v[37:38], v[127:128]
	v_add_f64 v[13:14], v[13:14], v[19:20]
	s_clause 0x4
	buffer_load_dword v20, off, s[0:3], 0 offset:524
	buffer_load_dword v37, off, s[0:3], 0 offset:536
	;; [unrolled: 1-line block ×5, first 2 shown]
	s_waitcnt vmcnt(57) lgkmcnt(0)
	v_mul_f64 v[127:128], v[1:2], v[39:40]
	v_mul_f64 v[39:40], v[3:4], v[39:40]
	s_waitcnt vmcnt(56)
	v_fma_f64 v[35:36], v[5:6], v[23:24], -v[35:36]
	ds_read_b128 v[9:12], v70 offset:1280
	v_fma_f64 v[23:24], v[7:8], v[23:24], v[71:72]
	v_add_f64 v[21:22], v[21:22], v[29:30]
	v_add_f64 v[13:14], v[13:14], v[25:26]
	s_clause 0x2
	buffer_load_dword v38, off, s[0:3], 0 offset:540
	buffer_load_dword v26, off, s[0:3], 0 offset:516
	;; [unrolled: 1-line block ×3, first 2 shown]
	ds_read_b128 v[5:8], v70 offset:1296
	s_waitcnt vmcnt(58) lgkmcnt(1)
	v_mul_f64 v[29:30], v[9:10], v[43:44]
	v_mul_f64 v[43:44], v[11:12], v[43:44]
	s_waitcnt vmcnt(56)
	v_fma_f64 v[39:40], v[1:2], v[45:46], -v[39:40]
	v_add_f64 v[21:22], v[21:22], v[35:36]
	v_fma_f64 v[35:36], v[3:4], v[45:46], v[127:128]
	v_add_f64 v[13:14], v[13:14], v[23:24]
	s_clause 0x4
	buffer_load_dword v24, off, s[0:3], 0 offset:556
	buffer_load_dword v45, off, s[0:3], 0 offset:568
	buffer_load_dword v71, off, s[0:3], 0 offset:560
	buffer_load_dword v23, off, s[0:3], 0 offset:552
	buffer_load_dword v94, off, s[0:3], 0 offset:532
	s_waitcnt vmcnt(57) lgkmcnt(0)
	v_mul_f64 v[127:128], v[5:6], v[47:48]
	v_mul_f64 v[47:48], v[7:8], v[47:48]
	s_waitcnt vmcnt(56)
	v_fma_f64 v[43:44], v[9:10], v[31:32], -v[43:44]
	ds_read_b128 v[1:4], v70 offset:1312
	v_fma_f64 v[29:30], v[11:12], v[31:32], v[29:30]
	s_clause 0x2
	buffer_load_dword v46, off, s[0:3], 0 offset:572
	buffer_load_dword v32, off, s[0:3], 0 offset:548
	;; [unrolled: 1-line block ×3, first 2 shown]
	ds_read_b128 v[9:12], v70 offset:1328
	v_add_f64 v[21:22], v[21:22], v[39:40]
	v_add_f64 v[13:14], v[13:14], v[35:36]
	s_waitcnt vmcnt(58) lgkmcnt(1)
	v_mul_f64 v[39:40], v[3:4], v[51:52]
	s_waitcnt vmcnt(56)
	v_fma_f64 v[47:48], v[5:6], v[53:54], -v[47:48]
	v_mul_f64 v[35:36], v[1:2], v[51:52]
	v_add_f64 v[21:22], v[21:22], v[43:44]
	v_fma_f64 v[43:44], v[7:8], v[53:54], v[127:128]
	v_add_f64 v[13:14], v[13:14], v[29:30]
	s_clause 0x4
	buffer_load_dword v30, off, s[0:3], 0 offset:588
	buffer_load_dword v51, off, s[0:3], 0 offset:600
	;; [unrolled: 1-line block ×5, first 2 shown]
	s_waitcnt vmcnt(57) lgkmcnt(0)
	v_mul_f64 v[127:128], v[9:10], v[55:56]
	v_mul_f64 v[54:55], v[11:12], v[55:56]
	s_waitcnt vmcnt(56)
	v_fma_f64 v[39:40], v[1:2], v[41:42], -v[39:40]
	ds_read_b128 v[5:8], v70 offset:1344
	v_fma_f64 v[35:36], v[3:4], v[41:42], v[35:36]
	s_clause 0x2
	buffer_load_dword v52, off, s[0:3], 0 offset:604
	buffer_load_dword v42, off, s[0:3], 0 offset:580
	;; [unrolled: 1-line block ×3, first 2 shown]
	ds_read_b128 v[1:4], v70 offset:1360
	v_add_f64 v[21:22], v[21:22], v[47:48]
	v_add_f64 v[13:14], v[13:14], v[43:44]
	s_waitcnt vmcnt(58) lgkmcnt(1)
	v_mul_f64 v[47:48], v[7:8], v[59:60]
	s_waitcnt vmcnt(56)
	v_fma_f64 v[55:56], v[9:10], v[61:62], -v[54:55]
	v_mul_f64 v[43:44], v[5:6], v[59:60]
	v_add_f64 v[21:22], v[21:22], v[39:40]
	v_fma_f64 v[39:40], v[11:12], v[61:62], v[127:128]
	v_add_f64 v[13:14], v[13:14], v[35:36]
	s_clause 0x4
	buffer_load_dword v36, off, s[0:3], 0 offset:620
	buffer_load_dword v59, off, s[0:3], 0 offset:632
	;; [unrolled: 1-line block ×5, first 2 shown]
	s_waitcnt vmcnt(57) lgkmcnt(0)
	v_mul_f64 v[127:128], v[1:2], v[63:64]
	v_mul_f64 v[62:63], v[3:4], v[63:64]
	s_waitcnt vmcnt(56)
	v_fma_f64 v[47:48], v[5:6], v[49:50], -v[47:48]
	ds_read_b128 v[9:12], v70 offset:1376
	v_fma_f64 v[43:44], v[7:8], v[49:50], v[43:44]
	v_add_f64 v[21:22], v[21:22], v[55:56]
	v_add_f64 v[13:14], v[13:14], v[39:40]
	s_clause 0x2
	buffer_load_dword v60, off, s[0:3], 0 offset:636
	buffer_load_dword v40, off, s[0:3], 0 offset:612
	;; [unrolled: 1-line block ×3, first 2 shown]
	ds_read_b128 v[5:8], v70 offset:1392
	s_waitcnt vmcnt(58) lgkmcnt(1)
	v_mul_f64 v[55:56], v[11:12], v[65:66]
	s_waitcnt vmcnt(56)
	v_fma_f64 v[63:64], v[1:2], v[67:68], -v[62:63]
	v_mul_f64 v[49:50], v[9:10], v[65:66]
	v_add_f64 v[21:22], v[21:22], v[47:48]
	v_fma_f64 v[47:48], v[3:4], v[67:68], v[127:128]
	v_add_f64 v[13:14], v[13:14], v[43:44]
	s_clause 0x4
	buffer_load_dword v44, off, s[0:3], 0 offset:652
	buffer_load_dword v65, off, s[0:3], 0 offset:664
	;; [unrolled: 1-line block ×5, first 2 shown]
	s_waitcnt vmcnt(57) lgkmcnt(0)
	v_mul_f64 v[127:128], v[5:6], v[77:78]
	v_mul_f64 v[77:78], v[7:8], v[77:78]
	s_waitcnt vmcnt(56)
	v_fma_f64 v[55:56], v[9:10], v[57:58], -v[55:56]
	ds_read_b128 v[1:4], v70 offset:1408
	v_fma_f64 v[49:50], v[11:12], v[57:58], v[49:50]
	v_add_f64 v[21:22], v[21:22], v[63:64]
	v_add_f64 v[13:14], v[13:14], v[47:48]
	s_clause 0x2
	buffer_load_dword v66, off, s[0:3], 0 offset:668
	buffer_load_dword v48, off, s[0:3], 0 offset:644
	;; [unrolled: 1-line block ×3, first 2 shown]
	ds_read_b128 v[9:12], v70 offset:1424
	s_waitcnt vmcnt(58) lgkmcnt(1)
	v_mul_f64 v[63:64], v[3:4], v[84:85]
	v_mul_f64 v[57:58], v[1:2], v[84:85]
	s_waitcnt vmcnt(56)
	v_fma_f64 v[77:78], v[5:6], v[17:18], -v[77:78]
	v_fma_f64 v[17:18], v[7:8], v[17:18], v[127:128]
	v_add_f64 v[21:22], v[21:22], v[55:56]
	v_add_f64 v[13:14], v[13:14], v[49:50]
	s_clause 0x4
	buffer_load_dword v50, off, s[0:3], 0 offset:684
	buffer_load_dword v55, off, s[0:3], 0 offset:696
	;; [unrolled: 1-line block ×5, first 2 shown]
	ds_read_b128 v[5:8], v70 offset:1440
	s_waitcnt vmcnt(57) lgkmcnt(1)
	v_mul_f64 v[127:128], v[9:10], v[15:16]
	v_mul_f64 v[15:16], v[11:12], v[15:16]
	s_waitcnt vmcnt(56)
	v_fma_f64 v[63:64], v[1:2], v[86:87], -v[63:64]
	v_fma_f64 v[57:58], v[3:4], v[86:87], v[57:58]
	v_add_f64 v[21:22], v[21:22], v[77:78]
	v_add_f64 v[13:14], v[13:14], v[17:18]
	s_clause 0x2
	buffer_load_dword v56, off, s[0:3], 0 offset:700
	buffer_load_dword v18, off, s[0:3], 0 offset:676
	;; [unrolled: 1-line block ×3, first 2 shown]
	s_waitcnt vmcnt(58) lgkmcnt(0)
	v_mul_f64 v[86:87], v[7:8], v[123:124]
	ds_read_b128 v[1:4], v70 offset:1456
	v_mul_f64 v[77:78], v[5:6], v[123:124]
	s_waitcnt vmcnt(56)
	v_fma_f64 v[15:16], v[9:10], v[73:74], -v[15:16]
	v_add_f64 v[21:22], v[21:22], v[63:64]
	v_fma_f64 v[63:64], v[11:12], v[73:74], v[127:128]
	v_add_f64 v[13:14], v[13:14], v[57:58]
	s_clause 0x4
	buffer_load_dword v58, off, s[0:3], 0 offset:716
	buffer_load_dword v73, off, s[0:3], 0 offset:728
	;; [unrolled: 1-line block ×5, first 2 shown]
	ds_read_b128 v[9:12], v70 offset:1472
	s_waitcnt vmcnt(57) lgkmcnt(1)
	v_mul_f64 v[127:128], v[1:2], v[33:34]
	v_mul_f64 v[33:34], v[3:4], v[33:34]
	s_waitcnt vmcnt(56)
	v_fma_f64 v[86:87], v[5:6], v[125:126], -v[86:87]
	v_add_f64 v[15:16], v[21:22], v[15:16]
	v_fma_f64 v[21:22], v[7:8], v[125:126], v[77:78]
	v_add_f64 v[13:14], v[13:14], v[63:64]
	s_clause 0x2
	buffer_load_dword v74, off, s[0:3], 0 offset:732
	buffer_load_dword v64, off, s[0:3], 0 offset:708
	;; [unrolled: 1-line block ×3, first 2 shown]
	ds_read_b128 v[5:8], v70 offset:1488
	s_waitcnt vmcnt(58) lgkmcnt(1)
	v_mul_f64 v[77:78], v[9:10], v[75:76]
	v_mul_f64 v[75:76], v[11:12], v[75:76]
	s_waitcnt vmcnt(56)
	v_fma_f64 v[33:34], v[1:2], v[27:28], -v[33:34]
	v_fma_f64 v[27:28], v[3:4], v[27:28], v[127:128]
	v_add_f64 v[15:16], v[15:16], v[86:87]
	v_add_f64 v[13:14], v[13:14], v[21:22]
	s_clause 0x4
	buffer_load_dword v22, off, s[0:3], 0 offset:748
	buffer_load_dword v86, off, s[0:3], 0 offset:760
	;; [unrolled: 1-line block ×5, first 2 shown]
	ds_read_b128 v[1:4], v70 offset:1504
	s_waitcnt vmcnt(57) lgkmcnt(1)
	v_mul_f64 v[126:127], v[5:6], v[19:20]
	v_mul_f64 v[19:20], v[7:8], v[19:20]
	s_waitcnt vmcnt(56)
	v_fma_f64 v[75:76], v[9:10], v[95:96], -v[75:76]
	v_add_f64 v[15:16], v[15:16], v[33:34]
	v_fma_f64 v[33:34], v[11:12], v[95:96], v[77:78]
	v_add_f64 v[13:14], v[13:14], v[27:28]
	s_clause 0x2
	buffer_load_dword v87, off, s[0:3], 0 offset:764
	buffer_load_dword v28, off, s[0:3], 0 offset:740
	;; [unrolled: 1-line block ×3, first 2 shown]
	ds_read_b128 v[9:12], v70 offset:1520
	s_waitcnt vmcnt(58) lgkmcnt(1)
	v_mul_f64 v[77:78], v[1:2], v[37:38]
	v_mul_f64 v[37:38], v[3:4], v[37:38]
	s_waitcnt vmcnt(56)
	v_fma_f64 v[19:20], v[5:6], v[25:26], -v[19:20]
	v_fma_f64 v[25:26], v[7:8], v[25:26], v[126:127]
	v_add_f64 v[15:16], v[15:16], v[75:76]
	v_add_f64 v[13:14], v[13:14], v[33:34]
	s_clause 0x4
	buffer_load_dword v34, off, s[0:3], 0 offset:780
	buffer_load_dword v75, off, s[0:3], 0 offset:792
	;; [unrolled: 1-line block ×5, first 2 shown]
	ds_read_b128 v[5:8], v70 offset:1536
	s_waitcnt vmcnt(57) lgkmcnt(1)
	v_mul_f64 v[127:128], v[9:10], v[23:24]
	v_mul_f64 v[23:24], v[11:12], v[23:24]
	s_waitcnt vmcnt(56)
	v_fma_f64 v[37:38], v[1:2], v[93:94], -v[37:38]
	v_add_f64 v[15:16], v[15:16], v[19:20]
	v_fma_f64 v[19:20], v[3:4], v[93:94], v[77:78]
	v_add_f64 v[13:14], v[13:14], v[25:26]
	s_clause 0x2
	buffer_load_dword v76, off, s[0:3], 0 offset:796
	buffer_load_dword v26, off, s[0:3], 0 offset:772
	;; [unrolled: 1-line block ×3, first 2 shown]
	s_waitcnt vmcnt(58) lgkmcnt(0)
	v_mul_f64 v[77:78], v[5:6], v[45:46]
	v_mul_f64 v[45:46], v[7:8], v[45:46]
	ds_read_b128 v[1:4], v70 offset:1552
	s_waitcnt vmcnt(56)
	v_fma_f64 v[23:24], v[9:10], v[31:32], -v[23:24]
	v_fma_f64 v[31:32], v[11:12], v[31:32], v[127:128]
	v_add_f64 v[15:16], v[15:16], v[37:38]
	v_add_f64 v[13:14], v[13:14], v[19:20]
	s_clause 0x4
	buffer_load_dword v20, off, s[0:3], 0 offset:812
	buffer_load_dword v37, off, s[0:3], 0 offset:824
	;; [unrolled: 1-line block ×5, first 2 shown]
	ds_read_b128 v[9:12], v70 offset:1568
	s_waitcnt vmcnt(57) lgkmcnt(1)
	v_mul_f64 v[127:128], v[1:2], v[29:30]
	v_mul_f64 v[29:30], v[3:4], v[29:30]
	s_waitcnt vmcnt(56)
	v_fma_f64 v[45:46], v[5:6], v[71:72], -v[45:46]
	v_add_f64 v[15:16], v[15:16], v[23:24]
	v_fma_f64 v[23:24], v[7:8], v[71:72], v[77:78]
	v_add_f64 v[13:14], v[13:14], v[31:32]
	s_clause 0x2
	buffer_load_dword v38, off, s[0:3], 0 offset:828
	buffer_load_dword v32, off, s[0:3], 0 offset:804
	;; [unrolled: 1-line block ×3, first 2 shown]
	s_waitcnt vmcnt(58) lgkmcnt(0)
	v_mul_f64 v[71:72], v[9:10], v[51:52]
	v_mul_f64 v[51:52], v[11:12], v[51:52]
	ds_read_b128 v[5:8], v70 offset:1584
	s_waitcnt vmcnt(56)
	v_fma_f64 v[29:30], v[1:2], v[41:42], -v[29:30]
	v_fma_f64 v[41:42], v[3:4], v[41:42], v[127:128]
	v_add_f64 v[15:16], v[15:16], v[45:46]
	v_add_f64 v[13:14], v[13:14], v[23:24]
	s_clause 0x4
	buffer_load_dword v24, off, s[0:3], 0 offset:844
	buffer_load_dword v45, off, s[0:3], 0 offset:856
	buffer_load_dword v77, off, s[0:3], 0 offset:848
	buffer_load_dword v23, off, s[0:3], 0 offset:840
	buffer_load_dword v94, off, s[0:3], 0 offset:820
	ds_read_b128 v[1:4], v70 offset:1600
	s_waitcnt vmcnt(57) lgkmcnt(1)
	v_mul_f64 v[78:79], v[5:6], v[35:36]
	v_mul_f64 v[35:36], v[7:8], v[35:36]
	s_waitcnt vmcnt(56)
	v_fma_f64 v[51:52], v[9:10], v[53:54], -v[51:52]
	v_add_f64 v[15:16], v[15:16], v[29:30]
	v_fma_f64 v[29:30], v[11:12], v[53:54], v[71:72]
	v_add_f64 v[13:14], v[13:14], v[41:42]
	s_clause 0x2
	buffer_load_dword v46, off, s[0:3], 0 offset:860
	buffer_load_dword v42, off, s[0:3], 0 offset:836
	buffer_load_dword v41, off, s[0:3], 0 offset:832
	ds_read_b128 v[9:12], v70 offset:1616
	s_waitcnt vmcnt(58) lgkmcnt(1)
	v_mul_f64 v[53:54], v[1:2], v[59:60]
	v_mul_f64 v[59:60], v[3:4], v[59:60]
	s_waitcnt vmcnt(56)
	v_fma_f64 v[35:36], v[5:6], v[39:40], -v[35:36]
	v_fma_f64 v[39:40], v[7:8], v[39:40], v[78:79]
	v_add_f64 v[15:16], v[15:16], v[51:52]
	v_add_f64 v[13:14], v[13:14], v[29:30]
	s_clause 0x4
	buffer_load_dword v30, off, s[0:3], 0 offset:876
	buffer_load_dword v51, off, s[0:3], 0 offset:888
	buffer_load_dword v71, off, s[0:3], 0 offset:880
	buffer_load_dword v29, off, s[0:3], 0 offset:872
	buffer_load_dword v78, off, s[0:3], 0 offset:852
	ds_read_b128 v[5:8], v70 offset:1632
	s_waitcnt vmcnt(57) lgkmcnt(1)
	v_mul_f64 v[127:128], v[9:10], v[43:44]
	v_mul_f64 v[43:44], v[11:12], v[43:44]
	s_waitcnt vmcnt(56)
	v_fma_f64 v[59:60], v[1:2], v[61:62], -v[59:60]
	v_add_f64 v[15:16], v[15:16], v[35:36]
	v_fma_f64 v[35:36], v[3:4], v[61:62], v[53:54]
	v_add_f64 v[13:14], v[13:14], v[39:40]
	s_clause 0x2
	buffer_load_dword v52, off, s[0:3], 0 offset:892
	buffer_load_dword v40, off, s[0:3], 0 offset:868
	buffer_load_dword v39, off, s[0:3], 0 offset:864
	ds_read_b128 v[1:4], v70 offset:1648
	s_waitcnt vmcnt(58) lgkmcnt(1)
	v_mul_f64 v[61:62], v[7:8], v[65:66]
	v_mul_f64 v[53:54], v[5:6], v[65:66]
	;; [unrolled: 28-line block ×4, first 2 shown]
	s_waitcnt vmcnt(56)
	v_fma_f64 v[57:58], v[5:6], v[63:64], -v[57:58]
	v_add_f64 v[15:16], v[15:16], v[55:56]
	v_fma_f64 v[55:56], v[7:8], v[63:64], v[127:128]
	v_add_f64 v[13:14], v[13:14], v[49:50]
	s_clause 0x4
	buffer_load_dword v50, off, s[0:3], 0 offset:972
	buffer_load_dword v63, off, s[0:3], 0 offset:984
	;; [unrolled: 1-line block ×5, first 2 shown]
	ds_read_b128 v[5:8], v70 offset:1728
	s_waitcnt vmcnt(57) lgkmcnt(1)
	v_mul_f64 v[127:128], v[9:10], v[21:22]
	v_mul_f64 v[21:22], v[11:12], v[21:22]
	s_waitcnt vmcnt(56)
	v_fma_f64 v[73:74], v[1:2], v[123:124], -v[73:74]
	v_fma_f64 v[53:54], v[3:4], v[123:124], v[53:54]
	v_add_f64 v[15:16], v[15:16], v[57:58]
	v_add_f64 v[13:14], v[13:14], v[55:56]
	s_clause 0x2
	buffer_load_dword v64, off, s[0:3], 0 offset:988
	buffer_load_dword v56, off, s[0:3], 0 offset:964
	;; [unrolled: 1-line block ×3, first 2 shown]
	ds_read_b128 v[1:4], v70 offset:1744
	s_waitcnt vmcnt(58) lgkmcnt(1)
	v_mul_f64 v[57:58], v[5:6], v[86:87]
	v_mul_f64 v[86:87], v[7:8], v[86:87]
	s_waitcnt vmcnt(56)
	v_fma_f64 v[21:22], v[9:10], v[27:28], -v[21:22]
	v_fma_f64 v[27:28], v[11:12], v[27:28], v[127:128]
	v_add_f64 v[15:16], v[15:16], v[73:74]
	v_add_f64 v[13:14], v[13:14], v[53:54]
	s_clause 0x2
	buffer_load_dword v54, off, s[0:3], 0 offset:1004
	buffer_load_dword v53, off, s[0:3], 0 offset:1000
	;; [unrolled: 1-line block ×3, first 2 shown]
	ds_read_b128 v[9:12], v70 offset:1760
	s_waitcnt vmcnt(55) lgkmcnt(1)
	v_mul_f64 v[73:74], v[1:2], v[33:34]
	v_mul_f64 v[33:34], v[3:4], v[33:34]
	s_waitcnt vmcnt(54)
	v_fma_f64 v[86:87], v[5:6], v[125:126], -v[86:87]
	v_add_f64 v[15:16], v[15:16], v[21:22]
	v_fma_f64 v[21:22], v[7:8], v[125:126], v[57:58]
	v_add_f64 v[13:14], v[13:14], v[27:28]
	s_clause 0x1
	buffer_load_dword v28, off, s[0:3], 0 offset:996
	buffer_load_dword v27, off, s[0:3], 0 offset:992
	ds_read_b128 v[5:8], v70 offset:1776
	s_waitcnt vmcnt(55) lgkmcnt(1)
	v_mul_f64 v[57:58], v[9:10], v[75:76]
	v_mul_f64 v[75:76], v[11:12], v[75:76]
	s_waitcnt vmcnt(53)
	v_fma_f64 v[33:34], v[1:2], v[25:26], -v[33:34]
	v_fma_f64 v[25:26], v[3:4], v[25:26], v[73:74]
	ds_read_b128 v[1:4], v70 offset:1792
	v_add_f64 v[15:16], v[15:16], v[86:87]
	v_add_f64 v[13:14], v[13:14], v[21:22]
	s_waitcnt vmcnt(49) lgkmcnt(1)
	v_mul_f64 v[21:22], v[5:6], v[19:20]
	v_mul_f64 v[19:20], v[7:8], v[19:20]
	s_waitcnt vmcnt(48)
	v_fma_f64 v[73:74], v[9:10], v[95:96], -v[75:76]
	v_add_f64 v[15:16], v[15:16], v[33:34]
	v_fma_f64 v[33:34], v[11:12], v[95:96], v[57:58]
	v_add_f64 v[13:14], v[13:14], v[25:26]
	s_clause 0x3
	buffer_load_dword v25, off, s[0:3], 0 offset:160
	buffer_load_dword v26, off, s[0:3], 0 offset:164
	;; [unrolled: 1-line block ×4, first 2 shown]
	ds_read_b128 v[9:12], v70 offset:1808
	s_waitcnt vmcnt(51) lgkmcnt(1)
	v_mul_f64 v[75:76], v[1:2], v[37:38]
	v_mul_f64 v[37:38], v[3:4], v[37:38]
	s_waitcnt vmcnt(49)
	v_fma_f64 v[19:20], v[5:6], v[31:32], -v[19:20]
	v_fma_f64 v[21:22], v[7:8], v[31:32], v[21:22]
	ds_read_b128 v[5:8], v70 offset:1824
	v_add_f64 v[15:16], v[15:16], v[73:74]
	v_add_f64 v[13:14], v[13:14], v[33:34]
	s_waitcnt vmcnt(45) lgkmcnt(1)
	v_mul_f64 v[31:32], v[9:10], v[23:24]
	v_mul_f64 v[23:24], v[11:12], v[23:24]
	s_waitcnt vmcnt(44)
	v_fma_f64 v[33:34], v[1:2], v[93:94], -v[37:38]
	v_add_f64 v[15:16], v[15:16], v[19:20]
	v_fma_f64 v[19:20], v[3:4], v[93:94], v[75:76]
	v_add_f64 v[13:14], v[13:14], v[21:22]
	ds_read_b128 v[1:4], v70 offset:1840
	s_waitcnt vmcnt(43) lgkmcnt(1)
	v_mul_f64 v[37:38], v[7:8], v[45:46]
	v_mul_f64 v[21:22], v[5:6], v[45:46]
	s_waitcnt vmcnt(41)
	v_fma_f64 v[23:24], v[9:10], v[41:42], -v[23:24]
	v_fma_f64 v[31:32], v[11:12], v[41:42], v[31:32]
	ds_read_b128 v[9:12], v70 offset:1856
	v_add_f64 v[15:16], v[15:16], v[33:34]
	v_add_f64 v[13:14], v[13:14], v[19:20]
	s_waitcnt vmcnt(37) lgkmcnt(1)
	v_mul_f64 v[19:20], v[1:2], v[29:30]
	v_mul_f64 v[29:30], v[3:4], v[29:30]
	s_waitcnt vmcnt(36)
	v_fma_f64 v[33:34], v[5:6], v[77:78], -v[37:38]
	v_fma_f64 v[21:22], v[7:8], v[77:78], v[21:22]
	ds_read_b128 v[5:8], v70 offset:1872
	v_add_f64 v[15:16], v[15:16], v[23:24]
	v_add_f64 v[13:14], v[13:14], v[31:32]
	;; [unrolled: 9-line block ×3, first 2 shown]
	s_waitcnt vmcnt(29) lgkmcnt(1)
	v_mul_f64 v[33:34], v[7:8], v[35:36]
	s_waitcnt vmcnt(28)
	v_fma_f64 v[31:32], v[9:10], v[71:72], -v[31:32]
	v_mul_f64 v[21:22], v[5:6], v[35:36]
	v_fma_f64 v[23:24], v[11:12], v[71:72], v[23:24]
	ds_read_b128 v[9:12], v70 offset:1904
	v_add_f64 v[15:16], v[15:16], v[29:30]
	v_add_f64 v[13:14], v[13:14], v[19:20]
	s_waitcnt vmcnt(27) lgkmcnt(1)
	v_mul_f64 v[29:30], v[3:4], v[59:60]
	v_mul_f64 v[19:20], v[1:2], v[59:60]
	s_waitcnt vmcnt(25)
	v_fma_f64 v[33:34], v[5:6], v[47:48], -v[33:34]
	v_fma_f64 v[21:22], v[7:8], v[47:48], v[21:22]
	ds_read_b128 v[5:8], v70 offset:1920
	v_add_f64 v[15:16], v[15:16], v[31:32]
	v_add_f64 v[13:14], v[13:14], v[23:24]
	s_waitcnt vmcnt(21) lgkmcnt(1)
	v_mul_f64 v[31:32], v[11:12], v[43:44]
	s_waitcnt vmcnt(20)
	v_fma_f64 v[29:30], v[1:2], v[65:66], -v[29:30]
	v_mul_f64 v[23:24], v[9:10], v[43:44]
	v_fma_f64 v[19:20], v[3:4], v[65:66], v[19:20]
	ds_read_b128 v[1:4], v70 offset:1936
	v_add_f64 v[15:16], v[15:16], v[33:34]
	v_add_f64 v[13:14], v[13:14], v[21:22]
	s_waitcnt vmcnt(19) lgkmcnt(1)
	v_mul_f64 v[33:34], v[7:8], v[61:62]
	v_mul_f64 v[21:22], v[5:6], v[61:62]
	s_waitcnt vmcnt(17)
	v_fma_f64 v[31:32], v[9:10], v[17:18], -v[31:32]
	v_fma_f64 v[17:18], v[11:12], v[17:18], v[23:24]
	ds_read_b128 v[9:12], v70 offset:1952
	v_add_f64 v[15:16], v[15:16], v[29:30]
	v_add_f64 v[13:14], v[13:14], v[19:20]
	s_waitcnt vmcnt(13) lgkmcnt(1)
	v_mul_f64 v[23:24], v[3:4], v[49:50]
	s_waitcnt vmcnt(12)
	v_fma_f64 v[29:30], v[5:6], v[67:68], -v[33:34]
	v_mul_f64 v[19:20], v[1:2], v[49:50]
	v_fma_f64 v[21:22], v[7:8], v[67:68], v[21:22]
	ds_read_b128 v[5:8], v70 offset:1968
	v_add_f64 v[15:16], v[15:16], v[31:32]
	v_add_f64 v[13:14], v[13:14], v[17:18]
	s_waitcnt vmcnt(11) lgkmcnt(1)
	v_mul_f64 v[31:32], v[11:12], v[63:64]
	v_mul_f64 v[17:18], v[9:10], v[63:64]
	s_waitcnt vmcnt(9)
	v_fma_f64 v[1:2], v[1:2], v[55:56], -v[23:24]
	v_fma_f64 v[3:4], v[3:4], v[55:56], v[19:20]
	v_add_f64 v[15:16], v[15:16], v[29:30]
	v_add_f64 v[13:14], v[13:14], v[21:22]
	s_waitcnt vmcnt(7) lgkmcnt(0)
	v_mul_f64 v[21:22], v[7:8], v[53:54]
	s_waitcnt vmcnt(6)
	v_fma_f64 v[9:10], v[9:10], v[84:85], -v[31:32]
	v_mul_f64 v[19:20], v[5:6], v[53:54]
	v_fma_f64 v[11:12], v[11:12], v[84:85], v[17:18]
	v_add_f64 v[1:2], v[15:16], v[1:2]
	v_add_f64 v[3:4], v[13:14], v[3:4]
	s_waitcnt vmcnt(4)
	v_fma_f64 v[5:6], v[5:6], v[27:28], -v[21:22]
	v_fma_f64 v[7:8], v[7:8], v[27:28], v[19:20]
	v_add_f64 v[1:2], v[1:2], v[9:10]
	v_add_f64 v[3:4], v[3:4], v[11:12]
	;; [unrolled: 1-line block ×4, first 2 shown]
	s_waitcnt vmcnt(2)
	v_add_f64 v[1:2], v[25:26], -v[1:2]
	s_waitcnt vmcnt(0)
	v_add_f64 v[3:4], v[57:58], -v[3:4]
	buffer_store_dword v2, off, s[0:3], 0 offset:164
	buffer_store_dword v1, off, s[0:3], 0 offset:160
	buffer_store_dword v4, off, s[0:3], 0 offset:172
	buffer_store_dword v3, off, s[0:3], 0 offset:168
	v_cmpx_lt_u32_e32 8, v0
	s_cbranch_execz .LBB61_381
; %bb.380:
	v_mov_b32_e32 v4, s74
	v_mov_b32_e32 v5, 0
	s_clause 0x3
	buffer_load_dword v1, v4, s[0:3], 0 offen
	buffer_load_dword v2, v4, s[0:3], 0 offen offset:4
	buffer_load_dword v3, v4, s[0:3], 0 offen offset:8
	;; [unrolled: 1-line block ×3, first 2 shown]
	buffer_store_dword v5, off, s[0:3], 0 offset:144
	buffer_store_dword v5, off, s[0:3], 0 offset:148
	;; [unrolled: 1-line block ×4, first 2 shown]
	s_waitcnt vmcnt(0)
	ds_write_b128 v69, v[1:4]
.LBB61_381:
	s_or_b32 exec_lo, exec_lo, s4
	s_waitcnt lgkmcnt(0)
	s_waitcnt_vscnt null, 0x0
	s_barrier
	buffer_gl0_inv
	s_clause 0x37
	buffer_load_dword v17, off, s[0:3], 0 offset:168
	buffer_load_dword v18, off, s[0:3], 0 offset:172
	;; [unrolled: 1-line block ×56, first 2 shown]
	v_mov_b32_e32 v70, 0
	s_mov_b32 s4, exec_lo
	ds_read_b128 v[5:8], v70 offset:1136
	s_clause 0x2
	buffer_load_dword v66, off, s[0:3], 0 offset:396
	buffer_load_dword v68, off, s[0:3], 0 offset:372
	;; [unrolled: 1-line block ×3, first 2 shown]
	ds_read_b128 v[1:4], v70 offset:1152
	s_clause 0x4
	buffer_load_dword v78, off, s[0:3], 0 offset:412
	buffer_load_dword v84, off, s[0:3], 0 offset:424
	;; [unrolled: 1-line block ×5, first 2 shown]
	ds_read_b128 v[71:74], v70 offset:1168
	s_waitcnt vmcnt(62) lgkmcnt(2)
	v_mul_f64 v[75:76], v[7:8], v[17:18]
	v_mul_f64 v[17:18], v[5:6], v[17:18]
	s_waitcnt vmcnt(60) lgkmcnt(1)
	v_mul_f64 v[87:88], v[3:4], v[13:14]
	v_mul_f64 v[13:14], v[1:2], v[13:14]
	;; [unrolled: 3-line block ×3, first 2 shown]
	v_fma_f64 v[75:76], v[5:6], v[15:16], -v[75:76]
	v_fma_f64 v[15:16], v[7:8], v[15:16], v[17:18]
	s_clause 0x2
	buffer_load_dword v85, off, s[0:3], 0 offset:428
	buffer_load_dword v18, off, s[0:3], 0 offset:404
	;; [unrolled: 1-line block ×3, first 2 shown]
	s_waitcnt vmcnt(57)
	v_fma_f64 v[95:96], v[1:2], v[9:10], -v[87:88]
	ds_read_b128 v[5:8], v70 offset:1184
	v_fma_f64 v[9:10], v[3:4], v[9:10], v[13:14]
	s_waitcnt vmcnt(51)
	v_fma_f64 v[71:72], v[71:72], v[33:34], -v[11:12]
	v_fma_f64 v[33:34], v[73:74], v[33:34], v[93:94]
	v_add_f64 v[75:76], v[75:76], 0
	v_add_f64 v[13:14], v[15:16], 0
	s_clause 0x4
	buffer_load_dword v16, off, s[0:3], 0 offset:444
	buffer_load_dword v123, off, s[0:3], 0 offset:456
	;; [unrolled: 1-line block ×5, first 2 shown]
	s_waitcnt lgkmcnt(0)
	v_mul_f64 v[126:127], v[5:6], v[21:22]
	v_mul_f64 v[21:22], v[7:8], v[21:22]
	ds_read_b128 v[1:4], v70 offset:1200
	s_clause 0x2
	buffer_load_dword v124, off, s[0:3], 0 offset:460
	buffer_load_dword v74, off, s[0:3], 0 offset:436
	;; [unrolled: 1-line block ×3, first 2 shown]
	v_add_f64 v[75:76], v[75:76], v[95:96]
	v_add_f64 v[13:14], v[13:14], v[9:10]
	ds_read_b128 v[9:12], v70 offset:1216
	s_waitcnt vmcnt(58) lgkmcnt(1)
	v_mul_f64 v[93:94], v[1:2], v[25:26]
	v_mul_f64 v[25:26], v[3:4], v[25:26]
	s_waitcnt vmcnt(56)
	v_fma_f64 v[21:22], v[5:6], v[27:28], -v[21:22]
	v_fma_f64 v[27:28], v[7:8], v[27:28], v[126:127]
	s_waitcnt vmcnt(52) lgkmcnt(0)
	v_mul_f64 v[127:128], v[9:10], v[29:30]
	v_add_f64 v[71:72], v[75:76], v[71:72]
	v_add_f64 v[13:14], v[13:14], v[33:34]
	s_clause 0x4
	buffer_load_dword v34, off, s[0:3], 0 offset:476
	buffer_load_dword v75, off, s[0:3], 0 offset:488
	;; [unrolled: 1-line block ×5, first 2 shown]
	v_mul_f64 v[29:30], v[11:12], v[29:30]
	s_waitcnt vmcnt(56)
	v_fma_f64 v[25:26], v[1:2], v[19:20], -v[25:26]
	ds_read_b128 v[5:8], v70 offset:1232
	v_fma_f64 v[19:20], v[3:4], v[19:20], v[93:94]
	v_add_f64 v[21:22], v[71:72], v[21:22]
	v_add_f64 v[13:14], v[13:14], v[27:28]
	s_clause 0x2
	buffer_load_dword v76, off, s[0:3], 0 offset:492
	buffer_load_dword v28, off, s[0:3], 0 offset:468
	;; [unrolled: 1-line block ×3, first 2 shown]
	s_waitcnt vmcnt(58) lgkmcnt(0)
	v_mul_f64 v[71:72], v[5:6], v[35:36]
	v_mul_f64 v[35:36], v[7:8], v[35:36]
	s_waitcnt vmcnt(56)
	v_fma_f64 v[29:30], v[9:10], v[37:38], -v[29:30]
	ds_read_b128 v[1:4], v70 offset:1248
	v_add_f64 v[21:22], v[21:22], v[25:26]
	v_fma_f64 v[25:26], v[11:12], v[37:38], v[127:128]
	v_add_f64 v[13:14], v[13:14], v[19:20]
	s_clause 0x4
	buffer_load_dword v20, off, s[0:3], 0 offset:508
	buffer_load_dword v37, off, s[0:3], 0 offset:520
	;; [unrolled: 1-line block ×5, first 2 shown]
	s_waitcnt vmcnt(57) lgkmcnt(0)
	v_mul_f64 v[127:128], v[1:2], v[39:40]
	v_mul_f64 v[39:40], v[3:4], v[39:40]
	s_waitcnt vmcnt(56)
	v_fma_f64 v[35:36], v[5:6], v[23:24], -v[35:36]
	ds_read_b128 v[9:12], v70 offset:1264
	v_fma_f64 v[23:24], v[7:8], v[23:24], v[71:72]
	v_add_f64 v[21:22], v[21:22], v[29:30]
	v_add_f64 v[13:14], v[13:14], v[25:26]
	s_clause 0x2
	buffer_load_dword v38, off, s[0:3], 0 offset:524
	buffer_load_dword v26, off, s[0:3], 0 offset:500
	buffer_load_dword v25, off, s[0:3], 0 offset:496
	ds_read_b128 v[5:8], v70 offset:1280
	s_waitcnt vmcnt(58) lgkmcnt(1)
	v_mul_f64 v[29:30], v[9:10], v[43:44]
	v_mul_f64 v[43:44], v[11:12], v[43:44]
	s_waitcnt vmcnt(56)
	v_fma_f64 v[39:40], v[1:2], v[45:46], -v[39:40]
	v_add_f64 v[21:22], v[21:22], v[35:36]
	v_fma_f64 v[35:36], v[3:4], v[45:46], v[127:128]
	v_add_f64 v[13:14], v[13:14], v[23:24]
	s_clause 0x4
	buffer_load_dword v24, off, s[0:3], 0 offset:540
	buffer_load_dword v45, off, s[0:3], 0 offset:552
	;; [unrolled: 1-line block ×5, first 2 shown]
	s_waitcnt vmcnt(57) lgkmcnt(0)
	v_mul_f64 v[127:128], v[5:6], v[47:48]
	v_mul_f64 v[47:48], v[7:8], v[47:48]
	s_waitcnt vmcnt(56)
	v_fma_f64 v[43:44], v[9:10], v[31:32], -v[43:44]
	ds_read_b128 v[1:4], v70 offset:1296
	v_fma_f64 v[29:30], v[11:12], v[31:32], v[29:30]
	s_clause 0x2
	buffer_load_dword v46, off, s[0:3], 0 offset:556
	buffer_load_dword v32, off, s[0:3], 0 offset:532
	;; [unrolled: 1-line block ×3, first 2 shown]
	ds_read_b128 v[9:12], v70 offset:1312
	v_add_f64 v[21:22], v[21:22], v[39:40]
	v_add_f64 v[13:14], v[13:14], v[35:36]
	s_waitcnt vmcnt(58) lgkmcnt(1)
	v_mul_f64 v[39:40], v[3:4], v[51:52]
	s_waitcnt vmcnt(56)
	v_fma_f64 v[47:48], v[5:6], v[53:54], -v[47:48]
	v_mul_f64 v[35:36], v[1:2], v[51:52]
	v_add_f64 v[21:22], v[21:22], v[43:44]
	v_fma_f64 v[43:44], v[7:8], v[53:54], v[127:128]
	v_add_f64 v[13:14], v[13:14], v[29:30]
	s_clause 0x4
	buffer_load_dword v30, off, s[0:3], 0 offset:572
	buffer_load_dword v51, off, s[0:3], 0 offset:584
	;; [unrolled: 1-line block ×5, first 2 shown]
	s_waitcnt vmcnt(57) lgkmcnt(0)
	v_mul_f64 v[127:128], v[9:10], v[55:56]
	v_mul_f64 v[54:55], v[11:12], v[55:56]
	s_waitcnt vmcnt(56)
	v_fma_f64 v[39:40], v[1:2], v[41:42], -v[39:40]
	ds_read_b128 v[5:8], v70 offset:1328
	v_fma_f64 v[35:36], v[3:4], v[41:42], v[35:36]
	s_clause 0x2
	buffer_load_dword v52, off, s[0:3], 0 offset:588
	buffer_load_dword v42, off, s[0:3], 0 offset:564
	;; [unrolled: 1-line block ×3, first 2 shown]
	ds_read_b128 v[1:4], v70 offset:1344
	v_add_f64 v[21:22], v[21:22], v[47:48]
	v_add_f64 v[13:14], v[13:14], v[43:44]
	s_waitcnt vmcnt(58) lgkmcnt(1)
	v_mul_f64 v[47:48], v[7:8], v[59:60]
	s_waitcnt vmcnt(56)
	v_fma_f64 v[55:56], v[9:10], v[61:62], -v[54:55]
	v_mul_f64 v[43:44], v[5:6], v[59:60]
	v_add_f64 v[21:22], v[21:22], v[39:40]
	v_fma_f64 v[39:40], v[11:12], v[61:62], v[127:128]
	v_add_f64 v[13:14], v[13:14], v[35:36]
	s_clause 0x4
	buffer_load_dword v36, off, s[0:3], 0 offset:604
	buffer_load_dword v59, off, s[0:3], 0 offset:616
	;; [unrolled: 1-line block ×5, first 2 shown]
	s_waitcnt vmcnt(57) lgkmcnt(0)
	v_mul_f64 v[127:128], v[1:2], v[63:64]
	v_mul_f64 v[62:63], v[3:4], v[63:64]
	s_waitcnt vmcnt(56)
	v_fma_f64 v[47:48], v[5:6], v[49:50], -v[47:48]
	ds_read_b128 v[9:12], v70 offset:1360
	v_fma_f64 v[43:44], v[7:8], v[49:50], v[43:44]
	v_add_f64 v[21:22], v[21:22], v[55:56]
	v_add_f64 v[13:14], v[13:14], v[39:40]
	s_clause 0x2
	buffer_load_dword v60, off, s[0:3], 0 offset:620
	buffer_load_dword v40, off, s[0:3], 0 offset:596
	;; [unrolled: 1-line block ×3, first 2 shown]
	ds_read_b128 v[5:8], v70 offset:1376
	s_waitcnt vmcnt(58) lgkmcnt(1)
	v_mul_f64 v[55:56], v[11:12], v[65:66]
	s_waitcnt vmcnt(56)
	v_fma_f64 v[63:64], v[1:2], v[67:68], -v[62:63]
	v_mul_f64 v[49:50], v[9:10], v[65:66]
	v_add_f64 v[21:22], v[21:22], v[47:48]
	v_fma_f64 v[47:48], v[3:4], v[67:68], v[127:128]
	v_add_f64 v[13:14], v[13:14], v[43:44]
	s_clause 0x4
	buffer_load_dword v44, off, s[0:3], 0 offset:636
	buffer_load_dword v65, off, s[0:3], 0 offset:648
	;; [unrolled: 1-line block ×5, first 2 shown]
	s_waitcnt vmcnt(57) lgkmcnt(0)
	v_mul_f64 v[127:128], v[5:6], v[77:78]
	v_mul_f64 v[77:78], v[7:8], v[77:78]
	s_waitcnt vmcnt(56)
	v_fma_f64 v[55:56], v[9:10], v[57:58], -v[55:56]
	ds_read_b128 v[1:4], v70 offset:1392
	v_fma_f64 v[49:50], v[11:12], v[57:58], v[49:50]
	v_add_f64 v[21:22], v[21:22], v[63:64]
	v_add_f64 v[13:14], v[13:14], v[47:48]
	s_clause 0x2
	buffer_load_dword v66, off, s[0:3], 0 offset:652
	buffer_load_dword v48, off, s[0:3], 0 offset:628
	;; [unrolled: 1-line block ×3, first 2 shown]
	ds_read_b128 v[9:12], v70 offset:1408
	s_waitcnt vmcnt(58) lgkmcnt(1)
	v_mul_f64 v[63:64], v[3:4], v[84:85]
	v_mul_f64 v[57:58], v[1:2], v[84:85]
	s_waitcnt vmcnt(56)
	v_fma_f64 v[77:78], v[5:6], v[17:18], -v[77:78]
	v_fma_f64 v[17:18], v[7:8], v[17:18], v[127:128]
	v_add_f64 v[21:22], v[21:22], v[55:56]
	v_add_f64 v[13:14], v[13:14], v[49:50]
	s_clause 0x4
	buffer_load_dword v50, off, s[0:3], 0 offset:668
	buffer_load_dword v55, off, s[0:3], 0 offset:680
	;; [unrolled: 1-line block ×5, first 2 shown]
	ds_read_b128 v[5:8], v70 offset:1424
	s_waitcnt vmcnt(57) lgkmcnt(1)
	v_mul_f64 v[127:128], v[9:10], v[15:16]
	v_mul_f64 v[15:16], v[11:12], v[15:16]
	s_waitcnt vmcnt(56)
	v_fma_f64 v[63:64], v[1:2], v[86:87], -v[63:64]
	v_fma_f64 v[57:58], v[3:4], v[86:87], v[57:58]
	v_add_f64 v[21:22], v[21:22], v[77:78]
	v_add_f64 v[13:14], v[13:14], v[17:18]
	s_clause 0x2
	buffer_load_dword v56, off, s[0:3], 0 offset:684
	buffer_load_dword v18, off, s[0:3], 0 offset:660
	;; [unrolled: 1-line block ×3, first 2 shown]
	s_waitcnt vmcnt(58) lgkmcnt(0)
	v_mul_f64 v[86:87], v[7:8], v[123:124]
	ds_read_b128 v[1:4], v70 offset:1440
	v_mul_f64 v[77:78], v[5:6], v[123:124]
	s_waitcnt vmcnt(56)
	v_fma_f64 v[15:16], v[9:10], v[73:74], -v[15:16]
	v_add_f64 v[21:22], v[21:22], v[63:64]
	v_fma_f64 v[63:64], v[11:12], v[73:74], v[127:128]
	v_add_f64 v[13:14], v[13:14], v[57:58]
	s_clause 0x4
	buffer_load_dword v58, off, s[0:3], 0 offset:700
	buffer_load_dword v73, off, s[0:3], 0 offset:712
	;; [unrolled: 1-line block ×5, first 2 shown]
	ds_read_b128 v[9:12], v70 offset:1456
	s_waitcnt vmcnt(57) lgkmcnt(1)
	v_mul_f64 v[127:128], v[1:2], v[33:34]
	v_mul_f64 v[33:34], v[3:4], v[33:34]
	s_waitcnt vmcnt(56)
	v_fma_f64 v[86:87], v[5:6], v[125:126], -v[86:87]
	v_add_f64 v[15:16], v[21:22], v[15:16]
	v_fma_f64 v[21:22], v[7:8], v[125:126], v[77:78]
	v_add_f64 v[13:14], v[13:14], v[63:64]
	s_clause 0x2
	buffer_load_dword v74, off, s[0:3], 0 offset:716
	buffer_load_dword v64, off, s[0:3], 0 offset:692
	;; [unrolled: 1-line block ×3, first 2 shown]
	ds_read_b128 v[5:8], v70 offset:1472
	s_waitcnt vmcnt(58) lgkmcnt(1)
	v_mul_f64 v[77:78], v[9:10], v[75:76]
	v_mul_f64 v[75:76], v[11:12], v[75:76]
	s_waitcnt vmcnt(56)
	v_fma_f64 v[33:34], v[1:2], v[27:28], -v[33:34]
	v_fma_f64 v[27:28], v[3:4], v[27:28], v[127:128]
	v_add_f64 v[15:16], v[15:16], v[86:87]
	v_add_f64 v[13:14], v[13:14], v[21:22]
	s_clause 0x4
	buffer_load_dword v22, off, s[0:3], 0 offset:732
	buffer_load_dword v86, off, s[0:3], 0 offset:744
	;; [unrolled: 1-line block ×5, first 2 shown]
	ds_read_b128 v[1:4], v70 offset:1488
	s_waitcnt vmcnt(57) lgkmcnt(1)
	v_mul_f64 v[126:127], v[5:6], v[19:20]
	v_mul_f64 v[19:20], v[7:8], v[19:20]
	s_waitcnt vmcnt(56)
	v_fma_f64 v[75:76], v[9:10], v[95:96], -v[75:76]
	v_add_f64 v[15:16], v[15:16], v[33:34]
	v_fma_f64 v[33:34], v[11:12], v[95:96], v[77:78]
	v_add_f64 v[13:14], v[13:14], v[27:28]
	s_clause 0x2
	buffer_load_dword v87, off, s[0:3], 0 offset:748
	buffer_load_dword v28, off, s[0:3], 0 offset:724
	;; [unrolled: 1-line block ×3, first 2 shown]
	ds_read_b128 v[9:12], v70 offset:1504
	s_waitcnt vmcnt(58) lgkmcnt(1)
	v_mul_f64 v[77:78], v[1:2], v[37:38]
	v_mul_f64 v[37:38], v[3:4], v[37:38]
	s_waitcnt vmcnt(56)
	v_fma_f64 v[19:20], v[5:6], v[25:26], -v[19:20]
	v_fma_f64 v[25:26], v[7:8], v[25:26], v[126:127]
	v_add_f64 v[15:16], v[15:16], v[75:76]
	v_add_f64 v[13:14], v[13:14], v[33:34]
	s_clause 0x4
	buffer_load_dword v34, off, s[0:3], 0 offset:764
	buffer_load_dword v75, off, s[0:3], 0 offset:776
	buffer_load_dword v95, off, s[0:3], 0 offset:768
	buffer_load_dword v33, off, s[0:3], 0 offset:760
	buffer_load_dword v126, off, s[0:3], 0 offset:740
	ds_read_b128 v[5:8], v70 offset:1520
	s_waitcnt vmcnt(57) lgkmcnt(1)
	v_mul_f64 v[127:128], v[9:10], v[23:24]
	v_mul_f64 v[23:24], v[11:12], v[23:24]
	s_waitcnt vmcnt(56)
	v_fma_f64 v[37:38], v[1:2], v[93:94], -v[37:38]
	v_add_f64 v[15:16], v[15:16], v[19:20]
	v_fma_f64 v[19:20], v[3:4], v[93:94], v[77:78]
	v_add_f64 v[13:14], v[13:14], v[25:26]
	s_clause 0x2
	buffer_load_dword v76, off, s[0:3], 0 offset:780
	buffer_load_dword v26, off, s[0:3], 0 offset:756
	;; [unrolled: 1-line block ×3, first 2 shown]
	s_waitcnt vmcnt(58) lgkmcnt(0)
	v_mul_f64 v[77:78], v[5:6], v[45:46]
	v_mul_f64 v[45:46], v[7:8], v[45:46]
	ds_read_b128 v[1:4], v70 offset:1536
	s_waitcnt vmcnt(56)
	v_fma_f64 v[23:24], v[9:10], v[31:32], -v[23:24]
	v_fma_f64 v[31:32], v[11:12], v[31:32], v[127:128]
	v_add_f64 v[15:16], v[15:16], v[37:38]
	v_add_f64 v[13:14], v[13:14], v[19:20]
	s_clause 0x4
	buffer_load_dword v20, off, s[0:3], 0 offset:796
	buffer_load_dword v37, off, s[0:3], 0 offset:808
	;; [unrolled: 1-line block ×5, first 2 shown]
	ds_read_b128 v[9:12], v70 offset:1552
	s_waitcnt vmcnt(57) lgkmcnt(1)
	v_mul_f64 v[127:128], v[1:2], v[29:30]
	v_mul_f64 v[29:30], v[3:4], v[29:30]
	s_waitcnt vmcnt(56)
	v_fma_f64 v[45:46], v[5:6], v[71:72], -v[45:46]
	v_add_f64 v[15:16], v[15:16], v[23:24]
	v_fma_f64 v[23:24], v[7:8], v[71:72], v[77:78]
	v_add_f64 v[13:14], v[13:14], v[31:32]
	s_clause 0x2
	buffer_load_dword v38, off, s[0:3], 0 offset:812
	buffer_load_dword v32, off, s[0:3], 0 offset:788
	;; [unrolled: 1-line block ×3, first 2 shown]
	s_waitcnt vmcnt(58) lgkmcnt(0)
	v_mul_f64 v[71:72], v[9:10], v[51:52]
	v_mul_f64 v[51:52], v[11:12], v[51:52]
	ds_read_b128 v[5:8], v70 offset:1568
	s_waitcnt vmcnt(56)
	v_fma_f64 v[29:30], v[1:2], v[41:42], -v[29:30]
	v_fma_f64 v[41:42], v[3:4], v[41:42], v[127:128]
	v_add_f64 v[15:16], v[15:16], v[45:46]
	v_add_f64 v[13:14], v[13:14], v[23:24]
	s_clause 0x4
	buffer_load_dword v24, off, s[0:3], 0 offset:828
	buffer_load_dword v45, off, s[0:3], 0 offset:840
	buffer_load_dword v77, off, s[0:3], 0 offset:832
	buffer_load_dword v23, off, s[0:3], 0 offset:824
	buffer_load_dword v94, off, s[0:3], 0 offset:804
	ds_read_b128 v[1:4], v70 offset:1584
	s_waitcnt vmcnt(57) lgkmcnt(1)
	v_mul_f64 v[78:79], v[5:6], v[35:36]
	v_mul_f64 v[35:36], v[7:8], v[35:36]
	s_waitcnt vmcnt(56)
	v_fma_f64 v[51:52], v[9:10], v[53:54], -v[51:52]
	v_add_f64 v[15:16], v[15:16], v[29:30]
	v_fma_f64 v[29:30], v[11:12], v[53:54], v[71:72]
	v_add_f64 v[13:14], v[13:14], v[41:42]
	s_clause 0x2
	buffer_load_dword v46, off, s[0:3], 0 offset:844
	buffer_load_dword v42, off, s[0:3], 0 offset:820
	buffer_load_dword v41, off, s[0:3], 0 offset:816
	ds_read_b128 v[9:12], v70 offset:1600
	s_waitcnt vmcnt(58) lgkmcnt(1)
	v_mul_f64 v[53:54], v[1:2], v[59:60]
	v_mul_f64 v[59:60], v[3:4], v[59:60]
	s_waitcnt vmcnt(56)
	v_fma_f64 v[35:36], v[5:6], v[39:40], -v[35:36]
	v_fma_f64 v[39:40], v[7:8], v[39:40], v[78:79]
	v_add_f64 v[15:16], v[15:16], v[51:52]
	v_add_f64 v[13:14], v[13:14], v[29:30]
	s_clause 0x4
	buffer_load_dword v30, off, s[0:3], 0 offset:860
	buffer_load_dword v51, off, s[0:3], 0 offset:872
	buffer_load_dword v71, off, s[0:3], 0 offset:864
	buffer_load_dword v29, off, s[0:3], 0 offset:856
	buffer_load_dword v78, off, s[0:3], 0 offset:836
	ds_read_b128 v[5:8], v70 offset:1616
	s_waitcnt vmcnt(57) lgkmcnt(1)
	v_mul_f64 v[127:128], v[9:10], v[43:44]
	v_mul_f64 v[43:44], v[11:12], v[43:44]
	s_waitcnt vmcnt(56)
	v_fma_f64 v[59:60], v[1:2], v[61:62], -v[59:60]
	v_add_f64 v[15:16], v[15:16], v[35:36]
	v_fma_f64 v[35:36], v[3:4], v[61:62], v[53:54]
	v_add_f64 v[13:14], v[13:14], v[39:40]
	s_clause 0x2
	buffer_load_dword v52, off, s[0:3], 0 offset:876
	buffer_load_dword v40, off, s[0:3], 0 offset:852
	buffer_load_dword v39, off, s[0:3], 0 offset:848
	ds_read_b128 v[1:4], v70 offset:1632
	s_waitcnt vmcnt(58) lgkmcnt(1)
	v_mul_f64 v[61:62], v[7:8], v[65:66]
	v_mul_f64 v[53:54], v[5:6], v[65:66]
	;; [unrolled: 28-line block ×4, first 2 shown]
	s_waitcnt vmcnt(56)
	v_fma_f64 v[57:58], v[5:6], v[63:64], -v[57:58]
	v_add_f64 v[15:16], v[15:16], v[55:56]
	v_fma_f64 v[55:56], v[7:8], v[63:64], v[127:128]
	v_add_f64 v[13:14], v[13:14], v[49:50]
	s_clause 0x4
	buffer_load_dword v50, off, s[0:3], 0 offset:956
	buffer_load_dword v63, off, s[0:3], 0 offset:968
	;; [unrolled: 1-line block ×5, first 2 shown]
	ds_read_b128 v[5:8], v70 offset:1712
	s_waitcnt vmcnt(57) lgkmcnt(1)
	v_mul_f64 v[127:128], v[9:10], v[21:22]
	v_mul_f64 v[21:22], v[11:12], v[21:22]
	s_waitcnt vmcnt(56)
	v_fma_f64 v[73:74], v[1:2], v[123:124], -v[73:74]
	v_fma_f64 v[53:54], v[3:4], v[123:124], v[53:54]
	v_add_f64 v[15:16], v[15:16], v[57:58]
	v_add_f64 v[13:14], v[13:14], v[55:56]
	s_clause 0x2
	buffer_load_dword v64, off, s[0:3], 0 offset:972
	buffer_load_dword v56, off, s[0:3], 0 offset:948
	;; [unrolled: 1-line block ×3, first 2 shown]
	ds_read_b128 v[1:4], v70 offset:1728
	s_waitcnt vmcnt(58) lgkmcnt(1)
	v_mul_f64 v[57:58], v[5:6], v[86:87]
	v_mul_f64 v[86:87], v[7:8], v[86:87]
	s_waitcnt vmcnt(56)
	v_fma_f64 v[21:22], v[9:10], v[27:28], -v[21:22]
	v_fma_f64 v[27:28], v[11:12], v[27:28], v[127:128]
	v_add_f64 v[15:16], v[15:16], v[73:74]
	v_add_f64 v[13:14], v[13:14], v[53:54]
	s_clause 0x4
	buffer_load_dword v54, off, s[0:3], 0 offset:988
	buffer_load_dword v73, off, s[0:3], 0 offset:1000
	;; [unrolled: 1-line block ×5, first 2 shown]
	ds_read_b128 v[9:12], v70 offset:1744
	s_waitcnt vmcnt(57) lgkmcnt(1)
	v_mul_f64 v[127:128], v[1:2], v[33:34]
	v_mul_f64 v[33:34], v[3:4], v[33:34]
	s_waitcnt vmcnt(56)
	v_fma_f64 v[86:87], v[5:6], v[125:126], -v[86:87]
	v_add_f64 v[15:16], v[15:16], v[21:22]
	v_fma_f64 v[21:22], v[7:8], v[125:126], v[57:58]
	v_add_f64 v[13:14], v[13:14], v[27:28]
	s_clause 0x2
	buffer_load_dword v74, off, s[0:3], 0 offset:1004
	buffer_load_dword v28, off, s[0:3], 0 offset:980
	;; [unrolled: 1-line block ×3, first 2 shown]
	ds_read_b128 v[5:8], v70 offset:1760
	buffer_load_dword v124, off, s[0:3], 0 offset:996
	s_waitcnt vmcnt(59) lgkmcnt(1)
	v_mul_f64 v[57:58], v[9:10], v[75:76]
	v_mul_f64 v[75:76], v[11:12], v[75:76]
	s_waitcnt vmcnt(57)
	v_fma_f64 v[33:34], v[1:2], v[25:26], -v[33:34]
	v_fma_f64 v[25:26], v[3:4], v[25:26], v[127:128]
	ds_read_b128 v[1:4], v70 offset:1776
	v_add_f64 v[15:16], v[15:16], v[86:87]
	v_add_f64 v[13:14], v[13:14], v[21:22]
	s_waitcnt vmcnt(53) lgkmcnt(1)
	v_mul_f64 v[21:22], v[5:6], v[19:20]
	v_mul_f64 v[19:20], v[7:8], v[19:20]
	s_waitcnt vmcnt(52)
	v_fma_f64 v[75:76], v[9:10], v[95:96], -v[75:76]
	v_add_f64 v[15:16], v[15:16], v[33:34]
	v_fma_f64 v[33:34], v[11:12], v[95:96], v[57:58]
	v_add_f64 v[13:14], v[13:14], v[25:26]
	ds_read_b128 v[9:12], v70 offset:1792
	s_waitcnt vmcnt(51) lgkmcnt(1)
	v_mul_f64 v[25:26], v[1:2], v[37:38]
	v_mul_f64 v[37:38], v[3:4], v[37:38]
	s_waitcnt vmcnt(49)
	v_fma_f64 v[19:20], v[5:6], v[31:32], -v[19:20]
	v_fma_f64 v[21:22], v[7:8], v[31:32], v[21:22]
	v_add_f64 v[15:16], v[15:16], v[75:76]
	v_add_f64 v[13:14], v[13:14], v[33:34]
	s_clause 0x3
	buffer_load_dword v31, off, s[0:3], 0 offset:144
	buffer_load_dword v32, off, s[0:3], 0 offset:148
	;; [unrolled: 1-line block ×4, first 2 shown]
	ds_read_b128 v[5:8], v70 offset:1808
	s_waitcnt vmcnt(49) lgkmcnt(1)
	v_mul_f64 v[57:58], v[9:10], v[23:24]
	v_mul_f64 v[23:24], v[11:12], v[23:24]
	s_waitcnt vmcnt(48)
	v_fma_f64 v[37:38], v[1:2], v[93:94], -v[37:38]
	v_add_f64 v[15:16], v[15:16], v[19:20]
	v_fma_f64 v[19:20], v[3:4], v[93:94], v[25:26]
	v_add_f64 v[13:14], v[13:14], v[21:22]
	ds_read_b128 v[1:4], v70 offset:1824
	s_waitcnt vmcnt(47) lgkmcnt(1)
	v_mul_f64 v[25:26], v[7:8], v[45:46]
	v_mul_f64 v[21:22], v[5:6], v[45:46]
	s_waitcnt vmcnt(45)
	v_fma_f64 v[23:24], v[9:10], v[41:42], -v[23:24]
	v_add_f64 v[15:16], v[15:16], v[37:38]
	v_fma_f64 v[37:38], v[11:12], v[41:42], v[57:58]
	v_add_f64 v[13:14], v[13:14], v[19:20]
	ds_read_b128 v[9:12], v70 offset:1840
	s_waitcnt vmcnt(41) lgkmcnt(1)
	v_mul_f64 v[19:20], v[1:2], v[29:30]
	v_mul_f64 v[29:30], v[3:4], v[29:30]
	s_waitcnt vmcnt(40)
	v_fma_f64 v[25:26], v[5:6], v[77:78], -v[25:26]
	v_fma_f64 v[21:22], v[7:8], v[77:78], v[21:22]
	ds_read_b128 v[5:8], v70 offset:1856
	v_add_f64 v[15:16], v[15:16], v[23:24]
	v_add_f64 v[13:14], v[13:14], v[37:38]
	s_waitcnt vmcnt(39) lgkmcnt(1)
	v_mul_f64 v[37:38], v[11:12], v[51:52]
	v_mul_f64 v[23:24], v[9:10], v[51:52]
	s_waitcnt vmcnt(37)
	v_fma_f64 v[29:30], v[1:2], v[39:40], -v[29:30]
	v_fma_f64 v[19:20], v[3:4], v[39:40], v[19:20]
	ds_read_b128 v[1:4], v70 offset:1872
	v_add_f64 v[15:16], v[15:16], v[25:26]
	v_add_f64 v[13:14], v[13:14], v[21:22]
	;; [unrolled: 9-line block ×4, first 2 shown]
	s_waitcnt vmcnt(25) lgkmcnt(1)
	v_mul_f64 v[35:36], v[11:12], v[43:44]
	s_waitcnt vmcnt(24)
	v_fma_f64 v[29:30], v[1:2], v[65:66], -v[29:30]
	v_mul_f64 v[23:24], v[9:10], v[43:44]
	v_fma_f64 v[19:20], v[3:4], v[65:66], v[19:20]
	ds_read_b128 v[1:4], v70 offset:1920
	v_add_f64 v[15:16], v[15:16], v[25:26]
	v_add_f64 v[13:14], v[13:14], v[21:22]
	s_waitcnt vmcnt(23) lgkmcnt(1)
	v_mul_f64 v[25:26], v[7:8], v[61:62]
	v_mul_f64 v[21:22], v[5:6], v[61:62]
	s_waitcnt vmcnt(21)
	v_fma_f64 v[35:36], v[9:10], v[17:18], -v[35:36]
	v_fma_f64 v[17:18], v[11:12], v[17:18], v[23:24]
	ds_read_b128 v[9:12], v70 offset:1936
	v_add_f64 v[15:16], v[15:16], v[29:30]
	v_add_f64 v[13:14], v[13:14], v[19:20]
	s_waitcnt vmcnt(17) lgkmcnt(1)
	v_mul_f64 v[23:24], v[3:4], v[49:50]
	s_waitcnt vmcnt(16)
	v_fma_f64 v[25:26], v[5:6], v[67:68], -v[25:26]
	v_mul_f64 v[19:20], v[1:2], v[49:50]
	v_fma_f64 v[21:22], v[7:8], v[67:68], v[21:22]
	ds_read_b128 v[5:8], v70 offset:1952
	v_add_f64 v[15:16], v[15:16], v[35:36]
	v_add_f64 v[13:14], v[13:14], v[17:18]
	s_waitcnt vmcnt(15) lgkmcnt(1)
	v_mul_f64 v[29:30], v[11:12], v[63:64]
	v_mul_f64 v[17:18], v[9:10], v[63:64]
	s_waitcnt vmcnt(13)
	v_fma_f64 v[23:24], v[1:2], v[55:56], -v[23:24]
	v_fma_f64 v[19:20], v[3:4], v[55:56], v[19:20]
	ds_read_b128 v[1:4], v70 offset:1968
	v_add_f64 v[15:16], v[15:16], v[25:26]
	v_add_f64 v[13:14], v[13:14], v[21:22]
	s_waitcnt vmcnt(9) lgkmcnt(1)
	v_mul_f64 v[25:26], v[7:8], v[53:54]
	s_waitcnt vmcnt(8)
	v_fma_f64 v[9:10], v[9:10], v[84:85], -v[29:30]
	v_mul_f64 v[21:22], v[5:6], v[53:54]
	v_fma_f64 v[11:12], v[11:12], v[84:85], v[17:18]
	v_add_f64 v[15:16], v[15:16], v[23:24]
	v_add_f64 v[13:14], v[13:14], v[19:20]
	s_waitcnt vmcnt(7) lgkmcnt(0)
	v_mul_f64 v[19:20], v[3:4], v[73:74]
	v_mul_f64 v[17:18], v[1:2], v[73:74]
	s_waitcnt vmcnt(5)
	v_fma_f64 v[5:6], v[5:6], v[27:28], -v[25:26]
	v_fma_f64 v[7:8], v[7:8], v[27:28], v[21:22]
	v_add_f64 v[9:10], v[15:16], v[9:10]
	v_add_f64 v[11:12], v[13:14], v[11:12]
	s_waitcnt vmcnt(4)
	v_fma_f64 v[1:2], v[1:2], v[123:124], -v[19:20]
	v_fma_f64 v[3:4], v[3:4], v[123:124], v[17:18]
	v_add_f64 v[5:6], v[9:10], v[5:6]
	v_add_f64 v[7:8], v[11:12], v[7:8]
	;; [unrolled: 1-line block ×4, first 2 shown]
	s_waitcnt vmcnt(2)
	v_add_f64 v[1:2], v[31:32], -v[1:2]
	s_waitcnt vmcnt(0)
	v_add_f64 v[3:4], v[33:34], -v[3:4]
	buffer_store_dword v2, off, s[0:3], 0 offset:148
	buffer_store_dword v1, off, s[0:3], 0 offset:144
	;; [unrolled: 1-line block ×4, first 2 shown]
	v_cmpx_lt_u32_e32 7, v0
	s_cbranch_execz .LBB61_383
; %bb.382:
	v_mov_b32_e32 v4, s75
	s_clause 0x3
	buffer_load_dword v1, v4, s[0:3], 0 offen
	buffer_load_dword v2, v4, s[0:3], 0 offen offset:4
	buffer_load_dword v3, v4, s[0:3], 0 offen offset:8
	;; [unrolled: 1-line block ×3, first 2 shown]
	buffer_store_dword v70, off, s[0:3], 0 offset:128
	buffer_store_dword v70, off, s[0:3], 0 offset:132
	;; [unrolled: 1-line block ×4, first 2 shown]
	s_waitcnt vmcnt(0)
	ds_write_b128 v69, v[1:4]
.LBB61_383:
	s_or_b32 exec_lo, exec_lo, s4
	s_waitcnt lgkmcnt(0)
	s_waitcnt_vscnt null, 0x0
	s_barrier
	buffer_gl0_inv
	s_clause 0x37
	buffer_load_dword v17, off, s[0:3], 0 offset:152
	buffer_load_dword v18, off, s[0:3], 0 offset:156
	;; [unrolled: 1-line block ×56, first 2 shown]
	ds_read_b128 v[5:8], v70 offset:1120
	s_clause 0x2
	buffer_load_dword v66, off, s[0:3], 0 offset:380
	buffer_load_dword v68, off, s[0:3], 0 offset:356
	;; [unrolled: 1-line block ×3, first 2 shown]
	ds_read_b128 v[1:4], v70 offset:1136
	s_clause 0x4
	buffer_load_dword v78, off, s[0:3], 0 offset:396
	buffer_load_dword v84, off, s[0:3], 0 offset:408
	;; [unrolled: 1-line block ×5, first 2 shown]
	ds_read_b128 v[71:74], v70 offset:1152
	s_mov_b32 s4, exec_lo
	s_waitcnt vmcnt(62) lgkmcnt(2)
	v_mul_f64 v[75:76], v[7:8], v[17:18]
	v_mul_f64 v[17:18], v[5:6], v[17:18]
	s_waitcnt vmcnt(60) lgkmcnt(1)
	v_mul_f64 v[87:88], v[3:4], v[13:14]
	v_mul_f64 v[13:14], v[1:2], v[13:14]
	;; [unrolled: 3-line block ×3, first 2 shown]
	v_fma_f64 v[75:76], v[5:6], v[15:16], -v[75:76]
	v_fma_f64 v[15:16], v[7:8], v[15:16], v[17:18]
	s_clause 0x2
	buffer_load_dword v85, off, s[0:3], 0 offset:412
	buffer_load_dword v18, off, s[0:3], 0 offset:388
	;; [unrolled: 1-line block ×3, first 2 shown]
	s_waitcnt vmcnt(57)
	v_fma_f64 v[95:96], v[1:2], v[9:10], -v[87:88]
	ds_read_b128 v[5:8], v70 offset:1168
	v_fma_f64 v[9:10], v[3:4], v[9:10], v[13:14]
	s_waitcnt vmcnt(51)
	v_fma_f64 v[71:72], v[71:72], v[33:34], -v[11:12]
	v_fma_f64 v[33:34], v[73:74], v[33:34], v[93:94]
	v_add_f64 v[75:76], v[75:76], 0
	v_add_f64 v[13:14], v[15:16], 0
	s_clause 0x4
	buffer_load_dword v16, off, s[0:3], 0 offset:428
	buffer_load_dword v123, off, s[0:3], 0 offset:440
	;; [unrolled: 1-line block ×5, first 2 shown]
	s_waitcnt lgkmcnt(0)
	v_mul_f64 v[126:127], v[5:6], v[21:22]
	v_mul_f64 v[21:22], v[7:8], v[21:22]
	ds_read_b128 v[1:4], v70 offset:1184
	s_clause 0x2
	buffer_load_dword v124, off, s[0:3], 0 offset:444
	buffer_load_dword v74, off, s[0:3], 0 offset:420
	;; [unrolled: 1-line block ×3, first 2 shown]
	v_add_f64 v[75:76], v[75:76], v[95:96]
	v_add_f64 v[13:14], v[13:14], v[9:10]
	ds_read_b128 v[9:12], v70 offset:1200
	s_waitcnt vmcnt(58) lgkmcnt(1)
	v_mul_f64 v[93:94], v[1:2], v[25:26]
	v_mul_f64 v[25:26], v[3:4], v[25:26]
	s_waitcnt vmcnt(56)
	v_fma_f64 v[21:22], v[5:6], v[27:28], -v[21:22]
	v_fma_f64 v[27:28], v[7:8], v[27:28], v[126:127]
	s_waitcnt vmcnt(52) lgkmcnt(0)
	v_mul_f64 v[127:128], v[9:10], v[29:30]
	v_add_f64 v[71:72], v[75:76], v[71:72]
	v_add_f64 v[13:14], v[13:14], v[33:34]
	s_clause 0x4
	buffer_load_dword v34, off, s[0:3], 0 offset:460
	buffer_load_dword v75, off, s[0:3], 0 offset:472
	;; [unrolled: 1-line block ×5, first 2 shown]
	v_mul_f64 v[29:30], v[11:12], v[29:30]
	s_waitcnt vmcnt(56)
	v_fma_f64 v[25:26], v[1:2], v[19:20], -v[25:26]
	ds_read_b128 v[5:8], v70 offset:1216
	v_fma_f64 v[19:20], v[3:4], v[19:20], v[93:94]
	v_add_f64 v[21:22], v[71:72], v[21:22]
	v_add_f64 v[13:14], v[13:14], v[27:28]
	s_clause 0x2
	buffer_load_dword v76, off, s[0:3], 0 offset:476
	buffer_load_dword v28, off, s[0:3], 0 offset:452
	;; [unrolled: 1-line block ×3, first 2 shown]
	s_waitcnt vmcnt(58) lgkmcnt(0)
	v_mul_f64 v[71:72], v[5:6], v[35:36]
	v_mul_f64 v[35:36], v[7:8], v[35:36]
	s_waitcnt vmcnt(56)
	v_fma_f64 v[29:30], v[9:10], v[37:38], -v[29:30]
	ds_read_b128 v[1:4], v70 offset:1232
	v_add_f64 v[21:22], v[21:22], v[25:26]
	v_fma_f64 v[25:26], v[11:12], v[37:38], v[127:128]
	v_add_f64 v[13:14], v[13:14], v[19:20]
	s_clause 0x4
	buffer_load_dword v20, off, s[0:3], 0 offset:492
	buffer_load_dword v37, off, s[0:3], 0 offset:504
	buffer_load_dword v93, off, s[0:3], 0 offset:496
	buffer_load_dword v19, off, s[0:3], 0 offset:488
	buffer_load_dword v96, off, s[0:3], 0 offset:468
	s_waitcnt vmcnt(57) lgkmcnt(0)
	v_mul_f64 v[127:128], v[1:2], v[39:40]
	v_mul_f64 v[39:40], v[3:4], v[39:40]
	s_waitcnt vmcnt(56)
	v_fma_f64 v[35:36], v[5:6], v[23:24], -v[35:36]
	ds_read_b128 v[9:12], v70 offset:1248
	v_fma_f64 v[23:24], v[7:8], v[23:24], v[71:72]
	v_add_f64 v[21:22], v[21:22], v[29:30]
	v_add_f64 v[13:14], v[13:14], v[25:26]
	s_clause 0x2
	buffer_load_dword v38, off, s[0:3], 0 offset:508
	buffer_load_dword v26, off, s[0:3], 0 offset:484
	;; [unrolled: 1-line block ×3, first 2 shown]
	ds_read_b128 v[5:8], v70 offset:1264
	s_waitcnt vmcnt(58) lgkmcnt(1)
	v_mul_f64 v[29:30], v[9:10], v[43:44]
	v_mul_f64 v[43:44], v[11:12], v[43:44]
	s_waitcnt vmcnt(56)
	v_fma_f64 v[39:40], v[1:2], v[45:46], -v[39:40]
	v_add_f64 v[21:22], v[21:22], v[35:36]
	v_fma_f64 v[35:36], v[3:4], v[45:46], v[127:128]
	v_add_f64 v[13:14], v[13:14], v[23:24]
	s_clause 0x4
	buffer_load_dword v24, off, s[0:3], 0 offset:524
	buffer_load_dword v45, off, s[0:3], 0 offset:536
	;; [unrolled: 1-line block ×5, first 2 shown]
	s_waitcnt vmcnt(57) lgkmcnt(0)
	v_mul_f64 v[127:128], v[5:6], v[47:48]
	v_mul_f64 v[47:48], v[7:8], v[47:48]
	s_waitcnt vmcnt(56)
	v_fma_f64 v[43:44], v[9:10], v[31:32], -v[43:44]
	ds_read_b128 v[1:4], v70 offset:1280
	v_fma_f64 v[29:30], v[11:12], v[31:32], v[29:30]
	s_clause 0x2
	buffer_load_dword v46, off, s[0:3], 0 offset:540
	buffer_load_dword v32, off, s[0:3], 0 offset:516
	buffer_load_dword v31, off, s[0:3], 0 offset:512
	ds_read_b128 v[9:12], v70 offset:1296
	v_add_f64 v[21:22], v[21:22], v[39:40]
	v_add_f64 v[13:14], v[13:14], v[35:36]
	s_waitcnt vmcnt(58) lgkmcnt(1)
	v_mul_f64 v[39:40], v[3:4], v[51:52]
	s_waitcnt vmcnt(56)
	v_fma_f64 v[47:48], v[5:6], v[53:54], -v[47:48]
	v_mul_f64 v[35:36], v[1:2], v[51:52]
	v_add_f64 v[21:22], v[21:22], v[43:44]
	v_fma_f64 v[43:44], v[7:8], v[53:54], v[127:128]
	v_add_f64 v[13:14], v[13:14], v[29:30]
	s_clause 0x4
	buffer_load_dword v30, off, s[0:3], 0 offset:556
	buffer_load_dword v51, off, s[0:3], 0 offset:568
	;; [unrolled: 1-line block ×5, first 2 shown]
	s_waitcnt vmcnt(57) lgkmcnt(0)
	v_mul_f64 v[127:128], v[9:10], v[55:56]
	v_mul_f64 v[54:55], v[11:12], v[55:56]
	s_waitcnt vmcnt(56)
	v_fma_f64 v[39:40], v[1:2], v[41:42], -v[39:40]
	ds_read_b128 v[5:8], v70 offset:1312
	v_fma_f64 v[35:36], v[3:4], v[41:42], v[35:36]
	s_clause 0x2
	buffer_load_dword v52, off, s[0:3], 0 offset:572
	buffer_load_dword v42, off, s[0:3], 0 offset:548
	;; [unrolled: 1-line block ×3, first 2 shown]
	ds_read_b128 v[1:4], v70 offset:1328
	v_add_f64 v[21:22], v[21:22], v[47:48]
	v_add_f64 v[13:14], v[13:14], v[43:44]
	s_waitcnt vmcnt(58) lgkmcnt(1)
	v_mul_f64 v[47:48], v[7:8], v[59:60]
	s_waitcnt vmcnt(56)
	v_fma_f64 v[55:56], v[9:10], v[61:62], -v[54:55]
	v_mul_f64 v[43:44], v[5:6], v[59:60]
	v_add_f64 v[21:22], v[21:22], v[39:40]
	v_fma_f64 v[39:40], v[11:12], v[61:62], v[127:128]
	v_add_f64 v[13:14], v[13:14], v[35:36]
	s_clause 0x4
	buffer_load_dword v36, off, s[0:3], 0 offset:588
	buffer_load_dword v59, off, s[0:3], 0 offset:600
	;; [unrolled: 1-line block ×5, first 2 shown]
	s_waitcnt vmcnt(57) lgkmcnt(0)
	v_mul_f64 v[127:128], v[1:2], v[63:64]
	v_mul_f64 v[62:63], v[3:4], v[63:64]
	s_waitcnt vmcnt(56)
	v_fma_f64 v[47:48], v[5:6], v[49:50], -v[47:48]
	ds_read_b128 v[9:12], v70 offset:1344
	v_fma_f64 v[43:44], v[7:8], v[49:50], v[43:44]
	v_add_f64 v[21:22], v[21:22], v[55:56]
	v_add_f64 v[13:14], v[13:14], v[39:40]
	s_clause 0x2
	buffer_load_dword v60, off, s[0:3], 0 offset:604
	buffer_load_dword v40, off, s[0:3], 0 offset:580
	;; [unrolled: 1-line block ×3, first 2 shown]
	ds_read_b128 v[5:8], v70 offset:1360
	s_waitcnt vmcnt(58) lgkmcnt(1)
	v_mul_f64 v[55:56], v[11:12], v[65:66]
	s_waitcnt vmcnt(56)
	v_fma_f64 v[63:64], v[1:2], v[67:68], -v[62:63]
	v_mul_f64 v[49:50], v[9:10], v[65:66]
	v_add_f64 v[21:22], v[21:22], v[47:48]
	v_fma_f64 v[47:48], v[3:4], v[67:68], v[127:128]
	v_add_f64 v[13:14], v[13:14], v[43:44]
	s_clause 0x4
	buffer_load_dword v44, off, s[0:3], 0 offset:620
	buffer_load_dword v65, off, s[0:3], 0 offset:632
	;; [unrolled: 1-line block ×5, first 2 shown]
	s_waitcnt vmcnt(57) lgkmcnt(0)
	v_mul_f64 v[127:128], v[5:6], v[77:78]
	v_mul_f64 v[77:78], v[7:8], v[77:78]
	s_waitcnt vmcnt(56)
	v_fma_f64 v[55:56], v[9:10], v[57:58], -v[55:56]
	ds_read_b128 v[1:4], v70 offset:1376
	v_fma_f64 v[49:50], v[11:12], v[57:58], v[49:50]
	v_add_f64 v[21:22], v[21:22], v[63:64]
	v_add_f64 v[13:14], v[13:14], v[47:48]
	s_clause 0x2
	buffer_load_dword v66, off, s[0:3], 0 offset:636
	buffer_load_dword v48, off, s[0:3], 0 offset:612
	buffer_load_dword v47, off, s[0:3], 0 offset:608
	ds_read_b128 v[9:12], v70 offset:1392
	s_waitcnt vmcnt(58) lgkmcnt(1)
	v_mul_f64 v[63:64], v[3:4], v[84:85]
	v_mul_f64 v[57:58], v[1:2], v[84:85]
	s_waitcnt vmcnt(56)
	v_fma_f64 v[77:78], v[5:6], v[17:18], -v[77:78]
	v_fma_f64 v[17:18], v[7:8], v[17:18], v[127:128]
	v_add_f64 v[21:22], v[21:22], v[55:56]
	v_add_f64 v[13:14], v[13:14], v[49:50]
	s_clause 0x4
	buffer_load_dword v50, off, s[0:3], 0 offset:652
	buffer_load_dword v55, off, s[0:3], 0 offset:664
	;; [unrolled: 1-line block ×5, first 2 shown]
	ds_read_b128 v[5:8], v70 offset:1408
	s_waitcnt vmcnt(57) lgkmcnt(1)
	v_mul_f64 v[127:128], v[9:10], v[15:16]
	v_mul_f64 v[15:16], v[11:12], v[15:16]
	s_waitcnt vmcnt(56)
	v_fma_f64 v[63:64], v[1:2], v[86:87], -v[63:64]
	v_fma_f64 v[57:58], v[3:4], v[86:87], v[57:58]
	v_add_f64 v[21:22], v[21:22], v[77:78]
	v_add_f64 v[13:14], v[13:14], v[17:18]
	s_clause 0x2
	buffer_load_dword v56, off, s[0:3], 0 offset:668
	buffer_load_dword v18, off, s[0:3], 0 offset:644
	buffer_load_dword v17, off, s[0:3], 0 offset:640
	s_waitcnt vmcnt(58) lgkmcnt(0)
	v_mul_f64 v[86:87], v[7:8], v[123:124]
	ds_read_b128 v[1:4], v70 offset:1424
	v_mul_f64 v[77:78], v[5:6], v[123:124]
	s_waitcnt vmcnt(56)
	v_fma_f64 v[15:16], v[9:10], v[73:74], -v[15:16]
	v_add_f64 v[21:22], v[21:22], v[63:64]
	v_fma_f64 v[63:64], v[11:12], v[73:74], v[127:128]
	v_add_f64 v[13:14], v[13:14], v[57:58]
	s_clause 0x4
	buffer_load_dword v58, off, s[0:3], 0 offset:684
	buffer_load_dword v73, off, s[0:3], 0 offset:696
	;; [unrolled: 1-line block ×5, first 2 shown]
	ds_read_b128 v[9:12], v70 offset:1440
	s_waitcnt vmcnt(57) lgkmcnt(1)
	v_mul_f64 v[127:128], v[1:2], v[33:34]
	v_mul_f64 v[33:34], v[3:4], v[33:34]
	s_waitcnt vmcnt(56)
	v_fma_f64 v[86:87], v[5:6], v[125:126], -v[86:87]
	v_add_f64 v[15:16], v[21:22], v[15:16]
	v_fma_f64 v[21:22], v[7:8], v[125:126], v[77:78]
	v_add_f64 v[13:14], v[13:14], v[63:64]
	s_clause 0x2
	buffer_load_dword v74, off, s[0:3], 0 offset:700
	buffer_load_dword v64, off, s[0:3], 0 offset:676
	;; [unrolled: 1-line block ×3, first 2 shown]
	ds_read_b128 v[5:8], v70 offset:1456
	s_waitcnt vmcnt(58) lgkmcnt(1)
	v_mul_f64 v[77:78], v[9:10], v[75:76]
	v_mul_f64 v[75:76], v[11:12], v[75:76]
	s_waitcnt vmcnt(56)
	v_fma_f64 v[33:34], v[1:2], v[27:28], -v[33:34]
	v_fma_f64 v[27:28], v[3:4], v[27:28], v[127:128]
	v_add_f64 v[15:16], v[15:16], v[86:87]
	v_add_f64 v[13:14], v[13:14], v[21:22]
	s_clause 0x4
	buffer_load_dword v22, off, s[0:3], 0 offset:716
	buffer_load_dword v86, off, s[0:3], 0 offset:728
	;; [unrolled: 1-line block ×5, first 2 shown]
	ds_read_b128 v[1:4], v70 offset:1472
	s_waitcnt vmcnt(57) lgkmcnt(1)
	v_mul_f64 v[126:127], v[5:6], v[19:20]
	v_mul_f64 v[19:20], v[7:8], v[19:20]
	s_waitcnt vmcnt(56)
	v_fma_f64 v[75:76], v[9:10], v[95:96], -v[75:76]
	v_add_f64 v[15:16], v[15:16], v[33:34]
	v_fma_f64 v[33:34], v[11:12], v[95:96], v[77:78]
	v_add_f64 v[13:14], v[13:14], v[27:28]
	s_clause 0x2
	buffer_load_dword v87, off, s[0:3], 0 offset:732
	buffer_load_dword v28, off, s[0:3], 0 offset:708
	;; [unrolled: 1-line block ×3, first 2 shown]
	ds_read_b128 v[9:12], v70 offset:1488
	s_waitcnt vmcnt(58) lgkmcnt(1)
	v_mul_f64 v[77:78], v[1:2], v[37:38]
	v_mul_f64 v[37:38], v[3:4], v[37:38]
	s_waitcnt vmcnt(56)
	v_fma_f64 v[19:20], v[5:6], v[25:26], -v[19:20]
	v_fma_f64 v[25:26], v[7:8], v[25:26], v[126:127]
	v_add_f64 v[15:16], v[15:16], v[75:76]
	v_add_f64 v[13:14], v[13:14], v[33:34]
	s_clause 0x4
	buffer_load_dword v34, off, s[0:3], 0 offset:748
	buffer_load_dword v75, off, s[0:3], 0 offset:760
	;; [unrolled: 1-line block ×5, first 2 shown]
	ds_read_b128 v[5:8], v70 offset:1504
	s_waitcnt vmcnt(57) lgkmcnt(1)
	v_mul_f64 v[127:128], v[9:10], v[23:24]
	v_mul_f64 v[23:24], v[11:12], v[23:24]
	s_waitcnt vmcnt(56)
	v_fma_f64 v[37:38], v[1:2], v[93:94], -v[37:38]
	v_add_f64 v[15:16], v[15:16], v[19:20]
	v_fma_f64 v[19:20], v[3:4], v[93:94], v[77:78]
	v_add_f64 v[13:14], v[13:14], v[25:26]
	s_clause 0x2
	buffer_load_dword v76, off, s[0:3], 0 offset:764
	buffer_load_dword v26, off, s[0:3], 0 offset:740
	;; [unrolled: 1-line block ×3, first 2 shown]
	s_waitcnt vmcnt(58) lgkmcnt(0)
	v_mul_f64 v[77:78], v[5:6], v[45:46]
	v_mul_f64 v[45:46], v[7:8], v[45:46]
	ds_read_b128 v[1:4], v70 offset:1520
	s_waitcnt vmcnt(56)
	v_fma_f64 v[23:24], v[9:10], v[31:32], -v[23:24]
	v_fma_f64 v[31:32], v[11:12], v[31:32], v[127:128]
	v_add_f64 v[15:16], v[15:16], v[37:38]
	v_add_f64 v[13:14], v[13:14], v[19:20]
	s_clause 0x4
	buffer_load_dword v20, off, s[0:3], 0 offset:780
	buffer_load_dword v37, off, s[0:3], 0 offset:792
	;; [unrolled: 1-line block ×5, first 2 shown]
	ds_read_b128 v[9:12], v70 offset:1536
	s_waitcnt vmcnt(57) lgkmcnt(1)
	v_mul_f64 v[127:128], v[1:2], v[29:30]
	v_mul_f64 v[29:30], v[3:4], v[29:30]
	s_waitcnt vmcnt(56)
	v_fma_f64 v[45:46], v[5:6], v[71:72], -v[45:46]
	v_add_f64 v[15:16], v[15:16], v[23:24]
	v_fma_f64 v[23:24], v[7:8], v[71:72], v[77:78]
	v_add_f64 v[13:14], v[13:14], v[31:32]
	s_clause 0x2
	buffer_load_dword v38, off, s[0:3], 0 offset:796
	buffer_load_dword v32, off, s[0:3], 0 offset:772
	;; [unrolled: 1-line block ×3, first 2 shown]
	s_waitcnt vmcnt(58) lgkmcnt(0)
	v_mul_f64 v[71:72], v[9:10], v[51:52]
	v_mul_f64 v[51:52], v[11:12], v[51:52]
	ds_read_b128 v[5:8], v70 offset:1552
	s_waitcnt vmcnt(56)
	v_fma_f64 v[29:30], v[1:2], v[41:42], -v[29:30]
	v_fma_f64 v[41:42], v[3:4], v[41:42], v[127:128]
	v_add_f64 v[15:16], v[15:16], v[45:46]
	v_add_f64 v[13:14], v[13:14], v[23:24]
	s_clause 0x4
	buffer_load_dword v24, off, s[0:3], 0 offset:812
	buffer_load_dword v45, off, s[0:3], 0 offset:824
	buffer_load_dword v77, off, s[0:3], 0 offset:816
	buffer_load_dword v23, off, s[0:3], 0 offset:808
	buffer_load_dword v94, off, s[0:3], 0 offset:788
	ds_read_b128 v[1:4], v70 offset:1568
	s_waitcnt vmcnt(57) lgkmcnt(1)
	v_mul_f64 v[78:79], v[5:6], v[35:36]
	v_mul_f64 v[35:36], v[7:8], v[35:36]
	s_waitcnt vmcnt(56)
	v_fma_f64 v[51:52], v[9:10], v[53:54], -v[51:52]
	v_add_f64 v[15:16], v[15:16], v[29:30]
	v_fma_f64 v[29:30], v[11:12], v[53:54], v[71:72]
	v_add_f64 v[13:14], v[13:14], v[41:42]
	s_clause 0x2
	buffer_load_dword v46, off, s[0:3], 0 offset:828
	buffer_load_dword v42, off, s[0:3], 0 offset:804
	buffer_load_dword v41, off, s[0:3], 0 offset:800
	ds_read_b128 v[9:12], v70 offset:1584
	s_waitcnt vmcnt(58) lgkmcnt(1)
	v_mul_f64 v[53:54], v[1:2], v[59:60]
	v_mul_f64 v[59:60], v[3:4], v[59:60]
	s_waitcnt vmcnt(56)
	v_fma_f64 v[35:36], v[5:6], v[39:40], -v[35:36]
	v_fma_f64 v[39:40], v[7:8], v[39:40], v[78:79]
	v_add_f64 v[15:16], v[15:16], v[51:52]
	v_add_f64 v[13:14], v[13:14], v[29:30]
	s_clause 0x4
	buffer_load_dword v30, off, s[0:3], 0 offset:844
	buffer_load_dword v51, off, s[0:3], 0 offset:856
	buffer_load_dword v71, off, s[0:3], 0 offset:848
	buffer_load_dword v29, off, s[0:3], 0 offset:840
	buffer_load_dword v78, off, s[0:3], 0 offset:820
	ds_read_b128 v[5:8], v70 offset:1600
	s_waitcnt vmcnt(57) lgkmcnt(1)
	v_mul_f64 v[127:128], v[9:10], v[43:44]
	v_mul_f64 v[43:44], v[11:12], v[43:44]
	s_waitcnt vmcnt(56)
	v_fma_f64 v[59:60], v[1:2], v[61:62], -v[59:60]
	v_add_f64 v[15:16], v[15:16], v[35:36]
	v_fma_f64 v[35:36], v[3:4], v[61:62], v[53:54]
	v_add_f64 v[13:14], v[13:14], v[39:40]
	s_clause 0x2
	buffer_load_dword v52, off, s[0:3], 0 offset:860
	buffer_load_dword v40, off, s[0:3], 0 offset:836
	buffer_load_dword v39, off, s[0:3], 0 offset:832
	ds_read_b128 v[1:4], v70 offset:1616
	s_waitcnt vmcnt(58) lgkmcnt(1)
	v_mul_f64 v[61:62], v[7:8], v[65:66]
	v_mul_f64 v[53:54], v[5:6], v[65:66]
	;; [unrolled: 28-line block ×4, first 2 shown]
	s_waitcnt vmcnt(56)
	v_fma_f64 v[57:58], v[5:6], v[63:64], -v[57:58]
	v_add_f64 v[15:16], v[15:16], v[55:56]
	v_fma_f64 v[55:56], v[7:8], v[63:64], v[127:128]
	v_add_f64 v[13:14], v[13:14], v[49:50]
	s_clause 0x4
	buffer_load_dword v50, off, s[0:3], 0 offset:940
	buffer_load_dword v63, off, s[0:3], 0 offset:952
	;; [unrolled: 1-line block ×5, first 2 shown]
	ds_read_b128 v[5:8], v70 offset:1696
	s_waitcnt vmcnt(57) lgkmcnt(1)
	v_mul_f64 v[127:128], v[9:10], v[21:22]
	v_mul_f64 v[21:22], v[11:12], v[21:22]
	s_waitcnt vmcnt(56)
	v_fma_f64 v[73:74], v[1:2], v[123:124], -v[73:74]
	v_fma_f64 v[53:54], v[3:4], v[123:124], v[53:54]
	v_add_f64 v[15:16], v[15:16], v[57:58]
	v_add_f64 v[13:14], v[13:14], v[55:56]
	s_clause 0x2
	buffer_load_dword v64, off, s[0:3], 0 offset:956
	buffer_load_dword v56, off, s[0:3], 0 offset:932
	;; [unrolled: 1-line block ×3, first 2 shown]
	ds_read_b128 v[1:4], v70 offset:1712
	s_waitcnt vmcnt(58) lgkmcnt(1)
	v_mul_f64 v[57:58], v[5:6], v[86:87]
	v_mul_f64 v[86:87], v[7:8], v[86:87]
	s_waitcnt vmcnt(56)
	v_fma_f64 v[21:22], v[9:10], v[27:28], -v[21:22]
	v_fma_f64 v[27:28], v[11:12], v[27:28], v[127:128]
	v_add_f64 v[15:16], v[15:16], v[73:74]
	v_add_f64 v[13:14], v[13:14], v[53:54]
	s_clause 0x4
	buffer_load_dword v54, off, s[0:3], 0 offset:972
	buffer_load_dword v73, off, s[0:3], 0 offset:984
	;; [unrolled: 1-line block ×5, first 2 shown]
	ds_read_b128 v[9:12], v70 offset:1728
	s_waitcnt vmcnt(57) lgkmcnt(1)
	v_mul_f64 v[127:128], v[1:2], v[33:34]
	v_mul_f64 v[33:34], v[3:4], v[33:34]
	s_waitcnt vmcnt(56)
	v_fma_f64 v[86:87], v[5:6], v[125:126], -v[86:87]
	v_add_f64 v[15:16], v[15:16], v[21:22]
	v_fma_f64 v[21:22], v[7:8], v[125:126], v[57:58]
	v_add_f64 v[13:14], v[13:14], v[27:28]
	s_clause 0x2
	buffer_load_dword v74, off, s[0:3], 0 offset:988
	buffer_load_dword v28, off, s[0:3], 0 offset:964
	;; [unrolled: 1-line block ×3, first 2 shown]
	ds_read_b128 v[5:8], v70 offset:1744
	s_waitcnt vmcnt(58) lgkmcnt(1)
	v_mul_f64 v[57:58], v[9:10], v[75:76]
	v_mul_f64 v[75:76], v[11:12], v[75:76]
	s_waitcnt vmcnt(56)
	v_fma_f64 v[33:34], v[1:2], v[25:26], -v[33:34]
	v_fma_f64 v[25:26], v[3:4], v[25:26], v[127:128]
	v_add_f64 v[15:16], v[15:16], v[86:87]
	v_add_f64 v[13:14], v[13:14], v[21:22]
	s_clause 0x2
	buffer_load_dword v22, off, s[0:3], 0 offset:1004
	buffer_load_dword v21, off, s[0:3], 0 offset:1000
	;; [unrolled: 1-line block ×3, first 2 shown]
	ds_read_b128 v[1:4], v70 offset:1760
	s_waitcnt vmcnt(55) lgkmcnt(1)
	v_mul_f64 v[86:87], v[5:6], v[19:20]
	v_mul_f64 v[19:20], v[7:8], v[19:20]
	s_waitcnt vmcnt(54)
	v_fma_f64 v[75:76], v[9:10], v[95:96], -v[75:76]
	v_add_f64 v[15:16], v[15:16], v[33:34]
	v_fma_f64 v[33:34], v[11:12], v[95:96], v[57:58]
	v_add_f64 v[13:14], v[13:14], v[25:26]
	s_clause 0x1
	buffer_load_dword v26, off, s[0:3], 0 offset:996
	buffer_load_dword v25, off, s[0:3], 0 offset:992
	ds_read_b128 v[9:12], v70 offset:1776
	s_waitcnt vmcnt(55) lgkmcnt(1)
	v_mul_f64 v[57:58], v[1:2], v[37:38]
	v_mul_f64 v[37:38], v[3:4], v[37:38]
	s_waitcnt vmcnt(53)
	v_fma_f64 v[19:20], v[5:6], v[31:32], -v[19:20]
	v_fma_f64 v[31:32], v[7:8], v[31:32], v[86:87]
	ds_read_b128 v[5:8], v70 offset:1792
	v_add_f64 v[15:16], v[15:16], v[75:76]
	v_add_f64 v[13:14], v[13:14], v[33:34]
	s_waitcnt vmcnt(49) lgkmcnt(1)
	v_mul_f64 v[33:34], v[9:10], v[23:24]
	v_mul_f64 v[23:24], v[11:12], v[23:24]
	s_waitcnt vmcnt(48)
	v_fma_f64 v[37:38], v[1:2], v[93:94], -v[37:38]
	v_add_f64 v[15:16], v[15:16], v[19:20]
	v_fma_f64 v[19:20], v[3:4], v[93:94], v[57:58]
	v_add_f64 v[13:14], v[13:14], v[31:32]
	s_clause 0x3
	buffer_load_dword v31, off, s[0:3], 0 offset:128
	buffer_load_dword v32, off, s[0:3], 0 offset:132
	;; [unrolled: 1-line block ×4, first 2 shown]
	ds_read_b128 v[1:4], v70 offset:1808
	s_waitcnt vmcnt(51) lgkmcnt(1)
	v_mul_f64 v[75:76], v[5:6], v[45:46]
	v_mul_f64 v[45:46], v[7:8], v[45:46]
	s_waitcnt vmcnt(49)
	v_fma_f64 v[23:24], v[9:10], v[41:42], -v[23:24]
	v_fma_f64 v[33:34], v[11:12], v[41:42], v[33:34]
	ds_read_b128 v[9:12], v70 offset:1824
	v_add_f64 v[15:16], v[15:16], v[37:38]
	v_add_f64 v[13:14], v[13:14], v[19:20]
	s_waitcnt vmcnt(45) lgkmcnt(1)
	v_mul_f64 v[19:20], v[1:2], v[29:30]
	v_mul_f64 v[29:30], v[3:4], v[29:30]
	s_waitcnt vmcnt(44)
	v_fma_f64 v[37:38], v[5:6], v[77:78], -v[45:46]
	v_add_f64 v[15:16], v[15:16], v[23:24]
	v_fma_f64 v[23:24], v[7:8], v[77:78], v[75:76]
	v_add_f64 v[13:14], v[13:14], v[33:34]
	ds_read_b128 v[5:8], v70 offset:1840
	s_waitcnt vmcnt(43) lgkmcnt(1)
	v_mul_f64 v[41:42], v[11:12], v[51:52]
	v_mul_f64 v[33:34], v[9:10], v[51:52]
	s_waitcnt vmcnt(41)
	v_fma_f64 v[29:30], v[1:2], v[39:40], -v[29:30]
	v_fma_f64 v[19:20], v[3:4], v[39:40], v[19:20]
	ds_read_b128 v[1:4], v70 offset:1856
	v_add_f64 v[15:16], v[15:16], v[37:38]
	v_add_f64 v[13:14], v[13:14], v[23:24]
	s_waitcnt vmcnt(37) lgkmcnt(1)
	v_mul_f64 v[23:24], v[5:6], v[35:36]
	v_mul_f64 v[35:36], v[7:8], v[35:36]
	s_waitcnt vmcnt(36)
	v_fma_f64 v[37:38], v[9:10], v[71:72], -v[41:42]
	v_add_f64 v[15:16], v[15:16], v[29:30]
	v_fma_f64 v[29:30], v[11:12], v[71:72], v[33:34]
	v_add_f64 v[13:14], v[13:14], v[19:20]
	ds_read_b128 v[9:12], v70 offset:1872
	s_waitcnt vmcnt(35) lgkmcnt(1)
	v_mul_f64 v[33:34], v[3:4], v[59:60]
	v_mul_f64 v[19:20], v[1:2], v[59:60]
	s_waitcnt vmcnt(33)
	v_fma_f64 v[35:36], v[5:6], v[47:48], -v[35:36]
	v_fma_f64 v[23:24], v[7:8], v[47:48], v[23:24]
	ds_read_b128 v[5:8], v70 offset:1888
	v_add_f64 v[15:16], v[15:16], v[37:38]
	v_add_f64 v[13:14], v[13:14], v[29:30]
	s_waitcnt vmcnt(29) lgkmcnt(1)
	v_mul_f64 v[37:38], v[11:12], v[43:44]
	s_waitcnt vmcnt(28)
	v_fma_f64 v[33:34], v[1:2], v[65:66], -v[33:34]
	v_mul_f64 v[29:30], v[9:10], v[43:44]
	v_fma_f64 v[19:20], v[3:4], v[65:66], v[19:20]
	ds_read_b128 v[1:4], v70 offset:1904
	v_add_f64 v[15:16], v[15:16], v[35:36]
	v_add_f64 v[13:14], v[13:14], v[23:24]
	s_waitcnt vmcnt(27) lgkmcnt(1)
	v_mul_f64 v[35:36], v[7:8], v[61:62]
	v_mul_f64 v[23:24], v[5:6], v[61:62]
	s_waitcnt vmcnt(25)
	v_fma_f64 v[37:38], v[9:10], v[17:18], -v[37:38]
	v_fma_f64 v[17:18], v[11:12], v[17:18], v[29:30]
	ds_read_b128 v[9:12], v70 offset:1920
	v_add_f64 v[15:16], v[15:16], v[33:34]
	v_add_f64 v[13:14], v[13:14], v[19:20]
	s_waitcnt vmcnt(21) lgkmcnt(1)
	v_mul_f64 v[29:30], v[3:4], v[49:50]
	s_waitcnt vmcnt(20)
	v_fma_f64 v[33:34], v[5:6], v[67:68], -v[35:36]
	v_mul_f64 v[19:20], v[1:2], v[49:50]
	v_fma_f64 v[23:24], v[7:8], v[67:68], v[23:24]
	ds_read_b128 v[5:8], v70 offset:1936
	v_add_f64 v[15:16], v[15:16], v[37:38]
	v_add_f64 v[13:14], v[13:14], v[17:18]
	;; [unrolled: 18-line block ×3, first 2 shown]
	s_waitcnt vmcnt(11) lgkmcnt(1)
	v_mul_f64 v[29:30], v[3:4], v[73:74]
	v_mul_f64 v[19:20], v[1:2], v[73:74]
	s_waitcnt vmcnt(9)
	v_fma_f64 v[5:6], v[5:6], v[27:28], -v[33:34]
	v_fma_f64 v[7:8], v[7:8], v[27:28], v[23:24]
	v_add_f64 v[15:16], v[15:16], v[35:36]
	v_add_f64 v[13:14], v[13:14], v[17:18]
	s_waitcnt vmcnt(7) lgkmcnt(0)
	v_mul_f64 v[17:18], v[9:10], v[21:22]
	v_mul_f64 v[21:22], v[11:12], v[21:22]
	s_waitcnt vmcnt(6)
	v_fma_f64 v[1:2], v[1:2], v[123:124], -v[29:30]
	v_fma_f64 v[3:4], v[3:4], v[123:124], v[19:20]
	v_add_f64 v[5:6], v[15:16], v[5:6]
	v_add_f64 v[7:8], v[13:14], v[7:8]
	s_waitcnt vmcnt(4)
	v_fma_f64 v[9:10], v[9:10], v[25:26], -v[21:22]
	v_add_f64 v[1:2], v[5:6], v[1:2]
	v_fma_f64 v[5:6], v[11:12], v[25:26], v[17:18]
	v_add_f64 v[3:4], v[7:8], v[3:4]
	v_add_f64 v[1:2], v[1:2], v[9:10]
	;; [unrolled: 1-line block ×3, first 2 shown]
	s_waitcnt vmcnt(2)
	v_add_f64 v[1:2], v[31:32], -v[1:2]
	s_waitcnt vmcnt(0)
	v_add_f64 v[3:4], v[57:58], -v[3:4]
	buffer_store_dword v2, off, s[0:3], 0 offset:132
	buffer_store_dword v1, off, s[0:3], 0 offset:128
	buffer_store_dword v4, off, s[0:3], 0 offset:140
	buffer_store_dword v3, off, s[0:3], 0 offset:136
	v_cmpx_lt_u32_e32 6, v0
	s_cbranch_execz .LBB61_385
; %bb.384:
	v_mov_b32_e32 v4, s59
	v_mov_b32_e32 v5, 0
	s_clause 0x3
	buffer_load_dword v1, v4, s[0:3], 0 offen
	buffer_load_dword v2, v4, s[0:3], 0 offen offset:4
	buffer_load_dword v3, v4, s[0:3], 0 offen offset:8
	;; [unrolled: 1-line block ×3, first 2 shown]
	buffer_store_dword v5, off, s[0:3], 0 offset:112
	buffer_store_dword v5, off, s[0:3], 0 offset:116
	;; [unrolled: 1-line block ×4, first 2 shown]
	s_waitcnt vmcnt(0)
	ds_write_b128 v69, v[1:4]
.LBB61_385:
	s_or_b32 exec_lo, exec_lo, s4
	s_waitcnt lgkmcnt(0)
	s_waitcnt_vscnt null, 0x0
	s_barrier
	buffer_gl0_inv
	s_clause 0x37
	buffer_load_dword v17, off, s[0:3], 0 offset:136
	buffer_load_dword v18, off, s[0:3], 0 offset:140
	;; [unrolled: 1-line block ×56, first 2 shown]
	v_mov_b32_e32 v70, 0
	s_mov_b32 s4, exec_lo
	ds_read_b128 v[5:8], v70 offset:1104
	s_clause 0x2
	buffer_load_dword v66, off, s[0:3], 0 offset:364
	buffer_load_dword v68, off, s[0:3], 0 offset:340
	;; [unrolled: 1-line block ×3, first 2 shown]
	ds_read_b128 v[1:4], v70 offset:1120
	s_clause 0x4
	buffer_load_dword v78, off, s[0:3], 0 offset:380
	buffer_load_dword v84, off, s[0:3], 0 offset:392
	;; [unrolled: 1-line block ×5, first 2 shown]
	ds_read_b128 v[71:74], v70 offset:1136
	s_waitcnt vmcnt(62) lgkmcnt(2)
	v_mul_f64 v[75:76], v[7:8], v[17:18]
	v_mul_f64 v[17:18], v[5:6], v[17:18]
	s_waitcnt vmcnt(60) lgkmcnt(1)
	v_mul_f64 v[87:88], v[3:4], v[13:14]
	v_mul_f64 v[13:14], v[1:2], v[13:14]
	;; [unrolled: 3-line block ×3, first 2 shown]
	v_fma_f64 v[75:76], v[5:6], v[15:16], -v[75:76]
	v_fma_f64 v[15:16], v[7:8], v[15:16], v[17:18]
	s_clause 0x2
	buffer_load_dword v85, off, s[0:3], 0 offset:396
	buffer_load_dword v18, off, s[0:3], 0 offset:372
	;; [unrolled: 1-line block ×3, first 2 shown]
	s_waitcnt vmcnt(57)
	v_fma_f64 v[95:96], v[1:2], v[9:10], -v[87:88]
	ds_read_b128 v[5:8], v70 offset:1152
	v_fma_f64 v[9:10], v[3:4], v[9:10], v[13:14]
	s_waitcnt vmcnt(51)
	v_fma_f64 v[71:72], v[71:72], v[33:34], -v[11:12]
	v_fma_f64 v[33:34], v[73:74], v[33:34], v[93:94]
	v_add_f64 v[75:76], v[75:76], 0
	v_add_f64 v[13:14], v[15:16], 0
	s_clause 0x4
	buffer_load_dword v16, off, s[0:3], 0 offset:412
	buffer_load_dword v123, off, s[0:3], 0 offset:424
	;; [unrolled: 1-line block ×5, first 2 shown]
	s_waitcnt lgkmcnt(0)
	v_mul_f64 v[126:127], v[5:6], v[21:22]
	v_mul_f64 v[21:22], v[7:8], v[21:22]
	ds_read_b128 v[1:4], v70 offset:1168
	s_clause 0x2
	buffer_load_dword v124, off, s[0:3], 0 offset:428
	buffer_load_dword v74, off, s[0:3], 0 offset:404
	;; [unrolled: 1-line block ×3, first 2 shown]
	v_add_f64 v[75:76], v[75:76], v[95:96]
	v_add_f64 v[13:14], v[13:14], v[9:10]
	ds_read_b128 v[9:12], v70 offset:1184
	s_waitcnt vmcnt(58) lgkmcnt(1)
	v_mul_f64 v[93:94], v[1:2], v[25:26]
	v_mul_f64 v[25:26], v[3:4], v[25:26]
	s_waitcnt vmcnt(56)
	v_fma_f64 v[21:22], v[5:6], v[27:28], -v[21:22]
	v_fma_f64 v[27:28], v[7:8], v[27:28], v[126:127]
	s_waitcnt vmcnt(52) lgkmcnt(0)
	v_mul_f64 v[127:128], v[9:10], v[29:30]
	v_add_f64 v[71:72], v[75:76], v[71:72]
	v_add_f64 v[13:14], v[13:14], v[33:34]
	s_clause 0x4
	buffer_load_dword v34, off, s[0:3], 0 offset:444
	buffer_load_dword v75, off, s[0:3], 0 offset:456
	;; [unrolled: 1-line block ×5, first 2 shown]
	v_mul_f64 v[29:30], v[11:12], v[29:30]
	s_waitcnt vmcnt(56)
	v_fma_f64 v[25:26], v[1:2], v[19:20], -v[25:26]
	ds_read_b128 v[5:8], v70 offset:1200
	v_fma_f64 v[19:20], v[3:4], v[19:20], v[93:94]
	v_add_f64 v[21:22], v[71:72], v[21:22]
	v_add_f64 v[13:14], v[13:14], v[27:28]
	s_clause 0x2
	buffer_load_dword v76, off, s[0:3], 0 offset:460
	buffer_load_dword v28, off, s[0:3], 0 offset:436
	;; [unrolled: 1-line block ×3, first 2 shown]
	s_waitcnt vmcnt(58) lgkmcnt(0)
	v_mul_f64 v[71:72], v[5:6], v[35:36]
	v_mul_f64 v[35:36], v[7:8], v[35:36]
	s_waitcnt vmcnt(56)
	v_fma_f64 v[29:30], v[9:10], v[37:38], -v[29:30]
	ds_read_b128 v[1:4], v70 offset:1216
	v_add_f64 v[21:22], v[21:22], v[25:26]
	v_fma_f64 v[25:26], v[11:12], v[37:38], v[127:128]
	v_add_f64 v[13:14], v[13:14], v[19:20]
	s_clause 0x4
	buffer_load_dword v20, off, s[0:3], 0 offset:476
	buffer_load_dword v37, off, s[0:3], 0 offset:488
	;; [unrolled: 1-line block ×5, first 2 shown]
	s_waitcnt vmcnt(57) lgkmcnt(0)
	v_mul_f64 v[127:128], v[1:2], v[39:40]
	v_mul_f64 v[39:40], v[3:4], v[39:40]
	s_waitcnt vmcnt(56)
	v_fma_f64 v[35:36], v[5:6], v[23:24], -v[35:36]
	ds_read_b128 v[9:12], v70 offset:1232
	v_fma_f64 v[23:24], v[7:8], v[23:24], v[71:72]
	v_add_f64 v[21:22], v[21:22], v[29:30]
	v_add_f64 v[13:14], v[13:14], v[25:26]
	s_clause 0x2
	buffer_load_dword v38, off, s[0:3], 0 offset:492
	buffer_load_dword v26, off, s[0:3], 0 offset:468
	;; [unrolled: 1-line block ×3, first 2 shown]
	ds_read_b128 v[5:8], v70 offset:1248
	s_waitcnt vmcnt(58) lgkmcnt(1)
	v_mul_f64 v[29:30], v[9:10], v[43:44]
	v_mul_f64 v[43:44], v[11:12], v[43:44]
	s_waitcnt vmcnt(56)
	v_fma_f64 v[39:40], v[1:2], v[45:46], -v[39:40]
	v_add_f64 v[21:22], v[21:22], v[35:36]
	v_fma_f64 v[35:36], v[3:4], v[45:46], v[127:128]
	v_add_f64 v[13:14], v[13:14], v[23:24]
	s_clause 0x4
	buffer_load_dword v24, off, s[0:3], 0 offset:508
	buffer_load_dword v45, off, s[0:3], 0 offset:520
	;; [unrolled: 1-line block ×5, first 2 shown]
	s_waitcnt vmcnt(57) lgkmcnt(0)
	v_mul_f64 v[127:128], v[5:6], v[47:48]
	v_mul_f64 v[47:48], v[7:8], v[47:48]
	s_waitcnt vmcnt(56)
	v_fma_f64 v[43:44], v[9:10], v[31:32], -v[43:44]
	ds_read_b128 v[1:4], v70 offset:1264
	v_fma_f64 v[29:30], v[11:12], v[31:32], v[29:30]
	s_clause 0x2
	buffer_load_dword v46, off, s[0:3], 0 offset:524
	buffer_load_dword v32, off, s[0:3], 0 offset:500
	buffer_load_dword v31, off, s[0:3], 0 offset:496
	ds_read_b128 v[9:12], v70 offset:1280
	v_add_f64 v[21:22], v[21:22], v[39:40]
	v_add_f64 v[13:14], v[13:14], v[35:36]
	s_waitcnt vmcnt(58) lgkmcnt(1)
	v_mul_f64 v[39:40], v[3:4], v[51:52]
	s_waitcnt vmcnt(56)
	v_fma_f64 v[47:48], v[5:6], v[53:54], -v[47:48]
	v_mul_f64 v[35:36], v[1:2], v[51:52]
	v_add_f64 v[21:22], v[21:22], v[43:44]
	v_fma_f64 v[43:44], v[7:8], v[53:54], v[127:128]
	v_add_f64 v[13:14], v[13:14], v[29:30]
	s_clause 0x4
	buffer_load_dword v30, off, s[0:3], 0 offset:540
	buffer_load_dword v51, off, s[0:3], 0 offset:552
	;; [unrolled: 1-line block ×5, first 2 shown]
	s_waitcnt vmcnt(57) lgkmcnt(0)
	v_mul_f64 v[127:128], v[9:10], v[55:56]
	v_mul_f64 v[54:55], v[11:12], v[55:56]
	s_waitcnt vmcnt(56)
	v_fma_f64 v[39:40], v[1:2], v[41:42], -v[39:40]
	ds_read_b128 v[5:8], v70 offset:1296
	v_fma_f64 v[35:36], v[3:4], v[41:42], v[35:36]
	s_clause 0x2
	buffer_load_dword v52, off, s[0:3], 0 offset:556
	buffer_load_dword v42, off, s[0:3], 0 offset:532
	;; [unrolled: 1-line block ×3, first 2 shown]
	ds_read_b128 v[1:4], v70 offset:1312
	v_add_f64 v[21:22], v[21:22], v[47:48]
	v_add_f64 v[13:14], v[13:14], v[43:44]
	s_waitcnt vmcnt(58) lgkmcnt(1)
	v_mul_f64 v[47:48], v[7:8], v[59:60]
	s_waitcnt vmcnt(56)
	v_fma_f64 v[55:56], v[9:10], v[61:62], -v[54:55]
	v_mul_f64 v[43:44], v[5:6], v[59:60]
	v_add_f64 v[21:22], v[21:22], v[39:40]
	v_fma_f64 v[39:40], v[11:12], v[61:62], v[127:128]
	v_add_f64 v[13:14], v[13:14], v[35:36]
	s_clause 0x4
	buffer_load_dword v36, off, s[0:3], 0 offset:572
	buffer_load_dword v59, off, s[0:3], 0 offset:584
	;; [unrolled: 1-line block ×5, first 2 shown]
	s_waitcnt vmcnt(57) lgkmcnt(0)
	v_mul_f64 v[127:128], v[1:2], v[63:64]
	v_mul_f64 v[62:63], v[3:4], v[63:64]
	s_waitcnt vmcnt(56)
	v_fma_f64 v[47:48], v[5:6], v[49:50], -v[47:48]
	ds_read_b128 v[9:12], v70 offset:1328
	v_fma_f64 v[43:44], v[7:8], v[49:50], v[43:44]
	v_add_f64 v[21:22], v[21:22], v[55:56]
	v_add_f64 v[13:14], v[13:14], v[39:40]
	s_clause 0x2
	buffer_load_dword v60, off, s[0:3], 0 offset:588
	buffer_load_dword v40, off, s[0:3], 0 offset:564
	;; [unrolled: 1-line block ×3, first 2 shown]
	ds_read_b128 v[5:8], v70 offset:1344
	s_waitcnt vmcnt(58) lgkmcnt(1)
	v_mul_f64 v[55:56], v[11:12], v[65:66]
	s_waitcnt vmcnt(56)
	v_fma_f64 v[63:64], v[1:2], v[67:68], -v[62:63]
	v_mul_f64 v[49:50], v[9:10], v[65:66]
	v_add_f64 v[21:22], v[21:22], v[47:48]
	v_fma_f64 v[47:48], v[3:4], v[67:68], v[127:128]
	v_add_f64 v[13:14], v[13:14], v[43:44]
	s_clause 0x4
	buffer_load_dword v44, off, s[0:3], 0 offset:604
	buffer_load_dword v65, off, s[0:3], 0 offset:616
	;; [unrolled: 1-line block ×5, first 2 shown]
	s_waitcnt vmcnt(57) lgkmcnt(0)
	v_mul_f64 v[127:128], v[5:6], v[77:78]
	v_mul_f64 v[77:78], v[7:8], v[77:78]
	s_waitcnt vmcnt(56)
	v_fma_f64 v[55:56], v[9:10], v[57:58], -v[55:56]
	ds_read_b128 v[1:4], v70 offset:1360
	v_fma_f64 v[49:50], v[11:12], v[57:58], v[49:50]
	v_add_f64 v[21:22], v[21:22], v[63:64]
	v_add_f64 v[13:14], v[13:14], v[47:48]
	s_clause 0x2
	buffer_load_dword v66, off, s[0:3], 0 offset:620
	buffer_load_dword v48, off, s[0:3], 0 offset:596
	;; [unrolled: 1-line block ×3, first 2 shown]
	ds_read_b128 v[9:12], v70 offset:1376
	s_waitcnt vmcnt(58) lgkmcnt(1)
	v_mul_f64 v[63:64], v[3:4], v[84:85]
	v_mul_f64 v[57:58], v[1:2], v[84:85]
	s_waitcnt vmcnt(56)
	v_fma_f64 v[77:78], v[5:6], v[17:18], -v[77:78]
	v_fma_f64 v[17:18], v[7:8], v[17:18], v[127:128]
	v_add_f64 v[21:22], v[21:22], v[55:56]
	v_add_f64 v[13:14], v[13:14], v[49:50]
	s_clause 0x4
	buffer_load_dword v50, off, s[0:3], 0 offset:636
	buffer_load_dword v55, off, s[0:3], 0 offset:648
	;; [unrolled: 1-line block ×5, first 2 shown]
	ds_read_b128 v[5:8], v70 offset:1392
	s_waitcnt vmcnt(57) lgkmcnt(1)
	v_mul_f64 v[127:128], v[9:10], v[15:16]
	v_mul_f64 v[15:16], v[11:12], v[15:16]
	s_waitcnt vmcnt(56)
	v_fma_f64 v[63:64], v[1:2], v[86:87], -v[63:64]
	v_fma_f64 v[57:58], v[3:4], v[86:87], v[57:58]
	v_add_f64 v[21:22], v[21:22], v[77:78]
	v_add_f64 v[13:14], v[13:14], v[17:18]
	s_clause 0x2
	buffer_load_dword v56, off, s[0:3], 0 offset:652
	buffer_load_dword v18, off, s[0:3], 0 offset:628
	;; [unrolled: 1-line block ×3, first 2 shown]
	s_waitcnt vmcnt(58) lgkmcnt(0)
	v_mul_f64 v[86:87], v[7:8], v[123:124]
	ds_read_b128 v[1:4], v70 offset:1408
	v_mul_f64 v[77:78], v[5:6], v[123:124]
	s_waitcnt vmcnt(56)
	v_fma_f64 v[15:16], v[9:10], v[73:74], -v[15:16]
	v_add_f64 v[21:22], v[21:22], v[63:64]
	v_fma_f64 v[63:64], v[11:12], v[73:74], v[127:128]
	v_add_f64 v[13:14], v[13:14], v[57:58]
	s_clause 0x4
	buffer_load_dword v58, off, s[0:3], 0 offset:668
	buffer_load_dword v73, off, s[0:3], 0 offset:680
	;; [unrolled: 1-line block ×5, first 2 shown]
	ds_read_b128 v[9:12], v70 offset:1424
	s_waitcnt vmcnt(57) lgkmcnt(1)
	v_mul_f64 v[127:128], v[1:2], v[33:34]
	v_mul_f64 v[33:34], v[3:4], v[33:34]
	s_waitcnt vmcnt(56)
	v_fma_f64 v[86:87], v[5:6], v[125:126], -v[86:87]
	v_add_f64 v[15:16], v[21:22], v[15:16]
	v_fma_f64 v[21:22], v[7:8], v[125:126], v[77:78]
	v_add_f64 v[13:14], v[13:14], v[63:64]
	s_clause 0x2
	buffer_load_dword v74, off, s[0:3], 0 offset:684
	buffer_load_dword v64, off, s[0:3], 0 offset:660
	;; [unrolled: 1-line block ×3, first 2 shown]
	ds_read_b128 v[5:8], v70 offset:1440
	s_waitcnt vmcnt(58) lgkmcnt(1)
	v_mul_f64 v[77:78], v[9:10], v[75:76]
	v_mul_f64 v[75:76], v[11:12], v[75:76]
	s_waitcnt vmcnt(56)
	v_fma_f64 v[33:34], v[1:2], v[27:28], -v[33:34]
	v_fma_f64 v[27:28], v[3:4], v[27:28], v[127:128]
	v_add_f64 v[15:16], v[15:16], v[86:87]
	v_add_f64 v[13:14], v[13:14], v[21:22]
	s_clause 0x4
	buffer_load_dword v22, off, s[0:3], 0 offset:700
	buffer_load_dword v86, off, s[0:3], 0 offset:712
	;; [unrolled: 1-line block ×5, first 2 shown]
	ds_read_b128 v[1:4], v70 offset:1456
	s_waitcnt vmcnt(57) lgkmcnt(1)
	v_mul_f64 v[126:127], v[5:6], v[19:20]
	v_mul_f64 v[19:20], v[7:8], v[19:20]
	s_waitcnt vmcnt(56)
	v_fma_f64 v[75:76], v[9:10], v[95:96], -v[75:76]
	v_add_f64 v[15:16], v[15:16], v[33:34]
	v_fma_f64 v[33:34], v[11:12], v[95:96], v[77:78]
	v_add_f64 v[13:14], v[13:14], v[27:28]
	s_clause 0x2
	buffer_load_dword v87, off, s[0:3], 0 offset:716
	buffer_load_dword v28, off, s[0:3], 0 offset:692
	buffer_load_dword v27, off, s[0:3], 0 offset:688
	ds_read_b128 v[9:12], v70 offset:1472
	s_waitcnt vmcnt(58) lgkmcnt(1)
	v_mul_f64 v[77:78], v[1:2], v[37:38]
	v_mul_f64 v[37:38], v[3:4], v[37:38]
	s_waitcnt vmcnt(56)
	v_fma_f64 v[19:20], v[5:6], v[25:26], -v[19:20]
	v_fma_f64 v[25:26], v[7:8], v[25:26], v[126:127]
	v_add_f64 v[15:16], v[15:16], v[75:76]
	v_add_f64 v[13:14], v[13:14], v[33:34]
	s_clause 0x4
	buffer_load_dword v34, off, s[0:3], 0 offset:732
	buffer_load_dword v75, off, s[0:3], 0 offset:744
	;; [unrolled: 1-line block ×5, first 2 shown]
	ds_read_b128 v[5:8], v70 offset:1488
	s_waitcnt vmcnt(57) lgkmcnt(1)
	v_mul_f64 v[127:128], v[9:10], v[23:24]
	v_mul_f64 v[23:24], v[11:12], v[23:24]
	s_waitcnt vmcnt(56)
	v_fma_f64 v[37:38], v[1:2], v[93:94], -v[37:38]
	v_add_f64 v[15:16], v[15:16], v[19:20]
	v_fma_f64 v[19:20], v[3:4], v[93:94], v[77:78]
	v_add_f64 v[13:14], v[13:14], v[25:26]
	s_clause 0x2
	buffer_load_dword v76, off, s[0:3], 0 offset:748
	buffer_load_dword v26, off, s[0:3], 0 offset:724
	;; [unrolled: 1-line block ×3, first 2 shown]
	s_waitcnt vmcnt(58) lgkmcnt(0)
	v_mul_f64 v[77:78], v[5:6], v[45:46]
	v_mul_f64 v[45:46], v[7:8], v[45:46]
	ds_read_b128 v[1:4], v70 offset:1504
	s_waitcnt vmcnt(56)
	v_fma_f64 v[23:24], v[9:10], v[31:32], -v[23:24]
	v_fma_f64 v[31:32], v[11:12], v[31:32], v[127:128]
	v_add_f64 v[15:16], v[15:16], v[37:38]
	v_add_f64 v[13:14], v[13:14], v[19:20]
	s_clause 0x4
	buffer_load_dword v20, off, s[0:3], 0 offset:764
	buffer_load_dword v37, off, s[0:3], 0 offset:776
	;; [unrolled: 1-line block ×5, first 2 shown]
	ds_read_b128 v[9:12], v70 offset:1520
	s_waitcnt vmcnt(57) lgkmcnt(1)
	v_mul_f64 v[127:128], v[1:2], v[29:30]
	v_mul_f64 v[29:30], v[3:4], v[29:30]
	s_waitcnt vmcnt(56)
	v_fma_f64 v[45:46], v[5:6], v[71:72], -v[45:46]
	v_add_f64 v[15:16], v[15:16], v[23:24]
	v_fma_f64 v[23:24], v[7:8], v[71:72], v[77:78]
	v_add_f64 v[13:14], v[13:14], v[31:32]
	s_clause 0x2
	buffer_load_dword v38, off, s[0:3], 0 offset:780
	buffer_load_dword v32, off, s[0:3], 0 offset:756
	;; [unrolled: 1-line block ×3, first 2 shown]
	s_waitcnt vmcnt(58) lgkmcnt(0)
	v_mul_f64 v[71:72], v[9:10], v[51:52]
	v_mul_f64 v[51:52], v[11:12], v[51:52]
	ds_read_b128 v[5:8], v70 offset:1536
	s_waitcnt vmcnt(56)
	v_fma_f64 v[29:30], v[1:2], v[41:42], -v[29:30]
	v_fma_f64 v[41:42], v[3:4], v[41:42], v[127:128]
	v_add_f64 v[15:16], v[15:16], v[45:46]
	v_add_f64 v[13:14], v[13:14], v[23:24]
	s_clause 0x4
	buffer_load_dword v24, off, s[0:3], 0 offset:796
	buffer_load_dword v45, off, s[0:3], 0 offset:808
	buffer_load_dword v77, off, s[0:3], 0 offset:800
	buffer_load_dword v23, off, s[0:3], 0 offset:792
	buffer_load_dword v94, off, s[0:3], 0 offset:772
	ds_read_b128 v[1:4], v70 offset:1552
	s_waitcnt vmcnt(57) lgkmcnt(1)
	v_mul_f64 v[78:79], v[5:6], v[35:36]
	v_mul_f64 v[35:36], v[7:8], v[35:36]
	s_waitcnt vmcnt(56)
	v_fma_f64 v[51:52], v[9:10], v[53:54], -v[51:52]
	v_add_f64 v[15:16], v[15:16], v[29:30]
	v_fma_f64 v[29:30], v[11:12], v[53:54], v[71:72]
	v_add_f64 v[13:14], v[13:14], v[41:42]
	s_clause 0x2
	buffer_load_dword v46, off, s[0:3], 0 offset:812
	buffer_load_dword v42, off, s[0:3], 0 offset:788
	buffer_load_dword v41, off, s[0:3], 0 offset:784
	ds_read_b128 v[9:12], v70 offset:1568
	s_waitcnt vmcnt(58) lgkmcnt(1)
	v_mul_f64 v[53:54], v[1:2], v[59:60]
	v_mul_f64 v[59:60], v[3:4], v[59:60]
	s_waitcnt vmcnt(56)
	v_fma_f64 v[35:36], v[5:6], v[39:40], -v[35:36]
	v_fma_f64 v[39:40], v[7:8], v[39:40], v[78:79]
	v_add_f64 v[15:16], v[15:16], v[51:52]
	v_add_f64 v[13:14], v[13:14], v[29:30]
	s_clause 0x4
	buffer_load_dword v30, off, s[0:3], 0 offset:828
	buffer_load_dword v51, off, s[0:3], 0 offset:840
	buffer_load_dword v71, off, s[0:3], 0 offset:832
	buffer_load_dword v29, off, s[0:3], 0 offset:824
	buffer_load_dword v78, off, s[0:3], 0 offset:804
	ds_read_b128 v[5:8], v70 offset:1584
	s_waitcnt vmcnt(57) lgkmcnt(1)
	v_mul_f64 v[127:128], v[9:10], v[43:44]
	v_mul_f64 v[43:44], v[11:12], v[43:44]
	s_waitcnt vmcnt(56)
	v_fma_f64 v[59:60], v[1:2], v[61:62], -v[59:60]
	v_add_f64 v[15:16], v[15:16], v[35:36]
	v_fma_f64 v[35:36], v[3:4], v[61:62], v[53:54]
	v_add_f64 v[13:14], v[13:14], v[39:40]
	s_clause 0x2
	buffer_load_dword v52, off, s[0:3], 0 offset:844
	buffer_load_dword v40, off, s[0:3], 0 offset:820
	buffer_load_dword v39, off, s[0:3], 0 offset:816
	ds_read_b128 v[1:4], v70 offset:1600
	s_waitcnt vmcnt(58) lgkmcnt(1)
	v_mul_f64 v[61:62], v[7:8], v[65:66]
	v_mul_f64 v[53:54], v[5:6], v[65:66]
	;; [unrolled: 28-line block ×4, first 2 shown]
	s_waitcnt vmcnt(56)
	v_fma_f64 v[57:58], v[5:6], v[63:64], -v[57:58]
	v_add_f64 v[15:16], v[15:16], v[55:56]
	v_fma_f64 v[55:56], v[7:8], v[63:64], v[127:128]
	v_add_f64 v[13:14], v[13:14], v[49:50]
	s_clause 0x4
	buffer_load_dword v50, off, s[0:3], 0 offset:924
	buffer_load_dword v63, off, s[0:3], 0 offset:936
	;; [unrolled: 1-line block ×5, first 2 shown]
	ds_read_b128 v[5:8], v70 offset:1680
	s_waitcnt vmcnt(57) lgkmcnt(1)
	v_mul_f64 v[127:128], v[9:10], v[21:22]
	v_mul_f64 v[21:22], v[11:12], v[21:22]
	s_waitcnt vmcnt(56)
	v_fma_f64 v[73:74], v[1:2], v[123:124], -v[73:74]
	v_fma_f64 v[53:54], v[3:4], v[123:124], v[53:54]
	v_add_f64 v[15:16], v[15:16], v[57:58]
	v_add_f64 v[13:14], v[13:14], v[55:56]
	s_clause 0x2
	buffer_load_dword v64, off, s[0:3], 0 offset:940
	buffer_load_dword v56, off, s[0:3], 0 offset:916
	;; [unrolled: 1-line block ×3, first 2 shown]
	ds_read_b128 v[1:4], v70 offset:1696
	s_waitcnt vmcnt(58) lgkmcnt(1)
	v_mul_f64 v[57:58], v[5:6], v[86:87]
	v_mul_f64 v[86:87], v[7:8], v[86:87]
	s_waitcnt vmcnt(56)
	v_fma_f64 v[21:22], v[9:10], v[27:28], -v[21:22]
	v_fma_f64 v[27:28], v[11:12], v[27:28], v[127:128]
	v_add_f64 v[15:16], v[15:16], v[73:74]
	v_add_f64 v[13:14], v[13:14], v[53:54]
	s_clause 0x4
	buffer_load_dword v54, off, s[0:3], 0 offset:956
	buffer_load_dword v73, off, s[0:3], 0 offset:968
	;; [unrolled: 1-line block ×5, first 2 shown]
	ds_read_b128 v[9:12], v70 offset:1712
	s_waitcnt vmcnt(57) lgkmcnt(1)
	v_mul_f64 v[127:128], v[1:2], v[33:34]
	v_mul_f64 v[33:34], v[3:4], v[33:34]
	s_waitcnt vmcnt(56)
	v_fma_f64 v[86:87], v[5:6], v[125:126], -v[86:87]
	v_add_f64 v[15:16], v[15:16], v[21:22]
	v_fma_f64 v[21:22], v[7:8], v[125:126], v[57:58]
	v_add_f64 v[13:14], v[13:14], v[27:28]
	s_clause 0x2
	buffer_load_dword v74, off, s[0:3], 0 offset:972
	buffer_load_dword v28, off, s[0:3], 0 offset:948
	;; [unrolled: 1-line block ×3, first 2 shown]
	ds_read_b128 v[5:8], v70 offset:1728
	s_waitcnt vmcnt(58) lgkmcnt(1)
	v_mul_f64 v[57:58], v[9:10], v[75:76]
	v_mul_f64 v[75:76], v[11:12], v[75:76]
	s_waitcnt vmcnt(56)
	v_fma_f64 v[33:34], v[1:2], v[25:26], -v[33:34]
	v_fma_f64 v[25:26], v[3:4], v[25:26], v[127:128]
	v_add_f64 v[15:16], v[15:16], v[86:87]
	v_add_f64 v[13:14], v[13:14], v[21:22]
	s_clause 0x4
	buffer_load_dword v22, off, s[0:3], 0 offset:988
	buffer_load_dword v86, off, s[0:3], 0 offset:1000
	;; [unrolled: 1-line block ×5, first 2 shown]
	ds_read_b128 v[1:4], v70 offset:1744
	s_waitcnt vmcnt(57) lgkmcnt(1)
	v_mul_f64 v[126:127], v[5:6], v[19:20]
	v_mul_f64 v[19:20], v[7:8], v[19:20]
	s_waitcnt vmcnt(56)
	v_fma_f64 v[75:76], v[9:10], v[95:96], -v[75:76]
	v_add_f64 v[15:16], v[15:16], v[33:34]
	v_fma_f64 v[33:34], v[11:12], v[95:96], v[57:58]
	v_add_f64 v[13:14], v[13:14], v[25:26]
	s_clause 0x2
	buffer_load_dword v87, off, s[0:3], 0 offset:1004
	buffer_load_dword v26, off, s[0:3], 0 offset:980
	buffer_load_dword v25, off, s[0:3], 0 offset:976
	ds_read_b128 v[9:12], v70 offset:1760
	s_waitcnt vmcnt(58) lgkmcnt(1)
	v_mul_f64 v[57:58], v[1:2], v[37:38]
	v_mul_f64 v[37:38], v[3:4], v[37:38]
	s_waitcnt vmcnt(56)
	v_fma_f64 v[19:20], v[5:6], v[31:32], -v[19:20]
	v_fma_f64 v[31:32], v[7:8], v[31:32], v[126:127]
	buffer_load_dword v126, off, s[0:3], 0 offset:996
	ds_read_b128 v[5:8], v70 offset:1776
	v_add_f64 v[15:16], v[15:16], v[75:76]
	v_add_f64 v[13:14], v[13:14], v[33:34]
	s_waitcnt vmcnt(53) lgkmcnt(1)
	v_mul_f64 v[33:34], v[9:10], v[23:24]
	v_mul_f64 v[23:24], v[11:12], v[23:24]
	s_waitcnt vmcnt(52)
	v_fma_f64 v[37:38], v[1:2], v[93:94], -v[37:38]
	v_add_f64 v[15:16], v[15:16], v[19:20]
	v_fma_f64 v[19:20], v[3:4], v[93:94], v[57:58]
	v_add_f64 v[13:14], v[13:14], v[31:32]
	ds_read_b128 v[1:4], v70 offset:1792
	s_waitcnt vmcnt(51) lgkmcnt(1)
	v_mul_f64 v[31:32], v[5:6], v[45:46]
	v_mul_f64 v[45:46], v[7:8], v[45:46]
	s_waitcnt vmcnt(49)
	v_fma_f64 v[23:24], v[9:10], v[41:42], -v[23:24]
	v_fma_f64 v[33:34], v[11:12], v[41:42], v[33:34]
	v_add_f64 v[15:16], v[15:16], v[37:38]
	v_add_f64 v[13:14], v[13:14], v[19:20]
	s_clause 0x3
	buffer_load_dword v19, off, s[0:3], 0 offset:112
	buffer_load_dword v20, off, s[0:3], 0 offset:116
	;; [unrolled: 1-line block ×4, first 2 shown]
	ds_read_b128 v[9:12], v70 offset:1808
	s_waitcnt vmcnt(49) lgkmcnt(1)
	v_mul_f64 v[41:42], v[1:2], v[29:30]
	v_mul_f64 v[29:30], v[3:4], v[29:30]
	s_waitcnt vmcnt(48)
	v_fma_f64 v[45:46], v[5:6], v[77:78], -v[45:46]
	v_add_f64 v[15:16], v[15:16], v[23:24]
	v_fma_f64 v[23:24], v[7:8], v[77:78], v[31:32]
	v_add_f64 v[13:14], v[13:14], v[33:34]
	ds_read_b128 v[5:8], v70 offset:1824
	s_waitcnt vmcnt(47) lgkmcnt(1)
	v_mul_f64 v[33:34], v[11:12], v[51:52]
	v_mul_f64 v[31:32], v[9:10], v[51:52]
	s_waitcnt vmcnt(45)
	v_fma_f64 v[29:30], v[1:2], v[39:40], -v[29:30]
	v_fma_f64 v[39:40], v[3:4], v[39:40], v[41:42]
	ds_read_b128 v[1:4], v70 offset:1840
	v_add_f64 v[15:16], v[15:16], v[45:46]
	v_add_f64 v[13:14], v[13:14], v[23:24]
	s_waitcnt vmcnt(41) lgkmcnt(1)
	v_mul_f64 v[23:24], v[5:6], v[35:36]
	v_mul_f64 v[35:36], v[7:8], v[35:36]
	s_waitcnt vmcnt(40)
	v_fma_f64 v[33:34], v[9:10], v[71:72], -v[33:34]
	v_add_f64 v[15:16], v[15:16], v[29:30]
	v_fma_f64 v[29:30], v[11:12], v[71:72], v[31:32]
	v_add_f64 v[13:14], v[13:14], v[39:40]
	ds_read_b128 v[9:12], v70 offset:1856
	s_waitcnt vmcnt(39) lgkmcnt(1)
	v_mul_f64 v[39:40], v[3:4], v[59:60]
	v_mul_f64 v[31:32], v[1:2], v[59:60]
	s_waitcnt vmcnt(37)
	v_fma_f64 v[35:36], v[5:6], v[47:48], -v[35:36]
	v_fma_f64 v[23:24], v[7:8], v[47:48], v[23:24]
	ds_read_b128 v[5:8], v70 offset:1872
	v_add_f64 v[15:16], v[15:16], v[33:34]
	v_add_f64 v[13:14], v[13:14], v[29:30]
	s_waitcnt vmcnt(33) lgkmcnt(1)
	v_mul_f64 v[33:34], v[11:12], v[43:44]
	s_waitcnt vmcnt(32)
	v_fma_f64 v[39:40], v[1:2], v[65:66], -v[39:40]
	v_mul_f64 v[29:30], v[9:10], v[43:44]
	v_fma_f64 v[31:32], v[3:4], v[65:66], v[31:32]
	ds_read_b128 v[1:4], v70 offset:1888
	v_add_f64 v[15:16], v[15:16], v[35:36]
	v_add_f64 v[13:14], v[13:14], v[23:24]
	s_waitcnt vmcnt(31) lgkmcnt(1)
	v_mul_f64 v[35:36], v[7:8], v[61:62]
	v_mul_f64 v[23:24], v[5:6], v[61:62]
	s_waitcnt vmcnt(29)
	v_fma_f64 v[33:34], v[9:10], v[17:18], -v[33:34]
	v_fma_f64 v[17:18], v[11:12], v[17:18], v[29:30]
	ds_read_b128 v[9:12], v70 offset:1904
	v_add_f64 v[15:16], v[15:16], v[39:40]
	v_add_f64 v[13:14], v[13:14], v[31:32]
	s_waitcnt vmcnt(25) lgkmcnt(1)
	v_mul_f64 v[31:32], v[3:4], v[49:50]
	s_waitcnt vmcnt(24)
	v_fma_f64 v[35:36], v[5:6], v[67:68], -v[35:36]
	v_mul_f64 v[29:30], v[1:2], v[49:50]
	v_fma_f64 v[23:24], v[7:8], v[67:68], v[23:24]
	ds_read_b128 v[5:8], v70 offset:1920
	v_add_f64 v[15:16], v[15:16], v[33:34]
	v_add_f64 v[13:14], v[13:14], v[17:18]
	;; [unrolled: 18-line block ×3, first 2 shown]
	s_waitcnt vmcnt(15) lgkmcnt(1)
	v_mul_f64 v[31:32], v[3:4], v[73:74]
	v_mul_f64 v[29:30], v[1:2], v[73:74]
	s_waitcnt vmcnt(13)
	v_fma_f64 v[35:36], v[5:6], v[27:28], -v[35:36]
	v_fma_f64 v[23:24], v[7:8], v[27:28], v[23:24]
	ds_read_b128 v[5:8], v70 offset:1968
	v_add_f64 v[15:16], v[15:16], v[33:34]
	v_add_f64 v[13:14], v[13:14], v[17:18]
	s_waitcnt vmcnt(9) lgkmcnt(1)
	v_mul_f64 v[17:18], v[9:10], v[21:22]
	v_mul_f64 v[21:22], v[11:12], v[21:22]
	s_waitcnt vmcnt(8)
	v_fma_f64 v[1:2], v[1:2], v[123:124], -v[31:32]
	v_fma_f64 v[3:4], v[3:4], v[123:124], v[29:30]
	v_add_f64 v[15:16], v[15:16], v[35:36]
	v_add_f64 v[13:14], v[13:14], v[23:24]
	s_waitcnt vmcnt(7) lgkmcnt(0)
	v_mul_f64 v[27:28], v[7:8], v[86:87]
	v_mul_f64 v[23:24], v[5:6], v[86:87]
	s_waitcnt vmcnt(5)
	v_fma_f64 v[9:10], v[9:10], v[25:26], -v[21:22]
	v_fma_f64 v[11:12], v[11:12], v[25:26], v[17:18]
	v_add_f64 v[1:2], v[15:16], v[1:2]
	v_add_f64 v[3:4], v[13:14], v[3:4]
	s_waitcnt vmcnt(4)
	v_fma_f64 v[5:6], v[5:6], v[125:126], -v[27:28]
	v_fma_f64 v[7:8], v[7:8], v[125:126], v[23:24]
	v_add_f64 v[1:2], v[1:2], v[9:10]
	v_add_f64 v[3:4], v[3:4], v[11:12]
	;; [unrolled: 1-line block ×4, first 2 shown]
	s_waitcnt vmcnt(2)
	v_add_f64 v[1:2], v[19:20], -v[1:2]
	s_waitcnt vmcnt(0)
	v_add_f64 v[3:4], v[37:38], -v[3:4]
	buffer_store_dword v2, off, s[0:3], 0 offset:116
	buffer_store_dword v1, off, s[0:3], 0 offset:112
	;; [unrolled: 1-line block ×4, first 2 shown]
	v_cmpx_lt_u32_e32 5, v0
	s_cbranch_execz .LBB61_387
; %bb.386:
	v_mov_b32_e32 v4, s62
	s_clause 0x3
	buffer_load_dword v1, v4, s[0:3], 0 offen
	buffer_load_dword v2, v4, s[0:3], 0 offen offset:4
	buffer_load_dword v3, v4, s[0:3], 0 offen offset:8
	;; [unrolled: 1-line block ×3, first 2 shown]
	buffer_store_dword v70, off, s[0:3], 0 offset:96
	buffer_store_dword v70, off, s[0:3], 0 offset:100
	;; [unrolled: 1-line block ×4, first 2 shown]
	s_waitcnt vmcnt(0)
	ds_write_b128 v69, v[1:4]
.LBB61_387:
	s_or_b32 exec_lo, exec_lo, s4
	s_waitcnt lgkmcnt(0)
	s_waitcnt_vscnt null, 0x0
	s_barrier
	buffer_gl0_inv
	s_clause 0x37
	buffer_load_dword v17, off, s[0:3], 0 offset:120
	buffer_load_dword v18, off, s[0:3], 0 offset:124
	;; [unrolled: 1-line block ×56, first 2 shown]
	ds_read_b128 v[5:8], v70 offset:1088
	s_clause 0x2
	buffer_load_dword v66, off, s[0:3], 0 offset:348
	buffer_load_dword v68, off, s[0:3], 0 offset:324
	;; [unrolled: 1-line block ×3, first 2 shown]
	ds_read_b128 v[1:4], v70 offset:1104
	s_clause 0x4
	buffer_load_dword v78, off, s[0:3], 0 offset:364
	buffer_load_dword v84, off, s[0:3], 0 offset:376
	;; [unrolled: 1-line block ×5, first 2 shown]
	ds_read_b128 v[71:74], v70 offset:1120
	s_mov_b32 s4, exec_lo
	s_waitcnt vmcnt(62) lgkmcnt(2)
	v_mul_f64 v[75:76], v[7:8], v[17:18]
	v_mul_f64 v[17:18], v[5:6], v[17:18]
	s_waitcnt vmcnt(60) lgkmcnt(1)
	v_mul_f64 v[87:88], v[3:4], v[13:14]
	v_mul_f64 v[13:14], v[1:2], v[13:14]
	;; [unrolled: 3-line block ×3, first 2 shown]
	v_fma_f64 v[75:76], v[5:6], v[15:16], -v[75:76]
	v_fma_f64 v[15:16], v[7:8], v[15:16], v[17:18]
	s_clause 0x2
	buffer_load_dword v85, off, s[0:3], 0 offset:380
	buffer_load_dword v18, off, s[0:3], 0 offset:356
	buffer_load_dword v17, off, s[0:3], 0 offset:352
	s_waitcnt vmcnt(57)
	v_fma_f64 v[95:96], v[1:2], v[9:10], -v[87:88]
	ds_read_b128 v[5:8], v70 offset:1136
	v_fma_f64 v[9:10], v[3:4], v[9:10], v[13:14]
	s_waitcnt vmcnt(51)
	v_fma_f64 v[71:72], v[71:72], v[33:34], -v[11:12]
	v_fma_f64 v[33:34], v[73:74], v[33:34], v[93:94]
	v_add_f64 v[75:76], v[75:76], 0
	v_add_f64 v[13:14], v[15:16], 0
	s_clause 0x4
	buffer_load_dword v16, off, s[0:3], 0 offset:396
	buffer_load_dword v123, off, s[0:3], 0 offset:408
	;; [unrolled: 1-line block ×5, first 2 shown]
	s_waitcnt lgkmcnt(0)
	v_mul_f64 v[126:127], v[5:6], v[21:22]
	v_mul_f64 v[21:22], v[7:8], v[21:22]
	ds_read_b128 v[1:4], v70 offset:1152
	s_clause 0x2
	buffer_load_dword v124, off, s[0:3], 0 offset:412
	buffer_load_dword v74, off, s[0:3], 0 offset:388
	;; [unrolled: 1-line block ×3, first 2 shown]
	v_add_f64 v[75:76], v[75:76], v[95:96]
	v_add_f64 v[13:14], v[13:14], v[9:10]
	ds_read_b128 v[9:12], v70 offset:1168
	s_waitcnt vmcnt(58) lgkmcnt(1)
	v_mul_f64 v[93:94], v[1:2], v[25:26]
	v_mul_f64 v[25:26], v[3:4], v[25:26]
	s_waitcnt vmcnt(56)
	v_fma_f64 v[21:22], v[5:6], v[27:28], -v[21:22]
	v_fma_f64 v[27:28], v[7:8], v[27:28], v[126:127]
	s_waitcnt vmcnt(52) lgkmcnt(0)
	v_mul_f64 v[127:128], v[9:10], v[29:30]
	v_add_f64 v[71:72], v[75:76], v[71:72]
	v_add_f64 v[13:14], v[13:14], v[33:34]
	s_clause 0x4
	buffer_load_dword v34, off, s[0:3], 0 offset:428
	buffer_load_dword v75, off, s[0:3], 0 offset:440
	buffer_load_dword v95, off, s[0:3], 0 offset:432
	buffer_load_dword v33, off, s[0:3], 0 offset:424
	buffer_load_dword v126, off, s[0:3], 0 offset:404
	v_mul_f64 v[29:30], v[11:12], v[29:30]
	s_waitcnt vmcnt(56)
	v_fma_f64 v[25:26], v[1:2], v[19:20], -v[25:26]
	ds_read_b128 v[5:8], v70 offset:1184
	v_fma_f64 v[19:20], v[3:4], v[19:20], v[93:94]
	v_add_f64 v[21:22], v[71:72], v[21:22]
	v_add_f64 v[13:14], v[13:14], v[27:28]
	s_clause 0x2
	buffer_load_dword v76, off, s[0:3], 0 offset:444
	buffer_load_dword v28, off, s[0:3], 0 offset:420
	;; [unrolled: 1-line block ×3, first 2 shown]
	s_waitcnt vmcnt(58) lgkmcnt(0)
	v_mul_f64 v[71:72], v[5:6], v[35:36]
	v_mul_f64 v[35:36], v[7:8], v[35:36]
	s_waitcnt vmcnt(56)
	v_fma_f64 v[29:30], v[9:10], v[37:38], -v[29:30]
	ds_read_b128 v[1:4], v70 offset:1200
	v_add_f64 v[21:22], v[21:22], v[25:26]
	v_fma_f64 v[25:26], v[11:12], v[37:38], v[127:128]
	v_add_f64 v[13:14], v[13:14], v[19:20]
	s_clause 0x4
	buffer_load_dword v20, off, s[0:3], 0 offset:460
	buffer_load_dword v37, off, s[0:3], 0 offset:472
	;; [unrolled: 1-line block ×5, first 2 shown]
	s_waitcnt vmcnt(57) lgkmcnt(0)
	v_mul_f64 v[127:128], v[1:2], v[39:40]
	v_mul_f64 v[39:40], v[3:4], v[39:40]
	s_waitcnt vmcnt(56)
	v_fma_f64 v[35:36], v[5:6], v[23:24], -v[35:36]
	ds_read_b128 v[9:12], v70 offset:1216
	v_fma_f64 v[23:24], v[7:8], v[23:24], v[71:72]
	v_add_f64 v[21:22], v[21:22], v[29:30]
	v_add_f64 v[13:14], v[13:14], v[25:26]
	s_clause 0x2
	buffer_load_dword v38, off, s[0:3], 0 offset:476
	buffer_load_dword v26, off, s[0:3], 0 offset:452
	;; [unrolled: 1-line block ×3, first 2 shown]
	ds_read_b128 v[5:8], v70 offset:1232
	s_waitcnt vmcnt(58) lgkmcnt(1)
	v_mul_f64 v[29:30], v[9:10], v[43:44]
	v_mul_f64 v[43:44], v[11:12], v[43:44]
	s_waitcnt vmcnt(56)
	v_fma_f64 v[39:40], v[1:2], v[45:46], -v[39:40]
	v_add_f64 v[21:22], v[21:22], v[35:36]
	v_fma_f64 v[35:36], v[3:4], v[45:46], v[127:128]
	v_add_f64 v[13:14], v[13:14], v[23:24]
	s_clause 0x4
	buffer_load_dword v24, off, s[0:3], 0 offset:492
	buffer_load_dword v45, off, s[0:3], 0 offset:504
	;; [unrolled: 1-line block ×5, first 2 shown]
	s_waitcnt vmcnt(57) lgkmcnt(0)
	v_mul_f64 v[127:128], v[5:6], v[47:48]
	v_mul_f64 v[47:48], v[7:8], v[47:48]
	s_waitcnt vmcnt(56)
	v_fma_f64 v[43:44], v[9:10], v[31:32], -v[43:44]
	ds_read_b128 v[1:4], v70 offset:1248
	v_fma_f64 v[29:30], v[11:12], v[31:32], v[29:30]
	s_clause 0x2
	buffer_load_dword v46, off, s[0:3], 0 offset:508
	buffer_load_dword v32, off, s[0:3], 0 offset:484
	;; [unrolled: 1-line block ×3, first 2 shown]
	ds_read_b128 v[9:12], v70 offset:1264
	v_add_f64 v[21:22], v[21:22], v[39:40]
	v_add_f64 v[13:14], v[13:14], v[35:36]
	s_waitcnt vmcnt(58) lgkmcnt(1)
	v_mul_f64 v[39:40], v[3:4], v[51:52]
	s_waitcnt vmcnt(56)
	v_fma_f64 v[47:48], v[5:6], v[53:54], -v[47:48]
	v_mul_f64 v[35:36], v[1:2], v[51:52]
	v_add_f64 v[21:22], v[21:22], v[43:44]
	v_fma_f64 v[43:44], v[7:8], v[53:54], v[127:128]
	v_add_f64 v[13:14], v[13:14], v[29:30]
	s_clause 0x4
	buffer_load_dword v30, off, s[0:3], 0 offset:524
	buffer_load_dword v51, off, s[0:3], 0 offset:536
	buffer_load_dword v53, off, s[0:3], 0 offset:528
	buffer_load_dword v29, off, s[0:3], 0 offset:520
	buffer_load_dword v72, off, s[0:3], 0 offset:500
	s_waitcnt vmcnt(57) lgkmcnt(0)
	v_mul_f64 v[127:128], v[9:10], v[55:56]
	v_mul_f64 v[54:55], v[11:12], v[55:56]
	s_waitcnt vmcnt(56)
	v_fma_f64 v[39:40], v[1:2], v[41:42], -v[39:40]
	ds_read_b128 v[5:8], v70 offset:1280
	v_fma_f64 v[35:36], v[3:4], v[41:42], v[35:36]
	s_clause 0x2
	buffer_load_dword v52, off, s[0:3], 0 offset:540
	buffer_load_dword v42, off, s[0:3], 0 offset:516
	;; [unrolled: 1-line block ×3, first 2 shown]
	ds_read_b128 v[1:4], v70 offset:1296
	v_add_f64 v[21:22], v[21:22], v[47:48]
	v_add_f64 v[13:14], v[13:14], v[43:44]
	s_waitcnt vmcnt(58) lgkmcnt(1)
	v_mul_f64 v[47:48], v[7:8], v[59:60]
	s_waitcnt vmcnt(56)
	v_fma_f64 v[55:56], v[9:10], v[61:62], -v[54:55]
	v_mul_f64 v[43:44], v[5:6], v[59:60]
	v_add_f64 v[21:22], v[21:22], v[39:40]
	v_fma_f64 v[39:40], v[11:12], v[61:62], v[127:128]
	v_add_f64 v[13:14], v[13:14], v[35:36]
	s_clause 0x4
	buffer_load_dword v36, off, s[0:3], 0 offset:556
	buffer_load_dword v59, off, s[0:3], 0 offset:568
	;; [unrolled: 1-line block ×5, first 2 shown]
	s_waitcnt vmcnt(57) lgkmcnt(0)
	v_mul_f64 v[127:128], v[1:2], v[63:64]
	v_mul_f64 v[62:63], v[3:4], v[63:64]
	s_waitcnt vmcnt(56)
	v_fma_f64 v[47:48], v[5:6], v[49:50], -v[47:48]
	ds_read_b128 v[9:12], v70 offset:1312
	v_fma_f64 v[43:44], v[7:8], v[49:50], v[43:44]
	v_add_f64 v[21:22], v[21:22], v[55:56]
	v_add_f64 v[13:14], v[13:14], v[39:40]
	s_clause 0x2
	buffer_load_dword v60, off, s[0:3], 0 offset:572
	buffer_load_dword v40, off, s[0:3], 0 offset:548
	buffer_load_dword v39, off, s[0:3], 0 offset:544
	ds_read_b128 v[5:8], v70 offset:1328
	s_waitcnt vmcnt(58) lgkmcnt(1)
	v_mul_f64 v[55:56], v[11:12], v[65:66]
	s_waitcnt vmcnt(56)
	v_fma_f64 v[63:64], v[1:2], v[67:68], -v[62:63]
	v_mul_f64 v[49:50], v[9:10], v[65:66]
	v_add_f64 v[21:22], v[21:22], v[47:48]
	v_fma_f64 v[47:48], v[3:4], v[67:68], v[127:128]
	v_add_f64 v[13:14], v[13:14], v[43:44]
	s_clause 0x4
	buffer_load_dword v44, off, s[0:3], 0 offset:588
	buffer_load_dword v65, off, s[0:3], 0 offset:600
	;; [unrolled: 1-line block ×5, first 2 shown]
	s_waitcnt vmcnt(57) lgkmcnt(0)
	v_mul_f64 v[127:128], v[5:6], v[77:78]
	v_mul_f64 v[77:78], v[7:8], v[77:78]
	s_waitcnt vmcnt(56)
	v_fma_f64 v[55:56], v[9:10], v[57:58], -v[55:56]
	ds_read_b128 v[1:4], v70 offset:1344
	v_fma_f64 v[49:50], v[11:12], v[57:58], v[49:50]
	v_add_f64 v[21:22], v[21:22], v[63:64]
	v_add_f64 v[13:14], v[13:14], v[47:48]
	s_clause 0x2
	buffer_load_dword v66, off, s[0:3], 0 offset:604
	buffer_load_dword v48, off, s[0:3], 0 offset:580
	;; [unrolled: 1-line block ×3, first 2 shown]
	ds_read_b128 v[9:12], v70 offset:1360
	s_waitcnt vmcnt(58) lgkmcnt(1)
	v_mul_f64 v[63:64], v[3:4], v[84:85]
	v_mul_f64 v[57:58], v[1:2], v[84:85]
	s_waitcnt vmcnt(56)
	v_fma_f64 v[77:78], v[5:6], v[17:18], -v[77:78]
	v_fma_f64 v[17:18], v[7:8], v[17:18], v[127:128]
	v_add_f64 v[21:22], v[21:22], v[55:56]
	v_add_f64 v[13:14], v[13:14], v[49:50]
	s_clause 0x4
	buffer_load_dword v50, off, s[0:3], 0 offset:620
	buffer_load_dword v55, off, s[0:3], 0 offset:632
	;; [unrolled: 1-line block ×5, first 2 shown]
	ds_read_b128 v[5:8], v70 offset:1376
	s_waitcnt vmcnt(57) lgkmcnt(1)
	v_mul_f64 v[127:128], v[9:10], v[15:16]
	v_mul_f64 v[15:16], v[11:12], v[15:16]
	s_waitcnt vmcnt(56)
	v_fma_f64 v[63:64], v[1:2], v[86:87], -v[63:64]
	v_fma_f64 v[57:58], v[3:4], v[86:87], v[57:58]
	v_add_f64 v[21:22], v[21:22], v[77:78]
	v_add_f64 v[13:14], v[13:14], v[17:18]
	s_clause 0x2
	buffer_load_dword v56, off, s[0:3], 0 offset:636
	buffer_load_dword v18, off, s[0:3], 0 offset:612
	;; [unrolled: 1-line block ×3, first 2 shown]
	s_waitcnt vmcnt(58) lgkmcnt(0)
	v_mul_f64 v[86:87], v[7:8], v[123:124]
	ds_read_b128 v[1:4], v70 offset:1392
	v_mul_f64 v[77:78], v[5:6], v[123:124]
	s_waitcnt vmcnt(56)
	v_fma_f64 v[15:16], v[9:10], v[73:74], -v[15:16]
	v_add_f64 v[21:22], v[21:22], v[63:64]
	v_fma_f64 v[63:64], v[11:12], v[73:74], v[127:128]
	v_add_f64 v[13:14], v[13:14], v[57:58]
	s_clause 0x4
	buffer_load_dword v58, off, s[0:3], 0 offset:652
	buffer_load_dword v73, off, s[0:3], 0 offset:664
	;; [unrolled: 1-line block ×5, first 2 shown]
	ds_read_b128 v[9:12], v70 offset:1408
	s_waitcnt vmcnt(57) lgkmcnt(1)
	v_mul_f64 v[127:128], v[1:2], v[33:34]
	v_mul_f64 v[33:34], v[3:4], v[33:34]
	s_waitcnt vmcnt(56)
	v_fma_f64 v[86:87], v[5:6], v[125:126], -v[86:87]
	v_add_f64 v[15:16], v[21:22], v[15:16]
	v_fma_f64 v[21:22], v[7:8], v[125:126], v[77:78]
	v_add_f64 v[13:14], v[13:14], v[63:64]
	s_clause 0x2
	buffer_load_dword v74, off, s[0:3], 0 offset:668
	buffer_load_dword v64, off, s[0:3], 0 offset:644
	;; [unrolled: 1-line block ×3, first 2 shown]
	ds_read_b128 v[5:8], v70 offset:1424
	s_waitcnt vmcnt(58) lgkmcnt(1)
	v_mul_f64 v[77:78], v[9:10], v[75:76]
	v_mul_f64 v[75:76], v[11:12], v[75:76]
	s_waitcnt vmcnt(56)
	v_fma_f64 v[33:34], v[1:2], v[27:28], -v[33:34]
	v_fma_f64 v[27:28], v[3:4], v[27:28], v[127:128]
	v_add_f64 v[15:16], v[15:16], v[86:87]
	v_add_f64 v[13:14], v[13:14], v[21:22]
	s_clause 0x4
	buffer_load_dword v22, off, s[0:3], 0 offset:684
	buffer_load_dword v86, off, s[0:3], 0 offset:696
	;; [unrolled: 1-line block ×5, first 2 shown]
	ds_read_b128 v[1:4], v70 offset:1440
	s_waitcnt vmcnt(57) lgkmcnt(1)
	v_mul_f64 v[126:127], v[5:6], v[19:20]
	v_mul_f64 v[19:20], v[7:8], v[19:20]
	s_waitcnt vmcnt(56)
	v_fma_f64 v[75:76], v[9:10], v[95:96], -v[75:76]
	v_add_f64 v[15:16], v[15:16], v[33:34]
	v_fma_f64 v[33:34], v[11:12], v[95:96], v[77:78]
	v_add_f64 v[13:14], v[13:14], v[27:28]
	s_clause 0x2
	buffer_load_dword v87, off, s[0:3], 0 offset:700
	buffer_load_dword v28, off, s[0:3], 0 offset:676
	;; [unrolled: 1-line block ×3, first 2 shown]
	ds_read_b128 v[9:12], v70 offset:1456
	s_waitcnt vmcnt(58) lgkmcnt(1)
	v_mul_f64 v[77:78], v[1:2], v[37:38]
	v_mul_f64 v[37:38], v[3:4], v[37:38]
	s_waitcnt vmcnt(56)
	v_fma_f64 v[19:20], v[5:6], v[25:26], -v[19:20]
	v_fma_f64 v[25:26], v[7:8], v[25:26], v[126:127]
	v_add_f64 v[15:16], v[15:16], v[75:76]
	v_add_f64 v[13:14], v[13:14], v[33:34]
	s_clause 0x4
	buffer_load_dword v34, off, s[0:3], 0 offset:716
	buffer_load_dword v75, off, s[0:3], 0 offset:728
	buffer_load_dword v95, off, s[0:3], 0 offset:720
	buffer_load_dword v33, off, s[0:3], 0 offset:712
	buffer_load_dword v126, off, s[0:3], 0 offset:692
	ds_read_b128 v[5:8], v70 offset:1472
	s_waitcnt vmcnt(57) lgkmcnt(1)
	v_mul_f64 v[127:128], v[9:10], v[23:24]
	v_mul_f64 v[23:24], v[11:12], v[23:24]
	s_waitcnt vmcnt(56)
	v_fma_f64 v[37:38], v[1:2], v[93:94], -v[37:38]
	v_add_f64 v[15:16], v[15:16], v[19:20]
	v_fma_f64 v[19:20], v[3:4], v[93:94], v[77:78]
	v_add_f64 v[13:14], v[13:14], v[25:26]
	s_clause 0x2
	buffer_load_dword v76, off, s[0:3], 0 offset:732
	buffer_load_dword v26, off, s[0:3], 0 offset:708
	;; [unrolled: 1-line block ×3, first 2 shown]
	s_waitcnt vmcnt(58) lgkmcnt(0)
	v_mul_f64 v[77:78], v[5:6], v[45:46]
	v_mul_f64 v[45:46], v[7:8], v[45:46]
	ds_read_b128 v[1:4], v70 offset:1488
	s_waitcnt vmcnt(56)
	v_fma_f64 v[23:24], v[9:10], v[31:32], -v[23:24]
	v_fma_f64 v[31:32], v[11:12], v[31:32], v[127:128]
	v_add_f64 v[15:16], v[15:16], v[37:38]
	v_add_f64 v[13:14], v[13:14], v[19:20]
	s_clause 0x4
	buffer_load_dword v20, off, s[0:3], 0 offset:748
	buffer_load_dword v37, off, s[0:3], 0 offset:760
	;; [unrolled: 1-line block ×5, first 2 shown]
	ds_read_b128 v[9:12], v70 offset:1504
	s_waitcnt vmcnt(57) lgkmcnt(1)
	v_mul_f64 v[127:128], v[1:2], v[29:30]
	v_mul_f64 v[29:30], v[3:4], v[29:30]
	s_waitcnt vmcnt(56)
	v_fma_f64 v[45:46], v[5:6], v[71:72], -v[45:46]
	v_add_f64 v[15:16], v[15:16], v[23:24]
	v_fma_f64 v[23:24], v[7:8], v[71:72], v[77:78]
	v_add_f64 v[13:14], v[13:14], v[31:32]
	s_clause 0x2
	buffer_load_dword v38, off, s[0:3], 0 offset:764
	buffer_load_dword v32, off, s[0:3], 0 offset:740
	;; [unrolled: 1-line block ×3, first 2 shown]
	s_waitcnt vmcnt(58) lgkmcnt(0)
	v_mul_f64 v[71:72], v[9:10], v[51:52]
	v_mul_f64 v[51:52], v[11:12], v[51:52]
	ds_read_b128 v[5:8], v70 offset:1520
	s_waitcnt vmcnt(56)
	v_fma_f64 v[29:30], v[1:2], v[41:42], -v[29:30]
	v_fma_f64 v[41:42], v[3:4], v[41:42], v[127:128]
	v_add_f64 v[15:16], v[15:16], v[45:46]
	v_add_f64 v[13:14], v[13:14], v[23:24]
	s_clause 0x4
	buffer_load_dword v24, off, s[0:3], 0 offset:780
	buffer_load_dword v45, off, s[0:3], 0 offset:792
	buffer_load_dword v77, off, s[0:3], 0 offset:784
	buffer_load_dword v23, off, s[0:3], 0 offset:776
	buffer_load_dword v94, off, s[0:3], 0 offset:756
	ds_read_b128 v[1:4], v70 offset:1536
	s_waitcnt vmcnt(57) lgkmcnt(1)
	v_mul_f64 v[78:79], v[5:6], v[35:36]
	v_mul_f64 v[35:36], v[7:8], v[35:36]
	s_waitcnt vmcnt(56)
	v_fma_f64 v[51:52], v[9:10], v[53:54], -v[51:52]
	v_add_f64 v[15:16], v[15:16], v[29:30]
	v_fma_f64 v[29:30], v[11:12], v[53:54], v[71:72]
	v_add_f64 v[13:14], v[13:14], v[41:42]
	s_clause 0x2
	buffer_load_dword v46, off, s[0:3], 0 offset:796
	buffer_load_dword v42, off, s[0:3], 0 offset:772
	buffer_load_dword v41, off, s[0:3], 0 offset:768
	ds_read_b128 v[9:12], v70 offset:1552
	s_waitcnt vmcnt(58) lgkmcnt(1)
	v_mul_f64 v[53:54], v[1:2], v[59:60]
	v_mul_f64 v[59:60], v[3:4], v[59:60]
	s_waitcnt vmcnt(56)
	v_fma_f64 v[35:36], v[5:6], v[39:40], -v[35:36]
	v_fma_f64 v[39:40], v[7:8], v[39:40], v[78:79]
	v_add_f64 v[15:16], v[15:16], v[51:52]
	v_add_f64 v[13:14], v[13:14], v[29:30]
	s_clause 0x4
	buffer_load_dword v30, off, s[0:3], 0 offset:812
	buffer_load_dword v51, off, s[0:3], 0 offset:824
	buffer_load_dword v71, off, s[0:3], 0 offset:816
	buffer_load_dword v29, off, s[0:3], 0 offset:808
	buffer_load_dword v78, off, s[0:3], 0 offset:788
	ds_read_b128 v[5:8], v70 offset:1568
	s_waitcnt vmcnt(57) lgkmcnt(1)
	v_mul_f64 v[127:128], v[9:10], v[43:44]
	v_mul_f64 v[43:44], v[11:12], v[43:44]
	s_waitcnt vmcnt(56)
	v_fma_f64 v[59:60], v[1:2], v[61:62], -v[59:60]
	v_add_f64 v[15:16], v[15:16], v[35:36]
	v_fma_f64 v[35:36], v[3:4], v[61:62], v[53:54]
	v_add_f64 v[13:14], v[13:14], v[39:40]
	s_clause 0x2
	buffer_load_dword v52, off, s[0:3], 0 offset:828
	buffer_load_dword v40, off, s[0:3], 0 offset:804
	buffer_load_dword v39, off, s[0:3], 0 offset:800
	ds_read_b128 v[1:4], v70 offset:1584
	s_waitcnt vmcnt(58) lgkmcnt(1)
	v_mul_f64 v[61:62], v[7:8], v[65:66]
	v_mul_f64 v[53:54], v[5:6], v[65:66]
	;; [unrolled: 28-line block ×4, first 2 shown]
	s_waitcnt vmcnt(56)
	v_fma_f64 v[57:58], v[5:6], v[63:64], -v[57:58]
	v_add_f64 v[15:16], v[15:16], v[55:56]
	v_fma_f64 v[55:56], v[7:8], v[63:64], v[127:128]
	v_add_f64 v[13:14], v[13:14], v[49:50]
	s_clause 0x4
	buffer_load_dword v50, off, s[0:3], 0 offset:908
	buffer_load_dword v63, off, s[0:3], 0 offset:920
	;; [unrolled: 1-line block ×5, first 2 shown]
	ds_read_b128 v[5:8], v70 offset:1664
	s_waitcnt vmcnt(57) lgkmcnt(1)
	v_mul_f64 v[127:128], v[9:10], v[21:22]
	v_mul_f64 v[21:22], v[11:12], v[21:22]
	s_waitcnt vmcnt(56)
	v_fma_f64 v[73:74], v[1:2], v[123:124], -v[73:74]
	v_fma_f64 v[53:54], v[3:4], v[123:124], v[53:54]
	v_add_f64 v[15:16], v[15:16], v[57:58]
	v_add_f64 v[13:14], v[13:14], v[55:56]
	s_clause 0x2
	buffer_load_dword v64, off, s[0:3], 0 offset:924
	buffer_load_dword v56, off, s[0:3], 0 offset:900
	;; [unrolled: 1-line block ×3, first 2 shown]
	ds_read_b128 v[1:4], v70 offset:1680
	s_waitcnt vmcnt(58) lgkmcnt(1)
	v_mul_f64 v[57:58], v[5:6], v[86:87]
	v_mul_f64 v[86:87], v[7:8], v[86:87]
	s_waitcnt vmcnt(56)
	v_fma_f64 v[21:22], v[9:10], v[27:28], -v[21:22]
	v_fma_f64 v[27:28], v[11:12], v[27:28], v[127:128]
	v_add_f64 v[15:16], v[15:16], v[73:74]
	v_add_f64 v[13:14], v[13:14], v[53:54]
	s_clause 0x4
	buffer_load_dword v54, off, s[0:3], 0 offset:940
	buffer_load_dword v73, off, s[0:3], 0 offset:952
	;; [unrolled: 1-line block ×5, first 2 shown]
	ds_read_b128 v[9:12], v70 offset:1696
	s_waitcnt vmcnt(57) lgkmcnt(1)
	v_mul_f64 v[127:128], v[1:2], v[33:34]
	v_mul_f64 v[33:34], v[3:4], v[33:34]
	s_waitcnt vmcnt(56)
	v_fma_f64 v[86:87], v[5:6], v[125:126], -v[86:87]
	v_add_f64 v[15:16], v[15:16], v[21:22]
	v_fma_f64 v[21:22], v[7:8], v[125:126], v[57:58]
	v_add_f64 v[13:14], v[13:14], v[27:28]
	s_clause 0x2
	buffer_load_dword v74, off, s[0:3], 0 offset:956
	buffer_load_dword v28, off, s[0:3], 0 offset:932
	;; [unrolled: 1-line block ×3, first 2 shown]
	ds_read_b128 v[5:8], v70 offset:1712
	s_waitcnt vmcnt(58) lgkmcnt(1)
	v_mul_f64 v[57:58], v[9:10], v[75:76]
	v_mul_f64 v[75:76], v[11:12], v[75:76]
	s_waitcnt vmcnt(56)
	v_fma_f64 v[33:34], v[1:2], v[25:26], -v[33:34]
	v_fma_f64 v[25:26], v[3:4], v[25:26], v[127:128]
	v_add_f64 v[15:16], v[15:16], v[86:87]
	v_add_f64 v[13:14], v[13:14], v[21:22]
	s_clause 0x4
	buffer_load_dword v22, off, s[0:3], 0 offset:972
	buffer_load_dword v86, off, s[0:3], 0 offset:984
	;; [unrolled: 1-line block ×5, first 2 shown]
	ds_read_b128 v[1:4], v70 offset:1728
	s_waitcnt vmcnt(57) lgkmcnt(1)
	v_mul_f64 v[126:127], v[5:6], v[19:20]
	v_mul_f64 v[19:20], v[7:8], v[19:20]
	s_waitcnt vmcnt(56)
	v_fma_f64 v[75:76], v[9:10], v[95:96], -v[75:76]
	v_add_f64 v[15:16], v[15:16], v[33:34]
	v_fma_f64 v[33:34], v[11:12], v[95:96], v[57:58]
	v_add_f64 v[13:14], v[13:14], v[25:26]
	s_clause 0x2
	buffer_load_dword v87, off, s[0:3], 0 offset:988
	buffer_load_dword v26, off, s[0:3], 0 offset:964
	;; [unrolled: 1-line block ×3, first 2 shown]
	ds_read_b128 v[9:12], v70 offset:1744
	s_waitcnt vmcnt(58) lgkmcnt(1)
	v_mul_f64 v[57:58], v[1:2], v[37:38]
	v_mul_f64 v[37:38], v[3:4], v[37:38]
	s_waitcnt vmcnt(56)
	v_fma_f64 v[19:20], v[5:6], v[31:32], -v[19:20]
	v_fma_f64 v[31:32], v[7:8], v[31:32], v[126:127]
	v_add_f64 v[15:16], v[15:16], v[75:76]
	v_add_f64 v[13:14], v[13:14], v[33:34]
	s_clause 0x2
	buffer_load_dword v34, off, s[0:3], 0 offset:1004
	buffer_load_dword v33, off, s[0:3], 0 offset:1000
	;; [unrolled: 1-line block ×3, first 2 shown]
	ds_read_b128 v[5:8], v70 offset:1760
	s_waitcnt vmcnt(55) lgkmcnt(1)
	v_mul_f64 v[75:76], v[9:10], v[23:24]
	v_mul_f64 v[23:24], v[11:12], v[23:24]
	s_waitcnt vmcnt(54)
	v_fma_f64 v[37:38], v[1:2], v[93:94], -v[37:38]
	v_add_f64 v[15:16], v[15:16], v[19:20]
	v_fma_f64 v[19:20], v[3:4], v[93:94], v[57:58]
	v_add_f64 v[13:14], v[13:14], v[31:32]
	s_clause 0x1
	buffer_load_dword v32, off, s[0:3], 0 offset:996
	buffer_load_dword v31, off, s[0:3], 0 offset:992
	ds_read_b128 v[1:4], v70 offset:1776
	s_waitcnt vmcnt(55) lgkmcnt(1)
	v_mul_f64 v[57:58], v[5:6], v[45:46]
	v_mul_f64 v[45:46], v[7:8], v[45:46]
	s_waitcnt vmcnt(53)
	v_fma_f64 v[23:24], v[9:10], v[41:42], -v[23:24]
	v_add_f64 v[15:16], v[15:16], v[37:38]
	v_fma_f64 v[37:38], v[11:12], v[41:42], v[75:76]
	v_add_f64 v[13:14], v[13:14], v[19:20]
	ds_read_b128 v[9:12], v70 offset:1792
	s_waitcnt vmcnt(49) lgkmcnt(1)
	v_mul_f64 v[19:20], v[1:2], v[29:30]
	v_mul_f64 v[29:30], v[3:4], v[29:30]
	s_waitcnt vmcnt(48)
	v_fma_f64 v[41:42], v[5:6], v[77:78], -v[45:46]
	v_add_f64 v[15:16], v[15:16], v[23:24]
	v_fma_f64 v[23:24], v[7:8], v[77:78], v[57:58]
	v_add_f64 v[13:14], v[13:14], v[37:38]
	s_clause 0x3
	buffer_load_dword v37, off, s[0:3], 0 offset:96
	buffer_load_dword v38, off, s[0:3], 0 offset:100
	;; [unrolled: 1-line block ×4, first 2 shown]
	ds_read_b128 v[5:8], v70 offset:1808
	s_waitcnt vmcnt(51) lgkmcnt(1)
	v_mul_f64 v[57:58], v[9:10], v[51:52]
	v_mul_f64 v[51:52], v[11:12], v[51:52]
	s_waitcnt vmcnt(49)
	v_fma_f64 v[29:30], v[1:2], v[39:40], -v[29:30]
	v_fma_f64 v[19:20], v[3:4], v[39:40], v[19:20]
	ds_read_b128 v[1:4], v70 offset:1824
	v_add_f64 v[15:16], v[15:16], v[41:42]
	v_add_f64 v[13:14], v[13:14], v[23:24]
	s_waitcnt vmcnt(45) lgkmcnt(1)
	v_mul_f64 v[23:24], v[5:6], v[35:36]
	v_mul_f64 v[35:36], v[7:8], v[35:36]
	s_waitcnt vmcnt(44)
	v_fma_f64 v[39:40], v[9:10], v[71:72], -v[51:52]
	v_add_f64 v[15:16], v[15:16], v[29:30]
	v_fma_f64 v[29:30], v[11:12], v[71:72], v[57:58]
	v_add_f64 v[13:14], v[13:14], v[19:20]
	ds_read_b128 v[9:12], v70 offset:1840
	s_waitcnt vmcnt(43) lgkmcnt(1)
	v_mul_f64 v[41:42], v[3:4], v[59:60]
	v_mul_f64 v[19:20], v[1:2], v[59:60]
	s_waitcnt vmcnt(41)
	v_fma_f64 v[35:36], v[5:6], v[47:48], -v[35:36]
	v_fma_f64 v[23:24], v[7:8], v[47:48], v[23:24]
	ds_read_b128 v[5:8], v70 offset:1856
	v_add_f64 v[15:16], v[15:16], v[39:40]
	v_add_f64 v[13:14], v[13:14], v[29:30]
	s_waitcnt vmcnt(37) lgkmcnt(1)
	v_mul_f64 v[39:40], v[11:12], v[43:44]
	s_waitcnt vmcnt(36)
	v_fma_f64 v[41:42], v[1:2], v[65:66], -v[41:42]
	v_mul_f64 v[29:30], v[9:10], v[43:44]
	v_fma_f64 v[19:20], v[3:4], v[65:66], v[19:20]
	ds_read_b128 v[1:4], v70 offset:1872
	v_add_f64 v[15:16], v[15:16], v[35:36]
	v_add_f64 v[13:14], v[13:14], v[23:24]
	s_waitcnt vmcnt(35) lgkmcnt(1)
	v_mul_f64 v[35:36], v[7:8], v[61:62]
	v_mul_f64 v[23:24], v[5:6], v[61:62]
	s_waitcnt vmcnt(33)
	v_fma_f64 v[39:40], v[9:10], v[17:18], -v[39:40]
	v_fma_f64 v[17:18], v[11:12], v[17:18], v[29:30]
	ds_read_b128 v[9:12], v70 offset:1888
	v_add_f64 v[15:16], v[15:16], v[41:42]
	v_add_f64 v[13:14], v[13:14], v[19:20]
	s_waitcnt vmcnt(29) lgkmcnt(1)
	v_mul_f64 v[29:30], v[3:4], v[49:50]
	s_waitcnt vmcnt(28)
	v_fma_f64 v[35:36], v[5:6], v[67:68], -v[35:36]
	v_mul_f64 v[19:20], v[1:2], v[49:50]
	v_fma_f64 v[23:24], v[7:8], v[67:68], v[23:24]
	ds_read_b128 v[5:8], v70 offset:1904
	v_add_f64 v[15:16], v[15:16], v[39:40]
	v_add_f64 v[13:14], v[13:14], v[17:18]
	;; [unrolled: 18-line block ×3, first 2 shown]
	s_waitcnt vmcnt(19) lgkmcnt(1)
	v_mul_f64 v[29:30], v[3:4], v[73:74]
	v_mul_f64 v[19:20], v[1:2], v[73:74]
	s_waitcnt vmcnt(17)
	v_fma_f64 v[35:36], v[5:6], v[27:28], -v[35:36]
	v_fma_f64 v[23:24], v[7:8], v[27:28], v[23:24]
	ds_read_b128 v[5:8], v70 offset:1952
	v_add_f64 v[15:16], v[15:16], v[39:40]
	v_add_f64 v[13:14], v[13:14], v[17:18]
	s_waitcnt vmcnt(13) lgkmcnt(1)
	v_mul_f64 v[17:18], v[9:10], v[21:22]
	v_mul_f64 v[21:22], v[11:12], v[21:22]
	s_waitcnt vmcnt(12)
	v_fma_f64 v[27:28], v[1:2], v[123:124], -v[29:30]
	v_fma_f64 v[19:20], v[3:4], v[123:124], v[19:20]
	ds_read_b128 v[1:4], v70 offset:1968
	v_add_f64 v[15:16], v[15:16], v[35:36]
	v_add_f64 v[13:14], v[13:14], v[23:24]
	s_waitcnt vmcnt(11) lgkmcnt(1)
	v_mul_f64 v[29:30], v[7:8], v[86:87]
	v_mul_f64 v[23:24], v[5:6], v[86:87]
	s_waitcnt vmcnt(9)
	v_fma_f64 v[9:10], v[9:10], v[25:26], -v[21:22]
	v_fma_f64 v[11:12], v[11:12], v[25:26], v[17:18]
	v_add_f64 v[15:16], v[15:16], v[27:28]
	v_add_f64 v[13:14], v[13:14], v[19:20]
	s_waitcnt vmcnt(7) lgkmcnt(0)
	v_mul_f64 v[19:20], v[3:4], v[33:34]
	s_waitcnt vmcnt(6)
	v_fma_f64 v[5:6], v[5:6], v[125:126], -v[29:30]
	v_mul_f64 v[17:18], v[1:2], v[33:34]
	v_fma_f64 v[7:8], v[7:8], v[125:126], v[23:24]
	v_add_f64 v[9:10], v[15:16], v[9:10]
	v_add_f64 v[11:12], v[13:14], v[11:12]
	s_waitcnt vmcnt(4)
	v_fma_f64 v[1:2], v[1:2], v[31:32], -v[19:20]
	v_fma_f64 v[3:4], v[3:4], v[31:32], v[17:18]
	v_add_f64 v[5:6], v[9:10], v[5:6]
	v_add_f64 v[7:8], v[11:12], v[7:8]
	;; [unrolled: 1-line block ×4, first 2 shown]
	s_waitcnt vmcnt(2)
	v_add_f64 v[1:2], v[37:38], -v[1:2]
	s_waitcnt vmcnt(0)
	v_add_f64 v[3:4], v[45:46], -v[3:4]
	buffer_store_dword v2, off, s[0:3], 0 offset:100
	buffer_store_dword v1, off, s[0:3], 0 offset:96
	;; [unrolled: 1-line block ×4, first 2 shown]
	v_cmpx_lt_u32_e32 4, v0
	s_cbranch_execz .LBB61_389
; %bb.388:
	v_mov_b32_e32 v4, s63
	v_mov_b32_e32 v5, 0
	s_clause 0x3
	buffer_load_dword v1, v4, s[0:3], 0 offen
	buffer_load_dword v2, v4, s[0:3], 0 offen offset:4
	buffer_load_dword v3, v4, s[0:3], 0 offen offset:8
	;; [unrolled: 1-line block ×3, first 2 shown]
	buffer_store_dword v5, off, s[0:3], 0 offset:80
	buffer_store_dword v5, off, s[0:3], 0 offset:84
	;; [unrolled: 1-line block ×4, first 2 shown]
	s_waitcnt vmcnt(0)
	ds_write_b128 v69, v[1:4]
.LBB61_389:
	s_or_b32 exec_lo, exec_lo, s4
	s_waitcnt lgkmcnt(0)
	s_waitcnt_vscnt null, 0x0
	s_barrier
	buffer_gl0_inv
	s_clause 0x37
	buffer_load_dword v17, off, s[0:3], 0 offset:104
	buffer_load_dword v18, off, s[0:3], 0 offset:108
	;; [unrolled: 1-line block ×56, first 2 shown]
	v_mov_b32_e32 v70, 0
	s_mov_b32 s4, exec_lo
	ds_read_b128 v[5:8], v70 offset:1072
	s_clause 0x2
	buffer_load_dword v66, off, s[0:3], 0 offset:332
	buffer_load_dword v68, off, s[0:3], 0 offset:308
	buffer_load_dword v67, off, s[0:3], 0 offset:304
	ds_read_b128 v[1:4], v70 offset:1088
	s_clause 0x4
	buffer_load_dword v78, off, s[0:3], 0 offset:348
	buffer_load_dword v84, off, s[0:3], 0 offset:360
	buffer_load_dword v86, off, s[0:3], 0 offset:352
	buffer_load_dword v77, off, s[0:3], 0 offset:344
	buffer_load_dword v58, off, s[0:3], 0 offset:324
	ds_read_b128 v[71:74], v70 offset:1104
	s_waitcnt vmcnt(62) lgkmcnt(2)
	v_mul_f64 v[75:76], v[7:8], v[17:18]
	v_mul_f64 v[17:18], v[5:6], v[17:18]
	s_waitcnt vmcnt(60) lgkmcnt(1)
	v_mul_f64 v[87:88], v[3:4], v[13:14]
	v_mul_f64 v[13:14], v[1:2], v[13:14]
	;; [unrolled: 3-line block ×3, first 2 shown]
	v_fma_f64 v[75:76], v[5:6], v[15:16], -v[75:76]
	v_fma_f64 v[15:16], v[7:8], v[15:16], v[17:18]
	s_clause 0x2
	buffer_load_dword v85, off, s[0:3], 0 offset:364
	buffer_load_dword v18, off, s[0:3], 0 offset:340
	;; [unrolled: 1-line block ×3, first 2 shown]
	s_waitcnt vmcnt(57)
	v_fma_f64 v[95:96], v[1:2], v[9:10], -v[87:88]
	ds_read_b128 v[5:8], v70 offset:1120
	v_fma_f64 v[9:10], v[3:4], v[9:10], v[13:14]
	s_waitcnt vmcnt(51)
	v_fma_f64 v[71:72], v[71:72], v[33:34], -v[11:12]
	v_fma_f64 v[33:34], v[73:74], v[33:34], v[93:94]
	v_add_f64 v[75:76], v[75:76], 0
	v_add_f64 v[13:14], v[15:16], 0
	s_clause 0x4
	buffer_load_dword v16, off, s[0:3], 0 offset:380
	buffer_load_dword v123, off, s[0:3], 0 offset:392
	;; [unrolled: 1-line block ×5, first 2 shown]
	s_waitcnt lgkmcnt(0)
	v_mul_f64 v[126:127], v[5:6], v[21:22]
	v_mul_f64 v[21:22], v[7:8], v[21:22]
	ds_read_b128 v[1:4], v70 offset:1136
	s_clause 0x2
	buffer_load_dword v124, off, s[0:3], 0 offset:396
	buffer_load_dword v74, off, s[0:3], 0 offset:372
	;; [unrolled: 1-line block ×3, first 2 shown]
	v_add_f64 v[75:76], v[75:76], v[95:96]
	v_add_f64 v[13:14], v[13:14], v[9:10]
	ds_read_b128 v[9:12], v70 offset:1152
	s_waitcnt vmcnt(58) lgkmcnt(1)
	v_mul_f64 v[93:94], v[1:2], v[25:26]
	v_mul_f64 v[25:26], v[3:4], v[25:26]
	s_waitcnt vmcnt(56)
	v_fma_f64 v[21:22], v[5:6], v[27:28], -v[21:22]
	v_fma_f64 v[27:28], v[7:8], v[27:28], v[126:127]
	s_waitcnt vmcnt(52) lgkmcnt(0)
	v_mul_f64 v[127:128], v[9:10], v[29:30]
	v_add_f64 v[71:72], v[75:76], v[71:72]
	v_add_f64 v[13:14], v[13:14], v[33:34]
	s_clause 0x4
	buffer_load_dword v34, off, s[0:3], 0 offset:412
	buffer_load_dword v75, off, s[0:3], 0 offset:424
	;; [unrolled: 1-line block ×5, first 2 shown]
	v_mul_f64 v[29:30], v[11:12], v[29:30]
	s_waitcnt vmcnt(56)
	v_fma_f64 v[25:26], v[1:2], v[19:20], -v[25:26]
	ds_read_b128 v[5:8], v70 offset:1168
	v_fma_f64 v[19:20], v[3:4], v[19:20], v[93:94]
	v_add_f64 v[21:22], v[71:72], v[21:22]
	v_add_f64 v[13:14], v[13:14], v[27:28]
	s_clause 0x2
	buffer_load_dword v76, off, s[0:3], 0 offset:428
	buffer_load_dword v28, off, s[0:3], 0 offset:404
	;; [unrolled: 1-line block ×3, first 2 shown]
	s_waitcnt vmcnt(58) lgkmcnt(0)
	v_mul_f64 v[71:72], v[5:6], v[35:36]
	v_mul_f64 v[35:36], v[7:8], v[35:36]
	s_waitcnt vmcnt(56)
	v_fma_f64 v[29:30], v[9:10], v[37:38], -v[29:30]
	ds_read_b128 v[1:4], v70 offset:1184
	v_add_f64 v[21:22], v[21:22], v[25:26]
	v_fma_f64 v[25:26], v[11:12], v[37:38], v[127:128]
	v_add_f64 v[13:14], v[13:14], v[19:20]
	s_clause 0x4
	buffer_load_dword v20, off, s[0:3], 0 offset:444
	buffer_load_dword v37, off, s[0:3], 0 offset:456
	;; [unrolled: 1-line block ×5, first 2 shown]
	s_waitcnt vmcnt(57) lgkmcnt(0)
	v_mul_f64 v[127:128], v[1:2], v[39:40]
	v_mul_f64 v[39:40], v[3:4], v[39:40]
	s_waitcnt vmcnt(56)
	v_fma_f64 v[35:36], v[5:6], v[23:24], -v[35:36]
	ds_read_b128 v[9:12], v70 offset:1200
	v_fma_f64 v[23:24], v[7:8], v[23:24], v[71:72]
	v_add_f64 v[21:22], v[21:22], v[29:30]
	v_add_f64 v[13:14], v[13:14], v[25:26]
	s_clause 0x2
	buffer_load_dword v38, off, s[0:3], 0 offset:460
	buffer_load_dword v26, off, s[0:3], 0 offset:436
	;; [unrolled: 1-line block ×3, first 2 shown]
	ds_read_b128 v[5:8], v70 offset:1216
	s_waitcnt vmcnt(58) lgkmcnt(1)
	v_mul_f64 v[29:30], v[9:10], v[43:44]
	v_mul_f64 v[43:44], v[11:12], v[43:44]
	s_waitcnt vmcnt(56)
	v_fma_f64 v[39:40], v[1:2], v[45:46], -v[39:40]
	v_add_f64 v[21:22], v[21:22], v[35:36]
	v_fma_f64 v[35:36], v[3:4], v[45:46], v[127:128]
	v_add_f64 v[13:14], v[13:14], v[23:24]
	s_clause 0x4
	buffer_load_dword v24, off, s[0:3], 0 offset:476
	buffer_load_dword v45, off, s[0:3], 0 offset:488
	;; [unrolled: 1-line block ×5, first 2 shown]
	s_waitcnt vmcnt(57) lgkmcnt(0)
	v_mul_f64 v[127:128], v[5:6], v[47:48]
	v_mul_f64 v[47:48], v[7:8], v[47:48]
	s_waitcnt vmcnt(56)
	v_fma_f64 v[43:44], v[9:10], v[31:32], -v[43:44]
	ds_read_b128 v[1:4], v70 offset:1232
	v_fma_f64 v[29:30], v[11:12], v[31:32], v[29:30]
	s_clause 0x2
	buffer_load_dword v46, off, s[0:3], 0 offset:492
	buffer_load_dword v32, off, s[0:3], 0 offset:468
	;; [unrolled: 1-line block ×3, first 2 shown]
	ds_read_b128 v[9:12], v70 offset:1248
	v_add_f64 v[21:22], v[21:22], v[39:40]
	v_add_f64 v[13:14], v[13:14], v[35:36]
	s_waitcnt vmcnt(58) lgkmcnt(1)
	v_mul_f64 v[39:40], v[3:4], v[51:52]
	s_waitcnt vmcnt(56)
	v_fma_f64 v[47:48], v[5:6], v[53:54], -v[47:48]
	v_mul_f64 v[35:36], v[1:2], v[51:52]
	v_add_f64 v[21:22], v[21:22], v[43:44]
	v_fma_f64 v[43:44], v[7:8], v[53:54], v[127:128]
	v_add_f64 v[13:14], v[13:14], v[29:30]
	s_clause 0x4
	buffer_load_dword v30, off, s[0:3], 0 offset:508
	buffer_load_dword v51, off, s[0:3], 0 offset:520
	;; [unrolled: 1-line block ×5, first 2 shown]
	s_waitcnt vmcnt(57) lgkmcnt(0)
	v_mul_f64 v[127:128], v[9:10], v[55:56]
	v_mul_f64 v[54:55], v[11:12], v[55:56]
	s_waitcnt vmcnt(56)
	v_fma_f64 v[39:40], v[1:2], v[41:42], -v[39:40]
	ds_read_b128 v[5:8], v70 offset:1264
	v_fma_f64 v[35:36], v[3:4], v[41:42], v[35:36]
	s_clause 0x2
	buffer_load_dword v52, off, s[0:3], 0 offset:524
	buffer_load_dword v42, off, s[0:3], 0 offset:500
	;; [unrolled: 1-line block ×3, first 2 shown]
	ds_read_b128 v[1:4], v70 offset:1280
	v_add_f64 v[21:22], v[21:22], v[47:48]
	v_add_f64 v[13:14], v[13:14], v[43:44]
	s_waitcnt vmcnt(58) lgkmcnt(1)
	v_mul_f64 v[47:48], v[7:8], v[59:60]
	s_waitcnt vmcnt(56)
	v_fma_f64 v[55:56], v[9:10], v[61:62], -v[54:55]
	v_mul_f64 v[43:44], v[5:6], v[59:60]
	v_add_f64 v[21:22], v[21:22], v[39:40]
	v_fma_f64 v[39:40], v[11:12], v[61:62], v[127:128]
	v_add_f64 v[13:14], v[13:14], v[35:36]
	s_clause 0x4
	buffer_load_dword v36, off, s[0:3], 0 offset:540
	buffer_load_dword v59, off, s[0:3], 0 offset:552
	;; [unrolled: 1-line block ×5, first 2 shown]
	s_waitcnt vmcnt(57) lgkmcnt(0)
	v_mul_f64 v[127:128], v[1:2], v[63:64]
	v_mul_f64 v[62:63], v[3:4], v[63:64]
	s_waitcnt vmcnt(56)
	v_fma_f64 v[47:48], v[5:6], v[49:50], -v[47:48]
	ds_read_b128 v[9:12], v70 offset:1296
	v_fma_f64 v[43:44], v[7:8], v[49:50], v[43:44]
	v_add_f64 v[21:22], v[21:22], v[55:56]
	v_add_f64 v[13:14], v[13:14], v[39:40]
	s_clause 0x2
	buffer_load_dword v60, off, s[0:3], 0 offset:556
	buffer_load_dword v40, off, s[0:3], 0 offset:532
	;; [unrolled: 1-line block ×3, first 2 shown]
	ds_read_b128 v[5:8], v70 offset:1312
	s_waitcnt vmcnt(58) lgkmcnt(1)
	v_mul_f64 v[55:56], v[11:12], v[65:66]
	s_waitcnt vmcnt(56)
	v_fma_f64 v[63:64], v[1:2], v[67:68], -v[62:63]
	v_mul_f64 v[49:50], v[9:10], v[65:66]
	v_add_f64 v[21:22], v[21:22], v[47:48]
	v_fma_f64 v[47:48], v[3:4], v[67:68], v[127:128]
	v_add_f64 v[13:14], v[13:14], v[43:44]
	s_clause 0x4
	buffer_load_dword v44, off, s[0:3], 0 offset:572
	buffer_load_dword v65, off, s[0:3], 0 offset:584
	;; [unrolled: 1-line block ×5, first 2 shown]
	s_waitcnt vmcnt(57) lgkmcnt(0)
	v_mul_f64 v[127:128], v[5:6], v[77:78]
	v_mul_f64 v[77:78], v[7:8], v[77:78]
	s_waitcnt vmcnt(56)
	v_fma_f64 v[55:56], v[9:10], v[57:58], -v[55:56]
	ds_read_b128 v[1:4], v70 offset:1328
	v_fma_f64 v[49:50], v[11:12], v[57:58], v[49:50]
	v_add_f64 v[21:22], v[21:22], v[63:64]
	v_add_f64 v[13:14], v[13:14], v[47:48]
	s_clause 0x2
	buffer_load_dword v66, off, s[0:3], 0 offset:588
	buffer_load_dword v48, off, s[0:3], 0 offset:564
	;; [unrolled: 1-line block ×3, first 2 shown]
	ds_read_b128 v[9:12], v70 offset:1344
	s_waitcnt vmcnt(58) lgkmcnt(1)
	v_mul_f64 v[63:64], v[3:4], v[84:85]
	v_mul_f64 v[57:58], v[1:2], v[84:85]
	s_waitcnt vmcnt(56)
	v_fma_f64 v[77:78], v[5:6], v[17:18], -v[77:78]
	v_fma_f64 v[17:18], v[7:8], v[17:18], v[127:128]
	v_add_f64 v[21:22], v[21:22], v[55:56]
	v_add_f64 v[13:14], v[13:14], v[49:50]
	s_clause 0x4
	buffer_load_dword v50, off, s[0:3], 0 offset:604
	buffer_load_dword v55, off, s[0:3], 0 offset:616
	;; [unrolled: 1-line block ×5, first 2 shown]
	ds_read_b128 v[5:8], v70 offset:1360
	s_waitcnt vmcnt(57) lgkmcnt(1)
	v_mul_f64 v[127:128], v[9:10], v[15:16]
	v_mul_f64 v[15:16], v[11:12], v[15:16]
	s_waitcnt vmcnt(56)
	v_fma_f64 v[63:64], v[1:2], v[86:87], -v[63:64]
	v_fma_f64 v[57:58], v[3:4], v[86:87], v[57:58]
	v_add_f64 v[21:22], v[21:22], v[77:78]
	v_add_f64 v[13:14], v[13:14], v[17:18]
	s_clause 0x2
	buffer_load_dword v56, off, s[0:3], 0 offset:620
	buffer_load_dword v18, off, s[0:3], 0 offset:596
	;; [unrolled: 1-line block ×3, first 2 shown]
	s_waitcnt vmcnt(58) lgkmcnt(0)
	v_mul_f64 v[86:87], v[7:8], v[123:124]
	ds_read_b128 v[1:4], v70 offset:1376
	v_mul_f64 v[77:78], v[5:6], v[123:124]
	s_waitcnt vmcnt(56)
	v_fma_f64 v[15:16], v[9:10], v[73:74], -v[15:16]
	v_add_f64 v[21:22], v[21:22], v[63:64]
	v_fma_f64 v[63:64], v[11:12], v[73:74], v[127:128]
	v_add_f64 v[13:14], v[13:14], v[57:58]
	s_clause 0x4
	buffer_load_dword v58, off, s[0:3], 0 offset:636
	buffer_load_dword v73, off, s[0:3], 0 offset:648
	;; [unrolled: 1-line block ×5, first 2 shown]
	ds_read_b128 v[9:12], v70 offset:1392
	s_waitcnt vmcnt(57) lgkmcnt(1)
	v_mul_f64 v[127:128], v[1:2], v[33:34]
	v_mul_f64 v[33:34], v[3:4], v[33:34]
	s_waitcnt vmcnt(56)
	v_fma_f64 v[86:87], v[5:6], v[125:126], -v[86:87]
	v_add_f64 v[15:16], v[21:22], v[15:16]
	v_fma_f64 v[21:22], v[7:8], v[125:126], v[77:78]
	v_add_f64 v[13:14], v[13:14], v[63:64]
	s_clause 0x2
	buffer_load_dword v74, off, s[0:3], 0 offset:652
	buffer_load_dword v64, off, s[0:3], 0 offset:628
	;; [unrolled: 1-line block ×3, first 2 shown]
	ds_read_b128 v[5:8], v70 offset:1408
	s_waitcnt vmcnt(58) lgkmcnt(1)
	v_mul_f64 v[77:78], v[9:10], v[75:76]
	v_mul_f64 v[75:76], v[11:12], v[75:76]
	s_waitcnt vmcnt(56)
	v_fma_f64 v[33:34], v[1:2], v[27:28], -v[33:34]
	v_fma_f64 v[27:28], v[3:4], v[27:28], v[127:128]
	v_add_f64 v[15:16], v[15:16], v[86:87]
	v_add_f64 v[13:14], v[13:14], v[21:22]
	s_clause 0x4
	buffer_load_dword v22, off, s[0:3], 0 offset:668
	buffer_load_dword v86, off, s[0:3], 0 offset:680
	;; [unrolled: 1-line block ×5, first 2 shown]
	ds_read_b128 v[1:4], v70 offset:1424
	s_waitcnt vmcnt(57) lgkmcnt(1)
	v_mul_f64 v[126:127], v[5:6], v[19:20]
	v_mul_f64 v[19:20], v[7:8], v[19:20]
	s_waitcnt vmcnt(56)
	v_fma_f64 v[75:76], v[9:10], v[95:96], -v[75:76]
	v_add_f64 v[15:16], v[15:16], v[33:34]
	v_fma_f64 v[33:34], v[11:12], v[95:96], v[77:78]
	v_add_f64 v[13:14], v[13:14], v[27:28]
	s_clause 0x2
	buffer_load_dword v87, off, s[0:3], 0 offset:684
	buffer_load_dword v28, off, s[0:3], 0 offset:660
	;; [unrolled: 1-line block ×3, first 2 shown]
	ds_read_b128 v[9:12], v70 offset:1440
	s_waitcnt vmcnt(58) lgkmcnt(1)
	v_mul_f64 v[77:78], v[1:2], v[37:38]
	v_mul_f64 v[37:38], v[3:4], v[37:38]
	s_waitcnt vmcnt(56)
	v_fma_f64 v[19:20], v[5:6], v[25:26], -v[19:20]
	v_fma_f64 v[25:26], v[7:8], v[25:26], v[126:127]
	v_add_f64 v[15:16], v[15:16], v[75:76]
	v_add_f64 v[13:14], v[13:14], v[33:34]
	s_clause 0x4
	buffer_load_dword v34, off, s[0:3], 0 offset:700
	buffer_load_dword v75, off, s[0:3], 0 offset:712
	;; [unrolled: 1-line block ×5, first 2 shown]
	ds_read_b128 v[5:8], v70 offset:1456
	s_waitcnt vmcnt(57) lgkmcnt(1)
	v_mul_f64 v[127:128], v[9:10], v[23:24]
	v_mul_f64 v[23:24], v[11:12], v[23:24]
	s_waitcnt vmcnt(56)
	v_fma_f64 v[37:38], v[1:2], v[93:94], -v[37:38]
	v_add_f64 v[15:16], v[15:16], v[19:20]
	v_fma_f64 v[19:20], v[3:4], v[93:94], v[77:78]
	v_add_f64 v[13:14], v[13:14], v[25:26]
	s_clause 0x2
	buffer_load_dword v76, off, s[0:3], 0 offset:716
	buffer_load_dword v26, off, s[0:3], 0 offset:692
	;; [unrolled: 1-line block ×3, first 2 shown]
	s_waitcnt vmcnt(58) lgkmcnt(0)
	v_mul_f64 v[77:78], v[5:6], v[45:46]
	v_mul_f64 v[45:46], v[7:8], v[45:46]
	ds_read_b128 v[1:4], v70 offset:1472
	s_waitcnt vmcnt(56)
	v_fma_f64 v[23:24], v[9:10], v[31:32], -v[23:24]
	v_fma_f64 v[31:32], v[11:12], v[31:32], v[127:128]
	v_add_f64 v[15:16], v[15:16], v[37:38]
	v_add_f64 v[13:14], v[13:14], v[19:20]
	s_clause 0x4
	buffer_load_dword v20, off, s[0:3], 0 offset:732
	buffer_load_dword v37, off, s[0:3], 0 offset:744
	;; [unrolled: 1-line block ×5, first 2 shown]
	ds_read_b128 v[9:12], v70 offset:1488
	s_waitcnt vmcnt(57) lgkmcnt(1)
	v_mul_f64 v[127:128], v[1:2], v[29:30]
	v_mul_f64 v[29:30], v[3:4], v[29:30]
	s_waitcnt vmcnt(56)
	v_fma_f64 v[45:46], v[5:6], v[71:72], -v[45:46]
	v_add_f64 v[15:16], v[15:16], v[23:24]
	v_fma_f64 v[23:24], v[7:8], v[71:72], v[77:78]
	v_add_f64 v[13:14], v[13:14], v[31:32]
	s_clause 0x2
	buffer_load_dword v38, off, s[0:3], 0 offset:748
	buffer_load_dword v32, off, s[0:3], 0 offset:724
	buffer_load_dword v31, off, s[0:3], 0 offset:720
	s_waitcnt vmcnt(58) lgkmcnt(0)
	v_mul_f64 v[71:72], v[9:10], v[51:52]
	v_mul_f64 v[51:52], v[11:12], v[51:52]
	ds_read_b128 v[5:8], v70 offset:1504
	s_waitcnt vmcnt(56)
	v_fma_f64 v[29:30], v[1:2], v[41:42], -v[29:30]
	v_fma_f64 v[41:42], v[3:4], v[41:42], v[127:128]
	v_add_f64 v[15:16], v[15:16], v[45:46]
	v_add_f64 v[13:14], v[13:14], v[23:24]
	s_clause 0x4
	buffer_load_dword v24, off, s[0:3], 0 offset:764
	buffer_load_dword v45, off, s[0:3], 0 offset:776
	buffer_load_dword v77, off, s[0:3], 0 offset:768
	buffer_load_dword v23, off, s[0:3], 0 offset:760
	buffer_load_dword v94, off, s[0:3], 0 offset:740
	ds_read_b128 v[1:4], v70 offset:1520
	s_waitcnt vmcnt(57) lgkmcnt(1)
	v_mul_f64 v[78:79], v[5:6], v[35:36]
	v_mul_f64 v[35:36], v[7:8], v[35:36]
	s_waitcnt vmcnt(56)
	v_fma_f64 v[51:52], v[9:10], v[53:54], -v[51:52]
	v_add_f64 v[15:16], v[15:16], v[29:30]
	v_fma_f64 v[29:30], v[11:12], v[53:54], v[71:72]
	v_add_f64 v[13:14], v[13:14], v[41:42]
	s_clause 0x2
	buffer_load_dword v46, off, s[0:3], 0 offset:780
	buffer_load_dword v42, off, s[0:3], 0 offset:756
	buffer_load_dword v41, off, s[0:3], 0 offset:752
	ds_read_b128 v[9:12], v70 offset:1536
	s_waitcnt vmcnt(58) lgkmcnt(1)
	v_mul_f64 v[53:54], v[1:2], v[59:60]
	v_mul_f64 v[59:60], v[3:4], v[59:60]
	s_waitcnt vmcnt(56)
	v_fma_f64 v[35:36], v[5:6], v[39:40], -v[35:36]
	v_fma_f64 v[39:40], v[7:8], v[39:40], v[78:79]
	v_add_f64 v[15:16], v[15:16], v[51:52]
	v_add_f64 v[13:14], v[13:14], v[29:30]
	s_clause 0x4
	buffer_load_dword v30, off, s[0:3], 0 offset:796
	buffer_load_dword v51, off, s[0:3], 0 offset:808
	buffer_load_dword v71, off, s[0:3], 0 offset:800
	buffer_load_dword v29, off, s[0:3], 0 offset:792
	buffer_load_dword v78, off, s[0:3], 0 offset:772
	ds_read_b128 v[5:8], v70 offset:1552
	s_waitcnt vmcnt(57) lgkmcnt(1)
	v_mul_f64 v[127:128], v[9:10], v[43:44]
	v_mul_f64 v[43:44], v[11:12], v[43:44]
	s_waitcnt vmcnt(56)
	v_fma_f64 v[59:60], v[1:2], v[61:62], -v[59:60]
	v_add_f64 v[15:16], v[15:16], v[35:36]
	v_fma_f64 v[35:36], v[3:4], v[61:62], v[53:54]
	v_add_f64 v[13:14], v[13:14], v[39:40]
	s_clause 0x2
	buffer_load_dword v52, off, s[0:3], 0 offset:812
	buffer_load_dword v40, off, s[0:3], 0 offset:788
	buffer_load_dword v39, off, s[0:3], 0 offset:784
	ds_read_b128 v[1:4], v70 offset:1568
	s_waitcnt vmcnt(58) lgkmcnt(1)
	v_mul_f64 v[61:62], v[7:8], v[65:66]
	v_mul_f64 v[53:54], v[5:6], v[65:66]
	;; [unrolled: 28-line block ×4, first 2 shown]
	s_waitcnt vmcnt(56)
	v_fma_f64 v[57:58], v[5:6], v[63:64], -v[57:58]
	v_add_f64 v[15:16], v[15:16], v[55:56]
	v_fma_f64 v[55:56], v[7:8], v[63:64], v[127:128]
	v_add_f64 v[13:14], v[13:14], v[49:50]
	s_clause 0x4
	buffer_load_dword v50, off, s[0:3], 0 offset:892
	buffer_load_dword v63, off, s[0:3], 0 offset:904
	;; [unrolled: 1-line block ×5, first 2 shown]
	ds_read_b128 v[5:8], v70 offset:1648
	s_waitcnt vmcnt(57) lgkmcnt(1)
	v_mul_f64 v[127:128], v[9:10], v[21:22]
	v_mul_f64 v[21:22], v[11:12], v[21:22]
	s_waitcnt vmcnt(56)
	v_fma_f64 v[73:74], v[1:2], v[123:124], -v[73:74]
	v_fma_f64 v[53:54], v[3:4], v[123:124], v[53:54]
	v_add_f64 v[15:16], v[15:16], v[57:58]
	v_add_f64 v[13:14], v[13:14], v[55:56]
	s_clause 0x2
	buffer_load_dword v64, off, s[0:3], 0 offset:908
	buffer_load_dword v56, off, s[0:3], 0 offset:884
	buffer_load_dword v55, off, s[0:3], 0 offset:880
	ds_read_b128 v[1:4], v70 offset:1664
	s_waitcnt vmcnt(58) lgkmcnt(1)
	v_mul_f64 v[57:58], v[5:6], v[86:87]
	v_mul_f64 v[86:87], v[7:8], v[86:87]
	s_waitcnt vmcnt(56)
	v_fma_f64 v[21:22], v[9:10], v[27:28], -v[21:22]
	v_fma_f64 v[27:28], v[11:12], v[27:28], v[127:128]
	v_add_f64 v[15:16], v[15:16], v[73:74]
	v_add_f64 v[13:14], v[13:14], v[53:54]
	s_clause 0x4
	buffer_load_dword v54, off, s[0:3], 0 offset:924
	buffer_load_dword v73, off, s[0:3], 0 offset:936
	buffer_load_dword v123, off, s[0:3], 0 offset:928
	buffer_load_dword v53, off, s[0:3], 0 offset:920
	buffer_load_dword v85, off, s[0:3], 0 offset:900
	ds_read_b128 v[9:12], v70 offset:1680
	s_waitcnt vmcnt(57) lgkmcnt(1)
	v_mul_f64 v[127:128], v[1:2], v[33:34]
	v_mul_f64 v[33:34], v[3:4], v[33:34]
	s_waitcnt vmcnt(56)
	v_fma_f64 v[86:87], v[5:6], v[125:126], -v[86:87]
	v_add_f64 v[15:16], v[15:16], v[21:22]
	v_fma_f64 v[21:22], v[7:8], v[125:126], v[57:58]
	v_add_f64 v[13:14], v[13:14], v[27:28]
	s_clause 0x2
	buffer_load_dword v74, off, s[0:3], 0 offset:940
	buffer_load_dword v28, off, s[0:3], 0 offset:916
	buffer_load_dword v27, off, s[0:3], 0 offset:912
	ds_read_b128 v[5:8], v70 offset:1696
	s_waitcnt vmcnt(58) lgkmcnt(1)
	v_mul_f64 v[57:58], v[9:10], v[75:76]
	v_mul_f64 v[75:76], v[11:12], v[75:76]
	s_waitcnt vmcnt(56)
	v_fma_f64 v[33:34], v[1:2], v[25:26], -v[33:34]
	v_fma_f64 v[25:26], v[3:4], v[25:26], v[127:128]
	v_add_f64 v[15:16], v[15:16], v[86:87]
	v_add_f64 v[13:14], v[13:14], v[21:22]
	s_clause 0x4
	buffer_load_dword v22, off, s[0:3], 0 offset:956
	buffer_load_dword v86, off, s[0:3], 0 offset:968
	buffer_load_dword v125, off, s[0:3], 0 offset:960
	buffer_load_dword v21, off, s[0:3], 0 offset:952
	buffer_load_dword v124, off, s[0:3], 0 offset:932
	ds_read_b128 v[1:4], v70 offset:1712
	s_waitcnt vmcnt(57) lgkmcnt(1)
	v_mul_f64 v[126:127], v[5:6], v[19:20]
	v_mul_f64 v[19:20], v[7:8], v[19:20]
	s_waitcnt vmcnt(56)
	v_fma_f64 v[75:76], v[9:10], v[95:96], -v[75:76]
	v_add_f64 v[15:16], v[15:16], v[33:34]
	v_fma_f64 v[33:34], v[11:12], v[95:96], v[57:58]
	;; [unrolled: 28-line block ×3, first 2 shown]
	v_add_f64 v[13:14], v[13:14], v[31:32]
	s_clause 0x2
	buffer_load_dword v76, off, s[0:3], 0 offset:1004
	buffer_load_dword v32, off, s[0:3], 0 offset:980
	;; [unrolled: 1-line block ×3, first 2 shown]
	ds_read_b128 v[1:4], v70 offset:1760
	buffer_load_dword v96, off, s[0:3], 0 offset:996
	s_waitcnt vmcnt(59) lgkmcnt(1)
	v_mul_f64 v[57:58], v[5:6], v[45:46]
	v_mul_f64 v[45:46], v[7:8], v[45:46]
	s_waitcnt vmcnt(57)
	v_fma_f64 v[23:24], v[9:10], v[41:42], -v[23:24]
	v_add_f64 v[15:16], v[15:16], v[37:38]
	v_fma_f64 v[37:38], v[11:12], v[41:42], v[127:128]
	v_add_f64 v[13:14], v[13:14], v[19:20]
	ds_read_b128 v[9:12], v70 offset:1776
	s_waitcnt vmcnt(53) lgkmcnt(1)
	v_mul_f64 v[19:20], v[1:2], v[29:30]
	v_mul_f64 v[29:30], v[3:4], v[29:30]
	s_waitcnt vmcnt(52)
	v_fma_f64 v[41:42], v[5:6], v[77:78], -v[45:46]
	v_add_f64 v[15:16], v[15:16], v[23:24]
	v_fma_f64 v[23:24], v[7:8], v[77:78], v[57:58]
	v_add_f64 v[13:14], v[13:14], v[37:38]
	ds_read_b128 v[5:8], v70 offset:1792
	s_waitcnt vmcnt(51) lgkmcnt(1)
	v_mul_f64 v[45:46], v[11:12], v[51:52]
	v_mul_f64 v[37:38], v[9:10], v[51:52]
	s_waitcnt vmcnt(49)
	v_fma_f64 v[29:30], v[1:2], v[39:40], -v[29:30]
	v_fma_f64 v[19:20], v[3:4], v[39:40], v[19:20]
	v_add_f64 v[15:16], v[15:16], v[41:42]
	v_add_f64 v[13:14], v[13:14], v[23:24]
	s_clause 0x3
	buffer_load_dword v23, off, s[0:3], 0 offset:80
	buffer_load_dword v24, off, s[0:3], 0 offset:84
	;; [unrolled: 1-line block ×4, first 2 shown]
	ds_read_b128 v[1:4], v70 offset:1808
	s_waitcnt vmcnt(49) lgkmcnt(1)
	v_mul_f64 v[41:42], v[5:6], v[35:36]
	v_mul_f64 v[35:36], v[7:8], v[35:36]
	s_waitcnt vmcnt(48)
	v_fma_f64 v[45:46], v[9:10], v[71:72], -v[45:46]
	v_add_f64 v[15:16], v[15:16], v[29:30]
	v_fma_f64 v[29:30], v[11:12], v[71:72], v[37:38]
	v_add_f64 v[13:14], v[13:14], v[19:20]
	ds_read_b128 v[9:12], v70 offset:1824
	s_waitcnt vmcnt(47) lgkmcnt(1)
	v_mul_f64 v[37:38], v[3:4], v[59:60]
	v_mul_f64 v[19:20], v[1:2], v[59:60]
	s_waitcnt vmcnt(45)
	v_fma_f64 v[35:36], v[5:6], v[47:48], -v[35:36]
	v_fma_f64 v[41:42], v[7:8], v[47:48], v[41:42]
	ds_read_b128 v[5:8], v70 offset:1840
	v_add_f64 v[15:16], v[15:16], v[45:46]
	v_add_f64 v[13:14], v[13:14], v[29:30]
	s_waitcnt vmcnt(41) lgkmcnt(1)
	v_mul_f64 v[29:30], v[9:10], v[43:44]
	v_mul_f64 v[43:44], v[11:12], v[43:44]
	s_waitcnt vmcnt(40)
	v_fma_f64 v[37:38], v[1:2], v[65:66], -v[37:38]
	v_fma_f64 v[19:20], v[3:4], v[65:66], v[19:20]
	ds_read_b128 v[1:4], v70 offset:1856
	v_add_f64 v[15:16], v[15:16], v[35:36]
	v_add_f64 v[13:14], v[13:14], v[41:42]
	;; [unrolled: 9-line block ×3, first 2 shown]
	s_waitcnt vmcnt(33) lgkmcnt(1)
	v_mul_f64 v[29:30], v[3:4], v[49:50]
	s_waitcnt vmcnt(32)
	v_fma_f64 v[37:38], v[5:6], v[67:68], -v[41:42]
	v_mul_f64 v[19:20], v[1:2], v[49:50]
	v_fma_f64 v[35:36], v[7:8], v[67:68], v[35:36]
	ds_read_b128 v[5:8], v70 offset:1888
	v_add_f64 v[15:16], v[15:16], v[43:44]
	v_add_f64 v[13:14], v[13:14], v[17:18]
	s_waitcnt vmcnt(31) lgkmcnt(1)
	v_mul_f64 v[41:42], v[11:12], v[63:64]
	v_mul_f64 v[17:18], v[9:10], v[63:64]
	s_waitcnt vmcnt(29)
	v_fma_f64 v[29:30], v[1:2], v[55:56], -v[29:30]
	v_fma_f64 v[19:20], v[3:4], v[55:56], v[19:20]
	ds_read_b128 v[1:4], v70 offset:1904
	v_add_f64 v[15:16], v[15:16], v[37:38]
	v_add_f64 v[13:14], v[13:14], v[35:36]
	s_waitcnt vmcnt(25) lgkmcnt(1)
	v_mul_f64 v[37:38], v[7:8], v[53:54]
	s_waitcnt vmcnt(24)
	v_fma_f64 v[41:42], v[9:10], v[84:85], -v[41:42]
	v_mul_f64 v[35:36], v[5:6], v[53:54]
	v_fma_f64 v[17:18], v[11:12], v[84:85], v[17:18]
	ds_read_b128 v[9:12], v70 offset:1920
	v_add_f64 v[15:16], v[15:16], v[29:30]
	v_add_f64 v[13:14], v[13:14], v[19:20]
	s_waitcnt vmcnt(23) lgkmcnt(1)
	v_mul_f64 v[29:30], v[3:4], v[73:74]
	v_mul_f64 v[19:20], v[1:2], v[73:74]
	s_waitcnt vmcnt(21)
	v_fma_f64 v[37:38], v[5:6], v[27:28], -v[37:38]
	v_fma_f64 v[27:28], v[7:8], v[27:28], v[35:36]
	ds_read_b128 v[5:8], v70 offset:1936
	v_add_f64 v[15:16], v[15:16], v[41:42]
	v_add_f64 v[13:14], v[13:14], v[17:18]
	s_waitcnt vmcnt(17) lgkmcnt(1)
	v_mul_f64 v[17:18], v[9:10], v[21:22]
	v_mul_f64 v[21:22], v[11:12], v[21:22]
	s_waitcnt vmcnt(16)
	v_fma_f64 v[29:30], v[1:2], v[123:124], -v[29:30]
	;; [unrolled: 9-line block ×3, first 2 shown]
	v_fma_f64 v[17:18], v[11:12], v[25:26], v[17:18]
	ds_read_b128 v[9:12], v70 offset:1968
	v_add_f64 v[15:16], v[15:16], v[29:30]
	v_add_f64 v[13:14], v[13:14], v[19:20]
	s_waitcnt vmcnt(9) lgkmcnt(1)
	v_mul_f64 v[25:26], v[3:4], v[33:34]
	s_waitcnt vmcnt(8)
	v_fma_f64 v[5:6], v[5:6], v[125:126], -v[35:36]
	v_mul_f64 v[19:20], v[1:2], v[33:34]
	v_fma_f64 v[7:8], v[7:8], v[125:126], v[27:28]
	v_add_f64 v[15:16], v[15:16], v[21:22]
	v_add_f64 v[13:14], v[13:14], v[17:18]
	s_waitcnt vmcnt(7) lgkmcnt(0)
	v_mul_f64 v[21:22], v[11:12], v[75:76]
	v_mul_f64 v[17:18], v[9:10], v[75:76]
	s_waitcnt vmcnt(5)
	v_fma_f64 v[1:2], v[1:2], v[31:32], -v[25:26]
	v_fma_f64 v[3:4], v[3:4], v[31:32], v[19:20]
	v_add_f64 v[5:6], v[15:16], v[5:6]
	v_add_f64 v[7:8], v[13:14], v[7:8]
	s_waitcnt vmcnt(4)
	v_fma_f64 v[9:10], v[9:10], v[95:96], -v[21:22]
	v_add_f64 v[1:2], v[5:6], v[1:2]
	v_fma_f64 v[5:6], v[11:12], v[95:96], v[17:18]
	v_add_f64 v[3:4], v[7:8], v[3:4]
	v_add_f64 v[1:2], v[1:2], v[9:10]
	;; [unrolled: 1-line block ×3, first 2 shown]
	s_waitcnt vmcnt(2)
	v_add_f64 v[1:2], v[23:24], -v[1:2]
	s_waitcnt vmcnt(0)
	v_add_f64 v[3:4], v[39:40], -v[3:4]
	buffer_store_dword v2, off, s[0:3], 0 offset:84
	buffer_store_dword v1, off, s[0:3], 0 offset:80
	;; [unrolled: 1-line block ×4, first 2 shown]
	v_cmpx_lt_u32_e32 3, v0
	s_cbranch_execz .LBB61_391
; %bb.390:
	v_mov_b32_e32 v4, s66
	s_clause 0x3
	buffer_load_dword v1, v4, s[0:3], 0 offen
	buffer_load_dword v2, v4, s[0:3], 0 offen offset:4
	buffer_load_dword v3, v4, s[0:3], 0 offen offset:8
	;; [unrolled: 1-line block ×3, first 2 shown]
	buffer_store_dword v70, off, s[0:3], 0 offset:64
	buffer_store_dword v70, off, s[0:3], 0 offset:68
	;; [unrolled: 1-line block ×4, first 2 shown]
	s_waitcnt vmcnt(0)
	ds_write_b128 v69, v[1:4]
.LBB61_391:
	s_or_b32 exec_lo, exec_lo, s4
	s_waitcnt lgkmcnt(0)
	s_waitcnt_vscnt null, 0x0
	s_barrier
	buffer_gl0_inv
	s_clause 0x37
	buffer_load_dword v17, off, s[0:3], 0 offset:88
	buffer_load_dword v18, off, s[0:3], 0 offset:92
	;; [unrolled: 1-line block ×56, first 2 shown]
	ds_read_b128 v[5:8], v70 offset:1056
	s_clause 0x2
	buffer_load_dword v66, off, s[0:3], 0 offset:316
	buffer_load_dword v68, off, s[0:3], 0 offset:292
	;; [unrolled: 1-line block ×3, first 2 shown]
	ds_read_b128 v[1:4], v70 offset:1072
	s_clause 0x4
	buffer_load_dword v78, off, s[0:3], 0 offset:332
	buffer_load_dword v84, off, s[0:3], 0 offset:344
	;; [unrolled: 1-line block ×5, first 2 shown]
	ds_read_b128 v[71:74], v70 offset:1088
	s_mov_b32 s4, exec_lo
	s_waitcnt vmcnt(62) lgkmcnt(2)
	v_mul_f64 v[75:76], v[7:8], v[17:18]
	v_mul_f64 v[17:18], v[5:6], v[17:18]
	s_waitcnt vmcnt(60) lgkmcnt(1)
	v_mul_f64 v[87:88], v[3:4], v[13:14]
	v_mul_f64 v[13:14], v[1:2], v[13:14]
	s_waitcnt vmcnt(56) lgkmcnt(0)
	v_mul_f64 v[93:94], v[71:72], v[11:12]
	v_mul_f64 v[11:12], v[73:74], v[11:12]
	v_fma_f64 v[75:76], v[5:6], v[15:16], -v[75:76]
	v_fma_f64 v[15:16], v[7:8], v[15:16], v[17:18]
	s_clause 0x2
	buffer_load_dword v85, off, s[0:3], 0 offset:348
	buffer_load_dword v18, off, s[0:3], 0 offset:324
	;; [unrolled: 1-line block ×3, first 2 shown]
	s_waitcnt vmcnt(57)
	v_fma_f64 v[95:96], v[1:2], v[9:10], -v[87:88]
	ds_read_b128 v[5:8], v70 offset:1104
	v_fma_f64 v[9:10], v[3:4], v[9:10], v[13:14]
	s_waitcnt vmcnt(51)
	v_fma_f64 v[71:72], v[71:72], v[33:34], -v[11:12]
	v_fma_f64 v[33:34], v[73:74], v[33:34], v[93:94]
	v_add_f64 v[75:76], v[75:76], 0
	v_add_f64 v[13:14], v[15:16], 0
	s_clause 0x4
	buffer_load_dword v16, off, s[0:3], 0 offset:364
	buffer_load_dword v123, off, s[0:3], 0 offset:376
	;; [unrolled: 1-line block ×5, first 2 shown]
	s_waitcnt lgkmcnt(0)
	v_mul_f64 v[126:127], v[5:6], v[21:22]
	v_mul_f64 v[21:22], v[7:8], v[21:22]
	ds_read_b128 v[1:4], v70 offset:1120
	s_clause 0x2
	buffer_load_dword v124, off, s[0:3], 0 offset:380
	buffer_load_dword v74, off, s[0:3], 0 offset:356
	;; [unrolled: 1-line block ×3, first 2 shown]
	v_add_f64 v[75:76], v[75:76], v[95:96]
	v_add_f64 v[13:14], v[13:14], v[9:10]
	ds_read_b128 v[9:12], v70 offset:1136
	s_waitcnt vmcnt(58) lgkmcnt(1)
	v_mul_f64 v[93:94], v[1:2], v[25:26]
	v_mul_f64 v[25:26], v[3:4], v[25:26]
	s_waitcnt vmcnt(56)
	v_fma_f64 v[21:22], v[5:6], v[27:28], -v[21:22]
	v_fma_f64 v[27:28], v[7:8], v[27:28], v[126:127]
	s_waitcnt vmcnt(52) lgkmcnt(0)
	v_mul_f64 v[127:128], v[9:10], v[29:30]
	v_add_f64 v[71:72], v[75:76], v[71:72]
	v_add_f64 v[13:14], v[13:14], v[33:34]
	s_clause 0x4
	buffer_load_dword v34, off, s[0:3], 0 offset:396
	buffer_load_dword v75, off, s[0:3], 0 offset:408
	;; [unrolled: 1-line block ×5, first 2 shown]
	v_mul_f64 v[29:30], v[11:12], v[29:30]
	s_waitcnt vmcnt(56)
	v_fma_f64 v[25:26], v[1:2], v[19:20], -v[25:26]
	ds_read_b128 v[5:8], v70 offset:1152
	v_fma_f64 v[19:20], v[3:4], v[19:20], v[93:94]
	v_add_f64 v[21:22], v[71:72], v[21:22]
	v_add_f64 v[13:14], v[13:14], v[27:28]
	s_clause 0x2
	buffer_load_dword v76, off, s[0:3], 0 offset:412
	buffer_load_dword v28, off, s[0:3], 0 offset:388
	;; [unrolled: 1-line block ×3, first 2 shown]
	s_waitcnt vmcnt(58) lgkmcnt(0)
	v_mul_f64 v[71:72], v[5:6], v[35:36]
	v_mul_f64 v[35:36], v[7:8], v[35:36]
	s_waitcnt vmcnt(56)
	v_fma_f64 v[29:30], v[9:10], v[37:38], -v[29:30]
	ds_read_b128 v[1:4], v70 offset:1168
	v_add_f64 v[21:22], v[21:22], v[25:26]
	v_fma_f64 v[25:26], v[11:12], v[37:38], v[127:128]
	v_add_f64 v[13:14], v[13:14], v[19:20]
	s_clause 0x4
	buffer_load_dword v20, off, s[0:3], 0 offset:428
	buffer_load_dword v37, off, s[0:3], 0 offset:440
	;; [unrolled: 1-line block ×5, first 2 shown]
	s_waitcnt vmcnt(57) lgkmcnt(0)
	v_mul_f64 v[127:128], v[1:2], v[39:40]
	v_mul_f64 v[39:40], v[3:4], v[39:40]
	s_waitcnt vmcnt(56)
	v_fma_f64 v[35:36], v[5:6], v[23:24], -v[35:36]
	ds_read_b128 v[9:12], v70 offset:1184
	v_fma_f64 v[23:24], v[7:8], v[23:24], v[71:72]
	v_add_f64 v[21:22], v[21:22], v[29:30]
	v_add_f64 v[13:14], v[13:14], v[25:26]
	s_clause 0x2
	buffer_load_dword v38, off, s[0:3], 0 offset:444
	buffer_load_dword v26, off, s[0:3], 0 offset:420
	buffer_load_dword v25, off, s[0:3], 0 offset:416
	ds_read_b128 v[5:8], v70 offset:1200
	s_waitcnt vmcnt(58) lgkmcnt(1)
	v_mul_f64 v[29:30], v[9:10], v[43:44]
	v_mul_f64 v[43:44], v[11:12], v[43:44]
	s_waitcnt vmcnt(56)
	v_fma_f64 v[39:40], v[1:2], v[45:46], -v[39:40]
	v_add_f64 v[21:22], v[21:22], v[35:36]
	v_fma_f64 v[35:36], v[3:4], v[45:46], v[127:128]
	v_add_f64 v[13:14], v[13:14], v[23:24]
	s_clause 0x4
	buffer_load_dword v24, off, s[0:3], 0 offset:460
	buffer_load_dword v45, off, s[0:3], 0 offset:472
	;; [unrolled: 1-line block ×5, first 2 shown]
	s_waitcnt vmcnt(57) lgkmcnt(0)
	v_mul_f64 v[127:128], v[5:6], v[47:48]
	v_mul_f64 v[47:48], v[7:8], v[47:48]
	s_waitcnt vmcnt(56)
	v_fma_f64 v[43:44], v[9:10], v[31:32], -v[43:44]
	ds_read_b128 v[1:4], v70 offset:1216
	v_fma_f64 v[29:30], v[11:12], v[31:32], v[29:30]
	s_clause 0x2
	buffer_load_dword v46, off, s[0:3], 0 offset:476
	buffer_load_dword v32, off, s[0:3], 0 offset:452
	;; [unrolled: 1-line block ×3, first 2 shown]
	ds_read_b128 v[9:12], v70 offset:1232
	v_add_f64 v[21:22], v[21:22], v[39:40]
	v_add_f64 v[13:14], v[13:14], v[35:36]
	s_waitcnt vmcnt(58) lgkmcnt(1)
	v_mul_f64 v[39:40], v[3:4], v[51:52]
	s_waitcnt vmcnt(56)
	v_fma_f64 v[47:48], v[5:6], v[53:54], -v[47:48]
	v_mul_f64 v[35:36], v[1:2], v[51:52]
	v_add_f64 v[21:22], v[21:22], v[43:44]
	v_fma_f64 v[43:44], v[7:8], v[53:54], v[127:128]
	v_add_f64 v[13:14], v[13:14], v[29:30]
	s_clause 0x4
	buffer_load_dword v30, off, s[0:3], 0 offset:492
	buffer_load_dword v51, off, s[0:3], 0 offset:504
	;; [unrolled: 1-line block ×5, first 2 shown]
	s_waitcnt vmcnt(57) lgkmcnt(0)
	v_mul_f64 v[127:128], v[9:10], v[55:56]
	v_mul_f64 v[54:55], v[11:12], v[55:56]
	s_waitcnt vmcnt(56)
	v_fma_f64 v[39:40], v[1:2], v[41:42], -v[39:40]
	ds_read_b128 v[5:8], v70 offset:1248
	v_fma_f64 v[35:36], v[3:4], v[41:42], v[35:36]
	s_clause 0x2
	buffer_load_dword v52, off, s[0:3], 0 offset:508
	buffer_load_dword v42, off, s[0:3], 0 offset:484
	;; [unrolled: 1-line block ×3, first 2 shown]
	ds_read_b128 v[1:4], v70 offset:1264
	v_add_f64 v[21:22], v[21:22], v[47:48]
	v_add_f64 v[13:14], v[13:14], v[43:44]
	s_waitcnt vmcnt(58) lgkmcnt(1)
	v_mul_f64 v[47:48], v[7:8], v[59:60]
	s_waitcnt vmcnt(56)
	v_fma_f64 v[55:56], v[9:10], v[61:62], -v[54:55]
	v_mul_f64 v[43:44], v[5:6], v[59:60]
	v_add_f64 v[21:22], v[21:22], v[39:40]
	v_fma_f64 v[39:40], v[11:12], v[61:62], v[127:128]
	v_add_f64 v[13:14], v[13:14], v[35:36]
	s_clause 0x4
	buffer_load_dword v36, off, s[0:3], 0 offset:524
	buffer_load_dword v59, off, s[0:3], 0 offset:536
	;; [unrolled: 1-line block ×5, first 2 shown]
	s_waitcnt vmcnt(57) lgkmcnt(0)
	v_mul_f64 v[127:128], v[1:2], v[63:64]
	v_mul_f64 v[62:63], v[3:4], v[63:64]
	s_waitcnt vmcnt(56)
	v_fma_f64 v[47:48], v[5:6], v[49:50], -v[47:48]
	ds_read_b128 v[9:12], v70 offset:1280
	v_fma_f64 v[43:44], v[7:8], v[49:50], v[43:44]
	v_add_f64 v[21:22], v[21:22], v[55:56]
	v_add_f64 v[13:14], v[13:14], v[39:40]
	s_clause 0x2
	buffer_load_dword v60, off, s[0:3], 0 offset:540
	buffer_load_dword v40, off, s[0:3], 0 offset:516
	buffer_load_dword v39, off, s[0:3], 0 offset:512
	ds_read_b128 v[5:8], v70 offset:1296
	s_waitcnt vmcnt(58) lgkmcnt(1)
	v_mul_f64 v[55:56], v[11:12], v[65:66]
	s_waitcnt vmcnt(56)
	v_fma_f64 v[63:64], v[1:2], v[67:68], -v[62:63]
	v_mul_f64 v[49:50], v[9:10], v[65:66]
	v_add_f64 v[21:22], v[21:22], v[47:48]
	v_fma_f64 v[47:48], v[3:4], v[67:68], v[127:128]
	v_add_f64 v[13:14], v[13:14], v[43:44]
	s_clause 0x4
	buffer_load_dword v44, off, s[0:3], 0 offset:556
	buffer_load_dword v65, off, s[0:3], 0 offset:568
	;; [unrolled: 1-line block ×5, first 2 shown]
	s_waitcnt vmcnt(57) lgkmcnt(0)
	v_mul_f64 v[127:128], v[5:6], v[77:78]
	v_mul_f64 v[77:78], v[7:8], v[77:78]
	s_waitcnt vmcnt(56)
	v_fma_f64 v[55:56], v[9:10], v[57:58], -v[55:56]
	ds_read_b128 v[1:4], v70 offset:1312
	v_fma_f64 v[49:50], v[11:12], v[57:58], v[49:50]
	v_add_f64 v[21:22], v[21:22], v[63:64]
	v_add_f64 v[13:14], v[13:14], v[47:48]
	s_clause 0x2
	buffer_load_dword v66, off, s[0:3], 0 offset:572
	buffer_load_dword v48, off, s[0:3], 0 offset:548
	;; [unrolled: 1-line block ×3, first 2 shown]
	ds_read_b128 v[9:12], v70 offset:1328
	s_waitcnt vmcnt(58) lgkmcnt(1)
	v_mul_f64 v[63:64], v[3:4], v[84:85]
	v_mul_f64 v[57:58], v[1:2], v[84:85]
	s_waitcnt vmcnt(56)
	v_fma_f64 v[77:78], v[5:6], v[17:18], -v[77:78]
	v_fma_f64 v[17:18], v[7:8], v[17:18], v[127:128]
	v_add_f64 v[21:22], v[21:22], v[55:56]
	v_add_f64 v[13:14], v[13:14], v[49:50]
	s_clause 0x4
	buffer_load_dword v50, off, s[0:3], 0 offset:588
	buffer_load_dword v55, off, s[0:3], 0 offset:600
	;; [unrolled: 1-line block ×5, first 2 shown]
	ds_read_b128 v[5:8], v70 offset:1344
	s_waitcnt vmcnt(57) lgkmcnt(1)
	v_mul_f64 v[127:128], v[9:10], v[15:16]
	v_mul_f64 v[15:16], v[11:12], v[15:16]
	s_waitcnt vmcnt(56)
	v_fma_f64 v[63:64], v[1:2], v[86:87], -v[63:64]
	v_fma_f64 v[57:58], v[3:4], v[86:87], v[57:58]
	v_add_f64 v[21:22], v[21:22], v[77:78]
	v_add_f64 v[13:14], v[13:14], v[17:18]
	s_clause 0x2
	buffer_load_dword v56, off, s[0:3], 0 offset:604
	buffer_load_dword v18, off, s[0:3], 0 offset:580
	;; [unrolled: 1-line block ×3, first 2 shown]
	s_waitcnt vmcnt(58) lgkmcnt(0)
	v_mul_f64 v[86:87], v[7:8], v[123:124]
	ds_read_b128 v[1:4], v70 offset:1360
	v_mul_f64 v[77:78], v[5:6], v[123:124]
	s_waitcnt vmcnt(56)
	v_fma_f64 v[15:16], v[9:10], v[73:74], -v[15:16]
	v_add_f64 v[21:22], v[21:22], v[63:64]
	v_fma_f64 v[63:64], v[11:12], v[73:74], v[127:128]
	v_add_f64 v[13:14], v[13:14], v[57:58]
	s_clause 0x4
	buffer_load_dword v58, off, s[0:3], 0 offset:620
	buffer_load_dword v73, off, s[0:3], 0 offset:632
	;; [unrolled: 1-line block ×5, first 2 shown]
	ds_read_b128 v[9:12], v70 offset:1376
	s_waitcnt vmcnt(57) lgkmcnt(1)
	v_mul_f64 v[127:128], v[1:2], v[33:34]
	v_mul_f64 v[33:34], v[3:4], v[33:34]
	s_waitcnt vmcnt(56)
	v_fma_f64 v[86:87], v[5:6], v[125:126], -v[86:87]
	v_add_f64 v[15:16], v[21:22], v[15:16]
	v_fma_f64 v[21:22], v[7:8], v[125:126], v[77:78]
	v_add_f64 v[13:14], v[13:14], v[63:64]
	s_clause 0x2
	buffer_load_dword v74, off, s[0:3], 0 offset:636
	buffer_load_dword v64, off, s[0:3], 0 offset:612
	;; [unrolled: 1-line block ×3, first 2 shown]
	ds_read_b128 v[5:8], v70 offset:1392
	s_waitcnt vmcnt(58) lgkmcnt(1)
	v_mul_f64 v[77:78], v[9:10], v[75:76]
	v_mul_f64 v[75:76], v[11:12], v[75:76]
	s_waitcnt vmcnt(56)
	v_fma_f64 v[33:34], v[1:2], v[27:28], -v[33:34]
	v_fma_f64 v[27:28], v[3:4], v[27:28], v[127:128]
	v_add_f64 v[15:16], v[15:16], v[86:87]
	v_add_f64 v[13:14], v[13:14], v[21:22]
	s_clause 0x4
	buffer_load_dword v22, off, s[0:3], 0 offset:652
	buffer_load_dword v86, off, s[0:3], 0 offset:664
	;; [unrolled: 1-line block ×5, first 2 shown]
	ds_read_b128 v[1:4], v70 offset:1408
	s_waitcnt vmcnt(57) lgkmcnt(1)
	v_mul_f64 v[126:127], v[5:6], v[19:20]
	v_mul_f64 v[19:20], v[7:8], v[19:20]
	s_waitcnt vmcnt(56)
	v_fma_f64 v[75:76], v[9:10], v[95:96], -v[75:76]
	v_add_f64 v[15:16], v[15:16], v[33:34]
	v_fma_f64 v[33:34], v[11:12], v[95:96], v[77:78]
	v_add_f64 v[13:14], v[13:14], v[27:28]
	s_clause 0x2
	buffer_load_dword v87, off, s[0:3], 0 offset:668
	buffer_load_dword v28, off, s[0:3], 0 offset:644
	;; [unrolled: 1-line block ×3, first 2 shown]
	ds_read_b128 v[9:12], v70 offset:1424
	s_waitcnt vmcnt(58) lgkmcnt(1)
	v_mul_f64 v[77:78], v[1:2], v[37:38]
	v_mul_f64 v[37:38], v[3:4], v[37:38]
	s_waitcnt vmcnt(56)
	v_fma_f64 v[19:20], v[5:6], v[25:26], -v[19:20]
	v_fma_f64 v[25:26], v[7:8], v[25:26], v[126:127]
	v_add_f64 v[15:16], v[15:16], v[75:76]
	v_add_f64 v[13:14], v[13:14], v[33:34]
	s_clause 0x4
	buffer_load_dword v34, off, s[0:3], 0 offset:684
	buffer_load_dword v75, off, s[0:3], 0 offset:696
	;; [unrolled: 1-line block ×5, first 2 shown]
	ds_read_b128 v[5:8], v70 offset:1440
	s_waitcnt vmcnt(57) lgkmcnt(1)
	v_mul_f64 v[127:128], v[9:10], v[23:24]
	v_mul_f64 v[23:24], v[11:12], v[23:24]
	s_waitcnt vmcnt(56)
	v_fma_f64 v[37:38], v[1:2], v[93:94], -v[37:38]
	v_add_f64 v[15:16], v[15:16], v[19:20]
	v_fma_f64 v[19:20], v[3:4], v[93:94], v[77:78]
	v_add_f64 v[13:14], v[13:14], v[25:26]
	s_clause 0x2
	buffer_load_dword v76, off, s[0:3], 0 offset:700
	buffer_load_dword v26, off, s[0:3], 0 offset:676
	;; [unrolled: 1-line block ×3, first 2 shown]
	s_waitcnt vmcnt(58) lgkmcnt(0)
	v_mul_f64 v[77:78], v[5:6], v[45:46]
	v_mul_f64 v[45:46], v[7:8], v[45:46]
	ds_read_b128 v[1:4], v70 offset:1456
	s_waitcnt vmcnt(56)
	v_fma_f64 v[23:24], v[9:10], v[31:32], -v[23:24]
	v_fma_f64 v[31:32], v[11:12], v[31:32], v[127:128]
	v_add_f64 v[15:16], v[15:16], v[37:38]
	v_add_f64 v[13:14], v[13:14], v[19:20]
	s_clause 0x4
	buffer_load_dword v20, off, s[0:3], 0 offset:716
	buffer_load_dword v37, off, s[0:3], 0 offset:728
	;; [unrolled: 1-line block ×5, first 2 shown]
	ds_read_b128 v[9:12], v70 offset:1472
	s_waitcnt vmcnt(57) lgkmcnt(1)
	v_mul_f64 v[127:128], v[1:2], v[29:30]
	v_mul_f64 v[29:30], v[3:4], v[29:30]
	s_waitcnt vmcnt(56)
	v_fma_f64 v[45:46], v[5:6], v[71:72], -v[45:46]
	v_add_f64 v[15:16], v[15:16], v[23:24]
	v_fma_f64 v[23:24], v[7:8], v[71:72], v[77:78]
	v_add_f64 v[13:14], v[13:14], v[31:32]
	s_clause 0x2
	buffer_load_dword v38, off, s[0:3], 0 offset:732
	buffer_load_dword v32, off, s[0:3], 0 offset:708
	;; [unrolled: 1-line block ×3, first 2 shown]
	s_waitcnt vmcnt(58) lgkmcnt(0)
	v_mul_f64 v[71:72], v[9:10], v[51:52]
	v_mul_f64 v[51:52], v[11:12], v[51:52]
	ds_read_b128 v[5:8], v70 offset:1488
	s_waitcnt vmcnt(56)
	v_fma_f64 v[29:30], v[1:2], v[41:42], -v[29:30]
	v_fma_f64 v[41:42], v[3:4], v[41:42], v[127:128]
	v_add_f64 v[15:16], v[15:16], v[45:46]
	v_add_f64 v[13:14], v[13:14], v[23:24]
	s_clause 0x4
	buffer_load_dword v24, off, s[0:3], 0 offset:748
	buffer_load_dword v45, off, s[0:3], 0 offset:760
	buffer_load_dword v77, off, s[0:3], 0 offset:752
	buffer_load_dword v23, off, s[0:3], 0 offset:744
	buffer_load_dword v94, off, s[0:3], 0 offset:724
	ds_read_b128 v[1:4], v70 offset:1504
	s_waitcnt vmcnt(57) lgkmcnt(1)
	v_mul_f64 v[78:79], v[5:6], v[35:36]
	v_mul_f64 v[35:36], v[7:8], v[35:36]
	s_waitcnt vmcnt(56)
	v_fma_f64 v[51:52], v[9:10], v[53:54], -v[51:52]
	v_add_f64 v[15:16], v[15:16], v[29:30]
	v_fma_f64 v[29:30], v[11:12], v[53:54], v[71:72]
	v_add_f64 v[13:14], v[13:14], v[41:42]
	s_clause 0x2
	buffer_load_dword v46, off, s[0:3], 0 offset:764
	buffer_load_dword v42, off, s[0:3], 0 offset:740
	buffer_load_dword v41, off, s[0:3], 0 offset:736
	ds_read_b128 v[9:12], v70 offset:1520
	s_waitcnt vmcnt(58) lgkmcnt(1)
	v_mul_f64 v[53:54], v[1:2], v[59:60]
	v_mul_f64 v[59:60], v[3:4], v[59:60]
	s_waitcnt vmcnt(56)
	v_fma_f64 v[35:36], v[5:6], v[39:40], -v[35:36]
	v_fma_f64 v[39:40], v[7:8], v[39:40], v[78:79]
	v_add_f64 v[15:16], v[15:16], v[51:52]
	v_add_f64 v[13:14], v[13:14], v[29:30]
	s_clause 0x4
	buffer_load_dword v30, off, s[0:3], 0 offset:780
	buffer_load_dword v51, off, s[0:3], 0 offset:792
	buffer_load_dword v71, off, s[0:3], 0 offset:784
	buffer_load_dword v29, off, s[0:3], 0 offset:776
	buffer_load_dword v78, off, s[0:3], 0 offset:756
	ds_read_b128 v[5:8], v70 offset:1536
	s_waitcnt vmcnt(57) lgkmcnt(1)
	v_mul_f64 v[127:128], v[9:10], v[43:44]
	v_mul_f64 v[43:44], v[11:12], v[43:44]
	s_waitcnt vmcnt(56)
	v_fma_f64 v[59:60], v[1:2], v[61:62], -v[59:60]
	v_add_f64 v[15:16], v[15:16], v[35:36]
	v_fma_f64 v[35:36], v[3:4], v[61:62], v[53:54]
	v_add_f64 v[13:14], v[13:14], v[39:40]
	s_clause 0x2
	buffer_load_dword v52, off, s[0:3], 0 offset:796
	buffer_load_dword v40, off, s[0:3], 0 offset:772
	buffer_load_dword v39, off, s[0:3], 0 offset:768
	ds_read_b128 v[1:4], v70 offset:1552
	s_waitcnt vmcnt(58) lgkmcnt(1)
	v_mul_f64 v[61:62], v[7:8], v[65:66]
	v_mul_f64 v[53:54], v[5:6], v[65:66]
	;; [unrolled: 28-line block ×4, first 2 shown]
	s_waitcnt vmcnt(56)
	v_fma_f64 v[57:58], v[5:6], v[63:64], -v[57:58]
	v_add_f64 v[15:16], v[15:16], v[55:56]
	v_fma_f64 v[55:56], v[7:8], v[63:64], v[127:128]
	v_add_f64 v[13:14], v[13:14], v[49:50]
	s_clause 0x4
	buffer_load_dword v50, off, s[0:3], 0 offset:876
	buffer_load_dword v63, off, s[0:3], 0 offset:888
	;; [unrolled: 1-line block ×5, first 2 shown]
	ds_read_b128 v[5:8], v70 offset:1632
	s_waitcnt vmcnt(57) lgkmcnt(1)
	v_mul_f64 v[127:128], v[9:10], v[21:22]
	v_mul_f64 v[21:22], v[11:12], v[21:22]
	s_waitcnt vmcnt(56)
	v_fma_f64 v[73:74], v[1:2], v[123:124], -v[73:74]
	v_fma_f64 v[53:54], v[3:4], v[123:124], v[53:54]
	v_add_f64 v[15:16], v[15:16], v[57:58]
	v_add_f64 v[13:14], v[13:14], v[55:56]
	s_clause 0x2
	buffer_load_dword v64, off, s[0:3], 0 offset:892
	buffer_load_dword v56, off, s[0:3], 0 offset:868
	buffer_load_dword v55, off, s[0:3], 0 offset:864
	ds_read_b128 v[1:4], v70 offset:1648
	s_waitcnt vmcnt(58) lgkmcnt(1)
	v_mul_f64 v[57:58], v[5:6], v[86:87]
	v_mul_f64 v[86:87], v[7:8], v[86:87]
	s_waitcnt vmcnt(56)
	v_fma_f64 v[21:22], v[9:10], v[27:28], -v[21:22]
	v_fma_f64 v[27:28], v[11:12], v[27:28], v[127:128]
	v_add_f64 v[15:16], v[15:16], v[73:74]
	v_add_f64 v[13:14], v[13:14], v[53:54]
	s_clause 0x4
	buffer_load_dword v54, off, s[0:3], 0 offset:908
	buffer_load_dword v73, off, s[0:3], 0 offset:920
	buffer_load_dword v123, off, s[0:3], 0 offset:912
	buffer_load_dword v53, off, s[0:3], 0 offset:904
	buffer_load_dword v85, off, s[0:3], 0 offset:884
	ds_read_b128 v[9:12], v70 offset:1664
	s_waitcnt vmcnt(57) lgkmcnt(1)
	v_mul_f64 v[127:128], v[1:2], v[33:34]
	v_mul_f64 v[33:34], v[3:4], v[33:34]
	s_waitcnt vmcnt(56)
	v_fma_f64 v[86:87], v[5:6], v[125:126], -v[86:87]
	v_add_f64 v[15:16], v[15:16], v[21:22]
	v_fma_f64 v[21:22], v[7:8], v[125:126], v[57:58]
	v_add_f64 v[13:14], v[13:14], v[27:28]
	s_clause 0x2
	buffer_load_dword v74, off, s[0:3], 0 offset:924
	buffer_load_dword v28, off, s[0:3], 0 offset:900
	buffer_load_dword v27, off, s[0:3], 0 offset:896
	ds_read_b128 v[5:8], v70 offset:1680
	s_waitcnt vmcnt(58) lgkmcnt(1)
	v_mul_f64 v[57:58], v[9:10], v[75:76]
	v_mul_f64 v[75:76], v[11:12], v[75:76]
	s_waitcnt vmcnt(56)
	v_fma_f64 v[33:34], v[1:2], v[25:26], -v[33:34]
	v_fma_f64 v[25:26], v[3:4], v[25:26], v[127:128]
	v_add_f64 v[15:16], v[15:16], v[86:87]
	v_add_f64 v[13:14], v[13:14], v[21:22]
	s_clause 0x4
	buffer_load_dword v22, off, s[0:3], 0 offset:940
	buffer_load_dword v86, off, s[0:3], 0 offset:952
	buffer_load_dword v125, off, s[0:3], 0 offset:944
	buffer_load_dword v21, off, s[0:3], 0 offset:936
	buffer_load_dword v124, off, s[0:3], 0 offset:916
	ds_read_b128 v[1:4], v70 offset:1696
	s_waitcnt vmcnt(57) lgkmcnt(1)
	v_mul_f64 v[126:127], v[5:6], v[19:20]
	v_mul_f64 v[19:20], v[7:8], v[19:20]
	s_waitcnt vmcnt(56)
	v_fma_f64 v[75:76], v[9:10], v[95:96], -v[75:76]
	v_add_f64 v[15:16], v[15:16], v[33:34]
	v_fma_f64 v[33:34], v[11:12], v[95:96], v[57:58]
	;; [unrolled: 28-line block ×3, first 2 shown]
	v_add_f64 v[13:14], v[13:14], v[31:32]
	s_clause 0x2
	buffer_load_dword v76, off, s[0:3], 0 offset:988
	buffer_load_dword v32, off, s[0:3], 0 offset:964
	buffer_load_dword v31, off, s[0:3], 0 offset:960
	ds_read_b128 v[1:4], v70 offset:1744
	s_waitcnt vmcnt(58) lgkmcnt(1)
	v_mul_f64 v[57:58], v[5:6], v[45:46]
	v_mul_f64 v[45:46], v[7:8], v[45:46]
	s_waitcnt vmcnt(56)
	v_fma_f64 v[23:24], v[9:10], v[41:42], -v[23:24]
	v_add_f64 v[15:16], v[15:16], v[37:38]
	v_fma_f64 v[37:38], v[11:12], v[41:42], v[127:128]
	v_add_f64 v[13:14], v[13:14], v[19:20]
	s_clause 0x2
	buffer_load_dword v20, off, s[0:3], 0 offset:1004
	buffer_load_dword v19, off, s[0:3], 0 offset:1000
	;; [unrolled: 1-line block ×3, first 2 shown]
	ds_read_b128 v[9:12], v70 offset:1760
	s_waitcnt vmcnt(55) lgkmcnt(1)
	v_mul_f64 v[41:42], v[1:2], v[29:30]
	v_mul_f64 v[29:30], v[3:4], v[29:30]
	s_waitcnt vmcnt(54)
	v_fma_f64 v[45:46], v[5:6], v[77:78], -v[45:46]
	v_add_f64 v[15:16], v[15:16], v[23:24]
	v_fma_f64 v[23:24], v[7:8], v[77:78], v[57:58]
	v_add_f64 v[13:14], v[13:14], v[37:38]
	s_clause 0x1
	buffer_load_dword v38, off, s[0:3], 0 offset:996
	buffer_load_dword v37, off, s[0:3], 0 offset:992
	ds_read_b128 v[5:8], v70 offset:1776
	s_waitcnt vmcnt(55) lgkmcnt(1)
	v_mul_f64 v[57:58], v[9:10], v[51:52]
	v_mul_f64 v[51:52], v[11:12], v[51:52]
	s_waitcnt vmcnt(53)
	v_fma_f64 v[29:30], v[1:2], v[39:40], -v[29:30]
	v_fma_f64 v[39:40], v[3:4], v[39:40], v[41:42]
	ds_read_b128 v[1:4], v70 offset:1792
	v_add_f64 v[15:16], v[15:16], v[45:46]
	v_add_f64 v[13:14], v[13:14], v[23:24]
	s_waitcnt vmcnt(49) lgkmcnt(1)
	v_mul_f64 v[23:24], v[5:6], v[35:36]
	v_mul_f64 v[35:36], v[7:8], v[35:36]
	s_waitcnt vmcnt(48)
	v_fma_f64 v[41:42], v[9:10], v[71:72], -v[51:52]
	v_add_f64 v[15:16], v[15:16], v[29:30]
	v_fma_f64 v[29:30], v[11:12], v[71:72], v[57:58]
	v_add_f64 v[13:14], v[13:14], v[39:40]
	s_clause 0x3
	buffer_load_dword v39, off, s[0:3], 0 offset:64
	buffer_load_dword v40, off, s[0:3], 0 offset:68
	;; [unrolled: 1-line block ×4, first 2 shown]
	ds_read_b128 v[9:12], v70 offset:1808
	s_waitcnt vmcnt(51) lgkmcnt(1)
	v_mul_f64 v[57:58], v[3:4], v[59:60]
	v_mul_f64 v[51:52], v[1:2], v[59:60]
	s_waitcnt vmcnt(49)
	v_fma_f64 v[35:36], v[5:6], v[47:48], -v[35:36]
	v_fma_f64 v[23:24], v[7:8], v[47:48], v[23:24]
	ds_read_b128 v[5:8], v70 offset:1824
	v_add_f64 v[15:16], v[15:16], v[41:42]
	v_add_f64 v[13:14], v[13:14], v[29:30]
	s_waitcnt vmcnt(45) lgkmcnt(1)
	v_mul_f64 v[29:30], v[9:10], v[43:44]
	v_mul_f64 v[41:42], v[11:12], v[43:44]
	s_waitcnt vmcnt(44)
	v_fma_f64 v[43:44], v[1:2], v[65:66], -v[57:58]
	v_add_f64 v[15:16], v[15:16], v[35:36]
	v_fma_f64 v[35:36], v[3:4], v[65:66], v[51:52]
	v_add_f64 v[13:14], v[13:14], v[23:24]
	ds_read_b128 v[1:4], v70 offset:1840
	s_waitcnt vmcnt(43) lgkmcnt(1)
	v_mul_f64 v[47:48], v[7:8], v[61:62]
	v_mul_f64 v[23:24], v[5:6], v[61:62]
	s_waitcnt vmcnt(41)
	v_fma_f64 v[41:42], v[9:10], v[17:18], -v[41:42]
	v_fma_f64 v[17:18], v[11:12], v[17:18], v[29:30]
	ds_read_b128 v[9:12], v70 offset:1856
	v_add_f64 v[15:16], v[15:16], v[43:44]
	v_add_f64 v[13:14], v[13:14], v[35:36]
	s_waitcnt vmcnt(37) lgkmcnt(1)
	v_mul_f64 v[35:36], v[3:4], v[49:50]
	s_waitcnt vmcnt(36)
	v_fma_f64 v[43:44], v[5:6], v[67:68], -v[47:48]
	v_mul_f64 v[29:30], v[1:2], v[49:50]
	v_fma_f64 v[23:24], v[7:8], v[67:68], v[23:24]
	ds_read_b128 v[5:8], v70 offset:1872
	v_add_f64 v[15:16], v[15:16], v[41:42]
	v_add_f64 v[13:14], v[13:14], v[17:18]
	s_waitcnt vmcnt(35) lgkmcnt(1)
	v_mul_f64 v[41:42], v[11:12], v[63:64]
	v_mul_f64 v[17:18], v[9:10], v[63:64]
	s_waitcnt vmcnt(33)
	v_fma_f64 v[35:36], v[1:2], v[55:56], -v[35:36]
	v_fma_f64 v[29:30], v[3:4], v[55:56], v[29:30]
	ds_read_b128 v[1:4], v70 offset:1888
	v_add_f64 v[15:16], v[15:16], v[43:44]
	v_add_f64 v[13:14], v[13:14], v[23:24]
	s_waitcnt vmcnt(29) lgkmcnt(1)
	v_mul_f64 v[43:44], v[7:8], v[53:54]
	s_waitcnt vmcnt(28)
	v_fma_f64 v[41:42], v[9:10], v[84:85], -v[41:42]
	v_mul_f64 v[23:24], v[5:6], v[53:54]
	v_fma_f64 v[17:18], v[11:12], v[84:85], v[17:18]
	ds_read_b128 v[9:12], v70 offset:1904
	v_add_f64 v[15:16], v[15:16], v[35:36]
	v_add_f64 v[13:14], v[13:14], v[29:30]
	s_waitcnt vmcnt(27) lgkmcnt(1)
	v_mul_f64 v[35:36], v[3:4], v[73:74]
	v_mul_f64 v[29:30], v[1:2], v[73:74]
	s_waitcnt vmcnt(25)
	v_fma_f64 v[43:44], v[5:6], v[27:28], -v[43:44]
	v_fma_f64 v[23:24], v[7:8], v[27:28], v[23:24]
	ds_read_b128 v[5:8], v70 offset:1920
	v_add_f64 v[15:16], v[15:16], v[41:42]
	v_add_f64 v[13:14], v[13:14], v[17:18]
	s_waitcnt vmcnt(21) lgkmcnt(1)
	v_mul_f64 v[17:18], v[9:10], v[21:22]
	v_mul_f64 v[21:22], v[11:12], v[21:22]
	s_waitcnt vmcnt(20)
	v_fma_f64 v[27:28], v[1:2], v[123:124], -v[35:36]
	;; [unrolled: 9-line block ×3, first 2 shown]
	v_fma_f64 v[17:18], v[11:12], v[25:26], v[17:18]
	ds_read_b128 v[9:12], v70 offset:1952
	v_add_f64 v[15:16], v[15:16], v[27:28]
	v_add_f64 v[13:14], v[13:14], v[29:30]
	s_waitcnt vmcnt(13) lgkmcnt(1)
	v_mul_f64 v[27:28], v[3:4], v[33:34]
	s_waitcnt vmcnt(12)
	v_fma_f64 v[29:30], v[5:6], v[125:126], -v[35:36]
	v_mul_f64 v[25:26], v[1:2], v[33:34]
	v_add_f64 v[15:16], v[15:16], v[21:22]
	v_fma_f64 v[21:22], v[7:8], v[125:126], v[23:24]
	v_add_f64 v[13:14], v[13:14], v[17:18]
	ds_read_b128 v[5:8], v70 offset:1968
	s_waitcnt vmcnt(11) lgkmcnt(1)
	v_mul_f64 v[23:24], v[11:12], v[75:76]
	v_mul_f64 v[17:18], v[9:10], v[75:76]
	s_waitcnt vmcnt(9)
	v_fma_f64 v[1:2], v[1:2], v[31:32], -v[27:28]
	v_fma_f64 v[3:4], v[3:4], v[31:32], v[25:26]
	v_add_f64 v[15:16], v[15:16], v[29:30]
	v_add_f64 v[13:14], v[13:14], v[21:22]
	s_waitcnt vmcnt(7) lgkmcnt(0)
	v_mul_f64 v[21:22], v[5:6], v[19:20]
	v_mul_f64 v[19:20], v[7:8], v[19:20]
	s_waitcnt vmcnt(6)
	v_fma_f64 v[9:10], v[9:10], v[95:96], -v[23:24]
	v_fma_f64 v[11:12], v[11:12], v[95:96], v[17:18]
	v_add_f64 v[1:2], v[15:16], v[1:2]
	v_add_f64 v[3:4], v[13:14], v[3:4]
	s_waitcnt vmcnt(4)
	v_fma_f64 v[5:6], v[5:6], v[37:38], -v[19:20]
	v_fma_f64 v[7:8], v[7:8], v[37:38], v[21:22]
	v_add_f64 v[1:2], v[1:2], v[9:10]
	v_add_f64 v[3:4], v[3:4], v[11:12]
	;; [unrolled: 1-line block ×4, first 2 shown]
	s_waitcnt vmcnt(2)
	v_add_f64 v[1:2], v[39:40], -v[1:2]
	s_waitcnt vmcnt(0)
	v_add_f64 v[3:4], v[45:46], -v[3:4]
	buffer_store_dword v2, off, s[0:3], 0 offset:68
	buffer_store_dword v1, off, s[0:3], 0 offset:64
	;; [unrolled: 1-line block ×4, first 2 shown]
	v_cmpx_lt_u32_e32 2, v0
	s_cbranch_execz .LBB61_393
; %bb.392:
	v_mov_b32_e32 v4, s68
	v_mov_b32_e32 v5, 0
	s_clause 0x3
	buffer_load_dword v1, v4, s[0:3], 0 offen
	buffer_load_dword v2, v4, s[0:3], 0 offen offset:4
	buffer_load_dword v3, v4, s[0:3], 0 offen offset:8
	;; [unrolled: 1-line block ×3, first 2 shown]
	buffer_store_dword v5, off, s[0:3], 0 offset:48
	buffer_store_dword v5, off, s[0:3], 0 offset:52
	;; [unrolled: 1-line block ×4, first 2 shown]
	s_waitcnt vmcnt(0)
	ds_write_b128 v69, v[1:4]
.LBB61_393:
	s_or_b32 exec_lo, exec_lo, s4
	s_waitcnt lgkmcnt(0)
	s_waitcnt_vscnt null, 0x0
	s_barrier
	buffer_gl0_inv
	s_clause 0x37
	buffer_load_dword v17, off, s[0:3], 0 offset:72
	buffer_load_dword v18, off, s[0:3], 0 offset:76
	;; [unrolled: 1-line block ×56, first 2 shown]
	v_mov_b32_e32 v70, 0
	s_mov_b32 s4, exec_lo
	ds_read_b128 v[5:8], v70 offset:1040
	s_clause 0x2
	buffer_load_dword v66, off, s[0:3], 0 offset:300
	buffer_load_dword v68, off, s[0:3], 0 offset:276
	;; [unrolled: 1-line block ×3, first 2 shown]
	ds_read_b128 v[1:4], v70 offset:1056
	s_clause 0x4
	buffer_load_dword v78, off, s[0:3], 0 offset:316
	buffer_load_dword v84, off, s[0:3], 0 offset:328
	;; [unrolled: 1-line block ×5, first 2 shown]
	ds_read_b128 v[71:74], v70 offset:1072
	s_waitcnt vmcnt(62) lgkmcnt(2)
	v_mul_f64 v[75:76], v[7:8], v[17:18]
	v_mul_f64 v[17:18], v[5:6], v[17:18]
	s_waitcnt vmcnt(60) lgkmcnt(1)
	v_mul_f64 v[87:88], v[3:4], v[13:14]
	v_mul_f64 v[13:14], v[1:2], v[13:14]
	;; [unrolled: 3-line block ×3, first 2 shown]
	v_fma_f64 v[75:76], v[5:6], v[15:16], -v[75:76]
	v_fma_f64 v[15:16], v[7:8], v[15:16], v[17:18]
	s_clause 0x2
	buffer_load_dword v85, off, s[0:3], 0 offset:332
	buffer_load_dword v18, off, s[0:3], 0 offset:308
	;; [unrolled: 1-line block ×3, first 2 shown]
	s_waitcnt vmcnt(57)
	v_fma_f64 v[95:96], v[1:2], v[9:10], -v[87:88]
	ds_read_b128 v[5:8], v70 offset:1088
	v_fma_f64 v[9:10], v[3:4], v[9:10], v[13:14]
	s_waitcnt vmcnt(51)
	v_fma_f64 v[71:72], v[71:72], v[33:34], -v[11:12]
	v_fma_f64 v[33:34], v[73:74], v[33:34], v[93:94]
	v_add_f64 v[75:76], v[75:76], 0
	v_add_f64 v[13:14], v[15:16], 0
	s_clause 0x4
	buffer_load_dword v16, off, s[0:3], 0 offset:348
	buffer_load_dword v123, off, s[0:3], 0 offset:360
	buffer_load_dword v125, off, s[0:3], 0 offset:352
	buffer_load_dword v15, off, s[0:3], 0 offset:344
	buffer_load_dword v87, off, s[0:3], 0 offset:324
	s_waitcnt lgkmcnt(0)
	v_mul_f64 v[126:127], v[5:6], v[21:22]
	v_mul_f64 v[21:22], v[7:8], v[21:22]
	ds_read_b128 v[1:4], v70 offset:1104
	s_clause 0x2
	buffer_load_dword v124, off, s[0:3], 0 offset:364
	buffer_load_dword v74, off, s[0:3], 0 offset:340
	;; [unrolled: 1-line block ×3, first 2 shown]
	v_add_f64 v[75:76], v[75:76], v[95:96]
	v_add_f64 v[13:14], v[13:14], v[9:10]
	ds_read_b128 v[9:12], v70 offset:1120
	s_waitcnt vmcnt(58) lgkmcnt(1)
	v_mul_f64 v[93:94], v[1:2], v[25:26]
	v_mul_f64 v[25:26], v[3:4], v[25:26]
	s_waitcnt vmcnt(56)
	v_fma_f64 v[21:22], v[5:6], v[27:28], -v[21:22]
	v_fma_f64 v[27:28], v[7:8], v[27:28], v[126:127]
	s_waitcnt vmcnt(52) lgkmcnt(0)
	v_mul_f64 v[127:128], v[9:10], v[29:30]
	v_add_f64 v[71:72], v[75:76], v[71:72]
	v_add_f64 v[13:14], v[13:14], v[33:34]
	s_clause 0x4
	buffer_load_dword v34, off, s[0:3], 0 offset:380
	buffer_load_dword v75, off, s[0:3], 0 offset:392
	;; [unrolled: 1-line block ×5, first 2 shown]
	v_mul_f64 v[29:30], v[11:12], v[29:30]
	s_waitcnt vmcnt(56)
	v_fma_f64 v[25:26], v[1:2], v[19:20], -v[25:26]
	ds_read_b128 v[5:8], v70 offset:1136
	v_fma_f64 v[19:20], v[3:4], v[19:20], v[93:94]
	v_add_f64 v[21:22], v[71:72], v[21:22]
	v_add_f64 v[13:14], v[13:14], v[27:28]
	s_clause 0x2
	buffer_load_dword v76, off, s[0:3], 0 offset:396
	buffer_load_dword v28, off, s[0:3], 0 offset:372
	;; [unrolled: 1-line block ×3, first 2 shown]
	s_waitcnt vmcnt(58) lgkmcnt(0)
	v_mul_f64 v[71:72], v[5:6], v[35:36]
	v_mul_f64 v[35:36], v[7:8], v[35:36]
	s_waitcnt vmcnt(56)
	v_fma_f64 v[29:30], v[9:10], v[37:38], -v[29:30]
	ds_read_b128 v[1:4], v70 offset:1152
	v_add_f64 v[21:22], v[21:22], v[25:26]
	v_fma_f64 v[25:26], v[11:12], v[37:38], v[127:128]
	v_add_f64 v[13:14], v[13:14], v[19:20]
	s_clause 0x4
	buffer_load_dword v20, off, s[0:3], 0 offset:412
	buffer_load_dword v37, off, s[0:3], 0 offset:424
	;; [unrolled: 1-line block ×5, first 2 shown]
	s_waitcnt vmcnt(57) lgkmcnt(0)
	v_mul_f64 v[127:128], v[1:2], v[39:40]
	v_mul_f64 v[39:40], v[3:4], v[39:40]
	s_waitcnt vmcnt(56)
	v_fma_f64 v[35:36], v[5:6], v[23:24], -v[35:36]
	ds_read_b128 v[9:12], v70 offset:1168
	v_fma_f64 v[23:24], v[7:8], v[23:24], v[71:72]
	v_add_f64 v[21:22], v[21:22], v[29:30]
	v_add_f64 v[13:14], v[13:14], v[25:26]
	s_clause 0x2
	buffer_load_dword v38, off, s[0:3], 0 offset:428
	buffer_load_dword v26, off, s[0:3], 0 offset:404
	;; [unrolled: 1-line block ×3, first 2 shown]
	ds_read_b128 v[5:8], v70 offset:1184
	s_waitcnt vmcnt(58) lgkmcnt(1)
	v_mul_f64 v[29:30], v[9:10], v[43:44]
	v_mul_f64 v[43:44], v[11:12], v[43:44]
	s_waitcnt vmcnt(56)
	v_fma_f64 v[39:40], v[1:2], v[45:46], -v[39:40]
	v_add_f64 v[21:22], v[21:22], v[35:36]
	v_fma_f64 v[35:36], v[3:4], v[45:46], v[127:128]
	v_add_f64 v[13:14], v[13:14], v[23:24]
	s_clause 0x4
	buffer_load_dword v24, off, s[0:3], 0 offset:444
	buffer_load_dword v45, off, s[0:3], 0 offset:456
	;; [unrolled: 1-line block ×5, first 2 shown]
	s_waitcnt vmcnt(57) lgkmcnt(0)
	v_mul_f64 v[127:128], v[5:6], v[47:48]
	v_mul_f64 v[47:48], v[7:8], v[47:48]
	s_waitcnt vmcnt(56)
	v_fma_f64 v[43:44], v[9:10], v[31:32], -v[43:44]
	ds_read_b128 v[1:4], v70 offset:1200
	v_fma_f64 v[29:30], v[11:12], v[31:32], v[29:30]
	s_clause 0x2
	buffer_load_dword v46, off, s[0:3], 0 offset:460
	buffer_load_dword v32, off, s[0:3], 0 offset:436
	;; [unrolled: 1-line block ×3, first 2 shown]
	ds_read_b128 v[9:12], v70 offset:1216
	v_add_f64 v[21:22], v[21:22], v[39:40]
	v_add_f64 v[13:14], v[13:14], v[35:36]
	s_waitcnt vmcnt(58) lgkmcnt(1)
	v_mul_f64 v[39:40], v[3:4], v[51:52]
	s_waitcnt vmcnt(56)
	v_fma_f64 v[47:48], v[5:6], v[53:54], -v[47:48]
	v_mul_f64 v[35:36], v[1:2], v[51:52]
	v_add_f64 v[21:22], v[21:22], v[43:44]
	v_fma_f64 v[43:44], v[7:8], v[53:54], v[127:128]
	v_add_f64 v[13:14], v[13:14], v[29:30]
	s_clause 0x4
	buffer_load_dword v30, off, s[0:3], 0 offset:476
	buffer_load_dword v51, off, s[0:3], 0 offset:488
	;; [unrolled: 1-line block ×5, first 2 shown]
	s_waitcnt vmcnt(57) lgkmcnt(0)
	v_mul_f64 v[127:128], v[9:10], v[55:56]
	v_mul_f64 v[54:55], v[11:12], v[55:56]
	s_waitcnt vmcnt(56)
	v_fma_f64 v[39:40], v[1:2], v[41:42], -v[39:40]
	ds_read_b128 v[5:8], v70 offset:1232
	v_fma_f64 v[35:36], v[3:4], v[41:42], v[35:36]
	s_clause 0x2
	buffer_load_dword v52, off, s[0:3], 0 offset:492
	buffer_load_dword v42, off, s[0:3], 0 offset:468
	;; [unrolled: 1-line block ×3, first 2 shown]
	ds_read_b128 v[1:4], v70 offset:1248
	v_add_f64 v[21:22], v[21:22], v[47:48]
	v_add_f64 v[13:14], v[13:14], v[43:44]
	s_waitcnt vmcnt(58) lgkmcnt(1)
	v_mul_f64 v[47:48], v[7:8], v[59:60]
	s_waitcnt vmcnt(56)
	v_fma_f64 v[55:56], v[9:10], v[61:62], -v[54:55]
	v_mul_f64 v[43:44], v[5:6], v[59:60]
	v_add_f64 v[21:22], v[21:22], v[39:40]
	v_fma_f64 v[39:40], v[11:12], v[61:62], v[127:128]
	v_add_f64 v[13:14], v[13:14], v[35:36]
	s_clause 0x4
	buffer_load_dword v36, off, s[0:3], 0 offset:508
	buffer_load_dword v59, off, s[0:3], 0 offset:520
	;; [unrolled: 1-line block ×5, first 2 shown]
	s_waitcnt vmcnt(57) lgkmcnt(0)
	v_mul_f64 v[127:128], v[1:2], v[63:64]
	v_mul_f64 v[62:63], v[3:4], v[63:64]
	s_waitcnt vmcnt(56)
	v_fma_f64 v[47:48], v[5:6], v[49:50], -v[47:48]
	ds_read_b128 v[9:12], v70 offset:1264
	v_fma_f64 v[43:44], v[7:8], v[49:50], v[43:44]
	v_add_f64 v[21:22], v[21:22], v[55:56]
	v_add_f64 v[13:14], v[13:14], v[39:40]
	s_clause 0x2
	buffer_load_dword v60, off, s[0:3], 0 offset:524
	buffer_load_dword v40, off, s[0:3], 0 offset:500
	;; [unrolled: 1-line block ×3, first 2 shown]
	ds_read_b128 v[5:8], v70 offset:1280
	s_waitcnt vmcnt(58) lgkmcnt(1)
	v_mul_f64 v[55:56], v[11:12], v[65:66]
	s_waitcnt vmcnt(56)
	v_fma_f64 v[63:64], v[1:2], v[67:68], -v[62:63]
	v_mul_f64 v[49:50], v[9:10], v[65:66]
	v_add_f64 v[21:22], v[21:22], v[47:48]
	v_fma_f64 v[47:48], v[3:4], v[67:68], v[127:128]
	v_add_f64 v[13:14], v[13:14], v[43:44]
	s_clause 0x4
	buffer_load_dword v44, off, s[0:3], 0 offset:540
	buffer_load_dword v65, off, s[0:3], 0 offset:552
	buffer_load_dword v67, off, s[0:3], 0 offset:544
	buffer_load_dword v43, off, s[0:3], 0 offset:536
	buffer_load_dword v62, off, s[0:3], 0 offset:516
	s_waitcnt vmcnt(57) lgkmcnt(0)
	v_mul_f64 v[127:128], v[5:6], v[77:78]
	v_mul_f64 v[77:78], v[7:8], v[77:78]
	s_waitcnt vmcnt(56)
	v_fma_f64 v[55:56], v[9:10], v[57:58], -v[55:56]
	ds_read_b128 v[1:4], v70 offset:1296
	v_fma_f64 v[49:50], v[11:12], v[57:58], v[49:50]
	v_add_f64 v[21:22], v[21:22], v[63:64]
	v_add_f64 v[13:14], v[13:14], v[47:48]
	s_clause 0x2
	buffer_load_dword v66, off, s[0:3], 0 offset:556
	buffer_load_dword v48, off, s[0:3], 0 offset:532
	buffer_load_dword v47, off, s[0:3], 0 offset:528
	ds_read_b128 v[9:12], v70 offset:1312
	s_waitcnt vmcnt(58) lgkmcnt(1)
	v_mul_f64 v[63:64], v[3:4], v[84:85]
	v_mul_f64 v[57:58], v[1:2], v[84:85]
	s_waitcnt vmcnt(56)
	v_fma_f64 v[77:78], v[5:6], v[17:18], -v[77:78]
	v_fma_f64 v[17:18], v[7:8], v[17:18], v[127:128]
	v_add_f64 v[21:22], v[21:22], v[55:56]
	v_add_f64 v[13:14], v[13:14], v[49:50]
	s_clause 0x4
	buffer_load_dword v50, off, s[0:3], 0 offset:572
	buffer_load_dword v55, off, s[0:3], 0 offset:584
	;; [unrolled: 1-line block ×5, first 2 shown]
	ds_read_b128 v[5:8], v70 offset:1328
	s_waitcnt vmcnt(57) lgkmcnt(1)
	v_mul_f64 v[127:128], v[9:10], v[15:16]
	v_mul_f64 v[15:16], v[11:12], v[15:16]
	s_waitcnt vmcnt(56)
	v_fma_f64 v[63:64], v[1:2], v[86:87], -v[63:64]
	v_fma_f64 v[57:58], v[3:4], v[86:87], v[57:58]
	v_add_f64 v[21:22], v[21:22], v[77:78]
	v_add_f64 v[13:14], v[13:14], v[17:18]
	s_clause 0x2
	buffer_load_dword v56, off, s[0:3], 0 offset:588
	buffer_load_dword v18, off, s[0:3], 0 offset:564
	;; [unrolled: 1-line block ×3, first 2 shown]
	s_waitcnt vmcnt(58) lgkmcnt(0)
	v_mul_f64 v[86:87], v[7:8], v[123:124]
	ds_read_b128 v[1:4], v70 offset:1344
	v_mul_f64 v[77:78], v[5:6], v[123:124]
	s_waitcnt vmcnt(56)
	v_fma_f64 v[15:16], v[9:10], v[73:74], -v[15:16]
	v_add_f64 v[21:22], v[21:22], v[63:64]
	v_fma_f64 v[63:64], v[11:12], v[73:74], v[127:128]
	v_add_f64 v[13:14], v[13:14], v[57:58]
	s_clause 0x4
	buffer_load_dword v58, off, s[0:3], 0 offset:604
	buffer_load_dword v73, off, s[0:3], 0 offset:616
	;; [unrolled: 1-line block ×5, first 2 shown]
	ds_read_b128 v[9:12], v70 offset:1360
	s_waitcnt vmcnt(57) lgkmcnt(1)
	v_mul_f64 v[127:128], v[1:2], v[33:34]
	v_mul_f64 v[33:34], v[3:4], v[33:34]
	s_waitcnt vmcnt(56)
	v_fma_f64 v[86:87], v[5:6], v[125:126], -v[86:87]
	v_add_f64 v[15:16], v[21:22], v[15:16]
	v_fma_f64 v[21:22], v[7:8], v[125:126], v[77:78]
	v_add_f64 v[13:14], v[13:14], v[63:64]
	s_clause 0x2
	buffer_load_dword v74, off, s[0:3], 0 offset:620
	buffer_load_dword v64, off, s[0:3], 0 offset:596
	;; [unrolled: 1-line block ×3, first 2 shown]
	ds_read_b128 v[5:8], v70 offset:1376
	s_waitcnt vmcnt(58) lgkmcnt(1)
	v_mul_f64 v[77:78], v[9:10], v[75:76]
	v_mul_f64 v[75:76], v[11:12], v[75:76]
	s_waitcnt vmcnt(56)
	v_fma_f64 v[33:34], v[1:2], v[27:28], -v[33:34]
	v_fma_f64 v[27:28], v[3:4], v[27:28], v[127:128]
	v_add_f64 v[15:16], v[15:16], v[86:87]
	v_add_f64 v[13:14], v[13:14], v[21:22]
	s_clause 0x4
	buffer_load_dword v22, off, s[0:3], 0 offset:636
	buffer_load_dword v86, off, s[0:3], 0 offset:648
	;; [unrolled: 1-line block ×5, first 2 shown]
	ds_read_b128 v[1:4], v70 offset:1392
	s_waitcnt vmcnt(57) lgkmcnt(1)
	v_mul_f64 v[126:127], v[5:6], v[19:20]
	v_mul_f64 v[19:20], v[7:8], v[19:20]
	s_waitcnt vmcnt(56)
	v_fma_f64 v[75:76], v[9:10], v[95:96], -v[75:76]
	v_add_f64 v[15:16], v[15:16], v[33:34]
	v_fma_f64 v[33:34], v[11:12], v[95:96], v[77:78]
	v_add_f64 v[13:14], v[13:14], v[27:28]
	s_clause 0x2
	buffer_load_dword v87, off, s[0:3], 0 offset:652
	buffer_load_dword v28, off, s[0:3], 0 offset:628
	;; [unrolled: 1-line block ×3, first 2 shown]
	ds_read_b128 v[9:12], v70 offset:1408
	s_waitcnt vmcnt(58) lgkmcnt(1)
	v_mul_f64 v[77:78], v[1:2], v[37:38]
	v_mul_f64 v[37:38], v[3:4], v[37:38]
	s_waitcnt vmcnt(56)
	v_fma_f64 v[19:20], v[5:6], v[25:26], -v[19:20]
	v_fma_f64 v[25:26], v[7:8], v[25:26], v[126:127]
	v_add_f64 v[15:16], v[15:16], v[75:76]
	v_add_f64 v[13:14], v[13:14], v[33:34]
	s_clause 0x4
	buffer_load_dword v34, off, s[0:3], 0 offset:668
	buffer_load_dword v75, off, s[0:3], 0 offset:680
	;; [unrolled: 1-line block ×5, first 2 shown]
	ds_read_b128 v[5:8], v70 offset:1424
	s_waitcnt vmcnt(57) lgkmcnt(1)
	v_mul_f64 v[127:128], v[9:10], v[23:24]
	v_mul_f64 v[23:24], v[11:12], v[23:24]
	s_waitcnt vmcnt(56)
	v_fma_f64 v[37:38], v[1:2], v[93:94], -v[37:38]
	v_add_f64 v[15:16], v[15:16], v[19:20]
	v_fma_f64 v[19:20], v[3:4], v[93:94], v[77:78]
	v_add_f64 v[13:14], v[13:14], v[25:26]
	s_clause 0x2
	buffer_load_dword v76, off, s[0:3], 0 offset:684
	buffer_load_dword v26, off, s[0:3], 0 offset:660
	;; [unrolled: 1-line block ×3, first 2 shown]
	s_waitcnt vmcnt(58) lgkmcnt(0)
	v_mul_f64 v[77:78], v[5:6], v[45:46]
	v_mul_f64 v[45:46], v[7:8], v[45:46]
	ds_read_b128 v[1:4], v70 offset:1440
	s_waitcnt vmcnt(56)
	v_fma_f64 v[23:24], v[9:10], v[31:32], -v[23:24]
	v_fma_f64 v[31:32], v[11:12], v[31:32], v[127:128]
	v_add_f64 v[15:16], v[15:16], v[37:38]
	v_add_f64 v[13:14], v[13:14], v[19:20]
	s_clause 0x4
	buffer_load_dword v20, off, s[0:3], 0 offset:700
	buffer_load_dword v37, off, s[0:3], 0 offset:712
	;; [unrolled: 1-line block ×5, first 2 shown]
	ds_read_b128 v[9:12], v70 offset:1456
	s_waitcnt vmcnt(57) lgkmcnt(1)
	v_mul_f64 v[127:128], v[1:2], v[29:30]
	v_mul_f64 v[29:30], v[3:4], v[29:30]
	s_waitcnt vmcnt(56)
	v_fma_f64 v[45:46], v[5:6], v[71:72], -v[45:46]
	v_add_f64 v[15:16], v[15:16], v[23:24]
	v_fma_f64 v[23:24], v[7:8], v[71:72], v[77:78]
	v_add_f64 v[13:14], v[13:14], v[31:32]
	s_clause 0x2
	buffer_load_dword v38, off, s[0:3], 0 offset:716
	buffer_load_dword v32, off, s[0:3], 0 offset:692
	;; [unrolled: 1-line block ×3, first 2 shown]
	s_waitcnt vmcnt(58) lgkmcnt(0)
	v_mul_f64 v[71:72], v[9:10], v[51:52]
	v_mul_f64 v[51:52], v[11:12], v[51:52]
	ds_read_b128 v[5:8], v70 offset:1472
	s_waitcnt vmcnt(56)
	v_fma_f64 v[29:30], v[1:2], v[41:42], -v[29:30]
	v_fma_f64 v[41:42], v[3:4], v[41:42], v[127:128]
	v_add_f64 v[15:16], v[15:16], v[45:46]
	v_add_f64 v[13:14], v[13:14], v[23:24]
	s_clause 0x4
	buffer_load_dword v24, off, s[0:3], 0 offset:732
	buffer_load_dword v45, off, s[0:3], 0 offset:744
	buffer_load_dword v77, off, s[0:3], 0 offset:736
	buffer_load_dword v23, off, s[0:3], 0 offset:728
	buffer_load_dword v94, off, s[0:3], 0 offset:708
	ds_read_b128 v[1:4], v70 offset:1488
	s_waitcnt vmcnt(57) lgkmcnt(1)
	v_mul_f64 v[78:79], v[5:6], v[35:36]
	v_mul_f64 v[35:36], v[7:8], v[35:36]
	s_waitcnt vmcnt(56)
	v_fma_f64 v[51:52], v[9:10], v[53:54], -v[51:52]
	v_add_f64 v[15:16], v[15:16], v[29:30]
	v_fma_f64 v[29:30], v[11:12], v[53:54], v[71:72]
	v_add_f64 v[13:14], v[13:14], v[41:42]
	s_clause 0x2
	buffer_load_dword v46, off, s[0:3], 0 offset:748
	buffer_load_dword v42, off, s[0:3], 0 offset:724
	buffer_load_dword v41, off, s[0:3], 0 offset:720
	ds_read_b128 v[9:12], v70 offset:1504
	s_waitcnt vmcnt(58) lgkmcnt(1)
	v_mul_f64 v[53:54], v[1:2], v[59:60]
	v_mul_f64 v[59:60], v[3:4], v[59:60]
	s_waitcnt vmcnt(56)
	v_fma_f64 v[35:36], v[5:6], v[39:40], -v[35:36]
	v_fma_f64 v[39:40], v[7:8], v[39:40], v[78:79]
	v_add_f64 v[15:16], v[15:16], v[51:52]
	v_add_f64 v[13:14], v[13:14], v[29:30]
	s_clause 0x4
	buffer_load_dword v30, off, s[0:3], 0 offset:764
	buffer_load_dword v51, off, s[0:3], 0 offset:776
	buffer_load_dword v71, off, s[0:3], 0 offset:768
	buffer_load_dword v29, off, s[0:3], 0 offset:760
	buffer_load_dword v78, off, s[0:3], 0 offset:740
	ds_read_b128 v[5:8], v70 offset:1520
	s_waitcnt vmcnt(57) lgkmcnt(1)
	v_mul_f64 v[127:128], v[9:10], v[43:44]
	v_mul_f64 v[43:44], v[11:12], v[43:44]
	s_waitcnt vmcnt(56)
	v_fma_f64 v[59:60], v[1:2], v[61:62], -v[59:60]
	v_add_f64 v[15:16], v[15:16], v[35:36]
	v_fma_f64 v[35:36], v[3:4], v[61:62], v[53:54]
	v_add_f64 v[13:14], v[13:14], v[39:40]
	s_clause 0x2
	buffer_load_dword v52, off, s[0:3], 0 offset:780
	buffer_load_dword v40, off, s[0:3], 0 offset:756
	buffer_load_dword v39, off, s[0:3], 0 offset:752
	ds_read_b128 v[1:4], v70 offset:1536
	s_waitcnt vmcnt(58) lgkmcnt(1)
	v_mul_f64 v[61:62], v[7:8], v[65:66]
	v_mul_f64 v[53:54], v[5:6], v[65:66]
	;; [unrolled: 28-line block ×4, first 2 shown]
	s_waitcnt vmcnt(56)
	v_fma_f64 v[57:58], v[5:6], v[63:64], -v[57:58]
	v_add_f64 v[15:16], v[15:16], v[55:56]
	v_fma_f64 v[55:56], v[7:8], v[63:64], v[127:128]
	v_add_f64 v[13:14], v[13:14], v[49:50]
	s_clause 0x4
	buffer_load_dword v50, off, s[0:3], 0 offset:860
	buffer_load_dword v63, off, s[0:3], 0 offset:872
	;; [unrolled: 1-line block ×5, first 2 shown]
	ds_read_b128 v[5:8], v70 offset:1616
	s_waitcnt vmcnt(57) lgkmcnt(1)
	v_mul_f64 v[127:128], v[9:10], v[21:22]
	v_mul_f64 v[21:22], v[11:12], v[21:22]
	s_waitcnt vmcnt(56)
	v_fma_f64 v[73:74], v[1:2], v[123:124], -v[73:74]
	v_fma_f64 v[53:54], v[3:4], v[123:124], v[53:54]
	v_add_f64 v[15:16], v[15:16], v[57:58]
	v_add_f64 v[13:14], v[13:14], v[55:56]
	s_clause 0x2
	buffer_load_dword v64, off, s[0:3], 0 offset:876
	buffer_load_dword v56, off, s[0:3], 0 offset:852
	buffer_load_dword v55, off, s[0:3], 0 offset:848
	ds_read_b128 v[1:4], v70 offset:1632
	s_waitcnt vmcnt(58) lgkmcnt(1)
	v_mul_f64 v[57:58], v[5:6], v[86:87]
	v_mul_f64 v[86:87], v[7:8], v[86:87]
	s_waitcnt vmcnt(56)
	v_fma_f64 v[21:22], v[9:10], v[27:28], -v[21:22]
	v_fma_f64 v[27:28], v[11:12], v[27:28], v[127:128]
	v_add_f64 v[15:16], v[15:16], v[73:74]
	v_add_f64 v[13:14], v[13:14], v[53:54]
	s_clause 0x4
	buffer_load_dword v54, off, s[0:3], 0 offset:892
	buffer_load_dword v73, off, s[0:3], 0 offset:904
	buffer_load_dword v123, off, s[0:3], 0 offset:896
	buffer_load_dword v53, off, s[0:3], 0 offset:888
	buffer_load_dword v85, off, s[0:3], 0 offset:868
	ds_read_b128 v[9:12], v70 offset:1648
	s_waitcnt vmcnt(57) lgkmcnt(1)
	v_mul_f64 v[127:128], v[1:2], v[33:34]
	v_mul_f64 v[33:34], v[3:4], v[33:34]
	s_waitcnt vmcnt(56)
	v_fma_f64 v[86:87], v[5:6], v[125:126], -v[86:87]
	v_add_f64 v[15:16], v[15:16], v[21:22]
	v_fma_f64 v[21:22], v[7:8], v[125:126], v[57:58]
	v_add_f64 v[13:14], v[13:14], v[27:28]
	s_clause 0x2
	buffer_load_dword v74, off, s[0:3], 0 offset:908
	buffer_load_dword v28, off, s[0:3], 0 offset:884
	buffer_load_dword v27, off, s[0:3], 0 offset:880
	ds_read_b128 v[5:8], v70 offset:1664
	s_waitcnt vmcnt(58) lgkmcnt(1)
	v_mul_f64 v[57:58], v[9:10], v[75:76]
	v_mul_f64 v[75:76], v[11:12], v[75:76]
	s_waitcnt vmcnt(56)
	v_fma_f64 v[33:34], v[1:2], v[25:26], -v[33:34]
	v_fma_f64 v[25:26], v[3:4], v[25:26], v[127:128]
	v_add_f64 v[15:16], v[15:16], v[86:87]
	v_add_f64 v[13:14], v[13:14], v[21:22]
	s_clause 0x4
	buffer_load_dword v22, off, s[0:3], 0 offset:924
	buffer_load_dword v86, off, s[0:3], 0 offset:936
	buffer_load_dword v125, off, s[0:3], 0 offset:928
	buffer_load_dword v21, off, s[0:3], 0 offset:920
	buffer_load_dword v124, off, s[0:3], 0 offset:900
	ds_read_b128 v[1:4], v70 offset:1680
	s_waitcnt vmcnt(57) lgkmcnt(1)
	v_mul_f64 v[126:127], v[5:6], v[19:20]
	v_mul_f64 v[19:20], v[7:8], v[19:20]
	s_waitcnt vmcnt(56)
	v_fma_f64 v[75:76], v[9:10], v[95:96], -v[75:76]
	v_add_f64 v[15:16], v[15:16], v[33:34]
	v_fma_f64 v[33:34], v[11:12], v[95:96], v[57:58]
	;; [unrolled: 28-line block ×3, first 2 shown]
	v_add_f64 v[13:14], v[13:14], v[31:32]
	s_clause 0x2
	buffer_load_dword v76, off, s[0:3], 0 offset:972
	buffer_load_dword v32, off, s[0:3], 0 offset:948
	;; [unrolled: 1-line block ×3, first 2 shown]
	ds_read_b128 v[1:4], v70 offset:1728
	s_waitcnt vmcnt(58) lgkmcnt(1)
	v_mul_f64 v[57:58], v[5:6], v[45:46]
	v_mul_f64 v[45:46], v[7:8], v[45:46]
	s_waitcnt vmcnt(56)
	v_fma_f64 v[23:24], v[9:10], v[41:42], -v[23:24]
	v_add_f64 v[15:16], v[15:16], v[37:38]
	v_fma_f64 v[37:38], v[11:12], v[41:42], v[127:128]
	v_add_f64 v[13:14], v[13:14], v[19:20]
	s_clause 0x4
	buffer_load_dword v20, off, s[0:3], 0 offset:988
	buffer_load_dword v41, off, s[0:3], 0 offset:1000
	;; [unrolled: 1-line block ×5, first 2 shown]
	ds_read_b128 v[9:12], v70 offset:1744
	s_waitcnt vmcnt(57) lgkmcnt(1)
	v_mul_f64 v[127:128], v[1:2], v[29:30]
	v_mul_f64 v[29:30], v[3:4], v[29:30]
	s_waitcnt vmcnt(56)
	v_fma_f64 v[45:46], v[5:6], v[77:78], -v[45:46]
	v_add_f64 v[15:16], v[15:16], v[23:24]
	v_fma_f64 v[23:24], v[7:8], v[77:78], v[57:58]
	v_add_f64 v[13:14], v[13:14], v[37:38]
	s_clause 0x2
	buffer_load_dword v42, off, s[0:3], 0 offset:1004
	buffer_load_dword v38, off, s[0:3], 0 offset:980
	;; [unrolled: 1-line block ×3, first 2 shown]
	ds_read_b128 v[5:8], v70 offset:1760
	buffer_load_dword v94, off, s[0:3], 0 offset:996
	s_waitcnt vmcnt(59) lgkmcnt(1)
	v_mul_f64 v[57:58], v[9:10], v[51:52]
	v_mul_f64 v[51:52], v[11:12], v[51:52]
	s_waitcnt vmcnt(57)
	v_fma_f64 v[29:30], v[1:2], v[39:40], -v[29:30]
	v_fma_f64 v[39:40], v[3:4], v[39:40], v[127:128]
	ds_read_b128 v[1:4], v70 offset:1776
	v_add_f64 v[15:16], v[15:16], v[45:46]
	v_add_f64 v[13:14], v[13:14], v[23:24]
	s_waitcnt vmcnt(53) lgkmcnt(1)
	v_mul_f64 v[23:24], v[5:6], v[35:36]
	v_mul_f64 v[35:36], v[7:8], v[35:36]
	s_waitcnt vmcnt(52)
	v_fma_f64 v[45:46], v[9:10], v[71:72], -v[51:52]
	v_add_f64 v[15:16], v[15:16], v[29:30]
	v_fma_f64 v[29:30], v[11:12], v[71:72], v[57:58]
	v_add_f64 v[13:14], v[13:14], v[39:40]
	ds_read_b128 v[9:12], v70 offset:1792
	s_waitcnt vmcnt(51) lgkmcnt(1)
	v_mul_f64 v[51:52], v[3:4], v[59:60]
	v_mul_f64 v[39:40], v[1:2], v[59:60]
	s_waitcnt vmcnt(49)
	v_fma_f64 v[35:36], v[5:6], v[47:48], -v[35:36]
	v_fma_f64 v[23:24], v[7:8], v[47:48], v[23:24]
	v_add_f64 v[15:16], v[15:16], v[45:46]
	v_add_f64 v[13:14], v[13:14], v[29:30]
	s_clause 0x3
	buffer_load_dword v29, off, s[0:3], 0 offset:48
	buffer_load_dword v30, off, s[0:3], 0 offset:52
	;; [unrolled: 1-line block ×4, first 2 shown]
	ds_read_b128 v[5:8], v70 offset:1808
	s_waitcnt vmcnt(49) lgkmcnt(1)
	v_mul_f64 v[47:48], v[9:10], v[43:44]
	v_mul_f64 v[43:44], v[11:12], v[43:44]
	s_waitcnt vmcnt(48)
	v_fma_f64 v[51:52], v[1:2], v[65:66], -v[51:52]
	v_add_f64 v[15:16], v[15:16], v[35:36]
	v_fma_f64 v[35:36], v[3:4], v[65:66], v[39:40]
	v_add_f64 v[13:14], v[13:14], v[23:24]
	ds_read_b128 v[1:4], v70 offset:1824
	s_waitcnt vmcnt(47) lgkmcnt(1)
	v_mul_f64 v[39:40], v[7:8], v[61:62]
	v_mul_f64 v[23:24], v[5:6], v[61:62]
	s_waitcnt vmcnt(45)
	v_fma_f64 v[43:44], v[9:10], v[17:18], -v[43:44]
	v_fma_f64 v[17:18], v[11:12], v[17:18], v[47:48]
	ds_read_b128 v[9:12], v70 offset:1840
	v_add_f64 v[15:16], v[15:16], v[51:52]
	v_add_f64 v[13:14], v[13:14], v[35:36]
	s_waitcnt vmcnt(41) lgkmcnt(1)
	v_mul_f64 v[47:48], v[3:4], v[49:50]
	s_waitcnt vmcnt(40)
	v_fma_f64 v[39:40], v[5:6], v[67:68], -v[39:40]
	v_mul_f64 v[35:36], v[1:2], v[49:50]
	v_fma_f64 v[23:24], v[7:8], v[67:68], v[23:24]
	ds_read_b128 v[5:8], v70 offset:1856
	v_add_f64 v[15:16], v[15:16], v[43:44]
	v_add_f64 v[13:14], v[13:14], v[17:18]
	s_waitcnt vmcnt(39) lgkmcnt(1)
	v_mul_f64 v[43:44], v[11:12], v[63:64]
	v_mul_f64 v[17:18], v[9:10], v[63:64]
	s_waitcnt vmcnt(37)
	v_fma_f64 v[47:48], v[1:2], v[55:56], -v[47:48]
	v_fma_f64 v[35:36], v[3:4], v[55:56], v[35:36]
	ds_read_b128 v[1:4], v70 offset:1872
	v_add_f64 v[15:16], v[15:16], v[39:40]
	v_add_f64 v[13:14], v[13:14], v[23:24]
	s_waitcnt vmcnt(33) lgkmcnt(1)
	v_mul_f64 v[39:40], v[7:8], v[53:54]
	s_waitcnt vmcnt(32)
	v_fma_f64 v[43:44], v[9:10], v[84:85], -v[43:44]
	v_mul_f64 v[23:24], v[5:6], v[53:54]
	v_fma_f64 v[17:18], v[11:12], v[84:85], v[17:18]
	ds_read_b128 v[9:12], v70 offset:1888
	v_add_f64 v[15:16], v[15:16], v[47:48]
	v_add_f64 v[13:14], v[13:14], v[35:36]
	s_waitcnt vmcnt(31) lgkmcnt(1)
	v_mul_f64 v[47:48], v[3:4], v[73:74]
	v_mul_f64 v[35:36], v[1:2], v[73:74]
	s_waitcnt vmcnt(29)
	v_fma_f64 v[39:40], v[5:6], v[27:28], -v[39:40]
	v_fma_f64 v[23:24], v[7:8], v[27:28], v[23:24]
	ds_read_b128 v[5:8], v70 offset:1904
	v_add_f64 v[15:16], v[15:16], v[43:44]
	v_add_f64 v[13:14], v[13:14], v[17:18]
	s_waitcnt vmcnt(25) lgkmcnt(1)
	v_mul_f64 v[17:18], v[9:10], v[21:22]
	v_mul_f64 v[21:22], v[11:12], v[21:22]
	s_waitcnt vmcnt(24)
	v_fma_f64 v[27:28], v[1:2], v[123:124], -v[47:48]
	;; [unrolled: 9-line block ×4, first 2 shown]
	v_add_f64 v[15:16], v[15:16], v[21:22]
	v_fma_f64 v[21:22], v[7:8], v[125:126], v[23:24]
	v_add_f64 v[13:14], v[13:14], v[17:18]
	ds_read_b128 v[5:8], v70 offset:1952
	s_waitcnt vmcnt(15) lgkmcnt(1)
	v_mul_f64 v[23:24], v[11:12], v[75:76]
	v_mul_f64 v[17:18], v[9:10], v[75:76]
	s_waitcnt vmcnt(13)
	v_fma_f64 v[27:28], v[1:2], v[31:32], -v[27:28]
	v_fma_f64 v[25:26], v[3:4], v[31:32], v[25:26]
	ds_read_b128 v[1:4], v70 offset:1968
	v_add_f64 v[15:16], v[15:16], v[33:34]
	v_add_f64 v[13:14], v[13:14], v[21:22]
	s_waitcnt vmcnt(9) lgkmcnt(1)
	v_mul_f64 v[21:22], v[5:6], v[19:20]
	v_mul_f64 v[19:20], v[7:8], v[19:20]
	s_waitcnt vmcnt(8)
	v_fma_f64 v[9:10], v[9:10], v[95:96], -v[23:24]
	v_fma_f64 v[11:12], v[11:12], v[95:96], v[17:18]
	v_add_f64 v[15:16], v[15:16], v[27:28]
	v_add_f64 v[13:14], v[13:14], v[25:26]
	s_waitcnt vmcnt(7) lgkmcnt(0)
	v_mul_f64 v[23:24], v[3:4], v[41:42]
	v_mul_f64 v[17:18], v[1:2], v[41:42]
	s_waitcnt vmcnt(5)
	v_fma_f64 v[5:6], v[5:6], v[37:38], -v[19:20]
	v_fma_f64 v[7:8], v[7:8], v[37:38], v[21:22]
	v_add_f64 v[9:10], v[15:16], v[9:10]
	v_add_f64 v[11:12], v[13:14], v[11:12]
	s_waitcnt vmcnt(4)
	v_fma_f64 v[1:2], v[1:2], v[93:94], -v[23:24]
	v_fma_f64 v[3:4], v[3:4], v[93:94], v[17:18]
	v_add_f64 v[5:6], v[9:10], v[5:6]
	v_add_f64 v[7:8], v[11:12], v[7:8]
	;; [unrolled: 1-line block ×4, first 2 shown]
	s_waitcnt vmcnt(2)
	v_add_f64 v[1:2], v[29:30], -v[1:2]
	s_waitcnt vmcnt(0)
	v_add_f64 v[3:4], v[45:46], -v[3:4]
	buffer_store_dword v2, off, s[0:3], 0 offset:52
	buffer_store_dword v1, off, s[0:3], 0 offset:48
	;; [unrolled: 1-line block ×4, first 2 shown]
	v_cmpx_lt_u32_e32 1, v0
	s_cbranch_execz .LBB61_395
; %bb.394:
	v_mov_b32_e32 v4, s70
	s_clause 0x3
	buffer_load_dword v1, v4, s[0:3], 0 offen
	buffer_load_dword v2, v4, s[0:3], 0 offen offset:4
	buffer_load_dword v3, v4, s[0:3], 0 offen offset:8
	;; [unrolled: 1-line block ×3, first 2 shown]
	buffer_store_dword v70, off, s[0:3], 0 offset:32
	buffer_store_dword v70, off, s[0:3], 0 offset:36
	;; [unrolled: 1-line block ×4, first 2 shown]
	s_waitcnt vmcnt(0)
	ds_write_b128 v69, v[1:4]
.LBB61_395:
	s_or_b32 exec_lo, exec_lo, s4
	s_waitcnt lgkmcnt(0)
	s_waitcnt_vscnt null, 0x0
	s_barrier
	buffer_gl0_inv
	s_clause 0x37
	buffer_load_dword v17, off, s[0:3], 0 offset:56
	buffer_load_dword v18, off, s[0:3], 0 offset:60
	;; [unrolled: 1-line block ×56, first 2 shown]
	ds_read_b128 v[5:8], v70 offset:1024
	s_clause 0x2
	buffer_load_dword v66, off, s[0:3], 0 offset:284
	buffer_load_dword v68, off, s[0:3], 0 offset:260
	;; [unrolled: 1-line block ×3, first 2 shown]
	ds_read_b128 v[1:4], v70 offset:1040
	s_clause 0x4
	buffer_load_dword v78, off, s[0:3], 0 offset:300
	buffer_load_dword v84, off, s[0:3], 0 offset:312
	;; [unrolled: 1-line block ×5, first 2 shown]
	ds_read_b128 v[71:74], v70 offset:1056
	s_mov_b32 s4, exec_lo
	s_waitcnt vmcnt(62) lgkmcnt(2)
	v_mul_f64 v[75:76], v[7:8], v[17:18]
	v_mul_f64 v[17:18], v[5:6], v[17:18]
	s_waitcnt vmcnt(60) lgkmcnt(1)
	v_mul_f64 v[87:88], v[3:4], v[13:14]
	v_mul_f64 v[13:14], v[1:2], v[13:14]
	;; [unrolled: 3-line block ×3, first 2 shown]
	v_fma_f64 v[75:76], v[5:6], v[15:16], -v[75:76]
	v_fma_f64 v[15:16], v[7:8], v[15:16], v[17:18]
	s_clause 0x2
	buffer_load_dword v85, off, s[0:3], 0 offset:316
	buffer_load_dword v18, off, s[0:3], 0 offset:292
	;; [unrolled: 1-line block ×3, first 2 shown]
	s_waitcnt vmcnt(57)
	v_fma_f64 v[95:96], v[1:2], v[9:10], -v[87:88]
	ds_read_b128 v[5:8], v70 offset:1072
	v_fma_f64 v[9:10], v[3:4], v[9:10], v[13:14]
	s_waitcnt vmcnt(51)
	v_fma_f64 v[71:72], v[71:72], v[33:34], -v[11:12]
	v_fma_f64 v[33:34], v[73:74], v[33:34], v[93:94]
	v_add_f64 v[75:76], v[75:76], 0
	v_add_f64 v[13:14], v[15:16], 0
	s_clause 0x4
	buffer_load_dword v16, off, s[0:3], 0 offset:332
	buffer_load_dword v123, off, s[0:3], 0 offset:344
	;; [unrolled: 1-line block ×5, first 2 shown]
	s_waitcnt lgkmcnt(0)
	v_mul_f64 v[126:127], v[5:6], v[21:22]
	v_mul_f64 v[21:22], v[7:8], v[21:22]
	ds_read_b128 v[1:4], v70 offset:1088
	s_clause 0x2
	buffer_load_dword v124, off, s[0:3], 0 offset:348
	buffer_load_dword v74, off, s[0:3], 0 offset:324
	;; [unrolled: 1-line block ×3, first 2 shown]
	v_add_f64 v[75:76], v[75:76], v[95:96]
	v_add_f64 v[13:14], v[13:14], v[9:10]
	ds_read_b128 v[9:12], v70 offset:1104
	s_waitcnt vmcnt(58) lgkmcnt(1)
	v_mul_f64 v[93:94], v[1:2], v[25:26]
	v_mul_f64 v[25:26], v[3:4], v[25:26]
	s_waitcnt vmcnt(56)
	v_fma_f64 v[21:22], v[5:6], v[27:28], -v[21:22]
	v_fma_f64 v[27:28], v[7:8], v[27:28], v[126:127]
	s_waitcnt vmcnt(52) lgkmcnt(0)
	v_mul_f64 v[127:128], v[9:10], v[29:30]
	v_add_f64 v[71:72], v[75:76], v[71:72]
	v_add_f64 v[13:14], v[13:14], v[33:34]
	s_clause 0x4
	buffer_load_dword v34, off, s[0:3], 0 offset:364
	buffer_load_dword v75, off, s[0:3], 0 offset:376
	;; [unrolled: 1-line block ×5, first 2 shown]
	v_mul_f64 v[29:30], v[11:12], v[29:30]
	s_waitcnt vmcnt(56)
	v_fma_f64 v[25:26], v[1:2], v[19:20], -v[25:26]
	ds_read_b128 v[5:8], v70 offset:1120
	v_fma_f64 v[19:20], v[3:4], v[19:20], v[93:94]
	v_add_f64 v[21:22], v[71:72], v[21:22]
	v_add_f64 v[13:14], v[13:14], v[27:28]
	s_clause 0x2
	buffer_load_dword v76, off, s[0:3], 0 offset:380
	buffer_load_dword v28, off, s[0:3], 0 offset:356
	;; [unrolled: 1-line block ×3, first 2 shown]
	s_waitcnt vmcnt(58) lgkmcnt(0)
	v_mul_f64 v[71:72], v[5:6], v[35:36]
	v_mul_f64 v[35:36], v[7:8], v[35:36]
	s_waitcnt vmcnt(56)
	v_fma_f64 v[29:30], v[9:10], v[37:38], -v[29:30]
	ds_read_b128 v[1:4], v70 offset:1136
	v_add_f64 v[21:22], v[21:22], v[25:26]
	v_fma_f64 v[25:26], v[11:12], v[37:38], v[127:128]
	v_add_f64 v[13:14], v[13:14], v[19:20]
	s_clause 0x4
	buffer_load_dword v20, off, s[0:3], 0 offset:396
	buffer_load_dword v37, off, s[0:3], 0 offset:408
	;; [unrolled: 1-line block ×5, first 2 shown]
	s_waitcnt vmcnt(57) lgkmcnt(0)
	v_mul_f64 v[127:128], v[1:2], v[39:40]
	v_mul_f64 v[39:40], v[3:4], v[39:40]
	s_waitcnt vmcnt(56)
	v_fma_f64 v[35:36], v[5:6], v[23:24], -v[35:36]
	ds_read_b128 v[9:12], v70 offset:1152
	v_fma_f64 v[23:24], v[7:8], v[23:24], v[71:72]
	v_add_f64 v[21:22], v[21:22], v[29:30]
	v_add_f64 v[13:14], v[13:14], v[25:26]
	s_clause 0x2
	buffer_load_dword v38, off, s[0:3], 0 offset:412
	buffer_load_dword v26, off, s[0:3], 0 offset:388
	;; [unrolled: 1-line block ×3, first 2 shown]
	ds_read_b128 v[5:8], v70 offset:1168
	s_waitcnt vmcnt(58) lgkmcnt(1)
	v_mul_f64 v[29:30], v[9:10], v[43:44]
	v_mul_f64 v[43:44], v[11:12], v[43:44]
	s_waitcnt vmcnt(56)
	v_fma_f64 v[39:40], v[1:2], v[45:46], -v[39:40]
	v_add_f64 v[21:22], v[21:22], v[35:36]
	v_fma_f64 v[35:36], v[3:4], v[45:46], v[127:128]
	v_add_f64 v[13:14], v[13:14], v[23:24]
	s_clause 0x4
	buffer_load_dword v24, off, s[0:3], 0 offset:428
	buffer_load_dword v45, off, s[0:3], 0 offset:440
	;; [unrolled: 1-line block ×5, first 2 shown]
	s_waitcnt vmcnt(57) lgkmcnt(0)
	v_mul_f64 v[127:128], v[5:6], v[47:48]
	v_mul_f64 v[47:48], v[7:8], v[47:48]
	s_waitcnt vmcnt(56)
	v_fma_f64 v[43:44], v[9:10], v[31:32], -v[43:44]
	ds_read_b128 v[1:4], v70 offset:1184
	v_fma_f64 v[29:30], v[11:12], v[31:32], v[29:30]
	s_clause 0x2
	buffer_load_dword v46, off, s[0:3], 0 offset:444
	buffer_load_dword v32, off, s[0:3], 0 offset:420
	;; [unrolled: 1-line block ×3, first 2 shown]
	ds_read_b128 v[9:12], v70 offset:1200
	v_add_f64 v[21:22], v[21:22], v[39:40]
	v_add_f64 v[13:14], v[13:14], v[35:36]
	s_waitcnt vmcnt(58) lgkmcnt(1)
	v_mul_f64 v[39:40], v[3:4], v[51:52]
	s_waitcnt vmcnt(56)
	v_fma_f64 v[47:48], v[5:6], v[53:54], -v[47:48]
	v_mul_f64 v[35:36], v[1:2], v[51:52]
	v_add_f64 v[21:22], v[21:22], v[43:44]
	v_fma_f64 v[43:44], v[7:8], v[53:54], v[127:128]
	v_add_f64 v[13:14], v[13:14], v[29:30]
	s_clause 0x4
	buffer_load_dword v30, off, s[0:3], 0 offset:460
	buffer_load_dword v51, off, s[0:3], 0 offset:472
	;; [unrolled: 1-line block ×5, first 2 shown]
	s_waitcnt vmcnt(57) lgkmcnt(0)
	v_mul_f64 v[127:128], v[9:10], v[55:56]
	v_mul_f64 v[54:55], v[11:12], v[55:56]
	s_waitcnt vmcnt(56)
	v_fma_f64 v[39:40], v[1:2], v[41:42], -v[39:40]
	ds_read_b128 v[5:8], v70 offset:1216
	v_fma_f64 v[35:36], v[3:4], v[41:42], v[35:36]
	s_clause 0x2
	buffer_load_dword v52, off, s[0:3], 0 offset:476
	buffer_load_dword v42, off, s[0:3], 0 offset:452
	;; [unrolled: 1-line block ×3, first 2 shown]
	ds_read_b128 v[1:4], v70 offset:1232
	v_add_f64 v[21:22], v[21:22], v[47:48]
	v_add_f64 v[13:14], v[13:14], v[43:44]
	s_waitcnt vmcnt(58) lgkmcnt(1)
	v_mul_f64 v[47:48], v[7:8], v[59:60]
	s_waitcnt vmcnt(56)
	v_fma_f64 v[55:56], v[9:10], v[61:62], -v[54:55]
	v_mul_f64 v[43:44], v[5:6], v[59:60]
	v_add_f64 v[21:22], v[21:22], v[39:40]
	v_fma_f64 v[39:40], v[11:12], v[61:62], v[127:128]
	v_add_f64 v[13:14], v[13:14], v[35:36]
	s_clause 0x4
	buffer_load_dword v36, off, s[0:3], 0 offset:492
	buffer_load_dword v59, off, s[0:3], 0 offset:504
	buffer_load_dword v61, off, s[0:3], 0 offset:496
	buffer_load_dword v35, off, s[0:3], 0 offset:488
	buffer_load_dword v54, off, s[0:3], 0 offset:468
	s_waitcnt vmcnt(57) lgkmcnt(0)
	v_mul_f64 v[127:128], v[1:2], v[63:64]
	v_mul_f64 v[62:63], v[3:4], v[63:64]
	s_waitcnt vmcnt(56)
	v_fma_f64 v[47:48], v[5:6], v[49:50], -v[47:48]
	ds_read_b128 v[9:12], v70 offset:1248
	v_fma_f64 v[43:44], v[7:8], v[49:50], v[43:44]
	v_add_f64 v[21:22], v[21:22], v[55:56]
	v_add_f64 v[13:14], v[13:14], v[39:40]
	s_clause 0x2
	buffer_load_dword v60, off, s[0:3], 0 offset:508
	buffer_load_dword v40, off, s[0:3], 0 offset:484
	;; [unrolled: 1-line block ×3, first 2 shown]
	ds_read_b128 v[5:8], v70 offset:1264
	s_waitcnt vmcnt(58) lgkmcnt(1)
	v_mul_f64 v[55:56], v[11:12], v[65:66]
	s_waitcnt vmcnt(56)
	v_fma_f64 v[63:64], v[1:2], v[67:68], -v[62:63]
	v_mul_f64 v[49:50], v[9:10], v[65:66]
	v_add_f64 v[21:22], v[21:22], v[47:48]
	v_fma_f64 v[47:48], v[3:4], v[67:68], v[127:128]
	v_add_f64 v[13:14], v[13:14], v[43:44]
	s_clause 0x4
	buffer_load_dword v44, off, s[0:3], 0 offset:524
	buffer_load_dword v65, off, s[0:3], 0 offset:536
	;; [unrolled: 1-line block ×5, first 2 shown]
	s_waitcnt vmcnt(57) lgkmcnt(0)
	v_mul_f64 v[127:128], v[5:6], v[77:78]
	v_mul_f64 v[77:78], v[7:8], v[77:78]
	s_waitcnt vmcnt(56)
	v_fma_f64 v[55:56], v[9:10], v[57:58], -v[55:56]
	ds_read_b128 v[1:4], v70 offset:1280
	v_fma_f64 v[49:50], v[11:12], v[57:58], v[49:50]
	v_add_f64 v[21:22], v[21:22], v[63:64]
	v_add_f64 v[13:14], v[13:14], v[47:48]
	s_clause 0x2
	buffer_load_dword v66, off, s[0:3], 0 offset:540
	buffer_load_dword v48, off, s[0:3], 0 offset:516
	;; [unrolled: 1-line block ×3, first 2 shown]
	ds_read_b128 v[9:12], v70 offset:1296
	s_waitcnt vmcnt(58) lgkmcnt(1)
	v_mul_f64 v[63:64], v[3:4], v[84:85]
	v_mul_f64 v[57:58], v[1:2], v[84:85]
	s_waitcnt vmcnt(56)
	v_fma_f64 v[77:78], v[5:6], v[17:18], -v[77:78]
	v_fma_f64 v[17:18], v[7:8], v[17:18], v[127:128]
	v_add_f64 v[21:22], v[21:22], v[55:56]
	v_add_f64 v[13:14], v[13:14], v[49:50]
	s_clause 0x4
	buffer_load_dword v50, off, s[0:3], 0 offset:556
	buffer_load_dword v55, off, s[0:3], 0 offset:568
	buffer_load_dword v84, off, s[0:3], 0 offset:560
	buffer_load_dword v49, off, s[0:3], 0 offset:552
	buffer_load_dword v68, off, s[0:3], 0 offset:532
	ds_read_b128 v[5:8], v70 offset:1312
	s_waitcnt vmcnt(57) lgkmcnt(1)
	v_mul_f64 v[127:128], v[9:10], v[15:16]
	v_mul_f64 v[15:16], v[11:12], v[15:16]
	s_waitcnt vmcnt(56)
	v_fma_f64 v[63:64], v[1:2], v[86:87], -v[63:64]
	v_fma_f64 v[57:58], v[3:4], v[86:87], v[57:58]
	v_add_f64 v[21:22], v[21:22], v[77:78]
	v_add_f64 v[13:14], v[13:14], v[17:18]
	s_clause 0x2
	buffer_load_dword v56, off, s[0:3], 0 offset:572
	buffer_load_dword v18, off, s[0:3], 0 offset:548
	;; [unrolled: 1-line block ×3, first 2 shown]
	s_waitcnt vmcnt(58) lgkmcnt(0)
	v_mul_f64 v[86:87], v[7:8], v[123:124]
	ds_read_b128 v[1:4], v70 offset:1328
	v_mul_f64 v[77:78], v[5:6], v[123:124]
	s_waitcnt vmcnt(56)
	v_fma_f64 v[15:16], v[9:10], v[73:74], -v[15:16]
	v_add_f64 v[21:22], v[21:22], v[63:64]
	v_fma_f64 v[63:64], v[11:12], v[73:74], v[127:128]
	v_add_f64 v[13:14], v[13:14], v[57:58]
	s_clause 0x4
	buffer_load_dword v58, off, s[0:3], 0 offset:588
	buffer_load_dword v73, off, s[0:3], 0 offset:600
	buffer_load_dword v123, off, s[0:3], 0 offset:592
	buffer_load_dword v57, off, s[0:3], 0 offset:584
	buffer_load_dword v85, off, s[0:3], 0 offset:564
	ds_read_b128 v[9:12], v70 offset:1344
	s_waitcnt vmcnt(57) lgkmcnt(1)
	v_mul_f64 v[127:128], v[1:2], v[33:34]
	v_mul_f64 v[33:34], v[3:4], v[33:34]
	s_waitcnt vmcnt(56)
	v_fma_f64 v[86:87], v[5:6], v[125:126], -v[86:87]
	v_add_f64 v[15:16], v[21:22], v[15:16]
	v_fma_f64 v[21:22], v[7:8], v[125:126], v[77:78]
	v_add_f64 v[13:14], v[13:14], v[63:64]
	s_clause 0x2
	buffer_load_dword v74, off, s[0:3], 0 offset:604
	buffer_load_dword v64, off, s[0:3], 0 offset:580
	;; [unrolled: 1-line block ×3, first 2 shown]
	ds_read_b128 v[5:8], v70 offset:1360
	s_waitcnt vmcnt(58) lgkmcnt(1)
	v_mul_f64 v[77:78], v[9:10], v[75:76]
	v_mul_f64 v[75:76], v[11:12], v[75:76]
	s_waitcnt vmcnt(56)
	v_fma_f64 v[33:34], v[1:2], v[27:28], -v[33:34]
	v_fma_f64 v[27:28], v[3:4], v[27:28], v[127:128]
	v_add_f64 v[15:16], v[15:16], v[86:87]
	v_add_f64 v[13:14], v[13:14], v[21:22]
	s_clause 0x4
	buffer_load_dword v22, off, s[0:3], 0 offset:620
	buffer_load_dword v86, off, s[0:3], 0 offset:632
	;; [unrolled: 1-line block ×5, first 2 shown]
	ds_read_b128 v[1:4], v70 offset:1376
	s_waitcnt vmcnt(57) lgkmcnt(1)
	v_mul_f64 v[126:127], v[5:6], v[19:20]
	v_mul_f64 v[19:20], v[7:8], v[19:20]
	s_waitcnt vmcnt(56)
	v_fma_f64 v[75:76], v[9:10], v[95:96], -v[75:76]
	v_add_f64 v[15:16], v[15:16], v[33:34]
	v_fma_f64 v[33:34], v[11:12], v[95:96], v[77:78]
	v_add_f64 v[13:14], v[13:14], v[27:28]
	s_clause 0x2
	buffer_load_dword v87, off, s[0:3], 0 offset:636
	buffer_load_dword v28, off, s[0:3], 0 offset:612
	;; [unrolled: 1-line block ×3, first 2 shown]
	ds_read_b128 v[9:12], v70 offset:1392
	s_waitcnt vmcnt(58) lgkmcnt(1)
	v_mul_f64 v[77:78], v[1:2], v[37:38]
	v_mul_f64 v[37:38], v[3:4], v[37:38]
	s_waitcnt vmcnt(56)
	v_fma_f64 v[19:20], v[5:6], v[25:26], -v[19:20]
	v_fma_f64 v[25:26], v[7:8], v[25:26], v[126:127]
	v_add_f64 v[15:16], v[15:16], v[75:76]
	v_add_f64 v[13:14], v[13:14], v[33:34]
	s_clause 0x4
	buffer_load_dword v34, off, s[0:3], 0 offset:652
	buffer_load_dword v75, off, s[0:3], 0 offset:664
	;; [unrolled: 1-line block ×5, first 2 shown]
	ds_read_b128 v[5:8], v70 offset:1408
	s_waitcnt vmcnt(57) lgkmcnt(1)
	v_mul_f64 v[127:128], v[9:10], v[23:24]
	v_mul_f64 v[23:24], v[11:12], v[23:24]
	s_waitcnt vmcnt(56)
	v_fma_f64 v[37:38], v[1:2], v[93:94], -v[37:38]
	v_add_f64 v[15:16], v[15:16], v[19:20]
	v_fma_f64 v[19:20], v[3:4], v[93:94], v[77:78]
	v_add_f64 v[13:14], v[13:14], v[25:26]
	s_clause 0x2
	buffer_load_dword v76, off, s[0:3], 0 offset:668
	buffer_load_dword v26, off, s[0:3], 0 offset:644
	;; [unrolled: 1-line block ×3, first 2 shown]
	s_waitcnt vmcnt(58) lgkmcnt(0)
	v_mul_f64 v[77:78], v[5:6], v[45:46]
	v_mul_f64 v[45:46], v[7:8], v[45:46]
	ds_read_b128 v[1:4], v70 offset:1424
	s_waitcnt vmcnt(56)
	v_fma_f64 v[23:24], v[9:10], v[31:32], -v[23:24]
	v_fma_f64 v[31:32], v[11:12], v[31:32], v[127:128]
	v_add_f64 v[15:16], v[15:16], v[37:38]
	v_add_f64 v[13:14], v[13:14], v[19:20]
	s_clause 0x4
	buffer_load_dword v20, off, s[0:3], 0 offset:684
	buffer_load_dword v37, off, s[0:3], 0 offset:696
	;; [unrolled: 1-line block ×5, first 2 shown]
	ds_read_b128 v[9:12], v70 offset:1440
	s_waitcnt vmcnt(57) lgkmcnt(1)
	v_mul_f64 v[127:128], v[1:2], v[29:30]
	v_mul_f64 v[29:30], v[3:4], v[29:30]
	s_waitcnt vmcnt(56)
	v_fma_f64 v[45:46], v[5:6], v[71:72], -v[45:46]
	v_add_f64 v[15:16], v[15:16], v[23:24]
	v_fma_f64 v[23:24], v[7:8], v[71:72], v[77:78]
	v_add_f64 v[13:14], v[13:14], v[31:32]
	s_clause 0x2
	buffer_load_dword v38, off, s[0:3], 0 offset:700
	buffer_load_dword v32, off, s[0:3], 0 offset:676
	;; [unrolled: 1-line block ×3, first 2 shown]
	s_waitcnt vmcnt(58) lgkmcnt(0)
	v_mul_f64 v[71:72], v[9:10], v[51:52]
	v_mul_f64 v[51:52], v[11:12], v[51:52]
	ds_read_b128 v[5:8], v70 offset:1456
	s_waitcnt vmcnt(56)
	v_fma_f64 v[29:30], v[1:2], v[41:42], -v[29:30]
	v_fma_f64 v[41:42], v[3:4], v[41:42], v[127:128]
	v_add_f64 v[15:16], v[15:16], v[45:46]
	v_add_f64 v[13:14], v[13:14], v[23:24]
	s_clause 0x4
	buffer_load_dword v24, off, s[0:3], 0 offset:716
	buffer_load_dword v45, off, s[0:3], 0 offset:728
	buffer_load_dword v77, off, s[0:3], 0 offset:720
	buffer_load_dword v23, off, s[0:3], 0 offset:712
	buffer_load_dword v94, off, s[0:3], 0 offset:692
	ds_read_b128 v[1:4], v70 offset:1472
	s_waitcnt vmcnt(57) lgkmcnt(1)
	v_mul_f64 v[78:79], v[5:6], v[35:36]
	v_mul_f64 v[35:36], v[7:8], v[35:36]
	s_waitcnt vmcnt(56)
	v_fma_f64 v[51:52], v[9:10], v[53:54], -v[51:52]
	v_add_f64 v[15:16], v[15:16], v[29:30]
	v_fma_f64 v[29:30], v[11:12], v[53:54], v[71:72]
	v_add_f64 v[13:14], v[13:14], v[41:42]
	s_clause 0x2
	buffer_load_dword v46, off, s[0:3], 0 offset:732
	buffer_load_dword v42, off, s[0:3], 0 offset:708
	buffer_load_dword v41, off, s[0:3], 0 offset:704
	ds_read_b128 v[9:12], v70 offset:1488
	s_waitcnt vmcnt(58) lgkmcnt(1)
	v_mul_f64 v[53:54], v[1:2], v[59:60]
	v_mul_f64 v[59:60], v[3:4], v[59:60]
	s_waitcnt vmcnt(56)
	v_fma_f64 v[35:36], v[5:6], v[39:40], -v[35:36]
	v_fma_f64 v[39:40], v[7:8], v[39:40], v[78:79]
	v_add_f64 v[15:16], v[15:16], v[51:52]
	v_add_f64 v[13:14], v[13:14], v[29:30]
	s_clause 0x4
	buffer_load_dword v30, off, s[0:3], 0 offset:748
	buffer_load_dword v51, off, s[0:3], 0 offset:760
	buffer_load_dword v71, off, s[0:3], 0 offset:752
	buffer_load_dword v29, off, s[0:3], 0 offset:744
	buffer_load_dword v78, off, s[0:3], 0 offset:724
	ds_read_b128 v[5:8], v70 offset:1504
	s_waitcnt vmcnt(57) lgkmcnt(1)
	v_mul_f64 v[127:128], v[9:10], v[43:44]
	v_mul_f64 v[43:44], v[11:12], v[43:44]
	s_waitcnt vmcnt(56)
	v_fma_f64 v[59:60], v[1:2], v[61:62], -v[59:60]
	v_add_f64 v[15:16], v[15:16], v[35:36]
	v_fma_f64 v[35:36], v[3:4], v[61:62], v[53:54]
	v_add_f64 v[13:14], v[13:14], v[39:40]
	s_clause 0x2
	buffer_load_dword v52, off, s[0:3], 0 offset:764
	buffer_load_dword v40, off, s[0:3], 0 offset:740
	buffer_load_dword v39, off, s[0:3], 0 offset:736
	ds_read_b128 v[1:4], v70 offset:1520
	s_waitcnt vmcnt(58) lgkmcnt(1)
	v_mul_f64 v[61:62], v[7:8], v[65:66]
	v_mul_f64 v[53:54], v[5:6], v[65:66]
	;; [unrolled: 28-line block ×4, first 2 shown]
	s_waitcnt vmcnt(56)
	v_fma_f64 v[57:58], v[5:6], v[63:64], -v[57:58]
	v_add_f64 v[15:16], v[15:16], v[55:56]
	v_fma_f64 v[55:56], v[7:8], v[63:64], v[127:128]
	v_add_f64 v[13:14], v[13:14], v[49:50]
	s_clause 0x4
	buffer_load_dword v50, off, s[0:3], 0 offset:844
	buffer_load_dword v63, off, s[0:3], 0 offset:856
	;; [unrolled: 1-line block ×5, first 2 shown]
	ds_read_b128 v[5:8], v70 offset:1600
	s_waitcnt vmcnt(57) lgkmcnt(1)
	v_mul_f64 v[127:128], v[9:10], v[21:22]
	v_mul_f64 v[21:22], v[11:12], v[21:22]
	s_waitcnt vmcnt(56)
	v_fma_f64 v[73:74], v[1:2], v[123:124], -v[73:74]
	v_fma_f64 v[53:54], v[3:4], v[123:124], v[53:54]
	v_add_f64 v[15:16], v[15:16], v[57:58]
	v_add_f64 v[13:14], v[13:14], v[55:56]
	s_clause 0x2
	buffer_load_dword v64, off, s[0:3], 0 offset:860
	buffer_load_dword v56, off, s[0:3], 0 offset:836
	buffer_load_dword v55, off, s[0:3], 0 offset:832
	ds_read_b128 v[1:4], v70 offset:1616
	s_waitcnt vmcnt(58) lgkmcnt(1)
	v_mul_f64 v[57:58], v[5:6], v[86:87]
	v_mul_f64 v[86:87], v[7:8], v[86:87]
	s_waitcnt vmcnt(56)
	v_fma_f64 v[21:22], v[9:10], v[27:28], -v[21:22]
	v_fma_f64 v[27:28], v[11:12], v[27:28], v[127:128]
	v_add_f64 v[15:16], v[15:16], v[73:74]
	v_add_f64 v[13:14], v[13:14], v[53:54]
	s_clause 0x4
	buffer_load_dword v54, off, s[0:3], 0 offset:876
	buffer_load_dword v73, off, s[0:3], 0 offset:888
	buffer_load_dword v123, off, s[0:3], 0 offset:880
	buffer_load_dword v53, off, s[0:3], 0 offset:872
	buffer_load_dword v85, off, s[0:3], 0 offset:852
	ds_read_b128 v[9:12], v70 offset:1632
	s_waitcnt vmcnt(57) lgkmcnt(1)
	v_mul_f64 v[127:128], v[1:2], v[33:34]
	v_mul_f64 v[33:34], v[3:4], v[33:34]
	s_waitcnt vmcnt(56)
	v_fma_f64 v[86:87], v[5:6], v[125:126], -v[86:87]
	v_add_f64 v[15:16], v[15:16], v[21:22]
	v_fma_f64 v[21:22], v[7:8], v[125:126], v[57:58]
	v_add_f64 v[13:14], v[13:14], v[27:28]
	s_clause 0x2
	buffer_load_dword v74, off, s[0:3], 0 offset:892
	buffer_load_dword v28, off, s[0:3], 0 offset:868
	buffer_load_dword v27, off, s[0:3], 0 offset:864
	ds_read_b128 v[5:8], v70 offset:1648
	s_waitcnt vmcnt(58) lgkmcnt(1)
	v_mul_f64 v[57:58], v[9:10], v[75:76]
	v_mul_f64 v[75:76], v[11:12], v[75:76]
	s_waitcnt vmcnt(56)
	v_fma_f64 v[33:34], v[1:2], v[25:26], -v[33:34]
	v_fma_f64 v[25:26], v[3:4], v[25:26], v[127:128]
	v_add_f64 v[15:16], v[15:16], v[86:87]
	v_add_f64 v[13:14], v[13:14], v[21:22]
	s_clause 0x4
	buffer_load_dword v22, off, s[0:3], 0 offset:908
	buffer_load_dword v86, off, s[0:3], 0 offset:920
	buffer_load_dword v125, off, s[0:3], 0 offset:912
	buffer_load_dword v21, off, s[0:3], 0 offset:904
	buffer_load_dword v124, off, s[0:3], 0 offset:884
	ds_read_b128 v[1:4], v70 offset:1664
	s_waitcnt vmcnt(57) lgkmcnt(1)
	v_mul_f64 v[126:127], v[5:6], v[19:20]
	v_mul_f64 v[19:20], v[7:8], v[19:20]
	s_waitcnt vmcnt(56)
	v_fma_f64 v[75:76], v[9:10], v[95:96], -v[75:76]
	v_add_f64 v[15:16], v[15:16], v[33:34]
	v_fma_f64 v[33:34], v[11:12], v[95:96], v[57:58]
	v_add_f64 v[13:14], v[13:14], v[25:26]
	s_clause 0x2
	buffer_load_dword v87, off, s[0:3], 0 offset:924
	buffer_load_dword v26, off, s[0:3], 0 offset:900
	buffer_load_dword v25, off, s[0:3], 0 offset:896
	ds_read_b128 v[9:12], v70 offset:1680
	s_waitcnt vmcnt(58) lgkmcnt(1)
	v_mul_f64 v[57:58], v[1:2], v[37:38]
	v_mul_f64 v[37:38], v[3:4], v[37:38]
	s_waitcnt vmcnt(56)
	v_fma_f64 v[19:20], v[5:6], v[31:32], -v[19:20]
	v_fma_f64 v[31:32], v[7:8], v[31:32], v[126:127]
	v_add_f64 v[15:16], v[15:16], v[75:76]
	v_add_f64 v[13:14], v[13:14], v[33:34]
	s_clause 0x4
	buffer_load_dword v34, off, s[0:3], 0 offset:940
	buffer_load_dword v75, off, s[0:3], 0 offset:952
	buffer_load_dword v95, off, s[0:3], 0 offset:944
	buffer_load_dword v33, off, s[0:3], 0 offset:936
	buffer_load_dword v126, off, s[0:3], 0 offset:916
	ds_read_b128 v[5:8], v70 offset:1696
	s_waitcnt vmcnt(57) lgkmcnt(1)
	v_mul_f64 v[127:128], v[9:10], v[23:24]
	v_mul_f64 v[23:24], v[11:12], v[23:24]
	s_waitcnt vmcnt(56)
	v_fma_f64 v[37:38], v[1:2], v[93:94], -v[37:38]
	v_add_f64 v[15:16], v[15:16], v[19:20]
	v_fma_f64 v[19:20], v[3:4], v[93:94], v[57:58]
	v_add_f64 v[13:14], v[13:14], v[31:32]
	s_clause 0x2
	buffer_load_dword v76, off, s[0:3], 0 offset:956
	buffer_load_dword v32, off, s[0:3], 0 offset:932
	buffer_load_dword v31, off, s[0:3], 0 offset:928
	ds_read_b128 v[1:4], v70 offset:1712
	s_waitcnt vmcnt(58) lgkmcnt(1)
	v_mul_f64 v[57:58], v[5:6], v[45:46]
	v_mul_f64 v[45:46], v[7:8], v[45:46]
	s_waitcnt vmcnt(56)
	v_fma_f64 v[23:24], v[9:10], v[41:42], -v[23:24]
	v_add_f64 v[15:16], v[15:16], v[37:38]
	v_fma_f64 v[37:38], v[11:12], v[41:42], v[127:128]
	v_add_f64 v[13:14], v[13:14], v[19:20]
	s_clause 0x4
	buffer_load_dword v20, off, s[0:3], 0 offset:972
	buffer_load_dword v41, off, s[0:3], 0 offset:984
	;; [unrolled: 1-line block ×5, first 2 shown]
	ds_read_b128 v[9:12], v70 offset:1728
	s_waitcnt vmcnt(57) lgkmcnt(1)
	v_mul_f64 v[127:128], v[1:2], v[29:30]
	v_mul_f64 v[29:30], v[3:4], v[29:30]
	s_waitcnt vmcnt(56)
	v_fma_f64 v[45:46], v[5:6], v[77:78], -v[45:46]
	v_add_f64 v[15:16], v[15:16], v[23:24]
	v_fma_f64 v[23:24], v[7:8], v[77:78], v[57:58]
	v_add_f64 v[13:14], v[13:14], v[37:38]
	s_clause 0x2
	buffer_load_dword v42, off, s[0:3], 0 offset:988
	buffer_load_dword v38, off, s[0:3], 0 offset:964
	;; [unrolled: 1-line block ×3, first 2 shown]
	ds_read_b128 v[5:8], v70 offset:1744
	s_waitcnt vmcnt(58) lgkmcnt(1)
	v_mul_f64 v[57:58], v[9:10], v[51:52]
	v_mul_f64 v[51:52], v[11:12], v[51:52]
	s_waitcnt vmcnt(56)
	v_fma_f64 v[29:30], v[1:2], v[39:40], -v[29:30]
	v_fma_f64 v[39:40], v[3:4], v[39:40], v[127:128]
	v_add_f64 v[15:16], v[15:16], v[45:46]
	v_add_f64 v[13:14], v[13:14], v[23:24]
	s_clause 0x2
	buffer_load_dword v24, off, s[0:3], 0 offset:1004
	buffer_load_dword v23, off, s[0:3], 0 offset:1000
	;; [unrolled: 1-line block ×3, first 2 shown]
	ds_read_b128 v[1:4], v70 offset:1760
	s_waitcnt vmcnt(55) lgkmcnt(1)
	v_mul_f64 v[45:46], v[5:6], v[35:36]
	v_mul_f64 v[35:36], v[7:8], v[35:36]
	s_waitcnt vmcnt(54)
	v_fma_f64 v[51:52], v[9:10], v[71:72], -v[51:52]
	v_add_f64 v[15:16], v[15:16], v[29:30]
	v_fma_f64 v[29:30], v[11:12], v[71:72], v[57:58]
	v_add_f64 v[13:14], v[13:14], v[39:40]
	s_clause 0x1
	buffer_load_dword v40, off, s[0:3], 0 offset:996
	buffer_load_dword v39, off, s[0:3], 0 offset:992
	ds_read_b128 v[9:12], v70 offset:1776
	s_waitcnt vmcnt(55) lgkmcnt(1)
	v_mul_f64 v[57:58], v[1:2], v[59:60]
	v_mul_f64 v[59:60], v[3:4], v[59:60]
	s_waitcnt vmcnt(53)
	v_fma_f64 v[35:36], v[5:6], v[47:48], -v[35:36]
	v_fma_f64 v[45:46], v[7:8], v[47:48], v[45:46]
	ds_read_b128 v[5:8], v70 offset:1792
	v_add_f64 v[15:16], v[15:16], v[51:52]
	v_add_f64 v[13:14], v[13:14], v[29:30]
	s_waitcnt vmcnt(49) lgkmcnt(1)
	v_mul_f64 v[29:30], v[9:10], v[43:44]
	v_mul_f64 v[43:44], v[11:12], v[43:44]
	s_waitcnt vmcnt(48)
	v_fma_f64 v[47:48], v[1:2], v[65:66], -v[59:60]
	v_add_f64 v[15:16], v[15:16], v[35:36]
	v_fma_f64 v[35:36], v[3:4], v[65:66], v[57:58]
	v_add_f64 v[13:14], v[13:14], v[45:46]
	s_clause 0x3
	buffer_load_dword v45, off, s[0:3], 0 offset:32
	buffer_load_dword v46, off, s[0:3], 0 offset:36
	;; [unrolled: 1-line block ×4, first 2 shown]
	ds_read_b128 v[1:4], v70 offset:1808
	s_waitcnt vmcnt(51) lgkmcnt(1)
	v_mul_f64 v[59:60], v[7:8], v[61:62]
	v_mul_f64 v[57:58], v[5:6], v[61:62]
	s_waitcnt vmcnt(49)
	v_fma_f64 v[43:44], v[9:10], v[17:18], -v[43:44]
	v_fma_f64 v[17:18], v[11:12], v[17:18], v[29:30]
	ds_read_b128 v[9:12], v70 offset:1824
	v_add_f64 v[15:16], v[15:16], v[47:48]
	v_add_f64 v[13:14], v[13:14], v[35:36]
	s_waitcnt vmcnt(45) lgkmcnt(1)
	v_mul_f64 v[35:36], v[3:4], v[49:50]
	s_waitcnt vmcnt(44)
	v_fma_f64 v[47:48], v[5:6], v[67:68], -v[59:60]
	v_mul_f64 v[29:30], v[1:2], v[49:50]
	v_add_f64 v[15:16], v[15:16], v[43:44]
	v_fma_f64 v[43:44], v[7:8], v[67:68], v[57:58]
	v_add_f64 v[13:14], v[13:14], v[17:18]
	ds_read_b128 v[5:8], v70 offset:1840
	s_waitcnt vmcnt(43) lgkmcnt(1)
	v_mul_f64 v[49:50], v[11:12], v[63:64]
	v_mul_f64 v[17:18], v[9:10], v[63:64]
	s_waitcnt vmcnt(41)
	v_fma_f64 v[35:36], v[1:2], v[55:56], -v[35:36]
	v_fma_f64 v[29:30], v[3:4], v[55:56], v[29:30]
	ds_read_b128 v[1:4], v70 offset:1856
	v_add_f64 v[15:16], v[15:16], v[47:48]
	v_add_f64 v[13:14], v[13:14], v[43:44]
	s_waitcnt vmcnt(37) lgkmcnt(1)
	v_mul_f64 v[47:48], v[7:8], v[53:54]
	s_waitcnt vmcnt(36)
	v_fma_f64 v[49:50], v[9:10], v[84:85], -v[49:50]
	v_mul_f64 v[43:44], v[5:6], v[53:54]
	v_fma_f64 v[17:18], v[11:12], v[84:85], v[17:18]
	ds_read_b128 v[9:12], v70 offset:1872
	v_add_f64 v[15:16], v[15:16], v[35:36]
	v_add_f64 v[13:14], v[13:14], v[29:30]
	s_waitcnt vmcnt(35) lgkmcnt(1)
	v_mul_f64 v[35:36], v[3:4], v[73:74]
	v_mul_f64 v[29:30], v[1:2], v[73:74]
	s_waitcnt vmcnt(33)
	v_fma_f64 v[47:48], v[5:6], v[27:28], -v[47:48]
	v_fma_f64 v[27:28], v[7:8], v[27:28], v[43:44]
	ds_read_b128 v[5:8], v70 offset:1888
	v_add_f64 v[15:16], v[15:16], v[49:50]
	v_add_f64 v[13:14], v[13:14], v[17:18]
	s_waitcnt vmcnt(29) lgkmcnt(1)
	v_mul_f64 v[17:18], v[9:10], v[21:22]
	v_mul_f64 v[21:22], v[11:12], v[21:22]
	s_waitcnt vmcnt(28)
	v_fma_f64 v[35:36], v[1:2], v[123:124], -v[35:36]
	;; [unrolled: 9-line block ×4, first 2 shown]
	v_add_f64 v[15:16], v[15:16], v[21:22]
	v_fma_f64 v[21:22], v[7:8], v[125:126], v[27:28]
	v_add_f64 v[13:14], v[13:14], v[17:18]
	ds_read_b128 v[5:8], v70 offset:1936
	s_waitcnt vmcnt(19) lgkmcnt(1)
	v_mul_f64 v[27:28], v[11:12], v[75:76]
	v_mul_f64 v[17:18], v[9:10], v[75:76]
	s_waitcnt vmcnt(17)
	v_fma_f64 v[29:30], v[1:2], v[31:32], -v[29:30]
	v_fma_f64 v[25:26], v[3:4], v[31:32], v[25:26]
	ds_read_b128 v[1:4], v70 offset:1952
	v_add_f64 v[15:16], v[15:16], v[33:34]
	v_add_f64 v[13:14], v[13:14], v[21:22]
	s_waitcnt vmcnt(13) lgkmcnt(1)
	v_mul_f64 v[21:22], v[5:6], v[19:20]
	v_mul_f64 v[19:20], v[7:8], v[19:20]
	s_waitcnt vmcnt(12)
	v_fma_f64 v[27:28], v[9:10], v[95:96], -v[27:28]
	v_fma_f64 v[17:18], v[11:12], v[95:96], v[17:18]
	ds_read_b128 v[9:12], v70 offset:1968
	v_add_f64 v[15:16], v[15:16], v[29:30]
	v_add_f64 v[13:14], v[13:14], v[25:26]
	s_waitcnt vmcnt(11) lgkmcnt(1)
	v_mul_f64 v[29:30], v[3:4], v[41:42]
	v_mul_f64 v[25:26], v[1:2], v[41:42]
	s_waitcnt vmcnt(9)
	v_fma_f64 v[5:6], v[5:6], v[37:38], -v[19:20]
	v_fma_f64 v[7:8], v[7:8], v[37:38], v[21:22]
	v_add_f64 v[15:16], v[15:16], v[27:28]
	v_add_f64 v[13:14], v[13:14], v[17:18]
	s_waitcnt vmcnt(7) lgkmcnt(0)
	v_mul_f64 v[19:20], v[11:12], v[23:24]
	s_waitcnt vmcnt(6)
	v_fma_f64 v[1:2], v[1:2], v[93:94], -v[29:30]
	v_mul_f64 v[17:18], v[9:10], v[23:24]
	v_fma_f64 v[3:4], v[3:4], v[93:94], v[25:26]
	v_add_f64 v[5:6], v[15:16], v[5:6]
	v_add_f64 v[7:8], v[13:14], v[7:8]
	s_waitcnt vmcnt(4)
	v_fma_f64 v[9:10], v[9:10], v[39:40], -v[19:20]
	v_add_f64 v[1:2], v[5:6], v[1:2]
	v_fma_f64 v[5:6], v[11:12], v[39:40], v[17:18]
	v_add_f64 v[3:4], v[7:8], v[3:4]
	v_add_f64 v[1:2], v[1:2], v[9:10]
	;; [unrolled: 1-line block ×3, first 2 shown]
	s_waitcnt vmcnt(2)
	v_add_f64 v[1:2], v[45:46], -v[1:2]
	s_waitcnt vmcnt(0)
	v_add_f64 v[3:4], v[51:52], -v[3:4]
	buffer_store_dword v2, off, s[0:3], 0 offset:36
	buffer_store_dword v1, off, s[0:3], 0 offset:32
	;; [unrolled: 1-line block ×4, first 2 shown]
	v_cmpx_ne_u32_e32 0, v0
	s_cbranch_execz .LBB61_397
; %bb.396:
	s_clause 0x3
	buffer_load_dword v0, off, s[0:3], 0 offset:16
	buffer_load_dword v1, off, s[0:3], 0 offset:20
	;; [unrolled: 1-line block ×4, first 2 shown]
	v_mov_b32_e32 v4, 0
	buffer_store_dword v4, off, s[0:3], 0 offset:16
	buffer_store_dword v4, off, s[0:3], 0 offset:20
	;; [unrolled: 1-line block ×4, first 2 shown]
	s_waitcnt vmcnt(0)
	ds_write_b128 v69, v[0:3]
.LBB61_397:
	s_or_b32 exec_lo, exec_lo, s4
	s_waitcnt lgkmcnt(0)
	s_waitcnt_vscnt null, 0x0
	s_barrier
	buffer_gl0_inv
	s_clause 0x37
	buffer_load_dword v16, off, s[0:3], 0 offset:40
	buffer_load_dword v17, off, s[0:3], 0 offset:44
	;; [unrolled: 1-line block ×56, first 2 shown]
	v_mov_b32_e32 v68, 0
	s_and_b32 vcc_lo, exec_lo, s76
	ds_read_b128 v[4:7], v68 offset:1008
	s_clause 0x2
	buffer_load_dword v65, off, s[0:3], 0 offset:268
	buffer_load_dword v67, off, s[0:3], 0 offset:244
	;; [unrolled: 1-line block ×3, first 2 shown]
	ds_read_b128 v[0:3], v68 offset:1024
	s_clause 0x4
	buffer_load_dword v76, off, s[0:3], 0 offset:284
	buffer_load_dword v77, off, s[0:3], 0 offset:296
	;; [unrolled: 1-line block ×5, first 2 shown]
	ds_read_b128 v[69:72], v68 offset:1040
	s_waitcnt vmcnt(62) lgkmcnt(2)
	v_mul_f64 v[73:74], v[6:7], v[16:17]
	v_mul_f64 v[16:17], v[4:5], v[16:17]
	s_waitcnt vmcnt(60) lgkmcnt(1)
	v_mul_f64 v[85:86], v[2:3], v[12:13]
	v_mul_f64 v[12:13], v[0:1], v[12:13]
	;; [unrolled: 3-line block ×3, first 2 shown]
	v_fma_f64 v[73:74], v[4:5], v[14:15], -v[73:74]
	v_fma_f64 v[14:15], v[6:7], v[14:15], v[16:17]
	s_clause 0x2
	buffer_load_dword v78, off, s[0:3], 0 offset:300
	buffer_load_dword v17, off, s[0:3], 0 offset:276
	;; [unrolled: 1-line block ×3, first 2 shown]
	s_waitcnt vmcnt(57)
	v_fma_f64 v[93:94], v[0:1], v[8:9], -v[85:86]
	ds_read_b128 v[4:7], v68 offset:1056
	v_fma_f64 v[8:9], v[2:3], v[8:9], v[12:13]
	s_waitcnt vmcnt(51)
	v_fma_f64 v[69:70], v[69:70], v[32:33], -v[10:11]
	v_fma_f64 v[32:33], v[71:72], v[32:33], v[87:88]
	v_add_f64 v[73:74], v[73:74], 0
	v_add_f64 v[12:13], v[14:15], 0
	s_clause 0x4
	buffer_load_dword v15, off, s[0:3], 0 offset:316
	buffer_load_dword v86, off, s[0:3], 0 offset:328
	;; [unrolled: 1-line block ×5, first 2 shown]
	s_waitcnt lgkmcnt(0)
	v_mul_f64 v[123:124], v[4:5], v[20:21]
	v_mul_f64 v[20:21], v[6:7], v[20:21]
	ds_read_b128 v[0:3], v68 offset:1072
	s_clause 0x2
	buffer_load_dword v87, off, s[0:3], 0 offset:332
	buffer_load_dword v72, off, s[0:3], 0 offset:308
	;; [unrolled: 1-line block ×3, first 2 shown]
	v_add_f64 v[73:74], v[73:74], v[93:94]
	v_add_f64 v[12:13], v[12:13], v[8:9]
	ds_read_b128 v[8:11], v68 offset:1088
	s_waitcnt vmcnt(58) lgkmcnt(1)
	v_mul_f64 v[93:94], v[0:1], v[24:25]
	v_mul_f64 v[24:25], v[2:3], v[24:25]
	s_waitcnt vmcnt(56)
	v_fma_f64 v[20:21], v[4:5], v[26:27], -v[20:21]
	v_fma_f64 v[26:27], v[6:7], v[26:27], v[123:124]
	s_waitcnt vmcnt(52) lgkmcnt(0)
	v_mul_f64 v[124:125], v[8:9], v[28:29]
	v_add_f64 v[69:70], v[73:74], v[69:70]
	v_add_f64 v[12:13], v[12:13], v[32:33]
	s_clause 0x4
	buffer_load_dword v33, off, s[0:3], 0 offset:348
	buffer_load_dword v73, off, s[0:3], 0 offset:360
	;; [unrolled: 1-line block ×5, first 2 shown]
	v_mul_f64 v[28:29], v[10:11], v[28:29]
	s_waitcnt vmcnt(56)
	v_fma_f64 v[24:25], v[0:1], v[18:19], -v[24:25]
	ds_read_b128 v[4:7], v68 offset:1104
	v_fma_f64 v[18:19], v[2:3], v[18:19], v[93:94]
	v_add_f64 v[20:21], v[69:70], v[20:21]
	v_add_f64 v[12:13], v[12:13], v[26:27]
	s_clause 0x2
	buffer_load_dword v74, off, s[0:3], 0 offset:364
	buffer_load_dword v27, off, s[0:3], 0 offset:340
	;; [unrolled: 1-line block ×3, first 2 shown]
	s_waitcnt vmcnt(58) lgkmcnt(0)
	v_mul_f64 v[69:70], v[4:5], v[34:35]
	v_mul_f64 v[34:35], v[6:7], v[34:35]
	s_waitcnt vmcnt(56)
	v_fma_f64 v[28:29], v[8:9], v[36:37], -v[28:29]
	ds_read_b128 v[0:3], v68 offset:1120
	v_add_f64 v[20:21], v[20:21], v[24:25]
	v_fma_f64 v[24:25], v[10:11], v[36:37], v[124:125]
	v_add_f64 v[12:13], v[12:13], v[18:19]
	s_clause 0x4
	buffer_load_dword v19, off, s[0:3], 0 offset:380
	buffer_load_dword v36, off, s[0:3], 0 offset:392
	;; [unrolled: 1-line block ×5, first 2 shown]
	s_waitcnt vmcnt(57) lgkmcnt(0)
	v_mul_f64 v[125:126], v[0:1], v[38:39]
	v_mul_f64 v[38:39], v[2:3], v[38:39]
	s_waitcnt vmcnt(56)
	v_fma_f64 v[34:35], v[4:5], v[22:23], -v[34:35]
	ds_read_b128 v[8:11], v68 offset:1136
	v_fma_f64 v[22:23], v[6:7], v[22:23], v[69:70]
	v_add_f64 v[20:21], v[20:21], v[28:29]
	v_add_f64 v[12:13], v[12:13], v[24:25]
	s_clause 0x2
	buffer_load_dword v37, off, s[0:3], 0 offset:396
	buffer_load_dword v25, off, s[0:3], 0 offset:372
	buffer_load_dword v24, off, s[0:3], 0 offset:368
	ds_read_b128 v[4:7], v68 offset:1152
	s_waitcnt vmcnt(58) lgkmcnt(1)
	v_mul_f64 v[28:29], v[8:9], v[42:43]
	v_mul_f64 v[42:43], v[10:11], v[42:43]
	s_waitcnt vmcnt(56)
	v_fma_f64 v[38:39], v[0:1], v[44:45], -v[38:39]
	v_add_f64 v[20:21], v[20:21], v[34:35]
	v_fma_f64 v[34:35], v[2:3], v[44:45], v[125:126]
	v_add_f64 v[12:13], v[12:13], v[22:23]
	s_clause 0x4
	buffer_load_dword v23, off, s[0:3], 0 offset:412
	buffer_load_dword v44, off, s[0:3], 0 offset:424
	buffer_load_dword v69, off, s[0:3], 0 offset:416
	buffer_load_dword v22, off, s[0:3], 0 offset:408
	buffer_load_dword v94, off, s[0:3], 0 offset:388
	s_waitcnt vmcnt(57) lgkmcnt(0)
	v_mul_f64 v[125:126], v[4:5], v[46:47]
	v_mul_f64 v[46:47], v[6:7], v[46:47]
	s_waitcnt vmcnt(56)
	v_fma_f64 v[42:43], v[8:9], v[30:31], -v[42:43]
	ds_read_b128 v[0:3], v68 offset:1168
	v_fma_f64 v[28:29], v[10:11], v[30:31], v[28:29]
	s_clause 0x2
	buffer_load_dword v45, off, s[0:3], 0 offset:428
	buffer_load_dword v31, off, s[0:3], 0 offset:404
	;; [unrolled: 1-line block ×3, first 2 shown]
	ds_read_b128 v[8:11], v68 offset:1184
	v_add_f64 v[20:21], v[20:21], v[38:39]
	v_add_f64 v[12:13], v[12:13], v[34:35]
	s_waitcnt vmcnt(58) lgkmcnt(1)
	v_mul_f64 v[38:39], v[2:3], v[50:51]
	s_waitcnt vmcnt(56)
	v_fma_f64 v[46:47], v[4:5], v[52:53], -v[46:47]
	v_mul_f64 v[34:35], v[0:1], v[50:51]
	v_add_f64 v[20:21], v[20:21], v[42:43]
	v_fma_f64 v[42:43], v[6:7], v[52:53], v[125:126]
	v_add_f64 v[12:13], v[12:13], v[28:29]
	s_clause 0x4
	buffer_load_dword v29, off, s[0:3], 0 offset:444
	buffer_load_dword v50, off, s[0:3], 0 offset:456
	;; [unrolled: 1-line block ×5, first 2 shown]
	s_waitcnt vmcnt(57) lgkmcnt(0)
	v_mul_f64 v[125:126], v[8:9], v[54:55]
	v_mul_f64 v[53:54], v[10:11], v[54:55]
	s_waitcnt vmcnt(56)
	v_fma_f64 v[38:39], v[0:1], v[40:41], -v[38:39]
	ds_read_b128 v[4:7], v68 offset:1200
	v_fma_f64 v[34:35], v[2:3], v[40:41], v[34:35]
	s_clause 0x2
	buffer_load_dword v51, off, s[0:3], 0 offset:460
	buffer_load_dword v41, off, s[0:3], 0 offset:436
	;; [unrolled: 1-line block ×3, first 2 shown]
	ds_read_b128 v[0:3], v68 offset:1216
	v_add_f64 v[20:21], v[20:21], v[46:47]
	v_add_f64 v[12:13], v[12:13], v[42:43]
	s_waitcnt vmcnt(58) lgkmcnt(1)
	v_mul_f64 v[46:47], v[6:7], v[58:59]
	s_waitcnt vmcnt(56)
	v_fma_f64 v[54:55], v[8:9], v[60:61], -v[53:54]
	v_mul_f64 v[42:43], v[4:5], v[58:59]
	v_add_f64 v[20:21], v[20:21], v[38:39]
	v_fma_f64 v[38:39], v[10:11], v[60:61], v[125:126]
	v_add_f64 v[12:13], v[12:13], v[34:35]
	s_clause 0x4
	buffer_load_dword v35, off, s[0:3], 0 offset:476
	buffer_load_dword v58, off, s[0:3], 0 offset:488
	;; [unrolled: 1-line block ×5, first 2 shown]
	s_waitcnt vmcnt(57) lgkmcnt(0)
	v_mul_f64 v[125:126], v[0:1], v[62:63]
	v_mul_f64 v[61:62], v[2:3], v[62:63]
	s_waitcnt vmcnt(56)
	v_fma_f64 v[46:47], v[4:5], v[48:49], -v[46:47]
	ds_read_b128 v[8:11], v68 offset:1232
	v_fma_f64 v[42:43], v[6:7], v[48:49], v[42:43]
	v_add_f64 v[20:21], v[20:21], v[54:55]
	v_add_f64 v[12:13], v[12:13], v[38:39]
	s_clause 0x2
	buffer_load_dword v59, off, s[0:3], 0 offset:492
	buffer_load_dword v39, off, s[0:3], 0 offset:468
	;; [unrolled: 1-line block ×3, first 2 shown]
	ds_read_b128 v[4:7], v68 offset:1248
	s_waitcnt vmcnt(58) lgkmcnt(1)
	v_mul_f64 v[54:55], v[10:11], v[64:65]
	s_waitcnt vmcnt(56)
	v_fma_f64 v[62:63], v[0:1], v[66:67], -v[61:62]
	v_mul_f64 v[48:49], v[8:9], v[64:65]
	v_add_f64 v[20:21], v[20:21], v[46:47]
	v_fma_f64 v[46:47], v[2:3], v[66:67], v[125:126]
	v_add_f64 v[12:13], v[12:13], v[42:43]
	s_clause 0x4
	buffer_load_dword v43, off, s[0:3], 0 offset:508
	buffer_load_dword v64, off, s[0:3], 0 offset:520
	;; [unrolled: 1-line block ×5, first 2 shown]
	s_waitcnt vmcnt(57) lgkmcnt(0)
	v_mul_f64 v[125:126], v[4:5], v[75:76]
	v_mul_f64 v[75:76], v[6:7], v[75:76]
	s_waitcnt vmcnt(56)
	v_fma_f64 v[54:55], v[8:9], v[56:57], -v[54:55]
	ds_read_b128 v[0:3], v68 offset:1264
	v_fma_f64 v[48:49], v[10:11], v[56:57], v[48:49]
	v_add_f64 v[20:21], v[20:21], v[62:63]
	v_add_f64 v[12:13], v[12:13], v[46:47]
	s_clause 0x2
	buffer_load_dword v65, off, s[0:3], 0 offset:524
	buffer_load_dword v47, off, s[0:3], 0 offset:500
	;; [unrolled: 1-line block ×3, first 2 shown]
	ds_read_b128 v[8:11], v68 offset:1280
	s_waitcnt vmcnt(58) lgkmcnt(1)
	v_mul_f64 v[62:63], v[2:3], v[77:78]
	v_mul_f64 v[56:57], v[0:1], v[77:78]
	s_waitcnt vmcnt(56)
	v_fma_f64 v[75:76], v[4:5], v[16:17], -v[75:76]
	v_fma_f64 v[16:17], v[6:7], v[16:17], v[125:126]
	v_add_f64 v[20:21], v[20:21], v[54:55]
	v_add_f64 v[12:13], v[12:13], v[48:49]
	s_clause 0x4
	buffer_load_dword v49, off, s[0:3], 0 offset:540
	buffer_load_dword v54, off, s[0:3], 0 offset:552
	;; [unrolled: 1-line block ×5, first 2 shown]
	ds_read_b128 v[4:7], v68 offset:1296
	s_waitcnt vmcnt(57) lgkmcnt(1)
	v_mul_f64 v[78:79], v[8:9], v[14:15]
	v_mul_f64 v[14:15], v[10:11], v[14:15]
	s_waitcnt vmcnt(56)
	v_fma_f64 v[62:63], v[0:1], v[84:85], -v[62:63]
	v_fma_f64 v[56:57], v[2:3], v[84:85], v[56:57]
	v_add_f64 v[20:21], v[20:21], v[75:76]
	v_add_f64 v[12:13], v[12:13], v[16:17]
	s_clause 0x2
	buffer_load_dword v55, off, s[0:3], 0 offset:556
	buffer_load_dword v17, off, s[0:3], 0 offset:532
	buffer_load_dword v16, off, s[0:3], 0 offset:528
	s_waitcnt vmcnt(58) lgkmcnt(0)
	v_mul_f64 v[84:85], v[6:7], v[86:87]
	ds_read_b128 v[0:3], v68 offset:1312
	v_mul_f64 v[75:76], v[4:5], v[86:87]
	s_waitcnt vmcnt(56)
	v_fma_f64 v[14:15], v[8:9], v[71:72], -v[14:15]
	v_add_f64 v[20:21], v[20:21], v[62:63]
	v_fma_f64 v[62:63], v[10:11], v[71:72], v[78:79]
	v_add_f64 v[12:13], v[12:13], v[56:57]
	s_clause 0x4
	buffer_load_dword v57, off, s[0:3], 0 offset:572
	buffer_load_dword v71, off, s[0:3], 0 offset:584
	buffer_load_dword v86, off, s[0:3], 0 offset:576
	buffer_load_dword v56, off, s[0:3], 0 offset:568
	buffer_load_dword v78, off, s[0:3], 0 offset:548
	ds_read_b128 v[8:11], v68 offset:1328
	s_waitcnt vmcnt(57) lgkmcnt(1)
	v_mul_f64 v[87:88], v[0:1], v[32:33]
	v_mul_f64 v[32:33], v[2:3], v[32:33]
	s_waitcnt vmcnt(56)
	v_fma_f64 v[84:85], v[4:5], v[95:96], -v[84:85]
	v_add_f64 v[14:15], v[20:21], v[14:15]
	v_fma_f64 v[20:21], v[6:7], v[95:96], v[75:76]
	v_add_f64 v[12:13], v[12:13], v[62:63]
	s_clause 0x2
	buffer_load_dword v72, off, s[0:3], 0 offset:588
	buffer_load_dword v63, off, s[0:3], 0 offset:564
	;; [unrolled: 1-line block ×3, first 2 shown]
	ds_read_b128 v[4:7], v68 offset:1344
	s_waitcnt vmcnt(58) lgkmcnt(1)
	v_mul_f64 v[75:76], v[8:9], v[73:74]
	v_mul_f64 v[73:74], v[10:11], v[73:74]
	s_waitcnt vmcnt(56)
	v_fma_f64 v[32:33], v[0:1], v[26:27], -v[32:33]
	v_fma_f64 v[26:27], v[2:3], v[26:27], v[87:88]
	v_add_f64 v[14:15], v[14:15], v[84:85]
	v_add_f64 v[12:13], v[12:13], v[20:21]
	s_clause 0x4
	buffer_load_dword v21, off, s[0:3], 0 offset:604
	buffer_load_dword v84, off, s[0:3], 0 offset:616
	buffer_load_dword v95, off, s[0:3], 0 offset:608
	buffer_load_dword v20, off, s[0:3], 0 offset:600
	buffer_load_dword v87, off, s[0:3], 0 offset:580
	ds_read_b128 v[0:3], v68 offset:1360
	s_waitcnt vmcnt(57) lgkmcnt(1)
	v_mul_f64 v[125:126], v[4:5], v[18:19]
	v_mul_f64 v[18:19], v[6:7], v[18:19]
	s_waitcnt vmcnt(56)
	v_fma_f64 v[73:74], v[8:9], v[123:124], -v[73:74]
	v_add_f64 v[14:15], v[14:15], v[32:33]
	v_fma_f64 v[32:33], v[10:11], v[123:124], v[75:76]
	v_add_f64 v[12:13], v[12:13], v[26:27]
	s_clause 0x2
	buffer_load_dword v85, off, s[0:3], 0 offset:620
	buffer_load_dword v27, off, s[0:3], 0 offset:596
	;; [unrolled: 1-line block ×3, first 2 shown]
	ds_read_b128 v[8:11], v68 offset:1376
	s_waitcnt vmcnt(58) lgkmcnt(1)
	v_mul_f64 v[75:76], v[0:1], v[36:37]
	v_mul_f64 v[36:37], v[2:3], v[36:37]
	s_waitcnt vmcnt(56)
	v_fma_f64 v[18:19], v[4:5], v[24:25], -v[18:19]
	v_fma_f64 v[24:25], v[6:7], v[24:25], v[125:126]
	v_add_f64 v[14:15], v[14:15], v[73:74]
	v_add_f64 v[12:13], v[12:13], v[32:33]
	s_clause 0x4
	buffer_load_dword v33, off, s[0:3], 0 offset:636
	buffer_load_dword v73, off, s[0:3], 0 offset:648
	;; [unrolled: 1-line block ×5, first 2 shown]
	ds_read_b128 v[4:7], v68 offset:1392
	s_waitcnt vmcnt(57) lgkmcnt(1)
	v_mul_f64 v[124:125], v[8:9], v[22:23]
	v_mul_f64 v[22:23], v[10:11], v[22:23]
	s_waitcnt vmcnt(56)
	v_fma_f64 v[36:37], v[0:1], v[93:94], -v[36:37]
	v_add_f64 v[14:15], v[14:15], v[18:19]
	v_fma_f64 v[18:19], v[2:3], v[93:94], v[75:76]
	v_add_f64 v[12:13], v[12:13], v[24:25]
	s_clause 0x2
	buffer_load_dword v74, off, s[0:3], 0 offset:652
	buffer_load_dword v25, off, s[0:3], 0 offset:628
	;; [unrolled: 1-line block ×3, first 2 shown]
	s_waitcnt vmcnt(58) lgkmcnt(0)
	v_mul_f64 v[75:76], v[4:5], v[44:45]
	v_mul_f64 v[44:45], v[6:7], v[44:45]
	ds_read_b128 v[0:3], v68 offset:1408
	s_waitcnt vmcnt(56)
	v_fma_f64 v[22:23], v[8:9], v[30:31], -v[22:23]
	v_fma_f64 v[30:31], v[10:11], v[30:31], v[124:125]
	v_add_f64 v[14:15], v[14:15], v[36:37]
	v_add_f64 v[12:13], v[12:13], v[18:19]
	s_clause 0x4
	buffer_load_dword v19, off, s[0:3], 0 offset:668
	buffer_load_dword v36, off, s[0:3], 0 offset:680
	;; [unrolled: 1-line block ×5, first 2 shown]
	ds_read_b128 v[8:11], v68 offset:1424
	s_waitcnt vmcnt(57) lgkmcnt(1)
	v_mul_f64 v[125:126], v[0:1], v[28:29]
	v_mul_f64 v[28:29], v[2:3], v[28:29]
	s_waitcnt vmcnt(56)
	v_fma_f64 v[44:45], v[4:5], v[69:70], -v[44:45]
	v_add_f64 v[14:15], v[14:15], v[22:23]
	v_fma_f64 v[22:23], v[6:7], v[69:70], v[75:76]
	v_add_f64 v[12:13], v[12:13], v[30:31]
	s_clause 0x2
	buffer_load_dword v37, off, s[0:3], 0 offset:684
	buffer_load_dword v31, off, s[0:3], 0 offset:660
	;; [unrolled: 1-line block ×3, first 2 shown]
	s_waitcnt vmcnt(58) lgkmcnt(0)
	v_mul_f64 v[69:70], v[8:9], v[50:51]
	v_mul_f64 v[50:51], v[10:11], v[50:51]
	ds_read_b128 v[4:7], v68 offset:1440
	s_waitcnt vmcnt(56)
	v_fma_f64 v[28:29], v[0:1], v[40:41], -v[28:29]
	v_fma_f64 v[40:41], v[2:3], v[40:41], v[125:126]
	v_add_f64 v[14:15], v[14:15], v[44:45]
	v_add_f64 v[12:13], v[12:13], v[22:23]
	s_clause 0x4
	buffer_load_dword v23, off, s[0:3], 0 offset:700
	buffer_load_dword v44, off, s[0:3], 0 offset:712
	buffer_load_dword v75, off, s[0:3], 0 offset:704
	buffer_load_dword v22, off, s[0:3], 0 offset:696
	buffer_load_dword v94, off, s[0:3], 0 offset:676
	ds_read_b128 v[0:3], v68 offset:1456
	s_waitcnt vmcnt(57) lgkmcnt(1)
	v_mul_f64 v[125:126], v[4:5], v[34:35]
	v_mul_f64 v[34:35], v[6:7], v[34:35]
	s_waitcnt vmcnt(56)
	v_fma_f64 v[50:51], v[8:9], v[52:53], -v[50:51]
	v_add_f64 v[14:15], v[14:15], v[28:29]
	v_fma_f64 v[28:29], v[10:11], v[52:53], v[69:70]
	v_add_f64 v[12:13], v[12:13], v[40:41]
	s_clause 0x2
	buffer_load_dword v45, off, s[0:3], 0 offset:716
	buffer_load_dword v41, off, s[0:3], 0 offset:692
	buffer_load_dword v40, off, s[0:3], 0 offset:688
	ds_read_b128 v[8:11], v68 offset:1472
	s_waitcnt vmcnt(58) lgkmcnt(1)
	v_mul_f64 v[52:53], v[0:1], v[58:59]
	v_mul_f64 v[58:59], v[2:3], v[58:59]
	s_waitcnt vmcnt(56)
	v_fma_f64 v[34:35], v[4:5], v[38:39], -v[34:35]
	v_fma_f64 v[38:39], v[6:7], v[38:39], v[125:126]
	v_add_f64 v[14:15], v[14:15], v[50:51]
	v_add_f64 v[12:13], v[12:13], v[28:29]
	s_clause 0x4
	buffer_load_dword v29, off, s[0:3], 0 offset:732
	buffer_load_dword v50, off, s[0:3], 0 offset:744
	buffer_load_dword v69, off, s[0:3], 0 offset:736
	buffer_load_dword v28, off, s[0:3], 0 offset:728
	buffer_load_dword v76, off, s[0:3], 0 offset:708
	ds_read_b128 v[4:7], v68 offset:1488
	s_waitcnt vmcnt(57) lgkmcnt(1)
	v_mul_f64 v[125:126], v[8:9], v[42:43]
	v_mul_f64 v[42:43], v[10:11], v[42:43]
	s_waitcnt vmcnt(56)
	v_fma_f64 v[58:59], v[0:1], v[60:61], -v[58:59]
	v_add_f64 v[14:15], v[14:15], v[34:35]
	v_fma_f64 v[34:35], v[2:3], v[60:61], v[52:53]
	v_add_f64 v[12:13], v[12:13], v[38:39]
	s_clause 0x2
	buffer_load_dword v51, off, s[0:3], 0 offset:748
	buffer_load_dword v39, off, s[0:3], 0 offset:724
	buffer_load_dword v38, off, s[0:3], 0 offset:720
	ds_read_b128 v[0:3], v68 offset:1504
	s_waitcnt vmcnt(58) lgkmcnt(1)
	v_mul_f64 v[60:61], v[6:7], v[64:65]
	v_mul_f64 v[52:53], v[4:5], v[64:65]
	;; [unrolled: 28-line block ×4, first 2 shown]
	s_waitcnt vmcnt(56)
	v_fma_f64 v[56:57], v[4:5], v[62:63], -v[56:57]
	v_add_f64 v[14:15], v[14:15], v[54:55]
	v_fma_f64 v[54:55], v[6:7], v[62:63], v[125:126]
	v_add_f64 v[12:13], v[12:13], v[48:49]
	s_clause 0x4
	buffer_load_dword v49, off, s[0:3], 0 offset:828
	buffer_load_dword v62, off, s[0:3], 0 offset:840
	;; [unrolled: 1-line block ×5, first 2 shown]
	ds_read_b128 v[4:7], v68 offset:1584
	s_waitcnt vmcnt(57) lgkmcnt(1)
	v_mul_f64 v[78:79], v[8:9], v[20:21]
	v_mul_f64 v[20:21], v[10:11], v[20:21]
	s_waitcnt vmcnt(56)
	v_fma_f64 v[71:72], v[0:1], v[86:87], -v[71:72]
	v_fma_f64 v[52:53], v[2:3], v[86:87], v[52:53]
	v_add_f64 v[14:15], v[14:15], v[56:57]
	v_add_f64 v[12:13], v[12:13], v[54:55]
	s_clause 0x2
	buffer_load_dword v63, off, s[0:3], 0 offset:844
	buffer_load_dword v55, off, s[0:3], 0 offset:820
	buffer_load_dword v54, off, s[0:3], 0 offset:816
	ds_read_b128 v[0:3], v68 offset:1600
	s_waitcnt vmcnt(58) lgkmcnt(1)
	v_mul_f64 v[56:57], v[4:5], v[84:85]
	v_mul_f64 v[84:85], v[6:7], v[84:85]
	s_waitcnt vmcnt(56)
	v_fma_f64 v[20:21], v[8:9], v[26:27], -v[20:21]
	v_fma_f64 v[26:27], v[10:11], v[26:27], v[78:79]
	v_add_f64 v[14:15], v[14:15], v[71:72]
	v_add_f64 v[12:13], v[12:13], v[52:53]
	s_clause 0x4
	buffer_load_dword v53, off, s[0:3], 0 offset:860
	buffer_load_dword v71, off, s[0:3], 0 offset:872
	buffer_load_dword v86, off, s[0:3], 0 offset:864
	buffer_load_dword v52, off, s[0:3], 0 offset:856
	buffer_load_dword v78, off, s[0:3], 0 offset:836
	ds_read_b128 v[8:11], v68 offset:1616
	s_waitcnt vmcnt(57) lgkmcnt(1)
	v_mul_f64 v[87:88], v[0:1], v[32:33]
	v_mul_f64 v[32:33], v[2:3], v[32:33]
	s_waitcnt vmcnt(56)
	v_fma_f64 v[84:85], v[4:5], v[95:96], -v[84:85]
	v_add_f64 v[14:15], v[14:15], v[20:21]
	v_fma_f64 v[20:21], v[6:7], v[95:96], v[56:57]
	v_add_f64 v[12:13], v[12:13], v[26:27]
	s_clause 0x2
	buffer_load_dword v72, off, s[0:3], 0 offset:876
	buffer_load_dword v27, off, s[0:3], 0 offset:852
	buffer_load_dword v26, off, s[0:3], 0 offset:848
	ds_read_b128 v[4:7], v68 offset:1632
	s_waitcnt vmcnt(58) lgkmcnt(1)
	v_mul_f64 v[56:57], v[8:9], v[73:74]
	v_mul_f64 v[73:74], v[10:11], v[73:74]
	s_waitcnt vmcnt(56)
	v_fma_f64 v[32:33], v[0:1], v[24:25], -v[32:33]
	v_fma_f64 v[24:25], v[2:3], v[24:25], v[87:88]
	v_add_f64 v[14:15], v[14:15], v[84:85]
	v_add_f64 v[12:13], v[12:13], v[20:21]
	s_clause 0x4
	buffer_load_dword v21, off, s[0:3], 0 offset:892
	buffer_load_dword v84, off, s[0:3], 0 offset:904
	buffer_load_dword v95, off, s[0:3], 0 offset:896
	buffer_load_dword v20, off, s[0:3], 0 offset:888
	buffer_load_dword v87, off, s[0:3], 0 offset:868
	ds_read_b128 v[0:3], v68 offset:1648
	s_waitcnt vmcnt(57) lgkmcnt(1)
	v_mul_f64 v[125:126], v[4:5], v[18:19]
	v_mul_f64 v[18:19], v[6:7], v[18:19]
	s_waitcnt vmcnt(56)
	v_fma_f64 v[73:74], v[8:9], v[123:124], -v[73:74]
	v_add_f64 v[14:15], v[14:15], v[32:33]
	v_fma_f64 v[32:33], v[10:11], v[123:124], v[56:57]
	;; [unrolled: 28-line block ×3, first 2 shown]
	v_add_f64 v[12:13], v[12:13], v[30:31]
	s_clause 0x2
	buffer_load_dword v74, off, s[0:3], 0 offset:940
	buffer_load_dword v31, off, s[0:3], 0 offset:916
	;; [unrolled: 1-line block ×3, first 2 shown]
	ds_read_b128 v[0:3], v68 offset:1696
	s_waitcnt vmcnt(58) lgkmcnt(1)
	v_mul_f64 v[56:57], v[4:5], v[44:45]
	v_mul_f64 v[44:45], v[6:7], v[44:45]
	s_waitcnt vmcnt(56)
	v_fma_f64 v[22:23], v[8:9], v[40:41], -v[22:23]
	v_add_f64 v[14:15], v[14:15], v[36:37]
	v_fma_f64 v[36:37], v[10:11], v[40:41], v[124:125]
	v_add_f64 v[12:13], v[12:13], v[18:19]
	s_clause 0x4
	buffer_load_dword v19, off, s[0:3], 0 offset:956
	buffer_load_dword v40, off, s[0:3], 0 offset:968
	;; [unrolled: 1-line block ×5, first 2 shown]
	ds_read_b128 v[8:11], v68 offset:1712
	s_waitcnt vmcnt(57) lgkmcnt(1)
	v_mul_f64 v[125:126], v[0:1], v[28:29]
	v_mul_f64 v[28:29], v[2:3], v[28:29]
	s_waitcnt vmcnt(56)
	v_fma_f64 v[44:45], v[4:5], v[75:76], -v[44:45]
	v_add_f64 v[14:15], v[14:15], v[22:23]
	v_fma_f64 v[22:23], v[6:7], v[75:76], v[56:57]
	v_add_f64 v[12:13], v[12:13], v[36:37]
	s_clause 0x2
	buffer_load_dword v41, off, s[0:3], 0 offset:972
	buffer_load_dword v37, off, s[0:3], 0 offset:948
	;; [unrolled: 1-line block ×3, first 2 shown]
	ds_read_b128 v[4:7], v68 offset:1728
	s_waitcnt vmcnt(58) lgkmcnt(1)
	v_mul_f64 v[56:57], v[8:9], v[50:51]
	v_mul_f64 v[50:51], v[10:11], v[50:51]
	s_waitcnt vmcnt(56)
	v_fma_f64 v[28:29], v[0:1], v[38:39], -v[28:29]
	v_fma_f64 v[38:39], v[2:3], v[38:39], v[125:126]
	v_add_f64 v[14:15], v[14:15], v[44:45]
	v_add_f64 v[12:13], v[12:13], v[22:23]
	s_clause 0x4
	buffer_load_dword v23, off, s[0:3], 0 offset:988
	buffer_load_dword v44, off, s[0:3], 0 offset:1000
	;; [unrolled: 1-line block ×5, first 2 shown]
	ds_read_b128 v[0:3], v68 offset:1744
	s_waitcnt vmcnt(57) lgkmcnt(1)
	v_mul_f64 v[125:126], v[4:5], v[34:35]
	v_mul_f64 v[34:35], v[6:7], v[34:35]
	s_waitcnt vmcnt(56)
	v_fma_f64 v[50:51], v[8:9], v[69:70], -v[50:51]
	v_add_f64 v[14:15], v[14:15], v[28:29]
	v_fma_f64 v[28:29], v[10:11], v[69:70], v[56:57]
	v_add_f64 v[12:13], v[12:13], v[38:39]
	s_clause 0x2
	buffer_load_dword v45, off, s[0:3], 0 offset:1004
	buffer_load_dword v39, off, s[0:3], 0 offset:980
	buffer_load_dword v38, off, s[0:3], 0 offset:976
	ds_read_b128 v[8:11], v68 offset:1760
	buffer_load_dword v76, off, s[0:3], 0 offset:996
	s_waitcnt vmcnt(59) lgkmcnt(1)
	v_mul_f64 v[56:57], v[0:1], v[58:59]
	v_mul_f64 v[58:59], v[2:3], v[58:59]
	s_waitcnt vmcnt(57)
	v_fma_f64 v[34:35], v[4:5], v[46:47], -v[34:35]
	v_fma_f64 v[46:47], v[6:7], v[46:47], v[125:126]
	ds_read_b128 v[4:7], v68 offset:1776
	v_add_f64 v[14:15], v[14:15], v[50:51]
	v_add_f64 v[12:13], v[12:13], v[28:29]
	s_waitcnt vmcnt(53) lgkmcnt(1)
	v_mul_f64 v[28:29], v[8:9], v[42:43]
	v_mul_f64 v[42:43], v[10:11], v[42:43]
	s_waitcnt vmcnt(52)
	v_fma_f64 v[50:51], v[0:1], v[64:65], -v[58:59]
	v_add_f64 v[14:15], v[14:15], v[34:35]
	v_fma_f64 v[34:35], v[2:3], v[64:65], v[56:57]
	v_add_f64 v[12:13], v[12:13], v[46:47]
	ds_read_b128 v[0:3], v68 offset:1792
	s_waitcnt vmcnt(51) lgkmcnt(1)
	v_mul_f64 v[56:57], v[6:7], v[60:61]
	v_mul_f64 v[46:47], v[4:5], v[60:61]
	s_waitcnt vmcnt(49)
	v_fma_f64 v[42:43], v[8:9], v[16:17], -v[42:43]
	v_fma_f64 v[16:17], v[10:11], v[16:17], v[28:29]
	v_add_f64 v[14:15], v[14:15], v[50:51]
	v_add_f64 v[12:13], v[12:13], v[34:35]
	s_clause 0x3
	buffer_load_dword v28, off, s[0:3], 0 offset:16
	buffer_load_dword v29, off, s[0:3], 0 offset:20
	;; [unrolled: 1-line block ×4, first 2 shown]
	ds_read_b128 v[8:11], v68 offset:1808
	s_waitcnt vmcnt(49) lgkmcnt(1)
	v_mul_f64 v[50:51], v[0:1], v[48:49]
	v_mul_f64 v[48:49], v[2:3], v[48:49]
	s_waitcnt vmcnt(48)
	v_fma_f64 v[56:57], v[4:5], v[66:67], -v[56:57]
	v_add_f64 v[14:15], v[14:15], v[42:43]
	v_fma_f64 v[42:43], v[6:7], v[66:67], v[46:47]
	v_add_f64 v[12:13], v[12:13], v[16:17]
	ds_read_b128 v[4:7], v68 offset:1824
	s_waitcnt vmcnt(47) lgkmcnt(1)
	v_mul_f64 v[46:47], v[10:11], v[62:63]
	v_mul_f64 v[16:17], v[8:9], v[62:63]
	s_waitcnt vmcnt(45)
	v_fma_f64 v[48:49], v[0:1], v[54:55], -v[48:49]
	v_fma_f64 v[50:51], v[2:3], v[54:55], v[50:51]
	ds_read_b128 v[0:3], v68 offset:1840
	v_add_f64 v[14:15], v[14:15], v[56:57]
	v_add_f64 v[12:13], v[12:13], v[42:43]
	s_waitcnt vmcnt(41) lgkmcnt(1)
	v_mul_f64 v[42:43], v[4:5], v[52:53]
	v_mul_f64 v[52:53], v[6:7], v[52:53]
	s_waitcnt vmcnt(40)
	v_fma_f64 v[46:47], v[8:9], v[77:78], -v[46:47]
	v_fma_f64 v[16:17], v[10:11], v[77:78], v[16:17]
	ds_read_b128 v[8:11], v68 offset:1856
	v_add_f64 v[14:15], v[14:15], v[48:49]
	v_add_f64 v[12:13], v[12:13], v[50:51]
	;; [unrolled: 9-line block ×5, first 2 shown]
	s_waitcnt vmcnt(25) lgkmcnt(1)
	v_mul_f64 v[24:25], v[0:1], v[32:33]
	v_mul_f64 v[32:33], v[2:3], v[32:33]
	s_waitcnt vmcnt(24)
	v_fma_f64 v[42:43], v[4:5], v[95:96], -v[48:49]
	v_add_f64 v[14:15], v[14:15], v[20:21]
	v_fma_f64 v[20:21], v[6:7], v[95:96], v[26:27]
	v_add_f64 v[12:13], v[12:13], v[16:17]
	ds_read_b128 v[4:7], v68 offset:1920
	s_waitcnt vmcnt(23) lgkmcnt(1)
	v_mul_f64 v[26:27], v[10:11], v[73:74]
	v_mul_f64 v[16:17], v[8:9], v[73:74]
	s_waitcnt vmcnt(21)
	v_fma_f64 v[32:33], v[0:1], v[30:31], -v[32:33]
	v_fma_f64 v[24:25], v[2:3], v[30:31], v[24:25]
	ds_read_b128 v[0:3], v68 offset:1936
	v_add_f64 v[14:15], v[14:15], v[42:43]
	v_add_f64 v[12:13], v[12:13], v[20:21]
	s_waitcnt vmcnt(17) lgkmcnt(1)
	v_mul_f64 v[20:21], v[4:5], v[18:19]
	v_mul_f64 v[18:19], v[6:7], v[18:19]
	s_waitcnt vmcnt(16)
	v_fma_f64 v[26:27], v[8:9], v[123:124], -v[26:27]
	v_fma_f64 v[16:17], v[10:11], v[123:124], v[16:17]
	ds_read_b128 v[8:11], v68 offset:1952
	v_add_f64 v[14:15], v[14:15], v[32:33]
	v_add_f64 v[12:13], v[12:13], v[24:25]
	;; [unrolled: 9-line block ×3, first 2 shown]
	s_waitcnt vmcnt(9) lgkmcnt(1)
	v_mul_f64 v[16:17], v[8:9], v[22:23]
	v_mul_f64 v[22:23], v[10:11], v[22:23]
	s_waitcnt vmcnt(8)
	v_fma_f64 v[0:1], v[0:1], v[93:94], -v[30:31]
	v_fma_f64 v[2:3], v[2:3], v[93:94], v[24:25]
	v_add_f64 v[14:15], v[14:15], v[18:19]
	v_add_f64 v[12:13], v[12:13], v[20:21]
	s_waitcnt vmcnt(7) lgkmcnt(0)
	v_mul_f64 v[20:21], v[6:7], v[44:45]
	v_mul_f64 v[18:19], v[4:5], v[44:45]
	s_waitcnt vmcnt(5)
	v_fma_f64 v[8:9], v[8:9], v[38:39], -v[22:23]
	v_fma_f64 v[10:11], v[10:11], v[38:39], v[16:17]
	v_add_f64 v[0:1], v[14:15], v[0:1]
	v_add_f64 v[2:3], v[12:13], v[2:3]
	s_waitcnt vmcnt(4)
	v_fma_f64 v[4:5], v[4:5], v[75:76], -v[20:21]
	v_fma_f64 v[6:7], v[6:7], v[75:76], v[18:19]
	v_add_f64 v[0:1], v[0:1], v[8:9]
	v_add_f64 v[2:3], v[2:3], v[10:11]
	;; [unrolled: 1-line block ×4, first 2 shown]
	s_waitcnt vmcnt(2)
	v_add_f64 v[0:1], v[28:29], -v[0:1]
	s_waitcnt vmcnt(0)
	v_add_f64 v[2:3], v[34:35], -v[2:3]
	buffer_store_dword v1, off, s[0:3], 0 offset:20
	buffer_store_dword v0, off, s[0:3], 0 offset:16
	;; [unrolled: 1-line block ×4, first 2 shown]
	s_cbranch_vccz .LBB61_520
; %bb.398:
	global_load_dword v0, v68, s[20:21] offset:240
	s_waitcnt vmcnt(0)
	v_add_nc_u32_e32 v0, -1, v0
	v_cmp_ne_u32_e32 vcc_lo, 60, v0
	s_cbranch_vccz .LBB61_400
; %bb.399:
	v_lshlrev_b32_e32 v0, 4, v0
	v_mov_b32_e32 v1, s13
	v_add_nc_u32_e32 v0, 16, v0
	s_clause 0x7
	buffer_load_dword v2, v0, s[0:3], 0 offen
	buffer_load_dword v3, v0, s[0:3], 0 offen offset:4
	buffer_load_dword v4, v0, s[0:3], 0 offen offset:8
	;; [unrolled: 1-line block ×6, first 2 shown]
	buffer_load_dword v9, v1, s[0:3], 0 offen
	s_waitcnt vmcnt(7)
	buffer_store_dword v2, v1, s[0:3], 0 offen
	s_waitcnt vmcnt(6)
	buffer_store_dword v3, v1, s[0:3], 0 offen offset:4
	s_waitcnt vmcnt(5)
	buffer_store_dword v4, v1, s[0:3], 0 offen offset:8
	;; [unrolled: 2-line block ×6, first 2 shown]
	s_waitcnt vmcnt(0)
	buffer_store_dword v9, v0, s[0:3], 0 offen
.LBB61_400:
	v_mov_b32_e32 v0, 0
	global_load_dword v1, v0, s[20:21] offset:236
	s_waitcnt vmcnt(0)
	v_add_nc_u32_e32 v1, -1, v1
	v_cmp_eq_u32_e32 vcc_lo, 59, v1
	s_cbranch_vccnz .LBB61_402
; %bb.401:
	v_lshlrev_b32_e32 v1, 4, v1
	v_mov_b32_e32 v2, s14
	v_add_nc_u32_e32 v1, 16, v1
	s_clause 0x7
	buffer_load_dword v3, v1, s[0:3], 0 offen
	buffer_load_dword v4, v1, s[0:3], 0 offen offset:4
	buffer_load_dword v5, v1, s[0:3], 0 offen offset:8
	;; [unrolled: 1-line block ×6, first 2 shown]
	buffer_load_dword v10, v2, s[0:3], 0 offen
	s_waitcnt vmcnt(7)
	buffer_store_dword v3, v2, s[0:3], 0 offen
	s_waitcnt vmcnt(6)
	buffer_store_dword v4, v2, s[0:3], 0 offen offset:4
	s_waitcnt vmcnt(5)
	buffer_store_dword v5, v2, s[0:3], 0 offen offset:8
	s_waitcnt vmcnt(4)
	buffer_store_dword v6, v2, s[0:3], 0 offen offset:12
	s_waitcnt vmcnt(3)
	buffer_store_dword v7, v1, s[0:3], 0 offen offset:12
	s_waitcnt vmcnt(2)
	buffer_store_dword v8, v1, s[0:3], 0 offen offset:8
	s_waitcnt vmcnt(1)
	buffer_store_dword v9, v1, s[0:3], 0 offen offset:4
	s_waitcnt vmcnt(0)
	buffer_store_dword v10, v1, s[0:3], 0 offen
.LBB61_402:
	global_load_dword v0, v0, s[20:21] offset:232
	s_waitcnt vmcnt(0)
	v_add_nc_u32_e32 v0, -1, v0
	v_cmp_eq_u32_e32 vcc_lo, 58, v0
	s_cbranch_vccnz .LBB61_404
; %bb.403:
	v_lshlrev_b32_e32 v0, 4, v0
	v_mov_b32_e32 v1, s15
	v_add_nc_u32_e32 v0, 16, v0
	s_clause 0x7
	buffer_load_dword v2, v0, s[0:3], 0 offen
	buffer_load_dword v3, v0, s[0:3], 0 offen offset:4
	buffer_load_dword v4, v0, s[0:3], 0 offen offset:8
	;; [unrolled: 1-line block ×6, first 2 shown]
	buffer_load_dword v9, v1, s[0:3], 0 offen
	s_waitcnt vmcnt(7)
	buffer_store_dword v2, v1, s[0:3], 0 offen
	s_waitcnt vmcnt(6)
	buffer_store_dword v3, v1, s[0:3], 0 offen offset:4
	s_waitcnt vmcnt(5)
	buffer_store_dword v4, v1, s[0:3], 0 offen offset:8
	;; [unrolled: 2-line block ×6, first 2 shown]
	s_waitcnt vmcnt(0)
	buffer_store_dword v9, v0, s[0:3], 0 offen
.LBB61_404:
	v_mov_b32_e32 v0, 0
	global_load_dword v1, v0, s[20:21] offset:228
	s_waitcnt vmcnt(0)
	v_add_nc_u32_e32 v1, -1, v1
	v_cmp_eq_u32_e32 vcc_lo, 57, v1
	s_cbranch_vccnz .LBB61_406
; %bb.405:
	v_lshlrev_b32_e32 v1, 4, v1
	v_mov_b32_e32 v2, s16
	v_add_nc_u32_e32 v1, 16, v1
	s_clause 0x7
	buffer_load_dword v3, v1, s[0:3], 0 offen
	buffer_load_dword v4, v1, s[0:3], 0 offen offset:4
	buffer_load_dword v5, v1, s[0:3], 0 offen offset:8
	;; [unrolled: 1-line block ×6, first 2 shown]
	buffer_load_dword v10, v2, s[0:3], 0 offen
	s_waitcnt vmcnt(7)
	buffer_store_dword v3, v2, s[0:3], 0 offen
	s_waitcnt vmcnt(6)
	buffer_store_dword v4, v2, s[0:3], 0 offen offset:4
	s_waitcnt vmcnt(5)
	buffer_store_dword v5, v2, s[0:3], 0 offen offset:8
	;; [unrolled: 2-line block ×6, first 2 shown]
	s_waitcnt vmcnt(0)
	buffer_store_dword v10, v1, s[0:3], 0 offen
.LBB61_406:
	global_load_dword v0, v0, s[20:21] offset:224
	s_waitcnt vmcnt(0)
	v_add_nc_u32_e32 v0, -1, v0
	v_cmp_eq_u32_e32 vcc_lo, 56, v0
	s_cbranch_vccnz .LBB61_408
; %bb.407:
	v_lshlrev_b32_e32 v0, 4, v0
	v_mov_b32_e32 v1, s17
	v_add_nc_u32_e32 v0, 16, v0
	s_clause 0x7
	buffer_load_dword v2, v0, s[0:3], 0 offen
	buffer_load_dword v3, v0, s[0:3], 0 offen offset:4
	buffer_load_dword v4, v0, s[0:3], 0 offen offset:8
	;; [unrolled: 1-line block ×6, first 2 shown]
	buffer_load_dword v9, v1, s[0:3], 0 offen
	s_waitcnt vmcnt(7)
	buffer_store_dword v2, v1, s[0:3], 0 offen
	s_waitcnt vmcnt(6)
	buffer_store_dword v3, v1, s[0:3], 0 offen offset:4
	s_waitcnt vmcnt(5)
	buffer_store_dword v4, v1, s[0:3], 0 offen offset:8
	;; [unrolled: 2-line block ×6, first 2 shown]
	s_waitcnt vmcnt(0)
	buffer_store_dword v9, v0, s[0:3], 0 offen
.LBB61_408:
	v_mov_b32_e32 v0, 0
	global_load_dword v1, v0, s[20:21] offset:220
	s_waitcnt vmcnt(0)
	v_add_nc_u32_e32 v1, -1, v1
	v_cmp_eq_u32_e32 vcc_lo, 55, v1
	s_cbranch_vccnz .LBB61_410
; %bb.409:
	v_lshlrev_b32_e32 v1, 4, v1
	v_mov_b32_e32 v2, s18
	v_add_nc_u32_e32 v1, 16, v1
	s_clause 0x7
	buffer_load_dword v3, v1, s[0:3], 0 offen
	buffer_load_dword v4, v1, s[0:3], 0 offen offset:4
	buffer_load_dword v5, v1, s[0:3], 0 offen offset:8
	;; [unrolled: 1-line block ×6, first 2 shown]
	buffer_load_dword v10, v2, s[0:3], 0 offen
	s_waitcnt vmcnt(7)
	buffer_store_dword v3, v2, s[0:3], 0 offen
	s_waitcnt vmcnt(6)
	buffer_store_dword v4, v2, s[0:3], 0 offen offset:4
	s_waitcnt vmcnt(5)
	buffer_store_dword v5, v2, s[0:3], 0 offen offset:8
	;; [unrolled: 2-line block ×6, first 2 shown]
	s_waitcnt vmcnt(0)
	buffer_store_dword v10, v1, s[0:3], 0 offen
.LBB61_410:
	global_load_dword v0, v0, s[20:21] offset:216
	s_waitcnt vmcnt(0)
	v_add_nc_u32_e32 v0, -1, v0
	v_cmp_eq_u32_e32 vcc_lo, 54, v0
	s_cbranch_vccnz .LBB61_412
; %bb.411:
	v_lshlrev_b32_e32 v0, 4, v0
	v_mov_b32_e32 v1, s19
	v_add_nc_u32_e32 v0, 16, v0
	s_clause 0x7
	buffer_load_dword v2, v0, s[0:3], 0 offen
	buffer_load_dword v3, v0, s[0:3], 0 offen offset:4
	buffer_load_dword v4, v0, s[0:3], 0 offen offset:8
	buffer_load_dword v5, v0, s[0:3], 0 offen offset:12
	buffer_load_dword v6, v1, s[0:3], 0 offen offset:12
	buffer_load_dword v7, v1, s[0:3], 0 offen offset:8
	buffer_load_dword v8, v1, s[0:3], 0 offen offset:4
	buffer_load_dword v9, v1, s[0:3], 0 offen
	s_waitcnt vmcnt(7)
	buffer_store_dword v2, v1, s[0:3], 0 offen
	s_waitcnt vmcnt(6)
	buffer_store_dword v3, v1, s[0:3], 0 offen offset:4
	s_waitcnt vmcnt(5)
	buffer_store_dword v4, v1, s[0:3], 0 offen offset:8
	;; [unrolled: 2-line block ×6, first 2 shown]
	s_waitcnt vmcnt(0)
	buffer_store_dword v9, v0, s[0:3], 0 offen
.LBB61_412:
	v_mov_b32_e32 v0, 0
	global_load_dword v1, v0, s[20:21] offset:212
	s_waitcnt vmcnt(0)
	v_add_nc_u32_e32 v1, -1, v1
	v_cmp_eq_u32_e32 vcc_lo, 53, v1
	s_cbranch_vccnz .LBB61_414
; %bb.413:
	v_lshlrev_b32_e32 v1, 4, v1
	v_mov_b32_e32 v2, s22
	v_add_nc_u32_e32 v1, 16, v1
	s_clause 0x7
	buffer_load_dword v3, v1, s[0:3], 0 offen
	buffer_load_dword v4, v1, s[0:3], 0 offen offset:4
	buffer_load_dword v5, v1, s[0:3], 0 offen offset:8
	;; [unrolled: 1-line block ×6, first 2 shown]
	buffer_load_dword v10, v2, s[0:3], 0 offen
	s_waitcnt vmcnt(7)
	buffer_store_dword v3, v2, s[0:3], 0 offen
	s_waitcnt vmcnt(6)
	buffer_store_dword v4, v2, s[0:3], 0 offen offset:4
	s_waitcnt vmcnt(5)
	buffer_store_dword v5, v2, s[0:3], 0 offen offset:8
	s_waitcnt vmcnt(4)
	buffer_store_dword v6, v2, s[0:3], 0 offen offset:12
	s_waitcnt vmcnt(3)
	buffer_store_dword v7, v1, s[0:3], 0 offen offset:12
	s_waitcnt vmcnt(2)
	buffer_store_dword v8, v1, s[0:3], 0 offen offset:8
	s_waitcnt vmcnt(1)
	buffer_store_dword v9, v1, s[0:3], 0 offen offset:4
	s_waitcnt vmcnt(0)
	buffer_store_dword v10, v1, s[0:3], 0 offen
.LBB61_414:
	global_load_dword v0, v0, s[20:21] offset:208
	s_waitcnt vmcnt(0)
	v_add_nc_u32_e32 v0, -1, v0
	v_cmp_eq_u32_e32 vcc_lo, 52, v0
	s_cbranch_vccnz .LBB61_416
; %bb.415:
	v_lshlrev_b32_e32 v0, 4, v0
	v_mov_b32_e32 v1, s23
	v_add_nc_u32_e32 v0, 16, v0
	s_clause 0x7
	buffer_load_dword v2, v0, s[0:3], 0 offen
	buffer_load_dword v3, v0, s[0:3], 0 offen offset:4
	buffer_load_dword v4, v0, s[0:3], 0 offen offset:8
	;; [unrolled: 1-line block ×6, first 2 shown]
	buffer_load_dword v9, v1, s[0:3], 0 offen
	s_waitcnt vmcnt(7)
	buffer_store_dword v2, v1, s[0:3], 0 offen
	s_waitcnt vmcnt(6)
	buffer_store_dword v3, v1, s[0:3], 0 offen offset:4
	s_waitcnt vmcnt(5)
	buffer_store_dword v4, v1, s[0:3], 0 offen offset:8
	;; [unrolled: 2-line block ×6, first 2 shown]
	s_waitcnt vmcnt(0)
	buffer_store_dword v9, v0, s[0:3], 0 offen
.LBB61_416:
	v_mov_b32_e32 v0, 0
	global_load_dword v1, v0, s[20:21] offset:204
	s_waitcnt vmcnt(0)
	v_add_nc_u32_e32 v1, -1, v1
	v_cmp_eq_u32_e32 vcc_lo, 51, v1
	s_cbranch_vccnz .LBB61_418
; %bb.417:
	v_lshlrev_b32_e32 v1, 4, v1
	v_mov_b32_e32 v2, s24
	v_add_nc_u32_e32 v1, 16, v1
	s_clause 0x7
	buffer_load_dword v3, v1, s[0:3], 0 offen
	buffer_load_dword v4, v1, s[0:3], 0 offen offset:4
	buffer_load_dword v5, v1, s[0:3], 0 offen offset:8
	;; [unrolled: 1-line block ×6, first 2 shown]
	buffer_load_dword v10, v2, s[0:3], 0 offen
	s_waitcnt vmcnt(7)
	buffer_store_dword v3, v2, s[0:3], 0 offen
	s_waitcnt vmcnt(6)
	buffer_store_dword v4, v2, s[0:3], 0 offen offset:4
	s_waitcnt vmcnt(5)
	buffer_store_dword v5, v2, s[0:3], 0 offen offset:8
	s_waitcnt vmcnt(4)
	buffer_store_dword v6, v2, s[0:3], 0 offen offset:12
	s_waitcnt vmcnt(3)
	buffer_store_dword v7, v1, s[0:3], 0 offen offset:12
	s_waitcnt vmcnt(2)
	buffer_store_dword v8, v1, s[0:3], 0 offen offset:8
	s_waitcnt vmcnt(1)
	buffer_store_dword v9, v1, s[0:3], 0 offen offset:4
	s_waitcnt vmcnt(0)
	buffer_store_dword v10, v1, s[0:3], 0 offen
.LBB61_418:
	global_load_dword v0, v0, s[20:21] offset:200
	s_waitcnt vmcnt(0)
	v_add_nc_u32_e32 v0, -1, v0
	v_cmp_eq_u32_e32 vcc_lo, 50, v0
	s_cbranch_vccnz .LBB61_420
; %bb.419:
	v_lshlrev_b32_e32 v0, 4, v0
	v_mov_b32_e32 v1, s25
	v_add_nc_u32_e32 v0, 16, v0
	s_clause 0x7
	buffer_load_dword v2, v0, s[0:3], 0 offen
	buffer_load_dword v3, v0, s[0:3], 0 offen offset:4
	buffer_load_dword v4, v0, s[0:3], 0 offen offset:8
	;; [unrolled: 1-line block ×6, first 2 shown]
	buffer_load_dword v9, v1, s[0:3], 0 offen
	s_waitcnt vmcnt(7)
	buffer_store_dword v2, v1, s[0:3], 0 offen
	s_waitcnt vmcnt(6)
	buffer_store_dword v3, v1, s[0:3], 0 offen offset:4
	s_waitcnt vmcnt(5)
	buffer_store_dword v4, v1, s[0:3], 0 offen offset:8
	;; [unrolled: 2-line block ×6, first 2 shown]
	s_waitcnt vmcnt(0)
	buffer_store_dword v9, v0, s[0:3], 0 offen
.LBB61_420:
	v_mov_b32_e32 v0, 0
	global_load_dword v1, v0, s[20:21] offset:196
	s_waitcnt vmcnt(0)
	v_add_nc_u32_e32 v1, -1, v1
	v_cmp_eq_u32_e32 vcc_lo, 49, v1
	s_cbranch_vccnz .LBB61_422
; %bb.421:
	v_lshlrev_b32_e32 v1, 4, v1
	v_mov_b32_e32 v2, s26
	v_add_nc_u32_e32 v1, 16, v1
	s_clause 0x7
	buffer_load_dword v3, v1, s[0:3], 0 offen
	buffer_load_dword v4, v1, s[0:3], 0 offen offset:4
	buffer_load_dword v5, v1, s[0:3], 0 offen offset:8
	;; [unrolled: 1-line block ×6, first 2 shown]
	buffer_load_dword v10, v2, s[0:3], 0 offen
	s_waitcnt vmcnt(7)
	buffer_store_dword v3, v2, s[0:3], 0 offen
	s_waitcnt vmcnt(6)
	buffer_store_dword v4, v2, s[0:3], 0 offen offset:4
	s_waitcnt vmcnt(5)
	buffer_store_dword v5, v2, s[0:3], 0 offen offset:8
	;; [unrolled: 2-line block ×6, first 2 shown]
	s_waitcnt vmcnt(0)
	buffer_store_dword v10, v1, s[0:3], 0 offen
.LBB61_422:
	global_load_dword v0, v0, s[20:21] offset:192
	s_waitcnt vmcnt(0)
	v_add_nc_u32_e32 v0, -1, v0
	v_cmp_eq_u32_e32 vcc_lo, 48, v0
	s_cbranch_vccnz .LBB61_424
; %bb.423:
	v_lshlrev_b32_e32 v0, 4, v0
	v_mov_b32_e32 v1, s27
	v_add_nc_u32_e32 v0, 16, v0
	s_clause 0x7
	buffer_load_dword v2, v0, s[0:3], 0 offen
	buffer_load_dword v3, v0, s[0:3], 0 offen offset:4
	buffer_load_dword v4, v0, s[0:3], 0 offen offset:8
	buffer_load_dword v5, v0, s[0:3], 0 offen offset:12
	buffer_load_dword v6, v1, s[0:3], 0 offen offset:12
	buffer_load_dword v7, v1, s[0:3], 0 offen offset:8
	buffer_load_dword v8, v1, s[0:3], 0 offen offset:4
	buffer_load_dword v9, v1, s[0:3], 0 offen
	s_waitcnt vmcnt(7)
	buffer_store_dword v2, v1, s[0:3], 0 offen
	s_waitcnt vmcnt(6)
	buffer_store_dword v3, v1, s[0:3], 0 offen offset:4
	s_waitcnt vmcnt(5)
	buffer_store_dword v4, v1, s[0:3], 0 offen offset:8
	;; [unrolled: 2-line block ×6, first 2 shown]
	s_waitcnt vmcnt(0)
	buffer_store_dword v9, v0, s[0:3], 0 offen
.LBB61_424:
	v_mov_b32_e32 v0, 0
	global_load_dword v1, v0, s[20:21] offset:188
	s_waitcnt vmcnt(0)
	v_add_nc_u32_e32 v1, -1, v1
	v_cmp_eq_u32_e32 vcc_lo, 47, v1
	s_cbranch_vccnz .LBB61_426
; %bb.425:
	v_lshlrev_b32_e32 v1, 4, v1
	v_mov_b32_e32 v2, s28
	v_add_nc_u32_e32 v1, 16, v1
	s_clause 0x7
	buffer_load_dword v3, v1, s[0:3], 0 offen
	buffer_load_dword v4, v1, s[0:3], 0 offen offset:4
	buffer_load_dword v5, v1, s[0:3], 0 offen offset:8
	;; [unrolled: 1-line block ×6, first 2 shown]
	buffer_load_dword v10, v2, s[0:3], 0 offen
	s_waitcnt vmcnt(7)
	buffer_store_dword v3, v2, s[0:3], 0 offen
	s_waitcnt vmcnt(6)
	buffer_store_dword v4, v2, s[0:3], 0 offen offset:4
	s_waitcnt vmcnt(5)
	buffer_store_dword v5, v2, s[0:3], 0 offen offset:8
	;; [unrolled: 2-line block ×6, first 2 shown]
	s_waitcnt vmcnt(0)
	buffer_store_dword v10, v1, s[0:3], 0 offen
.LBB61_426:
	global_load_dword v0, v0, s[20:21] offset:184
	s_waitcnt vmcnt(0)
	v_add_nc_u32_e32 v0, -1, v0
	v_cmp_eq_u32_e32 vcc_lo, 46, v0
	s_cbranch_vccnz .LBB61_428
; %bb.427:
	v_lshlrev_b32_e32 v0, 4, v0
	v_mov_b32_e32 v1, s29
	v_add_nc_u32_e32 v0, 16, v0
	s_clause 0x7
	buffer_load_dword v2, v0, s[0:3], 0 offen
	buffer_load_dword v3, v0, s[0:3], 0 offen offset:4
	buffer_load_dword v4, v0, s[0:3], 0 offen offset:8
	;; [unrolled: 1-line block ×6, first 2 shown]
	buffer_load_dword v9, v1, s[0:3], 0 offen
	s_waitcnt vmcnt(7)
	buffer_store_dword v2, v1, s[0:3], 0 offen
	s_waitcnt vmcnt(6)
	buffer_store_dword v3, v1, s[0:3], 0 offen offset:4
	s_waitcnt vmcnt(5)
	buffer_store_dword v4, v1, s[0:3], 0 offen offset:8
	;; [unrolled: 2-line block ×6, first 2 shown]
	s_waitcnt vmcnt(0)
	buffer_store_dword v9, v0, s[0:3], 0 offen
.LBB61_428:
	v_mov_b32_e32 v0, 0
	global_load_dword v1, v0, s[20:21] offset:180
	s_waitcnt vmcnt(0)
	v_add_nc_u32_e32 v1, -1, v1
	v_cmp_eq_u32_e32 vcc_lo, 45, v1
	s_cbranch_vccnz .LBB61_430
; %bb.429:
	v_lshlrev_b32_e32 v1, 4, v1
	v_mov_b32_e32 v2, s30
	v_add_nc_u32_e32 v1, 16, v1
	s_clause 0x7
	buffer_load_dword v3, v1, s[0:3], 0 offen
	buffer_load_dword v4, v1, s[0:3], 0 offen offset:4
	buffer_load_dword v5, v1, s[0:3], 0 offen offset:8
	buffer_load_dword v6, v1, s[0:3], 0 offen offset:12
	buffer_load_dword v7, v2, s[0:3], 0 offen offset:12
	buffer_load_dword v8, v2, s[0:3], 0 offen offset:8
	buffer_load_dword v9, v2, s[0:3], 0 offen offset:4
	buffer_load_dword v10, v2, s[0:3], 0 offen
	s_waitcnt vmcnt(7)
	buffer_store_dword v3, v2, s[0:3], 0 offen
	s_waitcnt vmcnt(6)
	buffer_store_dword v4, v2, s[0:3], 0 offen offset:4
	s_waitcnt vmcnt(5)
	buffer_store_dword v5, v2, s[0:3], 0 offen offset:8
	;; [unrolled: 2-line block ×6, first 2 shown]
	s_waitcnt vmcnt(0)
	buffer_store_dword v10, v1, s[0:3], 0 offen
.LBB61_430:
	global_load_dword v0, v0, s[20:21] offset:176
	s_waitcnt vmcnt(0)
	v_add_nc_u32_e32 v0, -1, v0
	v_cmp_eq_u32_e32 vcc_lo, 44, v0
	s_cbranch_vccnz .LBB61_432
; %bb.431:
	v_lshlrev_b32_e32 v0, 4, v0
	v_mov_b32_e32 v1, s31
	v_add_nc_u32_e32 v0, 16, v0
	s_clause 0x7
	buffer_load_dword v2, v0, s[0:3], 0 offen
	buffer_load_dword v3, v0, s[0:3], 0 offen offset:4
	buffer_load_dword v4, v0, s[0:3], 0 offen offset:8
	;; [unrolled: 1-line block ×6, first 2 shown]
	buffer_load_dword v9, v1, s[0:3], 0 offen
	s_waitcnt vmcnt(7)
	buffer_store_dword v2, v1, s[0:3], 0 offen
	s_waitcnt vmcnt(6)
	buffer_store_dword v3, v1, s[0:3], 0 offen offset:4
	s_waitcnt vmcnt(5)
	buffer_store_dword v4, v1, s[0:3], 0 offen offset:8
	;; [unrolled: 2-line block ×6, first 2 shown]
	s_waitcnt vmcnt(0)
	buffer_store_dword v9, v0, s[0:3], 0 offen
.LBB61_432:
	v_mov_b32_e32 v0, 0
	global_load_dword v1, v0, s[20:21] offset:172
	s_waitcnt vmcnt(0)
	v_add_nc_u32_e32 v1, -1, v1
	v_cmp_eq_u32_e32 vcc_lo, 43, v1
	s_cbranch_vccnz .LBB61_434
; %bb.433:
	v_lshlrev_b32_e32 v1, 4, v1
	v_mov_b32_e32 v2, s33
	v_add_nc_u32_e32 v1, 16, v1
	s_clause 0x7
	buffer_load_dword v3, v1, s[0:3], 0 offen
	buffer_load_dword v4, v1, s[0:3], 0 offen offset:4
	buffer_load_dword v5, v1, s[0:3], 0 offen offset:8
	;; [unrolled: 1-line block ×6, first 2 shown]
	buffer_load_dword v10, v2, s[0:3], 0 offen
	s_waitcnt vmcnt(7)
	buffer_store_dword v3, v2, s[0:3], 0 offen
	s_waitcnt vmcnt(6)
	buffer_store_dword v4, v2, s[0:3], 0 offen offset:4
	s_waitcnt vmcnt(5)
	buffer_store_dword v5, v2, s[0:3], 0 offen offset:8
	;; [unrolled: 2-line block ×6, first 2 shown]
	s_waitcnt vmcnt(0)
	buffer_store_dword v10, v1, s[0:3], 0 offen
.LBB61_434:
	global_load_dword v0, v0, s[20:21] offset:168
	s_waitcnt vmcnt(0)
	v_add_nc_u32_e32 v0, -1, v0
	v_cmp_eq_u32_e32 vcc_lo, 42, v0
	s_cbranch_vccnz .LBB61_436
; %bb.435:
	v_lshlrev_b32_e32 v0, 4, v0
	v_mov_b32_e32 v1, s34
	v_add_nc_u32_e32 v0, 16, v0
	s_clause 0x7
	buffer_load_dword v2, v0, s[0:3], 0 offen
	buffer_load_dword v3, v0, s[0:3], 0 offen offset:4
	buffer_load_dword v4, v0, s[0:3], 0 offen offset:8
	;; [unrolled: 1-line block ×6, first 2 shown]
	buffer_load_dword v9, v1, s[0:3], 0 offen
	s_waitcnt vmcnt(7)
	buffer_store_dword v2, v1, s[0:3], 0 offen
	s_waitcnt vmcnt(6)
	buffer_store_dword v3, v1, s[0:3], 0 offen offset:4
	s_waitcnt vmcnt(5)
	buffer_store_dword v4, v1, s[0:3], 0 offen offset:8
	;; [unrolled: 2-line block ×6, first 2 shown]
	s_waitcnt vmcnt(0)
	buffer_store_dword v9, v0, s[0:3], 0 offen
.LBB61_436:
	v_mov_b32_e32 v0, 0
	global_load_dword v1, v0, s[20:21] offset:164
	s_waitcnt vmcnt(0)
	v_add_nc_u32_e32 v1, -1, v1
	v_cmp_eq_u32_e32 vcc_lo, 41, v1
	s_cbranch_vccnz .LBB61_438
; %bb.437:
	v_lshlrev_b32_e32 v1, 4, v1
	v_mov_b32_e32 v2, s35
	v_add_nc_u32_e32 v1, 16, v1
	s_clause 0x7
	buffer_load_dword v3, v1, s[0:3], 0 offen
	buffer_load_dword v4, v1, s[0:3], 0 offen offset:4
	buffer_load_dword v5, v1, s[0:3], 0 offen offset:8
	;; [unrolled: 1-line block ×6, first 2 shown]
	buffer_load_dword v10, v2, s[0:3], 0 offen
	s_waitcnt vmcnt(7)
	buffer_store_dword v3, v2, s[0:3], 0 offen
	s_waitcnt vmcnt(6)
	buffer_store_dword v4, v2, s[0:3], 0 offen offset:4
	s_waitcnt vmcnt(5)
	buffer_store_dword v5, v2, s[0:3], 0 offen offset:8
	s_waitcnt vmcnt(4)
	buffer_store_dword v6, v2, s[0:3], 0 offen offset:12
	s_waitcnt vmcnt(3)
	buffer_store_dword v7, v1, s[0:3], 0 offen offset:12
	s_waitcnt vmcnt(2)
	buffer_store_dword v8, v1, s[0:3], 0 offen offset:8
	s_waitcnt vmcnt(1)
	buffer_store_dword v9, v1, s[0:3], 0 offen offset:4
	s_waitcnt vmcnt(0)
	buffer_store_dword v10, v1, s[0:3], 0 offen
.LBB61_438:
	global_load_dword v0, v0, s[20:21] offset:160
	s_waitcnt vmcnt(0)
	v_add_nc_u32_e32 v0, -1, v0
	v_cmp_eq_u32_e32 vcc_lo, 40, v0
	s_cbranch_vccnz .LBB61_440
; %bb.439:
	v_lshlrev_b32_e32 v0, 4, v0
	v_mov_b32_e32 v1, s36
	v_add_nc_u32_e32 v0, 16, v0
	s_clause 0x7
	buffer_load_dword v2, v0, s[0:3], 0 offen
	buffer_load_dword v3, v0, s[0:3], 0 offen offset:4
	buffer_load_dword v4, v0, s[0:3], 0 offen offset:8
	;; [unrolled: 1-line block ×6, first 2 shown]
	buffer_load_dword v9, v1, s[0:3], 0 offen
	s_waitcnt vmcnt(7)
	buffer_store_dword v2, v1, s[0:3], 0 offen
	s_waitcnt vmcnt(6)
	buffer_store_dword v3, v1, s[0:3], 0 offen offset:4
	s_waitcnt vmcnt(5)
	buffer_store_dword v4, v1, s[0:3], 0 offen offset:8
	;; [unrolled: 2-line block ×6, first 2 shown]
	s_waitcnt vmcnt(0)
	buffer_store_dword v9, v0, s[0:3], 0 offen
.LBB61_440:
	v_mov_b32_e32 v0, 0
	global_load_dword v1, v0, s[20:21] offset:156
	s_waitcnt vmcnt(0)
	v_add_nc_u32_e32 v1, -1, v1
	v_cmp_eq_u32_e32 vcc_lo, 39, v1
	s_cbranch_vccnz .LBB61_442
; %bb.441:
	v_lshlrev_b32_e32 v1, 4, v1
	v_mov_b32_e32 v2, s37
	v_add_nc_u32_e32 v1, 16, v1
	s_clause 0x7
	buffer_load_dword v3, v1, s[0:3], 0 offen
	buffer_load_dword v4, v1, s[0:3], 0 offen offset:4
	buffer_load_dword v5, v1, s[0:3], 0 offen offset:8
	;; [unrolled: 1-line block ×6, first 2 shown]
	buffer_load_dword v10, v2, s[0:3], 0 offen
	s_waitcnt vmcnt(7)
	buffer_store_dword v3, v2, s[0:3], 0 offen
	s_waitcnt vmcnt(6)
	buffer_store_dword v4, v2, s[0:3], 0 offen offset:4
	s_waitcnt vmcnt(5)
	buffer_store_dword v5, v2, s[0:3], 0 offen offset:8
	;; [unrolled: 2-line block ×6, first 2 shown]
	s_waitcnt vmcnt(0)
	buffer_store_dword v10, v1, s[0:3], 0 offen
.LBB61_442:
	global_load_dword v0, v0, s[20:21] offset:152
	s_waitcnt vmcnt(0)
	v_add_nc_u32_e32 v0, -1, v0
	v_cmp_eq_u32_e32 vcc_lo, 38, v0
	s_cbranch_vccnz .LBB61_444
; %bb.443:
	v_lshlrev_b32_e32 v0, 4, v0
	v_mov_b32_e32 v1, s38
	v_add_nc_u32_e32 v0, 16, v0
	s_clause 0x7
	buffer_load_dword v2, v0, s[0:3], 0 offen
	buffer_load_dword v3, v0, s[0:3], 0 offen offset:4
	buffer_load_dword v4, v0, s[0:3], 0 offen offset:8
	;; [unrolled: 1-line block ×6, first 2 shown]
	buffer_load_dword v9, v1, s[0:3], 0 offen
	s_waitcnt vmcnt(7)
	buffer_store_dword v2, v1, s[0:3], 0 offen
	s_waitcnt vmcnt(6)
	buffer_store_dword v3, v1, s[0:3], 0 offen offset:4
	s_waitcnt vmcnt(5)
	buffer_store_dword v4, v1, s[0:3], 0 offen offset:8
	;; [unrolled: 2-line block ×6, first 2 shown]
	s_waitcnt vmcnt(0)
	buffer_store_dword v9, v0, s[0:3], 0 offen
.LBB61_444:
	v_mov_b32_e32 v0, 0
	global_load_dword v1, v0, s[20:21] offset:148
	s_waitcnt vmcnt(0)
	v_add_nc_u32_e32 v1, -1, v1
	v_cmp_eq_u32_e32 vcc_lo, 37, v1
	s_cbranch_vccnz .LBB61_446
; %bb.445:
	v_lshlrev_b32_e32 v1, 4, v1
	v_mov_b32_e32 v2, s39
	v_add_nc_u32_e32 v1, 16, v1
	s_clause 0x7
	buffer_load_dword v3, v1, s[0:3], 0 offen
	buffer_load_dword v4, v1, s[0:3], 0 offen offset:4
	buffer_load_dword v5, v1, s[0:3], 0 offen offset:8
	;; [unrolled: 1-line block ×6, first 2 shown]
	buffer_load_dword v10, v2, s[0:3], 0 offen
	s_waitcnt vmcnt(7)
	buffer_store_dword v3, v2, s[0:3], 0 offen
	s_waitcnt vmcnt(6)
	buffer_store_dword v4, v2, s[0:3], 0 offen offset:4
	s_waitcnt vmcnt(5)
	buffer_store_dword v5, v2, s[0:3], 0 offen offset:8
	;; [unrolled: 2-line block ×6, first 2 shown]
	s_waitcnt vmcnt(0)
	buffer_store_dword v10, v1, s[0:3], 0 offen
.LBB61_446:
	global_load_dword v0, v0, s[20:21] offset:144
	s_waitcnt vmcnt(0)
	v_add_nc_u32_e32 v0, -1, v0
	v_cmp_eq_u32_e32 vcc_lo, 36, v0
	s_cbranch_vccnz .LBB61_448
; %bb.447:
	v_lshlrev_b32_e32 v0, 4, v0
	v_mov_b32_e32 v1, s40
	v_add_nc_u32_e32 v0, 16, v0
	s_clause 0x7
	buffer_load_dword v2, v0, s[0:3], 0 offen
	buffer_load_dword v3, v0, s[0:3], 0 offen offset:4
	buffer_load_dword v4, v0, s[0:3], 0 offen offset:8
	;; [unrolled: 1-line block ×6, first 2 shown]
	buffer_load_dword v9, v1, s[0:3], 0 offen
	s_waitcnt vmcnt(7)
	buffer_store_dword v2, v1, s[0:3], 0 offen
	s_waitcnt vmcnt(6)
	buffer_store_dword v3, v1, s[0:3], 0 offen offset:4
	s_waitcnt vmcnt(5)
	buffer_store_dword v4, v1, s[0:3], 0 offen offset:8
	s_waitcnt vmcnt(4)
	buffer_store_dword v5, v1, s[0:3], 0 offen offset:12
	s_waitcnt vmcnt(3)
	buffer_store_dword v6, v0, s[0:3], 0 offen offset:12
	s_waitcnt vmcnt(2)
	buffer_store_dword v7, v0, s[0:3], 0 offen offset:8
	s_waitcnt vmcnt(1)
	buffer_store_dword v8, v0, s[0:3], 0 offen offset:4
	s_waitcnt vmcnt(0)
	buffer_store_dword v9, v0, s[0:3], 0 offen
.LBB61_448:
	v_mov_b32_e32 v0, 0
	global_load_dword v1, v0, s[20:21] offset:140
	s_waitcnt vmcnt(0)
	v_add_nc_u32_e32 v1, -1, v1
	v_cmp_eq_u32_e32 vcc_lo, 35, v1
	s_cbranch_vccnz .LBB61_450
; %bb.449:
	v_lshlrev_b32_e32 v1, 4, v1
	v_mov_b32_e32 v2, s41
	v_add_nc_u32_e32 v1, 16, v1
	s_clause 0x7
	buffer_load_dword v3, v1, s[0:3], 0 offen
	buffer_load_dword v4, v1, s[0:3], 0 offen offset:4
	buffer_load_dword v5, v1, s[0:3], 0 offen offset:8
	;; [unrolled: 1-line block ×6, first 2 shown]
	buffer_load_dword v10, v2, s[0:3], 0 offen
	s_waitcnt vmcnt(7)
	buffer_store_dword v3, v2, s[0:3], 0 offen
	s_waitcnt vmcnt(6)
	buffer_store_dword v4, v2, s[0:3], 0 offen offset:4
	s_waitcnt vmcnt(5)
	buffer_store_dword v5, v2, s[0:3], 0 offen offset:8
	;; [unrolled: 2-line block ×6, first 2 shown]
	s_waitcnt vmcnt(0)
	buffer_store_dword v10, v1, s[0:3], 0 offen
.LBB61_450:
	global_load_dword v0, v0, s[20:21] offset:136
	s_waitcnt vmcnt(0)
	v_add_nc_u32_e32 v0, -1, v0
	v_cmp_eq_u32_e32 vcc_lo, 34, v0
	s_cbranch_vccnz .LBB61_452
; %bb.451:
	v_lshlrev_b32_e32 v0, 4, v0
	v_mov_b32_e32 v1, s42
	v_add_nc_u32_e32 v0, 16, v0
	s_clause 0x7
	buffer_load_dword v2, v0, s[0:3], 0 offen
	buffer_load_dword v3, v0, s[0:3], 0 offen offset:4
	buffer_load_dword v4, v0, s[0:3], 0 offen offset:8
	;; [unrolled: 1-line block ×6, first 2 shown]
	buffer_load_dword v9, v1, s[0:3], 0 offen
	s_waitcnt vmcnt(7)
	buffer_store_dword v2, v1, s[0:3], 0 offen
	s_waitcnt vmcnt(6)
	buffer_store_dword v3, v1, s[0:3], 0 offen offset:4
	s_waitcnt vmcnt(5)
	buffer_store_dword v4, v1, s[0:3], 0 offen offset:8
	;; [unrolled: 2-line block ×6, first 2 shown]
	s_waitcnt vmcnt(0)
	buffer_store_dword v9, v0, s[0:3], 0 offen
.LBB61_452:
	v_mov_b32_e32 v0, 0
	global_load_dword v1, v0, s[20:21] offset:132
	s_waitcnt vmcnt(0)
	v_add_nc_u32_e32 v1, -1, v1
	v_cmp_eq_u32_e32 vcc_lo, 33, v1
	s_cbranch_vccnz .LBB61_454
; %bb.453:
	v_lshlrev_b32_e32 v1, 4, v1
	v_mov_b32_e32 v2, s43
	v_add_nc_u32_e32 v1, 16, v1
	s_clause 0x7
	buffer_load_dword v3, v1, s[0:3], 0 offen
	buffer_load_dword v4, v1, s[0:3], 0 offen offset:4
	buffer_load_dword v5, v1, s[0:3], 0 offen offset:8
	;; [unrolled: 1-line block ×6, first 2 shown]
	buffer_load_dword v10, v2, s[0:3], 0 offen
	s_waitcnt vmcnt(7)
	buffer_store_dword v3, v2, s[0:3], 0 offen
	s_waitcnt vmcnt(6)
	buffer_store_dword v4, v2, s[0:3], 0 offen offset:4
	s_waitcnt vmcnt(5)
	buffer_store_dword v5, v2, s[0:3], 0 offen offset:8
	;; [unrolled: 2-line block ×6, first 2 shown]
	s_waitcnt vmcnt(0)
	buffer_store_dword v10, v1, s[0:3], 0 offen
.LBB61_454:
	global_load_dword v0, v0, s[20:21] offset:128
	s_waitcnt vmcnt(0)
	v_add_nc_u32_e32 v0, -1, v0
	v_cmp_eq_u32_e32 vcc_lo, 32, v0
	s_cbranch_vccnz .LBB61_456
; %bb.455:
	v_lshlrev_b32_e32 v0, 4, v0
	v_mov_b32_e32 v1, s44
	v_add_nc_u32_e32 v0, 16, v0
	s_clause 0x7
	buffer_load_dword v2, v0, s[0:3], 0 offen
	buffer_load_dword v3, v0, s[0:3], 0 offen offset:4
	buffer_load_dword v4, v0, s[0:3], 0 offen offset:8
	;; [unrolled: 1-line block ×6, first 2 shown]
	buffer_load_dword v9, v1, s[0:3], 0 offen
	s_waitcnt vmcnt(7)
	buffer_store_dword v2, v1, s[0:3], 0 offen
	s_waitcnt vmcnt(6)
	buffer_store_dword v3, v1, s[0:3], 0 offen offset:4
	s_waitcnt vmcnt(5)
	buffer_store_dword v4, v1, s[0:3], 0 offen offset:8
	s_waitcnt vmcnt(4)
	buffer_store_dword v5, v1, s[0:3], 0 offen offset:12
	s_waitcnt vmcnt(3)
	buffer_store_dword v6, v0, s[0:3], 0 offen offset:12
	s_waitcnt vmcnt(2)
	buffer_store_dword v7, v0, s[0:3], 0 offen offset:8
	s_waitcnt vmcnt(1)
	buffer_store_dword v8, v0, s[0:3], 0 offen offset:4
	s_waitcnt vmcnt(0)
	buffer_store_dword v9, v0, s[0:3], 0 offen
.LBB61_456:
	v_mov_b32_e32 v0, 0
	global_load_dword v1, v0, s[20:21] offset:124
	s_waitcnt vmcnt(0)
	v_add_nc_u32_e32 v1, -1, v1
	v_cmp_eq_u32_e32 vcc_lo, 31, v1
	s_cbranch_vccnz .LBB61_458
; %bb.457:
	v_lshlrev_b32_e32 v1, 4, v1
	v_mov_b32_e32 v2, s45
	v_add_nc_u32_e32 v1, 16, v1
	s_clause 0x7
	buffer_load_dword v3, v1, s[0:3], 0 offen
	buffer_load_dword v4, v1, s[0:3], 0 offen offset:4
	buffer_load_dword v5, v1, s[0:3], 0 offen offset:8
	;; [unrolled: 1-line block ×6, first 2 shown]
	buffer_load_dword v10, v2, s[0:3], 0 offen
	s_waitcnt vmcnt(7)
	buffer_store_dword v3, v2, s[0:3], 0 offen
	s_waitcnt vmcnt(6)
	buffer_store_dword v4, v2, s[0:3], 0 offen offset:4
	s_waitcnt vmcnt(5)
	buffer_store_dword v5, v2, s[0:3], 0 offen offset:8
	;; [unrolled: 2-line block ×6, first 2 shown]
	s_waitcnt vmcnt(0)
	buffer_store_dword v10, v1, s[0:3], 0 offen
.LBB61_458:
	global_load_dword v0, v0, s[20:21] offset:120
	s_waitcnt vmcnt(0)
	v_add_nc_u32_e32 v0, -1, v0
	v_cmp_eq_u32_e32 vcc_lo, 30, v0
	s_cbranch_vccnz .LBB61_460
; %bb.459:
	v_lshlrev_b32_e32 v0, 4, v0
	v_mov_b32_e32 v1, s46
	v_add_nc_u32_e32 v0, 16, v0
	s_clause 0x7
	buffer_load_dword v2, v0, s[0:3], 0 offen
	buffer_load_dword v3, v0, s[0:3], 0 offen offset:4
	buffer_load_dword v4, v0, s[0:3], 0 offen offset:8
	;; [unrolled: 1-line block ×6, first 2 shown]
	buffer_load_dword v9, v1, s[0:3], 0 offen
	s_waitcnt vmcnt(7)
	buffer_store_dword v2, v1, s[0:3], 0 offen
	s_waitcnt vmcnt(6)
	buffer_store_dword v3, v1, s[0:3], 0 offen offset:4
	s_waitcnt vmcnt(5)
	buffer_store_dword v4, v1, s[0:3], 0 offen offset:8
	;; [unrolled: 2-line block ×6, first 2 shown]
	s_waitcnt vmcnt(0)
	buffer_store_dword v9, v0, s[0:3], 0 offen
.LBB61_460:
	v_mov_b32_e32 v0, 0
	global_load_dword v1, v0, s[20:21] offset:116
	s_waitcnt vmcnt(0)
	v_add_nc_u32_e32 v1, -1, v1
	v_cmp_eq_u32_e32 vcc_lo, 29, v1
	s_cbranch_vccnz .LBB61_462
; %bb.461:
	v_lshlrev_b32_e32 v1, 4, v1
	v_mov_b32_e32 v2, s47
	v_add_nc_u32_e32 v1, 16, v1
	s_clause 0x7
	buffer_load_dword v3, v1, s[0:3], 0 offen
	buffer_load_dword v4, v1, s[0:3], 0 offen offset:4
	buffer_load_dword v5, v1, s[0:3], 0 offen offset:8
	;; [unrolled: 1-line block ×6, first 2 shown]
	buffer_load_dword v10, v2, s[0:3], 0 offen
	s_waitcnt vmcnt(7)
	buffer_store_dword v3, v2, s[0:3], 0 offen
	s_waitcnt vmcnt(6)
	buffer_store_dword v4, v2, s[0:3], 0 offen offset:4
	s_waitcnt vmcnt(5)
	buffer_store_dword v5, v2, s[0:3], 0 offen offset:8
	;; [unrolled: 2-line block ×6, first 2 shown]
	s_waitcnt vmcnt(0)
	buffer_store_dword v10, v1, s[0:3], 0 offen
.LBB61_462:
	global_load_dword v0, v0, s[20:21] offset:112
	s_waitcnt vmcnt(0)
	v_add_nc_u32_e32 v0, -1, v0
	v_cmp_eq_u32_e32 vcc_lo, 28, v0
	s_cbranch_vccnz .LBB61_464
; %bb.463:
	v_lshlrev_b32_e32 v0, 4, v0
	v_mov_b32_e32 v1, s48
	v_add_nc_u32_e32 v0, 16, v0
	s_clause 0x7
	buffer_load_dword v2, v0, s[0:3], 0 offen
	buffer_load_dword v3, v0, s[0:3], 0 offen offset:4
	buffer_load_dword v4, v0, s[0:3], 0 offen offset:8
	;; [unrolled: 1-line block ×6, first 2 shown]
	buffer_load_dword v9, v1, s[0:3], 0 offen
	s_waitcnt vmcnt(7)
	buffer_store_dword v2, v1, s[0:3], 0 offen
	s_waitcnt vmcnt(6)
	buffer_store_dword v3, v1, s[0:3], 0 offen offset:4
	s_waitcnt vmcnt(5)
	buffer_store_dword v4, v1, s[0:3], 0 offen offset:8
	;; [unrolled: 2-line block ×6, first 2 shown]
	s_waitcnt vmcnt(0)
	buffer_store_dword v9, v0, s[0:3], 0 offen
.LBB61_464:
	v_mov_b32_e32 v0, 0
	global_load_dword v1, v0, s[20:21] offset:108
	s_waitcnt vmcnt(0)
	v_add_nc_u32_e32 v1, -1, v1
	v_cmp_eq_u32_e32 vcc_lo, 27, v1
	s_cbranch_vccnz .LBB61_466
; %bb.465:
	v_lshlrev_b32_e32 v1, 4, v1
	v_mov_b32_e32 v2, s49
	v_add_nc_u32_e32 v1, 16, v1
	s_clause 0x7
	buffer_load_dword v3, v1, s[0:3], 0 offen
	buffer_load_dword v4, v1, s[0:3], 0 offen offset:4
	buffer_load_dword v5, v1, s[0:3], 0 offen offset:8
	;; [unrolled: 1-line block ×6, first 2 shown]
	buffer_load_dword v10, v2, s[0:3], 0 offen
	s_waitcnt vmcnt(7)
	buffer_store_dword v3, v2, s[0:3], 0 offen
	s_waitcnt vmcnt(6)
	buffer_store_dword v4, v2, s[0:3], 0 offen offset:4
	s_waitcnt vmcnt(5)
	buffer_store_dword v5, v2, s[0:3], 0 offen offset:8
	;; [unrolled: 2-line block ×6, first 2 shown]
	s_waitcnt vmcnt(0)
	buffer_store_dword v10, v1, s[0:3], 0 offen
.LBB61_466:
	global_load_dword v0, v0, s[20:21] offset:104
	s_waitcnt vmcnt(0)
	v_add_nc_u32_e32 v0, -1, v0
	v_cmp_eq_u32_e32 vcc_lo, 26, v0
	s_cbranch_vccnz .LBB61_468
; %bb.467:
	v_lshlrev_b32_e32 v0, 4, v0
	v_mov_b32_e32 v1, s50
	v_add_nc_u32_e32 v0, 16, v0
	s_clause 0x7
	buffer_load_dword v2, v0, s[0:3], 0 offen
	buffer_load_dword v3, v0, s[0:3], 0 offen offset:4
	buffer_load_dword v4, v0, s[0:3], 0 offen offset:8
	;; [unrolled: 1-line block ×6, first 2 shown]
	buffer_load_dword v9, v1, s[0:3], 0 offen
	s_waitcnt vmcnt(7)
	buffer_store_dword v2, v1, s[0:3], 0 offen
	s_waitcnt vmcnt(6)
	buffer_store_dword v3, v1, s[0:3], 0 offen offset:4
	s_waitcnt vmcnt(5)
	buffer_store_dword v4, v1, s[0:3], 0 offen offset:8
	;; [unrolled: 2-line block ×6, first 2 shown]
	s_waitcnt vmcnt(0)
	buffer_store_dword v9, v0, s[0:3], 0 offen
.LBB61_468:
	v_mov_b32_e32 v0, 0
	global_load_dword v1, v0, s[20:21] offset:100
	s_waitcnt vmcnt(0)
	v_add_nc_u32_e32 v1, -1, v1
	v_cmp_eq_u32_e32 vcc_lo, 25, v1
	s_cbranch_vccnz .LBB61_470
; %bb.469:
	v_lshlrev_b32_e32 v1, 4, v1
	v_mov_b32_e32 v2, s51
	v_add_nc_u32_e32 v1, 16, v1
	s_clause 0x7
	buffer_load_dword v3, v1, s[0:3], 0 offen
	buffer_load_dword v4, v1, s[0:3], 0 offen offset:4
	buffer_load_dword v5, v1, s[0:3], 0 offen offset:8
	;; [unrolled: 1-line block ×6, first 2 shown]
	buffer_load_dword v10, v2, s[0:3], 0 offen
	s_waitcnt vmcnt(7)
	buffer_store_dword v3, v2, s[0:3], 0 offen
	s_waitcnt vmcnt(6)
	buffer_store_dword v4, v2, s[0:3], 0 offen offset:4
	s_waitcnt vmcnt(5)
	buffer_store_dword v5, v2, s[0:3], 0 offen offset:8
	;; [unrolled: 2-line block ×6, first 2 shown]
	s_waitcnt vmcnt(0)
	buffer_store_dword v10, v1, s[0:3], 0 offen
.LBB61_470:
	global_load_dword v0, v0, s[20:21] offset:96
	s_waitcnt vmcnt(0)
	v_add_nc_u32_e32 v0, -1, v0
	v_cmp_eq_u32_e32 vcc_lo, 24, v0
	s_cbranch_vccnz .LBB61_472
; %bb.471:
	v_lshlrev_b32_e32 v0, 4, v0
	v_mov_b32_e32 v1, s52
	v_add_nc_u32_e32 v0, 16, v0
	s_clause 0x7
	buffer_load_dword v2, v0, s[0:3], 0 offen
	buffer_load_dword v3, v0, s[0:3], 0 offen offset:4
	buffer_load_dword v4, v0, s[0:3], 0 offen offset:8
	;; [unrolled: 1-line block ×6, first 2 shown]
	buffer_load_dword v9, v1, s[0:3], 0 offen
	s_waitcnt vmcnt(7)
	buffer_store_dword v2, v1, s[0:3], 0 offen
	s_waitcnt vmcnt(6)
	buffer_store_dword v3, v1, s[0:3], 0 offen offset:4
	s_waitcnt vmcnt(5)
	buffer_store_dword v4, v1, s[0:3], 0 offen offset:8
	;; [unrolled: 2-line block ×6, first 2 shown]
	s_waitcnt vmcnt(0)
	buffer_store_dword v9, v0, s[0:3], 0 offen
.LBB61_472:
	v_mov_b32_e32 v0, 0
	global_load_dword v1, v0, s[20:21] offset:92
	s_waitcnt vmcnt(0)
	v_add_nc_u32_e32 v1, -1, v1
	v_cmp_eq_u32_e32 vcc_lo, 23, v1
	s_cbranch_vccnz .LBB61_474
; %bb.473:
	v_lshlrev_b32_e32 v1, 4, v1
	v_mov_b32_e32 v2, s53
	v_add_nc_u32_e32 v1, 16, v1
	s_clause 0x7
	buffer_load_dword v3, v1, s[0:3], 0 offen
	buffer_load_dword v4, v1, s[0:3], 0 offen offset:4
	buffer_load_dword v5, v1, s[0:3], 0 offen offset:8
	;; [unrolled: 1-line block ×6, first 2 shown]
	buffer_load_dword v10, v2, s[0:3], 0 offen
	s_waitcnt vmcnt(7)
	buffer_store_dword v3, v2, s[0:3], 0 offen
	s_waitcnt vmcnt(6)
	buffer_store_dword v4, v2, s[0:3], 0 offen offset:4
	s_waitcnt vmcnt(5)
	buffer_store_dword v5, v2, s[0:3], 0 offen offset:8
	;; [unrolled: 2-line block ×6, first 2 shown]
	s_waitcnt vmcnt(0)
	buffer_store_dword v10, v1, s[0:3], 0 offen
.LBB61_474:
	global_load_dword v0, v0, s[20:21] offset:88
	s_waitcnt vmcnt(0)
	v_add_nc_u32_e32 v0, -1, v0
	v_cmp_eq_u32_e32 vcc_lo, 22, v0
	s_cbranch_vccnz .LBB61_476
; %bb.475:
	v_lshlrev_b32_e32 v0, 4, v0
	v_mov_b32_e32 v1, s54
	v_add_nc_u32_e32 v0, 16, v0
	s_clause 0x7
	buffer_load_dword v2, v0, s[0:3], 0 offen
	buffer_load_dword v3, v0, s[0:3], 0 offen offset:4
	buffer_load_dword v4, v0, s[0:3], 0 offen offset:8
	;; [unrolled: 1-line block ×6, first 2 shown]
	buffer_load_dword v9, v1, s[0:3], 0 offen
	s_waitcnt vmcnt(7)
	buffer_store_dword v2, v1, s[0:3], 0 offen
	s_waitcnt vmcnt(6)
	buffer_store_dword v3, v1, s[0:3], 0 offen offset:4
	s_waitcnt vmcnt(5)
	buffer_store_dword v4, v1, s[0:3], 0 offen offset:8
	;; [unrolled: 2-line block ×6, first 2 shown]
	s_waitcnt vmcnt(0)
	buffer_store_dword v9, v0, s[0:3], 0 offen
.LBB61_476:
	v_mov_b32_e32 v0, 0
	global_load_dword v1, v0, s[20:21] offset:84
	s_waitcnt vmcnt(0)
	v_add_nc_u32_e32 v1, -1, v1
	v_cmp_eq_u32_e32 vcc_lo, 21, v1
	s_cbranch_vccnz .LBB61_478
; %bb.477:
	v_lshlrev_b32_e32 v1, 4, v1
	v_mov_b32_e32 v2, s55
	v_add_nc_u32_e32 v1, 16, v1
	s_clause 0x7
	buffer_load_dword v3, v1, s[0:3], 0 offen
	buffer_load_dword v4, v1, s[0:3], 0 offen offset:4
	buffer_load_dword v5, v1, s[0:3], 0 offen offset:8
	;; [unrolled: 1-line block ×6, first 2 shown]
	buffer_load_dword v10, v2, s[0:3], 0 offen
	s_waitcnt vmcnt(7)
	buffer_store_dword v3, v2, s[0:3], 0 offen
	s_waitcnt vmcnt(6)
	buffer_store_dword v4, v2, s[0:3], 0 offen offset:4
	s_waitcnt vmcnt(5)
	buffer_store_dword v5, v2, s[0:3], 0 offen offset:8
	s_waitcnt vmcnt(4)
	buffer_store_dword v6, v2, s[0:3], 0 offen offset:12
	s_waitcnt vmcnt(3)
	buffer_store_dword v7, v1, s[0:3], 0 offen offset:12
	s_waitcnt vmcnt(2)
	buffer_store_dword v8, v1, s[0:3], 0 offen offset:8
	s_waitcnt vmcnt(1)
	buffer_store_dword v9, v1, s[0:3], 0 offen offset:4
	s_waitcnt vmcnt(0)
	buffer_store_dword v10, v1, s[0:3], 0 offen
.LBB61_478:
	global_load_dword v0, v0, s[20:21] offset:80
	s_waitcnt vmcnt(0)
	v_add_nc_u32_e32 v0, -1, v0
	v_cmp_eq_u32_e32 vcc_lo, 20, v0
	s_cbranch_vccnz .LBB61_480
; %bb.479:
	v_lshlrev_b32_e32 v0, 4, v0
	v_mov_b32_e32 v1, s56
	v_add_nc_u32_e32 v0, 16, v0
	s_clause 0x7
	buffer_load_dword v2, v0, s[0:3], 0 offen
	buffer_load_dword v3, v0, s[0:3], 0 offen offset:4
	buffer_load_dword v4, v0, s[0:3], 0 offen offset:8
	;; [unrolled: 1-line block ×6, first 2 shown]
	buffer_load_dword v9, v1, s[0:3], 0 offen
	s_waitcnt vmcnt(7)
	buffer_store_dword v2, v1, s[0:3], 0 offen
	s_waitcnt vmcnt(6)
	buffer_store_dword v3, v1, s[0:3], 0 offen offset:4
	s_waitcnt vmcnt(5)
	buffer_store_dword v4, v1, s[0:3], 0 offen offset:8
	;; [unrolled: 2-line block ×6, first 2 shown]
	s_waitcnt vmcnt(0)
	buffer_store_dword v9, v0, s[0:3], 0 offen
.LBB61_480:
	v_mov_b32_e32 v0, 0
	global_load_dword v1, v0, s[20:21] offset:76
	s_waitcnt vmcnt(0)
	v_add_nc_u32_e32 v1, -1, v1
	v_cmp_eq_u32_e32 vcc_lo, 19, v1
	s_cbranch_vccnz .LBB61_482
; %bb.481:
	v_lshlrev_b32_e32 v1, 4, v1
	v_mov_b32_e32 v2, s57
	v_add_nc_u32_e32 v1, 16, v1
	s_clause 0x7
	buffer_load_dword v3, v1, s[0:3], 0 offen
	buffer_load_dword v4, v1, s[0:3], 0 offen offset:4
	buffer_load_dword v5, v1, s[0:3], 0 offen offset:8
	;; [unrolled: 1-line block ×6, first 2 shown]
	buffer_load_dword v10, v2, s[0:3], 0 offen
	s_waitcnt vmcnt(7)
	buffer_store_dword v3, v2, s[0:3], 0 offen
	s_waitcnt vmcnt(6)
	buffer_store_dword v4, v2, s[0:3], 0 offen offset:4
	s_waitcnt vmcnt(5)
	buffer_store_dword v5, v2, s[0:3], 0 offen offset:8
	;; [unrolled: 2-line block ×6, first 2 shown]
	s_waitcnt vmcnt(0)
	buffer_store_dword v10, v1, s[0:3], 0 offen
.LBB61_482:
	global_load_dword v0, v0, s[20:21] offset:72
	s_waitcnt vmcnt(0)
	v_add_nc_u32_e32 v0, -1, v0
	v_cmp_eq_u32_e32 vcc_lo, 18, v0
	s_cbranch_vccnz .LBB61_484
; %bb.483:
	v_lshlrev_b32_e32 v0, 4, v0
	v_mov_b32_e32 v1, s58
	v_add_nc_u32_e32 v0, 16, v0
	s_clause 0x7
	buffer_load_dword v2, v0, s[0:3], 0 offen
	buffer_load_dword v3, v0, s[0:3], 0 offen offset:4
	buffer_load_dword v4, v0, s[0:3], 0 offen offset:8
	;; [unrolled: 1-line block ×6, first 2 shown]
	buffer_load_dword v9, v1, s[0:3], 0 offen
	s_waitcnt vmcnt(7)
	buffer_store_dword v2, v1, s[0:3], 0 offen
	s_waitcnt vmcnt(6)
	buffer_store_dword v3, v1, s[0:3], 0 offen offset:4
	s_waitcnt vmcnt(5)
	buffer_store_dword v4, v1, s[0:3], 0 offen offset:8
	;; [unrolled: 2-line block ×6, first 2 shown]
	s_waitcnt vmcnt(0)
	buffer_store_dword v9, v0, s[0:3], 0 offen
.LBB61_484:
	v_mov_b32_e32 v0, 0
	global_load_dword v1, v0, s[20:21] offset:68
	s_waitcnt vmcnt(0)
	v_add_nc_u32_e32 v1, -1, v1
	v_cmp_eq_u32_e32 vcc_lo, 17, v1
	s_cbranch_vccnz .LBB61_486
; %bb.485:
	v_lshlrev_b32_e32 v1, 4, v1
	v_mov_b32_e32 v2, s60
	v_add_nc_u32_e32 v1, 16, v1
	s_clause 0x7
	buffer_load_dword v3, v1, s[0:3], 0 offen
	buffer_load_dword v4, v1, s[0:3], 0 offen offset:4
	buffer_load_dword v5, v1, s[0:3], 0 offen offset:8
	;; [unrolled: 1-line block ×6, first 2 shown]
	buffer_load_dword v10, v2, s[0:3], 0 offen
	s_waitcnt vmcnt(7)
	buffer_store_dword v3, v2, s[0:3], 0 offen
	s_waitcnt vmcnt(6)
	buffer_store_dword v4, v2, s[0:3], 0 offen offset:4
	s_waitcnt vmcnt(5)
	buffer_store_dword v5, v2, s[0:3], 0 offen offset:8
	;; [unrolled: 2-line block ×6, first 2 shown]
	s_waitcnt vmcnt(0)
	buffer_store_dword v10, v1, s[0:3], 0 offen
.LBB61_486:
	global_load_dword v0, v0, s[20:21] offset:64
	s_waitcnt vmcnt(0)
	v_add_nc_u32_e32 v0, -1, v0
	v_cmp_eq_u32_e32 vcc_lo, 16, v0
	s_cbranch_vccnz .LBB61_488
; %bb.487:
	v_lshlrev_b32_e32 v0, 4, v0
	v_mov_b32_e32 v1, s61
	v_add_nc_u32_e32 v0, 16, v0
	s_clause 0x7
	buffer_load_dword v2, v0, s[0:3], 0 offen
	buffer_load_dword v3, v0, s[0:3], 0 offen offset:4
	buffer_load_dword v4, v0, s[0:3], 0 offen offset:8
	;; [unrolled: 1-line block ×6, first 2 shown]
	buffer_load_dword v9, v1, s[0:3], 0 offen
	s_waitcnt vmcnt(7)
	buffer_store_dword v2, v1, s[0:3], 0 offen
	s_waitcnt vmcnt(6)
	buffer_store_dword v3, v1, s[0:3], 0 offen offset:4
	s_waitcnt vmcnt(5)
	buffer_store_dword v4, v1, s[0:3], 0 offen offset:8
	;; [unrolled: 2-line block ×6, first 2 shown]
	s_waitcnt vmcnt(0)
	buffer_store_dword v9, v0, s[0:3], 0 offen
.LBB61_488:
	v_mov_b32_e32 v0, 0
	global_load_dword v1, v0, s[20:21] offset:60
	s_waitcnt vmcnt(0)
	v_add_nc_u32_e32 v1, -1, v1
	v_cmp_eq_u32_e32 vcc_lo, 15, v1
	s_cbranch_vccnz .LBB61_490
; %bb.489:
	v_lshlrev_b32_e32 v1, 4, v1
	v_mov_b32_e32 v2, s64
	v_add_nc_u32_e32 v1, 16, v1
	s_clause 0x7
	buffer_load_dword v3, v1, s[0:3], 0 offen
	buffer_load_dword v4, v1, s[0:3], 0 offen offset:4
	buffer_load_dword v5, v1, s[0:3], 0 offen offset:8
	;; [unrolled: 1-line block ×6, first 2 shown]
	buffer_load_dword v10, v2, s[0:3], 0 offen
	s_waitcnt vmcnt(7)
	buffer_store_dword v3, v2, s[0:3], 0 offen
	s_waitcnt vmcnt(6)
	buffer_store_dword v4, v2, s[0:3], 0 offen offset:4
	s_waitcnt vmcnt(5)
	buffer_store_dword v5, v2, s[0:3], 0 offen offset:8
	;; [unrolled: 2-line block ×6, first 2 shown]
	s_waitcnt vmcnt(0)
	buffer_store_dword v10, v1, s[0:3], 0 offen
.LBB61_490:
	global_load_dword v0, v0, s[20:21] offset:56
	s_waitcnt vmcnt(0)
	v_add_nc_u32_e32 v0, -1, v0
	v_cmp_eq_u32_e32 vcc_lo, 14, v0
	s_cbranch_vccnz .LBB61_492
; %bb.491:
	v_lshlrev_b32_e32 v0, 4, v0
	v_mov_b32_e32 v1, s65
	v_add_nc_u32_e32 v0, 16, v0
	s_clause 0x7
	buffer_load_dword v2, v0, s[0:3], 0 offen
	buffer_load_dword v3, v0, s[0:3], 0 offen offset:4
	buffer_load_dword v4, v0, s[0:3], 0 offen offset:8
	;; [unrolled: 1-line block ×6, first 2 shown]
	buffer_load_dword v9, v1, s[0:3], 0 offen
	s_waitcnt vmcnt(7)
	buffer_store_dword v2, v1, s[0:3], 0 offen
	s_waitcnt vmcnt(6)
	buffer_store_dword v3, v1, s[0:3], 0 offen offset:4
	s_waitcnt vmcnt(5)
	buffer_store_dword v4, v1, s[0:3], 0 offen offset:8
	;; [unrolled: 2-line block ×6, first 2 shown]
	s_waitcnt vmcnt(0)
	buffer_store_dword v9, v0, s[0:3], 0 offen
.LBB61_492:
	v_mov_b32_e32 v0, 0
	global_load_dword v1, v0, s[20:21] offset:52
	s_waitcnt vmcnt(0)
	v_add_nc_u32_e32 v1, -1, v1
	v_cmp_eq_u32_e32 vcc_lo, 13, v1
	s_cbranch_vccnz .LBB61_494
; %bb.493:
	v_lshlrev_b32_e32 v1, 4, v1
	v_mov_b32_e32 v2, s67
	v_add_nc_u32_e32 v1, 16, v1
	s_clause 0x7
	buffer_load_dword v3, v1, s[0:3], 0 offen
	buffer_load_dword v4, v1, s[0:3], 0 offen offset:4
	buffer_load_dword v5, v1, s[0:3], 0 offen offset:8
	;; [unrolled: 1-line block ×6, first 2 shown]
	buffer_load_dword v10, v2, s[0:3], 0 offen
	s_waitcnt vmcnt(7)
	buffer_store_dword v3, v2, s[0:3], 0 offen
	s_waitcnt vmcnt(6)
	buffer_store_dword v4, v2, s[0:3], 0 offen offset:4
	s_waitcnt vmcnt(5)
	buffer_store_dword v5, v2, s[0:3], 0 offen offset:8
	;; [unrolled: 2-line block ×6, first 2 shown]
	s_waitcnt vmcnt(0)
	buffer_store_dword v10, v1, s[0:3], 0 offen
.LBB61_494:
	global_load_dword v0, v0, s[20:21] offset:48
	s_waitcnt vmcnt(0)
	v_add_nc_u32_e32 v0, -1, v0
	v_cmp_eq_u32_e32 vcc_lo, 12, v0
	s_cbranch_vccnz .LBB61_496
; %bb.495:
	v_lshlrev_b32_e32 v0, 4, v0
	v_mov_b32_e32 v1, s69
	v_add_nc_u32_e32 v0, 16, v0
	s_clause 0x7
	buffer_load_dword v2, v0, s[0:3], 0 offen
	buffer_load_dword v3, v0, s[0:3], 0 offen offset:4
	buffer_load_dword v4, v0, s[0:3], 0 offen offset:8
	;; [unrolled: 1-line block ×6, first 2 shown]
	buffer_load_dword v9, v1, s[0:3], 0 offen
	s_waitcnt vmcnt(7)
	buffer_store_dword v2, v1, s[0:3], 0 offen
	s_waitcnt vmcnt(6)
	buffer_store_dword v3, v1, s[0:3], 0 offen offset:4
	s_waitcnt vmcnt(5)
	buffer_store_dword v4, v1, s[0:3], 0 offen offset:8
	;; [unrolled: 2-line block ×6, first 2 shown]
	s_waitcnt vmcnt(0)
	buffer_store_dword v9, v0, s[0:3], 0 offen
.LBB61_496:
	v_mov_b32_e32 v0, 0
	global_load_dword v1, v0, s[20:21] offset:44
	s_waitcnt vmcnt(0)
	v_add_nc_u32_e32 v1, -1, v1
	v_cmp_eq_u32_e32 vcc_lo, 11, v1
	s_cbranch_vccnz .LBB61_498
; %bb.497:
	v_lshlrev_b32_e32 v1, 4, v1
	v_mov_b32_e32 v2, s71
	v_add_nc_u32_e32 v1, 16, v1
	s_clause 0x7
	buffer_load_dword v3, v1, s[0:3], 0 offen
	buffer_load_dword v4, v1, s[0:3], 0 offen offset:4
	buffer_load_dword v5, v1, s[0:3], 0 offen offset:8
	;; [unrolled: 1-line block ×6, first 2 shown]
	buffer_load_dword v10, v2, s[0:3], 0 offen
	s_waitcnt vmcnt(7)
	buffer_store_dword v3, v2, s[0:3], 0 offen
	s_waitcnt vmcnt(6)
	buffer_store_dword v4, v2, s[0:3], 0 offen offset:4
	s_waitcnt vmcnt(5)
	buffer_store_dword v5, v2, s[0:3], 0 offen offset:8
	;; [unrolled: 2-line block ×6, first 2 shown]
	s_waitcnt vmcnt(0)
	buffer_store_dword v10, v1, s[0:3], 0 offen
.LBB61_498:
	global_load_dword v0, v0, s[20:21] offset:40
	s_waitcnt vmcnt(0)
	v_add_nc_u32_e32 v0, -1, v0
	v_cmp_eq_u32_e32 vcc_lo, 10, v0
	s_cbranch_vccnz .LBB61_500
; %bb.499:
	v_lshlrev_b32_e32 v0, 4, v0
	v_mov_b32_e32 v1, s72
	v_add_nc_u32_e32 v0, 16, v0
	s_clause 0x7
	buffer_load_dword v2, v0, s[0:3], 0 offen
	buffer_load_dword v3, v0, s[0:3], 0 offen offset:4
	buffer_load_dword v4, v0, s[0:3], 0 offen offset:8
	;; [unrolled: 1-line block ×6, first 2 shown]
	buffer_load_dword v9, v1, s[0:3], 0 offen
	s_waitcnt vmcnt(7)
	buffer_store_dword v2, v1, s[0:3], 0 offen
	s_waitcnt vmcnt(6)
	buffer_store_dword v3, v1, s[0:3], 0 offen offset:4
	s_waitcnt vmcnt(5)
	buffer_store_dword v4, v1, s[0:3], 0 offen offset:8
	;; [unrolled: 2-line block ×6, first 2 shown]
	s_waitcnt vmcnt(0)
	buffer_store_dword v9, v0, s[0:3], 0 offen
.LBB61_500:
	v_mov_b32_e32 v0, 0
	global_load_dword v1, v0, s[20:21] offset:36
	s_waitcnt vmcnt(0)
	v_add_nc_u32_e32 v1, -1, v1
	v_cmp_eq_u32_e32 vcc_lo, 9, v1
	s_cbranch_vccnz .LBB61_502
; %bb.501:
	v_lshlrev_b32_e32 v1, 4, v1
	v_mov_b32_e32 v2, s73
	v_add_nc_u32_e32 v1, 16, v1
	s_clause 0x7
	buffer_load_dword v3, v1, s[0:3], 0 offen
	buffer_load_dword v4, v1, s[0:3], 0 offen offset:4
	buffer_load_dword v5, v1, s[0:3], 0 offen offset:8
	;; [unrolled: 1-line block ×6, first 2 shown]
	buffer_load_dword v10, v2, s[0:3], 0 offen
	s_waitcnt vmcnt(7)
	buffer_store_dword v3, v2, s[0:3], 0 offen
	s_waitcnt vmcnt(6)
	buffer_store_dword v4, v2, s[0:3], 0 offen offset:4
	s_waitcnt vmcnt(5)
	buffer_store_dword v5, v2, s[0:3], 0 offen offset:8
	;; [unrolled: 2-line block ×6, first 2 shown]
	s_waitcnt vmcnt(0)
	buffer_store_dword v10, v1, s[0:3], 0 offen
.LBB61_502:
	global_load_dword v0, v0, s[20:21] offset:32
	s_waitcnt vmcnt(0)
	v_add_nc_u32_e32 v0, -1, v0
	v_cmp_eq_u32_e32 vcc_lo, 8, v0
	s_cbranch_vccnz .LBB61_504
; %bb.503:
	v_lshlrev_b32_e32 v0, 4, v0
	v_mov_b32_e32 v1, s74
	v_add_nc_u32_e32 v0, 16, v0
	s_clause 0x7
	buffer_load_dword v2, v0, s[0:3], 0 offen
	buffer_load_dword v3, v0, s[0:3], 0 offen offset:4
	buffer_load_dword v4, v0, s[0:3], 0 offen offset:8
	;; [unrolled: 1-line block ×6, first 2 shown]
	buffer_load_dword v9, v1, s[0:3], 0 offen
	s_waitcnt vmcnt(7)
	buffer_store_dword v2, v1, s[0:3], 0 offen
	s_waitcnt vmcnt(6)
	buffer_store_dword v3, v1, s[0:3], 0 offen offset:4
	s_waitcnt vmcnt(5)
	buffer_store_dword v4, v1, s[0:3], 0 offen offset:8
	;; [unrolled: 2-line block ×6, first 2 shown]
	s_waitcnt vmcnt(0)
	buffer_store_dword v9, v0, s[0:3], 0 offen
.LBB61_504:
	v_mov_b32_e32 v0, 0
	global_load_dword v1, v0, s[20:21] offset:28
	s_waitcnt vmcnt(0)
	v_add_nc_u32_e32 v1, -1, v1
	v_cmp_eq_u32_e32 vcc_lo, 7, v1
	s_cbranch_vccnz .LBB61_506
; %bb.505:
	v_lshlrev_b32_e32 v1, 4, v1
	v_mov_b32_e32 v2, s75
	v_add_nc_u32_e32 v1, 16, v1
	s_clause 0x7
	buffer_load_dword v3, v1, s[0:3], 0 offen
	buffer_load_dword v4, v1, s[0:3], 0 offen offset:4
	buffer_load_dword v5, v1, s[0:3], 0 offen offset:8
	;; [unrolled: 1-line block ×6, first 2 shown]
	buffer_load_dword v10, v2, s[0:3], 0 offen
	s_waitcnt vmcnt(7)
	buffer_store_dword v3, v2, s[0:3], 0 offen
	s_waitcnt vmcnt(6)
	buffer_store_dword v4, v2, s[0:3], 0 offen offset:4
	s_waitcnt vmcnt(5)
	buffer_store_dword v5, v2, s[0:3], 0 offen offset:8
	s_waitcnt vmcnt(4)
	buffer_store_dword v6, v2, s[0:3], 0 offen offset:12
	s_waitcnt vmcnt(3)
	buffer_store_dword v7, v1, s[0:3], 0 offen offset:12
	s_waitcnt vmcnt(2)
	buffer_store_dword v8, v1, s[0:3], 0 offen offset:8
	s_waitcnt vmcnt(1)
	buffer_store_dword v9, v1, s[0:3], 0 offen offset:4
	s_waitcnt vmcnt(0)
	buffer_store_dword v10, v1, s[0:3], 0 offen
.LBB61_506:
	global_load_dword v0, v0, s[20:21] offset:24
	s_waitcnt vmcnt(0)
	v_add_nc_u32_e32 v0, -1, v0
	v_cmp_eq_u32_e32 vcc_lo, 6, v0
	s_cbranch_vccnz .LBB61_508
; %bb.507:
	v_lshlrev_b32_e32 v0, 4, v0
	v_mov_b32_e32 v1, s59
	v_add_nc_u32_e32 v0, 16, v0
	s_clause 0x7
	buffer_load_dword v2, v0, s[0:3], 0 offen
	buffer_load_dword v3, v0, s[0:3], 0 offen offset:4
	buffer_load_dword v4, v0, s[0:3], 0 offen offset:8
	;; [unrolled: 1-line block ×6, first 2 shown]
	buffer_load_dword v9, v1, s[0:3], 0 offen
	s_waitcnt vmcnt(7)
	buffer_store_dword v2, v1, s[0:3], 0 offen
	s_waitcnt vmcnt(6)
	buffer_store_dword v3, v1, s[0:3], 0 offen offset:4
	s_waitcnt vmcnt(5)
	buffer_store_dword v4, v1, s[0:3], 0 offen offset:8
	;; [unrolled: 2-line block ×6, first 2 shown]
	s_waitcnt vmcnt(0)
	buffer_store_dword v9, v0, s[0:3], 0 offen
.LBB61_508:
	v_mov_b32_e32 v0, 0
	global_load_dword v1, v0, s[20:21] offset:20
	s_waitcnt vmcnt(0)
	v_add_nc_u32_e32 v1, -1, v1
	v_cmp_eq_u32_e32 vcc_lo, 5, v1
	s_cbranch_vccnz .LBB61_510
; %bb.509:
	v_lshlrev_b32_e32 v1, 4, v1
	v_mov_b32_e32 v2, s62
	v_add_nc_u32_e32 v1, 16, v1
	s_clause 0x7
	buffer_load_dword v3, v1, s[0:3], 0 offen
	buffer_load_dword v4, v1, s[0:3], 0 offen offset:4
	buffer_load_dword v5, v1, s[0:3], 0 offen offset:8
	;; [unrolled: 1-line block ×6, first 2 shown]
	buffer_load_dword v10, v2, s[0:3], 0 offen
	s_waitcnt vmcnt(7)
	buffer_store_dword v3, v2, s[0:3], 0 offen
	s_waitcnt vmcnt(6)
	buffer_store_dword v4, v2, s[0:3], 0 offen offset:4
	s_waitcnt vmcnt(5)
	buffer_store_dword v5, v2, s[0:3], 0 offen offset:8
	;; [unrolled: 2-line block ×6, first 2 shown]
	s_waitcnt vmcnt(0)
	buffer_store_dword v10, v1, s[0:3], 0 offen
.LBB61_510:
	global_load_dword v0, v0, s[20:21] offset:16
	s_waitcnt vmcnt(0)
	v_add_nc_u32_e32 v0, -1, v0
	v_cmp_eq_u32_e32 vcc_lo, 4, v0
	s_cbranch_vccnz .LBB61_512
; %bb.511:
	v_lshlrev_b32_e32 v0, 4, v0
	v_mov_b32_e32 v1, s63
	v_add_nc_u32_e32 v0, 16, v0
	s_clause 0x7
	buffer_load_dword v2, v0, s[0:3], 0 offen
	buffer_load_dword v3, v0, s[0:3], 0 offen offset:4
	buffer_load_dword v4, v0, s[0:3], 0 offen offset:8
	;; [unrolled: 1-line block ×6, first 2 shown]
	buffer_load_dword v9, v1, s[0:3], 0 offen
	s_waitcnt vmcnt(7)
	buffer_store_dword v2, v1, s[0:3], 0 offen
	s_waitcnt vmcnt(6)
	buffer_store_dword v3, v1, s[0:3], 0 offen offset:4
	s_waitcnt vmcnt(5)
	buffer_store_dword v4, v1, s[0:3], 0 offen offset:8
	;; [unrolled: 2-line block ×6, first 2 shown]
	s_waitcnt vmcnt(0)
	buffer_store_dword v9, v0, s[0:3], 0 offen
.LBB61_512:
	v_mov_b32_e32 v0, 0
	global_load_dword v1, v0, s[20:21] offset:12
	s_waitcnt vmcnt(0)
	v_add_nc_u32_e32 v1, -1, v1
	v_cmp_eq_u32_e32 vcc_lo, 3, v1
	s_cbranch_vccnz .LBB61_514
; %bb.513:
	v_lshlrev_b32_e32 v1, 4, v1
	v_mov_b32_e32 v2, s66
	v_add_nc_u32_e32 v1, 16, v1
	s_clause 0x7
	buffer_load_dword v3, v1, s[0:3], 0 offen
	buffer_load_dword v4, v1, s[0:3], 0 offen offset:4
	buffer_load_dword v5, v1, s[0:3], 0 offen offset:8
	;; [unrolled: 1-line block ×6, first 2 shown]
	buffer_load_dword v10, v2, s[0:3], 0 offen
	s_waitcnt vmcnt(7)
	buffer_store_dword v3, v2, s[0:3], 0 offen
	s_waitcnt vmcnt(6)
	buffer_store_dword v4, v2, s[0:3], 0 offen offset:4
	s_waitcnt vmcnt(5)
	buffer_store_dword v5, v2, s[0:3], 0 offen offset:8
	;; [unrolled: 2-line block ×6, first 2 shown]
	s_waitcnt vmcnt(0)
	buffer_store_dword v10, v1, s[0:3], 0 offen
.LBB61_514:
	global_load_dword v0, v0, s[20:21] offset:8
	s_waitcnt vmcnt(0)
	v_add_nc_u32_e32 v0, -1, v0
	v_cmp_eq_u32_e32 vcc_lo, 2, v0
	s_cbranch_vccnz .LBB61_516
; %bb.515:
	v_lshlrev_b32_e32 v0, 4, v0
	v_mov_b32_e32 v1, s68
	v_add_nc_u32_e32 v0, 16, v0
	s_clause 0x7
	buffer_load_dword v2, v0, s[0:3], 0 offen
	buffer_load_dword v3, v0, s[0:3], 0 offen offset:4
	buffer_load_dword v4, v0, s[0:3], 0 offen offset:8
	;; [unrolled: 1-line block ×6, first 2 shown]
	buffer_load_dword v9, v1, s[0:3], 0 offen
	s_waitcnt vmcnt(7)
	buffer_store_dword v2, v1, s[0:3], 0 offen
	s_waitcnt vmcnt(6)
	buffer_store_dword v3, v1, s[0:3], 0 offen offset:4
	s_waitcnt vmcnt(5)
	buffer_store_dword v4, v1, s[0:3], 0 offen offset:8
	;; [unrolled: 2-line block ×6, first 2 shown]
	s_waitcnt vmcnt(0)
	buffer_store_dword v9, v0, s[0:3], 0 offen
.LBB61_516:
	v_mov_b32_e32 v0, 0
	global_load_dword v1, v0, s[20:21] offset:4
	s_waitcnt vmcnt(0)
	v_add_nc_u32_e32 v1, -1, v1
	v_cmp_eq_u32_e32 vcc_lo, 1, v1
	s_cbranch_vccnz .LBB61_518
; %bb.517:
	v_lshlrev_b32_e32 v1, 4, v1
	v_mov_b32_e32 v2, s70
	v_add_nc_u32_e32 v1, 16, v1
	s_clause 0x7
	buffer_load_dword v3, v1, s[0:3], 0 offen
	buffer_load_dword v4, v1, s[0:3], 0 offen offset:4
	buffer_load_dword v5, v1, s[0:3], 0 offen offset:8
	buffer_load_dword v6, v1, s[0:3], 0 offen offset:12
	buffer_load_dword v7, v2, s[0:3], 0 offen offset:12
	buffer_load_dword v8, v2, s[0:3], 0 offen offset:8
	buffer_load_dword v9, v2, s[0:3], 0 offen offset:4
	buffer_load_dword v10, v2, s[0:3], 0 offen
	s_waitcnt vmcnt(7)
	buffer_store_dword v3, v2, s[0:3], 0 offen
	s_waitcnt vmcnt(6)
	buffer_store_dword v4, v2, s[0:3], 0 offen offset:4
	s_waitcnt vmcnt(5)
	buffer_store_dword v5, v2, s[0:3], 0 offen offset:8
	;; [unrolled: 2-line block ×6, first 2 shown]
	s_waitcnt vmcnt(0)
	buffer_store_dword v10, v1, s[0:3], 0 offen
.LBB61_518:
	global_load_dword v0, v0, s[20:21]
	s_waitcnt vmcnt(0)
	v_add_nc_u32_e32 v0, -1, v0
	v_cmp_eq_u32_e32 vcc_lo, 0, v0
	s_cbranch_vccnz .LBB61_520
; %bb.519:
	v_lshlrev_b32_e32 v0, 4, v0
	v_add_nc_u32_e32 v0, 16, v0
	s_clause 0x7
	buffer_load_dword v1, v0, s[0:3], 0 offen
	buffer_load_dword v2, v0, s[0:3], 0 offen offset:4
	buffer_load_dword v3, v0, s[0:3], 0 offen offset:8
	;; [unrolled: 1-line block ×3, first 2 shown]
	buffer_load_dword v5, off, s[0:3], 0 offset:28
	buffer_load_dword v6, off, s[0:3], 0 offset:24
	;; [unrolled: 1-line block ×4, first 2 shown]
	s_waitcnt vmcnt(7)
	buffer_store_dword v1, off, s[0:3], 0 offset:16
	s_waitcnt vmcnt(6)
	buffer_store_dword v2, off, s[0:3], 0 offset:20
	s_waitcnt vmcnt(5)
	buffer_store_dword v3, off, s[0:3], 0 offset:24
	s_waitcnt vmcnt(4)
	buffer_store_dword v4, off, s[0:3], 0 offset:28
	s_waitcnt vmcnt(3)
	buffer_store_dword v5, v0, s[0:3], 0 offen offset:12
	s_waitcnt vmcnt(2)
	buffer_store_dword v6, v0, s[0:3], 0 offen offset:8
	;; [unrolled: 2-line block ×3, first 2 shown]
	s_waitcnt vmcnt(0)
	buffer_store_dword v8, v0, s[0:3], 0 offen
.LBB61_520:
	v_mov_b32_e32 v7, s70
	v_mov_b32_e32 v11, s68
	;; [unrolled: 1-line block ×9, first 2 shown]
	s_clause 0x27
	buffer_load_dword v0, off, s[0:3], 0 offset:16
	buffer_load_dword v1, off, s[0:3], 0 offset:20
	;; [unrolled: 1-line block ×4, first 2 shown]
	buffer_load_dword v4, v7, s[0:3], 0 offen
	buffer_load_dword v5, v7, s[0:3], 0 offen offset:4
	buffer_load_dword v6, v7, s[0:3], 0 offen offset:8
	buffer_load_dword v7, v7, s[0:3], 0 offen offset:12
	buffer_load_dword v8, v11, s[0:3], 0 offen
	buffer_load_dword v9, v11, s[0:3], 0 offen offset:4
	buffer_load_dword v10, v11, s[0:3], 0 offen offset:8
	buffer_load_dword v11, v11, s[0:3], 0 offen offset:12
	;; [unrolled: 4-line block ×9, first 2 shown]
	v_mov_b32_e32 v36, s72
	s_clause 0x3
	buffer_load_dword v44, v36, s[0:3], 0 offen
	buffer_load_dword v45, v36, s[0:3], 0 offen offset:4
	buffer_load_dword v46, v36, s[0:3], 0 offen offset:8
	buffer_load_dword v47, v36, s[0:3], 0 offen offset:12
	v_mov_b32_e32 v36, s71
	s_clause 0x3
	buffer_load_dword v48, v36, s[0:3], 0 offen
	buffer_load_dword v49, v36, s[0:3], 0 offen offset:4
	buffer_load_dword v50, v36, s[0:3], 0 offen offset:8
	buffer_load_dword v51, v36, s[0:3], 0 offen offset:12
	;; [unrolled: 6-line block ×8, first 2 shown]
	v_mov_b32_e32 v36, s58
	v_mov_b32_e32 v39, s57
	;; [unrolled: 1-line block ×8, first 2 shown]
	s_clause 0x7
	buffer_load_dword v76, v36, s[0:3], 0 offen
	buffer_load_dword v77, v36, s[0:3], 0 offen offset:4
	buffer_load_dword v78, v36, s[0:3], 0 offen offset:8
	;; [unrolled: 1-line block ×3, first 2 shown]
	buffer_load_dword v36, v39, s[0:3], 0 offen
	buffer_load_dword v37, v39, s[0:3], 0 offen offset:4
	buffer_load_dword v38, v39, s[0:3], 0 offen offset:8
	;; [unrolled: 1-line block ×3, first 2 shown]
	v_mov_b32_e32 v126, s53
	v_mov_b32_e32 v139, s46
	s_clause 0x7
	buffer_load_dword v84, v87, s[0:3], 0 offen
	buffer_load_dword v85, v87, s[0:3], 0 offen offset:4
	buffer_load_dword v86, v87, s[0:3], 0 offen offset:8
	;; [unrolled: 1-line block ×3, first 2 shown]
	buffer_load_dword v93, v88, s[0:3], 0 offen
	buffer_load_dword v94, v88, s[0:3], 0 offen offset:4
	buffer_load_dword v95, v88, s[0:3], 0 offen offset:8
	;; [unrolled: 1-line block ×3, first 2 shown]
	v_mov_b32_e32 v130, s51
	v_mov_b32_e32 v143, s44
	;; [unrolled: 1-line block ×34, first 2 shown]
	s_waitcnt vmcnt(62)
	global_store_dwordx4 v[145:146], v[0:3], off
	s_clause 0x7
	buffer_load_dword v0, v123, s[0:3], 0 offen
	buffer_load_dword v1, v123, s[0:3], 0 offen offset:4
	buffer_load_dword v2, v123, s[0:3], 0 offen offset:8
	buffer_load_dword v3, v123, s[0:3], 0 offen offset:12
	buffer_load_dword v123, v126, s[0:3], 0 offen
	buffer_load_dword v124, v126, s[0:3], 0 offen offset:4
	buffer_load_dword v125, v126, s[0:3], 0 offen offset:8
	buffer_load_dword v126, v126, s[0:3], 0 offen offset:12
	global_store_dwordx4 v[147:148], v[4:7], off
	s_clause 0x7
	buffer_load_dword v4, v127, s[0:3], 0 offen
	buffer_load_dword v5, v127, s[0:3], 0 offen offset:4
	buffer_load_dword v6, v127, s[0:3], 0 offen offset:8
	buffer_load_dword v7, v127, s[0:3], 0 offen offset:12
	buffer_load_dword v127, v130, s[0:3], 0 offen
	buffer_load_dword v128, v130, s[0:3], 0 offen offset:4
	buffer_load_dword v129, v130, s[0:3], 0 offen offset:8
	buffer_load_dword v130, v130, s[0:3], 0 offen offset:12
	;; [unrolled: 10-line block ×6, first 2 shown]
	s_waitcnt vmcnt(62)
	global_store_dwordx4 v[157:158], v[24:27], off
	s_clause 0x7
	buffer_load_dword v24, v236, s[0:3], 0 offen
	buffer_load_dword v25, v236, s[0:3], 0 offen offset:4
	buffer_load_dword v26, v236, s[0:3], 0 offen offset:8
	buffer_load_dword v27, v236, s[0:3], 0 offen offset:12
	buffer_load_dword v147, v237, s[0:3], 0 offen
	buffer_load_dword v148, v237, s[0:3], 0 offen offset:4
	buffer_load_dword v149, v237, s[0:3], 0 offen offset:8
	buffer_load_dword v150, v237, s[0:3], 0 offen offset:12
	global_store_dwordx4 v[159:160], v[28:31], off
	s_clause 0x7
	buffer_load_dword v28, v238, s[0:3], 0 offen
	buffer_load_dword v29, v238, s[0:3], 0 offen offset:4
	buffer_load_dword v30, v238, s[0:3], 0 offen offset:8
	buffer_load_dword v31, v238, s[0:3], 0 offen offset:12
	buffer_load_dword v151, v239, s[0:3], 0 offen
	buffer_load_dword v152, v239, s[0:3], 0 offen offset:4
	buffer_load_dword v153, v239, s[0:3], 0 offen offset:8
	buffer_load_dword v154, v239, s[0:3], 0 offen offset:12
	;; [unrolled: 10-line block ×10, first 2 shown]
	buffer_load_dword v178, off, s[0:3], 0 offset:1016
	buffer_load_dword v179, off, s[0:3], 0 offset:1020
	s_waitcnt vmcnt(0)
	global_store_dwordx4 v[178:179], v[68:71], off
	s_clause 0x9
	buffer_load_dword v68, v171, s[0:3], 0 offen
	buffer_load_dword v69, v171, s[0:3], 0 offen offset:4
	buffer_load_dword v70, v171, s[0:3], 0 offen offset:8
	;; [unrolled: 1-line block ×3, first 2 shown]
	buffer_load_dword v251, v172, s[0:3], 0 offen
	buffer_load_dword v252, v172, s[0:3], 0 offen offset:4
	buffer_load_dword v253, v172, s[0:3], 0 offen offset:8
	;; [unrolled: 1-line block ×3, first 2 shown]
	buffer_load_dword v171, off, s[0:3], 0 offset:1024
	buffer_load_dword v172, off, s[0:3], 0 offset:1028
	s_waitcnt vmcnt(0)
	global_store_dwordx4 v[171:172], v[72:75], off
	s_clause 0x7
	buffer_load_dword v72, v173, s[0:3], 0 offen
	buffer_load_dword v73, v173, s[0:3], 0 offen offset:4
	buffer_load_dword v74, v173, s[0:3], 0 offen offset:8
	buffer_load_dword v75, v173, s[0:3], 0 offen offset:12
	buffer_load_dword v179, v174, s[0:3], 0 offen
	buffer_load_dword v180, v174, s[0:3], 0 offen offset:4
	buffer_load_dword v181, v174, s[0:3], 0 offen offset:8
	buffer_load_dword v182, v174, s[0:3], 0 offen offset:12
	global_store_dwordx4 v[183:184], v[76:79], off
	s_clause 0x7
	buffer_load_dword v76, v175, s[0:3], 0 offen
	buffer_load_dword v77, v175, s[0:3], 0 offen offset:4
	buffer_load_dword v78, v175, s[0:3], 0 offen offset:8
	buffer_load_dword v79, v175, s[0:3], 0 offen offset:12
	buffer_load_dword v183, v176, s[0:3], 0 offen
	buffer_load_dword v184, v176, s[0:3], 0 offen offset:4
	buffer_load_dword v185, v176, s[0:3], 0 offen offset:8
	buffer_load_dword v186, v176, s[0:3], 0 offen offset:12
	;; [unrolled: 10-line block ×3, first 2 shown]
	buffer_load_dword v175, off, s[0:3], 0 offset:1008
	buffer_load_dword v176, off, s[0:3], 0 offset:1012
	s_waitcnt vmcnt(0)
	global_store_dwordx4 v[175:176], v[84:87], off
	s_clause 0x1
	buffer_load_dword v84, off, s[0:3], 0 offset:1032
	buffer_load_dword v85, off, s[0:3], 0 offset:1036
	s_waitcnt vmcnt(0)
	global_store_dwordx4 v[84:85], v[93:96], off
	global_store_dwordx4 v[189:190], v[0:3], off
	global_store_dwordx4 v[191:192], v[123:126], off
	global_store_dwordx4 v[193:194], v[4:7], off
	global_store_dwordx4 v[195:196], v[127:130], off
	global_store_dwordx4 v[197:198], v[8:11], off
	global_store_dwordx4 v[199:200], v[131:134], off
	global_store_dwordx4 v[201:202], v[12:15], off
	global_store_dwordx4 v[203:204], v[135:138], off
	global_store_dwordx4 v[205:206], v[16:19], off
	global_store_dwordx4 v[207:208], v[139:142], off
	global_store_dwordx4 v[209:210], v[20:23], off
	global_store_dwordx4 v[211:212], v[143:146], off
	global_store_dwordx4 v[213:214], v[24:27], off
	global_store_dwordx4 v[215:216], v[147:150], off
	global_store_dwordx4 v[217:218], v[28:31], off
	global_store_dwordx4 v[219:220], v[151:154], off
	global_store_dwordx4 v[221:222], v[32:35], off
	global_store_dwordx4 v[223:224], v[155:158], off
	global_store_dwordx4 v[225:226], v[40:43], off
	global_store_dwordx4 v[227:228], v[159:162], off
	global_store_dwordx4 v[229:230], v[44:47], off
	global_store_dwordx4 v[231:232], v[163:166], off
	global_store_dwordx4 v[233:234], v[48:51], off
	global_store_dwordx4 v[80:81], v[235:238], off
	global_store_dwordx4 v[82:83], v[52:55], off
	global_store_dwordx4 v[89:90], v[167:170], off
	global_store_dwordx4 v[91:92], v[56:59], off
	global_store_dwordx4 v[97:98], v[239:242], off
	global_store_dwordx4 v[99:100], v[60:63], off
	global_store_dwordx4 v[101:102], v[243:246], off
	global_store_dwordx4 v[103:104], v[64:67], off
	global_store_dwordx4 v[105:106], v[247:250], off
	global_store_dwordx4 v[107:108], v[68:71], off
	global_store_dwordx4 v[109:110], v[251:254], off
	global_store_dwordx4 v[111:112], v[72:75], off
	global_store_dwordx4 v[113:114], v[179:182], off
	global_store_dwordx4 v[115:116], v[76:79], off
	global_store_dwordx4 v[117:118], v[183:186], off
	global_store_dwordx4 v[121:122], v[36:39], off
	global_store_dwordx4 v[119:120], v[171:174], off
	s_endpgm
	.section	.rodata,"a",@progbits
	.p2align	6, 0x0
	.amdhsa_kernel _ZN9rocsolver6v33100L18getri_kernel_smallILi62E19rocblas_complex_numIdEPS3_EEvT1_iilPiilS6_bb
		.amdhsa_group_segment_fixed_size 1992
		.amdhsa_private_segment_fixed_size 1056
		.amdhsa_kernarg_size 60
		.amdhsa_user_sgpr_count 6
		.amdhsa_user_sgpr_private_segment_buffer 1
		.amdhsa_user_sgpr_dispatch_ptr 0
		.amdhsa_user_sgpr_queue_ptr 0
		.amdhsa_user_sgpr_kernarg_segment_ptr 1
		.amdhsa_user_sgpr_dispatch_id 0
		.amdhsa_user_sgpr_flat_scratch_init 0
		.amdhsa_user_sgpr_private_segment_size 0
		.amdhsa_wavefront_size32 1
		.amdhsa_uses_dynamic_stack 0
		.amdhsa_system_sgpr_private_segment_wavefront_offset 1
		.amdhsa_system_sgpr_workgroup_id_x 1
		.amdhsa_system_sgpr_workgroup_id_y 0
		.amdhsa_system_sgpr_workgroup_id_z 0
		.amdhsa_system_sgpr_workgroup_info 0
		.amdhsa_system_vgpr_workitem_id 0
		.amdhsa_next_free_vgpr 256
		.amdhsa_next_free_sgpr 82
		.amdhsa_reserve_vcc 1
		.amdhsa_reserve_flat_scratch 0
		.amdhsa_float_round_mode_32 0
		.amdhsa_float_round_mode_16_64 0
		.amdhsa_float_denorm_mode_32 3
		.amdhsa_float_denorm_mode_16_64 3
		.amdhsa_dx10_clamp 1
		.amdhsa_ieee_mode 1
		.amdhsa_fp16_overflow 0
		.amdhsa_workgroup_processor_mode 1
		.amdhsa_memory_ordered 1
		.amdhsa_forward_progress 1
		.amdhsa_shared_vgpr_count 0
		.amdhsa_exception_fp_ieee_invalid_op 0
		.amdhsa_exception_fp_denorm_src 0
		.amdhsa_exception_fp_ieee_div_zero 0
		.amdhsa_exception_fp_ieee_overflow 0
		.amdhsa_exception_fp_ieee_underflow 0
		.amdhsa_exception_fp_ieee_inexact 0
		.amdhsa_exception_int_div_zero 0
	.end_amdhsa_kernel
	.section	.text._ZN9rocsolver6v33100L18getri_kernel_smallILi62E19rocblas_complex_numIdEPS3_EEvT1_iilPiilS6_bb,"axG",@progbits,_ZN9rocsolver6v33100L18getri_kernel_smallILi62E19rocblas_complex_numIdEPS3_EEvT1_iilPiilS6_bb,comdat
.Lfunc_end61:
	.size	_ZN9rocsolver6v33100L18getri_kernel_smallILi62E19rocblas_complex_numIdEPS3_EEvT1_iilPiilS6_bb, .Lfunc_end61-_ZN9rocsolver6v33100L18getri_kernel_smallILi62E19rocblas_complex_numIdEPS3_EEvT1_iilPiilS6_bb
                                        ; -- End function
	.set _ZN9rocsolver6v33100L18getri_kernel_smallILi62E19rocblas_complex_numIdEPS3_EEvT1_iilPiilS6_bb.num_vgpr, 256
	.set _ZN9rocsolver6v33100L18getri_kernel_smallILi62E19rocblas_complex_numIdEPS3_EEvT1_iilPiilS6_bb.num_agpr, 0
	.set _ZN9rocsolver6v33100L18getri_kernel_smallILi62E19rocblas_complex_numIdEPS3_EEvT1_iilPiilS6_bb.numbered_sgpr, 82
	.set _ZN9rocsolver6v33100L18getri_kernel_smallILi62E19rocblas_complex_numIdEPS3_EEvT1_iilPiilS6_bb.num_named_barrier, 0
	.set _ZN9rocsolver6v33100L18getri_kernel_smallILi62E19rocblas_complex_numIdEPS3_EEvT1_iilPiilS6_bb.private_seg_size, 1056
	.set _ZN9rocsolver6v33100L18getri_kernel_smallILi62E19rocblas_complex_numIdEPS3_EEvT1_iilPiilS6_bb.uses_vcc, 1
	.set _ZN9rocsolver6v33100L18getri_kernel_smallILi62E19rocblas_complex_numIdEPS3_EEvT1_iilPiilS6_bb.uses_flat_scratch, 0
	.set _ZN9rocsolver6v33100L18getri_kernel_smallILi62E19rocblas_complex_numIdEPS3_EEvT1_iilPiilS6_bb.has_dyn_sized_stack, 0
	.set _ZN9rocsolver6v33100L18getri_kernel_smallILi62E19rocblas_complex_numIdEPS3_EEvT1_iilPiilS6_bb.has_recursion, 0
	.set _ZN9rocsolver6v33100L18getri_kernel_smallILi62E19rocblas_complex_numIdEPS3_EEvT1_iilPiilS6_bb.has_indirect_call, 0
	.section	.AMDGPU.csdata,"",@progbits
; Kernel info:
; codeLenInByte = 245092
; TotalNumSgprs: 84
; NumVgprs: 256
; ScratchSize: 1056
; MemoryBound: 0
; FloatMode: 240
; IeeeMode: 1
; LDSByteSize: 1992 bytes/workgroup (compile time only)
; SGPRBlocks: 0
; VGPRBlocks: 31
; NumSGPRsForWavesPerEU: 84
; NumVGPRsForWavesPerEU: 256
; Occupancy: 4
; WaveLimiterHint : 1
; COMPUTE_PGM_RSRC2:SCRATCH_EN: 1
; COMPUTE_PGM_RSRC2:USER_SGPR: 6
; COMPUTE_PGM_RSRC2:TRAP_HANDLER: 0
; COMPUTE_PGM_RSRC2:TGID_X_EN: 1
; COMPUTE_PGM_RSRC2:TGID_Y_EN: 0
; COMPUTE_PGM_RSRC2:TGID_Z_EN: 0
; COMPUTE_PGM_RSRC2:TIDIG_COMP_CNT: 0
	.section	.text._ZN9rocsolver6v33100L18getri_kernel_smallILi63E19rocblas_complex_numIdEPS3_EEvT1_iilPiilS6_bb,"axG",@progbits,_ZN9rocsolver6v33100L18getri_kernel_smallILi63E19rocblas_complex_numIdEPS3_EEvT1_iilPiilS6_bb,comdat
	.globl	_ZN9rocsolver6v33100L18getri_kernel_smallILi63E19rocblas_complex_numIdEPS3_EEvT1_iilPiilS6_bb ; -- Begin function _ZN9rocsolver6v33100L18getri_kernel_smallILi63E19rocblas_complex_numIdEPS3_EEvT1_iilPiilS6_bb
	.p2align	8
	.type	_ZN9rocsolver6v33100L18getri_kernel_smallILi63E19rocblas_complex_numIdEPS3_EEvT1_iilPiilS6_bb,@function
_ZN9rocsolver6v33100L18getri_kernel_smallILi63E19rocblas_complex_numIdEPS3_EEvT1_iilPiilS6_bb: ; @_ZN9rocsolver6v33100L18getri_kernel_smallILi63E19rocblas_complex_numIdEPS3_EEvT1_iilPiilS6_bb
; %bb.0:
	s_add_u32 s0, s0, s7
	s_addc_u32 s1, s1, 0
	s_mov_b32 s7, exec_lo
	v_cmpx_gt_u32_e32 63, v0
	s_cbranch_execz .LBB62_278
; %bb.1:
	s_clause 0x2
	s_load_dword s7, s[4:5], 0x38
	s_load_dwordx4 s[16:19], s[4:5], 0x10
	s_load_dwordx4 s[8:11], s[4:5], 0x28
                                        ; implicit-def: $sgpr20_sgpr21
	s_waitcnt lgkmcnt(0)
	s_bitcmp1_b32 s7, 8
	s_cselect_b32 s76, -1, 0
	s_bfe_u32 s12, s7, 0x10008
	s_ashr_i32 s7, s6, 31
	s_cmp_eq_u32 s12, 0
	s_cbranch_scc1 .LBB62_3
; %bb.2:
	s_load_dword s12, s[4:5], 0x20
	s_mul_i32 s13, s8, s7
	s_mul_hi_u32 s14, s8, s6
	s_mul_i32 s9, s9, s6
	s_add_i32 s13, s14, s13
	s_mul_i32 s8, s8, s6
	s_add_i32 s9, s13, s9
	s_lshl_b64 s[8:9], s[8:9], 2
	s_waitcnt lgkmcnt(0)
	s_ashr_i32 s13, s12, 31
	s_add_u32 s14, s18, s8
	s_addc_u32 s15, s19, s9
	s_lshl_b64 s[8:9], s[12:13], 2
	s_add_u32 s20, s14, s8
	s_addc_u32 s21, s15, s9
.LBB62_3:
	s_clause 0x1
	s_load_dwordx4 s[12:15], s[4:5], 0x0
	s_load_dword s8, s[4:5], 0x38
	s_mul_i32 s4, s16, s7
	s_mul_hi_u32 s5, s16, s6
	s_mul_i32 s9, s17, s6
	s_add_i32 s5, s5, s4
	s_mul_i32 s4, s16, s6
	s_add_i32 s5, s5, s9
	v_lshlrev_b32_e32 v235, 4, v0
	s_lshl_b64 s[4:5], s[4:5], 4
	s_mov_b32 s65, 32
	s_mov_b32 s63, 48
	s_movk_i32 s75, 0x50
	s_mov_b32 s77, 64
	s_waitcnt lgkmcnt(0)
	v_add3_u32 v5, s15, s15, v0
	s_ashr_i32 s17, s14, 31
	s_mov_b32 s16, s14
	s_add_u32 s9, s12, s4
	s_addc_u32 s13, s13, s5
	v_add_nc_u32_e32 v7, s15, v5
	s_lshl_b64 s[4:5], s[16:17], 4
	v_ashrrev_i32_e32 v6, 31, v5
	s_add_u32 s4, s9, s4
	s_addc_u32 s5, s13, s5
	v_add_nc_u32_e32 v9, s15, v7
	v_add_co_u32 v145, s9, s4, v235
	s_mov_b32 s12, s15
	s_ashr_i32 s13, s15, 31
	v_lshlrev_b64 v[5:6], 4, v[5:6]
	v_ashrrev_i32_e32 v8, 31, v7
	v_add_co_ci_u32_e64 v146, null, s5, 0, s9
	s_lshl_b64 s[12:13], s[12:13], 4
	v_ashrrev_i32_e32 v10, 31, v9
	v_add_nc_u32_e32 v11, s15, v9
	v_add_co_u32 v147, vcc_lo, v145, s12
	v_lshlrev_b64 v[7:8], 4, v[7:8]
	v_add_co_ci_u32_e64 v148, null, s13, v146, vcc_lo
	v_add_co_u32 v149, vcc_lo, s4, v5
	v_add_co_ci_u32_e64 v150, null, s5, v6, vcc_lo
	v_lshlrev_b64 v[5:6], 4, v[9:10]
	v_ashrrev_i32_e32 v12, 31, v11
	v_add_nc_u32_e32 v9, s15, v11
	v_add_co_u32 v151, vcc_lo, s4, v7
	v_add_co_ci_u32_e64 v152, null, s5, v8, vcc_lo
	v_lshlrev_b64 v[7:8], 4, v[11:12]
	v_ashrrev_i32_e32 v10, 31, v9
	v_add_nc_u32_e32 v11, s15, v9
	;; [unrolled: 5-line block ×18, first 2 shown]
	v_add_co_u32 v185, vcc_lo, s4, v5
	v_add_co_ci_u32_e64 v186, null, s5, v6, vcc_lo
	v_lshlrev_b64 v[5:6], 4, v[9:10]
	v_ashrrev_i32_e32 v12, 31, v11
	v_add_co_u32 v187, vcc_lo, s4, v7
	v_add_co_ci_u32_e64 v188, null, s5, v8, vcc_lo
	v_lshlrev_b64 v[7:8], 4, v[11:12]
	v_add_co_u32 v189, vcc_lo, s4, v5
	v_add_nc_u32_e32 v5, s15, v11
	v_add_co_ci_u32_e64 v190, null, s5, v6, vcc_lo
	v_add_co_u32 v191, vcc_lo, s4, v7
	v_add_nc_u32_e32 v7, s15, v5
	v_ashrrev_i32_e32 v6, 31, v5
	v_add_co_ci_u32_e64 v192, null, s5, v8, vcc_lo
	s_clause 0x1
	global_load_dwordx4 v[1:4], v235, s[4:5]
	global_load_dwordx4 v[73:76], v[147:148], off
	v_add_nc_u32_e32 v9, s15, v7
	v_lshlrev_b64 v[5:6], 4, v[5:6]
	v_ashrrev_i32_e32 v8, 31, v7
	s_clause 0x1
	global_load_dwordx4 v[41:44], v[149:150], off
	global_load_dwordx4 v[53:56], v[151:152], off
	v_ashrrev_i32_e32 v10, 31, v9
	s_clause 0x1
	global_load_dwordx4 v[61:64], v[153:154], off
	global_load_dwordx4 v[21:24], v[155:156], off
	v_add_co_u32 v193, vcc_lo, s4, v5
	v_lshlrev_b64 v[7:8], 4, v[7:8]
	v_add_co_ci_u32_e64 v194, null, s5, v6, vcc_lo
	v_lshlrev_b64 v[5:6], 4, v[9:10]
	v_add_nc_u32_e32 v9, s15, v9
	global_load_dwordx4 v[25:28], v[157:158], off
	v_add_co_u32 v195, vcc_lo, s4, v7
	v_add_co_ci_u32_e64 v196, null, s5, v8, vcc_lo
	v_add_nc_u32_e32 v7, s15, v9
	v_ashrrev_i32_e32 v10, 31, v9
	v_add_co_u32 v197, vcc_lo, s4, v5
	v_add_co_ci_u32_e64 v198, null, s5, v6, vcc_lo
	v_ashrrev_i32_e32 v8, 31, v7
	v_lshlrev_b64 v[5:6], 4, v[9:10]
	v_add_nc_u32_e32 v10, s15, v7
	s_clause 0x2
	global_load_dwordx4 v[29:32], v[159:160], off
	global_load_dwordx4 v[33:36], v[161:162], off
	;; [unrolled: 1-line block ×3, first 2 shown]
	v_lshlrev_b64 v[8:9], 4, v[7:8]
	s_clause 0x1
	global_load_dwordx4 v[57:60], v[165:166], off
	global_load_dwordx4 v[65:68], v[167:168], off
	v_add_co_u32 v199, vcc_lo, s4, v5
	v_add_nc_u32_e32 v5, s15, v10
	v_ashrrev_i32_e32 v11, 31, v10
	v_add_co_ci_u32_e64 v200, null, s5, v6, vcc_lo
	v_add_co_u32 v201, vcc_lo, s4, v8
	v_add_co_ci_u32_e64 v202, null, s5, v9, vcc_lo
	v_add_nc_u32_e32 v9, s15, v5
	v_lshlrev_b64 v[7:8], 4, v[10:11]
	v_ashrrev_i32_e32 v6, 31, v5
	s_clause 0x4
	global_load_dwordx4 v[69:72], v[169:170], off
	global_load_dwordx4 v[97:100], v[171:172], off
	;; [unrolled: 1-line block ×5, first 2 shown]
	v_ashrrev_i32_e32 v10, 31, v9
	s_clause 0x1
	global_load_dwordx4 v[113:116], v[181:182], off
	global_load_dwordx4 v[109:112], v[183:184], off
	v_lshlrev_b64 v[5:6], 4, v[5:6]
	v_add_co_u32 v203, vcc_lo, s4, v7
	v_add_co_ci_u32_e64 v204, null, s5, v8, vcc_lo
	v_lshlrev_b64 v[7:8], 4, v[9:10]
	v_add_co_u32 v205, vcc_lo, s4, v5
	v_add_co_ci_u32_e64 v206, null, s5, v6, vcc_lo
	s_clause 0x1
	global_load_dwordx4 v[105:108], v[177:178], off
	global_load_dwordx4 v[101:104], v[185:186], off
	v_add_co_u32 v207, vcc_lo, s4, v7
	v_add_co_ci_u32_e64 v208, null, s5, v8, vcc_lo
	s_clause 0xa
	global_load_dwordx4 v[125:128], v[187:188], off
	global_load_dwordx4 v[121:124], v[189:190], off
	;; [unrolled: 1-line block ×11, first 2 shown]
	v_add_nc_u32_e32 v9, s15, v9
	s_movk_i32 s9, 0x60
	s_add_i32 s73, s9, 16
	s_movk_i32 s9, 0x80
	v_add_nc_u32_e32 v11, s15, v9
	v_ashrrev_i32_e32 v10, 31, v9
	s_add_i32 s71, s9, 16
	s_movk_i32 s9, 0xa0
	v_add_nc_u32_e32 v13, s15, v11
	v_ashrrev_i32_e32 v12, 31, v11
	v_lshlrev_b64 v[9:10], 4, v[9:10]
	s_add_i32 s69, s9, 16
	s_movk_i32 s9, 0xc0
	v_add_nc_u32_e32 v15, s15, v13
	v_ashrrev_i32_e32 v14, 31, v13
	v_lshlrev_b64 v[17:18], 4, v[11:12]
	v_add_co_u32 v209, vcc_lo, s4, v9
	v_add_nc_u32_e32 v19, s15, v15
	v_ashrrev_i32_e32 v16, 31, v15
	v_lshlrev_b64 v[13:14], 4, v[13:14]
	v_add_co_ci_u32_e64 v210, null, s5, v10, vcc_lo
	v_add_nc_u32_e32 v39, s15, v19
	v_ashrrev_i32_e32 v20, 31, v19
	v_lshlrev_b64 v[37:38], 4, v[15:16]
	v_add_co_u32 v211, vcc_lo, s4, v17
	v_add_nc_u32_e32 v51, s15, v39
	v_ashrrev_i32_e32 v40, 31, v39
	v_lshlrev_b64 v[49:50], 4, v[19:20]
	v_add_co_ci_u32_e64 v212, null, s5, v18, vcc_lo
	v_add_nc_u32_e32 v79, s15, v51
	v_ashrrev_i32_e32 v52, 31, v51
	v_add_co_u32 v213, vcc_lo, s4, v13
	v_lshlrev_b64 v[77:78], 4, v[39:40]
	v_add_nc_u32_e32 v83, s15, v79
	v_ashrrev_i32_e32 v80, 31, v79
	v_add_co_ci_u32_e64 v214, null, s5, v14, vcc_lo
	v_add_co_u32 v215, vcc_lo, s4, v37
	v_add_nc_u32_e32 v119, s15, v83
	v_lshlrev_b64 v[81:82], 4, v[51:52]
	v_ashrrev_i32_e32 v84, 31, v83
	v_add_co_ci_u32_e64 v216, null, s5, v38, vcc_lo
	v_add_nc_u32_e32 v227, s15, v119
	v_add_co_u32 v217, vcc_lo, s4, v49
	v_lshlrev_b64 v[117:118], 4, v[79:80]
	v_add_co_ci_u32_e64 v218, null, s5, v50, vcc_lo
	v_add_co_u32 v219, vcc_lo, s4, v77
	v_ashrrev_i32_e32 v120, 31, v119
	v_add_co_ci_u32_e64 v220, null, s5, v78, vcc_lo
	v_add_co_u32 v221, vcc_lo, s4, v81
	v_lshlrev_b64 v[225:226], 4, v[83:84]
	v_add_nc_u32_e32 v229, s15, v227
	v_add_co_ci_u32_e64 v222, null, s5, v82, vcc_lo
	v_add_co_u32 v223, vcc_lo, s4, v117
	v_add_co_ci_u32_e64 v224, null, s5, v118, vcc_lo
	v_lshlrev_b64 v[117:118], 4, v[119:120]
	v_ashrrev_i32_e32 v228, 31, v227
	v_add_nc_u32_e32 v233, s15, v229
	v_add_co_u32 v225, vcc_lo, s4, v225
	v_ashrrev_i32_e32 v230, 31, v229
	v_add_co_ci_u32_e64 v226, null, s5, v226, vcc_lo
	v_lshlrev_b64 v[231:232], 4, v[227:228]
	v_add_co_u32 v227, vcc_lo, s4, v117
	v_ashrrev_i32_e32 v234, 31, v233
	s_clause 0x6
	global_load_dwordx4 v[9:12], v[209:210], off
	global_load_dwordx4 v[17:20], v[211:212], off
	;; [unrolled: 1-line block ×7, first 2 shown]
	s_waitcnt vmcnt(38)
	buffer_store_dword v4, off, s[0:3], 0 offset:28
	buffer_store_dword v3, off, s[0:3], 0 offset:24
	;; [unrolled: 1-line block ×4, first 2 shown]
	v_lshlrev_b64 v[252:253], 4, v[229:230]
	v_add_co_ci_u32_e64 v228, null, s5, v118, vcc_lo
	s_clause 0x1
	global_load_dwordx4 v[117:120], v[223:224], off
	global_load_dwordx4 v[1:4], v[225:226], off
	s_waitcnt vmcnt(39)
	buffer_store_dword v76, off, s[0:3], 0 offset:44
	buffer_store_dword v75, off, s[0:3], 0 offset:40
	;; [unrolled: 1-line block ×4, first 2 shown]
	v_add_nc_u32_e32 v73, s15, v233
	v_add_co_u32 v229, vcc_lo, s4, v231
	v_lshlrev_b64 v[75:76], 4, v[233:234]
	v_add_co_ci_u32_e64 v230, null, s5, v232, vcc_lo
	v_add_co_u32 v231, vcc_lo, s4, v252
	v_add_nc_u32_e32 v252, s15, v73
	v_add_co_ci_u32_e64 v232, null, s5, v253, vcc_lo
	s_waitcnt vmcnt(38)
	buffer_store_dword v44, off, s[0:3], 0 offset:60
	buffer_store_dword v43, off, s[0:3], 0 offset:56
	buffer_store_dword v42, off, s[0:3], 0 offset:52
	buffer_store_dword v41, off, s[0:3], 0 offset:48
	s_waitcnt vmcnt(37)
	buffer_store_dword v56, off, s[0:3], 0 offset:76
	buffer_store_dword v55, off, s[0:3], 0 offset:72
	buffer_store_dword v54, off, s[0:3], 0 offset:68
	buffer_store_dword v53, off, s[0:3], 0 offset:64
	v_add_co_u32 v233, vcc_lo, s4, v75
	s_clause 0x1
	global_load_dwordx4 v[53:56], v[227:228], off
	global_load_dwordx4 v[41:44], v[229:230], off
	s_waitcnt vmcnt(38)
	buffer_store_dword v64, off, s[0:3], 0 offset:92
	buffer_store_dword v63, off, s[0:3], 0 offset:88
	;; [unrolled: 1-line block ×4, first 2 shown]
	v_add_nc_u32_e32 v61, s15, v252
	v_add_co_ci_u32_e64 v234, null, s5, v76, vcc_lo
	s_waitcnt vmcnt(37)
	buffer_store_dword v24, off, s[0:3], 0 offset:108
	buffer_store_dword v23, off, s[0:3], 0 offset:104
	;; [unrolled: 1-line block ×4, first 2 shown]
	s_waitcnt vmcnt(36)
	buffer_store_dword v28, off, s[0:3], 0 offset:124
	buffer_store_dword v27, off, s[0:3], 0 offset:120
	;; [unrolled: 1-line block ×4, first 2 shown]
	s_clause 0x1
	global_load_dwordx4 v[21:24], v[231:232], off
	global_load_dwordx4 v[25:28], v[233:234], off
	s_waitcnt vmcnt(37)
	buffer_store_dword v32, off, s[0:3], 0 offset:140
	buffer_store_dword v31, off, s[0:3], 0 offset:136
	buffer_store_dword v30, off, s[0:3], 0 offset:132
	buffer_store_dword v29, off, s[0:3], 0 offset:128
	s_waitcnt vmcnt(36)
	buffer_store_dword v36, off, s[0:3], 0 offset:156
	buffer_store_dword v35, off, s[0:3], 0 offset:152
	buffer_store_dword v34, off, s[0:3], 0 offset:148
	buffer_store_dword v33, off, s[0:3], 0 offset:144
	;; [unrolled: 5-line block ×24, first 2 shown]
	s_waitcnt vmcnt(13)
	buffer_store_dword v8, off, s[0:3], 0 offset:524
	v_add_nc_u32_e32 v29, s15, v61
	v_ashrrev_i32_e32 v62, 31, v61
	v_ashrrev_i32_e32 v74, 31, v73
	;; [unrolled: 1-line block ×3, first 2 shown]
	s_add_i32 s67, s9, 16
	v_add_nc_u32_e32 v45, s15, v29
	v_lshlrev_b64 v[31:32], 4, v[61:62]
	v_lshlrev_b64 v[73:74], 4, v[73:74]
	;; [unrolled: 1-line block ×3, first 2 shown]
	v_ashrrev_i32_e32 v30, 31, v29
	v_add_nc_u32_e32 v61, s15, v45
	v_ashrrev_i32_e32 v46, 31, v45
	s_movk_i32 s9, 0xe0
	v_add_co_u32 v85, vcc_lo, s4, v73
	v_ashrrev_i32_e32 v62, 31, v61
	v_add_co_ci_u32_e64 v86, null, s5, v74, vcc_lo
	v_add_co_u32 v87, vcc_lo, s4, v63
	v_lshlrev_b64 v[65:66], 4, v[61:62]
	v_add_nc_u32_e32 v61, s15, v61
	v_lshlrev_b64 v[33:34], 4, v[29:30]
	v_add_co_ci_u32_e64 v88, null, s5, v64, vcc_lo
	v_lshlrev_b64 v[63:64], 4, v[45:46]
	v_add_nc_u32_e32 v69, s15, v61
	v_ashrrev_i32_e32 v62, 31, v61
	v_add_co_u32 v89, vcc_lo, s4, v31
	v_add_co_ci_u32_e64 v90, null, s5, v32, vcc_lo
	v_add_nc_u32_e32 v71, s15, v69
	v_ashrrev_i32_e32 v70, 31, v69
	v_add_co_u32 v91, vcc_lo, s4, v33
	v_lshlrev_b64 v[73:74], 4, v[61:62]
	v_add_nc_u32_e32 v75, s15, v71
	v_add_co_ci_u32_e64 v92, null, s5, v34, vcc_lo
	v_add_co_u32 v93, vcc_lo, s4, v63
	v_add_nc_u32_e32 v105, s15, v75
	v_lshlrev_b64 v[69:70], 4, v[69:70]
	v_ashrrev_i32_e32 v72, 31, v71
	v_add_co_ci_u32_e64 v94, null, s5, v64, vcc_lo
	v_add_nc_u32_e32 v107, s15, v105
	v_add_co_u32 v95, vcc_lo, s4, v65
	v_ashrrev_i32_e32 v76, 31, v75
	v_add_co_ci_u32_e64 v96, null, s5, v66, vcc_lo
	v_add_co_u32 v97, vcc_lo, s4, v73
	v_ashrrev_i32_e32 v106, 31, v105
	v_add_nc_u32_e32 v110, s15, v107
	v_add_co_ci_u32_e64 v98, null, s5, v74, vcc_lo
	v_lshlrev_b64 v[71:72], 4, v[71:72]
	v_add_co_u32 v99, vcc_lo, s4, v69
	v_ashrrev_i32_e32 v108, 31, v107
	v_add_co_ci_u32_e64 v100, null, s5, v70, vcc_lo
	v_lshlrev_b64 v[69:70], 4, v[75:76]
	v_lshlrev_b64 v[105:106], 4, v[105:106]
	v_add_nc_u32_e32 v112, s15, v110
	v_add_co_u32 v101, vcc_lo, s4, v71
	v_lshlrev_b64 v[108:109], 4, v[107:108]
	v_add_co_ci_u32_e64 v102, null, s5, v72, vcc_lo
	v_add_co_u32 v103, vcc_lo, s4, v69
	v_ashrrev_i32_e32 v111, 31, v110
	v_ashrrev_i32_e32 v113, 31, v112
	v_add_nc_u32_e32 v114, s15, v112
	v_add_co_ci_u32_e64 v104, null, s5, v70, vcc_lo
	v_add_co_u32 v105, vcc_lo, s4, v105
	v_add_co_ci_u32_e64 v106, null, s5, v106, vcc_lo
	v_add_co_u32 v107, vcc_lo, s4, v108
	v_add_co_ci_u32_e64 v108, null, s5, v109, vcc_lo
	v_lshlrev_b64 v[109:110], 4, v[110:111]
	v_lshlrev_b64 v[111:112], 4, v[112:113]
	v_ashrrev_i32_e32 v115, 31, v114
	v_add_nc_u32_e32 v113, s15, v114
	s_clause 0x3
	global_load_dwordx4 v[29:32], v[85:86], off
	global_load_dwordx4 v[33:36], v[87:88], off
	;; [unrolled: 1-line block ×4, first 2 shown]
	v_add_co_u32 v109, vcc_lo, s4, v109
	v_lshlrev_b64 v[115:116], 4, v[114:115]
	v_ashrrev_i32_e32 v114, 31, v113
	v_add_nc_u32_e32 v123, s15, v113
	v_add_co_ci_u32_e64 v110, null, s5, v110, vcc_lo
	v_add_co_u32 v111, vcc_lo, s4, v111
	v_lshlrev_b64 v[121:122], 4, v[113:114]
	v_add_nc_u32_e32 v248, s15, v123
	v_ashrrev_i32_e32 v124, 31, v123
	v_add_co_ci_u32_e64 v112, null, s5, v112, vcc_lo
	v_add_co_u32 v113, vcc_lo, s4, v115
	v_ashrrev_i32_e32 v249, 31, v248
	v_add_co_ci_u32_e64 v114, null, s5, v116, vcc_lo
	v_add_co_u32 v115, vcc_lo, s4, v121
	v_add_co_ci_u32_e64 v116, null, s5, v122, vcc_lo
	v_lshlrev_b64 v[121:122], 4, v[123:124]
	v_lshlrev_b64 v[248:249], 4, v[248:249]
	s_clause 0x7
	global_load_dwordx4 v[61:64], v[93:94], off
	global_load_dwordx4 v[65:68], v[95:96], off
	;; [unrolled: 1-line block ×8, first 2 shown]
	v_add_co_u32 v123, vcc_lo, s4, v121
	v_add_co_ci_u32_e64 v124, null, s5, v122, vcc_lo
	v_add_co_u32 v121, vcc_lo, s4, v248
	v_add_co_ci_u32_e64 v122, null, s5, v249, vcc_lo
	s_clause 0x4
	global_load_dwordx4 v[141:144], v[109:110], off
	global_load_dwordx4 v[236:239], v[111:112], off
	;; [unrolled: 1-line block ×5, first 2 shown]
	buffer_store_dword v7, off, s[0:3], 0 offset:520
	buffer_store_dword v6, off, s[0:3], 0 offset:516
	;; [unrolled: 1-line block ×3, first 2 shown]
	global_load_dwordx4 v[5:8], v[121:122], off
	s_movk_i32 s5, 0x50
	s_add_i32 s64, s9, 16
	s_add_i32 s74, s5, 16
	s_movk_i32 s5, 0x70
	s_movk_i32 s9, 0x100
	s_add_i32 s72, s5, 16
	s_movk_i32 s5, 0x90
	s_add_i32 s61, s9, 16
	s_add_i32 s70, s5, 16
	s_movk_i32 s5, 0xb0
	s_movk_i32 s9, 0x120
	s_add_i32 s68, s5, 16
	;; [unrolled: 6-line block ×7, first 2 shown]
	s_movk_i32 s5, 0x210
	s_add_i32 s49, s9, 16
	s_movk_i32 s9, 0x1e0
	s_add_i32 s44, s5, 16
	;; [unrolled: 2-line block ×16, first 2 shown]
	s_movk_i32 s5, 0x310
	s_movk_i32 s4, 0x390
	s_add_i32 s33, s9, 16
	s_movk_i32 s9, 0x2e0
	s_add_i32 s27, s5, 16
	;; [unrolled: 2-line block ×10, first 2 shown]
	s_add_i32 s16, s4, 16
	s_movk_i32 s4, 0x3b0
	s_movk_i32 s5, 0x3c0
	s_add_i32 s24, s9, 16
	s_movk_i32 s9, 0x380
	s_add_i32 s15, s4, 16
	s_add_i32 s14, s5, 16
	s_movk_i32 s4, 0x3d0
	s_movk_i32 s5, 0x3e0
	s_add_i32 s18, s9, 16
	s_add_i32 s13, s4, 16
	;; [unrolled: 1-line block ×3, first 2 shown]
	s_bitcmp0_b32 s8, 0
	s_mov_b32 s5, -1
	s_waitcnt vmcnt(30)
	buffer_store_dword v12, off, s[0:3], 0 offset:540
	buffer_store_dword v11, off, s[0:3], 0 offset:536
	buffer_store_dword v10, off, s[0:3], 0 offset:532
	buffer_store_dword v9, off, s[0:3], 0 offset:528
	s_waitcnt vmcnt(29)
	buffer_store_dword v20, off, s[0:3], 0 offset:556
	buffer_store_dword v19, off, s[0:3], 0 offset:552
	buffer_store_dword v18, off, s[0:3], 0 offset:548
	buffer_store_dword v17, off, s[0:3], 0 offset:544
	;; [unrolled: 5-line block ×31, first 2 shown]
	s_cbranch_scc1 .LBB62_276
; %bb.4:
	v_cmp_eq_u32_e64 s4, 0, v0
	s_and_saveexec_b32 s5, s4
; %bb.5:
	v_mov_b32_e32 v1, 0
	ds_write_b32 v1, v1 offset:2016
; %bb.6:
	s_or_b32 exec_lo, exec_lo, s5
	v_lshl_add_u32 v11, v0, 4, 16
	s_waitcnt lgkmcnt(0)
	s_waitcnt_vscnt null, 0x0
	s_barrier
	buffer_gl0_inv
	s_clause 0x3
	buffer_load_dword v1, v11, s[0:3], 0 offen
	buffer_load_dword v2, v11, s[0:3], 0 offen offset:4
	buffer_load_dword v3, v11, s[0:3], 0 offen offset:8
	;; [unrolled: 1-line block ×3, first 2 shown]
	s_waitcnt vmcnt(2)
	v_cmp_eq_f64_e32 vcc_lo, 0, v[1:2]
	s_waitcnt vmcnt(0)
	v_cmp_eq_f64_e64 s5, 0, v[3:4]
	s_and_b32 s5, vcc_lo, s5
	s_and_saveexec_b32 s8, s5
	s_cbranch_execz .LBB62_10
; %bb.7:
	v_mov_b32_e32 v1, 0
	s_mov_b32 s9, 0
	ds_read_b32 v2, v1 offset:2016
	s_waitcnt lgkmcnt(0)
	v_readfirstlane_b32 s5, v2
	v_add_nc_u32_e32 v2, 1, v0
	s_cmp_eq_u32 s5, 0
	v_cmp_gt_i32_e32 vcc_lo, s5, v2
	s_cselect_b32 s78, -1, 0
	s_or_b32 s78, s78, vcc_lo
	s_and_b32 exec_lo, exec_lo, s78
	s_cbranch_execz .LBB62_10
; %bb.8:
	v_mov_b32_e32 v3, s5
.LBB62_9:                               ; =>This Inner Loop Header: Depth=1
	ds_cmpst_rtn_b32 v3, v1, v3, v2 offset:2016
	s_waitcnt lgkmcnt(0)
	v_cmp_ne_u32_e32 vcc_lo, 0, v3
	v_cmp_le_i32_e64 s5, v3, v2
	s_and_b32 s5, vcc_lo, s5
	s_and_b32 s5, exec_lo, s5
	s_or_b32 s9, s5, s9
	s_andn2_b32 exec_lo, exec_lo, s9
	s_cbranch_execnz .LBB62_9
.LBB62_10:
	s_or_b32 exec_lo, exec_lo, s8
	v_mov_b32_e32 v1, 0
	s_barrier
	buffer_gl0_inv
	ds_read_b32 v2, v1 offset:2016
	s_and_saveexec_b32 s5, s4
	s_cbranch_execz .LBB62_12
; %bb.11:
	s_lshl_b64 s[8:9], s[6:7], 2
	s_add_u32 s8, s10, s8
	s_addc_u32 s9, s11, s9
	s_waitcnt lgkmcnt(0)
	global_store_dword v1, v2, s[8:9]
.LBB62_12:
	s_or_b32 exec_lo, exec_lo, s5
	s_waitcnt lgkmcnt(0)
	v_cmp_ne_u32_e32 vcc_lo, 0, v2
	s_mov_b32 s5, 0
	s_cbranch_vccnz .LBB62_276
; %bb.13:
	s_clause 0x3
	buffer_load_dword v7, v11, s[0:3], 0 offen
	buffer_load_dword v8, v11, s[0:3], 0 offen offset:4
	buffer_load_dword v9, v11, s[0:3], 0 offen offset:8
	;; [unrolled: 1-line block ×3, first 2 shown]
                                        ; implicit-def: $vgpr5_vgpr6
                                        ; implicit-def: $vgpr3_vgpr4
	s_waitcnt vmcnt(0)
	v_cmp_ngt_f64_e64 s5, |v[7:8]|, |v[9:10]|
	s_and_saveexec_b32 s8, s5
	s_xor_b32 s5, exec_lo, s8
	s_cbranch_execz .LBB62_15
; %bb.14:
	v_div_scale_f64 v[1:2], null, v[9:10], v[9:10], v[7:8]
	v_div_scale_f64 v[12:13], vcc_lo, v[7:8], v[9:10], v[7:8]
	v_rcp_f64_e32 v[3:4], v[1:2]
	v_fma_f64 v[5:6], -v[1:2], v[3:4], 1.0
	v_fma_f64 v[3:4], v[3:4], v[5:6], v[3:4]
	v_fma_f64 v[5:6], -v[1:2], v[3:4], 1.0
	v_fma_f64 v[3:4], v[3:4], v[5:6], v[3:4]
	v_mul_f64 v[5:6], v[12:13], v[3:4]
	v_fma_f64 v[1:2], -v[1:2], v[5:6], v[12:13]
	v_div_fmas_f64 v[1:2], v[1:2], v[3:4], v[5:6]
	v_div_fixup_f64 v[1:2], v[1:2], v[9:10], v[7:8]
	v_fma_f64 v[3:4], v[7:8], v[1:2], v[9:10]
	v_div_scale_f64 v[5:6], null, v[3:4], v[3:4], 1.0
	v_div_scale_f64 v[12:13], vcc_lo, 1.0, v[3:4], 1.0
	v_rcp_f64_e32 v[7:8], v[5:6]
	v_fma_f64 v[9:10], -v[5:6], v[7:8], 1.0
	v_fma_f64 v[7:8], v[7:8], v[9:10], v[7:8]
	v_fma_f64 v[9:10], -v[5:6], v[7:8], 1.0
	v_fma_f64 v[7:8], v[7:8], v[9:10], v[7:8]
	v_mul_f64 v[9:10], v[12:13], v[7:8]
	v_fma_f64 v[5:6], -v[5:6], v[9:10], v[12:13]
	v_div_fmas_f64 v[5:6], v[5:6], v[7:8], v[9:10]
                                        ; implicit-def: $vgpr7_vgpr8
                                        ; implicit-def: $vgpr9_vgpr10
	v_div_fixup_f64 v[3:4], v[5:6], v[3:4], 1.0
	v_mul_f64 v[5:6], v[1:2], v[3:4]
	v_xor_b32_e32 v4, 0x80000000, v4
	v_xor_b32_e32 v2, 0x80000000, v6
	v_mov_b32_e32 v1, v5
.LBB62_15:
	s_andn2_saveexec_b32 s5, s5
	s_cbranch_execz .LBB62_17
; %bb.16:
	v_div_scale_f64 v[1:2], null, v[7:8], v[7:8], v[9:10]
	v_div_scale_f64 v[12:13], vcc_lo, v[9:10], v[7:8], v[9:10]
	v_rcp_f64_e32 v[3:4], v[1:2]
	v_fma_f64 v[5:6], -v[1:2], v[3:4], 1.0
	v_fma_f64 v[3:4], v[3:4], v[5:6], v[3:4]
	v_fma_f64 v[5:6], -v[1:2], v[3:4], 1.0
	v_fma_f64 v[3:4], v[3:4], v[5:6], v[3:4]
	v_mul_f64 v[5:6], v[12:13], v[3:4]
	v_fma_f64 v[1:2], -v[1:2], v[5:6], v[12:13]
	v_div_fmas_f64 v[1:2], v[1:2], v[3:4], v[5:6]
	v_div_fixup_f64 v[1:2], v[1:2], v[7:8], v[9:10]
	v_fma_f64 v[3:4], v[9:10], v[1:2], v[7:8]
	v_div_scale_f64 v[5:6], null, v[3:4], v[3:4], 1.0
	v_rcp_f64_e32 v[7:8], v[5:6]
	v_fma_f64 v[9:10], -v[5:6], v[7:8], 1.0
	v_fma_f64 v[7:8], v[7:8], v[9:10], v[7:8]
	v_fma_f64 v[9:10], -v[5:6], v[7:8], 1.0
	v_fma_f64 v[7:8], v[7:8], v[9:10], v[7:8]
	v_div_scale_f64 v[9:10], vcc_lo, 1.0, v[3:4], 1.0
	v_mul_f64 v[12:13], v[9:10], v[7:8]
	v_fma_f64 v[5:6], -v[5:6], v[12:13], v[9:10]
	v_div_fmas_f64 v[5:6], v[5:6], v[7:8], v[12:13]
	v_div_fixup_f64 v[5:6], v[5:6], v[3:4], 1.0
	v_mul_f64 v[3:4], v[1:2], -v[5:6]
	v_xor_b32_e32 v2, 0x80000000, v6
	v_mov_b32_e32 v1, v5
.LBB62_17:
	s_or_b32 exec_lo, exec_lo, s5
	v_mov_b32_e32 v10, s65
	buffer_store_dword v6, v11, s[0:3], 0 offen offset:4
	buffer_store_dword v5, v11, s[0:3], 0 offen
	buffer_store_dword v4, v11, s[0:3], 0 offen offset:12
	buffer_store_dword v3, v11, s[0:3], 0 offen offset:8
	v_xor_b32_e32 v4, 0x80000000, v4
	v_add_nc_u32_e32 v5, 0x3f0, v235
	s_clause 0x3
	buffer_load_dword v9, v10, s[0:3], 0 offen offset:12
	buffer_load_dword v8, v10, s[0:3], 0 offen offset:8
	;; [unrolled: 1-line block ×3, first 2 shown]
	buffer_load_dword v6, v10, s[0:3], 0 offen
	ds_write_b128 v235, v[1:4]
	s_waitcnt vmcnt(0)
	ds_write_b128 v235, v[6:9] offset:1008
	s_waitcnt lgkmcnt(0)
	s_waitcnt_vscnt null, 0x0
	s_barrier
	buffer_gl0_inv
	s_and_saveexec_b32 s5, s4
	s_cbranch_execz .LBB62_19
; %bb.18:
	s_clause 0x3
	buffer_load_dword v12, v11, s[0:3], 0 offen offset:8
	buffer_load_dword v13, v11, s[0:3], 0 offen offset:12
	buffer_load_dword v14, v11, s[0:3], 0 offen
	buffer_load_dword v15, v11, s[0:3], 0 offen offset:4
	ds_read_b128 v[1:4], v5
	v_mov_b32_e32 v6, 0
	ds_read_b128 v[6:9], v6 offset:16
	s_waitcnt vmcnt(2) lgkmcnt(1)
	v_mul_f64 v[16:17], v[1:2], v[12:13]
	v_mul_f64 v[12:13], v[3:4], v[12:13]
	s_waitcnt vmcnt(0)
	v_fma_f64 v[3:4], v[3:4], v[14:15], v[16:17]
	v_fma_f64 v[1:2], v[1:2], v[14:15], -v[12:13]
	v_add_f64 v[3:4], v[3:4], 0
	v_add_f64 v[1:2], v[1:2], 0
	s_waitcnt lgkmcnt(0)
	v_mul_f64 v[12:13], v[3:4], v[8:9]
	v_mul_f64 v[8:9], v[1:2], v[8:9]
	v_fma_f64 v[1:2], v[1:2], v[6:7], -v[12:13]
	v_fma_f64 v[3:4], v[3:4], v[6:7], v[8:9]
	buffer_store_dword v1, off, s[0:3], 0 offset:32
	buffer_store_dword v2, off, s[0:3], 0 offset:36
	;; [unrolled: 1-line block ×4, first 2 shown]
.LBB62_19:
	s_or_b32 exec_lo, exec_lo, s5
	v_mov_b32_e32 v4, s63
	s_waitcnt_vscnt null, 0x0
	s_barrier
	buffer_gl0_inv
	v_cmp_gt_u32_e32 vcc_lo, 2, v0
	s_clause 0x3
	buffer_load_dword v1, v4, s[0:3], 0 offen
	buffer_load_dword v2, v4, s[0:3], 0 offen offset:4
	buffer_load_dword v3, v4, s[0:3], 0 offen offset:8
	;; [unrolled: 1-line block ×3, first 2 shown]
	s_waitcnt vmcnt(0)
	ds_write_b128 v5, v[1:4]
	s_waitcnt lgkmcnt(0)
	s_barrier
	buffer_gl0_inv
	s_and_saveexec_b32 s5, vcc_lo
	s_cbranch_execz .LBB62_23
; %bb.20:
	s_clause 0x3
	buffer_load_dword v6, v11, s[0:3], 0 offen offset:8
	buffer_load_dword v7, v11, s[0:3], 0 offen offset:12
	buffer_load_dword v8, v11, s[0:3], 0 offen
	buffer_load_dword v9, v11, s[0:3], 0 offen offset:4
	ds_read_b128 v[1:4], v5
	s_waitcnt vmcnt(2) lgkmcnt(0)
	v_mul_f64 v[12:13], v[3:4], v[6:7]
	v_mul_f64 v[6:7], v[1:2], v[6:7]
	s_waitcnt vmcnt(0)
	v_fma_f64 v[1:2], v[1:2], v[8:9], -v[12:13]
	v_fma_f64 v[3:4], v[3:4], v[8:9], v[6:7]
	v_add_f64 v[1:2], v[1:2], 0
	v_add_f64 v[3:4], v[3:4], 0
	s_and_saveexec_b32 s8, s4
	s_cbranch_execz .LBB62_22
; %bb.21:
	s_clause 0x3
	buffer_load_dword v12, off, s[0:3], 0 offset:40
	buffer_load_dword v13, off, s[0:3], 0 offset:44
	;; [unrolled: 1-line block ×4, first 2 shown]
	v_mov_b32_e32 v6, 0
	ds_read_b128 v[6:9], v6 offset:1024
	s_waitcnt vmcnt(2) lgkmcnt(0)
	v_mul_f64 v[16:17], v[6:7], v[12:13]
	v_mul_f64 v[12:13], v[8:9], v[12:13]
	s_waitcnt vmcnt(0)
	v_fma_f64 v[8:9], v[8:9], v[14:15], v[16:17]
	v_fma_f64 v[6:7], v[6:7], v[14:15], -v[12:13]
	v_add_f64 v[3:4], v[3:4], v[8:9]
	v_add_f64 v[1:2], v[1:2], v[6:7]
.LBB62_22:
	s_or_b32 exec_lo, exec_lo, s8
	v_mov_b32_e32 v6, 0
	ds_read_b128 v[6:9], v6 offset:32
	s_waitcnt lgkmcnt(0)
	v_mul_f64 v[12:13], v[3:4], v[8:9]
	v_mul_f64 v[8:9], v[1:2], v[8:9]
	v_fma_f64 v[1:2], v[1:2], v[6:7], -v[12:13]
	v_fma_f64 v[3:4], v[3:4], v[6:7], v[8:9]
	buffer_store_dword v2, off, s[0:3], 0 offset:52
	buffer_store_dword v1, off, s[0:3], 0 offset:48
	buffer_store_dword v4, off, s[0:3], 0 offset:60
	buffer_store_dword v3, off, s[0:3], 0 offset:56
.LBB62_23:
	s_or_b32 exec_lo, exec_lo, s5
	v_mov_b32_e32 v4, s77
	s_waitcnt_vscnt null, 0x0
	s_barrier
	buffer_gl0_inv
	v_add_nc_u32_e32 v6, -1, v0
	s_clause 0x3
	buffer_load_dword v1, v4, s[0:3], 0 offen
	buffer_load_dword v2, v4, s[0:3], 0 offen offset:4
	buffer_load_dword v3, v4, s[0:3], 0 offen offset:8
	;; [unrolled: 1-line block ×3, first 2 shown]
	s_mov_b32 s8, exec_lo
	s_waitcnt vmcnt(0)
	ds_write_b128 v5, v[1:4]
	s_waitcnt lgkmcnt(0)
	s_barrier
	buffer_gl0_inv
	v_cmpx_gt_u32_e32 3, v0
	s_cbranch_execz .LBB62_27
; %bb.24:
	v_mov_b32_e32 v1, 0
	v_mov_b32_e32 v3, 0
	v_add_nc_u32_e32 v7, -1, v0
	v_add_nc_u32_e32 v8, 0x3f0, v235
	v_mov_b32_e32 v2, 0
	v_mov_b32_e32 v4, 0
	v_add_nc_u32_e32 v9, 16, v235
	s_mov_b32 s9, 0
	.p2align	6
.LBB62_25:                              ; =>This Inner Loop Header: Depth=1
	s_clause 0x3
	buffer_load_dword v16, v9, s[0:3], 0 offen offset:8
	buffer_load_dword v17, v9, s[0:3], 0 offen offset:12
	buffer_load_dword v18, v9, s[0:3], 0 offen
	buffer_load_dword v19, v9, s[0:3], 0 offen offset:4
	ds_read_b128 v[12:15], v8
	v_add_nc_u32_e32 v7, 1, v7
	v_add_nc_u32_e32 v8, 16, v8
	;; [unrolled: 1-line block ×3, first 2 shown]
	v_cmp_lt_u32_e64 s5, 1, v7
	s_or_b32 s9, s5, s9
	s_waitcnt vmcnt(2) lgkmcnt(0)
	v_mul_f64 v[20:21], v[14:15], v[16:17]
	v_mul_f64 v[16:17], v[12:13], v[16:17]
	s_waitcnt vmcnt(0)
	v_fma_f64 v[12:13], v[12:13], v[18:19], -v[20:21]
	v_fma_f64 v[14:15], v[14:15], v[18:19], v[16:17]
	v_add_f64 v[3:4], v[3:4], v[12:13]
	v_add_f64 v[1:2], v[1:2], v[14:15]
	s_andn2_b32 exec_lo, exec_lo, s9
	s_cbranch_execnz .LBB62_25
; %bb.26:
	s_or_b32 exec_lo, exec_lo, s9
	v_mov_b32_e32 v7, 0
	ds_read_b128 v[7:10], v7 offset:48
	s_waitcnt lgkmcnt(0)
	v_mul_f64 v[12:13], v[1:2], v[9:10]
	v_mul_f64 v[9:10], v[3:4], v[9:10]
	v_fma_f64 v[3:4], v[3:4], v[7:8], -v[12:13]
	v_fma_f64 v[1:2], v[1:2], v[7:8], v[9:10]
	buffer_store_dword v4, off, s[0:3], 0 offset:68
	buffer_store_dword v3, off, s[0:3], 0 offset:64
	;; [unrolled: 1-line block ×4, first 2 shown]
.LBB62_27:
	s_or_b32 exec_lo, exec_lo, s8
	v_mov_b32_e32 v4, s75
	s_waitcnt_vscnt null, 0x0
	s_barrier
	buffer_gl0_inv
	v_cmp_gt_u32_e64 s5, 4, v0
	s_clause 0x3
	buffer_load_dword v1, v4, s[0:3], 0 offen
	buffer_load_dword v2, v4, s[0:3], 0 offen offset:4
	buffer_load_dword v3, v4, s[0:3], 0 offen offset:8
	;; [unrolled: 1-line block ×3, first 2 shown]
	s_waitcnt vmcnt(0)
	ds_write_b128 v5, v[1:4]
	s_waitcnt lgkmcnt(0)
	s_barrier
	buffer_gl0_inv
	s_and_saveexec_b32 s9, s5
	s_cbranch_execz .LBB62_31
; %bb.28:
	v_mov_b32_e32 v1, 0
	v_mov_b32_e32 v3, 0
	v_add_nc_u32_e32 v7, -1, v0
	v_add_nc_u32_e32 v8, 0x3f0, v235
	v_mov_b32_e32 v2, 0
	v_mov_b32_e32 v4, 0
	v_add_nc_u32_e32 v9, 16, v235
	s_mov_b32 s78, 0
	.p2align	6
.LBB62_29:                              ; =>This Inner Loop Header: Depth=1
	s_clause 0x3
	buffer_load_dword v16, v9, s[0:3], 0 offen offset:8
	buffer_load_dword v17, v9, s[0:3], 0 offen offset:12
	buffer_load_dword v18, v9, s[0:3], 0 offen
	buffer_load_dword v19, v9, s[0:3], 0 offen offset:4
	ds_read_b128 v[12:15], v8
	v_add_nc_u32_e32 v7, 1, v7
	v_add_nc_u32_e32 v8, 16, v8
	;; [unrolled: 1-line block ×3, first 2 shown]
	v_cmp_lt_u32_e64 s8, 2, v7
	s_or_b32 s78, s8, s78
	s_waitcnt vmcnt(2) lgkmcnt(0)
	v_mul_f64 v[20:21], v[14:15], v[16:17]
	v_mul_f64 v[16:17], v[12:13], v[16:17]
	s_waitcnt vmcnt(0)
	v_fma_f64 v[12:13], v[12:13], v[18:19], -v[20:21]
	v_fma_f64 v[14:15], v[14:15], v[18:19], v[16:17]
	v_add_f64 v[3:4], v[3:4], v[12:13]
	v_add_f64 v[1:2], v[1:2], v[14:15]
	s_andn2_b32 exec_lo, exec_lo, s78
	s_cbranch_execnz .LBB62_29
; %bb.30:
	s_or_b32 exec_lo, exec_lo, s78
	v_mov_b32_e32 v7, 0
	ds_read_b128 v[7:10], v7 offset:64
	s_waitcnt lgkmcnt(0)
	v_mul_f64 v[12:13], v[1:2], v[9:10]
	v_mul_f64 v[9:10], v[3:4], v[9:10]
	v_fma_f64 v[3:4], v[3:4], v[7:8], -v[12:13]
	v_fma_f64 v[1:2], v[1:2], v[7:8], v[9:10]
	buffer_store_dword v4, off, s[0:3], 0 offset:84
	buffer_store_dword v3, off, s[0:3], 0 offset:80
	;; [unrolled: 1-line block ×4, first 2 shown]
.LBB62_31:
	s_or_b32 exec_lo, exec_lo, s9
	v_mov_b32_e32 v4, s74
	s_waitcnt_vscnt null, 0x0
	s_barrier
	buffer_gl0_inv
	s_mov_b32 s9, exec_lo
	s_clause 0x3
	buffer_load_dword v1, v4, s[0:3], 0 offen
	buffer_load_dword v2, v4, s[0:3], 0 offen offset:4
	buffer_load_dword v3, v4, s[0:3], 0 offen offset:8
	;; [unrolled: 1-line block ×3, first 2 shown]
	s_waitcnt vmcnt(0)
	ds_write_b128 v5, v[1:4]
	s_waitcnt lgkmcnt(0)
	s_barrier
	buffer_gl0_inv
	v_cmpx_gt_u32_e32 5, v0
	s_cbranch_execz .LBB62_35
; %bb.32:
	v_mov_b32_e32 v1, 0
	v_mov_b32_e32 v3, 0
	v_add_nc_u32_e32 v7, -1, v0
	v_add_nc_u32_e32 v8, 0x3f0, v235
	v_mov_b32_e32 v2, 0
	v_mov_b32_e32 v4, 0
	v_add_nc_u32_e32 v9, 16, v235
	s_mov_b32 s78, 0
	.p2align	6
.LBB62_33:                              ; =>This Inner Loop Header: Depth=1
	s_clause 0x3
	buffer_load_dword v16, v9, s[0:3], 0 offen offset:8
	buffer_load_dword v17, v9, s[0:3], 0 offen offset:12
	buffer_load_dword v18, v9, s[0:3], 0 offen
	buffer_load_dword v19, v9, s[0:3], 0 offen offset:4
	ds_read_b128 v[12:15], v8
	v_add_nc_u32_e32 v7, 1, v7
	v_add_nc_u32_e32 v8, 16, v8
	;; [unrolled: 1-line block ×3, first 2 shown]
	v_cmp_lt_u32_e64 s8, 3, v7
	s_or_b32 s78, s8, s78
	s_waitcnt vmcnt(2) lgkmcnt(0)
	v_mul_f64 v[20:21], v[14:15], v[16:17]
	v_mul_f64 v[16:17], v[12:13], v[16:17]
	s_waitcnt vmcnt(0)
	v_fma_f64 v[12:13], v[12:13], v[18:19], -v[20:21]
	v_fma_f64 v[14:15], v[14:15], v[18:19], v[16:17]
	v_add_f64 v[3:4], v[3:4], v[12:13]
	v_add_f64 v[1:2], v[1:2], v[14:15]
	s_andn2_b32 exec_lo, exec_lo, s78
	s_cbranch_execnz .LBB62_33
; %bb.34:
	s_or_b32 exec_lo, exec_lo, s78
	v_mov_b32_e32 v7, 0
	ds_read_b128 v[7:10], v7 offset:80
	s_waitcnt lgkmcnt(0)
	v_mul_f64 v[12:13], v[1:2], v[9:10]
	v_mul_f64 v[9:10], v[3:4], v[9:10]
	v_fma_f64 v[3:4], v[3:4], v[7:8], -v[12:13]
	v_fma_f64 v[1:2], v[1:2], v[7:8], v[9:10]
	buffer_store_dword v4, off, s[0:3], 0 offset:100
	buffer_store_dword v3, off, s[0:3], 0 offset:96
	;; [unrolled: 1-line block ×4, first 2 shown]
.LBB62_35:
	s_or_b32 exec_lo, exec_lo, s9
	v_mov_b32_e32 v4, s73
	s_waitcnt_vscnt null, 0x0
	s_barrier
	buffer_gl0_inv
	v_cmp_gt_u32_e64 s8, 6, v0
	s_clause 0x3
	buffer_load_dword v1, v4, s[0:3], 0 offen
	buffer_load_dword v2, v4, s[0:3], 0 offen offset:4
	buffer_load_dword v3, v4, s[0:3], 0 offen offset:8
	;; [unrolled: 1-line block ×3, first 2 shown]
	s_waitcnt vmcnt(0)
	ds_write_b128 v5, v[1:4]
	s_waitcnt lgkmcnt(0)
	s_barrier
	buffer_gl0_inv
	s_and_saveexec_b32 s78, s8
	s_cbranch_execz .LBB62_39
; %bb.36:
	v_mov_b32_e32 v1, 0
	v_mov_b32_e32 v3, 0
	v_add_nc_u32_e32 v7, -1, v0
	v_add_nc_u32_e32 v8, 0x3f0, v235
	v_mov_b32_e32 v2, 0
	v_mov_b32_e32 v4, 0
	v_add_nc_u32_e32 v9, 16, v235
	s_mov_b32 s79, 0
	.p2align	6
.LBB62_37:                              ; =>This Inner Loop Header: Depth=1
	s_clause 0x3
	buffer_load_dword v16, v9, s[0:3], 0 offen offset:8
	buffer_load_dword v17, v9, s[0:3], 0 offen offset:12
	buffer_load_dword v18, v9, s[0:3], 0 offen
	buffer_load_dword v19, v9, s[0:3], 0 offen offset:4
	ds_read_b128 v[12:15], v8
	v_add_nc_u32_e32 v7, 1, v7
	v_add_nc_u32_e32 v8, 16, v8
	;; [unrolled: 1-line block ×3, first 2 shown]
	v_cmp_lt_u32_e64 s9, 4, v7
	s_or_b32 s79, s9, s79
	s_waitcnt vmcnt(2) lgkmcnt(0)
	v_mul_f64 v[20:21], v[14:15], v[16:17]
	v_mul_f64 v[16:17], v[12:13], v[16:17]
	s_waitcnt vmcnt(0)
	v_fma_f64 v[12:13], v[12:13], v[18:19], -v[20:21]
	v_fma_f64 v[14:15], v[14:15], v[18:19], v[16:17]
	v_add_f64 v[3:4], v[3:4], v[12:13]
	v_add_f64 v[1:2], v[1:2], v[14:15]
	s_andn2_b32 exec_lo, exec_lo, s79
	s_cbranch_execnz .LBB62_37
; %bb.38:
	s_or_b32 exec_lo, exec_lo, s79
	v_mov_b32_e32 v7, 0
	ds_read_b128 v[7:10], v7 offset:96
	s_waitcnt lgkmcnt(0)
	v_mul_f64 v[12:13], v[1:2], v[9:10]
	v_mul_f64 v[9:10], v[3:4], v[9:10]
	v_fma_f64 v[3:4], v[3:4], v[7:8], -v[12:13]
	v_fma_f64 v[1:2], v[1:2], v[7:8], v[9:10]
	buffer_store_dword v4, off, s[0:3], 0 offset:116
	buffer_store_dword v3, off, s[0:3], 0 offset:112
	;; [unrolled: 1-line block ×4, first 2 shown]
.LBB62_39:
	s_or_b32 exec_lo, exec_lo, s78
	v_mov_b32_e32 v4, s72
	s_waitcnt_vscnt null, 0x0
	s_barrier
	buffer_gl0_inv
	s_mov_b32 s78, exec_lo
	s_clause 0x3
	buffer_load_dword v1, v4, s[0:3], 0 offen
	buffer_load_dword v2, v4, s[0:3], 0 offen offset:4
	buffer_load_dword v3, v4, s[0:3], 0 offen offset:8
	;; [unrolled: 1-line block ×3, first 2 shown]
	s_waitcnt vmcnt(0)
	ds_write_b128 v5, v[1:4]
	s_waitcnt lgkmcnt(0)
	s_barrier
	buffer_gl0_inv
	v_cmpx_gt_u32_e32 7, v0
	s_cbranch_execz .LBB62_43
; %bb.40:
	v_mov_b32_e32 v1, 0
	v_mov_b32_e32 v3, 0
	v_add_nc_u32_e32 v7, -1, v0
	v_add_nc_u32_e32 v8, 0x3f0, v235
	v_mov_b32_e32 v2, 0
	v_mov_b32_e32 v4, 0
	v_add_nc_u32_e32 v9, 16, v235
	s_mov_b32 s79, 0
	.p2align	6
.LBB62_41:                              ; =>This Inner Loop Header: Depth=1
	s_clause 0x3
	buffer_load_dword v16, v9, s[0:3], 0 offen offset:8
	buffer_load_dword v17, v9, s[0:3], 0 offen offset:12
	buffer_load_dword v18, v9, s[0:3], 0 offen
	buffer_load_dword v19, v9, s[0:3], 0 offen offset:4
	ds_read_b128 v[12:15], v8
	v_add_nc_u32_e32 v7, 1, v7
	v_add_nc_u32_e32 v8, 16, v8
	;; [unrolled: 1-line block ×3, first 2 shown]
	v_cmp_lt_u32_e64 s9, 5, v7
	s_or_b32 s79, s9, s79
	s_waitcnt vmcnt(2) lgkmcnt(0)
	v_mul_f64 v[20:21], v[14:15], v[16:17]
	v_mul_f64 v[16:17], v[12:13], v[16:17]
	s_waitcnt vmcnt(0)
	v_fma_f64 v[12:13], v[12:13], v[18:19], -v[20:21]
	v_fma_f64 v[14:15], v[14:15], v[18:19], v[16:17]
	v_add_f64 v[3:4], v[3:4], v[12:13]
	v_add_f64 v[1:2], v[1:2], v[14:15]
	s_andn2_b32 exec_lo, exec_lo, s79
	s_cbranch_execnz .LBB62_41
; %bb.42:
	s_or_b32 exec_lo, exec_lo, s79
	v_mov_b32_e32 v7, 0
	ds_read_b128 v[7:10], v7 offset:112
	s_waitcnt lgkmcnt(0)
	v_mul_f64 v[12:13], v[1:2], v[9:10]
	v_mul_f64 v[9:10], v[3:4], v[9:10]
	v_fma_f64 v[3:4], v[3:4], v[7:8], -v[12:13]
	v_fma_f64 v[1:2], v[1:2], v[7:8], v[9:10]
	buffer_store_dword v4, off, s[0:3], 0 offset:132
	buffer_store_dword v3, off, s[0:3], 0 offset:128
	;; [unrolled: 1-line block ×4, first 2 shown]
.LBB62_43:
	s_or_b32 exec_lo, exec_lo, s78
	v_mov_b32_e32 v4, s71
	s_waitcnt_vscnt null, 0x0
	s_barrier
	buffer_gl0_inv
	s_mov_b32 s78, exec_lo
	s_clause 0x3
	buffer_load_dword v1, v4, s[0:3], 0 offen
	buffer_load_dword v2, v4, s[0:3], 0 offen offset:4
	buffer_load_dword v3, v4, s[0:3], 0 offen offset:8
	;; [unrolled: 1-line block ×3, first 2 shown]
	s_waitcnt vmcnt(0)
	ds_write_b128 v5, v[1:4]
	s_waitcnt lgkmcnt(0)
	s_barrier
	buffer_gl0_inv
	v_cmpx_gt_u32_e32 8, v0
	s_cbranch_execz .LBB62_59
; %bb.44:
	s_clause 0x3
	buffer_load_dword v7, v11, s[0:3], 0 offen offset:8
	buffer_load_dword v8, v11, s[0:3], 0 offen offset:12
	buffer_load_dword v9, v11, s[0:3], 0 offen
	buffer_load_dword v10, v11, s[0:3], 0 offen offset:4
	ds_read_b128 v[1:4], v5
	s_mov_b32 s79, exec_lo
	s_waitcnt vmcnt(2) lgkmcnt(0)
	v_mul_f64 v[12:13], v[3:4], v[7:8]
	v_mul_f64 v[7:8], v[1:2], v[7:8]
	s_waitcnt vmcnt(0)
	v_fma_f64 v[1:2], v[1:2], v[9:10], -v[12:13]
	v_fma_f64 v[7:8], v[3:4], v[9:10], v[7:8]
	v_add_f64 v[3:4], v[1:2], 0
	v_add_f64 v[1:2], v[7:8], 0
	v_cmpx_ne_u32_e32 7, v0
	s_cbranch_execz .LBB62_58
; %bb.45:
	s_clause 0x3
	buffer_load_dword v12, v11, s[0:3], 0 offen offset:24
	buffer_load_dword v13, v11, s[0:3], 0 offen offset:28
	;; [unrolled: 1-line block ×4, first 2 shown]
	ds_read_b128 v[7:10], v5 offset:16
	s_waitcnt vmcnt(2) lgkmcnt(0)
	v_mul_f64 v[16:17], v[9:10], v[12:13]
	v_mul_f64 v[12:13], v[7:8], v[12:13]
	s_waitcnt vmcnt(0)
	v_fma_f64 v[7:8], v[7:8], v[14:15], -v[16:17]
	v_fma_f64 v[9:10], v[9:10], v[14:15], v[12:13]
	v_add_f64 v[3:4], v[3:4], v[7:8]
	v_add_f64 v[1:2], v[1:2], v[9:10]
	s_and_saveexec_b32 s9, s8
	s_cbranch_execz .LBB62_57
; %bb.46:
	s_clause 0x3
	buffer_load_dword v12, v11, s[0:3], 0 offen offset:40
	buffer_load_dword v13, v11, s[0:3], 0 offen offset:44
	;; [unrolled: 1-line block ×4, first 2 shown]
	ds_read_b128 v[7:10], v5 offset:32
	s_mov_b32 s80, exec_lo
	s_waitcnt vmcnt(2) lgkmcnt(0)
	v_mul_f64 v[16:17], v[9:10], v[12:13]
	v_mul_f64 v[12:13], v[7:8], v[12:13]
	s_waitcnt vmcnt(0)
	v_fma_f64 v[7:8], v[7:8], v[14:15], -v[16:17]
	v_fma_f64 v[9:10], v[9:10], v[14:15], v[12:13]
	v_add_f64 v[3:4], v[3:4], v[7:8]
	v_add_f64 v[1:2], v[1:2], v[9:10]
	v_cmpx_ne_u32_e32 5, v0
	s_cbranch_execz .LBB62_56
; %bb.47:
	s_clause 0x3
	buffer_load_dword v12, v11, s[0:3], 0 offen offset:56
	buffer_load_dword v13, v11, s[0:3], 0 offen offset:60
	;; [unrolled: 1-line block ×4, first 2 shown]
	ds_read_b128 v[7:10], v5 offset:48
	s_waitcnt vmcnt(2) lgkmcnt(0)
	v_mul_f64 v[16:17], v[9:10], v[12:13]
	v_mul_f64 v[12:13], v[7:8], v[12:13]
	s_waitcnt vmcnt(0)
	v_fma_f64 v[7:8], v[7:8], v[14:15], -v[16:17]
	v_fma_f64 v[9:10], v[9:10], v[14:15], v[12:13]
	v_add_f64 v[3:4], v[3:4], v[7:8]
	v_add_f64 v[1:2], v[1:2], v[9:10]
	s_and_saveexec_b32 s8, s5
	s_cbranch_execz .LBB62_55
; %bb.48:
	s_clause 0x3
	buffer_load_dword v12, v11, s[0:3], 0 offen offset:72
	buffer_load_dword v13, v11, s[0:3], 0 offen offset:76
	;; [unrolled: 1-line block ×4, first 2 shown]
	ds_read_b128 v[7:10], v5 offset:64
	s_mov_b32 s81, exec_lo
	s_waitcnt vmcnt(2) lgkmcnt(0)
	v_mul_f64 v[16:17], v[9:10], v[12:13]
	v_mul_f64 v[12:13], v[7:8], v[12:13]
	s_waitcnt vmcnt(0)
	v_fma_f64 v[7:8], v[7:8], v[14:15], -v[16:17]
	v_fma_f64 v[9:10], v[9:10], v[14:15], v[12:13]
	v_add_f64 v[3:4], v[3:4], v[7:8]
	v_add_f64 v[1:2], v[1:2], v[9:10]
	v_cmpx_ne_u32_e32 3, v0
	s_cbranch_execz .LBB62_54
; %bb.49:
	s_clause 0x3
	buffer_load_dword v12, v11, s[0:3], 0 offen offset:88
	buffer_load_dword v13, v11, s[0:3], 0 offen offset:92
	buffer_load_dword v14, v11, s[0:3], 0 offen offset:80
	buffer_load_dword v15, v11, s[0:3], 0 offen offset:84
	ds_read_b128 v[7:10], v5 offset:80
	s_waitcnt vmcnt(2) lgkmcnt(0)
	v_mul_f64 v[16:17], v[9:10], v[12:13]
	v_mul_f64 v[12:13], v[7:8], v[12:13]
	s_waitcnt vmcnt(0)
	v_fma_f64 v[7:8], v[7:8], v[14:15], -v[16:17]
	v_fma_f64 v[9:10], v[9:10], v[14:15], v[12:13]
	v_add_f64 v[3:4], v[3:4], v[7:8]
	v_add_f64 v[1:2], v[1:2], v[9:10]
	s_and_saveexec_b32 s5, vcc_lo
	s_cbranch_execz .LBB62_53
; %bb.50:
	s_clause 0x3
	buffer_load_dword v12, v11, s[0:3], 0 offen offset:104
	buffer_load_dword v13, v11, s[0:3], 0 offen offset:108
	;; [unrolled: 1-line block ×4, first 2 shown]
	ds_read_b128 v[7:10], v5 offset:96
	s_waitcnt vmcnt(2) lgkmcnt(0)
	v_mul_f64 v[16:17], v[9:10], v[12:13]
	v_mul_f64 v[12:13], v[7:8], v[12:13]
	s_waitcnt vmcnt(0)
	v_fma_f64 v[7:8], v[7:8], v[14:15], -v[16:17]
	v_fma_f64 v[9:10], v[9:10], v[14:15], v[12:13]
	v_add_f64 v[3:4], v[3:4], v[7:8]
	v_add_f64 v[1:2], v[1:2], v[9:10]
	s_and_saveexec_b32 s82, s4
	s_cbranch_execz .LBB62_52
; %bb.51:
	s_clause 0x3
	buffer_load_dword v12, v11, s[0:3], 0 offen offset:120
	buffer_load_dword v13, v11, s[0:3], 0 offen offset:124
	buffer_load_dword v14, v11, s[0:3], 0 offen offset:112
	buffer_load_dword v15, v11, s[0:3], 0 offen offset:116
	ds_read_b128 v[7:10], v5 offset:112
	s_waitcnt vmcnt(2) lgkmcnt(0)
	v_mul_f64 v[16:17], v[9:10], v[12:13]
	v_mul_f64 v[11:12], v[7:8], v[12:13]
	s_waitcnt vmcnt(0)
	v_fma_f64 v[7:8], v[7:8], v[14:15], -v[16:17]
	v_fma_f64 v[9:10], v[9:10], v[14:15], v[11:12]
	v_add_f64 v[3:4], v[3:4], v[7:8]
	v_add_f64 v[1:2], v[1:2], v[9:10]
.LBB62_52:
	s_or_b32 exec_lo, exec_lo, s82
.LBB62_53:
	s_or_b32 exec_lo, exec_lo, s5
.LBB62_54:
	s_or_b32 exec_lo, exec_lo, s81
.LBB62_55:
	s_or_b32 exec_lo, exec_lo, s8
.LBB62_56:
	s_or_b32 exec_lo, exec_lo, s80
.LBB62_57:
	s_or_b32 exec_lo, exec_lo, s9
.LBB62_58:
	s_or_b32 exec_lo, exec_lo, s79
	v_mov_b32_e32 v7, 0
	ds_read_b128 v[7:10], v7 offset:128
	s_waitcnt lgkmcnt(0)
	v_mul_f64 v[11:12], v[1:2], v[9:10]
	v_mul_f64 v[9:10], v[3:4], v[9:10]
	v_fma_f64 v[3:4], v[3:4], v[7:8], -v[11:12]
	v_fma_f64 v[1:2], v[1:2], v[7:8], v[9:10]
	buffer_store_dword v4, off, s[0:3], 0 offset:148
	buffer_store_dword v3, off, s[0:3], 0 offset:144
	buffer_store_dword v2, off, s[0:3], 0 offset:156
	buffer_store_dword v1, off, s[0:3], 0 offset:152
.LBB62_59:
	s_or_b32 exec_lo, exec_lo, s78
	v_mov_b32_e32 v4, s70
	s_waitcnt_vscnt null, 0x0
	s_barrier
	buffer_gl0_inv
	s_mov_b32 s4, exec_lo
	s_clause 0x3
	buffer_load_dword v1, v4, s[0:3], 0 offen
	buffer_load_dword v2, v4, s[0:3], 0 offen offset:4
	buffer_load_dword v3, v4, s[0:3], 0 offen offset:8
	;; [unrolled: 1-line block ×3, first 2 shown]
	s_waitcnt vmcnt(0)
	ds_write_b128 v5, v[1:4]
	s_waitcnt lgkmcnt(0)
	s_barrier
	buffer_gl0_inv
	v_cmpx_gt_u32_e32 9, v0
	s_cbranch_execz .LBB62_63
; %bb.60:
	v_mov_b32_e32 v1, 0
	v_mov_b32_e32 v3, 0
	v_add_nc_u32_e32 v7, -1, v0
	v_add_nc_u32_e32 v8, 0x3f0, v235
	v_mov_b32_e32 v2, 0
	v_mov_b32_e32 v4, 0
	v_add_nc_u32_e32 v9, 16, v235
	s_mov_b32 s5, 0
	.p2align	6
.LBB62_61:                              ; =>This Inner Loop Header: Depth=1
	s_clause 0x3
	buffer_load_dword v14, v9, s[0:3], 0 offen offset:8
	buffer_load_dword v15, v9, s[0:3], 0 offen offset:12
	buffer_load_dword v16, v9, s[0:3], 0 offen
	buffer_load_dword v17, v9, s[0:3], 0 offen offset:4
	ds_read_b128 v[10:13], v8
	v_add_nc_u32_e32 v7, 1, v7
	v_add_nc_u32_e32 v8, 16, v8
	;; [unrolled: 1-line block ×3, first 2 shown]
	v_cmp_lt_u32_e32 vcc_lo, 7, v7
	s_or_b32 s5, vcc_lo, s5
	s_waitcnt vmcnt(2) lgkmcnt(0)
	v_mul_f64 v[18:19], v[12:13], v[14:15]
	v_mul_f64 v[14:15], v[10:11], v[14:15]
	s_waitcnt vmcnt(0)
	v_fma_f64 v[10:11], v[10:11], v[16:17], -v[18:19]
	v_fma_f64 v[12:13], v[12:13], v[16:17], v[14:15]
	v_add_f64 v[3:4], v[3:4], v[10:11]
	v_add_f64 v[1:2], v[1:2], v[12:13]
	s_andn2_b32 exec_lo, exec_lo, s5
	s_cbranch_execnz .LBB62_61
; %bb.62:
	s_or_b32 exec_lo, exec_lo, s5
	v_mov_b32_e32 v7, 0
	ds_read_b128 v[7:10], v7 offset:144
	s_waitcnt lgkmcnt(0)
	v_mul_f64 v[11:12], v[1:2], v[9:10]
	v_mul_f64 v[9:10], v[3:4], v[9:10]
	v_fma_f64 v[3:4], v[3:4], v[7:8], -v[11:12]
	v_fma_f64 v[1:2], v[1:2], v[7:8], v[9:10]
	buffer_store_dword v4, off, s[0:3], 0 offset:164
	buffer_store_dword v3, off, s[0:3], 0 offset:160
	;; [unrolled: 1-line block ×4, first 2 shown]
.LBB62_63:
	s_or_b32 exec_lo, exec_lo, s4
	v_mov_b32_e32 v4, s69
	s_waitcnt_vscnt null, 0x0
	s_barrier
	buffer_gl0_inv
	s_mov_b32 s4, exec_lo
	s_clause 0x3
	buffer_load_dword v1, v4, s[0:3], 0 offen
	buffer_load_dword v2, v4, s[0:3], 0 offen offset:4
	buffer_load_dword v3, v4, s[0:3], 0 offen offset:8
	;; [unrolled: 1-line block ×3, first 2 shown]
	s_waitcnt vmcnt(0)
	ds_write_b128 v5, v[1:4]
	s_waitcnt lgkmcnt(0)
	s_barrier
	buffer_gl0_inv
	v_cmpx_gt_u32_e32 10, v0
	s_cbranch_execz .LBB62_67
; %bb.64:
	v_mov_b32_e32 v1, 0
	v_mov_b32_e32 v3, 0
	v_add_nc_u32_e32 v7, -1, v0
	v_add_nc_u32_e32 v8, 0x3f0, v235
	v_mov_b32_e32 v2, 0
	v_mov_b32_e32 v4, 0
	v_add_nc_u32_e32 v9, 16, v235
	s_mov_b32 s5, 0
	.p2align	6
.LBB62_65:                              ; =>This Inner Loop Header: Depth=1
	s_clause 0x3
	buffer_load_dword v14, v9, s[0:3], 0 offen offset:8
	buffer_load_dword v15, v9, s[0:3], 0 offen offset:12
	buffer_load_dword v16, v9, s[0:3], 0 offen
	buffer_load_dword v17, v9, s[0:3], 0 offen offset:4
	ds_read_b128 v[10:13], v8
	v_add_nc_u32_e32 v7, 1, v7
	v_add_nc_u32_e32 v8, 16, v8
	;; [unrolled: 1-line block ×3, first 2 shown]
	v_cmp_lt_u32_e32 vcc_lo, 8, v7
	s_or_b32 s5, vcc_lo, s5
	s_waitcnt vmcnt(2) lgkmcnt(0)
	v_mul_f64 v[18:19], v[12:13], v[14:15]
	v_mul_f64 v[14:15], v[10:11], v[14:15]
	s_waitcnt vmcnt(0)
	v_fma_f64 v[10:11], v[10:11], v[16:17], -v[18:19]
	v_fma_f64 v[12:13], v[12:13], v[16:17], v[14:15]
	v_add_f64 v[3:4], v[3:4], v[10:11]
	v_add_f64 v[1:2], v[1:2], v[12:13]
	s_andn2_b32 exec_lo, exec_lo, s5
	s_cbranch_execnz .LBB62_65
; %bb.66:
	s_or_b32 exec_lo, exec_lo, s5
	v_mov_b32_e32 v7, 0
	ds_read_b128 v[7:10], v7 offset:160
	s_waitcnt lgkmcnt(0)
	v_mul_f64 v[11:12], v[1:2], v[9:10]
	v_mul_f64 v[9:10], v[3:4], v[9:10]
	v_fma_f64 v[3:4], v[3:4], v[7:8], -v[11:12]
	v_fma_f64 v[1:2], v[1:2], v[7:8], v[9:10]
	buffer_store_dword v4, off, s[0:3], 0 offset:180
	buffer_store_dword v3, off, s[0:3], 0 offset:176
	;; [unrolled: 1-line block ×4, first 2 shown]
.LBB62_67:
	s_or_b32 exec_lo, exec_lo, s4
	v_mov_b32_e32 v4, s68
	s_waitcnt_vscnt null, 0x0
	s_barrier
	buffer_gl0_inv
	s_mov_b32 s4, exec_lo
	s_clause 0x3
	buffer_load_dword v1, v4, s[0:3], 0 offen
	buffer_load_dword v2, v4, s[0:3], 0 offen offset:4
	buffer_load_dword v3, v4, s[0:3], 0 offen offset:8
	;; [unrolled: 1-line block ×3, first 2 shown]
	s_waitcnt vmcnt(0)
	ds_write_b128 v5, v[1:4]
	s_waitcnt lgkmcnt(0)
	s_barrier
	buffer_gl0_inv
	v_cmpx_gt_u32_e32 11, v0
	s_cbranch_execz .LBB62_71
; %bb.68:
	v_mov_b32_e32 v1, 0
	v_mov_b32_e32 v3, 0
	v_add_nc_u32_e32 v7, -1, v0
	v_add_nc_u32_e32 v8, 0x3f0, v235
	v_mov_b32_e32 v2, 0
	v_mov_b32_e32 v4, 0
	v_add_nc_u32_e32 v9, 16, v235
	s_mov_b32 s5, 0
	.p2align	6
.LBB62_69:                              ; =>This Inner Loop Header: Depth=1
	s_clause 0x3
	buffer_load_dword v14, v9, s[0:3], 0 offen offset:8
	buffer_load_dword v15, v9, s[0:3], 0 offen offset:12
	buffer_load_dword v16, v9, s[0:3], 0 offen
	buffer_load_dword v17, v9, s[0:3], 0 offen offset:4
	ds_read_b128 v[10:13], v8
	v_add_nc_u32_e32 v7, 1, v7
	v_add_nc_u32_e32 v8, 16, v8
	;; [unrolled: 1-line block ×3, first 2 shown]
	v_cmp_lt_u32_e32 vcc_lo, 9, v7
	s_or_b32 s5, vcc_lo, s5
	s_waitcnt vmcnt(2) lgkmcnt(0)
	v_mul_f64 v[18:19], v[12:13], v[14:15]
	v_mul_f64 v[14:15], v[10:11], v[14:15]
	s_waitcnt vmcnt(0)
	v_fma_f64 v[10:11], v[10:11], v[16:17], -v[18:19]
	v_fma_f64 v[12:13], v[12:13], v[16:17], v[14:15]
	v_add_f64 v[3:4], v[3:4], v[10:11]
	v_add_f64 v[1:2], v[1:2], v[12:13]
	s_andn2_b32 exec_lo, exec_lo, s5
	s_cbranch_execnz .LBB62_69
; %bb.70:
	s_or_b32 exec_lo, exec_lo, s5
	v_mov_b32_e32 v7, 0
	ds_read_b128 v[7:10], v7 offset:176
	s_waitcnt lgkmcnt(0)
	v_mul_f64 v[11:12], v[1:2], v[9:10]
	v_mul_f64 v[9:10], v[3:4], v[9:10]
	v_fma_f64 v[3:4], v[3:4], v[7:8], -v[11:12]
	v_fma_f64 v[1:2], v[1:2], v[7:8], v[9:10]
	buffer_store_dword v4, off, s[0:3], 0 offset:196
	buffer_store_dword v3, off, s[0:3], 0 offset:192
	;; [unrolled: 1-line block ×4, first 2 shown]
.LBB62_71:
	s_or_b32 exec_lo, exec_lo, s4
	v_mov_b32_e32 v4, s67
	s_waitcnt_vscnt null, 0x0
	s_barrier
	buffer_gl0_inv
	s_mov_b32 s4, exec_lo
	s_clause 0x3
	buffer_load_dword v1, v4, s[0:3], 0 offen
	buffer_load_dword v2, v4, s[0:3], 0 offen offset:4
	buffer_load_dword v3, v4, s[0:3], 0 offen offset:8
	;; [unrolled: 1-line block ×3, first 2 shown]
	s_waitcnt vmcnt(0)
	ds_write_b128 v5, v[1:4]
	s_waitcnt lgkmcnt(0)
	s_barrier
	buffer_gl0_inv
	v_cmpx_gt_u32_e32 12, v0
	s_cbranch_execz .LBB62_75
; %bb.72:
	v_mov_b32_e32 v1, 0
	v_mov_b32_e32 v3, 0
	v_add_nc_u32_e32 v7, -1, v0
	v_add_nc_u32_e32 v8, 0x3f0, v235
	v_mov_b32_e32 v2, 0
	v_mov_b32_e32 v4, 0
	v_add_nc_u32_e32 v9, 16, v235
	s_mov_b32 s5, 0
	.p2align	6
.LBB62_73:                              ; =>This Inner Loop Header: Depth=1
	s_clause 0x3
	buffer_load_dword v14, v9, s[0:3], 0 offen offset:8
	buffer_load_dword v15, v9, s[0:3], 0 offen offset:12
	buffer_load_dword v16, v9, s[0:3], 0 offen
	buffer_load_dword v17, v9, s[0:3], 0 offen offset:4
	ds_read_b128 v[10:13], v8
	v_add_nc_u32_e32 v7, 1, v7
	v_add_nc_u32_e32 v8, 16, v8
	;; [unrolled: 1-line block ×3, first 2 shown]
	v_cmp_lt_u32_e32 vcc_lo, 10, v7
	s_or_b32 s5, vcc_lo, s5
	s_waitcnt vmcnt(2) lgkmcnt(0)
	v_mul_f64 v[18:19], v[12:13], v[14:15]
	v_mul_f64 v[14:15], v[10:11], v[14:15]
	s_waitcnt vmcnt(0)
	v_fma_f64 v[10:11], v[10:11], v[16:17], -v[18:19]
	v_fma_f64 v[12:13], v[12:13], v[16:17], v[14:15]
	v_add_f64 v[3:4], v[3:4], v[10:11]
	v_add_f64 v[1:2], v[1:2], v[12:13]
	s_andn2_b32 exec_lo, exec_lo, s5
	s_cbranch_execnz .LBB62_73
; %bb.74:
	s_or_b32 exec_lo, exec_lo, s5
	v_mov_b32_e32 v7, 0
	ds_read_b128 v[7:10], v7 offset:192
	s_waitcnt lgkmcnt(0)
	v_mul_f64 v[11:12], v[1:2], v[9:10]
	v_mul_f64 v[9:10], v[3:4], v[9:10]
	v_fma_f64 v[3:4], v[3:4], v[7:8], -v[11:12]
	v_fma_f64 v[1:2], v[1:2], v[7:8], v[9:10]
	buffer_store_dword v4, off, s[0:3], 0 offset:212
	buffer_store_dword v3, off, s[0:3], 0 offset:208
	;; [unrolled: 1-line block ×4, first 2 shown]
.LBB62_75:
	s_or_b32 exec_lo, exec_lo, s4
	v_mov_b32_e32 v4, s66
	s_waitcnt_vscnt null, 0x0
	s_barrier
	buffer_gl0_inv
	s_mov_b32 s4, exec_lo
	s_clause 0x3
	buffer_load_dword v1, v4, s[0:3], 0 offen
	buffer_load_dword v2, v4, s[0:3], 0 offen offset:4
	buffer_load_dword v3, v4, s[0:3], 0 offen offset:8
	;; [unrolled: 1-line block ×3, first 2 shown]
	s_waitcnt vmcnt(0)
	ds_write_b128 v5, v[1:4]
	s_waitcnt lgkmcnt(0)
	s_barrier
	buffer_gl0_inv
	v_cmpx_gt_u32_e32 13, v0
	s_cbranch_execz .LBB62_79
; %bb.76:
	v_mov_b32_e32 v1, 0
	v_mov_b32_e32 v3, 0
	v_add_nc_u32_e32 v7, -1, v0
	v_add_nc_u32_e32 v8, 0x3f0, v235
	v_mov_b32_e32 v2, 0
	v_mov_b32_e32 v4, 0
	v_add_nc_u32_e32 v9, 16, v235
	s_mov_b32 s5, 0
	.p2align	6
.LBB62_77:                              ; =>This Inner Loop Header: Depth=1
	s_clause 0x3
	buffer_load_dword v14, v9, s[0:3], 0 offen offset:8
	buffer_load_dword v15, v9, s[0:3], 0 offen offset:12
	buffer_load_dword v16, v9, s[0:3], 0 offen
	buffer_load_dword v17, v9, s[0:3], 0 offen offset:4
	ds_read_b128 v[10:13], v8
	v_add_nc_u32_e32 v7, 1, v7
	v_add_nc_u32_e32 v8, 16, v8
	;; [unrolled: 1-line block ×3, first 2 shown]
	v_cmp_lt_u32_e32 vcc_lo, 11, v7
	s_or_b32 s5, vcc_lo, s5
	s_waitcnt vmcnt(2) lgkmcnt(0)
	v_mul_f64 v[18:19], v[12:13], v[14:15]
	v_mul_f64 v[14:15], v[10:11], v[14:15]
	s_waitcnt vmcnt(0)
	v_fma_f64 v[10:11], v[10:11], v[16:17], -v[18:19]
	v_fma_f64 v[12:13], v[12:13], v[16:17], v[14:15]
	v_add_f64 v[3:4], v[3:4], v[10:11]
	v_add_f64 v[1:2], v[1:2], v[12:13]
	s_andn2_b32 exec_lo, exec_lo, s5
	s_cbranch_execnz .LBB62_77
; %bb.78:
	s_or_b32 exec_lo, exec_lo, s5
	v_mov_b32_e32 v7, 0
	ds_read_b128 v[7:10], v7 offset:208
	s_waitcnt lgkmcnt(0)
	v_mul_f64 v[11:12], v[1:2], v[9:10]
	v_mul_f64 v[9:10], v[3:4], v[9:10]
	v_fma_f64 v[3:4], v[3:4], v[7:8], -v[11:12]
	v_fma_f64 v[1:2], v[1:2], v[7:8], v[9:10]
	buffer_store_dword v4, off, s[0:3], 0 offset:228
	buffer_store_dword v3, off, s[0:3], 0 offset:224
	;; [unrolled: 1-line block ×4, first 2 shown]
.LBB62_79:
	s_or_b32 exec_lo, exec_lo, s4
	v_mov_b32_e32 v4, s64
	s_waitcnt_vscnt null, 0x0
	s_barrier
	buffer_gl0_inv
	s_mov_b32 s4, exec_lo
	s_clause 0x3
	buffer_load_dword v1, v4, s[0:3], 0 offen
	buffer_load_dword v2, v4, s[0:3], 0 offen offset:4
	buffer_load_dword v3, v4, s[0:3], 0 offen offset:8
	;; [unrolled: 1-line block ×3, first 2 shown]
	s_waitcnt vmcnt(0)
	ds_write_b128 v5, v[1:4]
	s_waitcnt lgkmcnt(0)
	s_barrier
	buffer_gl0_inv
	v_cmpx_gt_u32_e32 14, v0
	s_cbranch_execz .LBB62_83
; %bb.80:
	v_mov_b32_e32 v1, 0
	v_mov_b32_e32 v3, 0
	v_add_nc_u32_e32 v7, -1, v0
	v_add_nc_u32_e32 v8, 0x3f0, v235
	v_mov_b32_e32 v2, 0
	v_mov_b32_e32 v4, 0
	v_add_nc_u32_e32 v9, 16, v235
	s_mov_b32 s5, 0
	.p2align	6
.LBB62_81:                              ; =>This Inner Loop Header: Depth=1
	s_clause 0x3
	buffer_load_dword v14, v9, s[0:3], 0 offen offset:8
	buffer_load_dword v15, v9, s[0:3], 0 offen offset:12
	buffer_load_dword v16, v9, s[0:3], 0 offen
	buffer_load_dword v17, v9, s[0:3], 0 offen offset:4
	ds_read_b128 v[10:13], v8
	v_add_nc_u32_e32 v7, 1, v7
	v_add_nc_u32_e32 v8, 16, v8
	;; [unrolled: 1-line block ×3, first 2 shown]
	v_cmp_lt_u32_e32 vcc_lo, 12, v7
	s_or_b32 s5, vcc_lo, s5
	s_waitcnt vmcnt(2) lgkmcnt(0)
	v_mul_f64 v[18:19], v[12:13], v[14:15]
	v_mul_f64 v[14:15], v[10:11], v[14:15]
	s_waitcnt vmcnt(0)
	v_fma_f64 v[10:11], v[10:11], v[16:17], -v[18:19]
	v_fma_f64 v[12:13], v[12:13], v[16:17], v[14:15]
	v_add_f64 v[3:4], v[3:4], v[10:11]
	v_add_f64 v[1:2], v[1:2], v[12:13]
	s_andn2_b32 exec_lo, exec_lo, s5
	s_cbranch_execnz .LBB62_81
; %bb.82:
	s_or_b32 exec_lo, exec_lo, s5
	v_mov_b32_e32 v7, 0
	ds_read_b128 v[7:10], v7 offset:224
	s_waitcnt lgkmcnt(0)
	v_mul_f64 v[11:12], v[1:2], v[9:10]
	v_mul_f64 v[9:10], v[3:4], v[9:10]
	v_fma_f64 v[3:4], v[3:4], v[7:8], -v[11:12]
	v_fma_f64 v[1:2], v[1:2], v[7:8], v[9:10]
	buffer_store_dword v4, off, s[0:3], 0 offset:244
	buffer_store_dword v3, off, s[0:3], 0 offset:240
	;; [unrolled: 1-line block ×4, first 2 shown]
.LBB62_83:
	s_or_b32 exec_lo, exec_lo, s4
	v_mov_b32_e32 v4, s62
	s_waitcnt_vscnt null, 0x0
	s_barrier
	buffer_gl0_inv
	s_mov_b32 s4, exec_lo
	s_clause 0x3
	buffer_load_dword v1, v4, s[0:3], 0 offen
	buffer_load_dword v2, v4, s[0:3], 0 offen offset:4
	buffer_load_dword v3, v4, s[0:3], 0 offen offset:8
	;; [unrolled: 1-line block ×3, first 2 shown]
	s_waitcnt vmcnt(0)
	ds_write_b128 v5, v[1:4]
	s_waitcnt lgkmcnt(0)
	s_barrier
	buffer_gl0_inv
	v_cmpx_gt_u32_e32 15, v0
	s_cbranch_execz .LBB62_87
; %bb.84:
	v_mov_b32_e32 v1, 0
	v_mov_b32_e32 v3, 0
	v_add_nc_u32_e32 v7, -1, v0
	v_add_nc_u32_e32 v8, 0x3f0, v235
	v_mov_b32_e32 v2, 0
	v_mov_b32_e32 v4, 0
	v_add_nc_u32_e32 v9, 16, v235
	s_mov_b32 s5, 0
	.p2align	6
.LBB62_85:                              ; =>This Inner Loop Header: Depth=1
	s_clause 0x3
	buffer_load_dword v14, v9, s[0:3], 0 offen offset:8
	buffer_load_dword v15, v9, s[0:3], 0 offen offset:12
	buffer_load_dword v16, v9, s[0:3], 0 offen
	buffer_load_dword v17, v9, s[0:3], 0 offen offset:4
	ds_read_b128 v[10:13], v8
	v_add_nc_u32_e32 v7, 1, v7
	v_add_nc_u32_e32 v8, 16, v8
	;; [unrolled: 1-line block ×3, first 2 shown]
	v_cmp_lt_u32_e32 vcc_lo, 13, v7
	s_or_b32 s5, vcc_lo, s5
	s_waitcnt vmcnt(2) lgkmcnt(0)
	v_mul_f64 v[18:19], v[12:13], v[14:15]
	v_mul_f64 v[14:15], v[10:11], v[14:15]
	s_waitcnt vmcnt(0)
	v_fma_f64 v[10:11], v[10:11], v[16:17], -v[18:19]
	v_fma_f64 v[12:13], v[12:13], v[16:17], v[14:15]
	v_add_f64 v[3:4], v[3:4], v[10:11]
	v_add_f64 v[1:2], v[1:2], v[12:13]
	s_andn2_b32 exec_lo, exec_lo, s5
	s_cbranch_execnz .LBB62_85
; %bb.86:
	s_or_b32 exec_lo, exec_lo, s5
	v_mov_b32_e32 v7, 0
	ds_read_b128 v[7:10], v7 offset:240
	s_waitcnt lgkmcnt(0)
	v_mul_f64 v[11:12], v[1:2], v[9:10]
	v_mul_f64 v[9:10], v[3:4], v[9:10]
	v_fma_f64 v[3:4], v[3:4], v[7:8], -v[11:12]
	v_fma_f64 v[1:2], v[1:2], v[7:8], v[9:10]
	buffer_store_dword v4, off, s[0:3], 0 offset:260
	buffer_store_dword v3, off, s[0:3], 0 offset:256
	;; [unrolled: 1-line block ×4, first 2 shown]
.LBB62_87:
	s_or_b32 exec_lo, exec_lo, s4
	v_mov_b32_e32 v4, s61
	s_waitcnt_vscnt null, 0x0
	s_barrier
	buffer_gl0_inv
	s_mov_b32 s4, exec_lo
	s_clause 0x3
	buffer_load_dword v1, v4, s[0:3], 0 offen
	buffer_load_dword v2, v4, s[0:3], 0 offen offset:4
	buffer_load_dword v3, v4, s[0:3], 0 offen offset:8
	;; [unrolled: 1-line block ×3, first 2 shown]
	s_waitcnt vmcnt(0)
	ds_write_b128 v5, v[1:4]
	s_waitcnt lgkmcnt(0)
	s_barrier
	buffer_gl0_inv
	v_cmpx_gt_u32_e32 16, v0
	s_cbranch_execz .LBB62_91
; %bb.88:
	v_mov_b32_e32 v1, 0
	v_mov_b32_e32 v3, 0
	v_add_nc_u32_e32 v7, -1, v0
	v_add_nc_u32_e32 v8, 0x3f0, v235
	v_mov_b32_e32 v2, 0
	v_mov_b32_e32 v4, 0
	v_add_nc_u32_e32 v9, 16, v235
	s_mov_b32 s5, 0
	.p2align	6
.LBB62_89:                              ; =>This Inner Loop Header: Depth=1
	s_clause 0x3
	buffer_load_dword v14, v9, s[0:3], 0 offen offset:8
	buffer_load_dword v15, v9, s[0:3], 0 offen offset:12
	buffer_load_dword v16, v9, s[0:3], 0 offen
	buffer_load_dword v17, v9, s[0:3], 0 offen offset:4
	ds_read_b128 v[10:13], v8
	v_add_nc_u32_e32 v7, 1, v7
	v_add_nc_u32_e32 v8, 16, v8
	;; [unrolled: 1-line block ×3, first 2 shown]
	v_cmp_lt_u32_e32 vcc_lo, 14, v7
	s_or_b32 s5, vcc_lo, s5
	s_waitcnt vmcnt(2) lgkmcnt(0)
	v_mul_f64 v[18:19], v[12:13], v[14:15]
	v_mul_f64 v[14:15], v[10:11], v[14:15]
	s_waitcnt vmcnt(0)
	v_fma_f64 v[10:11], v[10:11], v[16:17], -v[18:19]
	v_fma_f64 v[12:13], v[12:13], v[16:17], v[14:15]
	v_add_f64 v[3:4], v[3:4], v[10:11]
	v_add_f64 v[1:2], v[1:2], v[12:13]
	s_andn2_b32 exec_lo, exec_lo, s5
	s_cbranch_execnz .LBB62_89
; %bb.90:
	s_or_b32 exec_lo, exec_lo, s5
	v_mov_b32_e32 v7, 0
	ds_read_b128 v[7:10], v7 offset:256
	s_waitcnt lgkmcnt(0)
	v_mul_f64 v[11:12], v[1:2], v[9:10]
	v_mul_f64 v[9:10], v[3:4], v[9:10]
	v_fma_f64 v[3:4], v[3:4], v[7:8], -v[11:12]
	v_fma_f64 v[1:2], v[1:2], v[7:8], v[9:10]
	buffer_store_dword v4, off, s[0:3], 0 offset:276
	buffer_store_dword v3, off, s[0:3], 0 offset:272
	buffer_store_dword v2, off, s[0:3], 0 offset:284
	buffer_store_dword v1, off, s[0:3], 0 offset:280
.LBB62_91:
	s_or_b32 exec_lo, exec_lo, s4
	v_mov_b32_e32 v4, s60
	s_waitcnt_vscnt null, 0x0
	s_barrier
	buffer_gl0_inv
	s_mov_b32 s4, exec_lo
	s_clause 0x3
	buffer_load_dword v1, v4, s[0:3], 0 offen
	buffer_load_dword v2, v4, s[0:3], 0 offen offset:4
	buffer_load_dword v3, v4, s[0:3], 0 offen offset:8
	;; [unrolled: 1-line block ×3, first 2 shown]
	s_waitcnt vmcnt(0)
	ds_write_b128 v5, v[1:4]
	s_waitcnt lgkmcnt(0)
	s_barrier
	buffer_gl0_inv
	v_cmpx_gt_u32_e32 17, v0
	s_cbranch_execz .LBB62_95
; %bb.92:
	v_mov_b32_e32 v1, 0
	v_mov_b32_e32 v3, 0
	v_add_nc_u32_e32 v7, -1, v0
	v_add_nc_u32_e32 v8, 0x3f0, v235
	v_mov_b32_e32 v2, 0
	v_mov_b32_e32 v4, 0
	v_add_nc_u32_e32 v9, 16, v235
	s_mov_b32 s5, 0
	.p2align	6
.LBB62_93:                              ; =>This Inner Loop Header: Depth=1
	s_clause 0x3
	buffer_load_dword v14, v9, s[0:3], 0 offen offset:8
	buffer_load_dword v15, v9, s[0:3], 0 offen offset:12
	buffer_load_dword v16, v9, s[0:3], 0 offen
	buffer_load_dword v17, v9, s[0:3], 0 offen offset:4
	ds_read_b128 v[10:13], v8
	v_add_nc_u32_e32 v7, 1, v7
	v_add_nc_u32_e32 v8, 16, v8
	;; [unrolled: 1-line block ×3, first 2 shown]
	v_cmp_lt_u32_e32 vcc_lo, 15, v7
	s_or_b32 s5, vcc_lo, s5
	s_waitcnt vmcnt(2) lgkmcnt(0)
	v_mul_f64 v[18:19], v[12:13], v[14:15]
	v_mul_f64 v[14:15], v[10:11], v[14:15]
	s_waitcnt vmcnt(0)
	v_fma_f64 v[10:11], v[10:11], v[16:17], -v[18:19]
	v_fma_f64 v[12:13], v[12:13], v[16:17], v[14:15]
	v_add_f64 v[3:4], v[3:4], v[10:11]
	v_add_f64 v[1:2], v[1:2], v[12:13]
	s_andn2_b32 exec_lo, exec_lo, s5
	s_cbranch_execnz .LBB62_93
; %bb.94:
	s_or_b32 exec_lo, exec_lo, s5
	v_mov_b32_e32 v7, 0
	ds_read_b128 v[7:10], v7 offset:272
	s_waitcnt lgkmcnt(0)
	v_mul_f64 v[11:12], v[1:2], v[9:10]
	v_mul_f64 v[9:10], v[3:4], v[9:10]
	v_fma_f64 v[3:4], v[3:4], v[7:8], -v[11:12]
	v_fma_f64 v[1:2], v[1:2], v[7:8], v[9:10]
	buffer_store_dword v4, off, s[0:3], 0 offset:292
	buffer_store_dword v3, off, s[0:3], 0 offset:288
	;; [unrolled: 1-line block ×4, first 2 shown]
.LBB62_95:
	s_or_b32 exec_lo, exec_lo, s4
	v_mov_b32_e32 v4, s59
	s_waitcnt_vscnt null, 0x0
	s_barrier
	buffer_gl0_inv
	s_mov_b32 s4, exec_lo
	s_clause 0x3
	buffer_load_dword v1, v4, s[0:3], 0 offen
	buffer_load_dword v2, v4, s[0:3], 0 offen offset:4
	buffer_load_dword v3, v4, s[0:3], 0 offen offset:8
	buffer_load_dword v4, v4, s[0:3], 0 offen offset:12
	s_waitcnt vmcnt(0)
	ds_write_b128 v5, v[1:4]
	s_waitcnt lgkmcnt(0)
	s_barrier
	buffer_gl0_inv
	v_cmpx_gt_u32_e32 18, v0
	s_cbranch_execz .LBB62_99
; %bb.96:
	v_mov_b32_e32 v1, 0
	v_mov_b32_e32 v3, 0
	v_add_nc_u32_e32 v7, -1, v0
	v_add_nc_u32_e32 v8, 0x3f0, v235
	v_mov_b32_e32 v2, 0
	v_mov_b32_e32 v4, 0
	v_add_nc_u32_e32 v9, 16, v235
	s_mov_b32 s5, 0
	.p2align	6
.LBB62_97:                              ; =>This Inner Loop Header: Depth=1
	s_clause 0x3
	buffer_load_dword v14, v9, s[0:3], 0 offen offset:8
	buffer_load_dword v15, v9, s[0:3], 0 offen offset:12
	buffer_load_dword v16, v9, s[0:3], 0 offen
	buffer_load_dword v17, v9, s[0:3], 0 offen offset:4
	ds_read_b128 v[10:13], v8
	v_add_nc_u32_e32 v7, 1, v7
	v_add_nc_u32_e32 v8, 16, v8
	;; [unrolled: 1-line block ×3, first 2 shown]
	v_cmp_lt_u32_e32 vcc_lo, 16, v7
	s_or_b32 s5, vcc_lo, s5
	s_waitcnt vmcnt(2) lgkmcnt(0)
	v_mul_f64 v[18:19], v[12:13], v[14:15]
	v_mul_f64 v[14:15], v[10:11], v[14:15]
	s_waitcnt vmcnt(0)
	v_fma_f64 v[10:11], v[10:11], v[16:17], -v[18:19]
	v_fma_f64 v[12:13], v[12:13], v[16:17], v[14:15]
	v_add_f64 v[3:4], v[3:4], v[10:11]
	v_add_f64 v[1:2], v[1:2], v[12:13]
	s_andn2_b32 exec_lo, exec_lo, s5
	s_cbranch_execnz .LBB62_97
; %bb.98:
	s_or_b32 exec_lo, exec_lo, s5
	v_mov_b32_e32 v7, 0
	ds_read_b128 v[7:10], v7 offset:288
	s_waitcnt lgkmcnt(0)
	v_mul_f64 v[11:12], v[1:2], v[9:10]
	v_mul_f64 v[9:10], v[3:4], v[9:10]
	v_fma_f64 v[3:4], v[3:4], v[7:8], -v[11:12]
	v_fma_f64 v[1:2], v[1:2], v[7:8], v[9:10]
	buffer_store_dword v4, off, s[0:3], 0 offset:308
	buffer_store_dword v3, off, s[0:3], 0 offset:304
	;; [unrolled: 1-line block ×4, first 2 shown]
.LBB62_99:
	s_or_b32 exec_lo, exec_lo, s4
	v_mov_b32_e32 v4, s58
	s_waitcnt_vscnt null, 0x0
	s_barrier
	buffer_gl0_inv
	s_mov_b32 s4, exec_lo
	s_clause 0x3
	buffer_load_dword v1, v4, s[0:3], 0 offen
	buffer_load_dword v2, v4, s[0:3], 0 offen offset:4
	buffer_load_dword v3, v4, s[0:3], 0 offen offset:8
	;; [unrolled: 1-line block ×3, first 2 shown]
	s_waitcnt vmcnt(0)
	ds_write_b128 v5, v[1:4]
	s_waitcnt lgkmcnt(0)
	s_barrier
	buffer_gl0_inv
	v_cmpx_gt_u32_e32 19, v0
	s_cbranch_execz .LBB62_103
; %bb.100:
	v_mov_b32_e32 v1, 0
	v_mov_b32_e32 v3, 0
	v_add_nc_u32_e32 v7, -1, v0
	v_add_nc_u32_e32 v8, 0x3f0, v235
	v_mov_b32_e32 v2, 0
	v_mov_b32_e32 v4, 0
	v_add_nc_u32_e32 v9, 16, v235
	s_mov_b32 s5, 0
	.p2align	6
.LBB62_101:                             ; =>This Inner Loop Header: Depth=1
	s_clause 0x3
	buffer_load_dword v14, v9, s[0:3], 0 offen offset:8
	buffer_load_dword v15, v9, s[0:3], 0 offen offset:12
	buffer_load_dword v16, v9, s[0:3], 0 offen
	buffer_load_dword v17, v9, s[0:3], 0 offen offset:4
	ds_read_b128 v[10:13], v8
	v_add_nc_u32_e32 v7, 1, v7
	v_add_nc_u32_e32 v8, 16, v8
	;; [unrolled: 1-line block ×3, first 2 shown]
	v_cmp_lt_u32_e32 vcc_lo, 17, v7
	s_or_b32 s5, vcc_lo, s5
	s_waitcnt vmcnt(2) lgkmcnt(0)
	v_mul_f64 v[18:19], v[12:13], v[14:15]
	v_mul_f64 v[14:15], v[10:11], v[14:15]
	s_waitcnt vmcnt(0)
	v_fma_f64 v[10:11], v[10:11], v[16:17], -v[18:19]
	v_fma_f64 v[12:13], v[12:13], v[16:17], v[14:15]
	v_add_f64 v[3:4], v[3:4], v[10:11]
	v_add_f64 v[1:2], v[1:2], v[12:13]
	s_andn2_b32 exec_lo, exec_lo, s5
	s_cbranch_execnz .LBB62_101
; %bb.102:
	s_or_b32 exec_lo, exec_lo, s5
	v_mov_b32_e32 v7, 0
	ds_read_b128 v[7:10], v7 offset:304
	s_waitcnt lgkmcnt(0)
	v_mul_f64 v[11:12], v[1:2], v[9:10]
	v_mul_f64 v[9:10], v[3:4], v[9:10]
	v_fma_f64 v[3:4], v[3:4], v[7:8], -v[11:12]
	v_fma_f64 v[1:2], v[1:2], v[7:8], v[9:10]
	buffer_store_dword v4, off, s[0:3], 0 offset:324
	buffer_store_dword v3, off, s[0:3], 0 offset:320
	;; [unrolled: 1-line block ×4, first 2 shown]
.LBB62_103:
	s_or_b32 exec_lo, exec_lo, s4
	v_mov_b32_e32 v4, s57
	s_waitcnt_vscnt null, 0x0
	s_barrier
	buffer_gl0_inv
	s_mov_b32 s4, exec_lo
	s_clause 0x3
	buffer_load_dword v1, v4, s[0:3], 0 offen
	buffer_load_dword v2, v4, s[0:3], 0 offen offset:4
	buffer_load_dword v3, v4, s[0:3], 0 offen offset:8
	buffer_load_dword v4, v4, s[0:3], 0 offen offset:12
	s_waitcnt vmcnt(0)
	ds_write_b128 v5, v[1:4]
	s_waitcnt lgkmcnt(0)
	s_barrier
	buffer_gl0_inv
	v_cmpx_gt_u32_e32 20, v0
	s_cbranch_execz .LBB62_107
; %bb.104:
	v_mov_b32_e32 v1, 0
	v_mov_b32_e32 v3, 0
	v_add_nc_u32_e32 v7, -1, v0
	v_add_nc_u32_e32 v8, 0x3f0, v235
	v_mov_b32_e32 v2, 0
	v_mov_b32_e32 v4, 0
	v_add_nc_u32_e32 v9, 16, v235
	s_mov_b32 s5, 0
	.p2align	6
.LBB62_105:                             ; =>This Inner Loop Header: Depth=1
	s_clause 0x3
	buffer_load_dword v14, v9, s[0:3], 0 offen offset:8
	buffer_load_dword v15, v9, s[0:3], 0 offen offset:12
	buffer_load_dword v16, v9, s[0:3], 0 offen
	buffer_load_dword v17, v9, s[0:3], 0 offen offset:4
	ds_read_b128 v[10:13], v8
	v_add_nc_u32_e32 v7, 1, v7
	v_add_nc_u32_e32 v8, 16, v8
	;; [unrolled: 1-line block ×3, first 2 shown]
	v_cmp_lt_u32_e32 vcc_lo, 18, v7
	s_or_b32 s5, vcc_lo, s5
	s_waitcnt vmcnt(2) lgkmcnt(0)
	v_mul_f64 v[18:19], v[12:13], v[14:15]
	v_mul_f64 v[14:15], v[10:11], v[14:15]
	s_waitcnt vmcnt(0)
	v_fma_f64 v[10:11], v[10:11], v[16:17], -v[18:19]
	v_fma_f64 v[12:13], v[12:13], v[16:17], v[14:15]
	v_add_f64 v[3:4], v[3:4], v[10:11]
	v_add_f64 v[1:2], v[1:2], v[12:13]
	s_andn2_b32 exec_lo, exec_lo, s5
	s_cbranch_execnz .LBB62_105
; %bb.106:
	s_or_b32 exec_lo, exec_lo, s5
	v_mov_b32_e32 v7, 0
	ds_read_b128 v[7:10], v7 offset:320
	s_waitcnt lgkmcnt(0)
	v_mul_f64 v[11:12], v[1:2], v[9:10]
	v_mul_f64 v[9:10], v[3:4], v[9:10]
	v_fma_f64 v[3:4], v[3:4], v[7:8], -v[11:12]
	v_fma_f64 v[1:2], v[1:2], v[7:8], v[9:10]
	buffer_store_dword v4, off, s[0:3], 0 offset:340
	buffer_store_dword v3, off, s[0:3], 0 offset:336
	;; [unrolled: 1-line block ×4, first 2 shown]
.LBB62_107:
	s_or_b32 exec_lo, exec_lo, s4
	v_mov_b32_e32 v4, s56
	s_waitcnt_vscnt null, 0x0
	s_barrier
	buffer_gl0_inv
	s_mov_b32 s4, exec_lo
	s_clause 0x3
	buffer_load_dword v1, v4, s[0:3], 0 offen
	buffer_load_dword v2, v4, s[0:3], 0 offen offset:4
	buffer_load_dword v3, v4, s[0:3], 0 offen offset:8
	;; [unrolled: 1-line block ×3, first 2 shown]
	s_waitcnt vmcnt(0)
	ds_write_b128 v5, v[1:4]
	s_waitcnt lgkmcnt(0)
	s_barrier
	buffer_gl0_inv
	v_cmpx_gt_u32_e32 21, v0
	s_cbranch_execz .LBB62_111
; %bb.108:
	v_mov_b32_e32 v1, 0
	v_mov_b32_e32 v3, 0
	v_add_nc_u32_e32 v7, -1, v0
	v_add_nc_u32_e32 v8, 0x3f0, v235
	v_mov_b32_e32 v2, 0
	v_mov_b32_e32 v4, 0
	v_add_nc_u32_e32 v9, 16, v235
	s_mov_b32 s5, 0
	.p2align	6
.LBB62_109:                             ; =>This Inner Loop Header: Depth=1
	s_clause 0x3
	buffer_load_dword v14, v9, s[0:3], 0 offen offset:8
	buffer_load_dword v15, v9, s[0:3], 0 offen offset:12
	buffer_load_dword v16, v9, s[0:3], 0 offen
	buffer_load_dword v17, v9, s[0:3], 0 offen offset:4
	ds_read_b128 v[10:13], v8
	v_add_nc_u32_e32 v7, 1, v7
	v_add_nc_u32_e32 v8, 16, v8
	;; [unrolled: 1-line block ×3, first 2 shown]
	v_cmp_lt_u32_e32 vcc_lo, 19, v7
	s_or_b32 s5, vcc_lo, s5
	s_waitcnt vmcnt(2) lgkmcnt(0)
	v_mul_f64 v[18:19], v[12:13], v[14:15]
	v_mul_f64 v[14:15], v[10:11], v[14:15]
	s_waitcnt vmcnt(0)
	v_fma_f64 v[10:11], v[10:11], v[16:17], -v[18:19]
	v_fma_f64 v[12:13], v[12:13], v[16:17], v[14:15]
	v_add_f64 v[3:4], v[3:4], v[10:11]
	v_add_f64 v[1:2], v[1:2], v[12:13]
	s_andn2_b32 exec_lo, exec_lo, s5
	s_cbranch_execnz .LBB62_109
; %bb.110:
	s_or_b32 exec_lo, exec_lo, s5
	v_mov_b32_e32 v7, 0
	ds_read_b128 v[7:10], v7 offset:336
	s_waitcnt lgkmcnt(0)
	v_mul_f64 v[11:12], v[1:2], v[9:10]
	v_mul_f64 v[9:10], v[3:4], v[9:10]
	v_fma_f64 v[3:4], v[3:4], v[7:8], -v[11:12]
	v_fma_f64 v[1:2], v[1:2], v[7:8], v[9:10]
	buffer_store_dword v4, off, s[0:3], 0 offset:356
	buffer_store_dword v3, off, s[0:3], 0 offset:352
	;; [unrolled: 1-line block ×4, first 2 shown]
.LBB62_111:
	s_or_b32 exec_lo, exec_lo, s4
	v_mov_b32_e32 v4, s55
	s_waitcnt_vscnt null, 0x0
	s_barrier
	buffer_gl0_inv
	s_mov_b32 s4, exec_lo
	s_clause 0x3
	buffer_load_dword v1, v4, s[0:3], 0 offen
	buffer_load_dword v2, v4, s[0:3], 0 offen offset:4
	buffer_load_dword v3, v4, s[0:3], 0 offen offset:8
	;; [unrolled: 1-line block ×3, first 2 shown]
	s_waitcnt vmcnt(0)
	ds_write_b128 v5, v[1:4]
	s_waitcnt lgkmcnt(0)
	s_barrier
	buffer_gl0_inv
	v_cmpx_gt_u32_e32 22, v0
	s_cbranch_execz .LBB62_115
; %bb.112:
	v_mov_b32_e32 v1, 0
	v_mov_b32_e32 v3, 0
	v_add_nc_u32_e32 v7, -1, v0
	v_add_nc_u32_e32 v8, 0x3f0, v235
	v_mov_b32_e32 v2, 0
	v_mov_b32_e32 v4, 0
	v_add_nc_u32_e32 v9, 16, v235
	s_mov_b32 s5, 0
	.p2align	6
.LBB62_113:                             ; =>This Inner Loop Header: Depth=1
	s_clause 0x3
	buffer_load_dword v14, v9, s[0:3], 0 offen offset:8
	buffer_load_dword v15, v9, s[0:3], 0 offen offset:12
	buffer_load_dword v16, v9, s[0:3], 0 offen
	buffer_load_dword v17, v9, s[0:3], 0 offen offset:4
	ds_read_b128 v[10:13], v8
	v_add_nc_u32_e32 v7, 1, v7
	v_add_nc_u32_e32 v8, 16, v8
	;; [unrolled: 1-line block ×3, first 2 shown]
	v_cmp_lt_u32_e32 vcc_lo, 20, v7
	s_or_b32 s5, vcc_lo, s5
	s_waitcnt vmcnt(2) lgkmcnt(0)
	v_mul_f64 v[18:19], v[12:13], v[14:15]
	v_mul_f64 v[14:15], v[10:11], v[14:15]
	s_waitcnt vmcnt(0)
	v_fma_f64 v[10:11], v[10:11], v[16:17], -v[18:19]
	v_fma_f64 v[12:13], v[12:13], v[16:17], v[14:15]
	v_add_f64 v[3:4], v[3:4], v[10:11]
	v_add_f64 v[1:2], v[1:2], v[12:13]
	s_andn2_b32 exec_lo, exec_lo, s5
	s_cbranch_execnz .LBB62_113
; %bb.114:
	s_or_b32 exec_lo, exec_lo, s5
	v_mov_b32_e32 v7, 0
	ds_read_b128 v[7:10], v7 offset:352
	s_waitcnt lgkmcnt(0)
	v_mul_f64 v[11:12], v[1:2], v[9:10]
	v_mul_f64 v[9:10], v[3:4], v[9:10]
	v_fma_f64 v[3:4], v[3:4], v[7:8], -v[11:12]
	v_fma_f64 v[1:2], v[1:2], v[7:8], v[9:10]
	buffer_store_dword v4, off, s[0:3], 0 offset:372
	buffer_store_dword v3, off, s[0:3], 0 offset:368
	;; [unrolled: 1-line block ×4, first 2 shown]
.LBB62_115:
	s_or_b32 exec_lo, exec_lo, s4
	v_mov_b32_e32 v4, s54
	s_waitcnt_vscnt null, 0x0
	s_barrier
	buffer_gl0_inv
	s_mov_b32 s4, exec_lo
	s_clause 0x3
	buffer_load_dword v1, v4, s[0:3], 0 offen
	buffer_load_dword v2, v4, s[0:3], 0 offen offset:4
	buffer_load_dword v3, v4, s[0:3], 0 offen offset:8
	;; [unrolled: 1-line block ×3, first 2 shown]
	s_waitcnt vmcnt(0)
	ds_write_b128 v5, v[1:4]
	s_waitcnt lgkmcnt(0)
	s_barrier
	buffer_gl0_inv
	v_cmpx_gt_u32_e32 23, v0
	s_cbranch_execz .LBB62_119
; %bb.116:
	v_mov_b32_e32 v1, 0
	v_mov_b32_e32 v3, 0
	v_add_nc_u32_e32 v7, -1, v0
	v_add_nc_u32_e32 v8, 0x3f0, v235
	v_mov_b32_e32 v2, 0
	v_mov_b32_e32 v4, 0
	v_add_nc_u32_e32 v9, 16, v235
	s_mov_b32 s5, 0
	.p2align	6
.LBB62_117:                             ; =>This Inner Loop Header: Depth=1
	s_clause 0x3
	buffer_load_dword v14, v9, s[0:3], 0 offen offset:8
	buffer_load_dword v15, v9, s[0:3], 0 offen offset:12
	buffer_load_dword v16, v9, s[0:3], 0 offen
	buffer_load_dword v17, v9, s[0:3], 0 offen offset:4
	ds_read_b128 v[10:13], v8
	v_add_nc_u32_e32 v7, 1, v7
	v_add_nc_u32_e32 v8, 16, v8
	;; [unrolled: 1-line block ×3, first 2 shown]
	v_cmp_lt_u32_e32 vcc_lo, 21, v7
	s_or_b32 s5, vcc_lo, s5
	s_waitcnt vmcnt(2) lgkmcnt(0)
	v_mul_f64 v[18:19], v[12:13], v[14:15]
	v_mul_f64 v[14:15], v[10:11], v[14:15]
	s_waitcnt vmcnt(0)
	v_fma_f64 v[10:11], v[10:11], v[16:17], -v[18:19]
	v_fma_f64 v[12:13], v[12:13], v[16:17], v[14:15]
	v_add_f64 v[3:4], v[3:4], v[10:11]
	v_add_f64 v[1:2], v[1:2], v[12:13]
	s_andn2_b32 exec_lo, exec_lo, s5
	s_cbranch_execnz .LBB62_117
; %bb.118:
	s_or_b32 exec_lo, exec_lo, s5
	v_mov_b32_e32 v7, 0
	ds_read_b128 v[7:10], v7 offset:368
	s_waitcnt lgkmcnt(0)
	v_mul_f64 v[11:12], v[1:2], v[9:10]
	v_mul_f64 v[9:10], v[3:4], v[9:10]
	v_fma_f64 v[3:4], v[3:4], v[7:8], -v[11:12]
	v_fma_f64 v[1:2], v[1:2], v[7:8], v[9:10]
	buffer_store_dword v4, off, s[0:3], 0 offset:388
	buffer_store_dword v3, off, s[0:3], 0 offset:384
	;; [unrolled: 1-line block ×4, first 2 shown]
.LBB62_119:
	s_or_b32 exec_lo, exec_lo, s4
	v_mov_b32_e32 v4, s53
	s_waitcnt_vscnt null, 0x0
	s_barrier
	buffer_gl0_inv
	s_mov_b32 s4, exec_lo
	s_clause 0x3
	buffer_load_dword v1, v4, s[0:3], 0 offen
	buffer_load_dword v2, v4, s[0:3], 0 offen offset:4
	buffer_load_dword v3, v4, s[0:3], 0 offen offset:8
	;; [unrolled: 1-line block ×3, first 2 shown]
	s_waitcnt vmcnt(0)
	ds_write_b128 v5, v[1:4]
	s_waitcnt lgkmcnt(0)
	s_barrier
	buffer_gl0_inv
	v_cmpx_gt_u32_e32 24, v0
	s_cbranch_execz .LBB62_123
; %bb.120:
	v_mov_b32_e32 v1, 0
	v_mov_b32_e32 v3, 0
	v_add_nc_u32_e32 v7, -1, v0
	v_add_nc_u32_e32 v8, 0x3f0, v235
	v_mov_b32_e32 v2, 0
	v_mov_b32_e32 v4, 0
	v_add_nc_u32_e32 v9, 16, v235
	s_mov_b32 s5, 0
	.p2align	6
.LBB62_121:                             ; =>This Inner Loop Header: Depth=1
	s_clause 0x3
	buffer_load_dword v14, v9, s[0:3], 0 offen offset:8
	buffer_load_dword v15, v9, s[0:3], 0 offen offset:12
	buffer_load_dword v16, v9, s[0:3], 0 offen
	buffer_load_dword v17, v9, s[0:3], 0 offen offset:4
	ds_read_b128 v[10:13], v8
	v_add_nc_u32_e32 v7, 1, v7
	v_add_nc_u32_e32 v8, 16, v8
	v_add_nc_u32_e32 v9, 16, v9
	v_cmp_lt_u32_e32 vcc_lo, 22, v7
	s_or_b32 s5, vcc_lo, s5
	s_waitcnt vmcnt(2) lgkmcnt(0)
	v_mul_f64 v[18:19], v[12:13], v[14:15]
	v_mul_f64 v[14:15], v[10:11], v[14:15]
	s_waitcnt vmcnt(0)
	v_fma_f64 v[10:11], v[10:11], v[16:17], -v[18:19]
	v_fma_f64 v[12:13], v[12:13], v[16:17], v[14:15]
	v_add_f64 v[3:4], v[3:4], v[10:11]
	v_add_f64 v[1:2], v[1:2], v[12:13]
	s_andn2_b32 exec_lo, exec_lo, s5
	s_cbranch_execnz .LBB62_121
; %bb.122:
	s_or_b32 exec_lo, exec_lo, s5
	v_mov_b32_e32 v7, 0
	ds_read_b128 v[7:10], v7 offset:384
	s_waitcnt lgkmcnt(0)
	v_mul_f64 v[11:12], v[1:2], v[9:10]
	v_mul_f64 v[9:10], v[3:4], v[9:10]
	v_fma_f64 v[3:4], v[3:4], v[7:8], -v[11:12]
	v_fma_f64 v[1:2], v[1:2], v[7:8], v[9:10]
	buffer_store_dword v4, off, s[0:3], 0 offset:404
	buffer_store_dword v3, off, s[0:3], 0 offset:400
	;; [unrolled: 1-line block ×4, first 2 shown]
.LBB62_123:
	s_or_b32 exec_lo, exec_lo, s4
	v_mov_b32_e32 v4, s52
	s_waitcnt_vscnt null, 0x0
	s_barrier
	buffer_gl0_inv
	s_mov_b32 s4, exec_lo
	s_clause 0x3
	buffer_load_dword v1, v4, s[0:3], 0 offen
	buffer_load_dword v2, v4, s[0:3], 0 offen offset:4
	buffer_load_dword v3, v4, s[0:3], 0 offen offset:8
	;; [unrolled: 1-line block ×3, first 2 shown]
	s_waitcnt vmcnt(0)
	ds_write_b128 v5, v[1:4]
	s_waitcnt lgkmcnt(0)
	s_barrier
	buffer_gl0_inv
	v_cmpx_gt_u32_e32 25, v0
	s_cbranch_execz .LBB62_127
; %bb.124:
	v_mov_b32_e32 v1, 0
	v_mov_b32_e32 v3, 0
	v_add_nc_u32_e32 v7, -1, v0
	v_add_nc_u32_e32 v8, 0x3f0, v235
	v_mov_b32_e32 v2, 0
	v_mov_b32_e32 v4, 0
	v_add_nc_u32_e32 v9, 16, v235
	s_mov_b32 s5, 0
	.p2align	6
.LBB62_125:                             ; =>This Inner Loop Header: Depth=1
	s_clause 0x3
	buffer_load_dword v14, v9, s[0:3], 0 offen offset:8
	buffer_load_dword v15, v9, s[0:3], 0 offen offset:12
	buffer_load_dword v16, v9, s[0:3], 0 offen
	buffer_load_dword v17, v9, s[0:3], 0 offen offset:4
	ds_read_b128 v[10:13], v8
	v_add_nc_u32_e32 v7, 1, v7
	v_add_nc_u32_e32 v8, 16, v8
	;; [unrolled: 1-line block ×3, first 2 shown]
	v_cmp_lt_u32_e32 vcc_lo, 23, v7
	s_or_b32 s5, vcc_lo, s5
	s_waitcnt vmcnt(2) lgkmcnt(0)
	v_mul_f64 v[18:19], v[12:13], v[14:15]
	v_mul_f64 v[14:15], v[10:11], v[14:15]
	s_waitcnt vmcnt(0)
	v_fma_f64 v[10:11], v[10:11], v[16:17], -v[18:19]
	v_fma_f64 v[12:13], v[12:13], v[16:17], v[14:15]
	v_add_f64 v[3:4], v[3:4], v[10:11]
	v_add_f64 v[1:2], v[1:2], v[12:13]
	s_andn2_b32 exec_lo, exec_lo, s5
	s_cbranch_execnz .LBB62_125
; %bb.126:
	s_or_b32 exec_lo, exec_lo, s5
	v_mov_b32_e32 v7, 0
	ds_read_b128 v[7:10], v7 offset:400
	s_waitcnt lgkmcnt(0)
	v_mul_f64 v[11:12], v[1:2], v[9:10]
	v_mul_f64 v[9:10], v[3:4], v[9:10]
	v_fma_f64 v[3:4], v[3:4], v[7:8], -v[11:12]
	v_fma_f64 v[1:2], v[1:2], v[7:8], v[9:10]
	buffer_store_dword v4, off, s[0:3], 0 offset:420
	buffer_store_dword v3, off, s[0:3], 0 offset:416
	;; [unrolled: 1-line block ×4, first 2 shown]
.LBB62_127:
	s_or_b32 exec_lo, exec_lo, s4
	v_mov_b32_e32 v4, s51
	s_waitcnt_vscnt null, 0x0
	s_barrier
	buffer_gl0_inv
	s_mov_b32 s4, exec_lo
	s_clause 0x3
	buffer_load_dword v1, v4, s[0:3], 0 offen
	buffer_load_dword v2, v4, s[0:3], 0 offen offset:4
	buffer_load_dword v3, v4, s[0:3], 0 offen offset:8
	;; [unrolled: 1-line block ×3, first 2 shown]
	s_waitcnt vmcnt(0)
	ds_write_b128 v5, v[1:4]
	s_waitcnt lgkmcnt(0)
	s_barrier
	buffer_gl0_inv
	v_cmpx_gt_u32_e32 26, v0
	s_cbranch_execz .LBB62_131
; %bb.128:
	v_mov_b32_e32 v1, 0
	v_mov_b32_e32 v3, 0
	v_add_nc_u32_e32 v7, -1, v0
	v_add_nc_u32_e32 v8, 0x3f0, v235
	v_mov_b32_e32 v2, 0
	v_mov_b32_e32 v4, 0
	v_add_nc_u32_e32 v9, 16, v235
	s_mov_b32 s5, 0
	.p2align	6
.LBB62_129:                             ; =>This Inner Loop Header: Depth=1
	s_clause 0x3
	buffer_load_dword v14, v9, s[0:3], 0 offen offset:8
	buffer_load_dword v15, v9, s[0:3], 0 offen offset:12
	buffer_load_dword v16, v9, s[0:3], 0 offen
	buffer_load_dword v17, v9, s[0:3], 0 offen offset:4
	ds_read_b128 v[10:13], v8
	v_add_nc_u32_e32 v7, 1, v7
	v_add_nc_u32_e32 v8, 16, v8
	;; [unrolled: 1-line block ×3, first 2 shown]
	v_cmp_lt_u32_e32 vcc_lo, 24, v7
	s_or_b32 s5, vcc_lo, s5
	s_waitcnt vmcnt(2) lgkmcnt(0)
	v_mul_f64 v[18:19], v[12:13], v[14:15]
	v_mul_f64 v[14:15], v[10:11], v[14:15]
	s_waitcnt vmcnt(0)
	v_fma_f64 v[10:11], v[10:11], v[16:17], -v[18:19]
	v_fma_f64 v[12:13], v[12:13], v[16:17], v[14:15]
	v_add_f64 v[3:4], v[3:4], v[10:11]
	v_add_f64 v[1:2], v[1:2], v[12:13]
	s_andn2_b32 exec_lo, exec_lo, s5
	s_cbranch_execnz .LBB62_129
; %bb.130:
	s_or_b32 exec_lo, exec_lo, s5
	v_mov_b32_e32 v7, 0
	ds_read_b128 v[7:10], v7 offset:416
	s_waitcnt lgkmcnt(0)
	v_mul_f64 v[11:12], v[1:2], v[9:10]
	v_mul_f64 v[9:10], v[3:4], v[9:10]
	v_fma_f64 v[3:4], v[3:4], v[7:8], -v[11:12]
	v_fma_f64 v[1:2], v[1:2], v[7:8], v[9:10]
	buffer_store_dword v4, off, s[0:3], 0 offset:436
	buffer_store_dword v3, off, s[0:3], 0 offset:432
	;; [unrolled: 1-line block ×4, first 2 shown]
.LBB62_131:
	s_or_b32 exec_lo, exec_lo, s4
	v_mov_b32_e32 v4, s50
	s_waitcnt_vscnt null, 0x0
	s_barrier
	buffer_gl0_inv
	s_mov_b32 s4, exec_lo
	s_clause 0x3
	buffer_load_dword v1, v4, s[0:3], 0 offen
	buffer_load_dword v2, v4, s[0:3], 0 offen offset:4
	buffer_load_dword v3, v4, s[0:3], 0 offen offset:8
	;; [unrolled: 1-line block ×3, first 2 shown]
	s_waitcnt vmcnt(0)
	ds_write_b128 v5, v[1:4]
	s_waitcnt lgkmcnt(0)
	s_barrier
	buffer_gl0_inv
	v_cmpx_gt_u32_e32 27, v0
	s_cbranch_execz .LBB62_135
; %bb.132:
	v_mov_b32_e32 v1, 0
	v_mov_b32_e32 v3, 0
	v_add_nc_u32_e32 v7, -1, v0
	v_add_nc_u32_e32 v8, 0x3f0, v235
	v_mov_b32_e32 v2, 0
	v_mov_b32_e32 v4, 0
	v_add_nc_u32_e32 v9, 16, v235
	s_mov_b32 s5, 0
	.p2align	6
.LBB62_133:                             ; =>This Inner Loop Header: Depth=1
	s_clause 0x3
	buffer_load_dword v14, v9, s[0:3], 0 offen offset:8
	buffer_load_dword v15, v9, s[0:3], 0 offen offset:12
	buffer_load_dword v16, v9, s[0:3], 0 offen
	buffer_load_dword v17, v9, s[0:3], 0 offen offset:4
	ds_read_b128 v[10:13], v8
	v_add_nc_u32_e32 v7, 1, v7
	v_add_nc_u32_e32 v8, 16, v8
	v_add_nc_u32_e32 v9, 16, v9
	v_cmp_lt_u32_e32 vcc_lo, 25, v7
	s_or_b32 s5, vcc_lo, s5
	s_waitcnt vmcnt(2) lgkmcnt(0)
	v_mul_f64 v[18:19], v[12:13], v[14:15]
	v_mul_f64 v[14:15], v[10:11], v[14:15]
	s_waitcnt vmcnt(0)
	v_fma_f64 v[10:11], v[10:11], v[16:17], -v[18:19]
	v_fma_f64 v[12:13], v[12:13], v[16:17], v[14:15]
	v_add_f64 v[3:4], v[3:4], v[10:11]
	v_add_f64 v[1:2], v[1:2], v[12:13]
	s_andn2_b32 exec_lo, exec_lo, s5
	s_cbranch_execnz .LBB62_133
; %bb.134:
	s_or_b32 exec_lo, exec_lo, s5
	v_mov_b32_e32 v7, 0
	ds_read_b128 v[7:10], v7 offset:432
	s_waitcnt lgkmcnt(0)
	v_mul_f64 v[11:12], v[1:2], v[9:10]
	v_mul_f64 v[9:10], v[3:4], v[9:10]
	v_fma_f64 v[3:4], v[3:4], v[7:8], -v[11:12]
	v_fma_f64 v[1:2], v[1:2], v[7:8], v[9:10]
	buffer_store_dword v4, off, s[0:3], 0 offset:452
	buffer_store_dword v3, off, s[0:3], 0 offset:448
	;; [unrolled: 1-line block ×4, first 2 shown]
.LBB62_135:
	s_or_b32 exec_lo, exec_lo, s4
	v_mov_b32_e32 v4, s49
	s_waitcnt_vscnt null, 0x0
	s_barrier
	buffer_gl0_inv
	s_mov_b32 s4, exec_lo
	s_clause 0x3
	buffer_load_dword v1, v4, s[0:3], 0 offen
	buffer_load_dword v2, v4, s[0:3], 0 offen offset:4
	buffer_load_dword v3, v4, s[0:3], 0 offen offset:8
	;; [unrolled: 1-line block ×3, first 2 shown]
	s_waitcnt vmcnt(0)
	ds_write_b128 v5, v[1:4]
	s_waitcnt lgkmcnt(0)
	s_barrier
	buffer_gl0_inv
	v_cmpx_gt_u32_e32 28, v0
	s_cbranch_execz .LBB62_139
; %bb.136:
	v_mov_b32_e32 v1, 0
	v_mov_b32_e32 v3, 0
	v_add_nc_u32_e32 v7, -1, v0
	v_add_nc_u32_e32 v8, 0x3f0, v235
	v_mov_b32_e32 v2, 0
	v_mov_b32_e32 v4, 0
	v_add_nc_u32_e32 v9, 16, v235
	s_mov_b32 s5, 0
	.p2align	6
.LBB62_137:                             ; =>This Inner Loop Header: Depth=1
	s_clause 0x3
	buffer_load_dword v14, v9, s[0:3], 0 offen offset:8
	buffer_load_dword v15, v9, s[0:3], 0 offen offset:12
	buffer_load_dword v16, v9, s[0:3], 0 offen
	buffer_load_dword v17, v9, s[0:3], 0 offen offset:4
	ds_read_b128 v[10:13], v8
	v_add_nc_u32_e32 v7, 1, v7
	v_add_nc_u32_e32 v8, 16, v8
	;; [unrolled: 1-line block ×3, first 2 shown]
	v_cmp_lt_u32_e32 vcc_lo, 26, v7
	s_or_b32 s5, vcc_lo, s5
	s_waitcnt vmcnt(2) lgkmcnt(0)
	v_mul_f64 v[18:19], v[12:13], v[14:15]
	v_mul_f64 v[14:15], v[10:11], v[14:15]
	s_waitcnt vmcnt(0)
	v_fma_f64 v[10:11], v[10:11], v[16:17], -v[18:19]
	v_fma_f64 v[12:13], v[12:13], v[16:17], v[14:15]
	v_add_f64 v[3:4], v[3:4], v[10:11]
	v_add_f64 v[1:2], v[1:2], v[12:13]
	s_andn2_b32 exec_lo, exec_lo, s5
	s_cbranch_execnz .LBB62_137
; %bb.138:
	s_or_b32 exec_lo, exec_lo, s5
	v_mov_b32_e32 v7, 0
	ds_read_b128 v[7:10], v7 offset:448
	s_waitcnt lgkmcnt(0)
	v_mul_f64 v[11:12], v[1:2], v[9:10]
	v_mul_f64 v[9:10], v[3:4], v[9:10]
	v_fma_f64 v[3:4], v[3:4], v[7:8], -v[11:12]
	v_fma_f64 v[1:2], v[1:2], v[7:8], v[9:10]
	buffer_store_dword v4, off, s[0:3], 0 offset:468
	buffer_store_dword v3, off, s[0:3], 0 offset:464
	;; [unrolled: 1-line block ×4, first 2 shown]
.LBB62_139:
	s_or_b32 exec_lo, exec_lo, s4
	v_mov_b32_e32 v4, s48
	s_waitcnt_vscnt null, 0x0
	s_barrier
	buffer_gl0_inv
	s_mov_b32 s4, exec_lo
	s_clause 0x3
	buffer_load_dword v1, v4, s[0:3], 0 offen
	buffer_load_dword v2, v4, s[0:3], 0 offen offset:4
	buffer_load_dword v3, v4, s[0:3], 0 offen offset:8
	;; [unrolled: 1-line block ×3, first 2 shown]
	s_waitcnt vmcnt(0)
	ds_write_b128 v5, v[1:4]
	s_waitcnt lgkmcnt(0)
	s_barrier
	buffer_gl0_inv
	v_cmpx_gt_u32_e32 29, v0
	s_cbranch_execz .LBB62_143
; %bb.140:
	v_mov_b32_e32 v1, 0
	v_mov_b32_e32 v3, 0
	v_add_nc_u32_e32 v7, -1, v0
	v_add_nc_u32_e32 v8, 0x3f0, v235
	v_mov_b32_e32 v2, 0
	v_mov_b32_e32 v4, 0
	v_add_nc_u32_e32 v9, 16, v235
	s_mov_b32 s5, 0
	.p2align	6
.LBB62_141:                             ; =>This Inner Loop Header: Depth=1
	s_clause 0x3
	buffer_load_dword v14, v9, s[0:3], 0 offen offset:8
	buffer_load_dword v15, v9, s[0:3], 0 offen offset:12
	buffer_load_dword v16, v9, s[0:3], 0 offen
	buffer_load_dword v17, v9, s[0:3], 0 offen offset:4
	ds_read_b128 v[10:13], v8
	v_add_nc_u32_e32 v7, 1, v7
	v_add_nc_u32_e32 v8, 16, v8
	;; [unrolled: 1-line block ×3, first 2 shown]
	v_cmp_lt_u32_e32 vcc_lo, 27, v7
	s_or_b32 s5, vcc_lo, s5
	s_waitcnt vmcnt(2) lgkmcnt(0)
	v_mul_f64 v[18:19], v[12:13], v[14:15]
	v_mul_f64 v[14:15], v[10:11], v[14:15]
	s_waitcnt vmcnt(0)
	v_fma_f64 v[10:11], v[10:11], v[16:17], -v[18:19]
	v_fma_f64 v[12:13], v[12:13], v[16:17], v[14:15]
	v_add_f64 v[3:4], v[3:4], v[10:11]
	v_add_f64 v[1:2], v[1:2], v[12:13]
	s_andn2_b32 exec_lo, exec_lo, s5
	s_cbranch_execnz .LBB62_141
; %bb.142:
	s_or_b32 exec_lo, exec_lo, s5
	v_mov_b32_e32 v7, 0
	ds_read_b128 v[7:10], v7 offset:464
	s_waitcnt lgkmcnt(0)
	v_mul_f64 v[11:12], v[1:2], v[9:10]
	v_mul_f64 v[9:10], v[3:4], v[9:10]
	v_fma_f64 v[3:4], v[3:4], v[7:8], -v[11:12]
	v_fma_f64 v[1:2], v[1:2], v[7:8], v[9:10]
	buffer_store_dword v4, off, s[0:3], 0 offset:484
	buffer_store_dword v3, off, s[0:3], 0 offset:480
	;; [unrolled: 1-line block ×4, first 2 shown]
.LBB62_143:
	s_or_b32 exec_lo, exec_lo, s4
	v_mov_b32_e32 v4, s47
	s_waitcnt_vscnt null, 0x0
	s_barrier
	buffer_gl0_inv
	s_mov_b32 s4, exec_lo
	s_clause 0x3
	buffer_load_dword v1, v4, s[0:3], 0 offen
	buffer_load_dword v2, v4, s[0:3], 0 offen offset:4
	buffer_load_dword v3, v4, s[0:3], 0 offen offset:8
	;; [unrolled: 1-line block ×3, first 2 shown]
	s_waitcnt vmcnt(0)
	ds_write_b128 v5, v[1:4]
	s_waitcnt lgkmcnt(0)
	s_barrier
	buffer_gl0_inv
	v_cmpx_gt_u32_e32 30, v0
	s_cbranch_execz .LBB62_147
; %bb.144:
	v_mov_b32_e32 v1, 0
	v_mov_b32_e32 v3, 0
	v_add_nc_u32_e32 v7, -1, v0
	v_add_nc_u32_e32 v8, 0x3f0, v235
	v_mov_b32_e32 v2, 0
	v_mov_b32_e32 v4, 0
	v_add_nc_u32_e32 v9, 16, v235
	s_mov_b32 s5, 0
	.p2align	6
.LBB62_145:                             ; =>This Inner Loop Header: Depth=1
	s_clause 0x3
	buffer_load_dword v14, v9, s[0:3], 0 offen offset:8
	buffer_load_dword v15, v9, s[0:3], 0 offen offset:12
	buffer_load_dword v16, v9, s[0:3], 0 offen
	buffer_load_dword v17, v9, s[0:3], 0 offen offset:4
	ds_read_b128 v[10:13], v8
	v_add_nc_u32_e32 v7, 1, v7
	v_add_nc_u32_e32 v8, 16, v8
	;; [unrolled: 1-line block ×3, first 2 shown]
	v_cmp_lt_u32_e32 vcc_lo, 28, v7
	s_or_b32 s5, vcc_lo, s5
	s_waitcnt vmcnt(2) lgkmcnt(0)
	v_mul_f64 v[18:19], v[12:13], v[14:15]
	v_mul_f64 v[14:15], v[10:11], v[14:15]
	s_waitcnt vmcnt(0)
	v_fma_f64 v[10:11], v[10:11], v[16:17], -v[18:19]
	v_fma_f64 v[12:13], v[12:13], v[16:17], v[14:15]
	v_add_f64 v[3:4], v[3:4], v[10:11]
	v_add_f64 v[1:2], v[1:2], v[12:13]
	s_andn2_b32 exec_lo, exec_lo, s5
	s_cbranch_execnz .LBB62_145
; %bb.146:
	s_or_b32 exec_lo, exec_lo, s5
	v_mov_b32_e32 v7, 0
	ds_read_b128 v[7:10], v7 offset:480
	s_waitcnt lgkmcnt(0)
	v_mul_f64 v[11:12], v[1:2], v[9:10]
	v_mul_f64 v[9:10], v[3:4], v[9:10]
	v_fma_f64 v[3:4], v[3:4], v[7:8], -v[11:12]
	v_fma_f64 v[1:2], v[1:2], v[7:8], v[9:10]
	buffer_store_dword v4, off, s[0:3], 0 offset:500
	buffer_store_dword v3, off, s[0:3], 0 offset:496
	;; [unrolled: 1-line block ×4, first 2 shown]
.LBB62_147:
	s_or_b32 exec_lo, exec_lo, s4
	v_mov_b32_e32 v4, s46
	s_waitcnt_vscnt null, 0x0
	s_barrier
	buffer_gl0_inv
	s_mov_b32 s4, exec_lo
	s_clause 0x3
	buffer_load_dword v1, v4, s[0:3], 0 offen
	buffer_load_dword v2, v4, s[0:3], 0 offen offset:4
	buffer_load_dword v3, v4, s[0:3], 0 offen offset:8
	;; [unrolled: 1-line block ×3, first 2 shown]
	s_waitcnt vmcnt(0)
	ds_write_b128 v5, v[1:4]
	s_waitcnt lgkmcnt(0)
	s_barrier
	buffer_gl0_inv
	v_cmpx_gt_u32_e32 31, v0
	s_cbranch_execz .LBB62_151
; %bb.148:
	v_mov_b32_e32 v1, 0
	v_mov_b32_e32 v3, 0
	v_add_nc_u32_e32 v7, -1, v0
	v_add_nc_u32_e32 v8, 0x3f0, v235
	v_mov_b32_e32 v2, 0
	v_mov_b32_e32 v4, 0
	v_add_nc_u32_e32 v9, 16, v235
	s_mov_b32 s5, 0
	.p2align	6
.LBB62_149:                             ; =>This Inner Loop Header: Depth=1
	s_clause 0x3
	buffer_load_dword v14, v9, s[0:3], 0 offen offset:8
	buffer_load_dword v15, v9, s[0:3], 0 offen offset:12
	buffer_load_dword v16, v9, s[0:3], 0 offen
	buffer_load_dword v17, v9, s[0:3], 0 offen offset:4
	ds_read_b128 v[10:13], v8
	v_add_nc_u32_e32 v7, 1, v7
	v_add_nc_u32_e32 v8, 16, v8
	;; [unrolled: 1-line block ×3, first 2 shown]
	v_cmp_lt_u32_e32 vcc_lo, 29, v7
	s_or_b32 s5, vcc_lo, s5
	s_waitcnt vmcnt(2) lgkmcnt(0)
	v_mul_f64 v[18:19], v[12:13], v[14:15]
	v_mul_f64 v[14:15], v[10:11], v[14:15]
	s_waitcnt vmcnt(0)
	v_fma_f64 v[10:11], v[10:11], v[16:17], -v[18:19]
	v_fma_f64 v[12:13], v[12:13], v[16:17], v[14:15]
	v_add_f64 v[3:4], v[3:4], v[10:11]
	v_add_f64 v[1:2], v[1:2], v[12:13]
	s_andn2_b32 exec_lo, exec_lo, s5
	s_cbranch_execnz .LBB62_149
; %bb.150:
	s_or_b32 exec_lo, exec_lo, s5
	v_mov_b32_e32 v7, 0
	ds_read_b128 v[7:10], v7 offset:496
	s_waitcnt lgkmcnt(0)
	v_mul_f64 v[11:12], v[1:2], v[9:10]
	v_mul_f64 v[9:10], v[3:4], v[9:10]
	v_fma_f64 v[3:4], v[3:4], v[7:8], -v[11:12]
	v_fma_f64 v[1:2], v[1:2], v[7:8], v[9:10]
	buffer_store_dword v4, off, s[0:3], 0 offset:516
	buffer_store_dword v3, off, s[0:3], 0 offset:512
	;; [unrolled: 1-line block ×4, first 2 shown]
.LBB62_151:
	s_or_b32 exec_lo, exec_lo, s4
	v_mov_b32_e32 v4, s45
	s_waitcnt_vscnt null, 0x0
	s_barrier
	buffer_gl0_inv
	s_mov_b32 s4, exec_lo
	s_clause 0x3
	buffer_load_dword v1, v4, s[0:3], 0 offen
	buffer_load_dword v2, v4, s[0:3], 0 offen offset:4
	buffer_load_dword v3, v4, s[0:3], 0 offen offset:8
	;; [unrolled: 1-line block ×3, first 2 shown]
	s_waitcnt vmcnt(0)
	ds_write_b128 v5, v[1:4]
	s_waitcnt lgkmcnt(0)
	s_barrier
	buffer_gl0_inv
	v_cmpx_gt_u32_e32 32, v0
	s_cbranch_execz .LBB62_155
; %bb.152:
	v_mov_b32_e32 v1, 0
	v_mov_b32_e32 v3, 0
	v_add_nc_u32_e32 v7, -1, v0
	v_add_nc_u32_e32 v8, 0x3f0, v235
	v_mov_b32_e32 v2, 0
	v_mov_b32_e32 v4, 0
	v_add_nc_u32_e32 v9, 16, v235
	s_mov_b32 s5, 0
	.p2align	6
.LBB62_153:                             ; =>This Inner Loop Header: Depth=1
	s_clause 0x3
	buffer_load_dword v14, v9, s[0:3], 0 offen offset:8
	buffer_load_dword v15, v9, s[0:3], 0 offen offset:12
	buffer_load_dword v16, v9, s[0:3], 0 offen
	buffer_load_dword v17, v9, s[0:3], 0 offen offset:4
	ds_read_b128 v[10:13], v8
	v_add_nc_u32_e32 v7, 1, v7
	v_add_nc_u32_e32 v8, 16, v8
	;; [unrolled: 1-line block ×3, first 2 shown]
	v_cmp_lt_u32_e32 vcc_lo, 30, v7
	s_or_b32 s5, vcc_lo, s5
	s_waitcnt vmcnt(2) lgkmcnt(0)
	v_mul_f64 v[18:19], v[12:13], v[14:15]
	v_mul_f64 v[14:15], v[10:11], v[14:15]
	s_waitcnt vmcnt(0)
	v_fma_f64 v[10:11], v[10:11], v[16:17], -v[18:19]
	v_fma_f64 v[12:13], v[12:13], v[16:17], v[14:15]
	v_add_f64 v[3:4], v[3:4], v[10:11]
	v_add_f64 v[1:2], v[1:2], v[12:13]
	s_andn2_b32 exec_lo, exec_lo, s5
	s_cbranch_execnz .LBB62_153
; %bb.154:
	s_or_b32 exec_lo, exec_lo, s5
	v_mov_b32_e32 v7, 0
	ds_read_b128 v[7:10], v7 offset:512
	s_waitcnt lgkmcnt(0)
	v_mul_f64 v[11:12], v[1:2], v[9:10]
	v_mul_f64 v[9:10], v[3:4], v[9:10]
	v_fma_f64 v[3:4], v[3:4], v[7:8], -v[11:12]
	v_fma_f64 v[1:2], v[1:2], v[7:8], v[9:10]
	buffer_store_dword v4, off, s[0:3], 0 offset:532
	buffer_store_dword v3, off, s[0:3], 0 offset:528
	;; [unrolled: 1-line block ×4, first 2 shown]
.LBB62_155:
	s_or_b32 exec_lo, exec_lo, s4
	v_mov_b32_e32 v4, s44
	s_waitcnt_vscnt null, 0x0
	s_barrier
	buffer_gl0_inv
	s_mov_b32 s4, exec_lo
	s_clause 0x3
	buffer_load_dword v1, v4, s[0:3], 0 offen
	buffer_load_dword v2, v4, s[0:3], 0 offen offset:4
	buffer_load_dword v3, v4, s[0:3], 0 offen offset:8
	;; [unrolled: 1-line block ×3, first 2 shown]
	s_waitcnt vmcnt(0)
	ds_write_b128 v5, v[1:4]
	s_waitcnt lgkmcnt(0)
	s_barrier
	buffer_gl0_inv
	v_cmpx_gt_u32_e32 33, v0
	s_cbranch_execz .LBB62_159
; %bb.156:
	v_mov_b32_e32 v1, 0
	v_mov_b32_e32 v3, 0
	v_add_nc_u32_e32 v7, -1, v0
	v_add_nc_u32_e32 v8, 0x3f0, v235
	v_mov_b32_e32 v2, 0
	v_mov_b32_e32 v4, 0
	v_add_nc_u32_e32 v9, 16, v235
	s_mov_b32 s5, 0
	.p2align	6
.LBB62_157:                             ; =>This Inner Loop Header: Depth=1
	s_clause 0x3
	buffer_load_dword v14, v9, s[0:3], 0 offen offset:8
	buffer_load_dword v15, v9, s[0:3], 0 offen offset:12
	buffer_load_dword v16, v9, s[0:3], 0 offen
	buffer_load_dword v17, v9, s[0:3], 0 offen offset:4
	ds_read_b128 v[10:13], v8
	v_add_nc_u32_e32 v7, 1, v7
	v_add_nc_u32_e32 v8, 16, v8
	;; [unrolled: 1-line block ×3, first 2 shown]
	v_cmp_lt_u32_e32 vcc_lo, 31, v7
	s_or_b32 s5, vcc_lo, s5
	s_waitcnt vmcnt(2) lgkmcnt(0)
	v_mul_f64 v[18:19], v[12:13], v[14:15]
	v_mul_f64 v[14:15], v[10:11], v[14:15]
	s_waitcnt vmcnt(0)
	v_fma_f64 v[10:11], v[10:11], v[16:17], -v[18:19]
	v_fma_f64 v[12:13], v[12:13], v[16:17], v[14:15]
	v_add_f64 v[3:4], v[3:4], v[10:11]
	v_add_f64 v[1:2], v[1:2], v[12:13]
	s_andn2_b32 exec_lo, exec_lo, s5
	s_cbranch_execnz .LBB62_157
; %bb.158:
	s_or_b32 exec_lo, exec_lo, s5
	v_mov_b32_e32 v7, 0
	ds_read_b128 v[7:10], v7 offset:528
	s_waitcnt lgkmcnt(0)
	v_mul_f64 v[11:12], v[1:2], v[9:10]
	v_mul_f64 v[9:10], v[3:4], v[9:10]
	v_fma_f64 v[3:4], v[3:4], v[7:8], -v[11:12]
	v_fma_f64 v[1:2], v[1:2], v[7:8], v[9:10]
	buffer_store_dword v4, off, s[0:3], 0 offset:548
	buffer_store_dword v3, off, s[0:3], 0 offset:544
	;; [unrolled: 1-line block ×4, first 2 shown]
.LBB62_159:
	s_or_b32 exec_lo, exec_lo, s4
	v_mov_b32_e32 v4, s43
	s_waitcnt_vscnt null, 0x0
	s_barrier
	buffer_gl0_inv
	s_mov_b32 s4, exec_lo
	s_clause 0x3
	buffer_load_dword v1, v4, s[0:3], 0 offen
	buffer_load_dword v2, v4, s[0:3], 0 offen offset:4
	buffer_load_dword v3, v4, s[0:3], 0 offen offset:8
	;; [unrolled: 1-line block ×3, first 2 shown]
	s_waitcnt vmcnt(0)
	ds_write_b128 v5, v[1:4]
	s_waitcnt lgkmcnt(0)
	s_barrier
	buffer_gl0_inv
	v_cmpx_gt_u32_e32 34, v0
	s_cbranch_execz .LBB62_163
; %bb.160:
	v_mov_b32_e32 v1, 0
	v_mov_b32_e32 v3, 0
	v_add_nc_u32_e32 v7, -1, v0
	v_add_nc_u32_e32 v8, 0x3f0, v235
	v_mov_b32_e32 v2, 0
	v_mov_b32_e32 v4, 0
	v_add_nc_u32_e32 v9, 16, v235
	s_mov_b32 s5, 0
	.p2align	6
.LBB62_161:                             ; =>This Inner Loop Header: Depth=1
	s_clause 0x3
	buffer_load_dword v14, v9, s[0:3], 0 offen offset:8
	buffer_load_dword v15, v9, s[0:3], 0 offen offset:12
	buffer_load_dword v16, v9, s[0:3], 0 offen
	buffer_load_dword v17, v9, s[0:3], 0 offen offset:4
	ds_read_b128 v[10:13], v8
	v_add_nc_u32_e32 v7, 1, v7
	v_add_nc_u32_e32 v8, 16, v8
	;; [unrolled: 1-line block ×3, first 2 shown]
	v_cmp_lt_u32_e32 vcc_lo, 32, v7
	s_or_b32 s5, vcc_lo, s5
	s_waitcnt vmcnt(2) lgkmcnt(0)
	v_mul_f64 v[18:19], v[12:13], v[14:15]
	v_mul_f64 v[14:15], v[10:11], v[14:15]
	s_waitcnt vmcnt(0)
	v_fma_f64 v[10:11], v[10:11], v[16:17], -v[18:19]
	v_fma_f64 v[12:13], v[12:13], v[16:17], v[14:15]
	v_add_f64 v[3:4], v[3:4], v[10:11]
	v_add_f64 v[1:2], v[1:2], v[12:13]
	s_andn2_b32 exec_lo, exec_lo, s5
	s_cbranch_execnz .LBB62_161
; %bb.162:
	s_or_b32 exec_lo, exec_lo, s5
	v_mov_b32_e32 v7, 0
	ds_read_b128 v[7:10], v7 offset:544
	s_waitcnt lgkmcnt(0)
	v_mul_f64 v[11:12], v[1:2], v[9:10]
	v_mul_f64 v[9:10], v[3:4], v[9:10]
	v_fma_f64 v[3:4], v[3:4], v[7:8], -v[11:12]
	v_fma_f64 v[1:2], v[1:2], v[7:8], v[9:10]
	buffer_store_dword v4, off, s[0:3], 0 offset:564
	buffer_store_dword v3, off, s[0:3], 0 offset:560
	;; [unrolled: 1-line block ×4, first 2 shown]
.LBB62_163:
	s_or_b32 exec_lo, exec_lo, s4
	v_mov_b32_e32 v4, s42
	s_waitcnt_vscnt null, 0x0
	s_barrier
	buffer_gl0_inv
	s_mov_b32 s4, exec_lo
	s_clause 0x3
	buffer_load_dword v1, v4, s[0:3], 0 offen
	buffer_load_dword v2, v4, s[0:3], 0 offen offset:4
	buffer_load_dword v3, v4, s[0:3], 0 offen offset:8
	;; [unrolled: 1-line block ×3, first 2 shown]
	s_waitcnt vmcnt(0)
	ds_write_b128 v5, v[1:4]
	s_waitcnt lgkmcnt(0)
	s_barrier
	buffer_gl0_inv
	v_cmpx_gt_u32_e32 35, v0
	s_cbranch_execz .LBB62_167
; %bb.164:
	v_mov_b32_e32 v1, 0
	v_mov_b32_e32 v3, 0
	v_add_nc_u32_e32 v7, -1, v0
	v_add_nc_u32_e32 v8, 0x3f0, v235
	v_mov_b32_e32 v2, 0
	v_mov_b32_e32 v4, 0
	v_add_nc_u32_e32 v9, 16, v235
	s_mov_b32 s5, 0
	.p2align	6
.LBB62_165:                             ; =>This Inner Loop Header: Depth=1
	s_clause 0x3
	buffer_load_dword v14, v9, s[0:3], 0 offen offset:8
	buffer_load_dword v15, v9, s[0:3], 0 offen offset:12
	buffer_load_dword v16, v9, s[0:3], 0 offen
	buffer_load_dword v17, v9, s[0:3], 0 offen offset:4
	ds_read_b128 v[10:13], v8
	v_add_nc_u32_e32 v7, 1, v7
	v_add_nc_u32_e32 v8, 16, v8
	;; [unrolled: 1-line block ×3, first 2 shown]
	v_cmp_lt_u32_e32 vcc_lo, 33, v7
	s_or_b32 s5, vcc_lo, s5
	s_waitcnt vmcnt(2) lgkmcnt(0)
	v_mul_f64 v[18:19], v[12:13], v[14:15]
	v_mul_f64 v[14:15], v[10:11], v[14:15]
	s_waitcnt vmcnt(0)
	v_fma_f64 v[10:11], v[10:11], v[16:17], -v[18:19]
	v_fma_f64 v[12:13], v[12:13], v[16:17], v[14:15]
	v_add_f64 v[3:4], v[3:4], v[10:11]
	v_add_f64 v[1:2], v[1:2], v[12:13]
	s_andn2_b32 exec_lo, exec_lo, s5
	s_cbranch_execnz .LBB62_165
; %bb.166:
	s_or_b32 exec_lo, exec_lo, s5
	v_mov_b32_e32 v7, 0
	ds_read_b128 v[7:10], v7 offset:560
	s_waitcnt lgkmcnt(0)
	v_mul_f64 v[11:12], v[1:2], v[9:10]
	v_mul_f64 v[9:10], v[3:4], v[9:10]
	v_fma_f64 v[3:4], v[3:4], v[7:8], -v[11:12]
	v_fma_f64 v[1:2], v[1:2], v[7:8], v[9:10]
	buffer_store_dword v4, off, s[0:3], 0 offset:580
	buffer_store_dword v3, off, s[0:3], 0 offset:576
	;; [unrolled: 1-line block ×4, first 2 shown]
.LBB62_167:
	s_or_b32 exec_lo, exec_lo, s4
	v_mov_b32_e32 v4, s41
	s_waitcnt_vscnt null, 0x0
	s_barrier
	buffer_gl0_inv
	s_mov_b32 s4, exec_lo
	s_clause 0x3
	buffer_load_dword v1, v4, s[0:3], 0 offen
	buffer_load_dword v2, v4, s[0:3], 0 offen offset:4
	buffer_load_dword v3, v4, s[0:3], 0 offen offset:8
	;; [unrolled: 1-line block ×3, first 2 shown]
	s_waitcnt vmcnt(0)
	ds_write_b128 v5, v[1:4]
	s_waitcnt lgkmcnt(0)
	s_barrier
	buffer_gl0_inv
	v_cmpx_gt_u32_e32 36, v0
	s_cbranch_execz .LBB62_171
; %bb.168:
	v_mov_b32_e32 v1, 0
	v_mov_b32_e32 v3, 0
	v_add_nc_u32_e32 v7, -1, v0
	v_add_nc_u32_e32 v8, 0x3f0, v235
	v_mov_b32_e32 v2, 0
	v_mov_b32_e32 v4, 0
	v_add_nc_u32_e32 v9, 16, v235
	s_mov_b32 s5, 0
	.p2align	6
.LBB62_169:                             ; =>This Inner Loop Header: Depth=1
	s_clause 0x3
	buffer_load_dword v14, v9, s[0:3], 0 offen offset:8
	buffer_load_dword v15, v9, s[0:3], 0 offen offset:12
	buffer_load_dword v16, v9, s[0:3], 0 offen
	buffer_load_dword v17, v9, s[0:3], 0 offen offset:4
	ds_read_b128 v[10:13], v8
	v_add_nc_u32_e32 v7, 1, v7
	v_add_nc_u32_e32 v8, 16, v8
	;; [unrolled: 1-line block ×3, first 2 shown]
	v_cmp_lt_u32_e32 vcc_lo, 34, v7
	s_or_b32 s5, vcc_lo, s5
	s_waitcnt vmcnt(2) lgkmcnt(0)
	v_mul_f64 v[18:19], v[12:13], v[14:15]
	v_mul_f64 v[14:15], v[10:11], v[14:15]
	s_waitcnt vmcnt(0)
	v_fma_f64 v[10:11], v[10:11], v[16:17], -v[18:19]
	v_fma_f64 v[12:13], v[12:13], v[16:17], v[14:15]
	v_add_f64 v[3:4], v[3:4], v[10:11]
	v_add_f64 v[1:2], v[1:2], v[12:13]
	s_andn2_b32 exec_lo, exec_lo, s5
	s_cbranch_execnz .LBB62_169
; %bb.170:
	s_or_b32 exec_lo, exec_lo, s5
	v_mov_b32_e32 v7, 0
	ds_read_b128 v[7:10], v7 offset:576
	s_waitcnt lgkmcnt(0)
	v_mul_f64 v[11:12], v[1:2], v[9:10]
	v_mul_f64 v[9:10], v[3:4], v[9:10]
	v_fma_f64 v[3:4], v[3:4], v[7:8], -v[11:12]
	v_fma_f64 v[1:2], v[1:2], v[7:8], v[9:10]
	buffer_store_dword v4, off, s[0:3], 0 offset:596
	buffer_store_dword v3, off, s[0:3], 0 offset:592
	;; [unrolled: 1-line block ×4, first 2 shown]
.LBB62_171:
	s_or_b32 exec_lo, exec_lo, s4
	v_mov_b32_e32 v4, s40
	s_waitcnt_vscnt null, 0x0
	s_barrier
	buffer_gl0_inv
	s_mov_b32 s4, exec_lo
	s_clause 0x3
	buffer_load_dword v1, v4, s[0:3], 0 offen
	buffer_load_dword v2, v4, s[0:3], 0 offen offset:4
	buffer_load_dword v3, v4, s[0:3], 0 offen offset:8
	buffer_load_dword v4, v4, s[0:3], 0 offen offset:12
	s_waitcnt vmcnt(0)
	ds_write_b128 v5, v[1:4]
	s_waitcnt lgkmcnt(0)
	s_barrier
	buffer_gl0_inv
	v_cmpx_gt_u32_e32 37, v0
	s_cbranch_execz .LBB62_175
; %bb.172:
	v_mov_b32_e32 v1, 0
	v_mov_b32_e32 v3, 0
	v_add_nc_u32_e32 v7, -1, v0
	v_add_nc_u32_e32 v8, 0x3f0, v235
	v_mov_b32_e32 v2, 0
	v_mov_b32_e32 v4, 0
	v_add_nc_u32_e32 v9, 16, v235
	s_mov_b32 s5, 0
	.p2align	6
.LBB62_173:                             ; =>This Inner Loop Header: Depth=1
	s_clause 0x3
	buffer_load_dword v14, v9, s[0:3], 0 offen offset:8
	buffer_load_dword v15, v9, s[0:3], 0 offen offset:12
	buffer_load_dword v16, v9, s[0:3], 0 offen
	buffer_load_dword v17, v9, s[0:3], 0 offen offset:4
	ds_read_b128 v[10:13], v8
	v_add_nc_u32_e32 v7, 1, v7
	v_add_nc_u32_e32 v8, 16, v8
	;; [unrolled: 1-line block ×3, first 2 shown]
	v_cmp_lt_u32_e32 vcc_lo, 35, v7
	s_or_b32 s5, vcc_lo, s5
	s_waitcnt vmcnt(2) lgkmcnt(0)
	v_mul_f64 v[18:19], v[12:13], v[14:15]
	v_mul_f64 v[14:15], v[10:11], v[14:15]
	s_waitcnt vmcnt(0)
	v_fma_f64 v[10:11], v[10:11], v[16:17], -v[18:19]
	v_fma_f64 v[12:13], v[12:13], v[16:17], v[14:15]
	v_add_f64 v[3:4], v[3:4], v[10:11]
	v_add_f64 v[1:2], v[1:2], v[12:13]
	s_andn2_b32 exec_lo, exec_lo, s5
	s_cbranch_execnz .LBB62_173
; %bb.174:
	s_or_b32 exec_lo, exec_lo, s5
	v_mov_b32_e32 v7, 0
	ds_read_b128 v[7:10], v7 offset:592
	s_waitcnt lgkmcnt(0)
	v_mul_f64 v[11:12], v[1:2], v[9:10]
	v_mul_f64 v[9:10], v[3:4], v[9:10]
	v_fma_f64 v[3:4], v[3:4], v[7:8], -v[11:12]
	v_fma_f64 v[1:2], v[1:2], v[7:8], v[9:10]
	buffer_store_dword v4, off, s[0:3], 0 offset:612
	buffer_store_dword v3, off, s[0:3], 0 offset:608
	;; [unrolled: 1-line block ×4, first 2 shown]
.LBB62_175:
	s_or_b32 exec_lo, exec_lo, s4
	v_mov_b32_e32 v4, s39
	s_waitcnt_vscnt null, 0x0
	s_barrier
	buffer_gl0_inv
	s_mov_b32 s4, exec_lo
	s_clause 0x3
	buffer_load_dword v1, v4, s[0:3], 0 offen
	buffer_load_dword v2, v4, s[0:3], 0 offen offset:4
	buffer_load_dword v3, v4, s[0:3], 0 offen offset:8
	;; [unrolled: 1-line block ×3, first 2 shown]
	s_waitcnt vmcnt(0)
	ds_write_b128 v5, v[1:4]
	s_waitcnt lgkmcnt(0)
	s_barrier
	buffer_gl0_inv
	v_cmpx_gt_u32_e32 38, v0
	s_cbranch_execz .LBB62_179
; %bb.176:
	v_mov_b32_e32 v1, 0
	v_mov_b32_e32 v3, 0
	v_add_nc_u32_e32 v7, -1, v0
	v_add_nc_u32_e32 v8, 0x3f0, v235
	v_mov_b32_e32 v2, 0
	v_mov_b32_e32 v4, 0
	v_add_nc_u32_e32 v9, 16, v235
	s_mov_b32 s5, 0
	.p2align	6
.LBB62_177:                             ; =>This Inner Loop Header: Depth=1
	s_clause 0x3
	buffer_load_dword v14, v9, s[0:3], 0 offen offset:8
	buffer_load_dword v15, v9, s[0:3], 0 offen offset:12
	buffer_load_dword v16, v9, s[0:3], 0 offen
	buffer_load_dword v17, v9, s[0:3], 0 offen offset:4
	ds_read_b128 v[10:13], v8
	v_add_nc_u32_e32 v7, 1, v7
	v_add_nc_u32_e32 v8, 16, v8
	;; [unrolled: 1-line block ×3, first 2 shown]
	v_cmp_lt_u32_e32 vcc_lo, 36, v7
	s_or_b32 s5, vcc_lo, s5
	s_waitcnt vmcnt(2) lgkmcnt(0)
	v_mul_f64 v[18:19], v[12:13], v[14:15]
	v_mul_f64 v[14:15], v[10:11], v[14:15]
	s_waitcnt vmcnt(0)
	v_fma_f64 v[10:11], v[10:11], v[16:17], -v[18:19]
	v_fma_f64 v[12:13], v[12:13], v[16:17], v[14:15]
	v_add_f64 v[3:4], v[3:4], v[10:11]
	v_add_f64 v[1:2], v[1:2], v[12:13]
	s_andn2_b32 exec_lo, exec_lo, s5
	s_cbranch_execnz .LBB62_177
; %bb.178:
	s_or_b32 exec_lo, exec_lo, s5
	v_mov_b32_e32 v7, 0
	ds_read_b128 v[7:10], v7 offset:608
	s_waitcnt lgkmcnt(0)
	v_mul_f64 v[11:12], v[1:2], v[9:10]
	v_mul_f64 v[9:10], v[3:4], v[9:10]
	v_fma_f64 v[3:4], v[3:4], v[7:8], -v[11:12]
	v_fma_f64 v[1:2], v[1:2], v[7:8], v[9:10]
	buffer_store_dword v4, off, s[0:3], 0 offset:628
	buffer_store_dword v3, off, s[0:3], 0 offset:624
	;; [unrolled: 1-line block ×4, first 2 shown]
.LBB62_179:
	s_or_b32 exec_lo, exec_lo, s4
	v_mov_b32_e32 v4, s38
	s_waitcnt_vscnt null, 0x0
	s_barrier
	buffer_gl0_inv
	s_mov_b32 s4, exec_lo
	s_clause 0x3
	buffer_load_dword v1, v4, s[0:3], 0 offen
	buffer_load_dword v2, v4, s[0:3], 0 offen offset:4
	buffer_load_dword v3, v4, s[0:3], 0 offen offset:8
	;; [unrolled: 1-line block ×3, first 2 shown]
	s_waitcnt vmcnt(0)
	ds_write_b128 v5, v[1:4]
	s_waitcnt lgkmcnt(0)
	s_barrier
	buffer_gl0_inv
	v_cmpx_gt_u32_e32 39, v0
	s_cbranch_execz .LBB62_183
; %bb.180:
	v_mov_b32_e32 v1, 0
	v_mov_b32_e32 v3, 0
	v_add_nc_u32_e32 v7, -1, v0
	v_add_nc_u32_e32 v8, 0x3f0, v235
	v_mov_b32_e32 v2, 0
	v_mov_b32_e32 v4, 0
	v_add_nc_u32_e32 v9, 16, v235
	s_mov_b32 s5, 0
	.p2align	6
.LBB62_181:                             ; =>This Inner Loop Header: Depth=1
	s_clause 0x3
	buffer_load_dword v14, v9, s[0:3], 0 offen offset:8
	buffer_load_dword v15, v9, s[0:3], 0 offen offset:12
	buffer_load_dword v16, v9, s[0:3], 0 offen
	buffer_load_dword v17, v9, s[0:3], 0 offen offset:4
	ds_read_b128 v[10:13], v8
	v_add_nc_u32_e32 v7, 1, v7
	v_add_nc_u32_e32 v8, 16, v8
	;; [unrolled: 1-line block ×3, first 2 shown]
	v_cmp_lt_u32_e32 vcc_lo, 37, v7
	s_or_b32 s5, vcc_lo, s5
	s_waitcnt vmcnt(2) lgkmcnt(0)
	v_mul_f64 v[18:19], v[12:13], v[14:15]
	v_mul_f64 v[14:15], v[10:11], v[14:15]
	s_waitcnt vmcnt(0)
	v_fma_f64 v[10:11], v[10:11], v[16:17], -v[18:19]
	v_fma_f64 v[12:13], v[12:13], v[16:17], v[14:15]
	v_add_f64 v[3:4], v[3:4], v[10:11]
	v_add_f64 v[1:2], v[1:2], v[12:13]
	s_andn2_b32 exec_lo, exec_lo, s5
	s_cbranch_execnz .LBB62_181
; %bb.182:
	s_or_b32 exec_lo, exec_lo, s5
	v_mov_b32_e32 v7, 0
	ds_read_b128 v[7:10], v7 offset:624
	s_waitcnt lgkmcnt(0)
	v_mul_f64 v[11:12], v[1:2], v[9:10]
	v_mul_f64 v[9:10], v[3:4], v[9:10]
	v_fma_f64 v[3:4], v[3:4], v[7:8], -v[11:12]
	v_fma_f64 v[1:2], v[1:2], v[7:8], v[9:10]
	buffer_store_dword v4, off, s[0:3], 0 offset:644
	buffer_store_dword v3, off, s[0:3], 0 offset:640
	;; [unrolled: 1-line block ×4, first 2 shown]
.LBB62_183:
	s_or_b32 exec_lo, exec_lo, s4
	v_mov_b32_e32 v4, s37
	s_waitcnt_vscnt null, 0x0
	s_barrier
	buffer_gl0_inv
	s_mov_b32 s4, exec_lo
	s_clause 0x3
	buffer_load_dword v1, v4, s[0:3], 0 offen
	buffer_load_dword v2, v4, s[0:3], 0 offen offset:4
	buffer_load_dword v3, v4, s[0:3], 0 offen offset:8
	;; [unrolled: 1-line block ×3, first 2 shown]
	s_waitcnt vmcnt(0)
	ds_write_b128 v5, v[1:4]
	s_waitcnt lgkmcnt(0)
	s_barrier
	buffer_gl0_inv
	v_cmpx_gt_u32_e32 40, v0
	s_cbranch_execz .LBB62_187
; %bb.184:
	v_mov_b32_e32 v1, 0
	v_mov_b32_e32 v3, 0
	v_add_nc_u32_e32 v7, -1, v0
	v_add_nc_u32_e32 v8, 0x3f0, v235
	v_mov_b32_e32 v2, 0
	v_mov_b32_e32 v4, 0
	v_add_nc_u32_e32 v9, 16, v235
	s_mov_b32 s5, 0
	.p2align	6
.LBB62_185:                             ; =>This Inner Loop Header: Depth=1
	s_clause 0x3
	buffer_load_dword v14, v9, s[0:3], 0 offen offset:8
	buffer_load_dword v15, v9, s[0:3], 0 offen offset:12
	buffer_load_dword v16, v9, s[0:3], 0 offen
	buffer_load_dword v17, v9, s[0:3], 0 offen offset:4
	ds_read_b128 v[10:13], v8
	v_add_nc_u32_e32 v7, 1, v7
	v_add_nc_u32_e32 v8, 16, v8
	;; [unrolled: 1-line block ×3, first 2 shown]
	v_cmp_lt_u32_e32 vcc_lo, 38, v7
	s_or_b32 s5, vcc_lo, s5
	s_waitcnt vmcnt(2) lgkmcnt(0)
	v_mul_f64 v[18:19], v[12:13], v[14:15]
	v_mul_f64 v[14:15], v[10:11], v[14:15]
	s_waitcnt vmcnt(0)
	v_fma_f64 v[10:11], v[10:11], v[16:17], -v[18:19]
	v_fma_f64 v[12:13], v[12:13], v[16:17], v[14:15]
	v_add_f64 v[3:4], v[3:4], v[10:11]
	v_add_f64 v[1:2], v[1:2], v[12:13]
	s_andn2_b32 exec_lo, exec_lo, s5
	s_cbranch_execnz .LBB62_185
; %bb.186:
	s_or_b32 exec_lo, exec_lo, s5
	v_mov_b32_e32 v7, 0
	ds_read_b128 v[7:10], v7 offset:640
	s_waitcnt lgkmcnt(0)
	v_mul_f64 v[11:12], v[1:2], v[9:10]
	v_mul_f64 v[9:10], v[3:4], v[9:10]
	v_fma_f64 v[3:4], v[3:4], v[7:8], -v[11:12]
	v_fma_f64 v[1:2], v[1:2], v[7:8], v[9:10]
	buffer_store_dword v4, off, s[0:3], 0 offset:660
	buffer_store_dword v3, off, s[0:3], 0 offset:656
	;; [unrolled: 1-line block ×4, first 2 shown]
.LBB62_187:
	s_or_b32 exec_lo, exec_lo, s4
	v_mov_b32_e32 v4, s36
	s_waitcnt_vscnt null, 0x0
	s_barrier
	buffer_gl0_inv
	s_mov_b32 s4, exec_lo
	s_clause 0x3
	buffer_load_dword v1, v4, s[0:3], 0 offen
	buffer_load_dword v2, v4, s[0:3], 0 offen offset:4
	buffer_load_dword v3, v4, s[0:3], 0 offen offset:8
	;; [unrolled: 1-line block ×3, first 2 shown]
	s_waitcnt vmcnt(0)
	ds_write_b128 v5, v[1:4]
	s_waitcnt lgkmcnt(0)
	s_barrier
	buffer_gl0_inv
	v_cmpx_gt_u32_e32 41, v0
	s_cbranch_execz .LBB62_191
; %bb.188:
	v_mov_b32_e32 v1, 0
	v_mov_b32_e32 v3, 0
	v_add_nc_u32_e32 v7, -1, v0
	v_add_nc_u32_e32 v8, 0x3f0, v235
	v_mov_b32_e32 v2, 0
	v_mov_b32_e32 v4, 0
	v_add_nc_u32_e32 v9, 16, v235
	s_mov_b32 s5, 0
	.p2align	6
.LBB62_189:                             ; =>This Inner Loop Header: Depth=1
	s_clause 0x3
	buffer_load_dword v14, v9, s[0:3], 0 offen offset:8
	buffer_load_dword v15, v9, s[0:3], 0 offen offset:12
	buffer_load_dword v16, v9, s[0:3], 0 offen
	buffer_load_dword v17, v9, s[0:3], 0 offen offset:4
	ds_read_b128 v[10:13], v8
	v_add_nc_u32_e32 v7, 1, v7
	v_add_nc_u32_e32 v8, 16, v8
	;; [unrolled: 1-line block ×3, first 2 shown]
	v_cmp_lt_u32_e32 vcc_lo, 39, v7
	s_or_b32 s5, vcc_lo, s5
	s_waitcnt vmcnt(2) lgkmcnt(0)
	v_mul_f64 v[18:19], v[12:13], v[14:15]
	v_mul_f64 v[14:15], v[10:11], v[14:15]
	s_waitcnt vmcnt(0)
	v_fma_f64 v[10:11], v[10:11], v[16:17], -v[18:19]
	v_fma_f64 v[12:13], v[12:13], v[16:17], v[14:15]
	v_add_f64 v[3:4], v[3:4], v[10:11]
	v_add_f64 v[1:2], v[1:2], v[12:13]
	s_andn2_b32 exec_lo, exec_lo, s5
	s_cbranch_execnz .LBB62_189
; %bb.190:
	s_or_b32 exec_lo, exec_lo, s5
	v_mov_b32_e32 v7, 0
	ds_read_b128 v[7:10], v7 offset:656
	s_waitcnt lgkmcnt(0)
	v_mul_f64 v[11:12], v[1:2], v[9:10]
	v_mul_f64 v[9:10], v[3:4], v[9:10]
	v_fma_f64 v[3:4], v[3:4], v[7:8], -v[11:12]
	v_fma_f64 v[1:2], v[1:2], v[7:8], v[9:10]
	buffer_store_dword v4, off, s[0:3], 0 offset:676
	buffer_store_dword v3, off, s[0:3], 0 offset:672
	;; [unrolled: 1-line block ×4, first 2 shown]
.LBB62_191:
	s_or_b32 exec_lo, exec_lo, s4
	v_mov_b32_e32 v4, s35
	s_waitcnt_vscnt null, 0x0
	s_barrier
	buffer_gl0_inv
	s_mov_b32 s4, exec_lo
	s_clause 0x3
	buffer_load_dword v1, v4, s[0:3], 0 offen
	buffer_load_dword v2, v4, s[0:3], 0 offen offset:4
	buffer_load_dword v3, v4, s[0:3], 0 offen offset:8
	;; [unrolled: 1-line block ×3, first 2 shown]
	s_waitcnt vmcnt(0)
	ds_write_b128 v5, v[1:4]
	s_waitcnt lgkmcnt(0)
	s_barrier
	buffer_gl0_inv
	v_cmpx_gt_u32_e32 42, v0
	s_cbranch_execz .LBB62_195
; %bb.192:
	v_mov_b32_e32 v1, 0
	v_mov_b32_e32 v3, 0
	v_add_nc_u32_e32 v7, -1, v0
	v_add_nc_u32_e32 v8, 0x3f0, v235
	v_mov_b32_e32 v2, 0
	v_mov_b32_e32 v4, 0
	v_add_nc_u32_e32 v9, 16, v235
	s_mov_b32 s5, 0
	.p2align	6
.LBB62_193:                             ; =>This Inner Loop Header: Depth=1
	s_clause 0x3
	buffer_load_dword v14, v9, s[0:3], 0 offen offset:8
	buffer_load_dword v15, v9, s[0:3], 0 offen offset:12
	buffer_load_dword v16, v9, s[0:3], 0 offen
	buffer_load_dword v17, v9, s[0:3], 0 offen offset:4
	ds_read_b128 v[10:13], v8
	v_add_nc_u32_e32 v7, 1, v7
	v_add_nc_u32_e32 v8, 16, v8
	;; [unrolled: 1-line block ×3, first 2 shown]
	v_cmp_lt_u32_e32 vcc_lo, 40, v7
	s_or_b32 s5, vcc_lo, s5
	s_waitcnt vmcnt(2) lgkmcnt(0)
	v_mul_f64 v[18:19], v[12:13], v[14:15]
	v_mul_f64 v[14:15], v[10:11], v[14:15]
	s_waitcnt vmcnt(0)
	v_fma_f64 v[10:11], v[10:11], v[16:17], -v[18:19]
	v_fma_f64 v[12:13], v[12:13], v[16:17], v[14:15]
	v_add_f64 v[3:4], v[3:4], v[10:11]
	v_add_f64 v[1:2], v[1:2], v[12:13]
	s_andn2_b32 exec_lo, exec_lo, s5
	s_cbranch_execnz .LBB62_193
; %bb.194:
	s_or_b32 exec_lo, exec_lo, s5
	v_mov_b32_e32 v7, 0
	ds_read_b128 v[7:10], v7 offset:672
	s_waitcnt lgkmcnt(0)
	v_mul_f64 v[11:12], v[1:2], v[9:10]
	v_mul_f64 v[9:10], v[3:4], v[9:10]
	v_fma_f64 v[3:4], v[3:4], v[7:8], -v[11:12]
	v_fma_f64 v[1:2], v[1:2], v[7:8], v[9:10]
	buffer_store_dword v4, off, s[0:3], 0 offset:692
	buffer_store_dword v3, off, s[0:3], 0 offset:688
	buffer_store_dword v2, off, s[0:3], 0 offset:700
	buffer_store_dword v1, off, s[0:3], 0 offset:696
.LBB62_195:
	s_or_b32 exec_lo, exec_lo, s4
	v_mov_b32_e32 v4, s34
	s_waitcnt_vscnt null, 0x0
	s_barrier
	buffer_gl0_inv
	s_mov_b32 s4, exec_lo
	s_clause 0x3
	buffer_load_dword v1, v4, s[0:3], 0 offen
	buffer_load_dword v2, v4, s[0:3], 0 offen offset:4
	buffer_load_dword v3, v4, s[0:3], 0 offen offset:8
	;; [unrolled: 1-line block ×3, first 2 shown]
	s_waitcnt vmcnt(0)
	ds_write_b128 v5, v[1:4]
	s_waitcnt lgkmcnt(0)
	s_barrier
	buffer_gl0_inv
	v_cmpx_gt_u32_e32 43, v0
	s_cbranch_execz .LBB62_199
; %bb.196:
	v_mov_b32_e32 v1, 0
	v_mov_b32_e32 v3, 0
	v_add_nc_u32_e32 v7, -1, v0
	v_add_nc_u32_e32 v8, 0x3f0, v235
	v_mov_b32_e32 v2, 0
	v_mov_b32_e32 v4, 0
	v_add_nc_u32_e32 v9, 16, v235
	s_mov_b32 s5, 0
	.p2align	6
.LBB62_197:                             ; =>This Inner Loop Header: Depth=1
	s_clause 0x3
	buffer_load_dword v14, v9, s[0:3], 0 offen offset:8
	buffer_load_dword v15, v9, s[0:3], 0 offen offset:12
	buffer_load_dword v16, v9, s[0:3], 0 offen
	buffer_load_dword v17, v9, s[0:3], 0 offen offset:4
	ds_read_b128 v[10:13], v8
	v_add_nc_u32_e32 v7, 1, v7
	v_add_nc_u32_e32 v8, 16, v8
	;; [unrolled: 1-line block ×3, first 2 shown]
	v_cmp_lt_u32_e32 vcc_lo, 41, v7
	s_or_b32 s5, vcc_lo, s5
	s_waitcnt vmcnt(2) lgkmcnt(0)
	v_mul_f64 v[18:19], v[12:13], v[14:15]
	v_mul_f64 v[14:15], v[10:11], v[14:15]
	s_waitcnt vmcnt(0)
	v_fma_f64 v[10:11], v[10:11], v[16:17], -v[18:19]
	v_fma_f64 v[12:13], v[12:13], v[16:17], v[14:15]
	v_add_f64 v[3:4], v[3:4], v[10:11]
	v_add_f64 v[1:2], v[1:2], v[12:13]
	s_andn2_b32 exec_lo, exec_lo, s5
	s_cbranch_execnz .LBB62_197
; %bb.198:
	s_or_b32 exec_lo, exec_lo, s5
	v_mov_b32_e32 v7, 0
	ds_read_b128 v[7:10], v7 offset:688
	s_waitcnt lgkmcnt(0)
	v_mul_f64 v[11:12], v[1:2], v[9:10]
	v_mul_f64 v[9:10], v[3:4], v[9:10]
	v_fma_f64 v[3:4], v[3:4], v[7:8], -v[11:12]
	v_fma_f64 v[1:2], v[1:2], v[7:8], v[9:10]
	buffer_store_dword v4, off, s[0:3], 0 offset:708
	buffer_store_dword v3, off, s[0:3], 0 offset:704
	;; [unrolled: 1-line block ×4, first 2 shown]
.LBB62_199:
	s_or_b32 exec_lo, exec_lo, s4
	v_mov_b32_e32 v4, s33
	s_waitcnt_vscnt null, 0x0
	s_barrier
	buffer_gl0_inv
	s_mov_b32 s4, exec_lo
	s_clause 0x3
	buffer_load_dword v1, v4, s[0:3], 0 offen
	buffer_load_dword v2, v4, s[0:3], 0 offen offset:4
	buffer_load_dword v3, v4, s[0:3], 0 offen offset:8
	;; [unrolled: 1-line block ×3, first 2 shown]
	s_waitcnt vmcnt(0)
	ds_write_b128 v5, v[1:4]
	s_waitcnt lgkmcnt(0)
	s_barrier
	buffer_gl0_inv
	v_cmpx_gt_u32_e32 44, v0
	s_cbranch_execz .LBB62_203
; %bb.200:
	v_mov_b32_e32 v1, 0
	v_mov_b32_e32 v3, 0
	v_add_nc_u32_e32 v7, -1, v0
	v_add_nc_u32_e32 v8, 0x3f0, v235
	v_mov_b32_e32 v2, 0
	v_mov_b32_e32 v4, 0
	v_add_nc_u32_e32 v9, 16, v235
	s_mov_b32 s5, 0
	.p2align	6
.LBB62_201:                             ; =>This Inner Loop Header: Depth=1
	s_clause 0x3
	buffer_load_dword v14, v9, s[0:3], 0 offen offset:8
	buffer_load_dword v15, v9, s[0:3], 0 offen offset:12
	buffer_load_dword v16, v9, s[0:3], 0 offen
	buffer_load_dword v17, v9, s[0:3], 0 offen offset:4
	ds_read_b128 v[10:13], v8
	v_add_nc_u32_e32 v7, 1, v7
	v_add_nc_u32_e32 v8, 16, v8
	;; [unrolled: 1-line block ×3, first 2 shown]
	v_cmp_lt_u32_e32 vcc_lo, 42, v7
	s_or_b32 s5, vcc_lo, s5
	s_waitcnt vmcnt(2) lgkmcnt(0)
	v_mul_f64 v[18:19], v[12:13], v[14:15]
	v_mul_f64 v[14:15], v[10:11], v[14:15]
	s_waitcnt vmcnt(0)
	v_fma_f64 v[10:11], v[10:11], v[16:17], -v[18:19]
	v_fma_f64 v[12:13], v[12:13], v[16:17], v[14:15]
	v_add_f64 v[3:4], v[3:4], v[10:11]
	v_add_f64 v[1:2], v[1:2], v[12:13]
	s_andn2_b32 exec_lo, exec_lo, s5
	s_cbranch_execnz .LBB62_201
; %bb.202:
	s_or_b32 exec_lo, exec_lo, s5
	v_mov_b32_e32 v7, 0
	ds_read_b128 v[7:10], v7 offset:704
	s_waitcnt lgkmcnt(0)
	v_mul_f64 v[11:12], v[1:2], v[9:10]
	v_mul_f64 v[9:10], v[3:4], v[9:10]
	v_fma_f64 v[3:4], v[3:4], v[7:8], -v[11:12]
	v_fma_f64 v[1:2], v[1:2], v[7:8], v[9:10]
	buffer_store_dword v4, off, s[0:3], 0 offset:724
	buffer_store_dword v3, off, s[0:3], 0 offset:720
	;; [unrolled: 1-line block ×4, first 2 shown]
.LBB62_203:
	s_or_b32 exec_lo, exec_lo, s4
	v_mov_b32_e32 v4, s31
	s_waitcnt_vscnt null, 0x0
	s_barrier
	buffer_gl0_inv
	s_mov_b32 s4, exec_lo
	s_clause 0x3
	buffer_load_dword v1, v4, s[0:3], 0 offen
	buffer_load_dword v2, v4, s[0:3], 0 offen offset:4
	buffer_load_dword v3, v4, s[0:3], 0 offen offset:8
	buffer_load_dword v4, v4, s[0:3], 0 offen offset:12
	s_waitcnt vmcnt(0)
	ds_write_b128 v5, v[1:4]
	s_waitcnt lgkmcnt(0)
	s_barrier
	buffer_gl0_inv
	v_cmpx_gt_u32_e32 45, v0
	s_cbranch_execz .LBB62_207
; %bb.204:
	v_mov_b32_e32 v1, 0
	v_mov_b32_e32 v3, 0
	v_add_nc_u32_e32 v7, -1, v0
	v_add_nc_u32_e32 v8, 0x3f0, v235
	v_mov_b32_e32 v2, 0
	v_mov_b32_e32 v4, 0
	v_add_nc_u32_e32 v9, 16, v235
	s_mov_b32 s5, 0
	.p2align	6
.LBB62_205:                             ; =>This Inner Loop Header: Depth=1
	s_clause 0x3
	buffer_load_dword v14, v9, s[0:3], 0 offen offset:8
	buffer_load_dword v15, v9, s[0:3], 0 offen offset:12
	buffer_load_dword v16, v9, s[0:3], 0 offen
	buffer_load_dword v17, v9, s[0:3], 0 offen offset:4
	ds_read_b128 v[10:13], v8
	v_add_nc_u32_e32 v7, 1, v7
	v_add_nc_u32_e32 v8, 16, v8
	;; [unrolled: 1-line block ×3, first 2 shown]
	v_cmp_lt_u32_e32 vcc_lo, 43, v7
	s_or_b32 s5, vcc_lo, s5
	s_waitcnt vmcnt(2) lgkmcnt(0)
	v_mul_f64 v[18:19], v[12:13], v[14:15]
	v_mul_f64 v[14:15], v[10:11], v[14:15]
	s_waitcnt vmcnt(0)
	v_fma_f64 v[10:11], v[10:11], v[16:17], -v[18:19]
	v_fma_f64 v[12:13], v[12:13], v[16:17], v[14:15]
	v_add_f64 v[3:4], v[3:4], v[10:11]
	v_add_f64 v[1:2], v[1:2], v[12:13]
	s_andn2_b32 exec_lo, exec_lo, s5
	s_cbranch_execnz .LBB62_205
; %bb.206:
	s_or_b32 exec_lo, exec_lo, s5
	v_mov_b32_e32 v7, 0
	ds_read_b128 v[7:10], v7 offset:720
	s_waitcnt lgkmcnt(0)
	v_mul_f64 v[11:12], v[1:2], v[9:10]
	v_mul_f64 v[9:10], v[3:4], v[9:10]
	v_fma_f64 v[3:4], v[3:4], v[7:8], -v[11:12]
	v_fma_f64 v[1:2], v[1:2], v[7:8], v[9:10]
	buffer_store_dword v4, off, s[0:3], 0 offset:740
	buffer_store_dword v3, off, s[0:3], 0 offset:736
	;; [unrolled: 1-line block ×4, first 2 shown]
.LBB62_207:
	s_or_b32 exec_lo, exec_lo, s4
	v_mov_b32_e32 v4, s30
	s_waitcnt_vscnt null, 0x0
	s_barrier
	buffer_gl0_inv
	s_mov_b32 s4, exec_lo
	s_clause 0x3
	buffer_load_dword v1, v4, s[0:3], 0 offen
	buffer_load_dword v2, v4, s[0:3], 0 offen offset:4
	buffer_load_dword v3, v4, s[0:3], 0 offen offset:8
	;; [unrolled: 1-line block ×3, first 2 shown]
	s_waitcnt vmcnt(0)
	ds_write_b128 v5, v[1:4]
	s_waitcnt lgkmcnt(0)
	s_barrier
	buffer_gl0_inv
	v_cmpx_gt_u32_e32 46, v0
	s_cbranch_execz .LBB62_211
; %bb.208:
	v_mov_b32_e32 v1, 0
	v_mov_b32_e32 v3, 0
	v_add_nc_u32_e32 v7, -1, v0
	v_add_nc_u32_e32 v8, 0x3f0, v235
	v_mov_b32_e32 v2, 0
	v_mov_b32_e32 v4, 0
	v_add_nc_u32_e32 v9, 16, v235
	s_mov_b32 s5, 0
	.p2align	6
.LBB62_209:                             ; =>This Inner Loop Header: Depth=1
	s_clause 0x3
	buffer_load_dword v14, v9, s[0:3], 0 offen offset:8
	buffer_load_dword v15, v9, s[0:3], 0 offen offset:12
	buffer_load_dword v16, v9, s[0:3], 0 offen
	buffer_load_dword v17, v9, s[0:3], 0 offen offset:4
	ds_read_b128 v[10:13], v8
	v_add_nc_u32_e32 v7, 1, v7
	v_add_nc_u32_e32 v8, 16, v8
	;; [unrolled: 1-line block ×3, first 2 shown]
	v_cmp_lt_u32_e32 vcc_lo, 44, v7
	s_or_b32 s5, vcc_lo, s5
	s_waitcnt vmcnt(2) lgkmcnt(0)
	v_mul_f64 v[18:19], v[12:13], v[14:15]
	v_mul_f64 v[14:15], v[10:11], v[14:15]
	s_waitcnt vmcnt(0)
	v_fma_f64 v[10:11], v[10:11], v[16:17], -v[18:19]
	v_fma_f64 v[12:13], v[12:13], v[16:17], v[14:15]
	v_add_f64 v[3:4], v[3:4], v[10:11]
	v_add_f64 v[1:2], v[1:2], v[12:13]
	s_andn2_b32 exec_lo, exec_lo, s5
	s_cbranch_execnz .LBB62_209
; %bb.210:
	s_or_b32 exec_lo, exec_lo, s5
	v_mov_b32_e32 v7, 0
	ds_read_b128 v[7:10], v7 offset:736
	s_waitcnt lgkmcnt(0)
	v_mul_f64 v[11:12], v[1:2], v[9:10]
	v_mul_f64 v[9:10], v[3:4], v[9:10]
	v_fma_f64 v[3:4], v[3:4], v[7:8], -v[11:12]
	v_fma_f64 v[1:2], v[1:2], v[7:8], v[9:10]
	buffer_store_dword v4, off, s[0:3], 0 offset:756
	buffer_store_dword v3, off, s[0:3], 0 offset:752
	;; [unrolled: 1-line block ×4, first 2 shown]
.LBB62_211:
	s_or_b32 exec_lo, exec_lo, s4
	v_mov_b32_e32 v4, s29
	s_waitcnt_vscnt null, 0x0
	s_barrier
	buffer_gl0_inv
	s_mov_b32 s4, exec_lo
	s_clause 0x3
	buffer_load_dword v1, v4, s[0:3], 0 offen
	buffer_load_dword v2, v4, s[0:3], 0 offen offset:4
	buffer_load_dword v3, v4, s[0:3], 0 offen offset:8
	;; [unrolled: 1-line block ×3, first 2 shown]
	s_waitcnt vmcnt(0)
	ds_write_b128 v5, v[1:4]
	s_waitcnt lgkmcnt(0)
	s_barrier
	buffer_gl0_inv
	v_cmpx_gt_u32_e32 47, v0
	s_cbranch_execz .LBB62_215
; %bb.212:
	v_mov_b32_e32 v1, 0
	v_mov_b32_e32 v3, 0
	v_add_nc_u32_e32 v7, -1, v0
	v_add_nc_u32_e32 v8, 0x3f0, v235
	v_mov_b32_e32 v2, 0
	v_mov_b32_e32 v4, 0
	v_add_nc_u32_e32 v9, 16, v235
	s_mov_b32 s5, 0
	.p2align	6
.LBB62_213:                             ; =>This Inner Loop Header: Depth=1
	s_clause 0x3
	buffer_load_dword v14, v9, s[0:3], 0 offen offset:8
	buffer_load_dword v15, v9, s[0:3], 0 offen offset:12
	buffer_load_dword v16, v9, s[0:3], 0 offen
	buffer_load_dword v17, v9, s[0:3], 0 offen offset:4
	ds_read_b128 v[10:13], v8
	v_add_nc_u32_e32 v7, 1, v7
	v_add_nc_u32_e32 v8, 16, v8
	;; [unrolled: 1-line block ×3, first 2 shown]
	v_cmp_lt_u32_e32 vcc_lo, 45, v7
	s_or_b32 s5, vcc_lo, s5
	s_waitcnt vmcnt(2) lgkmcnt(0)
	v_mul_f64 v[18:19], v[12:13], v[14:15]
	v_mul_f64 v[14:15], v[10:11], v[14:15]
	s_waitcnt vmcnt(0)
	v_fma_f64 v[10:11], v[10:11], v[16:17], -v[18:19]
	v_fma_f64 v[12:13], v[12:13], v[16:17], v[14:15]
	v_add_f64 v[3:4], v[3:4], v[10:11]
	v_add_f64 v[1:2], v[1:2], v[12:13]
	s_andn2_b32 exec_lo, exec_lo, s5
	s_cbranch_execnz .LBB62_213
; %bb.214:
	s_or_b32 exec_lo, exec_lo, s5
	v_mov_b32_e32 v7, 0
	ds_read_b128 v[7:10], v7 offset:752
	s_waitcnt lgkmcnt(0)
	v_mul_f64 v[11:12], v[1:2], v[9:10]
	v_mul_f64 v[9:10], v[3:4], v[9:10]
	v_fma_f64 v[3:4], v[3:4], v[7:8], -v[11:12]
	v_fma_f64 v[1:2], v[1:2], v[7:8], v[9:10]
	buffer_store_dword v4, off, s[0:3], 0 offset:772
	buffer_store_dword v3, off, s[0:3], 0 offset:768
	;; [unrolled: 1-line block ×4, first 2 shown]
.LBB62_215:
	s_or_b32 exec_lo, exec_lo, s4
	v_mov_b32_e32 v4, s28
	s_waitcnt_vscnt null, 0x0
	s_barrier
	buffer_gl0_inv
	s_mov_b32 s4, exec_lo
	s_clause 0x3
	buffer_load_dword v1, v4, s[0:3], 0 offen
	buffer_load_dword v2, v4, s[0:3], 0 offen offset:4
	buffer_load_dword v3, v4, s[0:3], 0 offen offset:8
	;; [unrolled: 1-line block ×3, first 2 shown]
	s_waitcnt vmcnt(0)
	ds_write_b128 v5, v[1:4]
	s_waitcnt lgkmcnt(0)
	s_barrier
	buffer_gl0_inv
	v_cmpx_gt_u32_e32 48, v0
	s_cbranch_execz .LBB62_219
; %bb.216:
	v_mov_b32_e32 v1, 0
	v_mov_b32_e32 v3, 0
	v_add_nc_u32_e32 v7, -1, v0
	v_add_nc_u32_e32 v8, 0x3f0, v235
	v_mov_b32_e32 v2, 0
	v_mov_b32_e32 v4, 0
	v_add_nc_u32_e32 v9, 16, v235
	s_mov_b32 s5, 0
	.p2align	6
.LBB62_217:                             ; =>This Inner Loop Header: Depth=1
	s_clause 0x3
	buffer_load_dword v14, v9, s[0:3], 0 offen offset:8
	buffer_load_dword v15, v9, s[0:3], 0 offen offset:12
	buffer_load_dword v16, v9, s[0:3], 0 offen
	buffer_load_dword v17, v9, s[0:3], 0 offen offset:4
	ds_read_b128 v[10:13], v8
	v_add_nc_u32_e32 v7, 1, v7
	v_add_nc_u32_e32 v8, 16, v8
	;; [unrolled: 1-line block ×3, first 2 shown]
	v_cmp_lt_u32_e32 vcc_lo, 46, v7
	s_or_b32 s5, vcc_lo, s5
	s_waitcnt vmcnt(2) lgkmcnt(0)
	v_mul_f64 v[18:19], v[12:13], v[14:15]
	v_mul_f64 v[14:15], v[10:11], v[14:15]
	s_waitcnt vmcnt(0)
	v_fma_f64 v[10:11], v[10:11], v[16:17], -v[18:19]
	v_fma_f64 v[12:13], v[12:13], v[16:17], v[14:15]
	v_add_f64 v[3:4], v[3:4], v[10:11]
	v_add_f64 v[1:2], v[1:2], v[12:13]
	s_andn2_b32 exec_lo, exec_lo, s5
	s_cbranch_execnz .LBB62_217
; %bb.218:
	s_or_b32 exec_lo, exec_lo, s5
	v_mov_b32_e32 v7, 0
	ds_read_b128 v[7:10], v7 offset:768
	s_waitcnt lgkmcnt(0)
	v_mul_f64 v[11:12], v[1:2], v[9:10]
	v_mul_f64 v[9:10], v[3:4], v[9:10]
	v_fma_f64 v[3:4], v[3:4], v[7:8], -v[11:12]
	v_fma_f64 v[1:2], v[1:2], v[7:8], v[9:10]
	buffer_store_dword v4, off, s[0:3], 0 offset:788
	buffer_store_dword v3, off, s[0:3], 0 offset:784
	;; [unrolled: 1-line block ×4, first 2 shown]
.LBB62_219:
	s_or_b32 exec_lo, exec_lo, s4
	v_mov_b32_e32 v4, s27
	s_waitcnt_vscnt null, 0x0
	s_barrier
	buffer_gl0_inv
	s_mov_b32 s4, exec_lo
	s_clause 0x3
	buffer_load_dword v1, v4, s[0:3], 0 offen
	buffer_load_dword v2, v4, s[0:3], 0 offen offset:4
	buffer_load_dword v3, v4, s[0:3], 0 offen offset:8
	buffer_load_dword v4, v4, s[0:3], 0 offen offset:12
	s_waitcnt vmcnt(0)
	ds_write_b128 v5, v[1:4]
	s_waitcnt lgkmcnt(0)
	s_barrier
	buffer_gl0_inv
	v_cmpx_gt_u32_e32 49, v0
	s_cbranch_execz .LBB62_223
; %bb.220:
	v_mov_b32_e32 v1, 0
	v_mov_b32_e32 v3, 0
	v_add_nc_u32_e32 v7, -1, v0
	v_add_nc_u32_e32 v8, 0x3f0, v235
	v_mov_b32_e32 v2, 0
	v_mov_b32_e32 v4, 0
	v_add_nc_u32_e32 v9, 16, v235
	s_mov_b32 s5, 0
	.p2align	6
.LBB62_221:                             ; =>This Inner Loop Header: Depth=1
	s_clause 0x3
	buffer_load_dword v14, v9, s[0:3], 0 offen offset:8
	buffer_load_dword v15, v9, s[0:3], 0 offen offset:12
	buffer_load_dword v16, v9, s[0:3], 0 offen
	buffer_load_dword v17, v9, s[0:3], 0 offen offset:4
	ds_read_b128 v[10:13], v8
	v_add_nc_u32_e32 v7, 1, v7
	v_add_nc_u32_e32 v8, 16, v8
	;; [unrolled: 1-line block ×3, first 2 shown]
	v_cmp_lt_u32_e32 vcc_lo, 47, v7
	s_or_b32 s5, vcc_lo, s5
	s_waitcnt vmcnt(2) lgkmcnt(0)
	v_mul_f64 v[18:19], v[12:13], v[14:15]
	v_mul_f64 v[14:15], v[10:11], v[14:15]
	s_waitcnt vmcnt(0)
	v_fma_f64 v[10:11], v[10:11], v[16:17], -v[18:19]
	v_fma_f64 v[12:13], v[12:13], v[16:17], v[14:15]
	v_add_f64 v[3:4], v[3:4], v[10:11]
	v_add_f64 v[1:2], v[1:2], v[12:13]
	s_andn2_b32 exec_lo, exec_lo, s5
	s_cbranch_execnz .LBB62_221
; %bb.222:
	s_or_b32 exec_lo, exec_lo, s5
	v_mov_b32_e32 v7, 0
	ds_read_b128 v[7:10], v7 offset:784
	s_waitcnt lgkmcnt(0)
	v_mul_f64 v[11:12], v[1:2], v[9:10]
	v_mul_f64 v[9:10], v[3:4], v[9:10]
	v_fma_f64 v[3:4], v[3:4], v[7:8], -v[11:12]
	v_fma_f64 v[1:2], v[1:2], v[7:8], v[9:10]
	buffer_store_dword v4, off, s[0:3], 0 offset:804
	buffer_store_dword v3, off, s[0:3], 0 offset:800
	;; [unrolled: 1-line block ×4, first 2 shown]
.LBB62_223:
	s_or_b32 exec_lo, exec_lo, s4
	v_mov_b32_e32 v4, s26
	s_waitcnt_vscnt null, 0x0
	s_barrier
	buffer_gl0_inv
	s_mov_b32 s4, exec_lo
	s_clause 0x3
	buffer_load_dword v1, v4, s[0:3], 0 offen
	buffer_load_dword v2, v4, s[0:3], 0 offen offset:4
	buffer_load_dword v3, v4, s[0:3], 0 offen offset:8
	;; [unrolled: 1-line block ×3, first 2 shown]
	s_waitcnt vmcnt(0)
	ds_write_b128 v5, v[1:4]
	s_waitcnt lgkmcnt(0)
	s_barrier
	buffer_gl0_inv
	v_cmpx_gt_u32_e32 50, v0
	s_cbranch_execz .LBB62_227
; %bb.224:
	v_mov_b32_e32 v1, 0
	v_mov_b32_e32 v3, 0
	v_add_nc_u32_e32 v7, -1, v0
	v_add_nc_u32_e32 v8, 0x3f0, v235
	v_mov_b32_e32 v2, 0
	v_mov_b32_e32 v4, 0
	v_add_nc_u32_e32 v9, 16, v235
	s_mov_b32 s5, 0
	.p2align	6
.LBB62_225:                             ; =>This Inner Loop Header: Depth=1
	s_clause 0x3
	buffer_load_dword v14, v9, s[0:3], 0 offen offset:8
	buffer_load_dword v15, v9, s[0:3], 0 offen offset:12
	buffer_load_dword v16, v9, s[0:3], 0 offen
	buffer_load_dword v17, v9, s[0:3], 0 offen offset:4
	ds_read_b128 v[10:13], v8
	v_add_nc_u32_e32 v7, 1, v7
	v_add_nc_u32_e32 v8, 16, v8
	;; [unrolled: 1-line block ×3, first 2 shown]
	v_cmp_lt_u32_e32 vcc_lo, 48, v7
	s_or_b32 s5, vcc_lo, s5
	s_waitcnt vmcnt(2) lgkmcnt(0)
	v_mul_f64 v[18:19], v[12:13], v[14:15]
	v_mul_f64 v[14:15], v[10:11], v[14:15]
	s_waitcnt vmcnt(0)
	v_fma_f64 v[10:11], v[10:11], v[16:17], -v[18:19]
	v_fma_f64 v[12:13], v[12:13], v[16:17], v[14:15]
	v_add_f64 v[3:4], v[3:4], v[10:11]
	v_add_f64 v[1:2], v[1:2], v[12:13]
	s_andn2_b32 exec_lo, exec_lo, s5
	s_cbranch_execnz .LBB62_225
; %bb.226:
	s_or_b32 exec_lo, exec_lo, s5
	v_mov_b32_e32 v7, 0
	ds_read_b128 v[7:10], v7 offset:800
	s_waitcnt lgkmcnt(0)
	v_mul_f64 v[11:12], v[1:2], v[9:10]
	v_mul_f64 v[9:10], v[3:4], v[9:10]
	v_fma_f64 v[3:4], v[3:4], v[7:8], -v[11:12]
	v_fma_f64 v[1:2], v[1:2], v[7:8], v[9:10]
	buffer_store_dword v4, off, s[0:3], 0 offset:820
	buffer_store_dword v3, off, s[0:3], 0 offset:816
	;; [unrolled: 1-line block ×4, first 2 shown]
.LBB62_227:
	s_or_b32 exec_lo, exec_lo, s4
	v_mov_b32_e32 v4, s25
	s_waitcnt_vscnt null, 0x0
	s_barrier
	buffer_gl0_inv
	s_mov_b32 s4, exec_lo
	s_clause 0x3
	buffer_load_dword v1, v4, s[0:3], 0 offen
	buffer_load_dword v2, v4, s[0:3], 0 offen offset:4
	buffer_load_dword v3, v4, s[0:3], 0 offen offset:8
	;; [unrolled: 1-line block ×3, first 2 shown]
	s_waitcnt vmcnt(0)
	ds_write_b128 v5, v[1:4]
	s_waitcnt lgkmcnt(0)
	s_barrier
	buffer_gl0_inv
	v_cmpx_gt_u32_e32 51, v0
	s_cbranch_execz .LBB62_231
; %bb.228:
	v_mov_b32_e32 v1, 0
	v_mov_b32_e32 v3, 0
	v_add_nc_u32_e32 v7, -1, v0
	v_add_nc_u32_e32 v8, 0x3f0, v235
	v_mov_b32_e32 v2, 0
	v_mov_b32_e32 v4, 0
	v_add_nc_u32_e32 v9, 16, v235
	s_mov_b32 s5, 0
	.p2align	6
.LBB62_229:                             ; =>This Inner Loop Header: Depth=1
	s_clause 0x3
	buffer_load_dword v14, v9, s[0:3], 0 offen offset:8
	buffer_load_dword v15, v9, s[0:3], 0 offen offset:12
	buffer_load_dword v16, v9, s[0:3], 0 offen
	buffer_load_dword v17, v9, s[0:3], 0 offen offset:4
	ds_read_b128 v[10:13], v8
	v_add_nc_u32_e32 v7, 1, v7
	v_add_nc_u32_e32 v8, 16, v8
	;; [unrolled: 1-line block ×3, first 2 shown]
	v_cmp_lt_u32_e32 vcc_lo, 49, v7
	s_or_b32 s5, vcc_lo, s5
	s_waitcnt vmcnt(2) lgkmcnt(0)
	v_mul_f64 v[18:19], v[12:13], v[14:15]
	v_mul_f64 v[14:15], v[10:11], v[14:15]
	s_waitcnt vmcnt(0)
	v_fma_f64 v[10:11], v[10:11], v[16:17], -v[18:19]
	v_fma_f64 v[12:13], v[12:13], v[16:17], v[14:15]
	v_add_f64 v[3:4], v[3:4], v[10:11]
	v_add_f64 v[1:2], v[1:2], v[12:13]
	s_andn2_b32 exec_lo, exec_lo, s5
	s_cbranch_execnz .LBB62_229
; %bb.230:
	s_or_b32 exec_lo, exec_lo, s5
	v_mov_b32_e32 v7, 0
	ds_read_b128 v[7:10], v7 offset:816
	s_waitcnt lgkmcnt(0)
	v_mul_f64 v[11:12], v[1:2], v[9:10]
	v_mul_f64 v[9:10], v[3:4], v[9:10]
	v_fma_f64 v[3:4], v[3:4], v[7:8], -v[11:12]
	v_fma_f64 v[1:2], v[1:2], v[7:8], v[9:10]
	buffer_store_dword v4, off, s[0:3], 0 offset:836
	buffer_store_dword v3, off, s[0:3], 0 offset:832
	;; [unrolled: 1-line block ×4, first 2 shown]
.LBB62_231:
	s_or_b32 exec_lo, exec_lo, s4
	v_mov_b32_e32 v4, s24
	s_waitcnt_vscnt null, 0x0
	s_barrier
	buffer_gl0_inv
	s_mov_b32 s4, exec_lo
	s_clause 0x3
	buffer_load_dword v1, v4, s[0:3], 0 offen
	buffer_load_dword v2, v4, s[0:3], 0 offen offset:4
	buffer_load_dword v3, v4, s[0:3], 0 offen offset:8
	;; [unrolled: 1-line block ×3, first 2 shown]
	s_waitcnt vmcnt(0)
	ds_write_b128 v5, v[1:4]
	s_waitcnt lgkmcnt(0)
	s_barrier
	buffer_gl0_inv
	v_cmpx_gt_u32_e32 52, v0
	s_cbranch_execz .LBB62_235
; %bb.232:
	v_mov_b32_e32 v1, 0
	v_mov_b32_e32 v3, 0
	v_add_nc_u32_e32 v7, -1, v0
	v_add_nc_u32_e32 v8, 0x3f0, v235
	v_mov_b32_e32 v2, 0
	v_mov_b32_e32 v4, 0
	v_add_nc_u32_e32 v9, 16, v235
	s_mov_b32 s5, 0
	.p2align	6
.LBB62_233:                             ; =>This Inner Loop Header: Depth=1
	s_clause 0x3
	buffer_load_dword v14, v9, s[0:3], 0 offen offset:8
	buffer_load_dword v15, v9, s[0:3], 0 offen offset:12
	buffer_load_dword v16, v9, s[0:3], 0 offen
	buffer_load_dword v17, v9, s[0:3], 0 offen offset:4
	ds_read_b128 v[10:13], v8
	v_add_nc_u32_e32 v7, 1, v7
	v_add_nc_u32_e32 v8, 16, v8
	;; [unrolled: 1-line block ×3, first 2 shown]
	v_cmp_lt_u32_e32 vcc_lo, 50, v7
	s_or_b32 s5, vcc_lo, s5
	s_waitcnt vmcnt(2) lgkmcnt(0)
	v_mul_f64 v[18:19], v[12:13], v[14:15]
	v_mul_f64 v[14:15], v[10:11], v[14:15]
	s_waitcnt vmcnt(0)
	v_fma_f64 v[10:11], v[10:11], v[16:17], -v[18:19]
	v_fma_f64 v[12:13], v[12:13], v[16:17], v[14:15]
	v_add_f64 v[3:4], v[3:4], v[10:11]
	v_add_f64 v[1:2], v[1:2], v[12:13]
	s_andn2_b32 exec_lo, exec_lo, s5
	s_cbranch_execnz .LBB62_233
; %bb.234:
	s_or_b32 exec_lo, exec_lo, s5
	v_mov_b32_e32 v7, 0
	ds_read_b128 v[7:10], v7 offset:832
	s_waitcnt lgkmcnt(0)
	v_mul_f64 v[11:12], v[1:2], v[9:10]
	v_mul_f64 v[9:10], v[3:4], v[9:10]
	v_fma_f64 v[3:4], v[3:4], v[7:8], -v[11:12]
	v_fma_f64 v[1:2], v[1:2], v[7:8], v[9:10]
	buffer_store_dword v4, off, s[0:3], 0 offset:852
	buffer_store_dword v3, off, s[0:3], 0 offset:848
	;; [unrolled: 1-line block ×4, first 2 shown]
.LBB62_235:
	s_or_b32 exec_lo, exec_lo, s4
	v_mov_b32_e32 v4, s23
	s_waitcnt_vscnt null, 0x0
	s_barrier
	buffer_gl0_inv
	s_mov_b32 s4, exec_lo
	s_clause 0x3
	buffer_load_dword v1, v4, s[0:3], 0 offen
	buffer_load_dword v2, v4, s[0:3], 0 offen offset:4
	buffer_load_dword v3, v4, s[0:3], 0 offen offset:8
	;; [unrolled: 1-line block ×3, first 2 shown]
	s_waitcnt vmcnt(0)
	ds_write_b128 v5, v[1:4]
	s_waitcnt lgkmcnt(0)
	s_barrier
	buffer_gl0_inv
	v_cmpx_gt_u32_e32 53, v0
	s_cbranch_execz .LBB62_239
; %bb.236:
	v_mov_b32_e32 v1, 0
	v_mov_b32_e32 v3, 0
	v_add_nc_u32_e32 v7, -1, v0
	v_add_nc_u32_e32 v8, 0x3f0, v235
	v_mov_b32_e32 v2, 0
	v_mov_b32_e32 v4, 0
	v_add_nc_u32_e32 v9, 16, v235
	s_mov_b32 s5, 0
	.p2align	6
.LBB62_237:                             ; =>This Inner Loop Header: Depth=1
	s_clause 0x3
	buffer_load_dword v14, v9, s[0:3], 0 offen offset:8
	buffer_load_dword v15, v9, s[0:3], 0 offen offset:12
	buffer_load_dword v16, v9, s[0:3], 0 offen
	buffer_load_dword v17, v9, s[0:3], 0 offen offset:4
	ds_read_b128 v[10:13], v8
	v_add_nc_u32_e32 v7, 1, v7
	v_add_nc_u32_e32 v8, 16, v8
	;; [unrolled: 1-line block ×3, first 2 shown]
	v_cmp_lt_u32_e32 vcc_lo, 51, v7
	s_or_b32 s5, vcc_lo, s5
	s_waitcnt vmcnt(2) lgkmcnt(0)
	v_mul_f64 v[18:19], v[12:13], v[14:15]
	v_mul_f64 v[14:15], v[10:11], v[14:15]
	s_waitcnt vmcnt(0)
	v_fma_f64 v[10:11], v[10:11], v[16:17], -v[18:19]
	v_fma_f64 v[12:13], v[12:13], v[16:17], v[14:15]
	v_add_f64 v[3:4], v[3:4], v[10:11]
	v_add_f64 v[1:2], v[1:2], v[12:13]
	s_andn2_b32 exec_lo, exec_lo, s5
	s_cbranch_execnz .LBB62_237
; %bb.238:
	s_or_b32 exec_lo, exec_lo, s5
	v_mov_b32_e32 v7, 0
	ds_read_b128 v[7:10], v7 offset:848
	s_waitcnt lgkmcnt(0)
	v_mul_f64 v[11:12], v[1:2], v[9:10]
	v_mul_f64 v[9:10], v[3:4], v[9:10]
	v_fma_f64 v[3:4], v[3:4], v[7:8], -v[11:12]
	v_fma_f64 v[1:2], v[1:2], v[7:8], v[9:10]
	buffer_store_dword v4, off, s[0:3], 0 offset:868
	buffer_store_dword v3, off, s[0:3], 0 offset:864
	;; [unrolled: 1-line block ×4, first 2 shown]
.LBB62_239:
	s_or_b32 exec_lo, exec_lo, s4
	v_mov_b32_e32 v4, s22
	s_waitcnt_vscnt null, 0x0
	s_barrier
	buffer_gl0_inv
	s_mov_b32 s4, exec_lo
	s_clause 0x3
	buffer_load_dword v1, v4, s[0:3], 0 offen
	buffer_load_dword v2, v4, s[0:3], 0 offen offset:4
	buffer_load_dword v3, v4, s[0:3], 0 offen offset:8
	;; [unrolled: 1-line block ×3, first 2 shown]
	s_waitcnt vmcnt(0)
	ds_write_b128 v5, v[1:4]
	s_waitcnt lgkmcnt(0)
	s_barrier
	buffer_gl0_inv
	v_cmpx_gt_u32_e32 54, v0
	s_cbranch_execz .LBB62_243
; %bb.240:
	v_mov_b32_e32 v1, 0
	v_mov_b32_e32 v3, 0
	v_add_nc_u32_e32 v7, -1, v0
	v_add_nc_u32_e32 v8, 0x3f0, v235
	v_mov_b32_e32 v2, 0
	v_mov_b32_e32 v4, 0
	v_add_nc_u32_e32 v9, 16, v235
	s_mov_b32 s5, 0
	.p2align	6
.LBB62_241:                             ; =>This Inner Loop Header: Depth=1
	s_clause 0x3
	buffer_load_dword v14, v9, s[0:3], 0 offen offset:8
	buffer_load_dword v15, v9, s[0:3], 0 offen offset:12
	buffer_load_dword v16, v9, s[0:3], 0 offen
	buffer_load_dword v17, v9, s[0:3], 0 offen offset:4
	ds_read_b128 v[10:13], v8
	v_add_nc_u32_e32 v7, 1, v7
	v_add_nc_u32_e32 v8, 16, v8
	;; [unrolled: 1-line block ×3, first 2 shown]
	v_cmp_lt_u32_e32 vcc_lo, 52, v7
	s_or_b32 s5, vcc_lo, s5
	s_waitcnt vmcnt(2) lgkmcnt(0)
	v_mul_f64 v[18:19], v[12:13], v[14:15]
	v_mul_f64 v[14:15], v[10:11], v[14:15]
	s_waitcnt vmcnt(0)
	v_fma_f64 v[10:11], v[10:11], v[16:17], -v[18:19]
	v_fma_f64 v[12:13], v[12:13], v[16:17], v[14:15]
	v_add_f64 v[3:4], v[3:4], v[10:11]
	v_add_f64 v[1:2], v[1:2], v[12:13]
	s_andn2_b32 exec_lo, exec_lo, s5
	s_cbranch_execnz .LBB62_241
; %bb.242:
	s_or_b32 exec_lo, exec_lo, s5
	v_mov_b32_e32 v7, 0
	ds_read_b128 v[7:10], v7 offset:864
	s_waitcnt lgkmcnt(0)
	v_mul_f64 v[11:12], v[1:2], v[9:10]
	v_mul_f64 v[9:10], v[3:4], v[9:10]
	v_fma_f64 v[3:4], v[3:4], v[7:8], -v[11:12]
	v_fma_f64 v[1:2], v[1:2], v[7:8], v[9:10]
	buffer_store_dword v4, off, s[0:3], 0 offset:884
	buffer_store_dword v3, off, s[0:3], 0 offset:880
	;; [unrolled: 1-line block ×4, first 2 shown]
.LBB62_243:
	s_or_b32 exec_lo, exec_lo, s4
	v_mov_b32_e32 v4, s19
	s_waitcnt_vscnt null, 0x0
	s_barrier
	buffer_gl0_inv
	s_mov_b32 s4, exec_lo
	s_clause 0x3
	buffer_load_dword v1, v4, s[0:3], 0 offen
	buffer_load_dword v2, v4, s[0:3], 0 offen offset:4
	buffer_load_dword v3, v4, s[0:3], 0 offen offset:8
	;; [unrolled: 1-line block ×3, first 2 shown]
	s_waitcnt vmcnt(0)
	ds_write_b128 v5, v[1:4]
	s_waitcnt lgkmcnt(0)
	s_barrier
	buffer_gl0_inv
	v_cmpx_gt_u32_e32 55, v0
	s_cbranch_execz .LBB62_247
; %bb.244:
	v_mov_b32_e32 v1, 0
	v_mov_b32_e32 v3, 0
	v_add_nc_u32_e32 v7, -1, v0
	v_add_nc_u32_e32 v8, 0x3f0, v235
	v_mov_b32_e32 v2, 0
	v_mov_b32_e32 v4, 0
	v_add_nc_u32_e32 v9, 16, v235
	s_mov_b32 s5, 0
	.p2align	6
.LBB62_245:                             ; =>This Inner Loop Header: Depth=1
	s_clause 0x3
	buffer_load_dword v14, v9, s[0:3], 0 offen offset:8
	buffer_load_dword v15, v9, s[0:3], 0 offen offset:12
	buffer_load_dword v16, v9, s[0:3], 0 offen
	buffer_load_dword v17, v9, s[0:3], 0 offen offset:4
	ds_read_b128 v[10:13], v8
	v_add_nc_u32_e32 v7, 1, v7
	v_add_nc_u32_e32 v8, 16, v8
	;; [unrolled: 1-line block ×3, first 2 shown]
	v_cmp_lt_u32_e32 vcc_lo, 53, v7
	s_or_b32 s5, vcc_lo, s5
	s_waitcnt vmcnt(2) lgkmcnt(0)
	v_mul_f64 v[18:19], v[12:13], v[14:15]
	v_mul_f64 v[14:15], v[10:11], v[14:15]
	s_waitcnt vmcnt(0)
	v_fma_f64 v[10:11], v[10:11], v[16:17], -v[18:19]
	v_fma_f64 v[12:13], v[12:13], v[16:17], v[14:15]
	v_add_f64 v[3:4], v[3:4], v[10:11]
	v_add_f64 v[1:2], v[1:2], v[12:13]
	s_andn2_b32 exec_lo, exec_lo, s5
	s_cbranch_execnz .LBB62_245
; %bb.246:
	s_or_b32 exec_lo, exec_lo, s5
	v_mov_b32_e32 v7, 0
	ds_read_b128 v[7:10], v7 offset:880
	s_waitcnt lgkmcnt(0)
	v_mul_f64 v[11:12], v[1:2], v[9:10]
	v_mul_f64 v[9:10], v[3:4], v[9:10]
	v_fma_f64 v[3:4], v[3:4], v[7:8], -v[11:12]
	v_fma_f64 v[1:2], v[1:2], v[7:8], v[9:10]
	buffer_store_dword v4, off, s[0:3], 0 offset:900
	buffer_store_dword v3, off, s[0:3], 0 offset:896
	;; [unrolled: 1-line block ×4, first 2 shown]
.LBB62_247:
	s_or_b32 exec_lo, exec_lo, s4
	v_mov_b32_e32 v4, s18
	s_waitcnt_vscnt null, 0x0
	s_barrier
	buffer_gl0_inv
	s_mov_b32 s4, exec_lo
	s_clause 0x3
	buffer_load_dword v1, v4, s[0:3], 0 offen
	buffer_load_dword v2, v4, s[0:3], 0 offen offset:4
	buffer_load_dword v3, v4, s[0:3], 0 offen offset:8
	;; [unrolled: 1-line block ×3, first 2 shown]
	s_waitcnt vmcnt(0)
	ds_write_b128 v5, v[1:4]
	s_waitcnt lgkmcnt(0)
	s_barrier
	buffer_gl0_inv
	v_cmpx_gt_u32_e32 56, v0
	s_cbranch_execz .LBB62_251
; %bb.248:
	v_mov_b32_e32 v1, 0
	v_mov_b32_e32 v3, 0
	v_add_nc_u32_e32 v7, -1, v0
	v_add_nc_u32_e32 v8, 0x3f0, v235
	v_mov_b32_e32 v2, 0
	v_mov_b32_e32 v4, 0
	v_add_nc_u32_e32 v9, 16, v235
	s_mov_b32 s5, 0
	.p2align	6
.LBB62_249:                             ; =>This Inner Loop Header: Depth=1
	s_clause 0x3
	buffer_load_dword v14, v9, s[0:3], 0 offen offset:8
	buffer_load_dword v15, v9, s[0:3], 0 offen offset:12
	buffer_load_dword v16, v9, s[0:3], 0 offen
	buffer_load_dword v17, v9, s[0:3], 0 offen offset:4
	ds_read_b128 v[10:13], v8
	v_add_nc_u32_e32 v7, 1, v7
	v_add_nc_u32_e32 v8, 16, v8
	;; [unrolled: 1-line block ×3, first 2 shown]
	v_cmp_lt_u32_e32 vcc_lo, 54, v7
	s_or_b32 s5, vcc_lo, s5
	s_waitcnt vmcnt(2) lgkmcnt(0)
	v_mul_f64 v[18:19], v[12:13], v[14:15]
	v_mul_f64 v[14:15], v[10:11], v[14:15]
	s_waitcnt vmcnt(0)
	v_fma_f64 v[10:11], v[10:11], v[16:17], -v[18:19]
	v_fma_f64 v[12:13], v[12:13], v[16:17], v[14:15]
	v_add_f64 v[3:4], v[3:4], v[10:11]
	v_add_f64 v[1:2], v[1:2], v[12:13]
	s_andn2_b32 exec_lo, exec_lo, s5
	s_cbranch_execnz .LBB62_249
; %bb.250:
	s_or_b32 exec_lo, exec_lo, s5
	v_mov_b32_e32 v7, 0
	ds_read_b128 v[7:10], v7 offset:896
	s_waitcnt lgkmcnt(0)
	v_mul_f64 v[11:12], v[1:2], v[9:10]
	v_mul_f64 v[9:10], v[3:4], v[9:10]
	v_fma_f64 v[3:4], v[3:4], v[7:8], -v[11:12]
	v_fma_f64 v[1:2], v[1:2], v[7:8], v[9:10]
	buffer_store_dword v4, off, s[0:3], 0 offset:916
	buffer_store_dword v3, off, s[0:3], 0 offset:912
	;; [unrolled: 1-line block ×4, first 2 shown]
.LBB62_251:
	s_or_b32 exec_lo, exec_lo, s4
	v_mov_b32_e32 v4, s17
	s_waitcnt_vscnt null, 0x0
	s_barrier
	buffer_gl0_inv
	s_mov_b32 s4, exec_lo
	s_clause 0x3
	buffer_load_dword v1, v4, s[0:3], 0 offen
	buffer_load_dword v2, v4, s[0:3], 0 offen offset:4
	buffer_load_dword v3, v4, s[0:3], 0 offen offset:8
	;; [unrolled: 1-line block ×3, first 2 shown]
	s_waitcnt vmcnt(0)
	ds_write_b128 v5, v[1:4]
	s_waitcnt lgkmcnt(0)
	s_barrier
	buffer_gl0_inv
	v_cmpx_gt_u32_e32 57, v0
	s_cbranch_execz .LBB62_255
; %bb.252:
	v_mov_b32_e32 v1, 0
	v_mov_b32_e32 v3, 0
	v_add_nc_u32_e32 v7, -1, v0
	v_add_nc_u32_e32 v8, 0x3f0, v235
	v_mov_b32_e32 v2, 0
	v_mov_b32_e32 v4, 0
	v_add_nc_u32_e32 v9, 16, v235
	s_mov_b32 s5, 0
	.p2align	6
.LBB62_253:                             ; =>This Inner Loop Header: Depth=1
	s_clause 0x3
	buffer_load_dword v14, v9, s[0:3], 0 offen offset:8
	buffer_load_dword v15, v9, s[0:3], 0 offen offset:12
	buffer_load_dword v16, v9, s[0:3], 0 offen
	buffer_load_dword v17, v9, s[0:3], 0 offen offset:4
	ds_read_b128 v[10:13], v8
	v_add_nc_u32_e32 v7, 1, v7
	v_add_nc_u32_e32 v8, 16, v8
	;; [unrolled: 1-line block ×3, first 2 shown]
	v_cmp_lt_u32_e32 vcc_lo, 55, v7
	s_or_b32 s5, vcc_lo, s5
	s_waitcnt vmcnt(2) lgkmcnt(0)
	v_mul_f64 v[18:19], v[12:13], v[14:15]
	v_mul_f64 v[14:15], v[10:11], v[14:15]
	s_waitcnt vmcnt(0)
	v_fma_f64 v[10:11], v[10:11], v[16:17], -v[18:19]
	v_fma_f64 v[12:13], v[12:13], v[16:17], v[14:15]
	v_add_f64 v[3:4], v[3:4], v[10:11]
	v_add_f64 v[1:2], v[1:2], v[12:13]
	s_andn2_b32 exec_lo, exec_lo, s5
	s_cbranch_execnz .LBB62_253
; %bb.254:
	s_or_b32 exec_lo, exec_lo, s5
	v_mov_b32_e32 v7, 0
	ds_read_b128 v[7:10], v7 offset:912
	s_waitcnt lgkmcnt(0)
	v_mul_f64 v[11:12], v[1:2], v[9:10]
	v_mul_f64 v[9:10], v[3:4], v[9:10]
	v_fma_f64 v[3:4], v[3:4], v[7:8], -v[11:12]
	v_fma_f64 v[1:2], v[1:2], v[7:8], v[9:10]
	buffer_store_dword v4, off, s[0:3], 0 offset:932
	buffer_store_dword v3, off, s[0:3], 0 offset:928
	;; [unrolled: 1-line block ×4, first 2 shown]
.LBB62_255:
	s_or_b32 exec_lo, exec_lo, s4
	v_mov_b32_e32 v4, s16
	s_waitcnt_vscnt null, 0x0
	s_barrier
	buffer_gl0_inv
	s_mov_b32 s4, exec_lo
	s_clause 0x3
	buffer_load_dword v1, v4, s[0:3], 0 offen
	buffer_load_dword v2, v4, s[0:3], 0 offen offset:4
	buffer_load_dword v3, v4, s[0:3], 0 offen offset:8
	buffer_load_dword v4, v4, s[0:3], 0 offen offset:12
	s_waitcnt vmcnt(0)
	ds_write_b128 v5, v[1:4]
	s_waitcnt lgkmcnt(0)
	s_barrier
	buffer_gl0_inv
	v_cmpx_gt_u32_e32 58, v0
	s_cbranch_execz .LBB62_259
; %bb.256:
	v_mov_b32_e32 v1, 0
	v_mov_b32_e32 v3, 0
	v_add_nc_u32_e32 v7, -1, v0
	v_add_nc_u32_e32 v8, 0x3f0, v235
	v_mov_b32_e32 v2, 0
	v_mov_b32_e32 v4, 0
	v_add_nc_u32_e32 v9, 16, v235
	s_mov_b32 s5, 0
	.p2align	6
.LBB62_257:                             ; =>This Inner Loop Header: Depth=1
	s_clause 0x3
	buffer_load_dword v14, v9, s[0:3], 0 offen offset:8
	buffer_load_dword v15, v9, s[0:3], 0 offen offset:12
	buffer_load_dword v16, v9, s[0:3], 0 offen
	buffer_load_dword v17, v9, s[0:3], 0 offen offset:4
	ds_read_b128 v[10:13], v8
	v_add_nc_u32_e32 v7, 1, v7
	v_add_nc_u32_e32 v8, 16, v8
	;; [unrolled: 1-line block ×3, first 2 shown]
	v_cmp_lt_u32_e32 vcc_lo, 56, v7
	s_or_b32 s5, vcc_lo, s5
	s_waitcnt vmcnt(2) lgkmcnt(0)
	v_mul_f64 v[18:19], v[12:13], v[14:15]
	v_mul_f64 v[14:15], v[10:11], v[14:15]
	s_waitcnt vmcnt(0)
	v_fma_f64 v[10:11], v[10:11], v[16:17], -v[18:19]
	v_fma_f64 v[12:13], v[12:13], v[16:17], v[14:15]
	v_add_f64 v[3:4], v[3:4], v[10:11]
	v_add_f64 v[1:2], v[1:2], v[12:13]
	s_andn2_b32 exec_lo, exec_lo, s5
	s_cbranch_execnz .LBB62_257
; %bb.258:
	s_or_b32 exec_lo, exec_lo, s5
	v_mov_b32_e32 v7, 0
	ds_read_b128 v[7:10], v7 offset:928
	s_waitcnt lgkmcnt(0)
	v_mul_f64 v[11:12], v[1:2], v[9:10]
	v_mul_f64 v[9:10], v[3:4], v[9:10]
	v_fma_f64 v[3:4], v[3:4], v[7:8], -v[11:12]
	v_fma_f64 v[1:2], v[1:2], v[7:8], v[9:10]
	buffer_store_dword v4, off, s[0:3], 0 offset:948
	buffer_store_dword v3, off, s[0:3], 0 offset:944
	;; [unrolled: 1-line block ×4, first 2 shown]
.LBB62_259:
	s_or_b32 exec_lo, exec_lo, s4
	v_mov_b32_e32 v4, s15
	s_waitcnt_vscnt null, 0x0
	s_barrier
	buffer_gl0_inv
	s_mov_b32 s4, exec_lo
	s_clause 0x3
	buffer_load_dword v1, v4, s[0:3], 0 offen
	buffer_load_dword v2, v4, s[0:3], 0 offen offset:4
	buffer_load_dword v3, v4, s[0:3], 0 offen offset:8
	;; [unrolled: 1-line block ×3, first 2 shown]
	s_waitcnt vmcnt(0)
	ds_write_b128 v5, v[1:4]
	s_waitcnt lgkmcnt(0)
	s_barrier
	buffer_gl0_inv
	v_cmpx_gt_u32_e32 59, v0
	s_cbranch_execz .LBB62_263
; %bb.260:
	v_mov_b32_e32 v1, 0
	v_mov_b32_e32 v3, 0
	v_add_nc_u32_e32 v7, -1, v0
	v_add_nc_u32_e32 v8, 0x3f0, v235
	v_mov_b32_e32 v2, 0
	v_mov_b32_e32 v4, 0
	v_add_nc_u32_e32 v9, 16, v235
	s_mov_b32 s5, 0
	.p2align	6
.LBB62_261:                             ; =>This Inner Loop Header: Depth=1
	s_clause 0x3
	buffer_load_dword v14, v9, s[0:3], 0 offen offset:8
	buffer_load_dword v15, v9, s[0:3], 0 offen offset:12
	buffer_load_dword v16, v9, s[0:3], 0 offen
	buffer_load_dword v17, v9, s[0:3], 0 offen offset:4
	ds_read_b128 v[10:13], v8
	v_add_nc_u32_e32 v7, 1, v7
	v_add_nc_u32_e32 v8, 16, v8
	;; [unrolled: 1-line block ×3, first 2 shown]
	v_cmp_lt_u32_e32 vcc_lo, 57, v7
	s_or_b32 s5, vcc_lo, s5
	s_waitcnt vmcnt(2) lgkmcnt(0)
	v_mul_f64 v[18:19], v[12:13], v[14:15]
	v_mul_f64 v[14:15], v[10:11], v[14:15]
	s_waitcnt vmcnt(0)
	v_fma_f64 v[10:11], v[10:11], v[16:17], -v[18:19]
	v_fma_f64 v[12:13], v[12:13], v[16:17], v[14:15]
	v_add_f64 v[3:4], v[3:4], v[10:11]
	v_add_f64 v[1:2], v[1:2], v[12:13]
	s_andn2_b32 exec_lo, exec_lo, s5
	s_cbranch_execnz .LBB62_261
; %bb.262:
	s_or_b32 exec_lo, exec_lo, s5
	v_mov_b32_e32 v7, 0
	ds_read_b128 v[7:10], v7 offset:944
	s_waitcnt lgkmcnt(0)
	v_mul_f64 v[11:12], v[1:2], v[9:10]
	v_mul_f64 v[9:10], v[3:4], v[9:10]
	v_fma_f64 v[3:4], v[3:4], v[7:8], -v[11:12]
	v_fma_f64 v[1:2], v[1:2], v[7:8], v[9:10]
	buffer_store_dword v4, off, s[0:3], 0 offset:964
	buffer_store_dword v3, off, s[0:3], 0 offset:960
	;; [unrolled: 1-line block ×4, first 2 shown]
.LBB62_263:
	s_or_b32 exec_lo, exec_lo, s4
	v_mov_b32_e32 v4, s14
	s_waitcnt_vscnt null, 0x0
	s_barrier
	buffer_gl0_inv
	s_mov_b32 s4, exec_lo
	s_clause 0x3
	buffer_load_dword v1, v4, s[0:3], 0 offen
	buffer_load_dword v2, v4, s[0:3], 0 offen offset:4
	buffer_load_dword v3, v4, s[0:3], 0 offen offset:8
	buffer_load_dword v4, v4, s[0:3], 0 offen offset:12
	s_waitcnt vmcnt(0)
	ds_write_b128 v5, v[1:4]
	s_waitcnt lgkmcnt(0)
	s_barrier
	buffer_gl0_inv
	v_cmpx_gt_u32_e32 60, v0
	s_cbranch_execz .LBB62_267
; %bb.264:
	v_mov_b32_e32 v1, 0
	v_mov_b32_e32 v3, 0
	v_add_nc_u32_e32 v7, -1, v0
	v_add_nc_u32_e32 v8, 0x3f0, v235
	v_mov_b32_e32 v2, 0
	v_mov_b32_e32 v4, 0
	v_add_nc_u32_e32 v9, 16, v235
	s_mov_b32 s5, 0
	.p2align	6
.LBB62_265:                             ; =>This Inner Loop Header: Depth=1
	s_clause 0x3
	buffer_load_dword v14, v9, s[0:3], 0 offen offset:8
	buffer_load_dword v15, v9, s[0:3], 0 offen offset:12
	buffer_load_dword v16, v9, s[0:3], 0 offen
	buffer_load_dword v17, v9, s[0:3], 0 offen offset:4
	ds_read_b128 v[10:13], v8
	v_add_nc_u32_e32 v7, 1, v7
	v_add_nc_u32_e32 v8, 16, v8
	;; [unrolled: 1-line block ×3, first 2 shown]
	v_cmp_lt_u32_e32 vcc_lo, 58, v7
	s_or_b32 s5, vcc_lo, s5
	s_waitcnt vmcnt(2) lgkmcnt(0)
	v_mul_f64 v[18:19], v[12:13], v[14:15]
	v_mul_f64 v[14:15], v[10:11], v[14:15]
	s_waitcnt vmcnt(0)
	v_fma_f64 v[10:11], v[10:11], v[16:17], -v[18:19]
	v_fma_f64 v[12:13], v[12:13], v[16:17], v[14:15]
	v_add_f64 v[3:4], v[3:4], v[10:11]
	v_add_f64 v[1:2], v[1:2], v[12:13]
	s_andn2_b32 exec_lo, exec_lo, s5
	s_cbranch_execnz .LBB62_265
; %bb.266:
	s_or_b32 exec_lo, exec_lo, s5
	v_mov_b32_e32 v7, 0
	ds_read_b128 v[7:10], v7 offset:960
	s_waitcnt lgkmcnt(0)
	v_mul_f64 v[11:12], v[1:2], v[9:10]
	v_mul_f64 v[9:10], v[3:4], v[9:10]
	v_fma_f64 v[3:4], v[3:4], v[7:8], -v[11:12]
	v_fma_f64 v[1:2], v[1:2], v[7:8], v[9:10]
	buffer_store_dword v4, off, s[0:3], 0 offset:980
	buffer_store_dword v3, off, s[0:3], 0 offset:976
	;; [unrolled: 1-line block ×4, first 2 shown]
.LBB62_267:
	s_or_b32 exec_lo, exec_lo, s4
	v_mov_b32_e32 v4, s13
	s_waitcnt_vscnt null, 0x0
	s_barrier
	buffer_gl0_inv
	s_mov_b32 s4, exec_lo
	s_clause 0x3
	buffer_load_dword v1, v4, s[0:3], 0 offen
	buffer_load_dword v2, v4, s[0:3], 0 offen offset:4
	buffer_load_dword v3, v4, s[0:3], 0 offen offset:8
	buffer_load_dword v4, v4, s[0:3], 0 offen offset:12
	s_waitcnt vmcnt(0)
	ds_write_b128 v5, v[1:4]
	s_waitcnt lgkmcnt(0)
	s_barrier
	buffer_gl0_inv
	v_cmpx_gt_u32_e32 61, v0
	s_cbranch_execz .LBB62_271
; %bb.268:
	v_mov_b32_e32 v1, 0
	v_mov_b32_e32 v3, 0
	v_add_nc_u32_e32 v7, -1, v0
	v_add_nc_u32_e32 v8, 0x3f0, v235
	v_mov_b32_e32 v2, 0
	v_mov_b32_e32 v4, 0
	v_add_nc_u32_e32 v9, 16, v235
	s_mov_b32 s5, 0
	.p2align	6
.LBB62_269:                             ; =>This Inner Loop Header: Depth=1
	s_clause 0x3
	buffer_load_dword v14, v9, s[0:3], 0 offen offset:8
	buffer_load_dword v15, v9, s[0:3], 0 offen offset:12
	buffer_load_dword v16, v9, s[0:3], 0 offen
	buffer_load_dword v17, v9, s[0:3], 0 offen offset:4
	ds_read_b128 v[10:13], v8
	v_add_nc_u32_e32 v7, 1, v7
	v_add_nc_u32_e32 v8, 16, v8
	;; [unrolled: 1-line block ×3, first 2 shown]
	v_cmp_lt_u32_e32 vcc_lo, 59, v7
	s_or_b32 s5, vcc_lo, s5
	s_waitcnt vmcnt(2) lgkmcnt(0)
	v_mul_f64 v[18:19], v[12:13], v[14:15]
	v_mul_f64 v[14:15], v[10:11], v[14:15]
	s_waitcnt vmcnt(0)
	v_fma_f64 v[10:11], v[10:11], v[16:17], -v[18:19]
	v_fma_f64 v[12:13], v[12:13], v[16:17], v[14:15]
	v_add_f64 v[3:4], v[3:4], v[10:11]
	v_add_f64 v[1:2], v[1:2], v[12:13]
	s_andn2_b32 exec_lo, exec_lo, s5
	s_cbranch_execnz .LBB62_269
; %bb.270:
	s_or_b32 exec_lo, exec_lo, s5
	v_mov_b32_e32 v7, 0
	ds_read_b128 v[7:10], v7 offset:976
	s_waitcnt lgkmcnt(0)
	v_mul_f64 v[11:12], v[1:2], v[9:10]
	v_mul_f64 v[9:10], v[3:4], v[9:10]
	v_fma_f64 v[3:4], v[3:4], v[7:8], -v[11:12]
	v_fma_f64 v[1:2], v[1:2], v[7:8], v[9:10]
	buffer_store_dword v4, off, s[0:3], 0 offset:996
	buffer_store_dword v3, off, s[0:3], 0 offset:992
	;; [unrolled: 1-line block ×4, first 2 shown]
.LBB62_271:
	s_or_b32 exec_lo, exec_lo, s4
	v_mov_b32_e32 v4, s12
	s_waitcnt_vscnt null, 0x0
	s_barrier
	buffer_gl0_inv
	s_mov_b32 s4, exec_lo
	s_clause 0x3
	buffer_load_dword v1, v4, s[0:3], 0 offen
	buffer_load_dword v2, v4, s[0:3], 0 offen offset:4
	buffer_load_dword v3, v4, s[0:3], 0 offen offset:8
	;; [unrolled: 1-line block ×3, first 2 shown]
	s_waitcnt vmcnt(0)
	ds_write_b128 v5, v[1:4]
	s_waitcnt lgkmcnt(0)
	s_barrier
	buffer_gl0_inv
	v_cmpx_ne_u32_e32 62, v0
	s_cbranch_execz .LBB62_275
; %bb.272:
	v_mov_b32_e32 v1, 0
	v_mov_b32_e32 v3, 0
	;; [unrolled: 1-line block ×4, first 2 shown]
	v_add_nc_u32_e32 v7, 16, v235
	s_mov_b32 s5, 0
	.p2align	6
.LBB62_273:                             ; =>This Inner Loop Header: Depth=1
	s_clause 0x3
	buffer_load_dword v12, v7, s[0:3], 0 offen offset:8
	buffer_load_dword v13, v7, s[0:3], 0 offen offset:12
	buffer_load_dword v14, v7, s[0:3], 0 offen
	buffer_load_dword v15, v7, s[0:3], 0 offen offset:4
	ds_read_b128 v[8:11], v5
	v_add_nc_u32_e32 v6, 1, v6
	v_add_nc_u32_e32 v5, 16, v5
	;; [unrolled: 1-line block ×3, first 2 shown]
	v_cmp_lt_u32_e32 vcc_lo, 60, v6
	s_or_b32 s5, vcc_lo, s5
	s_waitcnt vmcnt(2) lgkmcnt(0)
	v_mul_f64 v[16:17], v[10:11], v[12:13]
	v_mul_f64 v[12:13], v[8:9], v[12:13]
	s_waitcnt vmcnt(0)
	v_fma_f64 v[8:9], v[8:9], v[14:15], -v[16:17]
	v_fma_f64 v[10:11], v[10:11], v[14:15], v[12:13]
	v_add_f64 v[3:4], v[3:4], v[8:9]
	v_add_f64 v[1:2], v[1:2], v[10:11]
	s_andn2_b32 exec_lo, exec_lo, s5
	s_cbranch_execnz .LBB62_273
; %bb.274:
	s_or_b32 exec_lo, exec_lo, s5
	v_mov_b32_e32 v5, 0
	ds_read_b128 v[5:8], v5 offset:992
	s_waitcnt lgkmcnt(0)
	v_mul_f64 v[9:10], v[1:2], v[7:8]
	v_mul_f64 v[7:8], v[3:4], v[7:8]
	v_fma_f64 v[3:4], v[3:4], v[5:6], -v[9:10]
	v_fma_f64 v[1:2], v[1:2], v[5:6], v[7:8]
	buffer_store_dword v4, off, s[0:3], 0 offset:1012
	buffer_store_dword v3, off, s[0:3], 0 offset:1008
	;; [unrolled: 1-line block ×4, first 2 shown]
.LBB62_275:
	s_or_b32 exec_lo, exec_lo, s4
	s_mov_b32 s5, -1
	s_waitcnt_vscnt null, 0x0
	s_barrier
	buffer_gl0_inv
.LBB62_276:
	s_and_b32 vcc_lo, exec_lo, s5
	s_cbranch_vccz .LBB62_278
; %bb.277:
	s_lshl_b64 s[4:5], s[6:7], 2
	v_mov_b32_e32 v1, 0
	s_add_u32 s4, s10, s4
	s_addc_u32 s5, s11, s5
	global_load_dword v1, v1, s[4:5]
	s_waitcnt vmcnt(0)
	v_cmp_ne_u32_e32 vcc_lo, 0, v1
	s_cbranch_vccz .LBB62_279
.LBB62_278:
	s_endpgm
.LBB62_279:
	v_lshl_add_u32 v69, v0, 4, 0x3f0
	s_mov_b32 s4, exec_lo
	v_cmpx_eq_u32_e32 62, v0
	s_cbranch_execz .LBB62_281
; %bb.280:
	v_mov_b32_e32 v4, s13
	v_mov_b32_e32 v5, 0
	s_clause 0x3
	buffer_load_dword v1, v4, s[0:3], 0 offen
	buffer_load_dword v2, v4, s[0:3], 0 offen offset:4
	buffer_load_dword v3, v4, s[0:3], 0 offen offset:8
	;; [unrolled: 1-line block ×3, first 2 shown]
	buffer_store_dword v5, off, s[0:3], 0 offset:992
	buffer_store_dword v5, off, s[0:3], 0 offset:996
	;; [unrolled: 1-line block ×4, first 2 shown]
	s_waitcnt vmcnt(0)
	ds_write_b128 v69, v[1:4]
.LBB62_281:
	s_or_b32 exec_lo, exec_lo, s4
	s_waitcnt lgkmcnt(0)
	s_waitcnt_vscnt null, 0x0
	s_barrier
	buffer_gl0_inv
	s_clause 0x7
	buffer_load_dword v6, off, s[0:3], 0 offset:1016
	buffer_load_dword v7, off, s[0:3], 0 offset:1020
	buffer_load_dword v8, off, s[0:3], 0 offset:1008
	buffer_load_dword v9, off, s[0:3], 0 offset:1012
	buffer_load_dword v10, off, s[0:3], 0 offset:992
	buffer_load_dword v11, off, s[0:3], 0 offset:996
	buffer_load_dword v12, off, s[0:3], 0 offset:1000
	buffer_load_dword v13, off, s[0:3], 0 offset:1004
	v_mov_b32_e32 v1, 0
	s_mov_b32 s4, exec_lo
	ds_read_b128 v[2:5], v1 offset:2000
	s_waitcnt vmcnt(6) lgkmcnt(0)
	v_mul_f64 v[14:15], v[4:5], v[6:7]
	v_mul_f64 v[6:7], v[2:3], v[6:7]
	s_waitcnt vmcnt(4)
	v_fma_f64 v[2:3], v[2:3], v[8:9], -v[14:15]
	v_fma_f64 v[4:5], v[4:5], v[8:9], v[6:7]
	v_add_f64 v[2:3], v[2:3], 0
	v_add_f64 v[4:5], v[4:5], 0
	s_waitcnt vmcnt(2)
	v_add_f64 v[2:3], v[10:11], -v[2:3]
	s_waitcnt vmcnt(0)
	v_add_f64 v[4:5], v[12:13], -v[4:5]
	buffer_store_dword v2, off, s[0:3], 0 offset:992
	buffer_store_dword v3, off, s[0:3], 0 offset:996
	;; [unrolled: 1-line block ×4, first 2 shown]
	v_cmpx_lt_u32_e32 60, v0
	s_cbranch_execz .LBB62_283
; %bb.282:
	v_mov_b32_e32 v5, s14
	s_clause 0x3
	buffer_load_dword v2, v5, s[0:3], 0 offen
	buffer_load_dword v3, v5, s[0:3], 0 offen offset:4
	buffer_load_dword v4, v5, s[0:3], 0 offen offset:8
	;; [unrolled: 1-line block ×3, first 2 shown]
	buffer_store_dword v1, off, s[0:3], 0 offset:976
	buffer_store_dword v1, off, s[0:3], 0 offset:980
	;; [unrolled: 1-line block ×4, first 2 shown]
	s_waitcnt vmcnt(0)
	ds_write_b128 v69, v[2:5]
.LBB62_283:
	s_or_b32 exec_lo, exec_lo, s4
	s_waitcnt lgkmcnt(0)
	s_waitcnt_vscnt null, 0x0
	s_barrier
	buffer_gl0_inv
	s_clause 0xb
	buffer_load_dword v10, off, s[0:3], 0 offset:1000
	buffer_load_dword v11, off, s[0:3], 0 offset:1004
	;; [unrolled: 1-line block ×12, first 2 shown]
	ds_read_b128 v[2:5], v1 offset:1984
	ds_read_b128 v[6:9], v1 offset:2000
	s_mov_b32 s4, exec_lo
	s_waitcnt vmcnt(10) lgkmcnt(1)
	v_mul_f64 v[22:23], v[4:5], v[10:11]
	v_mul_f64 v[10:11], v[2:3], v[10:11]
	s_waitcnt vmcnt(8) lgkmcnt(0)
	v_mul_f64 v[24:25], v[8:9], v[12:13]
	v_mul_f64 v[12:13], v[6:7], v[12:13]
	s_waitcnt vmcnt(6)
	v_fma_f64 v[1:2], v[2:3], v[14:15], -v[22:23]
	v_fma_f64 v[3:4], v[4:5], v[14:15], v[10:11]
	s_waitcnt vmcnt(4)
	v_fma_f64 v[5:6], v[6:7], v[16:17], -v[24:25]
	v_fma_f64 v[7:8], v[8:9], v[16:17], v[12:13]
	v_add_f64 v[1:2], v[1:2], 0
	v_add_f64 v[3:4], v[3:4], 0
	;; [unrolled: 1-line block ×4, first 2 shown]
	s_waitcnt vmcnt(2)
	v_add_f64 v[1:2], v[18:19], -v[1:2]
	s_waitcnt vmcnt(0)
	v_add_f64 v[3:4], v[20:21], -v[3:4]
	buffer_store_dword v1, off, s[0:3], 0 offset:976
	buffer_store_dword v2, off, s[0:3], 0 offset:980
	;; [unrolled: 1-line block ×4, first 2 shown]
	v_cmpx_lt_u32_e32 59, v0
	s_cbranch_execz .LBB62_285
; %bb.284:
	v_mov_b32_e32 v4, s15
	v_mov_b32_e32 v5, 0
	s_clause 0x3
	buffer_load_dword v1, v4, s[0:3], 0 offen
	buffer_load_dword v2, v4, s[0:3], 0 offen offset:4
	buffer_load_dword v3, v4, s[0:3], 0 offen offset:8
	;; [unrolled: 1-line block ×3, first 2 shown]
	buffer_store_dword v5, off, s[0:3], 0 offset:960
	buffer_store_dword v5, off, s[0:3], 0 offset:964
	;; [unrolled: 1-line block ×4, first 2 shown]
	s_waitcnt vmcnt(0)
	ds_write_b128 v69, v[1:4]
.LBB62_285:
	s_or_b32 exec_lo, exec_lo, s4
	s_waitcnt lgkmcnt(0)
	s_waitcnt_vscnt null, 0x0
	s_barrier
	buffer_gl0_inv
	s_clause 0xf
	buffer_load_dword v10, off, s[0:3], 0 offset:984
	buffer_load_dword v11, off, s[0:3], 0 offset:988
	;; [unrolled: 1-line block ×16, first 2 shown]
	v_mov_b32_e32 v1, 0
	ds_read_b128 v[2:5], v1 offset:1968
	ds_read_b128 v[6:9], v1 offset:1984
	s_mov_b32 s4, exec_lo
	s_waitcnt vmcnt(14) lgkmcnt(1)
	v_mul_f64 v[28:29], v[4:5], v[10:11]
	v_mul_f64 v[30:31], v[2:3], v[10:11]
	s_waitcnt vmcnt(12) lgkmcnt(0)
	v_mul_f64 v[32:33], v[8:9], v[14:15]
	ds_read_b128 v[10:13], v1 offset:2000
	v_mul_f64 v[14:15], v[6:7], v[14:15]
	s_waitcnt vmcnt(10)
	v_fma_f64 v[2:3], v[2:3], v[16:17], -v[28:29]
	v_fma_f64 v[4:5], v[4:5], v[16:17], v[30:31]
	s_waitcnt vmcnt(8) lgkmcnt(0)
	v_mul_f64 v[16:17], v[10:11], v[18:19]
	v_mul_f64 v[18:19], v[12:13], v[18:19]
	s_waitcnt vmcnt(6)
	v_fma_f64 v[6:7], v[6:7], v[20:21], -v[32:33]
	v_fma_f64 v[8:9], v[8:9], v[20:21], v[14:15]
	v_add_f64 v[2:3], v[2:3], 0
	v_add_f64 v[4:5], v[4:5], 0
	s_waitcnt vmcnt(4)
	v_fma_f64 v[10:11], v[10:11], v[22:23], -v[18:19]
	v_add_f64 v[2:3], v[2:3], v[6:7]
	v_fma_f64 v[6:7], v[12:13], v[22:23], v[16:17]
	v_add_f64 v[4:5], v[4:5], v[8:9]
	v_add_f64 v[2:3], v[2:3], v[10:11]
	;; [unrolled: 1-line block ×3, first 2 shown]
	s_waitcnt vmcnt(2)
	v_add_f64 v[2:3], v[24:25], -v[2:3]
	s_waitcnt vmcnt(0)
	v_add_f64 v[4:5], v[26:27], -v[4:5]
	buffer_store_dword v2, off, s[0:3], 0 offset:960
	buffer_store_dword v3, off, s[0:3], 0 offset:964
	;; [unrolled: 1-line block ×4, first 2 shown]
	v_cmpx_lt_u32_e32 58, v0
	s_cbranch_execz .LBB62_287
; %bb.286:
	v_mov_b32_e32 v5, s16
	s_clause 0x3
	buffer_load_dword v2, v5, s[0:3], 0 offen
	buffer_load_dword v3, v5, s[0:3], 0 offen offset:4
	buffer_load_dword v4, v5, s[0:3], 0 offen offset:8
	buffer_load_dword v5, v5, s[0:3], 0 offen offset:12
	buffer_store_dword v1, off, s[0:3], 0 offset:944
	buffer_store_dword v1, off, s[0:3], 0 offset:948
	;; [unrolled: 1-line block ×4, first 2 shown]
	s_waitcnt vmcnt(0)
	ds_write_b128 v69, v[2:5]
.LBB62_287:
	s_or_b32 exec_lo, exec_lo, s4
	s_waitcnt lgkmcnt(0)
	s_waitcnt_vscnt null, 0x0
	s_barrier
	buffer_gl0_inv
	s_clause 0x13
	buffer_load_dword v10, off, s[0:3], 0 offset:968
	buffer_load_dword v11, off, s[0:3], 0 offset:972
	buffer_load_dword v14, off, s[0:3], 0 offset:984
	buffer_load_dword v15, off, s[0:3], 0 offset:988
	buffer_load_dword v16, off, s[0:3], 0 offset:960
	buffer_load_dword v17, off, s[0:3], 0 offset:964
	buffer_load_dword v18, off, s[0:3], 0 offset:1000
	buffer_load_dword v19, off, s[0:3], 0 offset:1004
	buffer_load_dword v20, off, s[0:3], 0 offset:976
	buffer_load_dword v21, off, s[0:3], 0 offset:980
	buffer_load_dword v23, off, s[0:3], 0 offset:1020
	buffer_load_dword v22, off, s[0:3], 0 offset:1016
	buffer_load_dword v24, off, s[0:3], 0 offset:992
	buffer_load_dword v25, off, s[0:3], 0 offset:996
	buffer_load_dword v27, off, s[0:3], 0 offset:1012
	buffer_load_dword v26, off, s[0:3], 0 offset:1008
	buffer_load_dword v28, off, s[0:3], 0 offset:944
	buffer_load_dword v29, off, s[0:3], 0 offset:948
	buffer_load_dword v30, off, s[0:3], 0 offset:952
	buffer_load_dword v31, off, s[0:3], 0 offset:956
	ds_read_b128 v[2:5], v1 offset:1952
	ds_read_b128 v[6:9], v1 offset:1968
	s_mov_b32 s4, exec_lo
	s_waitcnt vmcnt(18) lgkmcnt(1)
	v_mul_f64 v[32:33], v[4:5], v[10:11]
	v_mul_f64 v[34:35], v[2:3], v[10:11]
	s_waitcnt vmcnt(16) lgkmcnt(0)
	v_mul_f64 v[36:37], v[8:9], v[14:15]
	ds_read_b128 v[10:13], v1 offset:1984
	v_mul_f64 v[14:15], v[6:7], v[14:15]
	s_waitcnt vmcnt(14)
	v_fma_f64 v[32:33], v[2:3], v[16:17], -v[32:33]
	v_fma_f64 v[16:17], v[4:5], v[16:17], v[34:35]
	s_waitcnt vmcnt(12) lgkmcnt(0)
	v_mul_f64 v[34:35], v[10:11], v[18:19]
	v_mul_f64 v[18:19], v[12:13], v[18:19]
	s_waitcnt vmcnt(10)
	v_fma_f64 v[5:6], v[6:7], v[20:21], -v[36:37]
	ds_read_b128 v[1:4], v1 offset:2000
	v_fma_f64 v[7:8], v[8:9], v[20:21], v[14:15]
	v_add_f64 v[32:33], v[32:33], 0
	v_add_f64 v[14:15], v[16:17], 0
	s_waitcnt vmcnt(8) lgkmcnt(0)
	v_mul_f64 v[20:21], v[3:4], v[22:23]
	s_waitcnt vmcnt(6)
	v_fma_f64 v[9:10], v[10:11], v[24:25], -v[18:19]
	v_mul_f64 v[16:17], v[1:2], v[22:23]
	v_fma_f64 v[11:12], v[12:13], v[24:25], v[34:35]
	v_add_f64 v[5:6], v[32:33], v[5:6]
	v_add_f64 v[7:8], v[14:15], v[7:8]
	s_waitcnt vmcnt(4)
	v_fma_f64 v[1:2], v[1:2], v[26:27], -v[20:21]
	v_fma_f64 v[3:4], v[3:4], v[26:27], v[16:17]
	v_add_f64 v[5:6], v[5:6], v[9:10]
	v_add_f64 v[7:8], v[7:8], v[11:12]
	;; [unrolled: 1-line block ×4, first 2 shown]
	s_waitcnt vmcnt(2)
	v_add_f64 v[1:2], v[28:29], -v[1:2]
	s_waitcnt vmcnt(0)
	v_add_f64 v[3:4], v[30:31], -v[3:4]
	buffer_store_dword v1, off, s[0:3], 0 offset:944
	buffer_store_dword v2, off, s[0:3], 0 offset:948
	;; [unrolled: 1-line block ×4, first 2 shown]
	v_cmpx_lt_u32_e32 57, v0
	s_cbranch_execz .LBB62_289
; %bb.288:
	v_mov_b32_e32 v4, s17
	v_mov_b32_e32 v5, 0
	s_clause 0x3
	buffer_load_dword v1, v4, s[0:3], 0 offen
	buffer_load_dword v2, v4, s[0:3], 0 offen offset:4
	buffer_load_dword v3, v4, s[0:3], 0 offen offset:8
	;; [unrolled: 1-line block ×3, first 2 shown]
	buffer_store_dword v5, off, s[0:3], 0 offset:928
	buffer_store_dword v5, off, s[0:3], 0 offset:932
	;; [unrolled: 1-line block ×4, first 2 shown]
	s_waitcnt vmcnt(0)
	ds_write_b128 v69, v[1:4]
.LBB62_289:
	s_or_b32 exec_lo, exec_lo, s4
	s_waitcnt lgkmcnt(0)
	s_waitcnt_vscnt null, 0x0
	s_barrier
	buffer_gl0_inv
	s_clause 0x17
	buffer_load_dword v10, off, s[0:3], 0 offset:952
	buffer_load_dword v11, off, s[0:3], 0 offset:956
	;; [unrolled: 1-line block ×24, first 2 shown]
	v_mov_b32_e32 v1, 0
	ds_read_b128 v[2:5], v1 offset:1936
	ds_read_b128 v[6:9], v1 offset:1952
	s_mov_b32 s4, exec_lo
	s_waitcnt vmcnt(22) lgkmcnt(1)
	v_mul_f64 v[36:37], v[4:5], v[10:11]
	v_mul_f64 v[38:39], v[2:3], v[10:11]
	s_waitcnt vmcnt(20) lgkmcnt(0)
	v_mul_f64 v[40:41], v[8:9], v[14:15]
	ds_read_b128 v[10:13], v1 offset:1968
	v_mul_f64 v[14:15], v[6:7], v[14:15]
	s_waitcnt vmcnt(18)
	v_fma_f64 v[36:37], v[2:3], v[16:17], -v[36:37]
	v_fma_f64 v[16:17], v[4:5], v[16:17], v[38:39]
	ds_read_b128 v[2:5], v1 offset:1984
	s_waitcnt vmcnt(16) lgkmcnt(1)
	v_mul_f64 v[38:39], v[10:11], v[18:19]
	v_mul_f64 v[18:19], v[12:13], v[18:19]
	s_waitcnt vmcnt(14)
	v_fma_f64 v[40:41], v[6:7], v[20:21], -v[40:41]
	v_fma_f64 v[14:15], v[8:9], v[20:21], v[14:15]
	ds_read_b128 v[6:9], v1 offset:2000
	s_waitcnt vmcnt(10) lgkmcnt(1)
	v_mul_f64 v[20:21], v[2:3], v[22:23]
	v_add_f64 v[36:37], v[36:37], 0
	v_add_f64 v[16:17], v[16:17], 0
	v_mul_f64 v[22:23], v[4:5], v[22:23]
	s_waitcnt vmcnt(8)
	v_fma_f64 v[10:11], v[10:11], v[28:29], -v[18:19]
	v_fma_f64 v[12:13], v[12:13], v[28:29], v[38:39]
	s_waitcnt vmcnt(5)
	v_fma_f64 v[4:5], v[4:5], v[30:31], v[20:21]
	v_add_f64 v[18:19], v[36:37], v[40:41]
	v_add_f64 v[14:15], v[16:17], v[14:15]
	s_waitcnt lgkmcnt(0)
	v_mul_f64 v[16:17], v[6:7], v[24:25]
	v_mul_f64 v[24:25], v[8:9], v[24:25]
	v_fma_f64 v[2:3], v[2:3], v[30:31], -v[22:23]
	v_add_f64 v[10:11], v[18:19], v[10:11]
	v_add_f64 v[12:13], v[14:15], v[12:13]
	s_waitcnt vmcnt(4)
	v_fma_f64 v[8:9], v[8:9], v[26:27], v[16:17]
	v_fma_f64 v[6:7], v[6:7], v[26:27], -v[24:25]
	v_add_f64 v[2:3], v[10:11], v[2:3]
	v_add_f64 v[4:5], v[12:13], v[4:5]
	;; [unrolled: 1-line block ×4, first 2 shown]
	s_waitcnt vmcnt(2)
	v_add_f64 v[2:3], v[32:33], -v[2:3]
	s_waitcnt vmcnt(0)
	v_add_f64 v[4:5], v[34:35], -v[4:5]
	buffer_store_dword v3, off, s[0:3], 0 offset:932
	buffer_store_dword v2, off, s[0:3], 0 offset:928
	;; [unrolled: 1-line block ×4, first 2 shown]
	v_cmpx_lt_u32_e32 56, v0
	s_cbranch_execz .LBB62_291
; %bb.290:
	v_mov_b32_e32 v5, s18
	s_clause 0x3
	buffer_load_dword v2, v5, s[0:3], 0 offen
	buffer_load_dword v3, v5, s[0:3], 0 offen offset:4
	buffer_load_dword v4, v5, s[0:3], 0 offen offset:8
	;; [unrolled: 1-line block ×3, first 2 shown]
	buffer_store_dword v1, off, s[0:3], 0 offset:912
	buffer_store_dword v1, off, s[0:3], 0 offset:916
	;; [unrolled: 1-line block ×4, first 2 shown]
	s_waitcnt vmcnt(0)
	ds_write_b128 v69, v[2:5]
.LBB62_291:
	s_or_b32 exec_lo, exec_lo, s4
	s_waitcnt lgkmcnt(0)
	s_waitcnt_vscnt null, 0x0
	s_barrier
	buffer_gl0_inv
	s_clause 0x1b
	buffer_load_dword v10, off, s[0:3], 0 offset:936
	buffer_load_dword v11, off, s[0:3], 0 offset:940
	;; [unrolled: 1-line block ×28, first 2 shown]
	ds_read_b128 v[2:5], v1 offset:1920
	ds_read_b128 v[6:9], v1 offset:1936
	s_mov_b32 s4, exec_lo
	s_waitcnt vmcnt(26) lgkmcnt(1)
	v_mul_f64 v[40:41], v[4:5], v[10:11]
	v_mul_f64 v[42:43], v[2:3], v[10:11]
	s_waitcnt vmcnt(24) lgkmcnt(0)
	v_mul_f64 v[44:45], v[8:9], v[14:15]
	ds_read_b128 v[10:13], v1 offset:1952
	v_mul_f64 v[14:15], v[6:7], v[14:15]
	s_waitcnt vmcnt(22)
	v_fma_f64 v[40:41], v[2:3], v[16:17], -v[40:41]
	v_fma_f64 v[16:17], v[4:5], v[16:17], v[42:43]
	ds_read_b128 v[2:5], v1 offset:1968
	s_waitcnt vmcnt(20) lgkmcnt(1)
	v_mul_f64 v[42:43], v[10:11], v[18:19]
	v_mul_f64 v[18:19], v[12:13], v[18:19]
	s_waitcnt vmcnt(18)
	v_fma_f64 v[44:45], v[6:7], v[20:21], -v[44:45]
	v_fma_f64 v[14:15], v[8:9], v[20:21], v[14:15]
	ds_read_b128 v[6:9], v1 offset:1984
	s_waitcnt vmcnt(14) lgkmcnt(1)
	v_mul_f64 v[20:21], v[2:3], v[22:23]
	v_add_f64 v[40:41], v[40:41], 0
	v_add_f64 v[16:17], v[16:17], 0
	v_mul_f64 v[22:23], v[4:5], v[22:23]
	s_waitcnt vmcnt(12)
	v_fma_f64 v[18:19], v[10:11], v[28:29], -v[18:19]
	v_fma_f64 v[28:29], v[12:13], v[28:29], v[42:43]
	ds_read_b128 v[10:13], v1 offset:2000
	v_add_f64 v[40:41], v[40:41], v[44:45]
	v_add_f64 v[14:15], v[16:17], v[14:15]
	s_waitcnt vmcnt(11) lgkmcnt(1)
	v_mul_f64 v[16:17], v[6:7], v[24:25]
	v_mul_f64 v[24:25], v[8:9], v[24:25]
	s_waitcnt vmcnt(9)
	v_fma_f64 v[1:2], v[2:3], v[30:31], -v[22:23]
	v_fma_f64 v[3:4], v[4:5], v[30:31], v[20:21]
	s_waitcnt vmcnt(7) lgkmcnt(0)
	v_mul_f64 v[22:23], v[12:13], v[32:33]
	v_mul_f64 v[20:21], v[10:11], v[32:33]
	v_add_f64 v[18:19], v[40:41], v[18:19]
	v_add_f64 v[14:15], v[14:15], v[28:29]
	s_waitcnt vmcnt(6)
	v_fma_f64 v[5:6], v[6:7], v[26:27], -v[24:25]
	v_fma_f64 v[7:8], v[8:9], v[26:27], v[16:17]
	s_waitcnt vmcnt(4)
	v_fma_f64 v[9:10], v[10:11], v[34:35], -v[22:23]
	v_add_f64 v[1:2], v[18:19], v[1:2]
	v_add_f64 v[3:4], v[14:15], v[3:4]
	;; [unrolled: 1-line block ×3, first 2 shown]
	v_fma_f64 v[5:6], v[12:13], v[34:35], v[20:21]
	v_add_f64 v[3:4], v[3:4], v[7:8]
	v_add_f64 v[1:2], v[1:2], v[9:10]
	;; [unrolled: 1-line block ×3, first 2 shown]
	s_waitcnt vmcnt(2)
	v_add_f64 v[1:2], v[36:37], -v[1:2]
	s_waitcnt vmcnt(0)
	v_add_f64 v[3:4], v[38:39], -v[3:4]
	buffer_store_dword v2, off, s[0:3], 0 offset:916
	buffer_store_dword v1, off, s[0:3], 0 offset:912
	;; [unrolled: 1-line block ×4, first 2 shown]
	v_cmpx_lt_u32_e32 55, v0
	s_cbranch_execz .LBB62_293
; %bb.292:
	v_mov_b32_e32 v4, s19
	v_mov_b32_e32 v5, 0
	s_clause 0x3
	buffer_load_dword v1, v4, s[0:3], 0 offen
	buffer_load_dword v2, v4, s[0:3], 0 offen offset:4
	buffer_load_dword v3, v4, s[0:3], 0 offen offset:8
	;; [unrolled: 1-line block ×3, first 2 shown]
	buffer_store_dword v5, off, s[0:3], 0 offset:896
	buffer_store_dword v5, off, s[0:3], 0 offset:900
	;; [unrolled: 1-line block ×4, first 2 shown]
	s_waitcnt vmcnt(0)
	ds_write_b128 v69, v[1:4]
.LBB62_293:
	s_or_b32 exec_lo, exec_lo, s4
	s_waitcnt lgkmcnt(0)
	s_waitcnt_vscnt null, 0x0
	s_barrier
	buffer_gl0_inv
	s_clause 0x1f
	buffer_load_dword v10, off, s[0:3], 0 offset:920
	buffer_load_dword v11, off, s[0:3], 0 offset:924
	;; [unrolled: 1-line block ×32, first 2 shown]
	v_mov_b32_e32 v1, 0
	ds_read_b128 v[2:5], v1 offset:1904
	ds_read_b128 v[6:9], v1 offset:1920
	s_mov_b32 s4, exec_lo
	s_waitcnt vmcnt(30) lgkmcnt(1)
	v_mul_f64 v[44:45], v[4:5], v[10:11]
	v_mul_f64 v[46:47], v[2:3], v[10:11]
	s_waitcnt vmcnt(28) lgkmcnt(0)
	v_mul_f64 v[48:49], v[8:9], v[14:15]
	ds_read_b128 v[10:13], v1 offset:1936
	v_mul_f64 v[14:15], v[6:7], v[14:15]
	s_waitcnt vmcnt(26)
	v_fma_f64 v[44:45], v[2:3], v[16:17], -v[44:45]
	v_fma_f64 v[16:17], v[4:5], v[16:17], v[46:47]
	ds_read_b128 v[2:5], v1 offset:1952
	s_waitcnt vmcnt(24) lgkmcnt(1)
	v_mul_f64 v[46:47], v[10:11], v[18:19]
	v_mul_f64 v[18:19], v[12:13], v[18:19]
	s_waitcnt vmcnt(22)
	v_fma_f64 v[48:49], v[6:7], v[20:21], -v[48:49]
	v_fma_f64 v[14:15], v[8:9], v[20:21], v[14:15]
	ds_read_b128 v[6:9], v1 offset:1968
	s_waitcnt vmcnt(18) lgkmcnt(1)
	v_mul_f64 v[20:21], v[2:3], v[22:23]
	v_add_f64 v[44:45], v[44:45], 0
	v_add_f64 v[16:17], v[16:17], 0
	v_mul_f64 v[22:23], v[4:5], v[22:23]
	s_waitcnt vmcnt(16)
	v_fma_f64 v[18:19], v[10:11], v[28:29], -v[18:19]
	v_fma_f64 v[28:29], v[12:13], v[28:29], v[46:47]
	ds_read_b128 v[10:13], v1 offset:1984
	s_waitcnt vmcnt(13)
	v_fma_f64 v[20:21], v[4:5], v[30:31], v[20:21]
	v_add_f64 v[44:45], v[44:45], v[48:49]
	v_add_f64 v[14:15], v[16:17], v[14:15]
	s_waitcnt lgkmcnt(1)
	v_mul_f64 v[16:17], v[6:7], v[24:25]
	v_mul_f64 v[24:25], v[8:9], v[24:25]
	v_fma_f64 v[22:23], v[2:3], v[30:31], -v[22:23]
	s_waitcnt vmcnt(9) lgkmcnt(0)
	v_mul_f64 v[30:31], v[12:13], v[32:33]
	ds_read_b128 v[2:5], v1 offset:2000
	v_add_f64 v[18:19], v[44:45], v[18:19]
	v_add_f64 v[14:15], v[14:15], v[28:29]
	v_mul_f64 v[28:29], v[10:11], v[32:33]
	s_waitcnt vmcnt(8)
	v_fma_f64 v[6:7], v[6:7], v[26:27], -v[24:25]
	v_fma_f64 v[8:9], v[8:9], v[26:27], v[16:17]
	s_waitcnt vmcnt(5)
	v_fma_f64 v[10:11], v[10:11], v[38:39], -v[30:31]
	s_waitcnt lgkmcnt(0)
	v_mul_f64 v[16:17], v[2:3], v[34:35]
	v_add_f64 v[18:19], v[18:19], v[22:23]
	v_add_f64 v[14:15], v[14:15], v[20:21]
	v_mul_f64 v[20:21], v[4:5], v[34:35]
	v_fma_f64 v[12:13], v[12:13], v[38:39], v[28:29]
	s_waitcnt vmcnt(4)
	v_fma_f64 v[4:5], v[4:5], v[36:37], v[16:17]
	v_add_f64 v[6:7], v[18:19], v[6:7]
	v_add_f64 v[8:9], v[14:15], v[8:9]
	v_fma_f64 v[2:3], v[2:3], v[36:37], -v[20:21]
	v_add_f64 v[6:7], v[6:7], v[10:11]
	v_add_f64 v[8:9], v[8:9], v[12:13]
	;; [unrolled: 1-line block ×4, first 2 shown]
	s_waitcnt vmcnt(2)
	v_add_f64 v[2:3], v[40:41], -v[2:3]
	s_waitcnt vmcnt(0)
	v_add_f64 v[4:5], v[42:43], -v[4:5]
	buffer_store_dword v3, off, s[0:3], 0 offset:900
	buffer_store_dword v2, off, s[0:3], 0 offset:896
	;; [unrolled: 1-line block ×4, first 2 shown]
	v_cmpx_lt_u32_e32 54, v0
	s_cbranch_execz .LBB62_295
; %bb.294:
	v_mov_b32_e32 v5, s22
	s_clause 0x3
	buffer_load_dword v2, v5, s[0:3], 0 offen
	buffer_load_dword v3, v5, s[0:3], 0 offen offset:4
	buffer_load_dword v4, v5, s[0:3], 0 offen offset:8
	;; [unrolled: 1-line block ×3, first 2 shown]
	buffer_store_dword v1, off, s[0:3], 0 offset:880
	buffer_store_dword v1, off, s[0:3], 0 offset:884
	;; [unrolled: 1-line block ×4, first 2 shown]
	s_waitcnt vmcnt(0)
	ds_write_b128 v69, v[2:5]
.LBB62_295:
	s_or_b32 exec_lo, exec_lo, s4
	s_waitcnt lgkmcnt(0)
	s_waitcnt_vscnt null, 0x0
	s_barrier
	buffer_gl0_inv
	s_clause 0x23
	buffer_load_dword v10, off, s[0:3], 0 offset:904
	buffer_load_dword v11, off, s[0:3], 0 offset:908
	;; [unrolled: 1-line block ×36, first 2 shown]
	ds_read_b128 v[2:5], v1 offset:1888
	ds_read_b128 v[6:9], v1 offset:1904
	s_mov_b32 s4, exec_lo
	s_waitcnt vmcnt(34) lgkmcnt(1)
	v_mul_f64 v[48:49], v[4:5], v[10:11]
	v_mul_f64 v[50:51], v[2:3], v[10:11]
	s_waitcnt vmcnt(32) lgkmcnt(0)
	v_mul_f64 v[52:53], v[8:9], v[14:15]
	ds_read_b128 v[10:13], v1 offset:1920
	v_mul_f64 v[14:15], v[6:7], v[14:15]
	s_waitcnt vmcnt(30)
	v_fma_f64 v[48:49], v[2:3], v[16:17], -v[48:49]
	v_fma_f64 v[16:17], v[4:5], v[16:17], v[50:51]
	ds_read_b128 v[2:5], v1 offset:1936
	s_waitcnt vmcnt(28) lgkmcnt(1)
	v_mul_f64 v[50:51], v[10:11], v[18:19]
	v_mul_f64 v[18:19], v[12:13], v[18:19]
	s_waitcnt vmcnt(26)
	v_fma_f64 v[52:53], v[6:7], v[20:21], -v[52:53]
	v_fma_f64 v[14:15], v[8:9], v[20:21], v[14:15]
	ds_read_b128 v[6:9], v1 offset:1952
	s_waitcnt vmcnt(22) lgkmcnt(1)
	v_mul_f64 v[20:21], v[2:3], v[22:23]
	v_add_f64 v[48:49], v[48:49], 0
	v_add_f64 v[16:17], v[16:17], 0
	v_mul_f64 v[22:23], v[4:5], v[22:23]
	s_waitcnt vmcnt(20)
	v_fma_f64 v[18:19], v[10:11], v[28:29], -v[18:19]
	v_fma_f64 v[28:29], v[12:13], v[28:29], v[50:51]
	ds_read_b128 v[10:13], v1 offset:1968
	s_waitcnt vmcnt(17)
	v_fma_f64 v[20:21], v[4:5], v[30:31], v[20:21]
	v_add_f64 v[48:49], v[48:49], v[52:53]
	v_add_f64 v[14:15], v[16:17], v[14:15]
	s_waitcnt lgkmcnt(1)
	v_mul_f64 v[16:17], v[6:7], v[24:25]
	v_mul_f64 v[24:25], v[8:9], v[24:25]
	v_fma_f64 v[22:23], v[2:3], v[30:31], -v[22:23]
	s_waitcnt vmcnt(13) lgkmcnt(0)
	v_mul_f64 v[30:31], v[12:13], v[32:33]
	ds_read_b128 v[2:5], v1 offset:1984
	v_add_f64 v[18:19], v[48:49], v[18:19]
	v_add_f64 v[14:15], v[14:15], v[28:29]
	v_mul_f64 v[28:29], v[10:11], v[32:33]
	s_waitcnt vmcnt(12)
	v_fma_f64 v[24:25], v[6:7], v[26:27], -v[24:25]
	v_fma_f64 v[16:17], v[8:9], v[26:27], v[16:17]
	ds_read_b128 v[6:9], v1 offset:2000
	s_waitcnt vmcnt(9)
	v_fma_f64 v[10:11], v[10:11], v[38:39], -v[30:31]
	v_add_f64 v[18:19], v[18:19], v[22:23]
	v_add_f64 v[14:15], v[14:15], v[20:21]
	s_waitcnt lgkmcnt(1)
	v_mul_f64 v[22:23], v[4:5], v[34:35]
	v_mul_f64 v[20:21], v[2:3], v[34:35]
	v_fma_f64 v[12:13], v[12:13], v[38:39], v[28:29]
	v_add_f64 v[18:19], v[18:19], v[24:25]
	v_add_f64 v[14:15], v[14:15], v[16:17]
	s_waitcnt vmcnt(7) lgkmcnt(0)
	v_mul_f64 v[24:25], v[8:9], v[40:41]
	s_waitcnt vmcnt(6)
	v_fma_f64 v[1:2], v[2:3], v[36:37], -v[22:23]
	v_mul_f64 v[16:17], v[6:7], v[40:41]
	v_fma_f64 v[3:4], v[4:5], v[36:37], v[20:21]
	v_add_f64 v[10:11], v[18:19], v[10:11]
	v_add_f64 v[12:13], v[14:15], v[12:13]
	s_waitcnt vmcnt(4)
	v_fma_f64 v[5:6], v[6:7], v[42:43], -v[24:25]
	v_fma_f64 v[7:8], v[8:9], v[42:43], v[16:17]
	v_add_f64 v[1:2], v[10:11], v[1:2]
	v_add_f64 v[3:4], v[12:13], v[3:4]
	;; [unrolled: 1-line block ×4, first 2 shown]
	s_waitcnt vmcnt(2)
	v_add_f64 v[1:2], v[44:45], -v[1:2]
	s_waitcnt vmcnt(0)
	v_add_f64 v[3:4], v[46:47], -v[3:4]
	buffer_store_dword v2, off, s[0:3], 0 offset:884
	buffer_store_dword v1, off, s[0:3], 0 offset:880
	;; [unrolled: 1-line block ×4, first 2 shown]
	v_cmpx_lt_u32_e32 53, v0
	s_cbranch_execz .LBB62_297
; %bb.296:
	v_mov_b32_e32 v4, s23
	v_mov_b32_e32 v5, 0
	s_clause 0x3
	buffer_load_dword v1, v4, s[0:3], 0 offen
	buffer_load_dword v2, v4, s[0:3], 0 offen offset:4
	buffer_load_dword v3, v4, s[0:3], 0 offen offset:8
	;; [unrolled: 1-line block ×3, first 2 shown]
	buffer_store_dword v5, off, s[0:3], 0 offset:864
	buffer_store_dword v5, off, s[0:3], 0 offset:868
	;; [unrolled: 1-line block ×4, first 2 shown]
	s_waitcnt vmcnt(0)
	ds_write_b128 v69, v[1:4]
.LBB62_297:
	s_or_b32 exec_lo, exec_lo, s4
	s_waitcnt lgkmcnt(0)
	s_waitcnt_vscnt null, 0x0
	s_barrier
	buffer_gl0_inv
	s_clause 0x27
	buffer_load_dword v10, off, s[0:3], 0 offset:888
	buffer_load_dword v11, off, s[0:3], 0 offset:892
	;; [unrolled: 1-line block ×40, first 2 shown]
	v_mov_b32_e32 v1, 0
	ds_read_b128 v[2:5], v1 offset:1872
	ds_read_b128 v[6:9], v1 offset:1888
	s_mov_b32 s4, exec_lo
	s_waitcnt vmcnt(38) lgkmcnt(1)
	v_mul_f64 v[52:53], v[4:5], v[10:11]
	v_mul_f64 v[54:55], v[2:3], v[10:11]
	s_waitcnt vmcnt(36) lgkmcnt(0)
	v_mul_f64 v[56:57], v[8:9], v[14:15]
	ds_read_b128 v[10:13], v1 offset:1904
	v_mul_f64 v[14:15], v[6:7], v[14:15]
	s_waitcnt vmcnt(34)
	v_fma_f64 v[52:53], v[2:3], v[16:17], -v[52:53]
	v_fma_f64 v[16:17], v[4:5], v[16:17], v[54:55]
	ds_read_b128 v[2:5], v1 offset:1920
	s_waitcnt vmcnt(32) lgkmcnt(1)
	v_mul_f64 v[54:55], v[10:11], v[18:19]
	v_mul_f64 v[18:19], v[12:13], v[18:19]
	s_waitcnt vmcnt(30)
	v_fma_f64 v[56:57], v[6:7], v[20:21], -v[56:57]
	v_fma_f64 v[14:15], v[8:9], v[20:21], v[14:15]
	ds_read_b128 v[6:9], v1 offset:1936
	s_waitcnt vmcnt(26) lgkmcnt(1)
	v_mul_f64 v[20:21], v[2:3], v[22:23]
	v_add_f64 v[52:53], v[52:53], 0
	v_add_f64 v[16:17], v[16:17], 0
	v_mul_f64 v[22:23], v[4:5], v[22:23]
	s_waitcnt vmcnt(24)
	v_fma_f64 v[18:19], v[10:11], v[28:29], -v[18:19]
	v_fma_f64 v[28:29], v[12:13], v[28:29], v[54:55]
	ds_read_b128 v[10:13], v1 offset:1952
	s_waitcnt vmcnt(21)
	v_fma_f64 v[20:21], v[4:5], v[30:31], v[20:21]
	v_add_f64 v[52:53], v[52:53], v[56:57]
	v_add_f64 v[14:15], v[16:17], v[14:15]
	s_waitcnt lgkmcnt(1)
	v_mul_f64 v[16:17], v[6:7], v[24:25]
	v_mul_f64 v[24:25], v[8:9], v[24:25]
	v_fma_f64 v[22:23], v[2:3], v[30:31], -v[22:23]
	s_waitcnt vmcnt(17) lgkmcnt(0)
	v_mul_f64 v[30:31], v[12:13], v[32:33]
	ds_read_b128 v[2:5], v1 offset:1968
	v_add_f64 v[18:19], v[52:53], v[18:19]
	v_add_f64 v[14:15], v[14:15], v[28:29]
	v_mul_f64 v[28:29], v[10:11], v[32:33]
	s_waitcnt vmcnt(16)
	v_fma_f64 v[24:25], v[6:7], v[26:27], -v[24:25]
	v_fma_f64 v[16:17], v[8:9], v[26:27], v[16:17]
	ds_read_b128 v[6:9], v1 offset:1984
	s_waitcnt vmcnt(13)
	v_fma_f64 v[26:27], v[10:11], v[38:39], -v[30:31]
	v_add_f64 v[18:19], v[18:19], v[22:23]
	v_add_f64 v[14:15], v[14:15], v[20:21]
	s_waitcnt lgkmcnt(1)
	v_mul_f64 v[22:23], v[4:5], v[34:35]
	v_mul_f64 v[20:21], v[2:3], v[34:35]
	v_add_f64 v[18:19], v[18:19], v[24:25]
	v_fma_f64 v[24:25], v[12:13], v[38:39], v[28:29]
	v_add_f64 v[14:15], v[14:15], v[16:17]
	s_waitcnt vmcnt(9) lgkmcnt(0)
	v_mul_f64 v[28:29], v[8:9], v[40:41]
	s_waitcnt vmcnt(8)
	v_fma_f64 v[2:3], v[2:3], v[36:37], -v[22:23]
	ds_read_b128 v[10:13], v1 offset:2000
	v_mul_f64 v[16:17], v[6:7], v[40:41]
	v_fma_f64 v[4:5], v[4:5], v[36:37], v[20:21]
	v_add_f64 v[18:19], v[18:19], v[26:27]
	v_add_f64 v[14:15], v[14:15], v[24:25]
	s_waitcnt vmcnt(7) lgkmcnt(0)
	v_mul_f64 v[22:23], v[12:13], v[42:43]
	s_waitcnt vmcnt(5)
	v_fma_f64 v[6:7], v[6:7], v[46:47], -v[28:29]
	v_mul_f64 v[20:21], v[10:11], v[42:43]
	v_fma_f64 v[8:9], v[8:9], v[46:47], v[16:17]
	v_add_f64 v[2:3], v[18:19], v[2:3]
	v_add_f64 v[4:5], v[14:15], v[4:5]
	s_waitcnt vmcnt(4)
	v_fma_f64 v[10:11], v[10:11], v[44:45], -v[22:23]
	v_add_f64 v[2:3], v[2:3], v[6:7]
	v_fma_f64 v[6:7], v[12:13], v[44:45], v[20:21]
	v_add_f64 v[4:5], v[4:5], v[8:9]
	v_add_f64 v[2:3], v[2:3], v[10:11]
	;; [unrolled: 1-line block ×3, first 2 shown]
	s_waitcnt vmcnt(2)
	v_add_f64 v[2:3], v[48:49], -v[2:3]
	s_waitcnt vmcnt(0)
	v_add_f64 v[4:5], v[50:51], -v[4:5]
	buffer_store_dword v3, off, s[0:3], 0 offset:868
	buffer_store_dword v2, off, s[0:3], 0 offset:864
	;; [unrolled: 1-line block ×4, first 2 shown]
	v_cmpx_lt_u32_e32 52, v0
	s_cbranch_execz .LBB62_299
; %bb.298:
	v_mov_b32_e32 v5, s24
	s_clause 0x3
	buffer_load_dword v2, v5, s[0:3], 0 offen
	buffer_load_dword v3, v5, s[0:3], 0 offen offset:4
	buffer_load_dword v4, v5, s[0:3], 0 offen offset:8
	;; [unrolled: 1-line block ×3, first 2 shown]
	buffer_store_dword v1, off, s[0:3], 0 offset:848
	buffer_store_dword v1, off, s[0:3], 0 offset:852
	;; [unrolled: 1-line block ×4, first 2 shown]
	s_waitcnt vmcnt(0)
	ds_write_b128 v69, v[2:5]
.LBB62_299:
	s_or_b32 exec_lo, exec_lo, s4
	s_waitcnt lgkmcnt(0)
	s_waitcnt_vscnt null, 0x0
	s_barrier
	buffer_gl0_inv
	s_clause 0x2b
	buffer_load_dword v10, off, s[0:3], 0 offset:872
	buffer_load_dword v11, off, s[0:3], 0 offset:876
	;; [unrolled: 1-line block ×44, first 2 shown]
	ds_read_b128 v[2:5], v1 offset:1856
	ds_read_b128 v[6:9], v1 offset:1872
	s_mov_b32 s4, exec_lo
	s_waitcnt vmcnt(42) lgkmcnt(1)
	v_mul_f64 v[56:57], v[4:5], v[10:11]
	v_mul_f64 v[58:59], v[2:3], v[10:11]
	s_waitcnt vmcnt(40) lgkmcnt(0)
	v_mul_f64 v[60:61], v[8:9], v[14:15]
	ds_read_b128 v[10:13], v1 offset:1888
	v_mul_f64 v[14:15], v[6:7], v[14:15]
	s_waitcnt vmcnt(38)
	v_fma_f64 v[56:57], v[2:3], v[16:17], -v[56:57]
	v_fma_f64 v[16:17], v[4:5], v[16:17], v[58:59]
	ds_read_b128 v[2:5], v1 offset:1904
	s_waitcnt vmcnt(36) lgkmcnt(1)
	v_mul_f64 v[58:59], v[10:11], v[18:19]
	v_mul_f64 v[18:19], v[12:13], v[18:19]
	s_waitcnt vmcnt(34)
	v_fma_f64 v[60:61], v[6:7], v[20:21], -v[60:61]
	v_fma_f64 v[14:15], v[8:9], v[20:21], v[14:15]
	ds_read_b128 v[6:9], v1 offset:1920
	s_waitcnt vmcnt(30) lgkmcnt(1)
	v_mul_f64 v[20:21], v[2:3], v[22:23]
	v_add_f64 v[56:57], v[56:57], 0
	v_add_f64 v[16:17], v[16:17], 0
	v_mul_f64 v[22:23], v[4:5], v[22:23]
	s_waitcnt vmcnt(28)
	v_fma_f64 v[18:19], v[10:11], v[28:29], -v[18:19]
	v_fma_f64 v[28:29], v[12:13], v[28:29], v[58:59]
	ds_read_b128 v[10:13], v1 offset:1936
	s_waitcnt vmcnt(25)
	v_fma_f64 v[20:21], v[4:5], v[30:31], v[20:21]
	v_add_f64 v[56:57], v[56:57], v[60:61]
	v_add_f64 v[14:15], v[16:17], v[14:15]
	s_waitcnt lgkmcnt(1)
	v_mul_f64 v[16:17], v[6:7], v[24:25]
	v_mul_f64 v[24:25], v[8:9], v[24:25]
	v_fma_f64 v[22:23], v[2:3], v[30:31], -v[22:23]
	s_waitcnt vmcnt(21) lgkmcnt(0)
	v_mul_f64 v[30:31], v[12:13], v[32:33]
	ds_read_b128 v[2:5], v1 offset:1952
	v_add_f64 v[18:19], v[56:57], v[18:19]
	v_add_f64 v[14:15], v[14:15], v[28:29]
	v_mul_f64 v[28:29], v[10:11], v[32:33]
	s_waitcnt vmcnt(20)
	v_fma_f64 v[24:25], v[6:7], v[26:27], -v[24:25]
	v_fma_f64 v[16:17], v[8:9], v[26:27], v[16:17]
	ds_read_b128 v[6:9], v1 offset:1968
	s_waitcnt vmcnt(17)
	v_fma_f64 v[26:27], v[10:11], v[38:39], -v[30:31]
	v_add_f64 v[18:19], v[18:19], v[22:23]
	v_add_f64 v[14:15], v[14:15], v[20:21]
	s_waitcnt lgkmcnt(1)
	v_mul_f64 v[22:23], v[4:5], v[34:35]
	v_mul_f64 v[20:21], v[2:3], v[34:35]
	v_add_f64 v[18:19], v[18:19], v[24:25]
	v_fma_f64 v[24:25], v[12:13], v[38:39], v[28:29]
	v_add_f64 v[14:15], v[14:15], v[16:17]
	s_waitcnt vmcnt(13) lgkmcnt(0)
	v_mul_f64 v[28:29], v[8:9], v[40:41]
	s_waitcnt vmcnt(12)
	v_fma_f64 v[22:23], v[2:3], v[36:37], -v[22:23]
	ds_read_b128 v[10:13], v1 offset:1984
	v_mul_f64 v[16:17], v[6:7], v[40:41]
	v_fma_f64 v[20:21], v[4:5], v[36:37], v[20:21]
	ds_read_b128 v[1:4], v1 offset:2000
	v_add_f64 v[18:19], v[18:19], v[26:27]
	v_add_f64 v[14:15], v[14:15], v[24:25]
	s_waitcnt vmcnt(11) lgkmcnt(1)
	v_mul_f64 v[26:27], v[12:13], v[42:43]
	s_waitcnt vmcnt(9)
	v_fma_f64 v[5:6], v[6:7], v[46:47], -v[28:29]
	v_mul_f64 v[24:25], v[10:11], v[42:43]
	v_fma_f64 v[7:8], v[8:9], v[46:47], v[16:17]
	s_waitcnt vmcnt(7) lgkmcnt(0)
	v_mul_f64 v[16:17], v[1:2], v[48:49]
	v_add_f64 v[18:19], v[18:19], v[22:23]
	v_add_f64 v[14:15], v[14:15], v[20:21]
	v_mul_f64 v[20:21], v[3:4], v[48:49]
	s_waitcnt vmcnt(6)
	v_fma_f64 v[9:10], v[10:11], v[44:45], -v[26:27]
	v_fma_f64 v[11:12], v[12:13], v[44:45], v[24:25]
	s_waitcnt vmcnt(4)
	v_fma_f64 v[3:4], v[3:4], v[50:51], v[16:17]
	v_add_f64 v[5:6], v[18:19], v[5:6]
	v_add_f64 v[7:8], v[14:15], v[7:8]
	v_fma_f64 v[1:2], v[1:2], v[50:51], -v[20:21]
	v_add_f64 v[5:6], v[5:6], v[9:10]
	v_add_f64 v[7:8], v[7:8], v[11:12]
	;; [unrolled: 1-line block ×4, first 2 shown]
	s_waitcnt vmcnt(2)
	v_add_f64 v[1:2], v[52:53], -v[1:2]
	s_waitcnt vmcnt(0)
	v_add_f64 v[3:4], v[54:55], -v[3:4]
	buffer_store_dword v2, off, s[0:3], 0 offset:852
	buffer_store_dword v1, off, s[0:3], 0 offset:848
	;; [unrolled: 1-line block ×4, first 2 shown]
	v_cmpx_lt_u32_e32 51, v0
	s_cbranch_execz .LBB62_301
; %bb.300:
	v_mov_b32_e32 v4, s25
	v_mov_b32_e32 v5, 0
	s_clause 0x3
	buffer_load_dword v1, v4, s[0:3], 0 offen
	buffer_load_dword v2, v4, s[0:3], 0 offen offset:4
	buffer_load_dword v3, v4, s[0:3], 0 offen offset:8
	;; [unrolled: 1-line block ×3, first 2 shown]
	buffer_store_dword v5, off, s[0:3], 0 offset:832
	buffer_store_dword v5, off, s[0:3], 0 offset:836
	;; [unrolled: 1-line block ×4, first 2 shown]
	s_waitcnt vmcnt(0)
	ds_write_b128 v69, v[1:4]
.LBB62_301:
	s_or_b32 exec_lo, exec_lo, s4
	s_waitcnt lgkmcnt(0)
	s_waitcnt_vscnt null, 0x0
	s_barrier
	buffer_gl0_inv
	s_clause 0x2f
	buffer_load_dword v10, off, s[0:3], 0 offset:856
	buffer_load_dword v11, off, s[0:3], 0 offset:860
	;; [unrolled: 1-line block ×48, first 2 shown]
	v_mov_b32_e32 v1, 0
	s_mov_b32 s4, exec_lo
	ds_read_b128 v[2:5], v1 offset:1840
	ds_read_b128 v[6:9], v1 offset:1856
	s_waitcnt vmcnt(46) lgkmcnt(1)
	v_mul_f64 v[60:61], v[4:5], v[10:11]
	v_mul_f64 v[62:63], v[2:3], v[10:11]
	s_waitcnt vmcnt(44) lgkmcnt(0)
	v_mul_f64 v[64:65], v[8:9], v[14:15]
	ds_read_b128 v[10:13], v1 offset:1872
	v_mul_f64 v[14:15], v[6:7], v[14:15]
	s_waitcnt vmcnt(42)
	v_fma_f64 v[60:61], v[2:3], v[16:17], -v[60:61]
	v_fma_f64 v[16:17], v[4:5], v[16:17], v[62:63]
	ds_read_b128 v[2:5], v1 offset:1888
	s_waitcnt vmcnt(40) lgkmcnt(1)
	v_mul_f64 v[62:63], v[10:11], v[18:19]
	v_mul_f64 v[18:19], v[12:13], v[18:19]
	s_waitcnt vmcnt(38)
	v_fma_f64 v[64:65], v[6:7], v[20:21], -v[64:65]
	v_fma_f64 v[14:15], v[8:9], v[20:21], v[14:15]
	ds_read_b128 v[6:9], v1 offset:1904
	s_waitcnt vmcnt(36) lgkmcnt(1)
	v_mul_f64 v[20:21], v[2:3], v[22:23]
	v_add_f64 v[60:61], v[60:61], 0
	v_add_f64 v[16:17], v[16:17], 0
	v_mul_f64 v[22:23], v[4:5], v[22:23]
	s_waitcnt vmcnt(34)
	v_fma_f64 v[18:19], v[10:11], v[24:25], -v[18:19]
	v_fma_f64 v[24:25], v[12:13], v[24:25], v[62:63]
	ds_read_b128 v[10:13], v1 offset:1920
	s_waitcnt vmcnt(30)
	v_fma_f64 v[20:21], v[4:5], v[28:29], v[20:21]
	v_add_f64 v[60:61], v[60:61], v[64:65]
	v_add_f64 v[14:15], v[16:17], v[14:15]
	s_waitcnt lgkmcnt(1)
	v_mul_f64 v[16:17], v[6:7], v[26:27]
	v_mul_f64 v[26:27], v[8:9], v[26:27]
	v_fma_f64 v[22:23], v[2:3], v[28:29], -v[22:23]
	s_waitcnt vmcnt(28) lgkmcnt(0)
	v_mul_f64 v[28:29], v[12:13], v[30:31]
	ds_read_b128 v[2:5], v1 offset:1936
	v_add_f64 v[18:19], v[60:61], v[18:19]
	v_add_f64 v[14:15], v[14:15], v[24:25]
	v_mul_f64 v[24:25], v[10:11], v[30:31]
	s_waitcnt vmcnt(26)
	v_fma_f64 v[26:27], v[6:7], v[32:33], -v[26:27]
	v_fma_f64 v[16:17], v[8:9], v[32:33], v[16:17]
	ds_read_b128 v[6:9], v1 offset:1952
	s_waitcnt vmcnt(22)
	v_fma_f64 v[28:29], v[10:11], v[36:37], -v[28:29]
	v_add_f64 v[18:19], v[18:19], v[22:23]
	v_add_f64 v[14:15], v[14:15], v[20:21]
	s_waitcnt lgkmcnt(1)
	v_mul_f64 v[22:23], v[4:5], v[34:35]
	v_mul_f64 v[20:21], v[2:3], v[34:35]
	v_fma_f64 v[24:25], v[12:13], v[36:37], v[24:25]
	ds_read_b128 v[10:13], v1 offset:1968
	v_add_f64 v[18:19], v[18:19], v[26:27]
	v_add_f64 v[14:15], v[14:15], v[16:17]
	s_waitcnt vmcnt(20) lgkmcnt(1)
	v_mul_f64 v[26:27], v[8:9], v[38:39]
	s_waitcnt vmcnt(18)
	v_fma_f64 v[22:23], v[2:3], v[40:41], -v[22:23]
	v_mul_f64 v[16:17], v[6:7], v[38:39]
	v_fma_f64 v[20:21], v[4:5], v[40:41], v[20:21]
	ds_read_b128 v[2:5], v1 offset:1984
	v_add_f64 v[18:19], v[18:19], v[28:29]
	v_add_f64 v[14:15], v[14:15], v[24:25]
	s_waitcnt vmcnt(16) lgkmcnt(1)
	v_mul_f64 v[28:29], v[12:13], v[42:43]
	s_waitcnt vmcnt(14)
	v_fma_f64 v[26:27], v[6:7], v[44:45], -v[26:27]
	;; [unrolled: 9-line block ×3, first 2 shown]
	v_mul_f64 v[20:21], v[2:3], v[46:47]
	v_fma_f64 v[12:13], v[12:13], v[48:49], v[24:25]
	s_waitcnt vmcnt(8) lgkmcnt(0)
	v_mul_f64 v[24:25], v[8:9], v[50:51]
	v_add_f64 v[18:19], v[18:19], v[26:27]
	v_add_f64 v[14:15], v[14:15], v[16:17]
	s_waitcnt vmcnt(6)
	v_fma_f64 v[2:3], v[2:3], v[52:53], -v[22:23]
	v_mul_f64 v[16:17], v[6:7], v[50:51]
	v_fma_f64 v[4:5], v[4:5], v[52:53], v[20:21]
	s_waitcnt vmcnt(4)
	v_fma_f64 v[6:7], v[6:7], v[54:55], -v[24:25]
	v_add_f64 v[10:11], v[18:19], v[10:11]
	v_add_f64 v[12:13], v[14:15], v[12:13]
	v_fma_f64 v[8:9], v[8:9], v[54:55], v[16:17]
	v_add_f64 v[2:3], v[10:11], v[2:3]
	v_add_f64 v[4:5], v[12:13], v[4:5]
	;; [unrolled: 1-line block ×4, first 2 shown]
	s_waitcnt vmcnt(2)
	v_add_f64 v[2:3], v[56:57], -v[2:3]
	s_waitcnt vmcnt(0)
	v_add_f64 v[4:5], v[58:59], -v[4:5]
	buffer_store_dword v3, off, s[0:3], 0 offset:836
	buffer_store_dword v2, off, s[0:3], 0 offset:832
	buffer_store_dword v5, off, s[0:3], 0 offset:844
	buffer_store_dword v4, off, s[0:3], 0 offset:840
	v_cmpx_lt_u32_e32 50, v0
	s_cbranch_execz .LBB62_303
; %bb.302:
	v_mov_b32_e32 v5, s26
	s_clause 0x3
	buffer_load_dword v2, v5, s[0:3], 0 offen
	buffer_load_dword v3, v5, s[0:3], 0 offen offset:4
	buffer_load_dword v4, v5, s[0:3], 0 offen offset:8
	;; [unrolled: 1-line block ×3, first 2 shown]
	buffer_store_dword v1, off, s[0:3], 0 offset:816
	buffer_store_dword v1, off, s[0:3], 0 offset:820
	;; [unrolled: 1-line block ×4, first 2 shown]
	s_waitcnt vmcnt(0)
	ds_write_b128 v69, v[2:5]
.LBB62_303:
	s_or_b32 exec_lo, exec_lo, s4
	s_waitcnt lgkmcnt(0)
	s_waitcnt_vscnt null, 0x0
	s_barrier
	buffer_gl0_inv
	s_clause 0x2f
	buffer_load_dword v10, off, s[0:3], 0 offset:840
	buffer_load_dword v11, off, s[0:3], 0 offset:844
	;; [unrolled: 1-line block ×48, first 2 shown]
	ds_read_b128 v[2:5], v1 offset:1824
	s_clause 0x3
	buffer_load_dword v60, off, s[0:3], 0 offset:816
	buffer_load_dword v61, off, s[0:3], 0 offset:820
	;; [unrolled: 1-line block ×4, first 2 shown]
	ds_read_b128 v[6:9], v1 offset:1840
	s_mov_b32 s4, exec_lo
	s_waitcnt vmcnt(50) lgkmcnt(1)
	v_mul_f64 v[64:65], v[4:5], v[10:11]
	v_mul_f64 v[66:67], v[2:3], v[10:11]
	ds_read_b128 v[10:13], v1 offset:1856
	s_waitcnt vmcnt(48) lgkmcnt(1)
	v_mul_f64 v[70:71], v[8:9], v[14:15]
	v_mul_f64 v[14:15], v[6:7], v[14:15]
	s_waitcnt vmcnt(46)
	v_fma_f64 v[64:65], v[2:3], v[16:17], -v[64:65]
	v_fma_f64 v[16:17], v[4:5], v[16:17], v[66:67]
	s_waitcnt vmcnt(44) lgkmcnt(0)
	v_mul_f64 v[66:67], v[10:11], v[18:19]
	v_mul_f64 v[18:19], v[12:13], v[18:19]
	s_waitcnt vmcnt(42)
	v_fma_f64 v[70:71], v[6:7], v[20:21], -v[70:71]
	ds_read_b128 v[2:5], v1 offset:1872
	v_fma_f64 v[14:15], v[8:9], v[20:21], v[14:15]
	ds_read_b128 v[6:9], v1 offset:1888
	v_add_f64 v[64:65], v[64:65], 0
	v_add_f64 v[16:17], v[16:17], 0
	s_waitcnt vmcnt(38) lgkmcnt(1)
	v_mul_f64 v[20:21], v[2:3], v[22:23]
	v_mul_f64 v[22:23], v[4:5], v[22:23]
	s_waitcnt vmcnt(36)
	v_fma_f64 v[18:19], v[10:11], v[28:29], -v[18:19]
	v_fma_f64 v[28:29], v[12:13], v[28:29], v[66:67]
	ds_read_b128 v[10:13], v1 offset:1904
	v_add_f64 v[64:65], v[64:65], v[70:71]
	v_add_f64 v[14:15], v[16:17], v[14:15]
	s_waitcnt vmcnt(35) lgkmcnt(1)
	v_mul_f64 v[16:17], v[6:7], v[24:25]
	v_mul_f64 v[24:25], v[8:9], v[24:25]
	s_waitcnt vmcnt(33)
	v_fma_f64 v[22:23], v[2:3], v[30:31], -v[22:23]
	v_fma_f64 v[20:21], v[4:5], v[30:31], v[20:21]
	ds_read_b128 v[2:5], v1 offset:1920
	s_waitcnt vmcnt(29) lgkmcnt(1)
	v_mul_f64 v[30:31], v[12:13], v[32:33]
	v_add_f64 v[18:19], v[64:65], v[18:19]
	v_add_f64 v[14:15], v[14:15], v[28:29]
	v_mul_f64 v[28:29], v[10:11], v[32:33]
	s_waitcnt vmcnt(28)
	v_fma_f64 v[24:25], v[6:7], v[26:27], -v[24:25]
	v_fma_f64 v[16:17], v[8:9], v[26:27], v[16:17]
	ds_read_b128 v[6:9], v1 offset:1936
	s_waitcnt vmcnt(25)
	v_fma_f64 v[26:27], v[10:11], v[38:39], -v[30:31]
	v_add_f64 v[18:19], v[18:19], v[22:23]
	v_add_f64 v[14:15], v[14:15], v[20:21]
	s_waitcnt lgkmcnt(1)
	v_mul_f64 v[22:23], v[4:5], v[34:35]
	v_mul_f64 v[20:21], v[2:3], v[34:35]
	v_add_f64 v[18:19], v[18:19], v[24:25]
	v_fma_f64 v[24:25], v[12:13], v[38:39], v[28:29]
	v_add_f64 v[14:15], v[14:15], v[16:17]
	ds_read_b128 v[10:13], v1 offset:1952
	s_waitcnt vmcnt(21) lgkmcnt(1)
	v_mul_f64 v[28:29], v[8:9], v[40:41]
	s_waitcnt vmcnt(20)
	v_fma_f64 v[22:23], v[2:3], v[36:37], -v[22:23]
	v_mul_f64 v[16:17], v[6:7], v[40:41]
	v_fma_f64 v[20:21], v[4:5], v[36:37], v[20:21]
	ds_read_b128 v[2:5], v1 offset:1968
	v_add_f64 v[18:19], v[18:19], v[26:27]
	s_waitcnt vmcnt(19) lgkmcnt(1)
	v_mul_f64 v[26:27], v[12:13], v[42:43]
	v_add_f64 v[14:15], v[14:15], v[24:25]
	v_mul_f64 v[24:25], v[10:11], v[42:43]
	s_waitcnt vmcnt(17)
	v_fma_f64 v[28:29], v[6:7], v[46:47], -v[28:29]
	v_fma_f64 v[16:17], v[8:9], v[46:47], v[16:17]
	ds_read_b128 v[6:9], v1 offset:1984
	v_add_f64 v[18:19], v[18:19], v[22:23]
	s_waitcnt vmcnt(13) lgkmcnt(1)
	v_mul_f64 v[22:23], v[4:5], v[48:49]
	v_add_f64 v[14:15], v[14:15], v[20:21]
	s_waitcnt vmcnt(12)
	v_fma_f64 v[26:27], v[10:11], v[44:45], -v[26:27]
	v_mul_f64 v[20:21], v[2:3], v[48:49]
	v_fma_f64 v[24:25], v[12:13], v[44:45], v[24:25]
	ds_read_b128 v[10:13], v1 offset:2000
	v_add_f64 v[18:19], v[18:19], v[28:29]
	s_waitcnt vmcnt(11) lgkmcnt(1)
	v_mul_f64 v[28:29], v[8:9], v[50:51]
	v_add_f64 v[14:15], v[14:15], v[16:17]
	s_waitcnt vmcnt(9)
	v_fma_f64 v[1:2], v[2:3], v[54:55], -v[22:23]
	v_mul_f64 v[16:17], v[6:7], v[50:51]
	v_fma_f64 v[3:4], v[4:5], v[54:55], v[20:21]
	s_waitcnt vmcnt(7) lgkmcnt(0)
	v_mul_f64 v[22:23], v[12:13], v[56:57]
	v_mul_f64 v[20:21], v[10:11], v[56:57]
	v_add_f64 v[18:19], v[18:19], v[26:27]
	s_waitcnt vmcnt(6)
	v_fma_f64 v[5:6], v[6:7], v[52:53], -v[28:29]
	v_add_f64 v[14:15], v[14:15], v[24:25]
	v_fma_f64 v[7:8], v[8:9], v[52:53], v[16:17]
	s_waitcnt vmcnt(4)
	v_fma_f64 v[9:10], v[10:11], v[58:59], -v[22:23]
	v_add_f64 v[1:2], v[18:19], v[1:2]
	v_add_f64 v[3:4], v[14:15], v[3:4]
	;; [unrolled: 1-line block ×3, first 2 shown]
	v_fma_f64 v[5:6], v[12:13], v[58:59], v[20:21]
	v_add_f64 v[3:4], v[3:4], v[7:8]
	v_add_f64 v[1:2], v[1:2], v[9:10]
	;; [unrolled: 1-line block ×3, first 2 shown]
	s_waitcnt vmcnt(2)
	v_add_f64 v[1:2], v[60:61], -v[1:2]
	s_waitcnt vmcnt(0)
	v_add_f64 v[3:4], v[62:63], -v[3:4]
	buffer_store_dword v2, off, s[0:3], 0 offset:820
	buffer_store_dword v1, off, s[0:3], 0 offset:816
	;; [unrolled: 1-line block ×4, first 2 shown]
	v_cmpx_lt_u32_e32 49, v0
	s_cbranch_execz .LBB62_305
; %bb.304:
	v_mov_b32_e32 v4, s27
	v_mov_b32_e32 v5, 0
	s_clause 0x3
	buffer_load_dword v1, v4, s[0:3], 0 offen
	buffer_load_dword v2, v4, s[0:3], 0 offen offset:4
	buffer_load_dword v3, v4, s[0:3], 0 offen offset:8
	;; [unrolled: 1-line block ×3, first 2 shown]
	buffer_store_dword v5, off, s[0:3], 0 offset:800
	buffer_store_dword v5, off, s[0:3], 0 offset:804
	;; [unrolled: 1-line block ×4, first 2 shown]
	s_waitcnt vmcnt(0)
	ds_write_b128 v69, v[1:4]
.LBB62_305:
	s_or_b32 exec_lo, exec_lo, s4
	s_waitcnt lgkmcnt(0)
	s_waitcnt_vscnt null, 0x0
	s_barrier
	buffer_gl0_inv
	s_clause 0x33
	buffer_load_dword v10, off, s[0:3], 0 offset:824
	buffer_load_dword v11, off, s[0:3], 0 offset:828
	;; [unrolled: 1-line block ×52, first 2 shown]
	v_mov_b32_e32 v1, 0
	ds_read_b128 v[2:5], v1 offset:1808
	ds_read_b128 v[6:9], v1 offset:1824
	s_clause 0x3
	buffer_load_dword v70, off, s[0:3], 0 offset:800
	buffer_load_dword v71, off, s[0:3], 0 offset:804
	;; [unrolled: 1-line block ×4, first 2 shown]
	s_mov_b32 s4, exec_lo
	s_waitcnt vmcnt(54) lgkmcnt(1)
	v_mul_f64 v[64:65], v[4:5], v[10:11]
	v_mul_f64 v[66:67], v[2:3], v[10:11]
	s_waitcnt vmcnt(52) lgkmcnt(0)
	v_mul_f64 v[74:75], v[8:9], v[14:15]
	ds_read_b128 v[10:13], v1 offset:1840
	v_mul_f64 v[14:15], v[6:7], v[14:15]
	s_waitcnt vmcnt(50)
	v_fma_f64 v[64:65], v[2:3], v[16:17], -v[64:65]
	v_fma_f64 v[16:17], v[4:5], v[16:17], v[66:67]
	ds_read_b128 v[2:5], v1 offset:1856
	s_waitcnt vmcnt(48) lgkmcnt(1)
	v_mul_f64 v[66:67], v[10:11], v[18:19]
	v_mul_f64 v[18:19], v[12:13], v[18:19]
	s_waitcnt vmcnt(46)
	v_fma_f64 v[74:75], v[6:7], v[20:21], -v[74:75]
	v_fma_f64 v[14:15], v[8:9], v[20:21], v[14:15]
	ds_read_b128 v[6:9], v1 offset:1872
	s_waitcnt vmcnt(42) lgkmcnt(1)
	v_mul_f64 v[20:21], v[2:3], v[22:23]
	v_add_f64 v[64:65], v[64:65], 0
	v_add_f64 v[16:17], v[16:17], 0
	v_mul_f64 v[22:23], v[4:5], v[22:23]
	s_waitcnt vmcnt(40)
	v_fma_f64 v[18:19], v[10:11], v[28:29], -v[18:19]
	v_fma_f64 v[28:29], v[12:13], v[28:29], v[66:67]
	ds_read_b128 v[10:13], v1 offset:1888
	s_waitcnt vmcnt(37)
	v_fma_f64 v[20:21], v[4:5], v[30:31], v[20:21]
	v_add_f64 v[64:65], v[64:65], v[74:75]
	v_add_f64 v[14:15], v[16:17], v[14:15]
	s_waitcnt lgkmcnt(1)
	v_mul_f64 v[16:17], v[6:7], v[24:25]
	v_mul_f64 v[24:25], v[8:9], v[24:25]
	v_fma_f64 v[22:23], v[2:3], v[30:31], -v[22:23]
	s_waitcnt vmcnt(33) lgkmcnt(0)
	v_mul_f64 v[30:31], v[12:13], v[32:33]
	ds_read_b128 v[2:5], v1 offset:1904
	v_add_f64 v[18:19], v[64:65], v[18:19]
	v_add_f64 v[14:15], v[14:15], v[28:29]
	v_mul_f64 v[28:29], v[10:11], v[32:33]
	s_waitcnt vmcnt(32)
	v_fma_f64 v[24:25], v[6:7], v[26:27], -v[24:25]
	v_fma_f64 v[16:17], v[8:9], v[26:27], v[16:17]
	ds_read_b128 v[6:9], v1 offset:1920
	s_waitcnt vmcnt(29)
	v_fma_f64 v[26:27], v[10:11], v[38:39], -v[30:31]
	v_add_f64 v[18:19], v[18:19], v[22:23]
	v_add_f64 v[14:15], v[14:15], v[20:21]
	s_waitcnt lgkmcnt(1)
	v_mul_f64 v[22:23], v[4:5], v[34:35]
	v_mul_f64 v[20:21], v[2:3], v[34:35]
	v_add_f64 v[18:19], v[18:19], v[24:25]
	v_fma_f64 v[24:25], v[12:13], v[38:39], v[28:29]
	v_add_f64 v[14:15], v[14:15], v[16:17]
	s_waitcnt vmcnt(25) lgkmcnt(0)
	v_mul_f64 v[28:29], v[8:9], v[40:41]
	s_waitcnt vmcnt(24)
	v_fma_f64 v[22:23], v[2:3], v[36:37], -v[22:23]
	ds_read_b128 v[10:13], v1 offset:1936
	v_mul_f64 v[16:17], v[6:7], v[40:41]
	v_fma_f64 v[20:21], v[4:5], v[36:37], v[20:21]
	ds_read_b128 v[2:5], v1 offset:1952
	v_add_f64 v[18:19], v[18:19], v[26:27]
	v_add_f64 v[14:15], v[14:15], v[24:25]
	s_waitcnt vmcnt(23) lgkmcnt(1)
	v_mul_f64 v[26:27], v[12:13], v[42:43]
	s_waitcnt vmcnt(21)
	v_fma_f64 v[28:29], v[6:7], v[46:47], -v[28:29]
	v_mul_f64 v[24:25], v[10:11], v[42:43]
	v_fma_f64 v[16:17], v[8:9], v[46:47], v[16:17]
	ds_read_b128 v[6:9], v1 offset:1968
	v_add_f64 v[18:19], v[18:19], v[22:23]
	s_waitcnt vmcnt(17) lgkmcnt(1)
	v_mul_f64 v[22:23], v[4:5], v[48:49]
	v_add_f64 v[14:15], v[14:15], v[20:21]
	s_waitcnt vmcnt(16)
	v_fma_f64 v[26:27], v[10:11], v[44:45], -v[26:27]
	v_mul_f64 v[20:21], v[2:3], v[48:49]
	v_fma_f64 v[24:25], v[12:13], v[44:45], v[24:25]
	ds_read_b128 v[10:13], v1 offset:1984
	v_add_f64 v[18:19], v[18:19], v[28:29]
	s_waitcnt vmcnt(15) lgkmcnt(1)
	v_mul_f64 v[28:29], v[8:9], v[50:51]
	v_add_f64 v[14:15], v[14:15], v[16:17]
	;; [unrolled: 9-line block ×3, first 2 shown]
	s_waitcnt vmcnt(8)
	v_fma_f64 v[6:7], v[6:7], v[52:53], -v[28:29]
	v_mul_f64 v[24:25], v[10:11], v[56:57]
	v_fma_f64 v[8:9], v[8:9], v[52:53], v[16:17]
	s_waitcnt vmcnt(7) lgkmcnt(0)
	v_mul_f64 v[16:17], v[2:3], v[58:59]
	v_add_f64 v[18:19], v[18:19], v[22:23]
	s_waitcnt vmcnt(5)
	v_fma_f64 v[10:11], v[10:11], v[62:63], -v[26:27]
	v_add_f64 v[14:15], v[14:15], v[20:21]
	v_mul_f64 v[20:21], v[4:5], v[58:59]
	v_fma_f64 v[12:13], v[12:13], v[62:63], v[24:25]
	s_waitcnt vmcnt(4)
	v_fma_f64 v[4:5], v[4:5], v[60:61], v[16:17]
	v_add_f64 v[6:7], v[18:19], v[6:7]
	v_add_f64 v[8:9], v[14:15], v[8:9]
	v_fma_f64 v[2:3], v[2:3], v[60:61], -v[20:21]
	v_add_f64 v[6:7], v[6:7], v[10:11]
	v_add_f64 v[8:9], v[8:9], v[12:13]
	;; [unrolled: 1-line block ×4, first 2 shown]
	s_waitcnt vmcnt(2)
	v_add_f64 v[2:3], v[70:71], -v[2:3]
	s_waitcnt vmcnt(0)
	v_add_f64 v[4:5], v[72:73], -v[4:5]
	buffer_store_dword v3, off, s[0:3], 0 offset:804
	buffer_store_dword v2, off, s[0:3], 0 offset:800
	;; [unrolled: 1-line block ×4, first 2 shown]
	v_cmpx_lt_u32_e32 48, v0
	s_cbranch_execz .LBB62_307
; %bb.306:
	v_mov_b32_e32 v5, s28
	s_clause 0x3
	buffer_load_dword v2, v5, s[0:3], 0 offen
	buffer_load_dword v3, v5, s[0:3], 0 offen offset:4
	buffer_load_dword v4, v5, s[0:3], 0 offen offset:8
	;; [unrolled: 1-line block ×3, first 2 shown]
	buffer_store_dword v1, off, s[0:3], 0 offset:784
	buffer_store_dword v1, off, s[0:3], 0 offset:788
	;; [unrolled: 1-line block ×4, first 2 shown]
	s_waitcnt vmcnt(0)
	ds_write_b128 v69, v[2:5]
.LBB62_307:
	s_or_b32 exec_lo, exec_lo, s4
	s_waitcnt lgkmcnt(0)
	s_waitcnt_vscnt null, 0x0
	s_barrier
	buffer_gl0_inv
	s_clause 0x35
	buffer_load_dword v10, off, s[0:3], 0 offset:808
	buffer_load_dword v11, off, s[0:3], 0 offset:812
	;; [unrolled: 1-line block ×54, first 2 shown]
	ds_read_b128 v[2:5], v1 offset:1792
	s_clause 0x1
	buffer_load_dword v67, off, s[0:3], 0 offset:1012
	buffer_load_dword v66, off, s[0:3], 0 offset:1008
	ds_read_b128 v[6:9], v1 offset:1808
	s_mov_b32 s4, exec_lo
	s_waitcnt vmcnt(54) lgkmcnt(1)
	v_mul_f64 v[70:71], v[4:5], v[10:11]
	v_mul_f64 v[72:73], v[2:3], v[10:11]
	ds_read_b128 v[10:13], v1 offset:1824
	s_waitcnt vmcnt(52) lgkmcnt(1)
	v_mul_f64 v[74:75], v[8:9], v[14:15]
	v_mul_f64 v[14:15], v[6:7], v[14:15]
	s_waitcnt vmcnt(48) lgkmcnt(0)
	v_mul_f64 v[78:79], v[10:11], v[18:19]
	v_fma_f64 v[70:71], v[2:3], v[16:17], -v[70:71]
	v_fma_f64 v[16:17], v[4:5], v[16:17], v[72:73]
	s_clause 0x3
	buffer_load_dword v72, off, s[0:3], 0 offset:784
	buffer_load_dword v73, off, s[0:3], 0 offset:788
	;; [unrolled: 1-line block ×4, first 2 shown]
	v_mul_f64 v[18:19], v[12:13], v[18:19]
	s_waitcnt vmcnt(50)
	v_fma_f64 v[74:75], v[6:7], v[20:21], -v[74:75]
	ds_read_b128 v[2:5], v1 offset:1840
	v_fma_f64 v[14:15], v[8:9], v[20:21], v[14:15]
	ds_read_b128 v[6:9], v1 offset:1856
	v_add_f64 v[70:71], v[70:71], 0
	v_add_f64 v[16:17], v[16:17], 0
	s_waitcnt vmcnt(46) lgkmcnt(1)
	v_mul_f64 v[20:21], v[2:3], v[22:23]
	v_mul_f64 v[22:23], v[4:5], v[22:23]
	s_waitcnt vmcnt(44)
	v_fma_f64 v[18:19], v[10:11], v[28:29], -v[18:19]
	v_fma_f64 v[28:29], v[12:13], v[28:29], v[78:79]
	ds_read_b128 v[10:13], v1 offset:1872
	v_add_f64 v[70:71], v[70:71], v[74:75]
	v_add_f64 v[14:15], v[16:17], v[14:15]
	s_waitcnt vmcnt(43) lgkmcnt(1)
	v_mul_f64 v[16:17], v[6:7], v[24:25]
	v_mul_f64 v[24:25], v[8:9], v[24:25]
	s_waitcnt vmcnt(41)
	v_fma_f64 v[22:23], v[2:3], v[30:31], -v[22:23]
	v_fma_f64 v[20:21], v[4:5], v[30:31], v[20:21]
	ds_read_b128 v[2:5], v1 offset:1888
	s_waitcnt vmcnt(37) lgkmcnt(1)
	v_mul_f64 v[30:31], v[12:13], v[32:33]
	v_add_f64 v[18:19], v[70:71], v[18:19]
	v_add_f64 v[14:15], v[14:15], v[28:29]
	v_mul_f64 v[28:29], v[10:11], v[32:33]
	s_waitcnt vmcnt(36)
	v_fma_f64 v[24:25], v[6:7], v[26:27], -v[24:25]
	v_fma_f64 v[16:17], v[8:9], v[26:27], v[16:17]
	ds_read_b128 v[6:9], v1 offset:1904
	s_waitcnt vmcnt(33)
	v_fma_f64 v[26:27], v[10:11], v[38:39], -v[30:31]
	v_add_f64 v[18:19], v[18:19], v[22:23]
	v_add_f64 v[14:15], v[14:15], v[20:21]
	s_waitcnt lgkmcnt(1)
	v_mul_f64 v[22:23], v[4:5], v[34:35]
	v_mul_f64 v[20:21], v[2:3], v[34:35]
	v_add_f64 v[18:19], v[18:19], v[24:25]
	v_fma_f64 v[24:25], v[12:13], v[38:39], v[28:29]
	v_add_f64 v[14:15], v[14:15], v[16:17]
	ds_read_b128 v[10:13], v1 offset:1920
	s_waitcnt vmcnt(29) lgkmcnt(1)
	v_mul_f64 v[28:29], v[8:9], v[40:41]
	s_waitcnt vmcnt(28)
	v_fma_f64 v[22:23], v[2:3], v[36:37], -v[22:23]
	v_mul_f64 v[16:17], v[6:7], v[40:41]
	v_fma_f64 v[20:21], v[4:5], v[36:37], v[20:21]
	ds_read_b128 v[2:5], v1 offset:1936
	v_add_f64 v[18:19], v[18:19], v[26:27]
	s_waitcnt vmcnt(27) lgkmcnt(1)
	v_mul_f64 v[26:27], v[12:13], v[42:43]
	v_add_f64 v[14:15], v[14:15], v[24:25]
	v_mul_f64 v[24:25], v[10:11], v[42:43]
	s_waitcnt vmcnt(25)
	v_fma_f64 v[28:29], v[6:7], v[46:47], -v[28:29]
	v_fma_f64 v[16:17], v[8:9], v[46:47], v[16:17]
	ds_read_b128 v[6:9], v1 offset:1952
	v_add_f64 v[18:19], v[18:19], v[22:23]
	s_waitcnt vmcnt(21) lgkmcnt(1)
	v_mul_f64 v[22:23], v[4:5], v[48:49]
	v_add_f64 v[14:15], v[14:15], v[20:21]
	s_waitcnt vmcnt(20)
	v_fma_f64 v[26:27], v[10:11], v[44:45], -v[26:27]
	v_mul_f64 v[20:21], v[2:3], v[48:49]
	v_fma_f64 v[24:25], v[12:13], v[44:45], v[24:25]
	ds_read_b128 v[10:13], v1 offset:1968
	v_add_f64 v[18:19], v[18:19], v[28:29]
	s_waitcnt vmcnt(19) lgkmcnt(1)
	v_mul_f64 v[28:29], v[8:9], v[50:51]
	v_add_f64 v[14:15], v[14:15], v[16:17]
	s_waitcnt vmcnt(17)
	v_fma_f64 v[22:23], v[2:3], v[54:55], -v[22:23]
	v_mul_f64 v[16:17], v[6:7], v[50:51]
	;; [unrolled: 9-line block ×4, first 2 shown]
	v_fma_f64 v[12:13], v[12:13], v[62:63], v[24:25]
	s_waitcnt vmcnt(7) lgkmcnt(0)
	v_mul_f64 v[24:25], v[8:9], v[64:65]
	v_add_f64 v[18:19], v[18:19], v[28:29]
	s_waitcnt vmcnt(6)
	v_fma_f64 v[1:2], v[2:3], v[60:61], -v[22:23]
	v_add_f64 v[14:15], v[14:15], v[16:17]
	v_mul_f64 v[16:17], v[6:7], v[64:65]
	v_fma_f64 v[3:4], v[4:5], v[60:61], v[20:21]
	s_waitcnt vmcnt(4)
	v_fma_f64 v[5:6], v[6:7], v[66:67], -v[24:25]
	v_add_f64 v[10:11], v[18:19], v[10:11]
	v_add_f64 v[12:13], v[14:15], v[12:13]
	v_fma_f64 v[7:8], v[8:9], v[66:67], v[16:17]
	v_add_f64 v[1:2], v[10:11], v[1:2]
	v_add_f64 v[3:4], v[12:13], v[3:4]
	;; [unrolled: 1-line block ×4, first 2 shown]
	s_waitcnt vmcnt(2)
	v_add_f64 v[1:2], v[72:73], -v[1:2]
	s_waitcnt vmcnt(0)
	v_add_f64 v[3:4], v[76:77], -v[3:4]
	buffer_store_dword v2, off, s[0:3], 0 offset:788
	buffer_store_dword v1, off, s[0:3], 0 offset:784
	;; [unrolled: 1-line block ×4, first 2 shown]
	v_cmpx_lt_u32_e32 47, v0
	s_cbranch_execz .LBB62_309
; %bb.308:
	v_mov_b32_e32 v4, s29
	v_mov_b32_e32 v5, 0
	s_clause 0x3
	buffer_load_dword v1, v4, s[0:3], 0 offen
	buffer_load_dword v2, v4, s[0:3], 0 offen offset:4
	buffer_load_dword v3, v4, s[0:3], 0 offen offset:8
	;; [unrolled: 1-line block ×3, first 2 shown]
	buffer_store_dword v5, off, s[0:3], 0 offset:768
	buffer_store_dword v5, off, s[0:3], 0 offset:772
	;; [unrolled: 1-line block ×4, first 2 shown]
	s_waitcnt vmcnt(0)
	ds_write_b128 v69, v[1:4]
.LBB62_309:
	s_or_b32 exec_lo, exec_lo, s4
	s_waitcnt lgkmcnt(0)
	s_waitcnt_vscnt null, 0x0
	s_barrier
	buffer_gl0_inv
	s_clause 0x37
	buffer_load_dword v10, off, s[0:3], 0 offset:792
	buffer_load_dword v11, off, s[0:3], 0 offset:796
	;; [unrolled: 1-line block ×56, first 2 shown]
	v_mov_b32_e32 v1, 0
	s_mov_b32 s4, exec_lo
	ds_read_b128 v[2:5], v1 offset:1776
	s_clause 0x2
	buffer_load_dword v67, off, s[0:3], 0 offset:1020
	buffer_load_dword v73, off, s[0:3], 0 offset:996
	;; [unrolled: 1-line block ×3, first 2 shown]
	ds_read_b128 v[6:9], v1 offset:1792
	buffer_load_dword v71, off, s[0:3], 0 offset:1012
	s_waitcnt vmcnt(58) lgkmcnt(1)
	v_mul_f64 v[74:75], v[4:5], v[10:11]
	v_mul_f64 v[76:77], v[2:3], v[10:11]
	ds_read_b128 v[10:13], v1 offset:1808
	s_waitcnt vmcnt(56) lgkmcnt(1)
	v_mul_f64 v[78:79], v[8:9], v[14:15]
	v_mul_f64 v[14:15], v[6:7], v[14:15]
	s_waitcnt vmcnt(54)
	v_fma_f64 v[74:75], v[2:3], v[16:17], -v[74:75]
	v_fma_f64 v[16:17], v[4:5], v[16:17], v[76:77]
	s_waitcnt vmcnt(52) lgkmcnt(0)
	v_mul_f64 v[76:77], v[10:11], v[18:19]
	v_mul_f64 v[18:19], v[12:13], v[18:19]
	s_waitcnt vmcnt(50)
	v_fma_f64 v[78:79], v[6:7], v[20:21], -v[78:79]
	ds_read_b128 v[2:5], v1 offset:1824
	v_fma_f64 v[14:15], v[8:9], v[20:21], v[14:15]
	s_clause 0x3
	buffer_load_dword v20, off, s[0:3], 0 offset:768
	buffer_load_dword v21, off, s[0:3], 0 offset:772
	;; [unrolled: 1-line block ×4, first 2 shown]
	ds_read_b128 v[6:9], v1 offset:1840
	v_add_f64 v[74:75], v[74:75], 0
	v_add_f64 v[16:17], v[16:17], 0
	s_waitcnt vmcnt(50) lgkmcnt(1)
	v_mul_f64 v[82:83], v[2:3], v[22:23]
	v_mul_f64 v[22:23], v[4:5], v[22:23]
	s_waitcnt vmcnt(48)
	v_fma_f64 v[18:19], v[10:11], v[28:29], -v[18:19]
	v_fma_f64 v[28:29], v[12:13], v[28:29], v[76:77]
	ds_read_b128 v[10:13], v1 offset:1856
	v_add_f64 v[74:75], v[74:75], v[78:79]
	v_add_f64 v[14:15], v[16:17], v[14:15]
	s_waitcnt vmcnt(47) lgkmcnt(1)
	v_mul_f64 v[16:17], v[6:7], v[24:25]
	v_mul_f64 v[24:25], v[8:9], v[24:25]
	s_waitcnt vmcnt(45)
	v_fma_f64 v[22:23], v[2:3], v[30:31], -v[22:23]
	v_fma_f64 v[30:31], v[4:5], v[30:31], v[82:83]
	;; [unrolled: 9-line block ×3, first 2 shown]
	ds_read_b128 v[6:9], v1 offset:1888
	s_waitcnt vmcnt(39) lgkmcnt(1)
	v_mul_f64 v[26:27], v[4:5], v[34:35]
	v_add_f64 v[18:19], v[18:19], v[22:23]
	v_add_f64 v[14:15], v[14:15], v[30:31]
	v_mul_f64 v[22:23], v[2:3], v[34:35]
	s_waitcnt vmcnt(37)
	v_fma_f64 v[30:31], v[10:11], v[38:39], -v[32:33]
	s_waitcnt vmcnt(32)
	v_fma_f64 v[26:27], v[2:3], v[36:37], -v[26:27]
	v_add_f64 v[18:19], v[18:19], v[24:25]
	v_fma_f64 v[24:25], v[12:13], v[38:39], v[28:29]
	v_add_f64 v[14:15], v[14:15], v[16:17]
	s_waitcnt lgkmcnt(0)
	v_mul_f64 v[28:29], v[8:9], v[40:41]
	ds_read_b128 v[10:13], v1 offset:1904
	v_mul_f64 v[16:17], v[6:7], v[40:41]
	v_fma_f64 v[22:23], v[4:5], v[36:37], v[22:23]
	ds_read_b128 v[2:5], v1 offset:1920
	v_add_f64 v[18:19], v[18:19], v[30:31]
	v_add_f64 v[14:15], v[14:15], v[24:25]
	s_waitcnt vmcnt(31) lgkmcnt(1)
	v_mul_f64 v[30:31], v[12:13], v[42:43]
	s_waitcnt vmcnt(29)
	v_fma_f64 v[28:29], v[6:7], v[46:47], -v[28:29]
	v_mul_f64 v[24:25], v[10:11], v[42:43]
	v_fma_f64 v[16:17], v[8:9], v[46:47], v[16:17]
	ds_read_b128 v[6:9], v1 offset:1936
	v_add_f64 v[18:19], v[18:19], v[26:27]
	s_waitcnt vmcnt(25) lgkmcnt(1)
	v_mul_f64 v[26:27], v[4:5], v[48:49]
	v_add_f64 v[14:15], v[14:15], v[22:23]
	s_waitcnt vmcnt(24)
	v_fma_f64 v[30:31], v[10:11], v[44:45], -v[30:31]
	v_mul_f64 v[22:23], v[2:3], v[48:49]
	v_fma_f64 v[24:25], v[12:13], v[44:45], v[24:25]
	ds_read_b128 v[10:13], v1 offset:1952
	v_add_f64 v[18:19], v[18:19], v[28:29]
	s_waitcnt vmcnt(23) lgkmcnt(1)
	v_mul_f64 v[28:29], v[8:9], v[50:51]
	v_add_f64 v[14:15], v[14:15], v[16:17]
	s_waitcnt vmcnt(21)
	v_fma_f64 v[26:27], v[2:3], v[54:55], -v[26:27]
	v_mul_f64 v[16:17], v[6:7], v[50:51]
	v_fma_f64 v[22:23], v[4:5], v[54:55], v[22:23]
	ds_read_b128 v[2:5], v1 offset:1968
	v_add_f64 v[18:19], v[18:19], v[30:31]
	s_waitcnt vmcnt(17) lgkmcnt(1)
	v_mul_f64 v[30:31], v[12:13], v[56:57]
	v_add_f64 v[14:15], v[14:15], v[24:25]
	s_waitcnt vmcnt(16)
	v_fma_f64 v[28:29], v[6:7], v[52:53], -v[28:29]
	v_mul_f64 v[24:25], v[10:11], v[56:57]
	v_fma_f64 v[16:17], v[8:9], v[52:53], v[16:17]
	ds_read_b128 v[6:9], v1 offset:1984
	v_add_f64 v[18:19], v[18:19], v[26:27]
	s_waitcnt vmcnt(15) lgkmcnt(1)
	v_mul_f64 v[26:27], v[4:5], v[58:59]
	v_add_f64 v[14:15], v[14:15], v[22:23]
	s_waitcnt vmcnt(13)
	v_fma_f64 v[30:31], v[10:11], v[62:63], -v[30:31]
	v_mul_f64 v[22:23], v[2:3], v[58:59]
	v_fma_f64 v[24:25], v[12:13], v[62:63], v[24:25]
	ds_read_b128 v[10:13], v1 offset:2000
	v_add_f64 v[18:19], v[18:19], v[28:29]
	s_waitcnt vmcnt(9) lgkmcnt(1)
	v_mul_f64 v[28:29], v[8:9], v[64:65]
	v_add_f64 v[14:15], v[14:15], v[16:17]
	s_waitcnt vmcnt(8)
	v_fma_f64 v[2:3], v[2:3], v[60:61], -v[26:27]
	v_mul_f64 v[16:17], v[6:7], v[64:65]
	v_fma_f64 v[4:5], v[4:5], v[60:61], v[22:23]
	s_waitcnt vmcnt(7) lgkmcnt(0)
	v_mul_f64 v[22:23], v[10:11], v[66:67]
	v_add_f64 v[18:19], v[18:19], v[30:31]
	s_waitcnt vmcnt(5)
	v_fma_f64 v[6:7], v[6:7], v[72:73], -v[28:29]
	v_add_f64 v[14:15], v[14:15], v[24:25]
	v_mul_f64 v[24:25], v[12:13], v[66:67]
	v_fma_f64 v[8:9], v[8:9], v[72:73], v[16:17]
	v_add_f64 v[2:3], v[18:19], v[2:3]
	v_add_f64 v[4:5], v[14:15], v[4:5]
	s_waitcnt vmcnt(4)
	v_fma_f64 v[10:11], v[10:11], v[70:71], -v[24:25]
	v_add_f64 v[2:3], v[2:3], v[6:7]
	v_fma_f64 v[6:7], v[12:13], v[70:71], v[22:23]
	v_add_f64 v[4:5], v[4:5], v[8:9]
	v_add_f64 v[2:3], v[2:3], v[10:11]
	;; [unrolled: 1-line block ×3, first 2 shown]
	s_waitcnt vmcnt(2)
	v_add_f64 v[2:3], v[20:21], -v[2:3]
	s_waitcnt vmcnt(0)
	v_add_f64 v[4:5], v[80:81], -v[4:5]
	buffer_store_dword v3, off, s[0:3], 0 offset:772
	buffer_store_dword v2, off, s[0:3], 0 offset:768
	;; [unrolled: 1-line block ×4, first 2 shown]
	v_cmpx_lt_u32_e32 46, v0
	s_cbranch_execz .LBB62_311
; %bb.310:
	v_mov_b32_e32 v5, s30
	s_clause 0x3
	buffer_load_dword v2, v5, s[0:3], 0 offen
	buffer_load_dword v3, v5, s[0:3], 0 offen offset:4
	buffer_load_dword v4, v5, s[0:3], 0 offen offset:8
	;; [unrolled: 1-line block ×3, first 2 shown]
	buffer_store_dword v1, off, s[0:3], 0 offset:752
	buffer_store_dword v1, off, s[0:3], 0 offset:756
	;; [unrolled: 1-line block ×4, first 2 shown]
	s_waitcnt vmcnt(0)
	ds_write_b128 v69, v[2:5]
.LBB62_311:
	s_or_b32 exec_lo, exec_lo, s4
	s_waitcnt lgkmcnt(0)
	s_waitcnt_vscnt null, 0x0
	s_barrier
	buffer_gl0_inv
	s_clause 0x37
	buffer_load_dword v10, off, s[0:3], 0 offset:776
	buffer_load_dword v11, off, s[0:3], 0 offset:780
	;; [unrolled: 1-line block ×56, first 2 shown]
	ds_read_b128 v[2:5], v1 offset:1760
	s_clause 0x2
	buffer_load_dword v67, off, s[0:3], 0 offset:1004
	buffer_load_dword v73, off, s[0:3], 0 offset:980
	;; [unrolled: 1-line block ×3, first 2 shown]
	ds_read_b128 v[6:9], v1 offset:1776
	s_clause 0x2
	buffer_load_dword v79, off, s[0:3], 0 offset:1020
	buffer_load_dword v78, off, s[0:3], 0 offset:1016
	buffer_load_dword v71, off, s[0:3], 0 offset:996
	s_mov_b32 s4, exec_lo
	s_waitcnt vmcnt(60) lgkmcnt(1)
	v_mul_f64 v[74:75], v[4:5], v[10:11]
	v_mul_f64 v[76:77], v[2:3], v[10:11]
	s_waitcnt vmcnt(58) lgkmcnt(0)
	v_mul_f64 v[80:81], v[8:9], v[14:15]
	ds_read_b128 v[10:13], v1 offset:1792
	v_mul_f64 v[14:15], v[6:7], v[14:15]
	s_waitcnt vmcnt(56)
	v_fma_f64 v[74:75], v[2:3], v[16:17], -v[74:75]
	v_fma_f64 v[16:17], v[4:5], v[16:17], v[76:77]
	s_clause 0x1
	buffer_load_dword v77, off, s[0:3], 0 offset:1012
	buffer_load_dword v76, off, s[0:3], 0 offset:1008
	s_waitcnt vmcnt(56) lgkmcnt(0)
	v_mul_f64 v[82:83], v[10:11], v[18:19]
	v_mul_f64 v[18:19], v[12:13], v[18:19]
	s_waitcnt vmcnt(54)
	v_fma_f64 v[80:81], v[6:7], v[20:21], -v[80:81]
	ds_read_b128 v[2:5], v1 offset:1808
	v_fma_f64 v[14:15], v[8:9], v[20:21], v[14:15]
	ds_read_b128 v[6:9], v1 offset:1824
	v_add_f64 v[74:75], v[74:75], 0
	v_add_f64 v[16:17], v[16:17], 0
	s_waitcnt vmcnt(50) lgkmcnt(1)
	v_mul_f64 v[20:21], v[2:3], v[22:23]
	v_mul_f64 v[22:23], v[4:5], v[22:23]
	s_waitcnt vmcnt(48)
	v_fma_f64 v[18:19], v[10:11], v[28:29], -v[18:19]
	v_fma_f64 v[28:29], v[12:13], v[28:29], v[82:83]
	s_waitcnt vmcnt(47) lgkmcnt(0)
	v_mul_f64 v[82:83], v[6:7], v[24:25]
	v_mul_f64 v[24:25], v[8:9], v[24:25]
	v_add_f64 v[74:75], v[74:75], v[80:81]
	v_add_f64 v[14:15], v[16:17], v[14:15]
	s_clause 0x3
	buffer_load_dword v16, off, s[0:3], 0 offset:752
	buffer_load_dword v17, off, s[0:3], 0 offset:756
	;; [unrolled: 1-line block ×4, first 2 shown]
	ds_read_b128 v[10:13], v1 offset:1840
	s_waitcnt vmcnt(49)
	v_fma_f64 v[20:21], v[4:5], v[30:31], v[20:21]
	v_fma_f64 v[22:23], v[2:3], v[30:31], -v[22:23]
	ds_read_b128 v[2:5], v1 offset:1856
	s_waitcnt vmcnt(44)
	v_fma_f64 v[24:25], v[6:7], v[26:27], -v[24:25]
	v_add_f64 v[18:19], v[74:75], v[18:19]
	v_add_f64 v[14:15], v[14:15], v[28:29]
	s_waitcnt lgkmcnt(1)
	v_mul_f64 v[30:31], v[12:13], v[32:33]
	v_mul_f64 v[28:29], v[10:11], v[32:33]
	v_add_f64 v[18:19], v[18:19], v[22:23]
	v_fma_f64 v[22:23], v[8:9], v[26:27], v[82:83]
	v_add_f64 v[14:15], v[14:15], v[20:21]
	s_waitcnt vmcnt(43) lgkmcnt(0)
	v_mul_f64 v[26:27], v[4:5], v[34:35]
	s_waitcnt vmcnt(41)
	v_fma_f64 v[30:31], v[10:11], v[38:39], -v[30:31]
	ds_read_b128 v[6:9], v1 offset:1872
	v_mul_f64 v[20:21], v[2:3], v[34:35]
	v_add_f64 v[18:19], v[18:19], v[24:25]
	v_fma_f64 v[24:25], v[12:13], v[38:39], v[28:29]
	v_add_f64 v[14:15], v[14:15], v[22:23]
	ds_read_b128 v[10:13], v1 offset:1888
	s_waitcnt vmcnt(37) lgkmcnt(1)
	v_mul_f64 v[28:29], v[8:9], v[40:41]
	s_waitcnt vmcnt(36)
	v_fma_f64 v[26:27], v[2:3], v[36:37], -v[26:27]
	v_mul_f64 v[22:23], v[6:7], v[40:41]
	v_fma_f64 v[20:21], v[4:5], v[36:37], v[20:21]
	ds_read_b128 v[2:5], v1 offset:1904
	v_add_f64 v[18:19], v[18:19], v[30:31]
	s_waitcnt vmcnt(35) lgkmcnt(1)
	v_mul_f64 v[30:31], v[12:13], v[42:43]
	v_add_f64 v[14:15], v[14:15], v[24:25]
	v_mul_f64 v[24:25], v[10:11], v[42:43]
	s_waitcnt vmcnt(33)
	v_fma_f64 v[28:29], v[6:7], v[46:47], -v[28:29]
	v_fma_f64 v[22:23], v[8:9], v[46:47], v[22:23]
	ds_read_b128 v[6:9], v1 offset:1920
	v_add_f64 v[18:19], v[18:19], v[26:27]
	s_waitcnt vmcnt(29) lgkmcnt(1)
	v_mul_f64 v[26:27], v[4:5], v[48:49]
	v_add_f64 v[14:15], v[14:15], v[20:21]
	s_waitcnt vmcnt(28)
	v_fma_f64 v[30:31], v[10:11], v[44:45], -v[30:31]
	v_mul_f64 v[20:21], v[2:3], v[48:49]
	v_fma_f64 v[24:25], v[12:13], v[44:45], v[24:25]
	ds_read_b128 v[10:13], v1 offset:1936
	v_add_f64 v[18:19], v[18:19], v[28:29]
	s_waitcnt vmcnt(27) lgkmcnt(1)
	v_mul_f64 v[28:29], v[8:9], v[50:51]
	v_add_f64 v[14:15], v[14:15], v[22:23]
	s_waitcnt vmcnt(25)
	v_fma_f64 v[26:27], v[2:3], v[54:55], -v[26:27]
	v_mul_f64 v[22:23], v[6:7], v[50:51]
	;; [unrolled: 9-line block ×6, first 2 shown]
	v_fma_f64 v[7:8], v[8:9], v[72:73], v[22:23]
	s_waitcnt vmcnt(7) lgkmcnt(0)
	v_mul_f64 v[22:23], v[3:4], v[78:79]
	v_add_f64 v[18:19], v[18:19], v[26:27]
	s_waitcnt vmcnt(6)
	v_fma_f64 v[9:10], v[10:11], v[70:71], -v[30:31]
	v_add_f64 v[14:15], v[14:15], v[20:21]
	v_mul_f64 v[20:21], v[1:2], v[78:79]
	v_fma_f64 v[11:12], v[12:13], v[70:71], v[24:25]
	v_add_f64 v[5:6], v[18:19], v[5:6]
	v_add_f64 v[7:8], v[14:15], v[7:8]
	s_waitcnt vmcnt(4)
	v_fma_f64 v[1:2], v[1:2], v[76:77], -v[22:23]
	v_fma_f64 v[3:4], v[3:4], v[76:77], v[20:21]
	v_add_f64 v[5:6], v[5:6], v[9:10]
	v_add_f64 v[7:8], v[7:8], v[11:12]
	;; [unrolled: 1-line block ×4, first 2 shown]
	s_waitcnt vmcnt(2)
	v_add_f64 v[1:2], v[16:17], -v[1:2]
	s_waitcnt vmcnt(0)
	v_add_f64 v[3:4], v[80:81], -v[3:4]
	buffer_store_dword v2, off, s[0:3], 0 offset:756
	buffer_store_dword v1, off, s[0:3], 0 offset:752
	;; [unrolled: 1-line block ×4, first 2 shown]
	v_cmpx_lt_u32_e32 45, v0
	s_cbranch_execz .LBB62_313
; %bb.312:
	v_mov_b32_e32 v4, s31
	v_mov_b32_e32 v5, 0
	s_clause 0x3
	buffer_load_dword v1, v4, s[0:3], 0 offen
	buffer_load_dword v2, v4, s[0:3], 0 offen offset:4
	buffer_load_dword v3, v4, s[0:3], 0 offen offset:8
	buffer_load_dword v4, v4, s[0:3], 0 offen offset:12
	buffer_store_dword v5, off, s[0:3], 0 offset:736
	buffer_store_dword v5, off, s[0:3], 0 offset:740
	buffer_store_dword v5, off, s[0:3], 0 offset:744
	buffer_store_dword v5, off, s[0:3], 0 offset:748
	s_waitcnt vmcnt(0)
	ds_write_b128 v69, v[1:4]
.LBB62_313:
	s_or_b32 exec_lo, exec_lo, s4
	s_waitcnt lgkmcnt(0)
	s_waitcnt_vscnt null, 0x0
	s_barrier
	buffer_gl0_inv
	s_clause 0x37
	buffer_load_dword v10, off, s[0:3], 0 offset:760
	buffer_load_dword v11, off, s[0:3], 0 offset:764
	;; [unrolled: 1-line block ×56, first 2 shown]
	v_mov_b32_e32 v1, 0
	s_mov_b32 s4, exec_lo
	ds_read_b128 v[2:5], v1 offset:1744
	s_clause 0x2
	buffer_load_dword v67, off, s[0:3], 0 offset:988
	buffer_load_dword v73, off, s[0:3], 0 offset:964
	;; [unrolled: 1-line block ×3, first 2 shown]
	ds_read_b128 v[6:9], v1 offset:1760
	s_clause 0x4
	buffer_load_dword v79, off, s[0:3], 0 offset:1004
	buffer_load_dword v80, off, s[0:3], 0 offset:1016
	;; [unrolled: 1-line block ×5, first 2 shown]
	s_waitcnt vmcnt(62) lgkmcnt(1)
	v_mul_f64 v[74:75], v[4:5], v[10:11]
	v_mul_f64 v[76:77], v[2:3], v[10:11]
	s_waitcnt vmcnt(60) lgkmcnt(0)
	v_mul_f64 v[83:84], v[8:9], v[14:15]
	ds_read_b128 v[10:13], v1 offset:1776
	v_mul_f64 v[14:15], v[6:7], v[14:15]
	s_waitcnt vmcnt(58)
	v_fma_f64 v[74:75], v[2:3], v[16:17], -v[74:75]
	v_fma_f64 v[16:17], v[4:5], v[16:17], v[76:77]
	s_clause 0x2
	buffer_load_dword v81, off, s[0:3], 0 offset:1020
	buffer_load_dword v77, off, s[0:3], 0 offset:996
	;; [unrolled: 1-line block ×3, first 2 shown]
	s_waitcnt vmcnt(59) lgkmcnt(0)
	v_mul_f64 v[117:118], v[10:11], v[18:19]
	v_mul_f64 v[18:19], v[12:13], v[18:19]
	s_waitcnt vmcnt(57)
	v_fma_f64 v[119:120], v[6:7], v[20:21], -v[83:84]
	ds_read_b128 v[2:5], v1 offset:1792
	v_fma_f64 v[14:15], v[8:9], v[20:21], v[14:15]
	buffer_load_dword v83, off, s[0:3], 0 offset:1012
	ds_read_b128 v[6:9], v1 offset:1808
	v_add_f64 v[74:75], v[74:75], 0
	v_add_f64 v[16:17], v[16:17], 0
	s_waitcnt vmcnt(54) lgkmcnt(1)
	v_mul_f64 v[20:21], v[2:3], v[22:23]
	v_mul_f64 v[22:23], v[4:5], v[22:23]
	s_waitcnt vmcnt(52)
	v_fma_f64 v[18:19], v[10:11], v[28:29], -v[18:19]
	v_fma_f64 v[28:29], v[12:13], v[28:29], v[117:118]
	ds_read_b128 v[10:13], v1 offset:1824
	v_add_f64 v[74:75], v[74:75], v[119:120]
	v_add_f64 v[14:15], v[16:17], v[14:15]
	s_waitcnt vmcnt(51) lgkmcnt(1)
	v_mul_f64 v[16:17], v[6:7], v[24:25]
	v_mul_f64 v[24:25], v[8:9], v[24:25]
	s_waitcnt vmcnt(49)
	v_fma_f64 v[20:21], v[4:5], v[30:31], v[20:21]
	v_fma_f64 v[22:23], v[2:3], v[30:31], -v[22:23]
	v_add_f64 v[18:19], v[74:75], v[18:19]
	v_add_f64 v[14:15], v[14:15], v[28:29]
	s_clause 0x3
	buffer_load_dword v28, off, s[0:3], 0 offset:736
	buffer_load_dword v29, off, s[0:3], 0 offset:740
	;; [unrolled: 1-line block ×4, first 2 shown]
	s_waitcnt vmcnt(49) lgkmcnt(0)
	v_mul_f64 v[74:75], v[10:11], v[32:33]
	v_mul_f64 v[32:33], v[12:13], v[32:33]
	s_waitcnt vmcnt(48)
	v_fma_f64 v[24:25], v[6:7], v[26:27], -v[24:25]
	ds_read_b128 v[2:5], v1 offset:1840
	v_fma_f64 v[16:17], v[8:9], v[26:27], v[16:17]
	ds_read_b128 v[6:9], v1 offset:1856
	v_add_f64 v[18:19], v[18:19], v[22:23]
	v_add_f64 v[14:15], v[14:15], v[20:21]
	s_waitcnt vmcnt(47) lgkmcnt(1)
	v_mul_f64 v[22:23], v[4:5], v[34:35]
	s_waitcnt vmcnt(45)
	v_fma_f64 v[26:27], v[10:11], v[38:39], -v[32:33]
	v_mul_f64 v[20:21], v[2:3], v[34:35]
	s_waitcnt vmcnt(41) lgkmcnt(0)
	v_mul_f64 v[32:33], v[8:9], v[40:41]
	v_add_f64 v[18:19], v[18:19], v[24:25]
	v_fma_f64 v[24:25], v[12:13], v[38:39], v[74:75]
	v_add_f64 v[14:15], v[14:15], v[16:17]
	ds_read_b128 v[10:13], v1 offset:1872
	s_waitcnt vmcnt(40)
	v_fma_f64 v[22:23], v[2:3], v[36:37], -v[22:23]
	v_mul_f64 v[16:17], v[6:7], v[40:41]
	v_fma_f64 v[20:21], v[4:5], v[36:37], v[20:21]
	ds_read_b128 v[2:5], v1 offset:1888
	s_waitcnt vmcnt(37)
	v_fma_f64 v[32:33], v[6:7], v[46:47], -v[32:33]
	v_add_f64 v[18:19], v[18:19], v[26:27]
	s_waitcnt lgkmcnt(1)
	v_mul_f64 v[26:27], v[12:13], v[42:43]
	v_add_f64 v[14:15], v[14:15], v[24:25]
	v_mul_f64 v[24:25], v[10:11], v[42:43]
	v_fma_f64 v[16:17], v[8:9], v[46:47], v[16:17]
	ds_read_b128 v[6:9], v1 offset:1904
	v_add_f64 v[18:19], v[18:19], v[22:23]
	s_waitcnt vmcnt(33) lgkmcnt(1)
	v_mul_f64 v[22:23], v[4:5], v[48:49]
	v_add_f64 v[14:15], v[14:15], v[20:21]
	s_waitcnt vmcnt(32)
	v_fma_f64 v[26:27], v[10:11], v[44:45], -v[26:27]
	v_mul_f64 v[20:21], v[2:3], v[48:49]
	v_fma_f64 v[24:25], v[12:13], v[44:45], v[24:25]
	ds_read_b128 v[10:13], v1 offset:1920
	v_add_f64 v[18:19], v[18:19], v[32:33]
	s_waitcnt vmcnt(31) lgkmcnt(1)
	v_mul_f64 v[32:33], v[8:9], v[50:51]
	v_add_f64 v[14:15], v[14:15], v[16:17]
	s_waitcnt vmcnt(29)
	v_fma_f64 v[22:23], v[2:3], v[54:55], -v[22:23]
	;; [unrolled: 9-line block ×7, first 2 shown]
	v_mul_f64 v[20:21], v[2:3], v[78:79]
	v_fma_f64 v[12:13], v[12:13], v[70:71], v[24:25]
	v_add_f64 v[18:19], v[18:19], v[32:33]
	v_add_f64 v[14:15], v[14:15], v[16:17]
	s_waitcnt vmcnt(7) lgkmcnt(0)
	v_mul_f64 v[24:25], v[8:9], v[80:81]
	v_mul_f64 v[16:17], v[6:7], v[80:81]
	s_waitcnt vmcnt(5)
	v_fma_f64 v[2:3], v[2:3], v[76:77], -v[22:23]
	v_fma_f64 v[4:5], v[4:5], v[76:77], v[20:21]
	v_add_f64 v[10:11], v[18:19], v[10:11]
	v_add_f64 v[12:13], v[14:15], v[12:13]
	s_waitcnt vmcnt(4)
	v_fma_f64 v[6:7], v[6:7], v[82:83], -v[24:25]
	v_fma_f64 v[8:9], v[8:9], v[82:83], v[16:17]
	v_add_f64 v[2:3], v[10:11], v[2:3]
	v_add_f64 v[4:5], v[12:13], v[4:5]
	;; [unrolled: 1-line block ×4, first 2 shown]
	s_waitcnt vmcnt(2)
	v_add_f64 v[2:3], v[28:29], -v[2:3]
	s_waitcnt vmcnt(0)
	v_add_f64 v[4:5], v[30:31], -v[4:5]
	buffer_store_dword v3, off, s[0:3], 0 offset:740
	buffer_store_dword v2, off, s[0:3], 0 offset:736
	;; [unrolled: 1-line block ×4, first 2 shown]
	v_cmpx_lt_u32_e32 44, v0
	s_cbranch_execz .LBB62_315
; %bb.314:
	v_mov_b32_e32 v5, s33
	s_clause 0x3
	buffer_load_dword v2, v5, s[0:3], 0 offen
	buffer_load_dword v3, v5, s[0:3], 0 offen offset:4
	buffer_load_dword v4, v5, s[0:3], 0 offen offset:8
	;; [unrolled: 1-line block ×3, first 2 shown]
	buffer_store_dword v1, off, s[0:3], 0 offset:720
	buffer_store_dword v1, off, s[0:3], 0 offset:724
	;; [unrolled: 1-line block ×4, first 2 shown]
	s_waitcnt vmcnt(0)
	ds_write_b128 v69, v[2:5]
.LBB62_315:
	s_or_b32 exec_lo, exec_lo, s4
	s_waitcnt lgkmcnt(0)
	s_waitcnt_vscnt null, 0x0
	s_barrier
	buffer_gl0_inv
	s_clause 0x37
	buffer_load_dword v10, off, s[0:3], 0 offset:744
	buffer_load_dword v11, off, s[0:3], 0 offset:748
	;; [unrolled: 1-line block ×56, first 2 shown]
	ds_read_b128 v[2:5], v1 offset:1728
	s_clause 0x2
	buffer_load_dword v67, off, s[0:3], 0 offset:972
	buffer_load_dword v73, off, s[0:3], 0 offset:948
	;; [unrolled: 1-line block ×3, first 2 shown]
	ds_read_b128 v[6:9], v1 offset:1744
	s_clause 0x4
	buffer_load_dword v79, off, s[0:3], 0 offset:988
	buffer_load_dword v80, off, s[0:3], 0 offset:1000
	;; [unrolled: 1-line block ×5, first 2 shown]
	s_mov_b32 s4, exec_lo
	s_waitcnt vmcnt(62) lgkmcnt(1)
	v_mul_f64 v[74:75], v[4:5], v[10:11]
	v_mul_f64 v[76:77], v[2:3], v[10:11]
	s_waitcnt vmcnt(60) lgkmcnt(0)
	v_mul_f64 v[83:84], v[8:9], v[14:15]
	ds_read_b128 v[10:13], v1 offset:1760
	v_mul_f64 v[14:15], v[6:7], v[14:15]
	s_waitcnt vmcnt(58)
	v_fma_f64 v[74:75], v[2:3], v[16:17], -v[74:75]
	v_fma_f64 v[16:17], v[4:5], v[16:17], v[76:77]
	s_clause 0x2
	buffer_load_dword v81, off, s[0:3], 0 offset:1004
	buffer_load_dword v77, off, s[0:3], 0 offset:980
	;; [unrolled: 1-line block ×3, first 2 shown]
	s_waitcnt vmcnt(59) lgkmcnt(0)
	v_mul_f64 v[117:118], v[10:11], v[18:19]
	v_mul_f64 v[18:19], v[12:13], v[18:19]
	s_waitcnt vmcnt(57)
	v_fma_f64 v[119:120], v[6:7], v[20:21], -v[83:84]
	ds_read_b128 v[2:5], v1 offset:1776
	v_fma_f64 v[14:15], v[8:9], v[20:21], v[14:15]
	s_clause 0x2
	buffer_load_dword v21, off, s[0:3], 0 offset:1020
	buffer_load_dword v20, off, s[0:3], 0 offset:1016
	;; [unrolled: 1-line block ×3, first 2 shown]
	ds_read_b128 v[6:9], v1 offset:1792
	v_add_f64 v[74:75], v[74:75], 0
	v_add_f64 v[16:17], v[16:17], 0
	s_waitcnt vmcnt(56) lgkmcnt(1)
	v_mul_f64 v[125:126], v[2:3], v[22:23]
	v_mul_f64 v[22:23], v[4:5], v[22:23]
	s_waitcnt vmcnt(54)
	v_fma_f64 v[18:19], v[10:11], v[28:29], -v[18:19]
	v_fma_f64 v[28:29], v[12:13], v[28:29], v[117:118]
	s_waitcnt vmcnt(53) lgkmcnt(0)
	v_mul_f64 v[117:118], v[6:7], v[24:25]
	v_mul_f64 v[24:25], v[8:9], v[24:25]
	v_add_f64 v[74:75], v[74:75], v[119:120]
	v_add_f64 v[14:15], v[16:17], v[14:15]
	s_clause 0x1
	buffer_load_dword v17, off, s[0:3], 0 offset:1012
	buffer_load_dword v16, off, s[0:3], 0 offset:1008
	ds_read_b128 v[10:13], v1 offset:1808
	s_waitcnt vmcnt(53)
	v_fma_f64 v[22:23], v[2:3], v[30:31], -v[22:23]
	v_fma_f64 v[30:31], v[4:5], v[30:31], v[125:126]
	ds_read_b128 v[2:5], v1 offset:1824
	s_waitcnt vmcnt(48)
	v_fma_f64 v[24:25], v[6:7], v[26:27], -v[24:25]
	v_add_f64 v[18:19], v[74:75], v[18:19]
	v_add_f64 v[14:15], v[14:15], v[28:29]
	s_waitcnt lgkmcnt(1)
	v_mul_f64 v[28:29], v[10:11], v[32:33]
	v_mul_f64 v[32:33], v[12:13], v[32:33]
	s_waitcnt vmcnt(47) lgkmcnt(0)
	v_mul_f64 v[74:75], v[2:3], v[34:35]
	v_mul_f64 v[34:35], v[4:5], v[34:35]
	v_add_f64 v[18:19], v[18:19], v[22:23]
	v_fma_f64 v[22:23], v[8:9], v[26:27], v[117:118]
	v_add_f64 v[14:15], v[14:15], v[30:31]
	s_clause 0x3
	buffer_load_dword v26, off, s[0:3], 0 offset:720
	buffer_load_dword v27, off, s[0:3], 0 offset:724
	;; [unrolled: 1-line block ×4, first 2 shown]
	s_waitcnt vmcnt(49)
	v_fma_f64 v[32:33], v[10:11], v[38:39], -v[32:33]
	ds_read_b128 v[6:9], v1 offset:1840
	s_waitcnt vmcnt(44)
	v_fma_f64 v[34:35], v[2:3], v[36:37], -v[34:35]
	v_add_f64 v[18:19], v[18:19], v[24:25]
	v_fma_f64 v[24:25], v[12:13], v[38:39], v[28:29]
	v_add_f64 v[14:15], v[14:15], v[22:23]
	ds_read_b128 v[10:13], v1 offset:1856
	s_waitcnt lgkmcnt(1)
	v_mul_f64 v[28:29], v[8:9], v[40:41]
	v_mul_f64 v[22:23], v[6:7], v[40:41]
	v_add_f64 v[18:19], v[18:19], v[32:33]
	v_fma_f64 v[32:33], v[4:5], v[36:37], v[74:75]
	v_add_f64 v[14:15], v[14:15], v[24:25]
	s_waitcnt vmcnt(43) lgkmcnt(0)
	v_mul_f64 v[36:37], v[12:13], v[42:43]
	s_waitcnt vmcnt(41)
	v_fma_f64 v[28:29], v[6:7], v[46:47], -v[28:29]
	ds_read_b128 v[2:5], v1 offset:1872
	v_mul_f64 v[24:25], v[10:11], v[42:43]
	v_fma_f64 v[22:23], v[8:9], v[46:47], v[22:23]
	ds_read_b128 v[6:9], v1 offset:1888
	v_add_f64 v[18:19], v[18:19], v[34:35]
	v_add_f64 v[14:15], v[14:15], v[32:33]
	s_waitcnt vmcnt(37) lgkmcnt(1)
	v_mul_f64 v[34:35], v[4:5], v[48:49]
	s_waitcnt vmcnt(36)
	v_fma_f64 v[36:37], v[10:11], v[44:45], -v[36:37]
	v_mul_f64 v[32:33], v[2:3], v[48:49]
	v_fma_f64 v[24:25], v[12:13], v[44:45], v[24:25]
	ds_read_b128 v[10:13], v1 offset:1904
	v_add_f64 v[18:19], v[18:19], v[28:29]
	s_waitcnt vmcnt(35) lgkmcnt(1)
	v_mul_f64 v[28:29], v[8:9], v[50:51]
	v_add_f64 v[14:15], v[14:15], v[22:23]
	s_waitcnt vmcnt(33)
	v_fma_f64 v[34:35], v[2:3], v[54:55], -v[34:35]
	v_mul_f64 v[22:23], v[6:7], v[50:51]
	v_fma_f64 v[32:33], v[4:5], v[54:55], v[32:33]
	ds_read_b128 v[2:5], v1 offset:1920
	v_add_f64 v[18:19], v[18:19], v[36:37]
	s_waitcnt vmcnt(29) lgkmcnt(1)
	v_mul_f64 v[36:37], v[12:13], v[56:57]
	v_add_f64 v[14:15], v[14:15], v[24:25]
	;; [unrolled: 9-line block ×6, first 2 shown]
	s_waitcnt vmcnt(12)
	v_fma_f64 v[36:37], v[10:11], v[70:71], -v[36:37]
	v_mul_f64 v[32:33], v[2:3], v[78:79]
	v_fma_f64 v[24:25], v[12:13], v[70:71], v[24:25]
	ds_read_b128 v[10:13], v1 offset:2000
	v_add_f64 v[18:19], v[18:19], v[28:29]
	v_add_f64 v[14:15], v[14:15], v[22:23]
	s_waitcnt vmcnt(11) lgkmcnt(1)
	v_mul_f64 v[28:29], v[8:9], v[80:81]
	v_mul_f64 v[22:23], v[6:7], v[80:81]
	s_waitcnt vmcnt(9)
	v_fma_f64 v[1:2], v[2:3], v[76:77], -v[34:35]
	v_fma_f64 v[3:4], v[4:5], v[76:77], v[32:33]
	v_add_f64 v[18:19], v[18:19], v[36:37]
	v_add_f64 v[14:15], v[14:15], v[24:25]
	s_waitcnt vmcnt(7) lgkmcnt(0)
	v_mul_f64 v[24:25], v[10:11], v[20:21]
	v_mul_f64 v[20:21], v[12:13], v[20:21]
	s_waitcnt vmcnt(6)
	v_fma_f64 v[5:6], v[6:7], v[82:83], -v[28:29]
	v_fma_f64 v[7:8], v[8:9], v[82:83], v[22:23]
	v_add_f64 v[1:2], v[18:19], v[1:2]
	v_add_f64 v[3:4], v[14:15], v[3:4]
	s_waitcnt vmcnt(4)
	v_fma_f64 v[9:10], v[10:11], v[16:17], -v[20:21]
	v_add_f64 v[1:2], v[1:2], v[5:6]
	v_fma_f64 v[5:6], v[12:13], v[16:17], v[24:25]
	v_add_f64 v[3:4], v[3:4], v[7:8]
	v_add_f64 v[1:2], v[1:2], v[9:10]
	;; [unrolled: 1-line block ×3, first 2 shown]
	s_waitcnt vmcnt(2)
	v_add_f64 v[1:2], v[26:27], -v[1:2]
	s_waitcnt vmcnt(0)
	v_add_f64 v[3:4], v[30:31], -v[3:4]
	buffer_store_dword v2, off, s[0:3], 0 offset:724
	buffer_store_dword v1, off, s[0:3], 0 offset:720
	;; [unrolled: 1-line block ×4, first 2 shown]
	v_cmpx_lt_u32_e32 43, v0
	s_cbranch_execz .LBB62_317
; %bb.316:
	v_mov_b32_e32 v4, s34
	v_mov_b32_e32 v5, 0
	s_clause 0x3
	buffer_load_dword v1, v4, s[0:3], 0 offen
	buffer_load_dword v2, v4, s[0:3], 0 offen offset:4
	buffer_load_dword v3, v4, s[0:3], 0 offen offset:8
	;; [unrolled: 1-line block ×3, first 2 shown]
	buffer_store_dword v5, off, s[0:3], 0 offset:704
	buffer_store_dword v5, off, s[0:3], 0 offset:708
	;; [unrolled: 1-line block ×4, first 2 shown]
	s_waitcnt vmcnt(0)
	ds_write_b128 v69, v[1:4]
.LBB62_317:
	s_or_b32 exec_lo, exec_lo, s4
	s_waitcnt lgkmcnt(0)
	s_waitcnt_vscnt null, 0x0
	s_barrier
	buffer_gl0_inv
	s_clause 0x37
	buffer_load_dword v10, off, s[0:3], 0 offset:728
	buffer_load_dword v11, off, s[0:3], 0 offset:732
	;; [unrolled: 1-line block ×56, first 2 shown]
	v_mov_b32_e32 v1, 0
	s_mov_b32 s4, exec_lo
	ds_read_b128 v[2:5], v1 offset:1712
	s_clause 0x2
	buffer_load_dword v67, off, s[0:3], 0 offset:956
	buffer_load_dword v73, off, s[0:3], 0 offset:932
	;; [unrolled: 1-line block ×3, first 2 shown]
	ds_read_b128 v[6:9], v1 offset:1728
	s_clause 0x4
	buffer_load_dword v79, off, s[0:3], 0 offset:972
	buffer_load_dword v80, off, s[0:3], 0 offset:984
	;; [unrolled: 1-line block ×5, first 2 shown]
	s_waitcnt vmcnt(62) lgkmcnt(1)
	v_mul_f64 v[74:75], v[4:5], v[10:11]
	v_mul_f64 v[76:77], v[2:3], v[10:11]
	s_waitcnt vmcnt(60) lgkmcnt(0)
	v_mul_f64 v[83:84], v[8:9], v[14:15]
	ds_read_b128 v[10:13], v1 offset:1744
	v_mul_f64 v[14:15], v[6:7], v[14:15]
	s_waitcnt vmcnt(58)
	v_fma_f64 v[74:75], v[2:3], v[16:17], -v[74:75]
	v_fma_f64 v[16:17], v[4:5], v[16:17], v[76:77]
	s_clause 0x2
	buffer_load_dword v81, off, s[0:3], 0 offset:988
	buffer_load_dword v77, off, s[0:3], 0 offset:964
	;; [unrolled: 1-line block ×3, first 2 shown]
	s_waitcnt vmcnt(59) lgkmcnt(0)
	v_mul_f64 v[117:118], v[10:11], v[18:19]
	v_mul_f64 v[18:19], v[12:13], v[18:19]
	s_waitcnt vmcnt(57)
	v_fma_f64 v[119:120], v[6:7], v[20:21], -v[83:84]
	ds_read_b128 v[2:5], v1 offset:1760
	v_fma_f64 v[14:15], v[8:9], v[20:21], v[14:15]
	s_clause 0x4
	buffer_load_dword v21, off, s[0:3], 0 offset:1004
	buffer_load_dword v125, off, s[0:3], 0 offset:1016
	;; [unrolled: 1-line block ×5, first 2 shown]
	ds_read_b128 v[6:9], v1 offset:1776
	v_add_f64 v[74:75], v[74:75], 0
	v_add_f64 v[16:17], v[16:17], 0
	s_waitcnt vmcnt(58) lgkmcnt(1)
	v_mul_f64 v[128:129], v[2:3], v[22:23]
	v_mul_f64 v[22:23], v[4:5], v[22:23]
	s_waitcnt vmcnt(56)
	v_fma_f64 v[18:19], v[10:11], v[28:29], -v[18:19]
	v_fma_f64 v[28:29], v[12:13], v[28:29], v[117:118]
	s_waitcnt vmcnt(55) lgkmcnt(0)
	v_mul_f64 v[117:118], v[6:7], v[24:25]
	v_mul_f64 v[24:25], v[8:9], v[24:25]
	v_add_f64 v[74:75], v[74:75], v[119:120]
	v_add_f64 v[14:15], v[16:17], v[14:15]
	s_clause 0x2
	buffer_load_dword v126, off, s[0:3], 0 offset:1020
	buffer_load_dword v17, off, s[0:3], 0 offset:996
	;; [unrolled: 1-line block ×3, first 2 shown]
	ds_read_b128 v[10:13], v1 offset:1792
	s_waitcnt vmcnt(56)
	v_fma_f64 v[22:23], v[2:3], v[30:31], -v[22:23]
	v_fma_f64 v[30:31], v[4:5], v[30:31], v[128:129]
	buffer_load_dword v128, off, s[0:3], 0 offset:1012
	ds_read_b128 v[2:5], v1 offset:1808
	s_waitcnt vmcnt(52)
	v_fma_f64 v[24:25], v[6:7], v[26:27], -v[24:25]
	v_add_f64 v[18:19], v[74:75], v[18:19]
	v_add_f64 v[14:15], v[14:15], v[28:29]
	s_waitcnt lgkmcnt(1)
	v_mul_f64 v[28:29], v[10:11], v[32:33]
	v_mul_f64 v[32:33], v[12:13], v[32:33]
	v_add_f64 v[18:19], v[18:19], v[22:23]
	v_fma_f64 v[22:23], v[8:9], v[26:27], v[117:118]
	v_add_f64 v[14:15], v[14:15], v[30:31]
	s_waitcnt vmcnt(51) lgkmcnt(0)
	v_mul_f64 v[30:31], v[4:5], v[34:35]
	s_waitcnt vmcnt(49)
	v_fma_f64 v[32:33], v[10:11], v[38:39], -v[32:33]
	ds_read_b128 v[6:9], v1 offset:1824
	v_mul_f64 v[26:27], v[2:3], v[34:35]
	v_add_f64 v[18:19], v[18:19], v[24:25]
	v_fma_f64 v[24:25], v[12:13], v[38:39], v[28:29]
	v_add_f64 v[14:15], v[14:15], v[22:23]
	s_clause 0x3
	buffer_load_dword v22, off, s[0:3], 0 offset:704
	buffer_load_dword v23, off, s[0:3], 0 offset:708
	;; [unrolled: 1-line block ×4, first 2 shown]
	s_waitcnt vmcnt(49) lgkmcnt(0)
	v_mul_f64 v[38:39], v[8:9], v[40:41]
	s_waitcnt vmcnt(48)
	v_fma_f64 v[30:31], v[2:3], v[36:37], -v[30:31]
	ds_read_b128 v[10:13], v1 offset:1840
	v_mul_f64 v[34:35], v[6:7], v[40:41]
	v_fma_f64 v[26:27], v[4:5], v[36:37], v[26:27]
	ds_read_b128 v[2:5], v1 offset:1856
	v_add_f64 v[18:19], v[18:19], v[32:33]
	v_add_f64 v[14:15], v[14:15], v[24:25]
	s_waitcnt vmcnt(47) lgkmcnt(1)
	v_mul_f64 v[32:33], v[12:13], v[42:43]
	s_waitcnt vmcnt(45)
	v_fma_f64 v[36:37], v[6:7], v[46:47], -v[38:39]
	v_mul_f64 v[24:25], v[10:11], v[42:43]
	v_add_f64 v[18:19], v[18:19], v[30:31]
	v_fma_f64 v[30:31], v[8:9], v[46:47], v[34:35]
	v_add_f64 v[14:15], v[14:15], v[26:27]
	s_waitcnt vmcnt(41) lgkmcnt(0)
	v_mul_f64 v[34:35], v[4:5], v[48:49]
	s_waitcnt vmcnt(40)
	v_fma_f64 v[32:33], v[10:11], v[44:45], -v[32:33]
	ds_read_b128 v[6:9], v1 offset:1872
	v_mul_f64 v[26:27], v[2:3], v[48:49]
	v_fma_f64 v[24:25], v[12:13], v[44:45], v[24:25]
	ds_read_b128 v[10:13], v1 offset:1888
	v_add_f64 v[18:19], v[18:19], v[36:37]
	v_add_f64 v[14:15], v[14:15], v[30:31]
	s_waitcnt vmcnt(39) lgkmcnt(1)
	v_mul_f64 v[36:37], v[8:9], v[50:51]
	s_waitcnt vmcnt(37)
	v_fma_f64 v[34:35], v[2:3], v[54:55], -v[34:35]
	v_mul_f64 v[30:31], v[6:7], v[50:51]
	v_fma_f64 v[26:27], v[4:5], v[54:55], v[26:27]
	ds_read_b128 v[2:5], v1 offset:1904
	v_add_f64 v[18:19], v[18:19], v[32:33]
	s_waitcnt vmcnt(33) lgkmcnt(1)
	v_mul_f64 v[32:33], v[12:13], v[56:57]
	v_add_f64 v[14:15], v[14:15], v[24:25]
	s_waitcnt vmcnt(32)
	v_fma_f64 v[36:37], v[6:7], v[52:53], -v[36:37]
	v_mul_f64 v[24:25], v[10:11], v[56:57]
	v_fma_f64 v[30:31], v[8:9], v[52:53], v[30:31]
	ds_read_b128 v[6:9], v1 offset:1920
	v_add_f64 v[18:19], v[18:19], v[34:35]
	s_waitcnt vmcnt(31) lgkmcnt(1)
	v_mul_f64 v[34:35], v[4:5], v[58:59]
	v_add_f64 v[14:15], v[14:15], v[26:27]
	;; [unrolled: 9-line block ×5, first 2 shown]
	s_waitcnt vmcnt(16)
	v_fma_f64 v[32:33], v[10:11], v[70:71], -v[32:33]
	v_mul_f64 v[26:27], v[2:3], v[78:79]
	v_fma_f64 v[24:25], v[12:13], v[70:71], v[24:25]
	ds_read_b128 v[10:13], v1 offset:1984
	v_add_f64 v[18:19], v[18:19], v[36:37]
	v_add_f64 v[14:15], v[14:15], v[30:31]
	s_waitcnt vmcnt(15) lgkmcnt(1)
	v_mul_f64 v[36:37], v[8:9], v[80:81]
	v_mul_f64 v[30:31], v[6:7], v[80:81]
	s_waitcnt vmcnt(13)
	v_fma_f64 v[34:35], v[2:3], v[76:77], -v[34:35]
	v_fma_f64 v[26:27], v[4:5], v[76:77], v[26:27]
	ds_read_b128 v[2:5], v1 offset:2000
	v_add_f64 v[18:19], v[18:19], v[32:33]
	v_add_f64 v[14:15], v[14:15], v[24:25]
	s_waitcnt vmcnt(9) lgkmcnt(1)
	v_mul_f64 v[24:25], v[10:11], v[20:21]
	v_mul_f64 v[20:21], v[12:13], v[20:21]
	s_waitcnt vmcnt(8)
	v_fma_f64 v[6:7], v[6:7], v[82:83], -v[36:37]
	v_fma_f64 v[8:9], v[8:9], v[82:83], v[30:31]
	v_add_f64 v[18:19], v[18:19], v[34:35]
	v_add_f64 v[14:15], v[14:15], v[26:27]
	s_waitcnt vmcnt(7) lgkmcnt(0)
	v_mul_f64 v[30:31], v[4:5], v[125:126]
	v_mul_f64 v[26:27], v[2:3], v[125:126]
	s_waitcnt vmcnt(5)
	v_fma_f64 v[10:11], v[10:11], v[16:17], -v[20:21]
	v_fma_f64 v[12:13], v[12:13], v[16:17], v[24:25]
	v_add_f64 v[6:7], v[18:19], v[6:7]
	v_add_f64 v[8:9], v[14:15], v[8:9]
	s_waitcnt vmcnt(4)
	v_fma_f64 v[2:3], v[2:3], v[127:128], -v[30:31]
	v_fma_f64 v[4:5], v[4:5], v[127:128], v[26:27]
	v_add_f64 v[6:7], v[6:7], v[10:11]
	v_add_f64 v[8:9], v[8:9], v[12:13]
	;; [unrolled: 1-line block ×4, first 2 shown]
	s_waitcnt vmcnt(2)
	v_add_f64 v[2:3], v[22:23], -v[2:3]
	s_waitcnt vmcnt(0)
	v_add_f64 v[4:5], v[28:29], -v[4:5]
	buffer_store_dword v3, off, s[0:3], 0 offset:708
	buffer_store_dword v2, off, s[0:3], 0 offset:704
	;; [unrolled: 1-line block ×4, first 2 shown]
	v_cmpx_lt_u32_e32 42, v0
	s_cbranch_execz .LBB62_319
; %bb.318:
	v_mov_b32_e32 v5, s35
	s_clause 0x3
	buffer_load_dword v2, v5, s[0:3], 0 offen
	buffer_load_dword v3, v5, s[0:3], 0 offen offset:4
	buffer_load_dword v4, v5, s[0:3], 0 offen offset:8
	;; [unrolled: 1-line block ×3, first 2 shown]
	buffer_store_dword v1, off, s[0:3], 0 offset:688
	buffer_store_dword v1, off, s[0:3], 0 offset:692
	;; [unrolled: 1-line block ×4, first 2 shown]
	s_waitcnt vmcnt(0)
	ds_write_b128 v69, v[2:5]
.LBB62_319:
	s_or_b32 exec_lo, exec_lo, s4
	s_waitcnt lgkmcnt(0)
	s_waitcnt_vscnt null, 0x0
	s_barrier
	buffer_gl0_inv
	s_clause 0x37
	buffer_load_dword v10, off, s[0:3], 0 offset:712
	buffer_load_dword v11, off, s[0:3], 0 offset:716
	;; [unrolled: 1-line block ×56, first 2 shown]
	ds_read_b128 v[2:5], v1 offset:1696
	s_clause 0x2
	buffer_load_dword v67, off, s[0:3], 0 offset:940
	buffer_load_dword v73, off, s[0:3], 0 offset:916
	;; [unrolled: 1-line block ×3, first 2 shown]
	ds_read_b128 v[6:9], v1 offset:1712
	s_clause 0x4
	buffer_load_dword v79, off, s[0:3], 0 offset:956
	buffer_load_dword v80, off, s[0:3], 0 offset:968
	;; [unrolled: 1-line block ×5, first 2 shown]
	s_mov_b32 s4, exec_lo
	s_waitcnt vmcnt(62) lgkmcnt(1)
	v_mul_f64 v[74:75], v[4:5], v[10:11]
	v_mul_f64 v[76:77], v[2:3], v[10:11]
	s_waitcnt vmcnt(60) lgkmcnt(0)
	v_mul_f64 v[83:84], v[8:9], v[14:15]
	ds_read_b128 v[10:13], v1 offset:1728
	v_mul_f64 v[14:15], v[6:7], v[14:15]
	s_waitcnt vmcnt(58)
	v_fma_f64 v[74:75], v[2:3], v[16:17], -v[74:75]
	v_fma_f64 v[16:17], v[4:5], v[16:17], v[76:77]
	s_clause 0x2
	buffer_load_dword v81, off, s[0:3], 0 offset:972
	buffer_load_dword v77, off, s[0:3], 0 offset:948
	;; [unrolled: 1-line block ×3, first 2 shown]
	s_waitcnt vmcnt(59) lgkmcnt(0)
	v_mul_f64 v[117:118], v[10:11], v[18:19]
	v_mul_f64 v[18:19], v[12:13], v[18:19]
	s_waitcnt vmcnt(57)
	v_fma_f64 v[119:120], v[6:7], v[20:21], -v[83:84]
	ds_read_b128 v[2:5], v1 offset:1744
	v_fma_f64 v[14:15], v[8:9], v[20:21], v[14:15]
	s_clause 0x4
	buffer_load_dword v21, off, s[0:3], 0 offset:988
	buffer_load_dword v125, off, s[0:3], 0 offset:1000
	;; [unrolled: 1-line block ×5, first 2 shown]
	ds_read_b128 v[6:9], v1 offset:1760
	v_add_f64 v[74:75], v[74:75], 0
	v_add_f64 v[16:17], v[16:17], 0
	s_waitcnt vmcnt(58) lgkmcnt(1)
	v_mul_f64 v[128:129], v[2:3], v[22:23]
	v_mul_f64 v[22:23], v[4:5], v[22:23]
	s_waitcnt vmcnt(56)
	v_fma_f64 v[18:19], v[10:11], v[28:29], -v[18:19]
	v_fma_f64 v[28:29], v[12:13], v[28:29], v[117:118]
	s_waitcnt vmcnt(55) lgkmcnt(0)
	v_mul_f64 v[117:118], v[6:7], v[24:25]
	v_mul_f64 v[24:25], v[8:9], v[24:25]
	v_add_f64 v[74:75], v[74:75], v[119:120]
	v_add_f64 v[14:15], v[16:17], v[14:15]
	s_clause 0x2
	buffer_load_dword v126, off, s[0:3], 0 offset:1004
	buffer_load_dword v17, off, s[0:3], 0 offset:980
	;; [unrolled: 1-line block ×3, first 2 shown]
	ds_read_b128 v[10:13], v1 offset:1776
	s_waitcnt vmcnt(56)
	v_fma_f64 v[22:23], v[2:3], v[30:31], -v[22:23]
	v_fma_f64 v[30:31], v[4:5], v[30:31], v[128:129]
	s_waitcnt vmcnt(51)
	v_fma_f64 v[24:25], v[6:7], v[26:27], -v[24:25]
	v_add_f64 v[18:19], v[74:75], v[18:19]
	v_add_f64 v[14:15], v[14:15], v[28:29]
	s_clause 0x2
	buffer_load_dword v29, off, s[0:3], 0 offset:1020
	buffer_load_dword v28, off, s[0:3], 0 offset:1016
	;; [unrolled: 1-line block ×3, first 2 shown]
	s_waitcnt lgkmcnt(0)
	v_mul_f64 v[74:75], v[10:11], v[32:33]
	v_mul_f64 v[32:33], v[12:13], v[32:33]
	ds_read_b128 v[2:5], v1 offset:1792
	v_add_f64 v[18:19], v[18:19], v[22:23]
	v_fma_f64 v[22:23], v[8:9], v[26:27], v[117:118]
	v_add_f64 v[14:15], v[14:15], v[30:31]
	s_clause 0x1
	buffer_load_dword v27, off, s[0:3], 0 offset:1012
	buffer_load_dword v26, off, s[0:3], 0 offset:1008
	s_waitcnt vmcnt(55) lgkmcnt(0)
	v_mul_f64 v[30:31], v[2:3], v[34:35]
	v_mul_f64 v[34:35], v[4:5], v[34:35]
	s_waitcnt vmcnt(53)
	v_fma_f64 v[32:33], v[10:11], v[38:39], -v[32:33]
	ds_read_b128 v[6:9], v1 offset:1808
	v_add_f64 v[18:19], v[18:19], v[24:25]
	v_fma_f64 v[24:25], v[12:13], v[38:39], v[74:75]
	v_add_f64 v[14:15], v[14:15], v[22:23]
	ds_read_b128 v[10:13], v1 offset:1824
	s_waitcnt vmcnt(48)
	v_fma_f64 v[30:31], v[4:5], v[36:37], v[30:31]
	s_waitcnt lgkmcnt(1)
	v_mul_f64 v[38:39], v[8:9], v[40:41]
	v_fma_f64 v[34:35], v[2:3], v[36:37], -v[34:35]
	v_mul_f64 v[22:23], v[6:7], v[40:41]
	v_add_f64 v[18:19], v[18:19], v[32:33]
	s_waitcnt vmcnt(47) lgkmcnt(0)
	v_mul_f64 v[40:41], v[12:13], v[42:43]
	v_add_f64 v[14:15], v[14:15], v[24:25]
	s_clause 0x3
	buffer_load_dword v24, off, s[0:3], 0 offset:688
	buffer_load_dword v25, off, s[0:3], 0 offset:692
	;; [unrolled: 1-line block ×4, first 2 shown]
	ds_read_b128 v[2:5], v1 offset:1840
	s_waitcnt vmcnt(49)
	v_fma_f64 v[38:39], v[6:7], v[46:47], -v[38:39]
	v_mul_f64 v[36:37], v[10:11], v[42:43]
	v_fma_f64 v[22:23], v[8:9], v[46:47], v[22:23]
	ds_read_b128 v[6:9], v1 offset:1856
	v_add_f64 v[18:19], v[18:19], v[34:35]
	s_waitcnt vmcnt(44)
	v_fma_f64 v[40:41], v[10:11], v[44:45], -v[40:41]
	v_add_f64 v[14:15], v[14:15], v[30:31]
	s_waitcnt lgkmcnt(1)
	v_mul_f64 v[34:35], v[4:5], v[48:49]
	v_mul_f64 v[30:31], v[2:3], v[48:49]
	v_fma_f64 v[36:37], v[12:13], v[44:45], v[36:37]
	ds_read_b128 v[10:13], v1 offset:1872
	v_add_f64 v[18:19], v[18:19], v[38:39]
	s_waitcnt vmcnt(43) lgkmcnt(1)
	v_mul_f64 v[38:39], v[8:9], v[50:51]
	v_add_f64 v[14:15], v[14:15], v[22:23]
	s_waitcnt vmcnt(41)
	v_fma_f64 v[34:35], v[2:3], v[54:55], -v[34:35]
	v_mul_f64 v[22:23], v[6:7], v[50:51]
	v_fma_f64 v[30:31], v[4:5], v[54:55], v[30:31]
	ds_read_b128 v[2:5], v1 offset:1888
	v_add_f64 v[18:19], v[18:19], v[40:41]
	s_waitcnt vmcnt(37) lgkmcnt(1)
	v_mul_f64 v[40:41], v[12:13], v[56:57]
	v_add_f64 v[14:15], v[14:15], v[36:37]
	s_waitcnt vmcnt(36)
	v_fma_f64 v[38:39], v[6:7], v[52:53], -v[38:39]
	;; [unrolled: 9-line block ×6, first 2 shown]
	v_mul_f64 v[30:31], v[2:3], v[78:79]
	v_fma_f64 v[36:37], v[12:13], v[70:71], v[36:37]
	ds_read_b128 v[10:13], v1 offset:1968
	v_add_f64 v[18:19], v[18:19], v[38:39]
	v_add_f64 v[14:15], v[14:15], v[22:23]
	s_waitcnt vmcnt(19) lgkmcnt(1)
	v_mul_f64 v[38:39], v[8:9], v[80:81]
	v_mul_f64 v[22:23], v[6:7], v[80:81]
	s_waitcnt vmcnt(17)
	v_fma_f64 v[34:35], v[2:3], v[76:77], -v[34:35]
	v_fma_f64 v[30:31], v[4:5], v[76:77], v[30:31]
	ds_read_b128 v[2:5], v1 offset:1984
	v_add_f64 v[18:19], v[18:19], v[40:41]
	v_add_f64 v[14:15], v[14:15], v[36:37]
	s_waitcnt vmcnt(13) lgkmcnt(1)
	v_mul_f64 v[36:37], v[10:11], v[20:21]
	v_mul_f64 v[20:21], v[12:13], v[20:21]
	s_waitcnt vmcnt(12)
	v_fma_f64 v[38:39], v[6:7], v[82:83], -v[38:39]
	v_fma_f64 v[22:23], v[8:9], v[82:83], v[22:23]
	ds_read_b128 v[6:9], v1 offset:2000
	v_add_f64 v[18:19], v[18:19], v[34:35]
	v_add_f64 v[14:15], v[14:15], v[30:31]
	s_waitcnt vmcnt(11) lgkmcnt(1)
	v_mul_f64 v[34:35], v[4:5], v[125:126]
	v_mul_f64 v[30:31], v[2:3], v[125:126]
	s_waitcnt vmcnt(9)
	v_fma_f64 v[10:11], v[10:11], v[16:17], -v[20:21]
	v_fma_f64 v[12:13], v[12:13], v[16:17], v[36:37]
	v_add_f64 v[18:19], v[18:19], v[38:39]
	v_add_f64 v[14:15], v[14:15], v[22:23]
	s_waitcnt vmcnt(7) lgkmcnt(0)
	v_mul_f64 v[20:21], v[8:9], v[28:29]
	s_waitcnt vmcnt(6)
	v_fma_f64 v[1:2], v[2:3], v[127:128], -v[34:35]
	v_mul_f64 v[16:17], v[6:7], v[28:29]
	v_fma_f64 v[3:4], v[4:5], v[127:128], v[30:31]
	v_add_f64 v[10:11], v[18:19], v[10:11]
	v_add_f64 v[12:13], v[14:15], v[12:13]
	s_waitcnt vmcnt(4)
	v_fma_f64 v[5:6], v[6:7], v[26:27], -v[20:21]
	v_fma_f64 v[7:8], v[8:9], v[26:27], v[16:17]
	v_add_f64 v[1:2], v[10:11], v[1:2]
	v_add_f64 v[3:4], v[12:13], v[3:4]
	;; [unrolled: 1-line block ×4, first 2 shown]
	s_waitcnt vmcnt(2)
	v_add_f64 v[1:2], v[24:25], -v[1:2]
	s_waitcnt vmcnt(0)
	v_add_f64 v[3:4], v[32:33], -v[3:4]
	buffer_store_dword v2, off, s[0:3], 0 offset:692
	buffer_store_dword v1, off, s[0:3], 0 offset:688
	;; [unrolled: 1-line block ×4, first 2 shown]
	v_cmpx_lt_u32_e32 41, v0
	s_cbranch_execz .LBB62_321
; %bb.320:
	v_mov_b32_e32 v4, s36
	v_mov_b32_e32 v5, 0
	s_clause 0x3
	buffer_load_dword v1, v4, s[0:3], 0 offen
	buffer_load_dword v2, v4, s[0:3], 0 offen offset:4
	buffer_load_dword v3, v4, s[0:3], 0 offen offset:8
	;; [unrolled: 1-line block ×3, first 2 shown]
	buffer_store_dword v5, off, s[0:3], 0 offset:672
	buffer_store_dword v5, off, s[0:3], 0 offset:676
	;; [unrolled: 1-line block ×4, first 2 shown]
	s_waitcnt vmcnt(0)
	ds_write_b128 v69, v[1:4]
.LBB62_321:
	s_or_b32 exec_lo, exec_lo, s4
	s_waitcnt lgkmcnt(0)
	s_waitcnt_vscnt null, 0x0
	s_barrier
	buffer_gl0_inv
	s_clause 0x37
	buffer_load_dword v10, off, s[0:3], 0 offset:696
	buffer_load_dword v11, off, s[0:3], 0 offset:700
	;; [unrolled: 1-line block ×56, first 2 shown]
	v_mov_b32_e32 v1, 0
	s_mov_b32 s4, exec_lo
	ds_read_b128 v[2:5], v1 offset:1680
	s_clause 0x2
	buffer_load_dword v67, off, s[0:3], 0 offset:924
	buffer_load_dword v73, off, s[0:3], 0 offset:900
	;; [unrolled: 1-line block ×3, first 2 shown]
	ds_read_b128 v[6:9], v1 offset:1696
	s_clause 0x4
	buffer_load_dword v79, off, s[0:3], 0 offset:940
	buffer_load_dword v80, off, s[0:3], 0 offset:952
	;; [unrolled: 1-line block ×5, first 2 shown]
	s_waitcnt vmcnt(62) lgkmcnt(1)
	v_mul_f64 v[74:75], v[4:5], v[10:11]
	v_mul_f64 v[76:77], v[2:3], v[10:11]
	s_waitcnt vmcnt(60) lgkmcnt(0)
	v_mul_f64 v[83:84], v[8:9], v[14:15]
	ds_read_b128 v[10:13], v1 offset:1712
	v_mul_f64 v[14:15], v[6:7], v[14:15]
	s_waitcnt vmcnt(58)
	v_fma_f64 v[74:75], v[2:3], v[16:17], -v[74:75]
	v_fma_f64 v[16:17], v[4:5], v[16:17], v[76:77]
	s_clause 0x2
	buffer_load_dword v81, off, s[0:3], 0 offset:956
	buffer_load_dword v77, off, s[0:3], 0 offset:932
	;; [unrolled: 1-line block ×3, first 2 shown]
	s_waitcnt vmcnt(59) lgkmcnt(0)
	v_mul_f64 v[117:118], v[10:11], v[18:19]
	v_mul_f64 v[18:19], v[12:13], v[18:19]
	s_waitcnt vmcnt(57)
	v_fma_f64 v[119:120], v[6:7], v[20:21], -v[83:84]
	ds_read_b128 v[2:5], v1 offset:1728
	v_fma_f64 v[14:15], v[8:9], v[20:21], v[14:15]
	s_clause 0x4
	buffer_load_dword v21, off, s[0:3], 0 offset:972
	buffer_load_dword v125, off, s[0:3], 0 offset:984
	buffer_load_dword v127, off, s[0:3], 0 offset:976
	buffer_load_dword v20, off, s[0:3], 0 offset:968
	buffer_load_dword v83, off, s[0:3], 0 offset:948
	ds_read_b128 v[6:9], v1 offset:1744
	v_add_f64 v[74:75], v[74:75], 0
	v_add_f64 v[16:17], v[16:17], 0
	s_waitcnt vmcnt(58) lgkmcnt(1)
	v_mul_f64 v[128:129], v[2:3], v[22:23]
	v_mul_f64 v[22:23], v[4:5], v[22:23]
	s_waitcnt vmcnt(56)
	v_fma_f64 v[18:19], v[10:11], v[28:29], -v[18:19]
	v_fma_f64 v[28:29], v[12:13], v[28:29], v[117:118]
	s_waitcnt vmcnt(55) lgkmcnt(0)
	v_mul_f64 v[117:118], v[6:7], v[24:25]
	v_mul_f64 v[24:25], v[8:9], v[24:25]
	v_add_f64 v[74:75], v[74:75], v[119:120]
	v_add_f64 v[14:15], v[16:17], v[14:15]
	s_clause 0x2
	buffer_load_dword v126, off, s[0:3], 0 offset:988
	buffer_load_dword v17, off, s[0:3], 0 offset:964
	;; [unrolled: 1-line block ×3, first 2 shown]
	ds_read_b128 v[10:13], v1 offset:1760
	s_waitcnt vmcnt(56)
	v_fma_f64 v[22:23], v[2:3], v[30:31], -v[22:23]
	v_fma_f64 v[30:31], v[4:5], v[30:31], v[128:129]
	s_waitcnt vmcnt(51)
	v_fma_f64 v[24:25], v[6:7], v[26:27], -v[24:25]
	v_add_f64 v[18:19], v[74:75], v[18:19]
	v_add_f64 v[14:15], v[14:15], v[28:29]
	s_clause 0x4
	buffer_load_dword v29, off, s[0:3], 0 offset:1004
	buffer_load_dword v74, off, s[0:3], 0 offset:1016
	;; [unrolled: 1-line block ×5, first 2 shown]
	s_waitcnt lgkmcnt(0)
	v_mul_f64 v[129:130], v[10:11], v[32:33]
	v_mul_f64 v[32:33], v[12:13], v[32:33]
	ds_read_b128 v[2:5], v1 offset:1776
	v_add_f64 v[18:19], v[18:19], v[22:23]
	v_fma_f64 v[22:23], v[8:9], v[26:27], v[117:118]
	v_add_f64 v[14:15], v[14:15], v[30:31]
	s_clause 0x2
	buffer_load_dword v75, off, s[0:3], 0 offset:1020
	buffer_load_dword v27, off, s[0:3], 0 offset:996
	;; [unrolled: 1-line block ×3, first 2 shown]
	s_waitcnt vmcnt(58) lgkmcnt(0)
	v_mul_f64 v[30:31], v[2:3], v[34:35]
	v_mul_f64 v[34:35], v[4:5], v[34:35]
	s_waitcnt vmcnt(56)
	v_fma_f64 v[32:33], v[10:11], v[38:39], -v[32:33]
	ds_read_b128 v[6:9], v1 offset:1792
	buffer_load_dword v120, off, s[0:3], 0 offset:1012
	v_add_f64 v[18:19], v[18:19], v[24:25]
	v_fma_f64 v[24:25], v[12:13], v[38:39], v[129:130]
	v_add_f64 v[14:15], v[14:15], v[22:23]
	ds_read_b128 v[10:13], v1 offset:1808
	s_waitcnt vmcnt(52)
	v_fma_f64 v[30:31], v[4:5], v[36:37], v[30:31]
	s_waitcnt lgkmcnt(1)
	v_mul_f64 v[38:39], v[8:9], v[40:41]
	v_fma_f64 v[34:35], v[2:3], v[36:37], -v[34:35]
	v_mul_f64 v[22:23], v[6:7], v[40:41]
	ds_read_b128 v[2:5], v1 offset:1824
	v_add_f64 v[18:19], v[18:19], v[32:33]
	s_waitcnt vmcnt(51) lgkmcnt(1)
	v_mul_f64 v[32:33], v[12:13], v[42:43]
	v_add_f64 v[14:15], v[14:15], v[24:25]
	v_mul_f64 v[24:25], v[10:11], v[42:43]
	s_waitcnt vmcnt(49)
	v_fma_f64 v[36:37], v[6:7], v[46:47], -v[38:39]
	s_waitcnt vmcnt(45) lgkmcnt(0)
	v_mul_f64 v[40:41], v[4:5], v[48:49]
	v_fma_f64 v[22:23], v[8:9], v[46:47], v[22:23]
	v_mul_f64 v[38:39], v[2:3], v[48:49]
	v_add_f64 v[18:19], v[18:19], v[34:35]
	s_waitcnt vmcnt(44)
	v_fma_f64 v[32:33], v[10:11], v[44:45], -v[32:33]
	v_add_f64 v[14:15], v[14:15], v[30:31]
	s_clause 0x3
	buffer_load_dword v30, off, s[0:3], 0 offset:672
	buffer_load_dword v31, off, s[0:3], 0 offset:676
	;; [unrolled: 1-line block ×4, first 2 shown]
	ds_read_b128 v[6:9], v1 offset:1840
	v_fma_f64 v[24:25], v[12:13], v[44:45], v[24:25]
	ds_read_b128 v[10:13], v1 offset:1856
	s_waitcnt vmcnt(45)
	v_fma_f64 v[40:41], v[2:3], v[54:55], -v[40:41]
	v_add_f64 v[18:19], v[18:19], v[36:37]
	v_add_f64 v[14:15], v[14:15], v[22:23]
	s_waitcnt lgkmcnt(1)
	v_mul_f64 v[36:37], v[8:9], v[50:51]
	v_mul_f64 v[22:23], v[6:7], v[50:51]
	v_add_f64 v[18:19], v[18:19], v[32:33]
	v_fma_f64 v[32:33], v[4:5], v[54:55], v[38:39]
	v_add_f64 v[14:15], v[14:15], v[24:25]
	s_waitcnt vmcnt(41) lgkmcnt(0)
	v_mul_f64 v[38:39], v[12:13], v[56:57]
	s_waitcnt vmcnt(40)
	v_fma_f64 v[36:37], v[6:7], v[52:53], -v[36:37]
	ds_read_b128 v[2:5], v1 offset:1872
	v_mul_f64 v[24:25], v[10:11], v[56:57]
	v_fma_f64 v[22:23], v[8:9], v[52:53], v[22:23]
	ds_read_b128 v[6:9], v1 offset:1888
	v_add_f64 v[18:19], v[18:19], v[40:41]
	v_add_f64 v[14:15], v[14:15], v[32:33]
	s_waitcnt vmcnt(39) lgkmcnt(1)
	v_mul_f64 v[40:41], v[4:5], v[58:59]
	s_waitcnt vmcnt(37)
	v_fma_f64 v[38:39], v[10:11], v[62:63], -v[38:39]
	v_mul_f64 v[32:33], v[2:3], v[58:59]
	v_fma_f64 v[24:25], v[12:13], v[62:63], v[24:25]
	ds_read_b128 v[10:13], v1 offset:1904
	v_add_f64 v[18:19], v[18:19], v[36:37]
	s_waitcnt vmcnt(33) lgkmcnt(1)
	v_mul_f64 v[36:37], v[8:9], v[64:65]
	v_add_f64 v[14:15], v[14:15], v[22:23]
	s_waitcnt vmcnt(32)
	v_fma_f64 v[40:41], v[2:3], v[60:61], -v[40:41]
	v_mul_f64 v[22:23], v[6:7], v[64:65]
	v_fma_f64 v[32:33], v[4:5], v[60:61], v[32:33]
	ds_read_b128 v[2:5], v1 offset:1920
	v_add_f64 v[18:19], v[18:19], v[38:39]
	s_waitcnt vmcnt(31) lgkmcnt(1)
	v_mul_f64 v[38:39], v[12:13], v[66:67]
	v_add_f64 v[14:15], v[14:15], v[24:25]
	;; [unrolled: 9-line block ×3, first 2 shown]
	s_waitcnt vmcnt(24)
	v_fma_f64 v[38:39], v[10:11], v[70:71], -v[38:39]
	v_mul_f64 v[32:33], v[2:3], v[78:79]
	v_fma_f64 v[24:25], v[12:13], v[70:71], v[24:25]
	ds_read_b128 v[10:13], v1 offset:1952
	v_add_f64 v[18:19], v[18:19], v[36:37]
	v_add_f64 v[14:15], v[14:15], v[22:23]
	s_waitcnt vmcnt(23) lgkmcnt(1)
	v_mul_f64 v[36:37], v[8:9], v[80:81]
	v_mul_f64 v[22:23], v[6:7], v[80:81]
	s_waitcnt vmcnt(21)
	v_fma_f64 v[40:41], v[2:3], v[76:77], -v[40:41]
	v_fma_f64 v[32:33], v[4:5], v[76:77], v[32:33]
	ds_read_b128 v[2:5], v1 offset:1968
	v_add_f64 v[18:19], v[18:19], v[38:39]
	v_add_f64 v[14:15], v[14:15], v[24:25]
	s_waitcnt vmcnt(17) lgkmcnt(1)
	v_mul_f64 v[24:25], v[10:11], v[20:21]
	v_mul_f64 v[20:21], v[12:13], v[20:21]
	s_waitcnt vmcnt(16)
	v_fma_f64 v[36:37], v[6:7], v[82:83], -v[36:37]
	;; [unrolled: 9-line block ×3, first 2 shown]
	v_fma_f64 v[16:17], v[12:13], v[16:17], v[24:25]
	ds_read_b128 v[10:13], v1 offset:2000
	v_add_f64 v[18:19], v[18:19], v[36:37]
	v_add_f64 v[14:15], v[14:15], v[22:23]
	s_waitcnt vmcnt(9) lgkmcnt(1)
	v_mul_f64 v[24:25], v[8:9], v[28:29]
	s_waitcnt vmcnt(8)
	v_fma_f64 v[2:3], v[2:3], v[127:128], -v[38:39]
	v_mul_f64 v[22:23], v[6:7], v[28:29]
	v_fma_f64 v[4:5], v[4:5], v[127:128], v[32:33]
	v_add_f64 v[18:19], v[18:19], v[20:21]
	v_add_f64 v[14:15], v[14:15], v[16:17]
	s_waitcnt vmcnt(7) lgkmcnt(0)
	v_mul_f64 v[20:21], v[12:13], v[74:75]
	v_mul_f64 v[16:17], v[10:11], v[74:75]
	s_waitcnt vmcnt(5)
	v_fma_f64 v[6:7], v[6:7], v[26:27], -v[24:25]
	v_fma_f64 v[8:9], v[8:9], v[26:27], v[22:23]
	v_add_f64 v[2:3], v[18:19], v[2:3]
	v_add_f64 v[4:5], v[14:15], v[4:5]
	s_waitcnt vmcnt(4)
	v_fma_f64 v[10:11], v[10:11], v[119:120], -v[20:21]
	v_add_f64 v[2:3], v[2:3], v[6:7]
	v_fma_f64 v[6:7], v[12:13], v[119:120], v[16:17]
	v_add_f64 v[4:5], v[4:5], v[8:9]
	v_add_f64 v[2:3], v[2:3], v[10:11]
	;; [unrolled: 1-line block ×3, first 2 shown]
	s_waitcnt vmcnt(2)
	v_add_f64 v[2:3], v[30:31], -v[2:3]
	s_waitcnt vmcnt(0)
	v_add_f64 v[4:5], v[34:35], -v[4:5]
	buffer_store_dword v3, off, s[0:3], 0 offset:676
	buffer_store_dword v2, off, s[0:3], 0 offset:672
	;; [unrolled: 1-line block ×4, first 2 shown]
	v_cmpx_lt_u32_e32 40, v0
	s_cbranch_execz .LBB62_323
; %bb.322:
	v_mov_b32_e32 v5, s37
	s_clause 0x3
	buffer_load_dword v2, v5, s[0:3], 0 offen
	buffer_load_dword v3, v5, s[0:3], 0 offen offset:4
	buffer_load_dword v4, v5, s[0:3], 0 offen offset:8
	;; [unrolled: 1-line block ×3, first 2 shown]
	buffer_store_dword v1, off, s[0:3], 0 offset:656
	buffer_store_dword v1, off, s[0:3], 0 offset:660
	;; [unrolled: 1-line block ×4, first 2 shown]
	s_waitcnt vmcnt(0)
	ds_write_b128 v69, v[2:5]
.LBB62_323:
	s_or_b32 exec_lo, exec_lo, s4
	s_waitcnt lgkmcnt(0)
	s_waitcnt_vscnt null, 0x0
	s_barrier
	buffer_gl0_inv
	s_clause 0x37
	buffer_load_dword v10, off, s[0:3], 0 offset:680
	buffer_load_dword v11, off, s[0:3], 0 offset:684
	;; [unrolled: 1-line block ×56, first 2 shown]
	ds_read_b128 v[2:5], v1 offset:1664
	s_clause 0x2
	buffer_load_dword v67, off, s[0:3], 0 offset:908
	buffer_load_dword v73, off, s[0:3], 0 offset:884
	;; [unrolled: 1-line block ×3, first 2 shown]
	ds_read_b128 v[6:9], v1 offset:1680
	s_clause 0x4
	buffer_load_dword v79, off, s[0:3], 0 offset:924
	buffer_load_dword v80, off, s[0:3], 0 offset:936
	;; [unrolled: 1-line block ×5, first 2 shown]
	s_mov_b32 s4, exec_lo
	s_waitcnt vmcnt(62) lgkmcnt(1)
	v_mul_f64 v[74:75], v[4:5], v[10:11]
	v_mul_f64 v[76:77], v[2:3], v[10:11]
	s_waitcnt vmcnt(60) lgkmcnt(0)
	v_mul_f64 v[83:84], v[8:9], v[14:15]
	ds_read_b128 v[10:13], v1 offset:1696
	v_mul_f64 v[14:15], v[6:7], v[14:15]
	s_waitcnt vmcnt(58)
	v_fma_f64 v[74:75], v[2:3], v[16:17], -v[74:75]
	v_fma_f64 v[16:17], v[4:5], v[16:17], v[76:77]
	s_clause 0x2
	buffer_load_dword v81, off, s[0:3], 0 offset:940
	buffer_load_dword v77, off, s[0:3], 0 offset:916
	;; [unrolled: 1-line block ×3, first 2 shown]
	s_waitcnt vmcnt(59) lgkmcnt(0)
	v_mul_f64 v[117:118], v[10:11], v[18:19]
	v_mul_f64 v[18:19], v[12:13], v[18:19]
	s_waitcnt vmcnt(57)
	v_fma_f64 v[119:120], v[6:7], v[20:21], -v[83:84]
	ds_read_b128 v[2:5], v1 offset:1712
	v_fma_f64 v[14:15], v[8:9], v[20:21], v[14:15]
	s_clause 0x4
	buffer_load_dword v21, off, s[0:3], 0 offset:956
	buffer_load_dword v125, off, s[0:3], 0 offset:968
	;; [unrolled: 1-line block ×5, first 2 shown]
	ds_read_b128 v[6:9], v1 offset:1728
	v_add_f64 v[74:75], v[74:75], 0
	v_add_f64 v[16:17], v[16:17], 0
	s_waitcnt vmcnt(58) lgkmcnt(1)
	v_mul_f64 v[128:129], v[2:3], v[22:23]
	v_mul_f64 v[22:23], v[4:5], v[22:23]
	s_waitcnt vmcnt(56)
	v_fma_f64 v[18:19], v[10:11], v[28:29], -v[18:19]
	v_fma_f64 v[28:29], v[12:13], v[28:29], v[117:118]
	s_waitcnt vmcnt(55) lgkmcnt(0)
	v_mul_f64 v[117:118], v[6:7], v[24:25]
	v_mul_f64 v[24:25], v[8:9], v[24:25]
	v_add_f64 v[74:75], v[74:75], v[119:120]
	v_add_f64 v[14:15], v[16:17], v[14:15]
	s_clause 0x2
	buffer_load_dword v126, off, s[0:3], 0 offset:972
	buffer_load_dword v17, off, s[0:3], 0 offset:948
	buffer_load_dword v16, off, s[0:3], 0 offset:944
	ds_read_b128 v[10:13], v1 offset:1744
	s_waitcnt vmcnt(56)
	v_fma_f64 v[22:23], v[2:3], v[30:31], -v[22:23]
	v_fma_f64 v[30:31], v[4:5], v[30:31], v[128:129]
	s_waitcnt vmcnt(51)
	v_fma_f64 v[24:25], v[6:7], v[26:27], -v[24:25]
	v_add_f64 v[18:19], v[74:75], v[18:19]
	v_add_f64 v[14:15], v[14:15], v[28:29]
	s_clause 0x4
	buffer_load_dword v29, off, s[0:3], 0 offset:988
	buffer_load_dword v74, off, s[0:3], 0 offset:1000
	;; [unrolled: 1-line block ×5, first 2 shown]
	s_waitcnt lgkmcnt(0)
	v_mul_f64 v[129:130], v[10:11], v[32:33]
	v_mul_f64 v[32:33], v[12:13], v[32:33]
	ds_read_b128 v[2:5], v1 offset:1760
	v_add_f64 v[18:19], v[18:19], v[22:23]
	v_fma_f64 v[22:23], v[8:9], v[26:27], v[117:118]
	v_add_f64 v[14:15], v[14:15], v[30:31]
	s_clause 0x2
	buffer_load_dword v75, off, s[0:3], 0 offset:1004
	buffer_load_dword v27, off, s[0:3], 0 offset:980
	;; [unrolled: 1-line block ×3, first 2 shown]
	s_waitcnt vmcnt(58) lgkmcnt(0)
	v_mul_f64 v[30:31], v[2:3], v[34:35]
	v_mul_f64 v[34:35], v[4:5], v[34:35]
	s_waitcnt vmcnt(56)
	v_fma_f64 v[32:33], v[10:11], v[38:39], -v[32:33]
	ds_read_b128 v[6:9], v1 offset:1776
	v_add_f64 v[18:19], v[18:19], v[24:25]
	v_fma_f64 v[24:25], v[12:13], v[38:39], v[129:130]
	v_add_f64 v[14:15], v[14:15], v[22:23]
	s_clause 0x2
	buffer_load_dword v23, off, s[0:3], 0 offset:1020
	buffer_load_dword v22, off, s[0:3], 0 offset:1016
	;; [unrolled: 1-line block ×3, first 2 shown]
	ds_read_b128 v[10:13], v1 offset:1792
	s_waitcnt vmcnt(55) lgkmcnt(1)
	v_mul_f64 v[38:39], v[6:7], v[40:41]
	v_mul_f64 v[40:41], v[8:9], v[40:41]
	s_waitcnt vmcnt(54)
	v_fma_f64 v[34:35], v[2:3], v[36:37], -v[34:35]
	v_fma_f64 v[30:31], v[4:5], v[36:37], v[30:31]
	v_add_f64 v[18:19], v[18:19], v[32:33]
	v_add_f64 v[14:15], v[14:15], v[24:25]
	s_clause 0x1
	buffer_load_dword v25, off, s[0:3], 0 offset:1012
	buffer_load_dword v24, off, s[0:3], 0 offset:1008
	s_waitcnt vmcnt(55) lgkmcnt(0)
	v_mul_f64 v[36:37], v[12:13], v[42:43]
	ds_read_b128 v[2:5], v1 offset:1808
	s_waitcnt vmcnt(53)
	v_fma_f64 v[40:41], v[6:7], v[46:47], -v[40:41]
	v_mul_f64 v[32:33], v[10:11], v[42:43]
	v_add_f64 v[18:19], v[18:19], v[34:35]
	v_fma_f64 v[34:35], v[8:9], v[46:47], v[38:39]
	v_add_f64 v[14:15], v[14:15], v[30:31]
	ds_read_b128 v[6:9], v1 offset:1824
	s_waitcnt vmcnt(49) lgkmcnt(1)
	v_mul_f64 v[38:39], v[4:5], v[48:49]
	s_waitcnt vmcnt(48)
	v_fma_f64 v[36:37], v[10:11], v[44:45], -v[36:37]
	v_mul_f64 v[30:31], v[2:3], v[48:49]
	v_fma_f64 v[32:33], v[12:13], v[44:45], v[32:33]
	v_add_f64 v[18:19], v[18:19], v[40:41]
	s_waitcnt vmcnt(47) lgkmcnt(0)
	v_mul_f64 v[44:45], v[8:9], v[50:51]
	v_add_f64 v[14:15], v[14:15], v[34:35]
	s_clause 0x3
	buffer_load_dword v34, off, s[0:3], 0 offset:656
	buffer_load_dword v35, off, s[0:3], 0 offset:660
	;; [unrolled: 1-line block ×4, first 2 shown]
	s_waitcnt vmcnt(49)
	v_fma_f64 v[38:39], v[2:3], v[54:55], -v[38:39]
	ds_read_b128 v[10:13], v1 offset:1840
	v_mul_f64 v[42:43], v[6:7], v[50:51]
	v_fma_f64 v[30:31], v[4:5], v[54:55], v[30:31]
	ds_read_b128 v[2:5], v1 offset:1856
	v_add_f64 v[18:19], v[18:19], v[36:37]
	s_waitcnt vmcnt(44)
	v_fma_f64 v[44:45], v[6:7], v[52:53], -v[44:45]
	v_add_f64 v[14:15], v[14:15], v[32:33]
	s_waitcnt lgkmcnt(1)
	v_mul_f64 v[36:37], v[12:13], v[56:57]
	v_mul_f64 v[32:33], v[10:11], v[56:57]
	v_add_f64 v[18:19], v[18:19], v[38:39]
	v_fma_f64 v[38:39], v[8:9], v[52:53], v[42:43]
	v_add_f64 v[14:15], v[14:15], v[30:31]
	s_waitcnt vmcnt(43) lgkmcnt(0)
	v_mul_f64 v[42:43], v[4:5], v[58:59]
	s_waitcnt vmcnt(41)
	v_fma_f64 v[36:37], v[10:11], v[62:63], -v[36:37]
	ds_read_b128 v[6:9], v1 offset:1872
	v_mul_f64 v[30:31], v[2:3], v[58:59]
	v_fma_f64 v[32:33], v[12:13], v[62:63], v[32:33]
	ds_read_b128 v[10:13], v1 offset:1888
	v_add_f64 v[18:19], v[18:19], v[44:45]
	v_add_f64 v[14:15], v[14:15], v[38:39]
	s_waitcnt vmcnt(37) lgkmcnt(1)
	v_mul_f64 v[44:45], v[8:9], v[64:65]
	s_waitcnt vmcnt(36)
	v_fma_f64 v[42:43], v[2:3], v[60:61], -v[42:43]
	v_mul_f64 v[38:39], v[6:7], v[64:65]
	v_fma_f64 v[30:31], v[4:5], v[60:61], v[30:31]
	ds_read_b128 v[2:5], v1 offset:1904
	v_add_f64 v[18:19], v[18:19], v[36:37]
	s_waitcnt vmcnt(35) lgkmcnt(1)
	v_mul_f64 v[36:37], v[12:13], v[66:67]
	v_add_f64 v[14:15], v[14:15], v[32:33]
	s_waitcnt vmcnt(33)
	v_fma_f64 v[44:45], v[6:7], v[72:73], -v[44:45]
	v_mul_f64 v[32:33], v[10:11], v[66:67]
	v_fma_f64 v[38:39], v[8:9], v[72:73], v[38:39]
	ds_read_b128 v[6:9], v1 offset:1920
	v_add_f64 v[18:19], v[18:19], v[42:43]
	s_waitcnt vmcnt(29) lgkmcnt(1)
	v_mul_f64 v[42:43], v[4:5], v[78:79]
	v_add_f64 v[14:15], v[14:15], v[30:31]
	s_waitcnt vmcnt(28)
	v_fma_f64 v[36:37], v[10:11], v[70:71], -v[36:37]
	v_mul_f64 v[30:31], v[2:3], v[78:79]
	v_fma_f64 v[32:33], v[12:13], v[70:71], v[32:33]
	ds_read_b128 v[10:13], v1 offset:1936
	v_add_f64 v[18:19], v[18:19], v[44:45]
	v_add_f64 v[14:15], v[14:15], v[38:39]
	s_waitcnt vmcnt(27) lgkmcnt(1)
	v_mul_f64 v[44:45], v[8:9], v[80:81]
	v_mul_f64 v[38:39], v[6:7], v[80:81]
	s_waitcnt vmcnt(25)
	v_fma_f64 v[42:43], v[2:3], v[76:77], -v[42:43]
	v_fma_f64 v[30:31], v[4:5], v[76:77], v[30:31]
	ds_read_b128 v[2:5], v1 offset:1952
	v_add_f64 v[18:19], v[18:19], v[36:37]
	v_add_f64 v[14:15], v[14:15], v[32:33]
	s_waitcnt vmcnt(21) lgkmcnt(1)
	v_mul_f64 v[32:33], v[10:11], v[20:21]
	v_mul_f64 v[20:21], v[12:13], v[20:21]
	s_waitcnt vmcnt(20)
	v_fma_f64 v[36:37], v[6:7], v[82:83], -v[44:45]
	;; [unrolled: 9-line block ×4, first 2 shown]
	v_add_f64 v[18:19], v[18:19], v[20:21]
	v_fma_f64 v[20:21], v[4:5], v[127:128], v[30:31]
	v_add_f64 v[14:15], v[14:15], v[16:17]
	ds_read_b128 v[1:4], v1 offset:2000
	s_waitcnt vmcnt(11) lgkmcnt(1)
	v_mul_f64 v[30:31], v[12:13], v[74:75]
	v_mul_f64 v[16:17], v[10:11], v[74:75]
	s_waitcnt vmcnt(9)
	v_fma_f64 v[5:6], v[6:7], v[26:27], -v[28:29]
	v_fma_f64 v[7:8], v[8:9], v[26:27], v[32:33]
	v_add_f64 v[18:19], v[18:19], v[36:37]
	v_add_f64 v[14:15], v[14:15], v[20:21]
	s_waitcnt vmcnt(7) lgkmcnt(0)
	v_mul_f64 v[20:21], v[1:2], v[22:23]
	v_mul_f64 v[22:23], v[3:4], v[22:23]
	s_waitcnt vmcnt(6)
	v_fma_f64 v[9:10], v[10:11], v[119:120], -v[30:31]
	v_fma_f64 v[11:12], v[12:13], v[119:120], v[16:17]
	v_add_f64 v[5:6], v[18:19], v[5:6]
	v_add_f64 v[7:8], v[14:15], v[7:8]
	s_waitcnt vmcnt(4)
	v_fma_f64 v[1:2], v[1:2], v[24:25], -v[22:23]
	v_fma_f64 v[3:4], v[3:4], v[24:25], v[20:21]
	v_add_f64 v[5:6], v[5:6], v[9:10]
	v_add_f64 v[7:8], v[7:8], v[11:12]
	;; [unrolled: 1-line block ×4, first 2 shown]
	s_waitcnt vmcnt(2)
	v_add_f64 v[1:2], v[34:35], -v[1:2]
	s_waitcnt vmcnt(0)
	v_add_f64 v[3:4], v[40:41], -v[3:4]
	buffer_store_dword v2, off, s[0:3], 0 offset:660
	buffer_store_dword v1, off, s[0:3], 0 offset:656
	;; [unrolled: 1-line block ×4, first 2 shown]
	v_cmpx_lt_u32_e32 39, v0
	s_cbranch_execz .LBB62_325
; %bb.324:
	v_mov_b32_e32 v4, s38
	v_mov_b32_e32 v5, 0
	s_clause 0x3
	buffer_load_dword v1, v4, s[0:3], 0 offen
	buffer_load_dword v2, v4, s[0:3], 0 offen offset:4
	buffer_load_dword v3, v4, s[0:3], 0 offen offset:8
	;; [unrolled: 1-line block ×3, first 2 shown]
	buffer_store_dword v5, off, s[0:3], 0 offset:640
	buffer_store_dword v5, off, s[0:3], 0 offset:644
	;; [unrolled: 1-line block ×4, first 2 shown]
	s_waitcnt vmcnt(0)
	ds_write_b128 v69, v[1:4]
.LBB62_325:
	s_or_b32 exec_lo, exec_lo, s4
	s_waitcnt lgkmcnt(0)
	s_waitcnt_vscnt null, 0x0
	s_barrier
	buffer_gl0_inv
	s_clause 0x37
	buffer_load_dword v10, off, s[0:3], 0 offset:664
	buffer_load_dword v11, off, s[0:3], 0 offset:668
	;; [unrolled: 1-line block ×56, first 2 shown]
	v_mov_b32_e32 v1, 0
	s_mov_b32 s4, exec_lo
	ds_read_b128 v[2:5], v1 offset:1648
	s_clause 0x2
	buffer_load_dword v67, off, s[0:3], 0 offset:892
	buffer_load_dword v73, off, s[0:3], 0 offset:868
	;; [unrolled: 1-line block ×3, first 2 shown]
	ds_read_b128 v[6:9], v1 offset:1664
	s_clause 0x4
	buffer_load_dword v79, off, s[0:3], 0 offset:908
	buffer_load_dword v80, off, s[0:3], 0 offset:920
	;; [unrolled: 1-line block ×5, first 2 shown]
	s_waitcnt vmcnt(62) lgkmcnt(1)
	v_mul_f64 v[74:75], v[4:5], v[10:11]
	v_mul_f64 v[76:77], v[2:3], v[10:11]
	s_waitcnt vmcnt(60) lgkmcnt(0)
	v_mul_f64 v[83:84], v[8:9], v[14:15]
	ds_read_b128 v[10:13], v1 offset:1680
	v_mul_f64 v[14:15], v[6:7], v[14:15]
	s_waitcnt vmcnt(58)
	v_fma_f64 v[74:75], v[2:3], v[16:17], -v[74:75]
	v_fma_f64 v[16:17], v[4:5], v[16:17], v[76:77]
	s_clause 0x2
	buffer_load_dword v81, off, s[0:3], 0 offset:924
	buffer_load_dword v77, off, s[0:3], 0 offset:900
	;; [unrolled: 1-line block ×3, first 2 shown]
	s_waitcnt vmcnt(59) lgkmcnt(0)
	v_mul_f64 v[117:118], v[10:11], v[18:19]
	v_mul_f64 v[18:19], v[12:13], v[18:19]
	s_waitcnt vmcnt(57)
	v_fma_f64 v[119:120], v[6:7], v[20:21], -v[83:84]
	ds_read_b128 v[2:5], v1 offset:1696
	v_fma_f64 v[14:15], v[8:9], v[20:21], v[14:15]
	s_clause 0x4
	buffer_load_dword v21, off, s[0:3], 0 offset:940
	buffer_load_dword v125, off, s[0:3], 0 offset:952
	;; [unrolled: 1-line block ×5, first 2 shown]
	ds_read_b128 v[6:9], v1 offset:1712
	v_add_f64 v[74:75], v[74:75], 0
	v_add_f64 v[16:17], v[16:17], 0
	s_waitcnt vmcnt(58) lgkmcnt(1)
	v_mul_f64 v[128:129], v[2:3], v[22:23]
	v_mul_f64 v[22:23], v[4:5], v[22:23]
	s_waitcnt vmcnt(56)
	v_fma_f64 v[18:19], v[10:11], v[28:29], -v[18:19]
	v_fma_f64 v[28:29], v[12:13], v[28:29], v[117:118]
	s_waitcnt vmcnt(55) lgkmcnt(0)
	v_mul_f64 v[117:118], v[6:7], v[24:25]
	v_mul_f64 v[24:25], v[8:9], v[24:25]
	v_add_f64 v[74:75], v[74:75], v[119:120]
	v_add_f64 v[14:15], v[16:17], v[14:15]
	s_clause 0x2
	buffer_load_dword v126, off, s[0:3], 0 offset:956
	buffer_load_dword v17, off, s[0:3], 0 offset:932
	buffer_load_dword v16, off, s[0:3], 0 offset:928
	ds_read_b128 v[10:13], v1 offset:1728
	s_waitcnt vmcnt(56)
	v_fma_f64 v[22:23], v[2:3], v[30:31], -v[22:23]
	v_fma_f64 v[30:31], v[4:5], v[30:31], v[128:129]
	s_waitcnt vmcnt(51)
	v_fma_f64 v[24:25], v[6:7], v[26:27], -v[24:25]
	v_add_f64 v[18:19], v[74:75], v[18:19]
	v_add_f64 v[14:15], v[14:15], v[28:29]
	s_clause 0x4
	buffer_load_dword v29, off, s[0:3], 0 offset:972
	buffer_load_dword v74, off, s[0:3], 0 offset:984
	;; [unrolled: 1-line block ×5, first 2 shown]
	s_waitcnt lgkmcnt(0)
	v_mul_f64 v[129:130], v[10:11], v[32:33]
	v_mul_f64 v[32:33], v[12:13], v[32:33]
	ds_read_b128 v[2:5], v1 offset:1744
	v_add_f64 v[18:19], v[18:19], v[22:23]
	v_fma_f64 v[22:23], v[8:9], v[26:27], v[117:118]
	v_add_f64 v[14:15], v[14:15], v[30:31]
	s_clause 0x2
	buffer_load_dword v75, off, s[0:3], 0 offset:988
	buffer_load_dword v27, off, s[0:3], 0 offset:964
	;; [unrolled: 1-line block ×3, first 2 shown]
	s_waitcnt vmcnt(58) lgkmcnt(0)
	v_mul_f64 v[30:31], v[2:3], v[34:35]
	v_mul_f64 v[34:35], v[4:5], v[34:35]
	s_waitcnt vmcnt(56)
	v_fma_f64 v[32:33], v[10:11], v[38:39], -v[32:33]
	ds_read_b128 v[6:9], v1 offset:1760
	v_add_f64 v[18:19], v[18:19], v[24:25]
	v_fma_f64 v[24:25], v[12:13], v[38:39], v[129:130]
	v_add_f64 v[14:15], v[14:15], v[22:23]
	s_clause 0x4
	buffer_load_dword v23, off, s[0:3], 0 offset:1004
	buffer_load_dword v38, off, s[0:3], 0 offset:1016
	;; [unrolled: 1-line block ×5, first 2 shown]
	ds_read_b128 v[10:13], v1 offset:1776
	s_waitcnt vmcnt(57) lgkmcnt(1)
	v_mul_f64 v[129:130], v[6:7], v[40:41]
	v_mul_f64 v[40:41], v[8:9], v[40:41]
	s_waitcnt vmcnt(56)
	v_fma_f64 v[34:35], v[2:3], v[36:37], -v[34:35]
	v_fma_f64 v[30:31], v[4:5], v[36:37], v[30:31]
	v_add_f64 v[18:19], v[18:19], v[32:33]
	v_add_f64 v[14:15], v[14:15], v[24:25]
	s_clause 0x2
	buffer_load_dword v39, off, s[0:3], 0 offset:1020
	buffer_load_dword v25, off, s[0:3], 0 offset:996
	;; [unrolled: 1-line block ×3, first 2 shown]
	s_waitcnt vmcnt(58) lgkmcnt(0)
	v_mul_f64 v[36:37], v[12:13], v[42:43]
	ds_read_b128 v[2:5], v1 offset:1792
	s_waitcnt vmcnt(56)
	v_fma_f64 v[40:41], v[6:7], v[46:47], -v[40:41]
	v_mul_f64 v[32:33], v[10:11], v[42:43]
	buffer_load_dword v118, off, s[0:3], 0 offset:1012
	v_add_f64 v[18:19], v[18:19], v[34:35]
	v_fma_f64 v[34:35], v[8:9], v[46:47], v[129:130]
	v_add_f64 v[14:15], v[14:15], v[30:31]
	ds_read_b128 v[6:9], v1 offset:1808
	s_waitcnt vmcnt(53) lgkmcnt(1)
	v_mul_f64 v[42:43], v[4:5], v[48:49]
	s_waitcnt vmcnt(52)
	v_fma_f64 v[36:37], v[10:11], v[44:45], -v[36:37]
	v_mul_f64 v[30:31], v[2:3], v[48:49]
	v_fma_f64 v[32:33], v[12:13], v[44:45], v[32:33]
	ds_read_b128 v[10:13], v1 offset:1824
	v_add_f64 v[18:19], v[18:19], v[40:41]
	s_waitcnt vmcnt(51) lgkmcnt(1)
	v_mul_f64 v[40:41], v[8:9], v[50:51]
	v_add_f64 v[14:15], v[14:15], v[34:35]
	v_mul_f64 v[34:35], v[6:7], v[50:51]
	s_waitcnt vmcnt(49)
	v_fma_f64 v[42:43], v[2:3], v[54:55], -v[42:43]
	v_fma_f64 v[30:31], v[4:5], v[54:55], v[30:31]
	s_waitcnt vmcnt(45) lgkmcnt(0)
	v_mul_f64 v[46:47], v[12:13], v[56:57]
	v_mul_f64 v[44:45], v[10:11], v[56:57]
	v_add_f64 v[18:19], v[18:19], v[36:37]
	s_waitcnt vmcnt(44)
	v_fma_f64 v[40:41], v[6:7], v[52:53], -v[40:41]
	v_add_f64 v[14:15], v[14:15], v[32:33]
	s_clause 0x3
	buffer_load_dword v32, off, s[0:3], 0 offset:640
	buffer_load_dword v33, off, s[0:3], 0 offset:644
	;; [unrolled: 1-line block ×4, first 2 shown]
	ds_read_b128 v[2:5], v1 offset:1840
	v_fma_f64 v[34:35], v[8:9], v[52:53], v[34:35]
	ds_read_b128 v[6:9], v1 offset:1856
	s_waitcnt vmcnt(45)
	v_fma_f64 v[46:47], v[10:11], v[62:63], -v[46:47]
	v_add_f64 v[18:19], v[18:19], v[42:43]
	v_add_f64 v[14:15], v[14:15], v[30:31]
	s_waitcnt lgkmcnt(1)
	v_mul_f64 v[42:43], v[4:5], v[58:59]
	v_mul_f64 v[30:31], v[2:3], v[58:59]
	v_add_f64 v[18:19], v[18:19], v[40:41]
	v_fma_f64 v[40:41], v[12:13], v[62:63], v[44:45]
	v_add_f64 v[14:15], v[14:15], v[34:35]
	s_waitcnt vmcnt(41) lgkmcnt(0)
	v_mul_f64 v[44:45], v[8:9], v[64:65]
	s_waitcnt vmcnt(40)
	v_fma_f64 v[42:43], v[2:3], v[60:61], -v[42:43]
	ds_read_b128 v[10:13], v1 offset:1872
	v_mul_f64 v[34:35], v[6:7], v[64:65]
	v_fma_f64 v[30:31], v[4:5], v[60:61], v[30:31]
	ds_read_b128 v[2:5], v1 offset:1888
	v_add_f64 v[18:19], v[18:19], v[46:47]
	v_add_f64 v[14:15], v[14:15], v[40:41]
	s_waitcnt vmcnt(39) lgkmcnt(1)
	v_mul_f64 v[46:47], v[12:13], v[66:67]
	s_waitcnt vmcnt(37)
	v_fma_f64 v[44:45], v[6:7], v[72:73], -v[44:45]
	v_mul_f64 v[40:41], v[10:11], v[66:67]
	v_fma_f64 v[34:35], v[8:9], v[72:73], v[34:35]
	ds_read_b128 v[6:9], v1 offset:1904
	v_add_f64 v[18:19], v[18:19], v[42:43]
	s_waitcnt vmcnt(33) lgkmcnt(1)
	v_mul_f64 v[42:43], v[4:5], v[78:79]
	v_add_f64 v[14:15], v[14:15], v[30:31]
	s_waitcnt vmcnt(32)
	v_fma_f64 v[46:47], v[10:11], v[70:71], -v[46:47]
	v_mul_f64 v[30:31], v[2:3], v[78:79]
	v_fma_f64 v[40:41], v[12:13], v[70:71], v[40:41]
	ds_read_b128 v[10:13], v1 offset:1920
	v_add_f64 v[18:19], v[18:19], v[44:45]
	v_add_f64 v[14:15], v[14:15], v[34:35]
	s_waitcnt vmcnt(31) lgkmcnt(1)
	v_mul_f64 v[44:45], v[8:9], v[80:81]
	v_mul_f64 v[34:35], v[6:7], v[80:81]
	s_waitcnt vmcnt(29)
	v_fma_f64 v[42:43], v[2:3], v[76:77], -v[42:43]
	v_fma_f64 v[30:31], v[4:5], v[76:77], v[30:31]
	ds_read_b128 v[2:5], v1 offset:1936
	v_add_f64 v[18:19], v[18:19], v[46:47]
	v_add_f64 v[14:15], v[14:15], v[40:41]
	s_waitcnt vmcnt(25) lgkmcnt(1)
	v_mul_f64 v[40:41], v[10:11], v[20:21]
	v_mul_f64 v[20:21], v[12:13], v[20:21]
	s_waitcnt vmcnt(24)
	v_fma_f64 v[44:45], v[6:7], v[82:83], -v[44:45]
	;; [unrolled: 9-line block ×4, first 2 shown]
	v_add_f64 v[18:19], v[18:19], v[20:21]
	v_fma_f64 v[20:21], v[4:5], v[127:128], v[30:31]
	v_add_f64 v[14:15], v[14:15], v[16:17]
	ds_read_b128 v[2:5], v1 offset:1984
	s_waitcnt vmcnt(15) lgkmcnt(1)
	v_mul_f64 v[30:31], v[12:13], v[74:75]
	v_mul_f64 v[16:17], v[10:11], v[74:75]
	s_waitcnt vmcnt(13)
	v_fma_f64 v[28:29], v[6:7], v[26:27], -v[28:29]
	v_fma_f64 v[26:27], v[8:9], v[26:27], v[34:35]
	ds_read_b128 v[6:9], v1 offset:2000
	v_add_f64 v[18:19], v[18:19], v[40:41]
	v_add_f64 v[14:15], v[14:15], v[20:21]
	s_waitcnt vmcnt(9) lgkmcnt(1)
	v_mul_f64 v[20:21], v[2:3], v[22:23]
	v_mul_f64 v[22:23], v[4:5], v[22:23]
	s_waitcnt vmcnt(8)
	v_fma_f64 v[10:11], v[10:11], v[119:120], -v[30:31]
	v_fma_f64 v[12:13], v[12:13], v[119:120], v[16:17]
	v_add_f64 v[18:19], v[18:19], v[28:29]
	v_add_f64 v[14:15], v[14:15], v[26:27]
	s_waitcnt vmcnt(7) lgkmcnt(0)
	v_mul_f64 v[26:27], v[8:9], v[38:39]
	v_mul_f64 v[16:17], v[6:7], v[38:39]
	s_waitcnt vmcnt(5)
	v_fma_f64 v[2:3], v[2:3], v[24:25], -v[22:23]
	v_fma_f64 v[4:5], v[4:5], v[24:25], v[20:21]
	v_add_f64 v[10:11], v[18:19], v[10:11]
	v_add_f64 v[12:13], v[14:15], v[12:13]
	s_waitcnt vmcnt(4)
	v_fma_f64 v[6:7], v[6:7], v[117:118], -v[26:27]
	v_fma_f64 v[8:9], v[8:9], v[117:118], v[16:17]
	v_add_f64 v[2:3], v[10:11], v[2:3]
	v_add_f64 v[4:5], v[12:13], v[4:5]
	v_add_f64 v[2:3], v[2:3], v[6:7]
	v_add_f64 v[4:5], v[4:5], v[8:9]
	s_waitcnt vmcnt(2)
	v_add_f64 v[2:3], v[32:33], -v[2:3]
	s_waitcnt vmcnt(0)
	v_add_f64 v[4:5], v[36:37], -v[4:5]
	buffer_store_dword v3, off, s[0:3], 0 offset:644
	buffer_store_dword v2, off, s[0:3], 0 offset:640
	;; [unrolled: 1-line block ×4, first 2 shown]
	v_cmpx_lt_u32_e32 38, v0
	s_cbranch_execz .LBB62_327
; %bb.326:
	v_mov_b32_e32 v5, s39
	s_clause 0x3
	buffer_load_dword v2, v5, s[0:3], 0 offen
	buffer_load_dword v3, v5, s[0:3], 0 offen offset:4
	buffer_load_dword v4, v5, s[0:3], 0 offen offset:8
	;; [unrolled: 1-line block ×3, first 2 shown]
	buffer_store_dword v1, off, s[0:3], 0 offset:624
	buffer_store_dword v1, off, s[0:3], 0 offset:628
	buffer_store_dword v1, off, s[0:3], 0 offset:632
	buffer_store_dword v1, off, s[0:3], 0 offset:636
	s_waitcnt vmcnt(0)
	ds_write_b128 v69, v[2:5]
.LBB62_327:
	s_or_b32 exec_lo, exec_lo, s4
	s_waitcnt lgkmcnt(0)
	s_waitcnt_vscnt null, 0x0
	s_barrier
	buffer_gl0_inv
	s_clause 0x37
	buffer_load_dword v10, off, s[0:3], 0 offset:648
	buffer_load_dword v11, off, s[0:3], 0 offset:652
	;; [unrolled: 1-line block ×56, first 2 shown]
	ds_read_b128 v[2:5], v1 offset:1632
	s_clause 0x2
	buffer_load_dword v67, off, s[0:3], 0 offset:876
	buffer_load_dword v73, off, s[0:3], 0 offset:852
	;; [unrolled: 1-line block ×3, first 2 shown]
	ds_read_b128 v[6:9], v1 offset:1648
	s_clause 0x4
	buffer_load_dword v79, off, s[0:3], 0 offset:892
	buffer_load_dword v80, off, s[0:3], 0 offset:904
	;; [unrolled: 1-line block ×5, first 2 shown]
	s_mov_b32 s4, exec_lo
	s_waitcnt vmcnt(62) lgkmcnt(1)
	v_mul_f64 v[74:75], v[4:5], v[10:11]
	v_mul_f64 v[76:77], v[2:3], v[10:11]
	s_waitcnt vmcnt(60) lgkmcnt(0)
	v_mul_f64 v[83:84], v[8:9], v[14:15]
	ds_read_b128 v[10:13], v1 offset:1664
	v_mul_f64 v[14:15], v[6:7], v[14:15]
	s_waitcnt vmcnt(58)
	v_fma_f64 v[74:75], v[2:3], v[16:17], -v[74:75]
	v_fma_f64 v[16:17], v[4:5], v[16:17], v[76:77]
	s_clause 0x2
	buffer_load_dword v81, off, s[0:3], 0 offset:908
	buffer_load_dword v77, off, s[0:3], 0 offset:884
	;; [unrolled: 1-line block ×3, first 2 shown]
	s_waitcnt vmcnt(59) lgkmcnt(0)
	v_mul_f64 v[117:118], v[10:11], v[18:19]
	v_mul_f64 v[18:19], v[12:13], v[18:19]
	s_waitcnt vmcnt(57)
	v_fma_f64 v[119:120], v[6:7], v[20:21], -v[83:84]
	ds_read_b128 v[2:5], v1 offset:1680
	v_fma_f64 v[14:15], v[8:9], v[20:21], v[14:15]
	s_clause 0x4
	buffer_load_dword v21, off, s[0:3], 0 offset:924
	buffer_load_dword v125, off, s[0:3], 0 offset:936
	;; [unrolled: 1-line block ×5, first 2 shown]
	ds_read_b128 v[6:9], v1 offset:1696
	v_add_f64 v[74:75], v[74:75], 0
	v_add_f64 v[16:17], v[16:17], 0
	s_waitcnt vmcnt(58) lgkmcnt(1)
	v_mul_f64 v[128:129], v[2:3], v[22:23]
	v_mul_f64 v[22:23], v[4:5], v[22:23]
	s_waitcnt vmcnt(56)
	v_fma_f64 v[18:19], v[10:11], v[28:29], -v[18:19]
	v_fma_f64 v[28:29], v[12:13], v[28:29], v[117:118]
	s_waitcnt vmcnt(55) lgkmcnt(0)
	v_mul_f64 v[117:118], v[6:7], v[24:25]
	v_mul_f64 v[24:25], v[8:9], v[24:25]
	v_add_f64 v[74:75], v[74:75], v[119:120]
	v_add_f64 v[14:15], v[16:17], v[14:15]
	s_clause 0x2
	buffer_load_dword v126, off, s[0:3], 0 offset:940
	buffer_load_dword v17, off, s[0:3], 0 offset:916
	;; [unrolled: 1-line block ×3, first 2 shown]
	ds_read_b128 v[10:13], v1 offset:1712
	s_waitcnt vmcnt(56)
	v_fma_f64 v[22:23], v[2:3], v[30:31], -v[22:23]
	v_fma_f64 v[30:31], v[4:5], v[30:31], v[128:129]
	s_waitcnt vmcnt(51)
	v_fma_f64 v[24:25], v[6:7], v[26:27], -v[24:25]
	v_add_f64 v[18:19], v[74:75], v[18:19]
	v_add_f64 v[14:15], v[14:15], v[28:29]
	s_clause 0x4
	buffer_load_dword v29, off, s[0:3], 0 offset:956
	buffer_load_dword v74, off, s[0:3], 0 offset:968
	;; [unrolled: 1-line block ×5, first 2 shown]
	s_waitcnt lgkmcnt(0)
	v_mul_f64 v[129:130], v[10:11], v[32:33]
	v_mul_f64 v[32:33], v[12:13], v[32:33]
	ds_read_b128 v[2:5], v1 offset:1728
	v_add_f64 v[18:19], v[18:19], v[22:23]
	v_fma_f64 v[22:23], v[8:9], v[26:27], v[117:118]
	v_add_f64 v[14:15], v[14:15], v[30:31]
	s_clause 0x2
	buffer_load_dword v75, off, s[0:3], 0 offset:972
	buffer_load_dword v27, off, s[0:3], 0 offset:948
	;; [unrolled: 1-line block ×3, first 2 shown]
	s_waitcnt vmcnt(58) lgkmcnt(0)
	v_mul_f64 v[30:31], v[2:3], v[34:35]
	v_mul_f64 v[34:35], v[4:5], v[34:35]
	s_waitcnt vmcnt(56)
	v_fma_f64 v[32:33], v[10:11], v[38:39], -v[32:33]
	ds_read_b128 v[6:9], v1 offset:1744
	v_add_f64 v[18:19], v[18:19], v[24:25]
	v_fma_f64 v[24:25], v[12:13], v[38:39], v[129:130]
	v_add_f64 v[14:15], v[14:15], v[22:23]
	s_clause 0x4
	buffer_load_dword v23, off, s[0:3], 0 offset:988
	buffer_load_dword v38, off, s[0:3], 0 offset:1000
	;; [unrolled: 1-line block ×5, first 2 shown]
	ds_read_b128 v[10:13], v1 offset:1760
	s_waitcnt vmcnt(57) lgkmcnt(1)
	v_mul_f64 v[129:130], v[6:7], v[40:41]
	v_mul_f64 v[40:41], v[8:9], v[40:41]
	s_waitcnt vmcnt(56)
	v_fma_f64 v[34:35], v[2:3], v[36:37], -v[34:35]
	v_fma_f64 v[30:31], v[4:5], v[36:37], v[30:31]
	v_add_f64 v[18:19], v[18:19], v[32:33]
	v_add_f64 v[14:15], v[14:15], v[24:25]
	s_clause 0x2
	buffer_load_dword v39, off, s[0:3], 0 offset:1004
	buffer_load_dword v25, off, s[0:3], 0 offset:980
	;; [unrolled: 1-line block ×3, first 2 shown]
	s_waitcnt vmcnt(58) lgkmcnt(0)
	v_mul_f64 v[36:37], v[12:13], v[42:43]
	ds_read_b128 v[2:5], v1 offset:1776
	s_waitcnt vmcnt(56)
	v_fma_f64 v[40:41], v[6:7], v[46:47], -v[40:41]
	v_mul_f64 v[32:33], v[10:11], v[42:43]
	v_add_f64 v[18:19], v[18:19], v[34:35]
	v_fma_f64 v[34:35], v[8:9], v[46:47], v[129:130]
	v_add_f64 v[14:15], v[14:15], v[30:31]
	s_clause 0x2
	buffer_load_dword v31, off, s[0:3], 0 offset:1020
	buffer_load_dword v30, off, s[0:3], 0 offset:1016
	;; [unrolled: 1-line block ×3, first 2 shown]
	s_waitcnt vmcnt(55) lgkmcnt(0)
	v_mul_f64 v[46:47], v[4:5], v[48:49]
	s_waitcnt vmcnt(54)
	v_fma_f64 v[36:37], v[10:11], v[44:45], -v[36:37]
	ds_read_b128 v[6:9], v1 offset:1792
	v_mul_f64 v[42:43], v[2:3], v[48:49]
	v_fma_f64 v[32:33], v[12:13], v[44:45], v[32:33]
	v_add_f64 v[18:19], v[18:19], v[40:41]
	v_add_f64 v[14:15], v[14:15], v[34:35]
	s_clause 0x1
	buffer_load_dword v35, off, s[0:3], 0 offset:1012
	buffer_load_dword v34, off, s[0:3], 0 offset:1008
	s_waitcnt vmcnt(55) lgkmcnt(0)
	v_mul_f64 v[44:45], v[8:9], v[50:51]
	s_waitcnt vmcnt(53)
	v_fma_f64 v[46:47], v[2:3], v[54:55], -v[46:47]
	ds_read_b128 v[10:13], v1 offset:1808
	v_mul_f64 v[40:41], v[6:7], v[50:51]
	v_add_f64 v[18:19], v[18:19], v[36:37]
	v_fma_f64 v[36:37], v[4:5], v[54:55], v[42:43]
	v_add_f64 v[14:15], v[14:15], v[32:33]
	ds_read_b128 v[2:5], v1 offset:1824
	s_waitcnt vmcnt(49) lgkmcnt(1)
	v_mul_f64 v[42:43], v[12:13], v[56:57]
	s_waitcnt vmcnt(48)
	v_fma_f64 v[44:45], v[6:7], v[52:53], -v[44:45]
	v_mul_f64 v[32:33], v[10:11], v[56:57]
	v_fma_f64 v[40:41], v[8:9], v[52:53], v[40:41]
	v_add_f64 v[18:19], v[18:19], v[46:47]
	s_waitcnt vmcnt(47) lgkmcnt(0)
	v_mul_f64 v[50:51], v[4:5], v[58:59]
	v_add_f64 v[14:15], v[14:15], v[36:37]
	s_clause 0x3
	buffer_load_dword v36, off, s[0:3], 0 offset:624
	buffer_load_dword v37, off, s[0:3], 0 offset:628
	;; [unrolled: 1-line block ×4, first 2 shown]
	s_waitcnt vmcnt(49)
	v_fma_f64 v[42:43], v[10:11], v[62:63], -v[42:43]
	ds_read_b128 v[6:9], v1 offset:1840
	v_mul_f64 v[48:49], v[2:3], v[58:59]
	v_fma_f64 v[32:33], v[12:13], v[62:63], v[32:33]
	ds_read_b128 v[10:13], v1 offset:1856
	v_add_f64 v[18:19], v[18:19], v[44:45]
	s_waitcnt vmcnt(44)
	v_fma_f64 v[50:51], v[2:3], v[60:61], -v[50:51]
	v_add_f64 v[14:15], v[14:15], v[40:41]
	s_waitcnt lgkmcnt(1)
	v_mul_f64 v[44:45], v[8:9], v[64:65]
	v_mul_f64 v[40:41], v[6:7], v[64:65]
	v_add_f64 v[18:19], v[18:19], v[42:43]
	v_fma_f64 v[42:43], v[4:5], v[60:61], v[48:49]
	v_add_f64 v[14:15], v[14:15], v[32:33]
	s_waitcnt vmcnt(43) lgkmcnt(0)
	v_mul_f64 v[48:49], v[12:13], v[66:67]
	s_waitcnt vmcnt(41)
	v_fma_f64 v[44:45], v[6:7], v[72:73], -v[44:45]
	ds_read_b128 v[2:5], v1 offset:1872
	v_mul_f64 v[32:33], v[10:11], v[66:67]
	v_fma_f64 v[40:41], v[8:9], v[72:73], v[40:41]
	ds_read_b128 v[6:9], v1 offset:1888
	v_add_f64 v[18:19], v[18:19], v[50:51]
	v_add_f64 v[14:15], v[14:15], v[42:43]
	s_waitcnt vmcnt(37) lgkmcnt(1)
	v_mul_f64 v[50:51], v[4:5], v[78:79]
	s_waitcnt vmcnt(36)
	v_fma_f64 v[48:49], v[10:11], v[70:71], -v[48:49]
	v_mul_f64 v[42:43], v[2:3], v[78:79]
	v_fma_f64 v[32:33], v[12:13], v[70:71], v[32:33]
	ds_read_b128 v[10:13], v1 offset:1904
	v_add_f64 v[18:19], v[18:19], v[44:45]
	v_add_f64 v[14:15], v[14:15], v[40:41]
	s_waitcnt vmcnt(35) lgkmcnt(1)
	v_mul_f64 v[44:45], v[8:9], v[80:81]
	v_mul_f64 v[40:41], v[6:7], v[80:81]
	s_waitcnt vmcnt(33)
	v_fma_f64 v[50:51], v[2:3], v[76:77], -v[50:51]
	v_fma_f64 v[42:43], v[4:5], v[76:77], v[42:43]
	ds_read_b128 v[2:5], v1 offset:1920
	v_add_f64 v[18:19], v[18:19], v[48:49]
	v_add_f64 v[14:15], v[14:15], v[32:33]
	s_waitcnt vmcnt(29) lgkmcnt(1)
	v_mul_f64 v[32:33], v[10:11], v[20:21]
	v_mul_f64 v[20:21], v[12:13], v[20:21]
	s_waitcnt vmcnt(28)
	v_fma_f64 v[44:45], v[6:7], v[82:83], -v[44:45]
	;; [unrolled: 9-line block ×4, first 2 shown]
	v_add_f64 v[18:19], v[18:19], v[20:21]
	v_fma_f64 v[20:21], v[4:5], v[127:128], v[42:43]
	v_add_f64 v[14:15], v[14:15], v[16:17]
	ds_read_b128 v[2:5], v1 offset:1968
	s_waitcnt vmcnt(19) lgkmcnt(1)
	v_mul_f64 v[42:43], v[12:13], v[74:75]
	v_mul_f64 v[16:17], v[10:11], v[74:75]
	s_waitcnt vmcnt(17)
	v_fma_f64 v[28:29], v[6:7], v[26:27], -v[28:29]
	v_fma_f64 v[26:27], v[8:9], v[26:27], v[32:33]
	ds_read_b128 v[6:9], v1 offset:1984
	v_add_f64 v[18:19], v[18:19], v[40:41]
	v_add_f64 v[14:15], v[14:15], v[20:21]
	s_waitcnt vmcnt(13) lgkmcnt(1)
	v_mul_f64 v[20:21], v[2:3], v[22:23]
	v_mul_f64 v[22:23], v[4:5], v[22:23]
	s_waitcnt vmcnt(12)
	v_fma_f64 v[32:33], v[10:11], v[119:120], -v[42:43]
	v_fma_f64 v[16:17], v[12:13], v[119:120], v[16:17]
	ds_read_b128 v[10:13], v1 offset:2000
	v_add_f64 v[18:19], v[18:19], v[28:29]
	v_add_f64 v[14:15], v[14:15], v[26:27]
	s_waitcnt vmcnt(11) lgkmcnt(1)
	v_mul_f64 v[28:29], v[8:9], v[38:39]
	v_mul_f64 v[26:27], v[6:7], v[38:39]
	s_waitcnt vmcnt(9)
	v_fma_f64 v[1:2], v[2:3], v[24:25], -v[22:23]
	v_fma_f64 v[3:4], v[4:5], v[24:25], v[20:21]
	v_add_f64 v[18:19], v[18:19], v[32:33]
	v_add_f64 v[14:15], v[14:15], v[16:17]
	s_waitcnt vmcnt(7) lgkmcnt(0)
	v_mul_f64 v[20:21], v[12:13], v[30:31]
	s_waitcnt vmcnt(6)
	v_fma_f64 v[5:6], v[6:7], v[117:118], -v[28:29]
	v_mul_f64 v[16:17], v[10:11], v[30:31]
	v_fma_f64 v[7:8], v[8:9], v[117:118], v[26:27]
	v_add_f64 v[1:2], v[18:19], v[1:2]
	v_add_f64 v[3:4], v[14:15], v[3:4]
	s_waitcnt vmcnt(4)
	v_fma_f64 v[9:10], v[10:11], v[34:35], -v[20:21]
	v_add_f64 v[1:2], v[1:2], v[5:6]
	v_fma_f64 v[5:6], v[12:13], v[34:35], v[16:17]
	v_add_f64 v[3:4], v[3:4], v[7:8]
	v_add_f64 v[1:2], v[1:2], v[9:10]
	;; [unrolled: 1-line block ×3, first 2 shown]
	s_waitcnt vmcnt(2)
	v_add_f64 v[1:2], v[36:37], -v[1:2]
	s_waitcnt vmcnt(0)
	v_add_f64 v[3:4], v[46:47], -v[3:4]
	buffer_store_dword v2, off, s[0:3], 0 offset:628
	buffer_store_dword v1, off, s[0:3], 0 offset:624
	;; [unrolled: 1-line block ×4, first 2 shown]
	v_cmpx_lt_u32_e32 37, v0
	s_cbranch_execz .LBB62_329
; %bb.328:
	v_mov_b32_e32 v4, s40
	v_mov_b32_e32 v5, 0
	s_clause 0x3
	buffer_load_dword v1, v4, s[0:3], 0 offen
	buffer_load_dword v2, v4, s[0:3], 0 offen offset:4
	buffer_load_dword v3, v4, s[0:3], 0 offen offset:8
	;; [unrolled: 1-line block ×3, first 2 shown]
	buffer_store_dword v5, off, s[0:3], 0 offset:608
	buffer_store_dword v5, off, s[0:3], 0 offset:612
	buffer_store_dword v5, off, s[0:3], 0 offset:616
	buffer_store_dword v5, off, s[0:3], 0 offset:620
	s_waitcnt vmcnt(0)
	ds_write_b128 v69, v[1:4]
.LBB62_329:
	s_or_b32 exec_lo, exec_lo, s4
	s_waitcnt lgkmcnt(0)
	s_waitcnt_vscnt null, 0x0
	s_barrier
	buffer_gl0_inv
	s_clause 0x37
	buffer_load_dword v10, off, s[0:3], 0 offset:632
	buffer_load_dword v11, off, s[0:3], 0 offset:636
	;; [unrolled: 1-line block ×56, first 2 shown]
	v_mov_b32_e32 v1, 0
	s_mov_b32 s4, exec_lo
	ds_read_b128 v[2:5], v1 offset:1616
	s_clause 0x2
	buffer_load_dword v67, off, s[0:3], 0 offset:860
	buffer_load_dword v73, off, s[0:3], 0 offset:836
	;; [unrolled: 1-line block ×3, first 2 shown]
	ds_read_b128 v[6:9], v1 offset:1632
	s_clause 0x4
	buffer_load_dword v79, off, s[0:3], 0 offset:876
	buffer_load_dword v80, off, s[0:3], 0 offset:888
	;; [unrolled: 1-line block ×5, first 2 shown]
	s_waitcnt vmcnt(62) lgkmcnt(1)
	v_mul_f64 v[74:75], v[4:5], v[10:11]
	v_mul_f64 v[76:77], v[2:3], v[10:11]
	s_waitcnt vmcnt(60) lgkmcnt(0)
	v_mul_f64 v[83:84], v[8:9], v[14:15]
	ds_read_b128 v[10:13], v1 offset:1648
	v_mul_f64 v[14:15], v[6:7], v[14:15]
	s_waitcnt vmcnt(58)
	v_fma_f64 v[74:75], v[2:3], v[16:17], -v[74:75]
	v_fma_f64 v[16:17], v[4:5], v[16:17], v[76:77]
	s_clause 0x2
	buffer_load_dword v81, off, s[0:3], 0 offset:892
	buffer_load_dword v77, off, s[0:3], 0 offset:868
	;; [unrolled: 1-line block ×3, first 2 shown]
	s_waitcnt vmcnt(59) lgkmcnt(0)
	v_mul_f64 v[117:118], v[10:11], v[18:19]
	v_mul_f64 v[18:19], v[12:13], v[18:19]
	s_waitcnt vmcnt(57)
	v_fma_f64 v[119:120], v[6:7], v[20:21], -v[83:84]
	ds_read_b128 v[2:5], v1 offset:1664
	v_fma_f64 v[14:15], v[8:9], v[20:21], v[14:15]
	s_clause 0x4
	buffer_load_dword v21, off, s[0:3], 0 offset:908
	buffer_load_dword v125, off, s[0:3], 0 offset:920
	;; [unrolled: 1-line block ×5, first 2 shown]
	ds_read_b128 v[6:9], v1 offset:1680
	v_add_f64 v[74:75], v[74:75], 0
	v_add_f64 v[16:17], v[16:17], 0
	s_waitcnt vmcnt(58) lgkmcnt(1)
	v_mul_f64 v[128:129], v[2:3], v[22:23]
	v_mul_f64 v[22:23], v[4:5], v[22:23]
	s_waitcnt vmcnt(56)
	v_fma_f64 v[18:19], v[10:11], v[28:29], -v[18:19]
	v_fma_f64 v[28:29], v[12:13], v[28:29], v[117:118]
	s_waitcnt vmcnt(55) lgkmcnt(0)
	v_mul_f64 v[117:118], v[6:7], v[24:25]
	v_mul_f64 v[24:25], v[8:9], v[24:25]
	v_add_f64 v[74:75], v[74:75], v[119:120]
	v_add_f64 v[14:15], v[16:17], v[14:15]
	s_clause 0x2
	buffer_load_dword v126, off, s[0:3], 0 offset:924
	buffer_load_dword v17, off, s[0:3], 0 offset:900
	;; [unrolled: 1-line block ×3, first 2 shown]
	ds_read_b128 v[10:13], v1 offset:1696
	s_waitcnt vmcnt(56)
	v_fma_f64 v[22:23], v[2:3], v[30:31], -v[22:23]
	v_fma_f64 v[30:31], v[4:5], v[30:31], v[128:129]
	s_waitcnt vmcnt(51)
	v_fma_f64 v[24:25], v[6:7], v[26:27], -v[24:25]
	v_add_f64 v[18:19], v[74:75], v[18:19]
	v_add_f64 v[14:15], v[14:15], v[28:29]
	s_clause 0x4
	buffer_load_dword v29, off, s[0:3], 0 offset:940
	buffer_load_dword v74, off, s[0:3], 0 offset:952
	;; [unrolled: 1-line block ×5, first 2 shown]
	s_waitcnt lgkmcnt(0)
	v_mul_f64 v[129:130], v[10:11], v[32:33]
	v_mul_f64 v[32:33], v[12:13], v[32:33]
	ds_read_b128 v[2:5], v1 offset:1712
	v_add_f64 v[18:19], v[18:19], v[22:23]
	v_fma_f64 v[22:23], v[8:9], v[26:27], v[117:118]
	v_add_f64 v[14:15], v[14:15], v[30:31]
	s_clause 0x2
	buffer_load_dword v75, off, s[0:3], 0 offset:956
	buffer_load_dword v27, off, s[0:3], 0 offset:932
	;; [unrolled: 1-line block ×3, first 2 shown]
	s_waitcnt vmcnt(58) lgkmcnt(0)
	v_mul_f64 v[30:31], v[2:3], v[34:35]
	v_mul_f64 v[34:35], v[4:5], v[34:35]
	s_waitcnt vmcnt(56)
	v_fma_f64 v[32:33], v[10:11], v[38:39], -v[32:33]
	ds_read_b128 v[6:9], v1 offset:1728
	v_add_f64 v[18:19], v[18:19], v[24:25]
	v_fma_f64 v[24:25], v[12:13], v[38:39], v[129:130]
	v_add_f64 v[14:15], v[14:15], v[22:23]
	s_clause 0x4
	buffer_load_dword v23, off, s[0:3], 0 offset:972
	buffer_load_dword v38, off, s[0:3], 0 offset:984
	;; [unrolled: 1-line block ×5, first 2 shown]
	ds_read_b128 v[10:13], v1 offset:1744
	s_waitcnt vmcnt(57) lgkmcnt(1)
	v_mul_f64 v[129:130], v[6:7], v[40:41]
	v_mul_f64 v[40:41], v[8:9], v[40:41]
	s_waitcnt vmcnt(56)
	v_fma_f64 v[34:35], v[2:3], v[36:37], -v[34:35]
	v_fma_f64 v[30:31], v[4:5], v[36:37], v[30:31]
	v_add_f64 v[18:19], v[18:19], v[32:33]
	v_add_f64 v[14:15], v[14:15], v[24:25]
	s_clause 0x2
	buffer_load_dword v39, off, s[0:3], 0 offset:988
	buffer_load_dword v25, off, s[0:3], 0 offset:964
	;; [unrolled: 1-line block ×3, first 2 shown]
	s_waitcnt vmcnt(58) lgkmcnt(0)
	v_mul_f64 v[36:37], v[12:13], v[42:43]
	ds_read_b128 v[2:5], v1 offset:1760
	s_waitcnt vmcnt(56)
	v_fma_f64 v[40:41], v[6:7], v[46:47], -v[40:41]
	v_mul_f64 v[32:33], v[10:11], v[42:43]
	v_add_f64 v[18:19], v[18:19], v[34:35]
	v_fma_f64 v[34:35], v[8:9], v[46:47], v[129:130]
	v_add_f64 v[14:15], v[14:15], v[30:31]
	s_clause 0x4
	buffer_load_dword v31, off, s[0:3], 0 offset:1004
	buffer_load_dword v42, off, s[0:3], 0 offset:1016
	;; [unrolled: 1-line block ×5, first 2 shown]
	s_waitcnt vmcnt(57) lgkmcnt(0)
	v_mul_f64 v[129:130], v[2:3], v[48:49]
	v_mul_f64 v[47:48], v[4:5], v[48:49]
	s_waitcnt vmcnt(56)
	v_fma_f64 v[36:37], v[10:11], v[44:45], -v[36:37]
	ds_read_b128 v[6:9], v1 offset:1776
	v_fma_f64 v[32:33], v[12:13], v[44:45], v[32:33]
	v_add_f64 v[18:19], v[18:19], v[40:41]
	v_add_f64 v[14:15], v[14:15], v[34:35]
	s_clause 0x2
	buffer_load_dword v43, off, s[0:3], 0 offset:1020
	buffer_load_dword v35, off, s[0:3], 0 offset:996
	;; [unrolled: 1-line block ×3, first 2 shown]
	ds_read_b128 v[10:13], v1 offset:1792
	s_waitcnt vmcnt(58) lgkmcnt(1)
	v_mul_f64 v[44:45], v[8:9], v[50:51]
	s_waitcnt vmcnt(56)
	v_fma_f64 v[48:49], v[2:3], v[54:55], -v[47:48]
	v_mul_f64 v[40:41], v[6:7], v[50:51]
	buffer_load_dword v47, off, s[0:3], 0 offset:1012
	v_add_f64 v[18:19], v[18:19], v[36:37]
	v_fma_f64 v[36:37], v[4:5], v[54:55], v[129:130]
	v_add_f64 v[14:15], v[14:15], v[32:33]
	ds_read_b128 v[2:5], v1 offset:1808
	s_waitcnt vmcnt(53) lgkmcnt(1)
	v_mul_f64 v[50:51], v[12:13], v[56:57]
	s_waitcnt vmcnt(52)
	v_fma_f64 v[44:45], v[6:7], v[52:53], -v[44:45]
	v_mul_f64 v[32:33], v[10:11], v[56:57]
	v_fma_f64 v[40:41], v[8:9], v[52:53], v[40:41]
	ds_read_b128 v[6:9], v1 offset:1824
	v_add_f64 v[18:19], v[18:19], v[48:49]
	s_waitcnt vmcnt(51) lgkmcnt(1)
	v_mul_f64 v[48:49], v[4:5], v[58:59]
	v_add_f64 v[14:15], v[14:15], v[36:37]
	v_mul_f64 v[36:37], v[2:3], v[58:59]
	s_waitcnt vmcnt(49)
	v_fma_f64 v[50:51], v[10:11], v[62:63], -v[50:51]
	v_fma_f64 v[32:33], v[12:13], v[62:63], v[32:33]
	s_waitcnt vmcnt(45) lgkmcnt(0)
	v_mul_f64 v[54:55], v[8:9], v[64:65]
	v_mul_f64 v[52:53], v[6:7], v[64:65]
	v_add_f64 v[18:19], v[18:19], v[44:45]
	s_waitcnt vmcnt(44)
	v_fma_f64 v[48:49], v[2:3], v[60:61], -v[48:49]
	v_add_f64 v[14:15], v[14:15], v[40:41]
	s_clause 0x3
	buffer_load_dword v40, off, s[0:3], 0 offset:608
	buffer_load_dword v41, off, s[0:3], 0 offset:612
	buffer_load_dword v44, off, s[0:3], 0 offset:616
	buffer_load_dword v45, off, s[0:3], 0 offset:620
	ds_read_b128 v[10:13], v1 offset:1840
	v_fma_f64 v[36:37], v[4:5], v[60:61], v[36:37]
	ds_read_b128 v[2:5], v1 offset:1856
	s_waitcnt vmcnt(45)
	v_fma_f64 v[54:55], v[6:7], v[72:73], -v[54:55]
	v_add_f64 v[18:19], v[18:19], v[50:51]
	v_add_f64 v[14:15], v[14:15], v[32:33]
	s_waitcnt lgkmcnt(1)
	v_mul_f64 v[50:51], v[12:13], v[66:67]
	v_mul_f64 v[32:33], v[10:11], v[66:67]
	v_add_f64 v[18:19], v[18:19], v[48:49]
	v_fma_f64 v[48:49], v[8:9], v[72:73], v[52:53]
	v_add_f64 v[14:15], v[14:15], v[36:37]
	s_waitcnt vmcnt(41) lgkmcnt(0)
	v_mul_f64 v[52:53], v[4:5], v[78:79]
	s_waitcnt vmcnt(40)
	v_fma_f64 v[50:51], v[10:11], v[70:71], -v[50:51]
	ds_read_b128 v[6:9], v1 offset:1872
	v_mul_f64 v[36:37], v[2:3], v[78:79]
	v_fma_f64 v[32:33], v[12:13], v[70:71], v[32:33]
	ds_read_b128 v[10:13], v1 offset:1888
	v_add_f64 v[18:19], v[18:19], v[54:55]
	v_add_f64 v[14:15], v[14:15], v[48:49]
	s_waitcnt vmcnt(39) lgkmcnt(1)
	v_mul_f64 v[54:55], v[8:9], v[80:81]
	v_mul_f64 v[48:49], v[6:7], v[80:81]
	s_waitcnt vmcnt(37)
	v_fma_f64 v[52:53], v[2:3], v[76:77], -v[52:53]
	v_fma_f64 v[36:37], v[4:5], v[76:77], v[36:37]
	ds_read_b128 v[2:5], v1 offset:1904
	v_add_f64 v[18:19], v[18:19], v[50:51]
	v_add_f64 v[14:15], v[14:15], v[32:33]
	s_waitcnt vmcnt(33) lgkmcnt(1)
	v_mul_f64 v[32:33], v[10:11], v[20:21]
	v_mul_f64 v[20:21], v[12:13], v[20:21]
	s_waitcnt vmcnt(32)
	v_fma_f64 v[50:51], v[6:7], v[82:83], -v[54:55]
	v_fma_f64 v[48:49], v[8:9], v[82:83], v[48:49]
	ds_read_b128 v[6:9], v1 offset:1920
	v_add_f64 v[18:19], v[18:19], v[52:53]
	v_add_f64 v[14:15], v[14:15], v[36:37]
	s_waitcnt vmcnt(31) lgkmcnt(1)
	v_mul_f64 v[52:53], v[4:5], v[125:126]
	v_mul_f64 v[36:37], v[2:3], v[125:126]
	s_waitcnt vmcnt(29)
	v_fma_f64 v[20:21], v[10:11], v[16:17], -v[20:21]
	v_fma_f64 v[16:17], v[12:13], v[16:17], v[32:33]
	ds_read_b128 v[10:13], v1 offset:1936
	v_add_f64 v[18:19], v[18:19], v[50:51]
	v_add_f64 v[14:15], v[14:15], v[48:49]
	s_waitcnt vmcnt(25) lgkmcnt(1)
	v_mul_f64 v[32:33], v[6:7], v[28:29]
	v_mul_f64 v[28:29], v[8:9], v[28:29]
	s_waitcnt vmcnt(24)
	v_fma_f64 v[48:49], v[2:3], v[127:128], -v[52:53]
	v_add_f64 v[18:19], v[18:19], v[20:21]
	v_fma_f64 v[20:21], v[4:5], v[127:128], v[36:37]
	v_add_f64 v[14:15], v[14:15], v[16:17]
	ds_read_b128 v[2:5], v1 offset:1952
	s_waitcnt vmcnt(23) lgkmcnt(1)
	v_mul_f64 v[36:37], v[12:13], v[74:75]
	v_mul_f64 v[16:17], v[10:11], v[74:75]
	s_waitcnt vmcnt(21)
	v_fma_f64 v[28:29], v[6:7], v[26:27], -v[28:29]
	v_fma_f64 v[26:27], v[8:9], v[26:27], v[32:33]
	ds_read_b128 v[6:9], v1 offset:1968
	v_add_f64 v[18:19], v[18:19], v[48:49]
	v_add_f64 v[14:15], v[14:15], v[20:21]
	s_waitcnt vmcnt(17) lgkmcnt(1)
	v_mul_f64 v[20:21], v[2:3], v[22:23]
	v_mul_f64 v[22:23], v[4:5], v[22:23]
	s_waitcnt vmcnt(16)
	v_fma_f64 v[32:33], v[10:11], v[119:120], -v[36:37]
	v_fma_f64 v[16:17], v[12:13], v[119:120], v[16:17]
	ds_read_b128 v[10:13], v1 offset:1984
	v_add_f64 v[18:19], v[18:19], v[28:29]
	v_add_f64 v[14:15], v[14:15], v[26:27]
	;; [unrolled: 9-line block ×3, first 2 shown]
	s_waitcnt vmcnt(9) lgkmcnt(1)
	v_mul_f64 v[24:25], v[12:13], v[30:31]
	s_waitcnt vmcnt(8)
	v_fma_f64 v[6:7], v[6:7], v[117:118], -v[28:29]
	v_mul_f64 v[16:17], v[10:11], v[30:31]
	v_fma_f64 v[8:9], v[8:9], v[117:118], v[26:27]
	v_add_f64 v[18:19], v[18:19], v[22:23]
	v_add_f64 v[14:15], v[14:15], v[20:21]
	s_waitcnt vmcnt(7) lgkmcnt(0)
	v_mul_f64 v[22:23], v[4:5], v[42:43]
	v_mul_f64 v[20:21], v[2:3], v[42:43]
	s_waitcnt vmcnt(5)
	v_fma_f64 v[10:11], v[10:11], v[34:35], -v[24:25]
	v_fma_f64 v[12:13], v[12:13], v[34:35], v[16:17]
	v_add_f64 v[6:7], v[18:19], v[6:7]
	v_add_f64 v[8:9], v[14:15], v[8:9]
	s_waitcnt vmcnt(4)
	v_fma_f64 v[2:3], v[2:3], v[46:47], -v[22:23]
	v_fma_f64 v[4:5], v[4:5], v[46:47], v[20:21]
	v_add_f64 v[6:7], v[6:7], v[10:11]
	v_add_f64 v[8:9], v[8:9], v[12:13]
	;; [unrolled: 1-line block ×4, first 2 shown]
	s_waitcnt vmcnt(2)
	v_add_f64 v[2:3], v[40:41], -v[2:3]
	s_waitcnt vmcnt(0)
	v_add_f64 v[4:5], v[44:45], -v[4:5]
	buffer_store_dword v3, off, s[0:3], 0 offset:612
	buffer_store_dword v2, off, s[0:3], 0 offset:608
	;; [unrolled: 1-line block ×4, first 2 shown]
	v_cmpx_lt_u32_e32 36, v0
	s_cbranch_execz .LBB62_331
; %bb.330:
	v_mov_b32_e32 v5, s41
	s_clause 0x3
	buffer_load_dword v2, v5, s[0:3], 0 offen
	buffer_load_dword v3, v5, s[0:3], 0 offen offset:4
	buffer_load_dword v4, v5, s[0:3], 0 offen offset:8
	buffer_load_dword v5, v5, s[0:3], 0 offen offset:12
	buffer_store_dword v1, off, s[0:3], 0 offset:592
	buffer_store_dword v1, off, s[0:3], 0 offset:596
	;; [unrolled: 1-line block ×4, first 2 shown]
	s_waitcnt vmcnt(0)
	ds_write_b128 v69, v[2:5]
.LBB62_331:
	s_or_b32 exec_lo, exec_lo, s4
	s_waitcnt lgkmcnt(0)
	s_waitcnt_vscnt null, 0x0
	s_barrier
	buffer_gl0_inv
	s_clause 0x37
	buffer_load_dword v10, off, s[0:3], 0 offset:616
	buffer_load_dword v11, off, s[0:3], 0 offset:620
	;; [unrolled: 1-line block ×56, first 2 shown]
	ds_read_b128 v[2:5], v1 offset:1600
	s_clause 0x2
	buffer_load_dword v67, off, s[0:3], 0 offset:844
	buffer_load_dword v73, off, s[0:3], 0 offset:820
	;; [unrolled: 1-line block ×3, first 2 shown]
	ds_read_b128 v[6:9], v1 offset:1616
	s_clause 0x4
	buffer_load_dword v79, off, s[0:3], 0 offset:860
	buffer_load_dword v80, off, s[0:3], 0 offset:872
	;; [unrolled: 1-line block ×5, first 2 shown]
	s_mov_b32 s4, exec_lo
	s_waitcnt vmcnt(62) lgkmcnt(1)
	v_mul_f64 v[74:75], v[4:5], v[10:11]
	v_mul_f64 v[76:77], v[2:3], v[10:11]
	s_waitcnt vmcnt(60) lgkmcnt(0)
	v_mul_f64 v[83:84], v[8:9], v[14:15]
	ds_read_b128 v[10:13], v1 offset:1632
	v_mul_f64 v[14:15], v[6:7], v[14:15]
	s_waitcnt vmcnt(58)
	v_fma_f64 v[74:75], v[2:3], v[16:17], -v[74:75]
	v_fma_f64 v[16:17], v[4:5], v[16:17], v[76:77]
	s_clause 0x2
	buffer_load_dword v81, off, s[0:3], 0 offset:876
	buffer_load_dword v77, off, s[0:3], 0 offset:852
	;; [unrolled: 1-line block ×3, first 2 shown]
	s_waitcnt vmcnt(59) lgkmcnt(0)
	v_mul_f64 v[117:118], v[10:11], v[18:19]
	v_mul_f64 v[18:19], v[12:13], v[18:19]
	s_waitcnt vmcnt(57)
	v_fma_f64 v[119:120], v[6:7], v[20:21], -v[83:84]
	ds_read_b128 v[2:5], v1 offset:1648
	v_fma_f64 v[14:15], v[8:9], v[20:21], v[14:15]
	s_clause 0x4
	buffer_load_dword v21, off, s[0:3], 0 offset:892
	buffer_load_dword v125, off, s[0:3], 0 offset:904
	;; [unrolled: 1-line block ×5, first 2 shown]
	ds_read_b128 v[6:9], v1 offset:1664
	v_add_f64 v[74:75], v[74:75], 0
	v_add_f64 v[16:17], v[16:17], 0
	s_waitcnt vmcnt(58) lgkmcnt(1)
	v_mul_f64 v[128:129], v[2:3], v[22:23]
	v_mul_f64 v[22:23], v[4:5], v[22:23]
	s_waitcnt vmcnt(56)
	v_fma_f64 v[18:19], v[10:11], v[28:29], -v[18:19]
	v_fma_f64 v[28:29], v[12:13], v[28:29], v[117:118]
	s_waitcnt vmcnt(55) lgkmcnt(0)
	v_mul_f64 v[117:118], v[6:7], v[24:25]
	v_mul_f64 v[24:25], v[8:9], v[24:25]
	v_add_f64 v[74:75], v[74:75], v[119:120]
	v_add_f64 v[14:15], v[16:17], v[14:15]
	s_clause 0x2
	buffer_load_dword v126, off, s[0:3], 0 offset:908
	buffer_load_dword v17, off, s[0:3], 0 offset:884
	;; [unrolled: 1-line block ×3, first 2 shown]
	ds_read_b128 v[10:13], v1 offset:1680
	s_waitcnt vmcnt(56)
	v_fma_f64 v[22:23], v[2:3], v[30:31], -v[22:23]
	v_fma_f64 v[30:31], v[4:5], v[30:31], v[128:129]
	s_waitcnt vmcnt(51)
	v_fma_f64 v[24:25], v[6:7], v[26:27], -v[24:25]
	v_add_f64 v[18:19], v[74:75], v[18:19]
	v_add_f64 v[14:15], v[14:15], v[28:29]
	s_clause 0x4
	buffer_load_dword v29, off, s[0:3], 0 offset:924
	buffer_load_dword v74, off, s[0:3], 0 offset:936
	;; [unrolled: 1-line block ×5, first 2 shown]
	s_waitcnt lgkmcnt(0)
	v_mul_f64 v[129:130], v[10:11], v[32:33]
	v_mul_f64 v[32:33], v[12:13], v[32:33]
	ds_read_b128 v[2:5], v1 offset:1696
	v_add_f64 v[18:19], v[18:19], v[22:23]
	v_fma_f64 v[22:23], v[8:9], v[26:27], v[117:118]
	v_add_f64 v[14:15], v[14:15], v[30:31]
	s_clause 0x2
	buffer_load_dword v75, off, s[0:3], 0 offset:940
	buffer_load_dword v27, off, s[0:3], 0 offset:916
	;; [unrolled: 1-line block ×3, first 2 shown]
	s_waitcnt vmcnt(58) lgkmcnt(0)
	v_mul_f64 v[30:31], v[2:3], v[34:35]
	v_mul_f64 v[34:35], v[4:5], v[34:35]
	s_waitcnt vmcnt(56)
	v_fma_f64 v[32:33], v[10:11], v[38:39], -v[32:33]
	ds_read_b128 v[6:9], v1 offset:1712
	v_add_f64 v[18:19], v[18:19], v[24:25]
	v_fma_f64 v[24:25], v[12:13], v[38:39], v[129:130]
	v_add_f64 v[14:15], v[14:15], v[22:23]
	s_clause 0x4
	buffer_load_dword v23, off, s[0:3], 0 offset:956
	buffer_load_dword v38, off, s[0:3], 0 offset:968
	;; [unrolled: 1-line block ×5, first 2 shown]
	ds_read_b128 v[10:13], v1 offset:1728
	s_waitcnt vmcnt(57) lgkmcnt(1)
	v_mul_f64 v[129:130], v[6:7], v[40:41]
	v_mul_f64 v[40:41], v[8:9], v[40:41]
	s_waitcnt vmcnt(56)
	v_fma_f64 v[34:35], v[2:3], v[36:37], -v[34:35]
	v_fma_f64 v[30:31], v[4:5], v[36:37], v[30:31]
	v_add_f64 v[18:19], v[18:19], v[32:33]
	v_add_f64 v[14:15], v[14:15], v[24:25]
	s_clause 0x2
	buffer_load_dword v39, off, s[0:3], 0 offset:972
	buffer_load_dword v25, off, s[0:3], 0 offset:948
	;; [unrolled: 1-line block ×3, first 2 shown]
	s_waitcnt vmcnt(58) lgkmcnt(0)
	v_mul_f64 v[36:37], v[12:13], v[42:43]
	ds_read_b128 v[2:5], v1 offset:1744
	s_waitcnt vmcnt(56)
	v_fma_f64 v[40:41], v[6:7], v[46:47], -v[40:41]
	v_mul_f64 v[32:33], v[10:11], v[42:43]
	v_add_f64 v[18:19], v[18:19], v[34:35]
	v_fma_f64 v[34:35], v[8:9], v[46:47], v[129:130]
	v_add_f64 v[14:15], v[14:15], v[30:31]
	s_clause 0x4
	buffer_load_dword v31, off, s[0:3], 0 offset:988
	buffer_load_dword v42, off, s[0:3], 0 offset:1000
	;; [unrolled: 1-line block ×5, first 2 shown]
	s_waitcnt vmcnt(57) lgkmcnt(0)
	v_mul_f64 v[129:130], v[2:3], v[48:49]
	v_mul_f64 v[47:48], v[4:5], v[48:49]
	s_waitcnt vmcnt(56)
	v_fma_f64 v[36:37], v[10:11], v[44:45], -v[36:37]
	ds_read_b128 v[6:9], v1 offset:1760
	v_fma_f64 v[32:33], v[12:13], v[44:45], v[32:33]
	v_add_f64 v[18:19], v[18:19], v[40:41]
	v_add_f64 v[14:15], v[14:15], v[34:35]
	s_clause 0x2
	buffer_load_dword v43, off, s[0:3], 0 offset:1004
	buffer_load_dword v35, off, s[0:3], 0 offset:980
	;; [unrolled: 1-line block ×3, first 2 shown]
	ds_read_b128 v[10:13], v1 offset:1776
	s_waitcnt vmcnt(58) lgkmcnt(1)
	v_mul_f64 v[44:45], v[8:9], v[50:51]
	s_waitcnt vmcnt(56)
	v_fma_f64 v[48:49], v[2:3], v[54:55], -v[47:48]
	v_mul_f64 v[40:41], v[6:7], v[50:51]
	v_add_f64 v[18:19], v[18:19], v[36:37]
	v_fma_f64 v[36:37], v[4:5], v[54:55], v[129:130]
	v_add_f64 v[14:15], v[14:15], v[32:33]
	s_clause 0x2
	buffer_load_dword v33, off, s[0:3], 0 offset:1020
	buffer_load_dword v32, off, s[0:3], 0 offset:1016
	;; [unrolled: 1-line block ×3, first 2 shown]
	s_waitcnt vmcnt(55) lgkmcnt(0)
	v_mul_f64 v[54:55], v[12:13], v[56:57]
	s_waitcnt vmcnt(54)
	v_fma_f64 v[44:45], v[6:7], v[52:53], -v[44:45]
	ds_read_b128 v[2:5], v1 offset:1792
	v_mul_f64 v[50:51], v[10:11], v[56:57]
	v_fma_f64 v[40:41], v[8:9], v[52:53], v[40:41]
	v_add_f64 v[18:19], v[18:19], v[48:49]
	v_add_f64 v[14:15], v[14:15], v[36:37]
	s_clause 0x1
	buffer_load_dword v37, off, s[0:3], 0 offset:1012
	buffer_load_dword v36, off, s[0:3], 0 offset:1008
	s_waitcnt vmcnt(55) lgkmcnt(0)
	v_mul_f64 v[52:53], v[4:5], v[58:59]
	s_waitcnt vmcnt(53)
	v_fma_f64 v[54:55], v[10:11], v[62:63], -v[54:55]
	ds_read_b128 v[6:9], v1 offset:1808
	v_mul_f64 v[48:49], v[2:3], v[58:59]
	v_add_f64 v[18:19], v[18:19], v[44:45]
	v_fma_f64 v[44:45], v[12:13], v[62:63], v[50:51]
	v_add_f64 v[14:15], v[14:15], v[40:41]
	ds_read_b128 v[10:13], v1 offset:1824
	s_waitcnt vmcnt(49) lgkmcnt(1)
	v_mul_f64 v[50:51], v[8:9], v[64:65]
	s_waitcnt vmcnt(48)
	v_fma_f64 v[52:53], v[2:3], v[60:61], -v[52:53]
	v_mul_f64 v[40:41], v[6:7], v[64:65]
	v_fma_f64 v[48:49], v[4:5], v[60:61], v[48:49]
	v_add_f64 v[18:19], v[18:19], v[54:55]
	s_waitcnt vmcnt(47) lgkmcnt(0)
	v_mul_f64 v[58:59], v[12:13], v[66:67]
	v_add_f64 v[14:15], v[14:15], v[44:45]
	s_clause 0x3
	buffer_load_dword v44, off, s[0:3], 0 offset:592
	buffer_load_dword v45, off, s[0:3], 0 offset:596
	;; [unrolled: 1-line block ×4, first 2 shown]
	s_waitcnt vmcnt(49)
	v_fma_f64 v[50:51], v[6:7], v[72:73], -v[50:51]
	ds_read_b128 v[2:5], v1 offset:1840
	v_mul_f64 v[56:57], v[10:11], v[66:67]
	v_fma_f64 v[40:41], v[8:9], v[72:73], v[40:41]
	ds_read_b128 v[6:9], v1 offset:1856
	v_add_f64 v[18:19], v[18:19], v[52:53]
	s_waitcnt vmcnt(44)
	v_fma_f64 v[58:59], v[10:11], v[70:71], -v[58:59]
	v_add_f64 v[14:15], v[14:15], v[48:49]
	s_waitcnt lgkmcnt(1)
	v_mul_f64 v[52:53], v[4:5], v[78:79]
	v_mul_f64 v[48:49], v[2:3], v[78:79]
	v_add_f64 v[18:19], v[18:19], v[50:51]
	v_fma_f64 v[50:51], v[12:13], v[70:71], v[56:57]
	v_add_f64 v[14:15], v[14:15], v[40:41]
	ds_read_b128 v[10:13], v1 offset:1872
	s_waitcnt vmcnt(43) lgkmcnt(1)
	v_mul_f64 v[56:57], v[8:9], v[80:81]
	v_mul_f64 v[40:41], v[6:7], v[80:81]
	s_waitcnt vmcnt(41)
	v_fma_f64 v[52:53], v[2:3], v[76:77], -v[52:53]
	v_fma_f64 v[48:49], v[4:5], v[76:77], v[48:49]
	ds_read_b128 v[2:5], v1 offset:1888
	v_add_f64 v[18:19], v[18:19], v[58:59]
	v_add_f64 v[14:15], v[14:15], v[50:51]
	s_waitcnt vmcnt(37) lgkmcnt(1)
	v_mul_f64 v[50:51], v[10:11], v[20:21]
	v_mul_f64 v[20:21], v[12:13], v[20:21]
	s_waitcnt vmcnt(36)
	v_fma_f64 v[56:57], v[6:7], v[82:83], -v[56:57]
	v_fma_f64 v[40:41], v[8:9], v[82:83], v[40:41]
	ds_read_b128 v[6:9], v1 offset:1904
	v_add_f64 v[18:19], v[18:19], v[52:53]
	v_add_f64 v[14:15], v[14:15], v[48:49]
	s_waitcnt vmcnt(35) lgkmcnt(1)
	v_mul_f64 v[52:53], v[4:5], v[125:126]
	v_mul_f64 v[48:49], v[2:3], v[125:126]
	s_waitcnt vmcnt(33)
	v_fma_f64 v[20:21], v[10:11], v[16:17], -v[20:21]
	v_fma_f64 v[16:17], v[12:13], v[16:17], v[50:51]
	ds_read_b128 v[10:13], v1 offset:1920
	v_add_f64 v[18:19], v[18:19], v[56:57]
	v_add_f64 v[14:15], v[14:15], v[40:41]
	s_waitcnt vmcnt(29) lgkmcnt(1)
	v_mul_f64 v[40:41], v[6:7], v[28:29]
	v_mul_f64 v[28:29], v[8:9], v[28:29]
	s_waitcnt vmcnt(28)
	v_fma_f64 v[50:51], v[2:3], v[127:128], -v[52:53]
	v_add_f64 v[18:19], v[18:19], v[20:21]
	v_fma_f64 v[20:21], v[4:5], v[127:128], v[48:49]
	v_add_f64 v[14:15], v[14:15], v[16:17]
	ds_read_b128 v[2:5], v1 offset:1936
	s_waitcnt vmcnt(27) lgkmcnt(1)
	v_mul_f64 v[48:49], v[12:13], v[74:75]
	v_mul_f64 v[16:17], v[10:11], v[74:75]
	s_waitcnt vmcnt(25)
	v_fma_f64 v[28:29], v[6:7], v[26:27], -v[28:29]
	v_fma_f64 v[26:27], v[8:9], v[26:27], v[40:41]
	ds_read_b128 v[6:9], v1 offset:1952
	v_add_f64 v[18:19], v[18:19], v[50:51]
	v_add_f64 v[14:15], v[14:15], v[20:21]
	s_waitcnt vmcnt(21) lgkmcnt(1)
	v_mul_f64 v[20:21], v[2:3], v[22:23]
	v_mul_f64 v[22:23], v[4:5], v[22:23]
	s_waitcnt vmcnt(20)
	v_fma_f64 v[40:41], v[10:11], v[119:120], -v[48:49]
	v_fma_f64 v[16:17], v[12:13], v[119:120], v[16:17]
	ds_read_b128 v[10:13], v1 offset:1968
	v_add_f64 v[18:19], v[18:19], v[28:29]
	v_add_f64 v[14:15], v[14:15], v[26:27]
	;; [unrolled: 9-line block ×3, first 2 shown]
	s_waitcnt vmcnt(13) lgkmcnt(1)
	v_mul_f64 v[24:25], v[12:13], v[30:31]
	s_waitcnt vmcnt(12)
	v_fma_f64 v[28:29], v[6:7], v[117:118], -v[28:29]
	v_mul_f64 v[16:17], v[10:11], v[30:31]
	v_add_f64 v[18:19], v[18:19], v[22:23]
	v_fma_f64 v[22:23], v[8:9], v[117:118], v[26:27]
	v_add_f64 v[14:15], v[14:15], v[20:21]
	ds_read_b128 v[6:9], v1 offset:2000
	s_waitcnt vmcnt(11) lgkmcnt(1)
	v_mul_f64 v[26:27], v[4:5], v[42:43]
	v_mul_f64 v[20:21], v[2:3], v[42:43]
	s_waitcnt vmcnt(9)
	v_fma_f64 v[10:11], v[10:11], v[34:35], -v[24:25]
	v_fma_f64 v[12:13], v[12:13], v[34:35], v[16:17]
	v_add_f64 v[18:19], v[18:19], v[28:29]
	v_add_f64 v[14:15], v[14:15], v[22:23]
	s_waitcnt vmcnt(7) lgkmcnt(0)
	v_mul_f64 v[22:23], v[8:9], v[32:33]
	s_waitcnt vmcnt(6)
	v_fma_f64 v[1:2], v[2:3], v[46:47], -v[26:27]
	v_mul_f64 v[16:17], v[6:7], v[32:33]
	v_fma_f64 v[3:4], v[4:5], v[46:47], v[20:21]
	v_add_f64 v[10:11], v[18:19], v[10:11]
	v_add_f64 v[12:13], v[14:15], v[12:13]
	s_waitcnt vmcnt(4)
	v_fma_f64 v[5:6], v[6:7], v[36:37], -v[22:23]
	v_fma_f64 v[7:8], v[8:9], v[36:37], v[16:17]
	v_add_f64 v[1:2], v[10:11], v[1:2]
	v_add_f64 v[3:4], v[12:13], v[3:4]
	;; [unrolled: 1-line block ×4, first 2 shown]
	s_waitcnt vmcnt(2)
	v_add_f64 v[1:2], v[44:45], -v[1:2]
	s_waitcnt vmcnt(0)
	v_add_f64 v[3:4], v[54:55], -v[3:4]
	buffer_store_dword v2, off, s[0:3], 0 offset:596
	buffer_store_dword v1, off, s[0:3], 0 offset:592
	;; [unrolled: 1-line block ×4, first 2 shown]
	v_cmpx_lt_u32_e32 35, v0
	s_cbranch_execz .LBB62_333
; %bb.332:
	v_mov_b32_e32 v4, s42
	v_mov_b32_e32 v5, 0
	s_clause 0x3
	buffer_load_dword v1, v4, s[0:3], 0 offen
	buffer_load_dword v2, v4, s[0:3], 0 offen offset:4
	buffer_load_dword v3, v4, s[0:3], 0 offen offset:8
	;; [unrolled: 1-line block ×3, first 2 shown]
	buffer_store_dword v5, off, s[0:3], 0 offset:576
	buffer_store_dword v5, off, s[0:3], 0 offset:580
	;; [unrolled: 1-line block ×4, first 2 shown]
	s_waitcnt vmcnt(0)
	ds_write_b128 v69, v[1:4]
.LBB62_333:
	s_or_b32 exec_lo, exec_lo, s4
	s_waitcnt lgkmcnt(0)
	s_waitcnt_vscnt null, 0x0
	s_barrier
	buffer_gl0_inv
	s_clause 0x37
	buffer_load_dword v10, off, s[0:3], 0 offset:600
	buffer_load_dword v11, off, s[0:3], 0 offset:604
	;; [unrolled: 1-line block ×56, first 2 shown]
	v_mov_b32_e32 v1, 0
	s_mov_b32 s4, exec_lo
	ds_read_b128 v[2:5], v1 offset:1584
	s_clause 0x2
	buffer_load_dword v67, off, s[0:3], 0 offset:828
	buffer_load_dword v73, off, s[0:3], 0 offset:804
	;; [unrolled: 1-line block ×3, first 2 shown]
	ds_read_b128 v[6:9], v1 offset:1600
	s_clause 0x4
	buffer_load_dword v79, off, s[0:3], 0 offset:844
	buffer_load_dword v80, off, s[0:3], 0 offset:856
	;; [unrolled: 1-line block ×5, first 2 shown]
	s_waitcnt vmcnt(62) lgkmcnt(1)
	v_mul_f64 v[74:75], v[4:5], v[10:11]
	v_mul_f64 v[76:77], v[2:3], v[10:11]
	s_waitcnt vmcnt(60) lgkmcnt(0)
	v_mul_f64 v[83:84], v[8:9], v[14:15]
	ds_read_b128 v[10:13], v1 offset:1616
	v_mul_f64 v[14:15], v[6:7], v[14:15]
	s_waitcnt vmcnt(58)
	v_fma_f64 v[74:75], v[2:3], v[16:17], -v[74:75]
	v_fma_f64 v[16:17], v[4:5], v[16:17], v[76:77]
	s_clause 0x2
	buffer_load_dword v81, off, s[0:3], 0 offset:860
	buffer_load_dword v77, off, s[0:3], 0 offset:836
	;; [unrolled: 1-line block ×3, first 2 shown]
	s_waitcnt vmcnt(59) lgkmcnt(0)
	v_mul_f64 v[117:118], v[10:11], v[18:19]
	v_mul_f64 v[18:19], v[12:13], v[18:19]
	s_waitcnt vmcnt(57)
	v_fma_f64 v[119:120], v[6:7], v[20:21], -v[83:84]
	ds_read_b128 v[2:5], v1 offset:1632
	v_fma_f64 v[14:15], v[8:9], v[20:21], v[14:15]
	s_clause 0x4
	buffer_load_dword v21, off, s[0:3], 0 offset:876
	buffer_load_dword v125, off, s[0:3], 0 offset:888
	;; [unrolled: 1-line block ×5, first 2 shown]
	ds_read_b128 v[6:9], v1 offset:1648
	v_add_f64 v[74:75], v[74:75], 0
	v_add_f64 v[16:17], v[16:17], 0
	s_waitcnt vmcnt(58) lgkmcnt(1)
	v_mul_f64 v[128:129], v[2:3], v[22:23]
	v_mul_f64 v[22:23], v[4:5], v[22:23]
	s_waitcnt vmcnt(56)
	v_fma_f64 v[18:19], v[10:11], v[28:29], -v[18:19]
	v_fma_f64 v[28:29], v[12:13], v[28:29], v[117:118]
	s_waitcnt vmcnt(55) lgkmcnt(0)
	v_mul_f64 v[117:118], v[6:7], v[24:25]
	v_mul_f64 v[24:25], v[8:9], v[24:25]
	v_add_f64 v[74:75], v[74:75], v[119:120]
	v_add_f64 v[14:15], v[16:17], v[14:15]
	s_clause 0x2
	buffer_load_dword v126, off, s[0:3], 0 offset:892
	buffer_load_dword v17, off, s[0:3], 0 offset:868
	;; [unrolled: 1-line block ×3, first 2 shown]
	ds_read_b128 v[10:13], v1 offset:1664
	s_waitcnt vmcnt(56)
	v_fma_f64 v[22:23], v[2:3], v[30:31], -v[22:23]
	v_fma_f64 v[30:31], v[4:5], v[30:31], v[128:129]
	s_waitcnt vmcnt(51)
	v_fma_f64 v[24:25], v[6:7], v[26:27], -v[24:25]
	v_add_f64 v[18:19], v[74:75], v[18:19]
	v_add_f64 v[14:15], v[14:15], v[28:29]
	s_clause 0x4
	buffer_load_dword v29, off, s[0:3], 0 offset:908
	buffer_load_dword v74, off, s[0:3], 0 offset:920
	;; [unrolled: 1-line block ×5, first 2 shown]
	s_waitcnt lgkmcnt(0)
	v_mul_f64 v[129:130], v[10:11], v[32:33]
	v_mul_f64 v[32:33], v[12:13], v[32:33]
	ds_read_b128 v[2:5], v1 offset:1680
	v_add_f64 v[18:19], v[18:19], v[22:23]
	v_fma_f64 v[22:23], v[8:9], v[26:27], v[117:118]
	v_add_f64 v[14:15], v[14:15], v[30:31]
	s_clause 0x2
	buffer_load_dword v75, off, s[0:3], 0 offset:924
	buffer_load_dword v27, off, s[0:3], 0 offset:900
	;; [unrolled: 1-line block ×3, first 2 shown]
	s_waitcnt vmcnt(58) lgkmcnt(0)
	v_mul_f64 v[30:31], v[2:3], v[34:35]
	v_mul_f64 v[34:35], v[4:5], v[34:35]
	s_waitcnt vmcnt(56)
	v_fma_f64 v[32:33], v[10:11], v[38:39], -v[32:33]
	ds_read_b128 v[6:9], v1 offset:1696
	v_add_f64 v[18:19], v[18:19], v[24:25]
	v_fma_f64 v[24:25], v[12:13], v[38:39], v[129:130]
	v_add_f64 v[14:15], v[14:15], v[22:23]
	s_clause 0x4
	buffer_load_dword v23, off, s[0:3], 0 offset:940
	buffer_load_dword v38, off, s[0:3], 0 offset:952
	;; [unrolled: 1-line block ×5, first 2 shown]
	ds_read_b128 v[10:13], v1 offset:1712
	s_waitcnt vmcnt(57) lgkmcnt(1)
	v_mul_f64 v[129:130], v[6:7], v[40:41]
	v_mul_f64 v[40:41], v[8:9], v[40:41]
	s_waitcnt vmcnt(56)
	v_fma_f64 v[34:35], v[2:3], v[36:37], -v[34:35]
	v_fma_f64 v[30:31], v[4:5], v[36:37], v[30:31]
	v_add_f64 v[18:19], v[18:19], v[32:33]
	v_add_f64 v[14:15], v[14:15], v[24:25]
	s_clause 0x2
	buffer_load_dword v39, off, s[0:3], 0 offset:956
	buffer_load_dword v25, off, s[0:3], 0 offset:932
	buffer_load_dword v24, off, s[0:3], 0 offset:928
	s_waitcnt vmcnt(58) lgkmcnt(0)
	v_mul_f64 v[36:37], v[12:13], v[42:43]
	ds_read_b128 v[2:5], v1 offset:1728
	s_waitcnt vmcnt(56)
	v_fma_f64 v[40:41], v[6:7], v[46:47], -v[40:41]
	v_mul_f64 v[32:33], v[10:11], v[42:43]
	v_add_f64 v[18:19], v[18:19], v[34:35]
	v_fma_f64 v[34:35], v[8:9], v[46:47], v[129:130]
	v_add_f64 v[14:15], v[14:15], v[30:31]
	s_clause 0x4
	buffer_load_dword v31, off, s[0:3], 0 offset:972
	buffer_load_dword v42, off, s[0:3], 0 offset:984
	;; [unrolled: 1-line block ×5, first 2 shown]
	s_waitcnt vmcnt(57) lgkmcnt(0)
	v_mul_f64 v[129:130], v[2:3], v[48:49]
	v_mul_f64 v[47:48], v[4:5], v[48:49]
	s_waitcnt vmcnt(56)
	v_fma_f64 v[36:37], v[10:11], v[44:45], -v[36:37]
	ds_read_b128 v[6:9], v1 offset:1744
	v_fma_f64 v[32:33], v[12:13], v[44:45], v[32:33]
	v_add_f64 v[18:19], v[18:19], v[40:41]
	v_add_f64 v[14:15], v[14:15], v[34:35]
	s_clause 0x2
	buffer_load_dword v43, off, s[0:3], 0 offset:988
	buffer_load_dword v35, off, s[0:3], 0 offset:964
	;; [unrolled: 1-line block ×3, first 2 shown]
	ds_read_b128 v[10:13], v1 offset:1760
	s_waitcnt vmcnt(58) lgkmcnt(1)
	v_mul_f64 v[44:45], v[8:9], v[50:51]
	s_waitcnt vmcnt(56)
	v_fma_f64 v[48:49], v[2:3], v[54:55], -v[47:48]
	v_mul_f64 v[40:41], v[6:7], v[50:51]
	v_add_f64 v[18:19], v[18:19], v[36:37]
	v_fma_f64 v[36:37], v[4:5], v[54:55], v[129:130]
	v_add_f64 v[14:15], v[14:15], v[32:33]
	s_clause 0x4
	buffer_load_dword v33, off, s[0:3], 0 offset:1004
	buffer_load_dword v50, off, s[0:3], 0 offset:1016
	;; [unrolled: 1-line block ×5, first 2 shown]
	s_waitcnt vmcnt(57) lgkmcnt(0)
	v_mul_f64 v[129:130], v[10:11], v[56:57]
	v_mul_f64 v[55:56], v[12:13], v[56:57]
	s_waitcnt vmcnt(56)
	v_fma_f64 v[44:45], v[6:7], v[52:53], -v[44:45]
	ds_read_b128 v[2:5], v1 offset:1776
	v_fma_f64 v[40:41], v[8:9], v[52:53], v[40:41]
	v_add_f64 v[18:19], v[18:19], v[48:49]
	v_add_f64 v[14:15], v[14:15], v[36:37]
	s_clause 0x2
	buffer_load_dword v51, off, s[0:3], 0 offset:1020
	buffer_load_dword v37, off, s[0:3], 0 offset:996
	;; [unrolled: 1-line block ×3, first 2 shown]
	ds_read_b128 v[6:9], v1 offset:1792
	s_waitcnt vmcnt(58) lgkmcnt(1)
	v_mul_f64 v[52:53], v[4:5], v[58:59]
	s_waitcnt vmcnt(56)
	v_fma_f64 v[56:57], v[10:11], v[62:63], -v[55:56]
	v_mul_f64 v[48:49], v[2:3], v[58:59]
	buffer_load_dword v55, off, s[0:3], 0 offset:1012
	v_add_f64 v[18:19], v[18:19], v[44:45]
	v_fma_f64 v[44:45], v[12:13], v[62:63], v[129:130]
	v_add_f64 v[14:15], v[14:15], v[40:41]
	ds_read_b128 v[10:13], v1 offset:1808
	s_waitcnt vmcnt(53) lgkmcnt(1)
	v_mul_f64 v[58:59], v[8:9], v[64:65]
	s_waitcnt vmcnt(52)
	v_fma_f64 v[52:53], v[2:3], v[60:61], -v[52:53]
	v_mul_f64 v[40:41], v[6:7], v[64:65]
	v_fma_f64 v[48:49], v[4:5], v[60:61], v[48:49]
	ds_read_b128 v[2:5], v1 offset:1824
	v_add_f64 v[18:19], v[18:19], v[56:57]
	s_waitcnt vmcnt(51) lgkmcnt(1)
	v_mul_f64 v[56:57], v[12:13], v[66:67]
	v_add_f64 v[14:15], v[14:15], v[44:45]
	v_mul_f64 v[44:45], v[10:11], v[66:67]
	s_waitcnt vmcnt(49)
	v_fma_f64 v[58:59], v[6:7], v[72:73], -v[58:59]
	v_fma_f64 v[40:41], v[8:9], v[72:73], v[40:41]
	s_waitcnt vmcnt(45) lgkmcnt(0)
	v_mul_f64 v[62:63], v[4:5], v[78:79]
	v_mul_f64 v[60:61], v[2:3], v[78:79]
	v_add_f64 v[18:19], v[18:19], v[52:53]
	s_waitcnt vmcnt(44)
	v_fma_f64 v[56:57], v[10:11], v[70:71], -v[56:57]
	v_add_f64 v[14:15], v[14:15], v[48:49]
	s_clause 0x3
	buffer_load_dword v48, off, s[0:3], 0 offset:576
	buffer_load_dword v49, off, s[0:3], 0 offset:580
	;; [unrolled: 1-line block ×4, first 2 shown]
	ds_read_b128 v[6:9], v1 offset:1840
	v_fma_f64 v[44:45], v[12:13], v[70:71], v[44:45]
	ds_read_b128 v[10:13], v1 offset:1856
	v_add_f64 v[18:19], v[18:19], v[58:59]
	v_add_f64 v[14:15], v[14:15], v[40:41]
	s_waitcnt vmcnt(47) lgkmcnt(1)
	v_mul_f64 v[58:59], v[8:9], v[80:81]
	v_mul_f64 v[40:41], v[6:7], v[80:81]
	s_waitcnt vmcnt(45)
	v_fma_f64 v[62:63], v[2:3], v[76:77], -v[62:63]
	v_add_f64 v[18:19], v[18:19], v[56:57]
	v_fma_f64 v[56:57], v[4:5], v[76:77], v[60:61]
	v_add_f64 v[14:15], v[14:15], v[44:45]
	s_waitcnt vmcnt(41) lgkmcnt(0)
	v_mul_f64 v[44:45], v[10:11], v[20:21]
	v_mul_f64 v[20:21], v[12:13], v[20:21]
	ds_read_b128 v[2:5], v1 offset:1872
	s_waitcnt vmcnt(40)
	v_fma_f64 v[58:59], v[6:7], v[82:83], -v[58:59]
	v_fma_f64 v[40:41], v[8:9], v[82:83], v[40:41]
	ds_read_b128 v[6:9], v1 offset:1888
	v_add_f64 v[18:19], v[18:19], v[62:63]
	v_add_f64 v[14:15], v[14:15], v[56:57]
	s_waitcnt vmcnt(39) lgkmcnt(1)
	v_mul_f64 v[60:61], v[4:5], v[125:126]
	v_mul_f64 v[56:57], v[2:3], v[125:126]
	s_waitcnt vmcnt(37)
	v_fma_f64 v[20:21], v[10:11], v[16:17], -v[20:21]
	v_fma_f64 v[16:17], v[12:13], v[16:17], v[44:45]
	ds_read_b128 v[10:13], v1 offset:1904
	v_add_f64 v[18:19], v[18:19], v[58:59]
	v_add_f64 v[14:15], v[14:15], v[40:41]
	s_waitcnt vmcnt(33) lgkmcnt(1)
	v_mul_f64 v[40:41], v[6:7], v[28:29]
	v_mul_f64 v[28:29], v[8:9], v[28:29]
	s_waitcnt vmcnt(32)
	v_fma_f64 v[44:45], v[2:3], v[127:128], -v[60:61]
	v_add_f64 v[18:19], v[18:19], v[20:21]
	v_fma_f64 v[20:21], v[4:5], v[127:128], v[56:57]
	v_add_f64 v[14:15], v[14:15], v[16:17]
	ds_read_b128 v[2:5], v1 offset:1920
	s_waitcnt vmcnt(31) lgkmcnt(1)
	v_mul_f64 v[56:57], v[12:13], v[74:75]
	v_mul_f64 v[16:17], v[10:11], v[74:75]
	s_waitcnt vmcnt(29)
	v_fma_f64 v[28:29], v[6:7], v[26:27], -v[28:29]
	v_fma_f64 v[26:27], v[8:9], v[26:27], v[40:41]
	ds_read_b128 v[6:9], v1 offset:1936
	v_add_f64 v[18:19], v[18:19], v[44:45]
	v_add_f64 v[14:15], v[14:15], v[20:21]
	s_waitcnt vmcnt(25) lgkmcnt(1)
	v_mul_f64 v[20:21], v[2:3], v[22:23]
	v_mul_f64 v[22:23], v[4:5], v[22:23]
	s_waitcnt vmcnt(24)
	v_fma_f64 v[40:41], v[10:11], v[119:120], -v[56:57]
	v_fma_f64 v[16:17], v[12:13], v[119:120], v[16:17]
	ds_read_b128 v[10:13], v1 offset:1952
	v_add_f64 v[18:19], v[18:19], v[28:29]
	v_add_f64 v[14:15], v[14:15], v[26:27]
	;; [unrolled: 9-line block ×3, first 2 shown]
	s_waitcnt vmcnt(17) lgkmcnt(1)
	v_mul_f64 v[24:25], v[12:13], v[30:31]
	s_waitcnt vmcnt(16)
	v_fma_f64 v[28:29], v[6:7], v[117:118], -v[28:29]
	v_mul_f64 v[16:17], v[10:11], v[30:31]
	v_add_f64 v[18:19], v[18:19], v[22:23]
	v_fma_f64 v[22:23], v[8:9], v[117:118], v[26:27]
	v_add_f64 v[14:15], v[14:15], v[20:21]
	ds_read_b128 v[6:9], v1 offset:1984
	s_waitcnt vmcnt(15) lgkmcnt(1)
	v_mul_f64 v[26:27], v[4:5], v[42:43]
	v_mul_f64 v[20:21], v[2:3], v[42:43]
	s_waitcnt vmcnt(13)
	v_fma_f64 v[24:25], v[10:11], v[34:35], -v[24:25]
	v_fma_f64 v[16:17], v[12:13], v[34:35], v[16:17]
	ds_read_b128 v[10:13], v1 offset:2000
	v_add_f64 v[18:19], v[18:19], v[28:29]
	v_add_f64 v[14:15], v[14:15], v[22:23]
	s_waitcnt vmcnt(9) lgkmcnt(1)
	v_mul_f64 v[28:29], v[8:9], v[32:33]
	s_waitcnt vmcnt(8)
	v_fma_f64 v[2:3], v[2:3], v[46:47], -v[26:27]
	v_mul_f64 v[22:23], v[6:7], v[32:33]
	v_fma_f64 v[4:5], v[4:5], v[46:47], v[20:21]
	v_add_f64 v[18:19], v[18:19], v[24:25]
	v_add_f64 v[14:15], v[14:15], v[16:17]
	s_waitcnt vmcnt(7) lgkmcnt(0)
	v_mul_f64 v[20:21], v[12:13], v[50:51]
	v_mul_f64 v[16:17], v[10:11], v[50:51]
	s_waitcnt vmcnt(5)
	v_fma_f64 v[6:7], v[6:7], v[36:37], -v[28:29]
	v_fma_f64 v[8:9], v[8:9], v[36:37], v[22:23]
	v_add_f64 v[2:3], v[18:19], v[2:3]
	v_add_f64 v[4:5], v[14:15], v[4:5]
	s_waitcnt vmcnt(4)
	v_fma_f64 v[10:11], v[10:11], v[54:55], -v[20:21]
	v_add_f64 v[2:3], v[2:3], v[6:7]
	v_fma_f64 v[6:7], v[12:13], v[54:55], v[16:17]
	v_add_f64 v[4:5], v[4:5], v[8:9]
	v_add_f64 v[2:3], v[2:3], v[10:11]
	;; [unrolled: 1-line block ×3, first 2 shown]
	s_waitcnt vmcnt(2)
	v_add_f64 v[2:3], v[48:49], -v[2:3]
	s_waitcnt vmcnt(0)
	v_add_f64 v[4:5], v[52:53], -v[4:5]
	buffer_store_dword v3, off, s[0:3], 0 offset:580
	buffer_store_dword v2, off, s[0:3], 0 offset:576
	;; [unrolled: 1-line block ×4, first 2 shown]
	v_cmpx_lt_u32_e32 34, v0
	s_cbranch_execz .LBB62_335
; %bb.334:
	v_mov_b32_e32 v5, s43
	s_clause 0x3
	buffer_load_dword v2, v5, s[0:3], 0 offen
	buffer_load_dword v3, v5, s[0:3], 0 offen offset:4
	buffer_load_dword v4, v5, s[0:3], 0 offen offset:8
	;; [unrolled: 1-line block ×3, first 2 shown]
	buffer_store_dword v1, off, s[0:3], 0 offset:560
	buffer_store_dword v1, off, s[0:3], 0 offset:564
	;; [unrolled: 1-line block ×4, first 2 shown]
	s_waitcnt vmcnt(0)
	ds_write_b128 v69, v[2:5]
.LBB62_335:
	s_or_b32 exec_lo, exec_lo, s4
	s_waitcnt lgkmcnt(0)
	s_waitcnt_vscnt null, 0x0
	s_barrier
	buffer_gl0_inv
	s_clause 0x37
	buffer_load_dword v10, off, s[0:3], 0 offset:584
	buffer_load_dword v11, off, s[0:3], 0 offset:588
	;; [unrolled: 1-line block ×56, first 2 shown]
	ds_read_b128 v[2:5], v1 offset:1568
	s_clause 0x2
	buffer_load_dword v67, off, s[0:3], 0 offset:812
	buffer_load_dword v73, off, s[0:3], 0 offset:788
	;; [unrolled: 1-line block ×3, first 2 shown]
	ds_read_b128 v[6:9], v1 offset:1584
	s_clause 0x4
	buffer_load_dword v79, off, s[0:3], 0 offset:828
	buffer_load_dword v80, off, s[0:3], 0 offset:840
	;; [unrolled: 1-line block ×5, first 2 shown]
	s_mov_b32 s4, exec_lo
	s_waitcnt vmcnt(62) lgkmcnt(1)
	v_mul_f64 v[74:75], v[4:5], v[10:11]
	v_mul_f64 v[76:77], v[2:3], v[10:11]
	s_waitcnt vmcnt(60) lgkmcnt(0)
	v_mul_f64 v[83:84], v[8:9], v[14:15]
	ds_read_b128 v[10:13], v1 offset:1600
	v_mul_f64 v[14:15], v[6:7], v[14:15]
	s_waitcnt vmcnt(58)
	v_fma_f64 v[74:75], v[2:3], v[16:17], -v[74:75]
	v_fma_f64 v[16:17], v[4:5], v[16:17], v[76:77]
	s_clause 0x2
	buffer_load_dword v81, off, s[0:3], 0 offset:844
	buffer_load_dword v77, off, s[0:3], 0 offset:820
	;; [unrolled: 1-line block ×3, first 2 shown]
	s_waitcnt vmcnt(59) lgkmcnt(0)
	v_mul_f64 v[117:118], v[10:11], v[18:19]
	v_mul_f64 v[18:19], v[12:13], v[18:19]
	s_waitcnt vmcnt(57)
	v_fma_f64 v[119:120], v[6:7], v[20:21], -v[83:84]
	ds_read_b128 v[2:5], v1 offset:1616
	v_fma_f64 v[14:15], v[8:9], v[20:21], v[14:15]
	s_clause 0x4
	buffer_load_dword v21, off, s[0:3], 0 offset:860
	buffer_load_dword v125, off, s[0:3], 0 offset:872
	;; [unrolled: 1-line block ×5, first 2 shown]
	ds_read_b128 v[6:9], v1 offset:1632
	v_add_f64 v[74:75], v[74:75], 0
	v_add_f64 v[16:17], v[16:17], 0
	s_waitcnt vmcnt(58) lgkmcnt(1)
	v_mul_f64 v[128:129], v[2:3], v[22:23]
	v_mul_f64 v[22:23], v[4:5], v[22:23]
	s_waitcnt vmcnt(56)
	v_fma_f64 v[18:19], v[10:11], v[28:29], -v[18:19]
	v_fma_f64 v[28:29], v[12:13], v[28:29], v[117:118]
	s_waitcnt vmcnt(55) lgkmcnt(0)
	v_mul_f64 v[117:118], v[6:7], v[24:25]
	v_mul_f64 v[24:25], v[8:9], v[24:25]
	v_add_f64 v[74:75], v[74:75], v[119:120]
	v_add_f64 v[14:15], v[16:17], v[14:15]
	s_clause 0x2
	buffer_load_dword v126, off, s[0:3], 0 offset:876
	buffer_load_dword v17, off, s[0:3], 0 offset:852
	;; [unrolled: 1-line block ×3, first 2 shown]
	ds_read_b128 v[10:13], v1 offset:1648
	s_waitcnt vmcnt(56)
	v_fma_f64 v[22:23], v[2:3], v[30:31], -v[22:23]
	v_fma_f64 v[30:31], v[4:5], v[30:31], v[128:129]
	s_waitcnt vmcnt(51)
	v_fma_f64 v[24:25], v[6:7], v[26:27], -v[24:25]
	v_add_f64 v[18:19], v[74:75], v[18:19]
	v_add_f64 v[14:15], v[14:15], v[28:29]
	s_clause 0x4
	buffer_load_dword v29, off, s[0:3], 0 offset:892
	buffer_load_dword v74, off, s[0:3], 0 offset:904
	;; [unrolled: 1-line block ×5, first 2 shown]
	s_waitcnt lgkmcnt(0)
	v_mul_f64 v[129:130], v[10:11], v[32:33]
	v_mul_f64 v[32:33], v[12:13], v[32:33]
	ds_read_b128 v[2:5], v1 offset:1664
	v_add_f64 v[18:19], v[18:19], v[22:23]
	v_fma_f64 v[22:23], v[8:9], v[26:27], v[117:118]
	v_add_f64 v[14:15], v[14:15], v[30:31]
	s_clause 0x2
	buffer_load_dword v75, off, s[0:3], 0 offset:908
	buffer_load_dword v27, off, s[0:3], 0 offset:884
	;; [unrolled: 1-line block ×3, first 2 shown]
	s_waitcnt vmcnt(58) lgkmcnt(0)
	v_mul_f64 v[30:31], v[2:3], v[34:35]
	v_mul_f64 v[34:35], v[4:5], v[34:35]
	s_waitcnt vmcnt(56)
	v_fma_f64 v[32:33], v[10:11], v[38:39], -v[32:33]
	ds_read_b128 v[6:9], v1 offset:1680
	v_add_f64 v[18:19], v[18:19], v[24:25]
	v_fma_f64 v[24:25], v[12:13], v[38:39], v[129:130]
	v_add_f64 v[14:15], v[14:15], v[22:23]
	s_clause 0x4
	buffer_load_dword v23, off, s[0:3], 0 offset:924
	buffer_load_dword v38, off, s[0:3], 0 offset:936
	;; [unrolled: 1-line block ×5, first 2 shown]
	ds_read_b128 v[10:13], v1 offset:1696
	s_waitcnt vmcnt(57) lgkmcnt(1)
	v_mul_f64 v[129:130], v[6:7], v[40:41]
	v_mul_f64 v[40:41], v[8:9], v[40:41]
	s_waitcnt vmcnt(56)
	v_fma_f64 v[34:35], v[2:3], v[36:37], -v[34:35]
	v_fma_f64 v[30:31], v[4:5], v[36:37], v[30:31]
	v_add_f64 v[18:19], v[18:19], v[32:33]
	v_add_f64 v[14:15], v[14:15], v[24:25]
	s_clause 0x2
	buffer_load_dword v39, off, s[0:3], 0 offset:940
	buffer_load_dword v25, off, s[0:3], 0 offset:916
	;; [unrolled: 1-line block ×3, first 2 shown]
	s_waitcnt vmcnt(58) lgkmcnt(0)
	v_mul_f64 v[36:37], v[12:13], v[42:43]
	ds_read_b128 v[2:5], v1 offset:1712
	s_waitcnt vmcnt(56)
	v_fma_f64 v[40:41], v[6:7], v[46:47], -v[40:41]
	v_mul_f64 v[32:33], v[10:11], v[42:43]
	v_add_f64 v[18:19], v[18:19], v[34:35]
	v_fma_f64 v[34:35], v[8:9], v[46:47], v[129:130]
	v_add_f64 v[14:15], v[14:15], v[30:31]
	s_clause 0x4
	buffer_load_dword v31, off, s[0:3], 0 offset:956
	buffer_load_dword v42, off, s[0:3], 0 offset:968
	buffer_load_dword v46, off, s[0:3], 0 offset:960
	buffer_load_dword v30, off, s[0:3], 0 offset:952
	buffer_load_dword v118, off, s[0:3], 0 offset:932
	s_waitcnt vmcnt(57) lgkmcnt(0)
	v_mul_f64 v[129:130], v[2:3], v[48:49]
	v_mul_f64 v[47:48], v[4:5], v[48:49]
	s_waitcnt vmcnt(56)
	v_fma_f64 v[36:37], v[10:11], v[44:45], -v[36:37]
	ds_read_b128 v[6:9], v1 offset:1728
	v_fma_f64 v[32:33], v[12:13], v[44:45], v[32:33]
	v_add_f64 v[18:19], v[18:19], v[40:41]
	v_add_f64 v[14:15], v[14:15], v[34:35]
	s_clause 0x2
	buffer_load_dword v43, off, s[0:3], 0 offset:972
	buffer_load_dword v35, off, s[0:3], 0 offset:948
	;; [unrolled: 1-line block ×3, first 2 shown]
	ds_read_b128 v[10:13], v1 offset:1744
	s_waitcnt vmcnt(58) lgkmcnt(1)
	v_mul_f64 v[44:45], v[8:9], v[50:51]
	s_waitcnt vmcnt(56)
	v_fma_f64 v[48:49], v[2:3], v[54:55], -v[47:48]
	v_mul_f64 v[40:41], v[6:7], v[50:51]
	v_add_f64 v[18:19], v[18:19], v[36:37]
	v_fma_f64 v[36:37], v[4:5], v[54:55], v[129:130]
	v_add_f64 v[14:15], v[14:15], v[32:33]
	s_clause 0x4
	buffer_load_dword v33, off, s[0:3], 0 offset:988
	buffer_load_dword v50, off, s[0:3], 0 offset:1000
	;; [unrolled: 1-line block ×5, first 2 shown]
	s_waitcnt vmcnt(57) lgkmcnt(0)
	v_mul_f64 v[129:130], v[10:11], v[56:57]
	v_mul_f64 v[55:56], v[12:13], v[56:57]
	s_waitcnt vmcnt(56)
	v_fma_f64 v[44:45], v[6:7], v[52:53], -v[44:45]
	ds_read_b128 v[2:5], v1 offset:1760
	v_fma_f64 v[40:41], v[8:9], v[52:53], v[40:41]
	v_add_f64 v[18:19], v[18:19], v[48:49]
	v_add_f64 v[14:15], v[14:15], v[36:37]
	s_clause 0x2
	buffer_load_dword v51, off, s[0:3], 0 offset:1004
	buffer_load_dword v37, off, s[0:3], 0 offset:980
	;; [unrolled: 1-line block ×3, first 2 shown]
	ds_read_b128 v[6:9], v1 offset:1776
	s_waitcnt vmcnt(58) lgkmcnt(1)
	v_mul_f64 v[52:53], v[4:5], v[58:59]
	s_waitcnt vmcnt(56)
	v_fma_f64 v[56:57], v[10:11], v[62:63], -v[55:56]
	v_mul_f64 v[48:49], v[2:3], v[58:59]
	v_add_f64 v[18:19], v[18:19], v[44:45]
	v_fma_f64 v[44:45], v[12:13], v[62:63], v[129:130]
	v_add_f64 v[14:15], v[14:15], v[40:41]
	s_clause 0x2
	buffer_load_dword v41, off, s[0:3], 0 offset:1020
	buffer_load_dword v40, off, s[0:3], 0 offset:1016
	;; [unrolled: 1-line block ×3, first 2 shown]
	s_waitcnt vmcnt(55) lgkmcnt(0)
	v_mul_f64 v[62:63], v[8:9], v[64:65]
	s_waitcnt vmcnt(54)
	v_fma_f64 v[52:53], v[2:3], v[60:61], -v[52:53]
	ds_read_b128 v[10:13], v1 offset:1792
	v_mul_f64 v[58:59], v[6:7], v[64:65]
	v_fma_f64 v[48:49], v[4:5], v[60:61], v[48:49]
	v_add_f64 v[18:19], v[18:19], v[56:57]
	v_add_f64 v[14:15], v[14:15], v[44:45]
	s_clause 0x1
	buffer_load_dword v45, off, s[0:3], 0 offset:1012
	buffer_load_dword v44, off, s[0:3], 0 offset:1008
	s_waitcnt vmcnt(55) lgkmcnt(0)
	v_mul_f64 v[60:61], v[12:13], v[66:67]
	s_waitcnt vmcnt(53)
	v_fma_f64 v[62:63], v[6:7], v[72:73], -v[62:63]
	ds_read_b128 v[2:5], v1 offset:1808
	v_mul_f64 v[56:57], v[10:11], v[66:67]
	v_add_f64 v[18:19], v[18:19], v[52:53]
	v_fma_f64 v[52:53], v[8:9], v[72:73], v[58:59]
	v_add_f64 v[14:15], v[14:15], v[48:49]
	ds_read_b128 v[6:9], v1 offset:1824
	s_waitcnt vmcnt(49) lgkmcnt(1)
	v_mul_f64 v[58:59], v[4:5], v[78:79]
	s_waitcnt vmcnt(48)
	v_fma_f64 v[60:61], v[10:11], v[70:71], -v[60:61]
	v_mul_f64 v[48:49], v[2:3], v[78:79]
	v_fma_f64 v[56:57], v[12:13], v[70:71], v[56:57]
	v_add_f64 v[18:19], v[18:19], v[62:63]
	v_add_f64 v[14:15], v[14:15], v[52:53]
	s_clause 0x3
	buffer_load_dword v52, off, s[0:3], 0 offset:560
	buffer_load_dword v53, off, s[0:3], 0 offset:564
	;; [unrolled: 1-line block ×4, first 2 shown]
	ds_read_b128 v[10:13], v1 offset:1840
	s_waitcnt vmcnt(51) lgkmcnt(1)
	v_mul_f64 v[66:67], v[8:9], v[80:81]
	v_mul_f64 v[64:65], v[6:7], v[80:81]
	s_waitcnt vmcnt(49)
	v_fma_f64 v[58:59], v[2:3], v[76:77], -v[58:59]
	v_fma_f64 v[48:49], v[4:5], v[76:77], v[48:49]
	ds_read_b128 v[2:5], v1 offset:1856
	v_add_f64 v[18:19], v[18:19], v[60:61]
	v_add_f64 v[14:15], v[14:15], v[56:57]
	s_waitcnt vmcnt(45) lgkmcnt(1)
	v_mul_f64 v[56:57], v[10:11], v[20:21]
	v_mul_f64 v[20:21], v[12:13], v[20:21]
	s_waitcnt vmcnt(44)
	v_fma_f64 v[60:61], v[6:7], v[82:83], -v[66:67]
	v_add_f64 v[18:19], v[18:19], v[58:59]
	v_fma_f64 v[58:59], v[8:9], v[82:83], v[64:65]
	v_add_f64 v[14:15], v[14:15], v[48:49]
	ds_read_b128 v[6:9], v1 offset:1872
	s_waitcnt vmcnt(43) lgkmcnt(1)
	v_mul_f64 v[64:65], v[4:5], v[125:126]
	v_mul_f64 v[48:49], v[2:3], v[125:126]
	s_waitcnt vmcnt(41)
	v_fma_f64 v[20:21], v[10:11], v[16:17], -v[20:21]
	v_fma_f64 v[16:17], v[12:13], v[16:17], v[56:57]
	ds_read_b128 v[10:13], v1 offset:1888
	v_add_f64 v[18:19], v[18:19], v[60:61]
	v_add_f64 v[14:15], v[14:15], v[58:59]
	s_waitcnt vmcnt(37) lgkmcnt(1)
	v_mul_f64 v[56:57], v[6:7], v[28:29]
	v_mul_f64 v[28:29], v[8:9], v[28:29]
	s_waitcnt vmcnt(36)
	v_fma_f64 v[58:59], v[2:3], v[127:128], -v[64:65]
	v_add_f64 v[18:19], v[18:19], v[20:21]
	v_fma_f64 v[20:21], v[4:5], v[127:128], v[48:49]
	v_add_f64 v[14:15], v[14:15], v[16:17]
	ds_read_b128 v[2:5], v1 offset:1904
	s_waitcnt vmcnt(35) lgkmcnt(1)
	v_mul_f64 v[48:49], v[12:13], v[74:75]
	v_mul_f64 v[16:17], v[10:11], v[74:75]
	s_waitcnt vmcnt(33)
	v_fma_f64 v[28:29], v[6:7], v[26:27], -v[28:29]
	v_fma_f64 v[26:27], v[8:9], v[26:27], v[56:57]
	ds_read_b128 v[6:9], v1 offset:1920
	v_add_f64 v[18:19], v[18:19], v[58:59]
	v_add_f64 v[14:15], v[14:15], v[20:21]
	s_waitcnt vmcnt(29) lgkmcnt(1)
	v_mul_f64 v[20:21], v[2:3], v[22:23]
	v_mul_f64 v[22:23], v[4:5], v[22:23]
	s_waitcnt vmcnt(28)
	v_fma_f64 v[48:49], v[10:11], v[119:120], -v[48:49]
	v_fma_f64 v[16:17], v[12:13], v[119:120], v[16:17]
	ds_read_b128 v[10:13], v1 offset:1936
	v_add_f64 v[18:19], v[18:19], v[28:29]
	v_add_f64 v[14:15], v[14:15], v[26:27]
	;; [unrolled: 9-line block ×3, first 2 shown]
	s_waitcnt vmcnt(21) lgkmcnt(1)
	v_mul_f64 v[24:25], v[12:13], v[30:31]
	s_waitcnt vmcnt(20)
	v_fma_f64 v[28:29], v[6:7], v[117:118], -v[28:29]
	v_mul_f64 v[16:17], v[10:11], v[30:31]
	v_add_f64 v[18:19], v[18:19], v[22:23]
	v_fma_f64 v[22:23], v[8:9], v[117:118], v[26:27]
	v_add_f64 v[14:15], v[14:15], v[20:21]
	ds_read_b128 v[6:9], v1 offset:1968
	s_waitcnt vmcnt(19) lgkmcnt(1)
	v_mul_f64 v[26:27], v[4:5], v[42:43]
	v_mul_f64 v[20:21], v[2:3], v[42:43]
	s_waitcnt vmcnt(17)
	v_fma_f64 v[24:25], v[10:11], v[34:35], -v[24:25]
	v_fma_f64 v[16:17], v[12:13], v[34:35], v[16:17]
	ds_read_b128 v[10:13], v1 offset:1984
	v_add_f64 v[18:19], v[18:19], v[28:29]
	v_add_f64 v[14:15], v[14:15], v[22:23]
	s_waitcnt vmcnt(13) lgkmcnt(1)
	v_mul_f64 v[28:29], v[8:9], v[32:33]
	s_waitcnt vmcnt(12)
	v_fma_f64 v[26:27], v[2:3], v[46:47], -v[26:27]
	v_mul_f64 v[22:23], v[6:7], v[32:33]
	v_fma_f64 v[20:21], v[4:5], v[46:47], v[20:21]
	ds_read_b128 v[1:4], v1 offset:2000
	v_add_f64 v[18:19], v[18:19], v[24:25]
	v_add_f64 v[14:15], v[14:15], v[16:17]
	s_waitcnt vmcnt(11) lgkmcnt(1)
	v_mul_f64 v[24:25], v[12:13], v[50:51]
	v_mul_f64 v[16:17], v[10:11], v[50:51]
	s_waitcnt vmcnt(9)
	v_fma_f64 v[5:6], v[6:7], v[36:37], -v[28:29]
	v_fma_f64 v[7:8], v[8:9], v[36:37], v[22:23]
	v_add_f64 v[18:19], v[18:19], v[26:27]
	v_add_f64 v[14:15], v[14:15], v[20:21]
	s_waitcnt vmcnt(7) lgkmcnt(0)
	v_mul_f64 v[22:23], v[3:4], v[40:41]
	s_waitcnt vmcnt(6)
	v_fma_f64 v[9:10], v[10:11], v[54:55], -v[24:25]
	v_mul_f64 v[20:21], v[1:2], v[40:41]
	v_fma_f64 v[11:12], v[12:13], v[54:55], v[16:17]
	v_add_f64 v[5:6], v[18:19], v[5:6]
	v_add_f64 v[7:8], v[14:15], v[7:8]
	s_waitcnt vmcnt(4)
	v_fma_f64 v[1:2], v[1:2], v[44:45], -v[22:23]
	v_fma_f64 v[3:4], v[3:4], v[44:45], v[20:21]
	v_add_f64 v[5:6], v[5:6], v[9:10]
	v_add_f64 v[7:8], v[7:8], v[11:12]
	;; [unrolled: 1-line block ×4, first 2 shown]
	s_waitcnt vmcnt(2)
	v_add_f64 v[1:2], v[52:53], -v[1:2]
	s_waitcnt vmcnt(0)
	v_add_f64 v[3:4], v[62:63], -v[3:4]
	buffer_store_dword v2, off, s[0:3], 0 offset:564
	buffer_store_dword v1, off, s[0:3], 0 offset:560
	;; [unrolled: 1-line block ×4, first 2 shown]
	v_cmpx_lt_u32_e32 33, v0
	s_cbranch_execz .LBB62_337
; %bb.336:
	v_mov_b32_e32 v4, s44
	v_mov_b32_e32 v5, 0
	s_clause 0x3
	buffer_load_dword v1, v4, s[0:3], 0 offen
	buffer_load_dword v2, v4, s[0:3], 0 offen offset:4
	buffer_load_dword v3, v4, s[0:3], 0 offen offset:8
	;; [unrolled: 1-line block ×3, first 2 shown]
	buffer_store_dword v5, off, s[0:3], 0 offset:544
	buffer_store_dword v5, off, s[0:3], 0 offset:548
	;; [unrolled: 1-line block ×4, first 2 shown]
	s_waitcnt vmcnt(0)
	ds_write_b128 v69, v[1:4]
.LBB62_337:
	s_or_b32 exec_lo, exec_lo, s4
	s_waitcnt lgkmcnt(0)
	s_waitcnt_vscnt null, 0x0
	s_barrier
	buffer_gl0_inv
	s_clause 0x37
	buffer_load_dword v9, off, s[0:3], 0 offset:568
	buffer_load_dword v10, off, s[0:3], 0 offset:572
	;; [unrolled: 1-line block ×56, first 2 shown]
	v_mov_b32_e32 v11, 0
	s_mov_b32 s4, exec_lo
	ds_read_b128 v[5:8], v11 offset:1552
	s_clause 0x2
	buffer_load_dword v71, off, s[0:3], 0 offset:796
	buffer_load_dword v75, off, s[0:3], 0 offset:772
	;; [unrolled: 1-line block ×3, first 2 shown]
	ds_read_b128 v[12:15], v11 offset:1568
	s_clause 0x4
	buffer_load_dword v79, off, s[0:3], 0 offset:812
	buffer_load_dword v80, off, s[0:3], 0 offset:824
	;; [unrolled: 1-line block ×5, first 2 shown]
	ds_read_b128 v[16:19], v11 offset:1584
	s_waitcnt vmcnt(62) lgkmcnt(2)
	v_mul_f64 v[76:77], v[7:8], v[9:10]
	v_mul_f64 v[9:10], v[5:6], v[9:10]
	s_waitcnt vmcnt(60) lgkmcnt(1)
	v_mul_f64 v[83:84], v[14:15], v[20:21]
	v_mul_f64 v[20:21], v[12:13], v[20:21]
	s_waitcnt vmcnt(56) lgkmcnt(0)
	v_mul_f64 v[119:120], v[18:19], v[3:4]
	v_mul_f64 v[117:118], v[16:17], v[3:4]
	v_fma_f64 v[76:77], v[5:6], v[22:23], -v[76:77]
	v_fma_f64 v[9:10], v[7:8], v[22:23], v[9:10]
	s_clause 0x2
	buffer_load_dword v81, off, s[0:3], 0 offset:828
	buffer_load_dword v23, off, s[0:3], 0 offset:804
	;; [unrolled: 1-line block ×3, first 2 shown]
	s_waitcnt vmcnt(57)
	v_fma_f64 v[12:13], v[12:13], v[1:2], -v[83:84]
	ds_read_b128 v[5:8], v11 offset:1600
	v_fma_f64 v[14:15], v[14:15], v[1:2], v[20:21]
	s_clause 0x4
	buffer_load_dword v21, off, s[0:3], 0 offset:844
	buffer_load_dword v125, off, s[0:3], 0 offset:856
	;; [unrolled: 1-line block ×5, first 2 shown]
	s_waitcnt vmcnt(56)
	v_fma_f64 v[16:17], v[16:17], v[30:31], -v[119:120]
	ds_read_b128 v[1:4], v11 offset:1616
	v_fma_f64 v[18:19], v[18:19], v[30:31], v[117:118]
	s_clause 0x2
	buffer_load_dword v126, off, s[0:3], 0 offset:860
	buffer_load_dword v31, off, s[0:3], 0 offset:836
	;; [unrolled: 1-line block ×3, first 2 shown]
	v_add_f64 v[76:77], v[76:77], 0
	v_add_f64 v[9:10], v[9:10], 0
	s_waitcnt lgkmcnt(1)
	v_mul_f64 v[128:129], v[5:6], v[24:25]
	v_mul_f64 v[24:25], v[7:8], v[24:25]
	s_waitcnt vmcnt(58) lgkmcnt(0)
	v_mul_f64 v[117:118], v[1:2], v[26:27]
	v_mul_f64 v[26:27], v[3:4], v[26:27]
	v_add_f64 v[76:77], v[76:77], v[12:13]
	v_add_f64 v[9:10], v[9:10], v[14:15]
	ds_read_b128 v[12:15], v11 offset:1632
	s_waitcnt vmcnt(56)
	v_fma_f64 v[24:25], v[5:6], v[32:33], -v[24:25]
	v_fma_f64 v[32:33], v[7:8], v[32:33], v[128:129]
	s_waitcnt vmcnt(51)
	v_fma_f64 v[26:27], v[1:2], v[28:29], -v[26:27]
	s_waitcnt lgkmcnt(0)
	v_mul_f64 v[129:130], v[12:13], v[34:35]
	v_add_f64 v[16:17], v[76:77], v[16:17]
	v_add_f64 v[9:10], v[9:10], v[18:19]
	s_clause 0x4
	buffer_load_dword v19, off, s[0:3], 0 offset:876
	buffer_load_dword v76, off, s[0:3], 0 offset:888
	buffer_load_dword v119, off, s[0:3], 0 offset:880
	buffer_load_dword v18, off, s[0:3], 0 offset:872
	buffer_load_dword v128, off, s[0:3], 0 offset:852
	v_mul_f64 v[34:35], v[14:15], v[34:35]
	ds_read_b128 v[5:8], v11 offset:1648
	v_add_f64 v[16:17], v[16:17], v[24:25]
	v_fma_f64 v[24:25], v[3:4], v[28:29], v[117:118]
	v_add_f64 v[9:10], v[9:10], v[32:33]
	s_clause 0x2
	buffer_load_dword v77, off, s[0:3], 0 offset:892
	buffer_load_dword v29, off, s[0:3], 0 offset:868
	;; [unrolled: 1-line block ×3, first 2 shown]
	s_waitcnt vmcnt(58) lgkmcnt(0)
	v_mul_f64 v[32:33], v[5:6], v[36:37]
	v_mul_f64 v[36:37], v[7:8], v[36:37]
	s_waitcnt vmcnt(56)
	v_fma_f64 v[34:35], v[12:13], v[40:41], -v[34:35]
	ds_read_b128 v[1:4], v11 offset:1664
	v_add_f64 v[16:17], v[16:17], v[26:27]
	v_fma_f64 v[26:27], v[14:15], v[40:41], v[129:130]
	v_add_f64 v[9:10], v[9:10], v[24:25]
	s_clause 0x4
	buffer_load_dword v25, off, s[0:3], 0 offset:908
	buffer_load_dword v40, off, s[0:3], 0 offset:920
	;; [unrolled: 1-line block ×5, first 2 shown]
	ds_read_b128 v[12:15], v11 offset:1680
	s_waitcnt vmcnt(57) lgkmcnt(1)
	v_mul_f64 v[129:130], v[1:2], v[42:43]
	v_mul_f64 v[42:43], v[3:4], v[42:43]
	s_waitcnt vmcnt(56)
	v_fma_f64 v[36:37], v[5:6], v[38:39], -v[36:37]
	v_fma_f64 v[32:33], v[7:8], v[38:39], v[32:33]
	v_add_f64 v[16:17], v[16:17], v[34:35]
	v_add_f64 v[9:10], v[9:10], v[26:27]
	s_clause 0x2
	buffer_load_dword v41, off, s[0:3], 0 offset:924
	buffer_load_dword v27, off, s[0:3], 0 offset:900
	;; [unrolled: 1-line block ×3, first 2 shown]
	s_waitcnt vmcnt(58) lgkmcnt(0)
	v_mul_f64 v[38:39], v[14:15], v[44:45]
	ds_read_b128 v[5:8], v11 offset:1696
	s_waitcnt vmcnt(56)
	v_fma_f64 v[42:43], v[1:2], v[48:49], -v[42:43]
	v_mul_f64 v[34:35], v[12:13], v[44:45]
	v_add_f64 v[16:17], v[16:17], v[36:37]
	v_fma_f64 v[36:37], v[3:4], v[48:49], v[129:130]
	v_add_f64 v[9:10], v[9:10], v[32:33]
	s_clause 0x4
	buffer_load_dword v33, off, s[0:3], 0 offset:940
	buffer_load_dword v44, off, s[0:3], 0 offset:952
	buffer_load_dword v48, off, s[0:3], 0 offset:944
	buffer_load_dword v32, off, s[0:3], 0 offset:936
	buffer_load_dword v118, off, s[0:3], 0 offset:916
	s_waitcnt vmcnt(57) lgkmcnt(0)
	v_mul_f64 v[129:130], v[5:6], v[50:51]
	v_mul_f64 v[49:50], v[7:8], v[50:51]
	s_waitcnt vmcnt(56)
	v_fma_f64 v[38:39], v[12:13], v[46:47], -v[38:39]
	ds_read_b128 v[1:4], v11 offset:1712
	v_fma_f64 v[34:35], v[14:15], v[46:47], v[34:35]
	v_add_f64 v[16:17], v[16:17], v[42:43]
	v_add_f64 v[9:10], v[9:10], v[36:37]
	s_clause 0x2
	buffer_load_dword v45, off, s[0:3], 0 offset:956
	buffer_load_dword v37, off, s[0:3], 0 offset:932
	buffer_load_dword v36, off, s[0:3], 0 offset:928
	ds_read_b128 v[12:15], v11 offset:1728
	s_waitcnt vmcnt(58) lgkmcnt(1)
	v_mul_f64 v[46:47], v[3:4], v[52:53]
	s_waitcnt vmcnt(56)
	v_fma_f64 v[50:51], v[5:6], v[56:57], -v[49:50]
	v_mul_f64 v[42:43], v[1:2], v[52:53]
	v_add_f64 v[16:17], v[16:17], v[38:39]
	v_fma_f64 v[38:39], v[7:8], v[56:57], v[129:130]
	v_add_f64 v[9:10], v[9:10], v[34:35]
	s_clause 0x4
	buffer_load_dword v35, off, s[0:3], 0 offset:972
	buffer_load_dword v52, off, s[0:3], 0 offset:984
	buffer_load_dword v56, off, s[0:3], 0 offset:976
	buffer_load_dword v34, off, s[0:3], 0 offset:968
	buffer_load_dword v49, off, s[0:3], 0 offset:948
	s_waitcnt vmcnt(57) lgkmcnt(0)
	v_mul_f64 v[129:130], v[12:13], v[58:59]
	v_mul_f64 v[57:58], v[14:15], v[58:59]
	s_waitcnt vmcnt(56)
	v_fma_f64 v[46:47], v[1:2], v[54:55], -v[46:47]
	ds_read_b128 v[5:8], v11 offset:1744
	v_fma_f64 v[42:43], v[3:4], v[54:55], v[42:43]
	v_add_f64 v[16:17], v[16:17], v[50:51]
	v_add_f64 v[9:10], v[9:10], v[38:39]
	s_clause 0x2
	buffer_load_dword v53, off, s[0:3], 0 offset:988
	buffer_load_dword v39, off, s[0:3], 0 offset:964
	buffer_load_dword v38, off, s[0:3], 0 offset:960
	ds_read_b128 v[1:4], v11 offset:1760
	s_waitcnt vmcnt(58) lgkmcnt(1)
	v_mul_f64 v[54:55], v[7:8], v[60:61]
	;; [unrolled: 28-line block ×3, first 2 shown]
	s_waitcnt vmcnt(56)
	v_fma_f64 v[66:67], v[1:2], v[74:75], -v[65:66]
	v_mul_f64 v[58:59], v[12:13], v[70:71]
	buffer_load_dword v65, off, s[0:3], 0 offset:1012
	v_add_f64 v[16:17], v[16:17], v[54:55]
	v_fma_f64 v[54:55], v[3:4], v[74:75], v[129:130]
	v_add_f64 v[9:10], v[9:10], v[50:51]
	ds_read_b128 v[1:4], v11 offset:1808
	s_waitcnt vmcnt(53) lgkmcnt(1)
	v_mul_f64 v[70:71], v[7:8], v[78:79]
	s_waitcnt vmcnt(52)
	v_fma_f64 v[62:63], v[12:13], v[72:73], -v[62:63]
	v_mul_f64 v[50:51], v[5:6], v[78:79]
	v_fma_f64 v[58:59], v[14:15], v[72:73], v[58:59]
	ds_read_b128 v[12:15], v11 offset:1824
	v_add_f64 v[16:17], v[16:17], v[66:67]
	v_add_f64 v[9:10], v[9:10], v[54:55]
	s_waitcnt vmcnt(51) lgkmcnt(1)
	v_mul_f64 v[66:67], v[3:4], v[80:81]
	v_mul_f64 v[54:55], v[1:2], v[80:81]
	s_waitcnt vmcnt(49)
	v_fma_f64 v[70:71], v[5:6], v[22:23], -v[70:71]
	v_fma_f64 v[22:23], v[7:8], v[22:23], v[50:51]
	v_add_f64 v[16:17], v[16:17], v[62:63]
	s_waitcnt vmcnt(45) lgkmcnt(0)
	v_mul_f64 v[62:63], v[12:13], v[20:21]
	v_add_f64 v[9:10], v[9:10], v[58:59]
	s_clause 0x3
	buffer_load_dword v50, off, s[0:3], 0 offset:544
	buffer_load_dword v51, off, s[0:3], 0 offset:548
	;; [unrolled: 1-line block ×4, first 2 shown]
	v_mul_f64 v[20:21], v[14:15], v[20:21]
	ds_read_b128 v[5:8], v11 offset:1840
	s_waitcnt vmcnt(48)
	v_fma_f64 v[66:67], v[1:2], v[82:83], -v[66:67]
	v_fma_f64 v[54:55], v[3:4], v[82:83], v[54:55]
	ds_read_b128 v[1:4], v11 offset:1856
	v_add_f64 v[16:17], v[16:17], v[70:71]
	v_add_f64 v[9:10], v[9:10], v[22:23]
	s_waitcnt vmcnt(47) lgkmcnt(1)
	v_mul_f64 v[70:71], v[7:8], v[125:126]
	s_waitcnt vmcnt(45)
	v_fma_f64 v[20:21], v[12:13], v[30:31], -v[20:21]
	v_mul_f64 v[22:23], v[5:6], v[125:126]
	v_fma_f64 v[30:31], v[14:15], v[30:31], v[62:63]
	ds_read_b128 v[12:15], v11 offset:1872
	v_add_f64 v[16:17], v[16:17], v[66:67]
	v_add_f64 v[9:10], v[9:10], v[54:55]
	s_waitcnt vmcnt(41) lgkmcnt(1)
	v_mul_f64 v[54:55], v[1:2], v[18:19]
	v_mul_f64 v[18:19], v[3:4], v[18:19]
	s_waitcnt vmcnt(40)
	v_fma_f64 v[62:63], v[5:6], v[127:128], -v[70:71]
	v_add_f64 v[16:17], v[16:17], v[20:21]
	v_fma_f64 v[20:21], v[7:8], v[127:128], v[22:23]
	v_add_f64 v[9:10], v[9:10], v[30:31]
	ds_read_b128 v[5:8], v11 offset:1888
	s_waitcnt vmcnt(39) lgkmcnt(1)
	v_mul_f64 v[30:31], v[14:15], v[76:77]
	v_mul_f64 v[22:23], v[12:13], v[76:77]
	s_waitcnt vmcnt(37)
	v_fma_f64 v[18:19], v[1:2], v[28:29], -v[18:19]
	v_fma_f64 v[28:29], v[3:4], v[28:29], v[54:55]
	ds_read_b128 v[1:4], v11 offset:1904
	v_add_f64 v[16:17], v[16:17], v[62:63]
	v_add_f64 v[9:10], v[9:10], v[20:21]
	s_waitcnt vmcnt(33) lgkmcnt(1)
	v_mul_f64 v[20:21], v[5:6], v[24:25]
	v_mul_f64 v[24:25], v[7:8], v[24:25]
	s_waitcnt vmcnt(32)
	v_fma_f64 v[30:31], v[12:13], v[119:120], -v[30:31]
	v_add_f64 v[16:17], v[16:17], v[18:19]
	v_fma_f64 v[18:19], v[14:15], v[119:120], v[22:23]
	v_add_f64 v[9:10], v[9:10], v[28:29]
	ds_read_b128 v[12:15], v11 offset:1920
	s_waitcnt vmcnt(31) lgkmcnt(1)
	v_mul_f64 v[28:29], v[3:4], v[40:41]
	v_mul_f64 v[22:23], v[1:2], v[40:41]
	s_waitcnt vmcnt(29)
	v_fma_f64 v[24:25], v[5:6], v[26:27], -v[24:25]
	v_fma_f64 v[20:21], v[7:8], v[26:27], v[20:21]
	ds_read_b128 v[5:8], v11 offset:1936
	v_add_f64 v[16:17], v[16:17], v[30:31]
	v_add_f64 v[9:10], v[9:10], v[18:19]
	s_waitcnt vmcnt(25) lgkmcnt(1)
	v_mul_f64 v[26:27], v[14:15], v[32:33]
	s_waitcnt vmcnt(24)
	v_fma_f64 v[28:29], v[1:2], v[117:118], -v[28:29]
	v_mul_f64 v[18:19], v[12:13], v[32:33]
	v_fma_f64 v[22:23], v[3:4], v[117:118], v[22:23]
	ds_read_b128 v[1:4], v11 offset:1952
	v_add_f64 v[16:17], v[16:17], v[24:25]
	v_add_f64 v[9:10], v[9:10], v[20:21]
	s_waitcnt vmcnt(23) lgkmcnt(1)
	v_mul_f64 v[24:25], v[7:8], v[44:45]
	v_mul_f64 v[20:21], v[5:6], v[44:45]
	s_waitcnt vmcnt(21)
	v_fma_f64 v[26:27], v[12:13], v[36:37], -v[26:27]
	v_fma_f64 v[18:19], v[14:15], v[36:37], v[18:19]
	ds_read_b128 v[12:15], v11 offset:1968
	v_add_f64 v[16:17], v[16:17], v[28:29]
	v_add_f64 v[9:10], v[9:10], v[22:23]
	s_waitcnt vmcnt(17) lgkmcnt(1)
	v_mul_f64 v[28:29], v[3:4], v[34:35]
	s_waitcnt vmcnt(16)
	v_fma_f64 v[24:25], v[5:6], v[48:49], -v[24:25]
	v_mul_f64 v[22:23], v[1:2], v[34:35]
	v_fma_f64 v[20:21], v[7:8], v[48:49], v[20:21]
	ds_read_b128 v[5:8], v11 offset:1984
	v_add_f64 v[16:17], v[16:17], v[26:27]
	v_add_f64 v[9:10], v[9:10], v[18:19]
	s_waitcnt vmcnt(15) lgkmcnt(1)
	v_mul_f64 v[26:27], v[14:15], v[52:53]
	v_mul_f64 v[18:19], v[12:13], v[52:53]
	s_waitcnt vmcnt(13)
	v_fma_f64 v[28:29], v[1:2], v[38:39], -v[28:29]
	v_fma_f64 v[22:23], v[3:4], v[38:39], v[22:23]
	ds_read_b128 v[1:4], v11 offset:2000
	v_add_f64 v[16:17], v[16:17], v[24:25]
	v_add_f64 v[9:10], v[9:10], v[20:21]
	s_waitcnt vmcnt(9) lgkmcnt(1)
	v_mul_f64 v[24:25], v[7:8], v[42:43]
	s_waitcnt vmcnt(8)
	v_fma_f64 v[12:13], v[12:13], v[56:57], -v[26:27]
	v_mul_f64 v[20:21], v[5:6], v[42:43]
	v_fma_f64 v[14:15], v[14:15], v[56:57], v[18:19]
	v_add_f64 v[16:17], v[16:17], v[28:29]
	v_add_f64 v[9:10], v[9:10], v[22:23]
	s_waitcnt vmcnt(7) lgkmcnt(0)
	v_mul_f64 v[22:23], v[3:4], v[60:61]
	v_mul_f64 v[18:19], v[1:2], v[60:61]
	s_waitcnt vmcnt(5)
	v_fma_f64 v[5:6], v[5:6], v[46:47], -v[24:25]
	v_fma_f64 v[7:8], v[7:8], v[46:47], v[20:21]
	v_add_f64 v[12:13], v[16:17], v[12:13]
	v_add_f64 v[9:10], v[9:10], v[14:15]
	s_waitcnt vmcnt(4)
	v_fma_f64 v[1:2], v[1:2], v[64:65], -v[22:23]
	v_fma_f64 v[3:4], v[3:4], v[64:65], v[18:19]
	v_add_f64 v[5:6], v[12:13], v[5:6]
	v_add_f64 v[7:8], v[9:10], v[7:8]
	;; [unrolled: 1-line block ×4, first 2 shown]
	s_waitcnt vmcnt(2)
	v_add_f64 v[1:2], v[50:51], -v[1:2]
	s_waitcnt vmcnt(0)
	v_add_f64 v[3:4], v[58:59], -v[3:4]
	buffer_store_dword v2, off, s[0:3], 0 offset:548
	buffer_store_dword v1, off, s[0:3], 0 offset:544
	;; [unrolled: 1-line block ×4, first 2 shown]
	v_cmpx_lt_u32_e32 32, v0
	s_cbranch_execz .LBB62_339
; %bb.338:
	v_mov_b32_e32 v4, s45
	s_clause 0x3
	buffer_load_dword v1, v4, s[0:3], 0 offen
	buffer_load_dword v2, v4, s[0:3], 0 offen offset:4
	buffer_load_dword v3, v4, s[0:3], 0 offen offset:8
	;; [unrolled: 1-line block ×3, first 2 shown]
	buffer_store_dword v11, off, s[0:3], 0 offset:528
	buffer_store_dword v11, off, s[0:3], 0 offset:532
	;; [unrolled: 1-line block ×4, first 2 shown]
	s_waitcnt vmcnt(0)
	ds_write_b128 v69, v[1:4]
.LBB62_339:
	s_or_b32 exec_lo, exec_lo, s4
	s_waitcnt lgkmcnt(0)
	s_waitcnt_vscnt null, 0x0
	s_barrier
	buffer_gl0_inv
	s_clause 0x37
	buffer_load_dword v9, off, s[0:3], 0 offset:552
	buffer_load_dword v10, off, s[0:3], 0 offset:556
	;; [unrolled: 1-line block ×56, first 2 shown]
	ds_read_b128 v[12:15], v11 offset:1536
	s_clause 0x2
	buffer_load_dword v71, off, s[0:3], 0 offset:780
	buffer_load_dword v75, off, s[0:3], 0 offset:756
	;; [unrolled: 1-line block ×3, first 2 shown]
	ds_read_b128 v[16:19], v11 offset:1552
	s_clause 0x4
	buffer_load_dword v79, off, s[0:3], 0 offset:796
	buffer_load_dword v80, off, s[0:3], 0 offset:808
	;; [unrolled: 1-line block ×5, first 2 shown]
	ds_read_b128 v[20:23], v11 offset:1568
	s_clause 0x2
	buffer_load_dword v81, off, s[0:3], 0 offset:812
	buffer_load_dword v118, off, s[0:3], 0 offset:788
	;; [unrolled: 1-line block ×3, first 2 shown]
	s_mov_b32 s4, exec_lo
	s_waitcnt vmcnt(62) lgkmcnt(2)
	v_mul_f64 v[76:77], v[14:15], v[9:10]
	v_mul_f64 v[9:10], v[12:13], v[9:10]
	s_waitcnt lgkmcnt(1)
	v_mul_f64 v[83:84], v[18:19], v[5:6]
	s_waitcnt vmcnt(59) lgkmcnt(0)
	v_mul_f64 v[119:120], v[22:23], v[3:4]
	v_fma_f64 v[12:13], v[12:13], v[7:8], -v[76:77]
	v_mul_f64 v[76:77], v[16:17], v[5:6]
	v_fma_f64 v[9:10], v[14:15], v[7:8], v[9:10]
	s_waitcnt vmcnt(57)
	v_fma_f64 v[16:17], v[16:17], v[1:2], -v[83:84]
	ds_read_b128 v[5:8], v11 offset:1584
	v_mul_f64 v[14:15], v[20:21], v[3:4]
	s_waitcnt vmcnt(51)
	v_fma_f64 v[20:21], v[20:21], v[30:31], -v[119:120]
	v_add_f64 v[12:13], v[12:13], 0
	v_fma_f64 v[18:19], v[18:19], v[1:2], v[76:77]
	v_add_f64 v[9:10], v[9:10], 0
	s_clause 0x4
	buffer_load_dword v77, off, s[0:3], 0 offset:828
	buffer_load_dword v125, off, s[0:3], 0 offset:840
	;; [unrolled: 1-line block ×5, first 2 shown]
	s_waitcnt lgkmcnt(0)
	v_mul_f64 v[128:129], v[5:6], v[24:25]
	v_mul_f64 v[24:25], v[7:8], v[24:25]
	ds_read_b128 v[1:4], v11 offset:1600
	v_fma_f64 v[22:23], v[22:23], v[30:31], v[14:15]
	v_add_f64 v[16:17], v[12:13], v[16:17]
	v_add_f64 v[9:10], v[9:10], v[18:19]
	s_clause 0x2
	buffer_load_dword v126, off, s[0:3], 0 offset:844
	buffer_load_dword v19, off, s[0:3], 0 offset:820
	;; [unrolled: 1-line block ×3, first 2 shown]
	s_waitcnt vmcnt(58) lgkmcnt(0)
	v_mul_f64 v[30:31], v[1:2], v[26:27]
	v_mul_f64 v[26:27], v[3:4], v[26:27]
	s_waitcnt vmcnt(56)
	v_fma_f64 v[24:25], v[5:6], v[32:33], -v[24:25]
	ds_read_b128 v[12:15], v11 offset:1616
	v_add_f64 v[16:17], v[16:17], v[20:21]
	v_fma_f64 v[20:21], v[7:8], v[32:33], v[128:129]
	v_add_f64 v[9:10], v[9:10], v[22:23]
	s_clause 0x4
	buffer_load_dword v23, off, s[0:3], 0 offset:860
	buffer_load_dword v32, off, s[0:3], 0 offset:872
	;; [unrolled: 1-line block ×5, first 2 shown]
	ds_read_b128 v[5:8], v11 offset:1632
	s_waitcnt vmcnt(57) lgkmcnt(1)
	v_mul_f64 v[129:130], v[12:13], v[34:35]
	v_mul_f64 v[34:35], v[14:15], v[34:35]
	s_waitcnt vmcnt(56)
	v_fma_f64 v[26:27], v[1:2], v[28:29], -v[26:27]
	v_add_f64 v[16:17], v[16:17], v[24:25]
	v_fma_f64 v[24:25], v[3:4], v[28:29], v[30:31]
	v_add_f64 v[9:10], v[9:10], v[20:21]
	s_clause 0x2
	buffer_load_dword v33, off, s[0:3], 0 offset:876
	buffer_load_dword v21, off, s[0:3], 0 offset:852
	;; [unrolled: 1-line block ×3, first 2 shown]
	s_waitcnt vmcnt(58) lgkmcnt(0)
	v_mul_f64 v[30:31], v[7:8], v[36:37]
	ds_read_b128 v[1:4], v11 offset:1648
	s_waitcnt vmcnt(56)
	v_fma_f64 v[34:35], v[12:13], v[40:41], -v[34:35]
	v_mul_f64 v[28:29], v[5:6], v[36:37]
	v_add_f64 v[16:17], v[16:17], v[26:27]
	v_fma_f64 v[26:27], v[14:15], v[40:41], v[129:130]
	v_add_f64 v[9:10], v[9:10], v[24:25]
	s_clause 0x4
	buffer_load_dword v25, off, s[0:3], 0 offset:892
	buffer_load_dword v36, off, s[0:3], 0 offset:904
	buffer_load_dword v40, off, s[0:3], 0 offset:896
	buffer_load_dword v24, off, s[0:3], 0 offset:888
	buffer_load_dword v120, off, s[0:3], 0 offset:868
	s_waitcnt vmcnt(57) lgkmcnt(0)
	v_mul_f64 v[129:130], v[1:2], v[42:43]
	v_mul_f64 v[41:42], v[3:4], v[42:43]
	s_waitcnt vmcnt(56)
	v_fma_f64 v[30:31], v[5:6], v[38:39], -v[30:31]
	ds_read_b128 v[12:15], v11 offset:1664
	v_fma_f64 v[28:29], v[7:8], v[38:39], v[28:29]
	v_add_f64 v[16:17], v[16:17], v[34:35]
	v_add_f64 v[9:10], v[9:10], v[26:27]
	s_clause 0x2
	buffer_load_dword v37, off, s[0:3], 0 offset:908
	buffer_load_dword v27, off, s[0:3], 0 offset:884
	buffer_load_dword v26, off, s[0:3], 0 offset:880
	ds_read_b128 v[5:8], v11 offset:1680
	s_waitcnt vmcnt(58) lgkmcnt(1)
	v_mul_f64 v[38:39], v[14:15], v[44:45]
	s_waitcnt vmcnt(56)
	v_fma_f64 v[42:43], v[1:2], v[48:49], -v[41:42]
	v_mul_f64 v[34:35], v[12:13], v[44:45]
	v_add_f64 v[16:17], v[16:17], v[30:31]
	v_fma_f64 v[30:31], v[3:4], v[48:49], v[129:130]
	v_add_f64 v[9:10], v[9:10], v[28:29]
	s_clause 0x4
	buffer_load_dword v29, off, s[0:3], 0 offset:924
	buffer_load_dword v44, off, s[0:3], 0 offset:936
	buffer_load_dword v48, off, s[0:3], 0 offset:928
	buffer_load_dword v28, off, s[0:3], 0 offset:920
	buffer_load_dword v41, off, s[0:3], 0 offset:900
	s_waitcnt vmcnt(57) lgkmcnt(0)
	v_mul_f64 v[129:130], v[5:6], v[50:51]
	v_mul_f64 v[49:50], v[7:8], v[50:51]
	s_waitcnt vmcnt(56)
	v_fma_f64 v[38:39], v[12:13], v[46:47], -v[38:39]
	ds_read_b128 v[1:4], v11 offset:1696
	v_fma_f64 v[34:35], v[14:15], v[46:47], v[34:35]
	v_add_f64 v[16:17], v[16:17], v[42:43]
	v_add_f64 v[9:10], v[9:10], v[30:31]
	s_clause 0x2
	buffer_load_dword v45, off, s[0:3], 0 offset:940
	buffer_load_dword v31, off, s[0:3], 0 offset:916
	buffer_load_dword v30, off, s[0:3], 0 offset:912
	ds_read_b128 v[12:15], v11 offset:1712
	s_waitcnt vmcnt(58) lgkmcnt(1)
	v_mul_f64 v[46:47], v[3:4], v[52:53]
	;; [unrolled: 28-line block ×4, first 2 shown]
	s_waitcnt vmcnt(56)
	v_fma_f64 v[66:67], v[1:2], v[74:75], -v[65:66]
	v_mul_f64 v[58:59], v[12:13], v[70:71]
	v_add_f64 v[16:17], v[16:17], v[54:55]
	v_fma_f64 v[54:55], v[3:4], v[74:75], v[129:130]
	v_add_f64 v[9:10], v[9:10], v[50:51]
	s_clause 0x2
	buffer_load_dword v51, off, s[0:3], 0 offset:1020
	buffer_load_dword v50, off, s[0:3], 0 offset:1016
	;; [unrolled: 1-line block ×3, first 2 shown]
	s_waitcnt vmcnt(55) lgkmcnt(0)
	v_mul_f64 v[74:75], v[7:8], v[78:79]
	s_waitcnt vmcnt(54)
	v_fma_f64 v[62:63], v[12:13], v[72:73], -v[62:63]
	ds_read_b128 v[1:4], v11 offset:1792
	v_mul_f64 v[70:71], v[5:6], v[78:79]
	v_fma_f64 v[58:59], v[14:15], v[72:73], v[58:59]
	v_add_f64 v[16:17], v[16:17], v[66:67]
	v_add_f64 v[9:10], v[9:10], v[54:55]
	s_clause 0x1
	buffer_load_dword v55, off, s[0:3], 0 offset:1012
	buffer_load_dword v54, off, s[0:3], 0 offset:1008
	s_waitcnt vmcnt(55) lgkmcnt(0)
	v_mul_f64 v[72:73], v[3:4], v[80:81]
	s_waitcnt vmcnt(53)
	v_fma_f64 v[74:75], v[5:6], v[117:118], -v[74:75]
	ds_read_b128 v[12:15], v11 offset:1808
	v_mul_f64 v[66:67], v[1:2], v[80:81]
	v_add_f64 v[16:17], v[16:17], v[62:63]
	v_fma_f64 v[62:63], v[7:8], v[117:118], v[70:71]
	v_add_f64 v[9:10], v[9:10], v[58:59]
	ds_read_b128 v[5:8], v11 offset:1824
	s_waitcnt vmcnt(49) lgkmcnt(1)
	v_mul_f64 v[70:71], v[14:15], v[76:77]
	s_waitcnt vmcnt(48)
	v_fma_f64 v[72:73], v[1:2], v[82:83], -v[72:73]
	v_mul_f64 v[58:59], v[12:13], v[76:77]
	v_fma_f64 v[66:67], v[3:4], v[82:83], v[66:67]
	v_add_f64 v[16:17], v[16:17], v[74:75]
	v_add_f64 v[9:10], v[9:10], v[62:63]
	s_clause 0x3
	buffer_load_dword v62, off, s[0:3], 0 offset:528
	buffer_load_dword v63, off, s[0:3], 0 offset:532
	;; [unrolled: 1-line block ×4, first 2 shown]
	ds_read_b128 v[1:4], v11 offset:1840
	s_waitcnt vmcnt(51) lgkmcnt(1)
	v_mul_f64 v[78:79], v[7:8], v[125:126]
	v_mul_f64 v[76:77], v[5:6], v[125:126]
	s_waitcnt vmcnt(49)
	v_fma_f64 v[70:71], v[12:13], v[18:19], -v[70:71]
	v_fma_f64 v[18:19], v[14:15], v[18:19], v[58:59]
	ds_read_b128 v[12:15], v11 offset:1856
	v_add_f64 v[16:17], v[16:17], v[72:73]
	v_add_f64 v[9:10], v[9:10], v[66:67]
	s_waitcnt vmcnt(45) lgkmcnt(1)
	v_mul_f64 v[58:59], v[1:2], v[22:23]
	v_mul_f64 v[22:23], v[3:4], v[22:23]
	s_waitcnt vmcnt(44)
	v_fma_f64 v[66:67], v[5:6], v[127:128], -v[78:79]
	v_add_f64 v[16:17], v[16:17], v[70:71]
	v_fma_f64 v[70:71], v[7:8], v[127:128], v[76:77]
	v_add_f64 v[9:10], v[9:10], v[18:19]
	ds_read_b128 v[5:8], v11 offset:1872
	s_waitcnt vmcnt(43) lgkmcnt(1)
	v_mul_f64 v[18:19], v[12:13], v[32:33]
	v_mul_f64 v[32:33], v[14:15], v[32:33]
	s_waitcnt vmcnt(41)
	v_fma_f64 v[22:23], v[1:2], v[20:21], -v[22:23]
	v_fma_f64 v[20:21], v[3:4], v[20:21], v[58:59]
	ds_read_b128 v[1:4], v11 offset:1888
	v_add_f64 v[16:17], v[16:17], v[66:67]
	v_add_f64 v[9:10], v[9:10], v[70:71]
	s_waitcnt vmcnt(37) lgkmcnt(1)
	v_mul_f64 v[58:59], v[5:6], v[24:25]
	v_mul_f64 v[24:25], v[7:8], v[24:25]
	s_waitcnt vmcnt(36)
	v_fma_f64 v[32:33], v[12:13], v[119:120], -v[32:33]
	v_fma_f64 v[18:19], v[14:15], v[119:120], v[18:19]
	ds_read_b128 v[12:15], v11 offset:1904
	v_add_f64 v[16:17], v[16:17], v[22:23]
	v_add_f64 v[9:10], v[9:10], v[20:21]
	;; [unrolled: 9-line block ×5, first 2 shown]
	s_waitcnt vmcnt(21) lgkmcnt(1)
	v_mul_f64 v[22:23], v[3:4], v[34:35]
	s_waitcnt vmcnt(20)
	v_fma_f64 v[26:27], v[5:6], v[48:49], -v[26:27]
	v_mul_f64 v[20:21], v[1:2], v[34:35]
	v_fma_f64 v[24:25], v[7:8], v[48:49], v[24:25]
	ds_read_b128 v[5:8], v11 offset:1968
	v_add_f64 v[16:17], v[16:17], v[28:29]
	v_add_f64 v[9:10], v[9:10], v[18:19]
	s_waitcnt vmcnt(19) lgkmcnt(1)
	v_mul_f64 v[28:29], v[14:15], v[52:53]
	v_mul_f64 v[18:19], v[12:13], v[52:53]
	s_waitcnt vmcnt(17)
	v_fma_f64 v[22:23], v[1:2], v[38:39], -v[22:23]
	v_fma_f64 v[20:21], v[3:4], v[38:39], v[20:21]
	ds_read_b128 v[1:4], v11 offset:1984
	v_add_f64 v[16:17], v[16:17], v[26:27]
	v_add_f64 v[9:10], v[9:10], v[24:25]
	s_waitcnt vmcnt(13) lgkmcnt(1)
	v_mul_f64 v[26:27], v[7:8], v[42:43]
	s_waitcnt vmcnt(12)
	v_fma_f64 v[28:29], v[12:13], v[56:57], -v[28:29]
	v_mul_f64 v[24:25], v[5:6], v[42:43]
	v_fma_f64 v[13:14], v[14:15], v[56:57], v[18:19]
	v_add_f64 v[16:17], v[16:17], v[22:23]
	v_add_f64 v[18:19], v[9:10], v[20:21]
	ds_read_b128 v[9:12], v11 offset:2000
	s_waitcnt vmcnt(11) lgkmcnt(1)
	v_mul_f64 v[22:23], v[3:4], v[60:61]
	v_mul_f64 v[20:21], v[1:2], v[60:61]
	s_waitcnt vmcnt(9)
	v_fma_f64 v[5:6], v[5:6], v[46:47], -v[26:27]
	v_fma_f64 v[7:8], v[7:8], v[46:47], v[24:25]
	v_add_f64 v[15:16], v[16:17], v[28:29]
	v_add_f64 v[13:14], v[18:19], v[13:14]
	s_waitcnt vmcnt(7) lgkmcnt(0)
	v_mul_f64 v[24:25], v[11:12], v[50:51]
	s_waitcnt vmcnt(6)
	v_fma_f64 v[1:2], v[1:2], v[64:65], -v[22:23]
	v_mul_f64 v[17:18], v[9:10], v[50:51]
	v_fma_f64 v[3:4], v[3:4], v[64:65], v[20:21]
	v_add_f64 v[5:6], v[15:16], v[5:6]
	v_add_f64 v[7:8], v[13:14], v[7:8]
	s_waitcnt vmcnt(4)
	v_fma_f64 v[9:10], v[9:10], v[54:55], -v[24:25]
	v_add_f64 v[1:2], v[5:6], v[1:2]
	v_fma_f64 v[5:6], v[11:12], v[54:55], v[17:18]
	v_add_f64 v[3:4], v[7:8], v[3:4]
	v_add_f64 v[1:2], v[1:2], v[9:10]
	;; [unrolled: 1-line block ×3, first 2 shown]
	s_waitcnt vmcnt(2)
	v_add_f64 v[1:2], v[62:63], -v[1:2]
	s_waitcnt vmcnt(0)
	v_add_f64 v[3:4], v[74:75], -v[3:4]
	buffer_store_dword v2, off, s[0:3], 0 offset:532
	buffer_store_dword v1, off, s[0:3], 0 offset:528
	;; [unrolled: 1-line block ×4, first 2 shown]
	v_cmpx_lt_u32_e32 31, v0
	s_cbranch_execz .LBB62_341
; %bb.340:
	v_mov_b32_e32 v4, s46
	v_mov_b32_e32 v5, 0
	s_clause 0x3
	buffer_load_dword v1, v4, s[0:3], 0 offen
	buffer_load_dword v2, v4, s[0:3], 0 offen offset:4
	buffer_load_dword v3, v4, s[0:3], 0 offen offset:8
	;; [unrolled: 1-line block ×3, first 2 shown]
	buffer_store_dword v5, off, s[0:3], 0 offset:512
	buffer_store_dword v5, off, s[0:3], 0 offset:516
	;; [unrolled: 1-line block ×4, first 2 shown]
	s_waitcnt vmcnt(0)
	ds_write_b128 v69, v[1:4]
.LBB62_341:
	s_or_b32 exec_lo, exec_lo, s4
	s_waitcnt lgkmcnt(0)
	s_waitcnt_vscnt null, 0x0
	s_barrier
	buffer_gl0_inv
	s_clause 0x37
	buffer_load_dword v9, off, s[0:3], 0 offset:536
	buffer_load_dword v10, off, s[0:3], 0 offset:540
	;; [unrolled: 1-line block ×56, first 2 shown]
	v_mov_b32_e32 v29, 0
	s_mov_b32 s4, exec_lo
	ds_read_b128 v[17:20], v29 offset:1520
	s_clause 0x2
	buffer_load_dword v71, off, s[0:3], 0 offset:764
	buffer_load_dword v75, off, s[0:3], 0 offset:740
	;; [unrolled: 1-line block ×3, first 2 shown]
	ds_read_b128 v[21:24], v29 offset:1536
	s_clause 0x4
	buffer_load_dword v79, off, s[0:3], 0 offset:780
	buffer_load_dword v80, off, s[0:3], 0 offset:792
	;; [unrolled: 1-line block ×5, first 2 shown]
	ds_read_b128 v[25:28], v29 offset:1552
	s_clause 0x2
	buffer_load_dword v81, off, s[0:3], 0 offset:796
	buffer_load_dword v118, off, s[0:3], 0 offset:772
	;; [unrolled: 1-line block ×3, first 2 shown]
	s_waitcnt vmcnt(62) lgkmcnt(2)
	v_mul_f64 v[76:77], v[19:20], v[9:10]
	v_mul_f64 v[9:10], v[17:18], v[9:10]
	s_waitcnt lgkmcnt(1)
	v_mul_f64 v[83:84], v[23:24], v[5:6]
	s_waitcnt vmcnt(59) lgkmcnt(0)
	v_mul_f64 v[119:120], v[27:28], v[3:4]
	v_fma_f64 v[17:18], v[17:18], v[7:8], -v[76:77]
	v_mul_f64 v[76:77], v[21:22], v[5:6]
	v_fma_f64 v[9:10], v[19:20], v[7:8], v[9:10]
	s_waitcnt vmcnt(57)
	v_fma_f64 v[21:22], v[21:22], v[1:2], -v[83:84]
	ds_read_b128 v[5:8], v29 offset:1568
	v_mul_f64 v[19:20], v[25:26], v[3:4]
	s_waitcnt vmcnt(51)
	v_fma_f64 v[25:26], v[25:26], v[32:33], -v[119:120]
	v_add_f64 v[17:18], v[17:18], 0
	v_fma_f64 v[23:24], v[23:24], v[1:2], v[76:77]
	v_add_f64 v[9:10], v[9:10], 0
	s_clause 0x4
	buffer_load_dword v77, off, s[0:3], 0 offset:812
	buffer_load_dword v125, off, s[0:3], 0 offset:824
	;; [unrolled: 1-line block ×5, first 2 shown]
	s_waitcnt lgkmcnt(0)
	v_mul_f64 v[128:129], v[5:6], v[13:14]
	v_mul_f64 v[13:14], v[7:8], v[13:14]
	ds_read_b128 v[1:4], v29 offset:1584
	v_fma_f64 v[27:28], v[27:28], v[32:33], v[19:20]
	v_add_f64 v[21:22], v[17:18], v[21:22]
	v_add_f64 v[9:10], v[9:10], v[23:24]
	s_clause 0x2
	buffer_load_dword v126, off, s[0:3], 0 offset:828
	buffer_load_dword v24, off, s[0:3], 0 offset:804
	;; [unrolled: 1-line block ×3, first 2 shown]
	s_waitcnt vmcnt(58) lgkmcnt(0)
	v_mul_f64 v[32:33], v[1:2], v[30:31]
	v_mul_f64 v[30:31], v[3:4], v[30:31]
	s_waitcnt vmcnt(56)
	v_fma_f64 v[13:14], v[5:6], v[34:35], -v[13:14]
	ds_read_b128 v[17:20], v29 offset:1600
	v_add_f64 v[21:22], v[21:22], v[25:26]
	v_fma_f64 v[25:26], v[7:8], v[34:35], v[128:129]
	v_add_f64 v[9:10], v[9:10], v[27:28]
	s_clause 0x4
	buffer_load_dword v28, off, s[0:3], 0 offset:844
	buffer_load_dword v34, off, s[0:3], 0 offset:856
	buffer_load_dword v119, off, s[0:3], 0 offset:848
	buffer_load_dword v27, off, s[0:3], 0 offset:840
	buffer_load_dword v128, off, s[0:3], 0 offset:820
	ds_read_b128 v[5:8], v29 offset:1616
	s_waitcnt vmcnt(57) lgkmcnt(1)
	v_mul_f64 v[129:130], v[17:18], v[36:37]
	v_mul_f64 v[36:37], v[19:20], v[36:37]
	s_waitcnt vmcnt(56)
	v_fma_f64 v[30:31], v[1:2], v[11:12], -v[30:31]
	v_fma_f64 v[11:12], v[3:4], v[11:12], v[32:33]
	v_add_f64 v[13:14], v[21:22], v[13:14]
	s_clause 0x2
	buffer_load_dword v35, off, s[0:3], 0 offset:860
	buffer_load_dword v22, off, s[0:3], 0 offset:836
	;; [unrolled: 1-line block ×3, first 2 shown]
	v_add_f64 v[9:10], v[9:10], v[25:26]
	s_waitcnt vmcnt(58) lgkmcnt(0)
	v_mul_f64 v[32:33], v[7:8], v[38:39]
	ds_read_b128 v[1:4], v29 offset:1632
	v_mul_f64 v[25:26], v[5:6], v[38:39]
	s_waitcnt vmcnt(56)
	v_fma_f64 v[17:18], v[17:18], v[40:41], -v[36:37]
	v_fma_f64 v[19:20], v[19:20], v[40:41], v[129:130]
	s_clause 0x4
	buffer_load_dword v37, off, s[0:3], 0 offset:876
	buffer_load_dword v38, off, s[0:3], 0 offset:888
	;; [unrolled: 1-line block ×5, first 2 shown]
	v_add_f64 v[13:14], v[13:14], v[30:31]
	v_add_f64 v[30:31], v[9:10], v[11:12]
	s_waitcnt vmcnt(57) lgkmcnt(0)
	v_mul_f64 v[129:130], v[1:2], v[42:43]
	v_mul_f64 v[41:42], v[3:4], v[42:43]
	s_waitcnt vmcnt(56)
	v_fma_f64 v[32:33], v[5:6], v[15:16], -v[32:33]
	ds_read_b128 v[9:12], v29 offset:1648
	v_fma_f64 v[15:16], v[7:8], v[15:16], v[25:26]
	v_add_f64 v[13:14], v[13:14], v[17:18]
	v_add_f64 v[17:18], v[30:31], v[19:20]
	s_clause 0x2
	buffer_load_dword v39, off, s[0:3], 0 offset:892
	buffer_load_dword v20, off, s[0:3], 0 offset:868
	;; [unrolled: 1-line block ×3, first 2 shown]
	s_waitcnt vmcnt(58) lgkmcnt(0)
	v_mul_f64 v[30:31], v[11:12], v[44:45]
	s_waitcnt vmcnt(56)
	v_fma_f64 v[42:43], v[1:2], v[48:49], -v[41:42]
	ds_read_b128 v[5:8], v29 offset:1664
	v_mul_f64 v[25:26], v[9:10], v[44:45]
	v_add_f64 v[13:14], v[13:14], v[32:33]
	v_fma_f64 v[32:33], v[3:4], v[48:49], v[129:130]
	v_add_f64 v[15:16], v[17:18], v[15:16]
	s_clause 0x4
	buffer_load_dword v18, off, s[0:3], 0 offset:908
	buffer_load_dword v44, off, s[0:3], 0 offset:920
	buffer_load_dword v48, off, s[0:3], 0 offset:912
	buffer_load_dword v17, off, s[0:3], 0 offset:904
	buffer_load_dword v41, off, s[0:3], 0 offset:884
	s_waitcnt vmcnt(57) lgkmcnt(0)
	v_mul_f64 v[129:130], v[5:6], v[50:51]
	v_mul_f64 v[49:50], v[7:8], v[50:51]
	s_waitcnt vmcnt(56)
	v_fma_f64 v[30:31], v[9:10], v[46:47], -v[30:31]
	ds_read_b128 v[1:4], v29 offset:1680
	v_fma_f64 v[25:26], v[11:12], v[46:47], v[25:26]
	v_add_f64 v[13:14], v[13:14], v[42:43]
	v_add_f64 v[15:16], v[15:16], v[32:33]
	s_clause 0x2
	buffer_load_dword v45, off, s[0:3], 0 offset:924
	buffer_load_dword v33, off, s[0:3], 0 offset:900
	buffer_load_dword v32, off, s[0:3], 0 offset:896
	ds_read_b128 v[9:12], v29 offset:1696
	s_waitcnt vmcnt(58) lgkmcnt(1)
	v_mul_f64 v[46:47], v[3:4], v[52:53]
	s_waitcnt vmcnt(56)
	v_fma_f64 v[50:51], v[5:6], v[56:57], -v[49:50]
	v_mul_f64 v[42:43], v[1:2], v[52:53]
	v_add_f64 v[13:14], v[13:14], v[30:31]
	v_fma_f64 v[30:31], v[7:8], v[56:57], v[129:130]
	v_add_f64 v[15:16], v[15:16], v[25:26]
	s_clause 0x4
	buffer_load_dword v26, off, s[0:3], 0 offset:940
	buffer_load_dword v52, off, s[0:3], 0 offset:952
	buffer_load_dword v56, off, s[0:3], 0 offset:944
	buffer_load_dword v25, off, s[0:3], 0 offset:936
	buffer_load_dword v49, off, s[0:3], 0 offset:916
	s_waitcnt vmcnt(57) lgkmcnt(0)
	v_mul_f64 v[129:130], v[9:10], v[58:59]
	v_mul_f64 v[57:58], v[11:12], v[58:59]
	s_waitcnt vmcnt(56)
	v_fma_f64 v[46:47], v[1:2], v[54:55], -v[46:47]
	ds_read_b128 v[5:8], v29 offset:1712
	v_fma_f64 v[42:43], v[3:4], v[54:55], v[42:43]
	v_add_f64 v[13:14], v[13:14], v[50:51]
	v_add_f64 v[15:16], v[15:16], v[30:31]
	s_clause 0x2
	buffer_load_dword v53, off, s[0:3], 0 offset:956
	buffer_load_dword v31, off, s[0:3], 0 offset:932
	buffer_load_dword v30, off, s[0:3], 0 offset:928
	ds_read_b128 v[1:4], v29 offset:1728
	s_waitcnt vmcnt(58) lgkmcnt(1)
	v_mul_f64 v[54:55], v[7:8], v[60:61]
	s_waitcnt vmcnt(56)
	v_fma_f64 v[58:59], v[9:10], v[64:65], -v[57:58]
	;; [unrolled: 28-line block ×4, first 2 shown]
	v_mul_f64 v[66:67], v[1:2], v[80:81]
	buffer_load_dword v75, off, s[0:3], 0 offset:1012
	v_add_f64 v[13:14], v[13:14], v[62:63]
	v_fma_f64 v[62:63], v[7:8], v[117:118], v[129:130]
	v_add_f64 v[15:16], v[15:16], v[58:59]
	ds_read_b128 v[5:8], v29 offset:1808
	s_waitcnt vmcnt(53) lgkmcnt(1)
	v_mul_f64 v[58:59], v[9:10], v[76:77]
	v_mul_f64 v[76:77], v[11:12], v[76:77]
	s_waitcnt vmcnt(52)
	v_fma_f64 v[72:73], v[1:2], v[82:83], -v[72:73]
	v_fma_f64 v[66:67], v[3:4], v[82:83], v[66:67]
	ds_read_b128 v[1:4], v29 offset:1824
	v_add_f64 v[13:14], v[13:14], v[78:79]
	v_add_f64 v[15:16], v[15:16], v[62:63]
	s_waitcnt vmcnt(51) lgkmcnt(1)
	v_mul_f64 v[78:79], v[7:8], v[125:126]
	v_mul_f64 v[62:63], v[5:6], v[125:126]
	s_waitcnt vmcnt(49)
	v_fma_f64 v[76:77], v[9:10], v[23:24], -v[76:77]
	v_fma_f64 v[23:24], v[11:12], v[23:24], v[58:59]
	v_add_f64 v[13:14], v[13:14], v[72:73]
	v_add_f64 v[15:16], v[15:16], v[66:67]
	s_clause 0x3
	buffer_load_dword v58, off, s[0:3], 0 offset:512
	buffer_load_dword v59, off, s[0:3], 0 offset:516
	;; [unrolled: 1-line block ×4, first 2 shown]
	ds_read_b128 v[9:12], v29 offset:1840
	s_waitcnt vmcnt(49) lgkmcnt(1)
	v_mul_f64 v[72:73], v[1:2], v[27:28]
	v_mul_f64 v[27:28], v[3:4], v[27:28]
	s_waitcnt vmcnt(48)
	v_fma_f64 v[78:79], v[5:6], v[127:128], -v[78:79]
	v_fma_f64 v[62:63], v[7:8], v[127:128], v[62:63]
	ds_read_b128 v[5:8], v29 offset:1856
	v_add_f64 v[13:14], v[13:14], v[76:77]
	v_add_f64 v[15:16], v[15:16], v[23:24]
	s_waitcnt vmcnt(47) lgkmcnt(1)
	v_mul_f64 v[23:24], v[9:10], v[34:35]
	v_mul_f64 v[34:35], v[11:12], v[34:35]
	s_waitcnt vmcnt(45)
	v_fma_f64 v[27:28], v[1:2], v[21:22], -v[27:28]
	v_fma_f64 v[21:22], v[3:4], v[21:22], v[72:73]
	ds_read_b128 v[1:4], v29 offset:1872
	v_add_f64 v[13:14], v[13:14], v[78:79]
	v_add_f64 v[15:16], v[15:16], v[62:63]
	s_waitcnt vmcnt(41) lgkmcnt(1)
	v_mul_f64 v[62:63], v[5:6], v[36:37]
	v_mul_f64 v[36:37], v[7:8], v[36:37]
	s_waitcnt vmcnt(40)
	v_fma_f64 v[23:24], v[11:12], v[119:120], v[23:24]
	v_fma_f64 v[34:35], v[9:10], v[119:120], -v[34:35]
	ds_read_b128 v[9:12], v29 offset:1888
	v_add_f64 v[13:14], v[13:14], v[27:28]
	v_add_f64 v[15:16], v[15:16], v[21:22]
	s_waitcnt vmcnt(39) lgkmcnt(1)
	v_mul_f64 v[27:28], v[3:4], v[38:39]
	v_mul_f64 v[21:22], v[1:2], v[38:39]
	s_waitcnt vmcnt(37)
	v_fma_f64 v[36:37], v[5:6], v[19:20], -v[36:37]
	v_fma_f64 v[19:20], v[7:8], v[19:20], v[62:63]
	ds_read_b128 v[5:8], v29 offset:1904
	v_add_f64 v[13:14], v[13:14], v[34:35]
	v_add_f64 v[15:16], v[15:16], v[23:24]
	s_waitcnt vmcnt(33) lgkmcnt(1)
	v_mul_f64 v[23:24], v[9:10], v[17:18]
	v_mul_f64 v[17:18], v[11:12], v[17:18]
	s_waitcnt vmcnt(32)
	v_fma_f64 v[27:28], v[1:2], v[40:41], -v[27:28]
	v_fma_f64 v[21:22], v[3:4], v[40:41], v[21:22]
	;; [unrolled: 9-line block ×3, first 2 shown]
	ds_read_b128 v[9:12], v29 offset:1936
	v_add_f64 v[13:14], v[13:14], v[27:28]
	v_add_f64 v[15:16], v[15:16], v[21:22]
	s_waitcnt vmcnt(25) lgkmcnt(1)
	v_mul_f64 v[21:22], v[1:2], v[25:26]
	v_mul_f64 v[25:26], v[3:4], v[25:26]
	s_waitcnt vmcnt(24)
	v_fma_f64 v[27:28], v[5:6], v[48:49], -v[34:35]
	v_add_f64 v[13:14], v[13:14], v[17:18]
	v_fma_f64 v[17:18], v[7:8], v[48:49], v[19:20]
	v_add_f64 v[15:16], v[15:16], v[23:24]
	ds_read_b128 v[5:8], v29 offset:1952
	s_waitcnt vmcnt(23) lgkmcnt(1)
	v_mul_f64 v[23:24], v[11:12], v[52:53]
	v_mul_f64 v[19:20], v[9:10], v[52:53]
	s_waitcnt vmcnt(21)
	v_fma_f64 v[25:26], v[1:2], v[30:31], -v[25:26]
	v_fma_f64 v[21:22], v[3:4], v[30:31], v[21:22]
	ds_read_b128 v[1:4], v29 offset:1968
	v_add_f64 v[13:14], v[13:14], v[27:28]
	v_add_f64 v[15:16], v[15:16], v[17:18]
	s_waitcnt vmcnt(17) lgkmcnt(1)
	v_mul_f64 v[27:28], v[7:8], v[42:43]
	s_waitcnt vmcnt(16)
	v_fma_f64 v[23:24], v[9:10], v[56:57], -v[23:24]
	v_mul_f64 v[17:18], v[5:6], v[42:43]
	v_fma_f64 v[19:20], v[11:12], v[56:57], v[19:20]
	ds_read_b128 v[9:12], v29 offset:1984
	v_add_f64 v[13:14], v[13:14], v[25:26]
	v_add_f64 v[15:16], v[15:16], v[21:22]
	s_waitcnt vmcnt(15) lgkmcnt(1)
	v_mul_f64 v[25:26], v[3:4], v[60:61]
	v_mul_f64 v[21:22], v[1:2], v[60:61]
	s_waitcnt vmcnt(13)
	v_fma_f64 v[27:28], v[5:6], v[46:47], -v[27:28]
	v_fma_f64 v[17:18], v[7:8], v[46:47], v[17:18]
	ds_read_b128 v[5:8], v29 offset:2000
	v_add_f64 v[13:14], v[13:14], v[23:24]
	v_add_f64 v[15:16], v[15:16], v[19:20]
	s_waitcnt vmcnt(9) lgkmcnt(1)
	v_mul_f64 v[23:24], v[11:12], v[50:51]
	s_waitcnt vmcnt(8)
	v_fma_f64 v[1:2], v[1:2], v[64:65], -v[25:26]
	v_mul_f64 v[19:20], v[9:10], v[50:51]
	v_fma_f64 v[3:4], v[3:4], v[64:65], v[21:22]
	v_add_f64 v[13:14], v[13:14], v[27:28]
	v_add_f64 v[15:16], v[15:16], v[17:18]
	s_waitcnt vmcnt(7) lgkmcnt(0)
	v_mul_f64 v[21:22], v[7:8], v[70:71]
	v_mul_f64 v[17:18], v[5:6], v[70:71]
	s_waitcnt vmcnt(5)
	v_fma_f64 v[9:10], v[9:10], v[54:55], -v[23:24]
	v_fma_f64 v[11:12], v[11:12], v[54:55], v[19:20]
	v_add_f64 v[1:2], v[13:14], v[1:2]
	v_add_f64 v[3:4], v[15:16], v[3:4]
	s_waitcnt vmcnt(4)
	v_fma_f64 v[5:6], v[5:6], v[74:75], -v[21:22]
	v_fma_f64 v[7:8], v[7:8], v[74:75], v[17:18]
	v_add_f64 v[1:2], v[1:2], v[9:10]
	v_add_f64 v[3:4], v[3:4], v[11:12]
	v_add_f64 v[1:2], v[1:2], v[5:6]
	v_add_f64 v[3:4], v[3:4], v[7:8]
	s_waitcnt vmcnt(2)
	v_add_f64 v[1:2], v[58:59], -v[1:2]
	s_waitcnt vmcnt(0)
	v_add_f64 v[3:4], v[66:67], -v[3:4]
	buffer_store_dword v2, off, s[0:3], 0 offset:516
	buffer_store_dword v1, off, s[0:3], 0 offset:512
	buffer_store_dword v4, off, s[0:3], 0 offset:524
	buffer_store_dword v3, off, s[0:3], 0 offset:520
	v_cmpx_lt_u32_e32 30, v0
	s_cbranch_execz .LBB62_343
; %bb.342:
	v_mov_b32_e32 v4, s47
	s_clause 0x3
	buffer_load_dword v1, v4, s[0:3], 0 offen
	buffer_load_dword v2, v4, s[0:3], 0 offen offset:4
	buffer_load_dword v3, v4, s[0:3], 0 offen offset:8
	;; [unrolled: 1-line block ×3, first 2 shown]
	buffer_store_dword v29, off, s[0:3], 0 offset:496
	buffer_store_dword v29, off, s[0:3], 0 offset:500
	;; [unrolled: 1-line block ×4, first 2 shown]
	s_waitcnt vmcnt(0)
	ds_write_b128 v69, v[1:4]
.LBB62_343:
	s_or_b32 exec_lo, exec_lo, s4
	s_waitcnt lgkmcnt(0)
	s_waitcnt_vscnt null, 0x0
	s_barrier
	buffer_gl0_inv
	s_clause 0x37
	buffer_load_dword v9, off, s[0:3], 0 offset:520
	buffer_load_dword v10, off, s[0:3], 0 offset:524
	buffer_load_dword v5, off, s[0:3], 0 offset:536
	buffer_load_dword v6, off, s[0:3], 0 offset:540
	buffer_load_dword v7, off, s[0:3], 0 offset:512
	buffer_load_dword v8, off, s[0:3], 0 offset:516
	buffer_load_dword v3, off, s[0:3], 0 offset:552
	buffer_load_dword v4, off, s[0:3], 0 offset:556
	buffer_load_dword v1, off, s[0:3], 0 offset:528
	buffer_load_dword v2, off, s[0:3], 0 offset:532
	buffer_load_dword v14, off, s[0:3], 0 offset:572
	buffer_load_dword v17, off, s[0:3], 0 offset:584
	buffer_load_dword v11, off, s[0:3], 0 offset:576
	buffer_load_dword v13, off, s[0:3], 0 offset:568
	buffer_load_dword v25, off, s[0:3], 0 offset:544
	buffer_load_dword v26, off, s[0:3], 0 offset:548
	buffer_load_dword v18, off, s[0:3], 0 offset:588
	buffer_load_dword v20, off, s[0:3], 0 offset:564
	buffer_load_dword v19, off, s[0:3], 0 offset:560
	buffer_load_dword v22, off, s[0:3], 0 offset:604
	buffer_load_dword v27, off, s[0:3], 0 offset:616
	buffer_load_dword v15, off, s[0:3], 0 offset:608
	buffer_load_dword v21, off, s[0:3], 0 offset:600
	buffer_load_dword v12, off, s[0:3], 0 offset:580
	buffer_load_dword v28, off, s[0:3], 0 offset:620
	buffer_load_dword v43, off, s[0:3], 0 offset:596
	buffer_load_dword v42, off, s[0:3], 0 offset:592
	buffer_load_dword v45, off, s[0:3], 0 offset:636
	buffer_load_dword v46, off, s[0:3], 0 offset:648
	buffer_load_dword v23, off, s[0:3], 0 offset:640
	buffer_load_dword v44, off, s[0:3], 0 offset:632
	buffer_load_dword v16, off, s[0:3], 0 offset:612
	buffer_load_dword v47, off, s[0:3], 0 offset:652
	buffer_load_dword v49, off, s[0:3], 0 offset:628
	buffer_load_dword v48, off, s[0:3], 0 offset:624
	buffer_load_dword v51, off, s[0:3], 0 offset:668
	buffer_load_dword v52, off, s[0:3], 0 offset:680
	buffer_load_dword v54, off, s[0:3], 0 offset:672
	buffer_load_dword v50, off, s[0:3], 0 offset:664
	buffer_load_dword v24, off, s[0:3], 0 offset:644
	buffer_load_dword v53, off, s[0:3], 0 offset:684
	buffer_load_dword v57, off, s[0:3], 0 offset:660
	buffer_load_dword v56, off, s[0:3], 0 offset:656
	buffer_load_dword v59, off, s[0:3], 0 offset:700
	buffer_load_dword v60, off, s[0:3], 0 offset:712
	buffer_load_dword v62, off, s[0:3], 0 offset:704
	buffer_load_dword v58, off, s[0:3], 0 offset:696
	buffer_load_dword v55, off, s[0:3], 0 offset:676
	buffer_load_dword v61, off, s[0:3], 0 offset:716
	buffer_load_dword v65, off, s[0:3], 0 offset:692
	buffer_load_dword v64, off, s[0:3], 0 offset:688
	buffer_load_dword v67, off, s[0:3], 0 offset:732
	buffer_load_dword v70, off, s[0:3], 0 offset:744
	buffer_load_dword v72, off, s[0:3], 0 offset:736
	buffer_load_dword v66, off, s[0:3], 0 offset:728
	buffer_load_dword v63, off, s[0:3], 0 offset:708
	ds_read_b128 v[30:33], v29 offset:1504
	s_clause 0x2
	buffer_load_dword v71, off, s[0:3], 0 offset:748
	buffer_load_dword v75, off, s[0:3], 0 offset:724
	;; [unrolled: 1-line block ×3, first 2 shown]
	ds_read_b128 v[34:37], v29 offset:1520
	s_clause 0x4
	buffer_load_dword v79, off, s[0:3], 0 offset:764
	buffer_load_dword v80, off, s[0:3], 0 offset:776
	;; [unrolled: 1-line block ×5, first 2 shown]
	ds_read_b128 v[38:41], v29 offset:1536
	s_clause 0x2
	buffer_load_dword v81, off, s[0:3], 0 offset:780
	buffer_load_dword v118, off, s[0:3], 0 offset:756
	buffer_load_dword v117, off, s[0:3], 0 offset:752
	s_mov_b32 s4, exec_lo
	s_waitcnt vmcnt(62) lgkmcnt(2)
	v_mul_f64 v[76:77], v[32:33], v[9:10]
	v_mul_f64 v[9:10], v[30:31], v[9:10]
	s_waitcnt lgkmcnt(1)
	v_mul_f64 v[83:84], v[36:37], v[5:6]
	s_waitcnt vmcnt(59) lgkmcnt(0)
	v_mul_f64 v[119:120], v[40:41], v[3:4]
	v_fma_f64 v[30:31], v[30:31], v[7:8], -v[76:77]
	v_mul_f64 v[76:77], v[34:35], v[5:6]
	v_fma_f64 v[9:10], v[32:33], v[7:8], v[9:10]
	s_waitcnt vmcnt(57)
	v_fma_f64 v[34:35], v[34:35], v[1:2], -v[83:84]
	ds_read_b128 v[5:8], v29 offset:1552
	v_mul_f64 v[32:33], v[38:39], v[3:4]
	s_waitcnt vmcnt(51)
	v_fma_f64 v[38:39], v[38:39], v[25:26], -v[119:120]
	v_add_f64 v[30:31], v[30:31], 0
	v_fma_f64 v[36:37], v[36:37], v[1:2], v[76:77]
	v_add_f64 v[9:10], v[9:10], 0
	s_clause 0x4
	buffer_load_dword v77, off, s[0:3], 0 offset:796
	buffer_load_dword v125, off, s[0:3], 0 offset:808
	;; [unrolled: 1-line block ×5, first 2 shown]
	s_waitcnt lgkmcnt(0)
	v_mul_f64 v[128:129], v[5:6], v[13:14]
	v_mul_f64 v[13:14], v[7:8], v[13:14]
	ds_read_b128 v[1:4], v29 offset:1568
	v_fma_f64 v[25:26], v[40:41], v[25:26], v[32:33]
	v_add_f64 v[34:35], v[30:31], v[34:35]
	v_add_f64 v[9:10], v[9:10], v[36:37]
	s_clause 0x2
	buffer_load_dword v126, off, s[0:3], 0 offset:812
	buffer_load_dword v37, off, s[0:3], 0 offset:788
	;; [unrolled: 1-line block ×3, first 2 shown]
	s_waitcnt vmcnt(58) lgkmcnt(0)
	v_mul_f64 v[40:41], v[1:2], v[17:18]
	v_mul_f64 v[17:18], v[3:4], v[17:18]
	s_waitcnt vmcnt(56)
	v_fma_f64 v[13:14], v[5:6], v[19:20], -v[13:14]
	ds_read_b128 v[30:33], v29 offset:1584
	v_fma_f64 v[19:20], v[7:8], v[19:20], v[128:129]
	v_add_f64 v[34:35], v[34:35], v[38:39]
	v_add_f64 v[9:10], v[9:10], v[25:26]
	s_clause 0x4
	buffer_load_dword v26, off, s[0:3], 0 offset:828
	buffer_load_dword v38, off, s[0:3], 0 offset:840
	;; [unrolled: 1-line block ×5, first 2 shown]
	ds_read_b128 v[5:8], v29 offset:1600
	s_waitcnt vmcnt(57) lgkmcnt(1)
	v_mul_f64 v[129:130], v[30:31], v[21:22]
	v_mul_f64 v[21:22], v[32:33], v[21:22]
	s_waitcnt vmcnt(56)
	v_fma_f64 v[17:18], v[1:2], v[11:12], -v[17:18]
	v_fma_f64 v[11:12], v[3:4], v[11:12], v[40:41]
	v_add_f64 v[13:14], v[34:35], v[13:14]
	v_add_f64 v[9:10], v[9:10], v[19:20]
	s_clause 0x2
	buffer_load_dword v39, off, s[0:3], 0 offset:844
	buffer_load_dword v20, off, s[0:3], 0 offset:820
	;; [unrolled: 1-line block ×3, first 2 shown]
	s_waitcnt vmcnt(58) lgkmcnt(0)
	v_mul_f64 v[34:35], v[5:6], v[27:28]
	v_mul_f64 v[27:28], v[7:8], v[27:28]
	s_waitcnt vmcnt(56)
	v_fma_f64 v[21:22], v[30:31], v[42:43], -v[21:22]
	ds_read_b128 v[1:4], v29 offset:1616
	v_add_f64 v[13:14], v[13:14], v[17:18]
	v_fma_f64 v[17:18], v[32:33], v[42:43], v[129:130]
	v_add_f64 v[30:31], v[9:10], v[11:12]
	s_clause 0x4
	buffer_load_dword v33, off, s[0:3], 0 offset:860
	buffer_load_dword v40, off, s[0:3], 0 offset:872
	;; [unrolled: 1-line block ×5, first 2 shown]
	ds_read_b128 v[9:12], v29 offset:1632
	s_waitcnt vmcnt(57) lgkmcnt(1)
	v_mul_f64 v[129:130], v[1:2], v[44:45]
	v_mul_f64 v[43:44], v[3:4], v[44:45]
	s_waitcnt vmcnt(56)
	v_fma_f64 v[27:28], v[5:6], v[15:16], -v[27:28]
	v_fma_f64 v[15:16], v[7:8], v[15:16], v[34:35]
	v_add_f64 v[13:14], v[13:14], v[21:22]
	s_clause 0x2
	buffer_load_dword v41, off, s[0:3], 0 offset:876
	buffer_load_dword v22, off, s[0:3], 0 offset:852
	;; [unrolled: 1-line block ×3, first 2 shown]
	v_add_f64 v[17:18], v[30:31], v[17:18]
	s_waitcnt vmcnt(58) lgkmcnt(0)
	v_mul_f64 v[34:35], v[11:12], v[46:47]
	ds_read_b128 v[5:8], v29 offset:1648
	v_mul_f64 v[30:31], v[9:10], v[46:47]
	s_waitcnt vmcnt(56)
	v_fma_f64 v[44:45], v[1:2], v[48:49], -v[43:44]
	v_add_f64 v[13:14], v[13:14], v[27:28]
	v_fma_f64 v[27:28], v[3:4], v[48:49], v[129:130]
	v_add_f64 v[15:16], v[17:18], v[15:16]
	s_clause 0x4
	buffer_load_dword v18, off, s[0:3], 0 offset:892
	buffer_load_dword v46, off, s[0:3], 0 offset:904
	buffer_load_dword v48, off, s[0:3], 0 offset:896
	buffer_load_dword v17, off, s[0:3], 0 offset:888
	buffer_load_dword v43, off, s[0:3], 0 offset:868
	s_waitcnt vmcnt(57) lgkmcnt(0)
	v_mul_f64 v[129:130], v[5:6], v[50:51]
	v_mul_f64 v[49:50], v[7:8], v[50:51]
	s_waitcnt vmcnt(56)
	v_fma_f64 v[34:35], v[9:10], v[23:24], -v[34:35]
	ds_read_b128 v[1:4], v29 offset:1664
	v_fma_f64 v[23:24], v[11:12], v[23:24], v[30:31]
	v_add_f64 v[13:14], v[13:14], v[44:45]
	v_add_f64 v[15:16], v[15:16], v[27:28]
	s_clause 0x2
	buffer_load_dword v47, off, s[0:3], 0 offset:908
	buffer_load_dword v28, off, s[0:3], 0 offset:884
	buffer_load_dword v27, off, s[0:3], 0 offset:880
	ds_read_b128 v[9:12], v29 offset:1680
	s_waitcnt vmcnt(58) lgkmcnt(1)
	v_mul_f64 v[44:45], v[3:4], v[52:53]
	s_waitcnt vmcnt(56)
	v_fma_f64 v[50:51], v[5:6], v[56:57], -v[49:50]
	v_mul_f64 v[30:31], v[1:2], v[52:53]
	v_add_f64 v[13:14], v[13:14], v[34:35]
	v_fma_f64 v[34:35], v[7:8], v[56:57], v[129:130]
	v_add_f64 v[15:16], v[15:16], v[23:24]
	s_clause 0x4
	buffer_load_dword v24, off, s[0:3], 0 offset:924
	buffer_load_dword v52, off, s[0:3], 0 offset:936
	buffer_load_dword v56, off, s[0:3], 0 offset:928
	buffer_load_dword v23, off, s[0:3], 0 offset:920
	buffer_load_dword v49, off, s[0:3], 0 offset:900
	s_waitcnt vmcnt(57) lgkmcnt(0)
	v_mul_f64 v[129:130], v[9:10], v[58:59]
	v_mul_f64 v[57:58], v[11:12], v[58:59]
	s_waitcnt vmcnt(56)
	v_fma_f64 v[44:45], v[1:2], v[54:55], -v[44:45]
	ds_read_b128 v[5:8], v29 offset:1696
	v_fma_f64 v[30:31], v[3:4], v[54:55], v[30:31]
	v_add_f64 v[13:14], v[13:14], v[50:51]
	v_add_f64 v[15:16], v[15:16], v[34:35]
	s_clause 0x2
	buffer_load_dword v53, off, s[0:3], 0 offset:940
	buffer_load_dword v35, off, s[0:3], 0 offset:916
	buffer_load_dword v34, off, s[0:3], 0 offset:912
	ds_read_b128 v[1:4], v29 offset:1712
	s_waitcnt vmcnt(58) lgkmcnt(1)
	v_mul_f64 v[54:55], v[7:8], v[60:61]
	s_waitcnt vmcnt(56)
	v_fma_f64 v[58:59], v[9:10], v[64:65], -v[57:58]
	v_mul_f64 v[50:51], v[5:6], v[60:61]
	;; [unrolled: 28-line block ×4, first 2 shown]
	v_add_f64 v[13:14], v[13:14], v[62:63]
	v_fma_f64 v[62:63], v[7:8], v[117:118], v[129:130]
	v_add_f64 v[15:16], v[15:16], v[58:59]
	s_clause 0x2
	buffer_load_dword v59, off, s[0:3], 0 offset:1020
	buffer_load_dword v58, off, s[0:3], 0 offset:1016
	buffer_load_dword v75, off, s[0:3], 0 offset:996
	ds_read_b128 v[5:8], v29 offset:1792
	s_waitcnt vmcnt(55) lgkmcnt(1)
	v_mul_f64 v[80:81], v[9:10], v[76:77]
	v_mul_f64 v[76:77], v[11:12], v[76:77]
	s_waitcnt vmcnt(54)
	v_fma_f64 v[72:73], v[1:2], v[82:83], -v[72:73]
	v_fma_f64 v[66:67], v[3:4], v[82:83], v[66:67]
	v_add_f64 v[13:14], v[13:14], v[78:79]
	v_add_f64 v[15:16], v[15:16], v[62:63]
	s_clause 0x1
	buffer_load_dword v63, off, s[0:3], 0 offset:1012
	buffer_load_dword v62, off, s[0:3], 0 offset:1008
	ds_read_b128 v[1:4], v29 offset:1808
	s_waitcnt vmcnt(55) lgkmcnt(1)
	v_mul_f64 v[82:83], v[7:8], v[125:126]
	v_mul_f64 v[78:79], v[5:6], v[125:126]
	s_waitcnt vmcnt(53)
	v_fma_f64 v[76:77], v[9:10], v[36:37], -v[76:77]
	v_fma_f64 v[36:37], v[11:12], v[36:37], v[80:81]
	ds_read_b128 v[9:12], v29 offset:1824
	v_add_f64 v[13:14], v[13:14], v[72:73]
	v_add_f64 v[15:16], v[15:16], v[66:67]
	s_waitcnt vmcnt(49) lgkmcnt(1)
	v_mul_f64 v[66:67], v[1:2], v[25:26]
	v_mul_f64 v[25:26], v[3:4], v[25:26]
	s_waitcnt vmcnt(48)
	v_fma_f64 v[72:73], v[5:6], v[127:128], -v[82:83]
	v_add_f64 v[13:14], v[13:14], v[76:77]
	v_fma_f64 v[76:77], v[7:8], v[127:128], v[78:79]
	v_add_f64 v[15:16], v[15:16], v[36:37]
	s_clause 0x3
	buffer_load_dword v36, off, s[0:3], 0 offset:496
	buffer_load_dword v37, off, s[0:3], 0 offset:500
	;; [unrolled: 1-line block ×4, first 2 shown]
	ds_read_b128 v[5:8], v29 offset:1840
	s_waitcnt vmcnt(51) lgkmcnt(1)
	v_mul_f64 v[80:81], v[9:10], v[38:39]
	v_mul_f64 v[38:39], v[11:12], v[38:39]
	s_waitcnt vmcnt(49)
	v_fma_f64 v[25:26], v[1:2], v[19:20], -v[25:26]
	v_fma_f64 v[19:20], v[3:4], v[19:20], v[66:67]
	ds_read_b128 v[1:4], v29 offset:1856
	v_add_f64 v[13:14], v[13:14], v[72:73]
	v_add_f64 v[15:16], v[15:16], v[76:77]
	s_waitcnt vmcnt(45) lgkmcnt(1)
	v_mul_f64 v[66:67], v[5:6], v[32:33]
	v_mul_f64 v[32:33], v[7:8], v[32:33]
	s_waitcnt vmcnt(44)
	v_fma_f64 v[38:39], v[9:10], v[119:120], -v[38:39]
	v_add_f64 v[13:14], v[13:14], v[25:26]
	v_fma_f64 v[25:26], v[11:12], v[119:120], v[80:81]
	v_add_f64 v[15:16], v[15:16], v[19:20]
	ds_read_b128 v[9:12], v29 offset:1872
	s_waitcnt vmcnt(43) lgkmcnt(1)
	v_mul_f64 v[19:20], v[1:2], v[40:41]
	v_mul_f64 v[40:41], v[3:4], v[40:41]
	s_waitcnt vmcnt(41)
	v_fma_f64 v[32:33], v[5:6], v[21:22], -v[32:33]
	v_fma_f64 v[21:22], v[7:8], v[21:22], v[66:67]
	ds_read_b128 v[5:8], v29 offset:1888
	v_add_f64 v[13:14], v[13:14], v[38:39]
	v_add_f64 v[15:16], v[15:16], v[25:26]
	s_waitcnt vmcnt(37) lgkmcnt(1)
	v_mul_f64 v[25:26], v[9:10], v[17:18]
	v_mul_f64 v[17:18], v[11:12], v[17:18]
	s_waitcnt vmcnt(36)
	v_fma_f64 v[38:39], v[1:2], v[42:43], -v[40:41]
	v_fma_f64 v[19:20], v[3:4], v[42:43], v[19:20]
	ds_read_b128 v[1:4], v29 offset:1904
	v_add_f64 v[13:14], v[13:14], v[32:33]
	v_add_f64 v[15:16], v[15:16], v[21:22]
	;; [unrolled: 9-line block ×3, first 2 shown]
	s_waitcnt vmcnt(29) lgkmcnt(1)
	v_mul_f64 v[19:20], v[1:2], v[23:24]
	v_mul_f64 v[23:24], v[3:4], v[23:24]
	s_waitcnt vmcnt(28)
	v_fma_f64 v[27:28], v[5:6], v[48:49], -v[32:33]
	v_add_f64 v[13:14], v[13:14], v[17:18]
	v_fma_f64 v[17:18], v[7:8], v[48:49], v[21:22]
	v_add_f64 v[15:16], v[15:16], v[25:26]
	ds_read_b128 v[5:8], v29 offset:1936
	s_waitcnt vmcnt(27) lgkmcnt(1)
	v_mul_f64 v[25:26], v[11:12], v[52:53]
	v_mul_f64 v[21:22], v[9:10], v[52:53]
	s_waitcnt vmcnt(25)
	v_fma_f64 v[23:24], v[1:2], v[34:35], -v[23:24]
	v_fma_f64 v[19:20], v[3:4], v[34:35], v[19:20]
	ds_read_b128 v[1:4], v29 offset:1952
	v_add_f64 v[13:14], v[13:14], v[27:28]
	v_add_f64 v[15:16], v[15:16], v[17:18]
	s_waitcnt vmcnt(21) lgkmcnt(1)
	v_mul_f64 v[27:28], v[7:8], v[30:31]
	s_waitcnt vmcnt(20)
	v_fma_f64 v[25:26], v[9:10], v[56:57], -v[25:26]
	v_mul_f64 v[17:18], v[5:6], v[30:31]
	v_fma_f64 v[21:22], v[11:12], v[56:57], v[21:22]
	ds_read_b128 v[9:12], v29 offset:1968
	v_add_f64 v[13:14], v[13:14], v[23:24]
	v_add_f64 v[15:16], v[15:16], v[19:20]
	s_waitcnt vmcnt(19) lgkmcnt(1)
	v_mul_f64 v[23:24], v[3:4], v[60:61]
	v_mul_f64 v[19:20], v[1:2], v[60:61]
	s_waitcnt vmcnt(17)
	v_fma_f64 v[27:28], v[5:6], v[44:45], -v[27:28]
	v_fma_f64 v[17:18], v[7:8], v[44:45], v[17:18]
	ds_read_b128 v[5:8], v29 offset:1984
	v_add_f64 v[13:14], v[13:14], v[25:26]
	v_add_f64 v[15:16], v[15:16], v[21:22]
	s_waitcnt vmcnt(13) lgkmcnt(1)
	v_mul_f64 v[25:26], v[11:12], v[50:51]
	s_waitcnt vmcnt(12)
	v_fma_f64 v[23:24], v[1:2], v[64:65], -v[23:24]
	v_mul_f64 v[21:22], v[9:10], v[50:51]
	v_fma_f64 v[19:20], v[3:4], v[64:65], v[19:20]
	ds_read_b128 v[1:4], v29 offset:2000
	v_add_f64 v[13:14], v[13:14], v[27:28]
	v_add_f64 v[15:16], v[15:16], v[17:18]
	s_waitcnt vmcnt(11) lgkmcnt(1)
	v_mul_f64 v[27:28], v[7:8], v[70:71]
	v_mul_f64 v[17:18], v[5:6], v[70:71]
	s_waitcnt vmcnt(9)
	v_fma_f64 v[9:10], v[9:10], v[54:55], -v[25:26]
	v_fma_f64 v[11:12], v[11:12], v[54:55], v[21:22]
	v_add_f64 v[13:14], v[13:14], v[23:24]
	v_add_f64 v[15:16], v[15:16], v[19:20]
	s_waitcnt vmcnt(7) lgkmcnt(0)
	v_mul_f64 v[21:22], v[3:4], v[58:59]
	s_waitcnt vmcnt(6)
	v_fma_f64 v[5:6], v[5:6], v[74:75], -v[27:28]
	v_mul_f64 v[19:20], v[1:2], v[58:59]
	v_fma_f64 v[7:8], v[7:8], v[74:75], v[17:18]
	v_add_f64 v[9:10], v[13:14], v[9:10]
	v_add_f64 v[11:12], v[15:16], v[11:12]
	s_waitcnt vmcnt(4)
	v_fma_f64 v[1:2], v[1:2], v[62:63], -v[21:22]
	v_fma_f64 v[3:4], v[3:4], v[62:63], v[19:20]
	v_add_f64 v[5:6], v[9:10], v[5:6]
	v_add_f64 v[7:8], v[11:12], v[7:8]
	;; [unrolled: 1-line block ×4, first 2 shown]
	s_waitcnt vmcnt(2)
	v_add_f64 v[1:2], v[36:37], -v[1:2]
	s_waitcnt vmcnt(0)
	v_add_f64 v[3:4], v[78:79], -v[3:4]
	buffer_store_dword v2, off, s[0:3], 0 offset:500
	buffer_store_dword v1, off, s[0:3], 0 offset:496
	;; [unrolled: 1-line block ×4, first 2 shown]
	v_cmpx_lt_u32_e32 29, v0
	s_cbranch_execz .LBB62_345
; %bb.344:
	v_mov_b32_e32 v4, s48
	v_mov_b32_e32 v5, 0
	s_clause 0x3
	buffer_load_dword v1, v4, s[0:3], 0 offen
	buffer_load_dword v2, v4, s[0:3], 0 offen offset:4
	buffer_load_dword v3, v4, s[0:3], 0 offen offset:8
	;; [unrolled: 1-line block ×3, first 2 shown]
	buffer_store_dword v5, off, s[0:3], 0 offset:480
	buffer_store_dword v5, off, s[0:3], 0 offset:484
	;; [unrolled: 1-line block ×4, first 2 shown]
	s_waitcnt vmcnt(0)
	ds_write_b128 v69, v[1:4]
.LBB62_345:
	s_or_b32 exec_lo, exec_lo, s4
	s_waitcnt lgkmcnt(0)
	s_waitcnt_vscnt null, 0x0
	s_barrier
	buffer_gl0_inv
	s_clause 0x37
	buffer_load_dword v9, off, s[0:3], 0 offset:504
	buffer_load_dword v10, off, s[0:3], 0 offset:508
	;; [unrolled: 1-line block ×56, first 2 shown]
	v_mov_b32_e32 v51, 0
	s_mov_b32 s4, exec_lo
	ds_read_b128 v[39:42], v51 offset:1488
	s_clause 0x2
	buffer_load_dword v71, off, s[0:3], 0 offset:732
	buffer_load_dword v75, off, s[0:3], 0 offset:708
	;; [unrolled: 1-line block ×3, first 2 shown]
	ds_read_b128 v[43:46], v51 offset:1504
	s_clause 0x4
	buffer_load_dword v79, off, s[0:3], 0 offset:748
	buffer_load_dword v80, off, s[0:3], 0 offset:760
	buffer_load_dword v82, off, s[0:3], 0 offset:752
	buffer_load_dword v78, off, s[0:3], 0 offset:744
	buffer_load_dword v73, off, s[0:3], 0 offset:724
	ds_read_b128 v[47:50], v51 offset:1520
	s_clause 0x2
	buffer_load_dword v81, off, s[0:3], 0 offset:764
	buffer_load_dword v118, off, s[0:3], 0 offset:740
	;; [unrolled: 1-line block ×3, first 2 shown]
	s_waitcnt vmcnt(62) lgkmcnt(2)
	v_mul_f64 v[76:77], v[41:42], v[9:10]
	v_mul_f64 v[9:10], v[39:40], v[9:10]
	s_waitcnt lgkmcnt(1)
	v_mul_f64 v[83:84], v[45:46], v[5:6]
	s_waitcnt vmcnt(59) lgkmcnt(0)
	v_mul_f64 v[119:120], v[49:50], v[3:4]
	v_fma_f64 v[39:40], v[39:40], v[7:8], -v[76:77]
	v_mul_f64 v[76:77], v[43:44], v[5:6]
	v_fma_f64 v[9:10], v[41:42], v[7:8], v[9:10]
	s_waitcnt vmcnt(57)
	v_fma_f64 v[43:44], v[43:44], v[1:2], -v[83:84]
	ds_read_b128 v[5:8], v51 offset:1536
	v_mul_f64 v[41:42], v[47:48], v[3:4]
	s_waitcnt vmcnt(51)
	v_fma_f64 v[47:48], v[47:48], v[25:26], -v[119:120]
	v_add_f64 v[39:40], v[39:40], 0
	v_fma_f64 v[45:46], v[45:46], v[1:2], v[76:77]
	v_add_f64 v[9:10], v[9:10], 0
	s_clause 0x4
	buffer_load_dword v77, off, s[0:3], 0 offset:780
	buffer_load_dword v125, off, s[0:3], 0 offset:792
	;; [unrolled: 1-line block ×5, first 2 shown]
	s_waitcnt lgkmcnt(0)
	v_mul_f64 v[128:129], v[5:6], v[13:14]
	v_mul_f64 v[13:14], v[7:8], v[13:14]
	ds_read_b128 v[1:4], v51 offset:1552
	v_fma_f64 v[25:26], v[49:50], v[25:26], v[41:42]
	v_add_f64 v[43:44], v[39:40], v[43:44]
	v_add_f64 v[9:10], v[9:10], v[45:46]
	s_clause 0x2
	buffer_load_dword v126, off, s[0:3], 0 offset:796
	buffer_load_dword v46, off, s[0:3], 0 offset:772
	;; [unrolled: 1-line block ×3, first 2 shown]
	s_waitcnt vmcnt(58) lgkmcnt(0)
	v_mul_f64 v[49:50], v[1:2], v[17:18]
	v_mul_f64 v[17:18], v[3:4], v[17:18]
	s_waitcnt vmcnt(56)
	v_fma_f64 v[13:14], v[5:6], v[19:20], -v[13:14]
	ds_read_b128 v[39:42], v51 offset:1568
	v_fma_f64 v[19:20], v[7:8], v[19:20], v[128:129]
	v_add_f64 v[43:44], v[43:44], v[47:48]
	v_add_f64 v[9:10], v[9:10], v[25:26]
	s_clause 0x4
	buffer_load_dword v26, off, s[0:3], 0 offset:812
	buffer_load_dword v47, off, s[0:3], 0 offset:824
	;; [unrolled: 1-line block ×5, first 2 shown]
	ds_read_b128 v[5:8], v51 offset:1584
	s_waitcnt vmcnt(57) lgkmcnt(1)
	v_mul_f64 v[129:130], v[39:40], v[21:22]
	v_mul_f64 v[21:22], v[41:42], v[21:22]
	s_waitcnt vmcnt(56)
	v_fma_f64 v[17:18], v[1:2], v[11:12], -v[17:18]
	v_fma_f64 v[11:12], v[3:4], v[11:12], v[49:50]
	v_add_f64 v[13:14], v[43:44], v[13:14]
	v_add_f64 v[9:10], v[9:10], v[19:20]
	s_clause 0x2
	buffer_load_dword v48, off, s[0:3], 0 offset:828
	buffer_load_dword v20, off, s[0:3], 0 offset:804
	;; [unrolled: 1-line block ×3, first 2 shown]
	s_waitcnt vmcnt(58) lgkmcnt(0)
	v_mul_f64 v[43:44], v[5:6], v[27:28]
	v_mul_f64 v[27:28], v[7:8], v[27:28]
	s_waitcnt vmcnt(56)
	v_fma_f64 v[21:22], v[39:40], v[29:30], -v[21:22]
	ds_read_b128 v[1:4], v51 offset:1600
	v_add_f64 v[13:14], v[13:14], v[17:18]
	v_fma_f64 v[17:18], v[41:42], v[29:30], v[129:130]
	v_add_f64 v[29:30], v[9:10], v[11:12]
	s_clause 0x4
	buffer_load_dword v40, off, s[0:3], 0 offset:844
	buffer_load_dword v41, off, s[0:3], 0 offset:856
	;; [unrolled: 1-line block ×5, first 2 shown]
	ds_read_b128 v[9:12], v51 offset:1616
	s_waitcnt vmcnt(57) lgkmcnt(1)
	v_mul_f64 v[129:130], v[1:2], v[31:32]
	v_mul_f64 v[31:32], v[3:4], v[31:32]
	s_waitcnt vmcnt(56)
	v_fma_f64 v[27:28], v[5:6], v[15:16], -v[27:28]
	v_fma_f64 v[15:16], v[7:8], v[15:16], v[43:44]
	v_add_f64 v[13:14], v[13:14], v[21:22]
	s_clause 0x2
	buffer_load_dword v42, off, s[0:3], 0 offset:860
	buffer_load_dword v22, off, s[0:3], 0 offset:836
	;; [unrolled: 1-line block ×3, first 2 shown]
	v_add_f64 v[17:18], v[29:30], v[17:18]
	s_waitcnt vmcnt(58) lgkmcnt(0)
	v_mul_f64 v[29:30], v[9:10], v[35:36]
	v_mul_f64 v[35:36], v[11:12], v[35:36]
	ds_read_b128 v[5:8], v51 offset:1632
	s_waitcnt vmcnt(56)
	v_fma_f64 v[31:32], v[1:2], v[37:38], -v[31:32]
	v_add_f64 v[13:14], v[13:14], v[27:28]
	v_fma_f64 v[27:28], v[3:4], v[37:38], v[129:130]
	v_add_f64 v[15:16], v[17:18], v[15:16]
	s_clause 0x4
	buffer_load_dword v18, off, s[0:3], 0 offset:876
	buffer_load_dword v37, off, s[0:3], 0 offset:888
	;; [unrolled: 1-line block ×5, first 2 shown]
	s_waitcnt vmcnt(57) lgkmcnt(0)
	v_mul_f64 v[129:130], v[5:6], v[52:53]
	v_mul_f64 v[52:53], v[7:8], v[52:53]
	s_waitcnt vmcnt(56)
	v_fma_f64 v[35:36], v[9:10], v[23:24], -v[35:36]
	ds_read_b128 v[1:4], v51 offset:1648
	v_fma_f64 v[23:24], v[11:12], v[23:24], v[29:30]
	v_add_f64 v[13:14], v[13:14], v[31:32]
	v_add_f64 v[15:16], v[15:16], v[27:28]
	s_clause 0x2
	buffer_load_dword v38, off, s[0:3], 0 offset:892
	buffer_load_dword v28, off, s[0:3], 0 offset:868
	;; [unrolled: 1-line block ×3, first 2 shown]
	ds_read_b128 v[9:12], v51 offset:1664
	s_waitcnt vmcnt(58) lgkmcnt(1)
	v_mul_f64 v[31:32], v[3:4], v[54:55]
	s_waitcnt vmcnt(56)
	v_fma_f64 v[52:53], v[5:6], v[56:57], -v[52:53]
	v_mul_f64 v[29:30], v[1:2], v[54:55]
	v_add_f64 v[13:14], v[13:14], v[35:36]
	v_fma_f64 v[35:36], v[7:8], v[56:57], v[129:130]
	v_add_f64 v[15:16], v[15:16], v[23:24]
	s_clause 0x4
	buffer_load_dword v24, off, s[0:3], 0 offset:908
	buffer_load_dword v54, off, s[0:3], 0 offset:920
	;; [unrolled: 1-line block ×5, first 2 shown]
	s_waitcnt vmcnt(57) lgkmcnt(0)
	v_mul_f64 v[129:130], v[9:10], v[58:59]
	v_mul_f64 v[57:58], v[11:12], v[58:59]
	s_waitcnt vmcnt(56)
	v_fma_f64 v[31:32], v[1:2], v[33:34], -v[31:32]
	ds_read_b128 v[5:8], v51 offset:1680
	v_fma_f64 v[29:30], v[3:4], v[33:34], v[29:30]
	s_clause 0x2
	buffer_load_dword v55, off, s[0:3], 0 offset:924
	buffer_load_dword v34, off, s[0:3], 0 offset:900
	buffer_load_dword v33, off, s[0:3], 0 offset:896
	ds_read_b128 v[1:4], v51 offset:1696
	v_add_f64 v[13:14], v[13:14], v[52:53]
	v_add_f64 v[15:16], v[15:16], v[35:36]
	s_waitcnt vmcnt(58) lgkmcnt(1)
	v_mul_f64 v[52:53], v[7:8], v[60:61]
	s_waitcnt vmcnt(56)
	v_fma_f64 v[58:59], v[9:10], v[64:65], -v[57:58]
	v_mul_f64 v[35:36], v[5:6], v[60:61]
	v_add_f64 v[13:14], v[13:14], v[31:32]
	v_fma_f64 v[31:32], v[11:12], v[64:65], v[129:130]
	v_add_f64 v[15:16], v[15:16], v[29:30]
	s_clause 0x4
	buffer_load_dword v30, off, s[0:3], 0 offset:940
	buffer_load_dword v60, off, s[0:3], 0 offset:952
	;; [unrolled: 1-line block ×5, first 2 shown]
	s_waitcnt vmcnt(57) lgkmcnt(0)
	v_mul_f64 v[129:130], v[1:2], v[66:67]
	v_mul_f64 v[65:66], v[3:4], v[66:67]
	s_waitcnt vmcnt(56)
	v_fma_f64 v[52:53], v[5:6], v[62:63], -v[52:53]
	ds_read_b128 v[9:12], v51 offset:1712
	v_fma_f64 v[35:36], v[7:8], v[62:63], v[35:36]
	v_add_f64 v[13:14], v[13:14], v[58:59]
	v_add_f64 v[15:16], v[15:16], v[31:32]
	s_clause 0x2
	buffer_load_dword v61, off, s[0:3], 0 offset:956
	buffer_load_dword v32, off, s[0:3], 0 offset:932
	buffer_load_dword v31, off, s[0:3], 0 offset:928
	ds_read_b128 v[5:8], v51 offset:1728
	s_waitcnt vmcnt(58) lgkmcnt(1)
	v_mul_f64 v[62:63], v[11:12], v[70:71]
	s_waitcnt vmcnt(56)
	v_fma_f64 v[66:67], v[1:2], v[74:75], -v[65:66]
	v_mul_f64 v[58:59], v[9:10], v[70:71]
	v_add_f64 v[13:14], v[13:14], v[52:53]
	v_fma_f64 v[52:53], v[3:4], v[74:75], v[129:130]
	v_add_f64 v[15:16], v[15:16], v[35:36]
	s_clause 0x4
	buffer_load_dword v36, off, s[0:3], 0 offset:972
	buffer_load_dword v70, off, s[0:3], 0 offset:984
	;; [unrolled: 1-line block ×5, first 2 shown]
	s_waitcnt vmcnt(57) lgkmcnt(0)
	v_mul_f64 v[129:130], v[5:6], v[78:79]
	v_mul_f64 v[78:79], v[7:8], v[78:79]
	s_waitcnt vmcnt(56)
	v_fma_f64 v[62:63], v[9:10], v[72:73], -v[62:63]
	ds_read_b128 v[1:4], v51 offset:1744
	v_fma_f64 v[58:59], v[11:12], v[72:73], v[58:59]
	v_add_f64 v[13:14], v[13:14], v[66:67]
	v_add_f64 v[15:16], v[15:16], v[52:53]
	s_clause 0x2
	buffer_load_dword v71, off, s[0:3], 0 offset:988
	buffer_load_dword v53, off, s[0:3], 0 offset:964
	;; [unrolled: 1-line block ×3, first 2 shown]
	ds_read_b128 v[9:12], v51 offset:1760
	s_waitcnt vmcnt(58) lgkmcnt(1)
	v_mul_f64 v[72:73], v[3:4], v[80:81]
	s_waitcnt vmcnt(56)
	v_fma_f64 v[78:79], v[5:6], v[117:118], -v[78:79]
	v_mul_f64 v[66:67], v[1:2], v[80:81]
	v_add_f64 v[13:14], v[13:14], v[62:63]
	v_fma_f64 v[62:63], v[7:8], v[117:118], v[129:130]
	v_add_f64 v[15:16], v[15:16], v[58:59]
	s_clause 0x4
	buffer_load_dword v59, off, s[0:3], 0 offset:1004
	buffer_load_dword v80, off, s[0:3], 0 offset:1016
	;; [unrolled: 1-line block ×5, first 2 shown]
	ds_read_b128 v[5:8], v51 offset:1776
	s_waitcnt vmcnt(57) lgkmcnt(1)
	v_mul_f64 v[129:130], v[9:10], v[76:77]
	v_mul_f64 v[76:77], v[11:12], v[76:77]
	s_waitcnt vmcnt(56)
	v_fma_f64 v[72:73], v[1:2], v[82:83], -v[72:73]
	v_fma_f64 v[66:67], v[3:4], v[82:83], v[66:67]
	v_add_f64 v[13:14], v[13:14], v[78:79]
	v_add_f64 v[15:16], v[15:16], v[62:63]
	s_clause 0x2
	buffer_load_dword v81, off, s[0:3], 0 offset:1020
	buffer_load_dword v63, off, s[0:3], 0 offset:996
	;; [unrolled: 1-line block ×3, first 2 shown]
	ds_read_b128 v[1:4], v51 offset:1792
	buffer_load_dword v118, off, s[0:3], 0 offset:1012
	s_waitcnt vmcnt(59) lgkmcnt(1)
	v_mul_f64 v[82:83], v[7:8], v[125:126]
	v_mul_f64 v[78:79], v[5:6], v[125:126]
	s_waitcnt vmcnt(57)
	v_fma_f64 v[76:77], v[9:10], v[45:46], -v[76:77]
	v_fma_f64 v[45:46], v[11:12], v[45:46], v[129:130]
	ds_read_b128 v[9:12], v51 offset:1808
	v_add_f64 v[13:14], v[13:14], v[72:73]
	v_add_f64 v[15:16], v[15:16], v[66:67]
	s_waitcnt vmcnt(53) lgkmcnt(1)
	v_mul_f64 v[66:67], v[1:2], v[25:26]
	v_mul_f64 v[25:26], v[3:4], v[25:26]
	s_waitcnt vmcnt(52)
	v_fma_f64 v[72:73], v[5:6], v[127:128], -v[82:83]
	v_add_f64 v[13:14], v[13:14], v[76:77]
	v_fma_f64 v[76:77], v[7:8], v[127:128], v[78:79]
	v_add_f64 v[15:16], v[15:16], v[45:46]
	ds_read_b128 v[5:8], v51 offset:1824
	s_waitcnt vmcnt(51) lgkmcnt(1)
	v_mul_f64 v[45:46], v[9:10], v[47:48]
	v_mul_f64 v[47:48], v[11:12], v[47:48]
	s_waitcnt vmcnt(49)
	v_fma_f64 v[25:26], v[1:2], v[19:20], -v[25:26]
	v_fma_f64 v[19:20], v[3:4], v[19:20], v[66:67]
	v_add_f64 v[13:14], v[13:14], v[72:73]
	s_clause 0x3
	buffer_load_dword v66, off, s[0:3], 0 offset:480
	buffer_load_dword v67, off, s[0:3], 0 offset:484
	;; [unrolled: 1-line block ×4, first 2 shown]
	v_add_f64 v[15:16], v[15:16], v[76:77]
	ds_read_b128 v[1:4], v51 offset:1840
	s_waitcnt vmcnt(49) lgkmcnt(1)
	v_mul_f64 v[76:77], v[5:6], v[39:40]
	v_mul_f64 v[39:40], v[7:8], v[39:40]
	s_waitcnt vmcnt(48)
	v_fma_f64 v[47:48], v[9:10], v[119:120], -v[47:48]
	v_add_f64 v[13:14], v[13:14], v[25:26]
	v_fma_f64 v[25:26], v[11:12], v[119:120], v[45:46]
	v_add_f64 v[15:16], v[15:16], v[19:20]
	ds_read_b128 v[9:12], v51 offset:1856
	s_waitcnt vmcnt(47) lgkmcnt(1)
	v_mul_f64 v[19:20], v[1:2], v[41:42]
	v_mul_f64 v[41:42], v[3:4], v[41:42]
	s_waitcnt vmcnt(45)
	v_fma_f64 v[39:40], v[5:6], v[21:22], -v[39:40]
	v_fma_f64 v[21:22], v[7:8], v[21:22], v[76:77]
	ds_read_b128 v[5:8], v51 offset:1872
	v_add_f64 v[13:14], v[13:14], v[47:48]
	v_add_f64 v[15:16], v[15:16], v[25:26]
	s_waitcnt vmcnt(41) lgkmcnt(1)
	v_mul_f64 v[25:26], v[9:10], v[17:18]
	v_mul_f64 v[17:18], v[11:12], v[17:18]
	s_waitcnt vmcnt(40)
	v_fma_f64 v[41:42], v[1:2], v[49:50], -v[41:42]
	v_fma_f64 v[19:20], v[3:4], v[49:50], v[19:20]
	ds_read_b128 v[1:4], v51 offset:1888
	v_add_f64 v[13:14], v[13:14], v[39:40]
	v_add_f64 v[15:16], v[15:16], v[21:22]
	;; [unrolled: 9-line block ×3, first 2 shown]
	s_waitcnt vmcnt(33) lgkmcnt(1)
	v_mul_f64 v[19:20], v[1:2], v[23:24]
	v_mul_f64 v[23:24], v[3:4], v[23:24]
	s_waitcnt vmcnt(32)
	v_fma_f64 v[27:28], v[5:6], v[43:44], -v[37:38]
	v_add_f64 v[13:14], v[13:14], v[17:18]
	v_fma_f64 v[17:18], v[7:8], v[43:44], v[21:22]
	v_add_f64 v[15:16], v[15:16], v[25:26]
	ds_read_b128 v[5:8], v51 offset:1920
	s_waitcnt vmcnt(31) lgkmcnt(1)
	v_mul_f64 v[25:26], v[11:12], v[54:55]
	v_mul_f64 v[21:22], v[9:10], v[54:55]
	s_waitcnt vmcnt(29)
	v_fma_f64 v[19:20], v[3:4], v[33:34], v[19:20]
	v_fma_f64 v[23:24], v[1:2], v[33:34], -v[23:24]
	ds_read_b128 v[1:4], v51 offset:1936
	v_add_f64 v[13:14], v[13:14], v[27:28]
	v_add_f64 v[15:16], v[15:16], v[17:18]
	s_waitcnt vmcnt(25) lgkmcnt(1)
	v_mul_f64 v[27:28], v[7:8], v[29:30]
	s_waitcnt vmcnt(24)
	v_fma_f64 v[25:26], v[9:10], v[56:57], -v[25:26]
	v_mul_f64 v[17:18], v[5:6], v[29:30]
	v_fma_f64 v[21:22], v[11:12], v[56:57], v[21:22]
	ds_read_b128 v[9:12], v51 offset:1952
	v_add_f64 v[13:14], v[13:14], v[23:24]
	v_add_f64 v[15:16], v[15:16], v[19:20]
	s_waitcnt vmcnt(23) lgkmcnt(1)
	v_mul_f64 v[23:24], v[3:4], v[60:61]
	v_mul_f64 v[19:20], v[1:2], v[60:61]
	s_waitcnt vmcnt(21)
	v_fma_f64 v[27:28], v[5:6], v[31:32], -v[27:28]
	v_fma_f64 v[17:18], v[7:8], v[31:32], v[17:18]
	ds_read_b128 v[5:8], v51 offset:1968
	v_add_f64 v[13:14], v[13:14], v[25:26]
	v_add_f64 v[15:16], v[15:16], v[21:22]
	s_waitcnt vmcnt(17) lgkmcnt(1)
	v_mul_f64 v[25:26], v[11:12], v[35:36]
	s_waitcnt vmcnt(16)
	v_fma_f64 v[23:24], v[1:2], v[64:65], -v[23:24]
	v_mul_f64 v[21:22], v[9:10], v[35:36]
	v_fma_f64 v[19:20], v[3:4], v[64:65], v[19:20]
	ds_read_b128 v[1:4], v51 offset:1984
	v_add_f64 v[13:14], v[13:14], v[27:28]
	v_add_f64 v[15:16], v[15:16], v[17:18]
	s_waitcnt vmcnt(15) lgkmcnt(1)
	v_mul_f64 v[27:28], v[7:8], v[70:71]
	v_mul_f64 v[17:18], v[5:6], v[70:71]
	s_waitcnt vmcnt(13)
	v_fma_f64 v[25:26], v[9:10], v[52:53], -v[25:26]
	v_fma_f64 v[21:22], v[11:12], v[52:53], v[21:22]
	ds_read_b128 v[9:12], v51 offset:2000
	v_add_f64 v[13:14], v[13:14], v[23:24]
	v_add_f64 v[15:16], v[15:16], v[19:20]
	s_waitcnt vmcnt(9) lgkmcnt(1)
	v_mul_f64 v[23:24], v[3:4], v[58:59]
	s_waitcnt vmcnt(8)
	v_fma_f64 v[5:6], v[5:6], v[74:75], -v[27:28]
	v_mul_f64 v[19:20], v[1:2], v[58:59]
	v_fma_f64 v[7:8], v[7:8], v[74:75], v[17:18]
	v_add_f64 v[13:14], v[13:14], v[25:26]
	v_add_f64 v[15:16], v[15:16], v[21:22]
	s_waitcnt vmcnt(7) lgkmcnt(0)
	v_mul_f64 v[21:22], v[11:12], v[80:81]
	v_mul_f64 v[17:18], v[9:10], v[80:81]
	s_waitcnt vmcnt(5)
	v_fma_f64 v[1:2], v[1:2], v[62:63], -v[23:24]
	v_fma_f64 v[3:4], v[3:4], v[62:63], v[19:20]
	v_add_f64 v[5:6], v[13:14], v[5:6]
	v_add_f64 v[7:8], v[15:16], v[7:8]
	s_waitcnt vmcnt(4)
	v_fma_f64 v[9:10], v[9:10], v[117:118], -v[21:22]
	v_add_f64 v[1:2], v[5:6], v[1:2]
	v_fma_f64 v[5:6], v[11:12], v[117:118], v[17:18]
	v_add_f64 v[3:4], v[7:8], v[3:4]
	v_add_f64 v[1:2], v[1:2], v[9:10]
	;; [unrolled: 1-line block ×3, first 2 shown]
	s_waitcnt vmcnt(2)
	v_add_f64 v[1:2], v[66:67], -v[1:2]
	s_waitcnt vmcnt(0)
	v_add_f64 v[3:4], v[72:73], -v[3:4]
	buffer_store_dword v2, off, s[0:3], 0 offset:484
	buffer_store_dword v1, off, s[0:3], 0 offset:480
	;; [unrolled: 1-line block ×4, first 2 shown]
	v_cmpx_lt_u32_e32 28, v0
	s_cbranch_execz .LBB62_347
; %bb.346:
	v_mov_b32_e32 v4, s49
	s_clause 0x3
	buffer_load_dword v1, v4, s[0:3], 0 offen
	buffer_load_dword v2, v4, s[0:3], 0 offen offset:4
	buffer_load_dword v3, v4, s[0:3], 0 offen offset:8
	;; [unrolled: 1-line block ×3, first 2 shown]
	buffer_store_dword v51, off, s[0:3], 0 offset:464
	buffer_store_dword v51, off, s[0:3], 0 offset:468
	;; [unrolled: 1-line block ×4, first 2 shown]
	s_waitcnt vmcnt(0)
	ds_write_b128 v69, v[1:4]
.LBB62_347:
	s_or_b32 exec_lo, exec_lo, s4
	s_waitcnt lgkmcnt(0)
	s_waitcnt_vscnt null, 0x0
	s_barrier
	buffer_gl0_inv
	s_clause 0x37
	buffer_load_dword v9, off, s[0:3], 0 offset:488
	buffer_load_dword v10, off, s[0:3], 0 offset:492
	;; [unrolled: 1-line block ×56, first 2 shown]
	ds_read_b128 v[52:55], v51 offset:1472
	s_clause 0x2
	buffer_load_dword v73, off, s[0:3], 0 offset:716
	buffer_load_dword v75, off, s[0:3], 0 offset:692
	;; [unrolled: 1-line block ×3, first 2 shown]
	ds_read_b128 v[56:59], v51 offset:1488
	s_clause 0x4
	buffer_load_dword v79, off, s[0:3], 0 offset:732
	buffer_load_dword v80, off, s[0:3], 0 offset:744
	;; [unrolled: 1-line block ×5, first 2 shown]
	ds_read_b128 v[60:63], v51 offset:1504
	s_clause 0x2
	buffer_load_dword v81, off, s[0:3], 0 offset:748
	buffer_load_dword v118, off, s[0:3], 0 offset:724
	;; [unrolled: 1-line block ×3, first 2 shown]
	s_mov_b32 s4, exec_lo
	s_waitcnt vmcnt(62) lgkmcnt(2)
	v_mul_f64 v[76:77], v[54:55], v[9:10]
	v_mul_f64 v[9:10], v[52:53], v[9:10]
	s_waitcnt lgkmcnt(1)
	v_mul_f64 v[83:84], v[58:59], v[5:6]
	s_waitcnt vmcnt(59) lgkmcnt(0)
	v_mul_f64 v[119:120], v[62:63], v[3:4]
	v_fma_f64 v[52:53], v[52:53], v[7:8], -v[76:77]
	v_mul_f64 v[76:77], v[56:57], v[5:6]
	v_fma_f64 v[9:10], v[54:55], v[7:8], v[9:10]
	s_waitcnt vmcnt(57)
	v_fma_f64 v[56:57], v[56:57], v[1:2], -v[83:84]
	ds_read_b128 v[5:8], v51 offset:1520
	v_mul_f64 v[54:55], v[60:61], v[3:4]
	s_waitcnt vmcnt(51)
	v_fma_f64 v[60:61], v[60:61], v[25:26], -v[119:120]
	v_add_f64 v[52:53], v[52:53], 0
	v_fma_f64 v[58:59], v[58:59], v[1:2], v[76:77]
	v_add_f64 v[9:10], v[9:10], 0
	s_clause 0x4
	buffer_load_dword v77, off, s[0:3], 0 offset:764
	buffer_load_dword v125, off, s[0:3], 0 offset:776
	;; [unrolled: 1-line block ×5, first 2 shown]
	s_waitcnt lgkmcnt(0)
	v_mul_f64 v[128:129], v[5:6], v[13:14]
	v_mul_f64 v[13:14], v[7:8], v[13:14]
	ds_read_b128 v[1:4], v51 offset:1536
	v_fma_f64 v[25:26], v[62:63], v[25:26], v[54:55]
	v_add_f64 v[56:57], v[52:53], v[56:57]
	v_add_f64 v[9:10], v[9:10], v[58:59]
	s_clause 0x2
	buffer_load_dword v126, off, s[0:3], 0 offset:780
	buffer_load_dword v59, off, s[0:3], 0 offset:756
	;; [unrolled: 1-line block ×3, first 2 shown]
	s_waitcnt vmcnt(58) lgkmcnt(0)
	v_mul_f64 v[62:63], v[1:2], v[17:18]
	v_mul_f64 v[17:18], v[3:4], v[17:18]
	s_waitcnt vmcnt(56)
	v_fma_f64 v[13:14], v[5:6], v[19:20], -v[13:14]
	ds_read_b128 v[52:55], v51 offset:1552
	v_fma_f64 v[19:20], v[7:8], v[19:20], v[128:129]
	v_add_f64 v[56:57], v[56:57], v[60:61]
	v_add_f64 v[9:10], v[9:10], v[25:26]
	s_clause 0x4
	buffer_load_dword v26, off, s[0:3], 0 offset:796
	buffer_load_dword v60, off, s[0:3], 0 offset:808
	;; [unrolled: 1-line block ×5, first 2 shown]
	ds_read_b128 v[5:8], v51 offset:1568
	s_waitcnt vmcnt(57) lgkmcnt(1)
	v_mul_f64 v[129:130], v[52:53], v[21:22]
	v_mul_f64 v[21:22], v[54:55], v[21:22]
	s_waitcnt vmcnt(56)
	v_fma_f64 v[17:18], v[1:2], v[11:12], -v[17:18]
	v_fma_f64 v[11:12], v[3:4], v[11:12], v[62:63]
	v_add_f64 v[13:14], v[56:57], v[13:14]
	v_add_f64 v[9:10], v[9:10], v[19:20]
	s_clause 0x2
	buffer_load_dword v61, off, s[0:3], 0 offset:812
	buffer_load_dword v20, off, s[0:3], 0 offset:788
	;; [unrolled: 1-line block ×3, first 2 shown]
	s_waitcnt vmcnt(58) lgkmcnt(0)
	v_mul_f64 v[56:57], v[5:6], v[27:28]
	v_mul_f64 v[27:28], v[7:8], v[27:28]
	s_waitcnt vmcnt(56)
	v_fma_f64 v[21:22], v[52:53], v[29:30], -v[21:22]
	ds_read_b128 v[1:4], v51 offset:1584
	v_add_f64 v[13:14], v[13:14], v[17:18]
	v_fma_f64 v[17:18], v[54:55], v[29:30], v[129:130]
	v_add_f64 v[29:30], v[9:10], v[11:12]
	s_clause 0x4
	buffer_load_dword v53, off, s[0:3], 0 offset:828
	buffer_load_dword v54, off, s[0:3], 0 offset:840
	;; [unrolled: 1-line block ×5, first 2 shown]
	ds_read_b128 v[9:12], v51 offset:1600
	s_waitcnt vmcnt(57) lgkmcnt(1)
	v_mul_f64 v[129:130], v[1:2], v[31:32]
	v_mul_f64 v[31:32], v[3:4], v[31:32]
	s_waitcnt vmcnt(56)
	v_fma_f64 v[27:28], v[5:6], v[15:16], -v[27:28]
	v_fma_f64 v[15:16], v[7:8], v[15:16], v[56:57]
	v_add_f64 v[13:14], v[13:14], v[21:22]
	s_clause 0x2
	buffer_load_dword v55, off, s[0:3], 0 offset:844
	buffer_load_dword v22, off, s[0:3], 0 offset:820
	;; [unrolled: 1-line block ×3, first 2 shown]
	v_add_f64 v[17:18], v[29:30], v[17:18]
	s_waitcnt vmcnt(58) lgkmcnt(0)
	v_mul_f64 v[29:30], v[9:10], v[35:36]
	v_mul_f64 v[35:36], v[11:12], v[35:36]
	ds_read_b128 v[5:8], v51 offset:1616
	s_waitcnt vmcnt(56)
	v_fma_f64 v[31:32], v[1:2], v[37:38], -v[31:32]
	v_add_f64 v[13:14], v[13:14], v[27:28]
	v_fma_f64 v[27:28], v[3:4], v[37:38], v[129:130]
	v_add_f64 v[15:16], v[17:18], v[15:16]
	s_clause 0x4
	buffer_load_dword v18, off, s[0:3], 0 offset:860
	buffer_load_dword v37, off, s[0:3], 0 offset:872
	;; [unrolled: 1-line block ×5, first 2 shown]
	s_waitcnt vmcnt(57) lgkmcnt(0)
	v_mul_f64 v[129:130], v[5:6], v[39:40]
	v_mul_f64 v[39:40], v[7:8], v[39:40]
	s_waitcnt vmcnt(56)
	v_fma_f64 v[35:36], v[9:10], v[23:24], -v[35:36]
	ds_read_b128 v[1:4], v51 offset:1632
	v_fma_f64 v[23:24], v[11:12], v[23:24], v[29:30]
	v_add_f64 v[13:14], v[13:14], v[31:32]
	v_add_f64 v[15:16], v[15:16], v[27:28]
	s_clause 0x2
	buffer_load_dword v38, off, s[0:3], 0 offset:876
	buffer_load_dword v28, off, s[0:3], 0 offset:852
	;; [unrolled: 1-line block ×3, first 2 shown]
	ds_read_b128 v[9:12], v51 offset:1648
	s_waitcnt vmcnt(58) lgkmcnt(1)
	v_mul_f64 v[31:32], v[3:4], v[43:44]
	s_waitcnt vmcnt(56)
	v_fma_f64 v[39:40], v[5:6], v[45:46], -v[39:40]
	v_mul_f64 v[29:30], v[1:2], v[43:44]
	v_add_f64 v[13:14], v[13:14], v[35:36]
	v_fma_f64 v[35:36], v[7:8], v[45:46], v[129:130]
	v_add_f64 v[15:16], v[15:16], v[23:24]
	s_clause 0x4
	buffer_load_dword v24, off, s[0:3], 0 offset:892
	buffer_load_dword v43, off, s[0:3], 0 offset:904
	;; [unrolled: 1-line block ×5, first 2 shown]
	s_waitcnt vmcnt(57) lgkmcnt(0)
	v_mul_f64 v[129:130], v[9:10], v[47:48]
	v_mul_f64 v[46:47], v[11:12], v[47:48]
	s_waitcnt vmcnt(56)
	v_fma_f64 v[31:32], v[1:2], v[33:34], -v[31:32]
	ds_read_b128 v[5:8], v51 offset:1664
	v_fma_f64 v[29:30], v[3:4], v[33:34], v[29:30]
	s_clause 0x2
	buffer_load_dword v44, off, s[0:3], 0 offset:908
	buffer_load_dword v34, off, s[0:3], 0 offset:884
	;; [unrolled: 1-line block ×3, first 2 shown]
	ds_read_b128 v[1:4], v51 offset:1680
	v_add_f64 v[13:14], v[13:14], v[39:40]
	v_add_f64 v[15:16], v[15:16], v[35:36]
	s_waitcnt vmcnt(58) lgkmcnt(1)
	v_mul_f64 v[39:40], v[7:8], v[64:65]
	s_waitcnt vmcnt(56)
	v_fma_f64 v[47:48], v[9:10], v[66:67], -v[46:47]
	v_mul_f64 v[35:36], v[5:6], v[64:65]
	v_add_f64 v[13:14], v[13:14], v[31:32]
	v_fma_f64 v[31:32], v[11:12], v[66:67], v[129:130]
	v_add_f64 v[15:16], v[15:16], v[29:30]
	s_clause 0x4
	buffer_load_dword v30, off, s[0:3], 0 offset:924
	buffer_load_dword v64, off, s[0:3], 0 offset:936
	;; [unrolled: 1-line block ×5, first 2 shown]
	s_waitcnt vmcnt(57) lgkmcnt(0)
	v_mul_f64 v[67:68], v[1:2], v[70:71]
	v_mul_f64 v[70:71], v[3:4], v[70:71]
	s_waitcnt vmcnt(56)
	v_fma_f64 v[39:40], v[5:6], v[41:42], -v[39:40]
	ds_read_b128 v[9:12], v51 offset:1696
	v_fma_f64 v[35:36], v[7:8], v[41:42], v[35:36]
	v_add_f64 v[13:14], v[13:14], v[47:48]
	v_add_f64 v[15:16], v[15:16], v[31:32]
	s_clause 0x2
	buffer_load_dword v65, off, s[0:3], 0 offset:940
	buffer_load_dword v32, off, s[0:3], 0 offset:916
	;; [unrolled: 1-line block ×3, first 2 shown]
	ds_read_b128 v[5:8], v51 offset:1712
	s_waitcnt vmcnt(58) lgkmcnt(1)
	v_mul_f64 v[47:48], v[11:12], v[72:73]
	s_waitcnt vmcnt(56)
	v_fma_f64 v[70:71], v[1:2], v[74:75], -v[70:71]
	v_mul_f64 v[41:42], v[9:10], v[72:73]
	v_add_f64 v[13:14], v[13:14], v[39:40]
	v_fma_f64 v[39:40], v[3:4], v[74:75], v[67:68]
	v_add_f64 v[15:16], v[15:16], v[35:36]
	s_clause 0x4
	buffer_load_dword v36, off, s[0:3], 0 offset:956
	buffer_load_dword v72, off, s[0:3], 0 offset:968
	buffer_load_dword v74, off, s[0:3], 0 offset:960
	buffer_load_dword v35, off, s[0:3], 0 offset:952
	buffer_load_dword v67, off, s[0:3], 0 offset:932
	s_waitcnt vmcnt(57) lgkmcnt(0)
	v_mul_f64 v[129:130], v[5:6], v[78:79]
	v_mul_f64 v[78:79], v[7:8], v[78:79]
	s_waitcnt vmcnt(56)
	v_fma_f64 v[47:48], v[9:10], v[49:50], -v[47:48]
	ds_read_b128 v[1:4], v51 offset:1728
	v_fma_f64 v[41:42], v[11:12], v[49:50], v[41:42]
	v_add_f64 v[13:14], v[13:14], v[70:71]
	v_add_f64 v[15:16], v[15:16], v[39:40]
	s_clause 0x2
	buffer_load_dword v73, off, s[0:3], 0 offset:972
	buffer_load_dword v40, off, s[0:3], 0 offset:948
	;; [unrolled: 1-line block ×3, first 2 shown]
	ds_read_b128 v[9:12], v51 offset:1744
	s_waitcnt vmcnt(58) lgkmcnt(1)
	v_mul_f64 v[70:71], v[3:4], v[80:81]
	s_waitcnt vmcnt(56)
	v_fma_f64 v[78:79], v[5:6], v[117:118], -v[78:79]
	v_mul_f64 v[49:50], v[1:2], v[80:81]
	v_add_f64 v[13:14], v[13:14], v[47:48]
	v_fma_f64 v[47:48], v[7:8], v[117:118], v[129:130]
	v_add_f64 v[15:16], v[15:16], v[41:42]
	s_clause 0x4
	buffer_load_dword v42, off, s[0:3], 0 offset:988
	buffer_load_dword v80, off, s[0:3], 0 offset:1000
	;; [unrolled: 1-line block ×5, first 2 shown]
	ds_read_b128 v[5:8], v51 offset:1760
	s_waitcnt vmcnt(57) lgkmcnt(1)
	v_mul_f64 v[129:130], v[9:10], v[76:77]
	v_mul_f64 v[76:77], v[11:12], v[76:77]
	s_waitcnt vmcnt(56)
	v_fma_f64 v[70:71], v[1:2], v[82:83], -v[70:71]
	v_fma_f64 v[49:50], v[3:4], v[82:83], v[49:50]
	v_add_f64 v[13:14], v[13:14], v[78:79]
	v_add_f64 v[15:16], v[15:16], v[47:48]
	s_clause 0x2
	buffer_load_dword v81, off, s[0:3], 0 offset:1004
	buffer_load_dword v48, off, s[0:3], 0 offset:980
	;; [unrolled: 1-line block ×3, first 2 shown]
	ds_read_b128 v[1:4], v51 offset:1776
	s_waitcnt vmcnt(58) lgkmcnt(1)
	v_mul_f64 v[82:83], v[7:8], v[125:126]
	v_mul_f64 v[78:79], v[5:6], v[125:126]
	s_waitcnt vmcnt(56)
	v_fma_f64 v[76:77], v[9:10], v[58:59], -v[76:77]
	v_fma_f64 v[58:59], v[11:12], v[58:59], v[129:130]
	v_add_f64 v[13:14], v[13:14], v[70:71]
	v_add_f64 v[15:16], v[15:16], v[49:50]
	s_clause 0x2
	buffer_load_dword v50, off, s[0:3], 0 offset:1020
	buffer_load_dword v49, off, s[0:3], 0 offset:1016
	;; [unrolled: 1-line block ×3, first 2 shown]
	ds_read_b128 v[9:12], v51 offset:1792
	s_waitcnt vmcnt(55) lgkmcnt(1)
	v_mul_f64 v[70:71], v[1:2], v[25:26]
	v_mul_f64 v[25:26], v[3:4], v[25:26]
	s_waitcnt vmcnt(54)
	v_fma_f64 v[82:83], v[5:6], v[127:128], -v[82:83]
	v_add_f64 v[13:14], v[13:14], v[76:77]
	v_fma_f64 v[76:77], v[7:8], v[127:128], v[78:79]
	v_add_f64 v[15:16], v[15:16], v[58:59]
	s_clause 0x1
	buffer_load_dword v59, off, s[0:3], 0 offset:1012
	buffer_load_dword v58, off, s[0:3], 0 offset:1008
	ds_read_b128 v[5:8], v51 offset:1808
	s_waitcnt vmcnt(55) lgkmcnt(1)
	v_mul_f64 v[78:79], v[9:10], v[60:61]
	v_mul_f64 v[60:61], v[11:12], v[60:61]
	s_waitcnt vmcnt(53)
	v_fma_f64 v[25:26], v[1:2], v[19:20], -v[25:26]
	v_fma_f64 v[19:20], v[3:4], v[19:20], v[70:71]
	ds_read_b128 v[1:4], v51 offset:1824
	v_add_f64 v[13:14], v[13:14], v[82:83]
	v_add_f64 v[15:16], v[15:16], v[76:77]
	s_waitcnt vmcnt(49) lgkmcnt(1)
	v_mul_f64 v[70:71], v[5:6], v[52:53]
	v_mul_f64 v[52:53], v[7:8], v[52:53]
	s_waitcnt vmcnt(48)
	v_fma_f64 v[60:61], v[9:10], v[119:120], -v[60:61]
	v_add_f64 v[13:14], v[13:14], v[25:26]
	v_fma_f64 v[25:26], v[11:12], v[119:120], v[78:79]
	v_add_f64 v[15:16], v[15:16], v[19:20]
	s_clause 0x3
	buffer_load_dword v19, off, s[0:3], 0 offset:464
	buffer_load_dword v20, off, s[0:3], 0 offset:468
	;; [unrolled: 1-line block ×4, first 2 shown]
	ds_read_b128 v[9:12], v51 offset:1840
	s_waitcnt vmcnt(51) lgkmcnt(1)
	v_mul_f64 v[78:79], v[1:2], v[54:55]
	v_mul_f64 v[54:55], v[3:4], v[54:55]
	s_waitcnt vmcnt(49)
	v_fma_f64 v[52:53], v[5:6], v[21:22], -v[52:53]
	v_fma_f64 v[21:22], v[7:8], v[21:22], v[70:71]
	ds_read_b128 v[5:8], v51 offset:1856
	v_add_f64 v[13:14], v[13:14], v[60:61]
	v_add_f64 v[15:16], v[15:16], v[25:26]
	s_waitcnt vmcnt(45) lgkmcnt(1)
	v_mul_f64 v[25:26], v[9:10], v[17:18]
	v_mul_f64 v[17:18], v[11:12], v[17:18]
	s_waitcnt vmcnt(44)
	v_fma_f64 v[54:55], v[1:2], v[62:63], -v[54:55]
	v_add_f64 v[13:14], v[13:14], v[52:53]
	v_fma_f64 v[52:53], v[3:4], v[62:63], v[78:79]
	v_add_f64 v[15:16], v[15:16], v[21:22]
	ds_read_b128 v[1:4], v51 offset:1872
	s_waitcnt vmcnt(43) lgkmcnt(1)
	v_mul_f64 v[21:22], v[5:6], v[37:38]
	v_mul_f64 v[37:38], v[7:8], v[37:38]
	s_waitcnt vmcnt(41)
	v_fma_f64 v[17:18], v[9:10], v[27:28], -v[17:18]
	v_fma_f64 v[25:26], v[11:12], v[27:28], v[25:26]
	ds_read_b128 v[9:12], v51 offset:1888
	v_add_f64 v[13:14], v[13:14], v[54:55]
	v_add_f64 v[15:16], v[15:16], v[52:53]
	s_waitcnt vmcnt(37) lgkmcnt(1)
	v_mul_f64 v[27:28], v[1:2], v[23:24]
	v_mul_f64 v[23:24], v[3:4], v[23:24]
	s_waitcnt vmcnt(36)
	v_fma_f64 v[37:38], v[5:6], v[56:57], -v[37:38]
	v_add_f64 v[13:14], v[13:14], v[17:18]
	v_fma_f64 v[17:18], v[7:8], v[56:57], v[21:22]
	v_add_f64 v[15:16], v[15:16], v[25:26]
	s_waitcnt vmcnt(35) lgkmcnt(0)
	v_mul_f64 v[25:26], v[11:12], v[43:44]
	ds_read_b128 v[5:8], v51 offset:1904
	v_mul_f64 v[21:22], v[9:10], v[43:44]
	s_waitcnt vmcnt(33)
	v_fma_f64 v[27:28], v[3:4], v[33:34], v[27:28]
	v_fma_f64 v[23:24], v[1:2], v[33:34], -v[23:24]
	ds_read_b128 v[1:4], v51 offset:1920
	v_add_f64 v[13:14], v[13:14], v[37:38]
	v_add_f64 v[15:16], v[15:16], v[17:18]
	s_waitcnt vmcnt(29) lgkmcnt(1)
	v_mul_f64 v[17:18], v[5:6], v[29:30]
	v_mul_f64 v[29:30], v[7:8], v[29:30]
	s_waitcnt vmcnt(28)
	v_fma_f64 v[25:26], v[9:10], v[45:46], -v[25:26]
	v_fma_f64 v[21:22], v[11:12], v[45:46], v[21:22]
	ds_read_b128 v[9:12], v51 offset:1936
	v_add_f64 v[13:14], v[13:14], v[23:24]
	v_add_f64 v[15:16], v[15:16], v[27:28]
	s_waitcnt vmcnt(27) lgkmcnt(1)
	v_mul_f64 v[27:28], v[3:4], v[64:65]
	v_mul_f64 v[23:24], v[1:2], v[64:65]
	s_waitcnt vmcnt(25)
	v_fma_f64 v[29:30], v[5:6], v[31:32], -v[29:30]
	v_fma_f64 v[17:18], v[7:8], v[31:32], v[17:18]
	ds_read_b128 v[5:8], v51 offset:1952
	v_add_f64 v[13:14], v[13:14], v[25:26]
	v_add_f64 v[15:16], v[15:16], v[21:22]
	s_waitcnt vmcnt(21) lgkmcnt(1)
	v_mul_f64 v[25:26], v[11:12], v[35:36]
	s_waitcnt vmcnt(20)
	v_fma_f64 v[27:28], v[1:2], v[66:67], -v[27:28]
	v_mul_f64 v[21:22], v[9:10], v[35:36]
	v_fma_f64 v[23:24], v[3:4], v[66:67], v[23:24]
	ds_read_b128 v[1:4], v51 offset:1968
	v_add_f64 v[13:14], v[13:14], v[29:30]
	v_add_f64 v[15:16], v[15:16], v[17:18]
	s_waitcnt vmcnt(19) lgkmcnt(1)
	v_mul_f64 v[29:30], v[7:8], v[72:73]
	v_mul_f64 v[17:18], v[5:6], v[72:73]
	s_waitcnt vmcnt(17)
	v_fma_f64 v[25:26], v[9:10], v[39:40], -v[25:26]
	v_fma_f64 v[21:22], v[11:12], v[39:40], v[21:22]
	ds_read_b128 v[9:12], v51 offset:1984
	v_add_f64 v[13:14], v[13:14], v[27:28]
	v_add_f64 v[15:16], v[15:16], v[23:24]
	s_waitcnt vmcnt(13) lgkmcnt(1)
	v_mul_f64 v[27:28], v[3:4], v[41:42]
	s_waitcnt vmcnt(12)
	v_fma_f64 v[29:30], v[5:6], v[74:75], -v[29:30]
	v_mul_f64 v[23:24], v[1:2], v[41:42]
	v_fma_f64 v[17:18], v[7:8], v[74:75], v[17:18]
	ds_read_b128 v[5:8], v51 offset:2000
	v_add_f64 v[13:14], v[13:14], v[25:26]
	v_add_f64 v[15:16], v[15:16], v[21:22]
	s_waitcnt vmcnt(11) lgkmcnt(1)
	v_mul_f64 v[25:26], v[11:12], v[80:81]
	v_mul_f64 v[21:22], v[9:10], v[80:81]
	s_waitcnt vmcnt(9)
	v_fma_f64 v[1:2], v[1:2], v[47:48], -v[27:28]
	v_fma_f64 v[3:4], v[3:4], v[47:48], v[23:24]
	v_add_f64 v[13:14], v[13:14], v[29:30]
	v_add_f64 v[15:16], v[15:16], v[17:18]
	s_waitcnt vmcnt(7) lgkmcnt(0)
	v_mul_f64 v[23:24], v[7:8], v[49:50]
	s_waitcnt vmcnt(6)
	v_fma_f64 v[9:10], v[9:10], v[117:118], -v[25:26]
	v_mul_f64 v[17:18], v[5:6], v[49:50]
	v_fma_f64 v[11:12], v[11:12], v[117:118], v[21:22]
	v_add_f64 v[1:2], v[13:14], v[1:2]
	v_add_f64 v[3:4], v[15:16], v[3:4]
	s_waitcnt vmcnt(4)
	v_fma_f64 v[5:6], v[5:6], v[58:59], -v[23:24]
	v_fma_f64 v[7:8], v[7:8], v[58:59], v[17:18]
	v_add_f64 v[1:2], v[1:2], v[9:10]
	v_add_f64 v[3:4], v[3:4], v[11:12]
	;; [unrolled: 1-line block ×4, first 2 shown]
	s_waitcnt vmcnt(2)
	v_add_f64 v[1:2], v[19:20], -v[1:2]
	s_waitcnt vmcnt(0)
	v_add_f64 v[3:4], v[76:77], -v[3:4]
	buffer_store_dword v2, off, s[0:3], 0 offset:468
	buffer_store_dword v1, off, s[0:3], 0 offset:464
	;; [unrolled: 1-line block ×4, first 2 shown]
	v_cmpx_lt_u32_e32 27, v0
	s_cbranch_execz .LBB62_349
; %bb.348:
	v_mov_b32_e32 v4, s50
	v_mov_b32_e32 v5, 0
	s_clause 0x3
	buffer_load_dword v1, v4, s[0:3], 0 offen
	buffer_load_dword v2, v4, s[0:3], 0 offen offset:4
	buffer_load_dword v3, v4, s[0:3], 0 offen offset:8
	;; [unrolled: 1-line block ×3, first 2 shown]
	buffer_store_dword v5, off, s[0:3], 0 offset:448
	buffer_store_dword v5, off, s[0:3], 0 offset:452
	;; [unrolled: 1-line block ×4, first 2 shown]
	s_waitcnt vmcnt(0)
	ds_write_b128 v69, v[1:4]
.LBB62_349:
	s_or_b32 exec_lo, exec_lo, s4
	s_waitcnt lgkmcnt(0)
	s_waitcnt_vscnt null, 0x0
	s_barrier
	buffer_gl0_inv
	s_clause 0x37
	buffer_load_dword v9, off, s[0:3], 0 offset:472
	buffer_load_dword v10, off, s[0:3], 0 offset:476
	;; [unrolled: 1-line block ×56, first 2 shown]
	v_mov_b32_e32 v61, 0
	s_mov_b32 s4, exec_lo
	ds_read_b128 v[62:65], v61 offset:1456
	s_clause 0x2
	buffer_load_dword v58, off, s[0:3], 0 offset:700
	buffer_load_dword v60, off, s[0:3], 0 offset:676
	;; [unrolled: 1-line block ×3, first 2 shown]
	ds_read_b128 v[70:73], v61 offset:1472
	s_clause 0x4
	buffer_load_dword v79, off, s[0:3], 0 offset:716
	buffer_load_dword v80, off, s[0:3], 0 offset:728
	;; [unrolled: 1-line block ×5, first 2 shown]
	ds_read_b128 v[74:77], v61 offset:1488
	s_clause 0x2
	buffer_load_dword v81, off, s[0:3], 0 offset:732
	buffer_load_dword v118, off, s[0:3], 0 offset:708
	;; [unrolled: 1-line block ×3, first 2 shown]
	s_waitcnt vmcnt(62) lgkmcnt(2)
	v_mul_f64 v[66:67], v[64:65], v[9:10]
	v_mul_f64 v[9:10], v[62:63], v[9:10]
	s_waitcnt lgkmcnt(1)
	v_mul_f64 v[83:84], v[72:73], v[5:6]
	s_waitcnt vmcnt(59) lgkmcnt(0)
	v_mul_f64 v[119:120], v[76:77], v[3:4]
	v_fma_f64 v[62:63], v[62:63], v[7:8], -v[66:67]
	v_mul_f64 v[66:67], v[70:71], v[5:6]
	v_fma_f64 v[9:10], v[64:65], v[7:8], v[9:10]
	s_waitcnt vmcnt(57)
	v_fma_f64 v[70:71], v[70:71], v[1:2], -v[83:84]
	ds_read_b128 v[5:8], v61 offset:1504
	v_mul_f64 v[64:65], v[74:75], v[3:4]
	s_waitcnt vmcnt(51)
	v_fma_f64 v[74:75], v[74:75], v[25:26], -v[119:120]
	v_add_f64 v[62:63], v[62:63], 0
	v_fma_f64 v[66:67], v[72:73], v[1:2], v[66:67]
	v_add_f64 v[9:10], v[9:10], 0
	s_clause 0x4
	buffer_load_dword v73, off, s[0:3], 0 offset:748
	buffer_load_dword v125, off, s[0:3], 0 offset:760
	;; [unrolled: 1-line block ×5, first 2 shown]
	s_waitcnt lgkmcnt(0)
	v_mul_f64 v[128:129], v[5:6], v[13:14]
	v_mul_f64 v[13:14], v[7:8], v[13:14]
	ds_read_b128 v[1:4], v61 offset:1520
	v_fma_f64 v[25:26], v[76:77], v[25:26], v[64:65]
	v_add_f64 v[70:71], v[62:63], v[70:71]
	v_add_f64 v[9:10], v[9:10], v[66:67]
	s_clause 0x2
	buffer_load_dword v126, off, s[0:3], 0 offset:764
	buffer_load_dword v67, off, s[0:3], 0 offset:740
	buffer_load_dword v66, off, s[0:3], 0 offset:736
	s_waitcnt vmcnt(58) lgkmcnt(0)
	v_mul_f64 v[76:77], v[1:2], v[17:18]
	v_mul_f64 v[17:18], v[3:4], v[17:18]
	s_waitcnt vmcnt(56)
	v_fma_f64 v[13:14], v[5:6], v[19:20], -v[13:14]
	ds_read_b128 v[62:65], v61 offset:1536
	v_fma_f64 v[19:20], v[7:8], v[19:20], v[128:129]
	v_add_f64 v[70:71], v[70:71], v[74:75]
	v_add_f64 v[9:10], v[9:10], v[25:26]
	s_clause 0x4
	buffer_load_dword v26, off, s[0:3], 0 offset:780
	buffer_load_dword v74, off, s[0:3], 0 offset:792
	;; [unrolled: 1-line block ×5, first 2 shown]
	ds_read_b128 v[5:8], v61 offset:1552
	s_waitcnt vmcnt(57) lgkmcnt(1)
	v_mul_f64 v[129:130], v[62:63], v[21:22]
	v_mul_f64 v[21:22], v[64:65], v[21:22]
	s_waitcnt vmcnt(56)
	v_fma_f64 v[17:18], v[1:2], v[11:12], -v[17:18]
	v_fma_f64 v[11:12], v[3:4], v[11:12], v[76:77]
	v_add_f64 v[13:14], v[70:71], v[13:14]
	v_add_f64 v[9:10], v[9:10], v[19:20]
	s_clause 0x2
	buffer_load_dword v75, off, s[0:3], 0 offset:796
	buffer_load_dword v20, off, s[0:3], 0 offset:772
	;; [unrolled: 1-line block ×3, first 2 shown]
	s_waitcnt vmcnt(58) lgkmcnt(0)
	v_mul_f64 v[70:71], v[5:6], v[27:28]
	v_mul_f64 v[27:28], v[7:8], v[27:28]
	s_waitcnt vmcnt(56)
	v_fma_f64 v[21:22], v[62:63], v[29:30], -v[21:22]
	ds_read_b128 v[1:4], v61 offset:1568
	v_add_f64 v[13:14], v[13:14], v[17:18]
	v_fma_f64 v[17:18], v[64:65], v[29:30], v[129:130]
	v_add_f64 v[29:30], v[9:10], v[11:12]
	s_clause 0x4
	buffer_load_dword v63, off, s[0:3], 0 offset:812
	buffer_load_dword v64, off, s[0:3], 0 offset:824
	;; [unrolled: 1-line block ×5, first 2 shown]
	ds_read_b128 v[9:12], v61 offset:1584
	s_waitcnt vmcnt(57) lgkmcnt(1)
	v_mul_f64 v[129:130], v[1:2], v[31:32]
	v_mul_f64 v[31:32], v[3:4], v[31:32]
	s_waitcnt vmcnt(56)
	v_fma_f64 v[27:28], v[5:6], v[15:16], -v[27:28]
	v_fma_f64 v[15:16], v[7:8], v[15:16], v[70:71]
	v_add_f64 v[13:14], v[13:14], v[21:22]
	s_clause 0x2
	buffer_load_dword v65, off, s[0:3], 0 offset:828
	buffer_load_dword v22, off, s[0:3], 0 offset:804
	;; [unrolled: 1-line block ×3, first 2 shown]
	v_add_f64 v[17:18], v[29:30], v[17:18]
	s_waitcnt vmcnt(58) lgkmcnt(0)
	v_mul_f64 v[29:30], v[9:10], v[35:36]
	v_mul_f64 v[35:36], v[11:12], v[35:36]
	ds_read_b128 v[5:8], v61 offset:1600
	s_waitcnt vmcnt(56)
	v_fma_f64 v[31:32], v[1:2], v[37:38], -v[31:32]
	v_add_f64 v[13:14], v[13:14], v[27:28]
	v_fma_f64 v[27:28], v[3:4], v[37:38], v[129:130]
	v_add_f64 v[15:16], v[17:18], v[15:16]
	s_clause 0x4
	buffer_load_dword v18, off, s[0:3], 0 offset:844
	buffer_load_dword v37, off, s[0:3], 0 offset:856
	;; [unrolled: 1-line block ×5, first 2 shown]
	s_waitcnt vmcnt(57) lgkmcnt(0)
	v_mul_f64 v[129:130], v[5:6], v[39:40]
	v_mul_f64 v[39:40], v[7:8], v[39:40]
	s_waitcnt vmcnt(56)
	v_fma_f64 v[35:36], v[9:10], v[23:24], -v[35:36]
	ds_read_b128 v[1:4], v61 offset:1616
	v_fma_f64 v[23:24], v[11:12], v[23:24], v[29:30]
	v_add_f64 v[13:14], v[13:14], v[31:32]
	v_add_f64 v[15:16], v[15:16], v[27:28]
	s_clause 0x2
	buffer_load_dword v38, off, s[0:3], 0 offset:860
	buffer_load_dword v28, off, s[0:3], 0 offset:836
	;; [unrolled: 1-line block ×3, first 2 shown]
	ds_read_b128 v[9:12], v61 offset:1632
	s_waitcnt vmcnt(58) lgkmcnt(1)
	v_mul_f64 v[31:32], v[3:4], v[43:44]
	s_waitcnt vmcnt(56)
	v_fma_f64 v[39:40], v[5:6], v[45:46], -v[39:40]
	v_mul_f64 v[29:30], v[1:2], v[43:44]
	v_add_f64 v[13:14], v[13:14], v[35:36]
	v_fma_f64 v[35:36], v[7:8], v[45:46], v[129:130]
	v_add_f64 v[15:16], v[15:16], v[23:24]
	s_clause 0x4
	buffer_load_dword v24, off, s[0:3], 0 offset:876
	buffer_load_dword v43, off, s[0:3], 0 offset:888
	;; [unrolled: 1-line block ×5, first 2 shown]
	s_waitcnt vmcnt(57) lgkmcnt(0)
	v_mul_f64 v[129:130], v[9:10], v[47:48]
	v_mul_f64 v[46:47], v[11:12], v[47:48]
	s_waitcnt vmcnt(56)
	v_fma_f64 v[31:32], v[1:2], v[33:34], -v[31:32]
	ds_read_b128 v[5:8], v61 offset:1648
	v_fma_f64 v[29:30], v[3:4], v[33:34], v[29:30]
	s_clause 0x2
	buffer_load_dword v44, off, s[0:3], 0 offset:892
	buffer_load_dword v34, off, s[0:3], 0 offset:868
	;; [unrolled: 1-line block ×3, first 2 shown]
	ds_read_b128 v[1:4], v61 offset:1664
	v_add_f64 v[13:14], v[13:14], v[39:40]
	v_add_f64 v[15:16], v[15:16], v[35:36]
	s_waitcnt vmcnt(58) lgkmcnt(1)
	v_mul_f64 v[39:40], v[7:8], v[51:52]
	s_waitcnt vmcnt(56)
	v_fma_f64 v[47:48], v[9:10], v[53:54], -v[46:47]
	v_mul_f64 v[35:36], v[5:6], v[51:52]
	v_add_f64 v[13:14], v[13:14], v[31:32]
	v_fma_f64 v[31:32], v[11:12], v[53:54], v[129:130]
	v_add_f64 v[15:16], v[15:16], v[29:30]
	s_clause 0x4
	buffer_load_dword v30, off, s[0:3], 0 offset:908
	buffer_load_dword v51, off, s[0:3], 0 offset:920
	buffer_load_dword v53, off, s[0:3], 0 offset:912
	buffer_load_dword v29, off, s[0:3], 0 offset:904
	buffer_load_dword v46, off, s[0:3], 0 offset:884
	s_waitcnt vmcnt(57) lgkmcnt(0)
	v_mul_f64 v[129:130], v[1:2], v[55:56]
	v_mul_f64 v[54:55], v[3:4], v[55:56]
	s_waitcnt vmcnt(56)
	v_fma_f64 v[39:40], v[5:6], v[41:42], -v[39:40]
	ds_read_b128 v[9:12], v61 offset:1680
	v_fma_f64 v[35:36], v[7:8], v[41:42], v[35:36]
	v_add_f64 v[13:14], v[13:14], v[47:48]
	v_add_f64 v[15:16], v[15:16], v[31:32]
	s_clause 0x2
	buffer_load_dword v52, off, s[0:3], 0 offset:924
	buffer_load_dword v32, off, s[0:3], 0 offset:900
	;; [unrolled: 1-line block ×3, first 2 shown]
	ds_read_b128 v[5:8], v61 offset:1696
	s_waitcnt vmcnt(58) lgkmcnt(1)
	v_mul_f64 v[47:48], v[11:12], v[57:58]
	s_waitcnt vmcnt(56)
	v_fma_f64 v[55:56], v[1:2], v[59:60], -v[54:55]
	v_mul_f64 v[41:42], v[9:10], v[57:58]
	v_add_f64 v[13:14], v[13:14], v[39:40]
	v_fma_f64 v[39:40], v[3:4], v[59:60], v[129:130]
	v_add_f64 v[15:16], v[15:16], v[35:36]
	s_clause 0x4
	buffer_load_dword v36, off, s[0:3], 0 offset:940
	buffer_load_dword v57, off, s[0:3], 0 offset:952
	;; [unrolled: 1-line block ×5, first 2 shown]
	s_waitcnt vmcnt(57) lgkmcnt(0)
	v_mul_f64 v[129:130], v[5:6], v[78:79]
	v_mul_f64 v[78:79], v[7:8], v[78:79]
	s_waitcnt vmcnt(56)
	v_fma_f64 v[47:48], v[9:10], v[49:50], -v[47:48]
	ds_read_b128 v[1:4], v61 offset:1712
	v_fma_f64 v[41:42], v[11:12], v[49:50], v[41:42]
	v_add_f64 v[13:14], v[13:14], v[55:56]
	v_add_f64 v[15:16], v[15:16], v[39:40]
	s_clause 0x2
	buffer_load_dword v58, off, s[0:3], 0 offset:956
	buffer_load_dword v40, off, s[0:3], 0 offset:932
	;; [unrolled: 1-line block ×3, first 2 shown]
	ds_read_b128 v[9:12], v61 offset:1728
	s_waitcnt vmcnt(58) lgkmcnt(1)
	v_mul_f64 v[55:56], v[3:4], v[80:81]
	s_waitcnt vmcnt(56)
	v_fma_f64 v[78:79], v[5:6], v[117:118], -v[78:79]
	v_mul_f64 v[49:50], v[1:2], v[80:81]
	v_add_f64 v[13:14], v[13:14], v[47:48]
	v_fma_f64 v[47:48], v[7:8], v[117:118], v[129:130]
	v_add_f64 v[15:16], v[15:16], v[41:42]
	s_clause 0x4
	buffer_load_dword v42, off, s[0:3], 0 offset:972
	buffer_load_dword v80, off, s[0:3], 0 offset:984
	;; [unrolled: 1-line block ×5, first 2 shown]
	ds_read_b128 v[5:8], v61 offset:1744
	s_waitcnt vmcnt(57) lgkmcnt(1)
	v_mul_f64 v[129:130], v[9:10], v[72:73]
	v_mul_f64 v[72:73], v[11:12], v[72:73]
	s_waitcnt vmcnt(56)
	v_fma_f64 v[55:56], v[1:2], v[82:83], -v[55:56]
	v_fma_f64 v[49:50], v[3:4], v[82:83], v[49:50]
	v_add_f64 v[13:14], v[13:14], v[78:79]
	v_add_f64 v[15:16], v[15:16], v[47:48]
	s_clause 0x2
	buffer_load_dword v81, off, s[0:3], 0 offset:988
	buffer_load_dword v48, off, s[0:3], 0 offset:964
	;; [unrolled: 1-line block ×3, first 2 shown]
	ds_read_b128 v[1:4], v61 offset:1760
	s_waitcnt vmcnt(58) lgkmcnt(1)
	v_mul_f64 v[82:83], v[7:8], v[125:126]
	v_mul_f64 v[78:79], v[5:6], v[125:126]
	s_waitcnt vmcnt(56)
	v_fma_f64 v[72:73], v[9:10], v[66:67], -v[72:73]
	v_add_f64 v[13:14], v[13:14], v[55:56]
	v_fma_f64 v[55:56], v[11:12], v[66:67], v[129:130]
	v_add_f64 v[15:16], v[15:16], v[49:50]
	s_clause 0x4
	buffer_load_dword v50, off, s[0:3], 0 offset:1004
	buffer_load_dword v66, off, s[0:3], 0 offset:1016
	buffer_load_dword v125, off, s[0:3], 0 offset:1008
	buffer_load_dword v49, off, s[0:3], 0 offset:1000
	buffer_load_dword v118, off, s[0:3], 0 offset:980
	ds_read_b128 v[9:12], v61 offset:1776
	s_waitcnt vmcnt(57) lgkmcnt(1)
	v_mul_f64 v[129:130], v[1:2], v[25:26]
	v_mul_f64 v[25:26], v[3:4], v[25:26]
	s_waitcnt vmcnt(56)
	v_fma_f64 v[82:83], v[5:6], v[127:128], -v[82:83]
	v_add_f64 v[13:14], v[13:14], v[72:73]
	v_fma_f64 v[72:73], v[7:8], v[127:128], v[78:79]
	v_add_f64 v[15:16], v[15:16], v[55:56]
	s_clause 0x2
	buffer_load_dword v67, off, s[0:3], 0 offset:1020
	buffer_load_dword v56, off, s[0:3], 0 offset:996
	;; [unrolled: 1-line block ×3, first 2 shown]
	ds_read_b128 v[5:8], v61 offset:1792
	buffer_load_dword v126, off, s[0:3], 0 offset:1012
	s_waitcnt vmcnt(59) lgkmcnt(1)
	v_mul_f64 v[78:79], v[9:10], v[74:75]
	v_mul_f64 v[74:75], v[11:12], v[74:75]
	s_waitcnt vmcnt(57)
	v_fma_f64 v[25:26], v[1:2], v[19:20], -v[25:26]
	v_fma_f64 v[19:20], v[3:4], v[19:20], v[129:130]
	ds_read_b128 v[1:4], v61 offset:1808
	v_add_f64 v[13:14], v[13:14], v[82:83]
	v_add_f64 v[15:16], v[15:16], v[72:73]
	s_waitcnt vmcnt(53) lgkmcnt(1)
	v_mul_f64 v[72:73], v[5:6], v[62:63]
	v_mul_f64 v[62:63], v[7:8], v[62:63]
	s_waitcnt vmcnt(52)
	v_fma_f64 v[74:75], v[9:10], v[119:120], -v[74:75]
	v_add_f64 v[13:14], v[13:14], v[25:26]
	v_fma_f64 v[25:26], v[11:12], v[119:120], v[78:79]
	v_add_f64 v[15:16], v[15:16], v[19:20]
	ds_read_b128 v[9:12], v61 offset:1824
	s_waitcnt vmcnt(51) lgkmcnt(1)
	v_mul_f64 v[19:20], v[1:2], v[64:65]
	v_mul_f64 v[64:65], v[3:4], v[64:65]
	s_waitcnt vmcnt(49)
	v_fma_f64 v[62:63], v[5:6], v[21:22], -v[62:63]
	v_fma_f64 v[21:22], v[7:8], v[21:22], v[72:73]
	v_add_f64 v[13:14], v[13:14], v[74:75]
	v_add_f64 v[15:16], v[15:16], v[25:26]
	s_clause 0x3
	buffer_load_dword v25, off, s[0:3], 0 offset:448
	buffer_load_dword v26, off, s[0:3], 0 offset:452
	;; [unrolled: 1-line block ×4, first 2 shown]
	ds_read_b128 v[5:8], v61 offset:1840
	s_waitcnt vmcnt(49) lgkmcnt(1)
	v_mul_f64 v[74:75], v[9:10], v[17:18]
	v_mul_f64 v[17:18], v[11:12], v[17:18]
	s_waitcnt vmcnt(48)
	v_fma_f64 v[64:65], v[1:2], v[76:77], -v[64:65]
	v_fma_f64 v[19:20], v[3:4], v[76:77], v[19:20]
	ds_read_b128 v[1:4], v61 offset:1856
	v_add_f64 v[13:14], v[13:14], v[62:63]
	v_add_f64 v[15:16], v[15:16], v[21:22]
	s_waitcnt vmcnt(47) lgkmcnt(1)
	v_mul_f64 v[21:22], v[5:6], v[37:38]
	v_mul_f64 v[37:38], v[7:8], v[37:38]
	s_waitcnt vmcnt(45)
	v_fma_f64 v[17:18], v[9:10], v[27:28], -v[17:18]
	v_fma_f64 v[27:28], v[11:12], v[27:28], v[74:75]
	ds_read_b128 v[9:12], v61 offset:1872
	v_add_f64 v[13:14], v[13:14], v[64:65]
	v_add_f64 v[15:16], v[15:16], v[19:20]
	s_waitcnt vmcnt(41) lgkmcnt(1)
	v_mul_f64 v[19:20], v[1:2], v[23:24]
	v_mul_f64 v[23:24], v[3:4], v[23:24]
	s_waitcnt vmcnt(40)
	v_fma_f64 v[37:38], v[5:6], v[70:71], -v[37:38]
	v_add_f64 v[13:14], v[13:14], v[17:18]
	v_fma_f64 v[17:18], v[7:8], v[70:71], v[21:22]
	v_add_f64 v[15:16], v[15:16], v[27:28]
	ds_read_b128 v[5:8], v61 offset:1888
	s_waitcnt vmcnt(39) lgkmcnt(1)
	v_mul_f64 v[27:28], v[11:12], v[43:44]
	v_mul_f64 v[21:22], v[9:10], v[43:44]
	s_waitcnt vmcnt(37)
	v_fma_f64 v[19:20], v[3:4], v[33:34], v[19:20]
	v_fma_f64 v[23:24], v[1:2], v[33:34], -v[23:24]
	ds_read_b128 v[1:4], v61 offset:1904
	v_add_f64 v[13:14], v[13:14], v[37:38]
	v_add_f64 v[15:16], v[15:16], v[17:18]
	s_waitcnt vmcnt(33) lgkmcnt(1)
	v_mul_f64 v[17:18], v[5:6], v[29:30]
	v_mul_f64 v[29:30], v[7:8], v[29:30]
	s_waitcnt vmcnt(32)
	v_fma_f64 v[27:28], v[9:10], v[45:46], -v[27:28]
	v_fma_f64 v[21:22], v[11:12], v[45:46], v[21:22]
	ds_read_b128 v[9:12], v61 offset:1920
	v_add_f64 v[13:14], v[13:14], v[23:24]
	v_add_f64 v[15:16], v[15:16], v[19:20]
	s_waitcnt vmcnt(31) lgkmcnt(1)
	v_mul_f64 v[23:24], v[3:4], v[51:52]
	v_mul_f64 v[19:20], v[1:2], v[51:52]
	s_waitcnt vmcnt(29)
	v_fma_f64 v[29:30], v[5:6], v[31:32], -v[29:30]
	v_fma_f64 v[17:18], v[7:8], v[31:32], v[17:18]
	ds_read_b128 v[5:8], v61 offset:1936
	v_add_f64 v[13:14], v[13:14], v[27:28]
	v_add_f64 v[15:16], v[15:16], v[21:22]
	s_waitcnt vmcnt(25) lgkmcnt(1)
	v_mul_f64 v[27:28], v[11:12], v[35:36]
	s_waitcnt vmcnt(24)
	v_fma_f64 v[23:24], v[1:2], v[53:54], -v[23:24]
	v_mul_f64 v[21:22], v[9:10], v[35:36]
	v_fma_f64 v[19:20], v[3:4], v[53:54], v[19:20]
	ds_read_b128 v[1:4], v61 offset:1952
	v_add_f64 v[13:14], v[13:14], v[29:30]
	v_add_f64 v[15:16], v[15:16], v[17:18]
	s_waitcnt vmcnt(23) lgkmcnt(1)
	v_mul_f64 v[29:30], v[7:8], v[57:58]
	v_mul_f64 v[17:18], v[5:6], v[57:58]
	s_waitcnt vmcnt(21)
	v_fma_f64 v[27:28], v[9:10], v[39:40], -v[27:28]
	v_fma_f64 v[21:22], v[11:12], v[39:40], v[21:22]
	ds_read_b128 v[9:12], v61 offset:1968
	v_add_f64 v[13:14], v[13:14], v[23:24]
	v_add_f64 v[15:16], v[15:16], v[19:20]
	s_waitcnt vmcnt(17) lgkmcnt(1)
	v_mul_f64 v[23:24], v[3:4], v[41:42]
	s_waitcnt vmcnt(16)
	v_fma_f64 v[29:30], v[5:6], v[59:60], -v[29:30]
	v_mul_f64 v[19:20], v[1:2], v[41:42]
	;; [unrolled: 18-line block ×3, first 2 shown]
	v_fma_f64 v[11:12], v[11:12], v[117:118], v[21:22]
	v_add_f64 v[13:14], v[13:14], v[23:24]
	v_add_f64 v[15:16], v[15:16], v[19:20]
	s_waitcnt vmcnt(7) lgkmcnt(0)
	v_mul_f64 v[21:22], v[3:4], v[66:67]
	v_mul_f64 v[19:20], v[1:2], v[66:67]
	s_waitcnt vmcnt(5)
	v_fma_f64 v[5:6], v[5:6], v[55:56], -v[29:30]
	v_fma_f64 v[7:8], v[7:8], v[55:56], v[17:18]
	v_add_f64 v[9:10], v[13:14], v[9:10]
	v_add_f64 v[11:12], v[15:16], v[11:12]
	s_waitcnt vmcnt(4)
	v_fma_f64 v[1:2], v[1:2], v[125:126], -v[21:22]
	v_fma_f64 v[3:4], v[3:4], v[125:126], v[19:20]
	v_add_f64 v[5:6], v[9:10], v[5:6]
	v_add_f64 v[7:8], v[11:12], v[7:8]
	;; [unrolled: 1-line block ×4, first 2 shown]
	s_waitcnt vmcnt(2)
	v_add_f64 v[1:2], v[25:26], -v[1:2]
	s_waitcnt vmcnt(0)
	v_add_f64 v[3:4], v[72:73], -v[3:4]
	buffer_store_dword v2, off, s[0:3], 0 offset:452
	buffer_store_dword v1, off, s[0:3], 0 offset:448
	;; [unrolled: 1-line block ×4, first 2 shown]
	v_cmpx_lt_u32_e32 26, v0
	s_cbranch_execz .LBB62_351
; %bb.350:
	v_mov_b32_e32 v4, s51
	s_clause 0x3
	buffer_load_dword v1, v4, s[0:3], 0 offen
	buffer_load_dword v2, v4, s[0:3], 0 offen offset:4
	buffer_load_dword v3, v4, s[0:3], 0 offen offset:8
	;; [unrolled: 1-line block ×3, first 2 shown]
	buffer_store_dword v61, off, s[0:3], 0 offset:432
	buffer_store_dword v61, off, s[0:3], 0 offset:436
	;; [unrolled: 1-line block ×4, first 2 shown]
	s_waitcnt vmcnt(0)
	ds_write_b128 v69, v[1:4]
.LBB62_351:
	s_or_b32 exec_lo, exec_lo, s4
	s_waitcnt lgkmcnt(0)
	s_waitcnt_vscnt null, 0x0
	s_barrier
	buffer_gl0_inv
	s_clause 0x37
	buffer_load_dword v9, off, s[0:3], 0 offset:456
	buffer_load_dword v10, off, s[0:3], 0 offset:460
	;; [unrolled: 1-line block ×56, first 2 shown]
	ds_read_b128 v[62:65], v61 offset:1440
	s_clause 0x2
	buffer_load_dword v58, off, s[0:3], 0 offset:684
	buffer_load_dword v60, off, s[0:3], 0 offset:660
	;; [unrolled: 1-line block ×3, first 2 shown]
	ds_read_b128 v[70:73], v61 offset:1456
	s_clause 0x4
	buffer_load_dword v79, off, s[0:3], 0 offset:700
	buffer_load_dword v80, off, s[0:3], 0 offset:712
	;; [unrolled: 1-line block ×5, first 2 shown]
	ds_read_b128 v[74:77], v61 offset:1472
	s_clause 0x2
	buffer_load_dword v81, off, s[0:3], 0 offset:716
	buffer_load_dword v118, off, s[0:3], 0 offset:692
	;; [unrolled: 1-line block ×3, first 2 shown]
	s_mov_b32 s4, exec_lo
	s_waitcnt vmcnt(62) lgkmcnt(2)
	v_mul_f64 v[66:67], v[64:65], v[9:10]
	v_mul_f64 v[9:10], v[62:63], v[9:10]
	s_waitcnt lgkmcnt(1)
	v_mul_f64 v[83:84], v[72:73], v[5:6]
	s_waitcnt vmcnt(59) lgkmcnt(0)
	v_mul_f64 v[119:120], v[76:77], v[3:4]
	v_fma_f64 v[62:63], v[62:63], v[7:8], -v[66:67]
	v_mul_f64 v[66:67], v[70:71], v[5:6]
	v_fma_f64 v[9:10], v[64:65], v[7:8], v[9:10]
	s_waitcnt vmcnt(57)
	v_fma_f64 v[70:71], v[70:71], v[1:2], -v[83:84]
	ds_read_b128 v[5:8], v61 offset:1488
	v_mul_f64 v[64:65], v[74:75], v[3:4]
	s_waitcnt vmcnt(51)
	v_fma_f64 v[74:75], v[74:75], v[25:26], -v[119:120]
	v_add_f64 v[62:63], v[62:63], 0
	v_fma_f64 v[66:67], v[72:73], v[1:2], v[66:67]
	v_add_f64 v[9:10], v[9:10], 0
	s_clause 0x4
	buffer_load_dword v73, off, s[0:3], 0 offset:732
	buffer_load_dword v125, off, s[0:3], 0 offset:744
	;; [unrolled: 1-line block ×5, first 2 shown]
	s_waitcnt lgkmcnt(0)
	v_mul_f64 v[128:129], v[5:6], v[13:14]
	v_mul_f64 v[13:14], v[7:8], v[13:14]
	ds_read_b128 v[1:4], v61 offset:1504
	v_fma_f64 v[25:26], v[76:77], v[25:26], v[64:65]
	v_add_f64 v[70:71], v[62:63], v[70:71]
	v_add_f64 v[9:10], v[9:10], v[66:67]
	s_clause 0x2
	buffer_load_dword v126, off, s[0:3], 0 offset:748
	buffer_load_dword v67, off, s[0:3], 0 offset:724
	;; [unrolled: 1-line block ×3, first 2 shown]
	s_waitcnt vmcnt(58) lgkmcnt(0)
	v_mul_f64 v[76:77], v[1:2], v[17:18]
	v_mul_f64 v[17:18], v[3:4], v[17:18]
	s_waitcnt vmcnt(56)
	v_fma_f64 v[13:14], v[5:6], v[19:20], -v[13:14]
	ds_read_b128 v[62:65], v61 offset:1520
	v_fma_f64 v[19:20], v[7:8], v[19:20], v[128:129]
	v_add_f64 v[70:71], v[70:71], v[74:75]
	v_add_f64 v[9:10], v[9:10], v[25:26]
	s_clause 0x4
	buffer_load_dword v26, off, s[0:3], 0 offset:764
	buffer_load_dword v74, off, s[0:3], 0 offset:776
	;; [unrolled: 1-line block ×5, first 2 shown]
	ds_read_b128 v[5:8], v61 offset:1536
	s_waitcnt vmcnt(57) lgkmcnt(1)
	v_mul_f64 v[129:130], v[62:63], v[21:22]
	v_mul_f64 v[21:22], v[64:65], v[21:22]
	s_waitcnt vmcnt(56)
	v_fma_f64 v[17:18], v[1:2], v[11:12], -v[17:18]
	v_fma_f64 v[11:12], v[3:4], v[11:12], v[76:77]
	v_add_f64 v[13:14], v[70:71], v[13:14]
	v_add_f64 v[9:10], v[9:10], v[19:20]
	s_clause 0x2
	buffer_load_dword v75, off, s[0:3], 0 offset:780
	buffer_load_dword v20, off, s[0:3], 0 offset:756
	;; [unrolled: 1-line block ×3, first 2 shown]
	s_waitcnt vmcnt(58) lgkmcnt(0)
	v_mul_f64 v[70:71], v[5:6], v[27:28]
	v_mul_f64 v[27:28], v[7:8], v[27:28]
	s_waitcnt vmcnt(56)
	v_fma_f64 v[21:22], v[62:63], v[29:30], -v[21:22]
	ds_read_b128 v[1:4], v61 offset:1552
	v_add_f64 v[13:14], v[13:14], v[17:18]
	v_fma_f64 v[17:18], v[64:65], v[29:30], v[129:130]
	v_add_f64 v[29:30], v[9:10], v[11:12]
	s_clause 0x4
	buffer_load_dword v63, off, s[0:3], 0 offset:796
	buffer_load_dword v64, off, s[0:3], 0 offset:808
	buffer_load_dword v76, off, s[0:3], 0 offset:800
	buffer_load_dword v62, off, s[0:3], 0 offset:792
	buffer_load_dword v120, off, s[0:3], 0 offset:772
	ds_read_b128 v[9:12], v61 offset:1568
	s_waitcnt vmcnt(57) lgkmcnt(1)
	v_mul_f64 v[129:130], v[1:2], v[31:32]
	v_mul_f64 v[31:32], v[3:4], v[31:32]
	s_waitcnt vmcnt(56)
	v_fma_f64 v[27:28], v[5:6], v[15:16], -v[27:28]
	v_fma_f64 v[15:16], v[7:8], v[15:16], v[70:71]
	v_add_f64 v[13:14], v[13:14], v[21:22]
	s_clause 0x2
	buffer_load_dword v65, off, s[0:3], 0 offset:812
	buffer_load_dword v22, off, s[0:3], 0 offset:788
	buffer_load_dword v21, off, s[0:3], 0 offset:784
	v_add_f64 v[17:18], v[29:30], v[17:18]
	s_waitcnt vmcnt(58) lgkmcnt(0)
	v_mul_f64 v[29:30], v[9:10], v[35:36]
	v_mul_f64 v[35:36], v[11:12], v[35:36]
	ds_read_b128 v[5:8], v61 offset:1584
	s_waitcnt vmcnt(56)
	v_fma_f64 v[31:32], v[1:2], v[37:38], -v[31:32]
	v_add_f64 v[13:14], v[13:14], v[27:28]
	v_fma_f64 v[27:28], v[3:4], v[37:38], v[129:130]
	v_add_f64 v[15:16], v[17:18], v[15:16]
	s_clause 0x4
	buffer_load_dword v18, off, s[0:3], 0 offset:828
	buffer_load_dword v37, off, s[0:3], 0 offset:840
	;; [unrolled: 1-line block ×5, first 2 shown]
	s_waitcnt vmcnt(57) lgkmcnt(0)
	v_mul_f64 v[129:130], v[5:6], v[39:40]
	v_mul_f64 v[39:40], v[7:8], v[39:40]
	s_waitcnt vmcnt(56)
	v_fma_f64 v[35:36], v[9:10], v[23:24], -v[35:36]
	ds_read_b128 v[1:4], v61 offset:1600
	v_fma_f64 v[23:24], v[11:12], v[23:24], v[29:30]
	v_add_f64 v[13:14], v[13:14], v[31:32]
	v_add_f64 v[15:16], v[15:16], v[27:28]
	s_clause 0x2
	buffer_load_dword v38, off, s[0:3], 0 offset:844
	buffer_load_dword v28, off, s[0:3], 0 offset:820
	;; [unrolled: 1-line block ×3, first 2 shown]
	ds_read_b128 v[9:12], v61 offset:1616
	s_waitcnt vmcnt(58) lgkmcnt(1)
	v_mul_f64 v[31:32], v[3:4], v[43:44]
	s_waitcnt vmcnt(56)
	v_fma_f64 v[39:40], v[5:6], v[45:46], -v[39:40]
	v_mul_f64 v[29:30], v[1:2], v[43:44]
	v_add_f64 v[13:14], v[13:14], v[35:36]
	v_fma_f64 v[35:36], v[7:8], v[45:46], v[129:130]
	v_add_f64 v[15:16], v[15:16], v[23:24]
	s_clause 0x4
	buffer_load_dword v24, off, s[0:3], 0 offset:860
	buffer_load_dword v43, off, s[0:3], 0 offset:872
	;; [unrolled: 1-line block ×5, first 2 shown]
	s_waitcnt vmcnt(57) lgkmcnt(0)
	v_mul_f64 v[129:130], v[9:10], v[47:48]
	v_mul_f64 v[46:47], v[11:12], v[47:48]
	s_waitcnt vmcnt(56)
	v_fma_f64 v[31:32], v[1:2], v[33:34], -v[31:32]
	ds_read_b128 v[5:8], v61 offset:1632
	v_fma_f64 v[29:30], v[3:4], v[33:34], v[29:30]
	s_clause 0x2
	buffer_load_dword v44, off, s[0:3], 0 offset:876
	buffer_load_dword v34, off, s[0:3], 0 offset:852
	;; [unrolled: 1-line block ×3, first 2 shown]
	ds_read_b128 v[1:4], v61 offset:1648
	v_add_f64 v[13:14], v[13:14], v[39:40]
	v_add_f64 v[15:16], v[15:16], v[35:36]
	s_waitcnt vmcnt(58) lgkmcnt(1)
	v_mul_f64 v[39:40], v[7:8], v[51:52]
	s_waitcnt vmcnt(56)
	v_fma_f64 v[47:48], v[9:10], v[53:54], -v[46:47]
	v_mul_f64 v[35:36], v[5:6], v[51:52]
	v_add_f64 v[13:14], v[13:14], v[31:32]
	v_fma_f64 v[31:32], v[11:12], v[53:54], v[129:130]
	v_add_f64 v[15:16], v[15:16], v[29:30]
	s_clause 0x4
	buffer_load_dword v30, off, s[0:3], 0 offset:892
	buffer_load_dword v51, off, s[0:3], 0 offset:904
	;; [unrolled: 1-line block ×5, first 2 shown]
	s_waitcnt vmcnt(57) lgkmcnt(0)
	v_mul_f64 v[129:130], v[1:2], v[55:56]
	v_mul_f64 v[54:55], v[3:4], v[55:56]
	s_waitcnt vmcnt(56)
	v_fma_f64 v[39:40], v[5:6], v[41:42], -v[39:40]
	ds_read_b128 v[9:12], v61 offset:1664
	v_fma_f64 v[35:36], v[7:8], v[41:42], v[35:36]
	v_add_f64 v[13:14], v[13:14], v[47:48]
	v_add_f64 v[15:16], v[15:16], v[31:32]
	s_clause 0x2
	buffer_load_dword v52, off, s[0:3], 0 offset:908
	buffer_load_dword v32, off, s[0:3], 0 offset:884
	;; [unrolled: 1-line block ×3, first 2 shown]
	ds_read_b128 v[5:8], v61 offset:1680
	s_waitcnt vmcnt(58) lgkmcnt(1)
	v_mul_f64 v[47:48], v[11:12], v[57:58]
	s_waitcnt vmcnt(56)
	v_fma_f64 v[55:56], v[1:2], v[59:60], -v[54:55]
	v_mul_f64 v[41:42], v[9:10], v[57:58]
	v_add_f64 v[13:14], v[13:14], v[39:40]
	v_fma_f64 v[39:40], v[3:4], v[59:60], v[129:130]
	v_add_f64 v[15:16], v[15:16], v[35:36]
	s_clause 0x4
	buffer_load_dword v36, off, s[0:3], 0 offset:924
	buffer_load_dword v57, off, s[0:3], 0 offset:936
	;; [unrolled: 1-line block ×5, first 2 shown]
	s_waitcnt vmcnt(57) lgkmcnt(0)
	v_mul_f64 v[129:130], v[5:6], v[78:79]
	v_mul_f64 v[78:79], v[7:8], v[78:79]
	s_waitcnt vmcnt(56)
	v_fma_f64 v[47:48], v[9:10], v[49:50], -v[47:48]
	ds_read_b128 v[1:4], v61 offset:1696
	v_fma_f64 v[41:42], v[11:12], v[49:50], v[41:42]
	v_add_f64 v[13:14], v[13:14], v[55:56]
	v_add_f64 v[15:16], v[15:16], v[39:40]
	s_clause 0x2
	buffer_load_dword v58, off, s[0:3], 0 offset:940
	buffer_load_dword v40, off, s[0:3], 0 offset:916
	buffer_load_dword v39, off, s[0:3], 0 offset:912
	ds_read_b128 v[9:12], v61 offset:1712
	s_waitcnt vmcnt(58) lgkmcnt(1)
	v_mul_f64 v[55:56], v[3:4], v[80:81]
	s_waitcnt vmcnt(56)
	v_fma_f64 v[78:79], v[5:6], v[117:118], -v[78:79]
	v_mul_f64 v[49:50], v[1:2], v[80:81]
	v_add_f64 v[13:14], v[13:14], v[47:48]
	v_fma_f64 v[47:48], v[7:8], v[117:118], v[129:130]
	v_add_f64 v[15:16], v[15:16], v[41:42]
	s_clause 0x4
	buffer_load_dword v42, off, s[0:3], 0 offset:956
	buffer_load_dword v80, off, s[0:3], 0 offset:968
	;; [unrolled: 1-line block ×5, first 2 shown]
	ds_read_b128 v[5:8], v61 offset:1728
	s_waitcnt vmcnt(57) lgkmcnt(1)
	v_mul_f64 v[129:130], v[9:10], v[72:73]
	v_mul_f64 v[72:73], v[11:12], v[72:73]
	s_waitcnt vmcnt(56)
	v_fma_f64 v[55:56], v[1:2], v[82:83], -v[55:56]
	v_fma_f64 v[49:50], v[3:4], v[82:83], v[49:50]
	v_add_f64 v[13:14], v[13:14], v[78:79]
	v_add_f64 v[15:16], v[15:16], v[47:48]
	s_clause 0x2
	buffer_load_dword v81, off, s[0:3], 0 offset:972
	buffer_load_dword v48, off, s[0:3], 0 offset:948
	;; [unrolled: 1-line block ×3, first 2 shown]
	ds_read_b128 v[1:4], v61 offset:1744
	s_waitcnt vmcnt(58) lgkmcnt(1)
	v_mul_f64 v[82:83], v[7:8], v[125:126]
	v_mul_f64 v[78:79], v[5:6], v[125:126]
	s_waitcnt vmcnt(56)
	v_fma_f64 v[72:73], v[9:10], v[66:67], -v[72:73]
	v_add_f64 v[13:14], v[13:14], v[55:56]
	v_fma_f64 v[55:56], v[11:12], v[66:67], v[129:130]
	v_add_f64 v[15:16], v[15:16], v[49:50]
	s_clause 0x4
	buffer_load_dword v50, off, s[0:3], 0 offset:988
	buffer_load_dword v66, off, s[0:3], 0 offset:1000
	;; [unrolled: 1-line block ×5, first 2 shown]
	ds_read_b128 v[9:12], v61 offset:1760
	s_waitcnt vmcnt(57) lgkmcnt(1)
	v_mul_f64 v[129:130], v[1:2], v[25:26]
	v_mul_f64 v[25:26], v[3:4], v[25:26]
	s_waitcnt vmcnt(56)
	v_fma_f64 v[82:83], v[5:6], v[127:128], -v[82:83]
	v_add_f64 v[13:14], v[13:14], v[72:73]
	v_fma_f64 v[72:73], v[7:8], v[127:128], v[78:79]
	v_add_f64 v[15:16], v[15:16], v[55:56]
	s_clause 0x2
	buffer_load_dword v67, off, s[0:3], 0 offset:1004
	buffer_load_dword v56, off, s[0:3], 0 offset:980
	;; [unrolled: 1-line block ×3, first 2 shown]
	ds_read_b128 v[5:8], v61 offset:1776
	s_waitcnt vmcnt(58) lgkmcnt(1)
	v_mul_f64 v[78:79], v[9:10], v[74:75]
	v_mul_f64 v[74:75], v[11:12], v[74:75]
	s_waitcnt vmcnt(56)
	v_fma_f64 v[25:26], v[1:2], v[19:20], -v[25:26]
	v_fma_f64 v[19:20], v[3:4], v[19:20], v[129:130]
	v_add_f64 v[13:14], v[13:14], v[82:83]
	v_add_f64 v[15:16], v[15:16], v[72:73]
	s_clause 0x2
	buffer_load_dword v73, off, s[0:3], 0 offset:1020
	buffer_load_dword v72, off, s[0:3], 0 offset:1016
	;; [unrolled: 1-line block ×3, first 2 shown]
	ds_read_b128 v[1:4], v61 offset:1792
	s_waitcnt vmcnt(55) lgkmcnt(1)
	v_mul_f64 v[82:83], v[5:6], v[62:63]
	v_mul_f64 v[62:63], v[7:8], v[62:63]
	s_waitcnt vmcnt(54)
	v_fma_f64 v[74:75], v[9:10], v[119:120], -v[74:75]
	v_add_f64 v[13:14], v[13:14], v[25:26]
	v_fma_f64 v[25:26], v[11:12], v[119:120], v[78:79]
	v_add_f64 v[15:16], v[15:16], v[19:20]
	s_clause 0x1
	buffer_load_dword v20, off, s[0:3], 0 offset:1012
	buffer_load_dword v19, off, s[0:3], 0 offset:1008
	ds_read_b128 v[9:12], v61 offset:1808
	s_waitcnt vmcnt(55) lgkmcnt(1)
	v_mul_f64 v[78:79], v[1:2], v[64:65]
	v_mul_f64 v[64:65], v[3:4], v[64:65]
	s_waitcnt vmcnt(53)
	v_fma_f64 v[62:63], v[5:6], v[21:22], -v[62:63]
	v_fma_f64 v[21:22], v[7:8], v[21:22], v[82:83]
	ds_read_b128 v[5:8], v61 offset:1824
	v_add_f64 v[13:14], v[13:14], v[74:75]
	v_add_f64 v[15:16], v[15:16], v[25:26]
	s_waitcnt vmcnt(49) lgkmcnt(1)
	v_mul_f64 v[25:26], v[9:10], v[17:18]
	v_mul_f64 v[17:18], v[11:12], v[17:18]
	s_waitcnt vmcnt(48)
	v_fma_f64 v[64:65], v[1:2], v[76:77], -v[64:65]
	v_add_f64 v[13:14], v[13:14], v[62:63]
	v_fma_f64 v[62:63], v[3:4], v[76:77], v[78:79]
	v_add_f64 v[15:16], v[15:16], v[21:22]
	s_clause 0x3
	buffer_load_dword v21, off, s[0:3], 0 offset:432
	buffer_load_dword v22, off, s[0:3], 0 offset:436
	;; [unrolled: 1-line block ×4, first 2 shown]
	ds_read_b128 v[1:4], v61 offset:1840
	s_waitcnt vmcnt(51) lgkmcnt(1)
	v_mul_f64 v[76:77], v[5:6], v[37:38]
	v_mul_f64 v[37:38], v[7:8], v[37:38]
	s_waitcnt vmcnt(49)
	v_fma_f64 v[17:18], v[9:10], v[27:28], -v[17:18]
	v_fma_f64 v[25:26], v[11:12], v[27:28], v[25:26]
	ds_read_b128 v[9:12], v61 offset:1856
	v_add_f64 v[13:14], v[13:14], v[64:65]
	v_add_f64 v[15:16], v[15:16], v[62:63]
	s_waitcnt vmcnt(45) lgkmcnt(1)
	v_mul_f64 v[27:28], v[1:2], v[23:24]
	v_mul_f64 v[23:24], v[3:4], v[23:24]
	s_waitcnt vmcnt(44)
	v_fma_f64 v[37:38], v[5:6], v[70:71], -v[37:38]
	v_add_f64 v[13:14], v[13:14], v[17:18]
	v_fma_f64 v[17:18], v[7:8], v[70:71], v[76:77]
	v_add_f64 v[15:16], v[15:16], v[25:26]
	s_waitcnt vmcnt(43) lgkmcnt(0)
	v_mul_f64 v[25:26], v[9:10], v[43:44]
	v_mul_f64 v[43:44], v[11:12], v[43:44]
	ds_read_b128 v[5:8], v61 offset:1872
	s_waitcnt vmcnt(41)
	v_fma_f64 v[27:28], v[3:4], v[33:34], v[27:28]
	v_fma_f64 v[23:24], v[1:2], v[33:34], -v[23:24]
	ds_read_b128 v[1:4], v61 offset:1888
	v_add_f64 v[13:14], v[13:14], v[37:38]
	v_add_f64 v[15:16], v[15:16], v[17:18]
	s_waitcnt vmcnt(37) lgkmcnt(1)
	v_mul_f64 v[17:18], v[5:6], v[29:30]
	v_mul_f64 v[29:30], v[7:8], v[29:30]
	s_waitcnt vmcnt(36)
	v_fma_f64 v[33:34], v[9:10], v[45:46], -v[43:44]
	v_add_f64 v[13:14], v[13:14], v[23:24]
	v_fma_f64 v[23:24], v[11:12], v[45:46], v[25:26]
	v_add_f64 v[15:16], v[15:16], v[27:28]
	ds_read_b128 v[9:12], v61 offset:1904
	s_waitcnt vmcnt(35) lgkmcnt(1)
	v_mul_f64 v[27:28], v[3:4], v[51:52]
	v_mul_f64 v[25:26], v[1:2], v[51:52]
	s_waitcnt vmcnt(33)
	v_fma_f64 v[29:30], v[5:6], v[31:32], -v[29:30]
	v_fma_f64 v[17:18], v[7:8], v[31:32], v[17:18]
	ds_read_b128 v[5:8], v61 offset:1920
	v_add_f64 v[13:14], v[13:14], v[33:34]
	v_add_f64 v[15:16], v[15:16], v[23:24]
	s_waitcnt vmcnt(29) lgkmcnt(1)
	v_mul_f64 v[31:32], v[11:12], v[35:36]
	s_waitcnt vmcnt(28)
	v_fma_f64 v[27:28], v[1:2], v[53:54], -v[27:28]
	v_mul_f64 v[23:24], v[9:10], v[35:36]
	v_fma_f64 v[25:26], v[3:4], v[53:54], v[25:26]
	ds_read_b128 v[1:4], v61 offset:1936
	v_add_f64 v[13:14], v[13:14], v[29:30]
	v_add_f64 v[15:16], v[15:16], v[17:18]
	s_waitcnt vmcnt(27) lgkmcnt(1)
	v_mul_f64 v[29:30], v[7:8], v[57:58]
	v_mul_f64 v[17:18], v[5:6], v[57:58]
	s_waitcnt vmcnt(25)
	v_fma_f64 v[31:32], v[9:10], v[39:40], -v[31:32]
	v_fma_f64 v[23:24], v[11:12], v[39:40], v[23:24]
	ds_read_b128 v[9:12], v61 offset:1952
	v_add_f64 v[13:14], v[13:14], v[27:28]
	v_add_f64 v[15:16], v[15:16], v[25:26]
	s_waitcnt vmcnt(21) lgkmcnt(1)
	v_mul_f64 v[27:28], v[3:4], v[41:42]
	s_waitcnt vmcnt(20)
	v_fma_f64 v[29:30], v[5:6], v[59:60], -v[29:30]
	v_mul_f64 v[25:26], v[1:2], v[41:42]
	v_fma_f64 v[17:18], v[7:8], v[59:60], v[17:18]
	ds_read_b128 v[5:8], v61 offset:1968
	v_add_f64 v[13:14], v[13:14], v[31:32]
	v_add_f64 v[15:16], v[15:16], v[23:24]
	;; [unrolled: 18-line block ×3, first 2 shown]
	s_waitcnt vmcnt(11) lgkmcnt(1)
	v_mul_f64 v[27:28], v[3:4], v[66:67]
	v_mul_f64 v[25:26], v[1:2], v[66:67]
	s_waitcnt vmcnt(9)
	v_fma_f64 v[5:6], v[5:6], v[55:56], -v[29:30]
	v_fma_f64 v[7:8], v[7:8], v[55:56], v[17:18]
	v_add_f64 v[13:14], v[13:14], v[31:32]
	v_add_f64 v[15:16], v[15:16], v[23:24]
	s_waitcnt vmcnt(7) lgkmcnt(0)
	v_mul_f64 v[23:24], v[11:12], v[72:73]
	s_waitcnt vmcnt(6)
	v_fma_f64 v[1:2], v[1:2], v[125:126], -v[27:28]
	v_mul_f64 v[17:18], v[9:10], v[72:73]
	v_fma_f64 v[3:4], v[3:4], v[125:126], v[25:26]
	v_add_f64 v[5:6], v[13:14], v[5:6]
	v_add_f64 v[7:8], v[15:16], v[7:8]
	s_waitcnt vmcnt(4)
	v_fma_f64 v[9:10], v[9:10], v[19:20], -v[23:24]
	v_add_f64 v[1:2], v[5:6], v[1:2]
	v_fma_f64 v[5:6], v[11:12], v[19:20], v[17:18]
	v_add_f64 v[3:4], v[7:8], v[3:4]
	v_add_f64 v[1:2], v[1:2], v[9:10]
	;; [unrolled: 1-line block ×3, first 2 shown]
	s_waitcnt vmcnt(2)
	v_add_f64 v[1:2], v[21:22], -v[1:2]
	s_waitcnt vmcnt(0)
	v_add_f64 v[3:4], v[74:75], -v[3:4]
	buffer_store_dword v2, off, s[0:3], 0 offset:436
	buffer_store_dword v1, off, s[0:3], 0 offset:432
	;; [unrolled: 1-line block ×4, first 2 shown]
	v_cmpx_lt_u32_e32 25, v0
	s_cbranch_execz .LBB62_353
; %bb.352:
	v_mov_b32_e32 v4, s52
	v_mov_b32_e32 v5, 0
	s_clause 0x3
	buffer_load_dword v1, v4, s[0:3], 0 offen
	buffer_load_dword v2, v4, s[0:3], 0 offen offset:4
	buffer_load_dword v3, v4, s[0:3], 0 offen offset:8
	;; [unrolled: 1-line block ×3, first 2 shown]
	buffer_store_dword v5, off, s[0:3], 0 offset:416
	buffer_store_dword v5, off, s[0:3], 0 offset:420
	;; [unrolled: 1-line block ×4, first 2 shown]
	s_waitcnt vmcnt(0)
	ds_write_b128 v69, v[1:4]
.LBB62_353:
	s_or_b32 exec_lo, exec_lo, s4
	s_waitcnt lgkmcnt(0)
	s_waitcnt_vscnt null, 0x0
	s_barrier
	buffer_gl0_inv
	s_clause 0x37
	buffer_load_dword v9, off, s[0:3], 0 offset:440
	buffer_load_dword v10, off, s[0:3], 0 offset:444
	;; [unrolled: 1-line block ×56, first 2 shown]
	v_mov_b32_e32 v61, 0
	s_mov_b32 s4, exec_lo
	ds_read_b128 v[62:65], v61 offset:1424
	s_clause 0x2
	buffer_load_dword v58, off, s[0:3], 0 offset:668
	buffer_load_dword v60, off, s[0:3], 0 offset:644
	;; [unrolled: 1-line block ×3, first 2 shown]
	ds_read_b128 v[70:73], v61 offset:1440
	s_clause 0x4
	buffer_load_dword v79, off, s[0:3], 0 offset:684
	buffer_load_dword v80, off, s[0:3], 0 offset:696
	;; [unrolled: 1-line block ×5, first 2 shown]
	ds_read_b128 v[74:77], v61 offset:1456
	s_clause 0x2
	buffer_load_dword v81, off, s[0:3], 0 offset:700
	buffer_load_dword v118, off, s[0:3], 0 offset:676
	;; [unrolled: 1-line block ×3, first 2 shown]
	s_waitcnt vmcnt(62) lgkmcnt(2)
	v_mul_f64 v[66:67], v[64:65], v[9:10]
	v_mul_f64 v[9:10], v[62:63], v[9:10]
	s_waitcnt lgkmcnt(1)
	v_mul_f64 v[83:84], v[72:73], v[5:6]
	s_waitcnt vmcnt(59) lgkmcnt(0)
	v_mul_f64 v[119:120], v[76:77], v[3:4]
	v_fma_f64 v[62:63], v[62:63], v[7:8], -v[66:67]
	v_mul_f64 v[66:67], v[70:71], v[5:6]
	v_fma_f64 v[9:10], v[64:65], v[7:8], v[9:10]
	s_waitcnt vmcnt(57)
	v_fma_f64 v[70:71], v[70:71], v[1:2], -v[83:84]
	ds_read_b128 v[5:8], v61 offset:1472
	v_mul_f64 v[64:65], v[74:75], v[3:4]
	s_waitcnt vmcnt(51)
	v_fma_f64 v[74:75], v[74:75], v[25:26], -v[119:120]
	v_add_f64 v[62:63], v[62:63], 0
	v_fma_f64 v[66:67], v[72:73], v[1:2], v[66:67]
	v_add_f64 v[9:10], v[9:10], 0
	s_clause 0x4
	buffer_load_dword v73, off, s[0:3], 0 offset:716
	buffer_load_dword v125, off, s[0:3], 0 offset:728
	;; [unrolled: 1-line block ×5, first 2 shown]
	s_waitcnt lgkmcnt(0)
	v_mul_f64 v[128:129], v[5:6], v[13:14]
	v_mul_f64 v[13:14], v[7:8], v[13:14]
	ds_read_b128 v[1:4], v61 offset:1488
	v_fma_f64 v[25:26], v[76:77], v[25:26], v[64:65]
	v_add_f64 v[70:71], v[62:63], v[70:71]
	v_add_f64 v[9:10], v[9:10], v[66:67]
	s_clause 0x2
	buffer_load_dword v126, off, s[0:3], 0 offset:732
	buffer_load_dword v67, off, s[0:3], 0 offset:708
	;; [unrolled: 1-line block ×3, first 2 shown]
	s_waitcnt vmcnt(58) lgkmcnt(0)
	v_mul_f64 v[76:77], v[1:2], v[17:18]
	v_mul_f64 v[17:18], v[3:4], v[17:18]
	s_waitcnt vmcnt(56)
	v_fma_f64 v[13:14], v[5:6], v[19:20], -v[13:14]
	ds_read_b128 v[62:65], v61 offset:1504
	v_fma_f64 v[19:20], v[7:8], v[19:20], v[128:129]
	v_add_f64 v[70:71], v[70:71], v[74:75]
	v_add_f64 v[9:10], v[9:10], v[25:26]
	s_clause 0x4
	buffer_load_dword v26, off, s[0:3], 0 offset:748
	buffer_load_dword v74, off, s[0:3], 0 offset:760
	buffer_load_dword v119, off, s[0:3], 0 offset:752
	buffer_load_dword v25, off, s[0:3], 0 offset:744
	buffer_load_dword v128, off, s[0:3], 0 offset:724
	ds_read_b128 v[5:8], v61 offset:1520
	s_waitcnt vmcnt(57) lgkmcnt(1)
	v_mul_f64 v[129:130], v[62:63], v[21:22]
	v_mul_f64 v[21:22], v[64:65], v[21:22]
	s_waitcnt vmcnt(56)
	v_fma_f64 v[17:18], v[1:2], v[11:12], -v[17:18]
	v_fma_f64 v[11:12], v[3:4], v[11:12], v[76:77]
	v_add_f64 v[13:14], v[70:71], v[13:14]
	v_add_f64 v[9:10], v[9:10], v[19:20]
	s_clause 0x2
	buffer_load_dword v75, off, s[0:3], 0 offset:764
	buffer_load_dword v20, off, s[0:3], 0 offset:740
	;; [unrolled: 1-line block ×3, first 2 shown]
	s_waitcnt vmcnt(58) lgkmcnt(0)
	v_mul_f64 v[70:71], v[5:6], v[27:28]
	v_mul_f64 v[27:28], v[7:8], v[27:28]
	s_waitcnt vmcnt(56)
	v_fma_f64 v[21:22], v[62:63], v[29:30], -v[21:22]
	ds_read_b128 v[1:4], v61 offset:1536
	v_add_f64 v[13:14], v[13:14], v[17:18]
	v_fma_f64 v[17:18], v[64:65], v[29:30], v[129:130]
	v_add_f64 v[29:30], v[9:10], v[11:12]
	s_clause 0x4
	buffer_load_dword v63, off, s[0:3], 0 offset:780
	buffer_load_dword v64, off, s[0:3], 0 offset:792
	;; [unrolled: 1-line block ×5, first 2 shown]
	ds_read_b128 v[9:12], v61 offset:1552
	s_waitcnt vmcnt(57) lgkmcnt(1)
	v_mul_f64 v[129:130], v[1:2], v[31:32]
	v_mul_f64 v[31:32], v[3:4], v[31:32]
	s_waitcnt vmcnt(56)
	v_fma_f64 v[27:28], v[5:6], v[15:16], -v[27:28]
	v_fma_f64 v[15:16], v[7:8], v[15:16], v[70:71]
	v_add_f64 v[13:14], v[13:14], v[21:22]
	s_clause 0x2
	buffer_load_dword v65, off, s[0:3], 0 offset:796
	buffer_load_dword v22, off, s[0:3], 0 offset:772
	;; [unrolled: 1-line block ×3, first 2 shown]
	v_add_f64 v[17:18], v[29:30], v[17:18]
	s_waitcnt vmcnt(58) lgkmcnt(0)
	v_mul_f64 v[29:30], v[9:10], v[35:36]
	v_mul_f64 v[35:36], v[11:12], v[35:36]
	ds_read_b128 v[5:8], v61 offset:1568
	s_waitcnt vmcnt(56)
	v_fma_f64 v[31:32], v[1:2], v[37:38], -v[31:32]
	v_add_f64 v[13:14], v[13:14], v[27:28]
	v_fma_f64 v[27:28], v[3:4], v[37:38], v[129:130]
	v_add_f64 v[15:16], v[17:18], v[15:16]
	s_clause 0x4
	buffer_load_dword v18, off, s[0:3], 0 offset:812
	buffer_load_dword v37, off, s[0:3], 0 offset:824
	;; [unrolled: 1-line block ×5, first 2 shown]
	s_waitcnt vmcnt(57) lgkmcnt(0)
	v_mul_f64 v[129:130], v[5:6], v[39:40]
	v_mul_f64 v[39:40], v[7:8], v[39:40]
	s_waitcnt vmcnt(56)
	v_fma_f64 v[35:36], v[9:10], v[23:24], -v[35:36]
	ds_read_b128 v[1:4], v61 offset:1584
	v_fma_f64 v[23:24], v[11:12], v[23:24], v[29:30]
	v_add_f64 v[13:14], v[13:14], v[31:32]
	v_add_f64 v[15:16], v[15:16], v[27:28]
	s_clause 0x2
	buffer_load_dword v38, off, s[0:3], 0 offset:828
	buffer_load_dword v28, off, s[0:3], 0 offset:804
	;; [unrolled: 1-line block ×3, first 2 shown]
	ds_read_b128 v[9:12], v61 offset:1600
	s_waitcnt vmcnt(58) lgkmcnt(1)
	v_mul_f64 v[31:32], v[3:4], v[43:44]
	s_waitcnt vmcnt(56)
	v_fma_f64 v[39:40], v[5:6], v[45:46], -v[39:40]
	v_mul_f64 v[29:30], v[1:2], v[43:44]
	v_add_f64 v[13:14], v[13:14], v[35:36]
	v_fma_f64 v[35:36], v[7:8], v[45:46], v[129:130]
	v_add_f64 v[15:16], v[15:16], v[23:24]
	s_clause 0x4
	buffer_load_dword v24, off, s[0:3], 0 offset:844
	buffer_load_dword v43, off, s[0:3], 0 offset:856
	buffer_load_dword v45, off, s[0:3], 0 offset:848
	buffer_load_dword v23, off, s[0:3], 0 offset:840
	buffer_load_dword v71, off, s[0:3], 0 offset:820
	s_waitcnt vmcnt(57) lgkmcnt(0)
	v_mul_f64 v[129:130], v[9:10], v[47:48]
	v_mul_f64 v[46:47], v[11:12], v[47:48]
	s_waitcnt vmcnt(56)
	v_fma_f64 v[31:32], v[1:2], v[33:34], -v[31:32]
	ds_read_b128 v[5:8], v61 offset:1616
	v_fma_f64 v[29:30], v[3:4], v[33:34], v[29:30]
	s_clause 0x2
	buffer_load_dword v44, off, s[0:3], 0 offset:860
	buffer_load_dword v34, off, s[0:3], 0 offset:836
	;; [unrolled: 1-line block ×3, first 2 shown]
	ds_read_b128 v[1:4], v61 offset:1632
	v_add_f64 v[13:14], v[13:14], v[39:40]
	v_add_f64 v[15:16], v[15:16], v[35:36]
	s_waitcnt vmcnt(58) lgkmcnt(1)
	v_mul_f64 v[39:40], v[7:8], v[51:52]
	s_waitcnt vmcnt(56)
	v_fma_f64 v[47:48], v[9:10], v[53:54], -v[46:47]
	v_mul_f64 v[35:36], v[5:6], v[51:52]
	v_add_f64 v[13:14], v[13:14], v[31:32]
	v_fma_f64 v[31:32], v[11:12], v[53:54], v[129:130]
	v_add_f64 v[15:16], v[15:16], v[29:30]
	s_clause 0x4
	buffer_load_dword v30, off, s[0:3], 0 offset:876
	buffer_load_dword v51, off, s[0:3], 0 offset:888
	;; [unrolled: 1-line block ×5, first 2 shown]
	s_waitcnt vmcnt(57) lgkmcnt(0)
	v_mul_f64 v[129:130], v[1:2], v[55:56]
	v_mul_f64 v[54:55], v[3:4], v[55:56]
	s_waitcnt vmcnt(56)
	v_fma_f64 v[39:40], v[5:6], v[41:42], -v[39:40]
	ds_read_b128 v[9:12], v61 offset:1648
	v_fma_f64 v[35:36], v[7:8], v[41:42], v[35:36]
	v_add_f64 v[13:14], v[13:14], v[47:48]
	v_add_f64 v[15:16], v[15:16], v[31:32]
	s_clause 0x2
	buffer_load_dword v52, off, s[0:3], 0 offset:892
	buffer_load_dword v32, off, s[0:3], 0 offset:868
	;; [unrolled: 1-line block ×3, first 2 shown]
	ds_read_b128 v[5:8], v61 offset:1664
	s_waitcnt vmcnt(58) lgkmcnt(1)
	v_mul_f64 v[47:48], v[11:12], v[57:58]
	s_waitcnt vmcnt(56)
	v_fma_f64 v[55:56], v[1:2], v[59:60], -v[54:55]
	v_mul_f64 v[41:42], v[9:10], v[57:58]
	v_add_f64 v[13:14], v[13:14], v[39:40]
	v_fma_f64 v[39:40], v[3:4], v[59:60], v[129:130]
	v_add_f64 v[15:16], v[15:16], v[35:36]
	s_clause 0x4
	buffer_load_dword v36, off, s[0:3], 0 offset:908
	buffer_load_dword v57, off, s[0:3], 0 offset:920
	;; [unrolled: 1-line block ×5, first 2 shown]
	s_waitcnt vmcnt(57) lgkmcnt(0)
	v_mul_f64 v[129:130], v[5:6], v[78:79]
	v_mul_f64 v[78:79], v[7:8], v[78:79]
	s_waitcnt vmcnt(56)
	v_fma_f64 v[47:48], v[9:10], v[49:50], -v[47:48]
	ds_read_b128 v[1:4], v61 offset:1680
	v_fma_f64 v[41:42], v[11:12], v[49:50], v[41:42]
	v_add_f64 v[13:14], v[13:14], v[55:56]
	v_add_f64 v[15:16], v[15:16], v[39:40]
	s_clause 0x2
	buffer_load_dword v58, off, s[0:3], 0 offset:924
	buffer_load_dword v40, off, s[0:3], 0 offset:900
	buffer_load_dword v39, off, s[0:3], 0 offset:896
	ds_read_b128 v[9:12], v61 offset:1696
	s_waitcnt vmcnt(58) lgkmcnt(1)
	v_mul_f64 v[55:56], v[3:4], v[80:81]
	s_waitcnt vmcnt(56)
	v_fma_f64 v[78:79], v[5:6], v[117:118], -v[78:79]
	v_mul_f64 v[49:50], v[1:2], v[80:81]
	v_add_f64 v[13:14], v[13:14], v[47:48]
	v_fma_f64 v[47:48], v[7:8], v[117:118], v[129:130]
	v_add_f64 v[15:16], v[15:16], v[41:42]
	s_clause 0x4
	buffer_load_dword v42, off, s[0:3], 0 offset:940
	buffer_load_dword v80, off, s[0:3], 0 offset:952
	;; [unrolled: 1-line block ×5, first 2 shown]
	ds_read_b128 v[5:8], v61 offset:1712
	s_waitcnt vmcnt(57) lgkmcnt(1)
	v_mul_f64 v[129:130], v[9:10], v[72:73]
	v_mul_f64 v[72:73], v[11:12], v[72:73]
	s_waitcnt vmcnt(56)
	v_fma_f64 v[55:56], v[1:2], v[82:83], -v[55:56]
	v_fma_f64 v[49:50], v[3:4], v[82:83], v[49:50]
	v_add_f64 v[13:14], v[13:14], v[78:79]
	v_add_f64 v[15:16], v[15:16], v[47:48]
	s_clause 0x2
	buffer_load_dword v81, off, s[0:3], 0 offset:956
	buffer_load_dword v48, off, s[0:3], 0 offset:932
	;; [unrolled: 1-line block ×3, first 2 shown]
	ds_read_b128 v[1:4], v61 offset:1728
	s_waitcnt vmcnt(58) lgkmcnt(1)
	v_mul_f64 v[82:83], v[7:8], v[125:126]
	v_mul_f64 v[78:79], v[5:6], v[125:126]
	s_waitcnt vmcnt(56)
	v_fma_f64 v[72:73], v[9:10], v[66:67], -v[72:73]
	v_add_f64 v[13:14], v[13:14], v[55:56]
	v_fma_f64 v[55:56], v[11:12], v[66:67], v[129:130]
	v_add_f64 v[15:16], v[15:16], v[49:50]
	s_clause 0x4
	buffer_load_dword v50, off, s[0:3], 0 offset:972
	buffer_load_dword v66, off, s[0:3], 0 offset:984
	;; [unrolled: 1-line block ×5, first 2 shown]
	ds_read_b128 v[9:12], v61 offset:1744
	s_waitcnt vmcnt(57) lgkmcnt(1)
	v_mul_f64 v[129:130], v[1:2], v[25:26]
	v_mul_f64 v[25:26], v[3:4], v[25:26]
	s_waitcnt vmcnt(56)
	v_fma_f64 v[82:83], v[5:6], v[127:128], -v[82:83]
	v_add_f64 v[13:14], v[13:14], v[72:73]
	v_fma_f64 v[72:73], v[7:8], v[127:128], v[78:79]
	v_add_f64 v[15:16], v[15:16], v[55:56]
	s_clause 0x2
	buffer_load_dword v67, off, s[0:3], 0 offset:988
	buffer_load_dword v56, off, s[0:3], 0 offset:964
	;; [unrolled: 1-line block ×3, first 2 shown]
	ds_read_b128 v[5:8], v61 offset:1760
	s_waitcnt vmcnt(58) lgkmcnt(1)
	v_mul_f64 v[78:79], v[9:10], v[74:75]
	v_mul_f64 v[74:75], v[11:12], v[74:75]
	s_waitcnt vmcnt(56)
	v_fma_f64 v[25:26], v[1:2], v[19:20], -v[25:26]
	v_fma_f64 v[19:20], v[3:4], v[19:20], v[129:130]
	v_add_f64 v[13:14], v[13:14], v[82:83]
	v_add_f64 v[15:16], v[15:16], v[72:73]
	s_clause 0x4
	buffer_load_dword v73, off, s[0:3], 0 offset:1004
	buffer_load_dword v82, off, s[0:3], 0 offset:1016
	;; [unrolled: 1-line block ×5, first 2 shown]
	ds_read_b128 v[1:4], v61 offset:1776
	s_waitcnt vmcnt(57) lgkmcnt(1)
	v_mul_f64 v[128:129], v[5:6], v[62:63]
	v_mul_f64 v[62:63], v[7:8], v[62:63]
	s_waitcnt vmcnt(56)
	v_fma_f64 v[74:75], v[9:10], v[119:120], -v[74:75]
	v_add_f64 v[13:14], v[13:14], v[25:26]
	v_fma_f64 v[25:26], v[11:12], v[119:120], v[78:79]
	v_add_f64 v[15:16], v[15:16], v[19:20]
	s_clause 0x2
	buffer_load_dword v83, off, s[0:3], 0 offset:1020
	buffer_load_dword v20, off, s[0:3], 0 offset:996
	;; [unrolled: 1-line block ×3, first 2 shown]
	ds_read_b128 v[9:12], v61 offset:1792
	s_waitcnt vmcnt(58) lgkmcnt(1)
	v_mul_f64 v[78:79], v[1:2], v[64:65]
	v_mul_f64 v[64:65], v[3:4], v[64:65]
	s_waitcnt vmcnt(56)
	v_fma_f64 v[62:63], v[5:6], v[21:22], -v[62:63]
	v_fma_f64 v[21:22], v[7:8], v[21:22], v[128:129]
	buffer_load_dword v128, off, s[0:3], 0 offset:1012
	ds_read_b128 v[5:8], v61 offset:1808
	v_add_f64 v[13:14], v[13:14], v[74:75]
	v_add_f64 v[15:16], v[15:16], v[25:26]
	s_waitcnt vmcnt(53) lgkmcnt(1)
	v_mul_f64 v[25:26], v[9:10], v[17:18]
	v_mul_f64 v[17:18], v[11:12], v[17:18]
	s_waitcnt vmcnt(52)
	v_fma_f64 v[64:65], v[1:2], v[76:77], -v[64:65]
	v_add_f64 v[13:14], v[13:14], v[62:63]
	v_fma_f64 v[62:63], v[3:4], v[76:77], v[78:79]
	v_add_f64 v[15:16], v[15:16], v[21:22]
	ds_read_b128 v[1:4], v61 offset:1824
	s_waitcnt vmcnt(51) lgkmcnt(1)
	v_mul_f64 v[21:22], v[5:6], v[37:38]
	v_mul_f64 v[37:38], v[7:8], v[37:38]
	s_waitcnt vmcnt(49)
	v_fma_f64 v[17:18], v[9:10], v[27:28], -v[17:18]
	v_fma_f64 v[25:26], v[11:12], v[27:28], v[25:26]
	v_add_f64 v[13:14], v[13:14], v[64:65]
	v_add_f64 v[15:16], v[15:16], v[62:63]
	s_clause 0x3
	buffer_load_dword v27, off, s[0:3], 0 offset:416
	buffer_load_dword v28, off, s[0:3], 0 offset:420
	;; [unrolled: 1-line block ×4, first 2 shown]
	ds_read_b128 v[9:12], v61 offset:1840
	s_waitcnt vmcnt(49) lgkmcnt(1)
	v_mul_f64 v[64:65], v[1:2], v[23:24]
	v_mul_f64 v[23:24], v[3:4], v[23:24]
	s_waitcnt vmcnt(48)
	v_fma_f64 v[37:38], v[5:6], v[70:71], -v[37:38]
	v_add_f64 v[13:14], v[13:14], v[17:18]
	v_fma_f64 v[17:18], v[7:8], v[70:71], v[21:22]
	v_add_f64 v[15:16], v[15:16], v[25:26]
	ds_read_b128 v[5:8], v61 offset:1856
	s_waitcnt vmcnt(47) lgkmcnt(1)
	v_mul_f64 v[25:26], v[11:12], v[43:44]
	v_mul_f64 v[21:22], v[9:10], v[43:44]
	s_waitcnt vmcnt(45)
	v_fma_f64 v[23:24], v[1:2], v[33:34], -v[23:24]
	v_fma_f64 v[33:34], v[3:4], v[33:34], v[64:65]
	ds_read_b128 v[1:4], v61 offset:1872
	v_add_f64 v[13:14], v[13:14], v[37:38]
	v_add_f64 v[15:16], v[15:16], v[17:18]
	s_waitcnt vmcnt(41) lgkmcnt(1)
	v_mul_f64 v[17:18], v[5:6], v[29:30]
	v_mul_f64 v[29:30], v[7:8], v[29:30]
	s_waitcnt vmcnt(40)
	v_fma_f64 v[25:26], v[9:10], v[45:46], -v[25:26]
	v_fma_f64 v[21:22], v[11:12], v[45:46], v[21:22]
	ds_read_b128 v[9:12], v61 offset:1888
	v_add_f64 v[13:14], v[13:14], v[23:24]
	v_add_f64 v[15:16], v[15:16], v[33:34]
	;; [unrolled: 9-line block ×3, first 2 shown]
	s_waitcnt vmcnt(33) lgkmcnt(1)
	v_mul_f64 v[25:26], v[11:12], v[35:36]
	s_waitcnt vmcnt(32)
	v_fma_f64 v[31:32], v[1:2], v[53:54], -v[33:34]
	v_mul_f64 v[21:22], v[9:10], v[35:36]
	v_fma_f64 v[23:24], v[3:4], v[53:54], v[23:24]
	ds_read_b128 v[1:4], v61 offset:1920
	v_add_f64 v[13:14], v[13:14], v[29:30]
	v_add_f64 v[15:16], v[15:16], v[17:18]
	s_waitcnt vmcnt(31) lgkmcnt(1)
	v_mul_f64 v[29:30], v[7:8], v[57:58]
	v_mul_f64 v[17:18], v[5:6], v[57:58]
	s_waitcnt vmcnt(29)
	v_fma_f64 v[25:26], v[9:10], v[39:40], -v[25:26]
	v_fma_f64 v[21:22], v[11:12], v[39:40], v[21:22]
	ds_read_b128 v[9:12], v61 offset:1936
	v_add_f64 v[13:14], v[13:14], v[31:32]
	v_add_f64 v[15:16], v[15:16], v[23:24]
	s_waitcnt vmcnt(25) lgkmcnt(1)
	v_mul_f64 v[31:32], v[3:4], v[41:42]
	s_waitcnt vmcnt(24)
	v_fma_f64 v[29:30], v[5:6], v[59:60], -v[29:30]
	v_mul_f64 v[23:24], v[1:2], v[41:42]
	v_fma_f64 v[17:18], v[7:8], v[59:60], v[17:18]
	ds_read_b128 v[5:8], v61 offset:1952
	v_add_f64 v[13:14], v[13:14], v[25:26]
	v_add_f64 v[15:16], v[15:16], v[21:22]
	s_waitcnt vmcnt(23) lgkmcnt(1)
	v_mul_f64 v[25:26], v[11:12], v[80:81]
	v_mul_f64 v[21:22], v[9:10], v[80:81]
	s_waitcnt vmcnt(21)
	v_fma_f64 v[31:32], v[1:2], v[47:48], -v[31:32]
	v_fma_f64 v[23:24], v[3:4], v[47:48], v[23:24]
	ds_read_b128 v[1:4], v61 offset:1968
	v_add_f64 v[13:14], v[13:14], v[29:30]
	v_add_f64 v[15:16], v[15:16], v[17:18]
	;; [unrolled: 18-line block ×3, first 2 shown]
	s_waitcnt vmcnt(9) lgkmcnt(1)
	v_mul_f64 v[25:26], v[11:12], v[72:73]
	s_waitcnt vmcnt(8)
	v_fma_f64 v[1:2], v[1:2], v[125:126], -v[31:32]
	v_mul_f64 v[21:22], v[9:10], v[72:73]
	v_fma_f64 v[3:4], v[3:4], v[125:126], v[23:24]
	v_add_f64 v[13:14], v[13:14], v[29:30]
	v_add_f64 v[15:16], v[15:16], v[17:18]
	s_waitcnt vmcnt(7) lgkmcnt(0)
	v_mul_f64 v[23:24], v[7:8], v[82:83]
	v_mul_f64 v[17:18], v[5:6], v[82:83]
	s_waitcnt vmcnt(5)
	v_fma_f64 v[9:10], v[9:10], v[19:20], -v[25:26]
	v_fma_f64 v[11:12], v[11:12], v[19:20], v[21:22]
	v_add_f64 v[1:2], v[13:14], v[1:2]
	v_add_f64 v[3:4], v[15:16], v[3:4]
	s_waitcnt vmcnt(4)
	v_fma_f64 v[5:6], v[5:6], v[127:128], -v[23:24]
	v_fma_f64 v[7:8], v[7:8], v[127:128], v[17:18]
	v_add_f64 v[1:2], v[1:2], v[9:10]
	v_add_f64 v[3:4], v[3:4], v[11:12]
	;; [unrolled: 1-line block ×4, first 2 shown]
	s_waitcnt vmcnt(2)
	v_add_f64 v[1:2], v[27:28], -v[1:2]
	s_waitcnt vmcnt(0)
	v_add_f64 v[3:4], v[62:63], -v[3:4]
	buffer_store_dword v2, off, s[0:3], 0 offset:420
	buffer_store_dword v1, off, s[0:3], 0 offset:416
	buffer_store_dword v4, off, s[0:3], 0 offset:428
	buffer_store_dword v3, off, s[0:3], 0 offset:424
	v_cmpx_lt_u32_e32 24, v0
	s_cbranch_execz .LBB62_355
; %bb.354:
	v_mov_b32_e32 v4, s53
	s_clause 0x3
	buffer_load_dword v1, v4, s[0:3], 0 offen
	buffer_load_dword v2, v4, s[0:3], 0 offen offset:4
	buffer_load_dword v3, v4, s[0:3], 0 offen offset:8
	;; [unrolled: 1-line block ×3, first 2 shown]
	buffer_store_dword v61, off, s[0:3], 0 offset:400
	buffer_store_dword v61, off, s[0:3], 0 offset:404
	;; [unrolled: 1-line block ×4, first 2 shown]
	s_waitcnt vmcnt(0)
	ds_write_b128 v69, v[1:4]
.LBB62_355:
	s_or_b32 exec_lo, exec_lo, s4
	s_waitcnt lgkmcnt(0)
	s_waitcnt_vscnt null, 0x0
	s_barrier
	buffer_gl0_inv
	s_clause 0x37
	buffer_load_dword v9, off, s[0:3], 0 offset:424
	buffer_load_dword v10, off, s[0:3], 0 offset:428
	;; [unrolled: 1-line block ×56, first 2 shown]
	ds_read_b128 v[62:65], v61 offset:1408
	s_clause 0x2
	buffer_load_dword v58, off, s[0:3], 0 offset:652
	buffer_load_dword v60, off, s[0:3], 0 offset:628
	;; [unrolled: 1-line block ×3, first 2 shown]
	ds_read_b128 v[70:73], v61 offset:1424
	s_clause 0x4
	buffer_load_dword v79, off, s[0:3], 0 offset:668
	buffer_load_dword v80, off, s[0:3], 0 offset:680
	;; [unrolled: 1-line block ×5, first 2 shown]
	ds_read_b128 v[74:77], v61 offset:1440
	s_clause 0x2
	buffer_load_dword v81, off, s[0:3], 0 offset:684
	buffer_load_dword v118, off, s[0:3], 0 offset:660
	;; [unrolled: 1-line block ×3, first 2 shown]
	s_mov_b32 s4, exec_lo
	s_waitcnt vmcnt(62) lgkmcnt(2)
	v_mul_f64 v[66:67], v[64:65], v[9:10]
	v_mul_f64 v[9:10], v[62:63], v[9:10]
	s_waitcnt lgkmcnt(1)
	v_mul_f64 v[83:84], v[72:73], v[5:6]
	s_waitcnt vmcnt(59) lgkmcnt(0)
	v_mul_f64 v[119:120], v[76:77], v[3:4]
	v_fma_f64 v[62:63], v[62:63], v[7:8], -v[66:67]
	v_mul_f64 v[66:67], v[70:71], v[5:6]
	v_fma_f64 v[9:10], v[64:65], v[7:8], v[9:10]
	s_waitcnt vmcnt(57)
	v_fma_f64 v[70:71], v[70:71], v[1:2], -v[83:84]
	ds_read_b128 v[5:8], v61 offset:1456
	v_mul_f64 v[64:65], v[74:75], v[3:4]
	s_waitcnt vmcnt(51)
	v_fma_f64 v[74:75], v[74:75], v[25:26], -v[119:120]
	v_add_f64 v[62:63], v[62:63], 0
	v_fma_f64 v[66:67], v[72:73], v[1:2], v[66:67]
	v_add_f64 v[9:10], v[9:10], 0
	s_clause 0x4
	buffer_load_dword v73, off, s[0:3], 0 offset:700
	buffer_load_dword v125, off, s[0:3], 0 offset:712
	;; [unrolled: 1-line block ×5, first 2 shown]
	s_waitcnt lgkmcnt(0)
	v_mul_f64 v[128:129], v[5:6], v[13:14]
	v_mul_f64 v[13:14], v[7:8], v[13:14]
	ds_read_b128 v[1:4], v61 offset:1472
	v_fma_f64 v[25:26], v[76:77], v[25:26], v[64:65]
	v_add_f64 v[70:71], v[62:63], v[70:71]
	v_add_f64 v[9:10], v[9:10], v[66:67]
	s_clause 0x2
	buffer_load_dword v126, off, s[0:3], 0 offset:716
	buffer_load_dword v67, off, s[0:3], 0 offset:692
	;; [unrolled: 1-line block ×3, first 2 shown]
	s_waitcnt vmcnt(58) lgkmcnt(0)
	v_mul_f64 v[76:77], v[1:2], v[17:18]
	v_mul_f64 v[17:18], v[3:4], v[17:18]
	s_waitcnt vmcnt(56)
	v_fma_f64 v[13:14], v[5:6], v[19:20], -v[13:14]
	ds_read_b128 v[62:65], v61 offset:1488
	v_fma_f64 v[19:20], v[7:8], v[19:20], v[128:129]
	v_add_f64 v[70:71], v[70:71], v[74:75]
	v_add_f64 v[9:10], v[9:10], v[25:26]
	s_clause 0x4
	buffer_load_dword v26, off, s[0:3], 0 offset:732
	buffer_load_dword v74, off, s[0:3], 0 offset:744
	;; [unrolled: 1-line block ×5, first 2 shown]
	ds_read_b128 v[5:8], v61 offset:1504
	s_waitcnt vmcnt(57) lgkmcnt(1)
	v_mul_f64 v[129:130], v[62:63], v[21:22]
	v_mul_f64 v[21:22], v[64:65], v[21:22]
	s_waitcnt vmcnt(56)
	v_fma_f64 v[17:18], v[1:2], v[11:12], -v[17:18]
	v_fma_f64 v[11:12], v[3:4], v[11:12], v[76:77]
	v_add_f64 v[13:14], v[70:71], v[13:14]
	v_add_f64 v[9:10], v[9:10], v[19:20]
	s_clause 0x2
	buffer_load_dword v75, off, s[0:3], 0 offset:748
	buffer_load_dword v20, off, s[0:3], 0 offset:724
	buffer_load_dword v19, off, s[0:3], 0 offset:720
	s_waitcnt vmcnt(58) lgkmcnt(0)
	v_mul_f64 v[70:71], v[5:6], v[27:28]
	v_mul_f64 v[27:28], v[7:8], v[27:28]
	s_waitcnt vmcnt(56)
	v_fma_f64 v[21:22], v[62:63], v[29:30], -v[21:22]
	ds_read_b128 v[1:4], v61 offset:1520
	v_add_f64 v[13:14], v[13:14], v[17:18]
	v_fma_f64 v[17:18], v[64:65], v[29:30], v[129:130]
	v_add_f64 v[29:30], v[9:10], v[11:12]
	s_clause 0x4
	buffer_load_dword v63, off, s[0:3], 0 offset:764
	buffer_load_dword v64, off, s[0:3], 0 offset:776
	;; [unrolled: 1-line block ×5, first 2 shown]
	ds_read_b128 v[9:12], v61 offset:1536
	s_waitcnt vmcnt(57) lgkmcnt(1)
	v_mul_f64 v[129:130], v[1:2], v[31:32]
	v_mul_f64 v[31:32], v[3:4], v[31:32]
	s_waitcnt vmcnt(56)
	v_fma_f64 v[27:28], v[5:6], v[15:16], -v[27:28]
	v_fma_f64 v[15:16], v[7:8], v[15:16], v[70:71]
	v_add_f64 v[13:14], v[13:14], v[21:22]
	s_clause 0x2
	buffer_load_dword v65, off, s[0:3], 0 offset:780
	buffer_load_dword v22, off, s[0:3], 0 offset:756
	;; [unrolled: 1-line block ×3, first 2 shown]
	v_add_f64 v[17:18], v[29:30], v[17:18]
	s_waitcnt vmcnt(58) lgkmcnt(0)
	v_mul_f64 v[29:30], v[9:10], v[35:36]
	v_mul_f64 v[35:36], v[11:12], v[35:36]
	ds_read_b128 v[5:8], v61 offset:1552
	s_waitcnt vmcnt(56)
	v_fma_f64 v[31:32], v[1:2], v[37:38], -v[31:32]
	v_add_f64 v[13:14], v[13:14], v[27:28]
	v_fma_f64 v[27:28], v[3:4], v[37:38], v[129:130]
	v_add_f64 v[15:16], v[17:18], v[15:16]
	s_clause 0x4
	buffer_load_dword v18, off, s[0:3], 0 offset:796
	buffer_load_dword v37, off, s[0:3], 0 offset:808
	;; [unrolled: 1-line block ×5, first 2 shown]
	s_waitcnt vmcnt(57) lgkmcnt(0)
	v_mul_f64 v[129:130], v[5:6], v[39:40]
	v_mul_f64 v[39:40], v[7:8], v[39:40]
	s_waitcnt vmcnt(56)
	v_fma_f64 v[35:36], v[9:10], v[23:24], -v[35:36]
	ds_read_b128 v[1:4], v61 offset:1568
	v_fma_f64 v[23:24], v[11:12], v[23:24], v[29:30]
	v_add_f64 v[13:14], v[13:14], v[31:32]
	v_add_f64 v[15:16], v[15:16], v[27:28]
	s_clause 0x2
	buffer_load_dword v38, off, s[0:3], 0 offset:812
	buffer_load_dword v28, off, s[0:3], 0 offset:788
	;; [unrolled: 1-line block ×3, first 2 shown]
	ds_read_b128 v[9:12], v61 offset:1584
	s_waitcnt vmcnt(58) lgkmcnt(1)
	v_mul_f64 v[31:32], v[3:4], v[43:44]
	s_waitcnt vmcnt(56)
	v_fma_f64 v[39:40], v[5:6], v[45:46], -v[39:40]
	v_mul_f64 v[29:30], v[1:2], v[43:44]
	v_add_f64 v[13:14], v[13:14], v[35:36]
	v_fma_f64 v[35:36], v[7:8], v[45:46], v[129:130]
	v_add_f64 v[15:16], v[15:16], v[23:24]
	s_clause 0x4
	buffer_load_dword v24, off, s[0:3], 0 offset:828
	buffer_load_dword v43, off, s[0:3], 0 offset:840
	;; [unrolled: 1-line block ×5, first 2 shown]
	s_waitcnt vmcnt(57) lgkmcnt(0)
	v_mul_f64 v[129:130], v[9:10], v[47:48]
	v_mul_f64 v[46:47], v[11:12], v[47:48]
	s_waitcnt vmcnt(56)
	v_fma_f64 v[31:32], v[1:2], v[33:34], -v[31:32]
	ds_read_b128 v[5:8], v61 offset:1600
	v_fma_f64 v[29:30], v[3:4], v[33:34], v[29:30]
	s_clause 0x2
	buffer_load_dword v44, off, s[0:3], 0 offset:844
	buffer_load_dword v34, off, s[0:3], 0 offset:820
	;; [unrolled: 1-line block ×3, first 2 shown]
	ds_read_b128 v[1:4], v61 offset:1616
	v_add_f64 v[13:14], v[13:14], v[39:40]
	v_add_f64 v[15:16], v[15:16], v[35:36]
	s_waitcnt vmcnt(58) lgkmcnt(1)
	v_mul_f64 v[39:40], v[7:8], v[51:52]
	s_waitcnt vmcnt(56)
	v_fma_f64 v[47:48], v[9:10], v[53:54], -v[46:47]
	v_mul_f64 v[35:36], v[5:6], v[51:52]
	v_add_f64 v[13:14], v[13:14], v[31:32]
	v_fma_f64 v[31:32], v[11:12], v[53:54], v[129:130]
	v_add_f64 v[15:16], v[15:16], v[29:30]
	s_clause 0x4
	buffer_load_dword v30, off, s[0:3], 0 offset:860
	buffer_load_dword v51, off, s[0:3], 0 offset:872
	buffer_load_dword v53, off, s[0:3], 0 offset:864
	buffer_load_dword v29, off, s[0:3], 0 offset:856
	buffer_load_dword v46, off, s[0:3], 0 offset:836
	s_waitcnt vmcnt(57) lgkmcnt(0)
	v_mul_f64 v[129:130], v[1:2], v[55:56]
	v_mul_f64 v[54:55], v[3:4], v[55:56]
	s_waitcnt vmcnt(56)
	v_fma_f64 v[39:40], v[5:6], v[41:42], -v[39:40]
	ds_read_b128 v[9:12], v61 offset:1632
	v_fma_f64 v[35:36], v[7:8], v[41:42], v[35:36]
	v_add_f64 v[13:14], v[13:14], v[47:48]
	v_add_f64 v[15:16], v[15:16], v[31:32]
	s_clause 0x2
	buffer_load_dword v52, off, s[0:3], 0 offset:876
	buffer_load_dword v32, off, s[0:3], 0 offset:852
	;; [unrolled: 1-line block ×3, first 2 shown]
	ds_read_b128 v[5:8], v61 offset:1648
	s_waitcnt vmcnt(58) lgkmcnt(1)
	v_mul_f64 v[47:48], v[11:12], v[57:58]
	s_waitcnt vmcnt(56)
	v_fma_f64 v[55:56], v[1:2], v[59:60], -v[54:55]
	v_mul_f64 v[41:42], v[9:10], v[57:58]
	v_add_f64 v[13:14], v[13:14], v[39:40]
	v_fma_f64 v[39:40], v[3:4], v[59:60], v[129:130]
	v_add_f64 v[15:16], v[15:16], v[35:36]
	s_clause 0x4
	buffer_load_dword v36, off, s[0:3], 0 offset:892
	buffer_load_dword v57, off, s[0:3], 0 offset:904
	;; [unrolled: 1-line block ×5, first 2 shown]
	s_waitcnt vmcnt(57) lgkmcnt(0)
	v_mul_f64 v[129:130], v[5:6], v[78:79]
	v_mul_f64 v[78:79], v[7:8], v[78:79]
	s_waitcnt vmcnt(56)
	v_fma_f64 v[47:48], v[9:10], v[49:50], -v[47:48]
	ds_read_b128 v[1:4], v61 offset:1664
	v_fma_f64 v[41:42], v[11:12], v[49:50], v[41:42]
	v_add_f64 v[13:14], v[13:14], v[55:56]
	v_add_f64 v[15:16], v[15:16], v[39:40]
	s_clause 0x2
	buffer_load_dword v58, off, s[0:3], 0 offset:908
	buffer_load_dword v40, off, s[0:3], 0 offset:884
	;; [unrolled: 1-line block ×3, first 2 shown]
	ds_read_b128 v[9:12], v61 offset:1680
	s_waitcnt vmcnt(58) lgkmcnt(1)
	v_mul_f64 v[55:56], v[3:4], v[80:81]
	s_waitcnt vmcnt(56)
	v_fma_f64 v[78:79], v[5:6], v[117:118], -v[78:79]
	v_mul_f64 v[49:50], v[1:2], v[80:81]
	v_add_f64 v[13:14], v[13:14], v[47:48]
	v_fma_f64 v[47:48], v[7:8], v[117:118], v[129:130]
	v_add_f64 v[15:16], v[15:16], v[41:42]
	s_clause 0x4
	buffer_load_dword v42, off, s[0:3], 0 offset:924
	buffer_load_dword v80, off, s[0:3], 0 offset:936
	;; [unrolled: 1-line block ×5, first 2 shown]
	ds_read_b128 v[5:8], v61 offset:1696
	s_waitcnt vmcnt(57) lgkmcnt(1)
	v_mul_f64 v[129:130], v[9:10], v[72:73]
	v_mul_f64 v[72:73], v[11:12], v[72:73]
	s_waitcnt vmcnt(56)
	v_fma_f64 v[55:56], v[1:2], v[82:83], -v[55:56]
	v_fma_f64 v[49:50], v[3:4], v[82:83], v[49:50]
	v_add_f64 v[13:14], v[13:14], v[78:79]
	v_add_f64 v[15:16], v[15:16], v[47:48]
	s_clause 0x2
	buffer_load_dword v81, off, s[0:3], 0 offset:940
	buffer_load_dword v48, off, s[0:3], 0 offset:916
	;; [unrolled: 1-line block ×3, first 2 shown]
	ds_read_b128 v[1:4], v61 offset:1712
	s_waitcnt vmcnt(58) lgkmcnt(1)
	v_mul_f64 v[82:83], v[7:8], v[125:126]
	v_mul_f64 v[78:79], v[5:6], v[125:126]
	s_waitcnt vmcnt(56)
	v_fma_f64 v[72:73], v[9:10], v[66:67], -v[72:73]
	v_add_f64 v[13:14], v[13:14], v[55:56]
	v_fma_f64 v[55:56], v[11:12], v[66:67], v[129:130]
	v_add_f64 v[15:16], v[15:16], v[49:50]
	s_clause 0x4
	buffer_load_dword v50, off, s[0:3], 0 offset:956
	buffer_load_dword v66, off, s[0:3], 0 offset:968
	;; [unrolled: 1-line block ×5, first 2 shown]
	ds_read_b128 v[9:12], v61 offset:1728
	s_waitcnt vmcnt(57) lgkmcnt(1)
	v_mul_f64 v[129:130], v[1:2], v[25:26]
	v_mul_f64 v[25:26], v[3:4], v[25:26]
	s_waitcnt vmcnt(56)
	v_fma_f64 v[82:83], v[5:6], v[127:128], -v[82:83]
	v_add_f64 v[13:14], v[13:14], v[72:73]
	v_fma_f64 v[72:73], v[7:8], v[127:128], v[78:79]
	v_add_f64 v[15:16], v[15:16], v[55:56]
	s_clause 0x2
	buffer_load_dword v67, off, s[0:3], 0 offset:972
	buffer_load_dword v56, off, s[0:3], 0 offset:948
	;; [unrolled: 1-line block ×3, first 2 shown]
	ds_read_b128 v[5:8], v61 offset:1744
	s_waitcnt vmcnt(58) lgkmcnt(1)
	v_mul_f64 v[78:79], v[9:10], v[74:75]
	v_mul_f64 v[74:75], v[11:12], v[74:75]
	s_waitcnt vmcnt(56)
	v_fma_f64 v[25:26], v[1:2], v[19:20], -v[25:26]
	v_fma_f64 v[19:20], v[3:4], v[19:20], v[129:130]
	v_add_f64 v[13:14], v[13:14], v[82:83]
	v_add_f64 v[15:16], v[15:16], v[72:73]
	s_clause 0x4
	buffer_load_dword v73, off, s[0:3], 0 offset:988
	buffer_load_dword v82, off, s[0:3], 0 offset:1000
	;; [unrolled: 1-line block ×5, first 2 shown]
	ds_read_b128 v[1:4], v61 offset:1760
	s_waitcnt vmcnt(57) lgkmcnt(1)
	v_mul_f64 v[128:129], v[5:6], v[62:63]
	v_mul_f64 v[62:63], v[7:8], v[62:63]
	s_waitcnt vmcnt(56)
	v_fma_f64 v[74:75], v[9:10], v[119:120], -v[74:75]
	v_add_f64 v[13:14], v[13:14], v[25:26]
	v_fma_f64 v[25:26], v[11:12], v[119:120], v[78:79]
	v_add_f64 v[15:16], v[15:16], v[19:20]
	s_clause 0x2
	buffer_load_dword v83, off, s[0:3], 0 offset:1004
	buffer_load_dword v20, off, s[0:3], 0 offset:980
	;; [unrolled: 1-line block ×3, first 2 shown]
	ds_read_b128 v[9:12], v61 offset:1776
	s_waitcnt vmcnt(58) lgkmcnt(1)
	v_mul_f64 v[78:79], v[1:2], v[64:65]
	v_mul_f64 v[64:65], v[3:4], v[64:65]
	s_waitcnt vmcnt(56)
	v_fma_f64 v[62:63], v[5:6], v[21:22], -v[62:63]
	v_fma_f64 v[21:22], v[7:8], v[21:22], v[128:129]
	v_add_f64 v[13:14], v[13:14], v[74:75]
	v_add_f64 v[15:16], v[15:16], v[25:26]
	s_clause 0x2
	buffer_load_dword v26, off, s[0:3], 0 offset:1020
	buffer_load_dword v25, off, s[0:3], 0 offset:1016
	;; [unrolled: 1-line block ×3, first 2 shown]
	ds_read_b128 v[5:8], v61 offset:1792
	s_waitcnt vmcnt(55) lgkmcnt(1)
	v_mul_f64 v[74:75], v[9:10], v[17:18]
	v_mul_f64 v[17:18], v[11:12], v[17:18]
	s_waitcnt vmcnt(54)
	v_fma_f64 v[64:65], v[1:2], v[76:77], -v[64:65]
	v_add_f64 v[13:14], v[13:14], v[62:63]
	v_fma_f64 v[62:63], v[3:4], v[76:77], v[78:79]
	v_add_f64 v[15:16], v[15:16], v[21:22]
	s_clause 0x1
	buffer_load_dword v22, off, s[0:3], 0 offset:1012
	buffer_load_dword v21, off, s[0:3], 0 offset:1008
	ds_read_b128 v[1:4], v61 offset:1808
	s_waitcnt vmcnt(55) lgkmcnt(1)
	v_mul_f64 v[76:77], v[5:6], v[37:38]
	v_mul_f64 v[37:38], v[7:8], v[37:38]
	s_waitcnt vmcnt(53)
	v_fma_f64 v[17:18], v[9:10], v[27:28], -v[17:18]
	v_fma_f64 v[27:28], v[11:12], v[27:28], v[74:75]
	ds_read_b128 v[9:12], v61 offset:1824
	v_add_f64 v[13:14], v[13:14], v[64:65]
	v_add_f64 v[15:16], v[15:16], v[62:63]
	s_waitcnt vmcnt(49) lgkmcnt(1)
	v_mul_f64 v[62:63], v[1:2], v[23:24]
	v_mul_f64 v[23:24], v[3:4], v[23:24]
	s_waitcnt vmcnt(48)
	v_fma_f64 v[37:38], v[5:6], v[70:71], -v[37:38]
	v_add_f64 v[13:14], v[13:14], v[17:18]
	v_fma_f64 v[17:18], v[7:8], v[70:71], v[76:77]
	v_add_f64 v[15:16], v[15:16], v[27:28]
	s_clause 0x3
	buffer_load_dword v27, off, s[0:3], 0 offset:400
	buffer_load_dword v28, off, s[0:3], 0 offset:404
	;; [unrolled: 1-line block ×4, first 2 shown]
	s_waitcnt vmcnt(51) lgkmcnt(0)
	v_mul_f64 v[70:71], v[9:10], v[43:44]
	v_mul_f64 v[43:44], v[11:12], v[43:44]
	ds_read_b128 v[5:8], v61 offset:1840
	s_waitcnt vmcnt(49)
	v_fma_f64 v[23:24], v[1:2], v[33:34], -v[23:24]
	v_fma_f64 v[33:34], v[3:4], v[33:34], v[62:63]
	ds_read_b128 v[1:4], v61 offset:1856
	v_add_f64 v[13:14], v[13:14], v[37:38]
	v_add_f64 v[15:16], v[15:16], v[17:18]
	s_waitcnt vmcnt(45) lgkmcnt(1)
	v_mul_f64 v[17:18], v[5:6], v[29:30]
	v_mul_f64 v[29:30], v[7:8], v[29:30]
	s_waitcnt vmcnt(44)
	v_fma_f64 v[37:38], v[9:10], v[45:46], -v[43:44]
	v_add_f64 v[13:14], v[13:14], v[23:24]
	v_fma_f64 v[23:24], v[11:12], v[45:46], v[70:71]
	v_add_f64 v[15:16], v[15:16], v[33:34]
	ds_read_b128 v[9:12], v61 offset:1872
	s_waitcnt vmcnt(43) lgkmcnt(1)
	v_mul_f64 v[43:44], v[3:4], v[51:52]
	v_mul_f64 v[33:34], v[1:2], v[51:52]
	s_waitcnt vmcnt(41)
	v_fma_f64 v[29:30], v[5:6], v[31:32], -v[29:30]
	v_fma_f64 v[17:18], v[7:8], v[31:32], v[17:18]
	ds_read_b128 v[5:8], v61 offset:1888
	v_add_f64 v[13:14], v[13:14], v[37:38]
	v_add_f64 v[15:16], v[15:16], v[23:24]
	s_waitcnt vmcnt(37) lgkmcnt(1)
	v_mul_f64 v[23:24], v[9:10], v[35:36]
	v_mul_f64 v[31:32], v[11:12], v[35:36]
	s_waitcnt vmcnt(36)
	v_fma_f64 v[35:36], v[1:2], v[53:54], -v[43:44]
	v_add_f64 v[13:14], v[13:14], v[29:30]
	v_fma_f64 v[29:30], v[3:4], v[53:54], v[33:34]
	v_add_f64 v[15:16], v[15:16], v[17:18]
	ds_read_b128 v[1:4], v61 offset:1904
	s_waitcnt vmcnt(35) lgkmcnt(1)
	v_mul_f64 v[33:34], v[7:8], v[57:58]
	v_mul_f64 v[17:18], v[5:6], v[57:58]
	s_waitcnt vmcnt(33)
	v_fma_f64 v[31:32], v[9:10], v[39:40], -v[31:32]
	v_fma_f64 v[23:24], v[11:12], v[39:40], v[23:24]
	ds_read_b128 v[9:12], v61 offset:1920
	v_add_f64 v[13:14], v[13:14], v[35:36]
	v_add_f64 v[15:16], v[15:16], v[29:30]
	s_waitcnt vmcnt(29) lgkmcnt(1)
	v_mul_f64 v[35:36], v[3:4], v[41:42]
	s_waitcnt vmcnt(28)
	v_fma_f64 v[33:34], v[5:6], v[59:60], -v[33:34]
	v_mul_f64 v[29:30], v[1:2], v[41:42]
	v_fma_f64 v[17:18], v[7:8], v[59:60], v[17:18]
	ds_read_b128 v[5:8], v61 offset:1936
	v_add_f64 v[13:14], v[13:14], v[31:32]
	v_add_f64 v[15:16], v[15:16], v[23:24]
	s_waitcnt vmcnt(27) lgkmcnt(1)
	v_mul_f64 v[31:32], v[11:12], v[80:81]
	v_mul_f64 v[23:24], v[9:10], v[80:81]
	s_waitcnt vmcnt(25)
	v_fma_f64 v[35:36], v[1:2], v[47:48], -v[35:36]
	v_fma_f64 v[29:30], v[3:4], v[47:48], v[29:30]
	ds_read_b128 v[1:4], v61 offset:1952
	v_add_f64 v[13:14], v[13:14], v[33:34]
	v_add_f64 v[15:16], v[15:16], v[17:18]
	s_waitcnt vmcnt(21) lgkmcnt(1)
	v_mul_f64 v[33:34], v[7:8], v[49:50]
	s_waitcnt vmcnt(20)
	v_fma_f64 v[31:32], v[9:10], v[117:118], -v[31:32]
	v_mul_f64 v[17:18], v[5:6], v[49:50]
	v_fma_f64 v[23:24], v[11:12], v[117:118], v[23:24]
	ds_read_b128 v[9:12], v61 offset:1968
	v_add_f64 v[13:14], v[13:14], v[35:36]
	v_add_f64 v[15:16], v[15:16], v[29:30]
	;; [unrolled: 18-line block ×3, first 2 shown]
	s_waitcnt vmcnt(11) lgkmcnt(1)
	v_mul_f64 v[33:34], v[7:8], v[82:83]
	v_mul_f64 v[17:18], v[5:6], v[82:83]
	s_waitcnt vmcnt(9)
	v_fma_f64 v[9:10], v[9:10], v[19:20], -v[31:32]
	v_fma_f64 v[11:12], v[11:12], v[19:20], v[23:24]
	v_add_f64 v[13:14], v[13:14], v[35:36]
	v_add_f64 v[15:16], v[15:16], v[29:30]
	s_waitcnt vmcnt(7) lgkmcnt(0)
	v_mul_f64 v[23:24], v[3:4], v[25:26]
	s_waitcnt vmcnt(6)
	v_fma_f64 v[5:6], v[5:6], v[127:128], -v[33:34]
	v_mul_f64 v[19:20], v[1:2], v[25:26]
	v_fma_f64 v[7:8], v[7:8], v[127:128], v[17:18]
	v_add_f64 v[9:10], v[13:14], v[9:10]
	v_add_f64 v[11:12], v[15:16], v[11:12]
	s_waitcnt vmcnt(4)
	v_fma_f64 v[1:2], v[1:2], v[21:22], -v[23:24]
	v_fma_f64 v[3:4], v[3:4], v[21:22], v[19:20]
	v_add_f64 v[5:6], v[9:10], v[5:6]
	v_add_f64 v[7:8], v[11:12], v[7:8]
	;; [unrolled: 1-line block ×4, first 2 shown]
	s_waitcnt vmcnt(2)
	v_add_f64 v[1:2], v[27:28], -v[1:2]
	s_waitcnt vmcnt(0)
	v_add_f64 v[3:4], v[64:65], -v[3:4]
	buffer_store_dword v2, off, s[0:3], 0 offset:404
	buffer_store_dword v1, off, s[0:3], 0 offset:400
	;; [unrolled: 1-line block ×4, first 2 shown]
	v_cmpx_lt_u32_e32 23, v0
	s_cbranch_execz .LBB62_357
; %bb.356:
	v_mov_b32_e32 v4, s54
	v_mov_b32_e32 v5, 0
	s_clause 0x3
	buffer_load_dword v1, v4, s[0:3], 0 offen
	buffer_load_dword v2, v4, s[0:3], 0 offen offset:4
	buffer_load_dword v3, v4, s[0:3], 0 offen offset:8
	;; [unrolled: 1-line block ×3, first 2 shown]
	buffer_store_dword v5, off, s[0:3], 0 offset:384
	buffer_store_dword v5, off, s[0:3], 0 offset:388
	;; [unrolled: 1-line block ×4, first 2 shown]
	s_waitcnt vmcnt(0)
	ds_write_b128 v69, v[1:4]
.LBB62_357:
	s_or_b32 exec_lo, exec_lo, s4
	s_waitcnt lgkmcnt(0)
	s_waitcnt_vscnt null, 0x0
	s_barrier
	buffer_gl0_inv
	s_clause 0x37
	buffer_load_dword v9, off, s[0:3], 0 offset:408
	buffer_load_dword v10, off, s[0:3], 0 offset:412
	;; [unrolled: 1-line block ×56, first 2 shown]
	v_mov_b32_e32 v61, 0
	s_mov_b32 s4, exec_lo
	ds_read_b128 v[62:65], v61 offset:1392
	s_clause 0x2
	buffer_load_dword v58, off, s[0:3], 0 offset:636
	buffer_load_dword v60, off, s[0:3], 0 offset:612
	;; [unrolled: 1-line block ×3, first 2 shown]
	ds_read_b128 v[70:73], v61 offset:1408
	s_clause 0x4
	buffer_load_dword v79, off, s[0:3], 0 offset:652
	buffer_load_dword v80, off, s[0:3], 0 offset:664
	;; [unrolled: 1-line block ×5, first 2 shown]
	ds_read_b128 v[74:77], v61 offset:1424
	s_clause 0x2
	buffer_load_dword v81, off, s[0:3], 0 offset:668
	buffer_load_dword v118, off, s[0:3], 0 offset:644
	;; [unrolled: 1-line block ×3, first 2 shown]
	s_waitcnt vmcnt(62) lgkmcnt(2)
	v_mul_f64 v[66:67], v[64:65], v[9:10]
	v_mul_f64 v[9:10], v[62:63], v[9:10]
	s_waitcnt lgkmcnt(1)
	v_mul_f64 v[83:84], v[72:73], v[5:6]
	s_waitcnt vmcnt(59) lgkmcnt(0)
	v_mul_f64 v[119:120], v[76:77], v[3:4]
	v_fma_f64 v[62:63], v[62:63], v[7:8], -v[66:67]
	v_mul_f64 v[66:67], v[70:71], v[5:6]
	v_fma_f64 v[9:10], v[64:65], v[7:8], v[9:10]
	s_waitcnt vmcnt(57)
	v_fma_f64 v[70:71], v[70:71], v[1:2], -v[83:84]
	ds_read_b128 v[5:8], v61 offset:1440
	v_mul_f64 v[64:65], v[74:75], v[3:4]
	s_waitcnt vmcnt(51)
	v_fma_f64 v[74:75], v[74:75], v[25:26], -v[119:120]
	v_add_f64 v[62:63], v[62:63], 0
	v_fma_f64 v[66:67], v[72:73], v[1:2], v[66:67]
	v_add_f64 v[9:10], v[9:10], 0
	s_clause 0x4
	buffer_load_dword v73, off, s[0:3], 0 offset:684
	buffer_load_dword v125, off, s[0:3], 0 offset:696
	;; [unrolled: 1-line block ×5, first 2 shown]
	s_waitcnt lgkmcnt(0)
	v_mul_f64 v[128:129], v[5:6], v[13:14]
	v_mul_f64 v[13:14], v[7:8], v[13:14]
	ds_read_b128 v[1:4], v61 offset:1456
	v_fma_f64 v[25:26], v[76:77], v[25:26], v[64:65]
	v_add_f64 v[70:71], v[62:63], v[70:71]
	v_add_f64 v[9:10], v[9:10], v[66:67]
	s_clause 0x2
	buffer_load_dword v126, off, s[0:3], 0 offset:700
	buffer_load_dword v67, off, s[0:3], 0 offset:676
	;; [unrolled: 1-line block ×3, first 2 shown]
	s_waitcnt vmcnt(58) lgkmcnt(0)
	v_mul_f64 v[76:77], v[1:2], v[17:18]
	v_mul_f64 v[17:18], v[3:4], v[17:18]
	s_waitcnt vmcnt(56)
	v_fma_f64 v[13:14], v[5:6], v[19:20], -v[13:14]
	ds_read_b128 v[62:65], v61 offset:1472
	v_fma_f64 v[19:20], v[7:8], v[19:20], v[128:129]
	v_add_f64 v[70:71], v[70:71], v[74:75]
	v_add_f64 v[9:10], v[9:10], v[25:26]
	s_clause 0x4
	buffer_load_dword v26, off, s[0:3], 0 offset:716
	buffer_load_dword v74, off, s[0:3], 0 offset:728
	;; [unrolled: 1-line block ×5, first 2 shown]
	ds_read_b128 v[5:8], v61 offset:1488
	s_waitcnt vmcnt(57) lgkmcnt(1)
	v_mul_f64 v[129:130], v[62:63], v[21:22]
	v_mul_f64 v[21:22], v[64:65], v[21:22]
	s_waitcnt vmcnt(56)
	v_fma_f64 v[17:18], v[1:2], v[11:12], -v[17:18]
	v_fma_f64 v[11:12], v[3:4], v[11:12], v[76:77]
	v_add_f64 v[13:14], v[70:71], v[13:14]
	v_add_f64 v[9:10], v[9:10], v[19:20]
	s_clause 0x2
	buffer_load_dword v75, off, s[0:3], 0 offset:732
	buffer_load_dword v20, off, s[0:3], 0 offset:708
	;; [unrolled: 1-line block ×3, first 2 shown]
	s_waitcnt vmcnt(58) lgkmcnt(0)
	v_mul_f64 v[70:71], v[5:6], v[27:28]
	v_mul_f64 v[27:28], v[7:8], v[27:28]
	s_waitcnt vmcnt(56)
	v_fma_f64 v[21:22], v[62:63], v[29:30], -v[21:22]
	ds_read_b128 v[1:4], v61 offset:1504
	v_add_f64 v[13:14], v[13:14], v[17:18]
	v_fma_f64 v[17:18], v[64:65], v[29:30], v[129:130]
	v_add_f64 v[29:30], v[9:10], v[11:12]
	s_clause 0x4
	buffer_load_dword v63, off, s[0:3], 0 offset:748
	buffer_load_dword v64, off, s[0:3], 0 offset:760
	;; [unrolled: 1-line block ×5, first 2 shown]
	ds_read_b128 v[9:12], v61 offset:1520
	s_waitcnt vmcnt(57) lgkmcnt(1)
	v_mul_f64 v[129:130], v[1:2], v[31:32]
	v_mul_f64 v[31:32], v[3:4], v[31:32]
	s_waitcnt vmcnt(56)
	v_fma_f64 v[27:28], v[5:6], v[15:16], -v[27:28]
	v_fma_f64 v[15:16], v[7:8], v[15:16], v[70:71]
	v_add_f64 v[13:14], v[13:14], v[21:22]
	s_clause 0x2
	buffer_load_dword v65, off, s[0:3], 0 offset:764
	buffer_load_dword v22, off, s[0:3], 0 offset:740
	;; [unrolled: 1-line block ×3, first 2 shown]
	v_add_f64 v[17:18], v[29:30], v[17:18]
	s_waitcnt vmcnt(58) lgkmcnt(0)
	v_mul_f64 v[29:30], v[9:10], v[35:36]
	v_mul_f64 v[35:36], v[11:12], v[35:36]
	ds_read_b128 v[5:8], v61 offset:1536
	s_waitcnt vmcnt(56)
	v_fma_f64 v[31:32], v[1:2], v[37:38], -v[31:32]
	v_add_f64 v[13:14], v[13:14], v[27:28]
	v_fma_f64 v[27:28], v[3:4], v[37:38], v[129:130]
	v_add_f64 v[15:16], v[17:18], v[15:16]
	s_clause 0x4
	buffer_load_dword v18, off, s[0:3], 0 offset:780
	buffer_load_dword v37, off, s[0:3], 0 offset:792
	;; [unrolled: 1-line block ×5, first 2 shown]
	s_waitcnt vmcnt(57) lgkmcnt(0)
	v_mul_f64 v[129:130], v[5:6], v[39:40]
	v_mul_f64 v[39:40], v[7:8], v[39:40]
	s_waitcnt vmcnt(56)
	v_fma_f64 v[35:36], v[9:10], v[23:24], -v[35:36]
	ds_read_b128 v[1:4], v61 offset:1552
	v_fma_f64 v[23:24], v[11:12], v[23:24], v[29:30]
	v_add_f64 v[13:14], v[13:14], v[31:32]
	v_add_f64 v[15:16], v[15:16], v[27:28]
	s_clause 0x2
	buffer_load_dword v38, off, s[0:3], 0 offset:796
	buffer_load_dword v28, off, s[0:3], 0 offset:772
	;; [unrolled: 1-line block ×3, first 2 shown]
	ds_read_b128 v[9:12], v61 offset:1568
	s_waitcnt vmcnt(58) lgkmcnt(1)
	v_mul_f64 v[31:32], v[3:4], v[43:44]
	s_waitcnt vmcnt(56)
	v_fma_f64 v[39:40], v[5:6], v[45:46], -v[39:40]
	v_mul_f64 v[29:30], v[1:2], v[43:44]
	v_add_f64 v[13:14], v[13:14], v[35:36]
	v_fma_f64 v[35:36], v[7:8], v[45:46], v[129:130]
	v_add_f64 v[15:16], v[15:16], v[23:24]
	s_clause 0x4
	buffer_load_dword v24, off, s[0:3], 0 offset:812
	buffer_load_dword v43, off, s[0:3], 0 offset:824
	buffer_load_dword v45, off, s[0:3], 0 offset:816
	buffer_load_dword v23, off, s[0:3], 0 offset:808
	buffer_load_dword v71, off, s[0:3], 0 offset:788
	s_waitcnt vmcnt(57) lgkmcnt(0)
	v_mul_f64 v[129:130], v[9:10], v[47:48]
	v_mul_f64 v[46:47], v[11:12], v[47:48]
	s_waitcnt vmcnt(56)
	v_fma_f64 v[31:32], v[1:2], v[33:34], -v[31:32]
	ds_read_b128 v[5:8], v61 offset:1584
	v_fma_f64 v[29:30], v[3:4], v[33:34], v[29:30]
	s_clause 0x2
	buffer_load_dword v44, off, s[0:3], 0 offset:828
	buffer_load_dword v34, off, s[0:3], 0 offset:804
	;; [unrolled: 1-line block ×3, first 2 shown]
	ds_read_b128 v[1:4], v61 offset:1600
	v_add_f64 v[13:14], v[13:14], v[39:40]
	v_add_f64 v[15:16], v[15:16], v[35:36]
	s_waitcnt vmcnt(58) lgkmcnt(1)
	v_mul_f64 v[39:40], v[7:8], v[51:52]
	s_waitcnt vmcnt(56)
	v_fma_f64 v[47:48], v[9:10], v[53:54], -v[46:47]
	v_mul_f64 v[35:36], v[5:6], v[51:52]
	v_add_f64 v[13:14], v[13:14], v[31:32]
	v_fma_f64 v[31:32], v[11:12], v[53:54], v[129:130]
	v_add_f64 v[15:16], v[15:16], v[29:30]
	s_clause 0x4
	buffer_load_dword v30, off, s[0:3], 0 offset:844
	buffer_load_dword v51, off, s[0:3], 0 offset:856
	;; [unrolled: 1-line block ×5, first 2 shown]
	s_waitcnt vmcnt(57) lgkmcnt(0)
	v_mul_f64 v[129:130], v[1:2], v[55:56]
	v_mul_f64 v[54:55], v[3:4], v[55:56]
	s_waitcnt vmcnt(56)
	v_fma_f64 v[39:40], v[5:6], v[41:42], -v[39:40]
	ds_read_b128 v[9:12], v61 offset:1616
	v_fma_f64 v[35:36], v[7:8], v[41:42], v[35:36]
	v_add_f64 v[13:14], v[13:14], v[47:48]
	v_add_f64 v[15:16], v[15:16], v[31:32]
	s_clause 0x2
	buffer_load_dword v52, off, s[0:3], 0 offset:860
	buffer_load_dword v32, off, s[0:3], 0 offset:836
	;; [unrolled: 1-line block ×3, first 2 shown]
	ds_read_b128 v[5:8], v61 offset:1632
	s_waitcnt vmcnt(58) lgkmcnt(1)
	v_mul_f64 v[47:48], v[11:12], v[57:58]
	s_waitcnt vmcnt(56)
	v_fma_f64 v[55:56], v[1:2], v[59:60], -v[54:55]
	v_mul_f64 v[41:42], v[9:10], v[57:58]
	v_add_f64 v[13:14], v[13:14], v[39:40]
	v_fma_f64 v[39:40], v[3:4], v[59:60], v[129:130]
	v_add_f64 v[15:16], v[15:16], v[35:36]
	s_clause 0x4
	buffer_load_dword v36, off, s[0:3], 0 offset:876
	buffer_load_dword v57, off, s[0:3], 0 offset:888
	;; [unrolled: 1-line block ×5, first 2 shown]
	s_waitcnt vmcnt(57) lgkmcnt(0)
	v_mul_f64 v[129:130], v[5:6], v[78:79]
	v_mul_f64 v[78:79], v[7:8], v[78:79]
	s_waitcnt vmcnt(56)
	v_fma_f64 v[47:48], v[9:10], v[49:50], -v[47:48]
	ds_read_b128 v[1:4], v61 offset:1648
	v_fma_f64 v[41:42], v[11:12], v[49:50], v[41:42]
	v_add_f64 v[13:14], v[13:14], v[55:56]
	v_add_f64 v[15:16], v[15:16], v[39:40]
	s_clause 0x2
	buffer_load_dword v58, off, s[0:3], 0 offset:892
	buffer_load_dword v40, off, s[0:3], 0 offset:868
	;; [unrolled: 1-line block ×3, first 2 shown]
	ds_read_b128 v[9:12], v61 offset:1664
	s_waitcnt vmcnt(58) lgkmcnt(1)
	v_mul_f64 v[55:56], v[3:4], v[80:81]
	s_waitcnt vmcnt(56)
	v_fma_f64 v[78:79], v[5:6], v[117:118], -v[78:79]
	v_mul_f64 v[49:50], v[1:2], v[80:81]
	v_add_f64 v[13:14], v[13:14], v[47:48]
	v_fma_f64 v[47:48], v[7:8], v[117:118], v[129:130]
	v_add_f64 v[15:16], v[15:16], v[41:42]
	s_clause 0x4
	buffer_load_dword v42, off, s[0:3], 0 offset:908
	buffer_load_dword v80, off, s[0:3], 0 offset:920
	;; [unrolled: 1-line block ×5, first 2 shown]
	ds_read_b128 v[5:8], v61 offset:1680
	s_waitcnt vmcnt(57) lgkmcnt(1)
	v_mul_f64 v[129:130], v[9:10], v[72:73]
	v_mul_f64 v[72:73], v[11:12], v[72:73]
	s_waitcnt vmcnt(56)
	v_fma_f64 v[55:56], v[1:2], v[82:83], -v[55:56]
	v_fma_f64 v[49:50], v[3:4], v[82:83], v[49:50]
	v_add_f64 v[13:14], v[13:14], v[78:79]
	v_add_f64 v[15:16], v[15:16], v[47:48]
	s_clause 0x2
	buffer_load_dword v81, off, s[0:3], 0 offset:924
	buffer_load_dword v48, off, s[0:3], 0 offset:900
	;; [unrolled: 1-line block ×3, first 2 shown]
	ds_read_b128 v[1:4], v61 offset:1696
	s_waitcnt vmcnt(58) lgkmcnt(1)
	v_mul_f64 v[82:83], v[7:8], v[125:126]
	v_mul_f64 v[78:79], v[5:6], v[125:126]
	s_waitcnt vmcnt(56)
	v_fma_f64 v[72:73], v[9:10], v[66:67], -v[72:73]
	v_add_f64 v[13:14], v[13:14], v[55:56]
	v_fma_f64 v[55:56], v[11:12], v[66:67], v[129:130]
	v_add_f64 v[15:16], v[15:16], v[49:50]
	s_clause 0x4
	buffer_load_dword v50, off, s[0:3], 0 offset:940
	buffer_load_dword v66, off, s[0:3], 0 offset:952
	buffer_load_dword v125, off, s[0:3], 0 offset:944
	buffer_load_dword v49, off, s[0:3], 0 offset:936
	buffer_load_dword v118, off, s[0:3], 0 offset:916
	ds_read_b128 v[9:12], v61 offset:1712
	s_waitcnt vmcnt(57) lgkmcnt(1)
	v_mul_f64 v[129:130], v[1:2], v[25:26]
	v_mul_f64 v[25:26], v[3:4], v[25:26]
	s_waitcnt vmcnt(56)
	v_fma_f64 v[82:83], v[5:6], v[127:128], -v[82:83]
	v_add_f64 v[13:14], v[13:14], v[72:73]
	v_fma_f64 v[72:73], v[7:8], v[127:128], v[78:79]
	v_add_f64 v[15:16], v[15:16], v[55:56]
	s_clause 0x2
	buffer_load_dword v67, off, s[0:3], 0 offset:956
	buffer_load_dword v56, off, s[0:3], 0 offset:932
	;; [unrolled: 1-line block ×3, first 2 shown]
	ds_read_b128 v[5:8], v61 offset:1728
	s_waitcnt vmcnt(58) lgkmcnt(1)
	v_mul_f64 v[78:79], v[9:10], v[74:75]
	v_mul_f64 v[74:75], v[11:12], v[74:75]
	s_waitcnt vmcnt(56)
	v_fma_f64 v[25:26], v[1:2], v[19:20], -v[25:26]
	v_fma_f64 v[19:20], v[3:4], v[19:20], v[129:130]
	v_add_f64 v[13:14], v[13:14], v[82:83]
	v_add_f64 v[15:16], v[15:16], v[72:73]
	s_clause 0x4
	buffer_load_dword v73, off, s[0:3], 0 offset:972
	buffer_load_dword v82, off, s[0:3], 0 offset:984
	;; [unrolled: 1-line block ×5, first 2 shown]
	ds_read_b128 v[1:4], v61 offset:1744
	s_waitcnt vmcnt(57) lgkmcnt(1)
	v_mul_f64 v[128:129], v[5:6], v[62:63]
	v_mul_f64 v[62:63], v[7:8], v[62:63]
	s_waitcnt vmcnt(56)
	v_fma_f64 v[74:75], v[9:10], v[119:120], -v[74:75]
	v_add_f64 v[13:14], v[13:14], v[25:26]
	v_fma_f64 v[25:26], v[11:12], v[119:120], v[78:79]
	v_add_f64 v[15:16], v[15:16], v[19:20]
	s_clause 0x2
	buffer_load_dword v83, off, s[0:3], 0 offset:988
	buffer_load_dword v20, off, s[0:3], 0 offset:964
	;; [unrolled: 1-line block ×3, first 2 shown]
	ds_read_b128 v[9:12], v61 offset:1760
	s_waitcnt vmcnt(58) lgkmcnt(1)
	v_mul_f64 v[78:79], v[1:2], v[64:65]
	v_mul_f64 v[64:65], v[3:4], v[64:65]
	s_waitcnt vmcnt(56)
	v_fma_f64 v[62:63], v[5:6], v[21:22], -v[62:63]
	v_fma_f64 v[21:22], v[7:8], v[21:22], v[128:129]
	v_add_f64 v[13:14], v[13:14], v[74:75]
	v_add_f64 v[15:16], v[15:16], v[25:26]
	s_clause 0x4
	buffer_load_dword v26, off, s[0:3], 0 offset:1004
	buffer_load_dword v74, off, s[0:3], 0 offset:1016
	;; [unrolled: 1-line block ×5, first 2 shown]
	ds_read_b128 v[5:8], v61 offset:1776
	s_waitcnt vmcnt(57) lgkmcnt(1)
	v_mul_f64 v[129:130], v[9:10], v[17:18]
	v_mul_f64 v[17:18], v[11:12], v[17:18]
	s_waitcnt vmcnt(56)
	v_fma_f64 v[64:65], v[1:2], v[76:77], -v[64:65]
	v_add_f64 v[13:14], v[13:14], v[62:63]
	v_fma_f64 v[62:63], v[3:4], v[76:77], v[78:79]
	v_add_f64 v[15:16], v[15:16], v[21:22]
	s_clause 0x2
	buffer_load_dword v75, off, s[0:3], 0 offset:1020
	buffer_load_dword v22, off, s[0:3], 0 offset:996
	;; [unrolled: 1-line block ×3, first 2 shown]
	ds_read_b128 v[1:4], v61 offset:1792
	buffer_load_dword v120, off, s[0:3], 0 offset:1012
	s_waitcnt vmcnt(59) lgkmcnt(1)
	v_mul_f64 v[76:77], v[5:6], v[37:38]
	v_mul_f64 v[37:38], v[7:8], v[37:38]
	s_waitcnt vmcnt(57)
	v_fma_f64 v[17:18], v[9:10], v[27:28], -v[17:18]
	v_fma_f64 v[27:28], v[11:12], v[27:28], v[129:130]
	ds_read_b128 v[9:12], v61 offset:1808
	v_add_f64 v[13:14], v[13:14], v[64:65]
	v_add_f64 v[15:16], v[15:16], v[62:63]
	s_waitcnt vmcnt(53) lgkmcnt(1)
	v_mul_f64 v[62:63], v[1:2], v[23:24]
	v_mul_f64 v[23:24], v[3:4], v[23:24]
	s_waitcnt vmcnt(52)
	v_fma_f64 v[37:38], v[5:6], v[70:71], -v[37:38]
	v_add_f64 v[13:14], v[13:14], v[17:18]
	v_fma_f64 v[17:18], v[7:8], v[70:71], v[76:77]
	v_add_f64 v[15:16], v[15:16], v[27:28]
	s_waitcnt vmcnt(51) lgkmcnt(0)
	v_mul_f64 v[27:28], v[9:10], v[43:44]
	v_mul_f64 v[43:44], v[11:12], v[43:44]
	ds_read_b128 v[5:8], v61 offset:1824
	s_waitcnt vmcnt(49)
	v_fma_f64 v[23:24], v[1:2], v[33:34], -v[23:24]
	v_fma_f64 v[33:34], v[3:4], v[33:34], v[62:63]
	v_add_f64 v[13:14], v[13:14], v[37:38]
	v_add_f64 v[15:16], v[15:16], v[17:18]
	s_clause 0x3
	buffer_load_dword v17, off, s[0:3], 0 offset:384
	buffer_load_dword v18, off, s[0:3], 0 offset:388
	;; [unrolled: 1-line block ×4, first 2 shown]
	ds_read_b128 v[1:4], v61 offset:1840
	s_waitcnt vmcnt(49) lgkmcnt(1)
	v_mul_f64 v[62:63], v[5:6], v[29:30]
	v_mul_f64 v[29:30], v[7:8], v[29:30]
	s_waitcnt vmcnt(48)
	v_fma_f64 v[43:44], v[9:10], v[45:46], -v[43:44]
	v_add_f64 v[13:14], v[13:14], v[23:24]
	v_fma_f64 v[23:24], v[11:12], v[45:46], v[27:28]
	v_add_f64 v[15:16], v[15:16], v[33:34]
	ds_read_b128 v[9:12], v61 offset:1856
	s_waitcnt vmcnt(47) lgkmcnt(1)
	v_mul_f64 v[33:34], v[3:4], v[51:52]
	v_mul_f64 v[27:28], v[1:2], v[51:52]
	s_waitcnt vmcnt(45)
	v_fma_f64 v[29:30], v[5:6], v[31:32], -v[29:30]
	v_fma_f64 v[31:32], v[7:8], v[31:32], v[62:63]
	ds_read_b128 v[5:8], v61 offset:1872
	v_add_f64 v[13:14], v[13:14], v[43:44]
	v_add_f64 v[15:16], v[15:16], v[23:24]
	s_waitcnt vmcnt(41) lgkmcnt(1)
	v_mul_f64 v[23:24], v[9:10], v[35:36]
	v_mul_f64 v[35:36], v[11:12], v[35:36]
	s_waitcnt vmcnt(40)
	v_fma_f64 v[33:34], v[1:2], v[53:54], -v[33:34]
	v_fma_f64 v[27:28], v[3:4], v[53:54], v[27:28]
	ds_read_b128 v[1:4], v61 offset:1888
	v_add_f64 v[13:14], v[13:14], v[29:30]
	v_add_f64 v[15:16], v[15:16], v[31:32]
	;; [unrolled: 9-line block ×3, first 2 shown]
	s_waitcnt vmcnt(33) lgkmcnt(1)
	v_mul_f64 v[33:34], v[3:4], v[41:42]
	s_waitcnt vmcnt(32)
	v_fma_f64 v[31:32], v[5:6], v[59:60], -v[31:32]
	v_mul_f64 v[27:28], v[1:2], v[41:42]
	v_fma_f64 v[29:30], v[7:8], v[59:60], v[29:30]
	ds_read_b128 v[5:8], v61 offset:1920
	v_add_f64 v[13:14], v[13:14], v[35:36]
	v_add_f64 v[15:16], v[15:16], v[23:24]
	s_waitcnt vmcnt(31) lgkmcnt(1)
	v_mul_f64 v[35:36], v[11:12], v[80:81]
	v_mul_f64 v[23:24], v[9:10], v[80:81]
	s_waitcnt vmcnt(29)
	v_fma_f64 v[33:34], v[1:2], v[47:48], -v[33:34]
	v_fma_f64 v[27:28], v[3:4], v[47:48], v[27:28]
	ds_read_b128 v[1:4], v61 offset:1936
	v_add_f64 v[13:14], v[13:14], v[31:32]
	v_add_f64 v[15:16], v[15:16], v[29:30]
	s_waitcnt vmcnt(25) lgkmcnt(1)
	v_mul_f64 v[31:32], v[7:8], v[49:50]
	s_waitcnt vmcnt(24)
	v_fma_f64 v[35:36], v[9:10], v[117:118], -v[35:36]
	v_mul_f64 v[29:30], v[5:6], v[49:50]
	v_fma_f64 v[23:24], v[11:12], v[117:118], v[23:24]
	ds_read_b128 v[9:12], v61 offset:1952
	v_add_f64 v[13:14], v[13:14], v[33:34]
	v_add_f64 v[15:16], v[15:16], v[27:28]
	s_waitcnt vmcnt(23) lgkmcnt(1)
	v_mul_f64 v[33:34], v[3:4], v[66:67]
	v_mul_f64 v[27:28], v[1:2], v[66:67]
	s_waitcnt vmcnt(21)
	v_fma_f64 v[31:32], v[5:6], v[55:56], -v[31:32]
	v_fma_f64 v[29:30], v[7:8], v[55:56], v[29:30]
	ds_read_b128 v[5:8], v61 offset:1968
	v_add_f64 v[13:14], v[13:14], v[35:36]
	v_add_f64 v[15:16], v[15:16], v[23:24]
	;; [unrolled: 18-line block ×3, first 2 shown]
	s_waitcnt vmcnt(9) lgkmcnt(1)
	v_mul_f64 v[23:24], v[1:2], v[25:26]
	v_mul_f64 v[25:26], v[3:4], v[25:26]
	s_waitcnt vmcnt(8)
	v_fma_f64 v[5:6], v[5:6], v[127:128], -v[31:32]
	v_fma_f64 v[7:8], v[7:8], v[127:128], v[29:30]
	v_add_f64 v[13:14], v[13:14], v[35:36]
	v_add_f64 v[15:16], v[15:16], v[19:20]
	s_waitcnt vmcnt(7) lgkmcnt(0)
	v_mul_f64 v[27:28], v[11:12], v[74:75]
	v_mul_f64 v[19:20], v[9:10], v[74:75]
	s_waitcnt vmcnt(5)
	v_fma_f64 v[1:2], v[1:2], v[21:22], -v[25:26]
	v_fma_f64 v[3:4], v[3:4], v[21:22], v[23:24]
	v_add_f64 v[5:6], v[13:14], v[5:6]
	v_add_f64 v[7:8], v[15:16], v[7:8]
	s_waitcnt vmcnt(4)
	v_fma_f64 v[9:10], v[9:10], v[119:120], -v[27:28]
	v_add_f64 v[1:2], v[5:6], v[1:2]
	v_fma_f64 v[5:6], v[11:12], v[119:120], v[19:20]
	v_add_f64 v[3:4], v[7:8], v[3:4]
	v_add_f64 v[1:2], v[1:2], v[9:10]
	;; [unrolled: 1-line block ×3, first 2 shown]
	s_waitcnt vmcnt(2)
	v_add_f64 v[1:2], v[17:18], -v[1:2]
	s_waitcnt vmcnt(0)
	v_add_f64 v[3:4], v[37:38], -v[3:4]
	buffer_store_dword v2, off, s[0:3], 0 offset:388
	buffer_store_dword v1, off, s[0:3], 0 offset:384
	;; [unrolled: 1-line block ×4, first 2 shown]
	v_cmpx_lt_u32_e32 22, v0
	s_cbranch_execz .LBB62_359
; %bb.358:
	v_mov_b32_e32 v4, s55
	s_clause 0x3
	buffer_load_dword v1, v4, s[0:3], 0 offen
	buffer_load_dword v2, v4, s[0:3], 0 offen offset:4
	buffer_load_dword v3, v4, s[0:3], 0 offen offset:8
	;; [unrolled: 1-line block ×3, first 2 shown]
	buffer_store_dword v61, off, s[0:3], 0 offset:368
	buffer_store_dword v61, off, s[0:3], 0 offset:372
	;; [unrolled: 1-line block ×4, first 2 shown]
	s_waitcnt vmcnt(0)
	ds_write_b128 v69, v[1:4]
.LBB62_359:
	s_or_b32 exec_lo, exec_lo, s4
	s_waitcnt lgkmcnt(0)
	s_waitcnt_vscnt null, 0x0
	s_barrier
	buffer_gl0_inv
	s_clause 0x37
	buffer_load_dword v9, off, s[0:3], 0 offset:392
	buffer_load_dword v10, off, s[0:3], 0 offset:396
	;; [unrolled: 1-line block ×56, first 2 shown]
	ds_read_b128 v[62:65], v61 offset:1376
	s_clause 0x2
	buffer_load_dword v58, off, s[0:3], 0 offset:620
	buffer_load_dword v60, off, s[0:3], 0 offset:596
	;; [unrolled: 1-line block ×3, first 2 shown]
	ds_read_b128 v[70:73], v61 offset:1392
	s_clause 0x4
	buffer_load_dword v79, off, s[0:3], 0 offset:636
	buffer_load_dword v80, off, s[0:3], 0 offset:648
	buffer_load_dword v82, off, s[0:3], 0 offset:640
	buffer_load_dword v78, off, s[0:3], 0 offset:632
	buffer_load_dword v50, off, s[0:3], 0 offset:612
	ds_read_b128 v[74:77], v61 offset:1408
	s_clause 0x2
	buffer_load_dword v81, off, s[0:3], 0 offset:652
	buffer_load_dword v118, off, s[0:3], 0 offset:628
	;; [unrolled: 1-line block ×3, first 2 shown]
	s_mov_b32 s4, exec_lo
	s_waitcnt vmcnt(62) lgkmcnt(2)
	v_mul_f64 v[66:67], v[64:65], v[9:10]
	v_mul_f64 v[9:10], v[62:63], v[9:10]
	s_waitcnt lgkmcnt(1)
	v_mul_f64 v[83:84], v[72:73], v[5:6]
	s_waitcnt vmcnt(59) lgkmcnt(0)
	v_mul_f64 v[119:120], v[76:77], v[3:4]
	v_fma_f64 v[62:63], v[62:63], v[7:8], -v[66:67]
	v_mul_f64 v[66:67], v[70:71], v[5:6]
	v_fma_f64 v[9:10], v[64:65], v[7:8], v[9:10]
	s_waitcnt vmcnt(57)
	v_fma_f64 v[70:71], v[70:71], v[1:2], -v[83:84]
	ds_read_b128 v[5:8], v61 offset:1424
	v_mul_f64 v[64:65], v[74:75], v[3:4]
	s_waitcnt vmcnt(51)
	v_fma_f64 v[74:75], v[74:75], v[25:26], -v[119:120]
	v_add_f64 v[62:63], v[62:63], 0
	v_fma_f64 v[66:67], v[72:73], v[1:2], v[66:67]
	v_add_f64 v[9:10], v[9:10], 0
	s_clause 0x4
	buffer_load_dword v73, off, s[0:3], 0 offset:668
	buffer_load_dword v125, off, s[0:3], 0 offset:680
	;; [unrolled: 1-line block ×5, first 2 shown]
	s_waitcnt lgkmcnt(0)
	v_mul_f64 v[128:129], v[5:6], v[13:14]
	v_mul_f64 v[13:14], v[7:8], v[13:14]
	ds_read_b128 v[1:4], v61 offset:1440
	v_fma_f64 v[25:26], v[76:77], v[25:26], v[64:65]
	v_add_f64 v[70:71], v[62:63], v[70:71]
	v_add_f64 v[9:10], v[9:10], v[66:67]
	s_clause 0x2
	buffer_load_dword v126, off, s[0:3], 0 offset:684
	buffer_load_dword v67, off, s[0:3], 0 offset:660
	;; [unrolled: 1-line block ×3, first 2 shown]
	s_waitcnt vmcnt(58) lgkmcnt(0)
	v_mul_f64 v[76:77], v[1:2], v[17:18]
	v_mul_f64 v[17:18], v[3:4], v[17:18]
	s_waitcnt vmcnt(56)
	v_fma_f64 v[13:14], v[5:6], v[19:20], -v[13:14]
	ds_read_b128 v[62:65], v61 offset:1456
	v_fma_f64 v[19:20], v[7:8], v[19:20], v[128:129]
	v_add_f64 v[70:71], v[70:71], v[74:75]
	v_add_f64 v[9:10], v[9:10], v[25:26]
	s_clause 0x4
	buffer_load_dword v26, off, s[0:3], 0 offset:700
	buffer_load_dword v74, off, s[0:3], 0 offset:712
	;; [unrolled: 1-line block ×5, first 2 shown]
	ds_read_b128 v[5:8], v61 offset:1472
	s_waitcnt vmcnt(57) lgkmcnt(1)
	v_mul_f64 v[129:130], v[62:63], v[21:22]
	v_mul_f64 v[21:22], v[64:65], v[21:22]
	s_waitcnt vmcnt(56)
	v_fma_f64 v[17:18], v[1:2], v[11:12], -v[17:18]
	v_fma_f64 v[11:12], v[3:4], v[11:12], v[76:77]
	v_add_f64 v[13:14], v[70:71], v[13:14]
	v_add_f64 v[9:10], v[9:10], v[19:20]
	s_clause 0x2
	buffer_load_dword v75, off, s[0:3], 0 offset:716
	buffer_load_dword v20, off, s[0:3], 0 offset:692
	;; [unrolled: 1-line block ×3, first 2 shown]
	s_waitcnt vmcnt(58) lgkmcnt(0)
	v_mul_f64 v[70:71], v[5:6], v[27:28]
	v_mul_f64 v[27:28], v[7:8], v[27:28]
	s_waitcnt vmcnt(56)
	v_fma_f64 v[21:22], v[62:63], v[29:30], -v[21:22]
	ds_read_b128 v[1:4], v61 offset:1488
	v_add_f64 v[13:14], v[13:14], v[17:18]
	v_fma_f64 v[17:18], v[64:65], v[29:30], v[129:130]
	v_add_f64 v[29:30], v[9:10], v[11:12]
	s_clause 0x4
	buffer_load_dword v63, off, s[0:3], 0 offset:732
	buffer_load_dword v64, off, s[0:3], 0 offset:744
	;; [unrolled: 1-line block ×5, first 2 shown]
	ds_read_b128 v[9:12], v61 offset:1504
	s_waitcnt vmcnt(57) lgkmcnt(1)
	v_mul_f64 v[129:130], v[1:2], v[31:32]
	v_mul_f64 v[31:32], v[3:4], v[31:32]
	s_waitcnt vmcnt(56)
	v_fma_f64 v[27:28], v[5:6], v[15:16], -v[27:28]
	v_fma_f64 v[15:16], v[7:8], v[15:16], v[70:71]
	v_add_f64 v[13:14], v[13:14], v[21:22]
	s_clause 0x2
	buffer_load_dword v65, off, s[0:3], 0 offset:748
	buffer_load_dword v22, off, s[0:3], 0 offset:724
	;; [unrolled: 1-line block ×3, first 2 shown]
	v_add_f64 v[17:18], v[29:30], v[17:18]
	s_waitcnt vmcnt(58) lgkmcnt(0)
	v_mul_f64 v[29:30], v[9:10], v[35:36]
	v_mul_f64 v[35:36], v[11:12], v[35:36]
	ds_read_b128 v[5:8], v61 offset:1520
	s_waitcnt vmcnt(56)
	v_fma_f64 v[31:32], v[1:2], v[37:38], -v[31:32]
	v_add_f64 v[13:14], v[13:14], v[27:28]
	v_fma_f64 v[27:28], v[3:4], v[37:38], v[129:130]
	v_add_f64 v[15:16], v[17:18], v[15:16]
	s_clause 0x4
	buffer_load_dword v18, off, s[0:3], 0 offset:764
	buffer_load_dword v37, off, s[0:3], 0 offset:776
	;; [unrolled: 1-line block ×5, first 2 shown]
	s_waitcnt vmcnt(57) lgkmcnt(0)
	v_mul_f64 v[129:130], v[5:6], v[39:40]
	v_mul_f64 v[39:40], v[7:8], v[39:40]
	s_waitcnt vmcnt(56)
	v_fma_f64 v[35:36], v[9:10], v[23:24], -v[35:36]
	ds_read_b128 v[1:4], v61 offset:1536
	v_fma_f64 v[23:24], v[11:12], v[23:24], v[29:30]
	v_add_f64 v[13:14], v[13:14], v[31:32]
	v_add_f64 v[15:16], v[15:16], v[27:28]
	s_clause 0x2
	buffer_load_dword v38, off, s[0:3], 0 offset:780
	buffer_load_dword v28, off, s[0:3], 0 offset:756
	;; [unrolled: 1-line block ×3, first 2 shown]
	ds_read_b128 v[9:12], v61 offset:1552
	s_waitcnt vmcnt(58) lgkmcnt(1)
	v_mul_f64 v[31:32], v[3:4], v[43:44]
	s_waitcnt vmcnt(56)
	v_fma_f64 v[39:40], v[5:6], v[45:46], -v[39:40]
	v_mul_f64 v[29:30], v[1:2], v[43:44]
	v_add_f64 v[13:14], v[13:14], v[35:36]
	v_fma_f64 v[35:36], v[7:8], v[45:46], v[129:130]
	v_add_f64 v[15:16], v[15:16], v[23:24]
	s_clause 0x4
	buffer_load_dword v24, off, s[0:3], 0 offset:796
	buffer_load_dword v43, off, s[0:3], 0 offset:808
	;; [unrolled: 1-line block ×5, first 2 shown]
	s_waitcnt vmcnt(57) lgkmcnt(0)
	v_mul_f64 v[129:130], v[9:10], v[47:48]
	v_mul_f64 v[46:47], v[11:12], v[47:48]
	s_waitcnt vmcnt(56)
	v_fma_f64 v[31:32], v[1:2], v[33:34], -v[31:32]
	ds_read_b128 v[5:8], v61 offset:1568
	v_fma_f64 v[29:30], v[3:4], v[33:34], v[29:30]
	s_clause 0x2
	buffer_load_dword v44, off, s[0:3], 0 offset:812
	buffer_load_dword v34, off, s[0:3], 0 offset:788
	;; [unrolled: 1-line block ×3, first 2 shown]
	ds_read_b128 v[1:4], v61 offset:1584
	v_add_f64 v[13:14], v[13:14], v[39:40]
	v_add_f64 v[15:16], v[15:16], v[35:36]
	s_waitcnt vmcnt(58) lgkmcnt(1)
	v_mul_f64 v[39:40], v[7:8], v[51:52]
	s_waitcnt vmcnt(56)
	v_fma_f64 v[47:48], v[9:10], v[53:54], -v[46:47]
	v_mul_f64 v[35:36], v[5:6], v[51:52]
	v_add_f64 v[13:14], v[13:14], v[31:32]
	v_fma_f64 v[31:32], v[11:12], v[53:54], v[129:130]
	v_add_f64 v[15:16], v[15:16], v[29:30]
	s_clause 0x4
	buffer_load_dword v30, off, s[0:3], 0 offset:828
	buffer_load_dword v51, off, s[0:3], 0 offset:840
	;; [unrolled: 1-line block ×5, first 2 shown]
	s_waitcnt vmcnt(57) lgkmcnt(0)
	v_mul_f64 v[129:130], v[1:2], v[55:56]
	v_mul_f64 v[54:55], v[3:4], v[55:56]
	s_waitcnt vmcnt(56)
	v_fma_f64 v[39:40], v[5:6], v[41:42], -v[39:40]
	ds_read_b128 v[9:12], v61 offset:1600
	v_fma_f64 v[35:36], v[7:8], v[41:42], v[35:36]
	v_add_f64 v[13:14], v[13:14], v[47:48]
	v_add_f64 v[15:16], v[15:16], v[31:32]
	s_clause 0x2
	buffer_load_dword v52, off, s[0:3], 0 offset:844
	buffer_load_dword v32, off, s[0:3], 0 offset:820
	;; [unrolled: 1-line block ×3, first 2 shown]
	ds_read_b128 v[5:8], v61 offset:1616
	s_waitcnt vmcnt(58) lgkmcnt(1)
	v_mul_f64 v[47:48], v[11:12], v[57:58]
	s_waitcnt vmcnt(56)
	v_fma_f64 v[55:56], v[1:2], v[59:60], -v[54:55]
	v_mul_f64 v[41:42], v[9:10], v[57:58]
	v_add_f64 v[13:14], v[13:14], v[39:40]
	v_fma_f64 v[39:40], v[3:4], v[59:60], v[129:130]
	v_add_f64 v[15:16], v[15:16], v[35:36]
	s_clause 0x4
	buffer_load_dword v36, off, s[0:3], 0 offset:860
	buffer_load_dword v57, off, s[0:3], 0 offset:872
	;; [unrolled: 1-line block ×5, first 2 shown]
	s_waitcnt vmcnt(57) lgkmcnt(0)
	v_mul_f64 v[129:130], v[5:6], v[78:79]
	v_mul_f64 v[78:79], v[7:8], v[78:79]
	s_waitcnt vmcnt(56)
	v_fma_f64 v[47:48], v[9:10], v[49:50], -v[47:48]
	ds_read_b128 v[1:4], v61 offset:1632
	v_fma_f64 v[41:42], v[11:12], v[49:50], v[41:42]
	v_add_f64 v[13:14], v[13:14], v[55:56]
	v_add_f64 v[15:16], v[15:16], v[39:40]
	s_clause 0x2
	buffer_load_dword v58, off, s[0:3], 0 offset:876
	buffer_load_dword v40, off, s[0:3], 0 offset:852
	;; [unrolled: 1-line block ×3, first 2 shown]
	ds_read_b128 v[9:12], v61 offset:1648
	s_waitcnt vmcnt(58) lgkmcnt(1)
	v_mul_f64 v[55:56], v[3:4], v[80:81]
	s_waitcnt vmcnt(56)
	v_fma_f64 v[78:79], v[5:6], v[117:118], -v[78:79]
	v_mul_f64 v[49:50], v[1:2], v[80:81]
	v_add_f64 v[13:14], v[13:14], v[47:48]
	v_fma_f64 v[47:48], v[7:8], v[117:118], v[129:130]
	v_add_f64 v[15:16], v[15:16], v[41:42]
	s_clause 0x4
	buffer_load_dword v42, off, s[0:3], 0 offset:892
	buffer_load_dword v80, off, s[0:3], 0 offset:904
	;; [unrolled: 1-line block ×5, first 2 shown]
	ds_read_b128 v[5:8], v61 offset:1664
	s_waitcnt vmcnt(57) lgkmcnt(1)
	v_mul_f64 v[129:130], v[9:10], v[72:73]
	v_mul_f64 v[72:73], v[11:12], v[72:73]
	s_waitcnt vmcnt(56)
	v_fma_f64 v[55:56], v[1:2], v[82:83], -v[55:56]
	v_fma_f64 v[49:50], v[3:4], v[82:83], v[49:50]
	v_add_f64 v[13:14], v[13:14], v[78:79]
	v_add_f64 v[15:16], v[15:16], v[47:48]
	s_clause 0x2
	buffer_load_dword v81, off, s[0:3], 0 offset:908
	buffer_load_dword v48, off, s[0:3], 0 offset:884
	;; [unrolled: 1-line block ×3, first 2 shown]
	ds_read_b128 v[1:4], v61 offset:1680
	s_waitcnt vmcnt(58) lgkmcnt(1)
	v_mul_f64 v[82:83], v[7:8], v[125:126]
	v_mul_f64 v[78:79], v[5:6], v[125:126]
	s_waitcnt vmcnt(56)
	v_fma_f64 v[72:73], v[9:10], v[66:67], -v[72:73]
	v_add_f64 v[13:14], v[13:14], v[55:56]
	v_fma_f64 v[55:56], v[11:12], v[66:67], v[129:130]
	v_add_f64 v[15:16], v[15:16], v[49:50]
	s_clause 0x4
	buffer_load_dword v50, off, s[0:3], 0 offset:924
	buffer_load_dword v66, off, s[0:3], 0 offset:936
	buffer_load_dword v125, off, s[0:3], 0 offset:928
	buffer_load_dword v49, off, s[0:3], 0 offset:920
	buffer_load_dword v118, off, s[0:3], 0 offset:900
	ds_read_b128 v[9:12], v61 offset:1696
	s_waitcnt vmcnt(57) lgkmcnt(1)
	v_mul_f64 v[129:130], v[1:2], v[25:26]
	v_mul_f64 v[25:26], v[3:4], v[25:26]
	s_waitcnt vmcnt(56)
	v_fma_f64 v[82:83], v[5:6], v[127:128], -v[82:83]
	v_add_f64 v[13:14], v[13:14], v[72:73]
	v_fma_f64 v[72:73], v[7:8], v[127:128], v[78:79]
	v_add_f64 v[15:16], v[15:16], v[55:56]
	s_clause 0x2
	buffer_load_dword v67, off, s[0:3], 0 offset:940
	buffer_load_dword v56, off, s[0:3], 0 offset:916
	buffer_load_dword v55, off, s[0:3], 0 offset:912
	ds_read_b128 v[5:8], v61 offset:1712
	s_waitcnt vmcnt(58) lgkmcnt(1)
	v_mul_f64 v[78:79], v[9:10], v[74:75]
	v_mul_f64 v[74:75], v[11:12], v[74:75]
	s_waitcnt vmcnt(56)
	v_fma_f64 v[25:26], v[1:2], v[19:20], -v[25:26]
	v_fma_f64 v[19:20], v[3:4], v[19:20], v[129:130]
	v_add_f64 v[13:14], v[13:14], v[82:83]
	v_add_f64 v[15:16], v[15:16], v[72:73]
	s_clause 0x4
	buffer_load_dword v73, off, s[0:3], 0 offset:956
	buffer_load_dword v82, off, s[0:3], 0 offset:968
	buffer_load_dword v127, off, s[0:3], 0 offset:960
	buffer_load_dword v72, off, s[0:3], 0 offset:952
	buffer_load_dword v126, off, s[0:3], 0 offset:932
	ds_read_b128 v[1:4], v61 offset:1728
	s_waitcnt vmcnt(57) lgkmcnt(1)
	v_mul_f64 v[128:129], v[5:6], v[62:63]
	v_mul_f64 v[62:63], v[7:8], v[62:63]
	s_waitcnt vmcnt(56)
	v_fma_f64 v[74:75], v[9:10], v[119:120], -v[74:75]
	v_add_f64 v[13:14], v[13:14], v[25:26]
	v_fma_f64 v[25:26], v[11:12], v[119:120], v[78:79]
	v_add_f64 v[15:16], v[15:16], v[19:20]
	s_clause 0x2
	buffer_load_dword v83, off, s[0:3], 0 offset:972
	buffer_load_dword v20, off, s[0:3], 0 offset:948
	buffer_load_dword v19, off, s[0:3], 0 offset:944
	ds_read_b128 v[9:12], v61 offset:1744
	s_waitcnt vmcnt(58) lgkmcnt(1)
	v_mul_f64 v[78:79], v[1:2], v[64:65]
	v_mul_f64 v[64:65], v[3:4], v[64:65]
	s_waitcnt vmcnt(56)
	v_fma_f64 v[62:63], v[5:6], v[21:22], -v[62:63]
	v_fma_f64 v[21:22], v[7:8], v[21:22], v[128:129]
	v_add_f64 v[13:14], v[13:14], v[74:75]
	;; [unrolled: 28-line block ×3, first 2 shown]
	v_add_f64 v[15:16], v[15:16], v[62:63]
	s_clause 0x2
	buffer_load_dword v63, off, s[0:3], 0 offset:1020
	buffer_load_dword v62, off, s[0:3], 0 offset:1016
	;; [unrolled: 1-line block ×3, first 2 shown]
	ds_read_b128 v[9:12], v61 offset:1792
	s_waitcnt vmcnt(55) lgkmcnt(1)
	v_mul_f64 v[64:65], v[1:2], v[23:24]
	v_mul_f64 v[23:24], v[3:4], v[23:24]
	s_waitcnt vmcnt(54)
	v_fma_f64 v[37:38], v[5:6], v[70:71], -v[37:38]
	v_add_f64 v[13:14], v[13:14], v[17:18]
	v_fma_f64 v[17:18], v[7:8], v[70:71], v[76:77]
	v_add_f64 v[15:16], v[15:16], v[27:28]
	s_clause 0x1
	buffer_load_dword v28, off, s[0:3], 0 offset:1012
	buffer_load_dword v27, off, s[0:3], 0 offset:1008
	s_waitcnt vmcnt(55) lgkmcnt(0)
	v_mul_f64 v[70:71], v[9:10], v[43:44]
	v_mul_f64 v[43:44], v[11:12], v[43:44]
	ds_read_b128 v[5:8], v61 offset:1808
	s_waitcnt vmcnt(53)
	v_fma_f64 v[23:24], v[1:2], v[33:34], -v[23:24]
	v_fma_f64 v[33:34], v[3:4], v[33:34], v[64:65]
	ds_read_b128 v[1:4], v61 offset:1824
	v_add_f64 v[13:14], v[13:14], v[37:38]
	v_add_f64 v[15:16], v[15:16], v[17:18]
	s_waitcnt vmcnt(49) lgkmcnt(1)
	v_mul_f64 v[17:18], v[5:6], v[29:30]
	v_mul_f64 v[29:30], v[7:8], v[29:30]
	s_waitcnt vmcnt(48)
	v_fma_f64 v[37:38], v[9:10], v[45:46], -v[43:44]
	v_add_f64 v[13:14], v[13:14], v[23:24]
	v_fma_f64 v[23:24], v[11:12], v[45:46], v[70:71]
	v_add_f64 v[15:16], v[15:16], v[33:34]
	s_clause 0x3
	buffer_load_dword v33, off, s[0:3], 0 offset:368
	buffer_load_dword v34, off, s[0:3], 0 offset:372
	;; [unrolled: 1-line block ×4, first 2 shown]
	ds_read_b128 v[9:12], v61 offset:1840
	s_waitcnt vmcnt(51) lgkmcnt(1)
	v_mul_f64 v[45:46], v[1:2], v[51:52]
	v_mul_f64 v[51:52], v[3:4], v[51:52]
	s_waitcnt vmcnt(49)
	v_fma_f64 v[29:30], v[5:6], v[31:32], -v[29:30]
	v_fma_f64 v[17:18], v[7:8], v[31:32], v[17:18]
	ds_read_b128 v[5:8], v61 offset:1856
	v_add_f64 v[13:14], v[13:14], v[37:38]
	v_add_f64 v[15:16], v[15:16], v[23:24]
	s_waitcnt vmcnt(45) lgkmcnt(1)
	v_mul_f64 v[23:24], v[9:10], v[35:36]
	v_mul_f64 v[31:32], v[11:12], v[35:36]
	s_waitcnt vmcnt(44)
	v_fma_f64 v[35:36], v[1:2], v[53:54], -v[51:52]
	v_add_f64 v[13:14], v[13:14], v[29:30]
	v_fma_f64 v[29:30], v[3:4], v[53:54], v[45:46]
	v_add_f64 v[15:16], v[15:16], v[17:18]
	ds_read_b128 v[1:4], v61 offset:1872
	s_waitcnt vmcnt(43) lgkmcnt(1)
	v_mul_f64 v[37:38], v[7:8], v[57:58]
	v_mul_f64 v[17:18], v[5:6], v[57:58]
	s_waitcnt vmcnt(41)
	v_fma_f64 v[31:32], v[9:10], v[39:40], -v[31:32]
	v_fma_f64 v[23:24], v[11:12], v[39:40], v[23:24]
	ds_read_b128 v[9:12], v61 offset:1888
	v_add_f64 v[13:14], v[13:14], v[35:36]
	v_add_f64 v[15:16], v[15:16], v[29:30]
	s_waitcnt vmcnt(37) lgkmcnt(1)
	v_mul_f64 v[35:36], v[3:4], v[41:42]
	s_waitcnt vmcnt(36)
	v_fma_f64 v[37:38], v[5:6], v[59:60], -v[37:38]
	v_mul_f64 v[29:30], v[1:2], v[41:42]
	v_fma_f64 v[17:18], v[7:8], v[59:60], v[17:18]
	ds_read_b128 v[5:8], v61 offset:1904
	v_add_f64 v[13:14], v[13:14], v[31:32]
	v_add_f64 v[15:16], v[15:16], v[23:24]
	s_waitcnt vmcnt(35) lgkmcnt(1)
	v_mul_f64 v[31:32], v[11:12], v[80:81]
	v_mul_f64 v[23:24], v[9:10], v[80:81]
	s_waitcnt vmcnt(33)
	v_fma_f64 v[35:36], v[1:2], v[47:48], -v[35:36]
	v_fma_f64 v[29:30], v[3:4], v[47:48], v[29:30]
	ds_read_b128 v[1:4], v61 offset:1920
	v_add_f64 v[13:14], v[13:14], v[37:38]
	v_add_f64 v[15:16], v[15:16], v[17:18]
	s_waitcnt vmcnt(29) lgkmcnt(1)
	v_mul_f64 v[37:38], v[7:8], v[49:50]
	s_waitcnt vmcnt(28)
	v_fma_f64 v[31:32], v[9:10], v[117:118], -v[31:32]
	v_mul_f64 v[17:18], v[5:6], v[49:50]
	v_fma_f64 v[23:24], v[11:12], v[117:118], v[23:24]
	ds_read_b128 v[9:12], v61 offset:1936
	v_add_f64 v[13:14], v[13:14], v[35:36]
	v_add_f64 v[15:16], v[15:16], v[29:30]
	;; [unrolled: 18-line block ×3, first 2 shown]
	s_waitcnt vmcnt(19) lgkmcnt(1)
	v_mul_f64 v[37:38], v[7:8], v[82:83]
	v_mul_f64 v[17:18], v[5:6], v[82:83]
	s_waitcnt vmcnt(17)
	v_fma_f64 v[31:32], v[9:10], v[19:20], -v[31:32]
	v_fma_f64 v[19:20], v[11:12], v[19:20], v[23:24]
	ds_read_b128 v[9:12], v61 offset:1984
	v_add_f64 v[13:14], v[13:14], v[35:36]
	v_add_f64 v[15:16], v[15:16], v[29:30]
	s_waitcnt vmcnt(13) lgkmcnt(1)
	v_mul_f64 v[23:24], v[1:2], v[25:26]
	v_mul_f64 v[25:26], v[3:4], v[25:26]
	s_waitcnt vmcnt(12)
	v_fma_f64 v[29:30], v[5:6], v[127:128], -v[37:38]
	v_fma_f64 v[17:18], v[7:8], v[127:128], v[17:18]
	ds_read_b128 v[5:8], v61 offset:2000
	v_add_f64 v[13:14], v[13:14], v[31:32]
	v_add_f64 v[15:16], v[15:16], v[19:20]
	s_waitcnt vmcnt(11) lgkmcnt(1)
	v_mul_f64 v[31:32], v[11:12], v[74:75]
	v_mul_f64 v[19:20], v[9:10], v[74:75]
	s_waitcnt vmcnt(9)
	v_fma_f64 v[1:2], v[1:2], v[21:22], -v[25:26]
	v_fma_f64 v[3:4], v[3:4], v[21:22], v[23:24]
	v_add_f64 v[13:14], v[13:14], v[29:30]
	v_add_f64 v[15:16], v[15:16], v[17:18]
	s_waitcnt vmcnt(7) lgkmcnt(0)
	v_mul_f64 v[21:22], v[7:8], v[62:63]
	s_waitcnt vmcnt(6)
	v_fma_f64 v[9:10], v[9:10], v[119:120], -v[31:32]
	v_mul_f64 v[17:18], v[5:6], v[62:63]
	v_fma_f64 v[11:12], v[11:12], v[119:120], v[19:20]
	v_add_f64 v[1:2], v[13:14], v[1:2]
	v_add_f64 v[3:4], v[15:16], v[3:4]
	s_waitcnt vmcnt(4)
	v_fma_f64 v[5:6], v[5:6], v[27:28], -v[21:22]
	v_fma_f64 v[7:8], v[7:8], v[27:28], v[17:18]
	v_add_f64 v[1:2], v[1:2], v[9:10]
	v_add_f64 v[3:4], v[3:4], v[11:12]
	v_add_f64 v[1:2], v[1:2], v[5:6]
	v_add_f64 v[3:4], v[3:4], v[7:8]
	s_waitcnt vmcnt(2)
	v_add_f64 v[1:2], v[33:34], -v[1:2]
	s_waitcnt vmcnt(0)
	v_add_f64 v[3:4], v[43:44], -v[3:4]
	buffer_store_dword v2, off, s[0:3], 0 offset:372
	buffer_store_dword v1, off, s[0:3], 0 offset:368
	;; [unrolled: 1-line block ×4, first 2 shown]
	v_cmpx_lt_u32_e32 21, v0
	s_cbranch_execz .LBB62_361
; %bb.360:
	v_mov_b32_e32 v4, s56
	v_mov_b32_e32 v5, 0
	s_clause 0x3
	buffer_load_dword v1, v4, s[0:3], 0 offen
	buffer_load_dword v2, v4, s[0:3], 0 offen offset:4
	buffer_load_dword v3, v4, s[0:3], 0 offen offset:8
	;; [unrolled: 1-line block ×3, first 2 shown]
	buffer_store_dword v5, off, s[0:3], 0 offset:352
	buffer_store_dword v5, off, s[0:3], 0 offset:356
	;; [unrolled: 1-line block ×4, first 2 shown]
	s_waitcnt vmcnt(0)
	ds_write_b128 v69, v[1:4]
.LBB62_361:
	s_or_b32 exec_lo, exec_lo, s4
	s_waitcnt lgkmcnt(0)
	s_waitcnt_vscnt null, 0x0
	s_barrier
	buffer_gl0_inv
	s_clause 0x37
	buffer_load_dword v9, off, s[0:3], 0 offset:376
	buffer_load_dword v10, off, s[0:3], 0 offset:380
	;; [unrolled: 1-line block ×56, first 2 shown]
	v_mov_b32_e32 v61, 0
	s_mov_b32 s4, exec_lo
	ds_read_b128 v[62:65], v61 offset:1360
	s_clause 0x2
	buffer_load_dword v58, off, s[0:3], 0 offset:604
	buffer_load_dword v60, off, s[0:3], 0 offset:580
	;; [unrolled: 1-line block ×3, first 2 shown]
	ds_read_b128 v[70:73], v61 offset:1376
	s_clause 0x4
	buffer_load_dword v79, off, s[0:3], 0 offset:620
	buffer_load_dword v80, off, s[0:3], 0 offset:632
	;; [unrolled: 1-line block ×5, first 2 shown]
	ds_read_b128 v[74:77], v61 offset:1392
	s_clause 0x2
	buffer_load_dword v81, off, s[0:3], 0 offset:636
	buffer_load_dword v118, off, s[0:3], 0 offset:612
	;; [unrolled: 1-line block ×3, first 2 shown]
	s_waitcnt vmcnt(62) lgkmcnt(2)
	v_mul_f64 v[66:67], v[64:65], v[9:10]
	v_mul_f64 v[9:10], v[62:63], v[9:10]
	s_waitcnt lgkmcnt(1)
	v_mul_f64 v[83:84], v[72:73], v[5:6]
	s_waitcnt vmcnt(59) lgkmcnt(0)
	v_mul_f64 v[119:120], v[76:77], v[3:4]
	v_fma_f64 v[62:63], v[62:63], v[7:8], -v[66:67]
	v_mul_f64 v[66:67], v[70:71], v[5:6]
	v_fma_f64 v[9:10], v[64:65], v[7:8], v[9:10]
	s_waitcnt vmcnt(57)
	v_fma_f64 v[70:71], v[70:71], v[1:2], -v[83:84]
	ds_read_b128 v[5:8], v61 offset:1408
	v_mul_f64 v[64:65], v[74:75], v[3:4]
	s_waitcnt vmcnt(51)
	v_fma_f64 v[74:75], v[74:75], v[25:26], -v[119:120]
	v_add_f64 v[62:63], v[62:63], 0
	v_fma_f64 v[66:67], v[72:73], v[1:2], v[66:67]
	v_add_f64 v[9:10], v[9:10], 0
	s_clause 0x4
	buffer_load_dword v73, off, s[0:3], 0 offset:652
	buffer_load_dword v125, off, s[0:3], 0 offset:664
	;; [unrolled: 1-line block ×5, first 2 shown]
	s_waitcnt lgkmcnt(0)
	v_mul_f64 v[128:129], v[5:6], v[13:14]
	v_mul_f64 v[13:14], v[7:8], v[13:14]
	ds_read_b128 v[1:4], v61 offset:1424
	v_fma_f64 v[25:26], v[76:77], v[25:26], v[64:65]
	v_add_f64 v[70:71], v[62:63], v[70:71]
	v_add_f64 v[9:10], v[9:10], v[66:67]
	s_clause 0x2
	buffer_load_dword v126, off, s[0:3], 0 offset:668
	buffer_load_dword v67, off, s[0:3], 0 offset:644
	;; [unrolled: 1-line block ×3, first 2 shown]
	s_waitcnt vmcnt(58) lgkmcnt(0)
	v_mul_f64 v[76:77], v[1:2], v[17:18]
	v_mul_f64 v[17:18], v[3:4], v[17:18]
	s_waitcnt vmcnt(56)
	v_fma_f64 v[13:14], v[5:6], v[19:20], -v[13:14]
	ds_read_b128 v[62:65], v61 offset:1440
	v_fma_f64 v[19:20], v[7:8], v[19:20], v[128:129]
	v_add_f64 v[70:71], v[70:71], v[74:75]
	v_add_f64 v[9:10], v[9:10], v[25:26]
	s_clause 0x4
	buffer_load_dword v26, off, s[0:3], 0 offset:684
	buffer_load_dword v74, off, s[0:3], 0 offset:696
	;; [unrolled: 1-line block ×5, first 2 shown]
	ds_read_b128 v[5:8], v61 offset:1456
	s_waitcnt vmcnt(57) lgkmcnt(1)
	v_mul_f64 v[129:130], v[62:63], v[21:22]
	v_mul_f64 v[21:22], v[64:65], v[21:22]
	s_waitcnt vmcnt(56)
	v_fma_f64 v[17:18], v[1:2], v[11:12], -v[17:18]
	v_fma_f64 v[11:12], v[3:4], v[11:12], v[76:77]
	v_add_f64 v[13:14], v[70:71], v[13:14]
	v_add_f64 v[9:10], v[9:10], v[19:20]
	s_clause 0x2
	buffer_load_dword v75, off, s[0:3], 0 offset:700
	buffer_load_dword v20, off, s[0:3], 0 offset:676
	;; [unrolled: 1-line block ×3, first 2 shown]
	s_waitcnt vmcnt(58) lgkmcnt(0)
	v_mul_f64 v[70:71], v[5:6], v[27:28]
	v_mul_f64 v[27:28], v[7:8], v[27:28]
	s_waitcnt vmcnt(56)
	v_fma_f64 v[21:22], v[62:63], v[29:30], -v[21:22]
	ds_read_b128 v[1:4], v61 offset:1472
	v_add_f64 v[13:14], v[13:14], v[17:18]
	v_fma_f64 v[17:18], v[64:65], v[29:30], v[129:130]
	v_add_f64 v[29:30], v[9:10], v[11:12]
	s_clause 0x4
	buffer_load_dword v63, off, s[0:3], 0 offset:716
	buffer_load_dword v64, off, s[0:3], 0 offset:728
	;; [unrolled: 1-line block ×5, first 2 shown]
	ds_read_b128 v[9:12], v61 offset:1488
	s_waitcnt vmcnt(57) lgkmcnt(1)
	v_mul_f64 v[129:130], v[1:2], v[31:32]
	v_mul_f64 v[31:32], v[3:4], v[31:32]
	s_waitcnt vmcnt(56)
	v_fma_f64 v[27:28], v[5:6], v[15:16], -v[27:28]
	v_fma_f64 v[15:16], v[7:8], v[15:16], v[70:71]
	v_add_f64 v[13:14], v[13:14], v[21:22]
	s_clause 0x2
	buffer_load_dword v65, off, s[0:3], 0 offset:732
	buffer_load_dword v22, off, s[0:3], 0 offset:708
	;; [unrolled: 1-line block ×3, first 2 shown]
	v_add_f64 v[17:18], v[29:30], v[17:18]
	s_waitcnt vmcnt(58) lgkmcnt(0)
	v_mul_f64 v[29:30], v[9:10], v[35:36]
	v_mul_f64 v[35:36], v[11:12], v[35:36]
	ds_read_b128 v[5:8], v61 offset:1504
	s_waitcnt vmcnt(56)
	v_fma_f64 v[31:32], v[1:2], v[37:38], -v[31:32]
	v_add_f64 v[13:14], v[13:14], v[27:28]
	v_fma_f64 v[27:28], v[3:4], v[37:38], v[129:130]
	v_add_f64 v[15:16], v[17:18], v[15:16]
	s_clause 0x4
	buffer_load_dword v18, off, s[0:3], 0 offset:748
	buffer_load_dword v37, off, s[0:3], 0 offset:760
	buffer_load_dword v70, off, s[0:3], 0 offset:752
	buffer_load_dword v17, off, s[0:3], 0 offset:744
	buffer_load_dword v77, off, s[0:3], 0 offset:724
	s_waitcnt vmcnt(57) lgkmcnt(0)
	v_mul_f64 v[129:130], v[5:6], v[39:40]
	v_mul_f64 v[39:40], v[7:8], v[39:40]
	s_waitcnt vmcnt(56)
	v_fma_f64 v[35:36], v[9:10], v[23:24], -v[35:36]
	ds_read_b128 v[1:4], v61 offset:1520
	v_fma_f64 v[23:24], v[11:12], v[23:24], v[29:30]
	v_add_f64 v[13:14], v[13:14], v[31:32]
	v_add_f64 v[15:16], v[15:16], v[27:28]
	s_clause 0x2
	buffer_load_dword v38, off, s[0:3], 0 offset:764
	buffer_load_dword v28, off, s[0:3], 0 offset:740
	;; [unrolled: 1-line block ×3, first 2 shown]
	ds_read_b128 v[9:12], v61 offset:1536
	s_waitcnt vmcnt(58) lgkmcnt(1)
	v_mul_f64 v[31:32], v[3:4], v[43:44]
	s_waitcnt vmcnt(56)
	v_fma_f64 v[39:40], v[5:6], v[45:46], -v[39:40]
	v_mul_f64 v[29:30], v[1:2], v[43:44]
	v_add_f64 v[13:14], v[13:14], v[35:36]
	v_fma_f64 v[35:36], v[7:8], v[45:46], v[129:130]
	v_add_f64 v[15:16], v[15:16], v[23:24]
	s_clause 0x4
	buffer_load_dword v24, off, s[0:3], 0 offset:780
	buffer_load_dword v43, off, s[0:3], 0 offset:792
	;; [unrolled: 1-line block ×5, first 2 shown]
	s_waitcnt vmcnt(57) lgkmcnt(0)
	v_mul_f64 v[129:130], v[9:10], v[47:48]
	v_mul_f64 v[46:47], v[11:12], v[47:48]
	s_waitcnt vmcnt(56)
	v_fma_f64 v[31:32], v[1:2], v[33:34], -v[31:32]
	ds_read_b128 v[5:8], v61 offset:1552
	v_fma_f64 v[29:30], v[3:4], v[33:34], v[29:30]
	s_clause 0x2
	buffer_load_dword v44, off, s[0:3], 0 offset:796
	buffer_load_dword v34, off, s[0:3], 0 offset:772
	;; [unrolled: 1-line block ×3, first 2 shown]
	ds_read_b128 v[1:4], v61 offset:1568
	v_add_f64 v[13:14], v[13:14], v[39:40]
	v_add_f64 v[15:16], v[15:16], v[35:36]
	s_waitcnt vmcnt(58) lgkmcnt(1)
	v_mul_f64 v[39:40], v[7:8], v[51:52]
	s_waitcnt vmcnt(56)
	v_fma_f64 v[47:48], v[9:10], v[53:54], -v[46:47]
	v_mul_f64 v[35:36], v[5:6], v[51:52]
	v_add_f64 v[13:14], v[13:14], v[31:32]
	v_fma_f64 v[31:32], v[11:12], v[53:54], v[129:130]
	v_add_f64 v[15:16], v[15:16], v[29:30]
	s_clause 0x4
	buffer_load_dword v30, off, s[0:3], 0 offset:812
	buffer_load_dword v51, off, s[0:3], 0 offset:824
	;; [unrolled: 1-line block ×5, first 2 shown]
	s_waitcnt vmcnt(57) lgkmcnt(0)
	v_mul_f64 v[129:130], v[1:2], v[55:56]
	v_mul_f64 v[54:55], v[3:4], v[55:56]
	s_waitcnt vmcnt(56)
	v_fma_f64 v[39:40], v[5:6], v[41:42], -v[39:40]
	ds_read_b128 v[9:12], v61 offset:1584
	v_fma_f64 v[35:36], v[7:8], v[41:42], v[35:36]
	v_add_f64 v[13:14], v[13:14], v[47:48]
	v_add_f64 v[15:16], v[15:16], v[31:32]
	s_clause 0x2
	buffer_load_dword v52, off, s[0:3], 0 offset:828
	buffer_load_dword v32, off, s[0:3], 0 offset:804
	;; [unrolled: 1-line block ×3, first 2 shown]
	ds_read_b128 v[5:8], v61 offset:1600
	s_waitcnt vmcnt(58) lgkmcnt(1)
	v_mul_f64 v[47:48], v[11:12], v[57:58]
	s_waitcnt vmcnt(56)
	v_fma_f64 v[55:56], v[1:2], v[59:60], -v[54:55]
	v_mul_f64 v[41:42], v[9:10], v[57:58]
	v_add_f64 v[13:14], v[13:14], v[39:40]
	v_fma_f64 v[39:40], v[3:4], v[59:60], v[129:130]
	v_add_f64 v[15:16], v[15:16], v[35:36]
	s_clause 0x4
	buffer_load_dword v36, off, s[0:3], 0 offset:844
	buffer_load_dword v57, off, s[0:3], 0 offset:856
	;; [unrolled: 1-line block ×5, first 2 shown]
	s_waitcnt vmcnt(57) lgkmcnt(0)
	v_mul_f64 v[129:130], v[5:6], v[78:79]
	v_mul_f64 v[78:79], v[7:8], v[78:79]
	s_waitcnt vmcnt(56)
	v_fma_f64 v[47:48], v[9:10], v[49:50], -v[47:48]
	ds_read_b128 v[1:4], v61 offset:1616
	v_fma_f64 v[41:42], v[11:12], v[49:50], v[41:42]
	v_add_f64 v[13:14], v[13:14], v[55:56]
	v_add_f64 v[15:16], v[15:16], v[39:40]
	s_clause 0x2
	buffer_load_dword v58, off, s[0:3], 0 offset:860
	buffer_load_dword v40, off, s[0:3], 0 offset:836
	buffer_load_dword v39, off, s[0:3], 0 offset:832
	ds_read_b128 v[9:12], v61 offset:1632
	s_waitcnt vmcnt(58) lgkmcnt(1)
	v_mul_f64 v[55:56], v[3:4], v[80:81]
	s_waitcnt vmcnt(56)
	v_fma_f64 v[78:79], v[5:6], v[117:118], -v[78:79]
	v_mul_f64 v[49:50], v[1:2], v[80:81]
	v_add_f64 v[13:14], v[13:14], v[47:48]
	v_fma_f64 v[47:48], v[7:8], v[117:118], v[129:130]
	v_add_f64 v[15:16], v[15:16], v[41:42]
	s_clause 0x4
	buffer_load_dword v42, off, s[0:3], 0 offset:876
	buffer_load_dword v80, off, s[0:3], 0 offset:888
	;; [unrolled: 1-line block ×5, first 2 shown]
	ds_read_b128 v[5:8], v61 offset:1648
	s_waitcnt vmcnt(57) lgkmcnt(1)
	v_mul_f64 v[129:130], v[9:10], v[72:73]
	v_mul_f64 v[72:73], v[11:12], v[72:73]
	s_waitcnt vmcnt(56)
	v_fma_f64 v[55:56], v[1:2], v[82:83], -v[55:56]
	v_fma_f64 v[49:50], v[3:4], v[82:83], v[49:50]
	v_add_f64 v[13:14], v[13:14], v[78:79]
	v_add_f64 v[15:16], v[15:16], v[47:48]
	s_clause 0x2
	buffer_load_dword v81, off, s[0:3], 0 offset:892
	buffer_load_dword v48, off, s[0:3], 0 offset:868
	;; [unrolled: 1-line block ×3, first 2 shown]
	ds_read_b128 v[1:4], v61 offset:1664
	s_waitcnt vmcnt(58) lgkmcnt(1)
	v_mul_f64 v[82:83], v[7:8], v[125:126]
	v_mul_f64 v[78:79], v[5:6], v[125:126]
	s_waitcnt vmcnt(56)
	v_fma_f64 v[72:73], v[9:10], v[66:67], -v[72:73]
	v_add_f64 v[13:14], v[13:14], v[55:56]
	v_fma_f64 v[55:56], v[11:12], v[66:67], v[129:130]
	v_add_f64 v[15:16], v[15:16], v[49:50]
	s_clause 0x4
	buffer_load_dword v50, off, s[0:3], 0 offset:908
	buffer_load_dword v66, off, s[0:3], 0 offset:920
	buffer_load_dword v125, off, s[0:3], 0 offset:912
	buffer_load_dword v49, off, s[0:3], 0 offset:904
	buffer_load_dword v118, off, s[0:3], 0 offset:884
	ds_read_b128 v[9:12], v61 offset:1680
	s_waitcnt vmcnt(57) lgkmcnt(1)
	v_mul_f64 v[129:130], v[1:2], v[25:26]
	v_mul_f64 v[25:26], v[3:4], v[25:26]
	s_waitcnt vmcnt(56)
	v_fma_f64 v[82:83], v[5:6], v[127:128], -v[82:83]
	v_add_f64 v[13:14], v[13:14], v[72:73]
	v_fma_f64 v[72:73], v[7:8], v[127:128], v[78:79]
	v_add_f64 v[15:16], v[15:16], v[55:56]
	s_clause 0x2
	buffer_load_dword v67, off, s[0:3], 0 offset:924
	buffer_load_dword v56, off, s[0:3], 0 offset:900
	buffer_load_dword v55, off, s[0:3], 0 offset:896
	ds_read_b128 v[5:8], v61 offset:1696
	s_waitcnt vmcnt(58) lgkmcnt(1)
	v_mul_f64 v[78:79], v[9:10], v[74:75]
	v_mul_f64 v[74:75], v[11:12], v[74:75]
	s_waitcnt vmcnt(56)
	v_fma_f64 v[25:26], v[1:2], v[19:20], -v[25:26]
	v_fma_f64 v[19:20], v[3:4], v[19:20], v[129:130]
	v_add_f64 v[13:14], v[13:14], v[82:83]
	v_add_f64 v[15:16], v[15:16], v[72:73]
	s_clause 0x4
	buffer_load_dword v73, off, s[0:3], 0 offset:940
	buffer_load_dword v82, off, s[0:3], 0 offset:952
	buffer_load_dword v127, off, s[0:3], 0 offset:944
	buffer_load_dword v72, off, s[0:3], 0 offset:936
	buffer_load_dword v126, off, s[0:3], 0 offset:916
	ds_read_b128 v[1:4], v61 offset:1712
	s_waitcnt vmcnt(57) lgkmcnt(1)
	v_mul_f64 v[128:129], v[5:6], v[62:63]
	v_mul_f64 v[62:63], v[7:8], v[62:63]
	s_waitcnt vmcnt(56)
	v_fma_f64 v[74:75], v[9:10], v[119:120], -v[74:75]
	v_add_f64 v[13:14], v[13:14], v[25:26]
	v_fma_f64 v[25:26], v[11:12], v[119:120], v[78:79]
	v_add_f64 v[15:16], v[15:16], v[19:20]
	s_clause 0x2
	buffer_load_dword v83, off, s[0:3], 0 offset:956
	buffer_load_dword v20, off, s[0:3], 0 offset:932
	buffer_load_dword v19, off, s[0:3], 0 offset:928
	ds_read_b128 v[9:12], v61 offset:1728
	s_waitcnt vmcnt(58) lgkmcnt(1)
	v_mul_f64 v[78:79], v[1:2], v[64:65]
	v_mul_f64 v[64:65], v[3:4], v[64:65]
	s_waitcnt vmcnt(56)
	v_fma_f64 v[62:63], v[5:6], v[21:22], -v[62:63]
	v_fma_f64 v[21:22], v[7:8], v[21:22], v[128:129]
	v_add_f64 v[13:14], v[13:14], v[74:75]
	;; [unrolled: 28-line block ×3, first 2 shown]
	v_add_f64 v[15:16], v[15:16], v[62:63]
	s_clause 0x4
	buffer_load_dword v63, off, s[0:3], 0 offset:1004
	buffer_load_dword v64, off, s[0:3], 0 offset:1016
	;; [unrolled: 1-line block ×5, first 2 shown]
	ds_read_b128 v[9:12], v61 offset:1776
	s_waitcnt vmcnt(57) lgkmcnt(1)
	v_mul_f64 v[129:130], v[1:2], v[23:24]
	v_mul_f64 v[23:24], v[3:4], v[23:24]
	s_waitcnt vmcnt(56)
	v_fma_f64 v[37:38], v[5:6], v[70:71], -v[37:38]
	v_add_f64 v[13:14], v[13:14], v[17:18]
	v_fma_f64 v[17:18], v[7:8], v[70:71], v[76:77]
	v_add_f64 v[15:16], v[15:16], v[27:28]
	s_clause 0x2
	buffer_load_dword v65, off, s[0:3], 0 offset:1020
	buffer_load_dword v28, off, s[0:3], 0 offset:996
	;; [unrolled: 1-line block ×3, first 2 shown]
	s_waitcnt vmcnt(58) lgkmcnt(0)
	v_mul_f64 v[70:71], v[9:10], v[43:44]
	v_mul_f64 v[43:44], v[11:12], v[43:44]
	ds_read_b128 v[5:8], v61 offset:1792
	buffer_load_dword v79, off, s[0:3], 0 offset:1012
	s_waitcnt vmcnt(57)
	v_fma_f64 v[23:24], v[1:2], v[33:34], -v[23:24]
	v_fma_f64 v[33:34], v[3:4], v[33:34], v[129:130]
	ds_read_b128 v[1:4], v61 offset:1808
	v_add_f64 v[13:14], v[13:14], v[37:38]
	v_add_f64 v[15:16], v[15:16], v[17:18]
	s_waitcnt vmcnt(53) lgkmcnt(1)
	v_mul_f64 v[17:18], v[5:6], v[29:30]
	v_mul_f64 v[29:30], v[7:8], v[29:30]
	s_waitcnt vmcnt(52)
	v_fma_f64 v[37:38], v[9:10], v[45:46], -v[43:44]
	v_add_f64 v[13:14], v[13:14], v[23:24]
	v_fma_f64 v[23:24], v[11:12], v[45:46], v[70:71]
	v_add_f64 v[15:16], v[15:16], v[33:34]
	ds_read_b128 v[9:12], v61 offset:1824
	s_waitcnt vmcnt(51) lgkmcnt(1)
	v_mul_f64 v[43:44], v[3:4], v[51:52]
	v_mul_f64 v[33:34], v[1:2], v[51:52]
	s_waitcnt vmcnt(49)
	v_fma_f64 v[29:30], v[5:6], v[31:32], -v[29:30]
	v_fma_f64 v[17:18], v[7:8], v[31:32], v[17:18]
	v_add_f64 v[13:14], v[13:14], v[37:38]
	v_add_f64 v[15:16], v[15:16], v[23:24]
	s_clause 0x3
	buffer_load_dword v23, off, s[0:3], 0 offset:352
	buffer_load_dword v24, off, s[0:3], 0 offset:356
	buffer_load_dword v31, off, s[0:3], 0 offset:360
	buffer_load_dword v32, off, s[0:3], 0 offset:364
	ds_read_b128 v[5:8], v61 offset:1840
	s_waitcnt vmcnt(49) lgkmcnt(1)
	v_mul_f64 v[37:38], v[9:10], v[35:36]
	v_mul_f64 v[35:36], v[11:12], v[35:36]
	s_waitcnt vmcnt(48)
	v_fma_f64 v[43:44], v[1:2], v[53:54], -v[43:44]
	v_add_f64 v[13:14], v[13:14], v[29:30]
	v_fma_f64 v[29:30], v[3:4], v[53:54], v[33:34]
	v_add_f64 v[15:16], v[15:16], v[17:18]
	ds_read_b128 v[1:4], v61 offset:1856
	s_waitcnt vmcnt(47) lgkmcnt(1)
	v_mul_f64 v[33:34], v[7:8], v[57:58]
	v_mul_f64 v[17:18], v[5:6], v[57:58]
	s_waitcnt vmcnt(45)
	v_fma_f64 v[35:36], v[9:10], v[39:40], -v[35:36]
	v_fma_f64 v[37:38], v[11:12], v[39:40], v[37:38]
	ds_read_b128 v[9:12], v61 offset:1872
	v_add_f64 v[13:14], v[13:14], v[43:44]
	v_add_f64 v[15:16], v[15:16], v[29:30]
	s_waitcnt vmcnt(41) lgkmcnt(1)
	v_mul_f64 v[39:40], v[3:4], v[41:42]
	s_waitcnt vmcnt(40)
	v_fma_f64 v[33:34], v[5:6], v[59:60], -v[33:34]
	v_mul_f64 v[29:30], v[1:2], v[41:42]
	v_fma_f64 v[17:18], v[7:8], v[59:60], v[17:18]
	ds_read_b128 v[5:8], v61 offset:1888
	v_add_f64 v[13:14], v[13:14], v[35:36]
	v_add_f64 v[15:16], v[15:16], v[37:38]
	s_waitcnt vmcnt(39) lgkmcnt(1)
	v_mul_f64 v[37:38], v[11:12], v[80:81]
	v_mul_f64 v[35:36], v[9:10], v[80:81]
	s_waitcnt vmcnt(37)
	v_fma_f64 v[39:40], v[1:2], v[47:48], -v[39:40]
	v_fma_f64 v[29:30], v[3:4], v[47:48], v[29:30]
	ds_read_b128 v[1:4], v61 offset:1904
	v_add_f64 v[13:14], v[13:14], v[33:34]
	v_add_f64 v[15:16], v[15:16], v[17:18]
	s_waitcnt vmcnt(33) lgkmcnt(1)
	v_mul_f64 v[33:34], v[7:8], v[49:50]
	s_waitcnt vmcnt(32)
	v_fma_f64 v[37:38], v[9:10], v[117:118], -v[37:38]
	v_mul_f64 v[17:18], v[5:6], v[49:50]
	v_fma_f64 v[35:36], v[11:12], v[117:118], v[35:36]
	ds_read_b128 v[9:12], v61 offset:1920
	v_add_f64 v[13:14], v[13:14], v[39:40]
	v_add_f64 v[15:16], v[15:16], v[29:30]
	;; [unrolled: 18-line block ×3, first 2 shown]
	s_waitcnt vmcnt(23) lgkmcnt(1)
	v_mul_f64 v[33:34], v[7:8], v[82:83]
	v_mul_f64 v[17:18], v[5:6], v[82:83]
	s_waitcnt vmcnt(21)
	v_fma_f64 v[37:38], v[9:10], v[19:20], -v[37:38]
	v_fma_f64 v[19:20], v[11:12], v[19:20], v[35:36]
	ds_read_b128 v[9:12], v61 offset:1968
	v_add_f64 v[13:14], v[13:14], v[39:40]
	v_add_f64 v[15:16], v[15:16], v[29:30]
	s_waitcnt vmcnt(17) lgkmcnt(1)
	v_mul_f64 v[29:30], v[1:2], v[25:26]
	v_mul_f64 v[25:26], v[3:4], v[25:26]
	s_waitcnt vmcnt(16)
	v_fma_f64 v[33:34], v[5:6], v[127:128], -v[33:34]
	v_fma_f64 v[17:18], v[7:8], v[127:128], v[17:18]
	ds_read_b128 v[5:8], v61 offset:1984
	v_add_f64 v[13:14], v[13:14], v[37:38]
	v_add_f64 v[15:16], v[15:16], v[19:20]
	;; [unrolled: 9-line block ×3, first 2 shown]
	s_waitcnt vmcnt(9) lgkmcnt(1)
	v_mul_f64 v[29:30], v[7:8], v[62:63]
	s_waitcnt vmcnt(8)
	v_fma_f64 v[9:10], v[9:10], v[119:120], -v[35:36]
	v_mul_f64 v[17:18], v[5:6], v[62:63]
	v_fma_f64 v[11:12], v[11:12], v[119:120], v[19:20]
	v_add_f64 v[13:14], v[13:14], v[25:26]
	v_add_f64 v[15:16], v[15:16], v[21:22]
	s_waitcnt vmcnt(7) lgkmcnt(0)
	v_mul_f64 v[21:22], v[3:4], v[64:65]
	v_mul_f64 v[19:20], v[1:2], v[64:65]
	s_waitcnt vmcnt(5)
	v_fma_f64 v[5:6], v[5:6], v[27:28], -v[29:30]
	v_fma_f64 v[7:8], v[7:8], v[27:28], v[17:18]
	v_add_f64 v[9:10], v[13:14], v[9:10]
	v_add_f64 v[11:12], v[15:16], v[11:12]
	s_waitcnt vmcnt(4)
	v_fma_f64 v[1:2], v[1:2], v[78:79], -v[21:22]
	v_fma_f64 v[3:4], v[3:4], v[78:79], v[19:20]
	v_add_f64 v[5:6], v[9:10], v[5:6]
	v_add_f64 v[7:8], v[11:12], v[7:8]
	;; [unrolled: 1-line block ×4, first 2 shown]
	s_waitcnt vmcnt(2)
	v_add_f64 v[1:2], v[23:24], -v[1:2]
	s_waitcnt vmcnt(0)
	v_add_f64 v[3:4], v[31:32], -v[3:4]
	buffer_store_dword v2, off, s[0:3], 0 offset:356
	buffer_store_dword v1, off, s[0:3], 0 offset:352
	;; [unrolled: 1-line block ×4, first 2 shown]
	v_cmpx_lt_u32_e32 20, v0
	s_cbranch_execz .LBB62_363
; %bb.362:
	v_mov_b32_e32 v4, s57
	s_clause 0x3
	buffer_load_dword v1, v4, s[0:3], 0 offen
	buffer_load_dword v2, v4, s[0:3], 0 offen offset:4
	buffer_load_dword v3, v4, s[0:3], 0 offen offset:8
	;; [unrolled: 1-line block ×3, first 2 shown]
	buffer_store_dword v61, off, s[0:3], 0 offset:336
	buffer_store_dword v61, off, s[0:3], 0 offset:340
	;; [unrolled: 1-line block ×4, first 2 shown]
	s_waitcnt vmcnt(0)
	ds_write_b128 v69, v[1:4]
.LBB62_363:
	s_or_b32 exec_lo, exec_lo, s4
	s_waitcnt lgkmcnt(0)
	s_waitcnt_vscnt null, 0x0
	s_barrier
	buffer_gl0_inv
	s_clause 0x37
	buffer_load_dword v9, off, s[0:3], 0 offset:360
	buffer_load_dword v10, off, s[0:3], 0 offset:364
	buffer_load_dword v5, off, s[0:3], 0 offset:376
	buffer_load_dword v6, off, s[0:3], 0 offset:380
	buffer_load_dword v7, off, s[0:3], 0 offset:352
	buffer_load_dword v8, off, s[0:3], 0 offset:356
	buffer_load_dword v3, off, s[0:3], 0 offset:392
	buffer_load_dword v4, off, s[0:3], 0 offset:396
	buffer_load_dword v1, off, s[0:3], 0 offset:368
	buffer_load_dword v2, off, s[0:3], 0 offset:372
	buffer_load_dword v14, off, s[0:3], 0 offset:412
	buffer_load_dword v17, off, s[0:3], 0 offset:424
	buffer_load_dword v11, off, s[0:3], 0 offset:416
	buffer_load_dword v13, off, s[0:3], 0 offset:408
	buffer_load_dword v25, off, s[0:3], 0 offset:384
	buffer_load_dword v26, off, s[0:3], 0 offset:388
	buffer_load_dword v18, off, s[0:3], 0 offset:428
	buffer_load_dword v20, off, s[0:3], 0 offset:404
	buffer_load_dword v19, off, s[0:3], 0 offset:400
	buffer_load_dword v22, off, s[0:3], 0 offset:444
	buffer_load_dword v27, off, s[0:3], 0 offset:456
	buffer_load_dword v15, off, s[0:3], 0 offset:448
	buffer_load_dword v21, off, s[0:3], 0 offset:440
	buffer_load_dword v12, off, s[0:3], 0 offset:420
	buffer_load_dword v28, off, s[0:3], 0 offset:460
	buffer_load_dword v30, off, s[0:3], 0 offset:436
	buffer_load_dword v29, off, s[0:3], 0 offset:432
	buffer_load_dword v32, off, s[0:3], 0 offset:476
	buffer_load_dword v35, off, s[0:3], 0 offset:488
	buffer_load_dword v23, off, s[0:3], 0 offset:480
	buffer_load_dword v31, off, s[0:3], 0 offset:472
	buffer_load_dword v16, off, s[0:3], 0 offset:452
	buffer_load_dword v36, off, s[0:3], 0 offset:492
	buffer_load_dword v38, off, s[0:3], 0 offset:468
	buffer_load_dword v37, off, s[0:3], 0 offset:464
	buffer_load_dword v40, off, s[0:3], 0 offset:508
	buffer_load_dword v43, off, s[0:3], 0 offset:520
	buffer_load_dword v33, off, s[0:3], 0 offset:512
	buffer_load_dword v39, off, s[0:3], 0 offset:504
	buffer_load_dword v24, off, s[0:3], 0 offset:484
	buffer_load_dword v44, off, s[0:3], 0 offset:524
	buffer_load_dword v46, off, s[0:3], 0 offset:500
	buffer_load_dword v45, off, s[0:3], 0 offset:496
	buffer_load_dword v48, off, s[0:3], 0 offset:540
	buffer_load_dword v51, off, s[0:3], 0 offset:552
	buffer_load_dword v41, off, s[0:3], 0 offset:544
	buffer_load_dword v47, off, s[0:3], 0 offset:536
	buffer_load_dword v34, off, s[0:3], 0 offset:516
	buffer_load_dword v52, off, s[0:3], 0 offset:556
	buffer_load_dword v54, off, s[0:3], 0 offset:532
	buffer_load_dword v53, off, s[0:3], 0 offset:528
	buffer_load_dword v56, off, s[0:3], 0 offset:572
	buffer_load_dword v57, off, s[0:3], 0 offset:584
	buffer_load_dword v49, off, s[0:3], 0 offset:576
	buffer_load_dword v55, off, s[0:3], 0 offset:568
	buffer_load_dword v42, off, s[0:3], 0 offset:548
	ds_read_b128 v[62:65], v61 offset:1344
	s_clause 0x2
	buffer_load_dword v58, off, s[0:3], 0 offset:588
	buffer_load_dword v60, off, s[0:3], 0 offset:564
	;; [unrolled: 1-line block ×3, first 2 shown]
	ds_read_b128 v[70:73], v61 offset:1360
	s_clause 0x4
	buffer_load_dword v79, off, s[0:3], 0 offset:604
	buffer_load_dword v80, off, s[0:3], 0 offset:616
	;; [unrolled: 1-line block ×5, first 2 shown]
	ds_read_b128 v[74:77], v61 offset:1376
	s_clause 0x2
	buffer_load_dword v81, off, s[0:3], 0 offset:620
	buffer_load_dword v118, off, s[0:3], 0 offset:596
	;; [unrolled: 1-line block ×3, first 2 shown]
	s_mov_b32 s4, exec_lo
	s_waitcnt vmcnt(62) lgkmcnt(2)
	v_mul_f64 v[66:67], v[64:65], v[9:10]
	v_mul_f64 v[9:10], v[62:63], v[9:10]
	s_waitcnt lgkmcnt(1)
	v_mul_f64 v[83:84], v[72:73], v[5:6]
	s_waitcnt vmcnt(59) lgkmcnt(0)
	v_mul_f64 v[119:120], v[76:77], v[3:4]
	v_fma_f64 v[62:63], v[62:63], v[7:8], -v[66:67]
	v_mul_f64 v[66:67], v[70:71], v[5:6]
	v_fma_f64 v[9:10], v[64:65], v[7:8], v[9:10]
	s_waitcnt vmcnt(57)
	v_fma_f64 v[70:71], v[70:71], v[1:2], -v[83:84]
	ds_read_b128 v[5:8], v61 offset:1392
	v_mul_f64 v[64:65], v[74:75], v[3:4]
	s_waitcnt vmcnt(51)
	v_fma_f64 v[74:75], v[74:75], v[25:26], -v[119:120]
	v_add_f64 v[62:63], v[62:63], 0
	v_fma_f64 v[66:67], v[72:73], v[1:2], v[66:67]
	v_add_f64 v[9:10], v[9:10], 0
	s_clause 0x4
	buffer_load_dword v73, off, s[0:3], 0 offset:636
	buffer_load_dword v125, off, s[0:3], 0 offset:648
	;; [unrolled: 1-line block ×5, first 2 shown]
	s_waitcnt lgkmcnt(0)
	v_mul_f64 v[128:129], v[5:6], v[13:14]
	v_mul_f64 v[13:14], v[7:8], v[13:14]
	ds_read_b128 v[1:4], v61 offset:1408
	v_fma_f64 v[25:26], v[76:77], v[25:26], v[64:65]
	v_add_f64 v[70:71], v[62:63], v[70:71]
	v_add_f64 v[9:10], v[9:10], v[66:67]
	s_clause 0x2
	buffer_load_dword v126, off, s[0:3], 0 offset:652
	buffer_load_dword v67, off, s[0:3], 0 offset:628
	;; [unrolled: 1-line block ×3, first 2 shown]
	s_waitcnt vmcnt(58) lgkmcnt(0)
	v_mul_f64 v[76:77], v[1:2], v[17:18]
	v_mul_f64 v[17:18], v[3:4], v[17:18]
	s_waitcnt vmcnt(56)
	v_fma_f64 v[13:14], v[5:6], v[19:20], -v[13:14]
	ds_read_b128 v[62:65], v61 offset:1424
	v_fma_f64 v[19:20], v[7:8], v[19:20], v[128:129]
	v_add_f64 v[70:71], v[70:71], v[74:75]
	v_add_f64 v[9:10], v[9:10], v[25:26]
	s_clause 0x4
	buffer_load_dword v26, off, s[0:3], 0 offset:668
	buffer_load_dword v74, off, s[0:3], 0 offset:680
	;; [unrolled: 1-line block ×5, first 2 shown]
	ds_read_b128 v[5:8], v61 offset:1440
	s_waitcnt vmcnt(57) lgkmcnt(1)
	v_mul_f64 v[129:130], v[62:63], v[21:22]
	v_mul_f64 v[21:22], v[64:65], v[21:22]
	s_waitcnt vmcnt(56)
	v_fma_f64 v[17:18], v[1:2], v[11:12], -v[17:18]
	v_fma_f64 v[11:12], v[3:4], v[11:12], v[76:77]
	v_add_f64 v[13:14], v[70:71], v[13:14]
	v_add_f64 v[9:10], v[9:10], v[19:20]
	s_clause 0x2
	buffer_load_dword v75, off, s[0:3], 0 offset:684
	buffer_load_dword v20, off, s[0:3], 0 offset:660
	;; [unrolled: 1-line block ×3, first 2 shown]
	s_waitcnt vmcnt(58) lgkmcnt(0)
	v_mul_f64 v[70:71], v[5:6], v[27:28]
	v_mul_f64 v[27:28], v[7:8], v[27:28]
	s_waitcnt vmcnt(56)
	v_fma_f64 v[21:22], v[62:63], v[29:30], -v[21:22]
	ds_read_b128 v[1:4], v61 offset:1456
	v_add_f64 v[13:14], v[13:14], v[17:18]
	v_fma_f64 v[17:18], v[64:65], v[29:30], v[129:130]
	v_add_f64 v[29:30], v[9:10], v[11:12]
	s_clause 0x4
	buffer_load_dword v63, off, s[0:3], 0 offset:700
	buffer_load_dword v64, off, s[0:3], 0 offset:712
	;; [unrolled: 1-line block ×5, first 2 shown]
	ds_read_b128 v[9:12], v61 offset:1472
	s_waitcnt vmcnt(57) lgkmcnt(1)
	v_mul_f64 v[129:130], v[1:2], v[31:32]
	v_mul_f64 v[31:32], v[3:4], v[31:32]
	s_waitcnt vmcnt(56)
	v_fma_f64 v[27:28], v[5:6], v[15:16], -v[27:28]
	v_fma_f64 v[15:16], v[7:8], v[15:16], v[70:71]
	v_add_f64 v[13:14], v[13:14], v[21:22]
	s_clause 0x2
	buffer_load_dword v65, off, s[0:3], 0 offset:716
	buffer_load_dword v22, off, s[0:3], 0 offset:692
	;; [unrolled: 1-line block ×3, first 2 shown]
	v_add_f64 v[17:18], v[29:30], v[17:18]
	s_waitcnt vmcnt(58) lgkmcnt(0)
	v_mul_f64 v[29:30], v[9:10], v[35:36]
	v_mul_f64 v[35:36], v[11:12], v[35:36]
	ds_read_b128 v[5:8], v61 offset:1488
	s_waitcnt vmcnt(56)
	v_fma_f64 v[31:32], v[1:2], v[37:38], -v[31:32]
	v_add_f64 v[13:14], v[13:14], v[27:28]
	v_fma_f64 v[27:28], v[3:4], v[37:38], v[129:130]
	v_add_f64 v[15:16], v[17:18], v[15:16]
	s_clause 0x4
	buffer_load_dword v18, off, s[0:3], 0 offset:732
	buffer_load_dword v37, off, s[0:3], 0 offset:744
	;; [unrolled: 1-line block ×5, first 2 shown]
	s_waitcnt vmcnt(57) lgkmcnt(0)
	v_mul_f64 v[129:130], v[5:6], v[39:40]
	v_mul_f64 v[39:40], v[7:8], v[39:40]
	s_waitcnt vmcnt(56)
	v_fma_f64 v[35:36], v[9:10], v[23:24], -v[35:36]
	ds_read_b128 v[1:4], v61 offset:1504
	v_fma_f64 v[23:24], v[11:12], v[23:24], v[29:30]
	v_add_f64 v[13:14], v[13:14], v[31:32]
	v_add_f64 v[15:16], v[15:16], v[27:28]
	s_clause 0x2
	buffer_load_dword v38, off, s[0:3], 0 offset:748
	buffer_load_dword v28, off, s[0:3], 0 offset:724
	;; [unrolled: 1-line block ×3, first 2 shown]
	ds_read_b128 v[9:12], v61 offset:1520
	s_waitcnt vmcnt(58) lgkmcnt(1)
	v_mul_f64 v[31:32], v[3:4], v[43:44]
	s_waitcnt vmcnt(56)
	v_fma_f64 v[39:40], v[5:6], v[45:46], -v[39:40]
	v_mul_f64 v[29:30], v[1:2], v[43:44]
	v_add_f64 v[13:14], v[13:14], v[35:36]
	v_fma_f64 v[35:36], v[7:8], v[45:46], v[129:130]
	v_add_f64 v[15:16], v[15:16], v[23:24]
	s_clause 0x4
	buffer_load_dword v24, off, s[0:3], 0 offset:764
	buffer_load_dword v43, off, s[0:3], 0 offset:776
	;; [unrolled: 1-line block ×5, first 2 shown]
	s_waitcnt vmcnt(57) lgkmcnt(0)
	v_mul_f64 v[129:130], v[9:10], v[47:48]
	v_mul_f64 v[46:47], v[11:12], v[47:48]
	s_waitcnt vmcnt(56)
	v_fma_f64 v[31:32], v[1:2], v[33:34], -v[31:32]
	ds_read_b128 v[5:8], v61 offset:1536
	v_fma_f64 v[29:30], v[3:4], v[33:34], v[29:30]
	s_clause 0x2
	buffer_load_dword v44, off, s[0:3], 0 offset:780
	buffer_load_dword v34, off, s[0:3], 0 offset:756
	;; [unrolled: 1-line block ×3, first 2 shown]
	ds_read_b128 v[1:4], v61 offset:1552
	v_add_f64 v[13:14], v[13:14], v[39:40]
	v_add_f64 v[15:16], v[15:16], v[35:36]
	s_waitcnt vmcnt(58) lgkmcnt(1)
	v_mul_f64 v[39:40], v[7:8], v[51:52]
	s_waitcnt vmcnt(56)
	v_fma_f64 v[47:48], v[9:10], v[53:54], -v[46:47]
	v_mul_f64 v[35:36], v[5:6], v[51:52]
	v_add_f64 v[13:14], v[13:14], v[31:32]
	v_fma_f64 v[31:32], v[11:12], v[53:54], v[129:130]
	v_add_f64 v[15:16], v[15:16], v[29:30]
	s_clause 0x4
	buffer_load_dword v30, off, s[0:3], 0 offset:796
	buffer_load_dword v51, off, s[0:3], 0 offset:808
	;; [unrolled: 1-line block ×5, first 2 shown]
	s_waitcnt vmcnt(57) lgkmcnt(0)
	v_mul_f64 v[129:130], v[1:2], v[55:56]
	v_mul_f64 v[54:55], v[3:4], v[55:56]
	s_waitcnt vmcnt(56)
	v_fma_f64 v[39:40], v[5:6], v[41:42], -v[39:40]
	ds_read_b128 v[9:12], v61 offset:1568
	v_fma_f64 v[35:36], v[7:8], v[41:42], v[35:36]
	v_add_f64 v[13:14], v[13:14], v[47:48]
	v_add_f64 v[15:16], v[15:16], v[31:32]
	s_clause 0x2
	buffer_load_dword v52, off, s[0:3], 0 offset:812
	buffer_load_dword v32, off, s[0:3], 0 offset:788
	buffer_load_dword v31, off, s[0:3], 0 offset:784
	ds_read_b128 v[5:8], v61 offset:1584
	s_waitcnt vmcnt(58) lgkmcnt(1)
	v_mul_f64 v[47:48], v[11:12], v[57:58]
	s_waitcnt vmcnt(56)
	v_fma_f64 v[55:56], v[1:2], v[59:60], -v[54:55]
	v_mul_f64 v[41:42], v[9:10], v[57:58]
	v_add_f64 v[13:14], v[13:14], v[39:40]
	v_fma_f64 v[39:40], v[3:4], v[59:60], v[129:130]
	v_add_f64 v[15:16], v[15:16], v[35:36]
	s_clause 0x4
	buffer_load_dword v36, off, s[0:3], 0 offset:828
	buffer_load_dword v57, off, s[0:3], 0 offset:840
	;; [unrolled: 1-line block ×5, first 2 shown]
	s_waitcnt vmcnt(57) lgkmcnt(0)
	v_mul_f64 v[129:130], v[5:6], v[78:79]
	v_mul_f64 v[78:79], v[7:8], v[78:79]
	s_waitcnt vmcnt(56)
	v_fma_f64 v[47:48], v[9:10], v[49:50], -v[47:48]
	ds_read_b128 v[1:4], v61 offset:1600
	v_fma_f64 v[41:42], v[11:12], v[49:50], v[41:42]
	v_add_f64 v[13:14], v[13:14], v[55:56]
	v_add_f64 v[15:16], v[15:16], v[39:40]
	s_clause 0x2
	buffer_load_dword v58, off, s[0:3], 0 offset:844
	buffer_load_dword v40, off, s[0:3], 0 offset:820
	;; [unrolled: 1-line block ×3, first 2 shown]
	ds_read_b128 v[9:12], v61 offset:1616
	s_waitcnt vmcnt(58) lgkmcnt(1)
	v_mul_f64 v[55:56], v[3:4], v[80:81]
	s_waitcnt vmcnt(56)
	v_fma_f64 v[78:79], v[5:6], v[117:118], -v[78:79]
	v_mul_f64 v[49:50], v[1:2], v[80:81]
	v_add_f64 v[13:14], v[13:14], v[47:48]
	v_fma_f64 v[47:48], v[7:8], v[117:118], v[129:130]
	v_add_f64 v[15:16], v[15:16], v[41:42]
	s_clause 0x4
	buffer_load_dword v42, off, s[0:3], 0 offset:860
	buffer_load_dword v80, off, s[0:3], 0 offset:872
	;; [unrolled: 1-line block ×5, first 2 shown]
	ds_read_b128 v[5:8], v61 offset:1632
	s_waitcnt vmcnt(57) lgkmcnt(1)
	v_mul_f64 v[129:130], v[9:10], v[72:73]
	v_mul_f64 v[72:73], v[11:12], v[72:73]
	s_waitcnt vmcnt(56)
	v_fma_f64 v[55:56], v[1:2], v[82:83], -v[55:56]
	v_fma_f64 v[49:50], v[3:4], v[82:83], v[49:50]
	v_add_f64 v[13:14], v[13:14], v[78:79]
	v_add_f64 v[15:16], v[15:16], v[47:48]
	s_clause 0x2
	buffer_load_dword v81, off, s[0:3], 0 offset:876
	buffer_load_dword v48, off, s[0:3], 0 offset:852
	;; [unrolled: 1-line block ×3, first 2 shown]
	ds_read_b128 v[1:4], v61 offset:1648
	s_waitcnt vmcnt(58) lgkmcnt(1)
	v_mul_f64 v[82:83], v[7:8], v[125:126]
	v_mul_f64 v[78:79], v[5:6], v[125:126]
	s_waitcnt vmcnt(56)
	v_fma_f64 v[72:73], v[9:10], v[66:67], -v[72:73]
	v_add_f64 v[13:14], v[13:14], v[55:56]
	v_fma_f64 v[55:56], v[11:12], v[66:67], v[129:130]
	v_add_f64 v[15:16], v[15:16], v[49:50]
	s_clause 0x4
	buffer_load_dword v50, off, s[0:3], 0 offset:892
	buffer_load_dword v66, off, s[0:3], 0 offset:904
	buffer_load_dword v125, off, s[0:3], 0 offset:896
	buffer_load_dword v49, off, s[0:3], 0 offset:888
	buffer_load_dword v118, off, s[0:3], 0 offset:868
	ds_read_b128 v[9:12], v61 offset:1664
	s_waitcnt vmcnt(57) lgkmcnt(1)
	v_mul_f64 v[129:130], v[1:2], v[25:26]
	v_mul_f64 v[25:26], v[3:4], v[25:26]
	s_waitcnt vmcnt(56)
	v_fma_f64 v[82:83], v[5:6], v[127:128], -v[82:83]
	v_add_f64 v[13:14], v[13:14], v[72:73]
	v_fma_f64 v[72:73], v[7:8], v[127:128], v[78:79]
	v_add_f64 v[15:16], v[15:16], v[55:56]
	s_clause 0x2
	buffer_load_dword v67, off, s[0:3], 0 offset:908
	buffer_load_dword v56, off, s[0:3], 0 offset:884
	buffer_load_dword v55, off, s[0:3], 0 offset:880
	ds_read_b128 v[5:8], v61 offset:1680
	s_waitcnt vmcnt(58) lgkmcnt(1)
	v_mul_f64 v[78:79], v[9:10], v[74:75]
	v_mul_f64 v[74:75], v[11:12], v[74:75]
	s_waitcnt vmcnt(56)
	v_fma_f64 v[25:26], v[1:2], v[19:20], -v[25:26]
	v_fma_f64 v[19:20], v[3:4], v[19:20], v[129:130]
	v_add_f64 v[13:14], v[13:14], v[82:83]
	v_add_f64 v[15:16], v[15:16], v[72:73]
	s_clause 0x4
	buffer_load_dword v73, off, s[0:3], 0 offset:924
	buffer_load_dword v82, off, s[0:3], 0 offset:936
	buffer_load_dword v127, off, s[0:3], 0 offset:928
	buffer_load_dword v72, off, s[0:3], 0 offset:920
	buffer_load_dword v126, off, s[0:3], 0 offset:900
	ds_read_b128 v[1:4], v61 offset:1696
	s_waitcnt vmcnt(57) lgkmcnt(1)
	v_mul_f64 v[128:129], v[5:6], v[62:63]
	v_mul_f64 v[62:63], v[7:8], v[62:63]
	s_waitcnt vmcnt(56)
	v_fma_f64 v[74:75], v[9:10], v[119:120], -v[74:75]
	v_add_f64 v[13:14], v[13:14], v[25:26]
	v_fma_f64 v[25:26], v[11:12], v[119:120], v[78:79]
	v_add_f64 v[15:16], v[15:16], v[19:20]
	s_clause 0x2
	buffer_load_dword v83, off, s[0:3], 0 offset:940
	buffer_load_dword v20, off, s[0:3], 0 offset:916
	buffer_load_dword v19, off, s[0:3], 0 offset:912
	ds_read_b128 v[9:12], v61 offset:1712
	s_waitcnt vmcnt(58) lgkmcnt(1)
	v_mul_f64 v[78:79], v[1:2], v[64:65]
	v_mul_f64 v[64:65], v[3:4], v[64:65]
	s_waitcnt vmcnt(56)
	v_fma_f64 v[62:63], v[5:6], v[21:22], -v[62:63]
	v_fma_f64 v[21:22], v[7:8], v[21:22], v[128:129]
	v_add_f64 v[13:14], v[13:14], v[74:75]
	;; [unrolled: 28-line block ×3, first 2 shown]
	v_add_f64 v[15:16], v[15:16], v[62:63]
	s_clause 0x4
	buffer_load_dword v63, off, s[0:3], 0 offset:988
	buffer_load_dword v64, off, s[0:3], 0 offset:1000
	;; [unrolled: 1-line block ×5, first 2 shown]
	ds_read_b128 v[9:12], v61 offset:1760
	s_waitcnt vmcnt(57) lgkmcnt(1)
	v_mul_f64 v[129:130], v[1:2], v[23:24]
	v_mul_f64 v[23:24], v[3:4], v[23:24]
	s_waitcnt vmcnt(56)
	v_fma_f64 v[37:38], v[5:6], v[70:71], -v[37:38]
	v_add_f64 v[13:14], v[13:14], v[17:18]
	v_fma_f64 v[17:18], v[7:8], v[70:71], v[76:77]
	v_add_f64 v[15:16], v[15:16], v[27:28]
	s_clause 0x2
	buffer_load_dword v65, off, s[0:3], 0 offset:1004
	buffer_load_dword v28, off, s[0:3], 0 offset:980
	;; [unrolled: 1-line block ×3, first 2 shown]
	s_waitcnt vmcnt(58) lgkmcnt(0)
	v_mul_f64 v[70:71], v[9:10], v[43:44]
	v_mul_f64 v[43:44], v[11:12], v[43:44]
	ds_read_b128 v[5:8], v61 offset:1776
	s_waitcnt vmcnt(56)
	v_fma_f64 v[23:24], v[1:2], v[33:34], -v[23:24]
	v_fma_f64 v[33:34], v[3:4], v[33:34], v[129:130]
	v_add_f64 v[13:14], v[13:14], v[37:38]
	v_add_f64 v[15:16], v[15:16], v[17:18]
	s_clause 0x2
	buffer_load_dword v18, off, s[0:3], 0 offset:1020
	buffer_load_dword v17, off, s[0:3], 0 offset:1016
	;; [unrolled: 1-line block ×3, first 2 shown]
	ds_read_b128 v[1:4], v61 offset:1792
	s_waitcnt vmcnt(55) lgkmcnt(1)
	v_mul_f64 v[37:38], v[5:6], v[29:30]
	v_mul_f64 v[29:30], v[7:8], v[29:30]
	s_waitcnt vmcnt(54)
	v_fma_f64 v[43:44], v[9:10], v[45:46], -v[43:44]
	v_add_f64 v[13:14], v[13:14], v[23:24]
	v_fma_f64 v[23:24], v[11:12], v[45:46], v[70:71]
	v_add_f64 v[15:16], v[15:16], v[33:34]
	s_clause 0x1
	buffer_load_dword v34, off, s[0:3], 0 offset:1012
	buffer_load_dword v33, off, s[0:3], 0 offset:1008
	ds_read_b128 v[9:12], v61 offset:1808
	s_waitcnt vmcnt(55) lgkmcnt(1)
	v_mul_f64 v[45:46], v[1:2], v[51:52]
	v_mul_f64 v[51:52], v[3:4], v[51:52]
	s_waitcnt vmcnt(53)
	v_fma_f64 v[29:30], v[5:6], v[31:32], -v[29:30]
	v_fma_f64 v[31:32], v[7:8], v[31:32], v[37:38]
	ds_read_b128 v[5:8], v61 offset:1824
	v_add_f64 v[13:14], v[13:14], v[43:44]
	v_add_f64 v[15:16], v[15:16], v[23:24]
	s_waitcnt vmcnt(49) lgkmcnt(1)
	v_mul_f64 v[23:24], v[9:10], v[35:36]
	v_mul_f64 v[35:36], v[11:12], v[35:36]
	s_waitcnt vmcnt(48)
	v_fma_f64 v[37:38], v[1:2], v[53:54], -v[51:52]
	v_add_f64 v[13:14], v[13:14], v[29:30]
	v_fma_f64 v[29:30], v[3:4], v[53:54], v[45:46]
	v_add_f64 v[15:16], v[15:16], v[31:32]
	s_clause 0x3
	buffer_load_dword v31, off, s[0:3], 0 offset:336
	buffer_load_dword v32, off, s[0:3], 0 offset:340
	;; [unrolled: 1-line block ×4, first 2 shown]
	ds_read_b128 v[1:4], v61 offset:1840
	s_waitcnt vmcnt(51) lgkmcnt(1)
	v_mul_f64 v[51:52], v[7:8], v[57:58]
	v_mul_f64 v[45:46], v[5:6], v[57:58]
	s_waitcnt vmcnt(49)
	v_fma_f64 v[35:36], v[9:10], v[39:40], -v[35:36]
	v_fma_f64 v[23:24], v[11:12], v[39:40], v[23:24]
	ds_read_b128 v[9:12], v61 offset:1856
	v_add_f64 v[13:14], v[13:14], v[37:38]
	v_add_f64 v[15:16], v[15:16], v[29:30]
	s_waitcnt vmcnt(45) lgkmcnt(1)
	v_mul_f64 v[37:38], v[3:4], v[41:42]
	s_waitcnt vmcnt(44)
	v_fma_f64 v[39:40], v[5:6], v[59:60], -v[51:52]
	v_mul_f64 v[29:30], v[1:2], v[41:42]
	v_add_f64 v[13:14], v[13:14], v[35:36]
	v_fma_f64 v[35:36], v[7:8], v[59:60], v[45:46]
	v_add_f64 v[15:16], v[15:16], v[23:24]
	ds_read_b128 v[5:8], v61 offset:1872
	s_waitcnt vmcnt(43) lgkmcnt(1)
	v_mul_f64 v[41:42], v[11:12], v[80:81]
	v_mul_f64 v[23:24], v[9:10], v[80:81]
	s_waitcnt vmcnt(41)
	v_fma_f64 v[37:38], v[1:2], v[47:48], -v[37:38]
	v_fma_f64 v[29:30], v[3:4], v[47:48], v[29:30]
	ds_read_b128 v[1:4], v61 offset:1888
	v_add_f64 v[13:14], v[13:14], v[39:40]
	v_add_f64 v[15:16], v[15:16], v[35:36]
	s_waitcnt vmcnt(37) lgkmcnt(1)
	v_mul_f64 v[39:40], v[7:8], v[49:50]
	s_waitcnt vmcnt(36)
	v_fma_f64 v[41:42], v[9:10], v[117:118], -v[41:42]
	v_mul_f64 v[35:36], v[5:6], v[49:50]
	v_fma_f64 v[23:24], v[11:12], v[117:118], v[23:24]
	ds_read_b128 v[9:12], v61 offset:1904
	v_add_f64 v[13:14], v[13:14], v[37:38]
	v_add_f64 v[15:16], v[15:16], v[29:30]
	s_waitcnt vmcnt(35) lgkmcnt(1)
	v_mul_f64 v[37:38], v[3:4], v[66:67]
	v_mul_f64 v[29:30], v[1:2], v[66:67]
	s_waitcnt vmcnt(33)
	v_fma_f64 v[39:40], v[5:6], v[55:56], -v[39:40]
	v_fma_f64 v[35:36], v[7:8], v[55:56], v[35:36]
	ds_read_b128 v[5:8], v61 offset:1920
	v_add_f64 v[13:14], v[13:14], v[41:42]
	v_add_f64 v[15:16], v[15:16], v[23:24]
	s_waitcnt vmcnt(29) lgkmcnt(1)
	v_mul_f64 v[41:42], v[11:12], v[72:73]
	s_waitcnt vmcnt(28)
	v_fma_f64 v[37:38], v[1:2], v[125:126], -v[37:38]
	v_mul_f64 v[23:24], v[9:10], v[72:73]
	v_fma_f64 v[29:30], v[3:4], v[125:126], v[29:30]
	ds_read_b128 v[1:4], v61 offset:1936
	v_add_f64 v[13:14], v[13:14], v[39:40]
	v_add_f64 v[15:16], v[15:16], v[35:36]
	s_waitcnt vmcnt(27) lgkmcnt(1)
	v_mul_f64 v[39:40], v[7:8], v[82:83]
	v_mul_f64 v[35:36], v[5:6], v[82:83]
	s_waitcnt vmcnt(25)
	v_fma_f64 v[41:42], v[9:10], v[19:20], -v[41:42]
	v_fma_f64 v[19:20], v[11:12], v[19:20], v[23:24]
	ds_read_b128 v[9:12], v61 offset:1952
	v_add_f64 v[13:14], v[13:14], v[37:38]
	v_add_f64 v[15:16], v[15:16], v[29:30]
	s_waitcnt vmcnt(21) lgkmcnt(1)
	v_mul_f64 v[23:24], v[1:2], v[25:26]
	v_mul_f64 v[25:26], v[3:4], v[25:26]
	s_waitcnt vmcnt(20)
	v_fma_f64 v[29:30], v[5:6], v[127:128], -v[39:40]
	;; [unrolled: 9-line block ×3, first 2 shown]
	v_fma_f64 v[21:22], v[3:4], v[21:22], v[23:24]
	ds_read_b128 v[1:4], v61 offset:1984
	v_add_f64 v[13:14], v[13:14], v[29:30]
	v_add_f64 v[15:16], v[15:16], v[35:36]
	s_waitcnt vmcnt(13) lgkmcnt(1)
	v_mul_f64 v[29:30], v[7:8], v[62:63]
	s_waitcnt vmcnt(12)
	v_fma_f64 v[35:36], v[9:10], v[119:120], -v[37:38]
	v_mul_f64 v[23:24], v[5:6], v[62:63]
	v_fma_f64 v[19:20], v[11:12], v[119:120], v[19:20]
	ds_read_b128 v[9:12], v61 offset:2000
	v_add_f64 v[13:14], v[13:14], v[25:26]
	v_add_f64 v[15:16], v[15:16], v[21:22]
	s_waitcnt vmcnt(11) lgkmcnt(1)
	v_mul_f64 v[25:26], v[3:4], v[64:65]
	v_mul_f64 v[21:22], v[1:2], v[64:65]
	s_waitcnt vmcnt(9)
	v_fma_f64 v[5:6], v[5:6], v[27:28], -v[29:30]
	v_fma_f64 v[7:8], v[7:8], v[27:28], v[23:24]
	v_add_f64 v[13:14], v[13:14], v[35:36]
	v_add_f64 v[15:16], v[15:16], v[19:20]
	s_waitcnt vmcnt(7) lgkmcnt(0)
	v_mul_f64 v[19:20], v[9:10], v[17:18]
	v_mul_f64 v[17:18], v[11:12], v[17:18]
	s_waitcnt vmcnt(6)
	v_fma_f64 v[1:2], v[1:2], v[78:79], -v[25:26]
	v_fma_f64 v[3:4], v[3:4], v[78:79], v[21:22]
	v_add_f64 v[5:6], v[13:14], v[5:6]
	v_add_f64 v[7:8], v[15:16], v[7:8]
	s_waitcnt vmcnt(4)
	v_fma_f64 v[9:10], v[9:10], v[33:34], -v[17:18]
	v_add_f64 v[1:2], v[5:6], v[1:2]
	v_fma_f64 v[5:6], v[11:12], v[33:34], v[19:20]
	v_add_f64 v[3:4], v[7:8], v[3:4]
	v_add_f64 v[1:2], v[1:2], v[9:10]
	v_add_f64 v[3:4], v[3:4], v[5:6]
	s_waitcnt vmcnt(2)
	v_add_f64 v[1:2], v[31:32], -v[1:2]
	s_waitcnt vmcnt(0)
	v_add_f64 v[3:4], v[43:44], -v[3:4]
	buffer_store_dword v2, off, s[0:3], 0 offset:340
	buffer_store_dword v1, off, s[0:3], 0 offset:336
	;; [unrolled: 1-line block ×4, first 2 shown]
	v_cmpx_lt_u32_e32 19, v0
	s_cbranch_execz .LBB62_365
; %bb.364:
	v_mov_b32_e32 v4, s58
	v_mov_b32_e32 v5, 0
	s_clause 0x3
	buffer_load_dword v1, v4, s[0:3], 0 offen
	buffer_load_dword v2, v4, s[0:3], 0 offen offset:4
	buffer_load_dword v3, v4, s[0:3], 0 offen offset:8
	;; [unrolled: 1-line block ×3, first 2 shown]
	buffer_store_dword v5, off, s[0:3], 0 offset:320
	buffer_store_dword v5, off, s[0:3], 0 offset:324
	buffer_store_dword v5, off, s[0:3], 0 offset:328
	buffer_store_dword v5, off, s[0:3], 0 offset:332
	s_waitcnt vmcnt(0)
	ds_write_b128 v69, v[1:4]
.LBB62_365:
	s_or_b32 exec_lo, exec_lo, s4
	s_waitcnt lgkmcnt(0)
	s_waitcnt_vscnt null, 0x0
	s_barrier
	buffer_gl0_inv
	s_clause 0x37
	buffer_load_dword v9, off, s[0:3], 0 offset:344
	buffer_load_dword v10, off, s[0:3], 0 offset:348
	;; [unrolled: 1-line block ×56, first 2 shown]
	v_mov_b32_e32 v61, 0
	s_mov_b32 s4, exec_lo
	ds_read_b128 v[62:65], v61 offset:1328
	s_clause 0x2
	buffer_load_dword v58, off, s[0:3], 0 offset:572
	buffer_load_dword v60, off, s[0:3], 0 offset:548
	;; [unrolled: 1-line block ×3, first 2 shown]
	ds_read_b128 v[70:73], v61 offset:1344
	s_clause 0x4
	buffer_load_dword v79, off, s[0:3], 0 offset:588
	buffer_load_dword v80, off, s[0:3], 0 offset:600
	;; [unrolled: 1-line block ×5, first 2 shown]
	ds_read_b128 v[74:77], v61 offset:1360
	s_clause 0x2
	buffer_load_dword v81, off, s[0:3], 0 offset:604
	buffer_load_dword v118, off, s[0:3], 0 offset:580
	;; [unrolled: 1-line block ×3, first 2 shown]
	s_waitcnt vmcnt(62) lgkmcnt(2)
	v_mul_f64 v[66:67], v[64:65], v[9:10]
	v_mul_f64 v[9:10], v[62:63], v[9:10]
	s_waitcnt lgkmcnt(1)
	v_mul_f64 v[83:84], v[72:73], v[5:6]
	s_waitcnt vmcnt(59) lgkmcnt(0)
	v_mul_f64 v[119:120], v[76:77], v[3:4]
	v_fma_f64 v[62:63], v[62:63], v[7:8], -v[66:67]
	v_mul_f64 v[66:67], v[70:71], v[5:6]
	v_fma_f64 v[9:10], v[64:65], v[7:8], v[9:10]
	s_waitcnt vmcnt(57)
	v_fma_f64 v[70:71], v[70:71], v[1:2], -v[83:84]
	ds_read_b128 v[5:8], v61 offset:1376
	v_mul_f64 v[64:65], v[74:75], v[3:4]
	s_waitcnt vmcnt(51)
	v_fma_f64 v[74:75], v[74:75], v[25:26], -v[119:120]
	v_add_f64 v[62:63], v[62:63], 0
	v_fma_f64 v[66:67], v[72:73], v[1:2], v[66:67]
	v_add_f64 v[9:10], v[9:10], 0
	s_clause 0x4
	buffer_load_dword v73, off, s[0:3], 0 offset:620
	buffer_load_dword v125, off, s[0:3], 0 offset:632
	;; [unrolled: 1-line block ×5, first 2 shown]
	s_waitcnt lgkmcnt(0)
	v_mul_f64 v[128:129], v[5:6], v[13:14]
	v_mul_f64 v[13:14], v[7:8], v[13:14]
	ds_read_b128 v[1:4], v61 offset:1392
	v_fma_f64 v[25:26], v[76:77], v[25:26], v[64:65]
	v_add_f64 v[70:71], v[62:63], v[70:71]
	v_add_f64 v[9:10], v[9:10], v[66:67]
	s_clause 0x2
	buffer_load_dword v126, off, s[0:3], 0 offset:636
	buffer_load_dword v67, off, s[0:3], 0 offset:612
	;; [unrolled: 1-line block ×3, first 2 shown]
	s_waitcnt vmcnt(58) lgkmcnt(0)
	v_mul_f64 v[76:77], v[1:2], v[17:18]
	v_mul_f64 v[17:18], v[3:4], v[17:18]
	s_waitcnt vmcnt(56)
	v_fma_f64 v[13:14], v[5:6], v[19:20], -v[13:14]
	ds_read_b128 v[62:65], v61 offset:1408
	v_fma_f64 v[19:20], v[7:8], v[19:20], v[128:129]
	v_add_f64 v[70:71], v[70:71], v[74:75]
	v_add_f64 v[9:10], v[9:10], v[25:26]
	s_clause 0x4
	buffer_load_dword v26, off, s[0:3], 0 offset:652
	buffer_load_dword v74, off, s[0:3], 0 offset:664
	;; [unrolled: 1-line block ×5, first 2 shown]
	ds_read_b128 v[5:8], v61 offset:1424
	s_waitcnt vmcnt(57) lgkmcnt(1)
	v_mul_f64 v[129:130], v[62:63], v[21:22]
	v_mul_f64 v[21:22], v[64:65], v[21:22]
	s_waitcnt vmcnt(56)
	v_fma_f64 v[17:18], v[1:2], v[11:12], -v[17:18]
	v_fma_f64 v[11:12], v[3:4], v[11:12], v[76:77]
	v_add_f64 v[13:14], v[70:71], v[13:14]
	v_add_f64 v[9:10], v[9:10], v[19:20]
	s_clause 0x2
	buffer_load_dword v75, off, s[0:3], 0 offset:668
	buffer_load_dword v20, off, s[0:3], 0 offset:644
	;; [unrolled: 1-line block ×3, first 2 shown]
	s_waitcnt vmcnt(58) lgkmcnt(0)
	v_mul_f64 v[70:71], v[5:6], v[27:28]
	v_mul_f64 v[27:28], v[7:8], v[27:28]
	s_waitcnt vmcnt(56)
	v_fma_f64 v[21:22], v[62:63], v[29:30], -v[21:22]
	ds_read_b128 v[1:4], v61 offset:1440
	v_add_f64 v[13:14], v[13:14], v[17:18]
	v_fma_f64 v[17:18], v[64:65], v[29:30], v[129:130]
	v_add_f64 v[29:30], v[9:10], v[11:12]
	s_clause 0x4
	buffer_load_dword v63, off, s[0:3], 0 offset:684
	buffer_load_dword v64, off, s[0:3], 0 offset:696
	;; [unrolled: 1-line block ×5, first 2 shown]
	ds_read_b128 v[9:12], v61 offset:1456
	s_waitcnt vmcnt(57) lgkmcnt(1)
	v_mul_f64 v[129:130], v[1:2], v[31:32]
	v_mul_f64 v[31:32], v[3:4], v[31:32]
	s_waitcnt vmcnt(56)
	v_fma_f64 v[27:28], v[5:6], v[15:16], -v[27:28]
	v_fma_f64 v[15:16], v[7:8], v[15:16], v[70:71]
	v_add_f64 v[13:14], v[13:14], v[21:22]
	s_clause 0x2
	buffer_load_dword v65, off, s[0:3], 0 offset:700
	buffer_load_dword v22, off, s[0:3], 0 offset:676
	;; [unrolled: 1-line block ×3, first 2 shown]
	v_add_f64 v[17:18], v[29:30], v[17:18]
	s_waitcnt vmcnt(58) lgkmcnt(0)
	v_mul_f64 v[29:30], v[9:10], v[35:36]
	v_mul_f64 v[35:36], v[11:12], v[35:36]
	ds_read_b128 v[5:8], v61 offset:1472
	s_waitcnt vmcnt(56)
	v_fma_f64 v[31:32], v[1:2], v[37:38], -v[31:32]
	v_add_f64 v[13:14], v[13:14], v[27:28]
	v_fma_f64 v[27:28], v[3:4], v[37:38], v[129:130]
	v_add_f64 v[15:16], v[17:18], v[15:16]
	s_clause 0x4
	buffer_load_dword v18, off, s[0:3], 0 offset:716
	buffer_load_dword v37, off, s[0:3], 0 offset:728
	;; [unrolled: 1-line block ×5, first 2 shown]
	s_waitcnt vmcnt(57) lgkmcnt(0)
	v_mul_f64 v[129:130], v[5:6], v[39:40]
	v_mul_f64 v[39:40], v[7:8], v[39:40]
	s_waitcnt vmcnt(56)
	v_fma_f64 v[35:36], v[9:10], v[23:24], -v[35:36]
	ds_read_b128 v[1:4], v61 offset:1488
	v_fma_f64 v[23:24], v[11:12], v[23:24], v[29:30]
	v_add_f64 v[13:14], v[13:14], v[31:32]
	v_add_f64 v[15:16], v[15:16], v[27:28]
	s_clause 0x2
	buffer_load_dword v38, off, s[0:3], 0 offset:732
	buffer_load_dword v28, off, s[0:3], 0 offset:708
	;; [unrolled: 1-line block ×3, first 2 shown]
	ds_read_b128 v[9:12], v61 offset:1504
	s_waitcnt vmcnt(58) lgkmcnt(1)
	v_mul_f64 v[31:32], v[3:4], v[43:44]
	s_waitcnt vmcnt(56)
	v_fma_f64 v[39:40], v[5:6], v[45:46], -v[39:40]
	v_mul_f64 v[29:30], v[1:2], v[43:44]
	v_add_f64 v[13:14], v[13:14], v[35:36]
	v_fma_f64 v[35:36], v[7:8], v[45:46], v[129:130]
	v_add_f64 v[15:16], v[15:16], v[23:24]
	s_clause 0x4
	buffer_load_dword v24, off, s[0:3], 0 offset:748
	buffer_load_dword v43, off, s[0:3], 0 offset:760
	;; [unrolled: 1-line block ×5, first 2 shown]
	s_waitcnt vmcnt(57) lgkmcnt(0)
	v_mul_f64 v[129:130], v[9:10], v[47:48]
	v_mul_f64 v[46:47], v[11:12], v[47:48]
	s_waitcnt vmcnt(56)
	v_fma_f64 v[31:32], v[1:2], v[33:34], -v[31:32]
	ds_read_b128 v[5:8], v61 offset:1520
	v_fma_f64 v[29:30], v[3:4], v[33:34], v[29:30]
	s_clause 0x2
	buffer_load_dword v44, off, s[0:3], 0 offset:764
	buffer_load_dword v34, off, s[0:3], 0 offset:740
	;; [unrolled: 1-line block ×3, first 2 shown]
	ds_read_b128 v[1:4], v61 offset:1536
	v_add_f64 v[13:14], v[13:14], v[39:40]
	v_add_f64 v[15:16], v[15:16], v[35:36]
	s_waitcnt vmcnt(58) lgkmcnt(1)
	v_mul_f64 v[39:40], v[7:8], v[51:52]
	s_waitcnt vmcnt(56)
	v_fma_f64 v[47:48], v[9:10], v[53:54], -v[46:47]
	v_mul_f64 v[35:36], v[5:6], v[51:52]
	v_add_f64 v[13:14], v[13:14], v[31:32]
	v_fma_f64 v[31:32], v[11:12], v[53:54], v[129:130]
	v_add_f64 v[15:16], v[15:16], v[29:30]
	s_clause 0x4
	buffer_load_dword v30, off, s[0:3], 0 offset:780
	buffer_load_dword v51, off, s[0:3], 0 offset:792
	;; [unrolled: 1-line block ×5, first 2 shown]
	s_waitcnt vmcnt(57) lgkmcnt(0)
	v_mul_f64 v[129:130], v[1:2], v[55:56]
	v_mul_f64 v[54:55], v[3:4], v[55:56]
	s_waitcnt vmcnt(56)
	v_fma_f64 v[39:40], v[5:6], v[41:42], -v[39:40]
	ds_read_b128 v[9:12], v61 offset:1552
	v_fma_f64 v[35:36], v[7:8], v[41:42], v[35:36]
	v_add_f64 v[13:14], v[13:14], v[47:48]
	v_add_f64 v[15:16], v[15:16], v[31:32]
	s_clause 0x2
	buffer_load_dword v52, off, s[0:3], 0 offset:796
	buffer_load_dword v32, off, s[0:3], 0 offset:772
	;; [unrolled: 1-line block ×3, first 2 shown]
	ds_read_b128 v[5:8], v61 offset:1568
	s_waitcnt vmcnt(58) lgkmcnt(1)
	v_mul_f64 v[47:48], v[11:12], v[57:58]
	s_waitcnt vmcnt(56)
	v_fma_f64 v[55:56], v[1:2], v[59:60], -v[54:55]
	v_mul_f64 v[41:42], v[9:10], v[57:58]
	v_add_f64 v[13:14], v[13:14], v[39:40]
	v_fma_f64 v[39:40], v[3:4], v[59:60], v[129:130]
	v_add_f64 v[15:16], v[15:16], v[35:36]
	s_clause 0x4
	buffer_load_dword v36, off, s[0:3], 0 offset:812
	buffer_load_dword v57, off, s[0:3], 0 offset:824
	;; [unrolled: 1-line block ×5, first 2 shown]
	s_waitcnt vmcnt(57) lgkmcnt(0)
	v_mul_f64 v[129:130], v[5:6], v[78:79]
	v_mul_f64 v[78:79], v[7:8], v[78:79]
	s_waitcnt vmcnt(56)
	v_fma_f64 v[47:48], v[9:10], v[49:50], -v[47:48]
	ds_read_b128 v[1:4], v61 offset:1584
	v_fma_f64 v[41:42], v[11:12], v[49:50], v[41:42]
	v_add_f64 v[13:14], v[13:14], v[55:56]
	v_add_f64 v[15:16], v[15:16], v[39:40]
	s_clause 0x2
	buffer_load_dword v58, off, s[0:3], 0 offset:828
	buffer_load_dword v40, off, s[0:3], 0 offset:804
	;; [unrolled: 1-line block ×3, first 2 shown]
	ds_read_b128 v[9:12], v61 offset:1600
	s_waitcnt vmcnt(58) lgkmcnt(1)
	v_mul_f64 v[55:56], v[3:4], v[80:81]
	s_waitcnt vmcnt(56)
	v_fma_f64 v[78:79], v[5:6], v[117:118], -v[78:79]
	v_mul_f64 v[49:50], v[1:2], v[80:81]
	v_add_f64 v[13:14], v[13:14], v[47:48]
	v_fma_f64 v[47:48], v[7:8], v[117:118], v[129:130]
	v_add_f64 v[15:16], v[15:16], v[41:42]
	s_clause 0x4
	buffer_load_dword v42, off, s[0:3], 0 offset:844
	buffer_load_dword v80, off, s[0:3], 0 offset:856
	;; [unrolled: 1-line block ×5, first 2 shown]
	ds_read_b128 v[5:8], v61 offset:1616
	s_waitcnt vmcnt(57) lgkmcnt(1)
	v_mul_f64 v[129:130], v[9:10], v[72:73]
	v_mul_f64 v[72:73], v[11:12], v[72:73]
	s_waitcnt vmcnt(56)
	v_fma_f64 v[55:56], v[1:2], v[82:83], -v[55:56]
	v_fma_f64 v[49:50], v[3:4], v[82:83], v[49:50]
	v_add_f64 v[13:14], v[13:14], v[78:79]
	v_add_f64 v[15:16], v[15:16], v[47:48]
	s_clause 0x2
	buffer_load_dword v81, off, s[0:3], 0 offset:860
	buffer_load_dword v48, off, s[0:3], 0 offset:836
	;; [unrolled: 1-line block ×3, first 2 shown]
	ds_read_b128 v[1:4], v61 offset:1632
	s_waitcnt vmcnt(58) lgkmcnt(1)
	v_mul_f64 v[82:83], v[7:8], v[125:126]
	v_mul_f64 v[78:79], v[5:6], v[125:126]
	s_waitcnt vmcnt(56)
	v_fma_f64 v[72:73], v[9:10], v[66:67], -v[72:73]
	v_add_f64 v[13:14], v[13:14], v[55:56]
	v_fma_f64 v[55:56], v[11:12], v[66:67], v[129:130]
	v_add_f64 v[15:16], v[15:16], v[49:50]
	s_clause 0x4
	buffer_load_dword v50, off, s[0:3], 0 offset:876
	buffer_load_dword v66, off, s[0:3], 0 offset:888
	buffer_load_dword v125, off, s[0:3], 0 offset:880
	buffer_load_dword v49, off, s[0:3], 0 offset:872
	buffer_load_dword v118, off, s[0:3], 0 offset:852
	ds_read_b128 v[9:12], v61 offset:1648
	s_waitcnt vmcnt(57) lgkmcnt(1)
	v_mul_f64 v[129:130], v[1:2], v[25:26]
	v_mul_f64 v[25:26], v[3:4], v[25:26]
	s_waitcnt vmcnt(56)
	v_fma_f64 v[82:83], v[5:6], v[127:128], -v[82:83]
	v_add_f64 v[13:14], v[13:14], v[72:73]
	v_fma_f64 v[72:73], v[7:8], v[127:128], v[78:79]
	v_add_f64 v[15:16], v[15:16], v[55:56]
	s_clause 0x2
	buffer_load_dword v67, off, s[0:3], 0 offset:892
	buffer_load_dword v56, off, s[0:3], 0 offset:868
	buffer_load_dword v55, off, s[0:3], 0 offset:864
	ds_read_b128 v[5:8], v61 offset:1664
	s_waitcnt vmcnt(58) lgkmcnt(1)
	v_mul_f64 v[78:79], v[9:10], v[74:75]
	v_mul_f64 v[74:75], v[11:12], v[74:75]
	s_waitcnt vmcnt(56)
	v_fma_f64 v[25:26], v[1:2], v[19:20], -v[25:26]
	v_fma_f64 v[19:20], v[3:4], v[19:20], v[129:130]
	v_add_f64 v[13:14], v[13:14], v[82:83]
	v_add_f64 v[15:16], v[15:16], v[72:73]
	s_clause 0x4
	buffer_load_dword v73, off, s[0:3], 0 offset:908
	buffer_load_dword v82, off, s[0:3], 0 offset:920
	buffer_load_dword v127, off, s[0:3], 0 offset:912
	buffer_load_dword v72, off, s[0:3], 0 offset:904
	buffer_load_dword v126, off, s[0:3], 0 offset:884
	ds_read_b128 v[1:4], v61 offset:1680
	s_waitcnt vmcnt(57) lgkmcnt(1)
	v_mul_f64 v[128:129], v[5:6], v[62:63]
	v_mul_f64 v[62:63], v[7:8], v[62:63]
	s_waitcnt vmcnt(56)
	v_fma_f64 v[74:75], v[9:10], v[119:120], -v[74:75]
	v_add_f64 v[13:14], v[13:14], v[25:26]
	v_fma_f64 v[25:26], v[11:12], v[119:120], v[78:79]
	v_add_f64 v[15:16], v[15:16], v[19:20]
	s_clause 0x2
	buffer_load_dword v83, off, s[0:3], 0 offset:924
	buffer_load_dword v20, off, s[0:3], 0 offset:900
	buffer_load_dword v19, off, s[0:3], 0 offset:896
	ds_read_b128 v[9:12], v61 offset:1696
	s_waitcnt vmcnt(58) lgkmcnt(1)
	v_mul_f64 v[78:79], v[1:2], v[64:65]
	v_mul_f64 v[64:65], v[3:4], v[64:65]
	s_waitcnt vmcnt(56)
	v_fma_f64 v[62:63], v[5:6], v[21:22], -v[62:63]
	v_fma_f64 v[21:22], v[7:8], v[21:22], v[128:129]
	v_add_f64 v[13:14], v[13:14], v[74:75]
	;; [unrolled: 28-line block ×3, first 2 shown]
	v_add_f64 v[15:16], v[15:16], v[62:63]
	s_clause 0x4
	buffer_load_dword v63, off, s[0:3], 0 offset:972
	buffer_load_dword v64, off, s[0:3], 0 offset:984
	;; [unrolled: 1-line block ×5, first 2 shown]
	ds_read_b128 v[9:12], v61 offset:1744
	s_waitcnt vmcnt(57) lgkmcnt(1)
	v_mul_f64 v[129:130], v[1:2], v[23:24]
	v_mul_f64 v[23:24], v[3:4], v[23:24]
	s_waitcnt vmcnt(56)
	v_fma_f64 v[37:38], v[5:6], v[70:71], -v[37:38]
	v_add_f64 v[13:14], v[13:14], v[17:18]
	v_fma_f64 v[17:18], v[7:8], v[70:71], v[76:77]
	v_add_f64 v[15:16], v[15:16], v[27:28]
	s_clause 0x2
	buffer_load_dword v65, off, s[0:3], 0 offset:988
	buffer_load_dword v28, off, s[0:3], 0 offset:964
	;; [unrolled: 1-line block ×3, first 2 shown]
	s_waitcnt vmcnt(58) lgkmcnt(0)
	v_mul_f64 v[70:71], v[9:10], v[43:44]
	v_mul_f64 v[43:44], v[11:12], v[43:44]
	ds_read_b128 v[5:8], v61 offset:1760
	s_waitcnt vmcnt(56)
	v_fma_f64 v[23:24], v[1:2], v[33:34], -v[23:24]
	v_fma_f64 v[33:34], v[3:4], v[33:34], v[129:130]
	v_add_f64 v[13:14], v[13:14], v[37:38]
	v_add_f64 v[15:16], v[15:16], v[17:18]
	s_clause 0x4
	buffer_load_dword v18, off, s[0:3], 0 offset:1004
	buffer_load_dword v37, off, s[0:3], 0 offset:1016
	buffer_load_dword v76, off, s[0:3], 0 offset:1008
	buffer_load_dword v17, off, s[0:3], 0 offset:1000
	buffer_load_dword v79, off, s[0:3], 0 offset:980
	ds_read_b128 v[1:4], v61 offset:1776
	s_waitcnt vmcnt(57) lgkmcnt(1)
	v_mul_f64 v[129:130], v[5:6], v[29:30]
	v_mul_f64 v[29:30], v[7:8], v[29:30]
	s_waitcnt vmcnt(56)
	v_fma_f64 v[43:44], v[9:10], v[45:46], -v[43:44]
	v_add_f64 v[13:14], v[13:14], v[23:24]
	v_fma_f64 v[23:24], v[11:12], v[45:46], v[70:71]
	v_add_f64 v[15:16], v[15:16], v[33:34]
	s_clause 0x2
	buffer_load_dword v38, off, s[0:3], 0 offset:1020
	buffer_load_dword v34, off, s[0:3], 0 offset:996
	;; [unrolled: 1-line block ×3, first 2 shown]
	ds_read_b128 v[9:12], v61 offset:1792
	buffer_load_dword v77, off, s[0:3], 0 offset:1012
	s_waitcnt vmcnt(59) lgkmcnt(1)
	v_mul_f64 v[45:46], v[1:2], v[51:52]
	v_mul_f64 v[51:52], v[3:4], v[51:52]
	s_waitcnt vmcnt(57)
	v_fma_f64 v[29:30], v[5:6], v[31:32], -v[29:30]
	v_fma_f64 v[31:32], v[7:8], v[31:32], v[129:130]
	ds_read_b128 v[5:8], v61 offset:1808
	v_add_f64 v[13:14], v[13:14], v[43:44]
	v_add_f64 v[15:16], v[15:16], v[23:24]
	s_waitcnt vmcnt(53) lgkmcnt(1)
	v_mul_f64 v[23:24], v[9:10], v[35:36]
	v_mul_f64 v[35:36], v[11:12], v[35:36]
	s_waitcnt vmcnt(52)
	v_fma_f64 v[43:44], v[1:2], v[53:54], -v[51:52]
	v_add_f64 v[13:14], v[13:14], v[29:30]
	v_fma_f64 v[29:30], v[3:4], v[53:54], v[45:46]
	v_add_f64 v[15:16], v[15:16], v[31:32]
	ds_read_b128 v[1:4], v61 offset:1824
	s_waitcnt vmcnt(51) lgkmcnt(1)
	v_mul_f64 v[45:46], v[7:8], v[57:58]
	v_mul_f64 v[31:32], v[5:6], v[57:58]
	s_waitcnt vmcnt(49)
	v_fma_f64 v[35:36], v[9:10], v[39:40], -v[35:36]
	v_fma_f64 v[23:24], v[11:12], v[39:40], v[23:24]
	v_add_f64 v[13:14], v[13:14], v[43:44]
	v_add_f64 v[15:16], v[15:16], v[29:30]
	s_clause 0x3
	buffer_load_dword v29, off, s[0:3], 0 offset:320
	buffer_load_dword v30, off, s[0:3], 0 offset:324
	;; [unrolled: 1-line block ×4, first 2 shown]
	ds_read_b128 v[9:12], v61 offset:1840
	s_waitcnt vmcnt(49) lgkmcnt(1)
	v_mul_f64 v[43:44], v[1:2], v[41:42]
	v_mul_f64 v[41:42], v[3:4], v[41:42]
	s_waitcnt vmcnt(48)
	v_fma_f64 v[45:46], v[5:6], v[59:60], -v[45:46]
	v_fma_f64 v[31:32], v[7:8], v[59:60], v[31:32]
	ds_read_b128 v[5:8], v61 offset:1856
	v_add_f64 v[13:14], v[13:14], v[35:36]
	v_add_f64 v[15:16], v[15:16], v[23:24]
	s_waitcnt vmcnt(47) lgkmcnt(1)
	v_mul_f64 v[35:36], v[11:12], v[80:81]
	v_mul_f64 v[23:24], v[9:10], v[80:81]
	s_waitcnt vmcnt(45)
	v_fma_f64 v[41:42], v[1:2], v[47:48], -v[41:42]
	v_fma_f64 v[43:44], v[3:4], v[47:48], v[43:44]
	ds_read_b128 v[1:4], v61 offset:1872
	v_add_f64 v[13:14], v[13:14], v[45:46]
	v_add_f64 v[15:16], v[15:16], v[31:32]
	s_waitcnt vmcnt(41) lgkmcnt(1)
	v_mul_f64 v[45:46], v[7:8], v[49:50]
	s_waitcnt vmcnt(40)
	v_fma_f64 v[35:36], v[9:10], v[117:118], -v[35:36]
	v_mul_f64 v[31:32], v[5:6], v[49:50]
	v_fma_f64 v[23:24], v[11:12], v[117:118], v[23:24]
	ds_read_b128 v[9:12], v61 offset:1888
	v_add_f64 v[13:14], v[13:14], v[41:42]
	v_add_f64 v[15:16], v[15:16], v[43:44]
	s_waitcnt vmcnt(39) lgkmcnt(1)
	v_mul_f64 v[43:44], v[3:4], v[66:67]
	v_mul_f64 v[41:42], v[1:2], v[66:67]
	s_waitcnt vmcnt(37)
	v_fma_f64 v[45:46], v[5:6], v[55:56], -v[45:46]
	v_fma_f64 v[31:32], v[7:8], v[55:56], v[31:32]
	ds_read_b128 v[5:8], v61 offset:1904
	v_add_f64 v[13:14], v[13:14], v[35:36]
	v_add_f64 v[15:16], v[15:16], v[23:24]
	s_waitcnt vmcnt(33) lgkmcnt(1)
	v_mul_f64 v[35:36], v[11:12], v[72:73]
	s_waitcnt vmcnt(32)
	v_fma_f64 v[43:44], v[1:2], v[125:126], -v[43:44]
	v_mul_f64 v[23:24], v[9:10], v[72:73]
	v_fma_f64 v[41:42], v[3:4], v[125:126], v[41:42]
	ds_read_b128 v[1:4], v61 offset:1920
	v_add_f64 v[13:14], v[13:14], v[45:46]
	v_add_f64 v[15:16], v[15:16], v[31:32]
	s_waitcnt vmcnt(31) lgkmcnt(1)
	v_mul_f64 v[45:46], v[7:8], v[82:83]
	v_mul_f64 v[31:32], v[5:6], v[82:83]
	s_waitcnt vmcnt(29)
	v_fma_f64 v[35:36], v[9:10], v[19:20], -v[35:36]
	v_fma_f64 v[19:20], v[11:12], v[19:20], v[23:24]
	ds_read_b128 v[9:12], v61 offset:1936
	v_add_f64 v[13:14], v[13:14], v[43:44]
	v_add_f64 v[15:16], v[15:16], v[41:42]
	s_waitcnt vmcnt(25) lgkmcnt(1)
	v_mul_f64 v[23:24], v[1:2], v[25:26]
	v_mul_f64 v[25:26], v[3:4], v[25:26]
	s_waitcnt vmcnt(24)
	v_fma_f64 v[41:42], v[5:6], v[127:128], -v[45:46]
	;; [unrolled: 9-line block ×3, first 2 shown]
	v_fma_f64 v[21:22], v[3:4], v[21:22], v[23:24]
	ds_read_b128 v[1:4], v61 offset:1968
	v_add_f64 v[13:14], v[13:14], v[41:42]
	v_add_f64 v[15:16], v[15:16], v[31:32]
	s_waitcnt vmcnt(17) lgkmcnt(1)
	v_mul_f64 v[31:32], v[7:8], v[62:63]
	s_waitcnt vmcnt(16)
	v_fma_f64 v[35:36], v[9:10], v[119:120], -v[35:36]
	v_mul_f64 v[23:24], v[5:6], v[62:63]
	v_fma_f64 v[19:20], v[11:12], v[119:120], v[19:20]
	ds_read_b128 v[9:12], v61 offset:1984
	v_add_f64 v[13:14], v[13:14], v[25:26]
	v_add_f64 v[15:16], v[15:16], v[21:22]
	s_waitcnt vmcnt(15) lgkmcnt(1)
	v_mul_f64 v[25:26], v[3:4], v[64:65]
	v_mul_f64 v[21:22], v[1:2], v[64:65]
	s_waitcnt vmcnt(13)
	v_fma_f64 v[31:32], v[5:6], v[27:28], -v[31:32]
	v_fma_f64 v[23:24], v[7:8], v[27:28], v[23:24]
	ds_read_b128 v[5:8], v61 offset:2000
	v_add_f64 v[13:14], v[13:14], v[35:36]
	v_add_f64 v[15:16], v[15:16], v[19:20]
	s_waitcnt vmcnt(9) lgkmcnt(1)
	v_mul_f64 v[19:20], v[9:10], v[17:18]
	v_mul_f64 v[17:18], v[11:12], v[17:18]
	s_waitcnt vmcnt(8)
	v_fma_f64 v[1:2], v[1:2], v[78:79], -v[25:26]
	v_fma_f64 v[3:4], v[3:4], v[78:79], v[21:22]
	v_add_f64 v[13:14], v[13:14], v[31:32]
	v_add_f64 v[15:16], v[15:16], v[23:24]
	s_waitcnt vmcnt(7) lgkmcnt(0)
	v_mul_f64 v[23:24], v[7:8], v[37:38]
	v_mul_f64 v[21:22], v[5:6], v[37:38]
	s_waitcnt vmcnt(5)
	v_fma_f64 v[9:10], v[9:10], v[33:34], -v[17:18]
	v_fma_f64 v[11:12], v[11:12], v[33:34], v[19:20]
	v_add_f64 v[1:2], v[13:14], v[1:2]
	v_add_f64 v[3:4], v[15:16], v[3:4]
	s_waitcnt vmcnt(4)
	v_fma_f64 v[5:6], v[5:6], v[76:77], -v[23:24]
	v_fma_f64 v[7:8], v[7:8], v[76:77], v[21:22]
	v_add_f64 v[1:2], v[1:2], v[9:10]
	v_add_f64 v[3:4], v[3:4], v[11:12]
	;; [unrolled: 1-line block ×4, first 2 shown]
	s_waitcnt vmcnt(2)
	v_add_f64 v[1:2], v[29:30], -v[1:2]
	s_waitcnt vmcnt(0)
	v_add_f64 v[3:4], v[39:40], -v[3:4]
	buffer_store_dword v2, off, s[0:3], 0 offset:324
	buffer_store_dword v1, off, s[0:3], 0 offset:320
	;; [unrolled: 1-line block ×4, first 2 shown]
	v_cmpx_lt_u32_e32 18, v0
	s_cbranch_execz .LBB62_367
; %bb.366:
	v_mov_b32_e32 v4, s59
	s_clause 0x3
	buffer_load_dword v1, v4, s[0:3], 0 offen
	buffer_load_dword v2, v4, s[0:3], 0 offen offset:4
	buffer_load_dword v3, v4, s[0:3], 0 offen offset:8
	;; [unrolled: 1-line block ×3, first 2 shown]
	buffer_store_dword v61, off, s[0:3], 0 offset:304
	buffer_store_dword v61, off, s[0:3], 0 offset:308
	;; [unrolled: 1-line block ×4, first 2 shown]
	s_waitcnt vmcnt(0)
	ds_write_b128 v69, v[1:4]
.LBB62_367:
	s_or_b32 exec_lo, exec_lo, s4
	s_waitcnt lgkmcnt(0)
	s_waitcnt_vscnt null, 0x0
	s_barrier
	buffer_gl0_inv
	s_clause 0x37
	buffer_load_dword v9, off, s[0:3], 0 offset:328
	buffer_load_dword v10, off, s[0:3], 0 offset:332
	;; [unrolled: 1-line block ×56, first 2 shown]
	ds_read_b128 v[62:65], v61 offset:1312
	s_clause 0x2
	buffer_load_dword v58, off, s[0:3], 0 offset:556
	buffer_load_dword v60, off, s[0:3], 0 offset:532
	;; [unrolled: 1-line block ×3, first 2 shown]
	ds_read_b128 v[70:73], v61 offset:1328
	s_clause 0x4
	buffer_load_dword v79, off, s[0:3], 0 offset:572
	buffer_load_dword v80, off, s[0:3], 0 offset:584
	;; [unrolled: 1-line block ×5, first 2 shown]
	ds_read_b128 v[74:77], v61 offset:1344
	s_clause 0x2
	buffer_load_dword v81, off, s[0:3], 0 offset:588
	buffer_load_dword v118, off, s[0:3], 0 offset:564
	;; [unrolled: 1-line block ×3, first 2 shown]
	s_mov_b32 s4, exec_lo
	s_waitcnt vmcnt(62) lgkmcnt(2)
	v_mul_f64 v[66:67], v[64:65], v[9:10]
	v_mul_f64 v[9:10], v[62:63], v[9:10]
	s_waitcnt lgkmcnt(1)
	v_mul_f64 v[83:84], v[72:73], v[5:6]
	s_waitcnt vmcnt(59) lgkmcnt(0)
	v_mul_f64 v[119:120], v[76:77], v[3:4]
	v_fma_f64 v[62:63], v[62:63], v[7:8], -v[66:67]
	v_mul_f64 v[66:67], v[70:71], v[5:6]
	v_fma_f64 v[9:10], v[64:65], v[7:8], v[9:10]
	s_waitcnt vmcnt(57)
	v_fma_f64 v[70:71], v[70:71], v[1:2], -v[83:84]
	ds_read_b128 v[5:8], v61 offset:1360
	v_mul_f64 v[64:65], v[74:75], v[3:4]
	s_waitcnt vmcnt(51)
	v_fma_f64 v[74:75], v[74:75], v[25:26], -v[119:120]
	v_add_f64 v[62:63], v[62:63], 0
	v_fma_f64 v[66:67], v[72:73], v[1:2], v[66:67]
	v_add_f64 v[9:10], v[9:10], 0
	s_clause 0x4
	buffer_load_dword v73, off, s[0:3], 0 offset:604
	buffer_load_dword v125, off, s[0:3], 0 offset:616
	;; [unrolled: 1-line block ×5, first 2 shown]
	s_waitcnt lgkmcnt(0)
	v_mul_f64 v[128:129], v[5:6], v[13:14]
	v_mul_f64 v[13:14], v[7:8], v[13:14]
	ds_read_b128 v[1:4], v61 offset:1376
	v_fma_f64 v[25:26], v[76:77], v[25:26], v[64:65]
	v_add_f64 v[70:71], v[62:63], v[70:71]
	v_add_f64 v[9:10], v[9:10], v[66:67]
	s_clause 0x2
	buffer_load_dword v126, off, s[0:3], 0 offset:620
	buffer_load_dword v67, off, s[0:3], 0 offset:596
	;; [unrolled: 1-line block ×3, first 2 shown]
	s_waitcnt vmcnt(58) lgkmcnt(0)
	v_mul_f64 v[76:77], v[1:2], v[17:18]
	v_mul_f64 v[17:18], v[3:4], v[17:18]
	s_waitcnt vmcnt(56)
	v_fma_f64 v[13:14], v[5:6], v[19:20], -v[13:14]
	ds_read_b128 v[62:65], v61 offset:1392
	v_fma_f64 v[19:20], v[7:8], v[19:20], v[128:129]
	v_add_f64 v[70:71], v[70:71], v[74:75]
	v_add_f64 v[9:10], v[9:10], v[25:26]
	s_clause 0x4
	buffer_load_dword v26, off, s[0:3], 0 offset:636
	buffer_load_dword v74, off, s[0:3], 0 offset:648
	;; [unrolled: 1-line block ×5, first 2 shown]
	ds_read_b128 v[5:8], v61 offset:1408
	s_waitcnt vmcnt(57) lgkmcnt(1)
	v_mul_f64 v[129:130], v[62:63], v[21:22]
	v_mul_f64 v[21:22], v[64:65], v[21:22]
	s_waitcnt vmcnt(56)
	v_fma_f64 v[17:18], v[1:2], v[11:12], -v[17:18]
	v_fma_f64 v[11:12], v[3:4], v[11:12], v[76:77]
	v_add_f64 v[13:14], v[70:71], v[13:14]
	v_add_f64 v[9:10], v[9:10], v[19:20]
	s_clause 0x2
	buffer_load_dword v75, off, s[0:3], 0 offset:652
	buffer_load_dword v20, off, s[0:3], 0 offset:628
	;; [unrolled: 1-line block ×3, first 2 shown]
	s_waitcnt vmcnt(58) lgkmcnt(0)
	v_mul_f64 v[70:71], v[5:6], v[27:28]
	v_mul_f64 v[27:28], v[7:8], v[27:28]
	s_waitcnt vmcnt(56)
	v_fma_f64 v[21:22], v[62:63], v[29:30], -v[21:22]
	ds_read_b128 v[1:4], v61 offset:1424
	v_add_f64 v[13:14], v[13:14], v[17:18]
	v_fma_f64 v[17:18], v[64:65], v[29:30], v[129:130]
	v_add_f64 v[29:30], v[9:10], v[11:12]
	s_clause 0x4
	buffer_load_dword v63, off, s[0:3], 0 offset:668
	buffer_load_dword v64, off, s[0:3], 0 offset:680
	;; [unrolled: 1-line block ×5, first 2 shown]
	ds_read_b128 v[9:12], v61 offset:1440
	s_waitcnt vmcnt(57) lgkmcnt(1)
	v_mul_f64 v[129:130], v[1:2], v[31:32]
	v_mul_f64 v[31:32], v[3:4], v[31:32]
	s_waitcnt vmcnt(56)
	v_fma_f64 v[27:28], v[5:6], v[15:16], -v[27:28]
	v_fma_f64 v[15:16], v[7:8], v[15:16], v[70:71]
	v_add_f64 v[13:14], v[13:14], v[21:22]
	s_clause 0x2
	buffer_load_dword v65, off, s[0:3], 0 offset:684
	buffer_load_dword v22, off, s[0:3], 0 offset:660
	;; [unrolled: 1-line block ×3, first 2 shown]
	v_add_f64 v[17:18], v[29:30], v[17:18]
	s_waitcnt vmcnt(58) lgkmcnt(0)
	v_mul_f64 v[29:30], v[9:10], v[35:36]
	v_mul_f64 v[35:36], v[11:12], v[35:36]
	ds_read_b128 v[5:8], v61 offset:1456
	s_waitcnt vmcnt(56)
	v_fma_f64 v[31:32], v[1:2], v[37:38], -v[31:32]
	v_add_f64 v[13:14], v[13:14], v[27:28]
	v_fma_f64 v[27:28], v[3:4], v[37:38], v[129:130]
	v_add_f64 v[15:16], v[17:18], v[15:16]
	s_clause 0x4
	buffer_load_dword v18, off, s[0:3], 0 offset:700
	buffer_load_dword v37, off, s[0:3], 0 offset:712
	;; [unrolled: 1-line block ×5, first 2 shown]
	s_waitcnt vmcnt(57) lgkmcnt(0)
	v_mul_f64 v[129:130], v[5:6], v[39:40]
	v_mul_f64 v[39:40], v[7:8], v[39:40]
	s_waitcnt vmcnt(56)
	v_fma_f64 v[35:36], v[9:10], v[23:24], -v[35:36]
	ds_read_b128 v[1:4], v61 offset:1472
	v_fma_f64 v[23:24], v[11:12], v[23:24], v[29:30]
	v_add_f64 v[13:14], v[13:14], v[31:32]
	v_add_f64 v[15:16], v[15:16], v[27:28]
	s_clause 0x2
	buffer_load_dword v38, off, s[0:3], 0 offset:716
	buffer_load_dword v28, off, s[0:3], 0 offset:692
	buffer_load_dword v27, off, s[0:3], 0 offset:688
	ds_read_b128 v[9:12], v61 offset:1488
	s_waitcnt vmcnt(58) lgkmcnt(1)
	v_mul_f64 v[31:32], v[3:4], v[43:44]
	s_waitcnt vmcnt(56)
	v_fma_f64 v[39:40], v[5:6], v[45:46], -v[39:40]
	v_mul_f64 v[29:30], v[1:2], v[43:44]
	v_add_f64 v[13:14], v[13:14], v[35:36]
	v_fma_f64 v[35:36], v[7:8], v[45:46], v[129:130]
	v_add_f64 v[15:16], v[15:16], v[23:24]
	s_clause 0x4
	buffer_load_dword v24, off, s[0:3], 0 offset:732
	buffer_load_dword v43, off, s[0:3], 0 offset:744
	;; [unrolled: 1-line block ×5, first 2 shown]
	s_waitcnt vmcnt(57) lgkmcnt(0)
	v_mul_f64 v[129:130], v[9:10], v[47:48]
	v_mul_f64 v[46:47], v[11:12], v[47:48]
	s_waitcnt vmcnt(56)
	v_fma_f64 v[31:32], v[1:2], v[33:34], -v[31:32]
	ds_read_b128 v[5:8], v61 offset:1504
	v_fma_f64 v[29:30], v[3:4], v[33:34], v[29:30]
	s_clause 0x2
	buffer_load_dword v44, off, s[0:3], 0 offset:748
	buffer_load_dword v34, off, s[0:3], 0 offset:724
	;; [unrolled: 1-line block ×3, first 2 shown]
	ds_read_b128 v[1:4], v61 offset:1520
	v_add_f64 v[13:14], v[13:14], v[39:40]
	v_add_f64 v[15:16], v[15:16], v[35:36]
	s_waitcnt vmcnt(58) lgkmcnt(1)
	v_mul_f64 v[39:40], v[7:8], v[51:52]
	s_waitcnt vmcnt(56)
	v_fma_f64 v[47:48], v[9:10], v[53:54], -v[46:47]
	v_mul_f64 v[35:36], v[5:6], v[51:52]
	v_add_f64 v[13:14], v[13:14], v[31:32]
	v_fma_f64 v[31:32], v[11:12], v[53:54], v[129:130]
	v_add_f64 v[15:16], v[15:16], v[29:30]
	s_clause 0x4
	buffer_load_dword v30, off, s[0:3], 0 offset:764
	buffer_load_dword v51, off, s[0:3], 0 offset:776
	buffer_load_dword v53, off, s[0:3], 0 offset:768
	buffer_load_dword v29, off, s[0:3], 0 offset:760
	buffer_load_dword v46, off, s[0:3], 0 offset:740
	s_waitcnt vmcnt(57) lgkmcnt(0)
	v_mul_f64 v[129:130], v[1:2], v[55:56]
	v_mul_f64 v[54:55], v[3:4], v[55:56]
	s_waitcnt vmcnt(56)
	v_fma_f64 v[39:40], v[5:6], v[41:42], -v[39:40]
	ds_read_b128 v[9:12], v61 offset:1536
	v_fma_f64 v[35:36], v[7:8], v[41:42], v[35:36]
	v_add_f64 v[13:14], v[13:14], v[47:48]
	v_add_f64 v[15:16], v[15:16], v[31:32]
	s_clause 0x2
	buffer_load_dword v52, off, s[0:3], 0 offset:780
	buffer_load_dword v32, off, s[0:3], 0 offset:756
	;; [unrolled: 1-line block ×3, first 2 shown]
	ds_read_b128 v[5:8], v61 offset:1552
	s_waitcnt vmcnt(58) lgkmcnt(1)
	v_mul_f64 v[47:48], v[11:12], v[57:58]
	s_waitcnt vmcnt(56)
	v_fma_f64 v[55:56], v[1:2], v[59:60], -v[54:55]
	v_mul_f64 v[41:42], v[9:10], v[57:58]
	v_add_f64 v[13:14], v[13:14], v[39:40]
	v_fma_f64 v[39:40], v[3:4], v[59:60], v[129:130]
	v_add_f64 v[15:16], v[15:16], v[35:36]
	s_clause 0x4
	buffer_load_dword v36, off, s[0:3], 0 offset:796
	buffer_load_dword v57, off, s[0:3], 0 offset:808
	;; [unrolled: 1-line block ×5, first 2 shown]
	s_waitcnt vmcnt(57) lgkmcnt(0)
	v_mul_f64 v[129:130], v[5:6], v[78:79]
	v_mul_f64 v[78:79], v[7:8], v[78:79]
	s_waitcnt vmcnt(56)
	v_fma_f64 v[47:48], v[9:10], v[49:50], -v[47:48]
	ds_read_b128 v[1:4], v61 offset:1568
	v_fma_f64 v[41:42], v[11:12], v[49:50], v[41:42]
	v_add_f64 v[13:14], v[13:14], v[55:56]
	v_add_f64 v[15:16], v[15:16], v[39:40]
	s_clause 0x2
	buffer_load_dword v58, off, s[0:3], 0 offset:812
	buffer_load_dword v40, off, s[0:3], 0 offset:788
	buffer_load_dword v39, off, s[0:3], 0 offset:784
	ds_read_b128 v[9:12], v61 offset:1584
	s_waitcnt vmcnt(58) lgkmcnt(1)
	v_mul_f64 v[55:56], v[3:4], v[80:81]
	s_waitcnt vmcnt(56)
	v_fma_f64 v[78:79], v[5:6], v[117:118], -v[78:79]
	v_mul_f64 v[49:50], v[1:2], v[80:81]
	v_add_f64 v[13:14], v[13:14], v[47:48]
	v_fma_f64 v[47:48], v[7:8], v[117:118], v[129:130]
	v_add_f64 v[15:16], v[15:16], v[41:42]
	s_clause 0x4
	buffer_load_dword v42, off, s[0:3], 0 offset:828
	buffer_load_dword v80, off, s[0:3], 0 offset:840
	;; [unrolled: 1-line block ×5, first 2 shown]
	ds_read_b128 v[5:8], v61 offset:1600
	s_waitcnt vmcnt(57) lgkmcnt(1)
	v_mul_f64 v[129:130], v[9:10], v[72:73]
	v_mul_f64 v[72:73], v[11:12], v[72:73]
	s_waitcnt vmcnt(56)
	v_fma_f64 v[55:56], v[1:2], v[82:83], -v[55:56]
	v_fma_f64 v[49:50], v[3:4], v[82:83], v[49:50]
	v_add_f64 v[13:14], v[13:14], v[78:79]
	v_add_f64 v[15:16], v[15:16], v[47:48]
	s_clause 0x2
	buffer_load_dword v81, off, s[0:3], 0 offset:844
	buffer_load_dword v48, off, s[0:3], 0 offset:820
	;; [unrolled: 1-line block ×3, first 2 shown]
	ds_read_b128 v[1:4], v61 offset:1616
	s_waitcnt vmcnt(58) lgkmcnt(1)
	v_mul_f64 v[82:83], v[7:8], v[125:126]
	v_mul_f64 v[78:79], v[5:6], v[125:126]
	s_waitcnt vmcnt(56)
	v_fma_f64 v[72:73], v[9:10], v[66:67], -v[72:73]
	v_add_f64 v[13:14], v[13:14], v[55:56]
	v_fma_f64 v[55:56], v[11:12], v[66:67], v[129:130]
	v_add_f64 v[15:16], v[15:16], v[49:50]
	s_clause 0x4
	buffer_load_dword v50, off, s[0:3], 0 offset:860
	buffer_load_dword v66, off, s[0:3], 0 offset:872
	buffer_load_dword v125, off, s[0:3], 0 offset:864
	buffer_load_dword v49, off, s[0:3], 0 offset:856
	buffer_load_dword v118, off, s[0:3], 0 offset:836
	ds_read_b128 v[9:12], v61 offset:1632
	s_waitcnt vmcnt(57) lgkmcnt(1)
	v_mul_f64 v[129:130], v[1:2], v[25:26]
	v_mul_f64 v[25:26], v[3:4], v[25:26]
	s_waitcnt vmcnt(56)
	v_fma_f64 v[82:83], v[5:6], v[127:128], -v[82:83]
	v_add_f64 v[13:14], v[13:14], v[72:73]
	v_fma_f64 v[72:73], v[7:8], v[127:128], v[78:79]
	v_add_f64 v[15:16], v[15:16], v[55:56]
	s_clause 0x2
	buffer_load_dword v67, off, s[0:3], 0 offset:876
	buffer_load_dword v56, off, s[0:3], 0 offset:852
	buffer_load_dword v55, off, s[0:3], 0 offset:848
	ds_read_b128 v[5:8], v61 offset:1648
	s_waitcnt vmcnt(58) lgkmcnt(1)
	v_mul_f64 v[78:79], v[9:10], v[74:75]
	v_mul_f64 v[74:75], v[11:12], v[74:75]
	s_waitcnt vmcnt(56)
	v_fma_f64 v[25:26], v[1:2], v[19:20], -v[25:26]
	v_fma_f64 v[19:20], v[3:4], v[19:20], v[129:130]
	v_add_f64 v[13:14], v[13:14], v[82:83]
	v_add_f64 v[15:16], v[15:16], v[72:73]
	s_clause 0x4
	buffer_load_dword v73, off, s[0:3], 0 offset:892
	buffer_load_dword v82, off, s[0:3], 0 offset:904
	buffer_load_dword v127, off, s[0:3], 0 offset:896
	buffer_load_dword v72, off, s[0:3], 0 offset:888
	buffer_load_dword v126, off, s[0:3], 0 offset:868
	ds_read_b128 v[1:4], v61 offset:1664
	s_waitcnt vmcnt(57) lgkmcnt(1)
	v_mul_f64 v[128:129], v[5:6], v[62:63]
	v_mul_f64 v[62:63], v[7:8], v[62:63]
	s_waitcnt vmcnt(56)
	v_fma_f64 v[74:75], v[9:10], v[119:120], -v[74:75]
	v_add_f64 v[13:14], v[13:14], v[25:26]
	v_fma_f64 v[25:26], v[11:12], v[119:120], v[78:79]
	v_add_f64 v[15:16], v[15:16], v[19:20]
	s_clause 0x2
	buffer_load_dword v83, off, s[0:3], 0 offset:908
	buffer_load_dword v20, off, s[0:3], 0 offset:884
	buffer_load_dword v19, off, s[0:3], 0 offset:880
	ds_read_b128 v[9:12], v61 offset:1680
	s_waitcnt vmcnt(58) lgkmcnt(1)
	v_mul_f64 v[78:79], v[1:2], v[64:65]
	v_mul_f64 v[64:65], v[3:4], v[64:65]
	s_waitcnt vmcnt(56)
	v_fma_f64 v[62:63], v[5:6], v[21:22], -v[62:63]
	v_fma_f64 v[21:22], v[7:8], v[21:22], v[128:129]
	v_add_f64 v[13:14], v[13:14], v[74:75]
	;; [unrolled: 28-line block ×3, first 2 shown]
	v_add_f64 v[15:16], v[15:16], v[62:63]
	s_clause 0x4
	buffer_load_dword v63, off, s[0:3], 0 offset:956
	buffer_load_dword v64, off, s[0:3], 0 offset:968
	;; [unrolled: 1-line block ×5, first 2 shown]
	ds_read_b128 v[9:12], v61 offset:1728
	s_waitcnt vmcnt(57) lgkmcnt(1)
	v_mul_f64 v[129:130], v[1:2], v[23:24]
	v_mul_f64 v[23:24], v[3:4], v[23:24]
	s_waitcnt vmcnt(56)
	v_fma_f64 v[37:38], v[5:6], v[70:71], -v[37:38]
	v_add_f64 v[13:14], v[13:14], v[17:18]
	v_fma_f64 v[17:18], v[7:8], v[70:71], v[76:77]
	v_add_f64 v[15:16], v[15:16], v[27:28]
	s_clause 0x2
	buffer_load_dword v65, off, s[0:3], 0 offset:972
	buffer_load_dword v28, off, s[0:3], 0 offset:948
	;; [unrolled: 1-line block ×3, first 2 shown]
	s_waitcnt vmcnt(58) lgkmcnt(0)
	v_mul_f64 v[70:71], v[9:10], v[43:44]
	v_mul_f64 v[43:44], v[11:12], v[43:44]
	ds_read_b128 v[5:8], v61 offset:1744
	s_waitcnt vmcnt(56)
	v_fma_f64 v[23:24], v[1:2], v[33:34], -v[23:24]
	v_fma_f64 v[33:34], v[3:4], v[33:34], v[129:130]
	v_add_f64 v[13:14], v[13:14], v[37:38]
	v_add_f64 v[15:16], v[15:16], v[17:18]
	s_clause 0x4
	buffer_load_dword v18, off, s[0:3], 0 offset:988
	buffer_load_dword v37, off, s[0:3], 0 offset:1000
	;; [unrolled: 1-line block ×5, first 2 shown]
	ds_read_b128 v[1:4], v61 offset:1760
	s_waitcnt vmcnt(57) lgkmcnt(1)
	v_mul_f64 v[129:130], v[5:6], v[29:30]
	v_mul_f64 v[29:30], v[7:8], v[29:30]
	s_waitcnt vmcnt(56)
	v_fma_f64 v[43:44], v[9:10], v[45:46], -v[43:44]
	v_add_f64 v[13:14], v[13:14], v[23:24]
	v_fma_f64 v[23:24], v[11:12], v[45:46], v[70:71]
	v_add_f64 v[15:16], v[15:16], v[33:34]
	s_clause 0x2
	buffer_load_dword v38, off, s[0:3], 0 offset:1004
	buffer_load_dword v34, off, s[0:3], 0 offset:980
	;; [unrolled: 1-line block ×3, first 2 shown]
	ds_read_b128 v[9:12], v61 offset:1776
	s_waitcnt vmcnt(58) lgkmcnt(1)
	v_mul_f64 v[45:46], v[1:2], v[51:52]
	v_mul_f64 v[51:52], v[3:4], v[51:52]
	s_waitcnt vmcnt(56)
	v_fma_f64 v[29:30], v[5:6], v[31:32], -v[29:30]
	v_fma_f64 v[31:32], v[7:8], v[31:32], v[129:130]
	v_add_f64 v[13:14], v[13:14], v[43:44]
	v_add_f64 v[15:16], v[15:16], v[23:24]
	s_clause 0x2
	buffer_load_dword v24, off, s[0:3], 0 offset:1020
	buffer_load_dword v23, off, s[0:3], 0 offset:1016
	;; [unrolled: 1-line block ×3, first 2 shown]
	ds_read_b128 v[5:8], v61 offset:1792
	s_waitcnt vmcnt(55) lgkmcnt(1)
	v_mul_f64 v[43:44], v[9:10], v[35:36]
	v_mul_f64 v[35:36], v[11:12], v[35:36]
	s_waitcnt vmcnt(54)
	v_fma_f64 v[51:52], v[1:2], v[53:54], -v[51:52]
	v_add_f64 v[13:14], v[13:14], v[29:30]
	v_fma_f64 v[29:30], v[3:4], v[53:54], v[45:46]
	v_add_f64 v[15:16], v[15:16], v[31:32]
	s_clause 0x1
	buffer_load_dword v32, off, s[0:3], 0 offset:1012
	buffer_load_dword v31, off, s[0:3], 0 offset:1008
	ds_read_b128 v[1:4], v61 offset:1808
	s_waitcnt vmcnt(55) lgkmcnt(1)
	v_mul_f64 v[53:54], v[7:8], v[57:58]
	v_mul_f64 v[45:46], v[5:6], v[57:58]
	s_waitcnt vmcnt(53)
	v_fma_f64 v[35:36], v[9:10], v[39:40], -v[35:36]
	v_fma_f64 v[39:40], v[11:12], v[39:40], v[43:44]
	ds_read_b128 v[9:12], v61 offset:1824
	v_add_f64 v[13:14], v[13:14], v[51:52]
	v_add_f64 v[15:16], v[15:16], v[29:30]
	s_waitcnt vmcnt(49) lgkmcnt(1)
	v_mul_f64 v[29:30], v[1:2], v[41:42]
	v_mul_f64 v[41:42], v[3:4], v[41:42]
	s_waitcnt vmcnt(48)
	v_fma_f64 v[43:44], v[5:6], v[59:60], -v[53:54]
	v_add_f64 v[13:14], v[13:14], v[35:36]
	v_fma_f64 v[35:36], v[7:8], v[59:60], v[45:46]
	v_add_f64 v[15:16], v[15:16], v[39:40]
	s_clause 0x3
	buffer_load_dword v39, off, s[0:3], 0 offset:304
	buffer_load_dword v40, off, s[0:3], 0 offset:308
	;; [unrolled: 1-line block ×4, first 2 shown]
	ds_read_b128 v[5:8], v61 offset:1840
	s_waitcnt vmcnt(51) lgkmcnt(1)
	v_mul_f64 v[53:54], v[11:12], v[80:81]
	v_mul_f64 v[51:52], v[9:10], v[80:81]
	s_waitcnt vmcnt(49)
	v_fma_f64 v[41:42], v[1:2], v[47:48], -v[41:42]
	v_fma_f64 v[29:30], v[3:4], v[47:48], v[29:30]
	ds_read_b128 v[1:4], v61 offset:1856
	v_add_f64 v[13:14], v[13:14], v[43:44]
	v_add_f64 v[15:16], v[15:16], v[35:36]
	s_waitcnt vmcnt(45) lgkmcnt(1)
	v_mul_f64 v[43:44], v[7:8], v[49:50]
	s_waitcnt vmcnt(44)
	v_fma_f64 v[47:48], v[9:10], v[117:118], -v[53:54]
	v_mul_f64 v[35:36], v[5:6], v[49:50]
	v_add_f64 v[13:14], v[13:14], v[41:42]
	v_fma_f64 v[41:42], v[11:12], v[117:118], v[51:52]
	v_add_f64 v[15:16], v[15:16], v[29:30]
	ds_read_b128 v[9:12], v61 offset:1872
	s_waitcnt vmcnt(43) lgkmcnt(1)
	v_mul_f64 v[49:50], v[3:4], v[66:67]
	v_mul_f64 v[29:30], v[1:2], v[66:67]
	s_waitcnt vmcnt(41)
	v_fma_f64 v[43:44], v[5:6], v[55:56], -v[43:44]
	v_fma_f64 v[35:36], v[7:8], v[55:56], v[35:36]
	ds_read_b128 v[5:8], v61 offset:1888
	v_add_f64 v[13:14], v[13:14], v[47:48]
	v_add_f64 v[15:16], v[15:16], v[41:42]
	s_waitcnt vmcnt(37) lgkmcnt(1)
	v_mul_f64 v[47:48], v[11:12], v[72:73]
	s_waitcnt vmcnt(36)
	v_fma_f64 v[49:50], v[1:2], v[125:126], -v[49:50]
	v_mul_f64 v[41:42], v[9:10], v[72:73]
	v_fma_f64 v[29:30], v[3:4], v[125:126], v[29:30]
	ds_read_b128 v[1:4], v61 offset:1904
	v_add_f64 v[13:14], v[13:14], v[43:44]
	v_add_f64 v[15:16], v[15:16], v[35:36]
	s_waitcnt vmcnt(35) lgkmcnt(1)
	v_mul_f64 v[43:44], v[7:8], v[82:83]
	v_mul_f64 v[35:36], v[5:6], v[82:83]
	s_waitcnt vmcnt(33)
	v_fma_f64 v[47:48], v[9:10], v[19:20], -v[47:48]
	v_fma_f64 v[19:20], v[11:12], v[19:20], v[41:42]
	ds_read_b128 v[9:12], v61 offset:1920
	v_add_f64 v[13:14], v[13:14], v[49:50]
	v_add_f64 v[15:16], v[15:16], v[29:30]
	s_waitcnt vmcnt(29) lgkmcnt(1)
	v_mul_f64 v[29:30], v[1:2], v[25:26]
	v_mul_f64 v[25:26], v[3:4], v[25:26]
	s_waitcnt vmcnt(28)
	v_fma_f64 v[41:42], v[5:6], v[127:128], -v[43:44]
	;; [unrolled: 9-line block ×3, first 2 shown]
	v_fma_f64 v[21:22], v[3:4], v[21:22], v[29:30]
	ds_read_b128 v[1:4], v61 offset:1952
	v_add_f64 v[13:14], v[13:14], v[41:42]
	v_add_f64 v[15:16], v[15:16], v[35:36]
	s_waitcnt vmcnt(21) lgkmcnt(1)
	v_mul_f64 v[35:36], v[7:8], v[62:63]
	s_waitcnt vmcnt(20)
	v_fma_f64 v[41:42], v[9:10], v[119:120], -v[43:44]
	v_mul_f64 v[29:30], v[5:6], v[62:63]
	v_fma_f64 v[19:20], v[11:12], v[119:120], v[19:20]
	ds_read_b128 v[9:12], v61 offset:1968
	v_add_f64 v[13:14], v[13:14], v[25:26]
	v_add_f64 v[15:16], v[15:16], v[21:22]
	s_waitcnt vmcnt(19) lgkmcnt(1)
	v_mul_f64 v[25:26], v[3:4], v[64:65]
	v_mul_f64 v[21:22], v[1:2], v[64:65]
	s_waitcnt vmcnt(17)
	v_fma_f64 v[35:36], v[5:6], v[27:28], -v[35:36]
	v_fma_f64 v[27:28], v[7:8], v[27:28], v[29:30]
	ds_read_b128 v[5:8], v61 offset:1984
	v_add_f64 v[13:14], v[13:14], v[41:42]
	v_add_f64 v[15:16], v[15:16], v[19:20]
	s_waitcnt vmcnt(13) lgkmcnt(1)
	v_mul_f64 v[19:20], v[9:10], v[17:18]
	v_mul_f64 v[17:18], v[11:12], v[17:18]
	s_waitcnt vmcnt(12)
	v_fma_f64 v[25:26], v[1:2], v[78:79], -v[25:26]
	;; [unrolled: 9-line block ×3, first 2 shown]
	v_fma_f64 v[11:12], v[11:12], v[33:34], v[19:20]
	v_add_f64 v[13:14], v[13:14], v[25:26]
	v_add_f64 v[15:16], v[15:16], v[21:22]
	s_waitcnt vmcnt(7) lgkmcnt(0)
	v_mul_f64 v[19:20], v[3:4], v[23:24]
	s_waitcnt vmcnt(6)
	v_fma_f64 v[5:6], v[5:6], v[76:77], -v[29:30]
	v_mul_f64 v[17:18], v[1:2], v[23:24]
	v_fma_f64 v[7:8], v[7:8], v[76:77], v[27:28]
	v_add_f64 v[9:10], v[13:14], v[9:10]
	v_add_f64 v[11:12], v[15:16], v[11:12]
	s_waitcnt vmcnt(4)
	v_fma_f64 v[1:2], v[1:2], v[31:32], -v[19:20]
	v_fma_f64 v[3:4], v[3:4], v[31:32], v[17:18]
	v_add_f64 v[5:6], v[9:10], v[5:6]
	v_add_f64 v[7:8], v[11:12], v[7:8]
	;; [unrolled: 1-line block ×4, first 2 shown]
	s_waitcnt vmcnt(2)
	v_add_f64 v[1:2], v[39:40], -v[1:2]
	s_waitcnt vmcnt(0)
	v_add_f64 v[3:4], v[45:46], -v[3:4]
	buffer_store_dword v2, off, s[0:3], 0 offset:308
	buffer_store_dword v1, off, s[0:3], 0 offset:304
	;; [unrolled: 1-line block ×4, first 2 shown]
	v_cmpx_lt_u32_e32 17, v0
	s_cbranch_execz .LBB62_369
; %bb.368:
	v_mov_b32_e32 v4, s60
	v_mov_b32_e32 v5, 0
	s_clause 0x3
	buffer_load_dword v1, v4, s[0:3], 0 offen
	buffer_load_dword v2, v4, s[0:3], 0 offen offset:4
	buffer_load_dword v3, v4, s[0:3], 0 offen offset:8
	;; [unrolled: 1-line block ×3, first 2 shown]
	buffer_store_dword v5, off, s[0:3], 0 offset:288
	buffer_store_dword v5, off, s[0:3], 0 offset:292
	buffer_store_dword v5, off, s[0:3], 0 offset:296
	buffer_store_dword v5, off, s[0:3], 0 offset:300
	s_waitcnt vmcnt(0)
	ds_write_b128 v69, v[1:4]
.LBB62_369:
	s_or_b32 exec_lo, exec_lo, s4
	s_waitcnt lgkmcnt(0)
	s_waitcnt_vscnt null, 0x0
	s_barrier
	buffer_gl0_inv
	s_clause 0x37
	buffer_load_dword v13, off, s[0:3], 0 offset:312
	buffer_load_dword v14, off, s[0:3], 0 offset:316
	;; [unrolled: 1-line block ×56, first 2 shown]
	v_mov_b32_e32 v70, 0
	s_mov_b32 s4, exec_lo
	ds_read_b128 v[65:68], v70 offset:1296
	s_clause 0x2
	buffer_load_dword v62, off, s[0:3], 0 offset:540
	buffer_load_dword v64, off, s[0:3], 0 offset:516
	;; [unrolled: 1-line block ×3, first 2 shown]
	ds_read_b128 v[1:4], v70 offset:1312
	s_clause 0x4
	buffer_load_dword v78, off, s[0:3], 0 offset:556
	buffer_load_dword v79, off, s[0:3], 0 offset:568
	;; [unrolled: 1-line block ×5, first 2 shown]
	ds_read_b128 v[71:74], v70 offset:1328
	s_waitcnt vmcnt(62) lgkmcnt(2)
	v_mul_f64 v[75:76], v[67:68], v[13:14]
	v_mul_f64 v[13:14], v[65:66], v[13:14]
	s_waitcnt vmcnt(60) lgkmcnt(1)
	v_mul_f64 v[82:83], v[3:4], v[9:10]
	s_waitcnt vmcnt(56) lgkmcnt(0)
	v_mul_f64 v[117:118], v[71:72], v[7:8]
	v_mul_f64 v[7:8], v[73:74], v[7:8]
	v_fma_f64 v[65:66], v[65:66], v[11:12], -v[75:76]
	v_mul_f64 v[75:76], v[1:2], v[9:10]
	v_fma_f64 v[13:14], v[67:68], v[11:12], v[13:14]
	s_clause 0x2
	buffer_load_dword v80, off, s[0:3], 0 offset:572
	buffer_load_dword v68, off, s[0:3], 0 offset:548
	buffer_load_dword v67, off, s[0:3], 0 offset:544
	s_waitcnt vmcnt(57)
	v_fma_f64 v[83:84], v[1:2], v[5:6], -v[82:83]
	ds_read_b128 v[9:12], v70 offset:1344
	s_waitcnt vmcnt(51)
	v_fma_f64 v[71:72], v[71:72], v[29:30], -v[7:8]
	v_fma_f64 v[29:30], v[73:74], v[29:30], v[117:118]
	v_add_f64 v[65:66], v[65:66], 0
	v_fma_f64 v[5:6], v[3:4], v[5:6], v[75:76]
	v_add_f64 v[13:14], v[13:14], 0
	s_clause 0x4
	buffer_load_dword v76, off, s[0:3], 0 offset:588
	buffer_load_dword v119, off, s[0:3], 0 offset:600
	;; [unrolled: 1-line block ×5, first 2 shown]
	s_waitcnt lgkmcnt(0)
	v_mul_f64 v[126:127], v[9:10], v[17:18]
	v_mul_f64 v[17:18], v[11:12], v[17:18]
	ds_read_b128 v[1:4], v70 offset:1360
	s_clause 0x2
	buffer_load_dword v120, off, s[0:3], 0 offset:604
	buffer_load_dword v74, off, s[0:3], 0 offset:580
	;; [unrolled: 1-line block ×3, first 2 shown]
	v_add_f64 v[65:66], v[65:66], v[83:84]
	v_add_f64 v[13:14], v[13:14], v[5:6]
	ds_read_b128 v[5:8], v70 offset:1376
	s_waitcnt vmcnt(58) lgkmcnt(1)
	v_mul_f64 v[83:84], v[1:2], v[21:22]
	v_mul_f64 v[21:22], v[3:4], v[21:22]
	s_waitcnt vmcnt(56)
	v_fma_f64 v[17:18], v[9:10], v[23:24], -v[17:18]
	v_fma_f64 v[23:24], v[11:12], v[23:24], v[126:127]
	v_add_f64 v[65:66], v[65:66], v[71:72]
	s_waitcnt vmcnt(52) lgkmcnt(0)
	v_mul_f64 v[127:128], v[5:6], v[25:26]
	v_add_f64 v[13:14], v[13:14], v[29:30]
	s_clause 0x4
	buffer_load_dword v30, off, s[0:3], 0 offset:620
	buffer_load_dword v71, off, s[0:3], 0 offset:632
	;; [unrolled: 1-line block ×5, first 2 shown]
	v_mul_f64 v[25:26], v[7:8], v[25:26]
	s_waitcnt vmcnt(56)
	v_fma_f64 v[21:22], v[1:2], v[15:16], -v[21:22]
	ds_read_b128 v[9:12], v70 offset:1392
	v_fma_f64 v[15:16], v[3:4], v[15:16], v[83:84]
	v_add_f64 v[17:18], v[65:66], v[17:18]
	v_add_f64 v[13:14], v[13:14], v[23:24]
	s_clause 0x2
	buffer_load_dword v72, off, s[0:3], 0 offset:636
	buffer_load_dword v24, off, s[0:3], 0 offset:612
	;; [unrolled: 1-line block ×3, first 2 shown]
	s_waitcnt vmcnt(58) lgkmcnt(0)
	v_mul_f64 v[65:66], v[9:10], v[31:32]
	v_mul_f64 v[31:32], v[11:12], v[31:32]
	s_waitcnt vmcnt(56)
	v_fma_f64 v[25:26], v[5:6], v[33:34], -v[25:26]
	ds_read_b128 v[1:4], v70 offset:1408
	v_add_f64 v[17:18], v[17:18], v[21:22]
	v_fma_f64 v[21:22], v[7:8], v[33:34], v[127:128]
	v_add_f64 v[13:14], v[13:14], v[15:16]
	s_clause 0x4
	buffer_load_dword v16, off, s[0:3], 0 offset:652
	buffer_load_dword v33, off, s[0:3], 0 offset:664
	;; [unrolled: 1-line block ×5, first 2 shown]
	ds_read_b128 v[5:8], v70 offset:1424
	s_waitcnt vmcnt(57) lgkmcnt(1)
	v_mul_f64 v[127:128], v[1:2], v[35:36]
	v_mul_f64 v[35:36], v[3:4], v[35:36]
	s_waitcnt vmcnt(56)
	v_fma_f64 v[31:32], v[9:10], v[19:20], -v[31:32]
	v_fma_f64 v[19:20], v[11:12], v[19:20], v[65:66]
	v_add_f64 v[17:18], v[17:18], v[25:26]
	v_add_f64 v[13:14], v[13:14], v[21:22]
	s_clause 0x2
	buffer_load_dword v34, off, s[0:3], 0 offset:668
	buffer_load_dword v22, off, s[0:3], 0 offset:644
	;; [unrolled: 1-line block ×3, first 2 shown]
	s_waitcnt vmcnt(58) lgkmcnt(0)
	v_mul_f64 v[25:26], v[5:6], v[39:40]
	v_mul_f64 v[39:40], v[7:8], v[39:40]
	s_waitcnt vmcnt(56)
	v_fma_f64 v[35:36], v[1:2], v[41:42], -v[35:36]
	ds_read_b128 v[9:12], v70 offset:1440
	v_add_f64 v[17:18], v[17:18], v[31:32]
	v_fma_f64 v[31:32], v[3:4], v[41:42], v[127:128]
	v_add_f64 v[13:14], v[13:14], v[19:20]
	s_clause 0x4
	buffer_load_dword v20, off, s[0:3], 0 offset:684
	buffer_load_dword v41, off, s[0:3], 0 offset:696
	;; [unrolled: 1-line block ×5, first 2 shown]
	ds_read_b128 v[1:4], v70 offset:1456
	s_waitcnt vmcnt(57) lgkmcnt(1)
	v_mul_f64 v[127:128], v[9:10], v[43:44]
	v_mul_f64 v[43:44], v[11:12], v[43:44]
	s_waitcnt vmcnt(56)
	v_fma_f64 v[39:40], v[5:6], v[27:28], -v[39:40]
	v_fma_f64 v[25:26], v[7:8], v[27:28], v[25:26]
	s_clause 0x2
	buffer_load_dword v42, off, s[0:3], 0 offset:700
	buffer_load_dword v28, off, s[0:3], 0 offset:676
	;; [unrolled: 1-line block ×3, first 2 shown]
	ds_read_b128 v[5:8], v70 offset:1472
	v_add_f64 v[17:18], v[17:18], v[35:36]
	v_add_f64 v[13:14], v[13:14], v[31:32]
	s_waitcnt vmcnt(58) lgkmcnt(1)
	v_mul_f64 v[35:36], v[3:4], v[47:48]
	v_mul_f64 v[31:32], v[1:2], v[47:48]
	s_waitcnt vmcnt(56)
	v_fma_f64 v[43:44], v[9:10], v[49:50], -v[43:44]
	v_add_f64 v[17:18], v[17:18], v[39:40]
	v_fma_f64 v[39:40], v[11:12], v[49:50], v[127:128]
	v_add_f64 v[13:14], v[13:14], v[25:26]
	s_clause 0x4
	buffer_load_dword v26, off, s[0:3], 0 offset:716
	buffer_load_dword v47, off, s[0:3], 0 offset:728
	;; [unrolled: 1-line block ×5, first 2 shown]
	s_waitcnt vmcnt(57) lgkmcnt(0)
	v_mul_f64 v[127:128], v[5:6], v[51:52]
	v_mul_f64 v[50:51], v[7:8], v[51:52]
	s_waitcnt vmcnt(56)
	v_fma_f64 v[35:36], v[1:2], v[37:38], -v[35:36]
	ds_read_b128 v[9:12], v70 offset:1488
	v_fma_f64 v[31:32], v[3:4], v[37:38], v[31:32]
	s_clause 0x2
	buffer_load_dword v48, off, s[0:3], 0 offset:732
	buffer_load_dword v38, off, s[0:3], 0 offset:708
	;; [unrolled: 1-line block ×3, first 2 shown]
	ds_read_b128 v[1:4], v70 offset:1504
	v_add_f64 v[17:18], v[17:18], v[43:44]
	v_add_f64 v[13:14], v[13:14], v[39:40]
	s_waitcnt vmcnt(58) lgkmcnt(1)
	v_mul_f64 v[43:44], v[11:12], v[55:56]
	s_waitcnt vmcnt(56)
	v_fma_f64 v[51:52], v[5:6], v[57:58], -v[50:51]
	v_mul_f64 v[39:40], v[9:10], v[55:56]
	v_add_f64 v[17:18], v[17:18], v[35:36]
	v_fma_f64 v[35:36], v[7:8], v[57:58], v[127:128]
	v_add_f64 v[13:14], v[13:14], v[31:32]
	s_clause 0x4
	buffer_load_dword v32, off, s[0:3], 0 offset:748
	buffer_load_dword v55, off, s[0:3], 0 offset:760
	buffer_load_dword v57, off, s[0:3], 0 offset:752
	buffer_load_dword v31, off, s[0:3], 0 offset:744
	buffer_load_dword v50, off, s[0:3], 0 offset:724
	s_waitcnt vmcnt(57) lgkmcnt(0)
	v_mul_f64 v[127:128], v[1:2], v[59:60]
	v_mul_f64 v[58:59], v[3:4], v[59:60]
	s_waitcnt vmcnt(56)
	v_fma_f64 v[43:44], v[9:10], v[45:46], -v[43:44]
	ds_read_b128 v[5:8], v70 offset:1520
	v_fma_f64 v[39:40], v[11:12], v[45:46], v[39:40]
	v_add_f64 v[17:18], v[17:18], v[51:52]
	v_add_f64 v[13:14], v[13:14], v[35:36]
	s_clause 0x2
	buffer_load_dword v56, off, s[0:3], 0 offset:764
	buffer_load_dword v36, off, s[0:3], 0 offset:740
	;; [unrolled: 1-line block ×3, first 2 shown]
	ds_read_b128 v[9:12], v70 offset:1536
	s_waitcnt vmcnt(58) lgkmcnt(1)
	v_mul_f64 v[51:52], v[7:8], v[61:62]
	s_waitcnt vmcnt(56)
	v_fma_f64 v[59:60], v[1:2], v[63:64], -v[58:59]
	v_mul_f64 v[45:46], v[5:6], v[61:62]
	v_add_f64 v[17:18], v[17:18], v[43:44]
	v_fma_f64 v[43:44], v[3:4], v[63:64], v[127:128]
	v_add_f64 v[13:14], v[13:14], v[39:40]
	s_clause 0x4
	buffer_load_dword v40, off, s[0:3], 0 offset:780
	buffer_load_dword v61, off, s[0:3], 0 offset:792
	buffer_load_dword v63, off, s[0:3], 0 offset:784
	buffer_load_dword v39, off, s[0:3], 0 offset:776
	buffer_load_dword v58, off, s[0:3], 0 offset:756
	s_waitcnt vmcnt(57) lgkmcnt(0)
	v_mul_f64 v[127:128], v[9:10], v[77:78]
	v_mul_f64 v[77:78], v[11:12], v[77:78]
	s_waitcnt vmcnt(56)
	v_fma_f64 v[51:52], v[5:6], v[53:54], -v[51:52]
	ds_read_b128 v[1:4], v70 offset:1552
	v_fma_f64 v[45:46], v[7:8], v[53:54], v[45:46]
	v_add_f64 v[17:18], v[17:18], v[59:60]
	v_add_f64 v[13:14], v[13:14], v[43:44]
	s_clause 0x2
	buffer_load_dword v62, off, s[0:3], 0 offset:796
	buffer_load_dword v44, off, s[0:3], 0 offset:772
	;; [unrolled: 1-line block ×3, first 2 shown]
	ds_read_b128 v[5:8], v70 offset:1568
	s_waitcnt vmcnt(58) lgkmcnt(1)
	v_mul_f64 v[59:60], v[3:4], v[79:80]
	v_mul_f64 v[53:54], v[1:2], v[79:80]
	s_waitcnt vmcnt(56)
	v_fma_f64 v[77:78], v[9:10], v[67:68], -v[77:78]
	v_add_f64 v[17:18], v[17:18], v[51:52]
	v_fma_f64 v[51:52], v[11:12], v[67:68], v[127:128]
	v_add_f64 v[13:14], v[13:14], v[45:46]
	s_clause 0x4
	buffer_load_dword v46, off, s[0:3], 0 offset:812
	buffer_load_dword v67, off, s[0:3], 0 offset:824
	;; [unrolled: 1-line block ×5, first 2 shown]
	ds_read_b128 v[9:12], v70 offset:1584
	s_waitcnt vmcnt(57) lgkmcnt(1)
	v_mul_f64 v[127:128], v[5:6], v[75:76]
	v_mul_f64 v[75:76], v[7:8], v[75:76]
	s_waitcnt vmcnt(56)
	v_fma_f64 v[59:60], v[1:2], v[81:82], -v[59:60]
	v_fma_f64 v[53:54], v[3:4], v[81:82], v[53:54]
	v_add_f64 v[17:18], v[17:18], v[77:78]
	v_add_f64 v[13:14], v[13:14], v[51:52]
	s_clause 0x2
	buffer_load_dword v68, off, s[0:3], 0 offset:828
	buffer_load_dword v52, off, s[0:3], 0 offset:804
	;; [unrolled: 1-line block ×3, first 2 shown]
	s_waitcnt vmcnt(58) lgkmcnt(0)
	v_mul_f64 v[81:82], v[11:12], v[119:120]
	ds_read_b128 v[1:4], v70 offset:1600
	v_mul_f64 v[77:78], v[9:10], v[119:120]
	s_waitcnt vmcnt(56)
	v_fma_f64 v[75:76], v[5:6], v[73:74], -v[75:76]
	v_add_f64 v[17:18], v[17:18], v[59:60]
	v_fma_f64 v[59:60], v[7:8], v[73:74], v[127:128]
	v_add_f64 v[13:14], v[13:14], v[53:54]
	s_clause 0x4
	buffer_load_dword v54, off, s[0:3], 0 offset:844
	buffer_load_dword v73, off, s[0:3], 0 offset:856
	;; [unrolled: 1-line block ×5, first 2 shown]
	ds_read_b128 v[5:8], v70 offset:1616
	s_waitcnt vmcnt(57) lgkmcnt(1)
	v_mul_f64 v[127:128], v[1:2], v[29:30]
	v_mul_f64 v[29:30], v[3:4], v[29:30]
	s_waitcnt vmcnt(56)
	v_fma_f64 v[81:82], v[9:10], v[125:126], -v[81:82]
	v_add_f64 v[17:18], v[17:18], v[75:76]
	v_fma_f64 v[75:76], v[11:12], v[125:126], v[77:78]
	v_add_f64 v[13:14], v[13:14], v[59:60]
	s_clause 0x2
	buffer_load_dword v74, off, s[0:3], 0 offset:860
	buffer_load_dword v60, off, s[0:3], 0 offset:836
	;; [unrolled: 1-line block ×3, first 2 shown]
	ds_read_b128 v[9:12], v70 offset:1632
	s_waitcnt vmcnt(58) lgkmcnt(1)
	v_mul_f64 v[77:78], v[5:6], v[71:72]
	v_mul_f64 v[71:72], v[7:8], v[71:72]
	s_waitcnt vmcnt(56)
	v_fma_f64 v[29:30], v[1:2], v[23:24], -v[29:30]
	v_fma_f64 v[23:24], v[3:4], v[23:24], v[127:128]
	v_add_f64 v[17:18], v[17:18], v[81:82]
	v_add_f64 v[13:14], v[13:14], v[75:76]
	s_clause 0x4
	buffer_load_dword v76, off, s[0:3], 0 offset:876
	buffer_load_dword v81, off, s[0:3], 0 offset:888
	;; [unrolled: 1-line block ×5, first 2 shown]
	ds_read_b128 v[1:4], v70 offset:1648
	s_waitcnt vmcnt(57) lgkmcnt(1)
	v_mul_f64 v[126:127], v[9:10], v[15:16]
	v_mul_f64 v[15:16], v[11:12], v[15:16]
	s_waitcnt vmcnt(56)
	v_fma_f64 v[71:72], v[5:6], v[117:118], -v[71:72]
	v_add_f64 v[17:18], v[17:18], v[29:30]
	v_fma_f64 v[29:30], v[7:8], v[117:118], v[77:78]
	v_add_f64 v[13:14], v[13:14], v[23:24]
	s_clause 0x2
	buffer_load_dword v82, off, s[0:3], 0 offset:892
	buffer_load_dword v24, off, s[0:3], 0 offset:868
	buffer_load_dword v23, off, s[0:3], 0 offset:864
	ds_read_b128 v[5:8], v70 offset:1664
	s_waitcnt vmcnt(58) lgkmcnt(1)
	v_mul_f64 v[77:78], v[1:2], v[33:34]
	v_mul_f64 v[33:34], v[3:4], v[33:34]
	s_waitcnt vmcnt(56)
	v_fma_f64 v[15:16], v[9:10], v[21:22], -v[15:16]
	v_fma_f64 v[21:22], v[11:12], v[21:22], v[126:127]
	v_add_f64 v[17:18], v[17:18], v[71:72]
	v_add_f64 v[13:14], v[13:14], v[29:30]
	s_clause 0x4
	buffer_load_dword v30, off, s[0:3], 0 offset:908
	buffer_load_dword v71, off, s[0:3], 0 offset:920
	buffer_load_dword v117, off, s[0:3], 0 offset:912
	buffer_load_dword v29, off, s[0:3], 0 offset:904
	buffer_load_dword v126, off, s[0:3], 0 offset:884
	ds_read_b128 v[9:12], v70 offset:1680
	s_waitcnt vmcnt(57) lgkmcnt(1)
	v_mul_f64 v[127:128], v[5:6], v[19:20]
	v_mul_f64 v[19:20], v[7:8], v[19:20]
	s_waitcnt vmcnt(56)
	v_fma_f64 v[33:34], v[1:2], v[83:84], -v[33:34]
	v_add_f64 v[15:16], v[17:18], v[15:16]
	v_fma_f64 v[17:18], v[3:4], v[83:84], v[77:78]
	v_add_f64 v[13:14], v[13:14], v[21:22]
	s_clause 0x2
	buffer_load_dword v72, off, s[0:3], 0 offset:924
	buffer_load_dword v22, off, s[0:3], 0 offset:900
	buffer_load_dword v21, off, s[0:3], 0 offset:896
	s_waitcnt vmcnt(58) lgkmcnt(0)
	v_mul_f64 v[77:78], v[9:10], v[41:42]
	v_mul_f64 v[41:42], v[11:12], v[41:42]
	ds_read_b128 v[1:4], v70 offset:1696
	s_waitcnt vmcnt(56)
	v_fma_f64 v[19:20], v[5:6], v[27:28], -v[19:20]
	v_fma_f64 v[27:28], v[7:8], v[27:28], v[127:128]
	v_add_f64 v[15:16], v[15:16], v[33:34]
	v_add_f64 v[13:14], v[13:14], v[17:18]
	s_clause 0x4
	buffer_load_dword v18, off, s[0:3], 0 offset:940
	buffer_load_dword v33, off, s[0:3], 0 offset:952
	;; [unrolled: 1-line block ×5, first 2 shown]
	ds_read_b128 v[5:8], v70 offset:1712
	s_waitcnt vmcnt(57) lgkmcnt(1)
	v_mul_f64 v[127:128], v[1:2], v[25:26]
	v_mul_f64 v[25:26], v[3:4], v[25:26]
	s_waitcnt vmcnt(56)
	v_fma_f64 v[41:42], v[9:10], v[65:66], -v[41:42]
	v_add_f64 v[15:16], v[15:16], v[19:20]
	v_fma_f64 v[19:20], v[11:12], v[65:66], v[77:78]
	v_add_f64 v[13:14], v[13:14], v[27:28]
	s_clause 0x2
	buffer_load_dword v34, off, s[0:3], 0 offset:956
	buffer_load_dword v28, off, s[0:3], 0 offset:932
	;; [unrolled: 1-line block ×3, first 2 shown]
	s_waitcnt vmcnt(58) lgkmcnt(0)
	v_mul_f64 v[65:66], v[5:6], v[47:48]
	v_mul_f64 v[47:48], v[7:8], v[47:48]
	ds_read_b128 v[9:12], v70 offset:1728
	s_waitcnt vmcnt(56)
	v_fma_f64 v[25:26], v[1:2], v[37:38], -v[25:26]
	v_fma_f64 v[37:38], v[3:4], v[37:38], v[127:128]
	v_add_f64 v[15:16], v[15:16], v[41:42]
	v_add_f64 v[13:14], v[13:14], v[19:20]
	s_clause 0x4
	buffer_load_dword v20, off, s[0:3], 0 offset:972
	buffer_load_dword v41, off, s[0:3], 0 offset:984
	;; [unrolled: 1-line block ×5, first 2 shown]
	ds_read_b128 v[1:4], v70 offset:1744
	s_waitcnt vmcnt(57) lgkmcnt(1)
	v_mul_f64 v[127:128], v[9:10], v[31:32]
	v_mul_f64 v[31:32], v[11:12], v[31:32]
	s_waitcnt vmcnt(56)
	v_fma_f64 v[47:48], v[5:6], v[49:50], -v[47:48]
	v_add_f64 v[15:16], v[15:16], v[25:26]
	v_fma_f64 v[25:26], v[7:8], v[49:50], v[65:66]
	v_add_f64 v[13:14], v[13:14], v[37:38]
	s_clause 0x2
	buffer_load_dword v42, off, s[0:3], 0 offset:988
	buffer_load_dword v38, off, s[0:3], 0 offset:964
	;; [unrolled: 1-line block ×3, first 2 shown]
	ds_read_b128 v[5:8], v70 offset:1760
	s_waitcnt vmcnt(58) lgkmcnt(1)
	v_mul_f64 v[49:50], v[1:2], v[55:56]
	v_mul_f64 v[55:56], v[3:4], v[55:56]
	s_waitcnt vmcnt(56)
	v_fma_f64 v[31:32], v[9:10], v[35:36], -v[31:32]
	v_fma_f64 v[35:36], v[11:12], v[35:36], v[127:128]
	v_add_f64 v[15:16], v[15:16], v[47:48]
	v_add_f64 v[13:14], v[13:14], v[25:26]
	s_clause 0x4
	buffer_load_dword v26, off, s[0:3], 0 offset:1004
	buffer_load_dword v47, off, s[0:3], 0 offset:1016
	;; [unrolled: 1-line block ×5, first 2 shown]
	ds_read_b128 v[9:12], v70 offset:1776
	s_waitcnt vmcnt(57) lgkmcnt(1)
	v_mul_f64 v[127:128], v[5:6], v[39:40]
	v_mul_f64 v[39:40], v[7:8], v[39:40]
	s_waitcnt vmcnt(56)
	v_fma_f64 v[55:56], v[1:2], v[57:58], -v[55:56]
	v_add_f64 v[15:16], v[15:16], v[31:32]
	v_fma_f64 v[31:32], v[3:4], v[57:58], v[49:50]
	v_add_f64 v[13:14], v[13:14], v[35:36]
	s_clause 0x2
	buffer_load_dword v48, off, s[0:3], 0 offset:1020
	buffer_load_dword v36, off, s[0:3], 0 offset:996
	;; [unrolled: 1-line block ×3, first 2 shown]
	ds_read_b128 v[1:4], v70 offset:1792
	buffer_load_dword v66, off, s[0:3], 0 offset:1012
	s_waitcnt vmcnt(59) lgkmcnt(1)
	v_mul_f64 v[57:58], v[11:12], v[61:62]
	v_mul_f64 v[49:50], v[9:10], v[61:62]
	s_waitcnt vmcnt(57)
	v_fma_f64 v[39:40], v[5:6], v[43:44], -v[39:40]
	v_fma_f64 v[43:44], v[7:8], v[43:44], v[127:128]
	ds_read_b128 v[5:8], v70 offset:1808
	v_add_f64 v[15:16], v[15:16], v[55:56]
	v_add_f64 v[13:14], v[13:14], v[31:32]
	s_waitcnt vmcnt(53) lgkmcnt(1)
	v_mul_f64 v[31:32], v[1:2], v[45:46]
	v_mul_f64 v[45:46], v[3:4], v[45:46]
	s_waitcnt vmcnt(52)
	v_fma_f64 v[55:56], v[9:10], v[63:64], -v[57:58]
	v_add_f64 v[15:16], v[15:16], v[39:40]
	v_fma_f64 v[39:40], v[11:12], v[63:64], v[49:50]
	v_add_f64 v[13:14], v[13:14], v[43:44]
	ds_read_b128 v[9:12], v70 offset:1824
	s_waitcnt vmcnt(51) lgkmcnt(1)
	v_mul_f64 v[49:50], v[7:8], v[67:68]
	v_mul_f64 v[43:44], v[5:6], v[67:68]
	s_waitcnt vmcnt(49)
	v_fma_f64 v[45:46], v[1:2], v[51:52], -v[45:46]
	v_fma_f64 v[31:32], v[3:4], v[51:52], v[31:32]
	v_add_f64 v[15:16], v[15:16], v[55:56]
	v_add_f64 v[13:14], v[13:14], v[39:40]
	s_clause 0x3
	buffer_load_dword v39, off, s[0:3], 0 offset:288
	buffer_load_dword v40, off, s[0:3], 0 offset:292
	;; [unrolled: 1-line block ×4, first 2 shown]
	ds_read_b128 v[1:4], v70 offset:1840
	s_waitcnt vmcnt(49) lgkmcnt(1)
	v_mul_f64 v[55:56], v[9:10], v[53:54]
	v_mul_f64 v[53:54], v[11:12], v[53:54]
	s_waitcnt vmcnt(48)
	v_fma_f64 v[49:50], v[5:6], v[79:80], -v[49:50]
	v_fma_f64 v[43:44], v[7:8], v[79:80], v[43:44]
	ds_read_b128 v[5:8], v70 offset:1856
	v_add_f64 v[15:16], v[15:16], v[45:46]
	v_add_f64 v[13:14], v[13:14], v[31:32]
	s_waitcnt vmcnt(47) lgkmcnt(1)
	v_mul_f64 v[45:46], v[3:4], v[73:74]
	v_mul_f64 v[31:32], v[1:2], v[73:74]
	s_waitcnt vmcnt(45)
	v_fma_f64 v[53:54], v[9:10], v[59:60], -v[53:54]
	v_add_f64 v[15:16], v[15:16], v[49:50]
	v_fma_f64 v[49:50], v[11:12], v[59:60], v[55:56]
	v_add_f64 v[13:14], v[13:14], v[43:44]
	ds_read_b128 v[9:12], v70 offset:1872
	s_waitcnt vmcnt(41) lgkmcnt(1)
	v_mul_f64 v[55:56], v[7:8], v[75:76]
	s_waitcnt vmcnt(40)
	v_fma_f64 v[45:46], v[1:2], v[119:120], -v[45:46]
	v_mul_f64 v[43:44], v[5:6], v[75:76]
	v_fma_f64 v[31:32], v[3:4], v[119:120], v[31:32]
	ds_read_b128 v[1:4], v70 offset:1888
	v_add_f64 v[15:16], v[15:16], v[53:54]
	v_add_f64 v[13:14], v[13:14], v[49:50]
	s_waitcnt vmcnt(39) lgkmcnt(1)
	v_mul_f64 v[53:54], v[11:12], v[81:82]
	v_mul_f64 v[49:50], v[9:10], v[81:82]
	s_waitcnt vmcnt(37)
	v_fma_f64 v[55:56], v[5:6], v[23:24], -v[55:56]
	v_fma_f64 v[23:24], v[7:8], v[23:24], v[43:44]
	ds_read_b128 v[5:8], v70 offset:1904
	v_add_f64 v[15:16], v[15:16], v[45:46]
	v_add_f64 v[13:14], v[13:14], v[31:32]
	s_waitcnt vmcnt(33) lgkmcnt(1)
	v_mul_f64 v[31:32], v[1:2], v[29:30]
	v_mul_f64 v[29:30], v[3:4], v[29:30]
	s_waitcnt vmcnt(32)
	v_fma_f64 v[43:44], v[9:10], v[125:126], -v[53:54]
	;; [unrolled: 9-line block ×6, first 2 shown]
	v_add_f64 v[15:16], v[15:16], v[17:18]
	v_fma_f64 v[17:18], v[3:4], v[83:84], v[21:22]
	v_add_f64 v[13:14], v[13:14], v[27:28]
	ds_read_b128 v[1:4], v70 offset:1984
	s_waitcnt vmcnt(15) lgkmcnt(1)
	v_mul_f64 v[27:28], v[11:12], v[41:42]
	v_mul_f64 v[21:22], v[9:10], v[41:42]
	s_waitcnt vmcnt(13)
	v_fma_f64 v[19:20], v[5:6], v[37:38], -v[19:20]
	v_fma_f64 v[23:24], v[7:8], v[37:38], v[23:24]
	ds_read_b128 v[5:8], v70 offset:2000
	v_add_f64 v[15:16], v[15:16], v[29:30]
	v_add_f64 v[13:14], v[13:14], v[17:18]
	s_waitcnt vmcnt(9) lgkmcnt(1)
	v_mul_f64 v[17:18], v[1:2], v[25:26]
	v_mul_f64 v[25:26], v[3:4], v[25:26]
	s_waitcnt vmcnt(8)
	v_fma_f64 v[9:10], v[9:10], v[77:78], -v[27:28]
	v_fma_f64 v[11:12], v[11:12], v[77:78], v[21:22]
	v_add_f64 v[15:16], v[15:16], v[19:20]
	v_add_f64 v[13:14], v[13:14], v[23:24]
	s_waitcnt vmcnt(7) lgkmcnt(0)
	v_mul_f64 v[21:22], v[7:8], v[47:48]
	v_mul_f64 v[19:20], v[5:6], v[47:48]
	s_waitcnt vmcnt(5)
	v_fma_f64 v[1:2], v[1:2], v[35:36], -v[25:26]
	v_fma_f64 v[3:4], v[3:4], v[35:36], v[17:18]
	v_add_f64 v[9:10], v[15:16], v[9:10]
	v_add_f64 v[11:12], v[13:14], v[11:12]
	s_waitcnt vmcnt(4)
	v_fma_f64 v[5:6], v[5:6], v[65:66], -v[21:22]
	v_fma_f64 v[7:8], v[7:8], v[65:66], v[19:20]
	v_add_f64 v[1:2], v[9:10], v[1:2]
	v_add_f64 v[3:4], v[11:12], v[3:4]
	;; [unrolled: 1-line block ×4, first 2 shown]
	s_waitcnt vmcnt(2)
	v_add_f64 v[1:2], v[39:40], -v[1:2]
	s_waitcnt vmcnt(0)
	v_add_f64 v[3:4], v[51:52], -v[3:4]
	buffer_store_dword v2, off, s[0:3], 0 offset:292
	buffer_store_dword v1, off, s[0:3], 0 offset:288
	;; [unrolled: 1-line block ×4, first 2 shown]
	v_cmpx_lt_u32_e32 16, v0
	s_cbranch_execz .LBB62_371
; %bb.370:
	v_mov_b32_e32 v4, s61
	s_clause 0x3
	buffer_load_dword v1, v4, s[0:3], 0 offen
	buffer_load_dword v2, v4, s[0:3], 0 offen offset:4
	buffer_load_dword v3, v4, s[0:3], 0 offen offset:8
	buffer_load_dword v4, v4, s[0:3], 0 offen offset:12
	buffer_store_dword v70, off, s[0:3], 0 offset:272
	buffer_store_dword v70, off, s[0:3], 0 offset:276
	;; [unrolled: 1-line block ×4, first 2 shown]
	s_waitcnt vmcnt(0)
	ds_write_b128 v69, v[1:4]
.LBB62_371:
	s_or_b32 exec_lo, exec_lo, s4
	s_waitcnt lgkmcnt(0)
	s_waitcnt_vscnt null, 0x0
	s_barrier
	buffer_gl0_inv
	s_clause 0x37
	buffer_load_dword v17, off, s[0:3], 0 offset:296
	buffer_load_dword v18, off, s[0:3], 0 offset:300
	;; [unrolled: 1-line block ×56, first 2 shown]
	ds_read_b128 v[5:8], v70 offset:1280
	s_clause 0x2
	buffer_load_dword v66, off, s[0:3], 0 offset:524
	buffer_load_dword v68, off, s[0:3], 0 offset:500
	buffer_load_dword v67, off, s[0:3], 0 offset:496
	ds_read_b128 v[1:4], v70 offset:1296
	s_clause 0x4
	buffer_load_dword v78, off, s[0:3], 0 offset:540
	buffer_load_dword v79, off, s[0:3], 0 offset:552
	;; [unrolled: 1-line block ×5, first 2 shown]
	ds_read_b128 v[71:74], v70 offset:1312
	s_mov_b32 s4, exec_lo
	s_waitcnt vmcnt(62) lgkmcnt(2)
	v_mul_f64 v[75:76], v[7:8], v[17:18]
	v_mul_f64 v[17:18], v[5:6], v[17:18]
	s_waitcnt vmcnt(60) lgkmcnt(1)
	v_mul_f64 v[82:83], v[3:4], v[13:14]
	v_mul_f64 v[13:14], v[1:2], v[13:14]
	;; [unrolled: 3-line block ×3, first 2 shown]
	v_fma_f64 v[75:76], v[5:6], v[15:16], -v[75:76]
	v_fma_f64 v[15:16], v[7:8], v[15:16], v[17:18]
	s_clause 0x2
	buffer_load_dword v80, off, s[0:3], 0 offset:556
	buffer_load_dword v18, off, s[0:3], 0 offset:532
	;; [unrolled: 1-line block ×3, first 2 shown]
	s_waitcnt vmcnt(57)
	v_fma_f64 v[83:84], v[1:2], v[9:10], -v[82:83]
	ds_read_b128 v[5:8], v70 offset:1328
	v_fma_f64 v[9:10], v[3:4], v[9:10], v[13:14]
	s_waitcnt vmcnt(51)
	v_fma_f64 v[71:72], v[71:72], v[33:34], -v[11:12]
	v_fma_f64 v[33:34], v[73:74], v[33:34], v[117:118]
	v_add_f64 v[75:76], v[75:76], 0
	v_add_f64 v[13:14], v[15:16], 0
	s_clause 0x4
	buffer_load_dword v16, off, s[0:3], 0 offset:572
	buffer_load_dword v119, off, s[0:3], 0 offset:584
	;; [unrolled: 1-line block ×5, first 2 shown]
	s_waitcnt lgkmcnt(0)
	v_mul_f64 v[126:127], v[5:6], v[21:22]
	v_mul_f64 v[21:22], v[7:8], v[21:22]
	ds_read_b128 v[1:4], v70 offset:1344
	s_clause 0x2
	buffer_load_dword v120, off, s[0:3], 0 offset:588
	buffer_load_dword v74, off, s[0:3], 0 offset:564
	;; [unrolled: 1-line block ×3, first 2 shown]
	v_add_f64 v[75:76], v[75:76], v[83:84]
	v_add_f64 v[13:14], v[13:14], v[9:10]
	ds_read_b128 v[9:12], v70 offset:1360
	s_waitcnt vmcnt(58) lgkmcnt(1)
	v_mul_f64 v[83:84], v[1:2], v[25:26]
	v_mul_f64 v[25:26], v[3:4], v[25:26]
	s_waitcnt vmcnt(56)
	v_fma_f64 v[21:22], v[5:6], v[27:28], -v[21:22]
	v_fma_f64 v[27:28], v[7:8], v[27:28], v[126:127]
	s_waitcnt vmcnt(52) lgkmcnt(0)
	v_mul_f64 v[127:128], v[9:10], v[29:30]
	v_add_f64 v[71:72], v[75:76], v[71:72]
	v_add_f64 v[13:14], v[13:14], v[33:34]
	s_clause 0x4
	buffer_load_dword v34, off, s[0:3], 0 offset:604
	buffer_load_dword v75, off, s[0:3], 0 offset:616
	;; [unrolled: 1-line block ×5, first 2 shown]
	v_mul_f64 v[29:30], v[11:12], v[29:30]
	s_waitcnt vmcnt(56)
	v_fma_f64 v[25:26], v[1:2], v[19:20], -v[25:26]
	ds_read_b128 v[5:8], v70 offset:1376
	v_fma_f64 v[19:20], v[3:4], v[19:20], v[83:84]
	v_add_f64 v[21:22], v[71:72], v[21:22]
	v_add_f64 v[13:14], v[13:14], v[27:28]
	s_clause 0x2
	buffer_load_dword v76, off, s[0:3], 0 offset:620
	buffer_load_dword v28, off, s[0:3], 0 offset:596
	;; [unrolled: 1-line block ×3, first 2 shown]
	s_waitcnt vmcnt(58) lgkmcnt(0)
	v_mul_f64 v[71:72], v[5:6], v[35:36]
	v_mul_f64 v[35:36], v[7:8], v[35:36]
	s_waitcnt vmcnt(56)
	v_fma_f64 v[29:30], v[9:10], v[37:38], -v[29:30]
	ds_read_b128 v[1:4], v70 offset:1392
	v_add_f64 v[21:22], v[21:22], v[25:26]
	v_fma_f64 v[25:26], v[11:12], v[37:38], v[127:128]
	v_add_f64 v[13:14], v[13:14], v[19:20]
	s_clause 0x4
	buffer_load_dword v20, off, s[0:3], 0 offset:636
	buffer_load_dword v37, off, s[0:3], 0 offset:648
	;; [unrolled: 1-line block ×5, first 2 shown]
	s_waitcnt vmcnt(57) lgkmcnt(0)
	v_mul_f64 v[127:128], v[1:2], v[39:40]
	v_mul_f64 v[39:40], v[3:4], v[39:40]
	s_waitcnt vmcnt(56)
	v_fma_f64 v[35:36], v[5:6], v[23:24], -v[35:36]
	ds_read_b128 v[9:12], v70 offset:1408
	v_fma_f64 v[23:24], v[7:8], v[23:24], v[71:72]
	v_add_f64 v[21:22], v[21:22], v[29:30]
	v_add_f64 v[13:14], v[13:14], v[25:26]
	s_clause 0x2
	buffer_load_dword v38, off, s[0:3], 0 offset:652
	buffer_load_dword v26, off, s[0:3], 0 offset:628
	;; [unrolled: 1-line block ×3, first 2 shown]
	ds_read_b128 v[5:8], v70 offset:1424
	s_waitcnt vmcnt(58) lgkmcnt(1)
	v_mul_f64 v[29:30], v[9:10], v[43:44]
	v_mul_f64 v[43:44], v[11:12], v[43:44]
	s_waitcnt vmcnt(56)
	v_fma_f64 v[39:40], v[1:2], v[45:46], -v[39:40]
	v_add_f64 v[21:22], v[21:22], v[35:36]
	v_fma_f64 v[35:36], v[3:4], v[45:46], v[127:128]
	v_add_f64 v[13:14], v[13:14], v[23:24]
	s_clause 0x4
	buffer_load_dword v24, off, s[0:3], 0 offset:668
	buffer_load_dword v45, off, s[0:3], 0 offset:680
	;; [unrolled: 1-line block ×5, first 2 shown]
	s_waitcnt vmcnt(57) lgkmcnt(0)
	v_mul_f64 v[127:128], v[5:6], v[47:48]
	v_mul_f64 v[47:48], v[7:8], v[47:48]
	s_waitcnt vmcnt(56)
	v_fma_f64 v[43:44], v[9:10], v[31:32], -v[43:44]
	ds_read_b128 v[1:4], v70 offset:1440
	v_fma_f64 v[29:30], v[11:12], v[31:32], v[29:30]
	s_clause 0x2
	buffer_load_dword v46, off, s[0:3], 0 offset:684
	buffer_load_dword v32, off, s[0:3], 0 offset:660
	;; [unrolled: 1-line block ×3, first 2 shown]
	ds_read_b128 v[9:12], v70 offset:1456
	v_add_f64 v[21:22], v[21:22], v[39:40]
	v_add_f64 v[13:14], v[13:14], v[35:36]
	s_waitcnt vmcnt(58) lgkmcnt(1)
	v_mul_f64 v[39:40], v[3:4], v[51:52]
	s_waitcnt vmcnt(56)
	v_fma_f64 v[47:48], v[5:6], v[53:54], -v[47:48]
	v_mul_f64 v[35:36], v[1:2], v[51:52]
	v_add_f64 v[21:22], v[21:22], v[43:44]
	v_fma_f64 v[43:44], v[7:8], v[53:54], v[127:128]
	v_add_f64 v[13:14], v[13:14], v[29:30]
	s_clause 0x4
	buffer_load_dword v30, off, s[0:3], 0 offset:700
	buffer_load_dword v51, off, s[0:3], 0 offset:712
	;; [unrolled: 1-line block ×5, first 2 shown]
	s_waitcnt vmcnt(57) lgkmcnt(0)
	v_mul_f64 v[127:128], v[9:10], v[55:56]
	v_mul_f64 v[54:55], v[11:12], v[55:56]
	s_waitcnt vmcnt(56)
	v_fma_f64 v[39:40], v[1:2], v[41:42], -v[39:40]
	ds_read_b128 v[5:8], v70 offset:1472
	v_fma_f64 v[35:36], v[3:4], v[41:42], v[35:36]
	s_clause 0x2
	buffer_load_dword v52, off, s[0:3], 0 offset:716
	buffer_load_dword v42, off, s[0:3], 0 offset:692
	;; [unrolled: 1-line block ×3, first 2 shown]
	ds_read_b128 v[1:4], v70 offset:1488
	v_add_f64 v[21:22], v[21:22], v[47:48]
	v_add_f64 v[13:14], v[13:14], v[43:44]
	s_waitcnt vmcnt(58) lgkmcnt(1)
	v_mul_f64 v[47:48], v[7:8], v[59:60]
	s_waitcnt vmcnt(56)
	v_fma_f64 v[55:56], v[9:10], v[61:62], -v[54:55]
	v_mul_f64 v[43:44], v[5:6], v[59:60]
	v_add_f64 v[21:22], v[21:22], v[39:40]
	v_fma_f64 v[39:40], v[11:12], v[61:62], v[127:128]
	v_add_f64 v[13:14], v[13:14], v[35:36]
	s_clause 0x4
	buffer_load_dword v36, off, s[0:3], 0 offset:732
	buffer_load_dword v59, off, s[0:3], 0 offset:744
	;; [unrolled: 1-line block ×5, first 2 shown]
	s_waitcnt vmcnt(57) lgkmcnt(0)
	v_mul_f64 v[127:128], v[1:2], v[63:64]
	v_mul_f64 v[62:63], v[3:4], v[63:64]
	s_waitcnt vmcnt(56)
	v_fma_f64 v[47:48], v[5:6], v[49:50], -v[47:48]
	ds_read_b128 v[9:12], v70 offset:1504
	v_fma_f64 v[43:44], v[7:8], v[49:50], v[43:44]
	v_add_f64 v[21:22], v[21:22], v[55:56]
	v_add_f64 v[13:14], v[13:14], v[39:40]
	s_clause 0x2
	buffer_load_dword v60, off, s[0:3], 0 offset:748
	buffer_load_dword v40, off, s[0:3], 0 offset:724
	;; [unrolled: 1-line block ×3, first 2 shown]
	ds_read_b128 v[5:8], v70 offset:1520
	s_waitcnt vmcnt(58) lgkmcnt(1)
	v_mul_f64 v[55:56], v[11:12], v[65:66]
	s_waitcnt vmcnt(56)
	v_fma_f64 v[63:64], v[1:2], v[67:68], -v[62:63]
	v_mul_f64 v[49:50], v[9:10], v[65:66]
	v_add_f64 v[21:22], v[21:22], v[47:48]
	v_fma_f64 v[47:48], v[3:4], v[67:68], v[127:128]
	v_add_f64 v[13:14], v[13:14], v[43:44]
	s_clause 0x4
	buffer_load_dword v44, off, s[0:3], 0 offset:764
	buffer_load_dword v65, off, s[0:3], 0 offset:776
	;; [unrolled: 1-line block ×5, first 2 shown]
	s_waitcnt vmcnt(57) lgkmcnt(0)
	v_mul_f64 v[127:128], v[5:6], v[77:78]
	v_mul_f64 v[77:78], v[7:8], v[77:78]
	s_waitcnt vmcnt(56)
	v_fma_f64 v[55:56], v[9:10], v[57:58], -v[55:56]
	ds_read_b128 v[1:4], v70 offset:1536
	v_fma_f64 v[49:50], v[11:12], v[57:58], v[49:50]
	v_add_f64 v[21:22], v[21:22], v[63:64]
	v_add_f64 v[13:14], v[13:14], v[47:48]
	s_clause 0x2
	buffer_load_dword v66, off, s[0:3], 0 offset:780
	buffer_load_dword v48, off, s[0:3], 0 offset:756
	;; [unrolled: 1-line block ×3, first 2 shown]
	ds_read_b128 v[9:12], v70 offset:1552
	s_waitcnt vmcnt(58) lgkmcnt(1)
	v_mul_f64 v[63:64], v[3:4], v[79:80]
	v_mul_f64 v[57:58], v[1:2], v[79:80]
	s_waitcnt vmcnt(56)
	v_fma_f64 v[77:78], v[5:6], v[17:18], -v[77:78]
	v_fma_f64 v[17:18], v[7:8], v[17:18], v[127:128]
	v_add_f64 v[21:22], v[21:22], v[55:56]
	v_add_f64 v[13:14], v[13:14], v[49:50]
	s_clause 0x4
	buffer_load_dword v50, off, s[0:3], 0 offset:796
	buffer_load_dword v55, off, s[0:3], 0 offset:808
	buffer_load_dword v79, off, s[0:3], 0 offset:800
	buffer_load_dword v49, off, s[0:3], 0 offset:792
	buffer_load_dword v68, off, s[0:3], 0 offset:772
	ds_read_b128 v[5:8], v70 offset:1568
	s_waitcnt vmcnt(57) lgkmcnt(1)
	v_mul_f64 v[127:128], v[9:10], v[15:16]
	v_mul_f64 v[15:16], v[11:12], v[15:16]
	s_waitcnt vmcnt(56)
	v_fma_f64 v[63:64], v[1:2], v[81:82], -v[63:64]
	v_fma_f64 v[57:58], v[3:4], v[81:82], v[57:58]
	v_add_f64 v[21:22], v[21:22], v[77:78]
	v_add_f64 v[13:14], v[13:14], v[17:18]
	s_clause 0x2
	buffer_load_dword v56, off, s[0:3], 0 offset:812
	buffer_load_dword v18, off, s[0:3], 0 offset:788
	;; [unrolled: 1-line block ×3, first 2 shown]
	s_waitcnt vmcnt(58) lgkmcnt(0)
	v_mul_f64 v[81:82], v[7:8], v[119:120]
	ds_read_b128 v[1:4], v70 offset:1584
	v_mul_f64 v[77:78], v[5:6], v[119:120]
	s_waitcnt vmcnt(56)
	v_fma_f64 v[15:16], v[9:10], v[73:74], -v[15:16]
	v_add_f64 v[21:22], v[21:22], v[63:64]
	v_fma_f64 v[63:64], v[11:12], v[73:74], v[127:128]
	v_add_f64 v[13:14], v[13:14], v[57:58]
	s_clause 0x4
	buffer_load_dword v58, off, s[0:3], 0 offset:828
	buffer_load_dword v73, off, s[0:3], 0 offset:840
	;; [unrolled: 1-line block ×5, first 2 shown]
	ds_read_b128 v[9:12], v70 offset:1600
	s_waitcnt vmcnt(57) lgkmcnt(1)
	v_mul_f64 v[127:128], v[1:2], v[33:34]
	v_mul_f64 v[33:34], v[3:4], v[33:34]
	s_waitcnt vmcnt(56)
	v_fma_f64 v[81:82], v[5:6], v[125:126], -v[81:82]
	v_add_f64 v[15:16], v[21:22], v[15:16]
	v_fma_f64 v[21:22], v[7:8], v[125:126], v[77:78]
	v_add_f64 v[13:14], v[13:14], v[63:64]
	s_clause 0x2
	buffer_load_dword v74, off, s[0:3], 0 offset:844
	buffer_load_dword v64, off, s[0:3], 0 offset:820
	;; [unrolled: 1-line block ×3, first 2 shown]
	ds_read_b128 v[5:8], v70 offset:1616
	s_waitcnt vmcnt(58) lgkmcnt(1)
	v_mul_f64 v[77:78], v[9:10], v[75:76]
	v_mul_f64 v[75:76], v[11:12], v[75:76]
	s_waitcnt vmcnt(56)
	v_fma_f64 v[33:34], v[1:2], v[27:28], -v[33:34]
	v_fma_f64 v[27:28], v[3:4], v[27:28], v[127:128]
	v_add_f64 v[15:16], v[15:16], v[81:82]
	v_add_f64 v[13:14], v[13:14], v[21:22]
	s_clause 0x4
	buffer_load_dword v22, off, s[0:3], 0 offset:860
	buffer_load_dword v81, off, s[0:3], 0 offset:872
	;; [unrolled: 1-line block ×5, first 2 shown]
	ds_read_b128 v[1:4], v70 offset:1632
	s_waitcnt vmcnt(57) lgkmcnt(1)
	v_mul_f64 v[126:127], v[5:6], v[19:20]
	v_mul_f64 v[19:20], v[7:8], v[19:20]
	s_waitcnt vmcnt(56)
	v_fma_f64 v[75:76], v[9:10], v[117:118], -v[75:76]
	v_add_f64 v[15:16], v[15:16], v[33:34]
	v_fma_f64 v[33:34], v[11:12], v[117:118], v[77:78]
	v_add_f64 v[13:14], v[13:14], v[27:28]
	s_clause 0x2
	buffer_load_dword v82, off, s[0:3], 0 offset:876
	buffer_load_dword v28, off, s[0:3], 0 offset:852
	;; [unrolled: 1-line block ×3, first 2 shown]
	ds_read_b128 v[9:12], v70 offset:1648
	s_waitcnt vmcnt(58) lgkmcnt(1)
	v_mul_f64 v[77:78], v[1:2], v[37:38]
	v_mul_f64 v[37:38], v[3:4], v[37:38]
	s_waitcnt vmcnt(56)
	v_fma_f64 v[19:20], v[5:6], v[25:26], -v[19:20]
	v_fma_f64 v[25:26], v[7:8], v[25:26], v[126:127]
	v_add_f64 v[15:16], v[15:16], v[75:76]
	v_add_f64 v[13:14], v[13:14], v[33:34]
	s_clause 0x4
	buffer_load_dword v34, off, s[0:3], 0 offset:892
	buffer_load_dword v75, off, s[0:3], 0 offset:904
	;; [unrolled: 1-line block ×5, first 2 shown]
	ds_read_b128 v[5:8], v70 offset:1664
	s_waitcnt vmcnt(57) lgkmcnt(1)
	v_mul_f64 v[127:128], v[9:10], v[23:24]
	v_mul_f64 v[23:24], v[11:12], v[23:24]
	s_waitcnt vmcnt(56)
	v_fma_f64 v[37:38], v[1:2], v[83:84], -v[37:38]
	v_add_f64 v[15:16], v[15:16], v[19:20]
	v_fma_f64 v[19:20], v[3:4], v[83:84], v[77:78]
	v_add_f64 v[13:14], v[13:14], v[25:26]
	s_clause 0x2
	buffer_load_dword v76, off, s[0:3], 0 offset:908
	buffer_load_dword v26, off, s[0:3], 0 offset:884
	;; [unrolled: 1-line block ×3, first 2 shown]
	s_waitcnt vmcnt(58) lgkmcnt(0)
	v_mul_f64 v[77:78], v[5:6], v[45:46]
	v_mul_f64 v[45:46], v[7:8], v[45:46]
	ds_read_b128 v[1:4], v70 offset:1680
	s_waitcnt vmcnt(56)
	v_fma_f64 v[23:24], v[9:10], v[31:32], -v[23:24]
	v_fma_f64 v[31:32], v[11:12], v[31:32], v[127:128]
	v_add_f64 v[15:16], v[15:16], v[37:38]
	v_add_f64 v[13:14], v[13:14], v[19:20]
	s_clause 0x4
	buffer_load_dword v20, off, s[0:3], 0 offset:924
	buffer_load_dword v37, off, s[0:3], 0 offset:936
	;; [unrolled: 1-line block ×5, first 2 shown]
	ds_read_b128 v[9:12], v70 offset:1696
	s_waitcnt vmcnt(57) lgkmcnt(1)
	v_mul_f64 v[127:128], v[1:2], v[29:30]
	v_mul_f64 v[29:30], v[3:4], v[29:30]
	s_waitcnt vmcnt(56)
	v_fma_f64 v[45:46], v[5:6], v[71:72], -v[45:46]
	v_add_f64 v[15:16], v[15:16], v[23:24]
	v_fma_f64 v[23:24], v[7:8], v[71:72], v[77:78]
	v_add_f64 v[13:14], v[13:14], v[31:32]
	s_clause 0x2
	buffer_load_dword v38, off, s[0:3], 0 offset:940
	buffer_load_dword v32, off, s[0:3], 0 offset:916
	;; [unrolled: 1-line block ×3, first 2 shown]
	s_waitcnt vmcnt(58) lgkmcnt(0)
	v_mul_f64 v[71:72], v[9:10], v[51:52]
	v_mul_f64 v[51:52], v[11:12], v[51:52]
	ds_read_b128 v[5:8], v70 offset:1712
	s_waitcnt vmcnt(56)
	v_fma_f64 v[29:30], v[1:2], v[41:42], -v[29:30]
	v_fma_f64 v[41:42], v[3:4], v[41:42], v[127:128]
	v_add_f64 v[15:16], v[15:16], v[45:46]
	v_add_f64 v[13:14], v[13:14], v[23:24]
	s_clause 0x4
	buffer_load_dword v24, off, s[0:3], 0 offset:956
	buffer_load_dword v45, off, s[0:3], 0 offset:968
	;; [unrolled: 1-line block ×5, first 2 shown]
	ds_read_b128 v[1:4], v70 offset:1728
	s_waitcnt vmcnt(57) lgkmcnt(1)
	v_mul_f64 v[127:128], v[5:6], v[35:36]
	v_mul_f64 v[35:36], v[7:8], v[35:36]
	s_waitcnt vmcnt(56)
	v_fma_f64 v[51:52], v[9:10], v[53:54], -v[51:52]
	v_add_f64 v[15:16], v[15:16], v[29:30]
	v_fma_f64 v[29:30], v[11:12], v[53:54], v[71:72]
	v_add_f64 v[13:14], v[13:14], v[41:42]
	s_clause 0x2
	buffer_load_dword v46, off, s[0:3], 0 offset:972
	buffer_load_dword v42, off, s[0:3], 0 offset:948
	;; [unrolled: 1-line block ×3, first 2 shown]
	ds_read_b128 v[9:12], v70 offset:1744
	s_waitcnt vmcnt(58) lgkmcnt(1)
	v_mul_f64 v[53:54], v[1:2], v[59:60]
	v_mul_f64 v[59:60], v[3:4], v[59:60]
	s_waitcnt vmcnt(56)
	v_fma_f64 v[35:36], v[5:6], v[39:40], -v[35:36]
	v_fma_f64 v[39:40], v[7:8], v[39:40], v[127:128]
	v_add_f64 v[15:16], v[15:16], v[51:52]
	v_add_f64 v[13:14], v[13:14], v[29:30]
	s_clause 0x4
	buffer_load_dword v30, off, s[0:3], 0 offset:988
	buffer_load_dword v51, off, s[0:3], 0 offset:1000
	;; [unrolled: 1-line block ×5, first 2 shown]
	ds_read_b128 v[5:8], v70 offset:1760
	s_waitcnt vmcnt(57) lgkmcnt(1)
	v_mul_f64 v[127:128], v[9:10], v[43:44]
	v_mul_f64 v[43:44], v[11:12], v[43:44]
	s_waitcnt vmcnt(56)
	v_fma_f64 v[59:60], v[1:2], v[61:62], -v[59:60]
	v_add_f64 v[15:16], v[15:16], v[35:36]
	v_fma_f64 v[35:36], v[3:4], v[61:62], v[53:54]
	v_add_f64 v[13:14], v[13:14], v[39:40]
	s_clause 0x2
	buffer_load_dword v52, off, s[0:3], 0 offset:1004
	buffer_load_dword v40, off, s[0:3], 0 offset:980
	;; [unrolled: 1-line block ×3, first 2 shown]
	ds_read_b128 v[1:4], v70 offset:1776
	s_waitcnt vmcnt(58) lgkmcnt(1)
	v_mul_f64 v[61:62], v[7:8], v[65:66]
	v_mul_f64 v[53:54], v[5:6], v[65:66]
	s_waitcnt vmcnt(56)
	v_fma_f64 v[43:44], v[9:10], v[47:48], -v[43:44]
	v_fma_f64 v[47:48], v[11:12], v[47:48], v[127:128]
	v_add_f64 v[15:16], v[15:16], v[59:60]
	v_add_f64 v[13:14], v[13:14], v[35:36]
	s_clause 0x2
	buffer_load_dword v36, off, s[0:3], 0 offset:1020
	buffer_load_dword v35, off, s[0:3], 0 offset:1016
	;; [unrolled: 1-line block ×3, first 2 shown]
	ds_read_b128 v[9:12], v70 offset:1792
	s_waitcnt vmcnt(55) lgkmcnt(1)
	v_mul_f64 v[59:60], v[1:2], v[49:50]
	v_mul_f64 v[49:50], v[3:4], v[49:50]
	s_waitcnt vmcnt(54)
	v_fma_f64 v[61:62], v[5:6], v[67:68], -v[61:62]
	v_add_f64 v[15:16], v[15:16], v[43:44]
	v_fma_f64 v[43:44], v[7:8], v[67:68], v[53:54]
	v_add_f64 v[13:14], v[13:14], v[47:48]
	s_clause 0x1
	buffer_load_dword v48, off, s[0:3], 0 offset:1012
	buffer_load_dword v47, off, s[0:3], 0 offset:1008
	ds_read_b128 v[5:8], v70 offset:1808
	s_waitcnt vmcnt(55) lgkmcnt(1)
	v_mul_f64 v[53:54], v[9:10], v[55:56]
	v_mul_f64 v[55:56], v[11:12], v[55:56]
	s_waitcnt vmcnt(53)
	v_fma_f64 v[49:50], v[1:2], v[17:18], -v[49:50]
	v_fma_f64 v[17:18], v[3:4], v[17:18], v[59:60]
	ds_read_b128 v[1:4], v70 offset:1824
	v_add_f64 v[15:16], v[15:16], v[61:62]
	v_add_f64 v[13:14], v[13:14], v[43:44]
	s_waitcnt vmcnt(49) lgkmcnt(1)
	v_mul_f64 v[43:44], v[5:6], v[57:58]
	v_mul_f64 v[57:58], v[7:8], v[57:58]
	s_waitcnt vmcnt(48)
	v_fma_f64 v[55:56], v[9:10], v[79:80], -v[55:56]
	v_add_f64 v[15:16], v[15:16], v[49:50]
	v_fma_f64 v[49:50], v[11:12], v[79:80], v[53:54]
	v_add_f64 v[13:14], v[13:14], v[17:18]
	s_clause 0x3
	buffer_load_dword v17, off, s[0:3], 0 offset:272
	buffer_load_dword v18, off, s[0:3], 0 offset:276
	;; [unrolled: 1-line block ×4, first 2 shown]
	ds_read_b128 v[9:12], v70 offset:1840
	s_waitcnt vmcnt(51) lgkmcnt(1)
	v_mul_f64 v[61:62], v[3:4], v[73:74]
	v_mul_f64 v[59:60], v[1:2], v[73:74]
	s_waitcnt vmcnt(49)
	v_fma_f64 v[57:58], v[5:6], v[63:64], -v[57:58]
	v_fma_f64 v[43:44], v[7:8], v[63:64], v[43:44]
	ds_read_b128 v[5:8], v70 offset:1856
	v_add_f64 v[15:16], v[15:16], v[55:56]
	v_add_f64 v[13:14], v[13:14], v[49:50]
	s_waitcnt vmcnt(45) lgkmcnt(1)
	v_mul_f64 v[49:50], v[9:10], v[21:22]
	v_mul_f64 v[21:22], v[11:12], v[21:22]
	s_waitcnt vmcnt(44)
	v_fma_f64 v[55:56], v[1:2], v[119:120], -v[61:62]
	v_add_f64 v[15:16], v[15:16], v[57:58]
	v_fma_f64 v[57:58], v[3:4], v[119:120], v[59:60]
	v_add_f64 v[13:14], v[13:14], v[43:44]
	ds_read_b128 v[1:4], v70 offset:1872
	s_waitcnt vmcnt(43) lgkmcnt(1)
	v_mul_f64 v[59:60], v[7:8], v[81:82]
	v_mul_f64 v[43:44], v[5:6], v[81:82]
	s_waitcnt vmcnt(41)
	v_fma_f64 v[21:22], v[9:10], v[27:28], -v[21:22]
	v_fma_f64 v[27:28], v[11:12], v[27:28], v[49:50]
	ds_read_b128 v[9:12], v70 offset:1888
	v_add_f64 v[15:16], v[15:16], v[55:56]
	v_add_f64 v[13:14], v[13:14], v[57:58]
	s_waitcnt vmcnt(37) lgkmcnt(1)
	v_mul_f64 v[49:50], v[1:2], v[33:34]
	v_mul_f64 v[33:34], v[3:4], v[33:34]
	s_waitcnt vmcnt(36)
	v_fma_f64 v[55:56], v[5:6], v[125:126], -v[59:60]
	v_add_f64 v[15:16], v[15:16], v[21:22]
	v_fma_f64 v[21:22], v[7:8], v[125:126], v[43:44]
	v_add_f64 v[13:14], v[13:14], v[27:28]
	ds_read_b128 v[5:8], v70 offset:1904
	s_waitcnt vmcnt(35) lgkmcnt(1)
	v_mul_f64 v[43:44], v[11:12], v[75:76]
	v_mul_f64 v[27:28], v[9:10], v[75:76]
	s_waitcnt vmcnt(33)
	v_fma_f64 v[33:34], v[1:2], v[25:26], -v[33:34]
	v_fma_f64 v[25:26], v[3:4], v[25:26], v[49:50]
	ds_read_b128 v[1:4], v70 offset:1920
	v_add_f64 v[15:16], v[15:16], v[55:56]
	v_add_f64 v[13:14], v[13:14], v[21:22]
	s_waitcnt vmcnt(29) lgkmcnt(1)
	v_mul_f64 v[21:22], v[5:6], v[19:20]
	v_mul_f64 v[19:20], v[7:8], v[19:20]
	s_waitcnt vmcnt(28)
	v_fma_f64 v[43:44], v[9:10], v[117:118], -v[43:44]
	v_fma_f64 v[27:28], v[11:12], v[117:118], v[27:28]
	ds_read_b128 v[9:12], v70 offset:1936
	v_add_f64 v[15:16], v[15:16], v[33:34]
	v_add_f64 v[13:14], v[13:14], v[25:26]
	;; [unrolled: 9-line block ×3, first 2 shown]
	s_waitcnt vmcnt(21) lgkmcnt(1)
	v_mul_f64 v[27:28], v[9:10], v[23:24]
	v_mul_f64 v[23:24], v[11:12], v[23:24]
	s_waitcnt vmcnt(20)
	v_fma_f64 v[31:32], v[1:2], v[83:84], -v[33:34]
	v_add_f64 v[15:16], v[15:16], v[19:20]
	v_fma_f64 v[19:20], v[3:4], v[83:84], v[25:26]
	v_add_f64 v[13:14], v[13:14], v[21:22]
	ds_read_b128 v[1:4], v70 offset:1968
	s_waitcnt vmcnt(19) lgkmcnt(1)
	v_mul_f64 v[25:26], v[7:8], v[45:46]
	v_mul_f64 v[21:22], v[5:6], v[45:46]
	s_waitcnt vmcnt(17)
	v_fma_f64 v[23:24], v[9:10], v[41:42], -v[23:24]
	v_fma_f64 v[27:28], v[11:12], v[41:42], v[27:28]
	ds_read_b128 v[9:12], v70 offset:1984
	v_add_f64 v[15:16], v[15:16], v[31:32]
	v_add_f64 v[13:14], v[13:14], v[19:20]
	s_waitcnt vmcnt(13) lgkmcnt(1)
	v_mul_f64 v[19:20], v[1:2], v[29:30]
	v_mul_f64 v[29:30], v[3:4], v[29:30]
	s_waitcnt vmcnt(12)
	v_fma_f64 v[25:26], v[5:6], v[77:78], -v[25:26]
	v_fma_f64 v[21:22], v[7:8], v[77:78], v[21:22]
	ds_read_b128 v[5:8], v70 offset:2000
	v_add_f64 v[15:16], v[15:16], v[23:24]
	v_add_f64 v[13:14], v[13:14], v[27:28]
	s_waitcnt vmcnt(11) lgkmcnt(1)
	v_mul_f64 v[27:28], v[11:12], v[51:52]
	v_mul_f64 v[23:24], v[9:10], v[51:52]
	s_waitcnt vmcnt(9)
	v_fma_f64 v[1:2], v[1:2], v[39:40], -v[29:30]
	v_fma_f64 v[3:4], v[3:4], v[39:40], v[19:20]
	v_add_f64 v[15:16], v[15:16], v[25:26]
	v_add_f64 v[13:14], v[13:14], v[21:22]
	s_waitcnt vmcnt(7) lgkmcnt(0)
	v_mul_f64 v[21:22], v[7:8], v[35:36]
	s_waitcnt vmcnt(6)
	v_fma_f64 v[9:10], v[9:10], v[71:72], -v[27:28]
	v_mul_f64 v[19:20], v[5:6], v[35:36]
	v_fma_f64 v[11:12], v[11:12], v[71:72], v[23:24]
	v_add_f64 v[1:2], v[15:16], v[1:2]
	v_add_f64 v[3:4], v[13:14], v[3:4]
	s_waitcnt vmcnt(4)
	v_fma_f64 v[5:6], v[5:6], v[47:48], -v[21:22]
	v_fma_f64 v[7:8], v[7:8], v[47:48], v[19:20]
	v_add_f64 v[1:2], v[1:2], v[9:10]
	v_add_f64 v[3:4], v[3:4], v[11:12]
	;; [unrolled: 1-line block ×4, first 2 shown]
	s_waitcnt vmcnt(2)
	v_add_f64 v[1:2], v[17:18], -v[1:2]
	s_waitcnt vmcnt(0)
	v_add_f64 v[3:4], v[53:54], -v[3:4]
	buffer_store_dword v2, off, s[0:3], 0 offset:276
	buffer_store_dword v1, off, s[0:3], 0 offset:272
	;; [unrolled: 1-line block ×4, first 2 shown]
	v_cmpx_lt_u32_e32 15, v0
	s_cbranch_execz .LBB62_373
; %bb.372:
	v_mov_b32_e32 v4, s62
	v_mov_b32_e32 v5, 0
	s_clause 0x3
	buffer_load_dword v1, v4, s[0:3], 0 offen
	buffer_load_dword v2, v4, s[0:3], 0 offen offset:4
	buffer_load_dword v3, v4, s[0:3], 0 offen offset:8
	buffer_load_dword v4, v4, s[0:3], 0 offen offset:12
	buffer_store_dword v5, off, s[0:3], 0 offset:256
	buffer_store_dword v5, off, s[0:3], 0 offset:260
	;; [unrolled: 1-line block ×4, first 2 shown]
	s_waitcnt vmcnt(0)
	ds_write_b128 v69, v[1:4]
.LBB62_373:
	s_or_b32 exec_lo, exec_lo, s4
	s_waitcnt lgkmcnt(0)
	s_waitcnt_vscnt null, 0x0
	s_barrier
	buffer_gl0_inv
	s_clause 0x37
	buffer_load_dword v17, off, s[0:3], 0 offset:280
	buffer_load_dword v18, off, s[0:3], 0 offset:284
	;; [unrolled: 1-line block ×56, first 2 shown]
	v_mov_b32_e32 v70, 0
	s_mov_b32 s4, exec_lo
	ds_read_b128 v[5:8], v70 offset:1264
	s_clause 0x2
	buffer_load_dword v66, off, s[0:3], 0 offset:508
	buffer_load_dword v68, off, s[0:3], 0 offset:484
	;; [unrolled: 1-line block ×3, first 2 shown]
	ds_read_b128 v[1:4], v70 offset:1280
	s_clause 0x4
	buffer_load_dword v78, off, s[0:3], 0 offset:524
	buffer_load_dword v79, off, s[0:3], 0 offset:536
	;; [unrolled: 1-line block ×5, first 2 shown]
	ds_read_b128 v[71:74], v70 offset:1296
	s_waitcnt vmcnt(62) lgkmcnt(2)
	v_mul_f64 v[75:76], v[7:8], v[17:18]
	v_mul_f64 v[17:18], v[5:6], v[17:18]
	s_waitcnt vmcnt(60) lgkmcnt(1)
	v_mul_f64 v[82:83], v[3:4], v[13:14]
	v_mul_f64 v[13:14], v[1:2], v[13:14]
	;; [unrolled: 3-line block ×3, first 2 shown]
	v_fma_f64 v[75:76], v[5:6], v[15:16], -v[75:76]
	v_fma_f64 v[15:16], v[7:8], v[15:16], v[17:18]
	s_clause 0x2
	buffer_load_dword v80, off, s[0:3], 0 offset:540
	buffer_load_dword v18, off, s[0:3], 0 offset:516
	;; [unrolled: 1-line block ×3, first 2 shown]
	s_waitcnt vmcnt(57)
	v_fma_f64 v[83:84], v[1:2], v[9:10], -v[82:83]
	ds_read_b128 v[5:8], v70 offset:1312
	v_fma_f64 v[9:10], v[3:4], v[9:10], v[13:14]
	s_waitcnt vmcnt(51)
	v_fma_f64 v[71:72], v[71:72], v[33:34], -v[11:12]
	v_fma_f64 v[33:34], v[73:74], v[33:34], v[117:118]
	v_add_f64 v[75:76], v[75:76], 0
	v_add_f64 v[13:14], v[15:16], 0
	s_clause 0x4
	buffer_load_dword v16, off, s[0:3], 0 offset:556
	buffer_load_dword v119, off, s[0:3], 0 offset:568
	buffer_load_dword v125, off, s[0:3], 0 offset:560
	buffer_load_dword v15, off, s[0:3], 0 offset:552
	buffer_load_dword v82, off, s[0:3], 0 offset:532
	s_waitcnt lgkmcnt(0)
	v_mul_f64 v[126:127], v[5:6], v[21:22]
	v_mul_f64 v[21:22], v[7:8], v[21:22]
	ds_read_b128 v[1:4], v70 offset:1328
	s_clause 0x2
	buffer_load_dword v120, off, s[0:3], 0 offset:572
	buffer_load_dword v74, off, s[0:3], 0 offset:548
	;; [unrolled: 1-line block ×3, first 2 shown]
	v_add_f64 v[75:76], v[75:76], v[83:84]
	v_add_f64 v[13:14], v[13:14], v[9:10]
	ds_read_b128 v[9:12], v70 offset:1344
	s_waitcnt vmcnt(58) lgkmcnt(1)
	v_mul_f64 v[83:84], v[1:2], v[25:26]
	v_mul_f64 v[25:26], v[3:4], v[25:26]
	s_waitcnt vmcnt(56)
	v_fma_f64 v[21:22], v[5:6], v[27:28], -v[21:22]
	v_fma_f64 v[27:28], v[7:8], v[27:28], v[126:127]
	s_waitcnt vmcnt(52) lgkmcnt(0)
	v_mul_f64 v[127:128], v[9:10], v[29:30]
	v_add_f64 v[71:72], v[75:76], v[71:72]
	v_add_f64 v[13:14], v[13:14], v[33:34]
	s_clause 0x4
	buffer_load_dword v34, off, s[0:3], 0 offset:588
	buffer_load_dword v75, off, s[0:3], 0 offset:600
	;; [unrolled: 1-line block ×5, first 2 shown]
	v_mul_f64 v[29:30], v[11:12], v[29:30]
	s_waitcnt vmcnt(56)
	v_fma_f64 v[25:26], v[1:2], v[19:20], -v[25:26]
	ds_read_b128 v[5:8], v70 offset:1360
	v_fma_f64 v[19:20], v[3:4], v[19:20], v[83:84]
	v_add_f64 v[21:22], v[71:72], v[21:22]
	v_add_f64 v[13:14], v[13:14], v[27:28]
	s_clause 0x2
	buffer_load_dword v76, off, s[0:3], 0 offset:604
	buffer_load_dword v28, off, s[0:3], 0 offset:580
	;; [unrolled: 1-line block ×3, first 2 shown]
	s_waitcnt vmcnt(58) lgkmcnt(0)
	v_mul_f64 v[71:72], v[5:6], v[35:36]
	v_mul_f64 v[35:36], v[7:8], v[35:36]
	s_waitcnt vmcnt(56)
	v_fma_f64 v[29:30], v[9:10], v[37:38], -v[29:30]
	ds_read_b128 v[1:4], v70 offset:1376
	v_add_f64 v[21:22], v[21:22], v[25:26]
	v_fma_f64 v[25:26], v[11:12], v[37:38], v[127:128]
	v_add_f64 v[13:14], v[13:14], v[19:20]
	s_clause 0x4
	buffer_load_dword v20, off, s[0:3], 0 offset:620
	buffer_load_dword v37, off, s[0:3], 0 offset:632
	;; [unrolled: 1-line block ×5, first 2 shown]
	s_waitcnt vmcnt(57) lgkmcnt(0)
	v_mul_f64 v[127:128], v[1:2], v[39:40]
	v_mul_f64 v[39:40], v[3:4], v[39:40]
	s_waitcnt vmcnt(56)
	v_fma_f64 v[35:36], v[5:6], v[23:24], -v[35:36]
	ds_read_b128 v[9:12], v70 offset:1392
	v_fma_f64 v[23:24], v[7:8], v[23:24], v[71:72]
	v_add_f64 v[21:22], v[21:22], v[29:30]
	v_add_f64 v[13:14], v[13:14], v[25:26]
	s_clause 0x2
	buffer_load_dword v38, off, s[0:3], 0 offset:636
	buffer_load_dword v26, off, s[0:3], 0 offset:612
	;; [unrolled: 1-line block ×3, first 2 shown]
	ds_read_b128 v[5:8], v70 offset:1408
	s_waitcnt vmcnt(58) lgkmcnt(1)
	v_mul_f64 v[29:30], v[9:10], v[43:44]
	v_mul_f64 v[43:44], v[11:12], v[43:44]
	s_waitcnt vmcnt(56)
	v_fma_f64 v[39:40], v[1:2], v[45:46], -v[39:40]
	v_add_f64 v[21:22], v[21:22], v[35:36]
	v_fma_f64 v[35:36], v[3:4], v[45:46], v[127:128]
	v_add_f64 v[13:14], v[13:14], v[23:24]
	s_clause 0x4
	buffer_load_dword v24, off, s[0:3], 0 offset:652
	buffer_load_dword v45, off, s[0:3], 0 offset:664
	;; [unrolled: 1-line block ×5, first 2 shown]
	s_waitcnt vmcnt(57) lgkmcnt(0)
	v_mul_f64 v[127:128], v[5:6], v[47:48]
	v_mul_f64 v[47:48], v[7:8], v[47:48]
	s_waitcnt vmcnt(56)
	v_fma_f64 v[43:44], v[9:10], v[31:32], -v[43:44]
	ds_read_b128 v[1:4], v70 offset:1424
	v_fma_f64 v[29:30], v[11:12], v[31:32], v[29:30]
	s_clause 0x2
	buffer_load_dword v46, off, s[0:3], 0 offset:668
	buffer_load_dword v32, off, s[0:3], 0 offset:644
	;; [unrolled: 1-line block ×3, first 2 shown]
	ds_read_b128 v[9:12], v70 offset:1440
	v_add_f64 v[21:22], v[21:22], v[39:40]
	v_add_f64 v[13:14], v[13:14], v[35:36]
	s_waitcnt vmcnt(58) lgkmcnt(1)
	v_mul_f64 v[39:40], v[3:4], v[51:52]
	s_waitcnt vmcnt(56)
	v_fma_f64 v[47:48], v[5:6], v[53:54], -v[47:48]
	v_mul_f64 v[35:36], v[1:2], v[51:52]
	v_add_f64 v[21:22], v[21:22], v[43:44]
	v_fma_f64 v[43:44], v[7:8], v[53:54], v[127:128]
	v_add_f64 v[13:14], v[13:14], v[29:30]
	s_clause 0x4
	buffer_load_dword v30, off, s[0:3], 0 offset:684
	buffer_load_dword v51, off, s[0:3], 0 offset:696
	;; [unrolled: 1-line block ×5, first 2 shown]
	s_waitcnt vmcnt(57) lgkmcnt(0)
	v_mul_f64 v[127:128], v[9:10], v[55:56]
	v_mul_f64 v[54:55], v[11:12], v[55:56]
	s_waitcnt vmcnt(56)
	v_fma_f64 v[39:40], v[1:2], v[41:42], -v[39:40]
	ds_read_b128 v[5:8], v70 offset:1456
	v_fma_f64 v[35:36], v[3:4], v[41:42], v[35:36]
	s_clause 0x2
	buffer_load_dword v52, off, s[0:3], 0 offset:700
	buffer_load_dword v42, off, s[0:3], 0 offset:676
	;; [unrolled: 1-line block ×3, first 2 shown]
	ds_read_b128 v[1:4], v70 offset:1472
	v_add_f64 v[21:22], v[21:22], v[47:48]
	v_add_f64 v[13:14], v[13:14], v[43:44]
	s_waitcnt vmcnt(58) lgkmcnt(1)
	v_mul_f64 v[47:48], v[7:8], v[59:60]
	s_waitcnt vmcnt(56)
	v_fma_f64 v[55:56], v[9:10], v[61:62], -v[54:55]
	v_mul_f64 v[43:44], v[5:6], v[59:60]
	v_add_f64 v[21:22], v[21:22], v[39:40]
	v_fma_f64 v[39:40], v[11:12], v[61:62], v[127:128]
	v_add_f64 v[13:14], v[13:14], v[35:36]
	s_clause 0x4
	buffer_load_dword v36, off, s[0:3], 0 offset:716
	buffer_load_dword v59, off, s[0:3], 0 offset:728
	;; [unrolled: 1-line block ×5, first 2 shown]
	s_waitcnt vmcnt(57) lgkmcnt(0)
	v_mul_f64 v[127:128], v[1:2], v[63:64]
	v_mul_f64 v[62:63], v[3:4], v[63:64]
	s_waitcnt vmcnt(56)
	v_fma_f64 v[47:48], v[5:6], v[49:50], -v[47:48]
	ds_read_b128 v[9:12], v70 offset:1488
	v_fma_f64 v[43:44], v[7:8], v[49:50], v[43:44]
	v_add_f64 v[21:22], v[21:22], v[55:56]
	v_add_f64 v[13:14], v[13:14], v[39:40]
	s_clause 0x2
	buffer_load_dword v60, off, s[0:3], 0 offset:732
	buffer_load_dword v40, off, s[0:3], 0 offset:708
	;; [unrolled: 1-line block ×3, first 2 shown]
	ds_read_b128 v[5:8], v70 offset:1504
	s_waitcnt vmcnt(58) lgkmcnt(1)
	v_mul_f64 v[55:56], v[11:12], v[65:66]
	s_waitcnt vmcnt(56)
	v_fma_f64 v[63:64], v[1:2], v[67:68], -v[62:63]
	v_mul_f64 v[49:50], v[9:10], v[65:66]
	v_add_f64 v[21:22], v[21:22], v[47:48]
	v_fma_f64 v[47:48], v[3:4], v[67:68], v[127:128]
	v_add_f64 v[13:14], v[13:14], v[43:44]
	s_clause 0x4
	buffer_load_dword v44, off, s[0:3], 0 offset:748
	buffer_load_dword v65, off, s[0:3], 0 offset:760
	;; [unrolled: 1-line block ×5, first 2 shown]
	s_waitcnt vmcnt(57) lgkmcnt(0)
	v_mul_f64 v[127:128], v[5:6], v[77:78]
	v_mul_f64 v[77:78], v[7:8], v[77:78]
	s_waitcnt vmcnt(56)
	v_fma_f64 v[55:56], v[9:10], v[57:58], -v[55:56]
	ds_read_b128 v[1:4], v70 offset:1520
	v_fma_f64 v[49:50], v[11:12], v[57:58], v[49:50]
	v_add_f64 v[21:22], v[21:22], v[63:64]
	v_add_f64 v[13:14], v[13:14], v[47:48]
	s_clause 0x2
	buffer_load_dword v66, off, s[0:3], 0 offset:764
	buffer_load_dword v48, off, s[0:3], 0 offset:740
	;; [unrolled: 1-line block ×3, first 2 shown]
	ds_read_b128 v[9:12], v70 offset:1536
	s_waitcnt vmcnt(58) lgkmcnt(1)
	v_mul_f64 v[63:64], v[3:4], v[79:80]
	v_mul_f64 v[57:58], v[1:2], v[79:80]
	s_waitcnt vmcnt(56)
	v_fma_f64 v[77:78], v[5:6], v[17:18], -v[77:78]
	v_fma_f64 v[17:18], v[7:8], v[17:18], v[127:128]
	v_add_f64 v[21:22], v[21:22], v[55:56]
	v_add_f64 v[13:14], v[13:14], v[49:50]
	s_clause 0x4
	buffer_load_dword v50, off, s[0:3], 0 offset:780
	buffer_load_dword v55, off, s[0:3], 0 offset:792
	;; [unrolled: 1-line block ×5, first 2 shown]
	ds_read_b128 v[5:8], v70 offset:1552
	s_waitcnt vmcnt(57) lgkmcnt(1)
	v_mul_f64 v[127:128], v[9:10], v[15:16]
	v_mul_f64 v[15:16], v[11:12], v[15:16]
	s_waitcnt vmcnt(56)
	v_fma_f64 v[63:64], v[1:2], v[81:82], -v[63:64]
	v_fma_f64 v[57:58], v[3:4], v[81:82], v[57:58]
	v_add_f64 v[21:22], v[21:22], v[77:78]
	v_add_f64 v[13:14], v[13:14], v[17:18]
	s_clause 0x2
	buffer_load_dword v56, off, s[0:3], 0 offset:796
	buffer_load_dword v18, off, s[0:3], 0 offset:772
	;; [unrolled: 1-line block ×3, first 2 shown]
	s_waitcnt vmcnt(58) lgkmcnt(0)
	v_mul_f64 v[81:82], v[7:8], v[119:120]
	ds_read_b128 v[1:4], v70 offset:1568
	v_mul_f64 v[77:78], v[5:6], v[119:120]
	s_waitcnt vmcnt(56)
	v_fma_f64 v[15:16], v[9:10], v[73:74], -v[15:16]
	v_add_f64 v[21:22], v[21:22], v[63:64]
	v_fma_f64 v[63:64], v[11:12], v[73:74], v[127:128]
	v_add_f64 v[13:14], v[13:14], v[57:58]
	s_clause 0x4
	buffer_load_dword v58, off, s[0:3], 0 offset:812
	buffer_load_dword v73, off, s[0:3], 0 offset:824
	;; [unrolled: 1-line block ×5, first 2 shown]
	ds_read_b128 v[9:12], v70 offset:1584
	s_waitcnt vmcnt(57) lgkmcnt(1)
	v_mul_f64 v[127:128], v[1:2], v[33:34]
	v_mul_f64 v[33:34], v[3:4], v[33:34]
	s_waitcnt vmcnt(56)
	v_fma_f64 v[81:82], v[5:6], v[125:126], -v[81:82]
	v_add_f64 v[15:16], v[21:22], v[15:16]
	v_fma_f64 v[21:22], v[7:8], v[125:126], v[77:78]
	v_add_f64 v[13:14], v[13:14], v[63:64]
	s_clause 0x2
	buffer_load_dword v74, off, s[0:3], 0 offset:828
	buffer_load_dword v64, off, s[0:3], 0 offset:804
	;; [unrolled: 1-line block ×3, first 2 shown]
	ds_read_b128 v[5:8], v70 offset:1600
	s_waitcnt vmcnt(58) lgkmcnt(1)
	v_mul_f64 v[77:78], v[9:10], v[75:76]
	v_mul_f64 v[75:76], v[11:12], v[75:76]
	s_waitcnt vmcnt(56)
	v_fma_f64 v[33:34], v[1:2], v[27:28], -v[33:34]
	v_fma_f64 v[27:28], v[3:4], v[27:28], v[127:128]
	v_add_f64 v[15:16], v[15:16], v[81:82]
	v_add_f64 v[13:14], v[13:14], v[21:22]
	s_clause 0x4
	buffer_load_dword v22, off, s[0:3], 0 offset:844
	buffer_load_dword v81, off, s[0:3], 0 offset:856
	buffer_load_dword v125, off, s[0:3], 0 offset:848
	buffer_load_dword v21, off, s[0:3], 0 offset:840
	buffer_load_dword v120, off, s[0:3], 0 offset:820
	ds_read_b128 v[1:4], v70 offset:1616
	s_waitcnt vmcnt(57) lgkmcnt(1)
	v_mul_f64 v[126:127], v[5:6], v[19:20]
	v_mul_f64 v[19:20], v[7:8], v[19:20]
	s_waitcnt vmcnt(56)
	v_fma_f64 v[75:76], v[9:10], v[117:118], -v[75:76]
	v_add_f64 v[15:16], v[15:16], v[33:34]
	v_fma_f64 v[33:34], v[11:12], v[117:118], v[77:78]
	v_add_f64 v[13:14], v[13:14], v[27:28]
	s_clause 0x2
	buffer_load_dword v82, off, s[0:3], 0 offset:860
	buffer_load_dword v28, off, s[0:3], 0 offset:836
	;; [unrolled: 1-line block ×3, first 2 shown]
	ds_read_b128 v[9:12], v70 offset:1632
	s_waitcnt vmcnt(58) lgkmcnt(1)
	v_mul_f64 v[77:78], v[1:2], v[37:38]
	v_mul_f64 v[37:38], v[3:4], v[37:38]
	s_waitcnt vmcnt(56)
	v_fma_f64 v[19:20], v[5:6], v[25:26], -v[19:20]
	v_fma_f64 v[25:26], v[7:8], v[25:26], v[126:127]
	v_add_f64 v[15:16], v[15:16], v[75:76]
	v_add_f64 v[13:14], v[13:14], v[33:34]
	s_clause 0x4
	buffer_load_dword v34, off, s[0:3], 0 offset:876
	buffer_load_dword v75, off, s[0:3], 0 offset:888
	;; [unrolled: 1-line block ×5, first 2 shown]
	ds_read_b128 v[5:8], v70 offset:1648
	s_waitcnt vmcnt(57) lgkmcnt(1)
	v_mul_f64 v[127:128], v[9:10], v[23:24]
	v_mul_f64 v[23:24], v[11:12], v[23:24]
	s_waitcnt vmcnt(56)
	v_fma_f64 v[37:38], v[1:2], v[83:84], -v[37:38]
	v_add_f64 v[15:16], v[15:16], v[19:20]
	v_fma_f64 v[19:20], v[3:4], v[83:84], v[77:78]
	v_add_f64 v[13:14], v[13:14], v[25:26]
	s_clause 0x2
	buffer_load_dword v76, off, s[0:3], 0 offset:892
	buffer_load_dword v26, off, s[0:3], 0 offset:868
	;; [unrolled: 1-line block ×3, first 2 shown]
	s_waitcnt vmcnt(58) lgkmcnt(0)
	v_mul_f64 v[77:78], v[5:6], v[45:46]
	v_mul_f64 v[45:46], v[7:8], v[45:46]
	ds_read_b128 v[1:4], v70 offset:1664
	s_waitcnt vmcnt(56)
	v_fma_f64 v[23:24], v[9:10], v[31:32], -v[23:24]
	v_fma_f64 v[31:32], v[11:12], v[31:32], v[127:128]
	v_add_f64 v[15:16], v[15:16], v[37:38]
	v_add_f64 v[13:14], v[13:14], v[19:20]
	s_clause 0x4
	buffer_load_dword v20, off, s[0:3], 0 offset:908
	buffer_load_dword v37, off, s[0:3], 0 offset:920
	;; [unrolled: 1-line block ×5, first 2 shown]
	ds_read_b128 v[9:12], v70 offset:1680
	s_waitcnt vmcnt(57) lgkmcnt(1)
	v_mul_f64 v[127:128], v[1:2], v[29:30]
	v_mul_f64 v[29:30], v[3:4], v[29:30]
	s_waitcnt vmcnt(56)
	v_fma_f64 v[45:46], v[5:6], v[71:72], -v[45:46]
	v_add_f64 v[15:16], v[15:16], v[23:24]
	v_fma_f64 v[23:24], v[7:8], v[71:72], v[77:78]
	v_add_f64 v[13:14], v[13:14], v[31:32]
	s_clause 0x2
	buffer_load_dword v38, off, s[0:3], 0 offset:924
	buffer_load_dword v32, off, s[0:3], 0 offset:900
	;; [unrolled: 1-line block ×3, first 2 shown]
	s_waitcnt vmcnt(58) lgkmcnt(0)
	v_mul_f64 v[71:72], v[9:10], v[51:52]
	v_mul_f64 v[51:52], v[11:12], v[51:52]
	ds_read_b128 v[5:8], v70 offset:1696
	s_waitcnt vmcnt(56)
	v_fma_f64 v[29:30], v[1:2], v[41:42], -v[29:30]
	v_fma_f64 v[41:42], v[3:4], v[41:42], v[127:128]
	v_add_f64 v[15:16], v[15:16], v[45:46]
	v_add_f64 v[13:14], v[13:14], v[23:24]
	s_clause 0x4
	buffer_load_dword v24, off, s[0:3], 0 offset:940
	buffer_load_dword v45, off, s[0:3], 0 offset:952
	;; [unrolled: 1-line block ×5, first 2 shown]
	ds_read_b128 v[1:4], v70 offset:1712
	s_waitcnt vmcnt(57) lgkmcnt(1)
	v_mul_f64 v[127:128], v[5:6], v[35:36]
	v_mul_f64 v[35:36], v[7:8], v[35:36]
	s_waitcnt vmcnt(56)
	v_fma_f64 v[51:52], v[9:10], v[53:54], -v[51:52]
	v_add_f64 v[15:16], v[15:16], v[29:30]
	v_fma_f64 v[29:30], v[11:12], v[53:54], v[71:72]
	v_add_f64 v[13:14], v[13:14], v[41:42]
	s_clause 0x2
	buffer_load_dword v46, off, s[0:3], 0 offset:956
	buffer_load_dword v42, off, s[0:3], 0 offset:932
	buffer_load_dword v41, off, s[0:3], 0 offset:928
	ds_read_b128 v[9:12], v70 offset:1728
	s_waitcnt vmcnt(58) lgkmcnt(1)
	v_mul_f64 v[53:54], v[1:2], v[59:60]
	v_mul_f64 v[59:60], v[3:4], v[59:60]
	s_waitcnt vmcnt(56)
	v_fma_f64 v[35:36], v[5:6], v[39:40], -v[35:36]
	v_fma_f64 v[39:40], v[7:8], v[39:40], v[127:128]
	v_add_f64 v[15:16], v[15:16], v[51:52]
	v_add_f64 v[13:14], v[13:14], v[29:30]
	s_clause 0x4
	buffer_load_dword v30, off, s[0:3], 0 offset:972
	buffer_load_dword v51, off, s[0:3], 0 offset:984
	;; [unrolled: 1-line block ×5, first 2 shown]
	ds_read_b128 v[5:8], v70 offset:1744
	s_waitcnt vmcnt(57) lgkmcnt(1)
	v_mul_f64 v[127:128], v[9:10], v[43:44]
	v_mul_f64 v[43:44], v[11:12], v[43:44]
	s_waitcnt vmcnt(56)
	v_fma_f64 v[59:60], v[1:2], v[61:62], -v[59:60]
	v_add_f64 v[15:16], v[15:16], v[35:36]
	v_fma_f64 v[35:36], v[3:4], v[61:62], v[53:54]
	v_add_f64 v[13:14], v[13:14], v[39:40]
	s_clause 0x2
	buffer_load_dword v52, off, s[0:3], 0 offset:988
	buffer_load_dword v40, off, s[0:3], 0 offset:964
	;; [unrolled: 1-line block ×3, first 2 shown]
	ds_read_b128 v[1:4], v70 offset:1760
	s_waitcnt vmcnt(58) lgkmcnt(1)
	v_mul_f64 v[61:62], v[7:8], v[65:66]
	v_mul_f64 v[53:54], v[5:6], v[65:66]
	s_waitcnt vmcnt(56)
	v_fma_f64 v[43:44], v[9:10], v[47:48], -v[43:44]
	v_fma_f64 v[47:48], v[11:12], v[47:48], v[127:128]
	v_add_f64 v[15:16], v[15:16], v[59:60]
	v_add_f64 v[13:14], v[13:14], v[35:36]
	s_clause 0x4
	buffer_load_dword v36, off, s[0:3], 0 offset:1004
	buffer_load_dword v59, off, s[0:3], 0 offset:1016
	;; [unrolled: 1-line block ×5, first 2 shown]
	ds_read_b128 v[9:12], v70 offset:1776
	s_waitcnt vmcnt(57) lgkmcnt(1)
	v_mul_f64 v[127:128], v[1:2], v[49:50]
	v_mul_f64 v[49:50], v[3:4], v[49:50]
	s_waitcnt vmcnt(56)
	v_fma_f64 v[61:62], v[5:6], v[67:68], -v[61:62]
	v_add_f64 v[15:16], v[15:16], v[43:44]
	v_fma_f64 v[43:44], v[7:8], v[67:68], v[53:54]
	v_add_f64 v[13:14], v[13:14], v[47:48]
	s_clause 0x2
	buffer_load_dword v60, off, s[0:3], 0 offset:1020
	buffer_load_dword v48, off, s[0:3], 0 offset:996
	;; [unrolled: 1-line block ×3, first 2 shown]
	ds_read_b128 v[5:8], v70 offset:1792
	buffer_load_dword v66, off, s[0:3], 0 offset:1012
	s_waitcnt vmcnt(59) lgkmcnt(1)
	v_mul_f64 v[53:54], v[9:10], v[55:56]
	v_mul_f64 v[55:56], v[11:12], v[55:56]
	s_waitcnt vmcnt(57)
	v_fma_f64 v[49:50], v[1:2], v[17:18], -v[49:50]
	v_fma_f64 v[17:18], v[3:4], v[17:18], v[127:128]
	ds_read_b128 v[1:4], v70 offset:1808
	v_add_f64 v[15:16], v[15:16], v[61:62]
	v_add_f64 v[13:14], v[13:14], v[43:44]
	s_waitcnt vmcnt(53) lgkmcnt(1)
	v_mul_f64 v[43:44], v[5:6], v[57:58]
	v_mul_f64 v[57:58], v[7:8], v[57:58]
	s_waitcnt vmcnt(52)
	v_fma_f64 v[55:56], v[9:10], v[79:80], -v[55:56]
	v_add_f64 v[15:16], v[15:16], v[49:50]
	v_fma_f64 v[49:50], v[11:12], v[79:80], v[53:54]
	v_add_f64 v[13:14], v[13:14], v[17:18]
	ds_read_b128 v[9:12], v70 offset:1824
	s_waitcnt vmcnt(51) lgkmcnt(1)
	v_mul_f64 v[53:54], v[3:4], v[73:74]
	v_mul_f64 v[17:18], v[1:2], v[73:74]
	s_waitcnt vmcnt(49)
	v_fma_f64 v[57:58], v[5:6], v[63:64], -v[57:58]
	v_fma_f64 v[43:44], v[7:8], v[63:64], v[43:44]
	v_add_f64 v[15:16], v[15:16], v[55:56]
	v_add_f64 v[13:14], v[13:14], v[49:50]
	s_clause 0x3
	buffer_load_dword v49, off, s[0:3], 0 offset:256
	buffer_load_dword v50, off, s[0:3], 0 offset:260
	;; [unrolled: 1-line block ×4, first 2 shown]
	ds_read_b128 v[5:8], v70 offset:1840
	s_waitcnt vmcnt(49) lgkmcnt(1)
	v_mul_f64 v[61:62], v[9:10], v[21:22]
	v_mul_f64 v[21:22], v[11:12], v[21:22]
	s_waitcnt vmcnt(48)
	v_fma_f64 v[53:54], v[1:2], v[119:120], -v[53:54]
	v_fma_f64 v[17:18], v[3:4], v[119:120], v[17:18]
	ds_read_b128 v[1:4], v70 offset:1856
	v_add_f64 v[15:16], v[15:16], v[57:58]
	v_add_f64 v[13:14], v[13:14], v[43:44]
	s_waitcnt vmcnt(47) lgkmcnt(1)
	v_mul_f64 v[57:58], v[7:8], v[81:82]
	v_mul_f64 v[43:44], v[5:6], v[81:82]
	s_waitcnt vmcnt(45)
	v_fma_f64 v[21:22], v[9:10], v[27:28], -v[21:22]
	v_fma_f64 v[27:28], v[11:12], v[27:28], v[61:62]
	ds_read_b128 v[9:12], v70 offset:1872
	v_add_f64 v[15:16], v[15:16], v[53:54]
	v_add_f64 v[13:14], v[13:14], v[17:18]
	s_waitcnt vmcnt(41) lgkmcnt(1)
	v_mul_f64 v[17:18], v[1:2], v[33:34]
	v_mul_f64 v[33:34], v[3:4], v[33:34]
	s_waitcnt vmcnt(40)
	v_fma_f64 v[53:54], v[5:6], v[125:126], -v[57:58]
	v_add_f64 v[15:16], v[15:16], v[21:22]
	v_fma_f64 v[21:22], v[7:8], v[125:126], v[43:44]
	v_add_f64 v[13:14], v[13:14], v[27:28]
	ds_read_b128 v[5:8], v70 offset:1888
	s_waitcnt vmcnt(39) lgkmcnt(1)
	v_mul_f64 v[43:44], v[11:12], v[75:76]
	v_mul_f64 v[27:28], v[9:10], v[75:76]
	s_waitcnt vmcnt(37)
	v_fma_f64 v[33:34], v[1:2], v[25:26], -v[33:34]
	v_fma_f64 v[17:18], v[3:4], v[25:26], v[17:18]
	ds_read_b128 v[1:4], v70 offset:1904
	v_add_f64 v[15:16], v[15:16], v[53:54]
	v_add_f64 v[13:14], v[13:14], v[21:22]
	s_waitcnt vmcnt(33) lgkmcnt(1)
	v_mul_f64 v[21:22], v[5:6], v[19:20]
	v_mul_f64 v[19:20], v[7:8], v[19:20]
	s_waitcnt vmcnt(32)
	v_fma_f64 v[25:26], v[9:10], v[117:118], -v[43:44]
	v_fma_f64 v[27:28], v[11:12], v[117:118], v[27:28]
	ds_read_b128 v[9:12], v70 offset:1920
	v_add_f64 v[15:16], v[15:16], v[33:34]
	v_add_f64 v[13:14], v[13:14], v[17:18]
	;; [unrolled: 9-line block ×5, first 2 shown]
	s_waitcnt vmcnt(17) lgkmcnt(1)
	v_mul_f64 v[27:28], v[3:4], v[29:30]
	s_waitcnt vmcnt(16)
	v_fma_f64 v[21:22], v[5:6], v[77:78], -v[21:22]
	v_mul_f64 v[17:18], v[1:2], v[29:30]
	v_fma_f64 v[19:20], v[7:8], v[77:78], v[19:20]
	ds_read_b128 v[5:8], v70 offset:1984
	v_add_f64 v[15:16], v[15:16], v[23:24]
	v_add_f64 v[13:14], v[13:14], v[25:26]
	s_waitcnt vmcnt(15) lgkmcnt(1)
	v_mul_f64 v[25:26], v[11:12], v[51:52]
	v_mul_f64 v[23:24], v[9:10], v[51:52]
	s_waitcnt vmcnt(13)
	v_fma_f64 v[27:28], v[1:2], v[39:40], -v[27:28]
	v_fma_f64 v[17:18], v[3:4], v[39:40], v[17:18]
	ds_read_b128 v[1:4], v70 offset:2000
	v_add_f64 v[15:16], v[15:16], v[21:22]
	v_add_f64 v[13:14], v[13:14], v[19:20]
	s_waitcnt vmcnt(9) lgkmcnt(1)
	v_mul_f64 v[21:22], v[7:8], v[35:36]
	s_waitcnt vmcnt(8)
	v_fma_f64 v[9:10], v[9:10], v[71:72], -v[25:26]
	v_mul_f64 v[19:20], v[5:6], v[35:36]
	v_fma_f64 v[11:12], v[11:12], v[71:72], v[23:24]
	v_add_f64 v[15:16], v[15:16], v[27:28]
	v_add_f64 v[13:14], v[13:14], v[17:18]
	s_waitcnt vmcnt(7) lgkmcnt(0)
	v_mul_f64 v[23:24], v[3:4], v[59:60]
	v_mul_f64 v[17:18], v[1:2], v[59:60]
	s_waitcnt vmcnt(5)
	v_fma_f64 v[5:6], v[5:6], v[47:48], -v[21:22]
	v_fma_f64 v[7:8], v[7:8], v[47:48], v[19:20]
	v_add_f64 v[9:10], v[15:16], v[9:10]
	v_add_f64 v[11:12], v[13:14], v[11:12]
	s_waitcnt vmcnt(4)
	v_fma_f64 v[1:2], v[1:2], v[65:66], -v[23:24]
	v_fma_f64 v[3:4], v[3:4], v[65:66], v[17:18]
	v_add_f64 v[5:6], v[9:10], v[5:6]
	v_add_f64 v[7:8], v[11:12], v[7:8]
	;; [unrolled: 1-line block ×4, first 2 shown]
	s_waitcnt vmcnt(2)
	v_add_f64 v[1:2], v[49:50], -v[1:2]
	s_waitcnt vmcnt(0)
	v_add_f64 v[3:4], v[55:56], -v[3:4]
	buffer_store_dword v2, off, s[0:3], 0 offset:260
	buffer_store_dword v1, off, s[0:3], 0 offset:256
	;; [unrolled: 1-line block ×4, first 2 shown]
	v_cmpx_lt_u32_e32 14, v0
	s_cbranch_execz .LBB62_375
; %bb.374:
	v_mov_b32_e32 v4, s64
	s_clause 0x3
	buffer_load_dword v1, v4, s[0:3], 0 offen
	buffer_load_dword v2, v4, s[0:3], 0 offen offset:4
	buffer_load_dword v3, v4, s[0:3], 0 offen offset:8
	;; [unrolled: 1-line block ×3, first 2 shown]
	buffer_store_dword v70, off, s[0:3], 0 offset:240
	buffer_store_dword v70, off, s[0:3], 0 offset:244
	;; [unrolled: 1-line block ×4, first 2 shown]
	s_waitcnt vmcnt(0)
	ds_write_b128 v69, v[1:4]
.LBB62_375:
	s_or_b32 exec_lo, exec_lo, s4
	s_waitcnt lgkmcnt(0)
	s_waitcnt_vscnt null, 0x0
	s_barrier
	buffer_gl0_inv
	s_clause 0x37
	buffer_load_dword v17, off, s[0:3], 0 offset:264
	buffer_load_dword v18, off, s[0:3], 0 offset:268
	;; [unrolled: 1-line block ×56, first 2 shown]
	ds_read_b128 v[5:8], v70 offset:1248
	s_clause 0x2
	buffer_load_dword v66, off, s[0:3], 0 offset:492
	buffer_load_dword v68, off, s[0:3], 0 offset:468
	;; [unrolled: 1-line block ×3, first 2 shown]
	ds_read_b128 v[1:4], v70 offset:1264
	s_clause 0x4
	buffer_load_dword v78, off, s[0:3], 0 offset:508
	buffer_load_dword v79, off, s[0:3], 0 offset:520
	;; [unrolled: 1-line block ×5, first 2 shown]
	ds_read_b128 v[71:74], v70 offset:1280
	s_mov_b32 s4, exec_lo
	s_waitcnt vmcnt(62) lgkmcnt(2)
	v_mul_f64 v[75:76], v[7:8], v[17:18]
	v_mul_f64 v[17:18], v[5:6], v[17:18]
	s_waitcnt vmcnt(60) lgkmcnt(1)
	v_mul_f64 v[82:83], v[3:4], v[13:14]
	v_mul_f64 v[13:14], v[1:2], v[13:14]
	;; [unrolled: 3-line block ×3, first 2 shown]
	v_fma_f64 v[75:76], v[5:6], v[15:16], -v[75:76]
	v_fma_f64 v[15:16], v[7:8], v[15:16], v[17:18]
	s_clause 0x2
	buffer_load_dword v80, off, s[0:3], 0 offset:524
	buffer_load_dword v18, off, s[0:3], 0 offset:500
	;; [unrolled: 1-line block ×3, first 2 shown]
	s_waitcnt vmcnt(57)
	v_fma_f64 v[83:84], v[1:2], v[9:10], -v[82:83]
	ds_read_b128 v[5:8], v70 offset:1296
	v_fma_f64 v[9:10], v[3:4], v[9:10], v[13:14]
	s_waitcnt vmcnt(51)
	v_fma_f64 v[71:72], v[71:72], v[33:34], -v[11:12]
	v_fma_f64 v[33:34], v[73:74], v[33:34], v[117:118]
	v_add_f64 v[75:76], v[75:76], 0
	v_add_f64 v[13:14], v[15:16], 0
	s_clause 0x4
	buffer_load_dword v16, off, s[0:3], 0 offset:540
	buffer_load_dword v119, off, s[0:3], 0 offset:552
	;; [unrolled: 1-line block ×5, first 2 shown]
	s_waitcnt lgkmcnt(0)
	v_mul_f64 v[126:127], v[5:6], v[21:22]
	v_mul_f64 v[21:22], v[7:8], v[21:22]
	ds_read_b128 v[1:4], v70 offset:1312
	s_clause 0x2
	buffer_load_dword v120, off, s[0:3], 0 offset:556
	buffer_load_dword v74, off, s[0:3], 0 offset:532
	;; [unrolled: 1-line block ×3, first 2 shown]
	v_add_f64 v[75:76], v[75:76], v[83:84]
	v_add_f64 v[13:14], v[13:14], v[9:10]
	ds_read_b128 v[9:12], v70 offset:1328
	s_waitcnt vmcnt(58) lgkmcnt(1)
	v_mul_f64 v[83:84], v[1:2], v[25:26]
	v_mul_f64 v[25:26], v[3:4], v[25:26]
	s_waitcnt vmcnt(56)
	v_fma_f64 v[21:22], v[5:6], v[27:28], -v[21:22]
	v_fma_f64 v[27:28], v[7:8], v[27:28], v[126:127]
	s_waitcnt vmcnt(52) lgkmcnt(0)
	v_mul_f64 v[127:128], v[9:10], v[29:30]
	v_add_f64 v[71:72], v[75:76], v[71:72]
	v_add_f64 v[13:14], v[13:14], v[33:34]
	s_clause 0x4
	buffer_load_dword v34, off, s[0:3], 0 offset:572
	buffer_load_dword v75, off, s[0:3], 0 offset:584
	;; [unrolled: 1-line block ×5, first 2 shown]
	v_mul_f64 v[29:30], v[11:12], v[29:30]
	s_waitcnt vmcnt(56)
	v_fma_f64 v[25:26], v[1:2], v[19:20], -v[25:26]
	ds_read_b128 v[5:8], v70 offset:1344
	v_fma_f64 v[19:20], v[3:4], v[19:20], v[83:84]
	v_add_f64 v[21:22], v[71:72], v[21:22]
	v_add_f64 v[13:14], v[13:14], v[27:28]
	s_clause 0x2
	buffer_load_dword v76, off, s[0:3], 0 offset:588
	buffer_load_dword v28, off, s[0:3], 0 offset:564
	buffer_load_dword v27, off, s[0:3], 0 offset:560
	s_waitcnt vmcnt(58) lgkmcnt(0)
	v_mul_f64 v[71:72], v[5:6], v[35:36]
	v_mul_f64 v[35:36], v[7:8], v[35:36]
	s_waitcnt vmcnt(56)
	v_fma_f64 v[29:30], v[9:10], v[37:38], -v[29:30]
	ds_read_b128 v[1:4], v70 offset:1360
	v_add_f64 v[21:22], v[21:22], v[25:26]
	v_fma_f64 v[25:26], v[11:12], v[37:38], v[127:128]
	v_add_f64 v[13:14], v[13:14], v[19:20]
	s_clause 0x4
	buffer_load_dword v20, off, s[0:3], 0 offset:604
	buffer_load_dword v37, off, s[0:3], 0 offset:616
	;; [unrolled: 1-line block ×5, first 2 shown]
	s_waitcnt vmcnt(57) lgkmcnt(0)
	v_mul_f64 v[127:128], v[1:2], v[39:40]
	v_mul_f64 v[39:40], v[3:4], v[39:40]
	s_waitcnt vmcnt(56)
	v_fma_f64 v[35:36], v[5:6], v[23:24], -v[35:36]
	ds_read_b128 v[9:12], v70 offset:1376
	v_fma_f64 v[23:24], v[7:8], v[23:24], v[71:72]
	v_add_f64 v[21:22], v[21:22], v[29:30]
	v_add_f64 v[13:14], v[13:14], v[25:26]
	s_clause 0x2
	buffer_load_dword v38, off, s[0:3], 0 offset:620
	buffer_load_dword v26, off, s[0:3], 0 offset:596
	;; [unrolled: 1-line block ×3, first 2 shown]
	ds_read_b128 v[5:8], v70 offset:1392
	s_waitcnt vmcnt(58) lgkmcnt(1)
	v_mul_f64 v[29:30], v[9:10], v[43:44]
	v_mul_f64 v[43:44], v[11:12], v[43:44]
	s_waitcnt vmcnt(56)
	v_fma_f64 v[39:40], v[1:2], v[45:46], -v[39:40]
	v_add_f64 v[21:22], v[21:22], v[35:36]
	v_fma_f64 v[35:36], v[3:4], v[45:46], v[127:128]
	v_add_f64 v[13:14], v[13:14], v[23:24]
	s_clause 0x4
	buffer_load_dword v24, off, s[0:3], 0 offset:636
	buffer_load_dword v45, off, s[0:3], 0 offset:648
	;; [unrolled: 1-line block ×5, first 2 shown]
	s_waitcnt vmcnt(57) lgkmcnt(0)
	v_mul_f64 v[127:128], v[5:6], v[47:48]
	v_mul_f64 v[47:48], v[7:8], v[47:48]
	s_waitcnt vmcnt(56)
	v_fma_f64 v[43:44], v[9:10], v[31:32], -v[43:44]
	ds_read_b128 v[1:4], v70 offset:1408
	v_fma_f64 v[29:30], v[11:12], v[31:32], v[29:30]
	s_clause 0x2
	buffer_load_dword v46, off, s[0:3], 0 offset:652
	buffer_load_dword v32, off, s[0:3], 0 offset:628
	;; [unrolled: 1-line block ×3, first 2 shown]
	ds_read_b128 v[9:12], v70 offset:1424
	v_add_f64 v[21:22], v[21:22], v[39:40]
	v_add_f64 v[13:14], v[13:14], v[35:36]
	s_waitcnt vmcnt(58) lgkmcnt(1)
	v_mul_f64 v[39:40], v[3:4], v[51:52]
	s_waitcnt vmcnt(56)
	v_fma_f64 v[47:48], v[5:6], v[53:54], -v[47:48]
	v_mul_f64 v[35:36], v[1:2], v[51:52]
	v_add_f64 v[21:22], v[21:22], v[43:44]
	v_fma_f64 v[43:44], v[7:8], v[53:54], v[127:128]
	v_add_f64 v[13:14], v[13:14], v[29:30]
	s_clause 0x4
	buffer_load_dword v30, off, s[0:3], 0 offset:668
	buffer_load_dword v51, off, s[0:3], 0 offset:680
	;; [unrolled: 1-line block ×5, first 2 shown]
	s_waitcnt vmcnt(57) lgkmcnt(0)
	v_mul_f64 v[127:128], v[9:10], v[55:56]
	v_mul_f64 v[54:55], v[11:12], v[55:56]
	s_waitcnt vmcnt(56)
	v_fma_f64 v[39:40], v[1:2], v[41:42], -v[39:40]
	ds_read_b128 v[5:8], v70 offset:1440
	v_fma_f64 v[35:36], v[3:4], v[41:42], v[35:36]
	s_clause 0x2
	buffer_load_dword v52, off, s[0:3], 0 offset:684
	buffer_load_dword v42, off, s[0:3], 0 offset:660
	buffer_load_dword v41, off, s[0:3], 0 offset:656
	ds_read_b128 v[1:4], v70 offset:1456
	v_add_f64 v[21:22], v[21:22], v[47:48]
	v_add_f64 v[13:14], v[13:14], v[43:44]
	s_waitcnt vmcnt(58) lgkmcnt(1)
	v_mul_f64 v[47:48], v[7:8], v[59:60]
	s_waitcnt vmcnt(56)
	v_fma_f64 v[55:56], v[9:10], v[61:62], -v[54:55]
	v_mul_f64 v[43:44], v[5:6], v[59:60]
	v_add_f64 v[21:22], v[21:22], v[39:40]
	v_fma_f64 v[39:40], v[11:12], v[61:62], v[127:128]
	v_add_f64 v[13:14], v[13:14], v[35:36]
	s_clause 0x4
	buffer_load_dword v36, off, s[0:3], 0 offset:700
	buffer_load_dword v59, off, s[0:3], 0 offset:712
	buffer_load_dword v61, off, s[0:3], 0 offset:704
	buffer_load_dword v35, off, s[0:3], 0 offset:696
	buffer_load_dword v54, off, s[0:3], 0 offset:676
	s_waitcnt vmcnt(57) lgkmcnt(0)
	v_mul_f64 v[127:128], v[1:2], v[63:64]
	v_mul_f64 v[62:63], v[3:4], v[63:64]
	s_waitcnt vmcnt(56)
	v_fma_f64 v[47:48], v[5:6], v[49:50], -v[47:48]
	ds_read_b128 v[9:12], v70 offset:1472
	v_fma_f64 v[43:44], v[7:8], v[49:50], v[43:44]
	v_add_f64 v[21:22], v[21:22], v[55:56]
	v_add_f64 v[13:14], v[13:14], v[39:40]
	s_clause 0x2
	buffer_load_dword v60, off, s[0:3], 0 offset:716
	buffer_load_dword v40, off, s[0:3], 0 offset:692
	;; [unrolled: 1-line block ×3, first 2 shown]
	ds_read_b128 v[5:8], v70 offset:1488
	s_waitcnt vmcnt(58) lgkmcnt(1)
	v_mul_f64 v[55:56], v[11:12], v[65:66]
	s_waitcnt vmcnt(56)
	v_fma_f64 v[63:64], v[1:2], v[67:68], -v[62:63]
	v_mul_f64 v[49:50], v[9:10], v[65:66]
	v_add_f64 v[21:22], v[21:22], v[47:48]
	v_fma_f64 v[47:48], v[3:4], v[67:68], v[127:128]
	v_add_f64 v[13:14], v[13:14], v[43:44]
	s_clause 0x4
	buffer_load_dword v44, off, s[0:3], 0 offset:732
	buffer_load_dword v65, off, s[0:3], 0 offset:744
	;; [unrolled: 1-line block ×5, first 2 shown]
	s_waitcnt vmcnt(57) lgkmcnt(0)
	v_mul_f64 v[127:128], v[5:6], v[77:78]
	v_mul_f64 v[77:78], v[7:8], v[77:78]
	s_waitcnt vmcnt(56)
	v_fma_f64 v[55:56], v[9:10], v[57:58], -v[55:56]
	ds_read_b128 v[1:4], v70 offset:1504
	v_fma_f64 v[49:50], v[11:12], v[57:58], v[49:50]
	v_add_f64 v[21:22], v[21:22], v[63:64]
	v_add_f64 v[13:14], v[13:14], v[47:48]
	s_clause 0x2
	buffer_load_dword v66, off, s[0:3], 0 offset:748
	buffer_load_dword v48, off, s[0:3], 0 offset:724
	buffer_load_dword v47, off, s[0:3], 0 offset:720
	ds_read_b128 v[9:12], v70 offset:1520
	s_waitcnt vmcnt(58) lgkmcnt(1)
	v_mul_f64 v[63:64], v[3:4], v[79:80]
	v_mul_f64 v[57:58], v[1:2], v[79:80]
	s_waitcnt vmcnt(56)
	v_fma_f64 v[77:78], v[5:6], v[17:18], -v[77:78]
	v_fma_f64 v[17:18], v[7:8], v[17:18], v[127:128]
	v_add_f64 v[21:22], v[21:22], v[55:56]
	v_add_f64 v[13:14], v[13:14], v[49:50]
	s_clause 0x4
	buffer_load_dword v50, off, s[0:3], 0 offset:764
	buffer_load_dword v55, off, s[0:3], 0 offset:776
	;; [unrolled: 1-line block ×5, first 2 shown]
	ds_read_b128 v[5:8], v70 offset:1536
	s_waitcnt vmcnt(57) lgkmcnt(1)
	v_mul_f64 v[127:128], v[9:10], v[15:16]
	v_mul_f64 v[15:16], v[11:12], v[15:16]
	s_waitcnt vmcnt(56)
	v_fma_f64 v[63:64], v[1:2], v[81:82], -v[63:64]
	v_fma_f64 v[57:58], v[3:4], v[81:82], v[57:58]
	v_add_f64 v[21:22], v[21:22], v[77:78]
	v_add_f64 v[13:14], v[13:14], v[17:18]
	s_clause 0x2
	buffer_load_dword v56, off, s[0:3], 0 offset:780
	buffer_load_dword v18, off, s[0:3], 0 offset:756
	buffer_load_dword v17, off, s[0:3], 0 offset:752
	s_waitcnt vmcnt(58) lgkmcnt(0)
	v_mul_f64 v[81:82], v[7:8], v[119:120]
	ds_read_b128 v[1:4], v70 offset:1552
	v_mul_f64 v[77:78], v[5:6], v[119:120]
	s_waitcnt vmcnt(56)
	v_fma_f64 v[15:16], v[9:10], v[73:74], -v[15:16]
	v_add_f64 v[21:22], v[21:22], v[63:64]
	v_fma_f64 v[63:64], v[11:12], v[73:74], v[127:128]
	v_add_f64 v[13:14], v[13:14], v[57:58]
	s_clause 0x4
	buffer_load_dword v58, off, s[0:3], 0 offset:796
	buffer_load_dword v73, off, s[0:3], 0 offset:808
	;; [unrolled: 1-line block ×5, first 2 shown]
	ds_read_b128 v[9:12], v70 offset:1568
	s_waitcnt vmcnt(57) lgkmcnt(1)
	v_mul_f64 v[127:128], v[1:2], v[33:34]
	v_mul_f64 v[33:34], v[3:4], v[33:34]
	s_waitcnt vmcnt(56)
	v_fma_f64 v[81:82], v[5:6], v[125:126], -v[81:82]
	v_add_f64 v[15:16], v[21:22], v[15:16]
	v_fma_f64 v[21:22], v[7:8], v[125:126], v[77:78]
	v_add_f64 v[13:14], v[13:14], v[63:64]
	s_clause 0x2
	buffer_load_dword v74, off, s[0:3], 0 offset:812
	buffer_load_dword v64, off, s[0:3], 0 offset:788
	;; [unrolled: 1-line block ×3, first 2 shown]
	ds_read_b128 v[5:8], v70 offset:1584
	s_waitcnt vmcnt(58) lgkmcnt(1)
	v_mul_f64 v[77:78], v[9:10], v[75:76]
	v_mul_f64 v[75:76], v[11:12], v[75:76]
	s_waitcnt vmcnt(56)
	v_fma_f64 v[33:34], v[1:2], v[27:28], -v[33:34]
	v_fma_f64 v[27:28], v[3:4], v[27:28], v[127:128]
	v_add_f64 v[15:16], v[15:16], v[81:82]
	v_add_f64 v[13:14], v[13:14], v[21:22]
	s_clause 0x4
	buffer_load_dword v22, off, s[0:3], 0 offset:828
	buffer_load_dword v81, off, s[0:3], 0 offset:840
	;; [unrolled: 1-line block ×5, first 2 shown]
	ds_read_b128 v[1:4], v70 offset:1600
	s_waitcnt vmcnt(57) lgkmcnt(1)
	v_mul_f64 v[126:127], v[5:6], v[19:20]
	v_mul_f64 v[19:20], v[7:8], v[19:20]
	s_waitcnt vmcnt(56)
	v_fma_f64 v[75:76], v[9:10], v[117:118], -v[75:76]
	v_add_f64 v[15:16], v[15:16], v[33:34]
	v_fma_f64 v[33:34], v[11:12], v[117:118], v[77:78]
	v_add_f64 v[13:14], v[13:14], v[27:28]
	s_clause 0x2
	buffer_load_dword v82, off, s[0:3], 0 offset:844
	buffer_load_dword v28, off, s[0:3], 0 offset:820
	;; [unrolled: 1-line block ×3, first 2 shown]
	ds_read_b128 v[9:12], v70 offset:1616
	s_waitcnt vmcnt(58) lgkmcnt(1)
	v_mul_f64 v[77:78], v[1:2], v[37:38]
	v_mul_f64 v[37:38], v[3:4], v[37:38]
	s_waitcnt vmcnt(56)
	v_fma_f64 v[19:20], v[5:6], v[25:26], -v[19:20]
	v_fma_f64 v[25:26], v[7:8], v[25:26], v[126:127]
	v_add_f64 v[15:16], v[15:16], v[75:76]
	v_add_f64 v[13:14], v[13:14], v[33:34]
	s_clause 0x4
	buffer_load_dword v34, off, s[0:3], 0 offset:860
	buffer_load_dword v75, off, s[0:3], 0 offset:872
	;; [unrolled: 1-line block ×5, first 2 shown]
	ds_read_b128 v[5:8], v70 offset:1632
	s_waitcnt vmcnt(57) lgkmcnt(1)
	v_mul_f64 v[127:128], v[9:10], v[23:24]
	v_mul_f64 v[23:24], v[11:12], v[23:24]
	s_waitcnt vmcnt(56)
	v_fma_f64 v[37:38], v[1:2], v[83:84], -v[37:38]
	v_add_f64 v[15:16], v[15:16], v[19:20]
	v_fma_f64 v[19:20], v[3:4], v[83:84], v[77:78]
	v_add_f64 v[13:14], v[13:14], v[25:26]
	s_clause 0x2
	buffer_load_dword v76, off, s[0:3], 0 offset:876
	buffer_load_dword v26, off, s[0:3], 0 offset:852
	;; [unrolled: 1-line block ×3, first 2 shown]
	s_waitcnt vmcnt(58) lgkmcnt(0)
	v_mul_f64 v[77:78], v[5:6], v[45:46]
	v_mul_f64 v[45:46], v[7:8], v[45:46]
	ds_read_b128 v[1:4], v70 offset:1648
	s_waitcnt vmcnt(56)
	v_fma_f64 v[23:24], v[9:10], v[31:32], -v[23:24]
	v_fma_f64 v[31:32], v[11:12], v[31:32], v[127:128]
	v_add_f64 v[15:16], v[15:16], v[37:38]
	v_add_f64 v[13:14], v[13:14], v[19:20]
	s_clause 0x4
	buffer_load_dword v20, off, s[0:3], 0 offset:892
	buffer_load_dword v37, off, s[0:3], 0 offset:904
	;; [unrolled: 1-line block ×5, first 2 shown]
	ds_read_b128 v[9:12], v70 offset:1664
	s_waitcnt vmcnt(57) lgkmcnt(1)
	v_mul_f64 v[127:128], v[1:2], v[29:30]
	v_mul_f64 v[29:30], v[3:4], v[29:30]
	s_waitcnt vmcnt(56)
	v_fma_f64 v[45:46], v[5:6], v[71:72], -v[45:46]
	v_add_f64 v[15:16], v[15:16], v[23:24]
	v_fma_f64 v[23:24], v[7:8], v[71:72], v[77:78]
	v_add_f64 v[13:14], v[13:14], v[31:32]
	s_clause 0x2
	buffer_load_dword v38, off, s[0:3], 0 offset:908
	buffer_load_dword v32, off, s[0:3], 0 offset:884
	;; [unrolled: 1-line block ×3, first 2 shown]
	s_waitcnt vmcnt(58) lgkmcnt(0)
	v_mul_f64 v[71:72], v[9:10], v[51:52]
	v_mul_f64 v[51:52], v[11:12], v[51:52]
	ds_read_b128 v[5:8], v70 offset:1680
	s_waitcnt vmcnt(56)
	v_fma_f64 v[29:30], v[1:2], v[41:42], -v[29:30]
	v_fma_f64 v[41:42], v[3:4], v[41:42], v[127:128]
	v_add_f64 v[15:16], v[15:16], v[45:46]
	v_add_f64 v[13:14], v[13:14], v[23:24]
	s_clause 0x4
	buffer_load_dword v24, off, s[0:3], 0 offset:924
	buffer_load_dword v45, off, s[0:3], 0 offset:936
	buffer_load_dword v77, off, s[0:3], 0 offset:928
	buffer_load_dword v23, off, s[0:3], 0 offset:920
	buffer_load_dword v84, off, s[0:3], 0 offset:900
	ds_read_b128 v[1:4], v70 offset:1696
	s_waitcnt vmcnt(57) lgkmcnt(1)
	v_mul_f64 v[127:128], v[5:6], v[35:36]
	v_mul_f64 v[35:36], v[7:8], v[35:36]
	s_waitcnt vmcnt(56)
	v_fma_f64 v[51:52], v[9:10], v[53:54], -v[51:52]
	v_add_f64 v[15:16], v[15:16], v[29:30]
	v_fma_f64 v[29:30], v[11:12], v[53:54], v[71:72]
	v_add_f64 v[13:14], v[13:14], v[41:42]
	s_clause 0x2
	buffer_load_dword v46, off, s[0:3], 0 offset:940
	buffer_load_dword v42, off, s[0:3], 0 offset:916
	buffer_load_dword v41, off, s[0:3], 0 offset:912
	ds_read_b128 v[9:12], v70 offset:1712
	s_waitcnt vmcnt(58) lgkmcnt(1)
	v_mul_f64 v[53:54], v[1:2], v[59:60]
	v_mul_f64 v[59:60], v[3:4], v[59:60]
	s_waitcnt vmcnt(56)
	v_fma_f64 v[35:36], v[5:6], v[39:40], -v[35:36]
	v_fma_f64 v[39:40], v[7:8], v[39:40], v[127:128]
	v_add_f64 v[15:16], v[15:16], v[51:52]
	v_add_f64 v[13:14], v[13:14], v[29:30]
	s_clause 0x4
	buffer_load_dword v30, off, s[0:3], 0 offset:956
	buffer_load_dword v51, off, s[0:3], 0 offset:968
	buffer_load_dword v71, off, s[0:3], 0 offset:960
	buffer_load_dword v29, off, s[0:3], 0 offset:952
	buffer_load_dword v78, off, s[0:3], 0 offset:932
	ds_read_b128 v[5:8], v70 offset:1728
	s_waitcnt vmcnt(57) lgkmcnt(1)
	v_mul_f64 v[127:128], v[9:10], v[43:44]
	v_mul_f64 v[43:44], v[11:12], v[43:44]
	s_waitcnt vmcnt(56)
	v_fma_f64 v[59:60], v[1:2], v[61:62], -v[59:60]
	v_add_f64 v[15:16], v[15:16], v[35:36]
	v_fma_f64 v[35:36], v[3:4], v[61:62], v[53:54]
	v_add_f64 v[13:14], v[13:14], v[39:40]
	s_clause 0x2
	buffer_load_dword v52, off, s[0:3], 0 offset:972
	buffer_load_dword v40, off, s[0:3], 0 offset:948
	buffer_load_dword v39, off, s[0:3], 0 offset:944
	ds_read_b128 v[1:4], v70 offset:1744
	s_waitcnt vmcnt(58) lgkmcnt(1)
	v_mul_f64 v[61:62], v[7:8], v[65:66]
	v_mul_f64 v[53:54], v[5:6], v[65:66]
	;; [unrolled: 28-line block ×3, first 2 shown]
	s_waitcnt vmcnt(56)
	v_fma_f64 v[49:50], v[1:2], v[17:18], -v[49:50]
	v_fma_f64 v[17:18], v[3:4], v[17:18], v[127:128]
	v_add_f64 v[15:16], v[15:16], v[61:62]
	v_add_f64 v[13:14], v[13:14], v[43:44]
	s_clause 0x2
	buffer_load_dword v44, off, s[0:3], 0 offset:1020
	buffer_load_dword v43, off, s[0:3], 0 offset:1016
	;; [unrolled: 1-line block ×3, first 2 shown]
	ds_read_b128 v[1:4], v70 offset:1792
	s_waitcnt vmcnt(55) lgkmcnt(1)
	v_mul_f64 v[61:62], v[5:6], v[57:58]
	v_mul_f64 v[57:58], v[7:8], v[57:58]
	s_waitcnt vmcnt(54)
	v_fma_f64 v[55:56], v[9:10], v[79:80], -v[55:56]
	v_add_f64 v[15:16], v[15:16], v[49:50]
	v_fma_f64 v[49:50], v[11:12], v[79:80], v[53:54]
	v_add_f64 v[13:14], v[13:14], v[17:18]
	s_clause 0x1
	buffer_load_dword v18, off, s[0:3], 0 offset:1012
	buffer_load_dword v17, off, s[0:3], 0 offset:1008
	ds_read_b128 v[9:12], v70 offset:1808
	s_waitcnt vmcnt(55) lgkmcnt(1)
	v_mul_f64 v[67:68], v[3:4], v[73:74]
	v_mul_f64 v[53:54], v[1:2], v[73:74]
	s_waitcnt vmcnt(53)
	v_fma_f64 v[57:58], v[5:6], v[63:64], -v[57:58]
	v_add_f64 v[15:16], v[15:16], v[55:56]
	v_fma_f64 v[55:56], v[7:8], v[63:64], v[61:62]
	v_add_f64 v[13:14], v[13:14], v[49:50]
	ds_read_b128 v[5:8], v70 offset:1824
	s_waitcnt vmcnt(49) lgkmcnt(1)
	v_mul_f64 v[49:50], v[9:10], v[21:22]
	v_mul_f64 v[21:22], v[11:12], v[21:22]
	s_waitcnt vmcnt(48)
	v_fma_f64 v[61:62], v[1:2], v[119:120], -v[67:68]
	v_fma_f64 v[53:54], v[3:4], v[119:120], v[53:54]
	v_add_f64 v[15:16], v[15:16], v[57:58]
	v_add_f64 v[13:14], v[13:14], v[55:56]
	s_clause 0x3
	buffer_load_dword v55, off, s[0:3], 0 offset:240
	buffer_load_dword v56, off, s[0:3], 0 offset:244
	;; [unrolled: 1-line block ×4, first 2 shown]
	ds_read_b128 v[1:4], v70 offset:1840
	s_waitcnt vmcnt(51) lgkmcnt(1)
	v_mul_f64 v[67:68], v[7:8], v[81:82]
	v_mul_f64 v[63:64], v[5:6], v[81:82]
	s_waitcnt vmcnt(49)
	v_fma_f64 v[21:22], v[9:10], v[27:28], -v[21:22]
	v_fma_f64 v[27:28], v[11:12], v[27:28], v[49:50]
	ds_read_b128 v[9:12], v70 offset:1856
	v_add_f64 v[15:16], v[15:16], v[61:62]
	v_add_f64 v[13:14], v[13:14], v[53:54]
	s_waitcnt vmcnt(45) lgkmcnt(1)
	v_mul_f64 v[49:50], v[1:2], v[33:34]
	v_mul_f64 v[33:34], v[3:4], v[33:34]
	s_waitcnt vmcnt(44)
	v_fma_f64 v[53:54], v[5:6], v[125:126], -v[67:68]
	v_add_f64 v[15:16], v[15:16], v[21:22]
	v_fma_f64 v[21:22], v[7:8], v[125:126], v[63:64]
	v_add_f64 v[13:14], v[13:14], v[27:28]
	ds_read_b128 v[5:8], v70 offset:1872
	s_waitcnt vmcnt(43) lgkmcnt(1)
	v_mul_f64 v[61:62], v[11:12], v[75:76]
	v_mul_f64 v[27:28], v[9:10], v[75:76]
	s_waitcnt vmcnt(41)
	v_fma_f64 v[33:34], v[1:2], v[25:26], -v[33:34]
	v_fma_f64 v[25:26], v[3:4], v[25:26], v[49:50]
	ds_read_b128 v[1:4], v70 offset:1888
	v_add_f64 v[15:16], v[15:16], v[53:54]
	v_add_f64 v[13:14], v[13:14], v[21:22]
	s_waitcnt vmcnt(37) lgkmcnt(1)
	v_mul_f64 v[21:22], v[5:6], v[19:20]
	v_mul_f64 v[19:20], v[7:8], v[19:20]
	s_waitcnt vmcnt(36)
	v_fma_f64 v[49:50], v[9:10], v[117:118], -v[61:62]
	v_fma_f64 v[27:28], v[11:12], v[117:118], v[27:28]
	ds_read_b128 v[9:12], v70 offset:1904
	v_add_f64 v[15:16], v[15:16], v[33:34]
	v_add_f64 v[13:14], v[13:14], v[25:26]
	;; [unrolled: 9-line block ×3, first 2 shown]
	s_waitcnt vmcnt(29) lgkmcnt(1)
	v_mul_f64 v[27:28], v[9:10], v[23:24]
	v_mul_f64 v[23:24], v[11:12], v[23:24]
	s_waitcnt vmcnt(28)
	v_fma_f64 v[31:32], v[1:2], v[83:84], -v[33:34]
	v_add_f64 v[15:16], v[15:16], v[19:20]
	v_fma_f64 v[19:20], v[3:4], v[83:84], v[25:26]
	v_add_f64 v[13:14], v[13:14], v[21:22]
	ds_read_b128 v[1:4], v70 offset:1936
	s_waitcnt vmcnt(27) lgkmcnt(1)
	v_mul_f64 v[25:26], v[7:8], v[45:46]
	v_mul_f64 v[21:22], v[5:6], v[45:46]
	s_waitcnt vmcnt(25)
	v_fma_f64 v[23:24], v[9:10], v[41:42], -v[23:24]
	v_fma_f64 v[27:28], v[11:12], v[41:42], v[27:28]
	ds_read_b128 v[9:12], v70 offset:1952
	v_add_f64 v[15:16], v[15:16], v[31:32]
	v_add_f64 v[13:14], v[13:14], v[19:20]
	s_waitcnt vmcnt(21) lgkmcnt(1)
	v_mul_f64 v[19:20], v[1:2], v[29:30]
	v_mul_f64 v[29:30], v[3:4], v[29:30]
	s_waitcnt vmcnt(20)
	v_fma_f64 v[25:26], v[5:6], v[77:78], -v[25:26]
	v_fma_f64 v[21:22], v[7:8], v[77:78], v[21:22]
	ds_read_b128 v[5:8], v70 offset:1968
	v_add_f64 v[15:16], v[15:16], v[23:24]
	v_add_f64 v[13:14], v[13:14], v[27:28]
	s_waitcnt vmcnt(19) lgkmcnt(1)
	v_mul_f64 v[27:28], v[11:12], v[51:52]
	v_mul_f64 v[23:24], v[9:10], v[51:52]
	s_waitcnt vmcnt(17)
	v_fma_f64 v[29:30], v[1:2], v[39:40], -v[29:30]
	v_fma_f64 v[19:20], v[3:4], v[39:40], v[19:20]
	ds_read_b128 v[1:4], v70 offset:1984
	v_add_f64 v[15:16], v[15:16], v[25:26]
	v_add_f64 v[13:14], v[13:14], v[21:22]
	s_waitcnt vmcnt(13) lgkmcnt(1)
	v_mul_f64 v[25:26], v[7:8], v[35:36]
	s_waitcnt vmcnt(12)
	v_fma_f64 v[27:28], v[9:10], v[71:72], -v[27:28]
	v_mul_f64 v[21:22], v[5:6], v[35:36]
	v_fma_f64 v[23:24], v[11:12], v[71:72], v[23:24]
	ds_read_b128 v[9:12], v70 offset:2000
	v_add_f64 v[15:16], v[15:16], v[29:30]
	v_add_f64 v[13:14], v[13:14], v[19:20]
	s_waitcnt vmcnt(11) lgkmcnt(1)
	v_mul_f64 v[29:30], v[3:4], v[59:60]
	v_mul_f64 v[19:20], v[1:2], v[59:60]
	s_waitcnt vmcnt(9)
	v_fma_f64 v[5:6], v[5:6], v[47:48], -v[25:26]
	v_fma_f64 v[7:8], v[7:8], v[47:48], v[21:22]
	v_add_f64 v[15:16], v[15:16], v[27:28]
	v_add_f64 v[13:14], v[13:14], v[23:24]
	s_waitcnt vmcnt(7) lgkmcnt(0)
	v_mul_f64 v[23:24], v[11:12], v[43:44]
	s_waitcnt vmcnt(6)
	v_fma_f64 v[1:2], v[1:2], v[65:66], -v[29:30]
	v_mul_f64 v[21:22], v[9:10], v[43:44]
	v_fma_f64 v[3:4], v[3:4], v[65:66], v[19:20]
	v_add_f64 v[5:6], v[15:16], v[5:6]
	v_add_f64 v[7:8], v[13:14], v[7:8]
	s_waitcnt vmcnt(4)
	v_fma_f64 v[9:10], v[9:10], v[17:18], -v[23:24]
	v_add_f64 v[1:2], v[5:6], v[1:2]
	v_fma_f64 v[5:6], v[11:12], v[17:18], v[21:22]
	v_add_f64 v[3:4], v[7:8], v[3:4]
	v_add_f64 v[1:2], v[1:2], v[9:10]
	;; [unrolled: 1-line block ×3, first 2 shown]
	s_waitcnt vmcnt(2)
	v_add_f64 v[1:2], v[55:56], -v[1:2]
	s_waitcnt vmcnt(0)
	v_add_f64 v[3:4], v[57:58], -v[3:4]
	buffer_store_dword v2, off, s[0:3], 0 offset:244
	buffer_store_dword v1, off, s[0:3], 0 offset:240
	buffer_store_dword v4, off, s[0:3], 0 offset:252
	buffer_store_dword v3, off, s[0:3], 0 offset:248
	v_cmpx_lt_u32_e32 13, v0
	s_cbranch_execz .LBB62_377
; %bb.376:
	v_mov_b32_e32 v4, s66
	v_mov_b32_e32 v5, 0
	s_clause 0x3
	buffer_load_dword v1, v4, s[0:3], 0 offen
	buffer_load_dword v2, v4, s[0:3], 0 offen offset:4
	buffer_load_dword v3, v4, s[0:3], 0 offen offset:8
	;; [unrolled: 1-line block ×3, first 2 shown]
	buffer_store_dword v5, off, s[0:3], 0 offset:224
	buffer_store_dword v5, off, s[0:3], 0 offset:228
	;; [unrolled: 1-line block ×4, first 2 shown]
	s_waitcnt vmcnt(0)
	ds_write_b128 v69, v[1:4]
.LBB62_377:
	s_or_b32 exec_lo, exec_lo, s4
	s_waitcnt lgkmcnt(0)
	s_waitcnt_vscnt null, 0x0
	s_barrier
	buffer_gl0_inv
	s_clause 0x37
	buffer_load_dword v17, off, s[0:3], 0 offset:248
	buffer_load_dword v18, off, s[0:3], 0 offset:252
	;; [unrolled: 1-line block ×56, first 2 shown]
	v_mov_b32_e32 v70, 0
	s_mov_b32 s4, exec_lo
	ds_read_b128 v[5:8], v70 offset:1232
	s_clause 0x2
	buffer_load_dword v66, off, s[0:3], 0 offset:476
	buffer_load_dword v68, off, s[0:3], 0 offset:452
	;; [unrolled: 1-line block ×3, first 2 shown]
	ds_read_b128 v[1:4], v70 offset:1248
	s_clause 0x4
	buffer_load_dword v78, off, s[0:3], 0 offset:492
	buffer_load_dword v79, off, s[0:3], 0 offset:504
	;; [unrolled: 1-line block ×5, first 2 shown]
	ds_read_b128 v[71:74], v70 offset:1264
	s_waitcnt vmcnt(62) lgkmcnt(2)
	v_mul_f64 v[75:76], v[7:8], v[17:18]
	v_mul_f64 v[17:18], v[5:6], v[17:18]
	s_waitcnt vmcnt(60) lgkmcnt(1)
	v_mul_f64 v[82:83], v[3:4], v[13:14]
	v_mul_f64 v[13:14], v[1:2], v[13:14]
	;; [unrolled: 3-line block ×3, first 2 shown]
	v_fma_f64 v[75:76], v[5:6], v[15:16], -v[75:76]
	v_fma_f64 v[15:16], v[7:8], v[15:16], v[17:18]
	s_clause 0x2
	buffer_load_dword v80, off, s[0:3], 0 offset:508
	buffer_load_dword v18, off, s[0:3], 0 offset:484
	;; [unrolled: 1-line block ×3, first 2 shown]
	s_waitcnt vmcnt(57)
	v_fma_f64 v[83:84], v[1:2], v[9:10], -v[82:83]
	ds_read_b128 v[5:8], v70 offset:1280
	v_fma_f64 v[9:10], v[3:4], v[9:10], v[13:14]
	s_waitcnt vmcnt(51)
	v_fma_f64 v[71:72], v[71:72], v[33:34], -v[11:12]
	v_fma_f64 v[33:34], v[73:74], v[33:34], v[117:118]
	v_add_f64 v[75:76], v[75:76], 0
	v_add_f64 v[13:14], v[15:16], 0
	s_clause 0x4
	buffer_load_dword v16, off, s[0:3], 0 offset:524
	buffer_load_dword v119, off, s[0:3], 0 offset:536
	;; [unrolled: 1-line block ×5, first 2 shown]
	s_waitcnt lgkmcnt(0)
	v_mul_f64 v[126:127], v[5:6], v[21:22]
	v_mul_f64 v[21:22], v[7:8], v[21:22]
	ds_read_b128 v[1:4], v70 offset:1296
	s_clause 0x2
	buffer_load_dword v120, off, s[0:3], 0 offset:540
	buffer_load_dword v74, off, s[0:3], 0 offset:516
	buffer_load_dword v73, off, s[0:3], 0 offset:512
	v_add_f64 v[75:76], v[75:76], v[83:84]
	v_add_f64 v[13:14], v[13:14], v[9:10]
	ds_read_b128 v[9:12], v70 offset:1312
	s_waitcnt vmcnt(58) lgkmcnt(1)
	v_mul_f64 v[83:84], v[1:2], v[25:26]
	v_mul_f64 v[25:26], v[3:4], v[25:26]
	s_waitcnt vmcnt(56)
	v_fma_f64 v[21:22], v[5:6], v[27:28], -v[21:22]
	v_fma_f64 v[27:28], v[7:8], v[27:28], v[126:127]
	s_waitcnt vmcnt(52) lgkmcnt(0)
	v_mul_f64 v[127:128], v[9:10], v[29:30]
	v_add_f64 v[71:72], v[75:76], v[71:72]
	v_add_f64 v[13:14], v[13:14], v[33:34]
	s_clause 0x4
	buffer_load_dword v34, off, s[0:3], 0 offset:556
	buffer_load_dword v75, off, s[0:3], 0 offset:568
	;; [unrolled: 1-line block ×5, first 2 shown]
	v_mul_f64 v[29:30], v[11:12], v[29:30]
	s_waitcnt vmcnt(56)
	v_fma_f64 v[25:26], v[1:2], v[19:20], -v[25:26]
	ds_read_b128 v[5:8], v70 offset:1328
	v_fma_f64 v[19:20], v[3:4], v[19:20], v[83:84]
	v_add_f64 v[21:22], v[71:72], v[21:22]
	v_add_f64 v[13:14], v[13:14], v[27:28]
	s_clause 0x2
	buffer_load_dword v76, off, s[0:3], 0 offset:572
	buffer_load_dword v28, off, s[0:3], 0 offset:548
	;; [unrolled: 1-line block ×3, first 2 shown]
	s_waitcnt vmcnt(58) lgkmcnt(0)
	v_mul_f64 v[71:72], v[5:6], v[35:36]
	v_mul_f64 v[35:36], v[7:8], v[35:36]
	s_waitcnt vmcnt(56)
	v_fma_f64 v[29:30], v[9:10], v[37:38], -v[29:30]
	ds_read_b128 v[1:4], v70 offset:1344
	v_add_f64 v[21:22], v[21:22], v[25:26]
	v_fma_f64 v[25:26], v[11:12], v[37:38], v[127:128]
	v_add_f64 v[13:14], v[13:14], v[19:20]
	s_clause 0x4
	buffer_load_dword v20, off, s[0:3], 0 offset:588
	buffer_load_dword v37, off, s[0:3], 0 offset:600
	;; [unrolled: 1-line block ×5, first 2 shown]
	s_waitcnt vmcnt(57) lgkmcnt(0)
	v_mul_f64 v[127:128], v[1:2], v[39:40]
	v_mul_f64 v[39:40], v[3:4], v[39:40]
	s_waitcnt vmcnt(56)
	v_fma_f64 v[35:36], v[5:6], v[23:24], -v[35:36]
	ds_read_b128 v[9:12], v70 offset:1360
	v_fma_f64 v[23:24], v[7:8], v[23:24], v[71:72]
	v_add_f64 v[21:22], v[21:22], v[29:30]
	v_add_f64 v[13:14], v[13:14], v[25:26]
	s_clause 0x2
	buffer_load_dword v38, off, s[0:3], 0 offset:604
	buffer_load_dword v26, off, s[0:3], 0 offset:580
	;; [unrolled: 1-line block ×3, first 2 shown]
	ds_read_b128 v[5:8], v70 offset:1376
	s_waitcnt vmcnt(58) lgkmcnt(1)
	v_mul_f64 v[29:30], v[9:10], v[43:44]
	v_mul_f64 v[43:44], v[11:12], v[43:44]
	s_waitcnt vmcnt(56)
	v_fma_f64 v[39:40], v[1:2], v[45:46], -v[39:40]
	v_add_f64 v[21:22], v[21:22], v[35:36]
	v_fma_f64 v[35:36], v[3:4], v[45:46], v[127:128]
	v_add_f64 v[13:14], v[13:14], v[23:24]
	s_clause 0x4
	buffer_load_dword v24, off, s[0:3], 0 offset:620
	buffer_load_dword v45, off, s[0:3], 0 offset:632
	;; [unrolled: 1-line block ×5, first 2 shown]
	s_waitcnt vmcnt(57) lgkmcnt(0)
	v_mul_f64 v[127:128], v[5:6], v[47:48]
	v_mul_f64 v[47:48], v[7:8], v[47:48]
	s_waitcnt vmcnt(56)
	v_fma_f64 v[43:44], v[9:10], v[31:32], -v[43:44]
	ds_read_b128 v[1:4], v70 offset:1392
	v_fma_f64 v[29:30], v[11:12], v[31:32], v[29:30]
	s_clause 0x2
	buffer_load_dword v46, off, s[0:3], 0 offset:636
	buffer_load_dword v32, off, s[0:3], 0 offset:612
	;; [unrolled: 1-line block ×3, first 2 shown]
	ds_read_b128 v[9:12], v70 offset:1408
	v_add_f64 v[21:22], v[21:22], v[39:40]
	v_add_f64 v[13:14], v[13:14], v[35:36]
	s_waitcnt vmcnt(58) lgkmcnt(1)
	v_mul_f64 v[39:40], v[3:4], v[51:52]
	s_waitcnt vmcnt(56)
	v_fma_f64 v[47:48], v[5:6], v[53:54], -v[47:48]
	v_mul_f64 v[35:36], v[1:2], v[51:52]
	v_add_f64 v[21:22], v[21:22], v[43:44]
	v_fma_f64 v[43:44], v[7:8], v[53:54], v[127:128]
	v_add_f64 v[13:14], v[13:14], v[29:30]
	s_clause 0x4
	buffer_load_dword v30, off, s[0:3], 0 offset:652
	buffer_load_dword v51, off, s[0:3], 0 offset:664
	;; [unrolled: 1-line block ×5, first 2 shown]
	s_waitcnt vmcnt(57) lgkmcnt(0)
	v_mul_f64 v[127:128], v[9:10], v[55:56]
	v_mul_f64 v[54:55], v[11:12], v[55:56]
	s_waitcnt vmcnt(56)
	v_fma_f64 v[39:40], v[1:2], v[41:42], -v[39:40]
	ds_read_b128 v[5:8], v70 offset:1424
	v_fma_f64 v[35:36], v[3:4], v[41:42], v[35:36]
	s_clause 0x2
	buffer_load_dword v52, off, s[0:3], 0 offset:668
	buffer_load_dword v42, off, s[0:3], 0 offset:644
	;; [unrolled: 1-line block ×3, first 2 shown]
	ds_read_b128 v[1:4], v70 offset:1440
	v_add_f64 v[21:22], v[21:22], v[47:48]
	v_add_f64 v[13:14], v[13:14], v[43:44]
	s_waitcnt vmcnt(58) lgkmcnt(1)
	v_mul_f64 v[47:48], v[7:8], v[59:60]
	s_waitcnt vmcnt(56)
	v_fma_f64 v[55:56], v[9:10], v[61:62], -v[54:55]
	v_mul_f64 v[43:44], v[5:6], v[59:60]
	v_add_f64 v[21:22], v[21:22], v[39:40]
	v_fma_f64 v[39:40], v[11:12], v[61:62], v[127:128]
	v_add_f64 v[13:14], v[13:14], v[35:36]
	s_clause 0x4
	buffer_load_dword v36, off, s[0:3], 0 offset:684
	buffer_load_dword v59, off, s[0:3], 0 offset:696
	buffer_load_dword v61, off, s[0:3], 0 offset:688
	buffer_load_dword v35, off, s[0:3], 0 offset:680
	buffer_load_dword v54, off, s[0:3], 0 offset:660
	s_waitcnt vmcnt(57) lgkmcnt(0)
	v_mul_f64 v[127:128], v[1:2], v[63:64]
	v_mul_f64 v[62:63], v[3:4], v[63:64]
	s_waitcnt vmcnt(56)
	v_fma_f64 v[47:48], v[5:6], v[49:50], -v[47:48]
	ds_read_b128 v[9:12], v70 offset:1456
	v_fma_f64 v[43:44], v[7:8], v[49:50], v[43:44]
	v_add_f64 v[21:22], v[21:22], v[55:56]
	v_add_f64 v[13:14], v[13:14], v[39:40]
	s_clause 0x2
	buffer_load_dword v60, off, s[0:3], 0 offset:700
	buffer_load_dword v40, off, s[0:3], 0 offset:676
	;; [unrolled: 1-line block ×3, first 2 shown]
	ds_read_b128 v[5:8], v70 offset:1472
	s_waitcnt vmcnt(58) lgkmcnt(1)
	v_mul_f64 v[55:56], v[11:12], v[65:66]
	s_waitcnt vmcnt(56)
	v_fma_f64 v[63:64], v[1:2], v[67:68], -v[62:63]
	v_mul_f64 v[49:50], v[9:10], v[65:66]
	v_add_f64 v[21:22], v[21:22], v[47:48]
	v_fma_f64 v[47:48], v[3:4], v[67:68], v[127:128]
	v_add_f64 v[13:14], v[13:14], v[43:44]
	s_clause 0x4
	buffer_load_dword v44, off, s[0:3], 0 offset:716
	buffer_load_dword v65, off, s[0:3], 0 offset:728
	buffer_load_dword v67, off, s[0:3], 0 offset:720
	buffer_load_dword v43, off, s[0:3], 0 offset:712
	buffer_load_dword v62, off, s[0:3], 0 offset:692
	s_waitcnt vmcnt(57) lgkmcnt(0)
	v_mul_f64 v[127:128], v[5:6], v[77:78]
	v_mul_f64 v[77:78], v[7:8], v[77:78]
	s_waitcnt vmcnt(56)
	v_fma_f64 v[55:56], v[9:10], v[57:58], -v[55:56]
	ds_read_b128 v[1:4], v70 offset:1488
	v_fma_f64 v[49:50], v[11:12], v[57:58], v[49:50]
	v_add_f64 v[21:22], v[21:22], v[63:64]
	v_add_f64 v[13:14], v[13:14], v[47:48]
	s_clause 0x2
	buffer_load_dword v66, off, s[0:3], 0 offset:732
	buffer_load_dword v48, off, s[0:3], 0 offset:708
	;; [unrolled: 1-line block ×3, first 2 shown]
	ds_read_b128 v[9:12], v70 offset:1504
	s_waitcnt vmcnt(58) lgkmcnt(1)
	v_mul_f64 v[63:64], v[3:4], v[79:80]
	v_mul_f64 v[57:58], v[1:2], v[79:80]
	s_waitcnt vmcnt(56)
	v_fma_f64 v[77:78], v[5:6], v[17:18], -v[77:78]
	v_fma_f64 v[17:18], v[7:8], v[17:18], v[127:128]
	v_add_f64 v[21:22], v[21:22], v[55:56]
	v_add_f64 v[13:14], v[13:14], v[49:50]
	s_clause 0x4
	buffer_load_dword v50, off, s[0:3], 0 offset:748
	buffer_load_dword v55, off, s[0:3], 0 offset:760
	;; [unrolled: 1-line block ×5, first 2 shown]
	ds_read_b128 v[5:8], v70 offset:1520
	s_waitcnt vmcnt(57) lgkmcnt(1)
	v_mul_f64 v[127:128], v[9:10], v[15:16]
	v_mul_f64 v[15:16], v[11:12], v[15:16]
	s_waitcnt vmcnt(56)
	v_fma_f64 v[63:64], v[1:2], v[81:82], -v[63:64]
	v_fma_f64 v[57:58], v[3:4], v[81:82], v[57:58]
	v_add_f64 v[21:22], v[21:22], v[77:78]
	v_add_f64 v[13:14], v[13:14], v[17:18]
	s_clause 0x2
	buffer_load_dword v56, off, s[0:3], 0 offset:764
	buffer_load_dword v18, off, s[0:3], 0 offset:740
	;; [unrolled: 1-line block ×3, first 2 shown]
	s_waitcnt vmcnt(58) lgkmcnt(0)
	v_mul_f64 v[81:82], v[7:8], v[119:120]
	ds_read_b128 v[1:4], v70 offset:1536
	v_mul_f64 v[77:78], v[5:6], v[119:120]
	s_waitcnt vmcnt(56)
	v_fma_f64 v[15:16], v[9:10], v[73:74], -v[15:16]
	v_add_f64 v[21:22], v[21:22], v[63:64]
	v_fma_f64 v[63:64], v[11:12], v[73:74], v[127:128]
	v_add_f64 v[13:14], v[13:14], v[57:58]
	s_clause 0x4
	buffer_load_dword v58, off, s[0:3], 0 offset:780
	buffer_load_dword v73, off, s[0:3], 0 offset:792
	;; [unrolled: 1-line block ×5, first 2 shown]
	ds_read_b128 v[9:12], v70 offset:1552
	s_waitcnt vmcnt(57) lgkmcnt(1)
	v_mul_f64 v[127:128], v[1:2], v[33:34]
	v_mul_f64 v[33:34], v[3:4], v[33:34]
	s_waitcnt vmcnt(56)
	v_fma_f64 v[81:82], v[5:6], v[125:126], -v[81:82]
	v_add_f64 v[15:16], v[21:22], v[15:16]
	v_fma_f64 v[21:22], v[7:8], v[125:126], v[77:78]
	v_add_f64 v[13:14], v[13:14], v[63:64]
	s_clause 0x2
	buffer_load_dword v74, off, s[0:3], 0 offset:796
	buffer_load_dword v64, off, s[0:3], 0 offset:772
	;; [unrolled: 1-line block ×3, first 2 shown]
	ds_read_b128 v[5:8], v70 offset:1568
	s_waitcnt vmcnt(58) lgkmcnt(1)
	v_mul_f64 v[77:78], v[9:10], v[75:76]
	v_mul_f64 v[75:76], v[11:12], v[75:76]
	s_waitcnt vmcnt(56)
	v_fma_f64 v[33:34], v[1:2], v[27:28], -v[33:34]
	v_fma_f64 v[27:28], v[3:4], v[27:28], v[127:128]
	v_add_f64 v[15:16], v[15:16], v[81:82]
	v_add_f64 v[13:14], v[13:14], v[21:22]
	s_clause 0x4
	buffer_load_dword v22, off, s[0:3], 0 offset:812
	buffer_load_dword v81, off, s[0:3], 0 offset:824
	;; [unrolled: 1-line block ×5, first 2 shown]
	ds_read_b128 v[1:4], v70 offset:1584
	s_waitcnt vmcnt(57) lgkmcnt(1)
	v_mul_f64 v[126:127], v[5:6], v[19:20]
	v_mul_f64 v[19:20], v[7:8], v[19:20]
	s_waitcnt vmcnt(56)
	v_fma_f64 v[75:76], v[9:10], v[117:118], -v[75:76]
	v_add_f64 v[15:16], v[15:16], v[33:34]
	v_fma_f64 v[33:34], v[11:12], v[117:118], v[77:78]
	v_add_f64 v[13:14], v[13:14], v[27:28]
	s_clause 0x2
	buffer_load_dword v82, off, s[0:3], 0 offset:828
	buffer_load_dword v28, off, s[0:3], 0 offset:804
	;; [unrolled: 1-line block ×3, first 2 shown]
	ds_read_b128 v[9:12], v70 offset:1600
	s_waitcnt vmcnt(58) lgkmcnt(1)
	v_mul_f64 v[77:78], v[1:2], v[37:38]
	v_mul_f64 v[37:38], v[3:4], v[37:38]
	s_waitcnt vmcnt(56)
	v_fma_f64 v[19:20], v[5:6], v[25:26], -v[19:20]
	v_fma_f64 v[25:26], v[7:8], v[25:26], v[126:127]
	v_add_f64 v[15:16], v[15:16], v[75:76]
	v_add_f64 v[13:14], v[13:14], v[33:34]
	s_clause 0x4
	buffer_load_dword v34, off, s[0:3], 0 offset:844
	buffer_load_dword v75, off, s[0:3], 0 offset:856
	;; [unrolled: 1-line block ×5, first 2 shown]
	ds_read_b128 v[5:8], v70 offset:1616
	s_waitcnt vmcnt(57) lgkmcnt(1)
	v_mul_f64 v[127:128], v[9:10], v[23:24]
	v_mul_f64 v[23:24], v[11:12], v[23:24]
	s_waitcnt vmcnt(56)
	v_fma_f64 v[37:38], v[1:2], v[83:84], -v[37:38]
	v_add_f64 v[15:16], v[15:16], v[19:20]
	v_fma_f64 v[19:20], v[3:4], v[83:84], v[77:78]
	v_add_f64 v[13:14], v[13:14], v[25:26]
	s_clause 0x2
	buffer_load_dword v76, off, s[0:3], 0 offset:860
	buffer_load_dword v26, off, s[0:3], 0 offset:836
	buffer_load_dword v25, off, s[0:3], 0 offset:832
	s_waitcnt vmcnt(58) lgkmcnt(0)
	v_mul_f64 v[77:78], v[5:6], v[45:46]
	v_mul_f64 v[45:46], v[7:8], v[45:46]
	ds_read_b128 v[1:4], v70 offset:1632
	s_waitcnt vmcnt(56)
	v_fma_f64 v[23:24], v[9:10], v[31:32], -v[23:24]
	v_fma_f64 v[31:32], v[11:12], v[31:32], v[127:128]
	v_add_f64 v[15:16], v[15:16], v[37:38]
	v_add_f64 v[13:14], v[13:14], v[19:20]
	s_clause 0x4
	buffer_load_dword v20, off, s[0:3], 0 offset:876
	buffer_load_dword v37, off, s[0:3], 0 offset:888
	;; [unrolled: 1-line block ×5, first 2 shown]
	ds_read_b128 v[9:12], v70 offset:1648
	s_waitcnt vmcnt(57) lgkmcnt(1)
	v_mul_f64 v[127:128], v[1:2], v[29:30]
	v_mul_f64 v[29:30], v[3:4], v[29:30]
	s_waitcnt vmcnt(56)
	v_fma_f64 v[45:46], v[5:6], v[71:72], -v[45:46]
	v_add_f64 v[15:16], v[15:16], v[23:24]
	v_fma_f64 v[23:24], v[7:8], v[71:72], v[77:78]
	v_add_f64 v[13:14], v[13:14], v[31:32]
	s_clause 0x2
	buffer_load_dword v38, off, s[0:3], 0 offset:892
	buffer_load_dword v32, off, s[0:3], 0 offset:868
	;; [unrolled: 1-line block ×3, first 2 shown]
	s_waitcnt vmcnt(58) lgkmcnt(0)
	v_mul_f64 v[71:72], v[9:10], v[51:52]
	v_mul_f64 v[51:52], v[11:12], v[51:52]
	ds_read_b128 v[5:8], v70 offset:1664
	s_waitcnt vmcnt(56)
	v_fma_f64 v[29:30], v[1:2], v[41:42], -v[29:30]
	v_fma_f64 v[41:42], v[3:4], v[41:42], v[127:128]
	v_add_f64 v[15:16], v[15:16], v[45:46]
	v_add_f64 v[13:14], v[13:14], v[23:24]
	s_clause 0x4
	buffer_load_dword v24, off, s[0:3], 0 offset:908
	buffer_load_dword v45, off, s[0:3], 0 offset:920
	buffer_load_dword v77, off, s[0:3], 0 offset:912
	buffer_load_dword v23, off, s[0:3], 0 offset:904
	buffer_load_dword v84, off, s[0:3], 0 offset:884
	ds_read_b128 v[1:4], v70 offset:1680
	s_waitcnt vmcnt(57) lgkmcnt(1)
	v_mul_f64 v[127:128], v[5:6], v[35:36]
	v_mul_f64 v[35:36], v[7:8], v[35:36]
	s_waitcnt vmcnt(56)
	v_fma_f64 v[51:52], v[9:10], v[53:54], -v[51:52]
	v_add_f64 v[15:16], v[15:16], v[29:30]
	v_fma_f64 v[29:30], v[11:12], v[53:54], v[71:72]
	v_add_f64 v[13:14], v[13:14], v[41:42]
	s_clause 0x2
	buffer_load_dword v46, off, s[0:3], 0 offset:924
	buffer_load_dword v42, off, s[0:3], 0 offset:900
	buffer_load_dword v41, off, s[0:3], 0 offset:896
	ds_read_b128 v[9:12], v70 offset:1696
	s_waitcnt vmcnt(58) lgkmcnt(1)
	v_mul_f64 v[53:54], v[1:2], v[59:60]
	v_mul_f64 v[59:60], v[3:4], v[59:60]
	s_waitcnt vmcnt(56)
	v_fma_f64 v[35:36], v[5:6], v[39:40], -v[35:36]
	v_fma_f64 v[39:40], v[7:8], v[39:40], v[127:128]
	v_add_f64 v[15:16], v[15:16], v[51:52]
	v_add_f64 v[13:14], v[13:14], v[29:30]
	s_clause 0x4
	buffer_load_dword v30, off, s[0:3], 0 offset:940
	buffer_load_dword v51, off, s[0:3], 0 offset:952
	buffer_load_dword v71, off, s[0:3], 0 offset:944
	buffer_load_dword v29, off, s[0:3], 0 offset:936
	buffer_load_dword v78, off, s[0:3], 0 offset:916
	ds_read_b128 v[5:8], v70 offset:1712
	s_waitcnt vmcnt(57) lgkmcnt(1)
	v_mul_f64 v[127:128], v[9:10], v[43:44]
	v_mul_f64 v[43:44], v[11:12], v[43:44]
	s_waitcnt vmcnt(56)
	v_fma_f64 v[59:60], v[1:2], v[61:62], -v[59:60]
	v_add_f64 v[15:16], v[15:16], v[35:36]
	v_fma_f64 v[35:36], v[3:4], v[61:62], v[53:54]
	v_add_f64 v[13:14], v[13:14], v[39:40]
	s_clause 0x2
	buffer_load_dword v52, off, s[0:3], 0 offset:956
	buffer_load_dword v40, off, s[0:3], 0 offset:932
	buffer_load_dword v39, off, s[0:3], 0 offset:928
	ds_read_b128 v[1:4], v70 offset:1728
	s_waitcnt vmcnt(58) lgkmcnt(1)
	v_mul_f64 v[61:62], v[7:8], v[65:66]
	v_mul_f64 v[53:54], v[5:6], v[65:66]
	;; [unrolled: 28-line block ×3, first 2 shown]
	s_waitcnt vmcnt(56)
	v_fma_f64 v[49:50], v[1:2], v[17:18], -v[49:50]
	v_fma_f64 v[17:18], v[3:4], v[17:18], v[127:128]
	v_add_f64 v[15:16], v[15:16], v[61:62]
	v_add_f64 v[13:14], v[13:14], v[43:44]
	s_clause 0x4
	buffer_load_dword v44, off, s[0:3], 0 offset:1004
	buffer_load_dword v61, off, s[0:3], 0 offset:1016
	;; [unrolled: 1-line block ×5, first 2 shown]
	ds_read_b128 v[1:4], v70 offset:1776
	s_waitcnt vmcnt(57) lgkmcnt(1)
	v_mul_f64 v[127:128], v[5:6], v[57:58]
	v_mul_f64 v[57:58], v[7:8], v[57:58]
	s_waitcnt vmcnt(56)
	v_fma_f64 v[55:56], v[9:10], v[79:80], -v[55:56]
	v_add_f64 v[15:16], v[15:16], v[49:50]
	v_fma_f64 v[49:50], v[11:12], v[79:80], v[53:54]
	v_add_f64 v[13:14], v[13:14], v[17:18]
	s_clause 0x2
	buffer_load_dword v62, off, s[0:3], 0 offset:1020
	buffer_load_dword v18, off, s[0:3], 0 offset:996
	;; [unrolled: 1-line block ×3, first 2 shown]
	ds_read_b128 v[9:12], v70 offset:1792
	buffer_load_dword v68, off, s[0:3], 0 offset:1012
	s_waitcnt vmcnt(59) lgkmcnt(1)
	v_mul_f64 v[53:54], v[1:2], v[73:74]
	v_mul_f64 v[73:74], v[3:4], v[73:74]
	s_waitcnt vmcnt(57)
	v_fma_f64 v[57:58], v[5:6], v[63:64], -v[57:58]
	v_add_f64 v[15:16], v[15:16], v[55:56]
	v_fma_f64 v[55:56], v[7:8], v[63:64], v[127:128]
	v_add_f64 v[13:14], v[13:14], v[49:50]
	ds_read_b128 v[5:8], v70 offset:1808
	s_waitcnt vmcnt(53) lgkmcnt(1)
	v_mul_f64 v[49:50], v[9:10], v[21:22]
	v_mul_f64 v[21:22], v[11:12], v[21:22]
	s_waitcnt vmcnt(52)
	v_fma_f64 v[63:64], v[1:2], v[119:120], -v[73:74]
	v_fma_f64 v[53:54], v[3:4], v[119:120], v[53:54]
	ds_read_b128 v[1:4], v70 offset:1824
	v_add_f64 v[15:16], v[15:16], v[57:58]
	v_add_f64 v[13:14], v[13:14], v[55:56]
	s_waitcnt vmcnt(51) lgkmcnt(1)
	v_mul_f64 v[57:58], v[7:8], v[81:82]
	v_mul_f64 v[55:56], v[5:6], v[81:82]
	s_waitcnt vmcnt(49)
	v_fma_f64 v[21:22], v[9:10], v[27:28], -v[21:22]
	v_fma_f64 v[27:28], v[11:12], v[27:28], v[49:50]
	v_add_f64 v[15:16], v[15:16], v[63:64]
	v_add_f64 v[13:14], v[13:14], v[53:54]
	s_clause 0x3
	buffer_load_dword v49, off, s[0:3], 0 offset:224
	buffer_load_dword v50, off, s[0:3], 0 offset:228
	;; [unrolled: 1-line block ×4, first 2 shown]
	ds_read_b128 v[9:12], v70 offset:1840
	s_waitcnt vmcnt(49) lgkmcnt(1)
	v_mul_f64 v[63:64], v[1:2], v[33:34]
	v_mul_f64 v[33:34], v[3:4], v[33:34]
	s_waitcnt vmcnt(48)
	v_fma_f64 v[57:58], v[5:6], v[125:126], -v[57:58]
	v_add_f64 v[15:16], v[15:16], v[21:22]
	v_fma_f64 v[21:22], v[7:8], v[125:126], v[55:56]
	v_add_f64 v[13:14], v[13:14], v[27:28]
	ds_read_b128 v[5:8], v70 offset:1856
	s_waitcnt vmcnt(47) lgkmcnt(1)
	v_mul_f64 v[55:56], v[11:12], v[75:76]
	v_mul_f64 v[27:28], v[9:10], v[75:76]
	s_waitcnt vmcnt(45)
	v_fma_f64 v[33:34], v[1:2], v[25:26], -v[33:34]
	v_fma_f64 v[25:26], v[3:4], v[25:26], v[63:64]
	ds_read_b128 v[1:4], v70 offset:1872
	v_add_f64 v[15:16], v[15:16], v[57:58]
	v_add_f64 v[13:14], v[13:14], v[21:22]
	s_waitcnt vmcnt(41) lgkmcnt(1)
	v_mul_f64 v[21:22], v[5:6], v[19:20]
	v_mul_f64 v[19:20], v[7:8], v[19:20]
	s_waitcnt vmcnt(40)
	v_fma_f64 v[55:56], v[9:10], v[117:118], -v[55:56]
	v_fma_f64 v[27:28], v[11:12], v[117:118], v[27:28]
	ds_read_b128 v[9:12], v70 offset:1888
	v_add_f64 v[15:16], v[15:16], v[33:34]
	v_add_f64 v[13:14], v[13:14], v[25:26]
	;; [unrolled: 9-line block ×3, first 2 shown]
	s_waitcnt vmcnt(33) lgkmcnt(1)
	v_mul_f64 v[27:28], v[9:10], v[23:24]
	v_mul_f64 v[23:24], v[11:12], v[23:24]
	s_waitcnt vmcnt(32)
	v_fma_f64 v[31:32], v[1:2], v[83:84], -v[33:34]
	v_add_f64 v[15:16], v[15:16], v[19:20]
	v_fma_f64 v[19:20], v[3:4], v[83:84], v[25:26]
	v_add_f64 v[13:14], v[13:14], v[21:22]
	ds_read_b128 v[1:4], v70 offset:1920
	s_waitcnt vmcnt(31) lgkmcnt(1)
	v_mul_f64 v[25:26], v[7:8], v[45:46]
	v_mul_f64 v[21:22], v[5:6], v[45:46]
	s_waitcnt vmcnt(29)
	v_fma_f64 v[23:24], v[9:10], v[41:42], -v[23:24]
	v_fma_f64 v[27:28], v[11:12], v[41:42], v[27:28]
	ds_read_b128 v[9:12], v70 offset:1936
	v_add_f64 v[15:16], v[15:16], v[31:32]
	v_add_f64 v[13:14], v[13:14], v[19:20]
	s_waitcnt vmcnt(25) lgkmcnt(1)
	v_mul_f64 v[19:20], v[1:2], v[29:30]
	v_mul_f64 v[29:30], v[3:4], v[29:30]
	s_waitcnt vmcnt(24)
	v_fma_f64 v[25:26], v[5:6], v[77:78], -v[25:26]
	v_fma_f64 v[21:22], v[7:8], v[77:78], v[21:22]
	ds_read_b128 v[5:8], v70 offset:1952
	v_add_f64 v[15:16], v[15:16], v[23:24]
	v_add_f64 v[13:14], v[13:14], v[27:28]
	;; [unrolled: 9-line block ×3, first 2 shown]
	s_waitcnt vmcnt(17) lgkmcnt(1)
	v_mul_f64 v[25:26], v[7:8], v[35:36]
	s_waitcnt vmcnt(16)
	v_fma_f64 v[27:28], v[9:10], v[71:72], -v[27:28]
	v_mul_f64 v[21:22], v[5:6], v[35:36]
	v_fma_f64 v[23:24], v[11:12], v[71:72], v[23:24]
	ds_read_b128 v[9:12], v70 offset:1984
	v_add_f64 v[15:16], v[15:16], v[29:30]
	v_add_f64 v[13:14], v[13:14], v[19:20]
	s_waitcnt vmcnt(15) lgkmcnt(1)
	v_mul_f64 v[29:30], v[3:4], v[59:60]
	v_mul_f64 v[19:20], v[1:2], v[59:60]
	s_waitcnt vmcnt(13)
	v_fma_f64 v[25:26], v[5:6], v[47:48], -v[25:26]
	v_fma_f64 v[21:22], v[7:8], v[47:48], v[21:22]
	ds_read_b128 v[5:8], v70 offset:2000
	v_add_f64 v[15:16], v[15:16], v[27:28]
	v_add_f64 v[13:14], v[13:14], v[23:24]
	s_waitcnt vmcnt(9) lgkmcnt(1)
	v_mul_f64 v[27:28], v[11:12], v[43:44]
	s_waitcnt vmcnt(8)
	v_fma_f64 v[1:2], v[1:2], v[65:66], -v[29:30]
	v_mul_f64 v[23:24], v[9:10], v[43:44]
	v_fma_f64 v[3:4], v[3:4], v[65:66], v[19:20]
	v_add_f64 v[15:16], v[15:16], v[25:26]
	v_add_f64 v[13:14], v[13:14], v[21:22]
	s_waitcnt vmcnt(7) lgkmcnt(0)
	v_mul_f64 v[21:22], v[7:8], v[61:62]
	v_mul_f64 v[19:20], v[5:6], v[61:62]
	s_waitcnt vmcnt(5)
	v_fma_f64 v[9:10], v[9:10], v[17:18], -v[27:28]
	v_fma_f64 v[11:12], v[11:12], v[17:18], v[23:24]
	v_add_f64 v[1:2], v[15:16], v[1:2]
	v_add_f64 v[3:4], v[13:14], v[3:4]
	s_waitcnt vmcnt(4)
	v_fma_f64 v[5:6], v[5:6], v[67:68], -v[21:22]
	v_fma_f64 v[7:8], v[7:8], v[67:68], v[19:20]
	v_add_f64 v[1:2], v[1:2], v[9:10]
	v_add_f64 v[3:4], v[3:4], v[11:12]
	;; [unrolled: 1-line block ×4, first 2 shown]
	s_waitcnt vmcnt(2)
	v_add_f64 v[1:2], v[49:50], -v[1:2]
	s_waitcnt vmcnt(0)
	v_add_f64 v[3:4], v[53:54], -v[3:4]
	buffer_store_dword v2, off, s[0:3], 0 offset:228
	buffer_store_dword v1, off, s[0:3], 0 offset:224
	;; [unrolled: 1-line block ×4, first 2 shown]
	v_cmpx_lt_u32_e32 12, v0
	s_cbranch_execz .LBB62_379
; %bb.378:
	v_mov_b32_e32 v4, s67
	s_clause 0x3
	buffer_load_dword v1, v4, s[0:3], 0 offen
	buffer_load_dword v2, v4, s[0:3], 0 offen offset:4
	buffer_load_dword v3, v4, s[0:3], 0 offen offset:8
	;; [unrolled: 1-line block ×3, first 2 shown]
	buffer_store_dword v70, off, s[0:3], 0 offset:208
	buffer_store_dword v70, off, s[0:3], 0 offset:212
	;; [unrolled: 1-line block ×4, first 2 shown]
	s_waitcnt vmcnt(0)
	ds_write_b128 v69, v[1:4]
.LBB62_379:
	s_or_b32 exec_lo, exec_lo, s4
	s_waitcnt lgkmcnt(0)
	s_waitcnt_vscnt null, 0x0
	s_barrier
	buffer_gl0_inv
	s_clause 0x37
	buffer_load_dword v17, off, s[0:3], 0 offset:232
	buffer_load_dword v18, off, s[0:3], 0 offset:236
	;; [unrolled: 1-line block ×56, first 2 shown]
	ds_read_b128 v[5:8], v70 offset:1216
	s_clause 0x2
	buffer_load_dword v66, off, s[0:3], 0 offset:460
	buffer_load_dword v68, off, s[0:3], 0 offset:436
	;; [unrolled: 1-line block ×3, first 2 shown]
	ds_read_b128 v[1:4], v70 offset:1232
	s_clause 0x4
	buffer_load_dword v78, off, s[0:3], 0 offset:476
	buffer_load_dword v79, off, s[0:3], 0 offset:488
	;; [unrolled: 1-line block ×5, first 2 shown]
	ds_read_b128 v[71:74], v70 offset:1248
	s_mov_b32 s4, exec_lo
	s_waitcnt vmcnt(62) lgkmcnt(2)
	v_mul_f64 v[75:76], v[7:8], v[17:18]
	v_mul_f64 v[17:18], v[5:6], v[17:18]
	s_waitcnt vmcnt(60) lgkmcnt(1)
	v_mul_f64 v[82:83], v[3:4], v[13:14]
	v_mul_f64 v[13:14], v[1:2], v[13:14]
	;; [unrolled: 3-line block ×3, first 2 shown]
	v_fma_f64 v[75:76], v[5:6], v[15:16], -v[75:76]
	v_fma_f64 v[15:16], v[7:8], v[15:16], v[17:18]
	s_clause 0x2
	buffer_load_dword v80, off, s[0:3], 0 offset:492
	buffer_load_dword v18, off, s[0:3], 0 offset:468
	;; [unrolled: 1-line block ×3, first 2 shown]
	s_waitcnt vmcnt(57)
	v_fma_f64 v[83:84], v[1:2], v[9:10], -v[82:83]
	ds_read_b128 v[5:8], v70 offset:1264
	v_fma_f64 v[9:10], v[3:4], v[9:10], v[13:14]
	s_waitcnt vmcnt(51)
	v_fma_f64 v[71:72], v[71:72], v[33:34], -v[11:12]
	v_fma_f64 v[33:34], v[73:74], v[33:34], v[117:118]
	v_add_f64 v[75:76], v[75:76], 0
	v_add_f64 v[13:14], v[15:16], 0
	s_clause 0x4
	buffer_load_dword v16, off, s[0:3], 0 offset:508
	buffer_load_dword v119, off, s[0:3], 0 offset:520
	;; [unrolled: 1-line block ×5, first 2 shown]
	s_waitcnt lgkmcnt(0)
	v_mul_f64 v[126:127], v[5:6], v[21:22]
	v_mul_f64 v[21:22], v[7:8], v[21:22]
	ds_read_b128 v[1:4], v70 offset:1280
	s_clause 0x2
	buffer_load_dword v120, off, s[0:3], 0 offset:524
	buffer_load_dword v74, off, s[0:3], 0 offset:500
	;; [unrolled: 1-line block ×3, first 2 shown]
	v_add_f64 v[75:76], v[75:76], v[83:84]
	v_add_f64 v[13:14], v[13:14], v[9:10]
	ds_read_b128 v[9:12], v70 offset:1296
	s_waitcnt vmcnt(58) lgkmcnt(1)
	v_mul_f64 v[83:84], v[1:2], v[25:26]
	v_mul_f64 v[25:26], v[3:4], v[25:26]
	s_waitcnt vmcnt(56)
	v_fma_f64 v[21:22], v[5:6], v[27:28], -v[21:22]
	v_fma_f64 v[27:28], v[7:8], v[27:28], v[126:127]
	s_waitcnt vmcnt(52) lgkmcnt(0)
	v_mul_f64 v[127:128], v[9:10], v[29:30]
	v_add_f64 v[71:72], v[75:76], v[71:72]
	v_add_f64 v[13:14], v[13:14], v[33:34]
	s_clause 0x4
	buffer_load_dword v34, off, s[0:3], 0 offset:540
	buffer_load_dword v75, off, s[0:3], 0 offset:552
	;; [unrolled: 1-line block ×5, first 2 shown]
	v_mul_f64 v[29:30], v[11:12], v[29:30]
	s_waitcnt vmcnt(56)
	v_fma_f64 v[25:26], v[1:2], v[19:20], -v[25:26]
	ds_read_b128 v[5:8], v70 offset:1312
	v_fma_f64 v[19:20], v[3:4], v[19:20], v[83:84]
	v_add_f64 v[21:22], v[71:72], v[21:22]
	v_add_f64 v[13:14], v[13:14], v[27:28]
	s_clause 0x2
	buffer_load_dword v76, off, s[0:3], 0 offset:556
	buffer_load_dword v28, off, s[0:3], 0 offset:532
	;; [unrolled: 1-line block ×3, first 2 shown]
	s_waitcnt vmcnt(58) lgkmcnt(0)
	v_mul_f64 v[71:72], v[5:6], v[35:36]
	v_mul_f64 v[35:36], v[7:8], v[35:36]
	s_waitcnt vmcnt(56)
	v_fma_f64 v[29:30], v[9:10], v[37:38], -v[29:30]
	ds_read_b128 v[1:4], v70 offset:1328
	v_add_f64 v[21:22], v[21:22], v[25:26]
	v_fma_f64 v[25:26], v[11:12], v[37:38], v[127:128]
	v_add_f64 v[13:14], v[13:14], v[19:20]
	s_clause 0x4
	buffer_load_dword v20, off, s[0:3], 0 offset:572
	buffer_load_dword v37, off, s[0:3], 0 offset:584
	;; [unrolled: 1-line block ×5, first 2 shown]
	s_waitcnt vmcnt(57) lgkmcnt(0)
	v_mul_f64 v[127:128], v[1:2], v[39:40]
	v_mul_f64 v[39:40], v[3:4], v[39:40]
	s_waitcnt vmcnt(56)
	v_fma_f64 v[35:36], v[5:6], v[23:24], -v[35:36]
	ds_read_b128 v[9:12], v70 offset:1344
	v_fma_f64 v[23:24], v[7:8], v[23:24], v[71:72]
	v_add_f64 v[21:22], v[21:22], v[29:30]
	v_add_f64 v[13:14], v[13:14], v[25:26]
	s_clause 0x2
	buffer_load_dword v38, off, s[0:3], 0 offset:588
	buffer_load_dword v26, off, s[0:3], 0 offset:564
	;; [unrolled: 1-line block ×3, first 2 shown]
	ds_read_b128 v[5:8], v70 offset:1360
	s_waitcnt vmcnt(58) lgkmcnt(1)
	v_mul_f64 v[29:30], v[9:10], v[43:44]
	v_mul_f64 v[43:44], v[11:12], v[43:44]
	s_waitcnt vmcnt(56)
	v_fma_f64 v[39:40], v[1:2], v[45:46], -v[39:40]
	v_add_f64 v[21:22], v[21:22], v[35:36]
	v_fma_f64 v[35:36], v[3:4], v[45:46], v[127:128]
	v_add_f64 v[13:14], v[13:14], v[23:24]
	s_clause 0x4
	buffer_load_dword v24, off, s[0:3], 0 offset:604
	buffer_load_dword v45, off, s[0:3], 0 offset:616
	;; [unrolled: 1-line block ×5, first 2 shown]
	s_waitcnt vmcnt(57) lgkmcnt(0)
	v_mul_f64 v[127:128], v[5:6], v[47:48]
	v_mul_f64 v[47:48], v[7:8], v[47:48]
	s_waitcnt vmcnt(56)
	v_fma_f64 v[43:44], v[9:10], v[31:32], -v[43:44]
	ds_read_b128 v[1:4], v70 offset:1376
	v_fma_f64 v[29:30], v[11:12], v[31:32], v[29:30]
	s_clause 0x2
	buffer_load_dword v46, off, s[0:3], 0 offset:620
	buffer_load_dword v32, off, s[0:3], 0 offset:596
	;; [unrolled: 1-line block ×3, first 2 shown]
	ds_read_b128 v[9:12], v70 offset:1392
	v_add_f64 v[21:22], v[21:22], v[39:40]
	v_add_f64 v[13:14], v[13:14], v[35:36]
	s_waitcnt vmcnt(58) lgkmcnt(1)
	v_mul_f64 v[39:40], v[3:4], v[51:52]
	s_waitcnt vmcnt(56)
	v_fma_f64 v[47:48], v[5:6], v[53:54], -v[47:48]
	v_mul_f64 v[35:36], v[1:2], v[51:52]
	v_add_f64 v[21:22], v[21:22], v[43:44]
	v_fma_f64 v[43:44], v[7:8], v[53:54], v[127:128]
	v_add_f64 v[13:14], v[13:14], v[29:30]
	s_clause 0x4
	buffer_load_dword v30, off, s[0:3], 0 offset:636
	buffer_load_dword v51, off, s[0:3], 0 offset:648
	;; [unrolled: 1-line block ×5, first 2 shown]
	s_waitcnt vmcnt(57) lgkmcnt(0)
	v_mul_f64 v[127:128], v[9:10], v[55:56]
	v_mul_f64 v[54:55], v[11:12], v[55:56]
	s_waitcnt vmcnt(56)
	v_fma_f64 v[39:40], v[1:2], v[41:42], -v[39:40]
	ds_read_b128 v[5:8], v70 offset:1408
	v_fma_f64 v[35:36], v[3:4], v[41:42], v[35:36]
	s_clause 0x2
	buffer_load_dword v52, off, s[0:3], 0 offset:652
	buffer_load_dword v42, off, s[0:3], 0 offset:628
	;; [unrolled: 1-line block ×3, first 2 shown]
	ds_read_b128 v[1:4], v70 offset:1424
	v_add_f64 v[21:22], v[21:22], v[47:48]
	v_add_f64 v[13:14], v[13:14], v[43:44]
	s_waitcnt vmcnt(58) lgkmcnt(1)
	v_mul_f64 v[47:48], v[7:8], v[59:60]
	s_waitcnt vmcnt(56)
	v_fma_f64 v[55:56], v[9:10], v[61:62], -v[54:55]
	v_mul_f64 v[43:44], v[5:6], v[59:60]
	v_add_f64 v[21:22], v[21:22], v[39:40]
	v_fma_f64 v[39:40], v[11:12], v[61:62], v[127:128]
	v_add_f64 v[13:14], v[13:14], v[35:36]
	s_clause 0x4
	buffer_load_dword v36, off, s[0:3], 0 offset:668
	buffer_load_dword v59, off, s[0:3], 0 offset:680
	;; [unrolled: 1-line block ×5, first 2 shown]
	s_waitcnt vmcnt(57) lgkmcnt(0)
	v_mul_f64 v[127:128], v[1:2], v[63:64]
	v_mul_f64 v[62:63], v[3:4], v[63:64]
	s_waitcnt vmcnt(56)
	v_fma_f64 v[47:48], v[5:6], v[49:50], -v[47:48]
	ds_read_b128 v[9:12], v70 offset:1440
	v_fma_f64 v[43:44], v[7:8], v[49:50], v[43:44]
	v_add_f64 v[21:22], v[21:22], v[55:56]
	v_add_f64 v[13:14], v[13:14], v[39:40]
	s_clause 0x2
	buffer_load_dword v60, off, s[0:3], 0 offset:684
	buffer_load_dword v40, off, s[0:3], 0 offset:660
	;; [unrolled: 1-line block ×3, first 2 shown]
	ds_read_b128 v[5:8], v70 offset:1456
	s_waitcnt vmcnt(58) lgkmcnt(1)
	v_mul_f64 v[55:56], v[11:12], v[65:66]
	s_waitcnt vmcnt(56)
	v_fma_f64 v[63:64], v[1:2], v[67:68], -v[62:63]
	v_mul_f64 v[49:50], v[9:10], v[65:66]
	v_add_f64 v[21:22], v[21:22], v[47:48]
	v_fma_f64 v[47:48], v[3:4], v[67:68], v[127:128]
	v_add_f64 v[13:14], v[13:14], v[43:44]
	s_clause 0x4
	buffer_load_dword v44, off, s[0:3], 0 offset:700
	buffer_load_dword v65, off, s[0:3], 0 offset:712
	;; [unrolled: 1-line block ×5, first 2 shown]
	s_waitcnt vmcnt(57) lgkmcnt(0)
	v_mul_f64 v[127:128], v[5:6], v[77:78]
	v_mul_f64 v[77:78], v[7:8], v[77:78]
	s_waitcnt vmcnt(56)
	v_fma_f64 v[55:56], v[9:10], v[57:58], -v[55:56]
	ds_read_b128 v[1:4], v70 offset:1472
	v_fma_f64 v[49:50], v[11:12], v[57:58], v[49:50]
	v_add_f64 v[21:22], v[21:22], v[63:64]
	v_add_f64 v[13:14], v[13:14], v[47:48]
	s_clause 0x2
	buffer_load_dword v66, off, s[0:3], 0 offset:716
	buffer_load_dword v48, off, s[0:3], 0 offset:692
	;; [unrolled: 1-line block ×3, first 2 shown]
	ds_read_b128 v[9:12], v70 offset:1488
	s_waitcnt vmcnt(58) lgkmcnt(1)
	v_mul_f64 v[63:64], v[3:4], v[79:80]
	v_mul_f64 v[57:58], v[1:2], v[79:80]
	s_waitcnt vmcnt(56)
	v_fma_f64 v[77:78], v[5:6], v[17:18], -v[77:78]
	v_fma_f64 v[17:18], v[7:8], v[17:18], v[127:128]
	v_add_f64 v[21:22], v[21:22], v[55:56]
	v_add_f64 v[13:14], v[13:14], v[49:50]
	s_clause 0x4
	buffer_load_dword v50, off, s[0:3], 0 offset:732
	buffer_load_dword v55, off, s[0:3], 0 offset:744
	;; [unrolled: 1-line block ×5, first 2 shown]
	ds_read_b128 v[5:8], v70 offset:1504
	s_waitcnt vmcnt(57) lgkmcnt(1)
	v_mul_f64 v[127:128], v[9:10], v[15:16]
	v_mul_f64 v[15:16], v[11:12], v[15:16]
	s_waitcnt vmcnt(56)
	v_fma_f64 v[63:64], v[1:2], v[81:82], -v[63:64]
	v_fma_f64 v[57:58], v[3:4], v[81:82], v[57:58]
	v_add_f64 v[21:22], v[21:22], v[77:78]
	v_add_f64 v[13:14], v[13:14], v[17:18]
	s_clause 0x2
	buffer_load_dword v56, off, s[0:3], 0 offset:748
	buffer_load_dword v18, off, s[0:3], 0 offset:724
	;; [unrolled: 1-line block ×3, first 2 shown]
	s_waitcnt vmcnt(58) lgkmcnt(0)
	v_mul_f64 v[81:82], v[7:8], v[119:120]
	ds_read_b128 v[1:4], v70 offset:1520
	v_mul_f64 v[77:78], v[5:6], v[119:120]
	s_waitcnt vmcnt(56)
	v_fma_f64 v[15:16], v[9:10], v[73:74], -v[15:16]
	v_add_f64 v[21:22], v[21:22], v[63:64]
	v_fma_f64 v[63:64], v[11:12], v[73:74], v[127:128]
	v_add_f64 v[13:14], v[13:14], v[57:58]
	s_clause 0x4
	buffer_load_dword v58, off, s[0:3], 0 offset:764
	buffer_load_dword v73, off, s[0:3], 0 offset:776
	;; [unrolled: 1-line block ×5, first 2 shown]
	ds_read_b128 v[9:12], v70 offset:1536
	s_waitcnt vmcnt(57) lgkmcnt(1)
	v_mul_f64 v[127:128], v[1:2], v[33:34]
	v_mul_f64 v[33:34], v[3:4], v[33:34]
	s_waitcnt vmcnt(56)
	v_fma_f64 v[81:82], v[5:6], v[125:126], -v[81:82]
	v_add_f64 v[15:16], v[21:22], v[15:16]
	v_fma_f64 v[21:22], v[7:8], v[125:126], v[77:78]
	v_add_f64 v[13:14], v[13:14], v[63:64]
	s_clause 0x2
	buffer_load_dword v74, off, s[0:3], 0 offset:780
	buffer_load_dword v64, off, s[0:3], 0 offset:756
	;; [unrolled: 1-line block ×3, first 2 shown]
	ds_read_b128 v[5:8], v70 offset:1552
	s_waitcnt vmcnt(58) lgkmcnt(1)
	v_mul_f64 v[77:78], v[9:10], v[75:76]
	v_mul_f64 v[75:76], v[11:12], v[75:76]
	s_waitcnt vmcnt(56)
	v_fma_f64 v[33:34], v[1:2], v[27:28], -v[33:34]
	v_fma_f64 v[27:28], v[3:4], v[27:28], v[127:128]
	v_add_f64 v[15:16], v[15:16], v[81:82]
	v_add_f64 v[13:14], v[13:14], v[21:22]
	s_clause 0x4
	buffer_load_dword v22, off, s[0:3], 0 offset:796
	buffer_load_dword v81, off, s[0:3], 0 offset:808
	;; [unrolled: 1-line block ×5, first 2 shown]
	ds_read_b128 v[1:4], v70 offset:1568
	s_waitcnt vmcnt(57) lgkmcnt(1)
	v_mul_f64 v[126:127], v[5:6], v[19:20]
	v_mul_f64 v[19:20], v[7:8], v[19:20]
	s_waitcnt vmcnt(56)
	v_fma_f64 v[75:76], v[9:10], v[117:118], -v[75:76]
	v_add_f64 v[15:16], v[15:16], v[33:34]
	v_fma_f64 v[33:34], v[11:12], v[117:118], v[77:78]
	v_add_f64 v[13:14], v[13:14], v[27:28]
	s_clause 0x2
	buffer_load_dword v82, off, s[0:3], 0 offset:812
	buffer_load_dword v28, off, s[0:3], 0 offset:788
	;; [unrolled: 1-line block ×3, first 2 shown]
	ds_read_b128 v[9:12], v70 offset:1584
	s_waitcnt vmcnt(58) lgkmcnt(1)
	v_mul_f64 v[77:78], v[1:2], v[37:38]
	v_mul_f64 v[37:38], v[3:4], v[37:38]
	s_waitcnt vmcnt(56)
	v_fma_f64 v[19:20], v[5:6], v[25:26], -v[19:20]
	v_fma_f64 v[25:26], v[7:8], v[25:26], v[126:127]
	v_add_f64 v[15:16], v[15:16], v[75:76]
	v_add_f64 v[13:14], v[13:14], v[33:34]
	s_clause 0x4
	buffer_load_dword v34, off, s[0:3], 0 offset:828
	buffer_load_dword v75, off, s[0:3], 0 offset:840
	;; [unrolled: 1-line block ×5, first 2 shown]
	ds_read_b128 v[5:8], v70 offset:1600
	s_waitcnt vmcnt(57) lgkmcnt(1)
	v_mul_f64 v[127:128], v[9:10], v[23:24]
	v_mul_f64 v[23:24], v[11:12], v[23:24]
	s_waitcnt vmcnt(56)
	v_fma_f64 v[37:38], v[1:2], v[83:84], -v[37:38]
	v_add_f64 v[15:16], v[15:16], v[19:20]
	v_fma_f64 v[19:20], v[3:4], v[83:84], v[77:78]
	v_add_f64 v[13:14], v[13:14], v[25:26]
	s_clause 0x2
	buffer_load_dword v76, off, s[0:3], 0 offset:844
	buffer_load_dword v26, off, s[0:3], 0 offset:820
	;; [unrolled: 1-line block ×3, first 2 shown]
	s_waitcnt vmcnt(58) lgkmcnt(0)
	v_mul_f64 v[77:78], v[5:6], v[45:46]
	v_mul_f64 v[45:46], v[7:8], v[45:46]
	ds_read_b128 v[1:4], v70 offset:1616
	s_waitcnt vmcnt(56)
	v_fma_f64 v[23:24], v[9:10], v[31:32], -v[23:24]
	v_fma_f64 v[31:32], v[11:12], v[31:32], v[127:128]
	v_add_f64 v[15:16], v[15:16], v[37:38]
	v_add_f64 v[13:14], v[13:14], v[19:20]
	s_clause 0x4
	buffer_load_dword v20, off, s[0:3], 0 offset:860
	buffer_load_dword v37, off, s[0:3], 0 offset:872
	;; [unrolled: 1-line block ×5, first 2 shown]
	ds_read_b128 v[9:12], v70 offset:1632
	s_waitcnt vmcnt(57) lgkmcnt(1)
	v_mul_f64 v[127:128], v[1:2], v[29:30]
	v_mul_f64 v[29:30], v[3:4], v[29:30]
	s_waitcnt vmcnt(56)
	v_fma_f64 v[45:46], v[5:6], v[71:72], -v[45:46]
	v_add_f64 v[15:16], v[15:16], v[23:24]
	v_fma_f64 v[23:24], v[7:8], v[71:72], v[77:78]
	v_add_f64 v[13:14], v[13:14], v[31:32]
	s_clause 0x2
	buffer_load_dword v38, off, s[0:3], 0 offset:876
	buffer_load_dword v32, off, s[0:3], 0 offset:852
	;; [unrolled: 1-line block ×3, first 2 shown]
	s_waitcnt vmcnt(58) lgkmcnt(0)
	v_mul_f64 v[71:72], v[9:10], v[51:52]
	v_mul_f64 v[51:52], v[11:12], v[51:52]
	ds_read_b128 v[5:8], v70 offset:1648
	s_waitcnt vmcnt(56)
	v_fma_f64 v[29:30], v[1:2], v[41:42], -v[29:30]
	v_fma_f64 v[41:42], v[3:4], v[41:42], v[127:128]
	v_add_f64 v[15:16], v[15:16], v[45:46]
	v_add_f64 v[13:14], v[13:14], v[23:24]
	s_clause 0x4
	buffer_load_dword v24, off, s[0:3], 0 offset:892
	buffer_load_dword v45, off, s[0:3], 0 offset:904
	buffer_load_dword v77, off, s[0:3], 0 offset:896
	buffer_load_dword v23, off, s[0:3], 0 offset:888
	buffer_load_dword v84, off, s[0:3], 0 offset:868
	ds_read_b128 v[1:4], v70 offset:1664
	s_waitcnt vmcnt(57) lgkmcnt(1)
	v_mul_f64 v[127:128], v[5:6], v[35:36]
	v_mul_f64 v[35:36], v[7:8], v[35:36]
	s_waitcnt vmcnt(56)
	v_fma_f64 v[51:52], v[9:10], v[53:54], -v[51:52]
	v_add_f64 v[15:16], v[15:16], v[29:30]
	v_fma_f64 v[29:30], v[11:12], v[53:54], v[71:72]
	v_add_f64 v[13:14], v[13:14], v[41:42]
	s_clause 0x2
	buffer_load_dword v46, off, s[0:3], 0 offset:908
	buffer_load_dword v42, off, s[0:3], 0 offset:884
	buffer_load_dword v41, off, s[0:3], 0 offset:880
	ds_read_b128 v[9:12], v70 offset:1680
	s_waitcnt vmcnt(58) lgkmcnt(1)
	v_mul_f64 v[53:54], v[1:2], v[59:60]
	v_mul_f64 v[59:60], v[3:4], v[59:60]
	s_waitcnt vmcnt(56)
	v_fma_f64 v[35:36], v[5:6], v[39:40], -v[35:36]
	v_fma_f64 v[39:40], v[7:8], v[39:40], v[127:128]
	v_add_f64 v[15:16], v[15:16], v[51:52]
	v_add_f64 v[13:14], v[13:14], v[29:30]
	s_clause 0x4
	buffer_load_dword v30, off, s[0:3], 0 offset:924
	buffer_load_dword v51, off, s[0:3], 0 offset:936
	buffer_load_dword v71, off, s[0:3], 0 offset:928
	buffer_load_dword v29, off, s[0:3], 0 offset:920
	buffer_load_dword v78, off, s[0:3], 0 offset:900
	ds_read_b128 v[5:8], v70 offset:1696
	s_waitcnt vmcnt(57) lgkmcnt(1)
	v_mul_f64 v[127:128], v[9:10], v[43:44]
	v_mul_f64 v[43:44], v[11:12], v[43:44]
	s_waitcnt vmcnt(56)
	v_fma_f64 v[59:60], v[1:2], v[61:62], -v[59:60]
	v_add_f64 v[15:16], v[15:16], v[35:36]
	v_fma_f64 v[35:36], v[3:4], v[61:62], v[53:54]
	v_add_f64 v[13:14], v[13:14], v[39:40]
	s_clause 0x2
	buffer_load_dword v52, off, s[0:3], 0 offset:940
	buffer_load_dword v40, off, s[0:3], 0 offset:916
	buffer_load_dword v39, off, s[0:3], 0 offset:912
	ds_read_b128 v[1:4], v70 offset:1712
	s_waitcnt vmcnt(58) lgkmcnt(1)
	v_mul_f64 v[61:62], v[7:8], v[65:66]
	v_mul_f64 v[53:54], v[5:6], v[65:66]
	;; [unrolled: 28-line block ×4, first 2 shown]
	s_waitcnt vmcnt(56)
	v_fma_f64 v[57:58], v[5:6], v[63:64], -v[57:58]
	v_add_f64 v[15:16], v[15:16], v[55:56]
	v_fma_f64 v[55:56], v[7:8], v[63:64], v[127:128]
	v_add_f64 v[13:14], v[13:14], v[49:50]
	s_clause 0x2
	buffer_load_dword v50, off, s[0:3], 0 offset:1020
	buffer_load_dword v49, off, s[0:3], 0 offset:1016
	;; [unrolled: 1-line block ×3, first 2 shown]
	ds_read_b128 v[5:8], v70 offset:1792
	s_waitcnt vmcnt(55) lgkmcnt(1)
	v_mul_f64 v[63:64], v[9:10], v[21:22]
	v_mul_f64 v[21:22], v[11:12], v[21:22]
	s_waitcnt vmcnt(54)
	v_fma_f64 v[73:74], v[1:2], v[119:120], -v[73:74]
	v_fma_f64 v[53:54], v[3:4], v[119:120], v[53:54]
	v_add_f64 v[15:16], v[15:16], v[57:58]
	v_add_f64 v[13:14], v[13:14], v[55:56]
	s_clause 0x1
	buffer_load_dword v56, off, s[0:3], 0 offset:1012
	buffer_load_dword v55, off, s[0:3], 0 offset:1008
	ds_read_b128 v[1:4], v70 offset:1808
	s_waitcnt vmcnt(55) lgkmcnt(1)
	v_mul_f64 v[79:80], v[7:8], v[81:82]
	v_mul_f64 v[57:58], v[5:6], v[81:82]
	s_waitcnt vmcnt(53)
	v_fma_f64 v[21:22], v[9:10], v[27:28], -v[21:22]
	v_fma_f64 v[27:28], v[11:12], v[27:28], v[63:64]
	ds_read_b128 v[9:12], v70 offset:1824
	v_add_f64 v[15:16], v[15:16], v[73:74]
	v_add_f64 v[13:14], v[13:14], v[53:54]
	s_waitcnt vmcnt(49) lgkmcnt(1)
	v_mul_f64 v[53:54], v[1:2], v[33:34]
	v_mul_f64 v[33:34], v[3:4], v[33:34]
	s_waitcnt vmcnt(48)
	v_fma_f64 v[63:64], v[5:6], v[125:126], -v[79:80]
	v_add_f64 v[15:16], v[15:16], v[21:22]
	v_fma_f64 v[21:22], v[7:8], v[125:126], v[57:58]
	v_add_f64 v[13:14], v[13:14], v[27:28]
	s_clause 0x3
	buffer_load_dword v27, off, s[0:3], 0 offset:208
	buffer_load_dword v28, off, s[0:3], 0 offset:212
	;; [unrolled: 1-line block ×4, first 2 shown]
	ds_read_b128 v[5:8], v70 offset:1840
	s_waitcnt vmcnt(51) lgkmcnt(1)
	v_mul_f64 v[73:74], v[9:10], v[75:76]
	v_mul_f64 v[75:76], v[11:12], v[75:76]
	s_waitcnt vmcnt(49)
	v_fma_f64 v[33:34], v[1:2], v[25:26], -v[33:34]
	v_fma_f64 v[25:26], v[3:4], v[25:26], v[53:54]
	ds_read_b128 v[1:4], v70 offset:1856
	v_add_f64 v[15:16], v[15:16], v[63:64]
	v_add_f64 v[13:14], v[13:14], v[21:22]
	s_waitcnt vmcnt(45) lgkmcnt(1)
	v_mul_f64 v[21:22], v[5:6], v[19:20]
	v_mul_f64 v[19:20], v[7:8], v[19:20]
	s_waitcnt vmcnt(44)
	v_fma_f64 v[53:54], v[9:10], v[117:118], -v[75:76]
	v_add_f64 v[15:16], v[15:16], v[33:34]
	v_fma_f64 v[33:34], v[11:12], v[117:118], v[73:74]
	v_add_f64 v[13:14], v[13:14], v[25:26]
	ds_read_b128 v[9:12], v70 offset:1872
	s_waitcnt vmcnt(43) lgkmcnt(1)
	v_mul_f64 v[25:26], v[1:2], v[37:38]
	v_mul_f64 v[37:38], v[3:4], v[37:38]
	s_waitcnt vmcnt(41)
	v_fma_f64 v[19:20], v[5:6], v[31:32], -v[19:20]
	v_fma_f64 v[21:22], v[7:8], v[31:32], v[21:22]
	ds_read_b128 v[5:8], v70 offset:1888
	v_add_f64 v[15:16], v[15:16], v[53:54]
	v_add_f64 v[13:14], v[13:14], v[33:34]
	s_waitcnt vmcnt(37) lgkmcnt(1)
	v_mul_f64 v[31:32], v[9:10], v[23:24]
	v_mul_f64 v[23:24], v[11:12], v[23:24]
	s_waitcnt vmcnt(36)
	v_fma_f64 v[33:34], v[1:2], v[83:84], -v[37:38]
	v_add_f64 v[15:16], v[15:16], v[19:20]
	v_fma_f64 v[19:20], v[3:4], v[83:84], v[25:26]
	v_add_f64 v[13:14], v[13:14], v[21:22]
	ds_read_b128 v[1:4], v70 offset:1904
	s_waitcnt vmcnt(35) lgkmcnt(1)
	v_mul_f64 v[25:26], v[7:8], v[45:46]
	v_mul_f64 v[21:22], v[5:6], v[45:46]
	s_waitcnt vmcnt(33)
	v_fma_f64 v[23:24], v[9:10], v[41:42], -v[23:24]
	v_fma_f64 v[31:32], v[11:12], v[41:42], v[31:32]
	ds_read_b128 v[9:12], v70 offset:1920
	v_add_f64 v[15:16], v[15:16], v[33:34]
	v_add_f64 v[13:14], v[13:14], v[19:20]
	s_waitcnt vmcnt(29) lgkmcnt(1)
	v_mul_f64 v[19:20], v[1:2], v[29:30]
	v_mul_f64 v[29:30], v[3:4], v[29:30]
	s_waitcnt vmcnt(28)
	v_fma_f64 v[25:26], v[5:6], v[77:78], -v[25:26]
	v_fma_f64 v[21:22], v[7:8], v[77:78], v[21:22]
	ds_read_b128 v[5:8], v70 offset:1936
	v_add_f64 v[15:16], v[15:16], v[23:24]
	v_add_f64 v[13:14], v[13:14], v[31:32]
	s_waitcnt vmcnt(27) lgkmcnt(1)
	v_mul_f64 v[31:32], v[11:12], v[51:52]
	v_mul_f64 v[23:24], v[9:10], v[51:52]
	s_waitcnt vmcnt(25)
	v_fma_f64 v[29:30], v[1:2], v[39:40], -v[29:30]
	v_fma_f64 v[19:20], v[3:4], v[39:40], v[19:20]
	ds_read_b128 v[1:4], v70 offset:1952
	v_add_f64 v[15:16], v[15:16], v[25:26]
	v_add_f64 v[13:14], v[13:14], v[21:22]
	s_waitcnt vmcnt(21) lgkmcnt(1)
	v_mul_f64 v[25:26], v[7:8], v[35:36]
	s_waitcnt vmcnt(20)
	v_fma_f64 v[31:32], v[9:10], v[71:72], -v[31:32]
	v_mul_f64 v[21:22], v[5:6], v[35:36]
	v_fma_f64 v[23:24], v[11:12], v[71:72], v[23:24]
	ds_read_b128 v[9:12], v70 offset:1968
	v_add_f64 v[15:16], v[15:16], v[29:30]
	v_add_f64 v[13:14], v[13:14], v[19:20]
	s_waitcnt vmcnt(19) lgkmcnt(1)
	v_mul_f64 v[29:30], v[3:4], v[59:60]
	v_mul_f64 v[19:20], v[1:2], v[59:60]
	s_waitcnt vmcnt(17)
	v_fma_f64 v[25:26], v[5:6], v[47:48], -v[25:26]
	v_fma_f64 v[21:22], v[7:8], v[47:48], v[21:22]
	ds_read_b128 v[5:8], v70 offset:1984
	v_add_f64 v[15:16], v[15:16], v[31:32]
	v_add_f64 v[13:14], v[13:14], v[23:24]
	s_waitcnt vmcnt(13) lgkmcnt(1)
	v_mul_f64 v[31:32], v[11:12], v[43:44]
	s_waitcnt vmcnt(12)
	v_fma_f64 v[29:30], v[1:2], v[65:66], -v[29:30]
	v_mul_f64 v[23:24], v[9:10], v[43:44]
	v_fma_f64 v[19:20], v[3:4], v[65:66], v[19:20]
	ds_read_b128 v[1:4], v70 offset:2000
	v_add_f64 v[15:16], v[15:16], v[25:26]
	v_add_f64 v[13:14], v[13:14], v[21:22]
	s_waitcnt vmcnt(11) lgkmcnt(1)
	v_mul_f64 v[25:26], v[7:8], v[61:62]
	v_mul_f64 v[21:22], v[5:6], v[61:62]
	s_waitcnt vmcnt(9)
	v_fma_f64 v[9:10], v[9:10], v[17:18], -v[31:32]
	v_fma_f64 v[11:12], v[11:12], v[17:18], v[23:24]
	v_add_f64 v[15:16], v[15:16], v[29:30]
	v_add_f64 v[13:14], v[13:14], v[19:20]
	s_waitcnt vmcnt(7) lgkmcnt(0)
	v_mul_f64 v[19:20], v[3:4], v[49:50]
	s_waitcnt vmcnt(6)
	v_fma_f64 v[5:6], v[5:6], v[67:68], -v[25:26]
	v_mul_f64 v[17:18], v[1:2], v[49:50]
	v_fma_f64 v[7:8], v[7:8], v[67:68], v[21:22]
	v_add_f64 v[9:10], v[15:16], v[9:10]
	v_add_f64 v[11:12], v[13:14], v[11:12]
	s_waitcnt vmcnt(4)
	v_fma_f64 v[1:2], v[1:2], v[55:56], -v[19:20]
	v_fma_f64 v[3:4], v[3:4], v[55:56], v[17:18]
	v_add_f64 v[5:6], v[9:10], v[5:6]
	v_add_f64 v[7:8], v[11:12], v[7:8]
	;; [unrolled: 1-line block ×4, first 2 shown]
	s_waitcnt vmcnt(2)
	v_add_f64 v[1:2], v[27:28], -v[1:2]
	s_waitcnt vmcnt(0)
	v_add_f64 v[3:4], v[57:58], -v[3:4]
	buffer_store_dword v2, off, s[0:3], 0 offset:212
	buffer_store_dword v1, off, s[0:3], 0 offset:208
	buffer_store_dword v4, off, s[0:3], 0 offset:220
	buffer_store_dword v3, off, s[0:3], 0 offset:216
	v_cmpx_lt_u32_e32 11, v0
	s_cbranch_execz .LBB62_381
; %bb.380:
	v_mov_b32_e32 v4, s68
	v_mov_b32_e32 v5, 0
	s_clause 0x3
	buffer_load_dword v1, v4, s[0:3], 0 offen
	buffer_load_dword v2, v4, s[0:3], 0 offen offset:4
	buffer_load_dword v3, v4, s[0:3], 0 offen offset:8
	;; [unrolled: 1-line block ×3, first 2 shown]
	buffer_store_dword v5, off, s[0:3], 0 offset:192
	buffer_store_dword v5, off, s[0:3], 0 offset:196
	buffer_store_dword v5, off, s[0:3], 0 offset:200
	buffer_store_dword v5, off, s[0:3], 0 offset:204
	s_waitcnt vmcnt(0)
	ds_write_b128 v69, v[1:4]
.LBB62_381:
	s_or_b32 exec_lo, exec_lo, s4
	s_waitcnt lgkmcnt(0)
	s_waitcnt_vscnt null, 0x0
	s_barrier
	buffer_gl0_inv
	s_clause 0x37
	buffer_load_dword v17, off, s[0:3], 0 offset:216
	buffer_load_dword v18, off, s[0:3], 0 offset:220
	;; [unrolled: 1-line block ×56, first 2 shown]
	v_mov_b32_e32 v70, 0
	s_mov_b32 s4, exec_lo
	ds_read_b128 v[5:8], v70 offset:1200
	s_clause 0x2
	buffer_load_dword v66, off, s[0:3], 0 offset:444
	buffer_load_dword v68, off, s[0:3], 0 offset:420
	;; [unrolled: 1-line block ×3, first 2 shown]
	ds_read_b128 v[1:4], v70 offset:1216
	s_clause 0x4
	buffer_load_dword v78, off, s[0:3], 0 offset:460
	buffer_load_dword v79, off, s[0:3], 0 offset:472
	;; [unrolled: 1-line block ×5, first 2 shown]
	ds_read_b128 v[71:74], v70 offset:1232
	s_waitcnt vmcnt(62) lgkmcnt(2)
	v_mul_f64 v[75:76], v[7:8], v[17:18]
	v_mul_f64 v[17:18], v[5:6], v[17:18]
	s_waitcnt vmcnt(60) lgkmcnt(1)
	v_mul_f64 v[82:83], v[3:4], v[13:14]
	v_mul_f64 v[13:14], v[1:2], v[13:14]
	;; [unrolled: 3-line block ×3, first 2 shown]
	v_fma_f64 v[75:76], v[5:6], v[15:16], -v[75:76]
	v_fma_f64 v[15:16], v[7:8], v[15:16], v[17:18]
	s_clause 0x2
	buffer_load_dword v80, off, s[0:3], 0 offset:476
	buffer_load_dword v18, off, s[0:3], 0 offset:452
	;; [unrolled: 1-line block ×3, first 2 shown]
	s_waitcnt vmcnt(57)
	v_fma_f64 v[83:84], v[1:2], v[9:10], -v[82:83]
	ds_read_b128 v[5:8], v70 offset:1248
	v_fma_f64 v[9:10], v[3:4], v[9:10], v[13:14]
	s_waitcnt vmcnt(51)
	v_fma_f64 v[71:72], v[71:72], v[33:34], -v[11:12]
	v_fma_f64 v[33:34], v[73:74], v[33:34], v[117:118]
	v_add_f64 v[75:76], v[75:76], 0
	v_add_f64 v[13:14], v[15:16], 0
	s_clause 0x4
	buffer_load_dword v16, off, s[0:3], 0 offset:492
	buffer_load_dword v119, off, s[0:3], 0 offset:504
	;; [unrolled: 1-line block ×5, first 2 shown]
	s_waitcnt lgkmcnt(0)
	v_mul_f64 v[126:127], v[5:6], v[21:22]
	v_mul_f64 v[21:22], v[7:8], v[21:22]
	ds_read_b128 v[1:4], v70 offset:1264
	s_clause 0x2
	buffer_load_dword v120, off, s[0:3], 0 offset:508
	buffer_load_dword v74, off, s[0:3], 0 offset:484
	;; [unrolled: 1-line block ×3, first 2 shown]
	v_add_f64 v[75:76], v[75:76], v[83:84]
	v_add_f64 v[13:14], v[13:14], v[9:10]
	ds_read_b128 v[9:12], v70 offset:1280
	s_waitcnt vmcnt(58) lgkmcnt(1)
	v_mul_f64 v[83:84], v[1:2], v[25:26]
	v_mul_f64 v[25:26], v[3:4], v[25:26]
	s_waitcnt vmcnt(56)
	v_fma_f64 v[21:22], v[5:6], v[27:28], -v[21:22]
	v_fma_f64 v[27:28], v[7:8], v[27:28], v[126:127]
	s_waitcnt vmcnt(52) lgkmcnt(0)
	v_mul_f64 v[127:128], v[9:10], v[29:30]
	v_add_f64 v[71:72], v[75:76], v[71:72]
	v_add_f64 v[13:14], v[13:14], v[33:34]
	s_clause 0x4
	buffer_load_dword v34, off, s[0:3], 0 offset:524
	buffer_load_dword v75, off, s[0:3], 0 offset:536
	;; [unrolled: 1-line block ×5, first 2 shown]
	v_mul_f64 v[29:30], v[11:12], v[29:30]
	s_waitcnt vmcnt(56)
	v_fma_f64 v[25:26], v[1:2], v[19:20], -v[25:26]
	ds_read_b128 v[5:8], v70 offset:1296
	v_fma_f64 v[19:20], v[3:4], v[19:20], v[83:84]
	v_add_f64 v[21:22], v[71:72], v[21:22]
	v_add_f64 v[13:14], v[13:14], v[27:28]
	s_clause 0x2
	buffer_load_dword v76, off, s[0:3], 0 offset:540
	buffer_load_dword v28, off, s[0:3], 0 offset:516
	buffer_load_dword v27, off, s[0:3], 0 offset:512
	s_waitcnt vmcnt(58) lgkmcnt(0)
	v_mul_f64 v[71:72], v[5:6], v[35:36]
	v_mul_f64 v[35:36], v[7:8], v[35:36]
	s_waitcnt vmcnt(56)
	v_fma_f64 v[29:30], v[9:10], v[37:38], -v[29:30]
	ds_read_b128 v[1:4], v70 offset:1312
	v_add_f64 v[21:22], v[21:22], v[25:26]
	v_fma_f64 v[25:26], v[11:12], v[37:38], v[127:128]
	v_add_f64 v[13:14], v[13:14], v[19:20]
	s_clause 0x4
	buffer_load_dword v20, off, s[0:3], 0 offset:556
	buffer_load_dword v37, off, s[0:3], 0 offset:568
	;; [unrolled: 1-line block ×5, first 2 shown]
	s_waitcnt vmcnt(57) lgkmcnt(0)
	v_mul_f64 v[127:128], v[1:2], v[39:40]
	v_mul_f64 v[39:40], v[3:4], v[39:40]
	s_waitcnt vmcnt(56)
	v_fma_f64 v[35:36], v[5:6], v[23:24], -v[35:36]
	ds_read_b128 v[9:12], v70 offset:1328
	v_fma_f64 v[23:24], v[7:8], v[23:24], v[71:72]
	v_add_f64 v[21:22], v[21:22], v[29:30]
	v_add_f64 v[13:14], v[13:14], v[25:26]
	s_clause 0x2
	buffer_load_dword v38, off, s[0:3], 0 offset:572
	buffer_load_dword v26, off, s[0:3], 0 offset:548
	buffer_load_dword v25, off, s[0:3], 0 offset:544
	ds_read_b128 v[5:8], v70 offset:1344
	s_waitcnt vmcnt(58) lgkmcnt(1)
	v_mul_f64 v[29:30], v[9:10], v[43:44]
	v_mul_f64 v[43:44], v[11:12], v[43:44]
	s_waitcnt vmcnt(56)
	v_fma_f64 v[39:40], v[1:2], v[45:46], -v[39:40]
	v_add_f64 v[21:22], v[21:22], v[35:36]
	v_fma_f64 v[35:36], v[3:4], v[45:46], v[127:128]
	v_add_f64 v[13:14], v[13:14], v[23:24]
	s_clause 0x4
	buffer_load_dword v24, off, s[0:3], 0 offset:588
	buffer_load_dword v45, off, s[0:3], 0 offset:600
	;; [unrolled: 1-line block ×5, first 2 shown]
	s_waitcnt vmcnt(57) lgkmcnt(0)
	v_mul_f64 v[127:128], v[5:6], v[47:48]
	v_mul_f64 v[47:48], v[7:8], v[47:48]
	s_waitcnt vmcnt(56)
	v_fma_f64 v[43:44], v[9:10], v[31:32], -v[43:44]
	ds_read_b128 v[1:4], v70 offset:1360
	v_fma_f64 v[29:30], v[11:12], v[31:32], v[29:30]
	s_clause 0x2
	buffer_load_dword v46, off, s[0:3], 0 offset:604
	buffer_load_dword v32, off, s[0:3], 0 offset:580
	buffer_load_dword v31, off, s[0:3], 0 offset:576
	ds_read_b128 v[9:12], v70 offset:1376
	v_add_f64 v[21:22], v[21:22], v[39:40]
	v_add_f64 v[13:14], v[13:14], v[35:36]
	s_waitcnt vmcnt(58) lgkmcnt(1)
	v_mul_f64 v[39:40], v[3:4], v[51:52]
	s_waitcnt vmcnt(56)
	v_fma_f64 v[47:48], v[5:6], v[53:54], -v[47:48]
	v_mul_f64 v[35:36], v[1:2], v[51:52]
	v_add_f64 v[21:22], v[21:22], v[43:44]
	v_fma_f64 v[43:44], v[7:8], v[53:54], v[127:128]
	v_add_f64 v[13:14], v[13:14], v[29:30]
	s_clause 0x4
	buffer_load_dword v30, off, s[0:3], 0 offset:620
	buffer_load_dword v51, off, s[0:3], 0 offset:632
	buffer_load_dword v53, off, s[0:3], 0 offset:624
	buffer_load_dword v29, off, s[0:3], 0 offset:616
	buffer_load_dword v72, off, s[0:3], 0 offset:596
	s_waitcnt vmcnt(57) lgkmcnt(0)
	v_mul_f64 v[127:128], v[9:10], v[55:56]
	v_mul_f64 v[54:55], v[11:12], v[55:56]
	s_waitcnt vmcnt(56)
	v_fma_f64 v[39:40], v[1:2], v[41:42], -v[39:40]
	ds_read_b128 v[5:8], v70 offset:1392
	v_fma_f64 v[35:36], v[3:4], v[41:42], v[35:36]
	s_clause 0x2
	buffer_load_dword v52, off, s[0:3], 0 offset:636
	buffer_load_dword v42, off, s[0:3], 0 offset:612
	;; [unrolled: 1-line block ×3, first 2 shown]
	ds_read_b128 v[1:4], v70 offset:1408
	v_add_f64 v[21:22], v[21:22], v[47:48]
	v_add_f64 v[13:14], v[13:14], v[43:44]
	s_waitcnt vmcnt(58) lgkmcnt(1)
	v_mul_f64 v[47:48], v[7:8], v[59:60]
	s_waitcnt vmcnt(56)
	v_fma_f64 v[55:56], v[9:10], v[61:62], -v[54:55]
	v_mul_f64 v[43:44], v[5:6], v[59:60]
	v_add_f64 v[21:22], v[21:22], v[39:40]
	v_fma_f64 v[39:40], v[11:12], v[61:62], v[127:128]
	v_add_f64 v[13:14], v[13:14], v[35:36]
	s_clause 0x4
	buffer_load_dword v36, off, s[0:3], 0 offset:652
	buffer_load_dword v59, off, s[0:3], 0 offset:664
	;; [unrolled: 1-line block ×5, first 2 shown]
	s_waitcnt vmcnt(57) lgkmcnt(0)
	v_mul_f64 v[127:128], v[1:2], v[63:64]
	v_mul_f64 v[62:63], v[3:4], v[63:64]
	s_waitcnt vmcnt(56)
	v_fma_f64 v[47:48], v[5:6], v[49:50], -v[47:48]
	ds_read_b128 v[9:12], v70 offset:1424
	v_fma_f64 v[43:44], v[7:8], v[49:50], v[43:44]
	v_add_f64 v[21:22], v[21:22], v[55:56]
	v_add_f64 v[13:14], v[13:14], v[39:40]
	s_clause 0x2
	buffer_load_dword v60, off, s[0:3], 0 offset:668
	buffer_load_dword v40, off, s[0:3], 0 offset:644
	;; [unrolled: 1-line block ×3, first 2 shown]
	ds_read_b128 v[5:8], v70 offset:1440
	s_waitcnt vmcnt(58) lgkmcnt(1)
	v_mul_f64 v[55:56], v[11:12], v[65:66]
	s_waitcnt vmcnt(56)
	v_fma_f64 v[63:64], v[1:2], v[67:68], -v[62:63]
	v_mul_f64 v[49:50], v[9:10], v[65:66]
	v_add_f64 v[21:22], v[21:22], v[47:48]
	v_fma_f64 v[47:48], v[3:4], v[67:68], v[127:128]
	v_add_f64 v[13:14], v[13:14], v[43:44]
	s_clause 0x4
	buffer_load_dword v44, off, s[0:3], 0 offset:684
	buffer_load_dword v65, off, s[0:3], 0 offset:696
	;; [unrolled: 1-line block ×5, first 2 shown]
	s_waitcnt vmcnt(57) lgkmcnt(0)
	v_mul_f64 v[127:128], v[5:6], v[77:78]
	v_mul_f64 v[77:78], v[7:8], v[77:78]
	s_waitcnt vmcnt(56)
	v_fma_f64 v[55:56], v[9:10], v[57:58], -v[55:56]
	ds_read_b128 v[1:4], v70 offset:1456
	v_fma_f64 v[49:50], v[11:12], v[57:58], v[49:50]
	v_add_f64 v[21:22], v[21:22], v[63:64]
	v_add_f64 v[13:14], v[13:14], v[47:48]
	s_clause 0x2
	buffer_load_dword v66, off, s[0:3], 0 offset:700
	buffer_load_dword v48, off, s[0:3], 0 offset:676
	;; [unrolled: 1-line block ×3, first 2 shown]
	ds_read_b128 v[9:12], v70 offset:1472
	s_waitcnt vmcnt(58) lgkmcnt(1)
	v_mul_f64 v[63:64], v[3:4], v[79:80]
	v_mul_f64 v[57:58], v[1:2], v[79:80]
	s_waitcnt vmcnt(56)
	v_fma_f64 v[77:78], v[5:6], v[17:18], -v[77:78]
	v_fma_f64 v[17:18], v[7:8], v[17:18], v[127:128]
	v_add_f64 v[21:22], v[21:22], v[55:56]
	v_add_f64 v[13:14], v[13:14], v[49:50]
	s_clause 0x4
	buffer_load_dword v50, off, s[0:3], 0 offset:716
	buffer_load_dword v55, off, s[0:3], 0 offset:728
	;; [unrolled: 1-line block ×5, first 2 shown]
	ds_read_b128 v[5:8], v70 offset:1488
	s_waitcnt vmcnt(57) lgkmcnt(1)
	v_mul_f64 v[127:128], v[9:10], v[15:16]
	v_mul_f64 v[15:16], v[11:12], v[15:16]
	s_waitcnt vmcnt(56)
	v_fma_f64 v[63:64], v[1:2], v[81:82], -v[63:64]
	v_fma_f64 v[57:58], v[3:4], v[81:82], v[57:58]
	v_add_f64 v[21:22], v[21:22], v[77:78]
	v_add_f64 v[13:14], v[13:14], v[17:18]
	s_clause 0x2
	buffer_load_dword v56, off, s[0:3], 0 offset:732
	buffer_load_dword v18, off, s[0:3], 0 offset:708
	;; [unrolled: 1-line block ×3, first 2 shown]
	s_waitcnt vmcnt(58) lgkmcnt(0)
	v_mul_f64 v[81:82], v[7:8], v[119:120]
	ds_read_b128 v[1:4], v70 offset:1504
	v_mul_f64 v[77:78], v[5:6], v[119:120]
	s_waitcnt vmcnt(56)
	v_fma_f64 v[15:16], v[9:10], v[73:74], -v[15:16]
	v_add_f64 v[21:22], v[21:22], v[63:64]
	v_fma_f64 v[63:64], v[11:12], v[73:74], v[127:128]
	v_add_f64 v[13:14], v[13:14], v[57:58]
	s_clause 0x4
	buffer_load_dword v58, off, s[0:3], 0 offset:748
	buffer_load_dword v73, off, s[0:3], 0 offset:760
	;; [unrolled: 1-line block ×5, first 2 shown]
	ds_read_b128 v[9:12], v70 offset:1520
	s_waitcnt vmcnt(57) lgkmcnt(1)
	v_mul_f64 v[127:128], v[1:2], v[33:34]
	v_mul_f64 v[33:34], v[3:4], v[33:34]
	s_waitcnt vmcnt(56)
	v_fma_f64 v[81:82], v[5:6], v[125:126], -v[81:82]
	v_add_f64 v[15:16], v[21:22], v[15:16]
	v_fma_f64 v[21:22], v[7:8], v[125:126], v[77:78]
	v_add_f64 v[13:14], v[13:14], v[63:64]
	s_clause 0x2
	buffer_load_dword v74, off, s[0:3], 0 offset:764
	buffer_load_dword v64, off, s[0:3], 0 offset:740
	buffer_load_dword v63, off, s[0:3], 0 offset:736
	ds_read_b128 v[5:8], v70 offset:1536
	s_waitcnt vmcnt(58) lgkmcnt(1)
	v_mul_f64 v[77:78], v[9:10], v[75:76]
	v_mul_f64 v[75:76], v[11:12], v[75:76]
	s_waitcnt vmcnt(56)
	v_fma_f64 v[33:34], v[1:2], v[27:28], -v[33:34]
	v_fma_f64 v[27:28], v[3:4], v[27:28], v[127:128]
	v_add_f64 v[15:16], v[15:16], v[81:82]
	v_add_f64 v[13:14], v[13:14], v[21:22]
	s_clause 0x4
	buffer_load_dword v22, off, s[0:3], 0 offset:780
	buffer_load_dword v81, off, s[0:3], 0 offset:792
	;; [unrolled: 1-line block ×5, first 2 shown]
	ds_read_b128 v[1:4], v70 offset:1552
	s_waitcnt vmcnt(57) lgkmcnt(1)
	v_mul_f64 v[126:127], v[5:6], v[19:20]
	v_mul_f64 v[19:20], v[7:8], v[19:20]
	s_waitcnt vmcnt(56)
	v_fma_f64 v[75:76], v[9:10], v[117:118], -v[75:76]
	v_add_f64 v[15:16], v[15:16], v[33:34]
	v_fma_f64 v[33:34], v[11:12], v[117:118], v[77:78]
	v_add_f64 v[13:14], v[13:14], v[27:28]
	s_clause 0x2
	buffer_load_dword v82, off, s[0:3], 0 offset:796
	buffer_load_dword v28, off, s[0:3], 0 offset:772
	;; [unrolled: 1-line block ×3, first 2 shown]
	ds_read_b128 v[9:12], v70 offset:1568
	s_waitcnt vmcnt(58) lgkmcnt(1)
	v_mul_f64 v[77:78], v[1:2], v[37:38]
	v_mul_f64 v[37:38], v[3:4], v[37:38]
	s_waitcnt vmcnt(56)
	v_fma_f64 v[19:20], v[5:6], v[25:26], -v[19:20]
	v_fma_f64 v[25:26], v[7:8], v[25:26], v[126:127]
	v_add_f64 v[15:16], v[15:16], v[75:76]
	v_add_f64 v[13:14], v[13:14], v[33:34]
	s_clause 0x4
	buffer_load_dword v34, off, s[0:3], 0 offset:812
	buffer_load_dword v75, off, s[0:3], 0 offset:824
	;; [unrolled: 1-line block ×5, first 2 shown]
	ds_read_b128 v[5:8], v70 offset:1584
	s_waitcnt vmcnt(57) lgkmcnt(1)
	v_mul_f64 v[127:128], v[9:10], v[23:24]
	v_mul_f64 v[23:24], v[11:12], v[23:24]
	s_waitcnt vmcnt(56)
	v_fma_f64 v[37:38], v[1:2], v[83:84], -v[37:38]
	v_add_f64 v[15:16], v[15:16], v[19:20]
	v_fma_f64 v[19:20], v[3:4], v[83:84], v[77:78]
	v_add_f64 v[13:14], v[13:14], v[25:26]
	s_clause 0x2
	buffer_load_dword v76, off, s[0:3], 0 offset:828
	buffer_load_dword v26, off, s[0:3], 0 offset:804
	buffer_load_dword v25, off, s[0:3], 0 offset:800
	s_waitcnt vmcnt(58) lgkmcnt(0)
	v_mul_f64 v[77:78], v[5:6], v[45:46]
	v_mul_f64 v[45:46], v[7:8], v[45:46]
	ds_read_b128 v[1:4], v70 offset:1600
	s_waitcnt vmcnt(56)
	v_fma_f64 v[23:24], v[9:10], v[31:32], -v[23:24]
	v_fma_f64 v[31:32], v[11:12], v[31:32], v[127:128]
	v_add_f64 v[15:16], v[15:16], v[37:38]
	v_add_f64 v[13:14], v[13:14], v[19:20]
	s_clause 0x4
	buffer_load_dword v20, off, s[0:3], 0 offset:844
	buffer_load_dword v37, off, s[0:3], 0 offset:856
	;; [unrolled: 1-line block ×5, first 2 shown]
	ds_read_b128 v[9:12], v70 offset:1616
	s_waitcnt vmcnt(57) lgkmcnt(1)
	v_mul_f64 v[127:128], v[1:2], v[29:30]
	v_mul_f64 v[29:30], v[3:4], v[29:30]
	s_waitcnt vmcnt(56)
	v_fma_f64 v[45:46], v[5:6], v[71:72], -v[45:46]
	v_add_f64 v[15:16], v[15:16], v[23:24]
	v_fma_f64 v[23:24], v[7:8], v[71:72], v[77:78]
	v_add_f64 v[13:14], v[13:14], v[31:32]
	s_clause 0x2
	buffer_load_dword v38, off, s[0:3], 0 offset:860
	buffer_load_dword v32, off, s[0:3], 0 offset:836
	;; [unrolled: 1-line block ×3, first 2 shown]
	s_waitcnt vmcnt(58) lgkmcnt(0)
	v_mul_f64 v[71:72], v[9:10], v[51:52]
	v_mul_f64 v[51:52], v[11:12], v[51:52]
	ds_read_b128 v[5:8], v70 offset:1632
	s_waitcnt vmcnt(56)
	v_fma_f64 v[29:30], v[1:2], v[41:42], -v[29:30]
	v_fma_f64 v[41:42], v[3:4], v[41:42], v[127:128]
	v_add_f64 v[15:16], v[15:16], v[45:46]
	v_add_f64 v[13:14], v[13:14], v[23:24]
	s_clause 0x4
	buffer_load_dword v24, off, s[0:3], 0 offset:876
	buffer_load_dword v45, off, s[0:3], 0 offset:888
	buffer_load_dword v77, off, s[0:3], 0 offset:880
	buffer_load_dword v23, off, s[0:3], 0 offset:872
	buffer_load_dword v84, off, s[0:3], 0 offset:852
	ds_read_b128 v[1:4], v70 offset:1648
	s_waitcnt vmcnt(57) lgkmcnt(1)
	v_mul_f64 v[127:128], v[5:6], v[35:36]
	v_mul_f64 v[35:36], v[7:8], v[35:36]
	s_waitcnt vmcnt(56)
	v_fma_f64 v[51:52], v[9:10], v[53:54], -v[51:52]
	v_add_f64 v[15:16], v[15:16], v[29:30]
	v_fma_f64 v[29:30], v[11:12], v[53:54], v[71:72]
	v_add_f64 v[13:14], v[13:14], v[41:42]
	s_clause 0x2
	buffer_load_dword v46, off, s[0:3], 0 offset:892
	buffer_load_dword v42, off, s[0:3], 0 offset:868
	buffer_load_dword v41, off, s[0:3], 0 offset:864
	ds_read_b128 v[9:12], v70 offset:1664
	s_waitcnt vmcnt(58) lgkmcnt(1)
	v_mul_f64 v[53:54], v[1:2], v[59:60]
	v_mul_f64 v[59:60], v[3:4], v[59:60]
	s_waitcnt vmcnt(56)
	v_fma_f64 v[35:36], v[5:6], v[39:40], -v[35:36]
	v_fma_f64 v[39:40], v[7:8], v[39:40], v[127:128]
	v_add_f64 v[15:16], v[15:16], v[51:52]
	v_add_f64 v[13:14], v[13:14], v[29:30]
	s_clause 0x4
	buffer_load_dword v30, off, s[0:3], 0 offset:908
	buffer_load_dword v51, off, s[0:3], 0 offset:920
	buffer_load_dword v71, off, s[0:3], 0 offset:912
	buffer_load_dword v29, off, s[0:3], 0 offset:904
	buffer_load_dword v78, off, s[0:3], 0 offset:884
	ds_read_b128 v[5:8], v70 offset:1680
	s_waitcnt vmcnt(57) lgkmcnt(1)
	v_mul_f64 v[127:128], v[9:10], v[43:44]
	v_mul_f64 v[43:44], v[11:12], v[43:44]
	s_waitcnt vmcnt(56)
	v_fma_f64 v[59:60], v[1:2], v[61:62], -v[59:60]
	v_add_f64 v[15:16], v[15:16], v[35:36]
	v_fma_f64 v[35:36], v[3:4], v[61:62], v[53:54]
	v_add_f64 v[13:14], v[13:14], v[39:40]
	s_clause 0x2
	buffer_load_dword v52, off, s[0:3], 0 offset:924
	buffer_load_dword v40, off, s[0:3], 0 offset:900
	buffer_load_dword v39, off, s[0:3], 0 offset:896
	ds_read_b128 v[1:4], v70 offset:1696
	s_waitcnt vmcnt(58) lgkmcnt(1)
	v_mul_f64 v[61:62], v[7:8], v[65:66]
	v_mul_f64 v[53:54], v[5:6], v[65:66]
	;; [unrolled: 28-line block ×4, first 2 shown]
	s_waitcnt vmcnt(56)
	v_fma_f64 v[57:58], v[5:6], v[63:64], -v[57:58]
	v_add_f64 v[15:16], v[15:16], v[55:56]
	v_fma_f64 v[55:56], v[7:8], v[63:64], v[127:128]
	v_add_f64 v[13:14], v[13:14], v[49:50]
	s_clause 0x4
	buffer_load_dword v50, off, s[0:3], 0 offset:1004
	buffer_load_dword v63, off, s[0:3], 0 offset:1016
	;; [unrolled: 1-line block ×5, first 2 shown]
	ds_read_b128 v[5:8], v70 offset:1776
	s_waitcnt vmcnt(57) lgkmcnt(1)
	v_mul_f64 v[127:128], v[9:10], v[21:22]
	v_mul_f64 v[21:22], v[11:12], v[21:22]
	s_waitcnt vmcnt(56)
	v_fma_f64 v[73:74], v[1:2], v[119:120], -v[73:74]
	v_fma_f64 v[53:54], v[3:4], v[119:120], v[53:54]
	v_add_f64 v[15:16], v[15:16], v[57:58]
	v_add_f64 v[13:14], v[13:14], v[55:56]
	s_clause 0x2
	buffer_load_dword v64, off, s[0:3], 0 offset:1020
	buffer_load_dword v56, off, s[0:3], 0 offset:996
	;; [unrolled: 1-line block ×3, first 2 shown]
	ds_read_b128 v[1:4], v70 offset:1792
	buffer_load_dword v80, off, s[0:3], 0 offset:1012
	s_waitcnt vmcnt(59) lgkmcnt(1)
	v_mul_f64 v[57:58], v[5:6], v[81:82]
	v_mul_f64 v[81:82], v[7:8], v[81:82]
	s_waitcnt vmcnt(57)
	v_fma_f64 v[21:22], v[9:10], v[27:28], -v[21:22]
	v_fma_f64 v[27:28], v[11:12], v[27:28], v[127:128]
	ds_read_b128 v[9:12], v70 offset:1808
	v_add_f64 v[15:16], v[15:16], v[73:74]
	v_add_f64 v[13:14], v[13:14], v[53:54]
	s_waitcnt vmcnt(53) lgkmcnt(1)
	v_mul_f64 v[53:54], v[1:2], v[33:34]
	v_mul_f64 v[33:34], v[3:4], v[33:34]
	s_waitcnt vmcnt(52)
	v_fma_f64 v[73:74], v[5:6], v[125:126], -v[81:82]
	v_add_f64 v[15:16], v[15:16], v[21:22]
	v_fma_f64 v[21:22], v[7:8], v[125:126], v[57:58]
	v_add_f64 v[13:14], v[13:14], v[27:28]
	ds_read_b128 v[5:8], v70 offset:1824
	s_waitcnt vmcnt(51) lgkmcnt(1)
	v_mul_f64 v[57:58], v[11:12], v[75:76]
	v_mul_f64 v[27:28], v[9:10], v[75:76]
	s_waitcnt vmcnt(49)
	v_fma_f64 v[33:34], v[1:2], v[25:26], -v[33:34]
	v_fma_f64 v[25:26], v[3:4], v[25:26], v[53:54]
	v_add_f64 v[15:16], v[15:16], v[73:74]
	v_add_f64 v[13:14], v[13:14], v[21:22]
	s_clause 0x3
	buffer_load_dword v21, off, s[0:3], 0 offset:192
	buffer_load_dword v22, off, s[0:3], 0 offset:196
	;; [unrolled: 1-line block ×4, first 2 shown]
	ds_read_b128 v[1:4], v70 offset:1840
	s_waitcnt vmcnt(49) lgkmcnt(1)
	v_mul_f64 v[73:74], v[5:6], v[19:20]
	v_mul_f64 v[19:20], v[7:8], v[19:20]
	s_waitcnt vmcnt(48)
	v_fma_f64 v[57:58], v[9:10], v[117:118], -v[57:58]
	v_fma_f64 v[27:28], v[11:12], v[117:118], v[27:28]
	ds_read_b128 v[9:12], v70 offset:1856
	v_add_f64 v[15:16], v[15:16], v[33:34]
	v_add_f64 v[13:14], v[13:14], v[25:26]
	s_waitcnt vmcnt(47) lgkmcnt(1)
	v_mul_f64 v[33:34], v[3:4], v[37:38]
	v_mul_f64 v[25:26], v[1:2], v[37:38]
	s_waitcnt vmcnt(45)
	v_fma_f64 v[19:20], v[5:6], v[31:32], -v[19:20]
	v_fma_f64 v[31:32], v[7:8], v[31:32], v[73:74]
	ds_read_b128 v[5:8], v70 offset:1872
	v_add_f64 v[15:16], v[15:16], v[57:58]
	v_add_f64 v[13:14], v[13:14], v[27:28]
	s_waitcnt vmcnt(41) lgkmcnt(1)
	v_mul_f64 v[27:28], v[9:10], v[23:24]
	v_mul_f64 v[23:24], v[11:12], v[23:24]
	s_waitcnt vmcnt(40)
	v_fma_f64 v[33:34], v[1:2], v[83:84], -v[33:34]
	v_add_f64 v[15:16], v[15:16], v[19:20]
	v_fma_f64 v[19:20], v[3:4], v[83:84], v[25:26]
	v_add_f64 v[13:14], v[13:14], v[31:32]
	ds_read_b128 v[1:4], v70 offset:1888
	s_waitcnt vmcnt(39) lgkmcnt(1)
	v_mul_f64 v[31:32], v[7:8], v[45:46]
	v_mul_f64 v[25:26], v[5:6], v[45:46]
	s_waitcnt vmcnt(37)
	v_fma_f64 v[23:24], v[9:10], v[41:42], -v[23:24]
	v_fma_f64 v[27:28], v[11:12], v[41:42], v[27:28]
	ds_read_b128 v[9:12], v70 offset:1904
	v_add_f64 v[15:16], v[15:16], v[33:34]
	v_add_f64 v[13:14], v[13:14], v[19:20]
	s_waitcnt vmcnt(33) lgkmcnt(1)
	v_mul_f64 v[19:20], v[1:2], v[29:30]
	v_mul_f64 v[29:30], v[3:4], v[29:30]
	s_waitcnt vmcnt(32)
	v_fma_f64 v[31:32], v[5:6], v[77:78], -v[31:32]
	v_add_f64 v[15:16], v[15:16], v[23:24]
	v_fma_f64 v[23:24], v[7:8], v[77:78], v[25:26]
	v_add_f64 v[13:14], v[13:14], v[27:28]
	ds_read_b128 v[5:8], v70 offset:1920
	s_waitcnt vmcnt(31) lgkmcnt(1)
	v_mul_f64 v[27:28], v[11:12], v[51:52]
	v_mul_f64 v[25:26], v[9:10], v[51:52]
	s_waitcnt vmcnt(29)
	v_fma_f64 v[29:30], v[1:2], v[39:40], -v[29:30]
	v_fma_f64 v[19:20], v[3:4], v[39:40], v[19:20]
	ds_read_b128 v[1:4], v70 offset:1936
	v_add_f64 v[15:16], v[15:16], v[31:32]
	v_add_f64 v[13:14], v[13:14], v[23:24]
	s_waitcnt vmcnt(25) lgkmcnt(1)
	v_mul_f64 v[31:32], v[7:8], v[35:36]
	s_waitcnt vmcnt(24)
	v_fma_f64 v[27:28], v[9:10], v[71:72], -v[27:28]
	v_mul_f64 v[23:24], v[5:6], v[35:36]
	v_fma_f64 v[25:26], v[11:12], v[71:72], v[25:26]
	ds_read_b128 v[9:12], v70 offset:1952
	v_add_f64 v[15:16], v[15:16], v[29:30]
	v_add_f64 v[13:14], v[13:14], v[19:20]
	s_waitcnt vmcnt(23) lgkmcnt(1)
	v_mul_f64 v[29:30], v[3:4], v[59:60]
	v_mul_f64 v[19:20], v[1:2], v[59:60]
	s_waitcnt vmcnt(21)
	v_fma_f64 v[31:32], v[5:6], v[47:48], -v[31:32]
	v_fma_f64 v[23:24], v[7:8], v[47:48], v[23:24]
	ds_read_b128 v[5:8], v70 offset:1968
	v_add_f64 v[15:16], v[15:16], v[27:28]
	v_add_f64 v[13:14], v[13:14], v[25:26]
	s_waitcnt vmcnt(17) lgkmcnt(1)
	v_mul_f64 v[27:28], v[11:12], v[43:44]
	s_waitcnt vmcnt(16)
	v_fma_f64 v[29:30], v[1:2], v[65:66], -v[29:30]
	v_mul_f64 v[25:26], v[9:10], v[43:44]
	v_fma_f64 v[19:20], v[3:4], v[65:66], v[19:20]
	ds_read_b128 v[1:4], v70 offset:1984
	v_add_f64 v[15:16], v[15:16], v[31:32]
	v_add_f64 v[13:14], v[13:14], v[23:24]
	s_waitcnt vmcnt(15) lgkmcnt(1)
	v_mul_f64 v[31:32], v[7:8], v[61:62]
	v_mul_f64 v[23:24], v[5:6], v[61:62]
	s_waitcnt vmcnt(13)
	v_fma_f64 v[27:28], v[9:10], v[17:18], -v[27:28]
	v_fma_f64 v[17:18], v[11:12], v[17:18], v[25:26]
	ds_read_b128 v[9:12], v70 offset:2000
	v_add_f64 v[15:16], v[15:16], v[29:30]
	v_add_f64 v[13:14], v[13:14], v[19:20]
	s_waitcnt vmcnt(9) lgkmcnt(1)
	v_mul_f64 v[25:26], v[3:4], v[49:50]
	s_waitcnt vmcnt(8)
	v_fma_f64 v[5:6], v[5:6], v[67:68], -v[31:32]
	v_mul_f64 v[19:20], v[1:2], v[49:50]
	v_fma_f64 v[7:8], v[7:8], v[67:68], v[23:24]
	v_add_f64 v[15:16], v[15:16], v[27:28]
	v_add_f64 v[13:14], v[13:14], v[17:18]
	s_waitcnt vmcnt(7) lgkmcnt(0)
	v_mul_f64 v[23:24], v[11:12], v[63:64]
	v_mul_f64 v[17:18], v[9:10], v[63:64]
	s_waitcnt vmcnt(5)
	v_fma_f64 v[1:2], v[1:2], v[55:56], -v[25:26]
	v_fma_f64 v[3:4], v[3:4], v[55:56], v[19:20]
	v_add_f64 v[5:6], v[15:16], v[5:6]
	v_add_f64 v[7:8], v[13:14], v[7:8]
	s_waitcnt vmcnt(4)
	v_fma_f64 v[9:10], v[9:10], v[79:80], -v[23:24]
	v_add_f64 v[1:2], v[5:6], v[1:2]
	v_fma_f64 v[5:6], v[11:12], v[79:80], v[17:18]
	v_add_f64 v[3:4], v[7:8], v[3:4]
	v_add_f64 v[1:2], v[1:2], v[9:10]
	;; [unrolled: 1-line block ×3, first 2 shown]
	s_waitcnt vmcnt(2)
	v_add_f64 v[1:2], v[21:22], -v[1:2]
	s_waitcnt vmcnt(0)
	v_add_f64 v[3:4], v[53:54], -v[3:4]
	buffer_store_dword v2, off, s[0:3], 0 offset:196
	buffer_store_dword v1, off, s[0:3], 0 offset:192
	buffer_store_dword v4, off, s[0:3], 0 offset:204
	buffer_store_dword v3, off, s[0:3], 0 offset:200
	v_cmpx_lt_u32_e32 10, v0
	s_cbranch_execz .LBB62_383
; %bb.382:
	v_mov_b32_e32 v4, s69
	s_clause 0x3
	buffer_load_dword v1, v4, s[0:3], 0 offen
	buffer_load_dword v2, v4, s[0:3], 0 offen offset:4
	buffer_load_dword v3, v4, s[0:3], 0 offen offset:8
	;; [unrolled: 1-line block ×3, first 2 shown]
	buffer_store_dword v70, off, s[0:3], 0 offset:176
	buffer_store_dword v70, off, s[0:3], 0 offset:180
	;; [unrolled: 1-line block ×4, first 2 shown]
	s_waitcnt vmcnt(0)
	ds_write_b128 v69, v[1:4]
.LBB62_383:
	s_or_b32 exec_lo, exec_lo, s4
	s_waitcnt lgkmcnt(0)
	s_waitcnt_vscnt null, 0x0
	s_barrier
	buffer_gl0_inv
	s_clause 0x37
	buffer_load_dword v17, off, s[0:3], 0 offset:200
	buffer_load_dword v18, off, s[0:3], 0 offset:204
	;; [unrolled: 1-line block ×56, first 2 shown]
	ds_read_b128 v[5:8], v70 offset:1184
	s_clause 0x2
	buffer_load_dword v66, off, s[0:3], 0 offset:428
	buffer_load_dword v68, off, s[0:3], 0 offset:404
	;; [unrolled: 1-line block ×3, first 2 shown]
	ds_read_b128 v[1:4], v70 offset:1200
	s_clause 0x4
	buffer_load_dword v78, off, s[0:3], 0 offset:444
	buffer_load_dword v79, off, s[0:3], 0 offset:456
	;; [unrolled: 1-line block ×5, first 2 shown]
	ds_read_b128 v[71:74], v70 offset:1216
	s_mov_b32 s4, exec_lo
	s_waitcnt vmcnt(62) lgkmcnt(2)
	v_mul_f64 v[75:76], v[7:8], v[17:18]
	v_mul_f64 v[17:18], v[5:6], v[17:18]
	s_waitcnt vmcnt(60) lgkmcnt(1)
	v_mul_f64 v[82:83], v[3:4], v[13:14]
	v_mul_f64 v[13:14], v[1:2], v[13:14]
	;; [unrolled: 3-line block ×3, first 2 shown]
	v_fma_f64 v[75:76], v[5:6], v[15:16], -v[75:76]
	v_fma_f64 v[15:16], v[7:8], v[15:16], v[17:18]
	s_clause 0x2
	buffer_load_dword v80, off, s[0:3], 0 offset:460
	buffer_load_dword v18, off, s[0:3], 0 offset:436
	buffer_load_dword v17, off, s[0:3], 0 offset:432
	s_waitcnt vmcnt(57)
	v_fma_f64 v[83:84], v[1:2], v[9:10], -v[82:83]
	ds_read_b128 v[5:8], v70 offset:1232
	v_fma_f64 v[9:10], v[3:4], v[9:10], v[13:14]
	s_waitcnt vmcnt(51)
	v_fma_f64 v[71:72], v[71:72], v[33:34], -v[11:12]
	v_fma_f64 v[33:34], v[73:74], v[33:34], v[117:118]
	v_add_f64 v[75:76], v[75:76], 0
	v_add_f64 v[13:14], v[15:16], 0
	s_clause 0x4
	buffer_load_dword v16, off, s[0:3], 0 offset:476
	buffer_load_dword v119, off, s[0:3], 0 offset:488
	;; [unrolled: 1-line block ×5, first 2 shown]
	s_waitcnt lgkmcnt(0)
	v_mul_f64 v[126:127], v[5:6], v[21:22]
	v_mul_f64 v[21:22], v[7:8], v[21:22]
	ds_read_b128 v[1:4], v70 offset:1248
	s_clause 0x2
	buffer_load_dword v120, off, s[0:3], 0 offset:492
	buffer_load_dword v74, off, s[0:3], 0 offset:468
	;; [unrolled: 1-line block ×3, first 2 shown]
	v_add_f64 v[75:76], v[75:76], v[83:84]
	v_add_f64 v[13:14], v[13:14], v[9:10]
	ds_read_b128 v[9:12], v70 offset:1264
	s_waitcnt vmcnt(58) lgkmcnt(1)
	v_mul_f64 v[83:84], v[1:2], v[25:26]
	v_mul_f64 v[25:26], v[3:4], v[25:26]
	s_waitcnt vmcnt(56)
	v_fma_f64 v[21:22], v[5:6], v[27:28], -v[21:22]
	v_fma_f64 v[27:28], v[7:8], v[27:28], v[126:127]
	s_waitcnt vmcnt(52) lgkmcnt(0)
	v_mul_f64 v[127:128], v[9:10], v[29:30]
	v_add_f64 v[71:72], v[75:76], v[71:72]
	v_add_f64 v[13:14], v[13:14], v[33:34]
	s_clause 0x4
	buffer_load_dword v34, off, s[0:3], 0 offset:508
	buffer_load_dword v75, off, s[0:3], 0 offset:520
	;; [unrolled: 1-line block ×5, first 2 shown]
	v_mul_f64 v[29:30], v[11:12], v[29:30]
	s_waitcnt vmcnt(56)
	v_fma_f64 v[25:26], v[1:2], v[19:20], -v[25:26]
	ds_read_b128 v[5:8], v70 offset:1280
	v_fma_f64 v[19:20], v[3:4], v[19:20], v[83:84]
	v_add_f64 v[21:22], v[71:72], v[21:22]
	v_add_f64 v[13:14], v[13:14], v[27:28]
	s_clause 0x2
	buffer_load_dword v76, off, s[0:3], 0 offset:524
	buffer_load_dword v28, off, s[0:3], 0 offset:500
	;; [unrolled: 1-line block ×3, first 2 shown]
	s_waitcnt vmcnt(58) lgkmcnt(0)
	v_mul_f64 v[71:72], v[5:6], v[35:36]
	v_mul_f64 v[35:36], v[7:8], v[35:36]
	s_waitcnt vmcnt(56)
	v_fma_f64 v[29:30], v[9:10], v[37:38], -v[29:30]
	ds_read_b128 v[1:4], v70 offset:1296
	v_add_f64 v[21:22], v[21:22], v[25:26]
	v_fma_f64 v[25:26], v[11:12], v[37:38], v[127:128]
	v_add_f64 v[13:14], v[13:14], v[19:20]
	s_clause 0x4
	buffer_load_dword v20, off, s[0:3], 0 offset:540
	buffer_load_dword v37, off, s[0:3], 0 offset:552
	;; [unrolled: 1-line block ×5, first 2 shown]
	s_waitcnt vmcnt(57) lgkmcnt(0)
	v_mul_f64 v[127:128], v[1:2], v[39:40]
	v_mul_f64 v[39:40], v[3:4], v[39:40]
	s_waitcnt vmcnt(56)
	v_fma_f64 v[35:36], v[5:6], v[23:24], -v[35:36]
	ds_read_b128 v[9:12], v70 offset:1312
	v_fma_f64 v[23:24], v[7:8], v[23:24], v[71:72]
	v_add_f64 v[21:22], v[21:22], v[29:30]
	v_add_f64 v[13:14], v[13:14], v[25:26]
	s_clause 0x2
	buffer_load_dword v38, off, s[0:3], 0 offset:556
	buffer_load_dword v26, off, s[0:3], 0 offset:532
	;; [unrolled: 1-line block ×3, first 2 shown]
	ds_read_b128 v[5:8], v70 offset:1328
	s_waitcnt vmcnt(58) lgkmcnt(1)
	v_mul_f64 v[29:30], v[9:10], v[43:44]
	v_mul_f64 v[43:44], v[11:12], v[43:44]
	s_waitcnt vmcnt(56)
	v_fma_f64 v[39:40], v[1:2], v[45:46], -v[39:40]
	v_add_f64 v[21:22], v[21:22], v[35:36]
	v_fma_f64 v[35:36], v[3:4], v[45:46], v[127:128]
	v_add_f64 v[13:14], v[13:14], v[23:24]
	s_clause 0x4
	buffer_load_dword v24, off, s[0:3], 0 offset:572
	buffer_load_dword v45, off, s[0:3], 0 offset:584
	;; [unrolled: 1-line block ×5, first 2 shown]
	s_waitcnt vmcnt(57) lgkmcnt(0)
	v_mul_f64 v[127:128], v[5:6], v[47:48]
	v_mul_f64 v[47:48], v[7:8], v[47:48]
	s_waitcnt vmcnt(56)
	v_fma_f64 v[43:44], v[9:10], v[31:32], -v[43:44]
	ds_read_b128 v[1:4], v70 offset:1344
	v_fma_f64 v[29:30], v[11:12], v[31:32], v[29:30]
	s_clause 0x2
	buffer_load_dword v46, off, s[0:3], 0 offset:588
	buffer_load_dword v32, off, s[0:3], 0 offset:564
	;; [unrolled: 1-line block ×3, first 2 shown]
	ds_read_b128 v[9:12], v70 offset:1360
	v_add_f64 v[21:22], v[21:22], v[39:40]
	v_add_f64 v[13:14], v[13:14], v[35:36]
	s_waitcnt vmcnt(58) lgkmcnt(1)
	v_mul_f64 v[39:40], v[3:4], v[51:52]
	s_waitcnt vmcnt(56)
	v_fma_f64 v[47:48], v[5:6], v[53:54], -v[47:48]
	v_mul_f64 v[35:36], v[1:2], v[51:52]
	v_add_f64 v[21:22], v[21:22], v[43:44]
	v_fma_f64 v[43:44], v[7:8], v[53:54], v[127:128]
	v_add_f64 v[13:14], v[13:14], v[29:30]
	s_clause 0x4
	buffer_load_dword v30, off, s[0:3], 0 offset:604
	buffer_load_dword v51, off, s[0:3], 0 offset:616
	;; [unrolled: 1-line block ×5, first 2 shown]
	s_waitcnt vmcnt(57) lgkmcnt(0)
	v_mul_f64 v[127:128], v[9:10], v[55:56]
	v_mul_f64 v[54:55], v[11:12], v[55:56]
	s_waitcnt vmcnt(56)
	v_fma_f64 v[39:40], v[1:2], v[41:42], -v[39:40]
	ds_read_b128 v[5:8], v70 offset:1376
	v_fma_f64 v[35:36], v[3:4], v[41:42], v[35:36]
	s_clause 0x2
	buffer_load_dword v52, off, s[0:3], 0 offset:620
	buffer_load_dword v42, off, s[0:3], 0 offset:596
	;; [unrolled: 1-line block ×3, first 2 shown]
	ds_read_b128 v[1:4], v70 offset:1392
	v_add_f64 v[21:22], v[21:22], v[47:48]
	v_add_f64 v[13:14], v[13:14], v[43:44]
	s_waitcnt vmcnt(58) lgkmcnt(1)
	v_mul_f64 v[47:48], v[7:8], v[59:60]
	s_waitcnt vmcnt(56)
	v_fma_f64 v[55:56], v[9:10], v[61:62], -v[54:55]
	v_mul_f64 v[43:44], v[5:6], v[59:60]
	v_add_f64 v[21:22], v[21:22], v[39:40]
	v_fma_f64 v[39:40], v[11:12], v[61:62], v[127:128]
	v_add_f64 v[13:14], v[13:14], v[35:36]
	s_clause 0x4
	buffer_load_dword v36, off, s[0:3], 0 offset:636
	buffer_load_dword v59, off, s[0:3], 0 offset:648
	;; [unrolled: 1-line block ×5, first 2 shown]
	s_waitcnt vmcnt(57) lgkmcnt(0)
	v_mul_f64 v[127:128], v[1:2], v[63:64]
	v_mul_f64 v[62:63], v[3:4], v[63:64]
	s_waitcnt vmcnt(56)
	v_fma_f64 v[47:48], v[5:6], v[49:50], -v[47:48]
	ds_read_b128 v[9:12], v70 offset:1408
	v_fma_f64 v[43:44], v[7:8], v[49:50], v[43:44]
	v_add_f64 v[21:22], v[21:22], v[55:56]
	v_add_f64 v[13:14], v[13:14], v[39:40]
	s_clause 0x2
	buffer_load_dword v60, off, s[0:3], 0 offset:652
	buffer_load_dword v40, off, s[0:3], 0 offset:628
	;; [unrolled: 1-line block ×3, first 2 shown]
	ds_read_b128 v[5:8], v70 offset:1424
	s_waitcnt vmcnt(58) lgkmcnt(1)
	v_mul_f64 v[55:56], v[11:12], v[65:66]
	s_waitcnt vmcnt(56)
	v_fma_f64 v[63:64], v[1:2], v[67:68], -v[62:63]
	v_mul_f64 v[49:50], v[9:10], v[65:66]
	v_add_f64 v[21:22], v[21:22], v[47:48]
	v_fma_f64 v[47:48], v[3:4], v[67:68], v[127:128]
	v_add_f64 v[13:14], v[13:14], v[43:44]
	s_clause 0x4
	buffer_load_dword v44, off, s[0:3], 0 offset:668
	buffer_load_dword v65, off, s[0:3], 0 offset:680
	;; [unrolled: 1-line block ×5, first 2 shown]
	s_waitcnt vmcnt(57) lgkmcnt(0)
	v_mul_f64 v[127:128], v[5:6], v[77:78]
	v_mul_f64 v[77:78], v[7:8], v[77:78]
	s_waitcnt vmcnt(56)
	v_fma_f64 v[55:56], v[9:10], v[57:58], -v[55:56]
	ds_read_b128 v[1:4], v70 offset:1440
	v_fma_f64 v[49:50], v[11:12], v[57:58], v[49:50]
	v_add_f64 v[21:22], v[21:22], v[63:64]
	v_add_f64 v[13:14], v[13:14], v[47:48]
	s_clause 0x2
	buffer_load_dword v66, off, s[0:3], 0 offset:684
	buffer_load_dword v48, off, s[0:3], 0 offset:660
	;; [unrolled: 1-line block ×3, first 2 shown]
	ds_read_b128 v[9:12], v70 offset:1456
	s_waitcnt vmcnt(58) lgkmcnt(1)
	v_mul_f64 v[63:64], v[3:4], v[79:80]
	v_mul_f64 v[57:58], v[1:2], v[79:80]
	s_waitcnt vmcnt(56)
	v_fma_f64 v[77:78], v[5:6], v[17:18], -v[77:78]
	v_fma_f64 v[17:18], v[7:8], v[17:18], v[127:128]
	v_add_f64 v[21:22], v[21:22], v[55:56]
	v_add_f64 v[13:14], v[13:14], v[49:50]
	s_clause 0x4
	buffer_load_dword v50, off, s[0:3], 0 offset:700
	buffer_load_dword v55, off, s[0:3], 0 offset:712
	;; [unrolled: 1-line block ×5, first 2 shown]
	ds_read_b128 v[5:8], v70 offset:1472
	s_waitcnt vmcnt(57) lgkmcnt(1)
	v_mul_f64 v[127:128], v[9:10], v[15:16]
	v_mul_f64 v[15:16], v[11:12], v[15:16]
	s_waitcnt vmcnt(56)
	v_fma_f64 v[63:64], v[1:2], v[81:82], -v[63:64]
	v_fma_f64 v[57:58], v[3:4], v[81:82], v[57:58]
	v_add_f64 v[21:22], v[21:22], v[77:78]
	v_add_f64 v[13:14], v[13:14], v[17:18]
	s_clause 0x2
	buffer_load_dword v56, off, s[0:3], 0 offset:716
	buffer_load_dword v18, off, s[0:3], 0 offset:692
	buffer_load_dword v17, off, s[0:3], 0 offset:688
	s_waitcnt vmcnt(58) lgkmcnt(0)
	v_mul_f64 v[81:82], v[7:8], v[119:120]
	ds_read_b128 v[1:4], v70 offset:1488
	v_mul_f64 v[77:78], v[5:6], v[119:120]
	s_waitcnt vmcnt(56)
	v_fma_f64 v[15:16], v[9:10], v[73:74], -v[15:16]
	v_add_f64 v[21:22], v[21:22], v[63:64]
	v_fma_f64 v[63:64], v[11:12], v[73:74], v[127:128]
	v_add_f64 v[13:14], v[13:14], v[57:58]
	s_clause 0x4
	buffer_load_dword v58, off, s[0:3], 0 offset:732
	buffer_load_dword v73, off, s[0:3], 0 offset:744
	;; [unrolled: 1-line block ×5, first 2 shown]
	ds_read_b128 v[9:12], v70 offset:1504
	s_waitcnt vmcnt(57) lgkmcnt(1)
	v_mul_f64 v[127:128], v[1:2], v[33:34]
	v_mul_f64 v[33:34], v[3:4], v[33:34]
	s_waitcnt vmcnt(56)
	v_fma_f64 v[81:82], v[5:6], v[125:126], -v[81:82]
	v_add_f64 v[15:16], v[21:22], v[15:16]
	v_fma_f64 v[21:22], v[7:8], v[125:126], v[77:78]
	v_add_f64 v[13:14], v[13:14], v[63:64]
	s_clause 0x2
	buffer_load_dword v74, off, s[0:3], 0 offset:748
	buffer_load_dword v64, off, s[0:3], 0 offset:724
	;; [unrolled: 1-line block ×3, first 2 shown]
	ds_read_b128 v[5:8], v70 offset:1520
	s_waitcnt vmcnt(58) lgkmcnt(1)
	v_mul_f64 v[77:78], v[9:10], v[75:76]
	v_mul_f64 v[75:76], v[11:12], v[75:76]
	s_waitcnt vmcnt(56)
	v_fma_f64 v[33:34], v[1:2], v[27:28], -v[33:34]
	v_fma_f64 v[27:28], v[3:4], v[27:28], v[127:128]
	v_add_f64 v[15:16], v[15:16], v[81:82]
	v_add_f64 v[13:14], v[13:14], v[21:22]
	s_clause 0x4
	buffer_load_dword v22, off, s[0:3], 0 offset:764
	buffer_load_dword v81, off, s[0:3], 0 offset:776
	;; [unrolled: 1-line block ×5, first 2 shown]
	ds_read_b128 v[1:4], v70 offset:1536
	s_waitcnt vmcnt(57) lgkmcnt(1)
	v_mul_f64 v[126:127], v[5:6], v[19:20]
	v_mul_f64 v[19:20], v[7:8], v[19:20]
	s_waitcnt vmcnt(56)
	v_fma_f64 v[75:76], v[9:10], v[117:118], -v[75:76]
	v_add_f64 v[15:16], v[15:16], v[33:34]
	v_fma_f64 v[33:34], v[11:12], v[117:118], v[77:78]
	v_add_f64 v[13:14], v[13:14], v[27:28]
	s_clause 0x2
	buffer_load_dword v82, off, s[0:3], 0 offset:780
	buffer_load_dword v28, off, s[0:3], 0 offset:756
	;; [unrolled: 1-line block ×3, first 2 shown]
	ds_read_b128 v[9:12], v70 offset:1552
	s_waitcnt vmcnt(58) lgkmcnt(1)
	v_mul_f64 v[77:78], v[1:2], v[37:38]
	v_mul_f64 v[37:38], v[3:4], v[37:38]
	s_waitcnt vmcnt(56)
	v_fma_f64 v[19:20], v[5:6], v[25:26], -v[19:20]
	v_fma_f64 v[25:26], v[7:8], v[25:26], v[126:127]
	v_add_f64 v[15:16], v[15:16], v[75:76]
	v_add_f64 v[13:14], v[13:14], v[33:34]
	s_clause 0x4
	buffer_load_dword v34, off, s[0:3], 0 offset:796
	buffer_load_dword v75, off, s[0:3], 0 offset:808
	;; [unrolled: 1-line block ×5, first 2 shown]
	ds_read_b128 v[5:8], v70 offset:1568
	s_waitcnt vmcnt(57) lgkmcnt(1)
	v_mul_f64 v[127:128], v[9:10], v[23:24]
	v_mul_f64 v[23:24], v[11:12], v[23:24]
	s_waitcnt vmcnt(56)
	v_fma_f64 v[37:38], v[1:2], v[83:84], -v[37:38]
	v_add_f64 v[15:16], v[15:16], v[19:20]
	v_fma_f64 v[19:20], v[3:4], v[83:84], v[77:78]
	v_add_f64 v[13:14], v[13:14], v[25:26]
	s_clause 0x2
	buffer_load_dword v76, off, s[0:3], 0 offset:812
	buffer_load_dword v26, off, s[0:3], 0 offset:788
	;; [unrolled: 1-line block ×3, first 2 shown]
	s_waitcnt vmcnt(58) lgkmcnt(0)
	v_mul_f64 v[77:78], v[5:6], v[45:46]
	v_mul_f64 v[45:46], v[7:8], v[45:46]
	ds_read_b128 v[1:4], v70 offset:1584
	s_waitcnt vmcnt(56)
	v_fma_f64 v[23:24], v[9:10], v[31:32], -v[23:24]
	v_fma_f64 v[31:32], v[11:12], v[31:32], v[127:128]
	v_add_f64 v[15:16], v[15:16], v[37:38]
	v_add_f64 v[13:14], v[13:14], v[19:20]
	s_clause 0x4
	buffer_load_dword v20, off, s[0:3], 0 offset:828
	buffer_load_dword v37, off, s[0:3], 0 offset:840
	;; [unrolled: 1-line block ×5, first 2 shown]
	ds_read_b128 v[9:12], v70 offset:1600
	s_waitcnt vmcnt(57) lgkmcnt(1)
	v_mul_f64 v[127:128], v[1:2], v[29:30]
	v_mul_f64 v[29:30], v[3:4], v[29:30]
	s_waitcnt vmcnt(56)
	v_fma_f64 v[45:46], v[5:6], v[71:72], -v[45:46]
	v_add_f64 v[15:16], v[15:16], v[23:24]
	v_fma_f64 v[23:24], v[7:8], v[71:72], v[77:78]
	v_add_f64 v[13:14], v[13:14], v[31:32]
	s_clause 0x2
	buffer_load_dword v38, off, s[0:3], 0 offset:844
	buffer_load_dword v32, off, s[0:3], 0 offset:820
	;; [unrolled: 1-line block ×3, first 2 shown]
	s_waitcnt vmcnt(58) lgkmcnt(0)
	v_mul_f64 v[71:72], v[9:10], v[51:52]
	v_mul_f64 v[51:52], v[11:12], v[51:52]
	ds_read_b128 v[5:8], v70 offset:1616
	s_waitcnt vmcnt(56)
	v_fma_f64 v[29:30], v[1:2], v[41:42], -v[29:30]
	v_fma_f64 v[41:42], v[3:4], v[41:42], v[127:128]
	v_add_f64 v[15:16], v[15:16], v[45:46]
	v_add_f64 v[13:14], v[13:14], v[23:24]
	s_clause 0x4
	buffer_load_dword v24, off, s[0:3], 0 offset:860
	buffer_load_dword v45, off, s[0:3], 0 offset:872
	buffer_load_dword v77, off, s[0:3], 0 offset:864
	buffer_load_dword v23, off, s[0:3], 0 offset:856
	buffer_load_dword v84, off, s[0:3], 0 offset:836
	ds_read_b128 v[1:4], v70 offset:1632
	s_waitcnt vmcnt(57) lgkmcnt(1)
	v_mul_f64 v[127:128], v[5:6], v[35:36]
	v_mul_f64 v[35:36], v[7:8], v[35:36]
	s_waitcnt vmcnt(56)
	v_fma_f64 v[51:52], v[9:10], v[53:54], -v[51:52]
	v_add_f64 v[15:16], v[15:16], v[29:30]
	v_fma_f64 v[29:30], v[11:12], v[53:54], v[71:72]
	v_add_f64 v[13:14], v[13:14], v[41:42]
	s_clause 0x2
	buffer_load_dword v46, off, s[0:3], 0 offset:876
	buffer_load_dword v42, off, s[0:3], 0 offset:852
	buffer_load_dword v41, off, s[0:3], 0 offset:848
	ds_read_b128 v[9:12], v70 offset:1648
	s_waitcnt vmcnt(58) lgkmcnt(1)
	v_mul_f64 v[53:54], v[1:2], v[59:60]
	v_mul_f64 v[59:60], v[3:4], v[59:60]
	s_waitcnt vmcnt(56)
	v_fma_f64 v[35:36], v[5:6], v[39:40], -v[35:36]
	v_fma_f64 v[39:40], v[7:8], v[39:40], v[127:128]
	v_add_f64 v[15:16], v[15:16], v[51:52]
	v_add_f64 v[13:14], v[13:14], v[29:30]
	s_clause 0x4
	buffer_load_dword v30, off, s[0:3], 0 offset:892
	buffer_load_dword v51, off, s[0:3], 0 offset:904
	buffer_load_dword v71, off, s[0:3], 0 offset:896
	buffer_load_dword v29, off, s[0:3], 0 offset:888
	buffer_load_dword v78, off, s[0:3], 0 offset:868
	ds_read_b128 v[5:8], v70 offset:1664
	s_waitcnt vmcnt(57) lgkmcnt(1)
	v_mul_f64 v[127:128], v[9:10], v[43:44]
	v_mul_f64 v[43:44], v[11:12], v[43:44]
	s_waitcnt vmcnt(56)
	v_fma_f64 v[59:60], v[1:2], v[61:62], -v[59:60]
	v_add_f64 v[15:16], v[15:16], v[35:36]
	v_fma_f64 v[35:36], v[3:4], v[61:62], v[53:54]
	v_add_f64 v[13:14], v[13:14], v[39:40]
	s_clause 0x2
	buffer_load_dword v52, off, s[0:3], 0 offset:908
	buffer_load_dword v40, off, s[0:3], 0 offset:884
	buffer_load_dword v39, off, s[0:3], 0 offset:880
	ds_read_b128 v[1:4], v70 offset:1680
	s_waitcnt vmcnt(58) lgkmcnt(1)
	v_mul_f64 v[61:62], v[7:8], v[65:66]
	v_mul_f64 v[53:54], v[5:6], v[65:66]
	;; [unrolled: 28-line block ×4, first 2 shown]
	s_waitcnt vmcnt(56)
	v_fma_f64 v[57:58], v[5:6], v[63:64], -v[57:58]
	v_add_f64 v[15:16], v[15:16], v[55:56]
	v_fma_f64 v[55:56], v[7:8], v[63:64], v[127:128]
	v_add_f64 v[13:14], v[13:14], v[49:50]
	s_clause 0x4
	buffer_load_dword v50, off, s[0:3], 0 offset:988
	buffer_load_dword v63, off, s[0:3], 0 offset:1000
	;; [unrolled: 1-line block ×5, first 2 shown]
	ds_read_b128 v[5:8], v70 offset:1760
	s_waitcnt vmcnt(57) lgkmcnt(1)
	v_mul_f64 v[127:128], v[9:10], v[21:22]
	v_mul_f64 v[21:22], v[11:12], v[21:22]
	s_waitcnt vmcnt(56)
	v_fma_f64 v[73:74], v[1:2], v[119:120], -v[73:74]
	v_fma_f64 v[53:54], v[3:4], v[119:120], v[53:54]
	v_add_f64 v[15:16], v[15:16], v[57:58]
	v_add_f64 v[13:14], v[13:14], v[55:56]
	s_clause 0x2
	buffer_load_dword v64, off, s[0:3], 0 offset:1004
	buffer_load_dword v56, off, s[0:3], 0 offset:980
	;; [unrolled: 1-line block ×3, first 2 shown]
	ds_read_b128 v[1:4], v70 offset:1776
	s_waitcnt vmcnt(58) lgkmcnt(1)
	v_mul_f64 v[57:58], v[5:6], v[81:82]
	v_mul_f64 v[81:82], v[7:8], v[81:82]
	s_waitcnt vmcnt(56)
	v_fma_f64 v[21:22], v[9:10], v[27:28], -v[21:22]
	v_fma_f64 v[27:28], v[11:12], v[27:28], v[127:128]
	v_add_f64 v[15:16], v[15:16], v[73:74]
	v_add_f64 v[13:14], v[13:14], v[53:54]
	s_clause 0x2
	buffer_load_dword v54, off, s[0:3], 0 offset:1020
	buffer_load_dword v53, off, s[0:3], 0 offset:1016
	;; [unrolled: 1-line block ×3, first 2 shown]
	ds_read_b128 v[9:12], v70 offset:1792
	s_waitcnt vmcnt(55) lgkmcnt(1)
	v_mul_f64 v[73:74], v[1:2], v[33:34]
	v_mul_f64 v[33:34], v[3:4], v[33:34]
	s_waitcnt vmcnt(54)
	v_fma_f64 v[81:82], v[5:6], v[125:126], -v[81:82]
	v_add_f64 v[15:16], v[15:16], v[21:22]
	v_fma_f64 v[21:22], v[7:8], v[125:126], v[57:58]
	v_add_f64 v[13:14], v[13:14], v[27:28]
	s_clause 0x1
	buffer_load_dword v28, off, s[0:3], 0 offset:1012
	buffer_load_dword v27, off, s[0:3], 0 offset:1008
	ds_read_b128 v[5:8], v70 offset:1808
	s_waitcnt vmcnt(55) lgkmcnt(1)
	v_mul_f64 v[57:58], v[9:10], v[75:76]
	v_mul_f64 v[75:76], v[11:12], v[75:76]
	s_waitcnt vmcnt(53)
	v_fma_f64 v[33:34], v[1:2], v[25:26], -v[33:34]
	v_fma_f64 v[25:26], v[3:4], v[25:26], v[73:74]
	ds_read_b128 v[1:4], v70 offset:1824
	v_add_f64 v[15:16], v[15:16], v[81:82]
	v_add_f64 v[13:14], v[13:14], v[21:22]
	s_waitcnt vmcnt(49) lgkmcnt(1)
	v_mul_f64 v[21:22], v[5:6], v[19:20]
	v_mul_f64 v[19:20], v[7:8], v[19:20]
	s_waitcnt vmcnt(48)
	v_fma_f64 v[73:74], v[9:10], v[117:118], -v[75:76]
	v_add_f64 v[15:16], v[15:16], v[33:34]
	v_fma_f64 v[33:34], v[11:12], v[117:118], v[57:58]
	v_add_f64 v[13:14], v[13:14], v[25:26]
	s_clause 0x3
	buffer_load_dword v25, off, s[0:3], 0 offset:176
	buffer_load_dword v26, off, s[0:3], 0 offset:180
	;; [unrolled: 1-line block ×4, first 2 shown]
	ds_read_b128 v[9:12], v70 offset:1840
	s_waitcnt vmcnt(51) lgkmcnt(1)
	v_mul_f64 v[75:76], v[1:2], v[37:38]
	v_mul_f64 v[37:38], v[3:4], v[37:38]
	s_waitcnt vmcnt(49)
	v_fma_f64 v[19:20], v[5:6], v[31:32], -v[19:20]
	v_fma_f64 v[21:22], v[7:8], v[31:32], v[21:22]
	ds_read_b128 v[5:8], v70 offset:1856
	v_add_f64 v[15:16], v[15:16], v[73:74]
	v_add_f64 v[13:14], v[13:14], v[33:34]
	s_waitcnt vmcnt(45) lgkmcnt(1)
	v_mul_f64 v[31:32], v[9:10], v[23:24]
	v_mul_f64 v[23:24], v[11:12], v[23:24]
	s_waitcnt vmcnt(44)
	v_fma_f64 v[33:34], v[1:2], v[83:84], -v[37:38]
	v_add_f64 v[15:16], v[15:16], v[19:20]
	v_fma_f64 v[19:20], v[3:4], v[83:84], v[75:76]
	v_add_f64 v[13:14], v[13:14], v[21:22]
	ds_read_b128 v[1:4], v70 offset:1872
	s_waitcnt vmcnt(43) lgkmcnt(1)
	v_mul_f64 v[37:38], v[7:8], v[45:46]
	v_mul_f64 v[21:22], v[5:6], v[45:46]
	s_waitcnt vmcnt(41)
	v_fma_f64 v[23:24], v[9:10], v[41:42], -v[23:24]
	v_fma_f64 v[31:32], v[11:12], v[41:42], v[31:32]
	ds_read_b128 v[9:12], v70 offset:1888
	v_add_f64 v[15:16], v[15:16], v[33:34]
	v_add_f64 v[13:14], v[13:14], v[19:20]
	s_waitcnt vmcnt(37) lgkmcnt(1)
	v_mul_f64 v[19:20], v[1:2], v[29:30]
	v_mul_f64 v[29:30], v[3:4], v[29:30]
	s_waitcnt vmcnt(36)
	v_fma_f64 v[33:34], v[5:6], v[77:78], -v[37:38]
	v_fma_f64 v[21:22], v[7:8], v[77:78], v[21:22]
	ds_read_b128 v[5:8], v70 offset:1904
	v_add_f64 v[15:16], v[15:16], v[23:24]
	v_add_f64 v[13:14], v[13:14], v[31:32]
	;; [unrolled: 9-line block ×3, first 2 shown]
	s_waitcnt vmcnt(29) lgkmcnt(1)
	v_mul_f64 v[33:34], v[7:8], v[35:36]
	s_waitcnt vmcnt(28)
	v_fma_f64 v[31:32], v[9:10], v[71:72], -v[31:32]
	v_mul_f64 v[21:22], v[5:6], v[35:36]
	v_fma_f64 v[23:24], v[11:12], v[71:72], v[23:24]
	ds_read_b128 v[9:12], v70 offset:1936
	v_add_f64 v[15:16], v[15:16], v[29:30]
	v_add_f64 v[13:14], v[13:14], v[19:20]
	s_waitcnt vmcnt(27) lgkmcnt(1)
	v_mul_f64 v[29:30], v[3:4], v[59:60]
	v_mul_f64 v[19:20], v[1:2], v[59:60]
	s_waitcnt vmcnt(25)
	v_fma_f64 v[33:34], v[5:6], v[47:48], -v[33:34]
	v_fma_f64 v[21:22], v[7:8], v[47:48], v[21:22]
	ds_read_b128 v[5:8], v70 offset:1952
	v_add_f64 v[15:16], v[15:16], v[31:32]
	v_add_f64 v[13:14], v[13:14], v[23:24]
	s_waitcnt vmcnt(21) lgkmcnt(1)
	v_mul_f64 v[31:32], v[11:12], v[43:44]
	s_waitcnt vmcnt(20)
	v_fma_f64 v[29:30], v[1:2], v[65:66], -v[29:30]
	v_mul_f64 v[23:24], v[9:10], v[43:44]
	v_fma_f64 v[19:20], v[3:4], v[65:66], v[19:20]
	ds_read_b128 v[1:4], v70 offset:1968
	v_add_f64 v[15:16], v[15:16], v[33:34]
	v_add_f64 v[13:14], v[13:14], v[21:22]
	s_waitcnt vmcnt(19) lgkmcnt(1)
	v_mul_f64 v[33:34], v[7:8], v[61:62]
	v_mul_f64 v[21:22], v[5:6], v[61:62]
	s_waitcnt vmcnt(17)
	v_fma_f64 v[31:32], v[9:10], v[17:18], -v[31:32]
	v_fma_f64 v[17:18], v[11:12], v[17:18], v[23:24]
	ds_read_b128 v[9:12], v70 offset:1984
	v_add_f64 v[15:16], v[15:16], v[29:30]
	v_add_f64 v[13:14], v[13:14], v[19:20]
	s_waitcnt vmcnt(13) lgkmcnt(1)
	v_mul_f64 v[23:24], v[3:4], v[49:50]
	s_waitcnt vmcnt(12)
	v_fma_f64 v[29:30], v[5:6], v[67:68], -v[33:34]
	v_mul_f64 v[19:20], v[1:2], v[49:50]
	v_fma_f64 v[21:22], v[7:8], v[67:68], v[21:22]
	ds_read_b128 v[5:8], v70 offset:2000
	v_add_f64 v[15:16], v[15:16], v[31:32]
	v_add_f64 v[13:14], v[13:14], v[17:18]
	s_waitcnt vmcnt(11) lgkmcnt(1)
	v_mul_f64 v[31:32], v[11:12], v[63:64]
	v_mul_f64 v[17:18], v[9:10], v[63:64]
	s_waitcnt vmcnt(9)
	v_fma_f64 v[1:2], v[1:2], v[55:56], -v[23:24]
	v_fma_f64 v[3:4], v[3:4], v[55:56], v[19:20]
	v_add_f64 v[15:16], v[15:16], v[29:30]
	v_add_f64 v[13:14], v[13:14], v[21:22]
	s_waitcnt vmcnt(7) lgkmcnt(0)
	v_mul_f64 v[21:22], v[7:8], v[53:54]
	s_waitcnt vmcnt(6)
	v_fma_f64 v[9:10], v[9:10], v[79:80], -v[31:32]
	v_mul_f64 v[19:20], v[5:6], v[53:54]
	v_fma_f64 v[11:12], v[11:12], v[79:80], v[17:18]
	v_add_f64 v[1:2], v[15:16], v[1:2]
	v_add_f64 v[3:4], v[13:14], v[3:4]
	s_waitcnt vmcnt(4)
	v_fma_f64 v[5:6], v[5:6], v[27:28], -v[21:22]
	v_fma_f64 v[7:8], v[7:8], v[27:28], v[19:20]
	v_add_f64 v[1:2], v[1:2], v[9:10]
	v_add_f64 v[3:4], v[3:4], v[11:12]
	;; [unrolled: 1-line block ×4, first 2 shown]
	s_waitcnt vmcnt(2)
	v_add_f64 v[1:2], v[25:26], -v[1:2]
	s_waitcnt vmcnt(0)
	v_add_f64 v[3:4], v[57:58], -v[3:4]
	buffer_store_dword v2, off, s[0:3], 0 offset:180
	buffer_store_dword v1, off, s[0:3], 0 offset:176
	;; [unrolled: 1-line block ×4, first 2 shown]
	v_cmpx_lt_u32_e32 9, v0
	s_cbranch_execz .LBB62_385
; %bb.384:
	v_mov_b32_e32 v4, s70
	v_mov_b32_e32 v5, 0
	s_clause 0x3
	buffer_load_dword v1, v4, s[0:3], 0 offen
	buffer_load_dword v2, v4, s[0:3], 0 offen offset:4
	buffer_load_dword v3, v4, s[0:3], 0 offen offset:8
	;; [unrolled: 1-line block ×3, first 2 shown]
	buffer_store_dword v5, off, s[0:3], 0 offset:160
	buffer_store_dword v5, off, s[0:3], 0 offset:164
	;; [unrolled: 1-line block ×4, first 2 shown]
	s_waitcnt vmcnt(0)
	ds_write_b128 v69, v[1:4]
.LBB62_385:
	s_or_b32 exec_lo, exec_lo, s4
	s_waitcnt lgkmcnt(0)
	s_waitcnt_vscnt null, 0x0
	s_barrier
	buffer_gl0_inv
	s_clause 0x37
	buffer_load_dword v17, off, s[0:3], 0 offset:184
	buffer_load_dword v18, off, s[0:3], 0 offset:188
	;; [unrolled: 1-line block ×56, first 2 shown]
	v_mov_b32_e32 v70, 0
	s_mov_b32 s4, exec_lo
	ds_read_b128 v[5:8], v70 offset:1168
	s_clause 0x2
	buffer_load_dword v66, off, s[0:3], 0 offset:412
	buffer_load_dword v68, off, s[0:3], 0 offset:388
	;; [unrolled: 1-line block ×3, first 2 shown]
	ds_read_b128 v[1:4], v70 offset:1184
	s_clause 0x4
	buffer_load_dword v78, off, s[0:3], 0 offset:428
	buffer_load_dword v79, off, s[0:3], 0 offset:440
	;; [unrolled: 1-line block ×5, first 2 shown]
	ds_read_b128 v[71:74], v70 offset:1200
	s_waitcnt vmcnt(62) lgkmcnt(2)
	v_mul_f64 v[75:76], v[7:8], v[17:18]
	v_mul_f64 v[17:18], v[5:6], v[17:18]
	s_waitcnt vmcnt(60) lgkmcnt(1)
	v_mul_f64 v[82:83], v[3:4], v[13:14]
	v_mul_f64 v[13:14], v[1:2], v[13:14]
	;; [unrolled: 3-line block ×3, first 2 shown]
	v_fma_f64 v[75:76], v[5:6], v[15:16], -v[75:76]
	v_fma_f64 v[15:16], v[7:8], v[15:16], v[17:18]
	s_clause 0x2
	buffer_load_dword v80, off, s[0:3], 0 offset:444
	buffer_load_dword v18, off, s[0:3], 0 offset:420
	;; [unrolled: 1-line block ×3, first 2 shown]
	s_waitcnt vmcnt(57)
	v_fma_f64 v[83:84], v[1:2], v[9:10], -v[82:83]
	ds_read_b128 v[5:8], v70 offset:1216
	v_fma_f64 v[9:10], v[3:4], v[9:10], v[13:14]
	s_waitcnt vmcnt(51)
	v_fma_f64 v[71:72], v[71:72], v[33:34], -v[11:12]
	v_fma_f64 v[33:34], v[73:74], v[33:34], v[117:118]
	v_add_f64 v[75:76], v[75:76], 0
	v_add_f64 v[13:14], v[15:16], 0
	s_clause 0x4
	buffer_load_dword v16, off, s[0:3], 0 offset:460
	buffer_load_dword v119, off, s[0:3], 0 offset:472
	;; [unrolled: 1-line block ×5, first 2 shown]
	s_waitcnt lgkmcnt(0)
	v_mul_f64 v[126:127], v[5:6], v[21:22]
	v_mul_f64 v[21:22], v[7:8], v[21:22]
	ds_read_b128 v[1:4], v70 offset:1232
	s_clause 0x2
	buffer_load_dword v120, off, s[0:3], 0 offset:476
	buffer_load_dword v74, off, s[0:3], 0 offset:452
	;; [unrolled: 1-line block ×3, first 2 shown]
	v_add_f64 v[75:76], v[75:76], v[83:84]
	v_add_f64 v[13:14], v[13:14], v[9:10]
	ds_read_b128 v[9:12], v70 offset:1248
	s_waitcnt vmcnt(58) lgkmcnt(1)
	v_mul_f64 v[83:84], v[1:2], v[25:26]
	v_mul_f64 v[25:26], v[3:4], v[25:26]
	s_waitcnt vmcnt(56)
	v_fma_f64 v[21:22], v[5:6], v[27:28], -v[21:22]
	v_fma_f64 v[27:28], v[7:8], v[27:28], v[126:127]
	s_waitcnt vmcnt(52) lgkmcnt(0)
	v_mul_f64 v[127:128], v[9:10], v[29:30]
	v_add_f64 v[71:72], v[75:76], v[71:72]
	v_add_f64 v[13:14], v[13:14], v[33:34]
	s_clause 0x4
	buffer_load_dword v34, off, s[0:3], 0 offset:492
	buffer_load_dword v75, off, s[0:3], 0 offset:504
	;; [unrolled: 1-line block ×5, first 2 shown]
	v_mul_f64 v[29:30], v[11:12], v[29:30]
	s_waitcnt vmcnt(56)
	v_fma_f64 v[25:26], v[1:2], v[19:20], -v[25:26]
	ds_read_b128 v[5:8], v70 offset:1264
	v_fma_f64 v[19:20], v[3:4], v[19:20], v[83:84]
	v_add_f64 v[21:22], v[71:72], v[21:22]
	v_add_f64 v[13:14], v[13:14], v[27:28]
	s_clause 0x2
	buffer_load_dword v76, off, s[0:3], 0 offset:508
	buffer_load_dword v28, off, s[0:3], 0 offset:484
	;; [unrolled: 1-line block ×3, first 2 shown]
	s_waitcnt vmcnt(58) lgkmcnt(0)
	v_mul_f64 v[71:72], v[5:6], v[35:36]
	v_mul_f64 v[35:36], v[7:8], v[35:36]
	s_waitcnt vmcnt(56)
	v_fma_f64 v[29:30], v[9:10], v[37:38], -v[29:30]
	ds_read_b128 v[1:4], v70 offset:1280
	v_add_f64 v[21:22], v[21:22], v[25:26]
	v_fma_f64 v[25:26], v[11:12], v[37:38], v[127:128]
	v_add_f64 v[13:14], v[13:14], v[19:20]
	s_clause 0x4
	buffer_load_dword v20, off, s[0:3], 0 offset:524
	buffer_load_dword v37, off, s[0:3], 0 offset:536
	;; [unrolled: 1-line block ×5, first 2 shown]
	s_waitcnt vmcnt(57) lgkmcnt(0)
	v_mul_f64 v[127:128], v[1:2], v[39:40]
	v_mul_f64 v[39:40], v[3:4], v[39:40]
	s_waitcnt vmcnt(56)
	v_fma_f64 v[35:36], v[5:6], v[23:24], -v[35:36]
	ds_read_b128 v[9:12], v70 offset:1296
	v_fma_f64 v[23:24], v[7:8], v[23:24], v[71:72]
	v_add_f64 v[21:22], v[21:22], v[29:30]
	v_add_f64 v[13:14], v[13:14], v[25:26]
	s_clause 0x2
	buffer_load_dword v38, off, s[0:3], 0 offset:540
	buffer_load_dword v26, off, s[0:3], 0 offset:516
	;; [unrolled: 1-line block ×3, first 2 shown]
	ds_read_b128 v[5:8], v70 offset:1312
	s_waitcnt vmcnt(58) lgkmcnt(1)
	v_mul_f64 v[29:30], v[9:10], v[43:44]
	v_mul_f64 v[43:44], v[11:12], v[43:44]
	s_waitcnt vmcnt(56)
	v_fma_f64 v[39:40], v[1:2], v[45:46], -v[39:40]
	v_add_f64 v[21:22], v[21:22], v[35:36]
	v_fma_f64 v[35:36], v[3:4], v[45:46], v[127:128]
	v_add_f64 v[13:14], v[13:14], v[23:24]
	s_clause 0x4
	buffer_load_dword v24, off, s[0:3], 0 offset:556
	buffer_load_dword v45, off, s[0:3], 0 offset:568
	;; [unrolled: 1-line block ×5, first 2 shown]
	s_waitcnt vmcnt(57) lgkmcnt(0)
	v_mul_f64 v[127:128], v[5:6], v[47:48]
	v_mul_f64 v[47:48], v[7:8], v[47:48]
	s_waitcnt vmcnt(56)
	v_fma_f64 v[43:44], v[9:10], v[31:32], -v[43:44]
	ds_read_b128 v[1:4], v70 offset:1328
	v_fma_f64 v[29:30], v[11:12], v[31:32], v[29:30]
	s_clause 0x2
	buffer_load_dword v46, off, s[0:3], 0 offset:572
	buffer_load_dword v32, off, s[0:3], 0 offset:548
	;; [unrolled: 1-line block ×3, first 2 shown]
	ds_read_b128 v[9:12], v70 offset:1344
	v_add_f64 v[21:22], v[21:22], v[39:40]
	v_add_f64 v[13:14], v[13:14], v[35:36]
	s_waitcnt vmcnt(58) lgkmcnt(1)
	v_mul_f64 v[39:40], v[3:4], v[51:52]
	s_waitcnt vmcnt(56)
	v_fma_f64 v[47:48], v[5:6], v[53:54], -v[47:48]
	v_mul_f64 v[35:36], v[1:2], v[51:52]
	v_add_f64 v[21:22], v[21:22], v[43:44]
	v_fma_f64 v[43:44], v[7:8], v[53:54], v[127:128]
	v_add_f64 v[13:14], v[13:14], v[29:30]
	s_clause 0x4
	buffer_load_dword v30, off, s[0:3], 0 offset:588
	buffer_load_dword v51, off, s[0:3], 0 offset:600
	;; [unrolled: 1-line block ×5, first 2 shown]
	s_waitcnt vmcnt(57) lgkmcnt(0)
	v_mul_f64 v[127:128], v[9:10], v[55:56]
	v_mul_f64 v[54:55], v[11:12], v[55:56]
	s_waitcnt vmcnt(56)
	v_fma_f64 v[39:40], v[1:2], v[41:42], -v[39:40]
	ds_read_b128 v[5:8], v70 offset:1360
	v_fma_f64 v[35:36], v[3:4], v[41:42], v[35:36]
	s_clause 0x2
	buffer_load_dword v52, off, s[0:3], 0 offset:604
	buffer_load_dword v42, off, s[0:3], 0 offset:580
	;; [unrolled: 1-line block ×3, first 2 shown]
	ds_read_b128 v[1:4], v70 offset:1376
	v_add_f64 v[21:22], v[21:22], v[47:48]
	v_add_f64 v[13:14], v[13:14], v[43:44]
	s_waitcnt vmcnt(58) lgkmcnt(1)
	v_mul_f64 v[47:48], v[7:8], v[59:60]
	s_waitcnt vmcnt(56)
	v_fma_f64 v[55:56], v[9:10], v[61:62], -v[54:55]
	v_mul_f64 v[43:44], v[5:6], v[59:60]
	v_add_f64 v[21:22], v[21:22], v[39:40]
	v_fma_f64 v[39:40], v[11:12], v[61:62], v[127:128]
	v_add_f64 v[13:14], v[13:14], v[35:36]
	s_clause 0x4
	buffer_load_dword v36, off, s[0:3], 0 offset:620
	buffer_load_dword v59, off, s[0:3], 0 offset:632
	;; [unrolled: 1-line block ×5, first 2 shown]
	s_waitcnt vmcnt(57) lgkmcnt(0)
	v_mul_f64 v[127:128], v[1:2], v[63:64]
	v_mul_f64 v[62:63], v[3:4], v[63:64]
	s_waitcnt vmcnt(56)
	v_fma_f64 v[47:48], v[5:6], v[49:50], -v[47:48]
	ds_read_b128 v[9:12], v70 offset:1392
	v_fma_f64 v[43:44], v[7:8], v[49:50], v[43:44]
	v_add_f64 v[21:22], v[21:22], v[55:56]
	v_add_f64 v[13:14], v[13:14], v[39:40]
	s_clause 0x2
	buffer_load_dword v60, off, s[0:3], 0 offset:636
	buffer_load_dword v40, off, s[0:3], 0 offset:612
	;; [unrolled: 1-line block ×3, first 2 shown]
	ds_read_b128 v[5:8], v70 offset:1408
	s_waitcnt vmcnt(58) lgkmcnt(1)
	v_mul_f64 v[55:56], v[11:12], v[65:66]
	s_waitcnt vmcnt(56)
	v_fma_f64 v[63:64], v[1:2], v[67:68], -v[62:63]
	v_mul_f64 v[49:50], v[9:10], v[65:66]
	v_add_f64 v[21:22], v[21:22], v[47:48]
	v_fma_f64 v[47:48], v[3:4], v[67:68], v[127:128]
	v_add_f64 v[13:14], v[13:14], v[43:44]
	s_clause 0x4
	buffer_load_dword v44, off, s[0:3], 0 offset:652
	buffer_load_dword v65, off, s[0:3], 0 offset:664
	;; [unrolled: 1-line block ×5, first 2 shown]
	s_waitcnt vmcnt(57) lgkmcnt(0)
	v_mul_f64 v[127:128], v[5:6], v[77:78]
	v_mul_f64 v[77:78], v[7:8], v[77:78]
	s_waitcnt vmcnt(56)
	v_fma_f64 v[55:56], v[9:10], v[57:58], -v[55:56]
	ds_read_b128 v[1:4], v70 offset:1424
	v_fma_f64 v[49:50], v[11:12], v[57:58], v[49:50]
	v_add_f64 v[21:22], v[21:22], v[63:64]
	v_add_f64 v[13:14], v[13:14], v[47:48]
	s_clause 0x2
	buffer_load_dword v66, off, s[0:3], 0 offset:668
	buffer_load_dword v48, off, s[0:3], 0 offset:644
	buffer_load_dword v47, off, s[0:3], 0 offset:640
	ds_read_b128 v[9:12], v70 offset:1440
	s_waitcnt vmcnt(58) lgkmcnt(1)
	v_mul_f64 v[63:64], v[3:4], v[79:80]
	v_mul_f64 v[57:58], v[1:2], v[79:80]
	s_waitcnt vmcnt(56)
	v_fma_f64 v[77:78], v[5:6], v[17:18], -v[77:78]
	v_fma_f64 v[17:18], v[7:8], v[17:18], v[127:128]
	v_add_f64 v[21:22], v[21:22], v[55:56]
	v_add_f64 v[13:14], v[13:14], v[49:50]
	s_clause 0x4
	buffer_load_dword v50, off, s[0:3], 0 offset:684
	buffer_load_dword v55, off, s[0:3], 0 offset:696
	;; [unrolled: 1-line block ×5, first 2 shown]
	ds_read_b128 v[5:8], v70 offset:1456
	s_waitcnt vmcnt(57) lgkmcnt(1)
	v_mul_f64 v[127:128], v[9:10], v[15:16]
	v_mul_f64 v[15:16], v[11:12], v[15:16]
	s_waitcnt vmcnt(56)
	v_fma_f64 v[63:64], v[1:2], v[81:82], -v[63:64]
	v_fma_f64 v[57:58], v[3:4], v[81:82], v[57:58]
	v_add_f64 v[21:22], v[21:22], v[77:78]
	v_add_f64 v[13:14], v[13:14], v[17:18]
	s_clause 0x2
	buffer_load_dword v56, off, s[0:3], 0 offset:700
	buffer_load_dword v18, off, s[0:3], 0 offset:676
	;; [unrolled: 1-line block ×3, first 2 shown]
	s_waitcnt vmcnt(58) lgkmcnt(0)
	v_mul_f64 v[81:82], v[7:8], v[119:120]
	ds_read_b128 v[1:4], v70 offset:1472
	v_mul_f64 v[77:78], v[5:6], v[119:120]
	s_waitcnt vmcnt(56)
	v_fma_f64 v[15:16], v[9:10], v[73:74], -v[15:16]
	v_add_f64 v[21:22], v[21:22], v[63:64]
	v_fma_f64 v[63:64], v[11:12], v[73:74], v[127:128]
	v_add_f64 v[13:14], v[13:14], v[57:58]
	s_clause 0x4
	buffer_load_dword v58, off, s[0:3], 0 offset:716
	buffer_load_dword v73, off, s[0:3], 0 offset:728
	;; [unrolled: 1-line block ×5, first 2 shown]
	ds_read_b128 v[9:12], v70 offset:1488
	s_waitcnt vmcnt(57) lgkmcnt(1)
	v_mul_f64 v[127:128], v[1:2], v[33:34]
	v_mul_f64 v[33:34], v[3:4], v[33:34]
	s_waitcnt vmcnt(56)
	v_fma_f64 v[81:82], v[5:6], v[125:126], -v[81:82]
	v_add_f64 v[15:16], v[21:22], v[15:16]
	v_fma_f64 v[21:22], v[7:8], v[125:126], v[77:78]
	v_add_f64 v[13:14], v[13:14], v[63:64]
	s_clause 0x2
	buffer_load_dword v74, off, s[0:3], 0 offset:732
	buffer_load_dword v64, off, s[0:3], 0 offset:708
	;; [unrolled: 1-line block ×3, first 2 shown]
	ds_read_b128 v[5:8], v70 offset:1504
	s_waitcnt vmcnt(58) lgkmcnt(1)
	v_mul_f64 v[77:78], v[9:10], v[75:76]
	v_mul_f64 v[75:76], v[11:12], v[75:76]
	s_waitcnt vmcnt(56)
	v_fma_f64 v[33:34], v[1:2], v[27:28], -v[33:34]
	v_fma_f64 v[27:28], v[3:4], v[27:28], v[127:128]
	v_add_f64 v[15:16], v[15:16], v[81:82]
	v_add_f64 v[13:14], v[13:14], v[21:22]
	s_clause 0x4
	buffer_load_dword v22, off, s[0:3], 0 offset:748
	buffer_load_dword v81, off, s[0:3], 0 offset:760
	buffer_load_dword v125, off, s[0:3], 0 offset:752
	buffer_load_dword v21, off, s[0:3], 0 offset:744
	buffer_load_dword v120, off, s[0:3], 0 offset:724
	ds_read_b128 v[1:4], v70 offset:1520
	s_waitcnt vmcnt(57) lgkmcnt(1)
	v_mul_f64 v[126:127], v[5:6], v[19:20]
	v_mul_f64 v[19:20], v[7:8], v[19:20]
	s_waitcnt vmcnt(56)
	v_fma_f64 v[75:76], v[9:10], v[117:118], -v[75:76]
	v_add_f64 v[15:16], v[15:16], v[33:34]
	v_fma_f64 v[33:34], v[11:12], v[117:118], v[77:78]
	v_add_f64 v[13:14], v[13:14], v[27:28]
	s_clause 0x2
	buffer_load_dword v82, off, s[0:3], 0 offset:764
	buffer_load_dword v28, off, s[0:3], 0 offset:740
	buffer_load_dword v27, off, s[0:3], 0 offset:736
	ds_read_b128 v[9:12], v70 offset:1536
	s_waitcnt vmcnt(58) lgkmcnt(1)
	v_mul_f64 v[77:78], v[1:2], v[37:38]
	v_mul_f64 v[37:38], v[3:4], v[37:38]
	s_waitcnt vmcnt(56)
	v_fma_f64 v[19:20], v[5:6], v[25:26], -v[19:20]
	v_fma_f64 v[25:26], v[7:8], v[25:26], v[126:127]
	v_add_f64 v[15:16], v[15:16], v[75:76]
	v_add_f64 v[13:14], v[13:14], v[33:34]
	s_clause 0x4
	buffer_load_dword v34, off, s[0:3], 0 offset:780
	buffer_load_dword v75, off, s[0:3], 0 offset:792
	;; [unrolled: 1-line block ×5, first 2 shown]
	ds_read_b128 v[5:8], v70 offset:1552
	s_waitcnt vmcnt(57) lgkmcnt(1)
	v_mul_f64 v[127:128], v[9:10], v[23:24]
	v_mul_f64 v[23:24], v[11:12], v[23:24]
	s_waitcnt vmcnt(56)
	v_fma_f64 v[37:38], v[1:2], v[83:84], -v[37:38]
	v_add_f64 v[15:16], v[15:16], v[19:20]
	v_fma_f64 v[19:20], v[3:4], v[83:84], v[77:78]
	v_add_f64 v[13:14], v[13:14], v[25:26]
	s_clause 0x2
	buffer_load_dword v76, off, s[0:3], 0 offset:796
	buffer_load_dword v26, off, s[0:3], 0 offset:772
	;; [unrolled: 1-line block ×3, first 2 shown]
	s_waitcnt vmcnt(58) lgkmcnt(0)
	v_mul_f64 v[77:78], v[5:6], v[45:46]
	v_mul_f64 v[45:46], v[7:8], v[45:46]
	ds_read_b128 v[1:4], v70 offset:1568
	s_waitcnt vmcnt(56)
	v_fma_f64 v[23:24], v[9:10], v[31:32], -v[23:24]
	v_fma_f64 v[31:32], v[11:12], v[31:32], v[127:128]
	v_add_f64 v[15:16], v[15:16], v[37:38]
	v_add_f64 v[13:14], v[13:14], v[19:20]
	s_clause 0x4
	buffer_load_dword v20, off, s[0:3], 0 offset:812
	buffer_load_dword v37, off, s[0:3], 0 offset:824
	;; [unrolled: 1-line block ×5, first 2 shown]
	ds_read_b128 v[9:12], v70 offset:1584
	s_waitcnt vmcnt(57) lgkmcnt(1)
	v_mul_f64 v[127:128], v[1:2], v[29:30]
	v_mul_f64 v[29:30], v[3:4], v[29:30]
	s_waitcnt vmcnt(56)
	v_fma_f64 v[45:46], v[5:6], v[71:72], -v[45:46]
	v_add_f64 v[15:16], v[15:16], v[23:24]
	v_fma_f64 v[23:24], v[7:8], v[71:72], v[77:78]
	v_add_f64 v[13:14], v[13:14], v[31:32]
	s_clause 0x2
	buffer_load_dword v38, off, s[0:3], 0 offset:828
	buffer_load_dword v32, off, s[0:3], 0 offset:804
	;; [unrolled: 1-line block ×3, first 2 shown]
	s_waitcnt vmcnt(58) lgkmcnt(0)
	v_mul_f64 v[71:72], v[9:10], v[51:52]
	v_mul_f64 v[51:52], v[11:12], v[51:52]
	ds_read_b128 v[5:8], v70 offset:1600
	s_waitcnt vmcnt(56)
	v_fma_f64 v[29:30], v[1:2], v[41:42], -v[29:30]
	v_fma_f64 v[41:42], v[3:4], v[41:42], v[127:128]
	v_add_f64 v[15:16], v[15:16], v[45:46]
	v_add_f64 v[13:14], v[13:14], v[23:24]
	s_clause 0x4
	buffer_load_dword v24, off, s[0:3], 0 offset:844
	buffer_load_dword v45, off, s[0:3], 0 offset:856
	buffer_load_dword v77, off, s[0:3], 0 offset:848
	buffer_load_dword v23, off, s[0:3], 0 offset:840
	buffer_load_dword v84, off, s[0:3], 0 offset:820
	ds_read_b128 v[1:4], v70 offset:1616
	s_waitcnt vmcnt(57) lgkmcnt(1)
	v_mul_f64 v[127:128], v[5:6], v[35:36]
	v_mul_f64 v[35:36], v[7:8], v[35:36]
	s_waitcnt vmcnt(56)
	v_fma_f64 v[51:52], v[9:10], v[53:54], -v[51:52]
	v_add_f64 v[15:16], v[15:16], v[29:30]
	v_fma_f64 v[29:30], v[11:12], v[53:54], v[71:72]
	v_add_f64 v[13:14], v[13:14], v[41:42]
	s_clause 0x2
	buffer_load_dword v46, off, s[0:3], 0 offset:860
	buffer_load_dword v42, off, s[0:3], 0 offset:836
	buffer_load_dword v41, off, s[0:3], 0 offset:832
	ds_read_b128 v[9:12], v70 offset:1632
	s_waitcnt vmcnt(58) lgkmcnt(1)
	v_mul_f64 v[53:54], v[1:2], v[59:60]
	v_mul_f64 v[59:60], v[3:4], v[59:60]
	s_waitcnt vmcnt(56)
	v_fma_f64 v[35:36], v[5:6], v[39:40], -v[35:36]
	v_fma_f64 v[39:40], v[7:8], v[39:40], v[127:128]
	v_add_f64 v[15:16], v[15:16], v[51:52]
	v_add_f64 v[13:14], v[13:14], v[29:30]
	s_clause 0x4
	buffer_load_dword v30, off, s[0:3], 0 offset:876
	buffer_load_dword v51, off, s[0:3], 0 offset:888
	buffer_load_dword v71, off, s[0:3], 0 offset:880
	buffer_load_dword v29, off, s[0:3], 0 offset:872
	buffer_load_dword v78, off, s[0:3], 0 offset:852
	ds_read_b128 v[5:8], v70 offset:1648
	s_waitcnt vmcnt(57) lgkmcnt(1)
	v_mul_f64 v[127:128], v[9:10], v[43:44]
	v_mul_f64 v[43:44], v[11:12], v[43:44]
	s_waitcnt vmcnt(56)
	v_fma_f64 v[59:60], v[1:2], v[61:62], -v[59:60]
	v_add_f64 v[15:16], v[15:16], v[35:36]
	v_fma_f64 v[35:36], v[3:4], v[61:62], v[53:54]
	v_add_f64 v[13:14], v[13:14], v[39:40]
	s_clause 0x2
	buffer_load_dword v52, off, s[0:3], 0 offset:892
	buffer_load_dword v40, off, s[0:3], 0 offset:868
	buffer_load_dword v39, off, s[0:3], 0 offset:864
	ds_read_b128 v[1:4], v70 offset:1664
	s_waitcnt vmcnt(58) lgkmcnt(1)
	v_mul_f64 v[61:62], v[7:8], v[65:66]
	v_mul_f64 v[53:54], v[5:6], v[65:66]
	;; [unrolled: 28-line block ×4, first 2 shown]
	s_waitcnt vmcnt(56)
	v_fma_f64 v[57:58], v[5:6], v[63:64], -v[57:58]
	v_add_f64 v[15:16], v[15:16], v[55:56]
	v_fma_f64 v[55:56], v[7:8], v[63:64], v[127:128]
	v_add_f64 v[13:14], v[13:14], v[49:50]
	s_clause 0x4
	buffer_load_dword v50, off, s[0:3], 0 offset:972
	buffer_load_dword v63, off, s[0:3], 0 offset:984
	;; [unrolled: 1-line block ×5, first 2 shown]
	ds_read_b128 v[5:8], v70 offset:1744
	s_waitcnt vmcnt(57) lgkmcnt(1)
	v_mul_f64 v[127:128], v[9:10], v[21:22]
	v_mul_f64 v[21:22], v[11:12], v[21:22]
	s_waitcnt vmcnt(56)
	v_fma_f64 v[73:74], v[1:2], v[119:120], -v[73:74]
	v_fma_f64 v[53:54], v[3:4], v[119:120], v[53:54]
	v_add_f64 v[15:16], v[15:16], v[57:58]
	v_add_f64 v[13:14], v[13:14], v[55:56]
	s_clause 0x2
	buffer_load_dword v64, off, s[0:3], 0 offset:988
	buffer_load_dword v56, off, s[0:3], 0 offset:964
	buffer_load_dword v55, off, s[0:3], 0 offset:960
	ds_read_b128 v[1:4], v70 offset:1760
	s_waitcnt vmcnt(58) lgkmcnt(1)
	v_mul_f64 v[57:58], v[5:6], v[81:82]
	v_mul_f64 v[81:82], v[7:8], v[81:82]
	s_waitcnt vmcnt(56)
	v_fma_f64 v[21:22], v[9:10], v[27:28], -v[21:22]
	v_fma_f64 v[27:28], v[11:12], v[27:28], v[127:128]
	v_add_f64 v[15:16], v[15:16], v[73:74]
	v_add_f64 v[13:14], v[13:14], v[53:54]
	s_clause 0x4
	buffer_load_dword v54, off, s[0:3], 0 offset:1004
	buffer_load_dword v73, off, s[0:3], 0 offset:1016
	;; [unrolled: 1-line block ×5, first 2 shown]
	ds_read_b128 v[9:12], v70 offset:1776
	s_waitcnt vmcnt(57) lgkmcnt(1)
	v_mul_f64 v[127:128], v[1:2], v[33:34]
	v_mul_f64 v[33:34], v[3:4], v[33:34]
	s_waitcnt vmcnt(56)
	v_fma_f64 v[81:82], v[5:6], v[125:126], -v[81:82]
	v_add_f64 v[15:16], v[15:16], v[21:22]
	v_fma_f64 v[21:22], v[7:8], v[125:126], v[57:58]
	v_add_f64 v[13:14], v[13:14], v[27:28]
	s_clause 0x2
	buffer_load_dword v74, off, s[0:3], 0 offset:1020
	buffer_load_dword v28, off, s[0:3], 0 offset:996
	;; [unrolled: 1-line block ×3, first 2 shown]
	ds_read_b128 v[5:8], v70 offset:1792
	buffer_load_dword v120, off, s[0:3], 0 offset:1012
	s_waitcnt vmcnt(59) lgkmcnt(1)
	v_mul_f64 v[57:58], v[9:10], v[75:76]
	v_mul_f64 v[75:76], v[11:12], v[75:76]
	s_waitcnt vmcnt(57)
	v_fma_f64 v[33:34], v[1:2], v[25:26], -v[33:34]
	v_fma_f64 v[25:26], v[3:4], v[25:26], v[127:128]
	ds_read_b128 v[1:4], v70 offset:1808
	v_add_f64 v[15:16], v[15:16], v[81:82]
	v_add_f64 v[13:14], v[13:14], v[21:22]
	s_waitcnt vmcnt(53) lgkmcnt(1)
	v_mul_f64 v[21:22], v[5:6], v[19:20]
	v_mul_f64 v[19:20], v[7:8], v[19:20]
	s_waitcnt vmcnt(52)
	v_fma_f64 v[75:76], v[9:10], v[117:118], -v[75:76]
	v_add_f64 v[15:16], v[15:16], v[33:34]
	v_fma_f64 v[33:34], v[11:12], v[117:118], v[57:58]
	v_add_f64 v[13:14], v[13:14], v[25:26]
	ds_read_b128 v[9:12], v70 offset:1824
	s_waitcnt vmcnt(51) lgkmcnt(1)
	v_mul_f64 v[25:26], v[1:2], v[37:38]
	v_mul_f64 v[37:38], v[3:4], v[37:38]
	s_waitcnt vmcnt(49)
	v_fma_f64 v[19:20], v[5:6], v[31:32], -v[19:20]
	v_fma_f64 v[21:22], v[7:8], v[31:32], v[21:22]
	v_add_f64 v[15:16], v[15:16], v[75:76]
	v_add_f64 v[13:14], v[13:14], v[33:34]
	s_clause 0x3
	buffer_load_dword v31, off, s[0:3], 0 offset:160
	buffer_load_dword v32, off, s[0:3], 0 offset:164
	;; [unrolled: 1-line block ×4, first 2 shown]
	ds_read_b128 v[5:8], v70 offset:1840
	s_waitcnt vmcnt(49) lgkmcnt(1)
	v_mul_f64 v[57:58], v[9:10], v[23:24]
	v_mul_f64 v[23:24], v[11:12], v[23:24]
	s_waitcnt vmcnt(48)
	v_fma_f64 v[37:38], v[1:2], v[83:84], -v[37:38]
	v_add_f64 v[15:16], v[15:16], v[19:20]
	v_fma_f64 v[19:20], v[3:4], v[83:84], v[25:26]
	v_add_f64 v[13:14], v[13:14], v[21:22]
	ds_read_b128 v[1:4], v70 offset:1856
	s_waitcnt vmcnt(47) lgkmcnt(1)
	v_mul_f64 v[25:26], v[7:8], v[45:46]
	v_mul_f64 v[21:22], v[5:6], v[45:46]
	s_waitcnt vmcnt(45)
	v_fma_f64 v[23:24], v[9:10], v[41:42], -v[23:24]
	v_add_f64 v[15:16], v[15:16], v[37:38]
	v_fma_f64 v[37:38], v[11:12], v[41:42], v[57:58]
	v_add_f64 v[13:14], v[13:14], v[19:20]
	ds_read_b128 v[9:12], v70 offset:1872
	s_waitcnt vmcnt(41) lgkmcnt(1)
	v_mul_f64 v[19:20], v[1:2], v[29:30]
	v_mul_f64 v[29:30], v[3:4], v[29:30]
	s_waitcnt vmcnt(40)
	v_fma_f64 v[25:26], v[5:6], v[77:78], -v[25:26]
	v_fma_f64 v[21:22], v[7:8], v[77:78], v[21:22]
	ds_read_b128 v[5:8], v70 offset:1888
	v_add_f64 v[15:16], v[15:16], v[23:24]
	v_add_f64 v[13:14], v[13:14], v[37:38]
	s_waitcnt vmcnt(39) lgkmcnt(1)
	v_mul_f64 v[37:38], v[11:12], v[51:52]
	v_mul_f64 v[23:24], v[9:10], v[51:52]
	s_waitcnt vmcnt(37)
	v_fma_f64 v[29:30], v[1:2], v[39:40], -v[29:30]
	v_fma_f64 v[19:20], v[3:4], v[39:40], v[19:20]
	ds_read_b128 v[1:4], v70 offset:1904
	v_add_f64 v[15:16], v[15:16], v[25:26]
	v_add_f64 v[13:14], v[13:14], v[21:22]
	;; [unrolled: 9-line block ×4, first 2 shown]
	s_waitcnt vmcnt(25) lgkmcnt(1)
	v_mul_f64 v[35:36], v[11:12], v[43:44]
	s_waitcnt vmcnt(24)
	v_fma_f64 v[29:30], v[1:2], v[65:66], -v[29:30]
	v_mul_f64 v[23:24], v[9:10], v[43:44]
	v_fma_f64 v[19:20], v[3:4], v[65:66], v[19:20]
	ds_read_b128 v[1:4], v70 offset:1952
	v_add_f64 v[15:16], v[15:16], v[25:26]
	v_add_f64 v[13:14], v[13:14], v[21:22]
	s_waitcnt vmcnt(23) lgkmcnt(1)
	v_mul_f64 v[25:26], v[7:8], v[61:62]
	v_mul_f64 v[21:22], v[5:6], v[61:62]
	s_waitcnt vmcnt(21)
	v_fma_f64 v[35:36], v[9:10], v[17:18], -v[35:36]
	v_fma_f64 v[17:18], v[11:12], v[17:18], v[23:24]
	ds_read_b128 v[9:12], v70 offset:1968
	v_add_f64 v[15:16], v[15:16], v[29:30]
	v_add_f64 v[13:14], v[13:14], v[19:20]
	s_waitcnt vmcnt(17) lgkmcnt(1)
	v_mul_f64 v[23:24], v[3:4], v[49:50]
	s_waitcnt vmcnt(16)
	v_fma_f64 v[25:26], v[5:6], v[67:68], -v[25:26]
	v_mul_f64 v[19:20], v[1:2], v[49:50]
	v_fma_f64 v[21:22], v[7:8], v[67:68], v[21:22]
	ds_read_b128 v[5:8], v70 offset:1984
	v_add_f64 v[15:16], v[15:16], v[35:36]
	v_add_f64 v[13:14], v[13:14], v[17:18]
	s_waitcnt vmcnt(15) lgkmcnt(1)
	v_mul_f64 v[29:30], v[11:12], v[63:64]
	v_mul_f64 v[17:18], v[9:10], v[63:64]
	s_waitcnt vmcnt(13)
	v_fma_f64 v[23:24], v[1:2], v[55:56], -v[23:24]
	v_fma_f64 v[19:20], v[3:4], v[55:56], v[19:20]
	ds_read_b128 v[1:4], v70 offset:2000
	v_add_f64 v[15:16], v[15:16], v[25:26]
	v_add_f64 v[13:14], v[13:14], v[21:22]
	s_waitcnt vmcnt(9) lgkmcnt(1)
	v_mul_f64 v[25:26], v[7:8], v[53:54]
	s_waitcnt vmcnt(8)
	v_fma_f64 v[9:10], v[9:10], v[79:80], -v[29:30]
	v_mul_f64 v[21:22], v[5:6], v[53:54]
	v_fma_f64 v[11:12], v[11:12], v[79:80], v[17:18]
	v_add_f64 v[15:16], v[15:16], v[23:24]
	v_add_f64 v[13:14], v[13:14], v[19:20]
	s_waitcnt vmcnt(7) lgkmcnt(0)
	v_mul_f64 v[19:20], v[3:4], v[73:74]
	v_mul_f64 v[17:18], v[1:2], v[73:74]
	s_waitcnt vmcnt(5)
	v_fma_f64 v[5:6], v[5:6], v[27:28], -v[25:26]
	v_fma_f64 v[7:8], v[7:8], v[27:28], v[21:22]
	v_add_f64 v[9:10], v[15:16], v[9:10]
	v_add_f64 v[11:12], v[13:14], v[11:12]
	s_waitcnt vmcnt(4)
	v_fma_f64 v[1:2], v[1:2], v[119:120], -v[19:20]
	v_fma_f64 v[3:4], v[3:4], v[119:120], v[17:18]
	v_add_f64 v[5:6], v[9:10], v[5:6]
	v_add_f64 v[7:8], v[11:12], v[7:8]
	;; [unrolled: 1-line block ×4, first 2 shown]
	s_waitcnt vmcnt(2)
	v_add_f64 v[1:2], v[31:32], -v[1:2]
	s_waitcnt vmcnt(0)
	v_add_f64 v[3:4], v[33:34], -v[3:4]
	buffer_store_dword v2, off, s[0:3], 0 offset:164
	buffer_store_dword v1, off, s[0:3], 0 offset:160
	;; [unrolled: 1-line block ×4, first 2 shown]
	v_cmpx_lt_u32_e32 8, v0
	s_cbranch_execz .LBB62_387
; %bb.386:
	v_mov_b32_e32 v4, s71
	s_clause 0x3
	buffer_load_dword v1, v4, s[0:3], 0 offen
	buffer_load_dword v2, v4, s[0:3], 0 offen offset:4
	buffer_load_dword v3, v4, s[0:3], 0 offen offset:8
	;; [unrolled: 1-line block ×3, first 2 shown]
	buffer_store_dword v70, off, s[0:3], 0 offset:144
	buffer_store_dword v70, off, s[0:3], 0 offset:148
	;; [unrolled: 1-line block ×4, first 2 shown]
	s_waitcnt vmcnt(0)
	ds_write_b128 v69, v[1:4]
.LBB62_387:
	s_or_b32 exec_lo, exec_lo, s4
	s_waitcnt lgkmcnt(0)
	s_waitcnt_vscnt null, 0x0
	s_barrier
	buffer_gl0_inv
	s_clause 0x37
	buffer_load_dword v17, off, s[0:3], 0 offset:168
	buffer_load_dword v18, off, s[0:3], 0 offset:172
	;; [unrolled: 1-line block ×56, first 2 shown]
	ds_read_b128 v[5:8], v70 offset:1152
	s_clause 0x2
	buffer_load_dword v66, off, s[0:3], 0 offset:396
	buffer_load_dword v68, off, s[0:3], 0 offset:372
	;; [unrolled: 1-line block ×3, first 2 shown]
	ds_read_b128 v[1:4], v70 offset:1168
	s_clause 0x4
	buffer_load_dword v78, off, s[0:3], 0 offset:412
	buffer_load_dword v79, off, s[0:3], 0 offset:424
	;; [unrolled: 1-line block ×5, first 2 shown]
	ds_read_b128 v[71:74], v70 offset:1184
	s_mov_b32 s4, exec_lo
	s_waitcnt vmcnt(62) lgkmcnt(2)
	v_mul_f64 v[75:76], v[7:8], v[17:18]
	v_mul_f64 v[17:18], v[5:6], v[17:18]
	s_waitcnt vmcnt(60) lgkmcnt(1)
	v_mul_f64 v[82:83], v[3:4], v[13:14]
	v_mul_f64 v[13:14], v[1:2], v[13:14]
	;; [unrolled: 3-line block ×3, first 2 shown]
	v_fma_f64 v[75:76], v[5:6], v[15:16], -v[75:76]
	v_fma_f64 v[15:16], v[7:8], v[15:16], v[17:18]
	s_clause 0x2
	buffer_load_dword v80, off, s[0:3], 0 offset:428
	buffer_load_dword v18, off, s[0:3], 0 offset:404
	;; [unrolled: 1-line block ×3, first 2 shown]
	s_waitcnt vmcnt(57)
	v_fma_f64 v[83:84], v[1:2], v[9:10], -v[82:83]
	ds_read_b128 v[5:8], v70 offset:1200
	v_fma_f64 v[9:10], v[3:4], v[9:10], v[13:14]
	s_waitcnt vmcnt(51)
	v_fma_f64 v[71:72], v[71:72], v[33:34], -v[11:12]
	v_fma_f64 v[33:34], v[73:74], v[33:34], v[117:118]
	v_add_f64 v[75:76], v[75:76], 0
	v_add_f64 v[13:14], v[15:16], 0
	s_clause 0x4
	buffer_load_dword v16, off, s[0:3], 0 offset:444
	buffer_load_dword v119, off, s[0:3], 0 offset:456
	;; [unrolled: 1-line block ×5, first 2 shown]
	s_waitcnt lgkmcnt(0)
	v_mul_f64 v[126:127], v[5:6], v[21:22]
	v_mul_f64 v[21:22], v[7:8], v[21:22]
	ds_read_b128 v[1:4], v70 offset:1216
	s_clause 0x2
	buffer_load_dword v120, off, s[0:3], 0 offset:460
	buffer_load_dword v74, off, s[0:3], 0 offset:436
	;; [unrolled: 1-line block ×3, first 2 shown]
	v_add_f64 v[75:76], v[75:76], v[83:84]
	v_add_f64 v[13:14], v[13:14], v[9:10]
	ds_read_b128 v[9:12], v70 offset:1232
	s_waitcnt vmcnt(58) lgkmcnt(1)
	v_mul_f64 v[83:84], v[1:2], v[25:26]
	v_mul_f64 v[25:26], v[3:4], v[25:26]
	s_waitcnt vmcnt(56)
	v_fma_f64 v[21:22], v[5:6], v[27:28], -v[21:22]
	v_fma_f64 v[27:28], v[7:8], v[27:28], v[126:127]
	s_waitcnt vmcnt(52) lgkmcnt(0)
	v_mul_f64 v[127:128], v[9:10], v[29:30]
	v_add_f64 v[71:72], v[75:76], v[71:72]
	v_add_f64 v[13:14], v[13:14], v[33:34]
	s_clause 0x4
	buffer_load_dword v34, off, s[0:3], 0 offset:476
	buffer_load_dword v75, off, s[0:3], 0 offset:488
	;; [unrolled: 1-line block ×5, first 2 shown]
	v_mul_f64 v[29:30], v[11:12], v[29:30]
	s_waitcnt vmcnt(56)
	v_fma_f64 v[25:26], v[1:2], v[19:20], -v[25:26]
	ds_read_b128 v[5:8], v70 offset:1248
	v_fma_f64 v[19:20], v[3:4], v[19:20], v[83:84]
	v_add_f64 v[21:22], v[71:72], v[21:22]
	v_add_f64 v[13:14], v[13:14], v[27:28]
	s_clause 0x2
	buffer_load_dword v76, off, s[0:3], 0 offset:492
	buffer_load_dword v28, off, s[0:3], 0 offset:468
	buffer_load_dword v27, off, s[0:3], 0 offset:464
	s_waitcnt vmcnt(58) lgkmcnt(0)
	v_mul_f64 v[71:72], v[5:6], v[35:36]
	v_mul_f64 v[35:36], v[7:8], v[35:36]
	s_waitcnt vmcnt(56)
	v_fma_f64 v[29:30], v[9:10], v[37:38], -v[29:30]
	ds_read_b128 v[1:4], v70 offset:1264
	v_add_f64 v[21:22], v[21:22], v[25:26]
	v_fma_f64 v[25:26], v[11:12], v[37:38], v[127:128]
	v_add_f64 v[13:14], v[13:14], v[19:20]
	s_clause 0x4
	buffer_load_dword v20, off, s[0:3], 0 offset:508
	buffer_load_dword v37, off, s[0:3], 0 offset:520
	;; [unrolled: 1-line block ×5, first 2 shown]
	s_waitcnt vmcnt(57) lgkmcnt(0)
	v_mul_f64 v[127:128], v[1:2], v[39:40]
	v_mul_f64 v[39:40], v[3:4], v[39:40]
	s_waitcnt vmcnt(56)
	v_fma_f64 v[35:36], v[5:6], v[23:24], -v[35:36]
	ds_read_b128 v[9:12], v70 offset:1280
	v_fma_f64 v[23:24], v[7:8], v[23:24], v[71:72]
	v_add_f64 v[21:22], v[21:22], v[29:30]
	v_add_f64 v[13:14], v[13:14], v[25:26]
	s_clause 0x2
	buffer_load_dword v38, off, s[0:3], 0 offset:524
	buffer_load_dword v26, off, s[0:3], 0 offset:500
	;; [unrolled: 1-line block ×3, first 2 shown]
	ds_read_b128 v[5:8], v70 offset:1296
	s_waitcnt vmcnt(58) lgkmcnt(1)
	v_mul_f64 v[29:30], v[9:10], v[43:44]
	v_mul_f64 v[43:44], v[11:12], v[43:44]
	s_waitcnt vmcnt(56)
	v_fma_f64 v[39:40], v[1:2], v[45:46], -v[39:40]
	v_add_f64 v[21:22], v[21:22], v[35:36]
	v_fma_f64 v[35:36], v[3:4], v[45:46], v[127:128]
	v_add_f64 v[13:14], v[13:14], v[23:24]
	s_clause 0x4
	buffer_load_dword v24, off, s[0:3], 0 offset:540
	buffer_load_dword v45, off, s[0:3], 0 offset:552
	buffer_load_dword v71, off, s[0:3], 0 offset:544
	buffer_load_dword v23, off, s[0:3], 0 offset:536
	buffer_load_dword v84, off, s[0:3], 0 offset:516
	s_waitcnt vmcnt(57) lgkmcnt(0)
	v_mul_f64 v[127:128], v[5:6], v[47:48]
	v_mul_f64 v[47:48], v[7:8], v[47:48]
	s_waitcnt vmcnt(56)
	v_fma_f64 v[43:44], v[9:10], v[31:32], -v[43:44]
	ds_read_b128 v[1:4], v70 offset:1312
	v_fma_f64 v[29:30], v[11:12], v[31:32], v[29:30]
	s_clause 0x2
	buffer_load_dword v46, off, s[0:3], 0 offset:556
	buffer_load_dword v32, off, s[0:3], 0 offset:532
	;; [unrolled: 1-line block ×3, first 2 shown]
	ds_read_b128 v[9:12], v70 offset:1328
	v_add_f64 v[21:22], v[21:22], v[39:40]
	v_add_f64 v[13:14], v[13:14], v[35:36]
	s_waitcnt vmcnt(58) lgkmcnt(1)
	v_mul_f64 v[39:40], v[3:4], v[51:52]
	s_waitcnt vmcnt(56)
	v_fma_f64 v[47:48], v[5:6], v[53:54], -v[47:48]
	v_mul_f64 v[35:36], v[1:2], v[51:52]
	v_add_f64 v[21:22], v[21:22], v[43:44]
	v_fma_f64 v[43:44], v[7:8], v[53:54], v[127:128]
	v_add_f64 v[13:14], v[13:14], v[29:30]
	s_clause 0x4
	buffer_load_dword v30, off, s[0:3], 0 offset:572
	buffer_load_dword v51, off, s[0:3], 0 offset:584
	buffer_load_dword v53, off, s[0:3], 0 offset:576
	buffer_load_dword v29, off, s[0:3], 0 offset:568
	buffer_load_dword v72, off, s[0:3], 0 offset:548
	s_waitcnt vmcnt(57) lgkmcnt(0)
	v_mul_f64 v[127:128], v[9:10], v[55:56]
	v_mul_f64 v[54:55], v[11:12], v[55:56]
	s_waitcnt vmcnt(56)
	v_fma_f64 v[39:40], v[1:2], v[41:42], -v[39:40]
	ds_read_b128 v[5:8], v70 offset:1344
	v_fma_f64 v[35:36], v[3:4], v[41:42], v[35:36]
	s_clause 0x2
	buffer_load_dword v52, off, s[0:3], 0 offset:588
	buffer_load_dword v42, off, s[0:3], 0 offset:564
	;; [unrolled: 1-line block ×3, first 2 shown]
	ds_read_b128 v[1:4], v70 offset:1360
	v_add_f64 v[21:22], v[21:22], v[47:48]
	v_add_f64 v[13:14], v[13:14], v[43:44]
	s_waitcnt vmcnt(58) lgkmcnt(1)
	v_mul_f64 v[47:48], v[7:8], v[59:60]
	s_waitcnt vmcnt(56)
	v_fma_f64 v[55:56], v[9:10], v[61:62], -v[54:55]
	v_mul_f64 v[43:44], v[5:6], v[59:60]
	v_add_f64 v[21:22], v[21:22], v[39:40]
	v_fma_f64 v[39:40], v[11:12], v[61:62], v[127:128]
	v_add_f64 v[13:14], v[13:14], v[35:36]
	s_clause 0x4
	buffer_load_dword v36, off, s[0:3], 0 offset:604
	buffer_load_dword v59, off, s[0:3], 0 offset:616
	;; [unrolled: 1-line block ×5, first 2 shown]
	s_waitcnt vmcnt(57) lgkmcnt(0)
	v_mul_f64 v[127:128], v[1:2], v[63:64]
	v_mul_f64 v[62:63], v[3:4], v[63:64]
	s_waitcnt vmcnt(56)
	v_fma_f64 v[47:48], v[5:6], v[49:50], -v[47:48]
	ds_read_b128 v[9:12], v70 offset:1376
	v_fma_f64 v[43:44], v[7:8], v[49:50], v[43:44]
	v_add_f64 v[21:22], v[21:22], v[55:56]
	v_add_f64 v[13:14], v[13:14], v[39:40]
	s_clause 0x2
	buffer_load_dword v60, off, s[0:3], 0 offset:620
	buffer_load_dword v40, off, s[0:3], 0 offset:596
	;; [unrolled: 1-line block ×3, first 2 shown]
	ds_read_b128 v[5:8], v70 offset:1392
	s_waitcnt vmcnt(58) lgkmcnt(1)
	v_mul_f64 v[55:56], v[11:12], v[65:66]
	s_waitcnt vmcnt(56)
	v_fma_f64 v[63:64], v[1:2], v[67:68], -v[62:63]
	v_mul_f64 v[49:50], v[9:10], v[65:66]
	v_add_f64 v[21:22], v[21:22], v[47:48]
	v_fma_f64 v[47:48], v[3:4], v[67:68], v[127:128]
	v_add_f64 v[13:14], v[13:14], v[43:44]
	s_clause 0x4
	buffer_load_dword v44, off, s[0:3], 0 offset:636
	buffer_load_dword v65, off, s[0:3], 0 offset:648
	;; [unrolled: 1-line block ×5, first 2 shown]
	s_waitcnt vmcnt(57) lgkmcnt(0)
	v_mul_f64 v[127:128], v[5:6], v[77:78]
	v_mul_f64 v[77:78], v[7:8], v[77:78]
	s_waitcnt vmcnt(56)
	v_fma_f64 v[55:56], v[9:10], v[57:58], -v[55:56]
	ds_read_b128 v[1:4], v70 offset:1408
	v_fma_f64 v[49:50], v[11:12], v[57:58], v[49:50]
	v_add_f64 v[21:22], v[21:22], v[63:64]
	v_add_f64 v[13:14], v[13:14], v[47:48]
	s_clause 0x2
	buffer_load_dword v66, off, s[0:3], 0 offset:652
	buffer_load_dword v48, off, s[0:3], 0 offset:628
	;; [unrolled: 1-line block ×3, first 2 shown]
	ds_read_b128 v[9:12], v70 offset:1424
	s_waitcnt vmcnt(58) lgkmcnt(1)
	v_mul_f64 v[63:64], v[3:4], v[79:80]
	v_mul_f64 v[57:58], v[1:2], v[79:80]
	s_waitcnt vmcnt(56)
	v_fma_f64 v[77:78], v[5:6], v[17:18], -v[77:78]
	v_fma_f64 v[17:18], v[7:8], v[17:18], v[127:128]
	v_add_f64 v[21:22], v[21:22], v[55:56]
	v_add_f64 v[13:14], v[13:14], v[49:50]
	s_clause 0x4
	buffer_load_dword v50, off, s[0:3], 0 offset:668
	buffer_load_dword v55, off, s[0:3], 0 offset:680
	;; [unrolled: 1-line block ×5, first 2 shown]
	ds_read_b128 v[5:8], v70 offset:1440
	s_waitcnt vmcnt(57) lgkmcnt(1)
	v_mul_f64 v[127:128], v[9:10], v[15:16]
	v_mul_f64 v[15:16], v[11:12], v[15:16]
	s_waitcnt vmcnt(56)
	v_fma_f64 v[63:64], v[1:2], v[81:82], -v[63:64]
	v_fma_f64 v[57:58], v[3:4], v[81:82], v[57:58]
	v_add_f64 v[21:22], v[21:22], v[77:78]
	v_add_f64 v[13:14], v[13:14], v[17:18]
	s_clause 0x2
	buffer_load_dword v56, off, s[0:3], 0 offset:684
	buffer_load_dword v18, off, s[0:3], 0 offset:660
	;; [unrolled: 1-line block ×3, first 2 shown]
	s_waitcnt vmcnt(58) lgkmcnt(0)
	v_mul_f64 v[81:82], v[7:8], v[119:120]
	ds_read_b128 v[1:4], v70 offset:1456
	v_mul_f64 v[77:78], v[5:6], v[119:120]
	s_waitcnt vmcnt(56)
	v_fma_f64 v[15:16], v[9:10], v[73:74], -v[15:16]
	v_add_f64 v[21:22], v[21:22], v[63:64]
	v_fma_f64 v[63:64], v[11:12], v[73:74], v[127:128]
	v_add_f64 v[13:14], v[13:14], v[57:58]
	s_clause 0x4
	buffer_load_dword v58, off, s[0:3], 0 offset:700
	buffer_load_dword v73, off, s[0:3], 0 offset:712
	;; [unrolled: 1-line block ×5, first 2 shown]
	ds_read_b128 v[9:12], v70 offset:1472
	s_waitcnt vmcnt(57) lgkmcnt(1)
	v_mul_f64 v[127:128], v[1:2], v[33:34]
	v_mul_f64 v[33:34], v[3:4], v[33:34]
	s_waitcnt vmcnt(56)
	v_fma_f64 v[81:82], v[5:6], v[125:126], -v[81:82]
	v_add_f64 v[15:16], v[21:22], v[15:16]
	v_fma_f64 v[21:22], v[7:8], v[125:126], v[77:78]
	v_add_f64 v[13:14], v[13:14], v[63:64]
	s_clause 0x2
	buffer_load_dword v74, off, s[0:3], 0 offset:716
	buffer_load_dword v64, off, s[0:3], 0 offset:692
	;; [unrolled: 1-line block ×3, first 2 shown]
	ds_read_b128 v[5:8], v70 offset:1488
	s_waitcnt vmcnt(58) lgkmcnt(1)
	v_mul_f64 v[77:78], v[9:10], v[75:76]
	v_mul_f64 v[75:76], v[11:12], v[75:76]
	s_waitcnt vmcnt(56)
	v_fma_f64 v[33:34], v[1:2], v[27:28], -v[33:34]
	v_fma_f64 v[27:28], v[3:4], v[27:28], v[127:128]
	v_add_f64 v[15:16], v[15:16], v[81:82]
	v_add_f64 v[13:14], v[13:14], v[21:22]
	s_clause 0x4
	buffer_load_dword v22, off, s[0:3], 0 offset:732
	buffer_load_dword v81, off, s[0:3], 0 offset:744
	;; [unrolled: 1-line block ×5, first 2 shown]
	ds_read_b128 v[1:4], v70 offset:1504
	s_waitcnt vmcnt(57) lgkmcnt(1)
	v_mul_f64 v[126:127], v[5:6], v[19:20]
	v_mul_f64 v[19:20], v[7:8], v[19:20]
	s_waitcnt vmcnt(56)
	v_fma_f64 v[75:76], v[9:10], v[117:118], -v[75:76]
	v_add_f64 v[15:16], v[15:16], v[33:34]
	v_fma_f64 v[33:34], v[11:12], v[117:118], v[77:78]
	v_add_f64 v[13:14], v[13:14], v[27:28]
	s_clause 0x2
	buffer_load_dword v82, off, s[0:3], 0 offset:748
	buffer_load_dword v28, off, s[0:3], 0 offset:724
	;; [unrolled: 1-line block ×3, first 2 shown]
	ds_read_b128 v[9:12], v70 offset:1520
	s_waitcnt vmcnt(58) lgkmcnt(1)
	v_mul_f64 v[77:78], v[1:2], v[37:38]
	v_mul_f64 v[37:38], v[3:4], v[37:38]
	s_waitcnt vmcnt(56)
	v_fma_f64 v[19:20], v[5:6], v[25:26], -v[19:20]
	v_fma_f64 v[25:26], v[7:8], v[25:26], v[126:127]
	v_add_f64 v[15:16], v[15:16], v[75:76]
	v_add_f64 v[13:14], v[13:14], v[33:34]
	s_clause 0x4
	buffer_load_dword v34, off, s[0:3], 0 offset:764
	buffer_load_dword v75, off, s[0:3], 0 offset:776
	;; [unrolled: 1-line block ×5, first 2 shown]
	ds_read_b128 v[5:8], v70 offset:1536
	s_waitcnt vmcnt(57) lgkmcnt(1)
	v_mul_f64 v[127:128], v[9:10], v[23:24]
	v_mul_f64 v[23:24], v[11:12], v[23:24]
	s_waitcnt vmcnt(56)
	v_fma_f64 v[37:38], v[1:2], v[83:84], -v[37:38]
	v_add_f64 v[15:16], v[15:16], v[19:20]
	v_fma_f64 v[19:20], v[3:4], v[83:84], v[77:78]
	v_add_f64 v[13:14], v[13:14], v[25:26]
	s_clause 0x2
	buffer_load_dword v76, off, s[0:3], 0 offset:780
	buffer_load_dword v26, off, s[0:3], 0 offset:756
	;; [unrolled: 1-line block ×3, first 2 shown]
	s_waitcnt vmcnt(58) lgkmcnt(0)
	v_mul_f64 v[77:78], v[5:6], v[45:46]
	v_mul_f64 v[45:46], v[7:8], v[45:46]
	ds_read_b128 v[1:4], v70 offset:1552
	s_waitcnt vmcnt(56)
	v_fma_f64 v[23:24], v[9:10], v[31:32], -v[23:24]
	v_fma_f64 v[31:32], v[11:12], v[31:32], v[127:128]
	v_add_f64 v[15:16], v[15:16], v[37:38]
	v_add_f64 v[13:14], v[13:14], v[19:20]
	s_clause 0x4
	buffer_load_dword v20, off, s[0:3], 0 offset:796
	buffer_load_dword v37, off, s[0:3], 0 offset:808
	;; [unrolled: 1-line block ×5, first 2 shown]
	ds_read_b128 v[9:12], v70 offset:1568
	s_waitcnt vmcnt(57) lgkmcnt(1)
	v_mul_f64 v[127:128], v[1:2], v[29:30]
	v_mul_f64 v[29:30], v[3:4], v[29:30]
	s_waitcnt vmcnt(56)
	v_fma_f64 v[45:46], v[5:6], v[71:72], -v[45:46]
	v_add_f64 v[15:16], v[15:16], v[23:24]
	v_fma_f64 v[23:24], v[7:8], v[71:72], v[77:78]
	v_add_f64 v[13:14], v[13:14], v[31:32]
	s_clause 0x2
	buffer_load_dword v38, off, s[0:3], 0 offset:812
	buffer_load_dword v32, off, s[0:3], 0 offset:788
	;; [unrolled: 1-line block ×3, first 2 shown]
	s_waitcnt vmcnt(58) lgkmcnt(0)
	v_mul_f64 v[71:72], v[9:10], v[51:52]
	v_mul_f64 v[51:52], v[11:12], v[51:52]
	ds_read_b128 v[5:8], v70 offset:1584
	s_waitcnt vmcnt(56)
	v_fma_f64 v[29:30], v[1:2], v[41:42], -v[29:30]
	v_fma_f64 v[41:42], v[3:4], v[41:42], v[127:128]
	v_add_f64 v[15:16], v[15:16], v[45:46]
	v_add_f64 v[13:14], v[13:14], v[23:24]
	s_clause 0x4
	buffer_load_dword v24, off, s[0:3], 0 offset:828
	buffer_load_dword v45, off, s[0:3], 0 offset:840
	buffer_load_dword v77, off, s[0:3], 0 offset:832
	buffer_load_dword v23, off, s[0:3], 0 offset:824
	buffer_load_dword v84, off, s[0:3], 0 offset:804
	ds_read_b128 v[1:4], v70 offset:1600
	s_waitcnt vmcnt(57) lgkmcnt(1)
	v_mul_f64 v[127:128], v[5:6], v[35:36]
	v_mul_f64 v[35:36], v[7:8], v[35:36]
	s_waitcnt vmcnt(56)
	v_fma_f64 v[51:52], v[9:10], v[53:54], -v[51:52]
	v_add_f64 v[15:16], v[15:16], v[29:30]
	v_fma_f64 v[29:30], v[11:12], v[53:54], v[71:72]
	v_add_f64 v[13:14], v[13:14], v[41:42]
	s_clause 0x2
	buffer_load_dword v46, off, s[0:3], 0 offset:844
	buffer_load_dword v42, off, s[0:3], 0 offset:820
	buffer_load_dword v41, off, s[0:3], 0 offset:816
	ds_read_b128 v[9:12], v70 offset:1616
	s_waitcnt vmcnt(58) lgkmcnt(1)
	v_mul_f64 v[53:54], v[1:2], v[59:60]
	v_mul_f64 v[59:60], v[3:4], v[59:60]
	s_waitcnt vmcnt(56)
	v_fma_f64 v[35:36], v[5:6], v[39:40], -v[35:36]
	v_fma_f64 v[39:40], v[7:8], v[39:40], v[127:128]
	v_add_f64 v[15:16], v[15:16], v[51:52]
	v_add_f64 v[13:14], v[13:14], v[29:30]
	s_clause 0x4
	buffer_load_dword v30, off, s[0:3], 0 offset:860
	buffer_load_dword v51, off, s[0:3], 0 offset:872
	buffer_load_dword v71, off, s[0:3], 0 offset:864
	buffer_load_dword v29, off, s[0:3], 0 offset:856
	buffer_load_dword v78, off, s[0:3], 0 offset:836
	ds_read_b128 v[5:8], v70 offset:1632
	s_waitcnt vmcnt(57) lgkmcnt(1)
	v_mul_f64 v[127:128], v[9:10], v[43:44]
	v_mul_f64 v[43:44], v[11:12], v[43:44]
	s_waitcnt vmcnt(56)
	v_fma_f64 v[59:60], v[1:2], v[61:62], -v[59:60]
	v_add_f64 v[15:16], v[15:16], v[35:36]
	v_fma_f64 v[35:36], v[3:4], v[61:62], v[53:54]
	v_add_f64 v[13:14], v[13:14], v[39:40]
	s_clause 0x2
	buffer_load_dword v52, off, s[0:3], 0 offset:876
	buffer_load_dword v40, off, s[0:3], 0 offset:852
	buffer_load_dword v39, off, s[0:3], 0 offset:848
	ds_read_b128 v[1:4], v70 offset:1648
	s_waitcnt vmcnt(58) lgkmcnt(1)
	v_mul_f64 v[61:62], v[7:8], v[65:66]
	v_mul_f64 v[53:54], v[5:6], v[65:66]
	;; [unrolled: 28-line block ×4, first 2 shown]
	s_waitcnt vmcnt(56)
	v_fma_f64 v[57:58], v[5:6], v[63:64], -v[57:58]
	v_add_f64 v[15:16], v[15:16], v[55:56]
	v_fma_f64 v[55:56], v[7:8], v[63:64], v[127:128]
	v_add_f64 v[13:14], v[13:14], v[49:50]
	s_clause 0x4
	buffer_load_dword v50, off, s[0:3], 0 offset:956
	buffer_load_dword v63, off, s[0:3], 0 offset:968
	;; [unrolled: 1-line block ×5, first 2 shown]
	ds_read_b128 v[5:8], v70 offset:1728
	s_waitcnt vmcnt(57) lgkmcnt(1)
	v_mul_f64 v[127:128], v[9:10], v[21:22]
	v_mul_f64 v[21:22], v[11:12], v[21:22]
	s_waitcnt vmcnt(56)
	v_fma_f64 v[73:74], v[1:2], v[119:120], -v[73:74]
	v_fma_f64 v[53:54], v[3:4], v[119:120], v[53:54]
	v_add_f64 v[15:16], v[15:16], v[57:58]
	v_add_f64 v[13:14], v[13:14], v[55:56]
	s_clause 0x2
	buffer_load_dword v64, off, s[0:3], 0 offset:972
	buffer_load_dword v56, off, s[0:3], 0 offset:948
	buffer_load_dword v55, off, s[0:3], 0 offset:944
	ds_read_b128 v[1:4], v70 offset:1744
	s_waitcnt vmcnt(58) lgkmcnt(1)
	v_mul_f64 v[57:58], v[5:6], v[81:82]
	v_mul_f64 v[81:82], v[7:8], v[81:82]
	s_waitcnt vmcnt(56)
	v_fma_f64 v[21:22], v[9:10], v[27:28], -v[21:22]
	v_fma_f64 v[27:28], v[11:12], v[27:28], v[127:128]
	v_add_f64 v[15:16], v[15:16], v[73:74]
	v_add_f64 v[13:14], v[13:14], v[53:54]
	s_clause 0x4
	buffer_load_dword v54, off, s[0:3], 0 offset:988
	buffer_load_dword v73, off, s[0:3], 0 offset:1000
	;; [unrolled: 1-line block ×5, first 2 shown]
	ds_read_b128 v[9:12], v70 offset:1760
	s_waitcnt vmcnt(57) lgkmcnt(1)
	v_mul_f64 v[127:128], v[1:2], v[33:34]
	v_mul_f64 v[33:34], v[3:4], v[33:34]
	s_waitcnt vmcnt(56)
	v_fma_f64 v[81:82], v[5:6], v[125:126], -v[81:82]
	v_add_f64 v[15:16], v[15:16], v[21:22]
	v_fma_f64 v[21:22], v[7:8], v[125:126], v[57:58]
	v_add_f64 v[13:14], v[13:14], v[27:28]
	s_clause 0x2
	buffer_load_dword v74, off, s[0:3], 0 offset:1004
	buffer_load_dword v28, off, s[0:3], 0 offset:980
	;; [unrolled: 1-line block ×3, first 2 shown]
	ds_read_b128 v[5:8], v70 offset:1776
	s_waitcnt vmcnt(58) lgkmcnt(1)
	v_mul_f64 v[57:58], v[9:10], v[75:76]
	v_mul_f64 v[75:76], v[11:12], v[75:76]
	s_waitcnt vmcnt(56)
	v_fma_f64 v[33:34], v[1:2], v[25:26], -v[33:34]
	v_fma_f64 v[25:26], v[3:4], v[25:26], v[127:128]
	v_add_f64 v[15:16], v[15:16], v[81:82]
	v_add_f64 v[13:14], v[13:14], v[21:22]
	s_clause 0x2
	buffer_load_dword v22, off, s[0:3], 0 offset:1020
	buffer_load_dword v21, off, s[0:3], 0 offset:1016
	;; [unrolled: 1-line block ×3, first 2 shown]
	ds_read_b128 v[1:4], v70 offset:1792
	s_waitcnt vmcnt(55) lgkmcnt(1)
	v_mul_f64 v[81:82], v[5:6], v[19:20]
	v_mul_f64 v[19:20], v[7:8], v[19:20]
	s_waitcnt vmcnt(54)
	v_fma_f64 v[75:76], v[9:10], v[117:118], -v[75:76]
	v_add_f64 v[15:16], v[15:16], v[33:34]
	v_fma_f64 v[33:34], v[11:12], v[117:118], v[57:58]
	v_add_f64 v[13:14], v[13:14], v[25:26]
	s_clause 0x1
	buffer_load_dword v26, off, s[0:3], 0 offset:1012
	buffer_load_dword v25, off, s[0:3], 0 offset:1008
	ds_read_b128 v[9:12], v70 offset:1808
	s_waitcnt vmcnt(55) lgkmcnt(1)
	v_mul_f64 v[57:58], v[1:2], v[37:38]
	v_mul_f64 v[37:38], v[3:4], v[37:38]
	s_waitcnt vmcnt(53)
	v_fma_f64 v[19:20], v[5:6], v[31:32], -v[19:20]
	v_fma_f64 v[31:32], v[7:8], v[31:32], v[81:82]
	ds_read_b128 v[5:8], v70 offset:1824
	v_add_f64 v[15:16], v[15:16], v[75:76]
	v_add_f64 v[13:14], v[13:14], v[33:34]
	s_waitcnt vmcnt(49) lgkmcnt(1)
	v_mul_f64 v[33:34], v[9:10], v[23:24]
	v_mul_f64 v[23:24], v[11:12], v[23:24]
	s_waitcnt vmcnt(48)
	v_fma_f64 v[37:38], v[1:2], v[83:84], -v[37:38]
	v_add_f64 v[15:16], v[15:16], v[19:20]
	v_fma_f64 v[19:20], v[3:4], v[83:84], v[57:58]
	v_add_f64 v[13:14], v[13:14], v[31:32]
	s_clause 0x3
	buffer_load_dword v31, off, s[0:3], 0 offset:144
	buffer_load_dword v32, off, s[0:3], 0 offset:148
	;; [unrolled: 1-line block ×4, first 2 shown]
	ds_read_b128 v[1:4], v70 offset:1840
	s_waitcnt vmcnt(51) lgkmcnt(1)
	v_mul_f64 v[75:76], v[5:6], v[45:46]
	v_mul_f64 v[45:46], v[7:8], v[45:46]
	s_waitcnt vmcnt(49)
	v_fma_f64 v[23:24], v[9:10], v[41:42], -v[23:24]
	v_fma_f64 v[33:34], v[11:12], v[41:42], v[33:34]
	ds_read_b128 v[9:12], v70 offset:1856
	v_add_f64 v[15:16], v[15:16], v[37:38]
	v_add_f64 v[13:14], v[13:14], v[19:20]
	s_waitcnt vmcnt(45) lgkmcnt(1)
	v_mul_f64 v[19:20], v[1:2], v[29:30]
	v_mul_f64 v[29:30], v[3:4], v[29:30]
	s_waitcnt vmcnt(44)
	v_fma_f64 v[37:38], v[5:6], v[77:78], -v[45:46]
	v_add_f64 v[15:16], v[15:16], v[23:24]
	v_fma_f64 v[23:24], v[7:8], v[77:78], v[75:76]
	v_add_f64 v[13:14], v[13:14], v[33:34]
	ds_read_b128 v[5:8], v70 offset:1872
	s_waitcnt vmcnt(43) lgkmcnt(1)
	v_mul_f64 v[41:42], v[11:12], v[51:52]
	v_mul_f64 v[33:34], v[9:10], v[51:52]
	s_waitcnt vmcnt(41)
	v_fma_f64 v[29:30], v[1:2], v[39:40], -v[29:30]
	v_fma_f64 v[19:20], v[3:4], v[39:40], v[19:20]
	ds_read_b128 v[1:4], v70 offset:1888
	v_add_f64 v[15:16], v[15:16], v[37:38]
	v_add_f64 v[13:14], v[13:14], v[23:24]
	s_waitcnt vmcnt(37) lgkmcnt(1)
	v_mul_f64 v[23:24], v[5:6], v[35:36]
	v_mul_f64 v[35:36], v[7:8], v[35:36]
	s_waitcnt vmcnt(36)
	v_fma_f64 v[37:38], v[9:10], v[71:72], -v[41:42]
	v_add_f64 v[15:16], v[15:16], v[29:30]
	v_fma_f64 v[29:30], v[11:12], v[71:72], v[33:34]
	v_add_f64 v[13:14], v[13:14], v[19:20]
	ds_read_b128 v[9:12], v70 offset:1904
	s_waitcnt vmcnt(35) lgkmcnt(1)
	v_mul_f64 v[33:34], v[3:4], v[59:60]
	v_mul_f64 v[19:20], v[1:2], v[59:60]
	s_waitcnt vmcnt(33)
	v_fma_f64 v[35:36], v[5:6], v[47:48], -v[35:36]
	v_fma_f64 v[23:24], v[7:8], v[47:48], v[23:24]
	ds_read_b128 v[5:8], v70 offset:1920
	v_add_f64 v[15:16], v[15:16], v[37:38]
	v_add_f64 v[13:14], v[13:14], v[29:30]
	s_waitcnt vmcnt(29) lgkmcnt(1)
	v_mul_f64 v[37:38], v[11:12], v[43:44]
	s_waitcnt vmcnt(28)
	v_fma_f64 v[33:34], v[1:2], v[65:66], -v[33:34]
	v_mul_f64 v[29:30], v[9:10], v[43:44]
	v_fma_f64 v[19:20], v[3:4], v[65:66], v[19:20]
	ds_read_b128 v[1:4], v70 offset:1936
	v_add_f64 v[15:16], v[15:16], v[35:36]
	v_add_f64 v[13:14], v[13:14], v[23:24]
	s_waitcnt vmcnt(27) lgkmcnt(1)
	v_mul_f64 v[35:36], v[7:8], v[61:62]
	v_mul_f64 v[23:24], v[5:6], v[61:62]
	s_waitcnt vmcnt(25)
	v_fma_f64 v[37:38], v[9:10], v[17:18], -v[37:38]
	v_fma_f64 v[17:18], v[11:12], v[17:18], v[29:30]
	ds_read_b128 v[9:12], v70 offset:1952
	v_add_f64 v[15:16], v[15:16], v[33:34]
	v_add_f64 v[13:14], v[13:14], v[19:20]
	s_waitcnt vmcnt(21) lgkmcnt(1)
	v_mul_f64 v[29:30], v[3:4], v[49:50]
	s_waitcnt vmcnt(20)
	v_fma_f64 v[33:34], v[5:6], v[67:68], -v[35:36]
	v_mul_f64 v[19:20], v[1:2], v[49:50]
	v_fma_f64 v[23:24], v[7:8], v[67:68], v[23:24]
	ds_read_b128 v[5:8], v70 offset:1968
	v_add_f64 v[15:16], v[15:16], v[37:38]
	v_add_f64 v[13:14], v[13:14], v[17:18]
	;; [unrolled: 18-line block ×3, first 2 shown]
	s_waitcnt vmcnt(11) lgkmcnt(1)
	v_mul_f64 v[29:30], v[3:4], v[73:74]
	v_mul_f64 v[19:20], v[1:2], v[73:74]
	s_waitcnt vmcnt(9)
	v_fma_f64 v[5:6], v[5:6], v[27:28], -v[33:34]
	v_fma_f64 v[7:8], v[7:8], v[27:28], v[23:24]
	v_add_f64 v[15:16], v[15:16], v[35:36]
	v_add_f64 v[13:14], v[13:14], v[17:18]
	s_waitcnt vmcnt(7) lgkmcnt(0)
	v_mul_f64 v[17:18], v[9:10], v[21:22]
	v_mul_f64 v[21:22], v[11:12], v[21:22]
	s_waitcnt vmcnt(6)
	v_fma_f64 v[1:2], v[1:2], v[119:120], -v[29:30]
	v_fma_f64 v[3:4], v[3:4], v[119:120], v[19:20]
	v_add_f64 v[5:6], v[15:16], v[5:6]
	v_add_f64 v[7:8], v[13:14], v[7:8]
	s_waitcnt vmcnt(4)
	v_fma_f64 v[9:10], v[9:10], v[25:26], -v[21:22]
	v_add_f64 v[1:2], v[5:6], v[1:2]
	v_fma_f64 v[5:6], v[11:12], v[25:26], v[17:18]
	v_add_f64 v[3:4], v[7:8], v[3:4]
	v_add_f64 v[1:2], v[1:2], v[9:10]
	;; [unrolled: 1-line block ×3, first 2 shown]
	s_waitcnt vmcnt(2)
	v_add_f64 v[1:2], v[31:32], -v[1:2]
	s_waitcnt vmcnt(0)
	v_add_f64 v[3:4], v[57:58], -v[3:4]
	buffer_store_dword v2, off, s[0:3], 0 offset:148
	buffer_store_dword v1, off, s[0:3], 0 offset:144
	;; [unrolled: 1-line block ×4, first 2 shown]
	v_cmpx_lt_u32_e32 7, v0
	s_cbranch_execz .LBB62_389
; %bb.388:
	v_mov_b32_e32 v4, s72
	v_mov_b32_e32 v5, 0
	s_clause 0x3
	buffer_load_dword v1, v4, s[0:3], 0 offen
	buffer_load_dword v2, v4, s[0:3], 0 offen offset:4
	buffer_load_dword v3, v4, s[0:3], 0 offen offset:8
	;; [unrolled: 1-line block ×3, first 2 shown]
	buffer_store_dword v5, off, s[0:3], 0 offset:128
	buffer_store_dword v5, off, s[0:3], 0 offset:132
	buffer_store_dword v5, off, s[0:3], 0 offset:136
	buffer_store_dword v5, off, s[0:3], 0 offset:140
	s_waitcnt vmcnt(0)
	ds_write_b128 v69, v[1:4]
.LBB62_389:
	s_or_b32 exec_lo, exec_lo, s4
	s_waitcnt lgkmcnt(0)
	s_waitcnt_vscnt null, 0x0
	s_barrier
	buffer_gl0_inv
	s_clause 0x37
	buffer_load_dword v17, off, s[0:3], 0 offset:152
	buffer_load_dword v18, off, s[0:3], 0 offset:156
	;; [unrolled: 1-line block ×56, first 2 shown]
	v_mov_b32_e32 v70, 0
	s_mov_b32 s4, exec_lo
	ds_read_b128 v[5:8], v70 offset:1136
	s_clause 0x2
	buffer_load_dword v66, off, s[0:3], 0 offset:380
	buffer_load_dword v68, off, s[0:3], 0 offset:356
	;; [unrolled: 1-line block ×3, first 2 shown]
	ds_read_b128 v[1:4], v70 offset:1152
	s_clause 0x4
	buffer_load_dword v78, off, s[0:3], 0 offset:396
	buffer_load_dword v79, off, s[0:3], 0 offset:408
	;; [unrolled: 1-line block ×5, first 2 shown]
	ds_read_b128 v[71:74], v70 offset:1168
	s_waitcnt vmcnt(62) lgkmcnt(2)
	v_mul_f64 v[75:76], v[7:8], v[17:18]
	v_mul_f64 v[17:18], v[5:6], v[17:18]
	s_waitcnt vmcnt(60) lgkmcnt(1)
	v_mul_f64 v[82:83], v[3:4], v[13:14]
	v_mul_f64 v[13:14], v[1:2], v[13:14]
	;; [unrolled: 3-line block ×3, first 2 shown]
	v_fma_f64 v[75:76], v[5:6], v[15:16], -v[75:76]
	v_fma_f64 v[15:16], v[7:8], v[15:16], v[17:18]
	s_clause 0x2
	buffer_load_dword v80, off, s[0:3], 0 offset:412
	buffer_load_dword v18, off, s[0:3], 0 offset:388
	;; [unrolled: 1-line block ×3, first 2 shown]
	s_waitcnt vmcnt(57)
	v_fma_f64 v[83:84], v[1:2], v[9:10], -v[82:83]
	ds_read_b128 v[5:8], v70 offset:1184
	v_fma_f64 v[9:10], v[3:4], v[9:10], v[13:14]
	s_waitcnt vmcnt(51)
	v_fma_f64 v[71:72], v[71:72], v[33:34], -v[11:12]
	v_fma_f64 v[33:34], v[73:74], v[33:34], v[117:118]
	v_add_f64 v[75:76], v[75:76], 0
	v_add_f64 v[13:14], v[15:16], 0
	s_clause 0x4
	buffer_load_dword v16, off, s[0:3], 0 offset:428
	buffer_load_dword v119, off, s[0:3], 0 offset:440
	;; [unrolled: 1-line block ×5, first 2 shown]
	s_waitcnt lgkmcnt(0)
	v_mul_f64 v[126:127], v[5:6], v[21:22]
	v_mul_f64 v[21:22], v[7:8], v[21:22]
	ds_read_b128 v[1:4], v70 offset:1200
	s_clause 0x2
	buffer_load_dword v120, off, s[0:3], 0 offset:444
	buffer_load_dword v74, off, s[0:3], 0 offset:420
	;; [unrolled: 1-line block ×3, first 2 shown]
	v_add_f64 v[75:76], v[75:76], v[83:84]
	v_add_f64 v[13:14], v[13:14], v[9:10]
	ds_read_b128 v[9:12], v70 offset:1216
	s_waitcnt vmcnt(58) lgkmcnt(1)
	v_mul_f64 v[83:84], v[1:2], v[25:26]
	v_mul_f64 v[25:26], v[3:4], v[25:26]
	s_waitcnt vmcnt(56)
	v_fma_f64 v[21:22], v[5:6], v[27:28], -v[21:22]
	v_fma_f64 v[27:28], v[7:8], v[27:28], v[126:127]
	s_waitcnt vmcnt(52) lgkmcnt(0)
	v_mul_f64 v[127:128], v[9:10], v[29:30]
	v_add_f64 v[71:72], v[75:76], v[71:72]
	v_add_f64 v[13:14], v[13:14], v[33:34]
	s_clause 0x4
	buffer_load_dword v34, off, s[0:3], 0 offset:460
	buffer_load_dword v75, off, s[0:3], 0 offset:472
	;; [unrolled: 1-line block ×5, first 2 shown]
	v_mul_f64 v[29:30], v[11:12], v[29:30]
	s_waitcnt vmcnt(56)
	v_fma_f64 v[25:26], v[1:2], v[19:20], -v[25:26]
	ds_read_b128 v[5:8], v70 offset:1232
	v_fma_f64 v[19:20], v[3:4], v[19:20], v[83:84]
	v_add_f64 v[21:22], v[71:72], v[21:22]
	v_add_f64 v[13:14], v[13:14], v[27:28]
	s_clause 0x2
	buffer_load_dword v76, off, s[0:3], 0 offset:476
	buffer_load_dword v28, off, s[0:3], 0 offset:452
	;; [unrolled: 1-line block ×3, first 2 shown]
	s_waitcnt vmcnt(58) lgkmcnt(0)
	v_mul_f64 v[71:72], v[5:6], v[35:36]
	v_mul_f64 v[35:36], v[7:8], v[35:36]
	s_waitcnt vmcnt(56)
	v_fma_f64 v[29:30], v[9:10], v[37:38], -v[29:30]
	ds_read_b128 v[1:4], v70 offset:1248
	v_add_f64 v[21:22], v[21:22], v[25:26]
	v_fma_f64 v[25:26], v[11:12], v[37:38], v[127:128]
	v_add_f64 v[13:14], v[13:14], v[19:20]
	s_clause 0x4
	buffer_load_dword v20, off, s[0:3], 0 offset:492
	buffer_load_dword v37, off, s[0:3], 0 offset:504
	;; [unrolled: 1-line block ×5, first 2 shown]
	s_waitcnt vmcnt(57) lgkmcnt(0)
	v_mul_f64 v[127:128], v[1:2], v[39:40]
	v_mul_f64 v[39:40], v[3:4], v[39:40]
	s_waitcnt vmcnt(56)
	v_fma_f64 v[35:36], v[5:6], v[23:24], -v[35:36]
	ds_read_b128 v[9:12], v70 offset:1264
	v_fma_f64 v[23:24], v[7:8], v[23:24], v[71:72]
	v_add_f64 v[21:22], v[21:22], v[29:30]
	v_add_f64 v[13:14], v[13:14], v[25:26]
	s_clause 0x2
	buffer_load_dword v38, off, s[0:3], 0 offset:508
	buffer_load_dword v26, off, s[0:3], 0 offset:484
	;; [unrolled: 1-line block ×3, first 2 shown]
	ds_read_b128 v[5:8], v70 offset:1280
	s_waitcnt vmcnt(58) lgkmcnt(1)
	v_mul_f64 v[29:30], v[9:10], v[43:44]
	v_mul_f64 v[43:44], v[11:12], v[43:44]
	s_waitcnt vmcnt(56)
	v_fma_f64 v[39:40], v[1:2], v[45:46], -v[39:40]
	v_add_f64 v[21:22], v[21:22], v[35:36]
	v_fma_f64 v[35:36], v[3:4], v[45:46], v[127:128]
	v_add_f64 v[13:14], v[13:14], v[23:24]
	s_clause 0x4
	buffer_load_dword v24, off, s[0:3], 0 offset:524
	buffer_load_dword v45, off, s[0:3], 0 offset:536
	;; [unrolled: 1-line block ×5, first 2 shown]
	s_waitcnt vmcnt(57) lgkmcnt(0)
	v_mul_f64 v[127:128], v[5:6], v[47:48]
	v_mul_f64 v[47:48], v[7:8], v[47:48]
	s_waitcnt vmcnt(56)
	v_fma_f64 v[43:44], v[9:10], v[31:32], -v[43:44]
	ds_read_b128 v[1:4], v70 offset:1296
	v_fma_f64 v[29:30], v[11:12], v[31:32], v[29:30]
	s_clause 0x2
	buffer_load_dword v46, off, s[0:3], 0 offset:540
	buffer_load_dword v32, off, s[0:3], 0 offset:516
	;; [unrolled: 1-line block ×3, first 2 shown]
	ds_read_b128 v[9:12], v70 offset:1312
	v_add_f64 v[21:22], v[21:22], v[39:40]
	v_add_f64 v[13:14], v[13:14], v[35:36]
	s_waitcnt vmcnt(58) lgkmcnt(1)
	v_mul_f64 v[39:40], v[3:4], v[51:52]
	s_waitcnt vmcnt(56)
	v_fma_f64 v[47:48], v[5:6], v[53:54], -v[47:48]
	v_mul_f64 v[35:36], v[1:2], v[51:52]
	v_add_f64 v[21:22], v[21:22], v[43:44]
	v_fma_f64 v[43:44], v[7:8], v[53:54], v[127:128]
	v_add_f64 v[13:14], v[13:14], v[29:30]
	s_clause 0x4
	buffer_load_dword v30, off, s[0:3], 0 offset:556
	buffer_load_dword v51, off, s[0:3], 0 offset:568
	buffer_load_dword v53, off, s[0:3], 0 offset:560
	buffer_load_dword v29, off, s[0:3], 0 offset:552
	buffer_load_dword v72, off, s[0:3], 0 offset:532
	s_waitcnt vmcnt(57) lgkmcnt(0)
	v_mul_f64 v[127:128], v[9:10], v[55:56]
	v_mul_f64 v[54:55], v[11:12], v[55:56]
	s_waitcnt vmcnt(56)
	v_fma_f64 v[39:40], v[1:2], v[41:42], -v[39:40]
	ds_read_b128 v[5:8], v70 offset:1328
	v_fma_f64 v[35:36], v[3:4], v[41:42], v[35:36]
	s_clause 0x2
	buffer_load_dword v52, off, s[0:3], 0 offset:572
	buffer_load_dword v42, off, s[0:3], 0 offset:548
	;; [unrolled: 1-line block ×3, first 2 shown]
	ds_read_b128 v[1:4], v70 offset:1344
	v_add_f64 v[21:22], v[21:22], v[47:48]
	v_add_f64 v[13:14], v[13:14], v[43:44]
	s_waitcnt vmcnt(58) lgkmcnt(1)
	v_mul_f64 v[47:48], v[7:8], v[59:60]
	s_waitcnt vmcnt(56)
	v_fma_f64 v[55:56], v[9:10], v[61:62], -v[54:55]
	v_mul_f64 v[43:44], v[5:6], v[59:60]
	v_add_f64 v[21:22], v[21:22], v[39:40]
	v_fma_f64 v[39:40], v[11:12], v[61:62], v[127:128]
	v_add_f64 v[13:14], v[13:14], v[35:36]
	s_clause 0x4
	buffer_load_dword v36, off, s[0:3], 0 offset:588
	buffer_load_dword v59, off, s[0:3], 0 offset:600
	;; [unrolled: 1-line block ×5, first 2 shown]
	s_waitcnt vmcnt(57) lgkmcnt(0)
	v_mul_f64 v[127:128], v[1:2], v[63:64]
	v_mul_f64 v[62:63], v[3:4], v[63:64]
	s_waitcnt vmcnt(56)
	v_fma_f64 v[47:48], v[5:6], v[49:50], -v[47:48]
	ds_read_b128 v[9:12], v70 offset:1360
	v_fma_f64 v[43:44], v[7:8], v[49:50], v[43:44]
	v_add_f64 v[21:22], v[21:22], v[55:56]
	v_add_f64 v[13:14], v[13:14], v[39:40]
	s_clause 0x2
	buffer_load_dword v60, off, s[0:3], 0 offset:604
	buffer_load_dword v40, off, s[0:3], 0 offset:580
	;; [unrolled: 1-line block ×3, first 2 shown]
	ds_read_b128 v[5:8], v70 offset:1376
	s_waitcnt vmcnt(58) lgkmcnt(1)
	v_mul_f64 v[55:56], v[11:12], v[65:66]
	s_waitcnt vmcnt(56)
	v_fma_f64 v[63:64], v[1:2], v[67:68], -v[62:63]
	v_mul_f64 v[49:50], v[9:10], v[65:66]
	v_add_f64 v[21:22], v[21:22], v[47:48]
	v_fma_f64 v[47:48], v[3:4], v[67:68], v[127:128]
	v_add_f64 v[13:14], v[13:14], v[43:44]
	s_clause 0x4
	buffer_load_dword v44, off, s[0:3], 0 offset:620
	buffer_load_dword v65, off, s[0:3], 0 offset:632
	;; [unrolled: 1-line block ×5, first 2 shown]
	s_waitcnt vmcnt(57) lgkmcnt(0)
	v_mul_f64 v[127:128], v[5:6], v[77:78]
	v_mul_f64 v[77:78], v[7:8], v[77:78]
	s_waitcnt vmcnt(56)
	v_fma_f64 v[55:56], v[9:10], v[57:58], -v[55:56]
	ds_read_b128 v[1:4], v70 offset:1392
	v_fma_f64 v[49:50], v[11:12], v[57:58], v[49:50]
	v_add_f64 v[21:22], v[21:22], v[63:64]
	v_add_f64 v[13:14], v[13:14], v[47:48]
	s_clause 0x2
	buffer_load_dword v66, off, s[0:3], 0 offset:636
	buffer_load_dword v48, off, s[0:3], 0 offset:612
	;; [unrolled: 1-line block ×3, first 2 shown]
	ds_read_b128 v[9:12], v70 offset:1408
	s_waitcnt vmcnt(58) lgkmcnt(1)
	v_mul_f64 v[63:64], v[3:4], v[79:80]
	v_mul_f64 v[57:58], v[1:2], v[79:80]
	s_waitcnt vmcnt(56)
	v_fma_f64 v[77:78], v[5:6], v[17:18], -v[77:78]
	v_fma_f64 v[17:18], v[7:8], v[17:18], v[127:128]
	v_add_f64 v[21:22], v[21:22], v[55:56]
	v_add_f64 v[13:14], v[13:14], v[49:50]
	s_clause 0x4
	buffer_load_dword v50, off, s[0:3], 0 offset:652
	buffer_load_dword v55, off, s[0:3], 0 offset:664
	;; [unrolled: 1-line block ×5, first 2 shown]
	ds_read_b128 v[5:8], v70 offset:1424
	s_waitcnt vmcnt(57) lgkmcnt(1)
	v_mul_f64 v[127:128], v[9:10], v[15:16]
	v_mul_f64 v[15:16], v[11:12], v[15:16]
	s_waitcnt vmcnt(56)
	v_fma_f64 v[63:64], v[1:2], v[81:82], -v[63:64]
	v_fma_f64 v[57:58], v[3:4], v[81:82], v[57:58]
	v_add_f64 v[21:22], v[21:22], v[77:78]
	v_add_f64 v[13:14], v[13:14], v[17:18]
	s_clause 0x2
	buffer_load_dword v56, off, s[0:3], 0 offset:668
	buffer_load_dword v18, off, s[0:3], 0 offset:644
	;; [unrolled: 1-line block ×3, first 2 shown]
	s_waitcnt vmcnt(58) lgkmcnt(0)
	v_mul_f64 v[81:82], v[7:8], v[119:120]
	ds_read_b128 v[1:4], v70 offset:1440
	v_mul_f64 v[77:78], v[5:6], v[119:120]
	s_waitcnt vmcnt(56)
	v_fma_f64 v[15:16], v[9:10], v[73:74], -v[15:16]
	v_add_f64 v[21:22], v[21:22], v[63:64]
	v_fma_f64 v[63:64], v[11:12], v[73:74], v[127:128]
	v_add_f64 v[13:14], v[13:14], v[57:58]
	s_clause 0x4
	buffer_load_dword v58, off, s[0:3], 0 offset:684
	buffer_load_dword v73, off, s[0:3], 0 offset:696
	;; [unrolled: 1-line block ×5, first 2 shown]
	ds_read_b128 v[9:12], v70 offset:1456
	s_waitcnt vmcnt(57) lgkmcnt(1)
	v_mul_f64 v[127:128], v[1:2], v[33:34]
	v_mul_f64 v[33:34], v[3:4], v[33:34]
	s_waitcnt vmcnt(56)
	v_fma_f64 v[81:82], v[5:6], v[125:126], -v[81:82]
	v_add_f64 v[15:16], v[21:22], v[15:16]
	v_fma_f64 v[21:22], v[7:8], v[125:126], v[77:78]
	v_add_f64 v[13:14], v[13:14], v[63:64]
	s_clause 0x2
	buffer_load_dword v74, off, s[0:3], 0 offset:700
	buffer_load_dword v64, off, s[0:3], 0 offset:676
	;; [unrolled: 1-line block ×3, first 2 shown]
	ds_read_b128 v[5:8], v70 offset:1472
	s_waitcnt vmcnt(58) lgkmcnt(1)
	v_mul_f64 v[77:78], v[9:10], v[75:76]
	v_mul_f64 v[75:76], v[11:12], v[75:76]
	s_waitcnt vmcnt(56)
	v_fma_f64 v[33:34], v[1:2], v[27:28], -v[33:34]
	v_fma_f64 v[27:28], v[3:4], v[27:28], v[127:128]
	v_add_f64 v[15:16], v[15:16], v[81:82]
	v_add_f64 v[13:14], v[13:14], v[21:22]
	s_clause 0x4
	buffer_load_dword v22, off, s[0:3], 0 offset:716
	buffer_load_dword v81, off, s[0:3], 0 offset:728
	;; [unrolled: 1-line block ×5, first 2 shown]
	ds_read_b128 v[1:4], v70 offset:1488
	s_waitcnt vmcnt(57) lgkmcnt(1)
	v_mul_f64 v[126:127], v[5:6], v[19:20]
	v_mul_f64 v[19:20], v[7:8], v[19:20]
	s_waitcnt vmcnt(56)
	v_fma_f64 v[75:76], v[9:10], v[117:118], -v[75:76]
	v_add_f64 v[15:16], v[15:16], v[33:34]
	v_fma_f64 v[33:34], v[11:12], v[117:118], v[77:78]
	v_add_f64 v[13:14], v[13:14], v[27:28]
	s_clause 0x2
	buffer_load_dword v82, off, s[0:3], 0 offset:732
	buffer_load_dword v28, off, s[0:3], 0 offset:708
	;; [unrolled: 1-line block ×3, first 2 shown]
	ds_read_b128 v[9:12], v70 offset:1504
	s_waitcnt vmcnt(58) lgkmcnt(1)
	v_mul_f64 v[77:78], v[1:2], v[37:38]
	v_mul_f64 v[37:38], v[3:4], v[37:38]
	s_waitcnt vmcnt(56)
	v_fma_f64 v[19:20], v[5:6], v[25:26], -v[19:20]
	v_fma_f64 v[25:26], v[7:8], v[25:26], v[126:127]
	v_add_f64 v[15:16], v[15:16], v[75:76]
	v_add_f64 v[13:14], v[13:14], v[33:34]
	s_clause 0x4
	buffer_load_dword v34, off, s[0:3], 0 offset:748
	buffer_load_dword v75, off, s[0:3], 0 offset:760
	;; [unrolled: 1-line block ×5, first 2 shown]
	ds_read_b128 v[5:8], v70 offset:1520
	s_waitcnt vmcnt(57) lgkmcnt(1)
	v_mul_f64 v[127:128], v[9:10], v[23:24]
	v_mul_f64 v[23:24], v[11:12], v[23:24]
	s_waitcnt vmcnt(56)
	v_fma_f64 v[37:38], v[1:2], v[83:84], -v[37:38]
	v_add_f64 v[15:16], v[15:16], v[19:20]
	v_fma_f64 v[19:20], v[3:4], v[83:84], v[77:78]
	v_add_f64 v[13:14], v[13:14], v[25:26]
	s_clause 0x2
	buffer_load_dword v76, off, s[0:3], 0 offset:764
	buffer_load_dword v26, off, s[0:3], 0 offset:740
	;; [unrolled: 1-line block ×3, first 2 shown]
	s_waitcnt vmcnt(58) lgkmcnt(0)
	v_mul_f64 v[77:78], v[5:6], v[45:46]
	v_mul_f64 v[45:46], v[7:8], v[45:46]
	ds_read_b128 v[1:4], v70 offset:1536
	s_waitcnt vmcnt(56)
	v_fma_f64 v[23:24], v[9:10], v[31:32], -v[23:24]
	v_fma_f64 v[31:32], v[11:12], v[31:32], v[127:128]
	v_add_f64 v[15:16], v[15:16], v[37:38]
	v_add_f64 v[13:14], v[13:14], v[19:20]
	s_clause 0x4
	buffer_load_dword v20, off, s[0:3], 0 offset:780
	buffer_load_dword v37, off, s[0:3], 0 offset:792
	;; [unrolled: 1-line block ×5, first 2 shown]
	ds_read_b128 v[9:12], v70 offset:1552
	s_waitcnt vmcnt(57) lgkmcnt(1)
	v_mul_f64 v[127:128], v[1:2], v[29:30]
	v_mul_f64 v[29:30], v[3:4], v[29:30]
	s_waitcnt vmcnt(56)
	v_fma_f64 v[45:46], v[5:6], v[71:72], -v[45:46]
	v_add_f64 v[15:16], v[15:16], v[23:24]
	v_fma_f64 v[23:24], v[7:8], v[71:72], v[77:78]
	v_add_f64 v[13:14], v[13:14], v[31:32]
	s_clause 0x2
	buffer_load_dword v38, off, s[0:3], 0 offset:796
	buffer_load_dword v32, off, s[0:3], 0 offset:772
	;; [unrolled: 1-line block ×3, first 2 shown]
	s_waitcnt vmcnt(58) lgkmcnt(0)
	v_mul_f64 v[71:72], v[9:10], v[51:52]
	v_mul_f64 v[51:52], v[11:12], v[51:52]
	ds_read_b128 v[5:8], v70 offset:1568
	s_waitcnt vmcnt(56)
	v_fma_f64 v[29:30], v[1:2], v[41:42], -v[29:30]
	v_fma_f64 v[41:42], v[3:4], v[41:42], v[127:128]
	v_add_f64 v[15:16], v[15:16], v[45:46]
	v_add_f64 v[13:14], v[13:14], v[23:24]
	s_clause 0x4
	buffer_load_dword v24, off, s[0:3], 0 offset:812
	buffer_load_dword v45, off, s[0:3], 0 offset:824
	buffer_load_dword v77, off, s[0:3], 0 offset:816
	buffer_load_dword v23, off, s[0:3], 0 offset:808
	buffer_load_dword v84, off, s[0:3], 0 offset:788
	ds_read_b128 v[1:4], v70 offset:1584
	s_waitcnt vmcnt(57) lgkmcnt(1)
	v_mul_f64 v[127:128], v[5:6], v[35:36]
	v_mul_f64 v[35:36], v[7:8], v[35:36]
	s_waitcnt vmcnt(56)
	v_fma_f64 v[51:52], v[9:10], v[53:54], -v[51:52]
	v_add_f64 v[15:16], v[15:16], v[29:30]
	v_fma_f64 v[29:30], v[11:12], v[53:54], v[71:72]
	v_add_f64 v[13:14], v[13:14], v[41:42]
	s_clause 0x2
	buffer_load_dword v46, off, s[0:3], 0 offset:828
	buffer_load_dword v42, off, s[0:3], 0 offset:804
	buffer_load_dword v41, off, s[0:3], 0 offset:800
	ds_read_b128 v[9:12], v70 offset:1600
	s_waitcnt vmcnt(58) lgkmcnt(1)
	v_mul_f64 v[53:54], v[1:2], v[59:60]
	v_mul_f64 v[59:60], v[3:4], v[59:60]
	s_waitcnt vmcnt(56)
	v_fma_f64 v[35:36], v[5:6], v[39:40], -v[35:36]
	v_fma_f64 v[39:40], v[7:8], v[39:40], v[127:128]
	v_add_f64 v[15:16], v[15:16], v[51:52]
	v_add_f64 v[13:14], v[13:14], v[29:30]
	s_clause 0x4
	buffer_load_dword v30, off, s[0:3], 0 offset:844
	buffer_load_dword v51, off, s[0:3], 0 offset:856
	buffer_load_dword v71, off, s[0:3], 0 offset:848
	buffer_load_dword v29, off, s[0:3], 0 offset:840
	buffer_load_dword v78, off, s[0:3], 0 offset:820
	ds_read_b128 v[5:8], v70 offset:1616
	s_waitcnt vmcnt(57) lgkmcnt(1)
	v_mul_f64 v[127:128], v[9:10], v[43:44]
	v_mul_f64 v[43:44], v[11:12], v[43:44]
	s_waitcnt vmcnt(56)
	v_fma_f64 v[59:60], v[1:2], v[61:62], -v[59:60]
	v_add_f64 v[15:16], v[15:16], v[35:36]
	v_fma_f64 v[35:36], v[3:4], v[61:62], v[53:54]
	v_add_f64 v[13:14], v[13:14], v[39:40]
	s_clause 0x2
	buffer_load_dword v52, off, s[0:3], 0 offset:860
	buffer_load_dword v40, off, s[0:3], 0 offset:836
	buffer_load_dword v39, off, s[0:3], 0 offset:832
	ds_read_b128 v[1:4], v70 offset:1632
	s_waitcnt vmcnt(58) lgkmcnt(1)
	v_mul_f64 v[61:62], v[7:8], v[65:66]
	v_mul_f64 v[53:54], v[5:6], v[65:66]
	;; [unrolled: 28-line block ×4, first 2 shown]
	s_waitcnt vmcnt(56)
	v_fma_f64 v[57:58], v[5:6], v[63:64], -v[57:58]
	v_add_f64 v[15:16], v[15:16], v[55:56]
	v_fma_f64 v[55:56], v[7:8], v[63:64], v[127:128]
	v_add_f64 v[13:14], v[13:14], v[49:50]
	s_clause 0x4
	buffer_load_dword v50, off, s[0:3], 0 offset:940
	buffer_load_dword v63, off, s[0:3], 0 offset:952
	;; [unrolled: 1-line block ×5, first 2 shown]
	ds_read_b128 v[5:8], v70 offset:1712
	s_waitcnt vmcnt(57) lgkmcnt(1)
	v_mul_f64 v[127:128], v[9:10], v[21:22]
	v_mul_f64 v[21:22], v[11:12], v[21:22]
	s_waitcnt vmcnt(56)
	v_fma_f64 v[73:74], v[1:2], v[119:120], -v[73:74]
	v_fma_f64 v[53:54], v[3:4], v[119:120], v[53:54]
	v_add_f64 v[15:16], v[15:16], v[57:58]
	v_add_f64 v[13:14], v[13:14], v[55:56]
	s_clause 0x2
	buffer_load_dword v64, off, s[0:3], 0 offset:956
	buffer_load_dword v56, off, s[0:3], 0 offset:932
	;; [unrolled: 1-line block ×3, first 2 shown]
	ds_read_b128 v[1:4], v70 offset:1728
	s_waitcnt vmcnt(58) lgkmcnt(1)
	v_mul_f64 v[57:58], v[5:6], v[81:82]
	v_mul_f64 v[81:82], v[7:8], v[81:82]
	s_waitcnt vmcnt(56)
	v_fma_f64 v[21:22], v[9:10], v[27:28], -v[21:22]
	v_fma_f64 v[27:28], v[11:12], v[27:28], v[127:128]
	v_add_f64 v[15:16], v[15:16], v[73:74]
	v_add_f64 v[13:14], v[13:14], v[53:54]
	s_clause 0x4
	buffer_load_dword v54, off, s[0:3], 0 offset:972
	buffer_load_dword v73, off, s[0:3], 0 offset:984
	;; [unrolled: 1-line block ×5, first 2 shown]
	ds_read_b128 v[9:12], v70 offset:1744
	s_waitcnt vmcnt(57) lgkmcnt(1)
	v_mul_f64 v[127:128], v[1:2], v[33:34]
	v_mul_f64 v[33:34], v[3:4], v[33:34]
	s_waitcnt vmcnt(56)
	v_fma_f64 v[81:82], v[5:6], v[125:126], -v[81:82]
	v_add_f64 v[15:16], v[15:16], v[21:22]
	v_fma_f64 v[21:22], v[7:8], v[125:126], v[57:58]
	v_add_f64 v[13:14], v[13:14], v[27:28]
	s_clause 0x2
	buffer_load_dword v74, off, s[0:3], 0 offset:988
	buffer_load_dword v28, off, s[0:3], 0 offset:964
	;; [unrolled: 1-line block ×3, first 2 shown]
	ds_read_b128 v[5:8], v70 offset:1760
	s_waitcnt vmcnt(58) lgkmcnt(1)
	v_mul_f64 v[57:58], v[9:10], v[75:76]
	v_mul_f64 v[75:76], v[11:12], v[75:76]
	s_waitcnt vmcnt(56)
	v_fma_f64 v[33:34], v[1:2], v[25:26], -v[33:34]
	v_fma_f64 v[25:26], v[3:4], v[25:26], v[127:128]
	v_add_f64 v[15:16], v[15:16], v[81:82]
	v_add_f64 v[13:14], v[13:14], v[21:22]
	s_clause 0x4
	buffer_load_dword v22, off, s[0:3], 0 offset:1004
	buffer_load_dword v81, off, s[0:3], 0 offset:1016
	;; [unrolled: 1-line block ×5, first 2 shown]
	ds_read_b128 v[1:4], v70 offset:1776
	s_waitcnt vmcnt(57) lgkmcnt(1)
	v_mul_f64 v[126:127], v[5:6], v[19:20]
	v_mul_f64 v[19:20], v[7:8], v[19:20]
	s_waitcnt vmcnt(56)
	v_fma_f64 v[75:76], v[9:10], v[117:118], -v[75:76]
	v_add_f64 v[15:16], v[15:16], v[33:34]
	v_fma_f64 v[33:34], v[11:12], v[117:118], v[57:58]
	v_add_f64 v[13:14], v[13:14], v[25:26]
	s_clause 0x2
	buffer_load_dword v82, off, s[0:3], 0 offset:1020
	buffer_load_dword v26, off, s[0:3], 0 offset:996
	;; [unrolled: 1-line block ×3, first 2 shown]
	ds_read_b128 v[9:12], v70 offset:1792
	s_waitcnt vmcnt(58) lgkmcnt(1)
	v_mul_f64 v[57:58], v[1:2], v[37:38]
	v_mul_f64 v[37:38], v[3:4], v[37:38]
	s_waitcnt vmcnt(56)
	v_fma_f64 v[19:20], v[5:6], v[31:32], -v[19:20]
	v_fma_f64 v[31:32], v[7:8], v[31:32], v[126:127]
	buffer_load_dword v126, off, s[0:3], 0 offset:1012
	ds_read_b128 v[5:8], v70 offset:1808
	v_add_f64 v[15:16], v[15:16], v[75:76]
	v_add_f64 v[13:14], v[13:14], v[33:34]
	s_waitcnt vmcnt(53) lgkmcnt(1)
	v_mul_f64 v[33:34], v[9:10], v[23:24]
	v_mul_f64 v[23:24], v[11:12], v[23:24]
	s_waitcnt vmcnt(52)
	v_fma_f64 v[37:38], v[1:2], v[83:84], -v[37:38]
	v_add_f64 v[15:16], v[15:16], v[19:20]
	v_fma_f64 v[19:20], v[3:4], v[83:84], v[57:58]
	v_add_f64 v[13:14], v[13:14], v[31:32]
	ds_read_b128 v[1:4], v70 offset:1824
	s_waitcnt vmcnt(51) lgkmcnt(1)
	v_mul_f64 v[31:32], v[5:6], v[45:46]
	v_mul_f64 v[45:46], v[7:8], v[45:46]
	s_waitcnt vmcnt(49)
	v_fma_f64 v[23:24], v[9:10], v[41:42], -v[23:24]
	v_fma_f64 v[33:34], v[11:12], v[41:42], v[33:34]
	v_add_f64 v[15:16], v[15:16], v[37:38]
	v_add_f64 v[13:14], v[13:14], v[19:20]
	s_clause 0x3
	buffer_load_dword v19, off, s[0:3], 0 offset:128
	buffer_load_dword v20, off, s[0:3], 0 offset:132
	;; [unrolled: 1-line block ×4, first 2 shown]
	ds_read_b128 v[9:12], v70 offset:1840
	s_waitcnt vmcnt(49) lgkmcnt(1)
	v_mul_f64 v[41:42], v[1:2], v[29:30]
	v_mul_f64 v[29:30], v[3:4], v[29:30]
	s_waitcnt vmcnt(48)
	v_fma_f64 v[45:46], v[5:6], v[77:78], -v[45:46]
	v_add_f64 v[15:16], v[15:16], v[23:24]
	v_fma_f64 v[23:24], v[7:8], v[77:78], v[31:32]
	v_add_f64 v[13:14], v[13:14], v[33:34]
	ds_read_b128 v[5:8], v70 offset:1856
	s_waitcnt vmcnt(47) lgkmcnt(1)
	v_mul_f64 v[33:34], v[11:12], v[51:52]
	v_mul_f64 v[31:32], v[9:10], v[51:52]
	s_waitcnt vmcnt(45)
	v_fma_f64 v[29:30], v[1:2], v[39:40], -v[29:30]
	v_fma_f64 v[39:40], v[3:4], v[39:40], v[41:42]
	ds_read_b128 v[1:4], v70 offset:1872
	v_add_f64 v[15:16], v[15:16], v[45:46]
	v_add_f64 v[13:14], v[13:14], v[23:24]
	s_waitcnt vmcnt(41) lgkmcnt(1)
	v_mul_f64 v[23:24], v[5:6], v[35:36]
	v_mul_f64 v[35:36], v[7:8], v[35:36]
	s_waitcnt vmcnt(40)
	v_fma_f64 v[33:34], v[9:10], v[71:72], -v[33:34]
	v_add_f64 v[15:16], v[15:16], v[29:30]
	v_fma_f64 v[29:30], v[11:12], v[71:72], v[31:32]
	v_add_f64 v[13:14], v[13:14], v[39:40]
	ds_read_b128 v[9:12], v70 offset:1888
	s_waitcnt vmcnt(39) lgkmcnt(1)
	v_mul_f64 v[39:40], v[3:4], v[59:60]
	v_mul_f64 v[31:32], v[1:2], v[59:60]
	s_waitcnt vmcnt(37)
	v_fma_f64 v[35:36], v[5:6], v[47:48], -v[35:36]
	v_fma_f64 v[23:24], v[7:8], v[47:48], v[23:24]
	ds_read_b128 v[5:8], v70 offset:1904
	v_add_f64 v[15:16], v[15:16], v[33:34]
	v_add_f64 v[13:14], v[13:14], v[29:30]
	s_waitcnt vmcnt(33) lgkmcnt(1)
	v_mul_f64 v[33:34], v[11:12], v[43:44]
	s_waitcnt vmcnt(32)
	v_fma_f64 v[39:40], v[1:2], v[65:66], -v[39:40]
	v_mul_f64 v[29:30], v[9:10], v[43:44]
	v_fma_f64 v[31:32], v[3:4], v[65:66], v[31:32]
	ds_read_b128 v[1:4], v70 offset:1920
	v_add_f64 v[15:16], v[15:16], v[35:36]
	v_add_f64 v[13:14], v[13:14], v[23:24]
	s_waitcnt vmcnt(31) lgkmcnt(1)
	v_mul_f64 v[35:36], v[7:8], v[61:62]
	v_mul_f64 v[23:24], v[5:6], v[61:62]
	s_waitcnt vmcnt(29)
	v_fma_f64 v[33:34], v[9:10], v[17:18], -v[33:34]
	v_fma_f64 v[17:18], v[11:12], v[17:18], v[29:30]
	ds_read_b128 v[9:12], v70 offset:1936
	v_add_f64 v[15:16], v[15:16], v[39:40]
	v_add_f64 v[13:14], v[13:14], v[31:32]
	s_waitcnt vmcnt(25) lgkmcnt(1)
	v_mul_f64 v[31:32], v[3:4], v[49:50]
	s_waitcnt vmcnt(24)
	v_fma_f64 v[35:36], v[5:6], v[67:68], -v[35:36]
	v_mul_f64 v[29:30], v[1:2], v[49:50]
	v_fma_f64 v[23:24], v[7:8], v[67:68], v[23:24]
	ds_read_b128 v[5:8], v70 offset:1952
	v_add_f64 v[15:16], v[15:16], v[33:34]
	v_add_f64 v[13:14], v[13:14], v[17:18]
	s_waitcnt vmcnt(23) lgkmcnt(1)
	v_mul_f64 v[33:34], v[11:12], v[63:64]
	v_mul_f64 v[17:18], v[9:10], v[63:64]
	s_waitcnt vmcnt(21)
	v_fma_f64 v[31:32], v[1:2], v[55:56], -v[31:32]
	v_fma_f64 v[29:30], v[3:4], v[55:56], v[29:30]
	ds_read_b128 v[1:4], v70 offset:1968
	v_add_f64 v[15:16], v[15:16], v[35:36]
	v_add_f64 v[13:14], v[13:14], v[23:24]
	s_waitcnt vmcnt(17) lgkmcnt(1)
	v_mul_f64 v[35:36], v[7:8], v[53:54]
	s_waitcnt vmcnt(16)
	v_fma_f64 v[33:34], v[9:10], v[79:80], -v[33:34]
	v_mul_f64 v[23:24], v[5:6], v[53:54]
	v_fma_f64 v[17:18], v[11:12], v[79:80], v[17:18]
	ds_read_b128 v[9:12], v70 offset:1984
	v_add_f64 v[15:16], v[15:16], v[31:32]
	v_add_f64 v[13:14], v[13:14], v[29:30]
	s_waitcnt vmcnt(15) lgkmcnt(1)
	v_mul_f64 v[31:32], v[3:4], v[73:74]
	v_mul_f64 v[29:30], v[1:2], v[73:74]
	s_waitcnt vmcnt(13)
	v_fma_f64 v[35:36], v[5:6], v[27:28], -v[35:36]
	v_fma_f64 v[23:24], v[7:8], v[27:28], v[23:24]
	ds_read_b128 v[5:8], v70 offset:2000
	v_add_f64 v[15:16], v[15:16], v[33:34]
	v_add_f64 v[13:14], v[13:14], v[17:18]
	s_waitcnt vmcnt(9) lgkmcnt(1)
	v_mul_f64 v[17:18], v[9:10], v[21:22]
	v_mul_f64 v[21:22], v[11:12], v[21:22]
	s_waitcnt vmcnt(8)
	v_fma_f64 v[1:2], v[1:2], v[119:120], -v[31:32]
	v_fma_f64 v[3:4], v[3:4], v[119:120], v[29:30]
	v_add_f64 v[15:16], v[15:16], v[35:36]
	v_add_f64 v[13:14], v[13:14], v[23:24]
	s_waitcnt vmcnt(7) lgkmcnt(0)
	v_mul_f64 v[27:28], v[7:8], v[81:82]
	v_mul_f64 v[23:24], v[5:6], v[81:82]
	s_waitcnt vmcnt(5)
	v_fma_f64 v[9:10], v[9:10], v[25:26], -v[21:22]
	v_fma_f64 v[11:12], v[11:12], v[25:26], v[17:18]
	v_add_f64 v[1:2], v[15:16], v[1:2]
	v_add_f64 v[3:4], v[13:14], v[3:4]
	s_waitcnt vmcnt(4)
	v_fma_f64 v[5:6], v[5:6], v[125:126], -v[27:28]
	v_fma_f64 v[7:8], v[7:8], v[125:126], v[23:24]
	v_add_f64 v[1:2], v[1:2], v[9:10]
	v_add_f64 v[3:4], v[3:4], v[11:12]
	v_add_f64 v[1:2], v[1:2], v[5:6]
	v_add_f64 v[3:4], v[3:4], v[7:8]
	s_waitcnt vmcnt(2)
	v_add_f64 v[1:2], v[19:20], -v[1:2]
	s_waitcnt vmcnt(0)
	v_add_f64 v[3:4], v[37:38], -v[3:4]
	buffer_store_dword v2, off, s[0:3], 0 offset:132
	buffer_store_dword v1, off, s[0:3], 0 offset:128
	;; [unrolled: 1-line block ×4, first 2 shown]
	v_cmpx_lt_u32_e32 6, v0
	s_cbranch_execz .LBB62_391
; %bb.390:
	v_mov_b32_e32 v4, s73
	s_clause 0x3
	buffer_load_dword v1, v4, s[0:3], 0 offen
	buffer_load_dword v2, v4, s[0:3], 0 offen offset:4
	buffer_load_dword v3, v4, s[0:3], 0 offen offset:8
	;; [unrolled: 1-line block ×3, first 2 shown]
	buffer_store_dword v70, off, s[0:3], 0 offset:112
	buffer_store_dword v70, off, s[0:3], 0 offset:116
	;; [unrolled: 1-line block ×4, first 2 shown]
	s_waitcnt vmcnt(0)
	ds_write_b128 v69, v[1:4]
.LBB62_391:
	s_or_b32 exec_lo, exec_lo, s4
	s_waitcnt lgkmcnt(0)
	s_waitcnt_vscnt null, 0x0
	s_barrier
	buffer_gl0_inv
	s_clause 0x37
	buffer_load_dword v17, off, s[0:3], 0 offset:136
	buffer_load_dword v18, off, s[0:3], 0 offset:140
	;; [unrolled: 1-line block ×56, first 2 shown]
	ds_read_b128 v[5:8], v70 offset:1120
	s_clause 0x2
	buffer_load_dword v66, off, s[0:3], 0 offset:364
	buffer_load_dword v68, off, s[0:3], 0 offset:340
	;; [unrolled: 1-line block ×3, first 2 shown]
	ds_read_b128 v[1:4], v70 offset:1136
	s_clause 0x4
	buffer_load_dword v78, off, s[0:3], 0 offset:380
	buffer_load_dword v79, off, s[0:3], 0 offset:392
	;; [unrolled: 1-line block ×5, first 2 shown]
	ds_read_b128 v[71:74], v70 offset:1152
	s_mov_b32 s4, exec_lo
	s_waitcnt vmcnt(62) lgkmcnt(2)
	v_mul_f64 v[75:76], v[7:8], v[17:18]
	v_mul_f64 v[17:18], v[5:6], v[17:18]
	s_waitcnt vmcnt(60) lgkmcnt(1)
	v_mul_f64 v[82:83], v[3:4], v[13:14]
	v_mul_f64 v[13:14], v[1:2], v[13:14]
	;; [unrolled: 3-line block ×3, first 2 shown]
	v_fma_f64 v[75:76], v[5:6], v[15:16], -v[75:76]
	v_fma_f64 v[15:16], v[7:8], v[15:16], v[17:18]
	s_clause 0x2
	buffer_load_dword v80, off, s[0:3], 0 offset:396
	buffer_load_dword v18, off, s[0:3], 0 offset:372
	;; [unrolled: 1-line block ×3, first 2 shown]
	s_waitcnt vmcnt(57)
	v_fma_f64 v[83:84], v[1:2], v[9:10], -v[82:83]
	ds_read_b128 v[5:8], v70 offset:1168
	v_fma_f64 v[9:10], v[3:4], v[9:10], v[13:14]
	s_waitcnt vmcnt(51)
	v_fma_f64 v[71:72], v[71:72], v[33:34], -v[11:12]
	v_fma_f64 v[33:34], v[73:74], v[33:34], v[117:118]
	v_add_f64 v[75:76], v[75:76], 0
	v_add_f64 v[13:14], v[15:16], 0
	s_clause 0x4
	buffer_load_dword v16, off, s[0:3], 0 offset:412
	buffer_load_dword v119, off, s[0:3], 0 offset:424
	buffer_load_dword v125, off, s[0:3], 0 offset:416
	buffer_load_dword v15, off, s[0:3], 0 offset:408
	buffer_load_dword v82, off, s[0:3], 0 offset:388
	s_waitcnt lgkmcnt(0)
	v_mul_f64 v[126:127], v[5:6], v[21:22]
	v_mul_f64 v[21:22], v[7:8], v[21:22]
	ds_read_b128 v[1:4], v70 offset:1184
	s_clause 0x2
	buffer_load_dword v120, off, s[0:3], 0 offset:428
	buffer_load_dword v74, off, s[0:3], 0 offset:404
	;; [unrolled: 1-line block ×3, first 2 shown]
	v_add_f64 v[75:76], v[75:76], v[83:84]
	v_add_f64 v[13:14], v[13:14], v[9:10]
	ds_read_b128 v[9:12], v70 offset:1200
	s_waitcnt vmcnt(58) lgkmcnt(1)
	v_mul_f64 v[83:84], v[1:2], v[25:26]
	v_mul_f64 v[25:26], v[3:4], v[25:26]
	s_waitcnt vmcnt(56)
	v_fma_f64 v[21:22], v[5:6], v[27:28], -v[21:22]
	v_fma_f64 v[27:28], v[7:8], v[27:28], v[126:127]
	s_waitcnt vmcnt(52) lgkmcnt(0)
	v_mul_f64 v[127:128], v[9:10], v[29:30]
	v_add_f64 v[71:72], v[75:76], v[71:72]
	v_add_f64 v[13:14], v[13:14], v[33:34]
	s_clause 0x4
	buffer_load_dword v34, off, s[0:3], 0 offset:444
	buffer_load_dword v75, off, s[0:3], 0 offset:456
	;; [unrolled: 1-line block ×5, first 2 shown]
	v_mul_f64 v[29:30], v[11:12], v[29:30]
	s_waitcnt vmcnt(56)
	v_fma_f64 v[25:26], v[1:2], v[19:20], -v[25:26]
	ds_read_b128 v[5:8], v70 offset:1216
	v_fma_f64 v[19:20], v[3:4], v[19:20], v[83:84]
	v_add_f64 v[21:22], v[71:72], v[21:22]
	v_add_f64 v[13:14], v[13:14], v[27:28]
	s_clause 0x2
	buffer_load_dword v76, off, s[0:3], 0 offset:460
	buffer_load_dword v28, off, s[0:3], 0 offset:436
	;; [unrolled: 1-line block ×3, first 2 shown]
	s_waitcnt vmcnt(58) lgkmcnt(0)
	v_mul_f64 v[71:72], v[5:6], v[35:36]
	v_mul_f64 v[35:36], v[7:8], v[35:36]
	s_waitcnt vmcnt(56)
	v_fma_f64 v[29:30], v[9:10], v[37:38], -v[29:30]
	ds_read_b128 v[1:4], v70 offset:1232
	v_add_f64 v[21:22], v[21:22], v[25:26]
	v_fma_f64 v[25:26], v[11:12], v[37:38], v[127:128]
	v_add_f64 v[13:14], v[13:14], v[19:20]
	s_clause 0x4
	buffer_load_dword v20, off, s[0:3], 0 offset:476
	buffer_load_dword v37, off, s[0:3], 0 offset:488
	;; [unrolled: 1-line block ×5, first 2 shown]
	s_waitcnt vmcnt(57) lgkmcnt(0)
	v_mul_f64 v[127:128], v[1:2], v[39:40]
	v_mul_f64 v[39:40], v[3:4], v[39:40]
	s_waitcnt vmcnt(56)
	v_fma_f64 v[35:36], v[5:6], v[23:24], -v[35:36]
	ds_read_b128 v[9:12], v70 offset:1248
	v_fma_f64 v[23:24], v[7:8], v[23:24], v[71:72]
	v_add_f64 v[21:22], v[21:22], v[29:30]
	v_add_f64 v[13:14], v[13:14], v[25:26]
	s_clause 0x2
	buffer_load_dword v38, off, s[0:3], 0 offset:492
	buffer_load_dword v26, off, s[0:3], 0 offset:468
	;; [unrolled: 1-line block ×3, first 2 shown]
	ds_read_b128 v[5:8], v70 offset:1264
	s_waitcnt vmcnt(58) lgkmcnt(1)
	v_mul_f64 v[29:30], v[9:10], v[43:44]
	v_mul_f64 v[43:44], v[11:12], v[43:44]
	s_waitcnt vmcnt(56)
	v_fma_f64 v[39:40], v[1:2], v[45:46], -v[39:40]
	v_add_f64 v[21:22], v[21:22], v[35:36]
	v_fma_f64 v[35:36], v[3:4], v[45:46], v[127:128]
	v_add_f64 v[13:14], v[13:14], v[23:24]
	s_clause 0x4
	buffer_load_dword v24, off, s[0:3], 0 offset:508
	buffer_load_dword v45, off, s[0:3], 0 offset:520
	;; [unrolled: 1-line block ×5, first 2 shown]
	s_waitcnt vmcnt(57) lgkmcnt(0)
	v_mul_f64 v[127:128], v[5:6], v[47:48]
	v_mul_f64 v[47:48], v[7:8], v[47:48]
	s_waitcnt vmcnt(56)
	v_fma_f64 v[43:44], v[9:10], v[31:32], -v[43:44]
	ds_read_b128 v[1:4], v70 offset:1280
	v_fma_f64 v[29:30], v[11:12], v[31:32], v[29:30]
	s_clause 0x2
	buffer_load_dword v46, off, s[0:3], 0 offset:524
	buffer_load_dword v32, off, s[0:3], 0 offset:500
	;; [unrolled: 1-line block ×3, first 2 shown]
	ds_read_b128 v[9:12], v70 offset:1296
	v_add_f64 v[21:22], v[21:22], v[39:40]
	v_add_f64 v[13:14], v[13:14], v[35:36]
	s_waitcnt vmcnt(58) lgkmcnt(1)
	v_mul_f64 v[39:40], v[3:4], v[51:52]
	s_waitcnt vmcnt(56)
	v_fma_f64 v[47:48], v[5:6], v[53:54], -v[47:48]
	v_mul_f64 v[35:36], v[1:2], v[51:52]
	v_add_f64 v[21:22], v[21:22], v[43:44]
	v_fma_f64 v[43:44], v[7:8], v[53:54], v[127:128]
	v_add_f64 v[13:14], v[13:14], v[29:30]
	s_clause 0x4
	buffer_load_dword v30, off, s[0:3], 0 offset:540
	buffer_load_dword v51, off, s[0:3], 0 offset:552
	;; [unrolled: 1-line block ×5, first 2 shown]
	s_waitcnt vmcnt(57) lgkmcnt(0)
	v_mul_f64 v[127:128], v[9:10], v[55:56]
	v_mul_f64 v[54:55], v[11:12], v[55:56]
	s_waitcnt vmcnt(56)
	v_fma_f64 v[39:40], v[1:2], v[41:42], -v[39:40]
	ds_read_b128 v[5:8], v70 offset:1312
	v_fma_f64 v[35:36], v[3:4], v[41:42], v[35:36]
	s_clause 0x2
	buffer_load_dword v52, off, s[0:3], 0 offset:556
	buffer_load_dword v42, off, s[0:3], 0 offset:532
	;; [unrolled: 1-line block ×3, first 2 shown]
	ds_read_b128 v[1:4], v70 offset:1328
	v_add_f64 v[21:22], v[21:22], v[47:48]
	v_add_f64 v[13:14], v[13:14], v[43:44]
	s_waitcnt vmcnt(58) lgkmcnt(1)
	v_mul_f64 v[47:48], v[7:8], v[59:60]
	s_waitcnt vmcnt(56)
	v_fma_f64 v[55:56], v[9:10], v[61:62], -v[54:55]
	v_mul_f64 v[43:44], v[5:6], v[59:60]
	v_add_f64 v[21:22], v[21:22], v[39:40]
	v_fma_f64 v[39:40], v[11:12], v[61:62], v[127:128]
	v_add_f64 v[13:14], v[13:14], v[35:36]
	s_clause 0x4
	buffer_load_dword v36, off, s[0:3], 0 offset:572
	buffer_load_dword v59, off, s[0:3], 0 offset:584
	;; [unrolled: 1-line block ×5, first 2 shown]
	s_waitcnt vmcnt(57) lgkmcnt(0)
	v_mul_f64 v[127:128], v[1:2], v[63:64]
	v_mul_f64 v[62:63], v[3:4], v[63:64]
	s_waitcnt vmcnt(56)
	v_fma_f64 v[47:48], v[5:6], v[49:50], -v[47:48]
	ds_read_b128 v[9:12], v70 offset:1344
	v_fma_f64 v[43:44], v[7:8], v[49:50], v[43:44]
	v_add_f64 v[21:22], v[21:22], v[55:56]
	v_add_f64 v[13:14], v[13:14], v[39:40]
	s_clause 0x2
	buffer_load_dword v60, off, s[0:3], 0 offset:588
	buffer_load_dword v40, off, s[0:3], 0 offset:564
	;; [unrolled: 1-line block ×3, first 2 shown]
	ds_read_b128 v[5:8], v70 offset:1360
	s_waitcnt vmcnt(58) lgkmcnt(1)
	v_mul_f64 v[55:56], v[11:12], v[65:66]
	s_waitcnt vmcnt(56)
	v_fma_f64 v[63:64], v[1:2], v[67:68], -v[62:63]
	v_mul_f64 v[49:50], v[9:10], v[65:66]
	v_add_f64 v[21:22], v[21:22], v[47:48]
	v_fma_f64 v[47:48], v[3:4], v[67:68], v[127:128]
	v_add_f64 v[13:14], v[13:14], v[43:44]
	s_clause 0x4
	buffer_load_dword v44, off, s[0:3], 0 offset:604
	buffer_load_dword v65, off, s[0:3], 0 offset:616
	buffer_load_dword v67, off, s[0:3], 0 offset:608
	buffer_load_dword v43, off, s[0:3], 0 offset:600
	buffer_load_dword v62, off, s[0:3], 0 offset:580
	s_waitcnt vmcnt(57) lgkmcnt(0)
	v_mul_f64 v[127:128], v[5:6], v[77:78]
	v_mul_f64 v[77:78], v[7:8], v[77:78]
	s_waitcnt vmcnt(56)
	v_fma_f64 v[55:56], v[9:10], v[57:58], -v[55:56]
	ds_read_b128 v[1:4], v70 offset:1376
	v_fma_f64 v[49:50], v[11:12], v[57:58], v[49:50]
	v_add_f64 v[21:22], v[21:22], v[63:64]
	v_add_f64 v[13:14], v[13:14], v[47:48]
	s_clause 0x2
	buffer_load_dword v66, off, s[0:3], 0 offset:620
	buffer_load_dword v48, off, s[0:3], 0 offset:596
	;; [unrolled: 1-line block ×3, first 2 shown]
	ds_read_b128 v[9:12], v70 offset:1392
	s_waitcnt vmcnt(58) lgkmcnt(1)
	v_mul_f64 v[63:64], v[3:4], v[79:80]
	v_mul_f64 v[57:58], v[1:2], v[79:80]
	s_waitcnt vmcnt(56)
	v_fma_f64 v[77:78], v[5:6], v[17:18], -v[77:78]
	v_fma_f64 v[17:18], v[7:8], v[17:18], v[127:128]
	v_add_f64 v[21:22], v[21:22], v[55:56]
	v_add_f64 v[13:14], v[13:14], v[49:50]
	s_clause 0x4
	buffer_load_dword v50, off, s[0:3], 0 offset:636
	buffer_load_dword v55, off, s[0:3], 0 offset:648
	;; [unrolled: 1-line block ×5, first 2 shown]
	ds_read_b128 v[5:8], v70 offset:1408
	s_waitcnt vmcnt(57) lgkmcnt(1)
	v_mul_f64 v[127:128], v[9:10], v[15:16]
	v_mul_f64 v[15:16], v[11:12], v[15:16]
	s_waitcnt vmcnt(56)
	v_fma_f64 v[63:64], v[1:2], v[81:82], -v[63:64]
	v_fma_f64 v[57:58], v[3:4], v[81:82], v[57:58]
	v_add_f64 v[21:22], v[21:22], v[77:78]
	v_add_f64 v[13:14], v[13:14], v[17:18]
	s_clause 0x2
	buffer_load_dword v56, off, s[0:3], 0 offset:652
	buffer_load_dword v18, off, s[0:3], 0 offset:628
	;; [unrolled: 1-line block ×3, first 2 shown]
	s_waitcnt vmcnt(58) lgkmcnt(0)
	v_mul_f64 v[81:82], v[7:8], v[119:120]
	ds_read_b128 v[1:4], v70 offset:1424
	v_mul_f64 v[77:78], v[5:6], v[119:120]
	s_waitcnt vmcnt(56)
	v_fma_f64 v[15:16], v[9:10], v[73:74], -v[15:16]
	v_add_f64 v[21:22], v[21:22], v[63:64]
	v_fma_f64 v[63:64], v[11:12], v[73:74], v[127:128]
	v_add_f64 v[13:14], v[13:14], v[57:58]
	s_clause 0x4
	buffer_load_dword v58, off, s[0:3], 0 offset:668
	buffer_load_dword v73, off, s[0:3], 0 offset:680
	;; [unrolled: 1-line block ×5, first 2 shown]
	ds_read_b128 v[9:12], v70 offset:1440
	s_waitcnt vmcnt(57) lgkmcnt(1)
	v_mul_f64 v[127:128], v[1:2], v[33:34]
	v_mul_f64 v[33:34], v[3:4], v[33:34]
	s_waitcnt vmcnt(56)
	v_fma_f64 v[81:82], v[5:6], v[125:126], -v[81:82]
	v_add_f64 v[15:16], v[21:22], v[15:16]
	v_fma_f64 v[21:22], v[7:8], v[125:126], v[77:78]
	v_add_f64 v[13:14], v[13:14], v[63:64]
	s_clause 0x2
	buffer_load_dword v74, off, s[0:3], 0 offset:684
	buffer_load_dword v64, off, s[0:3], 0 offset:660
	;; [unrolled: 1-line block ×3, first 2 shown]
	ds_read_b128 v[5:8], v70 offset:1456
	s_waitcnt vmcnt(58) lgkmcnt(1)
	v_mul_f64 v[77:78], v[9:10], v[75:76]
	v_mul_f64 v[75:76], v[11:12], v[75:76]
	s_waitcnt vmcnt(56)
	v_fma_f64 v[33:34], v[1:2], v[27:28], -v[33:34]
	v_fma_f64 v[27:28], v[3:4], v[27:28], v[127:128]
	v_add_f64 v[15:16], v[15:16], v[81:82]
	v_add_f64 v[13:14], v[13:14], v[21:22]
	s_clause 0x4
	buffer_load_dword v22, off, s[0:3], 0 offset:700
	buffer_load_dword v81, off, s[0:3], 0 offset:712
	;; [unrolled: 1-line block ×5, first 2 shown]
	ds_read_b128 v[1:4], v70 offset:1472
	s_waitcnt vmcnt(57) lgkmcnt(1)
	v_mul_f64 v[126:127], v[5:6], v[19:20]
	v_mul_f64 v[19:20], v[7:8], v[19:20]
	s_waitcnt vmcnt(56)
	v_fma_f64 v[75:76], v[9:10], v[117:118], -v[75:76]
	v_add_f64 v[15:16], v[15:16], v[33:34]
	v_fma_f64 v[33:34], v[11:12], v[117:118], v[77:78]
	v_add_f64 v[13:14], v[13:14], v[27:28]
	s_clause 0x2
	buffer_load_dword v82, off, s[0:3], 0 offset:716
	buffer_load_dword v28, off, s[0:3], 0 offset:692
	;; [unrolled: 1-line block ×3, first 2 shown]
	ds_read_b128 v[9:12], v70 offset:1488
	s_waitcnt vmcnt(58) lgkmcnt(1)
	v_mul_f64 v[77:78], v[1:2], v[37:38]
	v_mul_f64 v[37:38], v[3:4], v[37:38]
	s_waitcnt vmcnt(56)
	v_fma_f64 v[19:20], v[5:6], v[25:26], -v[19:20]
	v_fma_f64 v[25:26], v[7:8], v[25:26], v[126:127]
	v_add_f64 v[15:16], v[15:16], v[75:76]
	v_add_f64 v[13:14], v[13:14], v[33:34]
	s_clause 0x4
	buffer_load_dword v34, off, s[0:3], 0 offset:732
	buffer_load_dword v75, off, s[0:3], 0 offset:744
	;; [unrolled: 1-line block ×5, first 2 shown]
	ds_read_b128 v[5:8], v70 offset:1504
	s_waitcnt vmcnt(57) lgkmcnt(1)
	v_mul_f64 v[127:128], v[9:10], v[23:24]
	v_mul_f64 v[23:24], v[11:12], v[23:24]
	s_waitcnt vmcnt(56)
	v_fma_f64 v[37:38], v[1:2], v[83:84], -v[37:38]
	v_add_f64 v[15:16], v[15:16], v[19:20]
	v_fma_f64 v[19:20], v[3:4], v[83:84], v[77:78]
	v_add_f64 v[13:14], v[13:14], v[25:26]
	s_clause 0x2
	buffer_load_dword v76, off, s[0:3], 0 offset:748
	buffer_load_dword v26, off, s[0:3], 0 offset:724
	buffer_load_dword v25, off, s[0:3], 0 offset:720
	s_waitcnt vmcnt(58) lgkmcnt(0)
	v_mul_f64 v[77:78], v[5:6], v[45:46]
	v_mul_f64 v[45:46], v[7:8], v[45:46]
	ds_read_b128 v[1:4], v70 offset:1520
	s_waitcnt vmcnt(56)
	v_fma_f64 v[23:24], v[9:10], v[31:32], -v[23:24]
	v_fma_f64 v[31:32], v[11:12], v[31:32], v[127:128]
	v_add_f64 v[15:16], v[15:16], v[37:38]
	v_add_f64 v[13:14], v[13:14], v[19:20]
	s_clause 0x4
	buffer_load_dword v20, off, s[0:3], 0 offset:764
	buffer_load_dword v37, off, s[0:3], 0 offset:776
	;; [unrolled: 1-line block ×5, first 2 shown]
	ds_read_b128 v[9:12], v70 offset:1536
	s_waitcnt vmcnt(57) lgkmcnt(1)
	v_mul_f64 v[127:128], v[1:2], v[29:30]
	v_mul_f64 v[29:30], v[3:4], v[29:30]
	s_waitcnt vmcnt(56)
	v_fma_f64 v[45:46], v[5:6], v[71:72], -v[45:46]
	v_add_f64 v[15:16], v[15:16], v[23:24]
	v_fma_f64 v[23:24], v[7:8], v[71:72], v[77:78]
	v_add_f64 v[13:14], v[13:14], v[31:32]
	s_clause 0x2
	buffer_load_dword v38, off, s[0:3], 0 offset:780
	buffer_load_dword v32, off, s[0:3], 0 offset:756
	;; [unrolled: 1-line block ×3, first 2 shown]
	s_waitcnt vmcnt(58) lgkmcnt(0)
	v_mul_f64 v[71:72], v[9:10], v[51:52]
	v_mul_f64 v[51:52], v[11:12], v[51:52]
	ds_read_b128 v[5:8], v70 offset:1552
	s_waitcnt vmcnt(56)
	v_fma_f64 v[29:30], v[1:2], v[41:42], -v[29:30]
	v_fma_f64 v[41:42], v[3:4], v[41:42], v[127:128]
	v_add_f64 v[15:16], v[15:16], v[45:46]
	v_add_f64 v[13:14], v[13:14], v[23:24]
	s_clause 0x4
	buffer_load_dword v24, off, s[0:3], 0 offset:796
	buffer_load_dword v45, off, s[0:3], 0 offset:808
	buffer_load_dword v77, off, s[0:3], 0 offset:800
	buffer_load_dword v23, off, s[0:3], 0 offset:792
	buffer_load_dword v84, off, s[0:3], 0 offset:772
	ds_read_b128 v[1:4], v70 offset:1568
	s_waitcnt vmcnt(57) lgkmcnt(1)
	v_mul_f64 v[127:128], v[5:6], v[35:36]
	v_mul_f64 v[35:36], v[7:8], v[35:36]
	s_waitcnt vmcnt(56)
	v_fma_f64 v[51:52], v[9:10], v[53:54], -v[51:52]
	v_add_f64 v[15:16], v[15:16], v[29:30]
	v_fma_f64 v[29:30], v[11:12], v[53:54], v[71:72]
	v_add_f64 v[13:14], v[13:14], v[41:42]
	s_clause 0x2
	buffer_load_dword v46, off, s[0:3], 0 offset:812
	buffer_load_dword v42, off, s[0:3], 0 offset:788
	buffer_load_dword v41, off, s[0:3], 0 offset:784
	ds_read_b128 v[9:12], v70 offset:1584
	s_waitcnt vmcnt(58) lgkmcnt(1)
	v_mul_f64 v[53:54], v[1:2], v[59:60]
	v_mul_f64 v[59:60], v[3:4], v[59:60]
	s_waitcnt vmcnt(56)
	v_fma_f64 v[35:36], v[5:6], v[39:40], -v[35:36]
	v_fma_f64 v[39:40], v[7:8], v[39:40], v[127:128]
	v_add_f64 v[15:16], v[15:16], v[51:52]
	v_add_f64 v[13:14], v[13:14], v[29:30]
	s_clause 0x4
	buffer_load_dword v30, off, s[0:3], 0 offset:828
	buffer_load_dword v51, off, s[0:3], 0 offset:840
	buffer_load_dword v71, off, s[0:3], 0 offset:832
	buffer_load_dword v29, off, s[0:3], 0 offset:824
	buffer_load_dword v78, off, s[0:3], 0 offset:804
	ds_read_b128 v[5:8], v70 offset:1600
	s_waitcnt vmcnt(57) lgkmcnt(1)
	v_mul_f64 v[127:128], v[9:10], v[43:44]
	v_mul_f64 v[43:44], v[11:12], v[43:44]
	s_waitcnt vmcnt(56)
	v_fma_f64 v[59:60], v[1:2], v[61:62], -v[59:60]
	v_add_f64 v[15:16], v[15:16], v[35:36]
	v_fma_f64 v[35:36], v[3:4], v[61:62], v[53:54]
	v_add_f64 v[13:14], v[13:14], v[39:40]
	s_clause 0x2
	buffer_load_dword v52, off, s[0:3], 0 offset:844
	buffer_load_dword v40, off, s[0:3], 0 offset:820
	buffer_load_dword v39, off, s[0:3], 0 offset:816
	ds_read_b128 v[1:4], v70 offset:1616
	s_waitcnt vmcnt(58) lgkmcnt(1)
	v_mul_f64 v[61:62], v[7:8], v[65:66]
	v_mul_f64 v[53:54], v[5:6], v[65:66]
	;; [unrolled: 28-line block ×4, first 2 shown]
	s_waitcnt vmcnt(56)
	v_fma_f64 v[57:58], v[5:6], v[63:64], -v[57:58]
	v_add_f64 v[15:16], v[15:16], v[55:56]
	v_fma_f64 v[55:56], v[7:8], v[63:64], v[127:128]
	v_add_f64 v[13:14], v[13:14], v[49:50]
	s_clause 0x4
	buffer_load_dword v50, off, s[0:3], 0 offset:924
	buffer_load_dword v63, off, s[0:3], 0 offset:936
	;; [unrolled: 1-line block ×5, first 2 shown]
	ds_read_b128 v[5:8], v70 offset:1696
	s_waitcnt vmcnt(57) lgkmcnt(1)
	v_mul_f64 v[127:128], v[9:10], v[21:22]
	v_mul_f64 v[21:22], v[11:12], v[21:22]
	s_waitcnt vmcnt(56)
	v_fma_f64 v[73:74], v[1:2], v[119:120], -v[73:74]
	v_fma_f64 v[53:54], v[3:4], v[119:120], v[53:54]
	v_add_f64 v[15:16], v[15:16], v[57:58]
	v_add_f64 v[13:14], v[13:14], v[55:56]
	s_clause 0x2
	buffer_load_dword v64, off, s[0:3], 0 offset:940
	buffer_load_dword v56, off, s[0:3], 0 offset:916
	;; [unrolled: 1-line block ×3, first 2 shown]
	ds_read_b128 v[1:4], v70 offset:1712
	s_waitcnt vmcnt(58) lgkmcnt(1)
	v_mul_f64 v[57:58], v[5:6], v[81:82]
	v_mul_f64 v[81:82], v[7:8], v[81:82]
	s_waitcnt vmcnt(56)
	v_fma_f64 v[21:22], v[9:10], v[27:28], -v[21:22]
	v_fma_f64 v[27:28], v[11:12], v[27:28], v[127:128]
	v_add_f64 v[15:16], v[15:16], v[73:74]
	v_add_f64 v[13:14], v[13:14], v[53:54]
	s_clause 0x4
	buffer_load_dword v54, off, s[0:3], 0 offset:956
	buffer_load_dword v73, off, s[0:3], 0 offset:968
	;; [unrolled: 1-line block ×5, first 2 shown]
	ds_read_b128 v[9:12], v70 offset:1728
	s_waitcnt vmcnt(57) lgkmcnt(1)
	v_mul_f64 v[127:128], v[1:2], v[33:34]
	v_mul_f64 v[33:34], v[3:4], v[33:34]
	s_waitcnt vmcnt(56)
	v_fma_f64 v[81:82], v[5:6], v[125:126], -v[81:82]
	v_add_f64 v[15:16], v[15:16], v[21:22]
	v_fma_f64 v[21:22], v[7:8], v[125:126], v[57:58]
	v_add_f64 v[13:14], v[13:14], v[27:28]
	s_clause 0x2
	buffer_load_dword v74, off, s[0:3], 0 offset:972
	buffer_load_dword v28, off, s[0:3], 0 offset:948
	;; [unrolled: 1-line block ×3, first 2 shown]
	ds_read_b128 v[5:8], v70 offset:1744
	s_waitcnt vmcnt(58) lgkmcnt(1)
	v_mul_f64 v[57:58], v[9:10], v[75:76]
	v_mul_f64 v[75:76], v[11:12], v[75:76]
	s_waitcnt vmcnt(56)
	v_fma_f64 v[33:34], v[1:2], v[25:26], -v[33:34]
	v_fma_f64 v[25:26], v[3:4], v[25:26], v[127:128]
	v_add_f64 v[15:16], v[15:16], v[81:82]
	v_add_f64 v[13:14], v[13:14], v[21:22]
	s_clause 0x4
	buffer_load_dword v22, off, s[0:3], 0 offset:988
	buffer_load_dword v81, off, s[0:3], 0 offset:1000
	;; [unrolled: 1-line block ×5, first 2 shown]
	ds_read_b128 v[1:4], v70 offset:1760
	s_waitcnt vmcnt(57) lgkmcnt(1)
	v_mul_f64 v[126:127], v[5:6], v[19:20]
	v_mul_f64 v[19:20], v[7:8], v[19:20]
	s_waitcnt vmcnt(56)
	v_fma_f64 v[75:76], v[9:10], v[117:118], -v[75:76]
	v_add_f64 v[15:16], v[15:16], v[33:34]
	v_fma_f64 v[33:34], v[11:12], v[117:118], v[57:58]
	v_add_f64 v[13:14], v[13:14], v[25:26]
	s_clause 0x2
	buffer_load_dword v82, off, s[0:3], 0 offset:1004
	buffer_load_dword v26, off, s[0:3], 0 offset:980
	;; [unrolled: 1-line block ×3, first 2 shown]
	ds_read_b128 v[9:12], v70 offset:1776
	s_waitcnt vmcnt(58) lgkmcnt(1)
	v_mul_f64 v[57:58], v[1:2], v[37:38]
	v_mul_f64 v[37:38], v[3:4], v[37:38]
	s_waitcnt vmcnt(56)
	v_fma_f64 v[19:20], v[5:6], v[31:32], -v[19:20]
	v_fma_f64 v[31:32], v[7:8], v[31:32], v[126:127]
	v_add_f64 v[15:16], v[15:16], v[75:76]
	v_add_f64 v[13:14], v[13:14], v[33:34]
	s_clause 0x2
	buffer_load_dword v34, off, s[0:3], 0 offset:1020
	buffer_load_dword v33, off, s[0:3], 0 offset:1016
	;; [unrolled: 1-line block ×3, first 2 shown]
	ds_read_b128 v[5:8], v70 offset:1792
	s_waitcnt vmcnt(55) lgkmcnt(1)
	v_mul_f64 v[75:76], v[9:10], v[23:24]
	v_mul_f64 v[23:24], v[11:12], v[23:24]
	s_waitcnt vmcnt(54)
	v_fma_f64 v[37:38], v[1:2], v[83:84], -v[37:38]
	v_add_f64 v[15:16], v[15:16], v[19:20]
	v_fma_f64 v[19:20], v[3:4], v[83:84], v[57:58]
	v_add_f64 v[13:14], v[13:14], v[31:32]
	s_clause 0x1
	buffer_load_dword v32, off, s[0:3], 0 offset:1012
	buffer_load_dword v31, off, s[0:3], 0 offset:1008
	ds_read_b128 v[1:4], v70 offset:1808
	s_waitcnt vmcnt(55) lgkmcnt(1)
	v_mul_f64 v[57:58], v[5:6], v[45:46]
	v_mul_f64 v[45:46], v[7:8], v[45:46]
	s_waitcnt vmcnt(53)
	v_fma_f64 v[23:24], v[9:10], v[41:42], -v[23:24]
	v_add_f64 v[15:16], v[15:16], v[37:38]
	v_fma_f64 v[37:38], v[11:12], v[41:42], v[75:76]
	v_add_f64 v[13:14], v[13:14], v[19:20]
	ds_read_b128 v[9:12], v70 offset:1824
	s_waitcnt vmcnt(49) lgkmcnt(1)
	v_mul_f64 v[19:20], v[1:2], v[29:30]
	v_mul_f64 v[29:30], v[3:4], v[29:30]
	s_waitcnt vmcnt(48)
	v_fma_f64 v[41:42], v[5:6], v[77:78], -v[45:46]
	v_add_f64 v[15:16], v[15:16], v[23:24]
	v_fma_f64 v[23:24], v[7:8], v[77:78], v[57:58]
	v_add_f64 v[13:14], v[13:14], v[37:38]
	s_clause 0x3
	buffer_load_dword v37, off, s[0:3], 0 offset:112
	buffer_load_dword v38, off, s[0:3], 0 offset:116
	;; [unrolled: 1-line block ×4, first 2 shown]
	ds_read_b128 v[5:8], v70 offset:1840
	s_waitcnt vmcnt(51) lgkmcnt(1)
	v_mul_f64 v[57:58], v[9:10], v[51:52]
	v_mul_f64 v[51:52], v[11:12], v[51:52]
	s_waitcnt vmcnt(49)
	v_fma_f64 v[29:30], v[1:2], v[39:40], -v[29:30]
	v_fma_f64 v[19:20], v[3:4], v[39:40], v[19:20]
	ds_read_b128 v[1:4], v70 offset:1856
	v_add_f64 v[15:16], v[15:16], v[41:42]
	v_add_f64 v[13:14], v[13:14], v[23:24]
	s_waitcnt vmcnt(45) lgkmcnt(1)
	v_mul_f64 v[23:24], v[5:6], v[35:36]
	v_mul_f64 v[35:36], v[7:8], v[35:36]
	s_waitcnt vmcnt(44)
	v_fma_f64 v[39:40], v[9:10], v[71:72], -v[51:52]
	v_add_f64 v[15:16], v[15:16], v[29:30]
	v_fma_f64 v[29:30], v[11:12], v[71:72], v[57:58]
	v_add_f64 v[13:14], v[13:14], v[19:20]
	ds_read_b128 v[9:12], v70 offset:1872
	s_waitcnt vmcnt(43) lgkmcnt(1)
	v_mul_f64 v[41:42], v[3:4], v[59:60]
	v_mul_f64 v[19:20], v[1:2], v[59:60]
	s_waitcnt vmcnt(41)
	v_fma_f64 v[35:36], v[5:6], v[47:48], -v[35:36]
	v_fma_f64 v[23:24], v[7:8], v[47:48], v[23:24]
	ds_read_b128 v[5:8], v70 offset:1888
	v_add_f64 v[15:16], v[15:16], v[39:40]
	v_add_f64 v[13:14], v[13:14], v[29:30]
	s_waitcnt vmcnt(37) lgkmcnt(1)
	v_mul_f64 v[39:40], v[11:12], v[43:44]
	s_waitcnt vmcnt(36)
	v_fma_f64 v[41:42], v[1:2], v[65:66], -v[41:42]
	v_mul_f64 v[29:30], v[9:10], v[43:44]
	v_fma_f64 v[19:20], v[3:4], v[65:66], v[19:20]
	ds_read_b128 v[1:4], v70 offset:1904
	v_add_f64 v[15:16], v[15:16], v[35:36]
	v_add_f64 v[13:14], v[13:14], v[23:24]
	s_waitcnt vmcnt(35) lgkmcnt(1)
	v_mul_f64 v[35:36], v[7:8], v[61:62]
	v_mul_f64 v[23:24], v[5:6], v[61:62]
	s_waitcnt vmcnt(33)
	v_fma_f64 v[39:40], v[9:10], v[17:18], -v[39:40]
	v_fma_f64 v[17:18], v[11:12], v[17:18], v[29:30]
	ds_read_b128 v[9:12], v70 offset:1920
	v_add_f64 v[15:16], v[15:16], v[41:42]
	v_add_f64 v[13:14], v[13:14], v[19:20]
	s_waitcnt vmcnt(29) lgkmcnt(1)
	v_mul_f64 v[29:30], v[3:4], v[49:50]
	s_waitcnt vmcnt(28)
	v_fma_f64 v[35:36], v[5:6], v[67:68], -v[35:36]
	v_mul_f64 v[19:20], v[1:2], v[49:50]
	v_fma_f64 v[23:24], v[7:8], v[67:68], v[23:24]
	ds_read_b128 v[5:8], v70 offset:1936
	v_add_f64 v[15:16], v[15:16], v[39:40]
	v_add_f64 v[13:14], v[13:14], v[17:18]
	;; [unrolled: 18-line block ×3, first 2 shown]
	s_waitcnt vmcnt(19) lgkmcnt(1)
	v_mul_f64 v[29:30], v[3:4], v[73:74]
	v_mul_f64 v[19:20], v[1:2], v[73:74]
	s_waitcnt vmcnt(17)
	v_fma_f64 v[35:36], v[5:6], v[27:28], -v[35:36]
	v_fma_f64 v[23:24], v[7:8], v[27:28], v[23:24]
	ds_read_b128 v[5:8], v70 offset:1984
	v_add_f64 v[15:16], v[15:16], v[39:40]
	v_add_f64 v[13:14], v[13:14], v[17:18]
	s_waitcnt vmcnt(13) lgkmcnt(1)
	v_mul_f64 v[17:18], v[9:10], v[21:22]
	v_mul_f64 v[21:22], v[11:12], v[21:22]
	s_waitcnt vmcnt(12)
	v_fma_f64 v[27:28], v[1:2], v[119:120], -v[29:30]
	v_fma_f64 v[19:20], v[3:4], v[119:120], v[19:20]
	ds_read_b128 v[1:4], v70 offset:2000
	v_add_f64 v[15:16], v[15:16], v[35:36]
	v_add_f64 v[13:14], v[13:14], v[23:24]
	s_waitcnt vmcnt(11) lgkmcnt(1)
	v_mul_f64 v[29:30], v[7:8], v[81:82]
	v_mul_f64 v[23:24], v[5:6], v[81:82]
	s_waitcnt vmcnt(9)
	v_fma_f64 v[9:10], v[9:10], v[25:26], -v[21:22]
	v_fma_f64 v[11:12], v[11:12], v[25:26], v[17:18]
	v_add_f64 v[15:16], v[15:16], v[27:28]
	v_add_f64 v[13:14], v[13:14], v[19:20]
	s_waitcnt vmcnt(7) lgkmcnt(0)
	v_mul_f64 v[19:20], v[3:4], v[33:34]
	s_waitcnt vmcnt(6)
	v_fma_f64 v[5:6], v[5:6], v[125:126], -v[29:30]
	v_mul_f64 v[17:18], v[1:2], v[33:34]
	v_fma_f64 v[7:8], v[7:8], v[125:126], v[23:24]
	v_add_f64 v[9:10], v[15:16], v[9:10]
	v_add_f64 v[11:12], v[13:14], v[11:12]
	s_waitcnt vmcnt(4)
	v_fma_f64 v[1:2], v[1:2], v[31:32], -v[19:20]
	v_fma_f64 v[3:4], v[3:4], v[31:32], v[17:18]
	v_add_f64 v[5:6], v[9:10], v[5:6]
	v_add_f64 v[7:8], v[11:12], v[7:8]
	v_add_f64 v[1:2], v[5:6], v[1:2]
	v_add_f64 v[3:4], v[7:8], v[3:4]
	s_waitcnt vmcnt(2)
	v_add_f64 v[1:2], v[37:38], -v[1:2]
	s_waitcnt vmcnt(0)
	v_add_f64 v[3:4], v[45:46], -v[3:4]
	buffer_store_dword v2, off, s[0:3], 0 offset:116
	buffer_store_dword v1, off, s[0:3], 0 offset:112
	;; [unrolled: 1-line block ×4, first 2 shown]
	v_cmpx_lt_u32_e32 5, v0
	s_cbranch_execz .LBB62_393
; %bb.392:
	v_mov_b32_e32 v4, s74
	v_mov_b32_e32 v5, 0
	s_clause 0x3
	buffer_load_dword v1, v4, s[0:3], 0 offen
	buffer_load_dword v2, v4, s[0:3], 0 offen offset:4
	buffer_load_dword v3, v4, s[0:3], 0 offen offset:8
	buffer_load_dword v4, v4, s[0:3], 0 offen offset:12
	buffer_store_dword v5, off, s[0:3], 0 offset:96
	buffer_store_dword v5, off, s[0:3], 0 offset:100
	;; [unrolled: 1-line block ×4, first 2 shown]
	s_waitcnt vmcnt(0)
	ds_write_b128 v69, v[1:4]
.LBB62_393:
	s_or_b32 exec_lo, exec_lo, s4
	s_waitcnt lgkmcnt(0)
	s_waitcnt_vscnt null, 0x0
	s_barrier
	buffer_gl0_inv
	s_clause 0x37
	buffer_load_dword v17, off, s[0:3], 0 offset:120
	buffer_load_dword v18, off, s[0:3], 0 offset:124
	;; [unrolled: 1-line block ×56, first 2 shown]
	v_mov_b32_e32 v70, 0
	s_mov_b32 s4, exec_lo
	ds_read_b128 v[5:8], v70 offset:1104
	s_clause 0x2
	buffer_load_dword v66, off, s[0:3], 0 offset:348
	buffer_load_dword v68, off, s[0:3], 0 offset:324
	;; [unrolled: 1-line block ×3, first 2 shown]
	ds_read_b128 v[1:4], v70 offset:1120
	s_clause 0x4
	buffer_load_dword v78, off, s[0:3], 0 offset:364
	buffer_load_dword v79, off, s[0:3], 0 offset:376
	;; [unrolled: 1-line block ×5, first 2 shown]
	ds_read_b128 v[71:74], v70 offset:1136
	s_waitcnt vmcnt(62) lgkmcnt(2)
	v_mul_f64 v[75:76], v[7:8], v[17:18]
	v_mul_f64 v[17:18], v[5:6], v[17:18]
	s_waitcnt vmcnt(60) lgkmcnt(1)
	v_mul_f64 v[82:83], v[3:4], v[13:14]
	v_mul_f64 v[13:14], v[1:2], v[13:14]
	;; [unrolled: 3-line block ×3, first 2 shown]
	v_fma_f64 v[75:76], v[5:6], v[15:16], -v[75:76]
	v_fma_f64 v[15:16], v[7:8], v[15:16], v[17:18]
	s_clause 0x2
	buffer_load_dword v80, off, s[0:3], 0 offset:380
	buffer_load_dword v18, off, s[0:3], 0 offset:356
	;; [unrolled: 1-line block ×3, first 2 shown]
	s_waitcnt vmcnt(57)
	v_fma_f64 v[83:84], v[1:2], v[9:10], -v[82:83]
	ds_read_b128 v[5:8], v70 offset:1152
	v_fma_f64 v[9:10], v[3:4], v[9:10], v[13:14]
	s_waitcnt vmcnt(51)
	v_fma_f64 v[71:72], v[71:72], v[33:34], -v[11:12]
	v_fma_f64 v[33:34], v[73:74], v[33:34], v[117:118]
	v_add_f64 v[75:76], v[75:76], 0
	v_add_f64 v[13:14], v[15:16], 0
	s_clause 0x4
	buffer_load_dword v16, off, s[0:3], 0 offset:396
	buffer_load_dword v119, off, s[0:3], 0 offset:408
	;; [unrolled: 1-line block ×5, first 2 shown]
	s_waitcnt lgkmcnt(0)
	v_mul_f64 v[126:127], v[5:6], v[21:22]
	v_mul_f64 v[21:22], v[7:8], v[21:22]
	ds_read_b128 v[1:4], v70 offset:1168
	s_clause 0x2
	buffer_load_dword v120, off, s[0:3], 0 offset:412
	buffer_load_dword v74, off, s[0:3], 0 offset:388
	buffer_load_dword v73, off, s[0:3], 0 offset:384
	v_add_f64 v[75:76], v[75:76], v[83:84]
	v_add_f64 v[13:14], v[13:14], v[9:10]
	ds_read_b128 v[9:12], v70 offset:1184
	s_waitcnt vmcnt(58) lgkmcnt(1)
	v_mul_f64 v[83:84], v[1:2], v[25:26]
	v_mul_f64 v[25:26], v[3:4], v[25:26]
	s_waitcnt vmcnt(56)
	v_fma_f64 v[21:22], v[5:6], v[27:28], -v[21:22]
	v_fma_f64 v[27:28], v[7:8], v[27:28], v[126:127]
	s_waitcnt vmcnt(52) lgkmcnt(0)
	v_mul_f64 v[127:128], v[9:10], v[29:30]
	v_add_f64 v[71:72], v[75:76], v[71:72]
	v_add_f64 v[13:14], v[13:14], v[33:34]
	s_clause 0x4
	buffer_load_dword v34, off, s[0:3], 0 offset:428
	buffer_load_dword v75, off, s[0:3], 0 offset:440
	;; [unrolled: 1-line block ×5, first 2 shown]
	v_mul_f64 v[29:30], v[11:12], v[29:30]
	s_waitcnt vmcnt(56)
	v_fma_f64 v[25:26], v[1:2], v[19:20], -v[25:26]
	ds_read_b128 v[5:8], v70 offset:1200
	v_fma_f64 v[19:20], v[3:4], v[19:20], v[83:84]
	v_add_f64 v[21:22], v[71:72], v[21:22]
	v_add_f64 v[13:14], v[13:14], v[27:28]
	s_clause 0x2
	buffer_load_dword v76, off, s[0:3], 0 offset:444
	buffer_load_dword v28, off, s[0:3], 0 offset:420
	;; [unrolled: 1-line block ×3, first 2 shown]
	s_waitcnt vmcnt(58) lgkmcnt(0)
	v_mul_f64 v[71:72], v[5:6], v[35:36]
	v_mul_f64 v[35:36], v[7:8], v[35:36]
	s_waitcnt vmcnt(56)
	v_fma_f64 v[29:30], v[9:10], v[37:38], -v[29:30]
	ds_read_b128 v[1:4], v70 offset:1216
	v_add_f64 v[21:22], v[21:22], v[25:26]
	v_fma_f64 v[25:26], v[11:12], v[37:38], v[127:128]
	v_add_f64 v[13:14], v[13:14], v[19:20]
	s_clause 0x4
	buffer_load_dword v20, off, s[0:3], 0 offset:460
	buffer_load_dword v37, off, s[0:3], 0 offset:472
	;; [unrolled: 1-line block ×5, first 2 shown]
	s_waitcnt vmcnt(57) lgkmcnt(0)
	v_mul_f64 v[127:128], v[1:2], v[39:40]
	v_mul_f64 v[39:40], v[3:4], v[39:40]
	s_waitcnt vmcnt(56)
	v_fma_f64 v[35:36], v[5:6], v[23:24], -v[35:36]
	ds_read_b128 v[9:12], v70 offset:1232
	v_fma_f64 v[23:24], v[7:8], v[23:24], v[71:72]
	v_add_f64 v[21:22], v[21:22], v[29:30]
	v_add_f64 v[13:14], v[13:14], v[25:26]
	s_clause 0x2
	buffer_load_dword v38, off, s[0:3], 0 offset:476
	buffer_load_dword v26, off, s[0:3], 0 offset:452
	;; [unrolled: 1-line block ×3, first 2 shown]
	ds_read_b128 v[5:8], v70 offset:1248
	s_waitcnt vmcnt(58) lgkmcnt(1)
	v_mul_f64 v[29:30], v[9:10], v[43:44]
	v_mul_f64 v[43:44], v[11:12], v[43:44]
	s_waitcnt vmcnt(56)
	v_fma_f64 v[39:40], v[1:2], v[45:46], -v[39:40]
	v_add_f64 v[21:22], v[21:22], v[35:36]
	v_fma_f64 v[35:36], v[3:4], v[45:46], v[127:128]
	v_add_f64 v[13:14], v[13:14], v[23:24]
	s_clause 0x4
	buffer_load_dword v24, off, s[0:3], 0 offset:492
	buffer_load_dword v45, off, s[0:3], 0 offset:504
	;; [unrolled: 1-line block ×5, first 2 shown]
	s_waitcnt vmcnt(57) lgkmcnt(0)
	v_mul_f64 v[127:128], v[5:6], v[47:48]
	v_mul_f64 v[47:48], v[7:8], v[47:48]
	s_waitcnt vmcnt(56)
	v_fma_f64 v[43:44], v[9:10], v[31:32], -v[43:44]
	ds_read_b128 v[1:4], v70 offset:1264
	v_fma_f64 v[29:30], v[11:12], v[31:32], v[29:30]
	s_clause 0x2
	buffer_load_dword v46, off, s[0:3], 0 offset:508
	buffer_load_dword v32, off, s[0:3], 0 offset:484
	;; [unrolled: 1-line block ×3, first 2 shown]
	ds_read_b128 v[9:12], v70 offset:1280
	v_add_f64 v[21:22], v[21:22], v[39:40]
	v_add_f64 v[13:14], v[13:14], v[35:36]
	s_waitcnt vmcnt(58) lgkmcnt(1)
	v_mul_f64 v[39:40], v[3:4], v[51:52]
	s_waitcnt vmcnt(56)
	v_fma_f64 v[47:48], v[5:6], v[53:54], -v[47:48]
	v_mul_f64 v[35:36], v[1:2], v[51:52]
	v_add_f64 v[21:22], v[21:22], v[43:44]
	v_fma_f64 v[43:44], v[7:8], v[53:54], v[127:128]
	v_add_f64 v[13:14], v[13:14], v[29:30]
	s_clause 0x4
	buffer_load_dword v30, off, s[0:3], 0 offset:524
	buffer_load_dword v51, off, s[0:3], 0 offset:536
	;; [unrolled: 1-line block ×5, first 2 shown]
	s_waitcnt vmcnt(57) lgkmcnt(0)
	v_mul_f64 v[127:128], v[9:10], v[55:56]
	v_mul_f64 v[54:55], v[11:12], v[55:56]
	s_waitcnt vmcnt(56)
	v_fma_f64 v[39:40], v[1:2], v[41:42], -v[39:40]
	ds_read_b128 v[5:8], v70 offset:1296
	v_fma_f64 v[35:36], v[3:4], v[41:42], v[35:36]
	s_clause 0x2
	buffer_load_dword v52, off, s[0:3], 0 offset:540
	buffer_load_dword v42, off, s[0:3], 0 offset:516
	;; [unrolled: 1-line block ×3, first 2 shown]
	ds_read_b128 v[1:4], v70 offset:1312
	v_add_f64 v[21:22], v[21:22], v[47:48]
	v_add_f64 v[13:14], v[13:14], v[43:44]
	s_waitcnt vmcnt(58) lgkmcnt(1)
	v_mul_f64 v[47:48], v[7:8], v[59:60]
	s_waitcnt vmcnt(56)
	v_fma_f64 v[55:56], v[9:10], v[61:62], -v[54:55]
	v_mul_f64 v[43:44], v[5:6], v[59:60]
	v_add_f64 v[21:22], v[21:22], v[39:40]
	v_fma_f64 v[39:40], v[11:12], v[61:62], v[127:128]
	v_add_f64 v[13:14], v[13:14], v[35:36]
	s_clause 0x4
	buffer_load_dword v36, off, s[0:3], 0 offset:556
	buffer_load_dword v59, off, s[0:3], 0 offset:568
	;; [unrolled: 1-line block ×5, first 2 shown]
	s_waitcnt vmcnt(57) lgkmcnt(0)
	v_mul_f64 v[127:128], v[1:2], v[63:64]
	v_mul_f64 v[62:63], v[3:4], v[63:64]
	s_waitcnt vmcnt(56)
	v_fma_f64 v[47:48], v[5:6], v[49:50], -v[47:48]
	ds_read_b128 v[9:12], v70 offset:1328
	v_fma_f64 v[43:44], v[7:8], v[49:50], v[43:44]
	v_add_f64 v[21:22], v[21:22], v[55:56]
	v_add_f64 v[13:14], v[13:14], v[39:40]
	s_clause 0x2
	buffer_load_dword v60, off, s[0:3], 0 offset:572
	buffer_load_dword v40, off, s[0:3], 0 offset:548
	;; [unrolled: 1-line block ×3, first 2 shown]
	ds_read_b128 v[5:8], v70 offset:1344
	s_waitcnt vmcnt(58) lgkmcnt(1)
	v_mul_f64 v[55:56], v[11:12], v[65:66]
	s_waitcnt vmcnt(56)
	v_fma_f64 v[63:64], v[1:2], v[67:68], -v[62:63]
	v_mul_f64 v[49:50], v[9:10], v[65:66]
	v_add_f64 v[21:22], v[21:22], v[47:48]
	v_fma_f64 v[47:48], v[3:4], v[67:68], v[127:128]
	v_add_f64 v[13:14], v[13:14], v[43:44]
	s_clause 0x4
	buffer_load_dword v44, off, s[0:3], 0 offset:588
	buffer_load_dword v65, off, s[0:3], 0 offset:600
	;; [unrolled: 1-line block ×5, first 2 shown]
	s_waitcnt vmcnt(57) lgkmcnt(0)
	v_mul_f64 v[127:128], v[5:6], v[77:78]
	v_mul_f64 v[77:78], v[7:8], v[77:78]
	s_waitcnt vmcnt(56)
	v_fma_f64 v[55:56], v[9:10], v[57:58], -v[55:56]
	ds_read_b128 v[1:4], v70 offset:1360
	v_fma_f64 v[49:50], v[11:12], v[57:58], v[49:50]
	v_add_f64 v[21:22], v[21:22], v[63:64]
	v_add_f64 v[13:14], v[13:14], v[47:48]
	s_clause 0x2
	buffer_load_dword v66, off, s[0:3], 0 offset:604
	buffer_load_dword v48, off, s[0:3], 0 offset:580
	buffer_load_dword v47, off, s[0:3], 0 offset:576
	ds_read_b128 v[9:12], v70 offset:1376
	s_waitcnt vmcnt(58) lgkmcnt(1)
	v_mul_f64 v[63:64], v[3:4], v[79:80]
	v_mul_f64 v[57:58], v[1:2], v[79:80]
	s_waitcnt vmcnt(56)
	v_fma_f64 v[77:78], v[5:6], v[17:18], -v[77:78]
	v_fma_f64 v[17:18], v[7:8], v[17:18], v[127:128]
	v_add_f64 v[21:22], v[21:22], v[55:56]
	v_add_f64 v[13:14], v[13:14], v[49:50]
	s_clause 0x4
	buffer_load_dword v50, off, s[0:3], 0 offset:620
	buffer_load_dword v55, off, s[0:3], 0 offset:632
	;; [unrolled: 1-line block ×5, first 2 shown]
	ds_read_b128 v[5:8], v70 offset:1392
	s_waitcnt vmcnt(57) lgkmcnt(1)
	v_mul_f64 v[127:128], v[9:10], v[15:16]
	v_mul_f64 v[15:16], v[11:12], v[15:16]
	s_waitcnt vmcnt(56)
	v_fma_f64 v[63:64], v[1:2], v[81:82], -v[63:64]
	v_fma_f64 v[57:58], v[3:4], v[81:82], v[57:58]
	v_add_f64 v[21:22], v[21:22], v[77:78]
	v_add_f64 v[13:14], v[13:14], v[17:18]
	s_clause 0x2
	buffer_load_dword v56, off, s[0:3], 0 offset:636
	buffer_load_dword v18, off, s[0:3], 0 offset:612
	;; [unrolled: 1-line block ×3, first 2 shown]
	s_waitcnt vmcnt(58) lgkmcnt(0)
	v_mul_f64 v[81:82], v[7:8], v[119:120]
	ds_read_b128 v[1:4], v70 offset:1408
	v_mul_f64 v[77:78], v[5:6], v[119:120]
	s_waitcnt vmcnt(56)
	v_fma_f64 v[15:16], v[9:10], v[73:74], -v[15:16]
	v_add_f64 v[21:22], v[21:22], v[63:64]
	v_fma_f64 v[63:64], v[11:12], v[73:74], v[127:128]
	v_add_f64 v[13:14], v[13:14], v[57:58]
	s_clause 0x4
	buffer_load_dword v58, off, s[0:3], 0 offset:652
	buffer_load_dword v73, off, s[0:3], 0 offset:664
	;; [unrolled: 1-line block ×5, first 2 shown]
	ds_read_b128 v[9:12], v70 offset:1424
	s_waitcnt vmcnt(57) lgkmcnt(1)
	v_mul_f64 v[127:128], v[1:2], v[33:34]
	v_mul_f64 v[33:34], v[3:4], v[33:34]
	s_waitcnt vmcnt(56)
	v_fma_f64 v[81:82], v[5:6], v[125:126], -v[81:82]
	v_add_f64 v[15:16], v[21:22], v[15:16]
	v_fma_f64 v[21:22], v[7:8], v[125:126], v[77:78]
	v_add_f64 v[13:14], v[13:14], v[63:64]
	s_clause 0x2
	buffer_load_dword v74, off, s[0:3], 0 offset:668
	buffer_load_dword v64, off, s[0:3], 0 offset:644
	;; [unrolled: 1-line block ×3, first 2 shown]
	ds_read_b128 v[5:8], v70 offset:1440
	s_waitcnt vmcnt(58) lgkmcnt(1)
	v_mul_f64 v[77:78], v[9:10], v[75:76]
	v_mul_f64 v[75:76], v[11:12], v[75:76]
	s_waitcnt vmcnt(56)
	v_fma_f64 v[33:34], v[1:2], v[27:28], -v[33:34]
	v_fma_f64 v[27:28], v[3:4], v[27:28], v[127:128]
	v_add_f64 v[15:16], v[15:16], v[81:82]
	v_add_f64 v[13:14], v[13:14], v[21:22]
	s_clause 0x4
	buffer_load_dword v22, off, s[0:3], 0 offset:684
	buffer_load_dword v81, off, s[0:3], 0 offset:696
	;; [unrolled: 1-line block ×5, first 2 shown]
	ds_read_b128 v[1:4], v70 offset:1456
	s_waitcnt vmcnt(57) lgkmcnt(1)
	v_mul_f64 v[126:127], v[5:6], v[19:20]
	v_mul_f64 v[19:20], v[7:8], v[19:20]
	s_waitcnt vmcnt(56)
	v_fma_f64 v[75:76], v[9:10], v[117:118], -v[75:76]
	v_add_f64 v[15:16], v[15:16], v[33:34]
	v_fma_f64 v[33:34], v[11:12], v[117:118], v[77:78]
	v_add_f64 v[13:14], v[13:14], v[27:28]
	s_clause 0x2
	buffer_load_dword v82, off, s[0:3], 0 offset:700
	buffer_load_dword v28, off, s[0:3], 0 offset:676
	;; [unrolled: 1-line block ×3, first 2 shown]
	ds_read_b128 v[9:12], v70 offset:1472
	s_waitcnt vmcnt(58) lgkmcnt(1)
	v_mul_f64 v[77:78], v[1:2], v[37:38]
	v_mul_f64 v[37:38], v[3:4], v[37:38]
	s_waitcnt vmcnt(56)
	v_fma_f64 v[19:20], v[5:6], v[25:26], -v[19:20]
	v_fma_f64 v[25:26], v[7:8], v[25:26], v[126:127]
	v_add_f64 v[15:16], v[15:16], v[75:76]
	v_add_f64 v[13:14], v[13:14], v[33:34]
	s_clause 0x4
	buffer_load_dword v34, off, s[0:3], 0 offset:716
	buffer_load_dword v75, off, s[0:3], 0 offset:728
	;; [unrolled: 1-line block ×5, first 2 shown]
	ds_read_b128 v[5:8], v70 offset:1488
	s_waitcnt vmcnt(57) lgkmcnt(1)
	v_mul_f64 v[127:128], v[9:10], v[23:24]
	v_mul_f64 v[23:24], v[11:12], v[23:24]
	s_waitcnt vmcnt(56)
	v_fma_f64 v[37:38], v[1:2], v[83:84], -v[37:38]
	v_add_f64 v[15:16], v[15:16], v[19:20]
	v_fma_f64 v[19:20], v[3:4], v[83:84], v[77:78]
	v_add_f64 v[13:14], v[13:14], v[25:26]
	s_clause 0x2
	buffer_load_dword v76, off, s[0:3], 0 offset:732
	buffer_load_dword v26, off, s[0:3], 0 offset:708
	;; [unrolled: 1-line block ×3, first 2 shown]
	s_waitcnt vmcnt(58) lgkmcnt(0)
	v_mul_f64 v[77:78], v[5:6], v[45:46]
	v_mul_f64 v[45:46], v[7:8], v[45:46]
	ds_read_b128 v[1:4], v70 offset:1504
	s_waitcnt vmcnt(56)
	v_fma_f64 v[23:24], v[9:10], v[31:32], -v[23:24]
	v_fma_f64 v[31:32], v[11:12], v[31:32], v[127:128]
	v_add_f64 v[15:16], v[15:16], v[37:38]
	v_add_f64 v[13:14], v[13:14], v[19:20]
	s_clause 0x4
	buffer_load_dword v20, off, s[0:3], 0 offset:748
	buffer_load_dword v37, off, s[0:3], 0 offset:760
	;; [unrolled: 1-line block ×5, first 2 shown]
	ds_read_b128 v[9:12], v70 offset:1520
	s_waitcnt vmcnt(57) lgkmcnt(1)
	v_mul_f64 v[127:128], v[1:2], v[29:30]
	v_mul_f64 v[29:30], v[3:4], v[29:30]
	s_waitcnt vmcnt(56)
	v_fma_f64 v[45:46], v[5:6], v[71:72], -v[45:46]
	v_add_f64 v[15:16], v[15:16], v[23:24]
	v_fma_f64 v[23:24], v[7:8], v[71:72], v[77:78]
	v_add_f64 v[13:14], v[13:14], v[31:32]
	s_clause 0x2
	buffer_load_dword v38, off, s[0:3], 0 offset:764
	buffer_load_dword v32, off, s[0:3], 0 offset:740
	;; [unrolled: 1-line block ×3, first 2 shown]
	s_waitcnt vmcnt(58) lgkmcnt(0)
	v_mul_f64 v[71:72], v[9:10], v[51:52]
	v_mul_f64 v[51:52], v[11:12], v[51:52]
	ds_read_b128 v[5:8], v70 offset:1536
	s_waitcnt vmcnt(56)
	v_fma_f64 v[29:30], v[1:2], v[41:42], -v[29:30]
	v_fma_f64 v[41:42], v[3:4], v[41:42], v[127:128]
	v_add_f64 v[15:16], v[15:16], v[45:46]
	v_add_f64 v[13:14], v[13:14], v[23:24]
	s_clause 0x4
	buffer_load_dword v24, off, s[0:3], 0 offset:780
	buffer_load_dword v45, off, s[0:3], 0 offset:792
	buffer_load_dword v77, off, s[0:3], 0 offset:784
	buffer_load_dword v23, off, s[0:3], 0 offset:776
	buffer_load_dword v84, off, s[0:3], 0 offset:756
	ds_read_b128 v[1:4], v70 offset:1552
	s_waitcnt vmcnt(57) lgkmcnt(1)
	v_mul_f64 v[127:128], v[5:6], v[35:36]
	v_mul_f64 v[35:36], v[7:8], v[35:36]
	s_waitcnt vmcnt(56)
	v_fma_f64 v[51:52], v[9:10], v[53:54], -v[51:52]
	v_add_f64 v[15:16], v[15:16], v[29:30]
	v_fma_f64 v[29:30], v[11:12], v[53:54], v[71:72]
	v_add_f64 v[13:14], v[13:14], v[41:42]
	s_clause 0x2
	buffer_load_dword v46, off, s[0:3], 0 offset:796
	buffer_load_dword v42, off, s[0:3], 0 offset:772
	buffer_load_dword v41, off, s[0:3], 0 offset:768
	ds_read_b128 v[9:12], v70 offset:1568
	s_waitcnt vmcnt(58) lgkmcnt(1)
	v_mul_f64 v[53:54], v[1:2], v[59:60]
	v_mul_f64 v[59:60], v[3:4], v[59:60]
	s_waitcnt vmcnt(56)
	v_fma_f64 v[35:36], v[5:6], v[39:40], -v[35:36]
	v_fma_f64 v[39:40], v[7:8], v[39:40], v[127:128]
	v_add_f64 v[15:16], v[15:16], v[51:52]
	v_add_f64 v[13:14], v[13:14], v[29:30]
	s_clause 0x4
	buffer_load_dword v30, off, s[0:3], 0 offset:812
	buffer_load_dword v51, off, s[0:3], 0 offset:824
	buffer_load_dword v71, off, s[0:3], 0 offset:816
	buffer_load_dword v29, off, s[0:3], 0 offset:808
	buffer_load_dword v78, off, s[0:3], 0 offset:788
	ds_read_b128 v[5:8], v70 offset:1584
	s_waitcnt vmcnt(57) lgkmcnt(1)
	v_mul_f64 v[127:128], v[9:10], v[43:44]
	v_mul_f64 v[43:44], v[11:12], v[43:44]
	s_waitcnt vmcnt(56)
	v_fma_f64 v[59:60], v[1:2], v[61:62], -v[59:60]
	v_add_f64 v[15:16], v[15:16], v[35:36]
	v_fma_f64 v[35:36], v[3:4], v[61:62], v[53:54]
	v_add_f64 v[13:14], v[13:14], v[39:40]
	s_clause 0x2
	buffer_load_dword v52, off, s[0:3], 0 offset:828
	buffer_load_dword v40, off, s[0:3], 0 offset:804
	buffer_load_dword v39, off, s[0:3], 0 offset:800
	ds_read_b128 v[1:4], v70 offset:1600
	s_waitcnt vmcnt(58) lgkmcnt(1)
	v_mul_f64 v[61:62], v[7:8], v[65:66]
	v_mul_f64 v[53:54], v[5:6], v[65:66]
	;; [unrolled: 28-line block ×4, first 2 shown]
	s_waitcnt vmcnt(56)
	v_fma_f64 v[57:58], v[5:6], v[63:64], -v[57:58]
	v_add_f64 v[15:16], v[15:16], v[55:56]
	v_fma_f64 v[55:56], v[7:8], v[63:64], v[127:128]
	v_add_f64 v[13:14], v[13:14], v[49:50]
	s_clause 0x4
	buffer_load_dword v50, off, s[0:3], 0 offset:908
	buffer_load_dword v63, off, s[0:3], 0 offset:920
	;; [unrolled: 1-line block ×5, first 2 shown]
	ds_read_b128 v[5:8], v70 offset:1680
	s_waitcnt vmcnt(57) lgkmcnt(1)
	v_mul_f64 v[127:128], v[9:10], v[21:22]
	v_mul_f64 v[21:22], v[11:12], v[21:22]
	s_waitcnt vmcnt(56)
	v_fma_f64 v[73:74], v[1:2], v[119:120], -v[73:74]
	v_fma_f64 v[53:54], v[3:4], v[119:120], v[53:54]
	v_add_f64 v[15:16], v[15:16], v[57:58]
	v_add_f64 v[13:14], v[13:14], v[55:56]
	s_clause 0x2
	buffer_load_dword v64, off, s[0:3], 0 offset:924
	buffer_load_dword v56, off, s[0:3], 0 offset:900
	buffer_load_dword v55, off, s[0:3], 0 offset:896
	ds_read_b128 v[1:4], v70 offset:1696
	s_waitcnt vmcnt(58) lgkmcnt(1)
	v_mul_f64 v[57:58], v[5:6], v[81:82]
	v_mul_f64 v[81:82], v[7:8], v[81:82]
	s_waitcnt vmcnt(56)
	v_fma_f64 v[21:22], v[9:10], v[27:28], -v[21:22]
	v_fma_f64 v[27:28], v[11:12], v[27:28], v[127:128]
	v_add_f64 v[15:16], v[15:16], v[73:74]
	v_add_f64 v[13:14], v[13:14], v[53:54]
	s_clause 0x4
	buffer_load_dword v54, off, s[0:3], 0 offset:940
	buffer_load_dword v73, off, s[0:3], 0 offset:952
	buffer_load_dword v119, off, s[0:3], 0 offset:944
	buffer_load_dword v53, off, s[0:3], 0 offset:936
	buffer_load_dword v80, off, s[0:3], 0 offset:916
	ds_read_b128 v[9:12], v70 offset:1712
	s_waitcnt vmcnt(57) lgkmcnt(1)
	v_mul_f64 v[127:128], v[1:2], v[33:34]
	v_mul_f64 v[33:34], v[3:4], v[33:34]
	s_waitcnt vmcnt(56)
	v_fma_f64 v[81:82], v[5:6], v[125:126], -v[81:82]
	v_add_f64 v[15:16], v[15:16], v[21:22]
	v_fma_f64 v[21:22], v[7:8], v[125:126], v[57:58]
	v_add_f64 v[13:14], v[13:14], v[27:28]
	s_clause 0x2
	buffer_load_dword v74, off, s[0:3], 0 offset:956
	buffer_load_dword v28, off, s[0:3], 0 offset:932
	buffer_load_dword v27, off, s[0:3], 0 offset:928
	ds_read_b128 v[5:8], v70 offset:1728
	s_waitcnt vmcnt(58) lgkmcnt(1)
	v_mul_f64 v[57:58], v[9:10], v[75:76]
	v_mul_f64 v[75:76], v[11:12], v[75:76]
	s_waitcnt vmcnt(56)
	v_fma_f64 v[33:34], v[1:2], v[25:26], -v[33:34]
	v_fma_f64 v[25:26], v[3:4], v[25:26], v[127:128]
	v_add_f64 v[15:16], v[15:16], v[81:82]
	v_add_f64 v[13:14], v[13:14], v[21:22]
	s_clause 0x4
	buffer_load_dword v22, off, s[0:3], 0 offset:972
	buffer_load_dword v81, off, s[0:3], 0 offset:984
	buffer_load_dword v125, off, s[0:3], 0 offset:976
	buffer_load_dword v21, off, s[0:3], 0 offset:968
	buffer_load_dword v120, off, s[0:3], 0 offset:948
	ds_read_b128 v[1:4], v70 offset:1744
	s_waitcnt vmcnt(57) lgkmcnt(1)
	v_mul_f64 v[126:127], v[5:6], v[19:20]
	v_mul_f64 v[19:20], v[7:8], v[19:20]
	s_waitcnt vmcnt(56)
	v_fma_f64 v[75:76], v[9:10], v[117:118], -v[75:76]
	v_add_f64 v[15:16], v[15:16], v[33:34]
	v_fma_f64 v[33:34], v[11:12], v[117:118], v[57:58]
	;; [unrolled: 28-line block ×3, first 2 shown]
	v_add_f64 v[13:14], v[13:14], v[31:32]
	s_clause 0x2
	buffer_load_dword v76, off, s[0:3], 0 offset:1020
	buffer_load_dword v32, off, s[0:3], 0 offset:996
	;; [unrolled: 1-line block ×3, first 2 shown]
	ds_read_b128 v[1:4], v70 offset:1792
	buffer_load_dword v118, off, s[0:3], 0 offset:1012
	s_waitcnt vmcnt(59) lgkmcnt(1)
	v_mul_f64 v[57:58], v[5:6], v[45:46]
	v_mul_f64 v[45:46], v[7:8], v[45:46]
	s_waitcnt vmcnt(57)
	v_fma_f64 v[23:24], v[9:10], v[41:42], -v[23:24]
	v_add_f64 v[15:16], v[15:16], v[37:38]
	v_fma_f64 v[37:38], v[11:12], v[41:42], v[127:128]
	v_add_f64 v[13:14], v[13:14], v[19:20]
	ds_read_b128 v[9:12], v70 offset:1808
	s_waitcnt vmcnt(53) lgkmcnt(1)
	v_mul_f64 v[19:20], v[1:2], v[29:30]
	v_mul_f64 v[29:30], v[3:4], v[29:30]
	s_waitcnt vmcnt(52)
	v_fma_f64 v[41:42], v[5:6], v[77:78], -v[45:46]
	v_add_f64 v[15:16], v[15:16], v[23:24]
	v_fma_f64 v[23:24], v[7:8], v[77:78], v[57:58]
	v_add_f64 v[13:14], v[13:14], v[37:38]
	ds_read_b128 v[5:8], v70 offset:1824
	s_waitcnt vmcnt(51) lgkmcnt(1)
	v_mul_f64 v[45:46], v[11:12], v[51:52]
	v_mul_f64 v[37:38], v[9:10], v[51:52]
	s_waitcnt vmcnt(49)
	v_fma_f64 v[29:30], v[1:2], v[39:40], -v[29:30]
	v_fma_f64 v[19:20], v[3:4], v[39:40], v[19:20]
	v_add_f64 v[15:16], v[15:16], v[41:42]
	v_add_f64 v[13:14], v[13:14], v[23:24]
	s_clause 0x3
	buffer_load_dword v23, off, s[0:3], 0 offset:96
	buffer_load_dword v24, off, s[0:3], 0 offset:100
	;; [unrolled: 1-line block ×4, first 2 shown]
	ds_read_b128 v[1:4], v70 offset:1840
	s_waitcnt vmcnt(49) lgkmcnt(1)
	v_mul_f64 v[41:42], v[5:6], v[35:36]
	v_mul_f64 v[35:36], v[7:8], v[35:36]
	s_waitcnt vmcnt(48)
	v_fma_f64 v[45:46], v[9:10], v[71:72], -v[45:46]
	v_add_f64 v[15:16], v[15:16], v[29:30]
	v_fma_f64 v[29:30], v[11:12], v[71:72], v[37:38]
	v_add_f64 v[13:14], v[13:14], v[19:20]
	ds_read_b128 v[9:12], v70 offset:1856
	s_waitcnt vmcnt(47) lgkmcnt(1)
	v_mul_f64 v[37:38], v[3:4], v[59:60]
	v_mul_f64 v[19:20], v[1:2], v[59:60]
	s_waitcnt vmcnt(45)
	v_fma_f64 v[35:36], v[5:6], v[47:48], -v[35:36]
	v_fma_f64 v[41:42], v[7:8], v[47:48], v[41:42]
	ds_read_b128 v[5:8], v70 offset:1872
	v_add_f64 v[15:16], v[15:16], v[45:46]
	v_add_f64 v[13:14], v[13:14], v[29:30]
	s_waitcnt vmcnt(41) lgkmcnt(1)
	v_mul_f64 v[29:30], v[9:10], v[43:44]
	v_mul_f64 v[43:44], v[11:12], v[43:44]
	s_waitcnt vmcnt(40)
	v_fma_f64 v[37:38], v[1:2], v[65:66], -v[37:38]
	v_fma_f64 v[19:20], v[3:4], v[65:66], v[19:20]
	ds_read_b128 v[1:4], v70 offset:1888
	v_add_f64 v[15:16], v[15:16], v[35:36]
	v_add_f64 v[13:14], v[13:14], v[41:42]
	;; [unrolled: 9-line block ×3, first 2 shown]
	s_waitcnt vmcnt(33) lgkmcnt(1)
	v_mul_f64 v[29:30], v[3:4], v[49:50]
	s_waitcnt vmcnt(32)
	v_fma_f64 v[37:38], v[5:6], v[67:68], -v[41:42]
	v_mul_f64 v[19:20], v[1:2], v[49:50]
	v_fma_f64 v[35:36], v[7:8], v[67:68], v[35:36]
	ds_read_b128 v[5:8], v70 offset:1920
	v_add_f64 v[15:16], v[15:16], v[43:44]
	v_add_f64 v[13:14], v[13:14], v[17:18]
	s_waitcnt vmcnt(31) lgkmcnt(1)
	v_mul_f64 v[41:42], v[11:12], v[63:64]
	v_mul_f64 v[17:18], v[9:10], v[63:64]
	s_waitcnt vmcnt(29)
	v_fma_f64 v[29:30], v[1:2], v[55:56], -v[29:30]
	v_fma_f64 v[19:20], v[3:4], v[55:56], v[19:20]
	ds_read_b128 v[1:4], v70 offset:1936
	v_add_f64 v[15:16], v[15:16], v[37:38]
	v_add_f64 v[13:14], v[13:14], v[35:36]
	s_waitcnt vmcnt(25) lgkmcnt(1)
	v_mul_f64 v[37:38], v[7:8], v[53:54]
	s_waitcnt vmcnt(24)
	v_fma_f64 v[41:42], v[9:10], v[79:80], -v[41:42]
	v_mul_f64 v[35:36], v[5:6], v[53:54]
	v_fma_f64 v[17:18], v[11:12], v[79:80], v[17:18]
	ds_read_b128 v[9:12], v70 offset:1952
	v_add_f64 v[15:16], v[15:16], v[29:30]
	v_add_f64 v[13:14], v[13:14], v[19:20]
	s_waitcnt vmcnt(23) lgkmcnt(1)
	v_mul_f64 v[29:30], v[3:4], v[73:74]
	v_mul_f64 v[19:20], v[1:2], v[73:74]
	s_waitcnt vmcnt(21)
	v_fma_f64 v[37:38], v[5:6], v[27:28], -v[37:38]
	v_fma_f64 v[27:28], v[7:8], v[27:28], v[35:36]
	ds_read_b128 v[5:8], v70 offset:1968
	v_add_f64 v[15:16], v[15:16], v[41:42]
	v_add_f64 v[13:14], v[13:14], v[17:18]
	s_waitcnt vmcnt(17) lgkmcnt(1)
	v_mul_f64 v[17:18], v[9:10], v[21:22]
	v_mul_f64 v[21:22], v[11:12], v[21:22]
	s_waitcnt vmcnt(16)
	v_fma_f64 v[29:30], v[1:2], v[119:120], -v[29:30]
	v_fma_f64 v[19:20], v[3:4], v[119:120], v[19:20]
	ds_read_b128 v[1:4], v70 offset:1984
	v_add_f64 v[15:16], v[15:16], v[37:38]
	v_add_f64 v[13:14], v[13:14], v[27:28]
	s_waitcnt vmcnt(15) lgkmcnt(1)
	v_mul_f64 v[35:36], v[7:8], v[81:82]
	v_mul_f64 v[27:28], v[5:6], v[81:82]
	s_waitcnt vmcnt(13)
	v_fma_f64 v[21:22], v[9:10], v[25:26], -v[21:22]
	v_fma_f64 v[17:18], v[11:12], v[25:26], v[17:18]
	ds_read_b128 v[9:12], v70 offset:2000
	v_add_f64 v[15:16], v[15:16], v[29:30]
	v_add_f64 v[13:14], v[13:14], v[19:20]
	s_waitcnt vmcnt(9) lgkmcnt(1)
	v_mul_f64 v[25:26], v[3:4], v[33:34]
	s_waitcnt vmcnt(8)
	v_fma_f64 v[5:6], v[5:6], v[125:126], -v[35:36]
	v_mul_f64 v[19:20], v[1:2], v[33:34]
	v_fma_f64 v[7:8], v[7:8], v[125:126], v[27:28]
	v_add_f64 v[15:16], v[15:16], v[21:22]
	v_add_f64 v[13:14], v[13:14], v[17:18]
	s_waitcnt vmcnt(7) lgkmcnt(0)
	v_mul_f64 v[21:22], v[11:12], v[75:76]
	v_mul_f64 v[17:18], v[9:10], v[75:76]
	s_waitcnt vmcnt(5)
	v_fma_f64 v[1:2], v[1:2], v[31:32], -v[25:26]
	v_fma_f64 v[3:4], v[3:4], v[31:32], v[19:20]
	v_add_f64 v[5:6], v[15:16], v[5:6]
	v_add_f64 v[7:8], v[13:14], v[7:8]
	s_waitcnt vmcnt(4)
	v_fma_f64 v[9:10], v[9:10], v[117:118], -v[21:22]
	v_add_f64 v[1:2], v[5:6], v[1:2]
	v_fma_f64 v[5:6], v[11:12], v[117:118], v[17:18]
	v_add_f64 v[3:4], v[7:8], v[3:4]
	v_add_f64 v[1:2], v[1:2], v[9:10]
	;; [unrolled: 1-line block ×3, first 2 shown]
	s_waitcnt vmcnt(2)
	v_add_f64 v[1:2], v[23:24], -v[1:2]
	s_waitcnt vmcnt(0)
	v_add_f64 v[3:4], v[39:40], -v[3:4]
	buffer_store_dword v2, off, s[0:3], 0 offset:100
	buffer_store_dword v1, off, s[0:3], 0 offset:96
	;; [unrolled: 1-line block ×4, first 2 shown]
	v_cmpx_lt_u32_e32 4, v0
	s_cbranch_execz .LBB62_395
; %bb.394:
	v_mov_b32_e32 v4, s75
	s_clause 0x3
	buffer_load_dword v1, v4, s[0:3], 0 offen
	buffer_load_dword v2, v4, s[0:3], 0 offen offset:4
	buffer_load_dword v3, v4, s[0:3], 0 offen offset:8
	;; [unrolled: 1-line block ×3, first 2 shown]
	buffer_store_dword v70, off, s[0:3], 0 offset:80
	buffer_store_dword v70, off, s[0:3], 0 offset:84
	;; [unrolled: 1-line block ×4, first 2 shown]
	s_waitcnt vmcnt(0)
	ds_write_b128 v69, v[1:4]
.LBB62_395:
	s_or_b32 exec_lo, exec_lo, s4
	s_waitcnt lgkmcnt(0)
	s_waitcnt_vscnt null, 0x0
	s_barrier
	buffer_gl0_inv
	s_clause 0x37
	buffer_load_dword v17, off, s[0:3], 0 offset:104
	buffer_load_dword v18, off, s[0:3], 0 offset:108
	;; [unrolled: 1-line block ×56, first 2 shown]
	ds_read_b128 v[5:8], v70 offset:1088
	s_clause 0x2
	buffer_load_dword v66, off, s[0:3], 0 offset:332
	buffer_load_dword v68, off, s[0:3], 0 offset:308
	;; [unrolled: 1-line block ×3, first 2 shown]
	ds_read_b128 v[1:4], v70 offset:1104
	s_clause 0x4
	buffer_load_dword v78, off, s[0:3], 0 offset:348
	buffer_load_dword v79, off, s[0:3], 0 offset:360
	;; [unrolled: 1-line block ×5, first 2 shown]
	ds_read_b128 v[71:74], v70 offset:1120
	s_mov_b32 s4, exec_lo
	s_waitcnt vmcnt(62) lgkmcnt(2)
	v_mul_f64 v[75:76], v[7:8], v[17:18]
	v_mul_f64 v[17:18], v[5:6], v[17:18]
	s_waitcnt vmcnt(60) lgkmcnt(1)
	v_mul_f64 v[82:83], v[3:4], v[13:14]
	v_mul_f64 v[13:14], v[1:2], v[13:14]
	;; [unrolled: 3-line block ×3, first 2 shown]
	v_fma_f64 v[75:76], v[5:6], v[15:16], -v[75:76]
	v_fma_f64 v[15:16], v[7:8], v[15:16], v[17:18]
	s_clause 0x2
	buffer_load_dword v80, off, s[0:3], 0 offset:364
	buffer_load_dword v18, off, s[0:3], 0 offset:340
	;; [unrolled: 1-line block ×3, first 2 shown]
	s_waitcnt vmcnt(57)
	v_fma_f64 v[83:84], v[1:2], v[9:10], -v[82:83]
	ds_read_b128 v[5:8], v70 offset:1136
	v_fma_f64 v[9:10], v[3:4], v[9:10], v[13:14]
	s_waitcnt vmcnt(51)
	v_fma_f64 v[71:72], v[71:72], v[33:34], -v[11:12]
	v_fma_f64 v[33:34], v[73:74], v[33:34], v[117:118]
	v_add_f64 v[75:76], v[75:76], 0
	v_add_f64 v[13:14], v[15:16], 0
	s_clause 0x4
	buffer_load_dword v16, off, s[0:3], 0 offset:380
	buffer_load_dword v119, off, s[0:3], 0 offset:392
	;; [unrolled: 1-line block ×5, first 2 shown]
	s_waitcnt lgkmcnt(0)
	v_mul_f64 v[126:127], v[5:6], v[21:22]
	v_mul_f64 v[21:22], v[7:8], v[21:22]
	ds_read_b128 v[1:4], v70 offset:1152
	s_clause 0x2
	buffer_load_dword v120, off, s[0:3], 0 offset:396
	buffer_load_dword v74, off, s[0:3], 0 offset:372
	;; [unrolled: 1-line block ×3, first 2 shown]
	v_add_f64 v[75:76], v[75:76], v[83:84]
	v_add_f64 v[13:14], v[13:14], v[9:10]
	ds_read_b128 v[9:12], v70 offset:1168
	s_waitcnt vmcnt(58) lgkmcnt(1)
	v_mul_f64 v[83:84], v[1:2], v[25:26]
	v_mul_f64 v[25:26], v[3:4], v[25:26]
	s_waitcnt vmcnt(56)
	v_fma_f64 v[21:22], v[5:6], v[27:28], -v[21:22]
	v_fma_f64 v[27:28], v[7:8], v[27:28], v[126:127]
	s_waitcnt vmcnt(52) lgkmcnt(0)
	v_mul_f64 v[127:128], v[9:10], v[29:30]
	v_add_f64 v[71:72], v[75:76], v[71:72]
	v_add_f64 v[13:14], v[13:14], v[33:34]
	s_clause 0x4
	buffer_load_dword v34, off, s[0:3], 0 offset:412
	buffer_load_dword v75, off, s[0:3], 0 offset:424
	buffer_load_dword v117, off, s[0:3], 0 offset:416
	buffer_load_dword v33, off, s[0:3], 0 offset:408
	buffer_load_dword v126, off, s[0:3], 0 offset:388
	v_mul_f64 v[29:30], v[11:12], v[29:30]
	s_waitcnt vmcnt(56)
	v_fma_f64 v[25:26], v[1:2], v[19:20], -v[25:26]
	ds_read_b128 v[5:8], v70 offset:1184
	v_fma_f64 v[19:20], v[3:4], v[19:20], v[83:84]
	v_add_f64 v[21:22], v[71:72], v[21:22]
	v_add_f64 v[13:14], v[13:14], v[27:28]
	s_clause 0x2
	buffer_load_dword v76, off, s[0:3], 0 offset:428
	buffer_load_dword v28, off, s[0:3], 0 offset:404
	;; [unrolled: 1-line block ×3, first 2 shown]
	s_waitcnt vmcnt(58) lgkmcnt(0)
	v_mul_f64 v[71:72], v[5:6], v[35:36]
	v_mul_f64 v[35:36], v[7:8], v[35:36]
	s_waitcnt vmcnt(56)
	v_fma_f64 v[29:30], v[9:10], v[37:38], -v[29:30]
	ds_read_b128 v[1:4], v70 offset:1200
	v_add_f64 v[21:22], v[21:22], v[25:26]
	v_fma_f64 v[25:26], v[11:12], v[37:38], v[127:128]
	v_add_f64 v[13:14], v[13:14], v[19:20]
	s_clause 0x4
	buffer_load_dword v20, off, s[0:3], 0 offset:444
	buffer_load_dword v37, off, s[0:3], 0 offset:456
	buffer_load_dword v83, off, s[0:3], 0 offset:448
	buffer_load_dword v19, off, s[0:3], 0 offset:440
	buffer_load_dword v118, off, s[0:3], 0 offset:420
	s_waitcnt vmcnt(57) lgkmcnt(0)
	v_mul_f64 v[127:128], v[1:2], v[39:40]
	v_mul_f64 v[39:40], v[3:4], v[39:40]
	s_waitcnt vmcnt(56)
	v_fma_f64 v[35:36], v[5:6], v[23:24], -v[35:36]
	ds_read_b128 v[9:12], v70 offset:1216
	v_fma_f64 v[23:24], v[7:8], v[23:24], v[71:72]
	v_add_f64 v[21:22], v[21:22], v[29:30]
	v_add_f64 v[13:14], v[13:14], v[25:26]
	s_clause 0x2
	buffer_load_dword v38, off, s[0:3], 0 offset:460
	buffer_load_dword v26, off, s[0:3], 0 offset:436
	buffer_load_dword v25, off, s[0:3], 0 offset:432
	ds_read_b128 v[5:8], v70 offset:1232
	s_waitcnt vmcnt(58) lgkmcnt(1)
	v_mul_f64 v[29:30], v[9:10], v[43:44]
	v_mul_f64 v[43:44], v[11:12], v[43:44]
	s_waitcnt vmcnt(56)
	v_fma_f64 v[39:40], v[1:2], v[45:46], -v[39:40]
	v_add_f64 v[21:22], v[21:22], v[35:36]
	v_fma_f64 v[35:36], v[3:4], v[45:46], v[127:128]
	v_add_f64 v[13:14], v[13:14], v[23:24]
	s_clause 0x4
	buffer_load_dword v24, off, s[0:3], 0 offset:476
	buffer_load_dword v45, off, s[0:3], 0 offset:488
	;; [unrolled: 1-line block ×5, first 2 shown]
	s_waitcnt vmcnt(57) lgkmcnt(0)
	v_mul_f64 v[127:128], v[5:6], v[47:48]
	v_mul_f64 v[47:48], v[7:8], v[47:48]
	s_waitcnt vmcnt(56)
	v_fma_f64 v[43:44], v[9:10], v[31:32], -v[43:44]
	ds_read_b128 v[1:4], v70 offset:1248
	v_fma_f64 v[29:30], v[11:12], v[31:32], v[29:30]
	s_clause 0x2
	buffer_load_dword v46, off, s[0:3], 0 offset:492
	buffer_load_dword v32, off, s[0:3], 0 offset:468
	;; [unrolled: 1-line block ×3, first 2 shown]
	ds_read_b128 v[9:12], v70 offset:1264
	v_add_f64 v[21:22], v[21:22], v[39:40]
	v_add_f64 v[13:14], v[13:14], v[35:36]
	s_waitcnt vmcnt(58) lgkmcnt(1)
	v_mul_f64 v[39:40], v[3:4], v[51:52]
	s_waitcnt vmcnt(56)
	v_fma_f64 v[47:48], v[5:6], v[53:54], -v[47:48]
	v_mul_f64 v[35:36], v[1:2], v[51:52]
	v_add_f64 v[21:22], v[21:22], v[43:44]
	v_fma_f64 v[43:44], v[7:8], v[53:54], v[127:128]
	v_add_f64 v[13:14], v[13:14], v[29:30]
	s_clause 0x4
	buffer_load_dword v30, off, s[0:3], 0 offset:508
	buffer_load_dword v51, off, s[0:3], 0 offset:520
	buffer_load_dword v53, off, s[0:3], 0 offset:512
	buffer_load_dword v29, off, s[0:3], 0 offset:504
	buffer_load_dword v72, off, s[0:3], 0 offset:484
	s_waitcnt vmcnt(57) lgkmcnt(0)
	v_mul_f64 v[127:128], v[9:10], v[55:56]
	v_mul_f64 v[54:55], v[11:12], v[55:56]
	s_waitcnt vmcnt(56)
	v_fma_f64 v[39:40], v[1:2], v[41:42], -v[39:40]
	ds_read_b128 v[5:8], v70 offset:1280
	v_fma_f64 v[35:36], v[3:4], v[41:42], v[35:36]
	s_clause 0x2
	buffer_load_dword v52, off, s[0:3], 0 offset:524
	buffer_load_dword v42, off, s[0:3], 0 offset:500
	;; [unrolled: 1-line block ×3, first 2 shown]
	ds_read_b128 v[1:4], v70 offset:1296
	v_add_f64 v[21:22], v[21:22], v[47:48]
	v_add_f64 v[13:14], v[13:14], v[43:44]
	s_waitcnt vmcnt(58) lgkmcnt(1)
	v_mul_f64 v[47:48], v[7:8], v[59:60]
	s_waitcnt vmcnt(56)
	v_fma_f64 v[55:56], v[9:10], v[61:62], -v[54:55]
	v_mul_f64 v[43:44], v[5:6], v[59:60]
	v_add_f64 v[21:22], v[21:22], v[39:40]
	v_fma_f64 v[39:40], v[11:12], v[61:62], v[127:128]
	v_add_f64 v[13:14], v[13:14], v[35:36]
	s_clause 0x4
	buffer_load_dword v36, off, s[0:3], 0 offset:540
	buffer_load_dword v59, off, s[0:3], 0 offset:552
	;; [unrolled: 1-line block ×5, first 2 shown]
	s_waitcnt vmcnt(57) lgkmcnt(0)
	v_mul_f64 v[127:128], v[1:2], v[63:64]
	v_mul_f64 v[62:63], v[3:4], v[63:64]
	s_waitcnt vmcnt(56)
	v_fma_f64 v[47:48], v[5:6], v[49:50], -v[47:48]
	ds_read_b128 v[9:12], v70 offset:1312
	v_fma_f64 v[43:44], v[7:8], v[49:50], v[43:44]
	v_add_f64 v[21:22], v[21:22], v[55:56]
	v_add_f64 v[13:14], v[13:14], v[39:40]
	s_clause 0x2
	buffer_load_dword v60, off, s[0:3], 0 offset:556
	buffer_load_dword v40, off, s[0:3], 0 offset:532
	;; [unrolled: 1-line block ×3, first 2 shown]
	ds_read_b128 v[5:8], v70 offset:1328
	s_waitcnt vmcnt(58) lgkmcnt(1)
	v_mul_f64 v[55:56], v[11:12], v[65:66]
	s_waitcnt vmcnt(56)
	v_fma_f64 v[63:64], v[1:2], v[67:68], -v[62:63]
	v_mul_f64 v[49:50], v[9:10], v[65:66]
	v_add_f64 v[21:22], v[21:22], v[47:48]
	v_fma_f64 v[47:48], v[3:4], v[67:68], v[127:128]
	v_add_f64 v[13:14], v[13:14], v[43:44]
	s_clause 0x4
	buffer_load_dword v44, off, s[0:3], 0 offset:572
	buffer_load_dword v65, off, s[0:3], 0 offset:584
	buffer_load_dword v67, off, s[0:3], 0 offset:576
	buffer_load_dword v43, off, s[0:3], 0 offset:568
	buffer_load_dword v62, off, s[0:3], 0 offset:548
	s_waitcnt vmcnt(57) lgkmcnt(0)
	v_mul_f64 v[127:128], v[5:6], v[77:78]
	v_mul_f64 v[77:78], v[7:8], v[77:78]
	s_waitcnt vmcnt(56)
	v_fma_f64 v[55:56], v[9:10], v[57:58], -v[55:56]
	ds_read_b128 v[1:4], v70 offset:1344
	v_fma_f64 v[49:50], v[11:12], v[57:58], v[49:50]
	v_add_f64 v[21:22], v[21:22], v[63:64]
	v_add_f64 v[13:14], v[13:14], v[47:48]
	s_clause 0x2
	buffer_load_dword v66, off, s[0:3], 0 offset:588
	buffer_load_dword v48, off, s[0:3], 0 offset:564
	;; [unrolled: 1-line block ×3, first 2 shown]
	ds_read_b128 v[9:12], v70 offset:1360
	s_waitcnt vmcnt(58) lgkmcnt(1)
	v_mul_f64 v[63:64], v[3:4], v[79:80]
	v_mul_f64 v[57:58], v[1:2], v[79:80]
	s_waitcnt vmcnt(56)
	v_fma_f64 v[77:78], v[5:6], v[17:18], -v[77:78]
	v_fma_f64 v[17:18], v[7:8], v[17:18], v[127:128]
	v_add_f64 v[21:22], v[21:22], v[55:56]
	v_add_f64 v[13:14], v[13:14], v[49:50]
	s_clause 0x4
	buffer_load_dword v50, off, s[0:3], 0 offset:604
	buffer_load_dword v55, off, s[0:3], 0 offset:616
	;; [unrolled: 1-line block ×5, first 2 shown]
	ds_read_b128 v[5:8], v70 offset:1376
	s_waitcnt vmcnt(57) lgkmcnt(1)
	v_mul_f64 v[127:128], v[9:10], v[15:16]
	v_mul_f64 v[15:16], v[11:12], v[15:16]
	s_waitcnt vmcnt(56)
	v_fma_f64 v[63:64], v[1:2], v[81:82], -v[63:64]
	v_fma_f64 v[57:58], v[3:4], v[81:82], v[57:58]
	v_add_f64 v[21:22], v[21:22], v[77:78]
	v_add_f64 v[13:14], v[13:14], v[17:18]
	s_clause 0x2
	buffer_load_dword v56, off, s[0:3], 0 offset:620
	buffer_load_dword v18, off, s[0:3], 0 offset:596
	buffer_load_dword v17, off, s[0:3], 0 offset:592
	s_waitcnt vmcnt(58) lgkmcnt(0)
	v_mul_f64 v[81:82], v[7:8], v[119:120]
	ds_read_b128 v[1:4], v70 offset:1392
	v_mul_f64 v[77:78], v[5:6], v[119:120]
	s_waitcnt vmcnt(56)
	v_fma_f64 v[15:16], v[9:10], v[73:74], -v[15:16]
	v_add_f64 v[21:22], v[21:22], v[63:64]
	v_fma_f64 v[63:64], v[11:12], v[73:74], v[127:128]
	v_add_f64 v[13:14], v[13:14], v[57:58]
	s_clause 0x4
	buffer_load_dword v58, off, s[0:3], 0 offset:636
	buffer_load_dword v73, off, s[0:3], 0 offset:648
	;; [unrolled: 1-line block ×5, first 2 shown]
	ds_read_b128 v[9:12], v70 offset:1408
	s_waitcnt vmcnt(57) lgkmcnt(1)
	v_mul_f64 v[127:128], v[1:2], v[33:34]
	v_mul_f64 v[33:34], v[3:4], v[33:34]
	s_waitcnt vmcnt(56)
	v_fma_f64 v[81:82], v[5:6], v[125:126], -v[81:82]
	v_add_f64 v[15:16], v[21:22], v[15:16]
	v_fma_f64 v[21:22], v[7:8], v[125:126], v[77:78]
	v_add_f64 v[13:14], v[13:14], v[63:64]
	s_clause 0x2
	buffer_load_dword v74, off, s[0:3], 0 offset:652
	buffer_load_dword v64, off, s[0:3], 0 offset:628
	;; [unrolled: 1-line block ×3, first 2 shown]
	ds_read_b128 v[5:8], v70 offset:1424
	s_waitcnt vmcnt(58) lgkmcnt(1)
	v_mul_f64 v[77:78], v[9:10], v[75:76]
	v_mul_f64 v[75:76], v[11:12], v[75:76]
	s_waitcnt vmcnt(56)
	v_fma_f64 v[33:34], v[1:2], v[27:28], -v[33:34]
	v_fma_f64 v[27:28], v[3:4], v[27:28], v[127:128]
	v_add_f64 v[15:16], v[15:16], v[81:82]
	v_add_f64 v[13:14], v[13:14], v[21:22]
	s_clause 0x4
	buffer_load_dword v22, off, s[0:3], 0 offset:668
	buffer_load_dword v81, off, s[0:3], 0 offset:680
	;; [unrolled: 1-line block ×5, first 2 shown]
	ds_read_b128 v[1:4], v70 offset:1440
	s_waitcnt vmcnt(57) lgkmcnt(1)
	v_mul_f64 v[126:127], v[5:6], v[19:20]
	v_mul_f64 v[19:20], v[7:8], v[19:20]
	s_waitcnt vmcnt(56)
	v_fma_f64 v[75:76], v[9:10], v[117:118], -v[75:76]
	v_add_f64 v[15:16], v[15:16], v[33:34]
	v_fma_f64 v[33:34], v[11:12], v[117:118], v[77:78]
	v_add_f64 v[13:14], v[13:14], v[27:28]
	s_clause 0x2
	buffer_load_dword v82, off, s[0:3], 0 offset:684
	buffer_load_dword v28, off, s[0:3], 0 offset:660
	;; [unrolled: 1-line block ×3, first 2 shown]
	ds_read_b128 v[9:12], v70 offset:1456
	s_waitcnt vmcnt(58) lgkmcnt(1)
	v_mul_f64 v[77:78], v[1:2], v[37:38]
	v_mul_f64 v[37:38], v[3:4], v[37:38]
	s_waitcnt vmcnt(56)
	v_fma_f64 v[19:20], v[5:6], v[25:26], -v[19:20]
	v_fma_f64 v[25:26], v[7:8], v[25:26], v[126:127]
	v_add_f64 v[15:16], v[15:16], v[75:76]
	v_add_f64 v[13:14], v[13:14], v[33:34]
	s_clause 0x4
	buffer_load_dword v34, off, s[0:3], 0 offset:700
	buffer_load_dword v75, off, s[0:3], 0 offset:712
	buffer_load_dword v117, off, s[0:3], 0 offset:704
	buffer_load_dword v33, off, s[0:3], 0 offset:696
	buffer_load_dword v126, off, s[0:3], 0 offset:676
	ds_read_b128 v[5:8], v70 offset:1472
	s_waitcnt vmcnt(57) lgkmcnt(1)
	v_mul_f64 v[127:128], v[9:10], v[23:24]
	v_mul_f64 v[23:24], v[11:12], v[23:24]
	s_waitcnt vmcnt(56)
	v_fma_f64 v[37:38], v[1:2], v[83:84], -v[37:38]
	v_add_f64 v[15:16], v[15:16], v[19:20]
	v_fma_f64 v[19:20], v[3:4], v[83:84], v[77:78]
	v_add_f64 v[13:14], v[13:14], v[25:26]
	s_clause 0x2
	buffer_load_dword v76, off, s[0:3], 0 offset:716
	buffer_load_dword v26, off, s[0:3], 0 offset:692
	;; [unrolled: 1-line block ×3, first 2 shown]
	s_waitcnt vmcnt(58) lgkmcnt(0)
	v_mul_f64 v[77:78], v[5:6], v[45:46]
	v_mul_f64 v[45:46], v[7:8], v[45:46]
	ds_read_b128 v[1:4], v70 offset:1488
	s_waitcnt vmcnt(56)
	v_fma_f64 v[23:24], v[9:10], v[31:32], -v[23:24]
	v_fma_f64 v[31:32], v[11:12], v[31:32], v[127:128]
	v_add_f64 v[15:16], v[15:16], v[37:38]
	v_add_f64 v[13:14], v[13:14], v[19:20]
	s_clause 0x4
	buffer_load_dword v20, off, s[0:3], 0 offset:732
	buffer_load_dword v37, off, s[0:3], 0 offset:744
	;; [unrolled: 1-line block ×5, first 2 shown]
	ds_read_b128 v[9:12], v70 offset:1504
	s_waitcnt vmcnt(57) lgkmcnt(1)
	v_mul_f64 v[127:128], v[1:2], v[29:30]
	v_mul_f64 v[29:30], v[3:4], v[29:30]
	s_waitcnt vmcnt(56)
	v_fma_f64 v[45:46], v[5:6], v[71:72], -v[45:46]
	v_add_f64 v[15:16], v[15:16], v[23:24]
	v_fma_f64 v[23:24], v[7:8], v[71:72], v[77:78]
	v_add_f64 v[13:14], v[13:14], v[31:32]
	s_clause 0x2
	buffer_load_dword v38, off, s[0:3], 0 offset:748
	buffer_load_dword v32, off, s[0:3], 0 offset:724
	;; [unrolled: 1-line block ×3, first 2 shown]
	s_waitcnt vmcnt(58) lgkmcnt(0)
	v_mul_f64 v[71:72], v[9:10], v[51:52]
	v_mul_f64 v[51:52], v[11:12], v[51:52]
	ds_read_b128 v[5:8], v70 offset:1520
	s_waitcnt vmcnt(56)
	v_fma_f64 v[29:30], v[1:2], v[41:42], -v[29:30]
	v_fma_f64 v[41:42], v[3:4], v[41:42], v[127:128]
	v_add_f64 v[15:16], v[15:16], v[45:46]
	v_add_f64 v[13:14], v[13:14], v[23:24]
	s_clause 0x4
	buffer_load_dword v24, off, s[0:3], 0 offset:764
	buffer_load_dword v45, off, s[0:3], 0 offset:776
	buffer_load_dword v77, off, s[0:3], 0 offset:768
	buffer_load_dword v23, off, s[0:3], 0 offset:760
	buffer_load_dword v84, off, s[0:3], 0 offset:740
	ds_read_b128 v[1:4], v70 offset:1536
	s_waitcnt vmcnt(57) lgkmcnt(1)
	v_mul_f64 v[127:128], v[5:6], v[35:36]
	v_mul_f64 v[35:36], v[7:8], v[35:36]
	s_waitcnt vmcnt(56)
	v_fma_f64 v[51:52], v[9:10], v[53:54], -v[51:52]
	v_add_f64 v[15:16], v[15:16], v[29:30]
	v_fma_f64 v[29:30], v[11:12], v[53:54], v[71:72]
	v_add_f64 v[13:14], v[13:14], v[41:42]
	s_clause 0x2
	buffer_load_dword v46, off, s[0:3], 0 offset:780
	buffer_load_dword v42, off, s[0:3], 0 offset:756
	buffer_load_dword v41, off, s[0:3], 0 offset:752
	ds_read_b128 v[9:12], v70 offset:1552
	s_waitcnt vmcnt(58) lgkmcnt(1)
	v_mul_f64 v[53:54], v[1:2], v[59:60]
	v_mul_f64 v[59:60], v[3:4], v[59:60]
	s_waitcnt vmcnt(56)
	v_fma_f64 v[35:36], v[5:6], v[39:40], -v[35:36]
	v_fma_f64 v[39:40], v[7:8], v[39:40], v[127:128]
	v_add_f64 v[15:16], v[15:16], v[51:52]
	v_add_f64 v[13:14], v[13:14], v[29:30]
	s_clause 0x4
	buffer_load_dword v30, off, s[0:3], 0 offset:796
	buffer_load_dword v51, off, s[0:3], 0 offset:808
	buffer_load_dword v71, off, s[0:3], 0 offset:800
	buffer_load_dword v29, off, s[0:3], 0 offset:792
	buffer_load_dword v78, off, s[0:3], 0 offset:772
	ds_read_b128 v[5:8], v70 offset:1568
	s_waitcnt vmcnt(57) lgkmcnt(1)
	v_mul_f64 v[127:128], v[9:10], v[43:44]
	v_mul_f64 v[43:44], v[11:12], v[43:44]
	s_waitcnt vmcnt(56)
	v_fma_f64 v[59:60], v[1:2], v[61:62], -v[59:60]
	v_add_f64 v[15:16], v[15:16], v[35:36]
	v_fma_f64 v[35:36], v[3:4], v[61:62], v[53:54]
	v_add_f64 v[13:14], v[13:14], v[39:40]
	s_clause 0x2
	buffer_load_dword v52, off, s[0:3], 0 offset:812
	buffer_load_dword v40, off, s[0:3], 0 offset:788
	buffer_load_dword v39, off, s[0:3], 0 offset:784
	ds_read_b128 v[1:4], v70 offset:1584
	s_waitcnt vmcnt(58) lgkmcnt(1)
	v_mul_f64 v[61:62], v[7:8], v[65:66]
	v_mul_f64 v[53:54], v[5:6], v[65:66]
	;; [unrolled: 28-line block ×4, first 2 shown]
	s_waitcnt vmcnt(56)
	v_fma_f64 v[57:58], v[5:6], v[63:64], -v[57:58]
	v_add_f64 v[15:16], v[15:16], v[55:56]
	v_fma_f64 v[55:56], v[7:8], v[63:64], v[127:128]
	v_add_f64 v[13:14], v[13:14], v[49:50]
	s_clause 0x4
	buffer_load_dword v50, off, s[0:3], 0 offset:892
	buffer_load_dword v63, off, s[0:3], 0 offset:904
	;; [unrolled: 1-line block ×5, first 2 shown]
	ds_read_b128 v[5:8], v70 offset:1664
	s_waitcnt vmcnt(57) lgkmcnt(1)
	v_mul_f64 v[127:128], v[9:10], v[21:22]
	v_mul_f64 v[21:22], v[11:12], v[21:22]
	s_waitcnt vmcnt(56)
	v_fma_f64 v[73:74], v[1:2], v[119:120], -v[73:74]
	v_fma_f64 v[53:54], v[3:4], v[119:120], v[53:54]
	v_add_f64 v[15:16], v[15:16], v[57:58]
	v_add_f64 v[13:14], v[13:14], v[55:56]
	s_clause 0x2
	buffer_load_dword v64, off, s[0:3], 0 offset:908
	buffer_load_dword v56, off, s[0:3], 0 offset:884
	buffer_load_dword v55, off, s[0:3], 0 offset:880
	ds_read_b128 v[1:4], v70 offset:1680
	s_waitcnt vmcnt(58) lgkmcnt(1)
	v_mul_f64 v[57:58], v[5:6], v[81:82]
	v_mul_f64 v[81:82], v[7:8], v[81:82]
	s_waitcnt vmcnt(56)
	v_fma_f64 v[21:22], v[9:10], v[27:28], -v[21:22]
	v_fma_f64 v[27:28], v[11:12], v[27:28], v[127:128]
	v_add_f64 v[15:16], v[15:16], v[73:74]
	v_add_f64 v[13:14], v[13:14], v[53:54]
	s_clause 0x4
	buffer_load_dword v54, off, s[0:3], 0 offset:924
	buffer_load_dword v73, off, s[0:3], 0 offset:936
	buffer_load_dword v119, off, s[0:3], 0 offset:928
	buffer_load_dword v53, off, s[0:3], 0 offset:920
	buffer_load_dword v80, off, s[0:3], 0 offset:900
	ds_read_b128 v[9:12], v70 offset:1696
	s_waitcnt vmcnt(57) lgkmcnt(1)
	v_mul_f64 v[127:128], v[1:2], v[33:34]
	v_mul_f64 v[33:34], v[3:4], v[33:34]
	s_waitcnt vmcnt(56)
	v_fma_f64 v[81:82], v[5:6], v[125:126], -v[81:82]
	v_add_f64 v[15:16], v[15:16], v[21:22]
	v_fma_f64 v[21:22], v[7:8], v[125:126], v[57:58]
	v_add_f64 v[13:14], v[13:14], v[27:28]
	s_clause 0x2
	buffer_load_dword v74, off, s[0:3], 0 offset:940
	buffer_load_dword v28, off, s[0:3], 0 offset:916
	buffer_load_dword v27, off, s[0:3], 0 offset:912
	ds_read_b128 v[5:8], v70 offset:1712
	s_waitcnt vmcnt(58) lgkmcnt(1)
	v_mul_f64 v[57:58], v[9:10], v[75:76]
	v_mul_f64 v[75:76], v[11:12], v[75:76]
	s_waitcnt vmcnt(56)
	v_fma_f64 v[33:34], v[1:2], v[25:26], -v[33:34]
	v_fma_f64 v[25:26], v[3:4], v[25:26], v[127:128]
	v_add_f64 v[15:16], v[15:16], v[81:82]
	v_add_f64 v[13:14], v[13:14], v[21:22]
	s_clause 0x4
	buffer_load_dword v22, off, s[0:3], 0 offset:956
	buffer_load_dword v81, off, s[0:3], 0 offset:968
	buffer_load_dword v125, off, s[0:3], 0 offset:960
	buffer_load_dword v21, off, s[0:3], 0 offset:952
	buffer_load_dword v120, off, s[0:3], 0 offset:932
	ds_read_b128 v[1:4], v70 offset:1728
	s_waitcnt vmcnt(57) lgkmcnt(1)
	v_mul_f64 v[126:127], v[5:6], v[19:20]
	v_mul_f64 v[19:20], v[7:8], v[19:20]
	s_waitcnt vmcnt(56)
	v_fma_f64 v[75:76], v[9:10], v[117:118], -v[75:76]
	v_add_f64 v[15:16], v[15:16], v[33:34]
	v_fma_f64 v[33:34], v[11:12], v[117:118], v[57:58]
	;; [unrolled: 28-line block ×3, first 2 shown]
	v_add_f64 v[13:14], v[13:14], v[31:32]
	s_clause 0x2
	buffer_load_dword v76, off, s[0:3], 0 offset:1004
	buffer_load_dword v32, off, s[0:3], 0 offset:980
	;; [unrolled: 1-line block ×3, first 2 shown]
	ds_read_b128 v[1:4], v70 offset:1776
	s_waitcnt vmcnt(58) lgkmcnt(1)
	v_mul_f64 v[57:58], v[5:6], v[45:46]
	v_mul_f64 v[45:46], v[7:8], v[45:46]
	s_waitcnt vmcnt(56)
	v_fma_f64 v[23:24], v[9:10], v[41:42], -v[23:24]
	v_add_f64 v[15:16], v[15:16], v[37:38]
	v_fma_f64 v[37:38], v[11:12], v[41:42], v[127:128]
	v_add_f64 v[13:14], v[13:14], v[19:20]
	s_clause 0x2
	buffer_load_dword v20, off, s[0:3], 0 offset:1020
	buffer_load_dword v19, off, s[0:3], 0 offset:1016
	buffer_load_dword v118, off, s[0:3], 0 offset:996
	ds_read_b128 v[9:12], v70 offset:1792
	s_waitcnt vmcnt(55) lgkmcnt(1)
	v_mul_f64 v[41:42], v[1:2], v[29:30]
	v_mul_f64 v[29:30], v[3:4], v[29:30]
	s_waitcnt vmcnt(54)
	v_fma_f64 v[45:46], v[5:6], v[77:78], -v[45:46]
	v_add_f64 v[15:16], v[15:16], v[23:24]
	v_fma_f64 v[23:24], v[7:8], v[77:78], v[57:58]
	v_add_f64 v[13:14], v[13:14], v[37:38]
	s_clause 0x1
	buffer_load_dword v38, off, s[0:3], 0 offset:1012
	buffer_load_dword v37, off, s[0:3], 0 offset:1008
	ds_read_b128 v[5:8], v70 offset:1808
	s_waitcnt vmcnt(55) lgkmcnt(1)
	v_mul_f64 v[57:58], v[9:10], v[51:52]
	v_mul_f64 v[51:52], v[11:12], v[51:52]
	s_waitcnt vmcnt(53)
	v_fma_f64 v[29:30], v[1:2], v[39:40], -v[29:30]
	v_fma_f64 v[39:40], v[3:4], v[39:40], v[41:42]
	ds_read_b128 v[1:4], v70 offset:1824
	v_add_f64 v[15:16], v[15:16], v[45:46]
	v_add_f64 v[13:14], v[13:14], v[23:24]
	s_waitcnt vmcnt(49) lgkmcnt(1)
	v_mul_f64 v[23:24], v[5:6], v[35:36]
	v_mul_f64 v[35:36], v[7:8], v[35:36]
	s_waitcnt vmcnt(48)
	v_fma_f64 v[41:42], v[9:10], v[71:72], -v[51:52]
	v_add_f64 v[15:16], v[15:16], v[29:30]
	v_fma_f64 v[29:30], v[11:12], v[71:72], v[57:58]
	v_add_f64 v[13:14], v[13:14], v[39:40]
	s_clause 0x3
	buffer_load_dword v39, off, s[0:3], 0 offset:80
	buffer_load_dword v40, off, s[0:3], 0 offset:84
	;; [unrolled: 1-line block ×4, first 2 shown]
	ds_read_b128 v[9:12], v70 offset:1840
	s_waitcnt vmcnt(51) lgkmcnt(1)
	v_mul_f64 v[57:58], v[3:4], v[59:60]
	v_mul_f64 v[51:52], v[1:2], v[59:60]
	s_waitcnt vmcnt(49)
	v_fma_f64 v[35:36], v[5:6], v[47:48], -v[35:36]
	v_fma_f64 v[23:24], v[7:8], v[47:48], v[23:24]
	ds_read_b128 v[5:8], v70 offset:1856
	v_add_f64 v[15:16], v[15:16], v[41:42]
	v_add_f64 v[13:14], v[13:14], v[29:30]
	s_waitcnt vmcnt(45) lgkmcnt(1)
	v_mul_f64 v[29:30], v[9:10], v[43:44]
	v_mul_f64 v[41:42], v[11:12], v[43:44]
	s_waitcnt vmcnt(44)
	v_fma_f64 v[43:44], v[1:2], v[65:66], -v[57:58]
	v_add_f64 v[15:16], v[15:16], v[35:36]
	v_fma_f64 v[35:36], v[3:4], v[65:66], v[51:52]
	v_add_f64 v[13:14], v[13:14], v[23:24]
	ds_read_b128 v[1:4], v70 offset:1872
	s_waitcnt vmcnt(43) lgkmcnt(1)
	v_mul_f64 v[47:48], v[7:8], v[61:62]
	v_mul_f64 v[23:24], v[5:6], v[61:62]
	s_waitcnt vmcnt(41)
	v_fma_f64 v[41:42], v[9:10], v[17:18], -v[41:42]
	v_fma_f64 v[17:18], v[11:12], v[17:18], v[29:30]
	ds_read_b128 v[9:12], v70 offset:1888
	v_add_f64 v[15:16], v[15:16], v[43:44]
	v_add_f64 v[13:14], v[13:14], v[35:36]
	s_waitcnt vmcnt(37) lgkmcnt(1)
	v_mul_f64 v[35:36], v[3:4], v[49:50]
	s_waitcnt vmcnt(36)
	v_fma_f64 v[43:44], v[5:6], v[67:68], -v[47:48]
	v_mul_f64 v[29:30], v[1:2], v[49:50]
	v_fma_f64 v[23:24], v[7:8], v[67:68], v[23:24]
	ds_read_b128 v[5:8], v70 offset:1904
	v_add_f64 v[15:16], v[15:16], v[41:42]
	v_add_f64 v[13:14], v[13:14], v[17:18]
	s_waitcnt vmcnt(35) lgkmcnt(1)
	v_mul_f64 v[41:42], v[11:12], v[63:64]
	v_mul_f64 v[17:18], v[9:10], v[63:64]
	s_waitcnt vmcnt(33)
	v_fma_f64 v[35:36], v[1:2], v[55:56], -v[35:36]
	v_fma_f64 v[29:30], v[3:4], v[55:56], v[29:30]
	ds_read_b128 v[1:4], v70 offset:1920
	v_add_f64 v[15:16], v[15:16], v[43:44]
	v_add_f64 v[13:14], v[13:14], v[23:24]
	s_waitcnt vmcnt(29) lgkmcnt(1)
	v_mul_f64 v[43:44], v[7:8], v[53:54]
	s_waitcnt vmcnt(28)
	v_fma_f64 v[41:42], v[9:10], v[79:80], -v[41:42]
	v_mul_f64 v[23:24], v[5:6], v[53:54]
	v_fma_f64 v[17:18], v[11:12], v[79:80], v[17:18]
	ds_read_b128 v[9:12], v70 offset:1936
	v_add_f64 v[15:16], v[15:16], v[35:36]
	v_add_f64 v[13:14], v[13:14], v[29:30]
	s_waitcnt vmcnt(27) lgkmcnt(1)
	v_mul_f64 v[35:36], v[3:4], v[73:74]
	v_mul_f64 v[29:30], v[1:2], v[73:74]
	s_waitcnt vmcnt(25)
	v_fma_f64 v[43:44], v[5:6], v[27:28], -v[43:44]
	v_fma_f64 v[23:24], v[7:8], v[27:28], v[23:24]
	ds_read_b128 v[5:8], v70 offset:1952
	v_add_f64 v[15:16], v[15:16], v[41:42]
	v_add_f64 v[13:14], v[13:14], v[17:18]
	s_waitcnt vmcnt(21) lgkmcnt(1)
	v_mul_f64 v[17:18], v[9:10], v[21:22]
	v_mul_f64 v[21:22], v[11:12], v[21:22]
	s_waitcnt vmcnt(20)
	v_fma_f64 v[27:28], v[1:2], v[119:120], -v[35:36]
	v_fma_f64 v[29:30], v[3:4], v[119:120], v[29:30]
	ds_read_b128 v[1:4], v70 offset:1968
	v_add_f64 v[15:16], v[15:16], v[43:44]
	v_add_f64 v[13:14], v[13:14], v[23:24]
	s_waitcnt vmcnt(19) lgkmcnt(1)
	v_mul_f64 v[35:36], v[7:8], v[81:82]
	v_mul_f64 v[23:24], v[5:6], v[81:82]
	s_waitcnt vmcnt(17)
	v_fma_f64 v[21:22], v[9:10], v[25:26], -v[21:22]
	v_fma_f64 v[17:18], v[11:12], v[25:26], v[17:18]
	ds_read_b128 v[9:12], v70 offset:1984
	v_add_f64 v[15:16], v[15:16], v[27:28]
	v_add_f64 v[13:14], v[13:14], v[29:30]
	s_waitcnt vmcnt(13) lgkmcnt(1)
	v_mul_f64 v[27:28], v[3:4], v[33:34]
	s_waitcnt vmcnt(12)
	v_fma_f64 v[29:30], v[5:6], v[125:126], -v[35:36]
	v_mul_f64 v[25:26], v[1:2], v[33:34]
	v_add_f64 v[15:16], v[15:16], v[21:22]
	v_fma_f64 v[21:22], v[7:8], v[125:126], v[23:24]
	v_add_f64 v[13:14], v[13:14], v[17:18]
	ds_read_b128 v[5:8], v70 offset:2000
	s_waitcnt vmcnt(11) lgkmcnt(1)
	v_mul_f64 v[23:24], v[11:12], v[75:76]
	v_mul_f64 v[17:18], v[9:10], v[75:76]
	s_waitcnt vmcnt(9)
	v_fma_f64 v[1:2], v[1:2], v[31:32], -v[27:28]
	v_fma_f64 v[3:4], v[3:4], v[31:32], v[25:26]
	v_add_f64 v[15:16], v[15:16], v[29:30]
	v_add_f64 v[13:14], v[13:14], v[21:22]
	s_waitcnt vmcnt(7) lgkmcnt(0)
	v_mul_f64 v[21:22], v[5:6], v[19:20]
	v_mul_f64 v[19:20], v[7:8], v[19:20]
	s_waitcnt vmcnt(6)
	v_fma_f64 v[9:10], v[9:10], v[117:118], -v[23:24]
	v_fma_f64 v[11:12], v[11:12], v[117:118], v[17:18]
	v_add_f64 v[1:2], v[15:16], v[1:2]
	v_add_f64 v[3:4], v[13:14], v[3:4]
	s_waitcnt vmcnt(4)
	v_fma_f64 v[5:6], v[5:6], v[37:38], -v[19:20]
	v_fma_f64 v[7:8], v[7:8], v[37:38], v[21:22]
	v_add_f64 v[1:2], v[1:2], v[9:10]
	v_add_f64 v[3:4], v[3:4], v[11:12]
	;; [unrolled: 1-line block ×4, first 2 shown]
	s_waitcnt vmcnt(2)
	v_add_f64 v[1:2], v[39:40], -v[1:2]
	s_waitcnt vmcnt(0)
	v_add_f64 v[3:4], v[45:46], -v[3:4]
	buffer_store_dword v2, off, s[0:3], 0 offset:84
	buffer_store_dword v1, off, s[0:3], 0 offset:80
	;; [unrolled: 1-line block ×4, first 2 shown]
	v_cmpx_lt_u32_e32 3, v0
	s_cbranch_execz .LBB62_397
; %bb.396:
	v_mov_b32_e32 v4, s77
	v_mov_b32_e32 v5, 0
	s_clause 0x3
	buffer_load_dword v1, v4, s[0:3], 0 offen
	buffer_load_dword v2, v4, s[0:3], 0 offen offset:4
	buffer_load_dword v3, v4, s[0:3], 0 offen offset:8
	;; [unrolled: 1-line block ×3, first 2 shown]
	buffer_store_dword v5, off, s[0:3], 0 offset:64
	buffer_store_dword v5, off, s[0:3], 0 offset:68
	;; [unrolled: 1-line block ×4, first 2 shown]
	s_waitcnt vmcnt(0)
	ds_write_b128 v69, v[1:4]
.LBB62_397:
	s_or_b32 exec_lo, exec_lo, s4
	s_waitcnt lgkmcnt(0)
	s_waitcnt_vscnt null, 0x0
	s_barrier
	buffer_gl0_inv
	s_clause 0x37
	buffer_load_dword v17, off, s[0:3], 0 offset:88
	buffer_load_dword v18, off, s[0:3], 0 offset:92
	;; [unrolled: 1-line block ×56, first 2 shown]
	v_mov_b32_e32 v70, 0
	s_mov_b32 s4, exec_lo
	ds_read_b128 v[5:8], v70 offset:1072
	s_clause 0x2
	buffer_load_dword v66, off, s[0:3], 0 offset:316
	buffer_load_dword v68, off, s[0:3], 0 offset:292
	;; [unrolled: 1-line block ×3, first 2 shown]
	ds_read_b128 v[1:4], v70 offset:1088
	s_clause 0x4
	buffer_load_dword v78, off, s[0:3], 0 offset:332
	buffer_load_dword v79, off, s[0:3], 0 offset:344
	buffer_load_dword v81, off, s[0:3], 0 offset:336
	buffer_load_dword v77, off, s[0:3], 0 offset:328
	buffer_load_dword v58, off, s[0:3], 0 offset:308
	ds_read_b128 v[71:74], v70 offset:1104
	s_waitcnt vmcnt(62) lgkmcnt(2)
	v_mul_f64 v[75:76], v[7:8], v[17:18]
	v_mul_f64 v[17:18], v[5:6], v[17:18]
	s_waitcnt vmcnt(60) lgkmcnt(1)
	v_mul_f64 v[82:83], v[3:4], v[13:14]
	v_mul_f64 v[13:14], v[1:2], v[13:14]
	s_waitcnt vmcnt(56) lgkmcnt(0)
	v_mul_f64 v[117:118], v[71:72], v[11:12]
	v_mul_f64 v[11:12], v[73:74], v[11:12]
	v_fma_f64 v[75:76], v[5:6], v[15:16], -v[75:76]
	v_fma_f64 v[15:16], v[7:8], v[15:16], v[17:18]
	s_clause 0x2
	buffer_load_dword v80, off, s[0:3], 0 offset:348
	buffer_load_dword v18, off, s[0:3], 0 offset:324
	;; [unrolled: 1-line block ×3, first 2 shown]
	s_waitcnt vmcnt(57)
	v_fma_f64 v[83:84], v[1:2], v[9:10], -v[82:83]
	ds_read_b128 v[5:8], v70 offset:1120
	v_fma_f64 v[9:10], v[3:4], v[9:10], v[13:14]
	s_waitcnt vmcnt(51)
	v_fma_f64 v[71:72], v[71:72], v[33:34], -v[11:12]
	v_fma_f64 v[33:34], v[73:74], v[33:34], v[117:118]
	v_add_f64 v[75:76], v[75:76], 0
	v_add_f64 v[13:14], v[15:16], 0
	s_clause 0x4
	buffer_load_dword v16, off, s[0:3], 0 offset:364
	buffer_load_dword v119, off, s[0:3], 0 offset:376
	;; [unrolled: 1-line block ×5, first 2 shown]
	s_waitcnt lgkmcnt(0)
	v_mul_f64 v[126:127], v[5:6], v[21:22]
	v_mul_f64 v[21:22], v[7:8], v[21:22]
	ds_read_b128 v[1:4], v70 offset:1136
	s_clause 0x2
	buffer_load_dword v120, off, s[0:3], 0 offset:380
	buffer_load_dword v74, off, s[0:3], 0 offset:356
	;; [unrolled: 1-line block ×3, first 2 shown]
	v_add_f64 v[75:76], v[75:76], v[83:84]
	v_add_f64 v[13:14], v[13:14], v[9:10]
	ds_read_b128 v[9:12], v70 offset:1152
	s_waitcnt vmcnt(58) lgkmcnt(1)
	v_mul_f64 v[83:84], v[1:2], v[25:26]
	v_mul_f64 v[25:26], v[3:4], v[25:26]
	s_waitcnt vmcnt(56)
	v_fma_f64 v[21:22], v[5:6], v[27:28], -v[21:22]
	v_fma_f64 v[27:28], v[7:8], v[27:28], v[126:127]
	s_waitcnt vmcnt(52) lgkmcnt(0)
	v_mul_f64 v[127:128], v[9:10], v[29:30]
	v_add_f64 v[71:72], v[75:76], v[71:72]
	v_add_f64 v[13:14], v[13:14], v[33:34]
	s_clause 0x4
	buffer_load_dword v34, off, s[0:3], 0 offset:396
	buffer_load_dword v75, off, s[0:3], 0 offset:408
	;; [unrolled: 1-line block ×5, first 2 shown]
	v_mul_f64 v[29:30], v[11:12], v[29:30]
	s_waitcnt vmcnt(56)
	v_fma_f64 v[25:26], v[1:2], v[19:20], -v[25:26]
	ds_read_b128 v[5:8], v70 offset:1168
	v_fma_f64 v[19:20], v[3:4], v[19:20], v[83:84]
	v_add_f64 v[21:22], v[71:72], v[21:22]
	v_add_f64 v[13:14], v[13:14], v[27:28]
	s_clause 0x2
	buffer_load_dword v76, off, s[0:3], 0 offset:412
	buffer_load_dword v28, off, s[0:3], 0 offset:388
	;; [unrolled: 1-line block ×3, first 2 shown]
	s_waitcnt vmcnt(58) lgkmcnt(0)
	v_mul_f64 v[71:72], v[5:6], v[35:36]
	v_mul_f64 v[35:36], v[7:8], v[35:36]
	s_waitcnt vmcnt(56)
	v_fma_f64 v[29:30], v[9:10], v[37:38], -v[29:30]
	ds_read_b128 v[1:4], v70 offset:1184
	v_add_f64 v[21:22], v[21:22], v[25:26]
	v_fma_f64 v[25:26], v[11:12], v[37:38], v[127:128]
	v_add_f64 v[13:14], v[13:14], v[19:20]
	s_clause 0x4
	buffer_load_dword v20, off, s[0:3], 0 offset:428
	buffer_load_dword v37, off, s[0:3], 0 offset:440
	;; [unrolled: 1-line block ×5, first 2 shown]
	s_waitcnt vmcnt(57) lgkmcnt(0)
	v_mul_f64 v[127:128], v[1:2], v[39:40]
	v_mul_f64 v[39:40], v[3:4], v[39:40]
	s_waitcnt vmcnt(56)
	v_fma_f64 v[35:36], v[5:6], v[23:24], -v[35:36]
	ds_read_b128 v[9:12], v70 offset:1200
	v_fma_f64 v[23:24], v[7:8], v[23:24], v[71:72]
	v_add_f64 v[21:22], v[21:22], v[29:30]
	v_add_f64 v[13:14], v[13:14], v[25:26]
	s_clause 0x2
	buffer_load_dword v38, off, s[0:3], 0 offset:444
	buffer_load_dword v26, off, s[0:3], 0 offset:420
	;; [unrolled: 1-line block ×3, first 2 shown]
	ds_read_b128 v[5:8], v70 offset:1216
	s_waitcnt vmcnt(58) lgkmcnt(1)
	v_mul_f64 v[29:30], v[9:10], v[43:44]
	v_mul_f64 v[43:44], v[11:12], v[43:44]
	s_waitcnt vmcnt(56)
	v_fma_f64 v[39:40], v[1:2], v[45:46], -v[39:40]
	v_add_f64 v[21:22], v[21:22], v[35:36]
	v_fma_f64 v[35:36], v[3:4], v[45:46], v[127:128]
	v_add_f64 v[13:14], v[13:14], v[23:24]
	s_clause 0x4
	buffer_load_dword v24, off, s[0:3], 0 offset:460
	buffer_load_dword v45, off, s[0:3], 0 offset:472
	;; [unrolled: 1-line block ×5, first 2 shown]
	s_waitcnt vmcnt(57) lgkmcnt(0)
	v_mul_f64 v[127:128], v[5:6], v[47:48]
	v_mul_f64 v[47:48], v[7:8], v[47:48]
	s_waitcnt vmcnt(56)
	v_fma_f64 v[43:44], v[9:10], v[31:32], -v[43:44]
	ds_read_b128 v[1:4], v70 offset:1232
	v_fma_f64 v[29:30], v[11:12], v[31:32], v[29:30]
	s_clause 0x2
	buffer_load_dword v46, off, s[0:3], 0 offset:476
	buffer_load_dword v32, off, s[0:3], 0 offset:452
	;; [unrolled: 1-line block ×3, first 2 shown]
	ds_read_b128 v[9:12], v70 offset:1248
	v_add_f64 v[21:22], v[21:22], v[39:40]
	v_add_f64 v[13:14], v[13:14], v[35:36]
	s_waitcnt vmcnt(58) lgkmcnt(1)
	v_mul_f64 v[39:40], v[3:4], v[51:52]
	s_waitcnt vmcnt(56)
	v_fma_f64 v[47:48], v[5:6], v[53:54], -v[47:48]
	v_mul_f64 v[35:36], v[1:2], v[51:52]
	v_add_f64 v[21:22], v[21:22], v[43:44]
	v_fma_f64 v[43:44], v[7:8], v[53:54], v[127:128]
	v_add_f64 v[13:14], v[13:14], v[29:30]
	s_clause 0x4
	buffer_load_dword v30, off, s[0:3], 0 offset:492
	buffer_load_dword v51, off, s[0:3], 0 offset:504
	;; [unrolled: 1-line block ×5, first 2 shown]
	s_waitcnt vmcnt(57) lgkmcnt(0)
	v_mul_f64 v[127:128], v[9:10], v[55:56]
	v_mul_f64 v[54:55], v[11:12], v[55:56]
	s_waitcnt vmcnt(56)
	v_fma_f64 v[39:40], v[1:2], v[41:42], -v[39:40]
	ds_read_b128 v[5:8], v70 offset:1264
	v_fma_f64 v[35:36], v[3:4], v[41:42], v[35:36]
	s_clause 0x2
	buffer_load_dword v52, off, s[0:3], 0 offset:508
	buffer_load_dword v42, off, s[0:3], 0 offset:484
	;; [unrolled: 1-line block ×3, first 2 shown]
	ds_read_b128 v[1:4], v70 offset:1280
	v_add_f64 v[21:22], v[21:22], v[47:48]
	v_add_f64 v[13:14], v[13:14], v[43:44]
	s_waitcnt vmcnt(58) lgkmcnt(1)
	v_mul_f64 v[47:48], v[7:8], v[59:60]
	s_waitcnt vmcnt(56)
	v_fma_f64 v[55:56], v[9:10], v[61:62], -v[54:55]
	v_mul_f64 v[43:44], v[5:6], v[59:60]
	v_add_f64 v[21:22], v[21:22], v[39:40]
	v_fma_f64 v[39:40], v[11:12], v[61:62], v[127:128]
	v_add_f64 v[13:14], v[13:14], v[35:36]
	s_clause 0x4
	buffer_load_dword v36, off, s[0:3], 0 offset:524
	buffer_load_dword v59, off, s[0:3], 0 offset:536
	;; [unrolled: 1-line block ×5, first 2 shown]
	s_waitcnt vmcnt(57) lgkmcnt(0)
	v_mul_f64 v[127:128], v[1:2], v[63:64]
	v_mul_f64 v[62:63], v[3:4], v[63:64]
	s_waitcnt vmcnt(56)
	v_fma_f64 v[47:48], v[5:6], v[49:50], -v[47:48]
	ds_read_b128 v[9:12], v70 offset:1296
	v_fma_f64 v[43:44], v[7:8], v[49:50], v[43:44]
	v_add_f64 v[21:22], v[21:22], v[55:56]
	v_add_f64 v[13:14], v[13:14], v[39:40]
	s_clause 0x2
	buffer_load_dword v60, off, s[0:3], 0 offset:540
	buffer_load_dword v40, off, s[0:3], 0 offset:516
	;; [unrolled: 1-line block ×3, first 2 shown]
	ds_read_b128 v[5:8], v70 offset:1312
	s_waitcnt vmcnt(58) lgkmcnt(1)
	v_mul_f64 v[55:56], v[11:12], v[65:66]
	s_waitcnt vmcnt(56)
	v_fma_f64 v[63:64], v[1:2], v[67:68], -v[62:63]
	v_mul_f64 v[49:50], v[9:10], v[65:66]
	v_add_f64 v[21:22], v[21:22], v[47:48]
	v_fma_f64 v[47:48], v[3:4], v[67:68], v[127:128]
	v_add_f64 v[13:14], v[13:14], v[43:44]
	s_clause 0x4
	buffer_load_dword v44, off, s[0:3], 0 offset:556
	buffer_load_dword v65, off, s[0:3], 0 offset:568
	;; [unrolled: 1-line block ×5, first 2 shown]
	s_waitcnt vmcnt(57) lgkmcnt(0)
	v_mul_f64 v[127:128], v[5:6], v[77:78]
	v_mul_f64 v[77:78], v[7:8], v[77:78]
	s_waitcnt vmcnt(56)
	v_fma_f64 v[55:56], v[9:10], v[57:58], -v[55:56]
	ds_read_b128 v[1:4], v70 offset:1328
	v_fma_f64 v[49:50], v[11:12], v[57:58], v[49:50]
	v_add_f64 v[21:22], v[21:22], v[63:64]
	v_add_f64 v[13:14], v[13:14], v[47:48]
	s_clause 0x2
	buffer_load_dword v66, off, s[0:3], 0 offset:572
	buffer_load_dword v48, off, s[0:3], 0 offset:548
	buffer_load_dword v47, off, s[0:3], 0 offset:544
	ds_read_b128 v[9:12], v70 offset:1344
	s_waitcnt vmcnt(58) lgkmcnt(1)
	v_mul_f64 v[63:64], v[3:4], v[79:80]
	v_mul_f64 v[57:58], v[1:2], v[79:80]
	s_waitcnt vmcnt(56)
	v_fma_f64 v[77:78], v[5:6], v[17:18], -v[77:78]
	v_fma_f64 v[17:18], v[7:8], v[17:18], v[127:128]
	v_add_f64 v[21:22], v[21:22], v[55:56]
	v_add_f64 v[13:14], v[13:14], v[49:50]
	s_clause 0x4
	buffer_load_dword v50, off, s[0:3], 0 offset:588
	buffer_load_dword v55, off, s[0:3], 0 offset:600
	;; [unrolled: 1-line block ×5, first 2 shown]
	ds_read_b128 v[5:8], v70 offset:1360
	s_waitcnt vmcnt(57) lgkmcnt(1)
	v_mul_f64 v[127:128], v[9:10], v[15:16]
	v_mul_f64 v[15:16], v[11:12], v[15:16]
	s_waitcnt vmcnt(56)
	v_fma_f64 v[63:64], v[1:2], v[81:82], -v[63:64]
	v_fma_f64 v[57:58], v[3:4], v[81:82], v[57:58]
	v_add_f64 v[21:22], v[21:22], v[77:78]
	v_add_f64 v[13:14], v[13:14], v[17:18]
	s_clause 0x2
	buffer_load_dword v56, off, s[0:3], 0 offset:604
	buffer_load_dword v18, off, s[0:3], 0 offset:580
	;; [unrolled: 1-line block ×3, first 2 shown]
	s_waitcnt vmcnt(58) lgkmcnt(0)
	v_mul_f64 v[81:82], v[7:8], v[119:120]
	ds_read_b128 v[1:4], v70 offset:1376
	v_mul_f64 v[77:78], v[5:6], v[119:120]
	s_waitcnt vmcnt(56)
	v_fma_f64 v[15:16], v[9:10], v[73:74], -v[15:16]
	v_add_f64 v[21:22], v[21:22], v[63:64]
	v_fma_f64 v[63:64], v[11:12], v[73:74], v[127:128]
	v_add_f64 v[13:14], v[13:14], v[57:58]
	s_clause 0x4
	buffer_load_dword v58, off, s[0:3], 0 offset:620
	buffer_load_dword v73, off, s[0:3], 0 offset:632
	;; [unrolled: 1-line block ×5, first 2 shown]
	ds_read_b128 v[9:12], v70 offset:1392
	s_waitcnt vmcnt(57) lgkmcnt(1)
	v_mul_f64 v[127:128], v[1:2], v[33:34]
	v_mul_f64 v[33:34], v[3:4], v[33:34]
	s_waitcnt vmcnt(56)
	v_fma_f64 v[81:82], v[5:6], v[125:126], -v[81:82]
	v_add_f64 v[15:16], v[21:22], v[15:16]
	v_fma_f64 v[21:22], v[7:8], v[125:126], v[77:78]
	v_add_f64 v[13:14], v[13:14], v[63:64]
	s_clause 0x2
	buffer_load_dword v74, off, s[0:3], 0 offset:636
	buffer_load_dword v64, off, s[0:3], 0 offset:612
	buffer_load_dword v63, off, s[0:3], 0 offset:608
	ds_read_b128 v[5:8], v70 offset:1408
	s_waitcnt vmcnt(58) lgkmcnt(1)
	v_mul_f64 v[77:78], v[9:10], v[75:76]
	v_mul_f64 v[75:76], v[11:12], v[75:76]
	s_waitcnt vmcnt(56)
	v_fma_f64 v[33:34], v[1:2], v[27:28], -v[33:34]
	v_fma_f64 v[27:28], v[3:4], v[27:28], v[127:128]
	v_add_f64 v[15:16], v[15:16], v[81:82]
	v_add_f64 v[13:14], v[13:14], v[21:22]
	s_clause 0x4
	buffer_load_dword v22, off, s[0:3], 0 offset:652
	buffer_load_dword v81, off, s[0:3], 0 offset:664
	;; [unrolled: 1-line block ×5, first 2 shown]
	ds_read_b128 v[1:4], v70 offset:1424
	s_waitcnt vmcnt(57) lgkmcnt(1)
	v_mul_f64 v[126:127], v[5:6], v[19:20]
	v_mul_f64 v[19:20], v[7:8], v[19:20]
	s_waitcnt vmcnt(56)
	v_fma_f64 v[75:76], v[9:10], v[117:118], -v[75:76]
	v_add_f64 v[15:16], v[15:16], v[33:34]
	v_fma_f64 v[33:34], v[11:12], v[117:118], v[77:78]
	v_add_f64 v[13:14], v[13:14], v[27:28]
	s_clause 0x2
	buffer_load_dword v82, off, s[0:3], 0 offset:668
	buffer_load_dword v28, off, s[0:3], 0 offset:644
	;; [unrolled: 1-line block ×3, first 2 shown]
	ds_read_b128 v[9:12], v70 offset:1440
	s_waitcnt vmcnt(58) lgkmcnt(1)
	v_mul_f64 v[77:78], v[1:2], v[37:38]
	v_mul_f64 v[37:38], v[3:4], v[37:38]
	s_waitcnt vmcnt(56)
	v_fma_f64 v[19:20], v[5:6], v[25:26], -v[19:20]
	v_fma_f64 v[25:26], v[7:8], v[25:26], v[126:127]
	v_add_f64 v[15:16], v[15:16], v[75:76]
	v_add_f64 v[13:14], v[13:14], v[33:34]
	s_clause 0x4
	buffer_load_dword v34, off, s[0:3], 0 offset:684
	buffer_load_dword v75, off, s[0:3], 0 offset:696
	;; [unrolled: 1-line block ×5, first 2 shown]
	ds_read_b128 v[5:8], v70 offset:1456
	s_waitcnt vmcnt(57) lgkmcnt(1)
	v_mul_f64 v[127:128], v[9:10], v[23:24]
	v_mul_f64 v[23:24], v[11:12], v[23:24]
	s_waitcnt vmcnt(56)
	v_fma_f64 v[37:38], v[1:2], v[83:84], -v[37:38]
	v_add_f64 v[15:16], v[15:16], v[19:20]
	v_fma_f64 v[19:20], v[3:4], v[83:84], v[77:78]
	v_add_f64 v[13:14], v[13:14], v[25:26]
	s_clause 0x2
	buffer_load_dword v76, off, s[0:3], 0 offset:700
	buffer_load_dword v26, off, s[0:3], 0 offset:676
	;; [unrolled: 1-line block ×3, first 2 shown]
	s_waitcnt vmcnt(58) lgkmcnt(0)
	v_mul_f64 v[77:78], v[5:6], v[45:46]
	v_mul_f64 v[45:46], v[7:8], v[45:46]
	ds_read_b128 v[1:4], v70 offset:1472
	s_waitcnt vmcnt(56)
	v_fma_f64 v[23:24], v[9:10], v[31:32], -v[23:24]
	v_fma_f64 v[31:32], v[11:12], v[31:32], v[127:128]
	v_add_f64 v[15:16], v[15:16], v[37:38]
	v_add_f64 v[13:14], v[13:14], v[19:20]
	s_clause 0x4
	buffer_load_dword v20, off, s[0:3], 0 offset:716
	buffer_load_dword v37, off, s[0:3], 0 offset:728
	;; [unrolled: 1-line block ×5, first 2 shown]
	ds_read_b128 v[9:12], v70 offset:1488
	s_waitcnt vmcnt(57) lgkmcnt(1)
	v_mul_f64 v[127:128], v[1:2], v[29:30]
	v_mul_f64 v[29:30], v[3:4], v[29:30]
	s_waitcnt vmcnt(56)
	v_fma_f64 v[45:46], v[5:6], v[71:72], -v[45:46]
	v_add_f64 v[15:16], v[15:16], v[23:24]
	v_fma_f64 v[23:24], v[7:8], v[71:72], v[77:78]
	v_add_f64 v[13:14], v[13:14], v[31:32]
	s_clause 0x2
	buffer_load_dword v38, off, s[0:3], 0 offset:732
	buffer_load_dword v32, off, s[0:3], 0 offset:708
	;; [unrolled: 1-line block ×3, first 2 shown]
	s_waitcnt vmcnt(58) lgkmcnt(0)
	v_mul_f64 v[71:72], v[9:10], v[51:52]
	v_mul_f64 v[51:52], v[11:12], v[51:52]
	ds_read_b128 v[5:8], v70 offset:1504
	s_waitcnt vmcnt(56)
	v_fma_f64 v[29:30], v[1:2], v[41:42], -v[29:30]
	v_fma_f64 v[41:42], v[3:4], v[41:42], v[127:128]
	v_add_f64 v[15:16], v[15:16], v[45:46]
	v_add_f64 v[13:14], v[13:14], v[23:24]
	s_clause 0x4
	buffer_load_dword v24, off, s[0:3], 0 offset:748
	buffer_load_dword v45, off, s[0:3], 0 offset:760
	buffer_load_dword v77, off, s[0:3], 0 offset:752
	buffer_load_dword v23, off, s[0:3], 0 offset:744
	buffer_load_dword v84, off, s[0:3], 0 offset:724
	ds_read_b128 v[1:4], v70 offset:1520
	s_waitcnt vmcnt(57) lgkmcnt(1)
	v_mul_f64 v[127:128], v[5:6], v[35:36]
	v_mul_f64 v[35:36], v[7:8], v[35:36]
	s_waitcnt vmcnt(56)
	v_fma_f64 v[51:52], v[9:10], v[53:54], -v[51:52]
	v_add_f64 v[15:16], v[15:16], v[29:30]
	v_fma_f64 v[29:30], v[11:12], v[53:54], v[71:72]
	v_add_f64 v[13:14], v[13:14], v[41:42]
	s_clause 0x2
	buffer_load_dword v46, off, s[0:3], 0 offset:764
	buffer_load_dword v42, off, s[0:3], 0 offset:740
	buffer_load_dword v41, off, s[0:3], 0 offset:736
	ds_read_b128 v[9:12], v70 offset:1536
	s_waitcnt vmcnt(58) lgkmcnt(1)
	v_mul_f64 v[53:54], v[1:2], v[59:60]
	v_mul_f64 v[59:60], v[3:4], v[59:60]
	s_waitcnt vmcnt(56)
	v_fma_f64 v[35:36], v[5:6], v[39:40], -v[35:36]
	v_fma_f64 v[39:40], v[7:8], v[39:40], v[127:128]
	v_add_f64 v[15:16], v[15:16], v[51:52]
	v_add_f64 v[13:14], v[13:14], v[29:30]
	s_clause 0x4
	buffer_load_dword v30, off, s[0:3], 0 offset:780
	buffer_load_dword v51, off, s[0:3], 0 offset:792
	buffer_load_dword v71, off, s[0:3], 0 offset:784
	buffer_load_dword v29, off, s[0:3], 0 offset:776
	buffer_load_dword v78, off, s[0:3], 0 offset:756
	ds_read_b128 v[5:8], v70 offset:1552
	s_waitcnt vmcnt(57) lgkmcnt(1)
	v_mul_f64 v[127:128], v[9:10], v[43:44]
	v_mul_f64 v[43:44], v[11:12], v[43:44]
	s_waitcnt vmcnt(56)
	v_fma_f64 v[59:60], v[1:2], v[61:62], -v[59:60]
	v_add_f64 v[15:16], v[15:16], v[35:36]
	v_fma_f64 v[35:36], v[3:4], v[61:62], v[53:54]
	v_add_f64 v[13:14], v[13:14], v[39:40]
	s_clause 0x2
	buffer_load_dword v52, off, s[0:3], 0 offset:796
	buffer_load_dword v40, off, s[0:3], 0 offset:772
	buffer_load_dword v39, off, s[0:3], 0 offset:768
	ds_read_b128 v[1:4], v70 offset:1568
	s_waitcnt vmcnt(58) lgkmcnt(1)
	v_mul_f64 v[61:62], v[7:8], v[65:66]
	v_mul_f64 v[53:54], v[5:6], v[65:66]
	s_waitcnt vmcnt(56)
	v_fma_f64 v[43:44], v[9:10], v[47:48], -v[43:44]
	v_fma_f64 v[47:48], v[11:12], v[47:48], v[127:128]
	v_add_f64 v[15:16], v[15:16], v[59:60]
	v_add_f64 v[13:14], v[13:14], v[35:36]
	s_clause 0x4
	buffer_load_dword v36, off, s[0:3], 0 offset:812
	buffer_load_dword v59, off, s[0:3], 0 offset:824
	buffer_load_dword v65, off, s[0:3], 0 offset:816
	buffer_load_dword v35, off, s[0:3], 0 offset:808
	buffer_load_dword v72, off, s[0:3], 0 offset:788
	ds_read_b128 v[9:12], v70 offset:1584
	s_waitcnt vmcnt(57) lgkmcnt(1)
	v_mul_f64 v[127:128], v[1:2], v[49:50]
	v_mul_f64 v[49:50], v[3:4], v[49:50]
	s_waitcnt vmcnt(56)
	v_fma_f64 v[61:62], v[5:6], v[67:68], -v[61:62]
	v_add_f64 v[15:16], v[15:16], v[43:44]
	v_fma_f64 v[43:44], v[7:8], v[67:68], v[53:54]
	v_add_f64 v[13:14], v[13:14], v[47:48]
	s_clause 0x2
	buffer_load_dword v60, off, s[0:3], 0 offset:828
	buffer_load_dword v48, off, s[0:3], 0 offset:804
	buffer_load_dword v47, off, s[0:3], 0 offset:800
	ds_read_b128 v[5:8], v70 offset:1600
	s_waitcnt vmcnt(58) lgkmcnt(1)
	v_mul_f64 v[53:54], v[9:10], v[55:56]
	v_mul_f64 v[55:56], v[11:12], v[55:56]
	s_waitcnt vmcnt(56)
	v_fma_f64 v[49:50], v[1:2], v[17:18], -v[49:50]
	v_fma_f64 v[17:18], v[3:4], v[17:18], v[127:128]
	v_add_f64 v[15:16], v[15:16], v[61:62]
	v_add_f64 v[13:14], v[13:14], v[43:44]
	s_clause 0x4
	buffer_load_dword v44, off, s[0:3], 0 offset:844
	buffer_load_dword v61, off, s[0:3], 0 offset:856
	buffer_load_dword v67, off, s[0:3], 0 offset:848
	buffer_load_dword v43, off, s[0:3], 0 offset:840
	buffer_load_dword v66, off, s[0:3], 0 offset:820
	ds_read_b128 v[1:4], v70 offset:1616
	s_waitcnt vmcnt(57) lgkmcnt(1)
	v_mul_f64 v[127:128], v[5:6], v[57:58]
	v_mul_f64 v[57:58], v[7:8], v[57:58]
	s_waitcnt vmcnt(56)
	v_fma_f64 v[55:56], v[9:10], v[79:80], -v[55:56]
	v_add_f64 v[15:16], v[15:16], v[49:50]
	v_fma_f64 v[49:50], v[11:12], v[79:80], v[53:54]
	v_add_f64 v[13:14], v[13:14], v[17:18]
	s_clause 0x2
	buffer_load_dword v62, off, s[0:3], 0 offset:860
	buffer_load_dword v18, off, s[0:3], 0 offset:836
	buffer_load_dword v17, off, s[0:3], 0 offset:832
	ds_read_b128 v[9:12], v70 offset:1632
	s_waitcnt vmcnt(58) lgkmcnt(1)
	v_mul_f64 v[53:54], v[1:2], v[73:74]
	v_mul_f64 v[73:74], v[3:4], v[73:74]
	s_waitcnt vmcnt(56)
	v_fma_f64 v[57:58], v[5:6], v[63:64], -v[57:58]
	v_add_f64 v[15:16], v[15:16], v[55:56]
	v_fma_f64 v[55:56], v[7:8], v[63:64], v[127:128]
	v_add_f64 v[13:14], v[13:14], v[49:50]
	s_clause 0x4
	buffer_load_dword v50, off, s[0:3], 0 offset:876
	buffer_load_dword v63, off, s[0:3], 0 offset:888
	;; [unrolled: 1-line block ×5, first 2 shown]
	ds_read_b128 v[5:8], v70 offset:1648
	s_waitcnt vmcnt(57) lgkmcnt(1)
	v_mul_f64 v[127:128], v[9:10], v[21:22]
	v_mul_f64 v[21:22], v[11:12], v[21:22]
	s_waitcnt vmcnt(56)
	v_fma_f64 v[73:74], v[1:2], v[119:120], -v[73:74]
	v_fma_f64 v[53:54], v[3:4], v[119:120], v[53:54]
	v_add_f64 v[15:16], v[15:16], v[57:58]
	v_add_f64 v[13:14], v[13:14], v[55:56]
	s_clause 0x2
	buffer_load_dword v64, off, s[0:3], 0 offset:892
	buffer_load_dword v56, off, s[0:3], 0 offset:868
	buffer_load_dword v55, off, s[0:3], 0 offset:864
	ds_read_b128 v[1:4], v70 offset:1664
	s_waitcnt vmcnt(58) lgkmcnt(1)
	v_mul_f64 v[57:58], v[5:6], v[81:82]
	v_mul_f64 v[81:82], v[7:8], v[81:82]
	s_waitcnt vmcnt(56)
	v_fma_f64 v[21:22], v[9:10], v[27:28], -v[21:22]
	v_fma_f64 v[27:28], v[11:12], v[27:28], v[127:128]
	v_add_f64 v[15:16], v[15:16], v[73:74]
	v_add_f64 v[13:14], v[13:14], v[53:54]
	s_clause 0x4
	buffer_load_dword v54, off, s[0:3], 0 offset:908
	buffer_load_dword v73, off, s[0:3], 0 offset:920
	buffer_load_dword v119, off, s[0:3], 0 offset:912
	buffer_load_dword v53, off, s[0:3], 0 offset:904
	buffer_load_dword v80, off, s[0:3], 0 offset:884
	ds_read_b128 v[9:12], v70 offset:1680
	s_waitcnt vmcnt(57) lgkmcnt(1)
	v_mul_f64 v[127:128], v[1:2], v[33:34]
	v_mul_f64 v[33:34], v[3:4], v[33:34]
	s_waitcnt vmcnt(56)
	v_fma_f64 v[81:82], v[5:6], v[125:126], -v[81:82]
	v_add_f64 v[15:16], v[15:16], v[21:22]
	v_fma_f64 v[21:22], v[7:8], v[125:126], v[57:58]
	v_add_f64 v[13:14], v[13:14], v[27:28]
	s_clause 0x2
	buffer_load_dword v74, off, s[0:3], 0 offset:924
	buffer_load_dword v28, off, s[0:3], 0 offset:900
	buffer_load_dword v27, off, s[0:3], 0 offset:896
	ds_read_b128 v[5:8], v70 offset:1696
	s_waitcnt vmcnt(58) lgkmcnt(1)
	v_mul_f64 v[57:58], v[9:10], v[75:76]
	v_mul_f64 v[75:76], v[11:12], v[75:76]
	s_waitcnt vmcnt(56)
	v_fma_f64 v[33:34], v[1:2], v[25:26], -v[33:34]
	v_fma_f64 v[25:26], v[3:4], v[25:26], v[127:128]
	v_add_f64 v[15:16], v[15:16], v[81:82]
	v_add_f64 v[13:14], v[13:14], v[21:22]
	s_clause 0x4
	buffer_load_dword v22, off, s[0:3], 0 offset:940
	buffer_load_dword v81, off, s[0:3], 0 offset:952
	buffer_load_dword v125, off, s[0:3], 0 offset:944
	buffer_load_dword v21, off, s[0:3], 0 offset:936
	buffer_load_dword v120, off, s[0:3], 0 offset:916
	ds_read_b128 v[1:4], v70 offset:1712
	s_waitcnt vmcnt(57) lgkmcnt(1)
	v_mul_f64 v[126:127], v[5:6], v[19:20]
	v_mul_f64 v[19:20], v[7:8], v[19:20]
	s_waitcnt vmcnt(56)
	v_fma_f64 v[75:76], v[9:10], v[117:118], -v[75:76]
	v_add_f64 v[15:16], v[15:16], v[33:34]
	v_fma_f64 v[33:34], v[11:12], v[117:118], v[57:58]
	;; [unrolled: 28-line block ×3, first 2 shown]
	v_add_f64 v[13:14], v[13:14], v[31:32]
	s_clause 0x2
	buffer_load_dword v76, off, s[0:3], 0 offset:988
	buffer_load_dword v32, off, s[0:3], 0 offset:964
	;; [unrolled: 1-line block ×3, first 2 shown]
	ds_read_b128 v[1:4], v70 offset:1760
	s_waitcnt vmcnt(58) lgkmcnt(1)
	v_mul_f64 v[57:58], v[5:6], v[45:46]
	v_mul_f64 v[45:46], v[7:8], v[45:46]
	s_waitcnt vmcnt(56)
	v_fma_f64 v[23:24], v[9:10], v[41:42], -v[23:24]
	v_add_f64 v[15:16], v[15:16], v[37:38]
	v_fma_f64 v[37:38], v[11:12], v[41:42], v[127:128]
	v_add_f64 v[13:14], v[13:14], v[19:20]
	s_clause 0x4
	buffer_load_dword v20, off, s[0:3], 0 offset:1004
	buffer_load_dword v41, off, s[0:3], 0 offset:1016
	buffer_load_dword v83, off, s[0:3], 0 offset:1008
	buffer_load_dword v19, off, s[0:3], 0 offset:1000
	buffer_load_dword v118, off, s[0:3], 0 offset:980
	ds_read_b128 v[9:12], v70 offset:1776
	s_waitcnt vmcnt(57) lgkmcnt(1)
	v_mul_f64 v[127:128], v[1:2], v[29:30]
	v_mul_f64 v[29:30], v[3:4], v[29:30]
	s_waitcnt vmcnt(56)
	v_fma_f64 v[45:46], v[5:6], v[77:78], -v[45:46]
	v_add_f64 v[15:16], v[15:16], v[23:24]
	v_fma_f64 v[23:24], v[7:8], v[77:78], v[57:58]
	v_add_f64 v[13:14], v[13:14], v[37:38]
	s_clause 0x2
	buffer_load_dword v42, off, s[0:3], 0 offset:1020
	buffer_load_dword v38, off, s[0:3], 0 offset:996
	;; [unrolled: 1-line block ×3, first 2 shown]
	ds_read_b128 v[5:8], v70 offset:1792
	buffer_load_dword v84, off, s[0:3], 0 offset:1012
	s_waitcnt vmcnt(59) lgkmcnt(1)
	v_mul_f64 v[57:58], v[9:10], v[51:52]
	v_mul_f64 v[51:52], v[11:12], v[51:52]
	s_waitcnt vmcnt(57)
	v_fma_f64 v[29:30], v[1:2], v[39:40], -v[29:30]
	v_fma_f64 v[39:40], v[3:4], v[39:40], v[127:128]
	ds_read_b128 v[1:4], v70 offset:1808
	v_add_f64 v[15:16], v[15:16], v[45:46]
	v_add_f64 v[13:14], v[13:14], v[23:24]
	s_waitcnt vmcnt(53) lgkmcnt(1)
	v_mul_f64 v[23:24], v[5:6], v[35:36]
	v_mul_f64 v[35:36], v[7:8], v[35:36]
	s_waitcnt vmcnt(52)
	v_fma_f64 v[45:46], v[9:10], v[71:72], -v[51:52]
	v_add_f64 v[15:16], v[15:16], v[29:30]
	v_fma_f64 v[29:30], v[11:12], v[71:72], v[57:58]
	v_add_f64 v[13:14], v[13:14], v[39:40]
	ds_read_b128 v[9:12], v70 offset:1824
	s_waitcnt vmcnt(51) lgkmcnt(1)
	v_mul_f64 v[51:52], v[3:4], v[59:60]
	v_mul_f64 v[39:40], v[1:2], v[59:60]
	s_waitcnt vmcnt(49)
	v_fma_f64 v[35:36], v[5:6], v[47:48], -v[35:36]
	v_fma_f64 v[23:24], v[7:8], v[47:48], v[23:24]
	v_add_f64 v[15:16], v[15:16], v[45:46]
	v_add_f64 v[13:14], v[13:14], v[29:30]
	s_clause 0x3
	buffer_load_dword v29, off, s[0:3], 0 offset:64
	buffer_load_dword v30, off, s[0:3], 0 offset:68
	;; [unrolled: 1-line block ×4, first 2 shown]
	ds_read_b128 v[5:8], v70 offset:1840
	s_waitcnt vmcnt(49) lgkmcnt(1)
	v_mul_f64 v[47:48], v[9:10], v[43:44]
	v_mul_f64 v[43:44], v[11:12], v[43:44]
	s_waitcnt vmcnt(48)
	v_fma_f64 v[51:52], v[1:2], v[65:66], -v[51:52]
	v_add_f64 v[15:16], v[15:16], v[35:36]
	v_fma_f64 v[35:36], v[3:4], v[65:66], v[39:40]
	v_add_f64 v[13:14], v[13:14], v[23:24]
	ds_read_b128 v[1:4], v70 offset:1856
	s_waitcnt vmcnt(47) lgkmcnt(1)
	v_mul_f64 v[39:40], v[7:8], v[61:62]
	v_mul_f64 v[23:24], v[5:6], v[61:62]
	s_waitcnt vmcnt(45)
	v_fma_f64 v[43:44], v[9:10], v[17:18], -v[43:44]
	v_fma_f64 v[17:18], v[11:12], v[17:18], v[47:48]
	ds_read_b128 v[9:12], v70 offset:1872
	v_add_f64 v[15:16], v[15:16], v[51:52]
	v_add_f64 v[13:14], v[13:14], v[35:36]
	s_waitcnt vmcnt(41) lgkmcnt(1)
	v_mul_f64 v[47:48], v[3:4], v[49:50]
	s_waitcnt vmcnt(40)
	v_fma_f64 v[39:40], v[5:6], v[67:68], -v[39:40]
	v_mul_f64 v[35:36], v[1:2], v[49:50]
	v_fma_f64 v[23:24], v[7:8], v[67:68], v[23:24]
	ds_read_b128 v[5:8], v70 offset:1888
	v_add_f64 v[15:16], v[15:16], v[43:44]
	v_add_f64 v[13:14], v[13:14], v[17:18]
	s_waitcnt vmcnt(39) lgkmcnt(1)
	v_mul_f64 v[43:44], v[11:12], v[63:64]
	v_mul_f64 v[17:18], v[9:10], v[63:64]
	s_waitcnt vmcnt(37)
	v_fma_f64 v[47:48], v[1:2], v[55:56], -v[47:48]
	v_fma_f64 v[35:36], v[3:4], v[55:56], v[35:36]
	ds_read_b128 v[1:4], v70 offset:1904
	v_add_f64 v[15:16], v[15:16], v[39:40]
	v_add_f64 v[13:14], v[13:14], v[23:24]
	s_waitcnt vmcnt(33) lgkmcnt(1)
	v_mul_f64 v[39:40], v[7:8], v[53:54]
	s_waitcnt vmcnt(32)
	v_fma_f64 v[43:44], v[9:10], v[79:80], -v[43:44]
	v_mul_f64 v[23:24], v[5:6], v[53:54]
	v_fma_f64 v[17:18], v[11:12], v[79:80], v[17:18]
	ds_read_b128 v[9:12], v70 offset:1920
	v_add_f64 v[15:16], v[15:16], v[47:48]
	v_add_f64 v[13:14], v[13:14], v[35:36]
	s_waitcnt vmcnt(31) lgkmcnt(1)
	v_mul_f64 v[47:48], v[3:4], v[73:74]
	v_mul_f64 v[35:36], v[1:2], v[73:74]
	s_waitcnt vmcnt(29)
	v_fma_f64 v[39:40], v[5:6], v[27:28], -v[39:40]
	v_fma_f64 v[23:24], v[7:8], v[27:28], v[23:24]
	ds_read_b128 v[5:8], v70 offset:1936
	v_add_f64 v[15:16], v[15:16], v[43:44]
	v_add_f64 v[13:14], v[13:14], v[17:18]
	s_waitcnt vmcnt(25) lgkmcnt(1)
	v_mul_f64 v[17:18], v[9:10], v[21:22]
	v_mul_f64 v[21:22], v[11:12], v[21:22]
	s_waitcnt vmcnt(24)
	v_fma_f64 v[27:28], v[1:2], v[119:120], -v[47:48]
	;; [unrolled: 9-line block ×4, first 2 shown]
	v_add_f64 v[15:16], v[15:16], v[21:22]
	v_fma_f64 v[21:22], v[7:8], v[125:126], v[23:24]
	v_add_f64 v[13:14], v[13:14], v[17:18]
	ds_read_b128 v[5:8], v70 offset:1984
	s_waitcnt vmcnt(15) lgkmcnt(1)
	v_mul_f64 v[23:24], v[11:12], v[75:76]
	v_mul_f64 v[17:18], v[9:10], v[75:76]
	s_waitcnt vmcnt(13)
	v_fma_f64 v[27:28], v[1:2], v[31:32], -v[27:28]
	v_fma_f64 v[25:26], v[3:4], v[31:32], v[25:26]
	ds_read_b128 v[1:4], v70 offset:2000
	v_add_f64 v[15:16], v[15:16], v[33:34]
	v_add_f64 v[13:14], v[13:14], v[21:22]
	s_waitcnt vmcnt(9) lgkmcnt(1)
	v_mul_f64 v[21:22], v[5:6], v[19:20]
	v_mul_f64 v[19:20], v[7:8], v[19:20]
	s_waitcnt vmcnt(8)
	v_fma_f64 v[9:10], v[9:10], v[117:118], -v[23:24]
	v_fma_f64 v[11:12], v[11:12], v[117:118], v[17:18]
	v_add_f64 v[15:16], v[15:16], v[27:28]
	v_add_f64 v[13:14], v[13:14], v[25:26]
	s_waitcnt vmcnt(7) lgkmcnt(0)
	v_mul_f64 v[23:24], v[3:4], v[41:42]
	v_mul_f64 v[17:18], v[1:2], v[41:42]
	s_waitcnt vmcnt(5)
	v_fma_f64 v[5:6], v[5:6], v[37:38], -v[19:20]
	v_fma_f64 v[7:8], v[7:8], v[37:38], v[21:22]
	v_add_f64 v[9:10], v[15:16], v[9:10]
	v_add_f64 v[11:12], v[13:14], v[11:12]
	s_waitcnt vmcnt(4)
	v_fma_f64 v[1:2], v[1:2], v[83:84], -v[23:24]
	v_fma_f64 v[3:4], v[3:4], v[83:84], v[17:18]
	v_add_f64 v[5:6], v[9:10], v[5:6]
	v_add_f64 v[7:8], v[11:12], v[7:8]
	v_add_f64 v[1:2], v[5:6], v[1:2]
	v_add_f64 v[3:4], v[7:8], v[3:4]
	s_waitcnt vmcnt(2)
	v_add_f64 v[1:2], v[29:30], -v[1:2]
	s_waitcnt vmcnt(0)
	v_add_f64 v[3:4], v[45:46], -v[3:4]
	buffer_store_dword v2, off, s[0:3], 0 offset:68
	buffer_store_dword v1, off, s[0:3], 0 offset:64
	;; [unrolled: 1-line block ×4, first 2 shown]
	v_cmpx_lt_u32_e32 2, v0
	s_cbranch_execz .LBB62_399
; %bb.398:
	v_mov_b32_e32 v4, s63
	s_clause 0x3
	buffer_load_dword v1, v4, s[0:3], 0 offen
	buffer_load_dword v2, v4, s[0:3], 0 offen offset:4
	buffer_load_dword v3, v4, s[0:3], 0 offen offset:8
	;; [unrolled: 1-line block ×3, first 2 shown]
	buffer_store_dword v70, off, s[0:3], 0 offset:48
	buffer_store_dword v70, off, s[0:3], 0 offset:52
	;; [unrolled: 1-line block ×4, first 2 shown]
	s_waitcnt vmcnt(0)
	ds_write_b128 v69, v[1:4]
.LBB62_399:
	s_or_b32 exec_lo, exec_lo, s4
	s_waitcnt lgkmcnt(0)
	s_waitcnt_vscnt null, 0x0
	s_barrier
	buffer_gl0_inv
	s_clause 0x37
	buffer_load_dword v17, off, s[0:3], 0 offset:72
	buffer_load_dword v18, off, s[0:3], 0 offset:76
	;; [unrolled: 1-line block ×56, first 2 shown]
	ds_read_b128 v[5:8], v70 offset:1056
	s_clause 0x2
	buffer_load_dword v66, off, s[0:3], 0 offset:300
	buffer_load_dword v68, off, s[0:3], 0 offset:276
	;; [unrolled: 1-line block ×3, first 2 shown]
	ds_read_b128 v[1:4], v70 offset:1072
	s_clause 0x4
	buffer_load_dword v78, off, s[0:3], 0 offset:316
	buffer_load_dword v79, off, s[0:3], 0 offset:328
	;; [unrolled: 1-line block ×5, first 2 shown]
	ds_read_b128 v[71:74], v70 offset:1088
	s_mov_b32 s4, exec_lo
	s_waitcnt vmcnt(62) lgkmcnt(2)
	v_mul_f64 v[75:76], v[7:8], v[17:18]
	v_mul_f64 v[17:18], v[5:6], v[17:18]
	s_waitcnt vmcnt(60) lgkmcnt(1)
	v_mul_f64 v[82:83], v[3:4], v[13:14]
	v_mul_f64 v[13:14], v[1:2], v[13:14]
	;; [unrolled: 3-line block ×3, first 2 shown]
	v_fma_f64 v[75:76], v[5:6], v[15:16], -v[75:76]
	v_fma_f64 v[15:16], v[7:8], v[15:16], v[17:18]
	s_clause 0x2
	buffer_load_dword v80, off, s[0:3], 0 offset:332
	buffer_load_dword v18, off, s[0:3], 0 offset:308
	;; [unrolled: 1-line block ×3, first 2 shown]
	s_waitcnt vmcnt(57)
	v_fma_f64 v[83:84], v[1:2], v[9:10], -v[82:83]
	ds_read_b128 v[5:8], v70 offset:1104
	v_fma_f64 v[9:10], v[3:4], v[9:10], v[13:14]
	s_waitcnt vmcnt(51)
	v_fma_f64 v[71:72], v[71:72], v[33:34], -v[11:12]
	v_fma_f64 v[33:34], v[73:74], v[33:34], v[117:118]
	v_add_f64 v[75:76], v[75:76], 0
	v_add_f64 v[13:14], v[15:16], 0
	s_clause 0x4
	buffer_load_dword v16, off, s[0:3], 0 offset:348
	buffer_load_dword v119, off, s[0:3], 0 offset:360
	;; [unrolled: 1-line block ×5, first 2 shown]
	s_waitcnt lgkmcnt(0)
	v_mul_f64 v[126:127], v[5:6], v[21:22]
	v_mul_f64 v[21:22], v[7:8], v[21:22]
	ds_read_b128 v[1:4], v70 offset:1120
	s_clause 0x2
	buffer_load_dword v120, off, s[0:3], 0 offset:364
	buffer_load_dword v74, off, s[0:3], 0 offset:340
	;; [unrolled: 1-line block ×3, first 2 shown]
	v_add_f64 v[75:76], v[75:76], v[83:84]
	v_add_f64 v[13:14], v[13:14], v[9:10]
	ds_read_b128 v[9:12], v70 offset:1136
	s_waitcnt vmcnt(58) lgkmcnt(1)
	v_mul_f64 v[83:84], v[1:2], v[25:26]
	v_mul_f64 v[25:26], v[3:4], v[25:26]
	s_waitcnt vmcnt(56)
	v_fma_f64 v[21:22], v[5:6], v[27:28], -v[21:22]
	v_fma_f64 v[27:28], v[7:8], v[27:28], v[126:127]
	s_waitcnt vmcnt(52) lgkmcnt(0)
	v_mul_f64 v[127:128], v[9:10], v[29:30]
	v_add_f64 v[71:72], v[75:76], v[71:72]
	v_add_f64 v[13:14], v[13:14], v[33:34]
	s_clause 0x4
	buffer_load_dword v34, off, s[0:3], 0 offset:380
	buffer_load_dword v75, off, s[0:3], 0 offset:392
	;; [unrolled: 1-line block ×5, first 2 shown]
	v_mul_f64 v[29:30], v[11:12], v[29:30]
	s_waitcnt vmcnt(56)
	v_fma_f64 v[25:26], v[1:2], v[19:20], -v[25:26]
	ds_read_b128 v[5:8], v70 offset:1152
	v_fma_f64 v[19:20], v[3:4], v[19:20], v[83:84]
	v_add_f64 v[21:22], v[71:72], v[21:22]
	v_add_f64 v[13:14], v[13:14], v[27:28]
	s_clause 0x2
	buffer_load_dword v76, off, s[0:3], 0 offset:396
	buffer_load_dword v28, off, s[0:3], 0 offset:372
	;; [unrolled: 1-line block ×3, first 2 shown]
	s_waitcnt vmcnt(58) lgkmcnt(0)
	v_mul_f64 v[71:72], v[5:6], v[35:36]
	v_mul_f64 v[35:36], v[7:8], v[35:36]
	s_waitcnt vmcnt(56)
	v_fma_f64 v[29:30], v[9:10], v[37:38], -v[29:30]
	ds_read_b128 v[1:4], v70 offset:1168
	v_add_f64 v[21:22], v[21:22], v[25:26]
	v_fma_f64 v[25:26], v[11:12], v[37:38], v[127:128]
	v_add_f64 v[13:14], v[13:14], v[19:20]
	s_clause 0x4
	buffer_load_dword v20, off, s[0:3], 0 offset:412
	buffer_load_dword v37, off, s[0:3], 0 offset:424
	;; [unrolled: 1-line block ×5, first 2 shown]
	s_waitcnt vmcnt(57) lgkmcnt(0)
	v_mul_f64 v[127:128], v[1:2], v[39:40]
	v_mul_f64 v[39:40], v[3:4], v[39:40]
	s_waitcnt vmcnt(56)
	v_fma_f64 v[35:36], v[5:6], v[23:24], -v[35:36]
	ds_read_b128 v[9:12], v70 offset:1184
	v_fma_f64 v[23:24], v[7:8], v[23:24], v[71:72]
	v_add_f64 v[21:22], v[21:22], v[29:30]
	v_add_f64 v[13:14], v[13:14], v[25:26]
	s_clause 0x2
	buffer_load_dword v38, off, s[0:3], 0 offset:428
	buffer_load_dword v26, off, s[0:3], 0 offset:404
	;; [unrolled: 1-line block ×3, first 2 shown]
	ds_read_b128 v[5:8], v70 offset:1200
	s_waitcnt vmcnt(58) lgkmcnt(1)
	v_mul_f64 v[29:30], v[9:10], v[43:44]
	v_mul_f64 v[43:44], v[11:12], v[43:44]
	s_waitcnt vmcnt(56)
	v_fma_f64 v[39:40], v[1:2], v[45:46], -v[39:40]
	v_add_f64 v[21:22], v[21:22], v[35:36]
	v_fma_f64 v[35:36], v[3:4], v[45:46], v[127:128]
	v_add_f64 v[13:14], v[13:14], v[23:24]
	s_clause 0x4
	buffer_load_dword v24, off, s[0:3], 0 offset:444
	buffer_load_dword v45, off, s[0:3], 0 offset:456
	;; [unrolled: 1-line block ×5, first 2 shown]
	s_waitcnt vmcnt(57) lgkmcnt(0)
	v_mul_f64 v[127:128], v[5:6], v[47:48]
	v_mul_f64 v[47:48], v[7:8], v[47:48]
	s_waitcnt vmcnt(56)
	v_fma_f64 v[43:44], v[9:10], v[31:32], -v[43:44]
	ds_read_b128 v[1:4], v70 offset:1216
	v_fma_f64 v[29:30], v[11:12], v[31:32], v[29:30]
	s_clause 0x2
	buffer_load_dword v46, off, s[0:3], 0 offset:460
	buffer_load_dword v32, off, s[0:3], 0 offset:436
	;; [unrolled: 1-line block ×3, first 2 shown]
	ds_read_b128 v[9:12], v70 offset:1232
	v_add_f64 v[21:22], v[21:22], v[39:40]
	v_add_f64 v[13:14], v[13:14], v[35:36]
	s_waitcnt vmcnt(58) lgkmcnt(1)
	v_mul_f64 v[39:40], v[3:4], v[51:52]
	s_waitcnt vmcnt(56)
	v_fma_f64 v[47:48], v[5:6], v[53:54], -v[47:48]
	v_mul_f64 v[35:36], v[1:2], v[51:52]
	v_add_f64 v[21:22], v[21:22], v[43:44]
	v_fma_f64 v[43:44], v[7:8], v[53:54], v[127:128]
	v_add_f64 v[13:14], v[13:14], v[29:30]
	s_clause 0x4
	buffer_load_dword v30, off, s[0:3], 0 offset:476
	buffer_load_dword v51, off, s[0:3], 0 offset:488
	buffer_load_dword v53, off, s[0:3], 0 offset:480
	buffer_load_dword v29, off, s[0:3], 0 offset:472
	buffer_load_dword v72, off, s[0:3], 0 offset:452
	s_waitcnt vmcnt(57) lgkmcnt(0)
	v_mul_f64 v[127:128], v[9:10], v[55:56]
	v_mul_f64 v[54:55], v[11:12], v[55:56]
	s_waitcnt vmcnt(56)
	v_fma_f64 v[39:40], v[1:2], v[41:42], -v[39:40]
	ds_read_b128 v[5:8], v70 offset:1248
	v_fma_f64 v[35:36], v[3:4], v[41:42], v[35:36]
	s_clause 0x2
	buffer_load_dword v52, off, s[0:3], 0 offset:492
	buffer_load_dword v42, off, s[0:3], 0 offset:468
	;; [unrolled: 1-line block ×3, first 2 shown]
	ds_read_b128 v[1:4], v70 offset:1264
	v_add_f64 v[21:22], v[21:22], v[47:48]
	v_add_f64 v[13:14], v[13:14], v[43:44]
	s_waitcnt vmcnt(58) lgkmcnt(1)
	v_mul_f64 v[47:48], v[7:8], v[59:60]
	s_waitcnt vmcnt(56)
	v_fma_f64 v[55:56], v[9:10], v[61:62], -v[54:55]
	v_mul_f64 v[43:44], v[5:6], v[59:60]
	v_add_f64 v[21:22], v[21:22], v[39:40]
	v_fma_f64 v[39:40], v[11:12], v[61:62], v[127:128]
	v_add_f64 v[13:14], v[13:14], v[35:36]
	s_clause 0x4
	buffer_load_dword v36, off, s[0:3], 0 offset:508
	buffer_load_dword v59, off, s[0:3], 0 offset:520
	;; [unrolled: 1-line block ×5, first 2 shown]
	s_waitcnt vmcnt(57) lgkmcnt(0)
	v_mul_f64 v[127:128], v[1:2], v[63:64]
	v_mul_f64 v[62:63], v[3:4], v[63:64]
	s_waitcnt vmcnt(56)
	v_fma_f64 v[47:48], v[5:6], v[49:50], -v[47:48]
	ds_read_b128 v[9:12], v70 offset:1280
	v_fma_f64 v[43:44], v[7:8], v[49:50], v[43:44]
	v_add_f64 v[21:22], v[21:22], v[55:56]
	v_add_f64 v[13:14], v[13:14], v[39:40]
	s_clause 0x2
	buffer_load_dword v60, off, s[0:3], 0 offset:524
	buffer_load_dword v40, off, s[0:3], 0 offset:500
	;; [unrolled: 1-line block ×3, first 2 shown]
	ds_read_b128 v[5:8], v70 offset:1296
	s_waitcnt vmcnt(58) lgkmcnt(1)
	v_mul_f64 v[55:56], v[11:12], v[65:66]
	s_waitcnt vmcnt(56)
	v_fma_f64 v[63:64], v[1:2], v[67:68], -v[62:63]
	v_mul_f64 v[49:50], v[9:10], v[65:66]
	v_add_f64 v[21:22], v[21:22], v[47:48]
	v_fma_f64 v[47:48], v[3:4], v[67:68], v[127:128]
	v_add_f64 v[13:14], v[13:14], v[43:44]
	s_clause 0x4
	buffer_load_dword v44, off, s[0:3], 0 offset:540
	buffer_load_dword v65, off, s[0:3], 0 offset:552
	;; [unrolled: 1-line block ×5, first 2 shown]
	s_waitcnt vmcnt(57) lgkmcnt(0)
	v_mul_f64 v[127:128], v[5:6], v[77:78]
	v_mul_f64 v[77:78], v[7:8], v[77:78]
	s_waitcnt vmcnt(56)
	v_fma_f64 v[55:56], v[9:10], v[57:58], -v[55:56]
	ds_read_b128 v[1:4], v70 offset:1312
	v_fma_f64 v[49:50], v[11:12], v[57:58], v[49:50]
	v_add_f64 v[21:22], v[21:22], v[63:64]
	v_add_f64 v[13:14], v[13:14], v[47:48]
	s_clause 0x2
	buffer_load_dword v66, off, s[0:3], 0 offset:556
	buffer_load_dword v48, off, s[0:3], 0 offset:532
	;; [unrolled: 1-line block ×3, first 2 shown]
	ds_read_b128 v[9:12], v70 offset:1328
	s_waitcnt vmcnt(58) lgkmcnt(1)
	v_mul_f64 v[63:64], v[3:4], v[79:80]
	v_mul_f64 v[57:58], v[1:2], v[79:80]
	s_waitcnt vmcnt(56)
	v_fma_f64 v[77:78], v[5:6], v[17:18], -v[77:78]
	v_fma_f64 v[17:18], v[7:8], v[17:18], v[127:128]
	v_add_f64 v[21:22], v[21:22], v[55:56]
	v_add_f64 v[13:14], v[13:14], v[49:50]
	s_clause 0x4
	buffer_load_dword v50, off, s[0:3], 0 offset:572
	buffer_load_dword v55, off, s[0:3], 0 offset:584
	;; [unrolled: 1-line block ×5, first 2 shown]
	ds_read_b128 v[5:8], v70 offset:1344
	s_waitcnt vmcnt(57) lgkmcnt(1)
	v_mul_f64 v[127:128], v[9:10], v[15:16]
	v_mul_f64 v[15:16], v[11:12], v[15:16]
	s_waitcnt vmcnt(56)
	v_fma_f64 v[63:64], v[1:2], v[81:82], -v[63:64]
	v_fma_f64 v[57:58], v[3:4], v[81:82], v[57:58]
	v_add_f64 v[21:22], v[21:22], v[77:78]
	v_add_f64 v[13:14], v[13:14], v[17:18]
	s_clause 0x2
	buffer_load_dword v56, off, s[0:3], 0 offset:588
	buffer_load_dword v18, off, s[0:3], 0 offset:564
	;; [unrolled: 1-line block ×3, first 2 shown]
	s_waitcnt vmcnt(58) lgkmcnt(0)
	v_mul_f64 v[81:82], v[7:8], v[119:120]
	ds_read_b128 v[1:4], v70 offset:1360
	v_mul_f64 v[77:78], v[5:6], v[119:120]
	s_waitcnt vmcnt(56)
	v_fma_f64 v[15:16], v[9:10], v[73:74], -v[15:16]
	v_add_f64 v[21:22], v[21:22], v[63:64]
	v_fma_f64 v[63:64], v[11:12], v[73:74], v[127:128]
	v_add_f64 v[13:14], v[13:14], v[57:58]
	s_clause 0x4
	buffer_load_dword v58, off, s[0:3], 0 offset:604
	buffer_load_dword v73, off, s[0:3], 0 offset:616
	;; [unrolled: 1-line block ×5, first 2 shown]
	ds_read_b128 v[9:12], v70 offset:1376
	s_waitcnt vmcnt(57) lgkmcnt(1)
	v_mul_f64 v[127:128], v[1:2], v[33:34]
	v_mul_f64 v[33:34], v[3:4], v[33:34]
	s_waitcnt vmcnt(56)
	v_fma_f64 v[81:82], v[5:6], v[125:126], -v[81:82]
	v_add_f64 v[15:16], v[21:22], v[15:16]
	v_fma_f64 v[21:22], v[7:8], v[125:126], v[77:78]
	v_add_f64 v[13:14], v[13:14], v[63:64]
	s_clause 0x2
	buffer_load_dword v74, off, s[0:3], 0 offset:620
	buffer_load_dword v64, off, s[0:3], 0 offset:596
	;; [unrolled: 1-line block ×3, first 2 shown]
	ds_read_b128 v[5:8], v70 offset:1392
	s_waitcnt vmcnt(58) lgkmcnt(1)
	v_mul_f64 v[77:78], v[9:10], v[75:76]
	v_mul_f64 v[75:76], v[11:12], v[75:76]
	s_waitcnt vmcnt(56)
	v_fma_f64 v[33:34], v[1:2], v[27:28], -v[33:34]
	v_fma_f64 v[27:28], v[3:4], v[27:28], v[127:128]
	v_add_f64 v[15:16], v[15:16], v[81:82]
	v_add_f64 v[13:14], v[13:14], v[21:22]
	s_clause 0x4
	buffer_load_dword v22, off, s[0:3], 0 offset:636
	buffer_load_dword v81, off, s[0:3], 0 offset:648
	buffer_load_dword v125, off, s[0:3], 0 offset:640
	buffer_load_dword v21, off, s[0:3], 0 offset:632
	buffer_load_dword v120, off, s[0:3], 0 offset:612
	ds_read_b128 v[1:4], v70 offset:1408
	s_waitcnt vmcnt(57) lgkmcnt(1)
	v_mul_f64 v[126:127], v[5:6], v[19:20]
	v_mul_f64 v[19:20], v[7:8], v[19:20]
	s_waitcnt vmcnt(56)
	v_fma_f64 v[75:76], v[9:10], v[117:118], -v[75:76]
	v_add_f64 v[15:16], v[15:16], v[33:34]
	v_fma_f64 v[33:34], v[11:12], v[117:118], v[77:78]
	v_add_f64 v[13:14], v[13:14], v[27:28]
	s_clause 0x2
	buffer_load_dword v82, off, s[0:3], 0 offset:652
	buffer_load_dword v28, off, s[0:3], 0 offset:628
	;; [unrolled: 1-line block ×3, first 2 shown]
	ds_read_b128 v[9:12], v70 offset:1424
	s_waitcnt vmcnt(58) lgkmcnt(1)
	v_mul_f64 v[77:78], v[1:2], v[37:38]
	v_mul_f64 v[37:38], v[3:4], v[37:38]
	s_waitcnt vmcnt(56)
	v_fma_f64 v[19:20], v[5:6], v[25:26], -v[19:20]
	v_fma_f64 v[25:26], v[7:8], v[25:26], v[126:127]
	v_add_f64 v[15:16], v[15:16], v[75:76]
	v_add_f64 v[13:14], v[13:14], v[33:34]
	s_clause 0x4
	buffer_load_dword v34, off, s[0:3], 0 offset:668
	buffer_load_dword v75, off, s[0:3], 0 offset:680
	;; [unrolled: 1-line block ×5, first 2 shown]
	ds_read_b128 v[5:8], v70 offset:1440
	s_waitcnt vmcnt(57) lgkmcnt(1)
	v_mul_f64 v[127:128], v[9:10], v[23:24]
	v_mul_f64 v[23:24], v[11:12], v[23:24]
	s_waitcnt vmcnt(56)
	v_fma_f64 v[37:38], v[1:2], v[83:84], -v[37:38]
	v_add_f64 v[15:16], v[15:16], v[19:20]
	v_fma_f64 v[19:20], v[3:4], v[83:84], v[77:78]
	v_add_f64 v[13:14], v[13:14], v[25:26]
	s_clause 0x2
	buffer_load_dword v76, off, s[0:3], 0 offset:684
	buffer_load_dword v26, off, s[0:3], 0 offset:660
	;; [unrolled: 1-line block ×3, first 2 shown]
	s_waitcnt vmcnt(58) lgkmcnt(0)
	v_mul_f64 v[77:78], v[5:6], v[45:46]
	v_mul_f64 v[45:46], v[7:8], v[45:46]
	ds_read_b128 v[1:4], v70 offset:1456
	s_waitcnt vmcnt(56)
	v_fma_f64 v[23:24], v[9:10], v[31:32], -v[23:24]
	v_fma_f64 v[31:32], v[11:12], v[31:32], v[127:128]
	v_add_f64 v[15:16], v[15:16], v[37:38]
	v_add_f64 v[13:14], v[13:14], v[19:20]
	s_clause 0x4
	buffer_load_dword v20, off, s[0:3], 0 offset:700
	buffer_load_dword v37, off, s[0:3], 0 offset:712
	buffer_load_dword v83, off, s[0:3], 0 offset:704
	buffer_load_dword v19, off, s[0:3], 0 offset:696
	buffer_load_dword v118, off, s[0:3], 0 offset:676
	ds_read_b128 v[9:12], v70 offset:1472
	s_waitcnt vmcnt(57) lgkmcnt(1)
	v_mul_f64 v[127:128], v[1:2], v[29:30]
	v_mul_f64 v[29:30], v[3:4], v[29:30]
	s_waitcnt vmcnt(56)
	v_fma_f64 v[45:46], v[5:6], v[71:72], -v[45:46]
	v_add_f64 v[15:16], v[15:16], v[23:24]
	v_fma_f64 v[23:24], v[7:8], v[71:72], v[77:78]
	v_add_f64 v[13:14], v[13:14], v[31:32]
	s_clause 0x2
	buffer_load_dword v38, off, s[0:3], 0 offset:716
	buffer_load_dword v32, off, s[0:3], 0 offset:692
	;; [unrolled: 1-line block ×3, first 2 shown]
	s_waitcnt vmcnt(58) lgkmcnt(0)
	v_mul_f64 v[71:72], v[9:10], v[51:52]
	v_mul_f64 v[51:52], v[11:12], v[51:52]
	ds_read_b128 v[5:8], v70 offset:1488
	s_waitcnt vmcnt(56)
	v_fma_f64 v[29:30], v[1:2], v[41:42], -v[29:30]
	v_fma_f64 v[41:42], v[3:4], v[41:42], v[127:128]
	v_add_f64 v[15:16], v[15:16], v[45:46]
	v_add_f64 v[13:14], v[13:14], v[23:24]
	s_clause 0x4
	buffer_load_dword v24, off, s[0:3], 0 offset:732
	buffer_load_dword v45, off, s[0:3], 0 offset:744
	buffer_load_dword v77, off, s[0:3], 0 offset:736
	buffer_load_dword v23, off, s[0:3], 0 offset:728
	buffer_load_dword v84, off, s[0:3], 0 offset:708
	ds_read_b128 v[1:4], v70 offset:1504
	s_waitcnt vmcnt(57) lgkmcnt(1)
	v_mul_f64 v[127:128], v[5:6], v[35:36]
	v_mul_f64 v[35:36], v[7:8], v[35:36]
	s_waitcnt vmcnt(56)
	v_fma_f64 v[51:52], v[9:10], v[53:54], -v[51:52]
	v_add_f64 v[15:16], v[15:16], v[29:30]
	v_fma_f64 v[29:30], v[11:12], v[53:54], v[71:72]
	v_add_f64 v[13:14], v[13:14], v[41:42]
	s_clause 0x2
	buffer_load_dword v46, off, s[0:3], 0 offset:748
	buffer_load_dword v42, off, s[0:3], 0 offset:724
	buffer_load_dword v41, off, s[0:3], 0 offset:720
	ds_read_b128 v[9:12], v70 offset:1520
	s_waitcnt vmcnt(58) lgkmcnt(1)
	v_mul_f64 v[53:54], v[1:2], v[59:60]
	v_mul_f64 v[59:60], v[3:4], v[59:60]
	s_waitcnt vmcnt(56)
	v_fma_f64 v[35:36], v[5:6], v[39:40], -v[35:36]
	v_fma_f64 v[39:40], v[7:8], v[39:40], v[127:128]
	v_add_f64 v[15:16], v[15:16], v[51:52]
	v_add_f64 v[13:14], v[13:14], v[29:30]
	s_clause 0x4
	buffer_load_dword v30, off, s[0:3], 0 offset:764
	buffer_load_dword v51, off, s[0:3], 0 offset:776
	buffer_load_dword v71, off, s[0:3], 0 offset:768
	buffer_load_dword v29, off, s[0:3], 0 offset:760
	buffer_load_dword v78, off, s[0:3], 0 offset:740
	ds_read_b128 v[5:8], v70 offset:1536
	s_waitcnt vmcnt(57) lgkmcnt(1)
	v_mul_f64 v[127:128], v[9:10], v[43:44]
	v_mul_f64 v[43:44], v[11:12], v[43:44]
	s_waitcnt vmcnt(56)
	v_fma_f64 v[59:60], v[1:2], v[61:62], -v[59:60]
	v_add_f64 v[15:16], v[15:16], v[35:36]
	v_fma_f64 v[35:36], v[3:4], v[61:62], v[53:54]
	v_add_f64 v[13:14], v[13:14], v[39:40]
	s_clause 0x2
	buffer_load_dword v52, off, s[0:3], 0 offset:780
	buffer_load_dword v40, off, s[0:3], 0 offset:756
	buffer_load_dword v39, off, s[0:3], 0 offset:752
	ds_read_b128 v[1:4], v70 offset:1552
	s_waitcnt vmcnt(58) lgkmcnt(1)
	v_mul_f64 v[61:62], v[7:8], v[65:66]
	v_mul_f64 v[53:54], v[5:6], v[65:66]
	;; [unrolled: 28-line block ×4, first 2 shown]
	s_waitcnt vmcnt(56)
	v_fma_f64 v[57:58], v[5:6], v[63:64], -v[57:58]
	v_add_f64 v[15:16], v[15:16], v[55:56]
	v_fma_f64 v[55:56], v[7:8], v[63:64], v[127:128]
	v_add_f64 v[13:14], v[13:14], v[49:50]
	s_clause 0x4
	buffer_load_dword v50, off, s[0:3], 0 offset:860
	buffer_load_dword v63, off, s[0:3], 0 offset:872
	;; [unrolled: 1-line block ×5, first 2 shown]
	ds_read_b128 v[5:8], v70 offset:1632
	s_waitcnt vmcnt(57) lgkmcnt(1)
	v_mul_f64 v[127:128], v[9:10], v[21:22]
	v_mul_f64 v[21:22], v[11:12], v[21:22]
	s_waitcnt vmcnt(56)
	v_fma_f64 v[73:74], v[1:2], v[119:120], -v[73:74]
	v_fma_f64 v[53:54], v[3:4], v[119:120], v[53:54]
	v_add_f64 v[15:16], v[15:16], v[57:58]
	v_add_f64 v[13:14], v[13:14], v[55:56]
	s_clause 0x2
	buffer_load_dword v64, off, s[0:3], 0 offset:876
	buffer_load_dword v56, off, s[0:3], 0 offset:852
	buffer_load_dword v55, off, s[0:3], 0 offset:848
	ds_read_b128 v[1:4], v70 offset:1648
	s_waitcnt vmcnt(58) lgkmcnt(1)
	v_mul_f64 v[57:58], v[5:6], v[81:82]
	v_mul_f64 v[81:82], v[7:8], v[81:82]
	s_waitcnt vmcnt(56)
	v_fma_f64 v[21:22], v[9:10], v[27:28], -v[21:22]
	v_fma_f64 v[27:28], v[11:12], v[27:28], v[127:128]
	v_add_f64 v[15:16], v[15:16], v[73:74]
	v_add_f64 v[13:14], v[13:14], v[53:54]
	s_clause 0x4
	buffer_load_dword v54, off, s[0:3], 0 offset:892
	buffer_load_dword v73, off, s[0:3], 0 offset:904
	buffer_load_dword v119, off, s[0:3], 0 offset:896
	buffer_load_dword v53, off, s[0:3], 0 offset:888
	buffer_load_dword v80, off, s[0:3], 0 offset:868
	ds_read_b128 v[9:12], v70 offset:1664
	s_waitcnt vmcnt(57) lgkmcnt(1)
	v_mul_f64 v[127:128], v[1:2], v[33:34]
	v_mul_f64 v[33:34], v[3:4], v[33:34]
	s_waitcnt vmcnt(56)
	v_fma_f64 v[81:82], v[5:6], v[125:126], -v[81:82]
	v_add_f64 v[15:16], v[15:16], v[21:22]
	v_fma_f64 v[21:22], v[7:8], v[125:126], v[57:58]
	v_add_f64 v[13:14], v[13:14], v[27:28]
	s_clause 0x2
	buffer_load_dword v74, off, s[0:3], 0 offset:908
	buffer_load_dword v28, off, s[0:3], 0 offset:884
	buffer_load_dword v27, off, s[0:3], 0 offset:880
	ds_read_b128 v[5:8], v70 offset:1680
	s_waitcnt vmcnt(58) lgkmcnt(1)
	v_mul_f64 v[57:58], v[9:10], v[75:76]
	v_mul_f64 v[75:76], v[11:12], v[75:76]
	s_waitcnt vmcnt(56)
	v_fma_f64 v[33:34], v[1:2], v[25:26], -v[33:34]
	v_fma_f64 v[25:26], v[3:4], v[25:26], v[127:128]
	v_add_f64 v[15:16], v[15:16], v[81:82]
	v_add_f64 v[13:14], v[13:14], v[21:22]
	s_clause 0x4
	buffer_load_dword v22, off, s[0:3], 0 offset:924
	buffer_load_dword v81, off, s[0:3], 0 offset:936
	buffer_load_dword v125, off, s[0:3], 0 offset:928
	buffer_load_dword v21, off, s[0:3], 0 offset:920
	buffer_load_dword v120, off, s[0:3], 0 offset:900
	ds_read_b128 v[1:4], v70 offset:1696
	s_waitcnt vmcnt(57) lgkmcnt(1)
	v_mul_f64 v[126:127], v[5:6], v[19:20]
	v_mul_f64 v[19:20], v[7:8], v[19:20]
	s_waitcnt vmcnt(56)
	v_fma_f64 v[75:76], v[9:10], v[117:118], -v[75:76]
	v_add_f64 v[15:16], v[15:16], v[33:34]
	v_fma_f64 v[33:34], v[11:12], v[117:118], v[57:58]
	;; [unrolled: 28-line block ×3, first 2 shown]
	v_add_f64 v[13:14], v[13:14], v[31:32]
	s_clause 0x2
	buffer_load_dword v76, off, s[0:3], 0 offset:972
	buffer_load_dword v32, off, s[0:3], 0 offset:948
	;; [unrolled: 1-line block ×3, first 2 shown]
	ds_read_b128 v[1:4], v70 offset:1744
	s_waitcnt vmcnt(58) lgkmcnt(1)
	v_mul_f64 v[57:58], v[5:6], v[45:46]
	v_mul_f64 v[45:46], v[7:8], v[45:46]
	s_waitcnt vmcnt(56)
	v_fma_f64 v[23:24], v[9:10], v[41:42], -v[23:24]
	v_add_f64 v[15:16], v[15:16], v[37:38]
	v_fma_f64 v[37:38], v[11:12], v[41:42], v[127:128]
	v_add_f64 v[13:14], v[13:14], v[19:20]
	s_clause 0x4
	buffer_load_dword v20, off, s[0:3], 0 offset:988
	buffer_load_dword v41, off, s[0:3], 0 offset:1000
	;; [unrolled: 1-line block ×5, first 2 shown]
	ds_read_b128 v[9:12], v70 offset:1760
	s_waitcnt vmcnt(57) lgkmcnt(1)
	v_mul_f64 v[127:128], v[1:2], v[29:30]
	v_mul_f64 v[29:30], v[3:4], v[29:30]
	s_waitcnt vmcnt(56)
	v_fma_f64 v[45:46], v[5:6], v[77:78], -v[45:46]
	v_add_f64 v[15:16], v[15:16], v[23:24]
	v_fma_f64 v[23:24], v[7:8], v[77:78], v[57:58]
	v_add_f64 v[13:14], v[13:14], v[37:38]
	s_clause 0x2
	buffer_load_dword v42, off, s[0:3], 0 offset:1004
	buffer_load_dword v38, off, s[0:3], 0 offset:980
	;; [unrolled: 1-line block ×3, first 2 shown]
	ds_read_b128 v[5:8], v70 offset:1776
	s_waitcnt vmcnt(58) lgkmcnt(1)
	v_mul_f64 v[57:58], v[9:10], v[51:52]
	v_mul_f64 v[51:52], v[11:12], v[51:52]
	s_waitcnt vmcnt(56)
	v_fma_f64 v[29:30], v[1:2], v[39:40], -v[29:30]
	v_fma_f64 v[39:40], v[3:4], v[39:40], v[127:128]
	v_add_f64 v[15:16], v[15:16], v[45:46]
	v_add_f64 v[13:14], v[13:14], v[23:24]
	s_clause 0x2
	buffer_load_dword v24, off, s[0:3], 0 offset:1020
	buffer_load_dword v23, off, s[0:3], 0 offset:1016
	;; [unrolled: 1-line block ×3, first 2 shown]
	ds_read_b128 v[1:4], v70 offset:1792
	s_waitcnt vmcnt(55) lgkmcnt(1)
	v_mul_f64 v[45:46], v[5:6], v[35:36]
	v_mul_f64 v[35:36], v[7:8], v[35:36]
	s_waitcnt vmcnt(54)
	v_fma_f64 v[51:52], v[9:10], v[71:72], -v[51:52]
	v_add_f64 v[15:16], v[15:16], v[29:30]
	v_fma_f64 v[29:30], v[11:12], v[71:72], v[57:58]
	v_add_f64 v[13:14], v[13:14], v[39:40]
	s_clause 0x1
	buffer_load_dword v40, off, s[0:3], 0 offset:1012
	buffer_load_dword v39, off, s[0:3], 0 offset:1008
	ds_read_b128 v[9:12], v70 offset:1808
	s_waitcnt vmcnt(55) lgkmcnt(1)
	v_mul_f64 v[57:58], v[1:2], v[59:60]
	v_mul_f64 v[59:60], v[3:4], v[59:60]
	s_waitcnt vmcnt(53)
	v_fma_f64 v[35:36], v[5:6], v[47:48], -v[35:36]
	v_fma_f64 v[45:46], v[7:8], v[47:48], v[45:46]
	ds_read_b128 v[5:8], v70 offset:1824
	v_add_f64 v[15:16], v[15:16], v[51:52]
	v_add_f64 v[13:14], v[13:14], v[29:30]
	s_waitcnt vmcnt(49) lgkmcnt(1)
	v_mul_f64 v[29:30], v[9:10], v[43:44]
	v_mul_f64 v[43:44], v[11:12], v[43:44]
	s_waitcnt vmcnt(48)
	v_fma_f64 v[47:48], v[1:2], v[65:66], -v[59:60]
	v_add_f64 v[15:16], v[15:16], v[35:36]
	v_fma_f64 v[35:36], v[3:4], v[65:66], v[57:58]
	v_add_f64 v[13:14], v[13:14], v[45:46]
	s_clause 0x3
	buffer_load_dword v45, off, s[0:3], 0 offset:48
	buffer_load_dword v46, off, s[0:3], 0 offset:52
	;; [unrolled: 1-line block ×4, first 2 shown]
	ds_read_b128 v[1:4], v70 offset:1840
	s_waitcnt vmcnt(51) lgkmcnt(1)
	v_mul_f64 v[59:60], v[7:8], v[61:62]
	v_mul_f64 v[57:58], v[5:6], v[61:62]
	s_waitcnt vmcnt(49)
	v_fma_f64 v[43:44], v[9:10], v[17:18], -v[43:44]
	v_fma_f64 v[17:18], v[11:12], v[17:18], v[29:30]
	ds_read_b128 v[9:12], v70 offset:1856
	v_add_f64 v[15:16], v[15:16], v[47:48]
	v_add_f64 v[13:14], v[13:14], v[35:36]
	s_waitcnt vmcnt(45) lgkmcnt(1)
	v_mul_f64 v[35:36], v[3:4], v[49:50]
	s_waitcnt vmcnt(44)
	v_fma_f64 v[47:48], v[5:6], v[67:68], -v[59:60]
	v_mul_f64 v[29:30], v[1:2], v[49:50]
	v_add_f64 v[15:16], v[15:16], v[43:44]
	v_fma_f64 v[43:44], v[7:8], v[67:68], v[57:58]
	v_add_f64 v[13:14], v[13:14], v[17:18]
	ds_read_b128 v[5:8], v70 offset:1872
	s_waitcnt vmcnt(43) lgkmcnt(1)
	v_mul_f64 v[49:50], v[11:12], v[63:64]
	v_mul_f64 v[17:18], v[9:10], v[63:64]
	s_waitcnt vmcnt(41)
	v_fma_f64 v[35:36], v[1:2], v[55:56], -v[35:36]
	v_fma_f64 v[29:30], v[3:4], v[55:56], v[29:30]
	ds_read_b128 v[1:4], v70 offset:1888
	v_add_f64 v[15:16], v[15:16], v[47:48]
	v_add_f64 v[13:14], v[13:14], v[43:44]
	s_waitcnt vmcnt(37) lgkmcnt(1)
	v_mul_f64 v[47:48], v[7:8], v[53:54]
	s_waitcnt vmcnt(36)
	v_fma_f64 v[49:50], v[9:10], v[79:80], -v[49:50]
	v_mul_f64 v[43:44], v[5:6], v[53:54]
	v_fma_f64 v[17:18], v[11:12], v[79:80], v[17:18]
	ds_read_b128 v[9:12], v70 offset:1904
	v_add_f64 v[15:16], v[15:16], v[35:36]
	v_add_f64 v[13:14], v[13:14], v[29:30]
	s_waitcnt vmcnt(35) lgkmcnt(1)
	v_mul_f64 v[35:36], v[3:4], v[73:74]
	v_mul_f64 v[29:30], v[1:2], v[73:74]
	s_waitcnt vmcnt(33)
	v_fma_f64 v[47:48], v[5:6], v[27:28], -v[47:48]
	v_fma_f64 v[27:28], v[7:8], v[27:28], v[43:44]
	ds_read_b128 v[5:8], v70 offset:1920
	v_add_f64 v[15:16], v[15:16], v[49:50]
	v_add_f64 v[13:14], v[13:14], v[17:18]
	s_waitcnt vmcnt(29) lgkmcnt(1)
	v_mul_f64 v[17:18], v[9:10], v[21:22]
	v_mul_f64 v[21:22], v[11:12], v[21:22]
	s_waitcnt vmcnt(28)
	v_fma_f64 v[35:36], v[1:2], v[119:120], -v[35:36]
	;; [unrolled: 9-line block ×4, first 2 shown]
	v_add_f64 v[15:16], v[15:16], v[21:22]
	v_fma_f64 v[21:22], v[7:8], v[125:126], v[27:28]
	v_add_f64 v[13:14], v[13:14], v[17:18]
	ds_read_b128 v[5:8], v70 offset:1968
	s_waitcnt vmcnt(19) lgkmcnt(1)
	v_mul_f64 v[27:28], v[11:12], v[75:76]
	v_mul_f64 v[17:18], v[9:10], v[75:76]
	s_waitcnt vmcnt(17)
	v_fma_f64 v[29:30], v[1:2], v[31:32], -v[29:30]
	v_fma_f64 v[25:26], v[3:4], v[31:32], v[25:26]
	ds_read_b128 v[1:4], v70 offset:1984
	v_add_f64 v[15:16], v[15:16], v[33:34]
	v_add_f64 v[13:14], v[13:14], v[21:22]
	s_waitcnt vmcnt(13) lgkmcnt(1)
	v_mul_f64 v[21:22], v[5:6], v[19:20]
	v_mul_f64 v[19:20], v[7:8], v[19:20]
	s_waitcnt vmcnt(12)
	v_fma_f64 v[27:28], v[9:10], v[117:118], -v[27:28]
	v_fma_f64 v[17:18], v[11:12], v[117:118], v[17:18]
	ds_read_b128 v[9:12], v70 offset:2000
	v_add_f64 v[15:16], v[15:16], v[29:30]
	v_add_f64 v[13:14], v[13:14], v[25:26]
	s_waitcnt vmcnt(11) lgkmcnt(1)
	v_mul_f64 v[29:30], v[3:4], v[41:42]
	v_mul_f64 v[25:26], v[1:2], v[41:42]
	s_waitcnt vmcnt(9)
	v_fma_f64 v[5:6], v[5:6], v[37:38], -v[19:20]
	v_fma_f64 v[7:8], v[7:8], v[37:38], v[21:22]
	v_add_f64 v[15:16], v[15:16], v[27:28]
	v_add_f64 v[13:14], v[13:14], v[17:18]
	s_waitcnt vmcnt(7) lgkmcnt(0)
	v_mul_f64 v[19:20], v[11:12], v[23:24]
	s_waitcnt vmcnt(6)
	v_fma_f64 v[1:2], v[1:2], v[83:84], -v[29:30]
	v_mul_f64 v[17:18], v[9:10], v[23:24]
	v_fma_f64 v[3:4], v[3:4], v[83:84], v[25:26]
	v_add_f64 v[5:6], v[15:16], v[5:6]
	v_add_f64 v[7:8], v[13:14], v[7:8]
	s_waitcnt vmcnt(4)
	v_fma_f64 v[9:10], v[9:10], v[39:40], -v[19:20]
	v_add_f64 v[1:2], v[5:6], v[1:2]
	v_fma_f64 v[5:6], v[11:12], v[39:40], v[17:18]
	v_add_f64 v[3:4], v[7:8], v[3:4]
	v_add_f64 v[1:2], v[1:2], v[9:10]
	v_add_f64 v[3:4], v[3:4], v[5:6]
	s_waitcnt vmcnt(2)
	v_add_f64 v[1:2], v[45:46], -v[1:2]
	s_waitcnt vmcnt(0)
	v_add_f64 v[3:4], v[51:52], -v[3:4]
	buffer_store_dword v2, off, s[0:3], 0 offset:52
	buffer_store_dword v1, off, s[0:3], 0 offset:48
	buffer_store_dword v4, off, s[0:3], 0 offset:60
	buffer_store_dword v3, off, s[0:3], 0 offset:56
	v_cmpx_lt_u32_e32 1, v0
	s_cbranch_execz .LBB62_401
; %bb.400:
	v_mov_b32_e32 v4, s65
	v_mov_b32_e32 v5, 0
	s_clause 0x3
	buffer_load_dword v1, v4, s[0:3], 0 offen
	buffer_load_dword v2, v4, s[0:3], 0 offen offset:4
	buffer_load_dword v3, v4, s[0:3], 0 offen offset:8
	;; [unrolled: 1-line block ×3, first 2 shown]
	buffer_store_dword v5, off, s[0:3], 0 offset:32
	buffer_store_dword v5, off, s[0:3], 0 offset:36
	buffer_store_dword v5, off, s[0:3], 0 offset:40
	buffer_store_dword v5, off, s[0:3], 0 offset:44
	s_waitcnt vmcnt(0)
	ds_write_b128 v69, v[1:4]
.LBB62_401:
	s_or_b32 exec_lo, exec_lo, s4
	s_waitcnt lgkmcnt(0)
	s_waitcnt_vscnt null, 0x0
	s_barrier
	buffer_gl0_inv
	s_clause 0x37
	buffer_load_dword v17, off, s[0:3], 0 offset:56
	buffer_load_dword v18, off, s[0:3], 0 offset:60
	;; [unrolled: 1-line block ×56, first 2 shown]
	v_mov_b32_e32 v70, 0
	s_mov_b32 s4, exec_lo
	ds_read_b128 v[5:8], v70 offset:1040
	s_clause 0x2
	buffer_load_dword v66, off, s[0:3], 0 offset:284
	buffer_load_dword v68, off, s[0:3], 0 offset:260
	;; [unrolled: 1-line block ×3, first 2 shown]
	ds_read_b128 v[1:4], v70 offset:1056
	s_clause 0x4
	buffer_load_dword v78, off, s[0:3], 0 offset:300
	buffer_load_dword v79, off, s[0:3], 0 offset:312
	;; [unrolled: 1-line block ×5, first 2 shown]
	ds_read_b128 v[71:74], v70 offset:1072
	s_waitcnt vmcnt(62) lgkmcnt(2)
	v_mul_f64 v[75:76], v[7:8], v[17:18]
	v_mul_f64 v[17:18], v[5:6], v[17:18]
	s_waitcnt vmcnt(60) lgkmcnt(1)
	v_mul_f64 v[82:83], v[3:4], v[13:14]
	v_mul_f64 v[13:14], v[1:2], v[13:14]
	;; [unrolled: 3-line block ×3, first 2 shown]
	v_fma_f64 v[75:76], v[5:6], v[15:16], -v[75:76]
	v_fma_f64 v[15:16], v[7:8], v[15:16], v[17:18]
	s_clause 0x2
	buffer_load_dword v80, off, s[0:3], 0 offset:316
	buffer_load_dword v18, off, s[0:3], 0 offset:292
	;; [unrolled: 1-line block ×3, first 2 shown]
	s_waitcnt vmcnt(57)
	v_fma_f64 v[83:84], v[1:2], v[9:10], -v[82:83]
	ds_read_b128 v[5:8], v70 offset:1088
	v_fma_f64 v[9:10], v[3:4], v[9:10], v[13:14]
	s_waitcnt vmcnt(51)
	v_fma_f64 v[71:72], v[71:72], v[33:34], -v[11:12]
	v_fma_f64 v[33:34], v[73:74], v[33:34], v[117:118]
	v_add_f64 v[75:76], v[75:76], 0
	v_add_f64 v[13:14], v[15:16], 0
	s_clause 0x4
	buffer_load_dword v16, off, s[0:3], 0 offset:332
	buffer_load_dword v119, off, s[0:3], 0 offset:344
	;; [unrolled: 1-line block ×5, first 2 shown]
	s_waitcnt lgkmcnt(0)
	v_mul_f64 v[126:127], v[5:6], v[21:22]
	v_mul_f64 v[21:22], v[7:8], v[21:22]
	ds_read_b128 v[1:4], v70 offset:1104
	s_clause 0x2
	buffer_load_dword v120, off, s[0:3], 0 offset:348
	buffer_load_dword v74, off, s[0:3], 0 offset:324
	buffer_load_dword v73, off, s[0:3], 0 offset:320
	v_add_f64 v[75:76], v[75:76], v[83:84]
	v_add_f64 v[13:14], v[13:14], v[9:10]
	ds_read_b128 v[9:12], v70 offset:1120
	s_waitcnt vmcnt(58) lgkmcnt(1)
	v_mul_f64 v[83:84], v[1:2], v[25:26]
	v_mul_f64 v[25:26], v[3:4], v[25:26]
	s_waitcnt vmcnt(56)
	v_fma_f64 v[21:22], v[5:6], v[27:28], -v[21:22]
	v_fma_f64 v[27:28], v[7:8], v[27:28], v[126:127]
	s_waitcnt vmcnt(52) lgkmcnt(0)
	v_mul_f64 v[127:128], v[9:10], v[29:30]
	v_add_f64 v[71:72], v[75:76], v[71:72]
	v_add_f64 v[13:14], v[13:14], v[33:34]
	s_clause 0x4
	buffer_load_dword v34, off, s[0:3], 0 offset:364
	buffer_load_dword v75, off, s[0:3], 0 offset:376
	;; [unrolled: 1-line block ×5, first 2 shown]
	v_mul_f64 v[29:30], v[11:12], v[29:30]
	s_waitcnt vmcnt(56)
	v_fma_f64 v[25:26], v[1:2], v[19:20], -v[25:26]
	ds_read_b128 v[5:8], v70 offset:1136
	v_fma_f64 v[19:20], v[3:4], v[19:20], v[83:84]
	v_add_f64 v[21:22], v[71:72], v[21:22]
	v_add_f64 v[13:14], v[13:14], v[27:28]
	s_clause 0x2
	buffer_load_dword v76, off, s[0:3], 0 offset:380
	buffer_load_dword v28, off, s[0:3], 0 offset:356
	;; [unrolled: 1-line block ×3, first 2 shown]
	s_waitcnt vmcnt(58) lgkmcnt(0)
	v_mul_f64 v[71:72], v[5:6], v[35:36]
	v_mul_f64 v[35:36], v[7:8], v[35:36]
	s_waitcnt vmcnt(56)
	v_fma_f64 v[29:30], v[9:10], v[37:38], -v[29:30]
	ds_read_b128 v[1:4], v70 offset:1152
	v_add_f64 v[21:22], v[21:22], v[25:26]
	v_fma_f64 v[25:26], v[11:12], v[37:38], v[127:128]
	v_add_f64 v[13:14], v[13:14], v[19:20]
	s_clause 0x4
	buffer_load_dword v20, off, s[0:3], 0 offset:396
	buffer_load_dword v37, off, s[0:3], 0 offset:408
	;; [unrolled: 1-line block ×5, first 2 shown]
	s_waitcnt vmcnt(57) lgkmcnt(0)
	v_mul_f64 v[127:128], v[1:2], v[39:40]
	v_mul_f64 v[39:40], v[3:4], v[39:40]
	s_waitcnt vmcnt(56)
	v_fma_f64 v[35:36], v[5:6], v[23:24], -v[35:36]
	ds_read_b128 v[9:12], v70 offset:1168
	v_fma_f64 v[23:24], v[7:8], v[23:24], v[71:72]
	v_add_f64 v[21:22], v[21:22], v[29:30]
	v_add_f64 v[13:14], v[13:14], v[25:26]
	s_clause 0x2
	buffer_load_dword v38, off, s[0:3], 0 offset:412
	buffer_load_dword v26, off, s[0:3], 0 offset:388
	buffer_load_dword v25, off, s[0:3], 0 offset:384
	ds_read_b128 v[5:8], v70 offset:1184
	s_waitcnt vmcnt(58) lgkmcnt(1)
	v_mul_f64 v[29:30], v[9:10], v[43:44]
	v_mul_f64 v[43:44], v[11:12], v[43:44]
	s_waitcnt vmcnt(56)
	v_fma_f64 v[39:40], v[1:2], v[45:46], -v[39:40]
	v_add_f64 v[21:22], v[21:22], v[35:36]
	v_fma_f64 v[35:36], v[3:4], v[45:46], v[127:128]
	v_add_f64 v[13:14], v[13:14], v[23:24]
	s_clause 0x4
	buffer_load_dword v24, off, s[0:3], 0 offset:428
	buffer_load_dword v45, off, s[0:3], 0 offset:440
	;; [unrolled: 1-line block ×5, first 2 shown]
	s_waitcnt vmcnt(57) lgkmcnt(0)
	v_mul_f64 v[127:128], v[5:6], v[47:48]
	v_mul_f64 v[47:48], v[7:8], v[47:48]
	s_waitcnt vmcnt(56)
	v_fma_f64 v[43:44], v[9:10], v[31:32], -v[43:44]
	ds_read_b128 v[1:4], v70 offset:1200
	v_fma_f64 v[29:30], v[11:12], v[31:32], v[29:30]
	s_clause 0x2
	buffer_load_dword v46, off, s[0:3], 0 offset:444
	buffer_load_dword v32, off, s[0:3], 0 offset:420
	;; [unrolled: 1-line block ×3, first 2 shown]
	ds_read_b128 v[9:12], v70 offset:1216
	v_add_f64 v[21:22], v[21:22], v[39:40]
	v_add_f64 v[13:14], v[13:14], v[35:36]
	s_waitcnt vmcnt(58) lgkmcnt(1)
	v_mul_f64 v[39:40], v[3:4], v[51:52]
	s_waitcnt vmcnt(56)
	v_fma_f64 v[47:48], v[5:6], v[53:54], -v[47:48]
	v_mul_f64 v[35:36], v[1:2], v[51:52]
	v_add_f64 v[21:22], v[21:22], v[43:44]
	v_fma_f64 v[43:44], v[7:8], v[53:54], v[127:128]
	v_add_f64 v[13:14], v[13:14], v[29:30]
	s_clause 0x4
	buffer_load_dword v30, off, s[0:3], 0 offset:460
	buffer_load_dword v51, off, s[0:3], 0 offset:472
	;; [unrolled: 1-line block ×5, first 2 shown]
	s_waitcnt vmcnt(57) lgkmcnt(0)
	v_mul_f64 v[127:128], v[9:10], v[55:56]
	v_mul_f64 v[54:55], v[11:12], v[55:56]
	s_waitcnt vmcnt(56)
	v_fma_f64 v[39:40], v[1:2], v[41:42], -v[39:40]
	ds_read_b128 v[5:8], v70 offset:1232
	v_fma_f64 v[35:36], v[3:4], v[41:42], v[35:36]
	s_clause 0x2
	buffer_load_dword v52, off, s[0:3], 0 offset:476
	buffer_load_dword v42, off, s[0:3], 0 offset:452
	;; [unrolled: 1-line block ×3, first 2 shown]
	ds_read_b128 v[1:4], v70 offset:1248
	v_add_f64 v[21:22], v[21:22], v[47:48]
	v_add_f64 v[13:14], v[13:14], v[43:44]
	s_waitcnt vmcnt(58) lgkmcnt(1)
	v_mul_f64 v[47:48], v[7:8], v[59:60]
	s_waitcnt vmcnt(56)
	v_fma_f64 v[55:56], v[9:10], v[61:62], -v[54:55]
	v_mul_f64 v[43:44], v[5:6], v[59:60]
	v_add_f64 v[21:22], v[21:22], v[39:40]
	v_fma_f64 v[39:40], v[11:12], v[61:62], v[127:128]
	v_add_f64 v[13:14], v[13:14], v[35:36]
	s_clause 0x4
	buffer_load_dword v36, off, s[0:3], 0 offset:492
	buffer_load_dword v59, off, s[0:3], 0 offset:504
	;; [unrolled: 1-line block ×5, first 2 shown]
	s_waitcnt vmcnt(57) lgkmcnt(0)
	v_mul_f64 v[127:128], v[1:2], v[63:64]
	v_mul_f64 v[62:63], v[3:4], v[63:64]
	s_waitcnt vmcnt(56)
	v_fma_f64 v[47:48], v[5:6], v[49:50], -v[47:48]
	ds_read_b128 v[9:12], v70 offset:1264
	v_fma_f64 v[43:44], v[7:8], v[49:50], v[43:44]
	v_add_f64 v[21:22], v[21:22], v[55:56]
	v_add_f64 v[13:14], v[13:14], v[39:40]
	s_clause 0x2
	buffer_load_dword v60, off, s[0:3], 0 offset:508
	buffer_load_dword v40, off, s[0:3], 0 offset:484
	;; [unrolled: 1-line block ×3, first 2 shown]
	ds_read_b128 v[5:8], v70 offset:1280
	s_waitcnt vmcnt(58) lgkmcnt(1)
	v_mul_f64 v[55:56], v[11:12], v[65:66]
	s_waitcnt vmcnt(56)
	v_fma_f64 v[63:64], v[1:2], v[67:68], -v[62:63]
	v_mul_f64 v[49:50], v[9:10], v[65:66]
	v_add_f64 v[21:22], v[21:22], v[47:48]
	v_fma_f64 v[47:48], v[3:4], v[67:68], v[127:128]
	v_add_f64 v[13:14], v[13:14], v[43:44]
	s_clause 0x4
	buffer_load_dword v44, off, s[0:3], 0 offset:524
	buffer_load_dword v65, off, s[0:3], 0 offset:536
	;; [unrolled: 1-line block ×5, first 2 shown]
	s_waitcnt vmcnt(57) lgkmcnt(0)
	v_mul_f64 v[127:128], v[5:6], v[77:78]
	v_mul_f64 v[77:78], v[7:8], v[77:78]
	s_waitcnt vmcnt(56)
	v_fma_f64 v[55:56], v[9:10], v[57:58], -v[55:56]
	ds_read_b128 v[1:4], v70 offset:1296
	v_fma_f64 v[49:50], v[11:12], v[57:58], v[49:50]
	v_add_f64 v[21:22], v[21:22], v[63:64]
	v_add_f64 v[13:14], v[13:14], v[47:48]
	s_clause 0x2
	buffer_load_dword v66, off, s[0:3], 0 offset:540
	buffer_load_dword v48, off, s[0:3], 0 offset:516
	;; [unrolled: 1-line block ×3, first 2 shown]
	ds_read_b128 v[9:12], v70 offset:1312
	s_waitcnt vmcnt(58) lgkmcnt(1)
	v_mul_f64 v[63:64], v[3:4], v[79:80]
	v_mul_f64 v[57:58], v[1:2], v[79:80]
	s_waitcnt vmcnt(56)
	v_fma_f64 v[77:78], v[5:6], v[17:18], -v[77:78]
	v_fma_f64 v[17:18], v[7:8], v[17:18], v[127:128]
	v_add_f64 v[21:22], v[21:22], v[55:56]
	v_add_f64 v[13:14], v[13:14], v[49:50]
	s_clause 0x4
	buffer_load_dword v50, off, s[0:3], 0 offset:556
	buffer_load_dword v55, off, s[0:3], 0 offset:568
	;; [unrolled: 1-line block ×5, first 2 shown]
	ds_read_b128 v[5:8], v70 offset:1328
	s_waitcnt vmcnt(57) lgkmcnt(1)
	v_mul_f64 v[127:128], v[9:10], v[15:16]
	v_mul_f64 v[15:16], v[11:12], v[15:16]
	s_waitcnt vmcnt(56)
	v_fma_f64 v[63:64], v[1:2], v[81:82], -v[63:64]
	v_fma_f64 v[57:58], v[3:4], v[81:82], v[57:58]
	v_add_f64 v[21:22], v[21:22], v[77:78]
	v_add_f64 v[13:14], v[13:14], v[17:18]
	s_clause 0x2
	buffer_load_dword v56, off, s[0:3], 0 offset:572
	buffer_load_dword v18, off, s[0:3], 0 offset:548
	buffer_load_dword v17, off, s[0:3], 0 offset:544
	s_waitcnt vmcnt(58) lgkmcnt(0)
	v_mul_f64 v[81:82], v[7:8], v[119:120]
	ds_read_b128 v[1:4], v70 offset:1344
	v_mul_f64 v[77:78], v[5:6], v[119:120]
	s_waitcnt vmcnt(56)
	v_fma_f64 v[15:16], v[9:10], v[73:74], -v[15:16]
	v_add_f64 v[21:22], v[21:22], v[63:64]
	v_fma_f64 v[63:64], v[11:12], v[73:74], v[127:128]
	v_add_f64 v[13:14], v[13:14], v[57:58]
	s_clause 0x4
	buffer_load_dword v58, off, s[0:3], 0 offset:588
	buffer_load_dword v73, off, s[0:3], 0 offset:600
	;; [unrolled: 1-line block ×5, first 2 shown]
	ds_read_b128 v[9:12], v70 offset:1360
	s_waitcnt vmcnt(57) lgkmcnt(1)
	v_mul_f64 v[127:128], v[1:2], v[33:34]
	v_mul_f64 v[33:34], v[3:4], v[33:34]
	s_waitcnt vmcnt(56)
	v_fma_f64 v[81:82], v[5:6], v[125:126], -v[81:82]
	v_add_f64 v[15:16], v[21:22], v[15:16]
	v_fma_f64 v[21:22], v[7:8], v[125:126], v[77:78]
	v_add_f64 v[13:14], v[13:14], v[63:64]
	s_clause 0x2
	buffer_load_dword v74, off, s[0:3], 0 offset:604
	buffer_load_dword v64, off, s[0:3], 0 offset:580
	;; [unrolled: 1-line block ×3, first 2 shown]
	ds_read_b128 v[5:8], v70 offset:1376
	s_waitcnt vmcnt(58) lgkmcnt(1)
	v_mul_f64 v[77:78], v[9:10], v[75:76]
	v_mul_f64 v[75:76], v[11:12], v[75:76]
	s_waitcnt vmcnt(56)
	v_fma_f64 v[33:34], v[1:2], v[27:28], -v[33:34]
	v_fma_f64 v[27:28], v[3:4], v[27:28], v[127:128]
	v_add_f64 v[15:16], v[15:16], v[81:82]
	v_add_f64 v[13:14], v[13:14], v[21:22]
	s_clause 0x4
	buffer_load_dword v22, off, s[0:3], 0 offset:620
	buffer_load_dword v81, off, s[0:3], 0 offset:632
	;; [unrolled: 1-line block ×5, first 2 shown]
	ds_read_b128 v[1:4], v70 offset:1392
	s_waitcnt vmcnt(57) lgkmcnt(1)
	v_mul_f64 v[126:127], v[5:6], v[19:20]
	v_mul_f64 v[19:20], v[7:8], v[19:20]
	s_waitcnt vmcnt(56)
	v_fma_f64 v[75:76], v[9:10], v[117:118], -v[75:76]
	v_add_f64 v[15:16], v[15:16], v[33:34]
	v_fma_f64 v[33:34], v[11:12], v[117:118], v[77:78]
	v_add_f64 v[13:14], v[13:14], v[27:28]
	s_clause 0x2
	buffer_load_dword v82, off, s[0:3], 0 offset:636
	buffer_load_dword v28, off, s[0:3], 0 offset:612
	;; [unrolled: 1-line block ×3, first 2 shown]
	ds_read_b128 v[9:12], v70 offset:1408
	s_waitcnt vmcnt(58) lgkmcnt(1)
	v_mul_f64 v[77:78], v[1:2], v[37:38]
	v_mul_f64 v[37:38], v[3:4], v[37:38]
	s_waitcnt vmcnt(56)
	v_fma_f64 v[19:20], v[5:6], v[25:26], -v[19:20]
	v_fma_f64 v[25:26], v[7:8], v[25:26], v[126:127]
	v_add_f64 v[15:16], v[15:16], v[75:76]
	v_add_f64 v[13:14], v[13:14], v[33:34]
	s_clause 0x4
	buffer_load_dword v34, off, s[0:3], 0 offset:652
	buffer_load_dword v75, off, s[0:3], 0 offset:664
	;; [unrolled: 1-line block ×5, first 2 shown]
	ds_read_b128 v[5:8], v70 offset:1424
	s_waitcnt vmcnt(57) lgkmcnt(1)
	v_mul_f64 v[127:128], v[9:10], v[23:24]
	v_mul_f64 v[23:24], v[11:12], v[23:24]
	s_waitcnt vmcnt(56)
	v_fma_f64 v[37:38], v[1:2], v[83:84], -v[37:38]
	v_add_f64 v[15:16], v[15:16], v[19:20]
	v_fma_f64 v[19:20], v[3:4], v[83:84], v[77:78]
	v_add_f64 v[13:14], v[13:14], v[25:26]
	s_clause 0x2
	buffer_load_dword v76, off, s[0:3], 0 offset:668
	buffer_load_dword v26, off, s[0:3], 0 offset:644
	;; [unrolled: 1-line block ×3, first 2 shown]
	s_waitcnt vmcnt(58) lgkmcnt(0)
	v_mul_f64 v[77:78], v[5:6], v[45:46]
	v_mul_f64 v[45:46], v[7:8], v[45:46]
	ds_read_b128 v[1:4], v70 offset:1440
	s_waitcnt vmcnt(56)
	v_fma_f64 v[23:24], v[9:10], v[31:32], -v[23:24]
	v_fma_f64 v[31:32], v[11:12], v[31:32], v[127:128]
	v_add_f64 v[15:16], v[15:16], v[37:38]
	v_add_f64 v[13:14], v[13:14], v[19:20]
	s_clause 0x4
	buffer_load_dword v20, off, s[0:3], 0 offset:684
	buffer_load_dword v37, off, s[0:3], 0 offset:696
	;; [unrolled: 1-line block ×5, first 2 shown]
	ds_read_b128 v[9:12], v70 offset:1456
	s_waitcnt vmcnt(57) lgkmcnt(1)
	v_mul_f64 v[127:128], v[1:2], v[29:30]
	v_mul_f64 v[29:30], v[3:4], v[29:30]
	s_waitcnt vmcnt(56)
	v_fma_f64 v[45:46], v[5:6], v[71:72], -v[45:46]
	v_add_f64 v[15:16], v[15:16], v[23:24]
	v_fma_f64 v[23:24], v[7:8], v[71:72], v[77:78]
	v_add_f64 v[13:14], v[13:14], v[31:32]
	s_clause 0x2
	buffer_load_dword v38, off, s[0:3], 0 offset:700
	buffer_load_dword v32, off, s[0:3], 0 offset:676
	;; [unrolled: 1-line block ×3, first 2 shown]
	s_waitcnt vmcnt(58) lgkmcnt(0)
	v_mul_f64 v[71:72], v[9:10], v[51:52]
	v_mul_f64 v[51:52], v[11:12], v[51:52]
	ds_read_b128 v[5:8], v70 offset:1472
	s_waitcnt vmcnt(56)
	v_fma_f64 v[29:30], v[1:2], v[41:42], -v[29:30]
	v_fma_f64 v[41:42], v[3:4], v[41:42], v[127:128]
	v_add_f64 v[15:16], v[15:16], v[45:46]
	v_add_f64 v[13:14], v[13:14], v[23:24]
	s_clause 0x4
	buffer_load_dword v24, off, s[0:3], 0 offset:716
	buffer_load_dword v45, off, s[0:3], 0 offset:728
	buffer_load_dword v77, off, s[0:3], 0 offset:720
	buffer_load_dword v23, off, s[0:3], 0 offset:712
	buffer_load_dword v84, off, s[0:3], 0 offset:692
	ds_read_b128 v[1:4], v70 offset:1488
	s_waitcnt vmcnt(57) lgkmcnt(1)
	v_mul_f64 v[127:128], v[5:6], v[35:36]
	v_mul_f64 v[35:36], v[7:8], v[35:36]
	s_waitcnt vmcnt(56)
	v_fma_f64 v[51:52], v[9:10], v[53:54], -v[51:52]
	v_add_f64 v[15:16], v[15:16], v[29:30]
	v_fma_f64 v[29:30], v[11:12], v[53:54], v[71:72]
	v_add_f64 v[13:14], v[13:14], v[41:42]
	s_clause 0x2
	buffer_load_dword v46, off, s[0:3], 0 offset:732
	buffer_load_dword v42, off, s[0:3], 0 offset:708
	buffer_load_dword v41, off, s[0:3], 0 offset:704
	ds_read_b128 v[9:12], v70 offset:1504
	s_waitcnt vmcnt(58) lgkmcnt(1)
	v_mul_f64 v[53:54], v[1:2], v[59:60]
	v_mul_f64 v[59:60], v[3:4], v[59:60]
	s_waitcnt vmcnt(56)
	v_fma_f64 v[35:36], v[5:6], v[39:40], -v[35:36]
	v_fma_f64 v[39:40], v[7:8], v[39:40], v[127:128]
	v_add_f64 v[15:16], v[15:16], v[51:52]
	v_add_f64 v[13:14], v[13:14], v[29:30]
	s_clause 0x4
	buffer_load_dword v30, off, s[0:3], 0 offset:748
	buffer_load_dword v51, off, s[0:3], 0 offset:760
	buffer_load_dword v71, off, s[0:3], 0 offset:752
	buffer_load_dword v29, off, s[0:3], 0 offset:744
	buffer_load_dword v78, off, s[0:3], 0 offset:724
	ds_read_b128 v[5:8], v70 offset:1520
	s_waitcnt vmcnt(57) lgkmcnt(1)
	v_mul_f64 v[127:128], v[9:10], v[43:44]
	v_mul_f64 v[43:44], v[11:12], v[43:44]
	s_waitcnt vmcnt(56)
	v_fma_f64 v[59:60], v[1:2], v[61:62], -v[59:60]
	v_add_f64 v[15:16], v[15:16], v[35:36]
	v_fma_f64 v[35:36], v[3:4], v[61:62], v[53:54]
	v_add_f64 v[13:14], v[13:14], v[39:40]
	s_clause 0x2
	buffer_load_dword v52, off, s[0:3], 0 offset:764
	buffer_load_dword v40, off, s[0:3], 0 offset:740
	buffer_load_dword v39, off, s[0:3], 0 offset:736
	ds_read_b128 v[1:4], v70 offset:1536
	s_waitcnt vmcnt(58) lgkmcnt(1)
	v_mul_f64 v[61:62], v[7:8], v[65:66]
	v_mul_f64 v[53:54], v[5:6], v[65:66]
	;; [unrolled: 28-line block ×4, first 2 shown]
	s_waitcnt vmcnt(56)
	v_fma_f64 v[57:58], v[5:6], v[63:64], -v[57:58]
	v_add_f64 v[15:16], v[15:16], v[55:56]
	v_fma_f64 v[55:56], v[7:8], v[63:64], v[127:128]
	v_add_f64 v[13:14], v[13:14], v[49:50]
	s_clause 0x4
	buffer_load_dword v50, off, s[0:3], 0 offset:844
	buffer_load_dword v63, off, s[0:3], 0 offset:856
	;; [unrolled: 1-line block ×5, first 2 shown]
	ds_read_b128 v[5:8], v70 offset:1616
	s_waitcnt vmcnt(57) lgkmcnt(1)
	v_mul_f64 v[127:128], v[9:10], v[21:22]
	v_mul_f64 v[21:22], v[11:12], v[21:22]
	s_waitcnt vmcnt(56)
	v_fma_f64 v[73:74], v[1:2], v[119:120], -v[73:74]
	v_fma_f64 v[53:54], v[3:4], v[119:120], v[53:54]
	v_add_f64 v[15:16], v[15:16], v[57:58]
	v_add_f64 v[13:14], v[13:14], v[55:56]
	s_clause 0x2
	buffer_load_dword v64, off, s[0:3], 0 offset:860
	buffer_load_dword v56, off, s[0:3], 0 offset:836
	buffer_load_dword v55, off, s[0:3], 0 offset:832
	ds_read_b128 v[1:4], v70 offset:1632
	s_waitcnt vmcnt(58) lgkmcnt(1)
	v_mul_f64 v[57:58], v[5:6], v[81:82]
	v_mul_f64 v[81:82], v[7:8], v[81:82]
	s_waitcnt vmcnt(56)
	v_fma_f64 v[21:22], v[9:10], v[27:28], -v[21:22]
	v_fma_f64 v[27:28], v[11:12], v[27:28], v[127:128]
	v_add_f64 v[15:16], v[15:16], v[73:74]
	v_add_f64 v[13:14], v[13:14], v[53:54]
	s_clause 0x4
	buffer_load_dword v54, off, s[0:3], 0 offset:876
	buffer_load_dword v73, off, s[0:3], 0 offset:888
	buffer_load_dword v119, off, s[0:3], 0 offset:880
	buffer_load_dword v53, off, s[0:3], 0 offset:872
	buffer_load_dword v80, off, s[0:3], 0 offset:852
	ds_read_b128 v[9:12], v70 offset:1648
	s_waitcnt vmcnt(57) lgkmcnt(1)
	v_mul_f64 v[127:128], v[1:2], v[33:34]
	v_mul_f64 v[33:34], v[3:4], v[33:34]
	s_waitcnt vmcnt(56)
	v_fma_f64 v[81:82], v[5:6], v[125:126], -v[81:82]
	v_add_f64 v[15:16], v[15:16], v[21:22]
	v_fma_f64 v[21:22], v[7:8], v[125:126], v[57:58]
	v_add_f64 v[13:14], v[13:14], v[27:28]
	s_clause 0x2
	buffer_load_dword v74, off, s[0:3], 0 offset:892
	buffer_load_dword v28, off, s[0:3], 0 offset:868
	buffer_load_dword v27, off, s[0:3], 0 offset:864
	ds_read_b128 v[5:8], v70 offset:1664
	s_waitcnt vmcnt(58) lgkmcnt(1)
	v_mul_f64 v[57:58], v[9:10], v[75:76]
	v_mul_f64 v[75:76], v[11:12], v[75:76]
	s_waitcnt vmcnt(56)
	v_fma_f64 v[33:34], v[1:2], v[25:26], -v[33:34]
	v_fma_f64 v[25:26], v[3:4], v[25:26], v[127:128]
	v_add_f64 v[15:16], v[15:16], v[81:82]
	v_add_f64 v[13:14], v[13:14], v[21:22]
	s_clause 0x4
	buffer_load_dword v22, off, s[0:3], 0 offset:908
	buffer_load_dword v81, off, s[0:3], 0 offset:920
	buffer_load_dword v125, off, s[0:3], 0 offset:912
	buffer_load_dword v21, off, s[0:3], 0 offset:904
	buffer_load_dword v120, off, s[0:3], 0 offset:884
	ds_read_b128 v[1:4], v70 offset:1680
	s_waitcnt vmcnt(57) lgkmcnt(1)
	v_mul_f64 v[126:127], v[5:6], v[19:20]
	v_mul_f64 v[19:20], v[7:8], v[19:20]
	s_waitcnt vmcnt(56)
	v_fma_f64 v[75:76], v[9:10], v[117:118], -v[75:76]
	v_add_f64 v[15:16], v[15:16], v[33:34]
	v_fma_f64 v[33:34], v[11:12], v[117:118], v[57:58]
	;; [unrolled: 28-line block ×3, first 2 shown]
	v_add_f64 v[13:14], v[13:14], v[31:32]
	s_clause 0x2
	buffer_load_dword v76, off, s[0:3], 0 offset:956
	buffer_load_dword v32, off, s[0:3], 0 offset:932
	;; [unrolled: 1-line block ×3, first 2 shown]
	ds_read_b128 v[1:4], v70 offset:1728
	s_waitcnt vmcnt(58) lgkmcnt(1)
	v_mul_f64 v[57:58], v[5:6], v[45:46]
	v_mul_f64 v[45:46], v[7:8], v[45:46]
	s_waitcnt vmcnt(56)
	v_fma_f64 v[23:24], v[9:10], v[41:42], -v[23:24]
	v_add_f64 v[15:16], v[15:16], v[37:38]
	v_fma_f64 v[37:38], v[11:12], v[41:42], v[127:128]
	v_add_f64 v[13:14], v[13:14], v[19:20]
	s_clause 0x4
	buffer_load_dword v20, off, s[0:3], 0 offset:972
	buffer_load_dword v41, off, s[0:3], 0 offset:984
	;; [unrolled: 1-line block ×5, first 2 shown]
	ds_read_b128 v[9:12], v70 offset:1744
	s_waitcnt vmcnt(57) lgkmcnt(1)
	v_mul_f64 v[127:128], v[1:2], v[29:30]
	v_mul_f64 v[29:30], v[3:4], v[29:30]
	s_waitcnt vmcnt(56)
	v_fma_f64 v[45:46], v[5:6], v[77:78], -v[45:46]
	v_add_f64 v[15:16], v[15:16], v[23:24]
	v_fma_f64 v[23:24], v[7:8], v[77:78], v[57:58]
	v_add_f64 v[13:14], v[13:14], v[37:38]
	s_clause 0x2
	buffer_load_dword v42, off, s[0:3], 0 offset:988
	buffer_load_dword v38, off, s[0:3], 0 offset:964
	;; [unrolled: 1-line block ×3, first 2 shown]
	ds_read_b128 v[5:8], v70 offset:1760
	s_waitcnt vmcnt(58) lgkmcnt(1)
	v_mul_f64 v[57:58], v[9:10], v[51:52]
	v_mul_f64 v[51:52], v[11:12], v[51:52]
	s_waitcnt vmcnt(56)
	v_fma_f64 v[29:30], v[1:2], v[39:40], -v[29:30]
	v_fma_f64 v[39:40], v[3:4], v[39:40], v[127:128]
	v_add_f64 v[15:16], v[15:16], v[45:46]
	v_add_f64 v[13:14], v[13:14], v[23:24]
	s_clause 0x4
	buffer_load_dword v24, off, s[0:3], 0 offset:1004
	buffer_load_dword v45, off, s[0:3], 0 offset:1016
	;; [unrolled: 1-line block ×5, first 2 shown]
	ds_read_b128 v[1:4], v70 offset:1776
	s_waitcnt vmcnt(57) lgkmcnt(1)
	v_mul_f64 v[127:128], v[5:6], v[35:36]
	v_mul_f64 v[35:36], v[7:8], v[35:36]
	s_waitcnt vmcnt(56)
	v_fma_f64 v[51:52], v[9:10], v[71:72], -v[51:52]
	v_add_f64 v[15:16], v[15:16], v[29:30]
	v_fma_f64 v[29:30], v[11:12], v[71:72], v[57:58]
	v_add_f64 v[13:14], v[13:14], v[39:40]
	s_clause 0x2
	buffer_load_dword v46, off, s[0:3], 0 offset:1020
	buffer_load_dword v40, off, s[0:3], 0 offset:996
	;; [unrolled: 1-line block ×3, first 2 shown]
	ds_read_b128 v[9:12], v70 offset:1792
	buffer_load_dword v78, off, s[0:3], 0 offset:1012
	s_waitcnt vmcnt(59) lgkmcnt(1)
	v_mul_f64 v[57:58], v[1:2], v[59:60]
	v_mul_f64 v[59:60], v[3:4], v[59:60]
	s_waitcnt vmcnt(57)
	v_fma_f64 v[35:36], v[5:6], v[47:48], -v[35:36]
	v_fma_f64 v[47:48], v[7:8], v[47:48], v[127:128]
	ds_read_b128 v[5:8], v70 offset:1808
	v_add_f64 v[15:16], v[15:16], v[51:52]
	v_add_f64 v[13:14], v[13:14], v[29:30]
	s_waitcnt vmcnt(53) lgkmcnt(1)
	v_mul_f64 v[29:30], v[9:10], v[43:44]
	v_mul_f64 v[43:44], v[11:12], v[43:44]
	s_waitcnt vmcnt(52)
	v_fma_f64 v[51:52], v[1:2], v[65:66], -v[59:60]
	v_add_f64 v[15:16], v[15:16], v[35:36]
	v_fma_f64 v[35:36], v[3:4], v[65:66], v[57:58]
	v_add_f64 v[13:14], v[13:14], v[47:48]
	ds_read_b128 v[1:4], v70 offset:1824
	s_waitcnt vmcnt(51) lgkmcnt(1)
	v_mul_f64 v[57:58], v[7:8], v[61:62]
	v_mul_f64 v[47:48], v[5:6], v[61:62]
	s_waitcnt vmcnt(49)
	v_fma_f64 v[43:44], v[9:10], v[17:18], -v[43:44]
	v_fma_f64 v[17:18], v[11:12], v[17:18], v[29:30]
	v_add_f64 v[15:16], v[15:16], v[51:52]
	v_add_f64 v[13:14], v[13:14], v[35:36]
	s_clause 0x3
	buffer_load_dword v29, off, s[0:3], 0 offset:32
	buffer_load_dword v30, off, s[0:3], 0 offset:36
	;; [unrolled: 1-line block ×4, first 2 shown]
	ds_read_b128 v[9:12], v70 offset:1840
	s_waitcnt vmcnt(49) lgkmcnt(1)
	v_mul_f64 v[51:52], v[1:2], v[49:50]
	v_mul_f64 v[49:50], v[3:4], v[49:50]
	s_waitcnt vmcnt(48)
	v_fma_f64 v[57:58], v[5:6], v[67:68], -v[57:58]
	v_add_f64 v[15:16], v[15:16], v[43:44]
	v_fma_f64 v[43:44], v[7:8], v[67:68], v[47:48]
	v_add_f64 v[13:14], v[13:14], v[17:18]
	ds_read_b128 v[5:8], v70 offset:1856
	s_waitcnt vmcnt(47) lgkmcnt(1)
	v_mul_f64 v[47:48], v[11:12], v[63:64]
	v_mul_f64 v[17:18], v[9:10], v[63:64]
	s_waitcnt vmcnt(45)
	v_fma_f64 v[49:50], v[1:2], v[55:56], -v[49:50]
	v_fma_f64 v[51:52], v[3:4], v[55:56], v[51:52]
	ds_read_b128 v[1:4], v70 offset:1872
	v_add_f64 v[15:16], v[15:16], v[57:58]
	v_add_f64 v[13:14], v[13:14], v[43:44]
	s_waitcnt vmcnt(41) lgkmcnt(1)
	v_mul_f64 v[43:44], v[5:6], v[53:54]
	v_mul_f64 v[53:54], v[7:8], v[53:54]
	s_waitcnt vmcnt(40)
	v_fma_f64 v[47:48], v[9:10], v[79:80], -v[47:48]
	v_fma_f64 v[17:18], v[11:12], v[79:80], v[17:18]
	ds_read_b128 v[9:12], v70 offset:1888
	v_add_f64 v[15:16], v[15:16], v[49:50]
	v_add_f64 v[13:14], v[13:14], v[51:52]
	;; [unrolled: 9-line block ×5, first 2 shown]
	s_waitcnt vmcnt(25) lgkmcnt(1)
	v_mul_f64 v[25:26], v[1:2], v[33:34]
	v_mul_f64 v[33:34], v[3:4], v[33:34]
	s_waitcnt vmcnt(24)
	v_fma_f64 v[43:44], v[5:6], v[125:126], -v[49:50]
	v_add_f64 v[15:16], v[15:16], v[21:22]
	v_fma_f64 v[21:22], v[7:8], v[125:126], v[27:28]
	v_add_f64 v[13:14], v[13:14], v[17:18]
	ds_read_b128 v[5:8], v70 offset:1952
	s_waitcnt vmcnt(23) lgkmcnt(1)
	v_mul_f64 v[27:28], v[11:12], v[75:76]
	v_mul_f64 v[17:18], v[9:10], v[75:76]
	s_waitcnt vmcnt(21)
	v_fma_f64 v[33:34], v[1:2], v[31:32], -v[33:34]
	v_fma_f64 v[25:26], v[3:4], v[31:32], v[25:26]
	ds_read_b128 v[1:4], v70 offset:1968
	v_add_f64 v[15:16], v[15:16], v[43:44]
	v_add_f64 v[13:14], v[13:14], v[21:22]
	s_waitcnt vmcnt(17) lgkmcnt(1)
	v_mul_f64 v[21:22], v[5:6], v[19:20]
	v_mul_f64 v[19:20], v[7:8], v[19:20]
	s_waitcnt vmcnt(16)
	v_fma_f64 v[27:28], v[9:10], v[117:118], -v[27:28]
	v_fma_f64 v[17:18], v[11:12], v[117:118], v[17:18]
	ds_read_b128 v[9:12], v70 offset:1984
	v_add_f64 v[15:16], v[15:16], v[33:34]
	v_add_f64 v[13:14], v[13:14], v[25:26]
	;; [unrolled: 9-line block ×3, first 2 shown]
	s_waitcnt vmcnt(9) lgkmcnt(1)
	v_mul_f64 v[17:18], v[9:10], v[23:24]
	v_mul_f64 v[23:24], v[11:12], v[23:24]
	s_waitcnt vmcnt(8)
	v_fma_f64 v[1:2], v[1:2], v[83:84], -v[31:32]
	v_fma_f64 v[3:4], v[3:4], v[83:84], v[25:26]
	v_add_f64 v[15:16], v[15:16], v[19:20]
	v_add_f64 v[13:14], v[13:14], v[21:22]
	s_waitcnt vmcnt(7) lgkmcnt(0)
	v_mul_f64 v[21:22], v[7:8], v[45:46]
	v_mul_f64 v[19:20], v[5:6], v[45:46]
	s_waitcnt vmcnt(5)
	v_fma_f64 v[9:10], v[9:10], v[39:40], -v[23:24]
	v_fma_f64 v[11:12], v[11:12], v[39:40], v[17:18]
	v_add_f64 v[1:2], v[15:16], v[1:2]
	v_add_f64 v[3:4], v[13:14], v[3:4]
	s_waitcnt vmcnt(4)
	v_fma_f64 v[5:6], v[5:6], v[77:78], -v[21:22]
	v_fma_f64 v[7:8], v[7:8], v[77:78], v[19:20]
	v_add_f64 v[1:2], v[1:2], v[9:10]
	v_add_f64 v[3:4], v[3:4], v[11:12]
	;; [unrolled: 1-line block ×4, first 2 shown]
	s_waitcnt vmcnt(2)
	v_add_f64 v[1:2], v[29:30], -v[1:2]
	s_waitcnt vmcnt(0)
	v_add_f64 v[3:4], v[35:36], -v[3:4]
	buffer_store_dword v2, off, s[0:3], 0 offset:36
	buffer_store_dword v1, off, s[0:3], 0 offset:32
	;; [unrolled: 1-line block ×4, first 2 shown]
	v_cmpx_ne_u32_e32 0, v0
	s_cbranch_execz .LBB62_403
; %bb.402:
	s_clause 0x3
	buffer_load_dword v0, off, s[0:3], 0 offset:16
	buffer_load_dword v1, off, s[0:3], 0 offset:20
	;; [unrolled: 1-line block ×4, first 2 shown]
	buffer_store_dword v70, off, s[0:3], 0 offset:16
	buffer_store_dword v70, off, s[0:3], 0 offset:20
	buffer_store_dword v70, off, s[0:3], 0 offset:24
	buffer_store_dword v70, off, s[0:3], 0 offset:28
	s_waitcnt vmcnt(0)
	ds_write_b128 v69, v[0:3]
.LBB62_403:
	s_or_b32 exec_lo, exec_lo, s4
	buffer_store_dword v123, off, s[0:3], 0 offset:1048 ; 4-byte Folded Spill
	buffer_store_dword v124, off, s[0:3], 0 offset:1052 ; 4-byte Folded Spill
	;; [unrolled: 1-line block ×8, first 2 shown]
	s_waitcnt lgkmcnt(0)
	s_waitcnt_vscnt null, 0x0
	s_barrier
	buffer_gl0_inv
	s_clause 0x37
	buffer_load_dword v16, off, s[0:3], 0 offset:40
	buffer_load_dword v17, off, s[0:3], 0 offset:44
	;; [unrolled: 1-line block ×56, first 2 shown]
	ds_read_b128 v[4:7], v70 offset:1024
	s_clause 0x2
	buffer_load_dword v65, off, s[0:3], 0 offset:268
	buffer_load_dword v67, off, s[0:3], 0 offset:244
	;; [unrolled: 1-line block ×3, first 2 shown]
	ds_read_b128 v[0:3], v70 offset:1040
	s_clause 0x4
	buffer_load_dword v76, off, s[0:3], 0 offset:284
	buffer_load_dword v77, off, s[0:3], 0 offset:296
	;; [unrolled: 1-line block ×5, first 2 shown]
	ds_read_b128 v[71:74], v70 offset:1056
	v_mov_b32_e32 v124, v112
	v_mov_b32_e32 v123, v111
	v_mov_b32_e32 v122, v110
	v_mov_b32_e32 v116, v108
	v_mov_b32_e32 v114, v106
	v_mov_b32_e32 v112, v104
	v_mov_b32_e32 v121, v109
	v_mov_b32_e32 v115, v107
	v_mov_b32_e32 v113, v105
	v_mov_b32_e32 v111, v103
	v_mov_b32_e32 v110, v102
	v_mov_b32_e32 v108, v100
	v_mov_b32_e32 v106, v98
	v_mov_b32_e32 v104, v96
	v_mov_b32_e32 v109, v101
	v_mov_b32_e32 v107, v99
	v_mov_b32_e32 v105, v97
	v_mov_b32_e32 v103, v95
	v_mov_b32_e32 v102, v94
	v_mov_b32_e32 v100, v92
	v_mov_b32_e32 v98, v90
	v_mov_b32_e32 v96, v88
	v_mov_b32_e32 v101, v93
	v_mov_b32_e32 v99, v91
	v_mov_b32_e32 v97, v89
	v_mov_b32_e32 v95, v87
	v_mov_b32_e32 v94, v86
	v_mov_b32_e32 v91, v233
	v_mov_b32_e32 v89, v231
	v_mov_b32_e32 v87, v229
	v_mov_b32_e32 v93, v85
	v_mov_b32_e32 v92, v234
	v_mov_b32_e32 v90, v232
	v_mov_b32_e32 v88, v230
	v_mov_b32_e32 v85, v227
	v_mov_b32_e32 v234, v226
	v_mov_b32_e32 v232, v224
	v_mov_b32_e32 v230, v222
	v_mov_b32_e32 v86, v228
	v_mov_b32_e32 v233, v225
	v_mov_b32_e32 v231, v223
	v_mov_b32_e32 v229, v221
	v_mov_b32_e32 v228, v220
	v_mov_b32_e32 v226, v218
	v_mov_b32_e32 v224, v216
	v_mov_b32_e32 v222, v214
	v_mov_b32_e32 v227, v219
	v_mov_b32_e32 v225, v217
	v_mov_b32_e32 v223, v215
	v_mov_b32_e32 v221, v213
	v_mov_b32_e32 v220, v212
	v_mov_b32_e32 v218, v210
	v_mov_b32_e32 v216, v208
	v_mov_b32_e32 v214, v206
	v_mov_b32_e32 v219, v211
	v_mov_b32_e32 v217, v209
	v_mov_b32_e32 v215, v207
	v_mov_b32_e32 v213, v205
	v_mov_b32_e32 v212, v204
	v_mov_b32_e32 v210, v202
	v_mov_b32_e32 v208, v200
	v_mov_b32_e32 v206, v198
	v_mov_b32_e32 v211, v203
	v_mov_b32_e32 v209, v201
	v_mov_b32_e32 v207, v199
	v_mov_b32_e32 v205, v197
	v_mov_b32_e32 v204, v196
	v_mov_b32_e32 v202, v194
	v_mov_b32_e32 v200, v192
	v_mov_b32_e32 v198, v190
	v_mov_b32_e32 v203, v195
	v_mov_b32_e32 v201, v193
	v_mov_b32_e32 v199, v191
	v_mov_b32_e32 v197, v189
	v_mov_b32_e32 v196, v188
	v_mov_b32_e32 v194, v186
	v_mov_b32_e32 v192, v184
	v_mov_b32_e32 v190, v178
	v_mov_b32_e32 v195, v187
	v_mov_b32_e32 v193, v185
	v_mov_b32_e32 v191, v183
	v_mov_b32_e32 v189, v177
	s_and_b32 vcc_lo, exec_lo, s76
	s_waitcnt vmcnt(62) lgkmcnt(2)
	v_mul_f64 v[68:69], v[6:7], v[16:17]
	v_mul_f64 v[16:17], v[4:5], v[16:17]
	s_waitcnt vmcnt(60) lgkmcnt(1)
	v_mul_f64 v[80:81], v[2:3], v[12:13]
	v_mul_f64 v[12:13], v[0:1], v[12:13]
	;; [unrolled: 3-line block ×3, first 2 shown]
	v_fma_f64 v[68:69], v[4:5], v[14:15], -v[68:69]
	v_fma_f64 v[14:15], v[6:7], v[14:15], v[16:17]
	s_clause 0x2
	buffer_load_dword v78, off, s[0:3], 0 offset:300
	buffer_load_dword v17, off, s[0:3], 0 offset:276
	;; [unrolled: 1-line block ×3, first 2 shown]
	s_waitcnt vmcnt(57)
	v_fma_f64 v[117:118], v[0:1], v[8:9], -v[80:81]
	ds_read_b128 v[4:7], v70 offset:1072
	v_fma_f64 v[8:9], v[2:3], v[8:9], v[12:13]
	s_waitcnt vmcnt(51)
	v_fma_f64 v[71:72], v[71:72], v[32:33], -v[10:11]
	v_fma_f64 v[32:33], v[73:74], v[32:33], v[82:83]
	v_add_f64 v[68:69], v[68:69], 0
	v_add_f64 v[12:13], v[14:15], 0
	s_clause 0x4
	buffer_load_dword v15, off, s[0:3], 0 offset:316
	buffer_load_dword v81, off, s[0:3], 0 offset:328
	;; [unrolled: 1-line block ×5, first 2 shown]
	s_waitcnt lgkmcnt(0)
	v_mul_f64 v[125:126], v[4:5], v[20:21]
	v_mul_f64 v[20:21], v[6:7], v[20:21]
	ds_read_b128 v[0:3], v70 offset:1088
	s_clause 0x2
	buffer_load_dword v82, off, s[0:3], 0 offset:332
	buffer_load_dword v74, off, s[0:3], 0 offset:308
	;; [unrolled: 1-line block ×3, first 2 shown]
	v_add_f64 v[68:69], v[68:69], v[117:118]
	v_add_f64 v[12:13], v[12:13], v[8:9]
	ds_read_b128 v[8:11], v70 offset:1104
	s_waitcnt vmcnt(58) lgkmcnt(1)
	v_mul_f64 v[83:84], v[0:1], v[24:25]
	v_mul_f64 v[24:25], v[2:3], v[24:25]
	s_waitcnt vmcnt(56)
	v_fma_f64 v[20:21], v[4:5], v[26:27], -v[20:21]
	v_fma_f64 v[26:27], v[6:7], v[26:27], v[125:126]
	s_waitcnt vmcnt(52) lgkmcnt(0)
	v_mul_f64 v[125:126], v[8:9], v[28:29]
	v_add_f64 v[68:69], v[68:69], v[71:72]
	v_add_f64 v[12:13], v[12:13], v[32:33]
	s_clause 0x4
	buffer_load_dword v33, off, s[0:3], 0 offset:348
	buffer_load_dword v71, off, s[0:3], 0 offset:360
	;; [unrolled: 1-line block ×5, first 2 shown]
	v_mul_f64 v[28:29], v[10:11], v[28:29]
	s_waitcnt vmcnt(56)
	v_fma_f64 v[24:25], v[0:1], v[18:19], -v[24:25]
	ds_read_b128 v[4:7], v70 offset:1120
	v_fma_f64 v[18:19], v[2:3], v[18:19], v[83:84]
	v_add_f64 v[20:21], v[68:69], v[20:21]
	v_add_f64 v[12:13], v[12:13], v[26:27]
	s_clause 0x2
	buffer_load_dword v72, off, s[0:3], 0 offset:364
	buffer_load_dword v27, off, s[0:3], 0 offset:340
	;; [unrolled: 1-line block ×3, first 2 shown]
	s_waitcnt vmcnt(58) lgkmcnt(0)
	v_mul_f64 v[68:69], v[4:5], v[34:35]
	v_mul_f64 v[34:35], v[6:7], v[34:35]
	s_waitcnt vmcnt(56)
	v_fma_f64 v[28:29], v[8:9], v[36:37], -v[28:29]
	ds_read_b128 v[0:3], v70 offset:1136
	v_add_f64 v[20:21], v[20:21], v[24:25]
	v_fma_f64 v[24:25], v[10:11], v[36:37], v[125:126]
	v_add_f64 v[12:13], v[12:13], v[18:19]
	s_clause 0x4
	buffer_load_dword v19, off, s[0:3], 0 offset:380
	buffer_load_dword v36, off, s[0:3], 0 offset:392
	;; [unrolled: 1-line block ×5, first 2 shown]
	s_waitcnt vmcnt(57) lgkmcnt(0)
	v_mul_f64 v[125:126], v[0:1], v[38:39]
	v_mul_f64 v[38:39], v[2:3], v[38:39]
	s_waitcnt vmcnt(56)
	v_fma_f64 v[34:35], v[4:5], v[22:23], -v[34:35]
	ds_read_b128 v[8:11], v70 offset:1152
	v_fma_f64 v[22:23], v[6:7], v[22:23], v[68:69]
	v_add_f64 v[20:21], v[20:21], v[28:29]
	v_add_f64 v[12:13], v[12:13], v[24:25]
	s_clause 0x2
	buffer_load_dword v37, off, s[0:3], 0 offset:396
	buffer_load_dword v25, off, s[0:3], 0 offset:372
	;; [unrolled: 1-line block ×3, first 2 shown]
	ds_read_b128 v[4:7], v70 offset:1168
	s_waitcnt vmcnt(58) lgkmcnt(1)
	v_mul_f64 v[28:29], v[8:9], v[42:43]
	v_mul_f64 v[42:43], v[10:11], v[42:43]
	s_waitcnt vmcnt(56)
	v_fma_f64 v[38:39], v[0:1], v[44:45], -v[38:39]
	v_add_f64 v[20:21], v[20:21], v[34:35]
	v_fma_f64 v[34:35], v[2:3], v[44:45], v[125:126]
	v_add_f64 v[12:13], v[12:13], v[22:23]
	s_clause 0x4
	buffer_load_dword v23, off, s[0:3], 0 offset:412
	buffer_load_dword v44, off, s[0:3], 0 offset:424
	buffer_load_dword v68, off, s[0:3], 0 offset:416
	buffer_load_dword v22, off, s[0:3], 0 offset:408
	buffer_load_dword v84, off, s[0:3], 0 offset:388
	s_waitcnt vmcnt(57) lgkmcnt(0)
	v_mul_f64 v[125:126], v[4:5], v[46:47]
	v_mul_f64 v[46:47], v[6:7], v[46:47]
	s_waitcnt vmcnt(56)
	v_fma_f64 v[42:43], v[8:9], v[30:31], -v[42:43]
	ds_read_b128 v[0:3], v70 offset:1184
	v_fma_f64 v[28:29], v[10:11], v[30:31], v[28:29]
	s_clause 0x2
	buffer_load_dword v45, off, s[0:3], 0 offset:428
	buffer_load_dword v31, off, s[0:3], 0 offset:404
	;; [unrolled: 1-line block ×3, first 2 shown]
	ds_read_b128 v[8:11], v70 offset:1200
	v_add_f64 v[20:21], v[20:21], v[38:39]
	v_add_f64 v[12:13], v[12:13], v[34:35]
	s_waitcnt vmcnt(58) lgkmcnt(1)
	v_mul_f64 v[38:39], v[2:3], v[50:51]
	s_waitcnt vmcnt(56)
	v_fma_f64 v[46:47], v[4:5], v[52:53], -v[46:47]
	v_mul_f64 v[34:35], v[0:1], v[50:51]
	v_add_f64 v[20:21], v[20:21], v[42:43]
	v_fma_f64 v[42:43], v[6:7], v[52:53], v[125:126]
	v_add_f64 v[12:13], v[12:13], v[28:29]
	s_clause 0x4
	buffer_load_dword v29, off, s[0:3], 0 offset:444
	buffer_load_dword v50, off, s[0:3], 0 offset:456
	;; [unrolled: 1-line block ×5, first 2 shown]
	s_waitcnt vmcnt(57) lgkmcnt(0)
	v_mul_f64 v[125:126], v[8:9], v[54:55]
	v_mul_f64 v[53:54], v[10:11], v[54:55]
	s_waitcnt vmcnt(56)
	v_fma_f64 v[38:39], v[0:1], v[40:41], -v[38:39]
	ds_read_b128 v[4:7], v70 offset:1216
	v_fma_f64 v[34:35], v[2:3], v[40:41], v[34:35]
	s_clause 0x2
	buffer_load_dword v51, off, s[0:3], 0 offset:460
	buffer_load_dword v41, off, s[0:3], 0 offset:436
	;; [unrolled: 1-line block ×3, first 2 shown]
	ds_read_b128 v[0:3], v70 offset:1232
	v_add_f64 v[20:21], v[20:21], v[46:47]
	v_add_f64 v[12:13], v[12:13], v[42:43]
	s_waitcnt vmcnt(58) lgkmcnt(1)
	v_mul_f64 v[46:47], v[6:7], v[58:59]
	s_waitcnt vmcnt(56)
	v_fma_f64 v[54:55], v[8:9], v[60:61], -v[53:54]
	v_mul_f64 v[42:43], v[4:5], v[58:59]
	v_add_f64 v[20:21], v[20:21], v[38:39]
	v_fma_f64 v[38:39], v[10:11], v[60:61], v[125:126]
	v_add_f64 v[12:13], v[12:13], v[34:35]
	s_clause 0x4
	buffer_load_dword v35, off, s[0:3], 0 offset:476
	buffer_load_dword v58, off, s[0:3], 0 offset:488
	;; [unrolled: 1-line block ×5, first 2 shown]
	s_waitcnt vmcnt(57) lgkmcnt(0)
	v_mul_f64 v[125:126], v[0:1], v[62:63]
	v_mul_f64 v[61:62], v[2:3], v[62:63]
	s_waitcnt vmcnt(56)
	v_fma_f64 v[46:47], v[4:5], v[48:49], -v[46:47]
	ds_read_b128 v[8:11], v70 offset:1248
	v_fma_f64 v[42:43], v[6:7], v[48:49], v[42:43]
	v_add_f64 v[20:21], v[20:21], v[54:55]
	v_add_f64 v[12:13], v[12:13], v[38:39]
	s_clause 0x2
	buffer_load_dword v59, off, s[0:3], 0 offset:492
	buffer_load_dword v39, off, s[0:3], 0 offset:468
	;; [unrolled: 1-line block ×3, first 2 shown]
	ds_read_b128 v[4:7], v70 offset:1264
	s_waitcnt vmcnt(58) lgkmcnt(1)
	v_mul_f64 v[54:55], v[10:11], v[64:65]
	s_waitcnt vmcnt(56)
	v_fma_f64 v[62:63], v[0:1], v[66:67], -v[61:62]
	v_mul_f64 v[48:49], v[8:9], v[64:65]
	v_add_f64 v[20:21], v[20:21], v[46:47]
	v_fma_f64 v[46:47], v[2:3], v[66:67], v[125:126]
	v_add_f64 v[12:13], v[12:13], v[42:43]
	s_clause 0x4
	buffer_load_dword v43, off, s[0:3], 0 offset:508
	buffer_load_dword v64, off, s[0:3], 0 offset:520
	;; [unrolled: 1-line block ×5, first 2 shown]
	s_waitcnt vmcnt(57) lgkmcnt(0)
	v_mul_f64 v[125:126], v[4:5], v[75:76]
	v_mul_f64 v[75:76], v[6:7], v[75:76]
	s_waitcnt vmcnt(56)
	v_fma_f64 v[54:55], v[8:9], v[56:57], -v[54:55]
	ds_read_b128 v[0:3], v70 offset:1280
	v_fma_f64 v[48:49], v[10:11], v[56:57], v[48:49]
	v_add_f64 v[20:21], v[20:21], v[62:63]
	v_add_f64 v[12:13], v[12:13], v[46:47]
	s_clause 0x2
	buffer_load_dword v65, off, s[0:3], 0 offset:524
	buffer_load_dword v47, off, s[0:3], 0 offset:500
	;; [unrolled: 1-line block ×3, first 2 shown]
	ds_read_b128 v[8:11], v70 offset:1296
	s_waitcnt vmcnt(58) lgkmcnt(1)
	v_mul_f64 v[62:63], v[2:3], v[77:78]
	v_mul_f64 v[56:57], v[0:1], v[77:78]
	s_waitcnt vmcnt(56)
	v_fma_f64 v[75:76], v[4:5], v[16:17], -v[75:76]
	v_fma_f64 v[16:17], v[6:7], v[16:17], v[125:126]
	v_add_f64 v[20:21], v[20:21], v[54:55]
	v_add_f64 v[12:13], v[12:13], v[48:49]
	s_clause 0x4
	buffer_load_dword v49, off, s[0:3], 0 offset:540
	buffer_load_dword v54, off, s[0:3], 0 offset:552
	;; [unrolled: 1-line block ×5, first 2 shown]
	ds_read_b128 v[4:7], v70 offset:1312
	s_waitcnt vmcnt(57) lgkmcnt(1)
	v_mul_f64 v[125:126], v[8:9], v[14:15]
	v_mul_f64 v[14:15], v[10:11], v[14:15]
	s_waitcnt vmcnt(56)
	v_fma_f64 v[62:63], v[0:1], v[79:80], -v[62:63]
	v_fma_f64 v[56:57], v[2:3], v[79:80], v[56:57]
	v_add_f64 v[20:21], v[20:21], v[75:76]
	v_add_f64 v[12:13], v[12:13], v[16:17]
	s_clause 0x2
	buffer_load_dword v55, off, s[0:3], 0 offset:556
	buffer_load_dword v17, off, s[0:3], 0 offset:532
	;; [unrolled: 1-line block ×3, first 2 shown]
	s_waitcnt vmcnt(58) lgkmcnt(0)
	v_mul_f64 v[79:80], v[6:7], v[81:82]
	ds_read_b128 v[0:3], v70 offset:1328
	v_mul_f64 v[75:76], v[4:5], v[81:82]
	s_waitcnt vmcnt(56)
	v_fma_f64 v[14:15], v[8:9], v[73:74], -v[14:15]
	v_add_f64 v[20:21], v[20:21], v[62:63]
	v_fma_f64 v[62:63], v[10:11], v[73:74], v[125:126]
	v_add_f64 v[12:13], v[12:13], v[56:57]
	s_clause 0x4
	buffer_load_dword v57, off, s[0:3], 0 offset:572
	buffer_load_dword v73, off, s[0:3], 0 offset:584
	;; [unrolled: 1-line block ×5, first 2 shown]
	ds_read_b128 v[8:11], v70 offset:1344
	s_waitcnt vmcnt(57) lgkmcnt(1)
	v_mul_f64 v[125:126], v[0:1], v[32:33]
	v_mul_f64 v[32:33], v[2:3], v[32:33]
	s_waitcnt vmcnt(56)
	v_fma_f64 v[79:80], v[4:5], v[119:120], -v[79:80]
	v_add_f64 v[14:15], v[20:21], v[14:15]
	v_fma_f64 v[20:21], v[6:7], v[119:120], v[75:76]
	v_add_f64 v[12:13], v[12:13], v[62:63]
	s_clause 0x2
	buffer_load_dword v74, off, s[0:3], 0 offset:588
	buffer_load_dword v63, off, s[0:3], 0 offset:564
	;; [unrolled: 1-line block ×3, first 2 shown]
	ds_read_b128 v[4:7], v70 offset:1360
	s_waitcnt vmcnt(58) lgkmcnt(1)
	v_mul_f64 v[75:76], v[8:9], v[71:72]
	v_mul_f64 v[71:72], v[10:11], v[71:72]
	s_waitcnt vmcnt(56)
	v_fma_f64 v[32:33], v[0:1], v[26:27], -v[32:33]
	v_fma_f64 v[26:27], v[2:3], v[26:27], v[125:126]
	v_add_f64 v[14:15], v[14:15], v[79:80]
	v_add_f64 v[12:13], v[12:13], v[20:21]
	s_clause 0x4
	buffer_load_dword v21, off, s[0:3], 0 offset:604
	buffer_load_dword v79, off, s[0:3], 0 offset:616
	;; [unrolled: 1-line block ×5, first 2 shown]
	ds_read_b128 v[0:3], v70 offset:1376
	s_waitcnt vmcnt(57) lgkmcnt(1)
	v_mul_f64 v[125:126], v[4:5], v[18:19]
	v_mul_f64 v[18:19], v[6:7], v[18:19]
	s_waitcnt vmcnt(56)
	v_fma_f64 v[71:72], v[8:9], v[117:118], -v[71:72]
	v_add_f64 v[14:15], v[14:15], v[32:33]
	v_fma_f64 v[32:33], v[10:11], v[117:118], v[75:76]
	v_add_f64 v[12:13], v[12:13], v[26:27]
	s_clause 0x2
	buffer_load_dword v80, off, s[0:3], 0 offset:620
	buffer_load_dword v27, off, s[0:3], 0 offset:596
	;; [unrolled: 1-line block ×3, first 2 shown]
	ds_read_b128 v[8:11], v70 offset:1392
	s_waitcnt vmcnt(58) lgkmcnt(1)
	v_mul_f64 v[75:76], v[0:1], v[36:37]
	v_mul_f64 v[36:37], v[2:3], v[36:37]
	s_waitcnt vmcnt(56)
	v_fma_f64 v[18:19], v[4:5], v[24:25], -v[18:19]
	v_fma_f64 v[24:25], v[6:7], v[24:25], v[125:126]
	v_add_f64 v[14:15], v[14:15], v[71:72]
	v_add_f64 v[12:13], v[12:13], v[32:33]
	s_clause 0x4
	buffer_load_dword v33, off, s[0:3], 0 offset:636
	buffer_load_dword v71, off, s[0:3], 0 offset:648
	;; [unrolled: 1-line block ×5, first 2 shown]
	ds_read_b128 v[4:7], v70 offset:1408
	s_waitcnt vmcnt(57) lgkmcnt(1)
	v_mul_f64 v[125:126], v[8:9], v[22:23]
	v_mul_f64 v[22:23], v[10:11], v[22:23]
	s_waitcnt vmcnt(56)
	v_fma_f64 v[36:37], v[0:1], v[83:84], -v[36:37]
	v_add_f64 v[14:15], v[14:15], v[18:19]
	v_fma_f64 v[18:19], v[2:3], v[83:84], v[75:76]
	v_add_f64 v[12:13], v[12:13], v[24:25]
	s_clause 0x2
	buffer_load_dword v72, off, s[0:3], 0 offset:652
	buffer_load_dword v25, off, s[0:3], 0 offset:628
	;; [unrolled: 1-line block ×3, first 2 shown]
	s_waitcnt vmcnt(58) lgkmcnt(0)
	v_mul_f64 v[75:76], v[4:5], v[44:45]
	v_mul_f64 v[44:45], v[6:7], v[44:45]
	ds_read_b128 v[0:3], v70 offset:1424
	s_waitcnt vmcnt(56)
	v_fma_f64 v[22:23], v[8:9], v[30:31], -v[22:23]
	v_fma_f64 v[30:31], v[10:11], v[30:31], v[125:126]
	v_add_f64 v[14:15], v[14:15], v[36:37]
	v_add_f64 v[12:13], v[12:13], v[18:19]
	s_clause 0x4
	buffer_load_dword v19, off, s[0:3], 0 offset:668
	buffer_load_dword v36, off, s[0:3], 0 offset:680
	;; [unrolled: 1-line block ×5, first 2 shown]
	ds_read_b128 v[8:11], v70 offset:1440
	s_waitcnt vmcnt(57) lgkmcnt(1)
	v_mul_f64 v[125:126], v[0:1], v[28:29]
	v_mul_f64 v[28:29], v[2:3], v[28:29]
	s_waitcnt vmcnt(56)
	v_fma_f64 v[44:45], v[4:5], v[68:69], -v[44:45]
	v_add_f64 v[14:15], v[14:15], v[22:23]
	v_fma_f64 v[22:23], v[6:7], v[68:69], v[75:76]
	v_add_f64 v[12:13], v[12:13], v[30:31]
	s_clause 0x2
	buffer_load_dword v37, off, s[0:3], 0 offset:684
	buffer_load_dword v31, off, s[0:3], 0 offset:660
	;; [unrolled: 1-line block ×3, first 2 shown]
	s_waitcnt vmcnt(58) lgkmcnt(0)
	v_mul_f64 v[68:69], v[8:9], v[50:51]
	v_mul_f64 v[50:51], v[10:11], v[50:51]
	ds_read_b128 v[4:7], v70 offset:1456
	s_waitcnt vmcnt(56)
	v_fma_f64 v[28:29], v[0:1], v[40:41], -v[28:29]
	v_fma_f64 v[40:41], v[2:3], v[40:41], v[125:126]
	v_add_f64 v[14:15], v[14:15], v[44:45]
	v_add_f64 v[12:13], v[12:13], v[22:23]
	s_clause 0x4
	buffer_load_dword v23, off, s[0:3], 0 offset:700
	buffer_load_dword v44, off, s[0:3], 0 offset:712
	buffer_load_dword v75, off, s[0:3], 0 offset:704
	buffer_load_dword v22, off, s[0:3], 0 offset:696
	buffer_load_dword v84, off, s[0:3], 0 offset:676
	ds_read_b128 v[0:3], v70 offset:1472
	s_waitcnt vmcnt(57) lgkmcnt(1)
	v_mul_f64 v[125:126], v[4:5], v[34:35]
	v_mul_f64 v[34:35], v[6:7], v[34:35]
	s_waitcnt vmcnt(56)
	v_fma_f64 v[50:51], v[8:9], v[52:53], -v[50:51]
	v_add_f64 v[14:15], v[14:15], v[28:29]
	v_fma_f64 v[28:29], v[10:11], v[52:53], v[68:69]
	v_add_f64 v[12:13], v[12:13], v[40:41]
	s_clause 0x2
	buffer_load_dword v45, off, s[0:3], 0 offset:716
	buffer_load_dword v41, off, s[0:3], 0 offset:692
	buffer_load_dword v40, off, s[0:3], 0 offset:688
	ds_read_b128 v[8:11], v70 offset:1488
	s_waitcnt vmcnt(58) lgkmcnt(1)
	v_mul_f64 v[52:53], v[0:1], v[58:59]
	v_mul_f64 v[58:59], v[2:3], v[58:59]
	s_waitcnt vmcnt(56)
	v_fma_f64 v[34:35], v[4:5], v[38:39], -v[34:35]
	v_fma_f64 v[38:39], v[6:7], v[38:39], v[125:126]
	v_add_f64 v[14:15], v[14:15], v[50:51]
	v_add_f64 v[12:13], v[12:13], v[28:29]
	s_clause 0x4
	buffer_load_dword v29, off, s[0:3], 0 offset:732
	buffer_load_dword v50, off, s[0:3], 0 offset:744
	buffer_load_dword v68, off, s[0:3], 0 offset:736
	buffer_load_dword v28, off, s[0:3], 0 offset:728
	buffer_load_dword v76, off, s[0:3], 0 offset:708
	ds_read_b128 v[4:7], v70 offset:1504
	s_waitcnt vmcnt(57) lgkmcnt(1)
	v_mul_f64 v[125:126], v[8:9], v[42:43]
	v_mul_f64 v[42:43], v[10:11], v[42:43]
	s_waitcnt vmcnt(56)
	v_fma_f64 v[58:59], v[0:1], v[60:61], -v[58:59]
	v_add_f64 v[14:15], v[14:15], v[34:35]
	v_fma_f64 v[34:35], v[2:3], v[60:61], v[52:53]
	v_add_f64 v[12:13], v[12:13], v[38:39]
	s_clause 0x2
	buffer_load_dword v51, off, s[0:3], 0 offset:748
	buffer_load_dword v39, off, s[0:3], 0 offset:724
	buffer_load_dword v38, off, s[0:3], 0 offset:720
	ds_read_b128 v[0:3], v70 offset:1520
	s_waitcnt vmcnt(58) lgkmcnt(1)
	v_mul_f64 v[60:61], v[6:7], v[64:65]
	v_mul_f64 v[52:53], v[4:5], v[64:65]
	;; [unrolled: 28-line block ×4, first 2 shown]
	s_waitcnt vmcnt(56)
	v_fma_f64 v[56:57], v[4:5], v[62:63], -v[56:57]
	v_add_f64 v[14:15], v[14:15], v[54:55]
	v_fma_f64 v[54:55], v[6:7], v[62:63], v[125:126]
	v_add_f64 v[12:13], v[12:13], v[48:49]
	s_clause 0x4
	buffer_load_dword v49, off, s[0:3], 0 offset:828
	buffer_load_dword v62, off, s[0:3], 0 offset:840
	;; [unrolled: 1-line block ×5, first 2 shown]
	ds_read_b128 v[4:7], v70 offset:1600
	s_waitcnt vmcnt(57) lgkmcnt(1)
	v_mul_f64 v[125:126], v[8:9], v[20:21]
	v_mul_f64 v[20:21], v[10:11], v[20:21]
	s_waitcnt vmcnt(56)
	v_fma_f64 v[73:74], v[0:1], v[81:82], -v[73:74]
	v_fma_f64 v[52:53], v[2:3], v[81:82], v[52:53]
	v_add_f64 v[14:15], v[14:15], v[56:57]
	v_add_f64 v[12:13], v[12:13], v[54:55]
	s_clause 0x2
	buffer_load_dword v63, off, s[0:3], 0 offset:844
	buffer_load_dword v55, off, s[0:3], 0 offset:820
	buffer_load_dword v54, off, s[0:3], 0 offset:816
	ds_read_b128 v[0:3], v70 offset:1616
	s_waitcnt vmcnt(58) lgkmcnt(1)
	v_mul_f64 v[56:57], v[4:5], v[79:80]
	v_mul_f64 v[79:80], v[6:7], v[79:80]
	s_waitcnt vmcnt(56)
	v_fma_f64 v[20:21], v[8:9], v[26:27], -v[20:21]
	v_fma_f64 v[26:27], v[10:11], v[26:27], v[125:126]
	v_add_f64 v[14:15], v[14:15], v[73:74]
	v_add_f64 v[12:13], v[12:13], v[52:53]
	s_clause 0x4
	buffer_load_dword v53, off, s[0:3], 0 offset:860
	buffer_load_dword v73, off, s[0:3], 0 offset:872
	buffer_load_dword v81, off, s[0:3], 0 offset:864
	buffer_load_dword v52, off, s[0:3], 0 offset:856
	buffer_load_dword v78, off, s[0:3], 0 offset:836
	ds_read_b128 v[8:11], v70 offset:1632
	s_waitcnt vmcnt(57) lgkmcnt(1)
	v_mul_f64 v[125:126], v[0:1], v[32:33]
	v_mul_f64 v[32:33], v[2:3], v[32:33]
	s_waitcnt vmcnt(56)
	v_fma_f64 v[79:80], v[4:5], v[119:120], -v[79:80]
	v_add_f64 v[14:15], v[14:15], v[20:21]
	v_fma_f64 v[20:21], v[6:7], v[119:120], v[56:57]
	v_add_f64 v[12:13], v[12:13], v[26:27]
	s_clause 0x2
	buffer_load_dword v74, off, s[0:3], 0 offset:876
	buffer_load_dword v27, off, s[0:3], 0 offset:852
	buffer_load_dword v26, off, s[0:3], 0 offset:848
	ds_read_b128 v[4:7], v70 offset:1648
	s_waitcnt vmcnt(58) lgkmcnt(1)
	v_mul_f64 v[56:57], v[8:9], v[71:72]
	v_mul_f64 v[71:72], v[10:11], v[71:72]
	s_waitcnt vmcnt(56)
	v_fma_f64 v[32:33], v[0:1], v[24:25], -v[32:33]
	v_fma_f64 v[24:25], v[2:3], v[24:25], v[125:126]
	v_add_f64 v[14:15], v[14:15], v[79:80]
	v_add_f64 v[12:13], v[12:13], v[20:21]
	s_clause 0x4
	buffer_load_dword v21, off, s[0:3], 0 offset:892
	buffer_load_dword v79, off, s[0:3], 0 offset:904
	buffer_load_dword v119, off, s[0:3], 0 offset:896
	buffer_load_dword v20, off, s[0:3], 0 offset:888
	buffer_load_dword v82, off, s[0:3], 0 offset:868
	ds_read_b128 v[0:3], v70 offset:1664
	s_waitcnt vmcnt(57) lgkmcnt(1)
	v_mul_f64 v[125:126], v[4:5], v[18:19]
	v_mul_f64 v[18:19], v[6:7], v[18:19]
	s_waitcnt vmcnt(56)
	v_fma_f64 v[71:72], v[8:9], v[117:118], -v[71:72]
	v_add_f64 v[14:15], v[14:15], v[32:33]
	v_fma_f64 v[32:33], v[10:11], v[117:118], v[56:57]
	;; [unrolled: 28-line block ×3, first 2 shown]
	v_add_f64 v[12:13], v[12:13], v[30:31]
	s_clause 0x2
	buffer_load_dword v72, off, s[0:3], 0 offset:940
	buffer_load_dword v31, off, s[0:3], 0 offset:916
	;; [unrolled: 1-line block ×3, first 2 shown]
	ds_read_b128 v[0:3], v70 offset:1712
	s_waitcnt vmcnt(58) lgkmcnt(1)
	v_mul_f64 v[56:57], v[4:5], v[44:45]
	v_mul_f64 v[44:45], v[6:7], v[44:45]
	s_waitcnt vmcnt(56)
	v_fma_f64 v[22:23], v[8:9], v[40:41], -v[22:23]
	v_add_f64 v[14:15], v[14:15], v[36:37]
	v_fma_f64 v[36:37], v[10:11], v[40:41], v[125:126]
	v_add_f64 v[12:13], v[12:13], v[18:19]
	s_clause 0x4
	buffer_load_dword v19, off, s[0:3], 0 offset:956
	buffer_load_dword v40, off, s[0:3], 0 offset:968
	;; [unrolled: 1-line block ×5, first 2 shown]
	ds_read_b128 v[8:11], v70 offset:1728
	s_waitcnt vmcnt(57) lgkmcnt(1)
	v_mul_f64 v[125:126], v[0:1], v[28:29]
	v_mul_f64 v[28:29], v[2:3], v[28:29]
	s_waitcnt vmcnt(56)
	v_fma_f64 v[44:45], v[4:5], v[75:76], -v[44:45]
	v_add_f64 v[14:15], v[14:15], v[22:23]
	v_fma_f64 v[22:23], v[6:7], v[75:76], v[56:57]
	v_add_f64 v[12:13], v[12:13], v[36:37]
	s_clause 0x2
	buffer_load_dword v41, off, s[0:3], 0 offset:972
	buffer_load_dword v37, off, s[0:3], 0 offset:948
	;; [unrolled: 1-line block ×3, first 2 shown]
	ds_read_b128 v[4:7], v70 offset:1744
	s_waitcnt vmcnt(58) lgkmcnt(1)
	v_mul_f64 v[56:57], v[8:9], v[50:51]
	v_mul_f64 v[50:51], v[10:11], v[50:51]
	s_waitcnt vmcnt(56)
	v_fma_f64 v[28:29], v[0:1], v[38:39], -v[28:29]
	v_fma_f64 v[38:39], v[2:3], v[38:39], v[125:126]
	v_add_f64 v[14:15], v[14:15], v[44:45]
	v_add_f64 v[12:13], v[12:13], v[22:23]
	s_clause 0x4
	buffer_load_dword v23, off, s[0:3], 0 offset:988
	buffer_load_dword v44, off, s[0:3], 0 offset:1000
	;; [unrolled: 1-line block ×5, first 2 shown]
	ds_read_b128 v[0:3], v70 offset:1760
	s_waitcnt vmcnt(57) lgkmcnt(1)
	v_mul_f64 v[125:126], v[4:5], v[34:35]
	v_mul_f64 v[34:35], v[6:7], v[34:35]
	s_waitcnt vmcnt(56)
	v_fma_f64 v[50:51], v[8:9], v[68:69], -v[50:51]
	v_add_f64 v[14:15], v[14:15], v[28:29]
	v_fma_f64 v[28:29], v[10:11], v[68:69], v[56:57]
	v_add_f64 v[12:13], v[12:13], v[38:39]
	s_clause 0x2
	buffer_load_dword v45, off, s[0:3], 0 offset:1004
	buffer_load_dword v39, off, s[0:3], 0 offset:980
	;; [unrolled: 1-line block ×3, first 2 shown]
	ds_read_b128 v[8:11], v70 offset:1776
	s_waitcnt vmcnt(58) lgkmcnt(1)
	v_mul_f64 v[56:57], v[0:1], v[58:59]
	v_mul_f64 v[58:59], v[2:3], v[58:59]
	s_waitcnt vmcnt(56)
	v_fma_f64 v[34:35], v[4:5], v[46:47], -v[34:35]
	v_fma_f64 v[46:47], v[6:7], v[46:47], v[125:126]
	v_add_f64 v[14:15], v[14:15], v[50:51]
	v_add_f64 v[12:13], v[12:13], v[28:29]
	s_clause 0x2
	buffer_load_dword v29, off, s[0:3], 0 offset:1020
	buffer_load_dword v28, off, s[0:3], 0 offset:1016
	;; [unrolled: 1-line block ×3, first 2 shown]
	ds_read_b128 v[4:7], v70 offset:1792
	s_waitcnt vmcnt(55) lgkmcnt(1)
	v_mul_f64 v[50:51], v[8:9], v[42:43]
	v_mul_f64 v[42:43], v[10:11], v[42:43]
	s_waitcnt vmcnt(54)
	v_fma_f64 v[58:59], v[0:1], v[64:65], -v[58:59]
	v_add_f64 v[14:15], v[14:15], v[34:35]
	v_fma_f64 v[34:35], v[2:3], v[64:65], v[56:57]
	v_add_f64 v[12:13], v[12:13], v[46:47]
	s_clause 0x1
	buffer_load_dword v47, off, s[0:3], 0 offset:1012
	buffer_load_dword v46, off, s[0:3], 0 offset:1008
	ds_read_b128 v[0:3], v70 offset:1808
	s_waitcnt vmcnt(55) lgkmcnt(1)
	v_mul_f64 v[56:57], v[4:5], v[60:61]
	v_mul_f64 v[60:61], v[6:7], v[60:61]
	s_waitcnt vmcnt(53)
	v_fma_f64 v[42:43], v[8:9], v[16:17], -v[42:43]
	v_fma_f64 v[16:17], v[10:11], v[16:17], v[50:51]
	ds_read_b128 v[8:11], v70 offset:1824
	v_add_f64 v[14:15], v[14:15], v[58:59]
	v_add_f64 v[12:13], v[12:13], v[34:35]
	s_waitcnt vmcnt(49) lgkmcnt(1)
	v_mul_f64 v[34:35], v[0:1], v[48:49]
	v_mul_f64 v[48:49], v[2:3], v[48:49]
	s_waitcnt vmcnt(48)
	v_fma_f64 v[50:51], v[4:5], v[66:67], -v[60:61]
	v_add_f64 v[14:15], v[14:15], v[42:43]
	v_fma_f64 v[42:43], v[6:7], v[66:67], v[56:57]
	v_add_f64 v[12:13], v[12:13], v[16:17]
	s_clause 0x3
	buffer_load_dword v16, off, s[0:3], 0 offset:16
	buffer_load_dword v17, off, s[0:3], 0 offset:20
	;; [unrolled: 1-line block ×4, first 2 shown]
	ds_read_b128 v[4:7], v70 offset:1840
	s_waitcnt vmcnt(51) lgkmcnt(1)
	v_mul_f64 v[60:61], v[10:11], v[62:63]
	v_mul_f64 v[58:59], v[8:9], v[62:63]
	s_waitcnt vmcnt(49)
	v_fma_f64 v[48:49], v[0:1], v[54:55], -v[48:49]
	v_fma_f64 v[34:35], v[2:3], v[54:55], v[34:35]
	ds_read_b128 v[0:3], v70 offset:1856
	v_add_f64 v[14:15], v[14:15], v[50:51]
	v_add_f64 v[12:13], v[12:13], v[42:43]
	s_waitcnt vmcnt(45) lgkmcnt(1)
	v_mul_f64 v[42:43], v[4:5], v[52:53]
	v_mul_f64 v[50:51], v[6:7], v[52:53]
	s_waitcnt vmcnt(44)
	v_fma_f64 v[52:53], v[8:9], v[77:78], -v[60:61]
	v_add_f64 v[14:15], v[14:15], v[48:49]
	v_fma_f64 v[48:49], v[10:11], v[77:78], v[58:59]
	v_add_f64 v[12:13], v[12:13], v[34:35]
	ds_read_b128 v[8:11], v70 offset:1872
	s_waitcnt vmcnt(43) lgkmcnt(1)
	v_mul_f64 v[54:55], v[2:3], v[73:74]
	v_mul_f64 v[34:35], v[0:1], v[73:74]
	s_waitcnt vmcnt(41)
	v_fma_f64 v[50:51], v[4:5], v[26:27], -v[50:51]
	v_fma_f64 v[26:27], v[6:7], v[26:27], v[42:43]
	ds_read_b128 v[4:7], v70 offset:1888
	v_add_f64 v[14:15], v[14:15], v[52:53]
	v_add_f64 v[12:13], v[12:13], v[48:49]
	s_waitcnt vmcnt(37) lgkmcnt(1)
	v_mul_f64 v[42:43], v[8:9], v[20:21]
	v_mul_f64 v[20:21], v[10:11], v[20:21]
	s_waitcnt vmcnt(36)
	v_fma_f64 v[48:49], v[0:1], v[81:82], -v[54:55]
	v_fma_f64 v[34:35], v[2:3], v[81:82], v[34:35]
	ds_read_b128 v[0:3], v70 offset:1904
	v_add_f64 v[14:15], v[14:15], v[50:51]
	v_add_f64 v[12:13], v[12:13], v[26:27]
	;; [unrolled: 9-line block ×3, first 2 shown]
	s_waitcnt vmcnt(29) lgkmcnt(1)
	v_mul_f64 v[34:35], v[0:1], v[32:33]
	v_mul_f64 v[32:33], v[2:3], v[32:33]
	s_waitcnt vmcnt(28)
	v_fma_f64 v[42:43], v[4:5], v[119:120], -v[50:51]
	v_add_f64 v[14:15], v[14:15], v[20:21]
	v_fma_f64 v[20:21], v[6:7], v[119:120], v[26:27]
	v_add_f64 v[12:13], v[12:13], v[24:25]
	ds_read_b128 v[4:7], v70 offset:1936
	s_waitcnt vmcnt(27) lgkmcnt(1)
	v_mul_f64 v[26:27], v[10:11], v[71:72]
	v_mul_f64 v[24:25], v[8:9], v[71:72]
	s_waitcnt vmcnt(25)
	v_fma_f64 v[32:33], v[0:1], v[30:31], -v[32:33]
	v_fma_f64 v[30:31], v[2:3], v[30:31], v[34:35]
	ds_read_b128 v[0:3], v70 offset:1952
	v_add_f64 v[14:15], v[14:15], v[42:43]
	v_add_f64 v[12:13], v[12:13], v[20:21]
	s_waitcnt vmcnt(21) lgkmcnt(1)
	v_mul_f64 v[20:21], v[4:5], v[18:19]
	v_mul_f64 v[18:19], v[6:7], v[18:19]
	s_waitcnt vmcnt(20)
	v_fma_f64 v[26:27], v[8:9], v[117:118], -v[26:27]
	v_fma_f64 v[24:25], v[10:11], v[117:118], v[24:25]
	ds_read_b128 v[8:11], v70 offset:1968
	v_add_f64 v[14:15], v[14:15], v[32:33]
	v_add_f64 v[12:13], v[12:13], v[30:31]
	;; [unrolled: 9-line block ×3, first 2 shown]
	s_waitcnt vmcnt(13) lgkmcnt(1)
	v_mul_f64 v[24:25], v[8:9], v[22:23]
	v_mul_f64 v[22:23], v[10:11], v[22:23]
	s_waitcnt vmcnt(12)
	v_fma_f64 v[26:27], v[0:1], v[83:84], -v[32:33]
	v_add_f64 v[14:15], v[14:15], v[18:19]
	v_fma_f64 v[18:19], v[2:3], v[83:84], v[30:31]
	v_add_f64 v[12:13], v[12:13], v[20:21]
	ds_read_b128 v[0:3], v70 offset:2000
	s_waitcnt vmcnt(11) lgkmcnt(1)
	v_mul_f64 v[30:31], v[6:7], v[44:45]
	v_mul_f64 v[20:21], v[4:5], v[44:45]
	s_waitcnt vmcnt(9)
	v_fma_f64 v[8:9], v[8:9], v[38:39], -v[22:23]
	v_fma_f64 v[10:11], v[10:11], v[38:39], v[24:25]
	v_add_f64 v[14:15], v[14:15], v[26:27]
	v_add_f64 v[12:13], v[12:13], v[18:19]
	s_waitcnt vmcnt(7) lgkmcnt(0)
	v_mul_f64 v[22:23], v[2:3], v[28:29]
	s_waitcnt vmcnt(6)
	v_fma_f64 v[4:5], v[4:5], v[75:76], -v[30:31]
	v_mul_f64 v[18:19], v[0:1], v[28:29]
	v_fma_f64 v[6:7], v[6:7], v[75:76], v[20:21]
	v_add_f64 v[8:9], v[14:15], v[8:9]
	v_add_f64 v[10:11], v[12:13], v[10:11]
	s_waitcnt vmcnt(4)
	v_fma_f64 v[0:1], v[0:1], v[46:47], -v[22:23]
	v_fma_f64 v[2:3], v[2:3], v[46:47], v[18:19]
	v_add_f64 v[4:5], v[8:9], v[4:5]
	v_add_f64 v[6:7], v[10:11], v[6:7]
	;; [unrolled: 1-line block ×4, first 2 shown]
	s_waitcnt vmcnt(2)
	v_add_f64 v[0:1], v[16:17], -v[0:1]
	s_waitcnt vmcnt(0)
	v_add_f64 v[2:3], v[56:57], -v[2:3]
	buffer_store_dword v1, off, s[0:3], 0 offset:20
	buffer_store_dword v0, off, s[0:3], 0 offset:16
	;; [unrolled: 1-line block ×4, first 2 shown]
	s_cbranch_vccz .LBB62_528
; %bb.404:
	v_mov_b32_e32 v0, 0
	global_load_dword v1, v0, s[20:21] offset:244
	s_waitcnt vmcnt(0)
	v_add_nc_u32_e32 v1, -1, v1
	v_cmp_ne_u32_e32 vcc_lo, 61, v1
	s_cbranch_vccz .LBB62_406
; %bb.405:
	v_lshlrev_b32_e32 v1, 4, v1
	v_mov_b32_e32 v2, s13
	v_add_nc_u32_e32 v1, 16, v1
	s_clause 0x7
	buffer_load_dword v3, v1, s[0:3], 0 offen
	buffer_load_dword v4, v1, s[0:3], 0 offen offset:4
	buffer_load_dword v5, v1, s[0:3], 0 offen offset:8
	;; [unrolled: 1-line block ×6, first 2 shown]
	buffer_load_dword v10, v2, s[0:3], 0 offen
	s_waitcnt vmcnt(7)
	buffer_store_dword v3, v2, s[0:3], 0 offen
	s_waitcnt vmcnt(6)
	buffer_store_dword v4, v2, s[0:3], 0 offen offset:4
	s_waitcnt vmcnt(5)
	buffer_store_dword v5, v2, s[0:3], 0 offen offset:8
	;; [unrolled: 2-line block ×6, first 2 shown]
	s_waitcnt vmcnt(0)
	buffer_store_dword v10, v1, s[0:3], 0 offen
.LBB62_406:
	global_load_dword v0, v0, s[20:21] offset:240
	s_waitcnt vmcnt(0)
	v_add_nc_u32_e32 v0, -1, v0
	v_cmp_eq_u32_e32 vcc_lo, 60, v0
	s_cbranch_vccnz .LBB62_408
; %bb.407:
	v_lshlrev_b32_e32 v0, 4, v0
	v_mov_b32_e32 v1, s14
	v_add_nc_u32_e32 v0, 16, v0
	s_clause 0x7
	buffer_load_dword v2, v0, s[0:3], 0 offen
	buffer_load_dword v3, v0, s[0:3], 0 offen offset:4
	buffer_load_dword v4, v0, s[0:3], 0 offen offset:8
	;; [unrolled: 1-line block ×6, first 2 shown]
	buffer_load_dword v9, v1, s[0:3], 0 offen
	s_waitcnt vmcnt(7)
	buffer_store_dword v2, v1, s[0:3], 0 offen
	s_waitcnt vmcnt(6)
	buffer_store_dword v3, v1, s[0:3], 0 offen offset:4
	s_waitcnt vmcnt(5)
	buffer_store_dword v4, v1, s[0:3], 0 offen offset:8
	;; [unrolled: 2-line block ×6, first 2 shown]
	s_waitcnt vmcnt(0)
	buffer_store_dword v9, v0, s[0:3], 0 offen
.LBB62_408:
	v_mov_b32_e32 v0, 0
	global_load_dword v1, v0, s[20:21] offset:236
	s_waitcnt vmcnt(0)
	v_add_nc_u32_e32 v1, -1, v1
	v_cmp_eq_u32_e32 vcc_lo, 59, v1
	s_cbranch_vccnz .LBB62_410
; %bb.409:
	v_lshlrev_b32_e32 v1, 4, v1
	v_mov_b32_e32 v2, s15
	v_add_nc_u32_e32 v1, 16, v1
	s_clause 0x7
	buffer_load_dword v3, v1, s[0:3], 0 offen
	buffer_load_dword v4, v1, s[0:3], 0 offen offset:4
	buffer_load_dword v5, v1, s[0:3], 0 offen offset:8
	;; [unrolled: 1-line block ×6, first 2 shown]
	buffer_load_dword v10, v2, s[0:3], 0 offen
	s_waitcnt vmcnt(7)
	buffer_store_dword v3, v2, s[0:3], 0 offen
	s_waitcnt vmcnt(6)
	buffer_store_dword v4, v2, s[0:3], 0 offen offset:4
	s_waitcnt vmcnt(5)
	buffer_store_dword v5, v2, s[0:3], 0 offen offset:8
	;; [unrolled: 2-line block ×6, first 2 shown]
	s_waitcnt vmcnt(0)
	buffer_store_dword v10, v1, s[0:3], 0 offen
.LBB62_410:
	global_load_dword v0, v0, s[20:21] offset:232
	s_waitcnt vmcnt(0)
	v_add_nc_u32_e32 v0, -1, v0
	v_cmp_eq_u32_e32 vcc_lo, 58, v0
	s_cbranch_vccnz .LBB62_412
; %bb.411:
	v_lshlrev_b32_e32 v0, 4, v0
	v_mov_b32_e32 v1, s16
	v_add_nc_u32_e32 v0, 16, v0
	s_clause 0x7
	buffer_load_dword v2, v0, s[0:3], 0 offen
	buffer_load_dword v3, v0, s[0:3], 0 offen offset:4
	buffer_load_dword v4, v0, s[0:3], 0 offen offset:8
	;; [unrolled: 1-line block ×6, first 2 shown]
	buffer_load_dword v9, v1, s[0:3], 0 offen
	s_waitcnt vmcnt(7)
	buffer_store_dword v2, v1, s[0:3], 0 offen
	s_waitcnt vmcnt(6)
	buffer_store_dword v3, v1, s[0:3], 0 offen offset:4
	s_waitcnt vmcnt(5)
	buffer_store_dword v4, v1, s[0:3], 0 offen offset:8
	;; [unrolled: 2-line block ×6, first 2 shown]
	s_waitcnt vmcnt(0)
	buffer_store_dword v9, v0, s[0:3], 0 offen
.LBB62_412:
	v_mov_b32_e32 v0, 0
	global_load_dword v1, v0, s[20:21] offset:228
	s_waitcnt vmcnt(0)
	v_add_nc_u32_e32 v1, -1, v1
	v_cmp_eq_u32_e32 vcc_lo, 57, v1
	s_cbranch_vccnz .LBB62_414
; %bb.413:
	v_lshlrev_b32_e32 v1, 4, v1
	v_mov_b32_e32 v2, s17
	v_add_nc_u32_e32 v1, 16, v1
	s_clause 0x7
	buffer_load_dword v3, v1, s[0:3], 0 offen
	buffer_load_dword v4, v1, s[0:3], 0 offen offset:4
	buffer_load_dword v5, v1, s[0:3], 0 offen offset:8
	;; [unrolled: 1-line block ×6, first 2 shown]
	buffer_load_dword v10, v2, s[0:3], 0 offen
	s_waitcnt vmcnt(7)
	buffer_store_dword v3, v2, s[0:3], 0 offen
	s_waitcnt vmcnt(6)
	buffer_store_dword v4, v2, s[0:3], 0 offen offset:4
	s_waitcnt vmcnt(5)
	buffer_store_dword v5, v2, s[0:3], 0 offen offset:8
	s_waitcnt vmcnt(4)
	buffer_store_dword v6, v2, s[0:3], 0 offen offset:12
	s_waitcnt vmcnt(3)
	buffer_store_dword v7, v1, s[0:3], 0 offen offset:12
	s_waitcnt vmcnt(2)
	buffer_store_dword v8, v1, s[0:3], 0 offen offset:8
	s_waitcnt vmcnt(1)
	buffer_store_dword v9, v1, s[0:3], 0 offen offset:4
	s_waitcnt vmcnt(0)
	buffer_store_dword v10, v1, s[0:3], 0 offen
.LBB62_414:
	global_load_dword v0, v0, s[20:21] offset:224
	s_waitcnt vmcnt(0)
	v_add_nc_u32_e32 v0, -1, v0
	v_cmp_eq_u32_e32 vcc_lo, 56, v0
	s_cbranch_vccnz .LBB62_416
; %bb.415:
	v_lshlrev_b32_e32 v0, 4, v0
	v_mov_b32_e32 v1, s18
	v_add_nc_u32_e32 v0, 16, v0
	s_clause 0x7
	buffer_load_dword v2, v0, s[0:3], 0 offen
	buffer_load_dword v3, v0, s[0:3], 0 offen offset:4
	buffer_load_dword v4, v0, s[0:3], 0 offen offset:8
	;; [unrolled: 1-line block ×6, first 2 shown]
	buffer_load_dword v9, v1, s[0:3], 0 offen
	s_waitcnt vmcnt(7)
	buffer_store_dword v2, v1, s[0:3], 0 offen
	s_waitcnt vmcnt(6)
	buffer_store_dword v3, v1, s[0:3], 0 offen offset:4
	s_waitcnt vmcnt(5)
	buffer_store_dword v4, v1, s[0:3], 0 offen offset:8
	;; [unrolled: 2-line block ×6, first 2 shown]
	s_waitcnt vmcnt(0)
	buffer_store_dword v9, v0, s[0:3], 0 offen
.LBB62_416:
	v_mov_b32_e32 v0, 0
	global_load_dword v1, v0, s[20:21] offset:220
	s_waitcnt vmcnt(0)
	v_add_nc_u32_e32 v1, -1, v1
	v_cmp_eq_u32_e32 vcc_lo, 55, v1
	s_cbranch_vccnz .LBB62_418
; %bb.417:
	v_lshlrev_b32_e32 v1, 4, v1
	v_mov_b32_e32 v2, s19
	v_add_nc_u32_e32 v1, 16, v1
	s_clause 0x7
	buffer_load_dword v3, v1, s[0:3], 0 offen
	buffer_load_dword v4, v1, s[0:3], 0 offen offset:4
	buffer_load_dword v5, v1, s[0:3], 0 offen offset:8
	;; [unrolled: 1-line block ×6, first 2 shown]
	buffer_load_dword v10, v2, s[0:3], 0 offen
	s_waitcnt vmcnt(7)
	buffer_store_dword v3, v2, s[0:3], 0 offen
	s_waitcnt vmcnt(6)
	buffer_store_dword v4, v2, s[0:3], 0 offen offset:4
	s_waitcnt vmcnt(5)
	buffer_store_dword v5, v2, s[0:3], 0 offen offset:8
	;; [unrolled: 2-line block ×6, first 2 shown]
	s_waitcnt vmcnt(0)
	buffer_store_dword v10, v1, s[0:3], 0 offen
.LBB62_418:
	global_load_dword v0, v0, s[20:21] offset:216
	s_waitcnt vmcnt(0)
	v_add_nc_u32_e32 v0, -1, v0
	v_cmp_eq_u32_e32 vcc_lo, 54, v0
	s_cbranch_vccnz .LBB62_420
; %bb.419:
	v_lshlrev_b32_e32 v0, 4, v0
	v_mov_b32_e32 v1, s22
	v_add_nc_u32_e32 v0, 16, v0
	s_clause 0x7
	buffer_load_dword v2, v0, s[0:3], 0 offen
	buffer_load_dword v3, v0, s[0:3], 0 offen offset:4
	buffer_load_dword v4, v0, s[0:3], 0 offen offset:8
	;; [unrolled: 1-line block ×6, first 2 shown]
	buffer_load_dword v9, v1, s[0:3], 0 offen
	s_waitcnt vmcnt(7)
	buffer_store_dword v2, v1, s[0:3], 0 offen
	s_waitcnt vmcnt(6)
	buffer_store_dword v3, v1, s[0:3], 0 offen offset:4
	s_waitcnt vmcnt(5)
	buffer_store_dword v4, v1, s[0:3], 0 offen offset:8
	;; [unrolled: 2-line block ×6, first 2 shown]
	s_waitcnt vmcnt(0)
	buffer_store_dword v9, v0, s[0:3], 0 offen
.LBB62_420:
	v_mov_b32_e32 v0, 0
	global_load_dword v1, v0, s[20:21] offset:212
	s_waitcnt vmcnt(0)
	v_add_nc_u32_e32 v1, -1, v1
	v_cmp_eq_u32_e32 vcc_lo, 53, v1
	s_cbranch_vccnz .LBB62_422
; %bb.421:
	v_lshlrev_b32_e32 v1, 4, v1
	v_mov_b32_e32 v2, s23
	v_add_nc_u32_e32 v1, 16, v1
	s_clause 0x7
	buffer_load_dword v3, v1, s[0:3], 0 offen
	buffer_load_dword v4, v1, s[0:3], 0 offen offset:4
	buffer_load_dword v5, v1, s[0:3], 0 offen offset:8
	;; [unrolled: 1-line block ×6, first 2 shown]
	buffer_load_dword v10, v2, s[0:3], 0 offen
	s_waitcnt vmcnt(7)
	buffer_store_dword v3, v2, s[0:3], 0 offen
	s_waitcnt vmcnt(6)
	buffer_store_dword v4, v2, s[0:3], 0 offen offset:4
	s_waitcnt vmcnt(5)
	buffer_store_dword v5, v2, s[0:3], 0 offen offset:8
	;; [unrolled: 2-line block ×6, first 2 shown]
	s_waitcnt vmcnt(0)
	buffer_store_dword v10, v1, s[0:3], 0 offen
.LBB62_422:
	global_load_dword v0, v0, s[20:21] offset:208
	s_waitcnt vmcnt(0)
	v_add_nc_u32_e32 v0, -1, v0
	v_cmp_eq_u32_e32 vcc_lo, 52, v0
	s_cbranch_vccnz .LBB62_424
; %bb.423:
	v_lshlrev_b32_e32 v0, 4, v0
	v_mov_b32_e32 v1, s24
	v_add_nc_u32_e32 v0, 16, v0
	s_clause 0x7
	buffer_load_dword v2, v0, s[0:3], 0 offen
	buffer_load_dword v3, v0, s[0:3], 0 offen offset:4
	buffer_load_dword v4, v0, s[0:3], 0 offen offset:8
	;; [unrolled: 1-line block ×6, first 2 shown]
	buffer_load_dword v9, v1, s[0:3], 0 offen
	s_waitcnt vmcnt(7)
	buffer_store_dword v2, v1, s[0:3], 0 offen
	s_waitcnt vmcnt(6)
	buffer_store_dword v3, v1, s[0:3], 0 offen offset:4
	s_waitcnt vmcnt(5)
	buffer_store_dword v4, v1, s[0:3], 0 offen offset:8
	;; [unrolled: 2-line block ×6, first 2 shown]
	s_waitcnt vmcnt(0)
	buffer_store_dword v9, v0, s[0:3], 0 offen
.LBB62_424:
	v_mov_b32_e32 v0, 0
	global_load_dword v1, v0, s[20:21] offset:204
	s_waitcnt vmcnt(0)
	v_add_nc_u32_e32 v1, -1, v1
	v_cmp_eq_u32_e32 vcc_lo, 51, v1
	s_cbranch_vccnz .LBB62_426
; %bb.425:
	v_lshlrev_b32_e32 v1, 4, v1
	v_mov_b32_e32 v2, s25
	v_add_nc_u32_e32 v1, 16, v1
	s_clause 0x7
	buffer_load_dword v3, v1, s[0:3], 0 offen
	buffer_load_dword v4, v1, s[0:3], 0 offen offset:4
	buffer_load_dword v5, v1, s[0:3], 0 offen offset:8
	;; [unrolled: 1-line block ×6, first 2 shown]
	buffer_load_dword v10, v2, s[0:3], 0 offen
	s_waitcnt vmcnt(7)
	buffer_store_dword v3, v2, s[0:3], 0 offen
	s_waitcnt vmcnt(6)
	buffer_store_dword v4, v2, s[0:3], 0 offen offset:4
	s_waitcnt vmcnt(5)
	buffer_store_dword v5, v2, s[0:3], 0 offen offset:8
	;; [unrolled: 2-line block ×6, first 2 shown]
	s_waitcnt vmcnt(0)
	buffer_store_dword v10, v1, s[0:3], 0 offen
.LBB62_426:
	global_load_dword v0, v0, s[20:21] offset:200
	s_waitcnt vmcnt(0)
	v_add_nc_u32_e32 v0, -1, v0
	v_cmp_eq_u32_e32 vcc_lo, 50, v0
	s_cbranch_vccnz .LBB62_428
; %bb.427:
	v_lshlrev_b32_e32 v0, 4, v0
	v_mov_b32_e32 v1, s26
	v_add_nc_u32_e32 v0, 16, v0
	s_clause 0x7
	buffer_load_dword v2, v0, s[0:3], 0 offen
	buffer_load_dword v3, v0, s[0:3], 0 offen offset:4
	buffer_load_dword v4, v0, s[0:3], 0 offen offset:8
	;; [unrolled: 1-line block ×6, first 2 shown]
	buffer_load_dword v9, v1, s[0:3], 0 offen
	s_waitcnt vmcnt(7)
	buffer_store_dword v2, v1, s[0:3], 0 offen
	s_waitcnt vmcnt(6)
	buffer_store_dword v3, v1, s[0:3], 0 offen offset:4
	s_waitcnt vmcnt(5)
	buffer_store_dword v4, v1, s[0:3], 0 offen offset:8
	;; [unrolled: 2-line block ×6, first 2 shown]
	s_waitcnt vmcnt(0)
	buffer_store_dword v9, v0, s[0:3], 0 offen
.LBB62_428:
	v_mov_b32_e32 v0, 0
	global_load_dword v1, v0, s[20:21] offset:196
	s_waitcnt vmcnt(0)
	v_add_nc_u32_e32 v1, -1, v1
	v_cmp_eq_u32_e32 vcc_lo, 49, v1
	s_cbranch_vccnz .LBB62_430
; %bb.429:
	v_lshlrev_b32_e32 v1, 4, v1
	v_mov_b32_e32 v2, s27
	v_add_nc_u32_e32 v1, 16, v1
	s_clause 0x7
	buffer_load_dword v3, v1, s[0:3], 0 offen
	buffer_load_dword v4, v1, s[0:3], 0 offen offset:4
	buffer_load_dword v5, v1, s[0:3], 0 offen offset:8
	;; [unrolled: 1-line block ×6, first 2 shown]
	buffer_load_dword v10, v2, s[0:3], 0 offen
	s_waitcnt vmcnt(7)
	buffer_store_dword v3, v2, s[0:3], 0 offen
	s_waitcnt vmcnt(6)
	buffer_store_dword v4, v2, s[0:3], 0 offen offset:4
	s_waitcnt vmcnt(5)
	buffer_store_dword v5, v2, s[0:3], 0 offen offset:8
	;; [unrolled: 2-line block ×6, first 2 shown]
	s_waitcnt vmcnt(0)
	buffer_store_dword v10, v1, s[0:3], 0 offen
.LBB62_430:
	global_load_dword v0, v0, s[20:21] offset:192
	s_waitcnt vmcnt(0)
	v_add_nc_u32_e32 v0, -1, v0
	v_cmp_eq_u32_e32 vcc_lo, 48, v0
	s_cbranch_vccnz .LBB62_432
; %bb.431:
	v_lshlrev_b32_e32 v0, 4, v0
	v_mov_b32_e32 v1, s28
	v_add_nc_u32_e32 v0, 16, v0
	s_clause 0x7
	buffer_load_dword v2, v0, s[0:3], 0 offen
	buffer_load_dword v3, v0, s[0:3], 0 offen offset:4
	buffer_load_dword v4, v0, s[0:3], 0 offen offset:8
	;; [unrolled: 1-line block ×6, first 2 shown]
	buffer_load_dword v9, v1, s[0:3], 0 offen
	s_waitcnt vmcnt(7)
	buffer_store_dword v2, v1, s[0:3], 0 offen
	s_waitcnt vmcnt(6)
	buffer_store_dword v3, v1, s[0:3], 0 offen offset:4
	s_waitcnt vmcnt(5)
	buffer_store_dword v4, v1, s[0:3], 0 offen offset:8
	;; [unrolled: 2-line block ×6, first 2 shown]
	s_waitcnt vmcnt(0)
	buffer_store_dword v9, v0, s[0:3], 0 offen
.LBB62_432:
	v_mov_b32_e32 v0, 0
	global_load_dword v1, v0, s[20:21] offset:188
	s_waitcnt vmcnt(0)
	v_add_nc_u32_e32 v1, -1, v1
	v_cmp_eq_u32_e32 vcc_lo, 47, v1
	s_cbranch_vccnz .LBB62_434
; %bb.433:
	v_lshlrev_b32_e32 v1, 4, v1
	v_mov_b32_e32 v2, s29
	v_add_nc_u32_e32 v1, 16, v1
	s_clause 0x7
	buffer_load_dword v3, v1, s[0:3], 0 offen
	buffer_load_dword v4, v1, s[0:3], 0 offen offset:4
	buffer_load_dword v5, v1, s[0:3], 0 offen offset:8
	;; [unrolled: 1-line block ×6, first 2 shown]
	buffer_load_dword v10, v2, s[0:3], 0 offen
	s_waitcnt vmcnt(7)
	buffer_store_dword v3, v2, s[0:3], 0 offen
	s_waitcnt vmcnt(6)
	buffer_store_dword v4, v2, s[0:3], 0 offen offset:4
	s_waitcnt vmcnt(5)
	buffer_store_dword v5, v2, s[0:3], 0 offen offset:8
	;; [unrolled: 2-line block ×6, first 2 shown]
	s_waitcnt vmcnt(0)
	buffer_store_dword v10, v1, s[0:3], 0 offen
.LBB62_434:
	global_load_dword v0, v0, s[20:21] offset:184
	s_waitcnt vmcnt(0)
	v_add_nc_u32_e32 v0, -1, v0
	v_cmp_eq_u32_e32 vcc_lo, 46, v0
	s_cbranch_vccnz .LBB62_436
; %bb.435:
	v_lshlrev_b32_e32 v0, 4, v0
	v_mov_b32_e32 v1, s30
	v_add_nc_u32_e32 v0, 16, v0
	s_clause 0x7
	buffer_load_dword v2, v0, s[0:3], 0 offen
	buffer_load_dword v3, v0, s[0:3], 0 offen offset:4
	buffer_load_dword v4, v0, s[0:3], 0 offen offset:8
	;; [unrolled: 1-line block ×6, first 2 shown]
	buffer_load_dword v9, v1, s[0:3], 0 offen
	s_waitcnt vmcnt(7)
	buffer_store_dword v2, v1, s[0:3], 0 offen
	s_waitcnt vmcnt(6)
	buffer_store_dword v3, v1, s[0:3], 0 offen offset:4
	s_waitcnt vmcnt(5)
	buffer_store_dword v4, v1, s[0:3], 0 offen offset:8
	;; [unrolled: 2-line block ×6, first 2 shown]
	s_waitcnt vmcnt(0)
	buffer_store_dword v9, v0, s[0:3], 0 offen
.LBB62_436:
	v_mov_b32_e32 v0, 0
	global_load_dword v1, v0, s[20:21] offset:180
	s_waitcnt vmcnt(0)
	v_add_nc_u32_e32 v1, -1, v1
	v_cmp_eq_u32_e32 vcc_lo, 45, v1
	s_cbranch_vccnz .LBB62_438
; %bb.437:
	v_lshlrev_b32_e32 v1, 4, v1
	v_mov_b32_e32 v2, s31
	v_add_nc_u32_e32 v1, 16, v1
	s_clause 0x7
	buffer_load_dword v3, v1, s[0:3], 0 offen
	buffer_load_dword v4, v1, s[0:3], 0 offen offset:4
	buffer_load_dword v5, v1, s[0:3], 0 offen offset:8
	;; [unrolled: 1-line block ×6, first 2 shown]
	buffer_load_dword v10, v2, s[0:3], 0 offen
	s_waitcnt vmcnt(7)
	buffer_store_dword v3, v2, s[0:3], 0 offen
	s_waitcnt vmcnt(6)
	buffer_store_dword v4, v2, s[0:3], 0 offen offset:4
	s_waitcnt vmcnt(5)
	buffer_store_dword v5, v2, s[0:3], 0 offen offset:8
	;; [unrolled: 2-line block ×6, first 2 shown]
	s_waitcnt vmcnt(0)
	buffer_store_dword v10, v1, s[0:3], 0 offen
.LBB62_438:
	global_load_dword v0, v0, s[20:21] offset:176
	s_waitcnt vmcnt(0)
	v_add_nc_u32_e32 v0, -1, v0
	v_cmp_eq_u32_e32 vcc_lo, 44, v0
	s_cbranch_vccnz .LBB62_440
; %bb.439:
	v_lshlrev_b32_e32 v0, 4, v0
	v_mov_b32_e32 v1, s33
	v_add_nc_u32_e32 v0, 16, v0
	s_clause 0x7
	buffer_load_dword v2, v0, s[0:3], 0 offen
	buffer_load_dword v3, v0, s[0:3], 0 offen offset:4
	buffer_load_dword v4, v0, s[0:3], 0 offen offset:8
	;; [unrolled: 1-line block ×6, first 2 shown]
	buffer_load_dword v9, v1, s[0:3], 0 offen
	s_waitcnt vmcnt(7)
	buffer_store_dword v2, v1, s[0:3], 0 offen
	s_waitcnt vmcnt(6)
	buffer_store_dword v3, v1, s[0:3], 0 offen offset:4
	s_waitcnt vmcnt(5)
	buffer_store_dword v4, v1, s[0:3], 0 offen offset:8
	;; [unrolled: 2-line block ×6, first 2 shown]
	s_waitcnt vmcnt(0)
	buffer_store_dword v9, v0, s[0:3], 0 offen
.LBB62_440:
	v_mov_b32_e32 v0, 0
	global_load_dword v1, v0, s[20:21] offset:172
	s_waitcnt vmcnt(0)
	v_add_nc_u32_e32 v1, -1, v1
	v_cmp_eq_u32_e32 vcc_lo, 43, v1
	s_cbranch_vccnz .LBB62_442
; %bb.441:
	v_lshlrev_b32_e32 v1, 4, v1
	v_mov_b32_e32 v2, s34
	v_add_nc_u32_e32 v1, 16, v1
	s_clause 0x7
	buffer_load_dword v3, v1, s[0:3], 0 offen
	buffer_load_dword v4, v1, s[0:3], 0 offen offset:4
	buffer_load_dword v5, v1, s[0:3], 0 offen offset:8
	;; [unrolled: 1-line block ×6, first 2 shown]
	buffer_load_dword v10, v2, s[0:3], 0 offen
	s_waitcnt vmcnt(7)
	buffer_store_dword v3, v2, s[0:3], 0 offen
	s_waitcnt vmcnt(6)
	buffer_store_dword v4, v2, s[0:3], 0 offen offset:4
	s_waitcnt vmcnt(5)
	buffer_store_dword v5, v2, s[0:3], 0 offen offset:8
	;; [unrolled: 2-line block ×6, first 2 shown]
	s_waitcnt vmcnt(0)
	buffer_store_dword v10, v1, s[0:3], 0 offen
.LBB62_442:
	global_load_dword v0, v0, s[20:21] offset:168
	s_waitcnt vmcnt(0)
	v_add_nc_u32_e32 v0, -1, v0
	v_cmp_eq_u32_e32 vcc_lo, 42, v0
	s_cbranch_vccnz .LBB62_444
; %bb.443:
	v_lshlrev_b32_e32 v0, 4, v0
	v_mov_b32_e32 v1, s35
	v_add_nc_u32_e32 v0, 16, v0
	s_clause 0x7
	buffer_load_dword v2, v0, s[0:3], 0 offen
	buffer_load_dword v3, v0, s[0:3], 0 offen offset:4
	buffer_load_dword v4, v0, s[0:3], 0 offen offset:8
	;; [unrolled: 1-line block ×6, first 2 shown]
	buffer_load_dword v9, v1, s[0:3], 0 offen
	s_waitcnt vmcnt(7)
	buffer_store_dword v2, v1, s[0:3], 0 offen
	s_waitcnt vmcnt(6)
	buffer_store_dword v3, v1, s[0:3], 0 offen offset:4
	s_waitcnt vmcnt(5)
	buffer_store_dword v4, v1, s[0:3], 0 offen offset:8
	;; [unrolled: 2-line block ×6, first 2 shown]
	s_waitcnt vmcnt(0)
	buffer_store_dword v9, v0, s[0:3], 0 offen
.LBB62_444:
	v_mov_b32_e32 v0, 0
	global_load_dword v1, v0, s[20:21] offset:164
	s_waitcnt vmcnt(0)
	v_add_nc_u32_e32 v1, -1, v1
	v_cmp_eq_u32_e32 vcc_lo, 41, v1
	s_cbranch_vccnz .LBB62_446
; %bb.445:
	v_lshlrev_b32_e32 v1, 4, v1
	v_mov_b32_e32 v2, s36
	v_add_nc_u32_e32 v1, 16, v1
	s_clause 0x7
	buffer_load_dword v3, v1, s[0:3], 0 offen
	buffer_load_dword v4, v1, s[0:3], 0 offen offset:4
	buffer_load_dword v5, v1, s[0:3], 0 offen offset:8
	buffer_load_dword v6, v1, s[0:3], 0 offen offset:12
	buffer_load_dword v7, v2, s[0:3], 0 offen offset:12
	buffer_load_dword v8, v2, s[0:3], 0 offen offset:8
	buffer_load_dword v9, v2, s[0:3], 0 offen offset:4
	buffer_load_dword v10, v2, s[0:3], 0 offen
	s_waitcnt vmcnt(7)
	buffer_store_dword v3, v2, s[0:3], 0 offen
	s_waitcnt vmcnt(6)
	buffer_store_dword v4, v2, s[0:3], 0 offen offset:4
	s_waitcnt vmcnt(5)
	buffer_store_dword v5, v2, s[0:3], 0 offen offset:8
	;; [unrolled: 2-line block ×6, first 2 shown]
	s_waitcnt vmcnt(0)
	buffer_store_dword v10, v1, s[0:3], 0 offen
.LBB62_446:
	global_load_dword v0, v0, s[20:21] offset:160
	s_waitcnt vmcnt(0)
	v_add_nc_u32_e32 v0, -1, v0
	v_cmp_eq_u32_e32 vcc_lo, 40, v0
	s_cbranch_vccnz .LBB62_448
; %bb.447:
	v_lshlrev_b32_e32 v0, 4, v0
	v_mov_b32_e32 v1, s37
	v_add_nc_u32_e32 v0, 16, v0
	s_clause 0x7
	buffer_load_dword v2, v0, s[0:3], 0 offen
	buffer_load_dword v3, v0, s[0:3], 0 offen offset:4
	buffer_load_dword v4, v0, s[0:3], 0 offen offset:8
	;; [unrolled: 1-line block ×6, first 2 shown]
	buffer_load_dword v9, v1, s[0:3], 0 offen
	s_waitcnt vmcnt(7)
	buffer_store_dword v2, v1, s[0:3], 0 offen
	s_waitcnt vmcnt(6)
	buffer_store_dword v3, v1, s[0:3], 0 offen offset:4
	s_waitcnt vmcnt(5)
	buffer_store_dword v4, v1, s[0:3], 0 offen offset:8
	;; [unrolled: 2-line block ×6, first 2 shown]
	s_waitcnt vmcnt(0)
	buffer_store_dword v9, v0, s[0:3], 0 offen
.LBB62_448:
	v_mov_b32_e32 v0, 0
	global_load_dword v1, v0, s[20:21] offset:156
	s_waitcnt vmcnt(0)
	v_add_nc_u32_e32 v1, -1, v1
	v_cmp_eq_u32_e32 vcc_lo, 39, v1
	s_cbranch_vccnz .LBB62_450
; %bb.449:
	v_lshlrev_b32_e32 v1, 4, v1
	v_mov_b32_e32 v2, s38
	v_add_nc_u32_e32 v1, 16, v1
	s_clause 0x7
	buffer_load_dword v3, v1, s[0:3], 0 offen
	buffer_load_dword v4, v1, s[0:3], 0 offen offset:4
	buffer_load_dword v5, v1, s[0:3], 0 offen offset:8
	;; [unrolled: 1-line block ×6, first 2 shown]
	buffer_load_dword v10, v2, s[0:3], 0 offen
	s_waitcnt vmcnt(7)
	buffer_store_dword v3, v2, s[0:3], 0 offen
	s_waitcnt vmcnt(6)
	buffer_store_dword v4, v2, s[0:3], 0 offen offset:4
	s_waitcnt vmcnt(5)
	buffer_store_dword v5, v2, s[0:3], 0 offen offset:8
	s_waitcnt vmcnt(4)
	buffer_store_dword v6, v2, s[0:3], 0 offen offset:12
	s_waitcnt vmcnt(3)
	buffer_store_dword v7, v1, s[0:3], 0 offen offset:12
	s_waitcnt vmcnt(2)
	buffer_store_dword v8, v1, s[0:3], 0 offen offset:8
	s_waitcnt vmcnt(1)
	buffer_store_dword v9, v1, s[0:3], 0 offen offset:4
	s_waitcnt vmcnt(0)
	buffer_store_dword v10, v1, s[0:3], 0 offen
.LBB62_450:
	global_load_dword v0, v0, s[20:21] offset:152
	s_waitcnt vmcnt(0)
	v_add_nc_u32_e32 v0, -1, v0
	v_cmp_eq_u32_e32 vcc_lo, 38, v0
	s_cbranch_vccnz .LBB62_452
; %bb.451:
	v_lshlrev_b32_e32 v0, 4, v0
	v_mov_b32_e32 v1, s39
	v_add_nc_u32_e32 v0, 16, v0
	s_clause 0x7
	buffer_load_dword v2, v0, s[0:3], 0 offen
	buffer_load_dword v3, v0, s[0:3], 0 offen offset:4
	buffer_load_dword v4, v0, s[0:3], 0 offen offset:8
	;; [unrolled: 1-line block ×6, first 2 shown]
	buffer_load_dword v9, v1, s[0:3], 0 offen
	s_waitcnt vmcnt(7)
	buffer_store_dword v2, v1, s[0:3], 0 offen
	s_waitcnt vmcnt(6)
	buffer_store_dword v3, v1, s[0:3], 0 offen offset:4
	s_waitcnt vmcnt(5)
	buffer_store_dword v4, v1, s[0:3], 0 offen offset:8
	;; [unrolled: 2-line block ×6, first 2 shown]
	s_waitcnt vmcnt(0)
	buffer_store_dword v9, v0, s[0:3], 0 offen
.LBB62_452:
	v_mov_b32_e32 v0, 0
	global_load_dword v1, v0, s[20:21] offset:148
	s_waitcnt vmcnt(0)
	v_add_nc_u32_e32 v1, -1, v1
	v_cmp_eq_u32_e32 vcc_lo, 37, v1
	s_cbranch_vccnz .LBB62_454
; %bb.453:
	v_lshlrev_b32_e32 v1, 4, v1
	v_mov_b32_e32 v2, s40
	v_add_nc_u32_e32 v1, 16, v1
	s_clause 0x7
	buffer_load_dword v3, v1, s[0:3], 0 offen
	buffer_load_dword v4, v1, s[0:3], 0 offen offset:4
	buffer_load_dword v5, v1, s[0:3], 0 offen offset:8
	;; [unrolled: 1-line block ×6, first 2 shown]
	buffer_load_dword v10, v2, s[0:3], 0 offen
	s_waitcnt vmcnt(7)
	buffer_store_dword v3, v2, s[0:3], 0 offen
	s_waitcnt vmcnt(6)
	buffer_store_dword v4, v2, s[0:3], 0 offen offset:4
	s_waitcnt vmcnt(5)
	buffer_store_dword v5, v2, s[0:3], 0 offen offset:8
	s_waitcnt vmcnt(4)
	buffer_store_dword v6, v2, s[0:3], 0 offen offset:12
	s_waitcnt vmcnt(3)
	buffer_store_dword v7, v1, s[0:3], 0 offen offset:12
	s_waitcnt vmcnt(2)
	buffer_store_dword v8, v1, s[0:3], 0 offen offset:8
	s_waitcnt vmcnt(1)
	buffer_store_dword v9, v1, s[0:3], 0 offen offset:4
	s_waitcnt vmcnt(0)
	buffer_store_dword v10, v1, s[0:3], 0 offen
.LBB62_454:
	global_load_dword v0, v0, s[20:21] offset:144
	s_waitcnt vmcnt(0)
	v_add_nc_u32_e32 v0, -1, v0
	v_cmp_eq_u32_e32 vcc_lo, 36, v0
	s_cbranch_vccnz .LBB62_456
; %bb.455:
	v_lshlrev_b32_e32 v0, 4, v0
	v_mov_b32_e32 v1, s41
	v_add_nc_u32_e32 v0, 16, v0
	s_clause 0x7
	buffer_load_dword v2, v0, s[0:3], 0 offen
	buffer_load_dword v3, v0, s[0:3], 0 offen offset:4
	buffer_load_dword v4, v0, s[0:3], 0 offen offset:8
	;; [unrolled: 1-line block ×6, first 2 shown]
	buffer_load_dword v9, v1, s[0:3], 0 offen
	s_waitcnt vmcnt(7)
	buffer_store_dword v2, v1, s[0:3], 0 offen
	s_waitcnt vmcnt(6)
	buffer_store_dword v3, v1, s[0:3], 0 offen offset:4
	s_waitcnt vmcnt(5)
	buffer_store_dword v4, v1, s[0:3], 0 offen offset:8
	;; [unrolled: 2-line block ×6, first 2 shown]
	s_waitcnt vmcnt(0)
	buffer_store_dword v9, v0, s[0:3], 0 offen
.LBB62_456:
	v_mov_b32_e32 v0, 0
	global_load_dword v1, v0, s[20:21] offset:140
	s_waitcnt vmcnt(0)
	v_add_nc_u32_e32 v1, -1, v1
	v_cmp_eq_u32_e32 vcc_lo, 35, v1
	s_cbranch_vccnz .LBB62_458
; %bb.457:
	v_lshlrev_b32_e32 v1, 4, v1
	v_mov_b32_e32 v2, s42
	v_add_nc_u32_e32 v1, 16, v1
	s_clause 0x7
	buffer_load_dword v3, v1, s[0:3], 0 offen
	buffer_load_dword v4, v1, s[0:3], 0 offen offset:4
	buffer_load_dword v5, v1, s[0:3], 0 offen offset:8
	;; [unrolled: 1-line block ×6, first 2 shown]
	buffer_load_dword v10, v2, s[0:3], 0 offen
	s_waitcnt vmcnt(7)
	buffer_store_dword v3, v2, s[0:3], 0 offen
	s_waitcnt vmcnt(6)
	buffer_store_dword v4, v2, s[0:3], 0 offen offset:4
	s_waitcnt vmcnt(5)
	buffer_store_dword v5, v2, s[0:3], 0 offen offset:8
	;; [unrolled: 2-line block ×6, first 2 shown]
	s_waitcnt vmcnt(0)
	buffer_store_dword v10, v1, s[0:3], 0 offen
.LBB62_458:
	global_load_dword v0, v0, s[20:21] offset:136
	s_waitcnt vmcnt(0)
	v_add_nc_u32_e32 v0, -1, v0
	v_cmp_eq_u32_e32 vcc_lo, 34, v0
	s_cbranch_vccnz .LBB62_460
; %bb.459:
	v_lshlrev_b32_e32 v0, 4, v0
	v_mov_b32_e32 v1, s43
	v_add_nc_u32_e32 v0, 16, v0
	s_clause 0x7
	buffer_load_dword v2, v0, s[0:3], 0 offen
	buffer_load_dword v3, v0, s[0:3], 0 offen offset:4
	buffer_load_dword v4, v0, s[0:3], 0 offen offset:8
	;; [unrolled: 1-line block ×6, first 2 shown]
	buffer_load_dword v9, v1, s[0:3], 0 offen
	s_waitcnt vmcnt(7)
	buffer_store_dword v2, v1, s[0:3], 0 offen
	s_waitcnt vmcnt(6)
	buffer_store_dword v3, v1, s[0:3], 0 offen offset:4
	s_waitcnt vmcnt(5)
	buffer_store_dword v4, v1, s[0:3], 0 offen offset:8
	;; [unrolled: 2-line block ×6, first 2 shown]
	s_waitcnt vmcnt(0)
	buffer_store_dword v9, v0, s[0:3], 0 offen
.LBB62_460:
	v_mov_b32_e32 v0, 0
	global_load_dword v1, v0, s[20:21] offset:132
	s_waitcnt vmcnt(0)
	v_add_nc_u32_e32 v1, -1, v1
	v_cmp_eq_u32_e32 vcc_lo, 33, v1
	s_cbranch_vccnz .LBB62_462
; %bb.461:
	v_lshlrev_b32_e32 v1, 4, v1
	v_mov_b32_e32 v2, s44
	v_add_nc_u32_e32 v1, 16, v1
	s_clause 0x7
	buffer_load_dword v3, v1, s[0:3], 0 offen
	buffer_load_dword v4, v1, s[0:3], 0 offen offset:4
	buffer_load_dword v5, v1, s[0:3], 0 offen offset:8
	;; [unrolled: 1-line block ×6, first 2 shown]
	buffer_load_dword v10, v2, s[0:3], 0 offen
	s_waitcnt vmcnt(7)
	buffer_store_dword v3, v2, s[0:3], 0 offen
	s_waitcnt vmcnt(6)
	buffer_store_dword v4, v2, s[0:3], 0 offen offset:4
	s_waitcnt vmcnt(5)
	buffer_store_dword v5, v2, s[0:3], 0 offen offset:8
	;; [unrolled: 2-line block ×6, first 2 shown]
	s_waitcnt vmcnt(0)
	buffer_store_dword v10, v1, s[0:3], 0 offen
.LBB62_462:
	global_load_dword v0, v0, s[20:21] offset:128
	s_waitcnt vmcnt(0)
	v_add_nc_u32_e32 v0, -1, v0
	v_cmp_eq_u32_e32 vcc_lo, 32, v0
	s_cbranch_vccnz .LBB62_464
; %bb.463:
	v_lshlrev_b32_e32 v0, 4, v0
	v_mov_b32_e32 v1, s45
	v_add_nc_u32_e32 v0, 16, v0
	s_clause 0x7
	buffer_load_dword v2, v0, s[0:3], 0 offen
	buffer_load_dword v3, v0, s[0:3], 0 offen offset:4
	buffer_load_dword v4, v0, s[0:3], 0 offen offset:8
	;; [unrolled: 1-line block ×6, first 2 shown]
	buffer_load_dword v9, v1, s[0:3], 0 offen
	s_waitcnt vmcnt(7)
	buffer_store_dword v2, v1, s[0:3], 0 offen
	s_waitcnt vmcnt(6)
	buffer_store_dword v3, v1, s[0:3], 0 offen offset:4
	s_waitcnt vmcnt(5)
	buffer_store_dword v4, v1, s[0:3], 0 offen offset:8
	;; [unrolled: 2-line block ×6, first 2 shown]
	s_waitcnt vmcnt(0)
	buffer_store_dword v9, v0, s[0:3], 0 offen
.LBB62_464:
	v_mov_b32_e32 v0, 0
	global_load_dword v1, v0, s[20:21] offset:124
	s_waitcnt vmcnt(0)
	v_add_nc_u32_e32 v1, -1, v1
	v_cmp_eq_u32_e32 vcc_lo, 31, v1
	s_cbranch_vccnz .LBB62_466
; %bb.465:
	v_lshlrev_b32_e32 v1, 4, v1
	v_mov_b32_e32 v2, s46
	v_add_nc_u32_e32 v1, 16, v1
	s_clause 0x7
	buffer_load_dword v3, v1, s[0:3], 0 offen
	buffer_load_dword v4, v1, s[0:3], 0 offen offset:4
	buffer_load_dword v5, v1, s[0:3], 0 offen offset:8
	;; [unrolled: 1-line block ×6, first 2 shown]
	buffer_load_dword v10, v2, s[0:3], 0 offen
	s_waitcnt vmcnt(7)
	buffer_store_dword v3, v2, s[0:3], 0 offen
	s_waitcnt vmcnt(6)
	buffer_store_dword v4, v2, s[0:3], 0 offen offset:4
	s_waitcnt vmcnt(5)
	buffer_store_dword v5, v2, s[0:3], 0 offen offset:8
	;; [unrolled: 2-line block ×6, first 2 shown]
	s_waitcnt vmcnt(0)
	buffer_store_dword v10, v1, s[0:3], 0 offen
.LBB62_466:
	global_load_dword v0, v0, s[20:21] offset:120
	s_waitcnt vmcnt(0)
	v_add_nc_u32_e32 v0, -1, v0
	v_cmp_eq_u32_e32 vcc_lo, 30, v0
	s_cbranch_vccnz .LBB62_468
; %bb.467:
	v_lshlrev_b32_e32 v0, 4, v0
	v_mov_b32_e32 v1, s47
	v_add_nc_u32_e32 v0, 16, v0
	s_clause 0x7
	buffer_load_dword v2, v0, s[0:3], 0 offen
	buffer_load_dword v3, v0, s[0:3], 0 offen offset:4
	buffer_load_dword v4, v0, s[0:3], 0 offen offset:8
	;; [unrolled: 1-line block ×6, first 2 shown]
	buffer_load_dword v9, v1, s[0:3], 0 offen
	s_waitcnt vmcnt(7)
	buffer_store_dword v2, v1, s[0:3], 0 offen
	s_waitcnt vmcnt(6)
	buffer_store_dword v3, v1, s[0:3], 0 offen offset:4
	s_waitcnt vmcnt(5)
	buffer_store_dword v4, v1, s[0:3], 0 offen offset:8
	;; [unrolled: 2-line block ×6, first 2 shown]
	s_waitcnt vmcnt(0)
	buffer_store_dword v9, v0, s[0:3], 0 offen
.LBB62_468:
	v_mov_b32_e32 v0, 0
	global_load_dword v1, v0, s[20:21] offset:116
	s_waitcnt vmcnt(0)
	v_add_nc_u32_e32 v1, -1, v1
	v_cmp_eq_u32_e32 vcc_lo, 29, v1
	s_cbranch_vccnz .LBB62_470
; %bb.469:
	v_lshlrev_b32_e32 v1, 4, v1
	v_mov_b32_e32 v2, s48
	v_add_nc_u32_e32 v1, 16, v1
	s_clause 0x7
	buffer_load_dword v3, v1, s[0:3], 0 offen
	buffer_load_dword v4, v1, s[0:3], 0 offen offset:4
	buffer_load_dword v5, v1, s[0:3], 0 offen offset:8
	;; [unrolled: 1-line block ×6, first 2 shown]
	buffer_load_dword v10, v2, s[0:3], 0 offen
	s_waitcnt vmcnt(7)
	buffer_store_dword v3, v2, s[0:3], 0 offen
	s_waitcnt vmcnt(6)
	buffer_store_dword v4, v2, s[0:3], 0 offen offset:4
	s_waitcnt vmcnt(5)
	buffer_store_dword v5, v2, s[0:3], 0 offen offset:8
	;; [unrolled: 2-line block ×6, first 2 shown]
	s_waitcnt vmcnt(0)
	buffer_store_dword v10, v1, s[0:3], 0 offen
.LBB62_470:
	global_load_dword v0, v0, s[20:21] offset:112
	s_waitcnt vmcnt(0)
	v_add_nc_u32_e32 v0, -1, v0
	v_cmp_eq_u32_e32 vcc_lo, 28, v0
	s_cbranch_vccnz .LBB62_472
; %bb.471:
	v_lshlrev_b32_e32 v0, 4, v0
	v_mov_b32_e32 v1, s49
	v_add_nc_u32_e32 v0, 16, v0
	s_clause 0x7
	buffer_load_dword v2, v0, s[0:3], 0 offen
	buffer_load_dword v3, v0, s[0:3], 0 offen offset:4
	buffer_load_dword v4, v0, s[0:3], 0 offen offset:8
	;; [unrolled: 1-line block ×6, first 2 shown]
	buffer_load_dword v9, v1, s[0:3], 0 offen
	s_waitcnt vmcnt(7)
	buffer_store_dword v2, v1, s[0:3], 0 offen
	s_waitcnt vmcnt(6)
	buffer_store_dword v3, v1, s[0:3], 0 offen offset:4
	s_waitcnt vmcnt(5)
	buffer_store_dword v4, v1, s[0:3], 0 offen offset:8
	;; [unrolled: 2-line block ×6, first 2 shown]
	s_waitcnt vmcnt(0)
	buffer_store_dword v9, v0, s[0:3], 0 offen
.LBB62_472:
	v_mov_b32_e32 v0, 0
	global_load_dword v1, v0, s[20:21] offset:108
	s_waitcnt vmcnt(0)
	v_add_nc_u32_e32 v1, -1, v1
	v_cmp_eq_u32_e32 vcc_lo, 27, v1
	s_cbranch_vccnz .LBB62_474
; %bb.473:
	v_lshlrev_b32_e32 v1, 4, v1
	v_mov_b32_e32 v2, s50
	v_add_nc_u32_e32 v1, 16, v1
	s_clause 0x7
	buffer_load_dword v3, v1, s[0:3], 0 offen
	buffer_load_dword v4, v1, s[0:3], 0 offen offset:4
	buffer_load_dword v5, v1, s[0:3], 0 offen offset:8
	;; [unrolled: 1-line block ×6, first 2 shown]
	buffer_load_dword v10, v2, s[0:3], 0 offen
	s_waitcnt vmcnt(7)
	buffer_store_dword v3, v2, s[0:3], 0 offen
	s_waitcnt vmcnt(6)
	buffer_store_dword v4, v2, s[0:3], 0 offen offset:4
	s_waitcnt vmcnt(5)
	buffer_store_dword v5, v2, s[0:3], 0 offen offset:8
	s_waitcnt vmcnt(4)
	buffer_store_dword v6, v2, s[0:3], 0 offen offset:12
	s_waitcnt vmcnt(3)
	buffer_store_dword v7, v1, s[0:3], 0 offen offset:12
	s_waitcnt vmcnt(2)
	buffer_store_dword v8, v1, s[0:3], 0 offen offset:8
	s_waitcnt vmcnt(1)
	buffer_store_dword v9, v1, s[0:3], 0 offen offset:4
	s_waitcnt vmcnt(0)
	buffer_store_dword v10, v1, s[0:3], 0 offen
.LBB62_474:
	global_load_dword v0, v0, s[20:21] offset:104
	s_waitcnt vmcnt(0)
	v_add_nc_u32_e32 v0, -1, v0
	v_cmp_eq_u32_e32 vcc_lo, 26, v0
	s_cbranch_vccnz .LBB62_476
; %bb.475:
	v_lshlrev_b32_e32 v0, 4, v0
	v_mov_b32_e32 v1, s51
	v_add_nc_u32_e32 v0, 16, v0
	s_clause 0x7
	buffer_load_dword v2, v0, s[0:3], 0 offen
	buffer_load_dword v3, v0, s[0:3], 0 offen offset:4
	buffer_load_dword v4, v0, s[0:3], 0 offen offset:8
	;; [unrolled: 1-line block ×6, first 2 shown]
	buffer_load_dword v9, v1, s[0:3], 0 offen
	s_waitcnt vmcnt(7)
	buffer_store_dword v2, v1, s[0:3], 0 offen
	s_waitcnt vmcnt(6)
	buffer_store_dword v3, v1, s[0:3], 0 offen offset:4
	s_waitcnt vmcnt(5)
	buffer_store_dword v4, v1, s[0:3], 0 offen offset:8
	;; [unrolled: 2-line block ×6, first 2 shown]
	s_waitcnt vmcnt(0)
	buffer_store_dword v9, v0, s[0:3], 0 offen
.LBB62_476:
	v_mov_b32_e32 v0, 0
	global_load_dword v1, v0, s[20:21] offset:100
	s_waitcnt vmcnt(0)
	v_add_nc_u32_e32 v1, -1, v1
	v_cmp_eq_u32_e32 vcc_lo, 25, v1
	s_cbranch_vccnz .LBB62_478
; %bb.477:
	v_lshlrev_b32_e32 v1, 4, v1
	v_mov_b32_e32 v2, s52
	v_add_nc_u32_e32 v1, 16, v1
	s_clause 0x7
	buffer_load_dword v3, v1, s[0:3], 0 offen
	buffer_load_dword v4, v1, s[0:3], 0 offen offset:4
	buffer_load_dword v5, v1, s[0:3], 0 offen offset:8
	;; [unrolled: 1-line block ×6, first 2 shown]
	buffer_load_dword v10, v2, s[0:3], 0 offen
	s_waitcnt vmcnt(7)
	buffer_store_dword v3, v2, s[0:3], 0 offen
	s_waitcnt vmcnt(6)
	buffer_store_dword v4, v2, s[0:3], 0 offen offset:4
	s_waitcnt vmcnt(5)
	buffer_store_dword v5, v2, s[0:3], 0 offen offset:8
	;; [unrolled: 2-line block ×6, first 2 shown]
	s_waitcnt vmcnt(0)
	buffer_store_dword v10, v1, s[0:3], 0 offen
.LBB62_478:
	global_load_dword v0, v0, s[20:21] offset:96
	s_waitcnt vmcnt(0)
	v_add_nc_u32_e32 v0, -1, v0
	v_cmp_eq_u32_e32 vcc_lo, 24, v0
	s_cbranch_vccnz .LBB62_480
; %bb.479:
	v_lshlrev_b32_e32 v0, 4, v0
	v_mov_b32_e32 v1, s53
	v_add_nc_u32_e32 v0, 16, v0
	s_clause 0x7
	buffer_load_dword v2, v0, s[0:3], 0 offen
	buffer_load_dword v3, v0, s[0:3], 0 offen offset:4
	buffer_load_dword v4, v0, s[0:3], 0 offen offset:8
	;; [unrolled: 1-line block ×6, first 2 shown]
	buffer_load_dword v9, v1, s[0:3], 0 offen
	s_waitcnt vmcnt(7)
	buffer_store_dword v2, v1, s[0:3], 0 offen
	s_waitcnt vmcnt(6)
	buffer_store_dword v3, v1, s[0:3], 0 offen offset:4
	s_waitcnt vmcnt(5)
	buffer_store_dword v4, v1, s[0:3], 0 offen offset:8
	s_waitcnt vmcnt(4)
	buffer_store_dword v5, v1, s[0:3], 0 offen offset:12
	s_waitcnt vmcnt(3)
	buffer_store_dword v6, v0, s[0:3], 0 offen offset:12
	s_waitcnt vmcnt(2)
	buffer_store_dword v7, v0, s[0:3], 0 offen offset:8
	s_waitcnt vmcnt(1)
	buffer_store_dword v8, v0, s[0:3], 0 offen offset:4
	s_waitcnt vmcnt(0)
	buffer_store_dword v9, v0, s[0:3], 0 offen
.LBB62_480:
	v_mov_b32_e32 v0, 0
	global_load_dword v1, v0, s[20:21] offset:92
	s_waitcnt vmcnt(0)
	v_add_nc_u32_e32 v1, -1, v1
	v_cmp_eq_u32_e32 vcc_lo, 23, v1
	s_cbranch_vccnz .LBB62_482
; %bb.481:
	v_lshlrev_b32_e32 v1, 4, v1
	v_mov_b32_e32 v2, s54
	v_add_nc_u32_e32 v1, 16, v1
	s_clause 0x7
	buffer_load_dword v3, v1, s[0:3], 0 offen
	buffer_load_dword v4, v1, s[0:3], 0 offen offset:4
	buffer_load_dword v5, v1, s[0:3], 0 offen offset:8
	;; [unrolled: 1-line block ×6, first 2 shown]
	buffer_load_dword v10, v2, s[0:3], 0 offen
	s_waitcnt vmcnt(7)
	buffer_store_dword v3, v2, s[0:3], 0 offen
	s_waitcnt vmcnt(6)
	buffer_store_dword v4, v2, s[0:3], 0 offen offset:4
	s_waitcnt vmcnt(5)
	buffer_store_dword v5, v2, s[0:3], 0 offen offset:8
	;; [unrolled: 2-line block ×6, first 2 shown]
	s_waitcnt vmcnt(0)
	buffer_store_dword v10, v1, s[0:3], 0 offen
.LBB62_482:
	global_load_dword v0, v0, s[20:21] offset:88
	s_waitcnt vmcnt(0)
	v_add_nc_u32_e32 v0, -1, v0
	v_cmp_eq_u32_e32 vcc_lo, 22, v0
	s_cbranch_vccnz .LBB62_484
; %bb.483:
	v_lshlrev_b32_e32 v0, 4, v0
	v_mov_b32_e32 v1, s55
	v_add_nc_u32_e32 v0, 16, v0
	s_clause 0x7
	buffer_load_dword v2, v0, s[0:3], 0 offen
	buffer_load_dword v3, v0, s[0:3], 0 offen offset:4
	buffer_load_dword v4, v0, s[0:3], 0 offen offset:8
	;; [unrolled: 1-line block ×6, first 2 shown]
	buffer_load_dword v9, v1, s[0:3], 0 offen
	s_waitcnt vmcnt(7)
	buffer_store_dword v2, v1, s[0:3], 0 offen
	s_waitcnt vmcnt(6)
	buffer_store_dword v3, v1, s[0:3], 0 offen offset:4
	s_waitcnt vmcnt(5)
	buffer_store_dword v4, v1, s[0:3], 0 offen offset:8
	;; [unrolled: 2-line block ×6, first 2 shown]
	s_waitcnt vmcnt(0)
	buffer_store_dword v9, v0, s[0:3], 0 offen
.LBB62_484:
	v_mov_b32_e32 v0, 0
	global_load_dword v1, v0, s[20:21] offset:84
	s_waitcnt vmcnt(0)
	v_add_nc_u32_e32 v1, -1, v1
	v_cmp_eq_u32_e32 vcc_lo, 21, v1
	s_cbranch_vccnz .LBB62_486
; %bb.485:
	v_lshlrev_b32_e32 v1, 4, v1
	v_mov_b32_e32 v2, s56
	v_add_nc_u32_e32 v1, 16, v1
	s_clause 0x7
	buffer_load_dword v3, v1, s[0:3], 0 offen
	buffer_load_dword v4, v1, s[0:3], 0 offen offset:4
	buffer_load_dword v5, v1, s[0:3], 0 offen offset:8
	;; [unrolled: 1-line block ×6, first 2 shown]
	buffer_load_dword v10, v2, s[0:3], 0 offen
	s_waitcnt vmcnt(7)
	buffer_store_dword v3, v2, s[0:3], 0 offen
	s_waitcnt vmcnt(6)
	buffer_store_dword v4, v2, s[0:3], 0 offen offset:4
	s_waitcnt vmcnt(5)
	buffer_store_dword v5, v2, s[0:3], 0 offen offset:8
	s_waitcnt vmcnt(4)
	buffer_store_dword v6, v2, s[0:3], 0 offen offset:12
	s_waitcnt vmcnt(3)
	buffer_store_dword v7, v1, s[0:3], 0 offen offset:12
	s_waitcnt vmcnt(2)
	buffer_store_dword v8, v1, s[0:3], 0 offen offset:8
	s_waitcnt vmcnt(1)
	buffer_store_dword v9, v1, s[0:3], 0 offen offset:4
	s_waitcnt vmcnt(0)
	buffer_store_dword v10, v1, s[0:3], 0 offen
.LBB62_486:
	global_load_dword v0, v0, s[20:21] offset:80
	s_waitcnt vmcnt(0)
	v_add_nc_u32_e32 v0, -1, v0
	v_cmp_eq_u32_e32 vcc_lo, 20, v0
	s_cbranch_vccnz .LBB62_488
; %bb.487:
	v_lshlrev_b32_e32 v0, 4, v0
	v_mov_b32_e32 v1, s57
	v_add_nc_u32_e32 v0, 16, v0
	s_clause 0x7
	buffer_load_dword v2, v0, s[0:3], 0 offen
	buffer_load_dword v3, v0, s[0:3], 0 offen offset:4
	buffer_load_dword v4, v0, s[0:3], 0 offen offset:8
	;; [unrolled: 1-line block ×6, first 2 shown]
	buffer_load_dword v9, v1, s[0:3], 0 offen
	s_waitcnt vmcnt(7)
	buffer_store_dword v2, v1, s[0:3], 0 offen
	s_waitcnt vmcnt(6)
	buffer_store_dword v3, v1, s[0:3], 0 offen offset:4
	s_waitcnt vmcnt(5)
	buffer_store_dword v4, v1, s[0:3], 0 offen offset:8
	;; [unrolled: 2-line block ×6, first 2 shown]
	s_waitcnt vmcnt(0)
	buffer_store_dword v9, v0, s[0:3], 0 offen
.LBB62_488:
	v_mov_b32_e32 v0, 0
	global_load_dword v1, v0, s[20:21] offset:76
	s_waitcnt vmcnt(0)
	v_add_nc_u32_e32 v1, -1, v1
	v_cmp_eq_u32_e32 vcc_lo, 19, v1
	s_cbranch_vccnz .LBB62_490
; %bb.489:
	v_lshlrev_b32_e32 v1, 4, v1
	v_mov_b32_e32 v2, s58
	v_add_nc_u32_e32 v1, 16, v1
	s_clause 0x7
	buffer_load_dword v3, v1, s[0:3], 0 offen
	buffer_load_dword v4, v1, s[0:3], 0 offen offset:4
	buffer_load_dword v5, v1, s[0:3], 0 offen offset:8
	;; [unrolled: 1-line block ×6, first 2 shown]
	buffer_load_dword v10, v2, s[0:3], 0 offen
	s_waitcnt vmcnt(7)
	buffer_store_dword v3, v2, s[0:3], 0 offen
	s_waitcnt vmcnt(6)
	buffer_store_dword v4, v2, s[0:3], 0 offen offset:4
	s_waitcnt vmcnt(5)
	buffer_store_dword v5, v2, s[0:3], 0 offen offset:8
	;; [unrolled: 2-line block ×6, first 2 shown]
	s_waitcnt vmcnt(0)
	buffer_store_dword v10, v1, s[0:3], 0 offen
.LBB62_490:
	global_load_dword v0, v0, s[20:21] offset:72
	s_waitcnt vmcnt(0)
	v_add_nc_u32_e32 v0, -1, v0
	v_cmp_eq_u32_e32 vcc_lo, 18, v0
	s_cbranch_vccnz .LBB62_492
; %bb.491:
	v_lshlrev_b32_e32 v0, 4, v0
	v_mov_b32_e32 v1, s59
	v_add_nc_u32_e32 v0, 16, v0
	s_clause 0x7
	buffer_load_dword v2, v0, s[0:3], 0 offen
	buffer_load_dword v3, v0, s[0:3], 0 offen offset:4
	buffer_load_dword v4, v0, s[0:3], 0 offen offset:8
	;; [unrolled: 1-line block ×6, first 2 shown]
	buffer_load_dword v9, v1, s[0:3], 0 offen
	s_waitcnt vmcnt(7)
	buffer_store_dword v2, v1, s[0:3], 0 offen
	s_waitcnt vmcnt(6)
	buffer_store_dword v3, v1, s[0:3], 0 offen offset:4
	s_waitcnt vmcnt(5)
	buffer_store_dword v4, v1, s[0:3], 0 offen offset:8
	s_waitcnt vmcnt(4)
	buffer_store_dword v5, v1, s[0:3], 0 offen offset:12
	s_waitcnt vmcnt(3)
	buffer_store_dword v6, v0, s[0:3], 0 offen offset:12
	s_waitcnt vmcnt(2)
	buffer_store_dword v7, v0, s[0:3], 0 offen offset:8
	s_waitcnt vmcnt(1)
	buffer_store_dword v8, v0, s[0:3], 0 offen offset:4
	s_waitcnt vmcnt(0)
	buffer_store_dword v9, v0, s[0:3], 0 offen
.LBB62_492:
	v_mov_b32_e32 v0, 0
	global_load_dword v1, v0, s[20:21] offset:68
	s_waitcnt vmcnt(0)
	v_add_nc_u32_e32 v1, -1, v1
	v_cmp_eq_u32_e32 vcc_lo, 17, v1
	s_cbranch_vccnz .LBB62_494
; %bb.493:
	v_lshlrev_b32_e32 v1, 4, v1
	v_mov_b32_e32 v2, s60
	v_add_nc_u32_e32 v1, 16, v1
	s_clause 0x7
	buffer_load_dword v3, v1, s[0:3], 0 offen
	buffer_load_dword v4, v1, s[0:3], 0 offen offset:4
	buffer_load_dword v5, v1, s[0:3], 0 offen offset:8
	;; [unrolled: 1-line block ×6, first 2 shown]
	buffer_load_dword v10, v2, s[0:3], 0 offen
	s_waitcnt vmcnt(7)
	buffer_store_dword v3, v2, s[0:3], 0 offen
	s_waitcnt vmcnt(6)
	buffer_store_dword v4, v2, s[0:3], 0 offen offset:4
	s_waitcnt vmcnt(5)
	buffer_store_dword v5, v2, s[0:3], 0 offen offset:8
	;; [unrolled: 2-line block ×6, first 2 shown]
	s_waitcnt vmcnt(0)
	buffer_store_dword v10, v1, s[0:3], 0 offen
.LBB62_494:
	global_load_dword v0, v0, s[20:21] offset:64
	s_waitcnt vmcnt(0)
	v_add_nc_u32_e32 v0, -1, v0
	v_cmp_eq_u32_e32 vcc_lo, 16, v0
	s_cbranch_vccnz .LBB62_496
; %bb.495:
	v_lshlrev_b32_e32 v0, 4, v0
	v_mov_b32_e32 v1, s61
	v_add_nc_u32_e32 v0, 16, v0
	s_clause 0x7
	buffer_load_dword v2, v0, s[0:3], 0 offen
	buffer_load_dword v3, v0, s[0:3], 0 offen offset:4
	buffer_load_dword v4, v0, s[0:3], 0 offen offset:8
	;; [unrolled: 1-line block ×6, first 2 shown]
	buffer_load_dword v9, v1, s[0:3], 0 offen
	s_waitcnt vmcnt(7)
	buffer_store_dword v2, v1, s[0:3], 0 offen
	s_waitcnt vmcnt(6)
	buffer_store_dword v3, v1, s[0:3], 0 offen offset:4
	s_waitcnt vmcnt(5)
	buffer_store_dword v4, v1, s[0:3], 0 offen offset:8
	;; [unrolled: 2-line block ×6, first 2 shown]
	s_waitcnt vmcnt(0)
	buffer_store_dword v9, v0, s[0:3], 0 offen
.LBB62_496:
	v_mov_b32_e32 v0, 0
	global_load_dword v1, v0, s[20:21] offset:60
	s_waitcnt vmcnt(0)
	v_add_nc_u32_e32 v1, -1, v1
	v_cmp_eq_u32_e32 vcc_lo, 15, v1
	s_cbranch_vccnz .LBB62_498
; %bb.497:
	v_lshlrev_b32_e32 v1, 4, v1
	v_mov_b32_e32 v2, s62
	v_add_nc_u32_e32 v1, 16, v1
	s_clause 0x7
	buffer_load_dword v3, v1, s[0:3], 0 offen
	buffer_load_dword v4, v1, s[0:3], 0 offen offset:4
	buffer_load_dword v5, v1, s[0:3], 0 offen offset:8
	;; [unrolled: 1-line block ×6, first 2 shown]
	buffer_load_dword v10, v2, s[0:3], 0 offen
	s_waitcnt vmcnt(7)
	buffer_store_dword v3, v2, s[0:3], 0 offen
	s_waitcnt vmcnt(6)
	buffer_store_dword v4, v2, s[0:3], 0 offen offset:4
	s_waitcnt vmcnt(5)
	buffer_store_dword v5, v2, s[0:3], 0 offen offset:8
	;; [unrolled: 2-line block ×6, first 2 shown]
	s_waitcnt vmcnt(0)
	buffer_store_dword v10, v1, s[0:3], 0 offen
.LBB62_498:
	global_load_dword v0, v0, s[20:21] offset:56
	s_waitcnt vmcnt(0)
	v_add_nc_u32_e32 v0, -1, v0
	v_cmp_eq_u32_e32 vcc_lo, 14, v0
	s_cbranch_vccnz .LBB62_500
; %bb.499:
	v_lshlrev_b32_e32 v0, 4, v0
	v_mov_b32_e32 v1, s64
	v_add_nc_u32_e32 v0, 16, v0
	s_clause 0x7
	buffer_load_dword v2, v0, s[0:3], 0 offen
	buffer_load_dword v3, v0, s[0:3], 0 offen offset:4
	buffer_load_dword v4, v0, s[0:3], 0 offen offset:8
	;; [unrolled: 1-line block ×6, first 2 shown]
	buffer_load_dword v9, v1, s[0:3], 0 offen
	s_waitcnt vmcnt(7)
	buffer_store_dword v2, v1, s[0:3], 0 offen
	s_waitcnt vmcnt(6)
	buffer_store_dword v3, v1, s[0:3], 0 offen offset:4
	s_waitcnt vmcnt(5)
	buffer_store_dword v4, v1, s[0:3], 0 offen offset:8
	;; [unrolled: 2-line block ×6, first 2 shown]
	s_waitcnt vmcnt(0)
	buffer_store_dword v9, v0, s[0:3], 0 offen
.LBB62_500:
	v_mov_b32_e32 v0, 0
	global_load_dword v1, v0, s[20:21] offset:52
	s_waitcnt vmcnt(0)
	v_add_nc_u32_e32 v1, -1, v1
	v_cmp_eq_u32_e32 vcc_lo, 13, v1
	s_cbranch_vccnz .LBB62_502
; %bb.501:
	v_lshlrev_b32_e32 v1, 4, v1
	v_mov_b32_e32 v2, s66
	v_add_nc_u32_e32 v1, 16, v1
	s_clause 0x7
	buffer_load_dword v3, v1, s[0:3], 0 offen
	buffer_load_dword v4, v1, s[0:3], 0 offen offset:4
	buffer_load_dword v5, v1, s[0:3], 0 offen offset:8
	;; [unrolled: 1-line block ×6, first 2 shown]
	buffer_load_dword v10, v2, s[0:3], 0 offen
	s_waitcnt vmcnt(7)
	buffer_store_dword v3, v2, s[0:3], 0 offen
	s_waitcnt vmcnt(6)
	buffer_store_dword v4, v2, s[0:3], 0 offen offset:4
	s_waitcnt vmcnt(5)
	buffer_store_dword v5, v2, s[0:3], 0 offen offset:8
	;; [unrolled: 2-line block ×6, first 2 shown]
	s_waitcnt vmcnt(0)
	buffer_store_dword v10, v1, s[0:3], 0 offen
.LBB62_502:
	global_load_dword v0, v0, s[20:21] offset:48
	s_waitcnt vmcnt(0)
	v_add_nc_u32_e32 v0, -1, v0
	v_cmp_eq_u32_e32 vcc_lo, 12, v0
	s_cbranch_vccnz .LBB62_504
; %bb.503:
	v_lshlrev_b32_e32 v0, 4, v0
	v_mov_b32_e32 v1, s67
	v_add_nc_u32_e32 v0, 16, v0
	s_clause 0x7
	buffer_load_dword v2, v0, s[0:3], 0 offen
	buffer_load_dword v3, v0, s[0:3], 0 offen offset:4
	buffer_load_dword v4, v0, s[0:3], 0 offen offset:8
	;; [unrolled: 1-line block ×6, first 2 shown]
	buffer_load_dword v9, v1, s[0:3], 0 offen
	s_waitcnt vmcnt(7)
	buffer_store_dword v2, v1, s[0:3], 0 offen
	s_waitcnt vmcnt(6)
	buffer_store_dword v3, v1, s[0:3], 0 offen offset:4
	s_waitcnt vmcnt(5)
	buffer_store_dword v4, v1, s[0:3], 0 offen offset:8
	;; [unrolled: 2-line block ×6, first 2 shown]
	s_waitcnt vmcnt(0)
	buffer_store_dword v9, v0, s[0:3], 0 offen
.LBB62_504:
	v_mov_b32_e32 v0, 0
	global_load_dword v1, v0, s[20:21] offset:44
	s_waitcnt vmcnt(0)
	v_add_nc_u32_e32 v1, -1, v1
	v_cmp_eq_u32_e32 vcc_lo, 11, v1
	s_cbranch_vccnz .LBB62_506
; %bb.505:
	v_lshlrev_b32_e32 v1, 4, v1
	v_mov_b32_e32 v2, s68
	v_add_nc_u32_e32 v1, 16, v1
	s_clause 0x7
	buffer_load_dword v3, v1, s[0:3], 0 offen
	buffer_load_dword v4, v1, s[0:3], 0 offen offset:4
	buffer_load_dword v5, v1, s[0:3], 0 offen offset:8
	;; [unrolled: 1-line block ×6, first 2 shown]
	buffer_load_dword v10, v2, s[0:3], 0 offen
	s_waitcnt vmcnt(7)
	buffer_store_dword v3, v2, s[0:3], 0 offen
	s_waitcnt vmcnt(6)
	buffer_store_dword v4, v2, s[0:3], 0 offen offset:4
	s_waitcnt vmcnt(5)
	buffer_store_dword v5, v2, s[0:3], 0 offen offset:8
	;; [unrolled: 2-line block ×6, first 2 shown]
	s_waitcnt vmcnt(0)
	buffer_store_dword v10, v1, s[0:3], 0 offen
.LBB62_506:
	global_load_dword v0, v0, s[20:21] offset:40
	s_waitcnt vmcnt(0)
	v_add_nc_u32_e32 v0, -1, v0
	v_cmp_eq_u32_e32 vcc_lo, 10, v0
	s_cbranch_vccnz .LBB62_508
; %bb.507:
	v_lshlrev_b32_e32 v0, 4, v0
	v_mov_b32_e32 v1, s69
	v_add_nc_u32_e32 v0, 16, v0
	s_clause 0x7
	buffer_load_dword v2, v0, s[0:3], 0 offen
	buffer_load_dword v3, v0, s[0:3], 0 offen offset:4
	buffer_load_dword v4, v0, s[0:3], 0 offen offset:8
	;; [unrolled: 1-line block ×6, first 2 shown]
	buffer_load_dword v9, v1, s[0:3], 0 offen
	s_waitcnt vmcnt(7)
	buffer_store_dword v2, v1, s[0:3], 0 offen
	s_waitcnt vmcnt(6)
	buffer_store_dword v3, v1, s[0:3], 0 offen offset:4
	s_waitcnt vmcnt(5)
	buffer_store_dword v4, v1, s[0:3], 0 offen offset:8
	;; [unrolled: 2-line block ×6, first 2 shown]
	s_waitcnt vmcnt(0)
	buffer_store_dword v9, v0, s[0:3], 0 offen
.LBB62_508:
	v_mov_b32_e32 v0, 0
	global_load_dword v1, v0, s[20:21] offset:36
	s_waitcnt vmcnt(0)
	v_add_nc_u32_e32 v1, -1, v1
	v_cmp_eq_u32_e32 vcc_lo, 9, v1
	s_cbranch_vccnz .LBB62_510
; %bb.509:
	v_lshlrev_b32_e32 v1, 4, v1
	v_mov_b32_e32 v2, s70
	v_add_nc_u32_e32 v1, 16, v1
	s_clause 0x7
	buffer_load_dword v3, v1, s[0:3], 0 offen
	buffer_load_dword v4, v1, s[0:3], 0 offen offset:4
	buffer_load_dword v5, v1, s[0:3], 0 offen offset:8
	;; [unrolled: 1-line block ×6, first 2 shown]
	buffer_load_dword v10, v2, s[0:3], 0 offen
	s_waitcnt vmcnt(7)
	buffer_store_dword v3, v2, s[0:3], 0 offen
	s_waitcnt vmcnt(6)
	buffer_store_dword v4, v2, s[0:3], 0 offen offset:4
	s_waitcnt vmcnt(5)
	buffer_store_dword v5, v2, s[0:3], 0 offen offset:8
	;; [unrolled: 2-line block ×6, first 2 shown]
	s_waitcnt vmcnt(0)
	buffer_store_dword v10, v1, s[0:3], 0 offen
.LBB62_510:
	global_load_dword v0, v0, s[20:21] offset:32
	s_waitcnt vmcnt(0)
	v_add_nc_u32_e32 v0, -1, v0
	v_cmp_eq_u32_e32 vcc_lo, 8, v0
	s_cbranch_vccnz .LBB62_512
; %bb.511:
	v_lshlrev_b32_e32 v0, 4, v0
	v_mov_b32_e32 v1, s71
	v_add_nc_u32_e32 v0, 16, v0
	s_clause 0x7
	buffer_load_dword v2, v0, s[0:3], 0 offen
	buffer_load_dword v3, v0, s[0:3], 0 offen offset:4
	buffer_load_dword v4, v0, s[0:3], 0 offen offset:8
	;; [unrolled: 1-line block ×6, first 2 shown]
	buffer_load_dword v9, v1, s[0:3], 0 offen
	s_waitcnt vmcnt(7)
	buffer_store_dword v2, v1, s[0:3], 0 offen
	s_waitcnt vmcnt(6)
	buffer_store_dword v3, v1, s[0:3], 0 offen offset:4
	s_waitcnt vmcnt(5)
	buffer_store_dword v4, v1, s[0:3], 0 offen offset:8
	;; [unrolled: 2-line block ×6, first 2 shown]
	s_waitcnt vmcnt(0)
	buffer_store_dword v9, v0, s[0:3], 0 offen
.LBB62_512:
	v_mov_b32_e32 v0, 0
	global_load_dword v1, v0, s[20:21] offset:28
	s_waitcnt vmcnt(0)
	v_add_nc_u32_e32 v1, -1, v1
	v_cmp_eq_u32_e32 vcc_lo, 7, v1
	s_cbranch_vccnz .LBB62_514
; %bb.513:
	v_lshlrev_b32_e32 v1, 4, v1
	v_mov_b32_e32 v2, s72
	v_add_nc_u32_e32 v1, 16, v1
	s_clause 0x7
	buffer_load_dword v3, v1, s[0:3], 0 offen
	buffer_load_dword v4, v1, s[0:3], 0 offen offset:4
	buffer_load_dword v5, v1, s[0:3], 0 offen offset:8
	buffer_load_dword v6, v1, s[0:3], 0 offen offset:12
	buffer_load_dword v7, v2, s[0:3], 0 offen offset:12
	buffer_load_dword v8, v2, s[0:3], 0 offen offset:8
	buffer_load_dword v9, v2, s[0:3], 0 offen offset:4
	buffer_load_dword v10, v2, s[0:3], 0 offen
	s_waitcnt vmcnt(7)
	buffer_store_dword v3, v2, s[0:3], 0 offen
	s_waitcnt vmcnt(6)
	buffer_store_dword v4, v2, s[0:3], 0 offen offset:4
	s_waitcnt vmcnt(5)
	buffer_store_dword v5, v2, s[0:3], 0 offen offset:8
	;; [unrolled: 2-line block ×6, first 2 shown]
	s_waitcnt vmcnt(0)
	buffer_store_dword v10, v1, s[0:3], 0 offen
.LBB62_514:
	global_load_dword v0, v0, s[20:21] offset:24
	s_waitcnt vmcnt(0)
	v_add_nc_u32_e32 v0, -1, v0
	v_cmp_eq_u32_e32 vcc_lo, 6, v0
	s_cbranch_vccnz .LBB62_516
; %bb.515:
	v_lshlrev_b32_e32 v0, 4, v0
	v_mov_b32_e32 v1, s73
	v_add_nc_u32_e32 v0, 16, v0
	s_clause 0x7
	buffer_load_dword v2, v0, s[0:3], 0 offen
	buffer_load_dword v3, v0, s[0:3], 0 offen offset:4
	buffer_load_dword v4, v0, s[0:3], 0 offen offset:8
	;; [unrolled: 1-line block ×6, first 2 shown]
	buffer_load_dword v9, v1, s[0:3], 0 offen
	s_waitcnt vmcnt(7)
	buffer_store_dword v2, v1, s[0:3], 0 offen
	s_waitcnt vmcnt(6)
	buffer_store_dword v3, v1, s[0:3], 0 offen offset:4
	s_waitcnt vmcnt(5)
	buffer_store_dword v4, v1, s[0:3], 0 offen offset:8
	s_waitcnt vmcnt(4)
	buffer_store_dword v5, v1, s[0:3], 0 offen offset:12
	s_waitcnt vmcnt(3)
	buffer_store_dword v6, v0, s[0:3], 0 offen offset:12
	s_waitcnt vmcnt(2)
	buffer_store_dword v7, v0, s[0:3], 0 offen offset:8
	s_waitcnt vmcnt(1)
	buffer_store_dword v8, v0, s[0:3], 0 offen offset:4
	s_waitcnt vmcnt(0)
	buffer_store_dword v9, v0, s[0:3], 0 offen
.LBB62_516:
	v_mov_b32_e32 v0, 0
	global_load_dword v1, v0, s[20:21] offset:20
	s_waitcnt vmcnt(0)
	v_add_nc_u32_e32 v1, -1, v1
	v_cmp_eq_u32_e32 vcc_lo, 5, v1
	s_cbranch_vccnz .LBB62_518
; %bb.517:
	v_lshlrev_b32_e32 v1, 4, v1
	v_mov_b32_e32 v2, s74
	v_add_nc_u32_e32 v1, 16, v1
	s_clause 0x7
	buffer_load_dword v3, v1, s[0:3], 0 offen
	buffer_load_dword v4, v1, s[0:3], 0 offen offset:4
	buffer_load_dword v5, v1, s[0:3], 0 offen offset:8
	;; [unrolled: 1-line block ×6, first 2 shown]
	buffer_load_dword v10, v2, s[0:3], 0 offen
	s_waitcnt vmcnt(7)
	buffer_store_dword v3, v2, s[0:3], 0 offen
	s_waitcnt vmcnt(6)
	buffer_store_dword v4, v2, s[0:3], 0 offen offset:4
	s_waitcnt vmcnt(5)
	buffer_store_dword v5, v2, s[0:3], 0 offen offset:8
	;; [unrolled: 2-line block ×6, first 2 shown]
	s_waitcnt vmcnt(0)
	buffer_store_dword v10, v1, s[0:3], 0 offen
.LBB62_518:
	global_load_dword v0, v0, s[20:21] offset:16
	s_waitcnt vmcnt(0)
	v_add_nc_u32_e32 v0, -1, v0
	v_cmp_eq_u32_e32 vcc_lo, 4, v0
	s_cbranch_vccnz .LBB62_520
; %bb.519:
	v_lshlrev_b32_e32 v0, 4, v0
	v_mov_b32_e32 v1, s75
	v_add_nc_u32_e32 v0, 16, v0
	s_clause 0x7
	buffer_load_dword v2, v0, s[0:3], 0 offen
	buffer_load_dword v3, v0, s[0:3], 0 offen offset:4
	buffer_load_dword v4, v0, s[0:3], 0 offen offset:8
	;; [unrolled: 1-line block ×6, first 2 shown]
	buffer_load_dword v9, v1, s[0:3], 0 offen
	s_waitcnt vmcnt(7)
	buffer_store_dword v2, v1, s[0:3], 0 offen
	s_waitcnt vmcnt(6)
	buffer_store_dword v3, v1, s[0:3], 0 offen offset:4
	s_waitcnt vmcnt(5)
	buffer_store_dword v4, v1, s[0:3], 0 offen offset:8
	;; [unrolled: 2-line block ×6, first 2 shown]
	s_waitcnt vmcnt(0)
	buffer_store_dword v9, v0, s[0:3], 0 offen
.LBB62_520:
	v_mov_b32_e32 v0, 0
	global_load_dword v1, v0, s[20:21] offset:12
	s_waitcnt vmcnt(0)
	v_add_nc_u32_e32 v1, -1, v1
	v_cmp_eq_u32_e32 vcc_lo, 3, v1
	s_cbranch_vccnz .LBB62_522
; %bb.521:
	v_lshlrev_b32_e32 v1, 4, v1
	v_mov_b32_e32 v2, s77
	v_add_nc_u32_e32 v1, 16, v1
	s_clause 0x7
	buffer_load_dword v3, v1, s[0:3], 0 offen
	buffer_load_dword v4, v1, s[0:3], 0 offen offset:4
	buffer_load_dword v5, v1, s[0:3], 0 offen offset:8
	;; [unrolled: 1-line block ×6, first 2 shown]
	buffer_load_dword v10, v2, s[0:3], 0 offen
	s_waitcnt vmcnt(7)
	buffer_store_dword v3, v2, s[0:3], 0 offen
	s_waitcnt vmcnt(6)
	buffer_store_dword v4, v2, s[0:3], 0 offen offset:4
	s_waitcnt vmcnt(5)
	buffer_store_dword v5, v2, s[0:3], 0 offen offset:8
	;; [unrolled: 2-line block ×6, first 2 shown]
	s_waitcnt vmcnt(0)
	buffer_store_dword v10, v1, s[0:3], 0 offen
.LBB62_522:
	global_load_dword v0, v0, s[20:21] offset:8
	s_waitcnt vmcnt(0)
	v_add_nc_u32_e32 v0, -1, v0
	v_cmp_eq_u32_e32 vcc_lo, 2, v0
	s_cbranch_vccnz .LBB62_524
; %bb.523:
	v_lshlrev_b32_e32 v0, 4, v0
	v_mov_b32_e32 v1, s63
	v_add_nc_u32_e32 v0, 16, v0
	s_clause 0x7
	buffer_load_dword v2, v0, s[0:3], 0 offen
	buffer_load_dword v3, v0, s[0:3], 0 offen offset:4
	buffer_load_dword v4, v0, s[0:3], 0 offen offset:8
	;; [unrolled: 1-line block ×6, first 2 shown]
	buffer_load_dword v9, v1, s[0:3], 0 offen
	s_waitcnt vmcnt(7)
	buffer_store_dword v2, v1, s[0:3], 0 offen
	s_waitcnt vmcnt(6)
	buffer_store_dword v3, v1, s[0:3], 0 offen offset:4
	s_waitcnt vmcnt(5)
	buffer_store_dword v4, v1, s[0:3], 0 offen offset:8
	;; [unrolled: 2-line block ×6, first 2 shown]
	s_waitcnt vmcnt(0)
	buffer_store_dword v9, v0, s[0:3], 0 offen
.LBB62_524:
	v_mov_b32_e32 v0, 0
	global_load_dword v1, v0, s[20:21] offset:4
	s_waitcnt vmcnt(0)
	v_add_nc_u32_e32 v1, -1, v1
	v_cmp_eq_u32_e32 vcc_lo, 1, v1
	s_cbranch_vccnz .LBB62_526
; %bb.525:
	v_lshlrev_b32_e32 v1, 4, v1
	v_mov_b32_e32 v2, s65
	v_add_nc_u32_e32 v1, 16, v1
	s_clause 0x7
	buffer_load_dword v3, v1, s[0:3], 0 offen
	buffer_load_dword v4, v1, s[0:3], 0 offen offset:4
	buffer_load_dword v5, v1, s[0:3], 0 offen offset:8
	;; [unrolled: 1-line block ×6, first 2 shown]
	buffer_load_dword v10, v2, s[0:3], 0 offen
	s_waitcnt vmcnt(7)
	buffer_store_dword v3, v2, s[0:3], 0 offen
	s_waitcnt vmcnt(6)
	buffer_store_dword v4, v2, s[0:3], 0 offen offset:4
	s_waitcnt vmcnt(5)
	buffer_store_dword v5, v2, s[0:3], 0 offen offset:8
	;; [unrolled: 2-line block ×6, first 2 shown]
	s_waitcnt vmcnt(0)
	buffer_store_dword v10, v1, s[0:3], 0 offen
.LBB62_526:
	global_load_dword v0, v0, s[20:21]
	s_waitcnt vmcnt(0)
	v_add_nc_u32_e32 v0, -1, v0
	v_cmp_eq_u32_e32 vcc_lo, 0, v0
	s_cbranch_vccnz .LBB62_528
; %bb.527:
	v_lshlrev_b32_e32 v0, 4, v0
	v_add_nc_u32_e32 v0, 16, v0
	s_clause 0x7
	buffer_load_dword v1, v0, s[0:3], 0 offen
	buffer_load_dword v2, v0, s[0:3], 0 offen offset:4
	buffer_load_dword v3, v0, s[0:3], 0 offen offset:8
	;; [unrolled: 1-line block ×3, first 2 shown]
	buffer_load_dword v5, off, s[0:3], 0 offset:28
	buffer_load_dword v6, off, s[0:3], 0 offset:24
	;; [unrolled: 1-line block ×4, first 2 shown]
	s_waitcnt vmcnt(7)
	buffer_store_dword v1, off, s[0:3], 0 offset:16
	s_waitcnt vmcnt(6)
	buffer_store_dword v2, off, s[0:3], 0 offset:20
	;; [unrolled: 2-line block ×4, first 2 shown]
	s_waitcnt vmcnt(3)
	buffer_store_dword v5, v0, s[0:3], 0 offen offset:12
	s_waitcnt vmcnt(2)
	buffer_store_dword v6, v0, s[0:3], 0 offen offset:8
	s_waitcnt vmcnt(1)
	buffer_store_dword v7, v0, s[0:3], 0 offen offset:4
	s_waitcnt vmcnt(0)
	buffer_store_dword v8, v0, s[0:3], 0 offen
.LBB62_528:
	v_mov_b32_e32 v7, s63
	v_mov_b32_e32 v15, s77
	;; [unrolled: 1-line block ×5, first 2 shown]
	s_clause 0x7
	buffer_load_dword v8, off, s[0:3], 0 offset:16
	buffer_load_dword v9, off, s[0:3], 0 offset:20
	;; [unrolled: 1-line block ×4, first 2 shown]
	buffer_load_dword v0, v3, s[0:3], 0 offen
	buffer_load_dword v1, v3, s[0:3], 0 offen offset:4
	buffer_load_dword v2, v3, s[0:3], 0 offen offset:8
	buffer_load_dword v3, v3, s[0:3], 0 offen offset:12
	v_mov_b32_e32 v27, s73
	s_clause 0x3
	buffer_load_dword v4, v7, s[0:3], 0 offen
	buffer_load_dword v5, v7, s[0:3], 0 offen offset:4
	buffer_load_dword v6, v7, s[0:3], 0 offen offset:8
	buffer_load_dword v7, v7, s[0:3], 0 offen offset:12
	v_mov_b32_e32 v31, s72
	s_clause 0x3
	;; [unrolled: 6-line block ×13, first 2 shown]
	buffer_load_dword v56, v59, s[0:3], 0 offen
	buffer_load_dword v57, v59, s[0:3], 0 offen offset:4
	buffer_load_dword v58, v59, s[0:3], 0 offen offset:8
	buffer_load_dword v59, v59, s[0:3], 0 offen offset:12
	buffer_load_dword v60, v63, s[0:3], 0 offen
	buffer_load_dword v61, v63, s[0:3], 0 offen offset:4
	buffer_load_dword v62, v63, s[0:3], 0 offen offset:8
	buffer_load_dword v63, v63, s[0:3], 0 offen offset:12
	;; [unrolled: 4-line block ×4, first 2 shown]
	v_mov_b32_e32 v79, s58
	s_clause 0x7
	buffer_load_dword v72, v75, s[0:3], 0 offen
	buffer_load_dword v73, v75, s[0:3], 0 offen offset:4
	buffer_load_dword v74, v75, s[0:3], 0 offen offset:8
	;; [unrolled: 1-line block ×3, first 2 shown]
	buffer_load_dword v76, v79, s[0:3], 0 offen
	buffer_load_dword v77, v79, s[0:3], 0 offen offset:4
	buffer_load_dword v78, v79, s[0:3], 0 offen offset:8
	buffer_load_dword v79, v79, s[0:3], 0 offen offset:12
	v_mov_b32_e32 v83, s57
	v_mov_b32_e32 v84, s56
	;; [unrolled: 1-line block ×5, first 2 shown]
	s_clause 0x3
	buffer_load_dword v80, v83, s[0:3], 0 offen
	buffer_load_dword v81, v83, s[0:3], 0 offen offset:4
	buffer_load_dword v82, v83, s[0:3], 0 offen offset:8
	;; [unrolled: 1-line block ×3, first 2 shown]
	v_mov_b32_e32 v133, s49
	v_mov_b32_e32 v120, s54
	;; [unrolled: 1-line block ×38, first 2 shown]
	s_waitcnt vmcnt(62)
	global_store_dwordx4 v[145:146], v[8:11], off
	s_clause 0x3
	buffer_load_dword v8, v84, s[0:3], 0 offen
	buffer_load_dword v9, v84, s[0:3], 0 offen offset:4
	buffer_load_dword v10, v84, s[0:3], 0 offen offset:8
	buffer_load_dword v11, v84, s[0:3], 0 offen offset:12
	global_store_dwordx4 v[147:148], v[0:3], off
	s_clause 0x7
	buffer_load_dword v0, v117, s[0:3], 0 offen
	buffer_load_dword v1, v117, s[0:3], 0 offen offset:4
	buffer_load_dword v2, v117, s[0:3], 0 offen offset:8
	buffer_load_dword v3, v117, s[0:3], 0 offen offset:12
	buffer_load_dword v117, v120, s[0:3], 0 offen
	buffer_load_dword v118, v120, s[0:3], 0 offen offset:4
	buffer_load_dword v119, v120, s[0:3], 0 offen offset:8
	buffer_load_dword v120, v120, s[0:3], 0 offen offset:12
	global_store_dwordx4 v[149:150], v[4:7], off
	s_clause 0x7
	buffer_load_dword v4, v125, s[0:3], 0 offen
	buffer_load_dword v5, v125, s[0:3], 0 offen offset:4
	buffer_load_dword v6, v125, s[0:3], 0 offen offset:8
	buffer_load_dword v7, v125, s[0:3], 0 offen offset:12
	buffer_load_dword v125, v128, s[0:3], 0 offen
	buffer_load_dword v126, v128, s[0:3], 0 offen offset:4
	buffer_load_dword v127, v128, s[0:3], 0 offen offset:8
	buffer_load_dword v128, v128, s[0:3], 0 offen offset:12
	global_store_dwordx4 v[151:152], v[12:15], off
	s_clause 0x7
	buffer_load_dword v12, v129, s[0:3], 0 offen
	buffer_load_dword v13, v129, s[0:3], 0 offen offset:4
	buffer_load_dword v14, v129, s[0:3], 0 offen offset:8
	buffer_load_dword v15, v129, s[0:3], 0 offen offset:12
	buffer_load_dword v129, v132, s[0:3], 0 offen
	buffer_load_dword v130, v132, s[0:3], 0 offen offset:4
	buffer_load_dword v131, v132, s[0:3], 0 offen offset:8
	buffer_load_dword v132, v132, s[0:3], 0 offen offset:12
	global_store_dwordx4 v[153:154], v[16:19], off
	s_clause 0x7
	buffer_load_dword v16, v133, s[0:3], 0 offen
	buffer_load_dword v17, v133, s[0:3], 0 offen offset:4
	buffer_load_dword v18, v133, s[0:3], 0 offen offset:8
	buffer_load_dword v19, v133, s[0:3], 0 offen offset:12
	buffer_load_dword v133, v136, s[0:3], 0 offen
	buffer_load_dword v134, v136, s[0:3], 0 offen offset:4
	buffer_load_dword v135, v136, s[0:3], 0 offen offset:8
	;; [unrolled: 1-line block ×3, first 2 shown]
	s_waitcnt vmcnt(62)
	global_store_dwordx4 v[155:156], v[20:23], off
	s_clause 0x7
	buffer_load_dword v20, v137, s[0:3], 0 offen
	buffer_load_dword v21, v137, s[0:3], 0 offen offset:4
	buffer_load_dword v22, v137, s[0:3], 0 offen offset:8
	buffer_load_dword v23, v137, s[0:3], 0 offen offset:12
	buffer_load_dword v137, v140, s[0:3], 0 offen
	buffer_load_dword v138, v140, s[0:3], 0 offen offset:4
	buffer_load_dword v139, v140, s[0:3], 0 offen offset:8
	buffer_load_dword v140, v140, s[0:3], 0 offen offset:12
	global_store_dwordx4 v[157:158], v[24:27], off
	s_clause 0x7
	buffer_load_dword v24, v141, s[0:3], 0 offen
	buffer_load_dword v25, v141, s[0:3], 0 offen offset:4
	buffer_load_dword v26, v141, s[0:3], 0 offen offset:8
	buffer_load_dword v27, v141, s[0:3], 0 offen offset:12
	buffer_load_dword v141, v144, s[0:3], 0 offen
	buffer_load_dword v142, v144, s[0:3], 0 offen offset:4
	buffer_load_dword v143, v144, s[0:3], 0 offen offset:8
	buffer_load_dword v144, v144, s[0:3], 0 offen offset:12
	global_store_dwordx4 v[159:160], v[28:31], off
	s_clause 0x7
	buffer_load_dword v28, v235, s[0:3], 0 offen
	buffer_load_dword v29, v235, s[0:3], 0 offen offset:4
	buffer_load_dword v30, v235, s[0:3], 0 offen offset:8
	buffer_load_dword v31, v235, s[0:3], 0 offen offset:12
	buffer_load_dword v145, v236, s[0:3], 0 offen
	buffer_load_dword v146, v236, s[0:3], 0 offen offset:4
	buffer_load_dword v147, v236, s[0:3], 0 offen offset:8
	buffer_load_dword v148, v236, s[0:3], 0 offen offset:12
	global_store_dwordx4 v[161:162], v[32:35], off
	s_clause 0x7
	buffer_load_dword v32, v237, s[0:3], 0 offen
	buffer_load_dword v33, v237, s[0:3], 0 offen offset:4
	buffer_load_dword v34, v237, s[0:3], 0 offen offset:8
	buffer_load_dword v35, v237, s[0:3], 0 offen offset:12
	buffer_load_dword v149, v238, s[0:3], 0 offen
	buffer_load_dword v150, v238, s[0:3], 0 offen offset:4
	buffer_load_dword v151, v238, s[0:3], 0 offen offset:8
	buffer_load_dword v152, v238, s[0:3], 0 offen offset:12
	global_store_dwordx4 v[163:164], v[36:39], off
	s_clause 0x7
	buffer_load_dword v36, v239, s[0:3], 0 offen
	buffer_load_dword v37, v239, s[0:3], 0 offen offset:4
	buffer_load_dword v38, v239, s[0:3], 0 offen offset:8
	buffer_load_dword v39, v239, s[0:3], 0 offen offset:12
	buffer_load_dword v153, v240, s[0:3], 0 offen
	buffer_load_dword v154, v240, s[0:3], 0 offen offset:4
	buffer_load_dword v155, v240, s[0:3], 0 offen offset:8
	buffer_load_dword v156, v240, s[0:3], 0 offen offset:12
	global_store_dwordx4 v[165:166], v[40:43], off
	s_clause 0x7
	buffer_load_dword v40, v241, s[0:3], 0 offen
	buffer_load_dword v41, v241, s[0:3], 0 offen offset:4
	buffer_load_dword v42, v241, s[0:3], 0 offen offset:8
	buffer_load_dword v43, v241, s[0:3], 0 offen offset:12
	buffer_load_dword v157, v242, s[0:3], 0 offen
	buffer_load_dword v158, v242, s[0:3], 0 offen offset:4
	buffer_load_dword v159, v242, s[0:3], 0 offen offset:8
	buffer_load_dword v160, v242, s[0:3], 0 offen offset:12
	global_store_dwordx4 v[167:168], v[44:47], off
	s_clause 0x7
	buffer_load_dword v44, v243, s[0:3], 0 offen
	buffer_load_dword v45, v243, s[0:3], 0 offen offset:4
	buffer_load_dword v46, v243, s[0:3], 0 offen offset:8
	buffer_load_dword v47, v243, s[0:3], 0 offen offset:12
	buffer_load_dword v161, v244, s[0:3], 0 offen
	buffer_load_dword v162, v244, s[0:3], 0 offen offset:4
	buffer_load_dword v163, v244, s[0:3], 0 offen offset:8
	buffer_load_dword v164, v244, s[0:3], 0 offen offset:12
	global_store_dwordx4 v[169:170], v[48:51], off
	s_clause 0x7
	buffer_load_dword v48, v245, s[0:3], 0 offen
	buffer_load_dword v49, v245, s[0:3], 0 offen offset:4
	buffer_load_dword v50, v245, s[0:3], 0 offen offset:8
	buffer_load_dword v51, v245, s[0:3], 0 offen offset:12
	buffer_load_dword v165, v246, s[0:3], 0 offen
	buffer_load_dword v166, v246, s[0:3], 0 offen offset:4
	buffer_load_dword v167, v246, s[0:3], 0 offen offset:8
	buffer_load_dword v168, v246, s[0:3], 0 offen offset:12
	global_store_dwordx4 v[171:172], v[52:55], off
	s_clause 0x7
	buffer_load_dword v52, v247, s[0:3], 0 offen
	buffer_load_dword v53, v247, s[0:3], 0 offen offset:4
	buffer_load_dword v54, v247, s[0:3], 0 offen offset:8
	buffer_load_dword v55, v247, s[0:3], 0 offen offset:12
	buffer_load_dword v169, v248, s[0:3], 0 offen
	buffer_load_dword v170, v248, s[0:3], 0 offen offset:4
	buffer_load_dword v171, v248, s[0:3], 0 offen offset:8
	buffer_load_dword v172, v248, s[0:3], 0 offen offset:12
	s_waitcnt vmcnt(62)
	global_store_dwordx4 v[173:174], v[56:59], off
	s_clause 0x7
	buffer_load_dword v56, v249, s[0:3], 0 offen
	buffer_load_dword v57, v249, s[0:3], 0 offen offset:4
	buffer_load_dword v58, v249, s[0:3], 0 offen offset:8
	buffer_load_dword v59, v249, s[0:3], 0 offen offset:12
	buffer_load_dword v235, v250, s[0:3], 0 offen
	buffer_load_dword v236, v250, s[0:3], 0 offen offset:4
	buffer_load_dword v237, v250, s[0:3], 0 offen offset:8
	buffer_load_dword v238, v250, s[0:3], 0 offen offset:12
	global_store_dwordx4 v[179:180], v[60:63], off
	s_clause 0x7
	buffer_load_dword v60, v251, s[0:3], 0 offen
	buffer_load_dword v61, v251, s[0:3], 0 offen offset:4
	buffer_load_dword v62, v251, s[0:3], 0 offen offset:8
	buffer_load_dword v63, v251, s[0:3], 0 offen offset:12
	buffer_load_dword v239, v252, s[0:3], 0 offen
	buffer_load_dword v240, v252, s[0:3], 0 offen offset:4
	buffer_load_dword v241, v252, s[0:3], 0 offen offset:8
	buffer_load_dword v242, v252, s[0:3], 0 offen offset:12
	;; [unrolled: 10-line block ×7, first 2 shown]
	buffer_load_dword v251, v188, s[0:3], 0 offen
	buffer_load_dword v252, v188, s[0:3], 0 offen offset:4
	buffer_load_dword v253, v188, s[0:3], 0 offen offset:8
	;; [unrolled: 1-line block ×3, first 2 shown]
	global_store_dwordx4 v[195:196], v[8:11], off
	global_store_dwordx4 v[197:198], v[0:3], off
	;; [unrolled: 1-line block ×11, first 2 shown]
	s_waitcnt vmcnt(62)
	global_store_dwordx4 v[217:218], v[24:27], off
	global_store_dwordx4 v[219:220], v[141:144], off
	global_store_dwordx4 v[221:222], v[28:31], off
	global_store_dwordx4 v[223:224], v[145:148], off
	global_store_dwordx4 v[225:226], v[32:35], off
	global_store_dwordx4 v[227:228], v[149:152], off
	global_store_dwordx4 v[229:230], v[36:39], off
	global_store_dwordx4 v[231:232], v[153:156], off
	global_store_dwordx4 v[233:234], v[40:43], off
	global_store_dwordx4 v[85:86], v[157:160], off
	global_store_dwordx4 v[87:88], v[44:47], off
	global_store_dwordx4 v[89:90], v[161:164], off
	global_store_dwordx4 v[91:92], v[48:51], off
	global_store_dwordx4 v[93:94], v[165:168], off
	global_store_dwordx4 v[95:96], v[52:55], off
	s_waitcnt vmcnt(60)
	global_store_dwordx4 v[97:98], v[169:172], off
	s_waitcnt vmcnt(56)
	global_store_dwordx4 v[99:100], v[56:59], off
	;; [unrolled: 2-line block ×12, first 2 shown]
	s_clause 0x1
	buffer_load_dword v0, off, s[0:3], 0 offset:1024
	buffer_load_dword v1, off, s[0:3], 0 offset:1028
	s_waitcnt vmcnt(0)
	global_store_dwordx4 v[0:1], v[247:250], off
	s_clause 0x1
	buffer_load_dword v0, off, s[0:3], 0 offset:1032
	buffer_load_dword v1, off, s[0:3], 0 offset:1036
	s_waitcnt vmcnt(0)
	global_store_dwordx4 v[0:1], v[80:83], off
	;; [unrolled: 5-line block ×4, first 2 shown]
	s_endpgm
	.section	.rodata,"a",@progbits
	.p2align	6, 0x0
	.amdhsa_kernel _ZN9rocsolver6v33100L18getri_kernel_smallILi63E19rocblas_complex_numIdEPS3_EEvT1_iilPiilS6_bb
		.amdhsa_group_segment_fixed_size 2024
		.amdhsa_private_segment_fixed_size 1072
		.amdhsa_kernarg_size 60
		.amdhsa_user_sgpr_count 6
		.amdhsa_user_sgpr_private_segment_buffer 1
		.amdhsa_user_sgpr_dispatch_ptr 0
		.amdhsa_user_sgpr_queue_ptr 0
		.amdhsa_user_sgpr_kernarg_segment_ptr 1
		.amdhsa_user_sgpr_dispatch_id 0
		.amdhsa_user_sgpr_flat_scratch_init 0
		.amdhsa_user_sgpr_private_segment_size 0
		.amdhsa_wavefront_size32 1
		.amdhsa_uses_dynamic_stack 0
		.amdhsa_system_sgpr_private_segment_wavefront_offset 1
		.amdhsa_system_sgpr_workgroup_id_x 1
		.amdhsa_system_sgpr_workgroup_id_y 0
		.amdhsa_system_sgpr_workgroup_id_z 0
		.amdhsa_system_sgpr_workgroup_info 0
		.amdhsa_system_vgpr_workitem_id 0
		.amdhsa_next_free_vgpr 256
		.amdhsa_next_free_sgpr 83
		.amdhsa_reserve_vcc 1
		.amdhsa_reserve_flat_scratch 0
		.amdhsa_float_round_mode_32 0
		.amdhsa_float_round_mode_16_64 0
		.amdhsa_float_denorm_mode_32 3
		.amdhsa_float_denorm_mode_16_64 3
		.amdhsa_dx10_clamp 1
		.amdhsa_ieee_mode 1
		.amdhsa_fp16_overflow 0
		.amdhsa_workgroup_processor_mode 1
		.amdhsa_memory_ordered 1
		.amdhsa_forward_progress 1
		.amdhsa_shared_vgpr_count 0
		.amdhsa_exception_fp_ieee_invalid_op 0
		.amdhsa_exception_fp_denorm_src 0
		.amdhsa_exception_fp_ieee_div_zero 0
		.amdhsa_exception_fp_ieee_overflow 0
		.amdhsa_exception_fp_ieee_underflow 0
		.amdhsa_exception_fp_ieee_inexact 0
		.amdhsa_exception_int_div_zero 0
	.end_amdhsa_kernel
	.section	.text._ZN9rocsolver6v33100L18getri_kernel_smallILi63E19rocblas_complex_numIdEPS3_EEvT1_iilPiilS6_bb,"axG",@progbits,_ZN9rocsolver6v33100L18getri_kernel_smallILi63E19rocblas_complex_numIdEPS3_EEvT1_iilPiilS6_bb,comdat
.Lfunc_end62:
	.size	_ZN9rocsolver6v33100L18getri_kernel_smallILi63E19rocblas_complex_numIdEPS3_EEvT1_iilPiilS6_bb, .Lfunc_end62-_ZN9rocsolver6v33100L18getri_kernel_smallILi63E19rocblas_complex_numIdEPS3_EEvT1_iilPiilS6_bb
                                        ; -- End function
	.set _ZN9rocsolver6v33100L18getri_kernel_smallILi63E19rocblas_complex_numIdEPS3_EEvT1_iilPiilS6_bb.num_vgpr, 256
	.set _ZN9rocsolver6v33100L18getri_kernel_smallILi63E19rocblas_complex_numIdEPS3_EEvT1_iilPiilS6_bb.num_agpr, 0
	.set _ZN9rocsolver6v33100L18getri_kernel_smallILi63E19rocblas_complex_numIdEPS3_EEvT1_iilPiilS6_bb.numbered_sgpr, 83
	.set _ZN9rocsolver6v33100L18getri_kernel_smallILi63E19rocblas_complex_numIdEPS3_EEvT1_iilPiilS6_bb.num_named_barrier, 0
	.set _ZN9rocsolver6v33100L18getri_kernel_smallILi63E19rocblas_complex_numIdEPS3_EEvT1_iilPiilS6_bb.private_seg_size, 1072
	.set _ZN9rocsolver6v33100L18getri_kernel_smallILi63E19rocblas_complex_numIdEPS3_EEvT1_iilPiilS6_bb.uses_vcc, 1
	.set _ZN9rocsolver6v33100L18getri_kernel_smallILi63E19rocblas_complex_numIdEPS3_EEvT1_iilPiilS6_bb.uses_flat_scratch, 0
	.set _ZN9rocsolver6v33100L18getri_kernel_smallILi63E19rocblas_complex_numIdEPS3_EEvT1_iilPiilS6_bb.has_dyn_sized_stack, 0
	.set _ZN9rocsolver6v33100L18getri_kernel_smallILi63E19rocblas_complex_numIdEPS3_EEvT1_iilPiilS6_bb.has_recursion, 0
	.set _ZN9rocsolver6v33100L18getri_kernel_smallILi63E19rocblas_complex_numIdEPS3_EEvT1_iilPiilS6_bb.has_indirect_call, 0
	.section	.AMDGPU.csdata,"",@progbits
; Kernel info:
; codeLenInByte = 252632
; TotalNumSgprs: 85
; NumVgprs: 256
; ScratchSize: 1072
; MemoryBound: 0
; FloatMode: 240
; IeeeMode: 1
; LDSByteSize: 2024 bytes/workgroup (compile time only)
; SGPRBlocks: 0
; VGPRBlocks: 31
; NumSGPRsForWavesPerEU: 85
; NumVGPRsForWavesPerEU: 256
; Occupancy: 4
; WaveLimiterHint : 1
; COMPUTE_PGM_RSRC2:SCRATCH_EN: 1
; COMPUTE_PGM_RSRC2:USER_SGPR: 6
; COMPUTE_PGM_RSRC2:TRAP_HANDLER: 0
; COMPUTE_PGM_RSRC2:TGID_X_EN: 1
; COMPUTE_PGM_RSRC2:TGID_Y_EN: 0
; COMPUTE_PGM_RSRC2:TGID_Z_EN: 0
; COMPUTE_PGM_RSRC2:TIDIG_COMP_CNT: 0
	.section	.text._ZN9rocsolver6v33100L18getri_kernel_smallILi64E19rocblas_complex_numIdEPS3_EEvT1_iilPiilS6_bb,"axG",@progbits,_ZN9rocsolver6v33100L18getri_kernel_smallILi64E19rocblas_complex_numIdEPS3_EEvT1_iilPiilS6_bb,comdat
	.globl	_ZN9rocsolver6v33100L18getri_kernel_smallILi64E19rocblas_complex_numIdEPS3_EEvT1_iilPiilS6_bb ; -- Begin function _ZN9rocsolver6v33100L18getri_kernel_smallILi64E19rocblas_complex_numIdEPS3_EEvT1_iilPiilS6_bb
	.p2align	8
	.type	_ZN9rocsolver6v33100L18getri_kernel_smallILi64E19rocblas_complex_numIdEPS3_EEvT1_iilPiilS6_bb,@function
_ZN9rocsolver6v33100L18getri_kernel_smallILi64E19rocblas_complex_numIdEPS3_EEvT1_iilPiilS6_bb: ; @_ZN9rocsolver6v33100L18getri_kernel_smallILi64E19rocblas_complex_numIdEPS3_EEvT1_iilPiilS6_bb
; %bb.0:
	s_add_u32 s0, s0, s7
	s_addc_u32 s1, s1, 0
	s_mov_b32 s7, exec_lo
	v_cmpx_gt_u32_e32 64, v0
	s_cbranch_execz .LBB63_282
; %bb.1:
	s_clause 0x2
	s_load_dword s7, s[4:5], 0x38
	s_load_dwordx4 s[16:19], s[4:5], 0x10
	s_load_dwordx4 s[8:11], s[4:5], 0x28
                                        ; implicit-def: $sgpr20_sgpr21
	s_waitcnt lgkmcnt(0)
	s_bitcmp1_b32 s7, 8
	s_cselect_b32 s78, -1, 0
	s_bfe_u32 s12, s7, 0x10008
	s_ashr_i32 s7, s6, 31
	s_cmp_eq_u32 s12, 0
	s_cbranch_scc1 .LBB63_3
; %bb.2:
	s_load_dword s12, s[4:5], 0x20
	s_mul_i32 s13, s8, s7
	s_mul_hi_u32 s14, s8, s6
	s_mul_i32 s9, s9, s6
	s_add_i32 s13, s14, s13
	s_mul_i32 s8, s8, s6
	s_add_i32 s9, s13, s9
	s_lshl_b64 s[8:9], s[8:9], 2
	s_waitcnt lgkmcnt(0)
	s_ashr_i32 s13, s12, 31
	s_add_u32 s14, s18, s8
	s_addc_u32 s15, s19, s9
	s_lshl_b64 s[8:9], s[12:13], 2
	s_add_u32 s20, s14, s8
	s_addc_u32 s21, s15, s9
.LBB63_3:
	s_clause 0x1
	s_load_dwordx4 s[12:15], s[4:5], 0x0
	s_load_dword s8, s[4:5], 0x38
	s_mul_i32 s4, s16, s7
	s_mul_hi_u32 s5, s16, s6
	s_mul_i32 s9, s17, s6
	s_add_i32 s5, s5, s4
	s_mul_i32 s4, s16, s6
	s_add_i32 s5, s5, s9
	v_lshlrev_b32_e32 v231, 4, v0
	s_lshl_b64 s[4:5], s[4:5], 4
	s_mov_b32 s77, 32
	s_mov_b32 s75, 64
	s_movk_i32 s74, 0x50
	s_mov_b32 s76, 48
	s_waitcnt lgkmcnt(0)
	v_add3_u32 v5, s15, s15, v0
	s_ashr_i32 s17, s14, 31
	s_mov_b32 s16, s14
	s_add_u32 s9, s12, s4
	s_addc_u32 s13, s13, s5
	v_add_nc_u32_e32 v7, s15, v5
	s_lshl_b64 s[4:5], s[16:17], 4
	v_ashrrev_i32_e32 v6, 31, v5
	s_add_u32 s4, s9, s4
	s_addc_u32 s5, s13, s5
	v_add_nc_u32_e32 v9, s15, v7
	v_add_co_u32 v149, s9, s4, v231
	s_mov_b32 s12, s15
	s_ashr_i32 s13, s15, 31
	v_lshlrev_b64 v[5:6], 4, v[5:6]
	v_ashrrev_i32_e32 v8, 31, v7
	v_add_co_ci_u32_e64 v150, null, s5, 0, s9
	s_lshl_b64 s[12:13], s[12:13], 4
	v_ashrrev_i32_e32 v10, 31, v9
	v_add_nc_u32_e32 v11, s15, v9
	v_add_co_u32 v179, vcc_lo, v149, s12
	v_lshlrev_b64 v[7:8], 4, v[7:8]
	v_add_co_ci_u32_e64 v180, null, s13, v150, vcc_lo
	v_add_co_u32 v181, vcc_lo, s4, v5
	v_add_co_ci_u32_e64 v182, null, s5, v6, vcc_lo
	v_lshlrev_b64 v[5:6], 4, v[9:10]
	v_ashrrev_i32_e32 v12, 31, v11
	v_add_nc_u32_e32 v9, s15, v11
	v_add_co_u32 v141, vcc_lo, s4, v7
	v_add_co_ci_u32_e64 v142, null, s5, v8, vcc_lo
	v_lshlrev_b64 v[7:8], 4, v[11:12]
	v_ashrrev_i32_e32 v10, 31, v9
	v_add_nc_u32_e32 v11, s15, v9
	;; [unrolled: 5-line block ×14, first 2 shown]
	v_add_co_u32 v164, vcc_lo, s4, v5
	v_add_co_ci_u32_e64 v165, null, s5, v6, vcc_lo
	v_lshlrev_b64 v[5:6], 4, v[9:10]
	v_add_nc_u32_e32 v9, s15, v11
	v_ashrrev_i32_e32 v12, 31, v11
	v_add_co_u32 v175, vcc_lo, s4, v7
	v_add_co_ci_u32_e64 v176, null, s5, v8, vcc_lo
	v_ashrrev_i32_e32 v10, 31, v9
	v_lshlrev_b64 v[7:8], 4, v[11:12]
	v_add_co_u32 v187, vcc_lo, s4, v5
	v_add_co_ci_u32_e64 v188, null, s5, v6, vcc_lo
	v_lshlrev_b64 v[5:6], 4, v[9:10]
	v_add_co_u32 v189, vcc_lo, s4, v7
	v_add_co_ci_u32_e64 v190, null, s5, v8, vcc_lo
	s_clause 0x1
	global_load_dwordx4 v[1:4], v231, s[4:5]
	global_load_dwordx4 v[61:64], v[141:142], off
	v_add_co_u32 v13, vcc_lo, s4, v5
	v_add_co_ci_u32_e64 v14, null, s5, v6, vcc_lo
	s_clause 0x11
	global_load_dwordx4 v[73:76], v[179:180], off
	global_load_dwordx4 v[49:52], v[160:161], off
	;; [unrolled: 1-line block ×18, first 2 shown]
	buffer_store_dword v13, off, s[0:3], 0 offset:1040 ; 4-byte Folded Spill
	buffer_store_dword v14, off, s[0:3], 0 offset:1044 ; 4-byte Folded Spill
	v_add_nc_u32_e32 v11, s15, v9
	v_ashrrev_i32_e32 v12, 31, v11
	v_add_nc_u32_e32 v9, s15, v11
	v_lshlrev_b64 v[7:8], 4, v[11:12]
	v_add_nc_u32_e32 v11, s15, v9
	v_ashrrev_i32_e32 v10, 31, v9
	v_add_co_u32 v17, vcc_lo, s4, v7
	v_add_co_ci_u32_e64 v18, null, s5, v8, vcc_lo
	v_ashrrev_i32_e32 v12, 31, v11
	v_lshlrev_b64 v[5:6], 4, v[9:10]
	v_lshlrev_b64 v[7:8], 4, v[11:12]
	v_add_co_u32 v183, vcc_lo, s4, v5
	v_add_co_ci_u32_e64 v184, null, s5, v6, vcc_lo
	v_add_co_u32 v15, vcc_lo, s4, v7
	v_add_co_ci_u32_e64 v16, null, s5, v8, vcc_lo
	v_add_nc_u32_e32 v5, s15, v11
	v_ashrrev_i32_e32 v6, 31, v5
	v_add_nc_u32_e32 v7, s15, v5
	v_lshlrev_b64 v[5:6], 4, v[5:6]
	v_add_nc_u32_e32 v9, s15, v7
	v_ashrrev_i32_e32 v8, 31, v7
	v_add_co_u32 v11, vcc_lo, s4, v5
	v_add_co_ci_u32_e64 v12, null, s5, v6, vcc_lo
	v_ashrrev_i32_e32 v10, 31, v9
	v_lshlrev_b64 v[5:6], 4, v[7:8]
	v_lshlrev_b64 v[7:8], 4, v[9:10]
	v_add_nc_u32_e32 v9, s15, v9
	v_add_co_u32 v191, vcc_lo, s4, v5
	v_add_co_ci_u32_e64 v192, null, s5, v6, vcc_lo
	v_add_nc_u32_e32 v5, s15, v9
	v_ashrrev_i32_e32 v10, 31, v9
	v_add_co_u32 v193, vcc_lo, s4, v7
	v_add_co_ci_u32_e64 v194, null, s5, v8, vcc_lo
	v_add_nc_u32_e32 v7, s15, v5
	v_ashrrev_i32_e32 v6, 31, v5
	v_lshlrev_b64 v[9:10], 4, v[9:10]
	v_ashrrev_i32_e32 v8, 31, v7
	v_lshlrev_b64 v[5:6], 4, v[5:6]
	v_add_co_u32 v195, vcc_lo, s4, v9
	v_add_co_ci_u32_e64 v196, null, s5, v10, vcc_lo
	v_add_co_u32 v197, vcc_lo, s4, v5
	v_add_co_ci_u32_e64 v198, null, s5, v6, vcc_lo
	global_load_dwordx4 v[101:104], v[13:14], off
	buffer_store_dword v17, off, s[0:3], 0 offset:1056 ; 4-byte Folded Spill
	buffer_store_dword v18, off, s[0:3], 0 offset:1060 ; 4-byte Folded Spill
	s_clause 0x1
	global_load_dwordx4 v[129:132], v[17:18], off
	global_load_dwordx4 v[125:128], v[183:184], off
	buffer_store_dword v15, off, s[0:3], 0 offset:1048 ; 4-byte Folded Spill
	buffer_store_dword v16, off, s[0:3], 0 offset:1052 ; 4-byte Folded Spill
	global_load_dwordx4 v[121:124], v[15:16], off
	buffer_store_dword v11, off, s[0:3], 0 offset:1064 ; 4-byte Folded Spill
	buffer_store_dword v12, off, s[0:3], 0 offset:1068 ; 4-byte Folded Spill
	global_load_dwordx4 v[117:120], v[11:12], off
	v_add_nc_u32_e32 v11, s15, v7
	v_lshlrev_b64 v[7:8], 4, v[7:8]
	s_clause 0x2
	global_load_dwordx4 v[137:140], v[191:192], off
	global_load_dwordx4 v[133:136], v[193:194], off
	;; [unrolled: 1-line block ×3, first 2 shown]
	v_ashrrev_i32_e32 v12, 31, v11
	v_add_nc_u32_e32 v9, s15, v11
	v_add_co_u32 v199, vcc_lo, s4, v7
	v_add_co_ci_u32_e64 v200, null, s5, v8, vcc_lo
	v_lshlrev_b64 v[5:6], 4, v[11:12]
	v_add_nc_u32_e32 v7, s15, v9
	v_ashrrev_i32_e32 v10, 31, v9
	v_ashrrev_i32_e32 v8, 31, v7
	v_add_co_u32 v201, vcc_lo, s4, v5
	v_add_co_ci_u32_e64 v202, null, s5, v6, vcc_lo
	v_lshlrev_b64 v[5:6], 4, v[9:10]
	v_lshlrev_b64 v[8:9], 4, v[7:8]
	s_clause 0x2
	global_load_dwordx4 v[236:239], v[197:198], off
	global_load_dwordx4 v[240:243], v[199:200], off
	;; [unrolled: 1-line block ×3, first 2 shown]
	v_add_co_u32 v203, vcc_lo, s4, v5
	v_add_co_ci_u32_e64 v204, null, s5, v6, vcc_lo
	v_add_co_u32 v205, vcc_lo, s4, v8
	v_add_co_ci_u32_e64 v206, null, s5, v9, vcc_lo
	s_clause 0x1
	global_load_dwordx4 v[248:251], v[203:204], off
	global_load_dwordx4 v[17:20], v[205:206], off
	v_add_nc_u32_e32 v5, s15, v7
	v_add_nc_u32_e32 v7, s15, v5
	v_ashrrev_i32_e32 v6, 31, v5
	v_ashrrev_i32_e32 v8, 31, v7
	v_lshlrev_b64 v[5:6], 4, v[5:6]
	v_add_nc_u32_e32 v9, s15, v7
	v_lshlrev_b64 v[7:8], 4, v[7:8]
	v_add_co_u32 v207, vcc_lo, s4, v5
	v_add_co_ci_u32_e64 v208, null, s5, v6, vcc_lo
	v_add_co_u32 v209, vcc_lo, s4, v7
	v_add_co_ci_u32_e64 v210, null, s5, v8, vcc_lo
	s_clause 0x1
	global_load_dwordx4 v[33:36], v[207:208], off
	global_load_dwordx4 v[5:8], v[209:210], off
	v_add_nc_u32_e32 v11, s15, v9
	v_ashrrev_i32_e32 v10, 31, v9
	v_add_nc_u32_e32 v13, s15, v11
	v_ashrrev_i32_e32 v12, 31, v11
	v_lshlrev_b64 v[9:10], 4, v[9:10]
	v_add_nc_u32_e32 v15, s15, v13
	v_ashrrev_i32_e32 v14, 31, v13
	v_lshlrev_b64 v[11:12], 4, v[11:12]
	v_add_co_u32 v211, vcc_lo, s4, v9
	v_add_nc_u32_e32 v23, s15, v15
	v_ashrrev_i32_e32 v16, 31, v15
	v_lshlrev_b64 v[21:22], 4, v[13:14]
	v_add_co_ci_u32_e64 v212, null, s5, v10, vcc_lo
	v_add_nc_u32_e32 v27, s15, v23
	v_ashrrev_i32_e32 v24, 31, v23
	v_lshlrev_b64 v[25:26], 4, v[15:16]
	v_add_co_u32 v213, vcc_lo, s4, v11
	v_add_nc_u32_e32 v31, s15, v27
	v_ashrrev_i32_e32 v28, 31, v27
	v_lshlrev_b64 v[29:30], 4, v[23:24]
	v_add_co_ci_u32_e64 v214, null, s5, v12, vcc_lo
	v_add_nc_u32_e32 v223, s15, v31
	v_add_co_u32 v215, vcc_lo, s4, v21
	v_ashrrev_i32_e32 v32, 31, v31
	v_add_co_ci_u32_e64 v216, null, s5, v22, vcc_lo
	v_add_co_u32 v217, vcc_lo, s4, v25
	v_lshlrev_b64 v[221:222], 4, v[27:28]
	v_add_nc_u32_e32 v225, s15, v223
	v_add_co_ci_u32_e64 v218, null, s5, v26, vcc_lo
	v_add_co_u32 v219, vcc_lo, s4, v29
	v_add_co_ci_u32_e64 v220, null, s5, v30, vcc_lo
	v_lshlrev_b64 v[29:30], 4, v[31:32]
	v_ashrrev_i32_e32 v224, 31, v223
	v_add_co_u32 v221, vcc_lo, s4, v221
	v_ashrrev_i32_e32 v226, 31, v225
	v_add_nc_u32_e32 v229, s15, v225
	v_add_co_ci_u32_e64 v222, null, s5, v222, vcc_lo
	v_lshlrev_b64 v[227:228], 4, v[223:224]
	v_add_co_u32 v223, vcc_lo, s4, v29
	s_clause 0x3
	global_load_dwordx4 v[13:16], v[211:212], off
	global_load_dwordx4 v[9:12], v[213:214], off
	;; [unrolled: 1-line block ×4, first 2 shown]
	s_waitcnt vmcnt(38)
	buffer_store_dword v4, off, s[0:3], 0 offset:28
	buffer_store_dword v3, off, s[0:3], 0 offset:24
	;; [unrolled: 1-line block ×4, first 2 shown]
	v_lshlrev_b64 v[252:253], 4, v[225:226]
	v_add_co_ci_u32_e64 v224, null, s5, v30, vcc_lo
	s_clause 0x1
	global_load_dwordx4 v[29:32], v[219:220], off
	global_load_dwordx4 v[1:4], v[221:222], off
	s_waitcnt vmcnt(38)
	buffer_store_dword v76, off, s[0:3], 0 offset:44
	buffer_store_dword v75, off, s[0:3], 0 offset:40
	;; [unrolled: 1-line block ×4, first 2 shown]
	v_add_nc_u32_e32 v73, s15, v229
	v_ashrrev_i32_e32 v230, 31, v229
	v_add_co_u32 v225, vcc_lo, s4, v227
	v_add_co_ci_u32_e64 v226, null, s5, v228, vcc_lo
	v_add_co_u32 v227, vcc_lo, s4, v252
	v_add_nc_u32_e32 v252, s15, v73
	v_lshlrev_b64 v[75:76], 4, v[229:230]
	s_waitcnt vmcnt(36)
	buffer_store_dword v56, off, s[0:3], 0 offset:60
	buffer_store_dword v55, off, s[0:3], 0 offset:56
	;; [unrolled: 1-line block ×8, first 2 shown]
	s_clause 0x1
	global_load_dwordx4 v[61:64], v[223:224], off
	global_load_dwordx4 v[53:56], v[225:226], off
	s_waitcnt vmcnt(37)
	buffer_store_dword v72, off, s[0:3], 0 offset:92
	buffer_store_dword v71, off, s[0:3], 0 offset:88
	;; [unrolled: 1-line block ×4, first 2 shown]
	v_add_nc_u32_e32 v69, s15, v252
	v_add_co_ci_u32_e64 v228, null, s5, v253, vcc_lo
	v_add_co_u32 v229, vcc_lo, s4, v75
	v_add_nc_u32_e32 v75, s15, v69
	v_add_co_ci_u32_e64 v230, null, s5, v76, vcc_lo
	s_waitcnt vmcnt(35)
	buffer_store_dword v40, off, s[0:3], 0 offset:108
	buffer_store_dword v39, off, s[0:3], 0 offset:104
	;; [unrolled: 1-line block ×4, first 2 shown]
	s_waitcnt vmcnt(33)
	buffer_store_dword v44, off, s[0:3], 0 offset:124
	buffer_store_dword v43, off, s[0:3], 0 offset:120
	buffer_store_dword v42, off, s[0:3], 0 offset:116
	buffer_store_dword v41, off, s[0:3], 0 offset:112
	v_ashrrev_i32_e32 v70, 31, v69
	s_clause 0x1
	global_load_dwordx4 v[41:44], v[227:228], off
	global_load_dwordx4 v[37:40], v[229:230], off
	v_ashrrev_i32_e32 v74, 31, v73
	v_ashrrev_i32_e32 v253, 31, v252
	;; [unrolled: 1-line block ×3, first 2 shown]
	buffer_store_dword v48, off, s[0:3], 0 offset:140
	buffer_store_dword v47, off, s[0:3], 0 offset:136
	;; [unrolled: 1-line block ×12, first 2 shown]
	s_waitcnt vmcnt(34)
	buffer_store_dword v65, off, s[0:3], 0 offset:176
	buffer_store_dword v66, off, s[0:3], 0 offset:180
	buffer_store_dword v67, off, s[0:3], 0 offset:184
	buffer_store_dword v68, off, s[0:3], 0 offset:188
	s_waitcnt vmcnt(33)
	buffer_store_dword v97, off, s[0:3], 0 offset:192
	buffer_store_dword v98, off, s[0:3], 0 offset:196
	buffer_store_dword v99, off, s[0:3], 0 offset:200
	buffer_store_dword v100, off, s[0:3], 0 offset:204
	;; [unrolled: 5-line block ×22, first 2 shown]
	s_waitcnt vmcnt(12)
	buffer_store_dword v20, off, s[0:3], 0 offset:540
	v_add_nc_u32_e32 v57, s15, v75
	v_lshlrev_b64 v[45:46], 4, v[69:70]
	v_lshlrev_b64 v[73:74], 4, v[73:74]
	;; [unrolled: 1-line block ×4, first 2 shown]
	v_add_nc_u32_e32 v69, s15, v57
	v_ashrrev_i32_e32 v58, 31, v57
	v_add_co_u32 v88, vcc_lo, s4, v73
	v_ashrrev_i32_e32 v70, 31, v69
	v_add_co_ci_u32_e64 v89, null, s5, v74, vcc_lo
	v_add_co_u32 v90, vcc_lo, s4, v71
	v_lshlrev_b64 v[73:74], 4, v[69:70]
	v_add_nc_u32_e32 v69, s15, v69
	v_add_co_ci_u32_e64 v91, null, s5, v72, vcc_lo
	v_lshlrev_b64 v[71:72], 4, v[57:58]
	v_add_co_u32 v92, vcc_lo, s4, v45
	v_add_nc_u32_e32 v77, s15, v69
	v_ashrrev_i32_e32 v70, 31, v69
	v_add_co_ci_u32_e64 v93, null, s5, v46, vcc_lo
	v_add_co_u32 v94, vcc_lo, s4, v47
	v_add_nc_u32_e32 v79, s15, v77
	v_ashrrev_i32_e32 v78, 31, v77
	v_lshlrev_b64 v[81:82], 4, v[69:70]
	v_add_co_ci_u32_e64 v95, null, s5, v48, vcc_lo
	v_add_nc_u32_e32 v83, s15, v79
	v_add_co_u32 v96, vcc_lo, s4, v71
	v_lshlrev_b64 v[77:78], 4, v[77:78]
	v_ashrrev_i32_e32 v80, 31, v79
	v_add_nc_u32_e32 v85, s15, v83
	v_add_co_ci_u32_e64 v97, null, s5, v72, vcc_lo
	v_add_co_u32 v98, vcc_lo, s4, v73
	v_ashrrev_i32_e32 v84, 31, v83
	v_add_co_ci_u32_e64 v99, null, s5, v74, vcc_lo
	v_add_co_u32 v100, vcc_lo, s4, v81
	v_ashrrev_i32_e32 v86, 31, v85
	v_add_co_ci_u32_e64 v101, null, s5, v82, vcc_lo
	v_lshlrev_b64 v[79:80], 4, v[79:80]
	v_add_co_u32 v102, vcc_lo, s4, v77
	v_add_nc_u32_e32 v108, s15, v85
	v_add_co_ci_u32_e64 v103, null, s5, v78, vcc_lo
	v_lshlrev_b64 v[77:78], 4, v[83:84]
	v_lshlrev_b64 v[85:86], 4, v[85:86]
	v_ashrrev_i32_e32 v109, 31, v108
	v_add_nc_u32_e32 v112, s15, v108
	v_add_co_u32 v104, vcc_lo, s4, v79
	v_add_co_ci_u32_e64 v105, null, s5, v80, vcc_lo
	v_add_co_u32 v106, vcc_lo, s4, v77
	v_add_co_ci_u32_e64 v107, null, s5, v78, vcc_lo
	v_lshlrev_b64 v[110:111], 4, v[108:109]
	v_add_co_u32 v108, vcc_lo, s4, v85
	v_add_nc_u32_e32 v85, s15, v112
	v_ashrrev_i32_e32 v113, 31, v112
	v_add_co_ci_u32_e64 v109, null, s5, v86, vcc_lo
	v_add_co_u32 v110, vcc_lo, s4, v110
	v_add_nc_u32_e32 v114, s15, v85
	v_ashrrev_i32_e32 v86, 31, v85
	v_lshlrev_b64 v[112:113], 4, v[112:113]
	v_add_co_ci_u32_e64 v111, null, s5, v111, vcc_lo
	v_add_nc_u32_e32 v116, s15, v114
	v_lshlrev_b64 v[85:86], 4, v[85:86]
	v_ashrrev_i32_e32 v115, 31, v114
	v_add_co_u32 v112, vcc_lo, s4, v112
	v_ashrrev_i32_e32 v117, 31, v116
	v_add_co_ci_u32_e64 v113, null, s5, v113, vcc_lo
	v_lshlrev_b64 v[118:119], 4, v[114:115]
	v_add_co_u32 v114, vcc_lo, s4, v85
	v_add_nc_u32_e32 v120, s15, v116
	v_add_co_ci_u32_e64 v115, null, s5, v86, vcc_lo
	v_lshlrev_b64 v[85:86], 4, v[116:117]
	v_add_co_u32 v116, vcc_lo, s4, v118
	v_ashrrev_i32_e32 v121, 31, v120
	v_add_co_ci_u32_e64 v117, null, s5, v119, vcc_lo
	v_add_co_u32 v118, vcc_lo, s4, v85
	v_add_co_ci_u32_e64 v119, null, s5, v86, vcc_lo
	v_lshlrev_b64 v[85:86], 4, v[120:121]
	v_add_nc_u32_e32 v124, s15, v120
	s_clause 0x7
	global_load_dwordx4 v[45:48], v[88:89], off
	global_load_dwordx4 v[49:52], v[90:91], off
	;; [unrolled: 1-line block ×8, first 2 shown]
	v_add_co_u32 v120, vcc_lo, s4, v85
	v_add_nc_u32_e32 v85, s15, v124
	v_ashrrev_i32_e32 v125, 31, v124
	v_add_co_ci_u32_e64 v121, null, s5, v86, vcc_lo
	s_clause 0x1
	global_load_dwordx4 v[126:129], v[104:105], off
	global_load_dwordx4 v[130:133], v[106:107], off
	v_ashrrev_i32_e32 v86, 31, v85
	v_lshlrev_b64 v[122:123], 4, v[124:125]
	s_clause 0x5
	global_load_dwordx4 v[134:137], v[108:109], off
	global_load_dwordx4 v[232:235], v[110:111], off
	;; [unrolled: 1-line block ×6, first 2 shown]
	v_lshlrev_b64 v[85:86], 4, v[85:86]
	global_load_dwordx4 v[252:255], v[120:121], off
	v_add_co_u32 v122, vcc_lo, s4, v122
	v_add_co_ci_u32_e64 v123, null, s5, v123, vcc_lo
	v_add_co_u32 v124, vcc_lo, s4, v85
	v_add_co_ci_u32_e64 v125, null, s5, v86, vcc_lo
	buffer_store_dword v19, off, s[0:3], 0 offset:536
	buffer_store_dword v18, off, s[0:3], 0 offset:532
	;; [unrolled: 1-line block ×3, first 2 shown]
	global_load_dwordx4 v[17:20], v[122:123], off
	s_waitcnt vmcnt(29)
	buffer_store_dword v36, off, s[0:3], 0 offset:556
	buffer_store_dword v35, off, s[0:3], 0 offset:552
	;; [unrolled: 1-line block ×4, first 2 shown]
	global_load_dwordx4 v[33:36], v[124:125], off
	s_movk_i32 s4, 0x50
	s_movk_i32 s5, 0x60
	s_add_i32 s73, s4, 16
	s_movk_i32 s4, 0x70
	s_add_i32 s72, s5, 16
	;; [unrolled: 2-line block ×56, first 2 shown]
	s_add_i32 s15, s4, 16
	s_movk_i32 s4, 0x3e0
	s_movk_i32 s5, 0x3f0
	s_add_i32 s13, s4, 16
	s_add_i32 s12, s5, 16
	s_mov_b32 s5, -1
	s_bitcmp0_b32 s8, 0
	s_waitcnt vmcnt(29)
	buffer_store_dword v8, off, s[0:3], 0 offset:572
	buffer_store_dword v7, off, s[0:3], 0 offset:568
	buffer_store_dword v6, off, s[0:3], 0 offset:564
	buffer_store_dword v5, off, s[0:3], 0 offset:560
	s_waitcnt vmcnt(28)
	buffer_store_dword v16, off, s[0:3], 0 offset:588
	buffer_store_dword v15, off, s[0:3], 0 offset:584
	buffer_store_dword v14, off, s[0:3], 0 offset:580
	buffer_store_dword v13, off, s[0:3], 0 offset:576
	;; [unrolled: 5-line block ×30, first 2 shown]
	s_cbranch_scc1 .LBB63_280
; %bb.4:
	v_cmp_eq_u32_e64 s4, 0, v0
	s_and_saveexec_b32 s5, s4
; %bb.5:
	v_mov_b32_e32 v1, 0
	ds_write_b32 v1, v1 offset:2048
; %bb.6:
	s_or_b32 exec_lo, exec_lo, s5
	v_lshl_add_u32 v11, v0, 4, 16
	s_waitcnt lgkmcnt(0)
	s_waitcnt_vscnt null, 0x0
	s_barrier
	buffer_gl0_inv
	s_clause 0x3
	buffer_load_dword v1, v11, s[0:3], 0 offen
	buffer_load_dword v2, v11, s[0:3], 0 offen offset:4
	buffer_load_dword v3, v11, s[0:3], 0 offen offset:8
	;; [unrolled: 1-line block ×3, first 2 shown]
	s_waitcnt vmcnt(2)
	v_cmp_eq_f64_e32 vcc_lo, 0, v[1:2]
	s_waitcnt vmcnt(0)
	v_cmp_eq_f64_e64 s5, 0, v[3:4]
	s_and_b32 s5, vcc_lo, s5
	s_and_saveexec_b32 s8, s5
	s_cbranch_execz .LBB63_10
; %bb.7:
	v_mov_b32_e32 v1, 0
	s_mov_b32 s9, 0
	ds_read_b32 v2, v1 offset:2048
	s_waitcnt lgkmcnt(0)
	v_readfirstlane_b32 s5, v2
	v_add_nc_u32_e32 v2, 1, v0
	s_cmp_eq_u32 s5, 0
	v_cmp_gt_i32_e32 vcc_lo, s5, v2
	s_cselect_b32 s79, -1, 0
	s_or_b32 s79, s79, vcc_lo
	s_and_b32 exec_lo, exec_lo, s79
	s_cbranch_execz .LBB63_10
; %bb.8:
	v_mov_b32_e32 v3, s5
.LBB63_9:                               ; =>This Inner Loop Header: Depth=1
	ds_cmpst_rtn_b32 v3, v1, v3, v2 offset:2048
	s_waitcnt lgkmcnt(0)
	v_cmp_ne_u32_e32 vcc_lo, 0, v3
	v_cmp_le_i32_e64 s5, v3, v2
	s_and_b32 s5, vcc_lo, s5
	s_and_b32 s5, exec_lo, s5
	s_or_b32 s9, s5, s9
	s_andn2_b32 exec_lo, exec_lo, s9
	s_cbranch_execnz .LBB63_9
.LBB63_10:
	s_or_b32 exec_lo, exec_lo, s8
	v_mov_b32_e32 v1, 0
	s_barrier
	buffer_gl0_inv
	ds_read_b32 v2, v1 offset:2048
	s_and_saveexec_b32 s5, s4
	s_cbranch_execz .LBB63_12
; %bb.11:
	s_lshl_b64 s[8:9], s[6:7], 2
	s_add_u32 s8, s10, s8
	s_addc_u32 s9, s11, s9
	s_waitcnt lgkmcnt(0)
	global_store_dword v1, v2, s[8:9]
.LBB63_12:
	s_or_b32 exec_lo, exec_lo, s5
	s_waitcnt lgkmcnt(0)
	v_cmp_ne_u32_e32 vcc_lo, 0, v2
	s_mov_b32 s5, 0
	s_cbranch_vccnz .LBB63_280
; %bb.13:
	s_clause 0x3
	buffer_load_dword v7, v11, s[0:3], 0 offen
	buffer_load_dword v8, v11, s[0:3], 0 offen offset:4
	buffer_load_dword v9, v11, s[0:3], 0 offen offset:8
	;; [unrolled: 1-line block ×3, first 2 shown]
                                        ; implicit-def: $vgpr5_vgpr6
                                        ; implicit-def: $vgpr3_vgpr4
	s_waitcnt vmcnt(0)
	v_cmp_ngt_f64_e64 s5, |v[7:8]|, |v[9:10]|
	s_and_saveexec_b32 s8, s5
	s_xor_b32 s5, exec_lo, s8
	s_cbranch_execz .LBB63_15
; %bb.14:
	v_div_scale_f64 v[1:2], null, v[9:10], v[9:10], v[7:8]
	v_div_scale_f64 v[12:13], vcc_lo, v[7:8], v[9:10], v[7:8]
	v_rcp_f64_e32 v[3:4], v[1:2]
	v_fma_f64 v[5:6], -v[1:2], v[3:4], 1.0
	v_fma_f64 v[3:4], v[3:4], v[5:6], v[3:4]
	v_fma_f64 v[5:6], -v[1:2], v[3:4], 1.0
	v_fma_f64 v[3:4], v[3:4], v[5:6], v[3:4]
	v_mul_f64 v[5:6], v[12:13], v[3:4]
	v_fma_f64 v[1:2], -v[1:2], v[5:6], v[12:13]
	v_div_fmas_f64 v[1:2], v[1:2], v[3:4], v[5:6]
	v_div_fixup_f64 v[1:2], v[1:2], v[9:10], v[7:8]
	v_fma_f64 v[3:4], v[7:8], v[1:2], v[9:10]
	v_div_scale_f64 v[5:6], null, v[3:4], v[3:4], 1.0
	v_div_scale_f64 v[12:13], vcc_lo, 1.0, v[3:4], 1.0
	v_rcp_f64_e32 v[7:8], v[5:6]
	v_fma_f64 v[9:10], -v[5:6], v[7:8], 1.0
	v_fma_f64 v[7:8], v[7:8], v[9:10], v[7:8]
	v_fma_f64 v[9:10], -v[5:6], v[7:8], 1.0
	v_fma_f64 v[7:8], v[7:8], v[9:10], v[7:8]
	v_mul_f64 v[9:10], v[12:13], v[7:8]
	v_fma_f64 v[5:6], -v[5:6], v[9:10], v[12:13]
	v_div_fmas_f64 v[5:6], v[5:6], v[7:8], v[9:10]
                                        ; implicit-def: $vgpr7_vgpr8
                                        ; implicit-def: $vgpr9_vgpr10
	v_div_fixup_f64 v[3:4], v[5:6], v[3:4], 1.0
	v_mul_f64 v[5:6], v[1:2], v[3:4]
	v_xor_b32_e32 v4, 0x80000000, v4
	v_xor_b32_e32 v2, 0x80000000, v6
	v_mov_b32_e32 v1, v5
.LBB63_15:
	s_andn2_saveexec_b32 s5, s5
	s_cbranch_execz .LBB63_17
; %bb.16:
	v_div_scale_f64 v[1:2], null, v[7:8], v[7:8], v[9:10]
	v_div_scale_f64 v[12:13], vcc_lo, v[9:10], v[7:8], v[9:10]
	v_rcp_f64_e32 v[3:4], v[1:2]
	v_fma_f64 v[5:6], -v[1:2], v[3:4], 1.0
	v_fma_f64 v[3:4], v[3:4], v[5:6], v[3:4]
	v_fma_f64 v[5:6], -v[1:2], v[3:4], 1.0
	v_fma_f64 v[3:4], v[3:4], v[5:6], v[3:4]
	v_mul_f64 v[5:6], v[12:13], v[3:4]
	v_fma_f64 v[1:2], -v[1:2], v[5:6], v[12:13]
	v_div_fmas_f64 v[1:2], v[1:2], v[3:4], v[5:6]
	v_div_fixup_f64 v[1:2], v[1:2], v[7:8], v[9:10]
	v_fma_f64 v[3:4], v[9:10], v[1:2], v[7:8]
	v_div_scale_f64 v[5:6], null, v[3:4], v[3:4], 1.0
	v_rcp_f64_e32 v[7:8], v[5:6]
	v_fma_f64 v[9:10], -v[5:6], v[7:8], 1.0
	v_fma_f64 v[7:8], v[7:8], v[9:10], v[7:8]
	v_fma_f64 v[9:10], -v[5:6], v[7:8], 1.0
	v_fma_f64 v[7:8], v[7:8], v[9:10], v[7:8]
	v_div_scale_f64 v[9:10], vcc_lo, 1.0, v[3:4], 1.0
	v_mul_f64 v[12:13], v[9:10], v[7:8]
	v_fma_f64 v[5:6], -v[5:6], v[12:13], v[9:10]
	v_div_fmas_f64 v[5:6], v[5:6], v[7:8], v[12:13]
	v_div_fixup_f64 v[5:6], v[5:6], v[3:4], 1.0
	v_mul_f64 v[3:4], v[1:2], -v[5:6]
	v_xor_b32_e32 v2, 0x80000000, v6
	v_mov_b32_e32 v1, v5
.LBB63_17:
	s_or_b32 exec_lo, exec_lo, s5
	v_mov_b32_e32 v10, s77
	buffer_store_dword v6, v11, s[0:3], 0 offen offset:4
	buffer_store_dword v5, v11, s[0:3], 0 offen
	buffer_store_dword v4, v11, s[0:3], 0 offen offset:12
	buffer_store_dword v3, v11, s[0:3], 0 offen offset:8
	v_xor_b32_e32 v4, 0x80000000, v4
	v_or_b32_e32 v5, 0x400, v231
	s_clause 0x3
	buffer_load_dword v9, v10, s[0:3], 0 offen offset:12
	buffer_load_dword v8, v10, s[0:3], 0 offen offset:8
	;; [unrolled: 1-line block ×3, first 2 shown]
	buffer_load_dword v6, v10, s[0:3], 0 offen
	ds_write_b128 v231, v[1:4]
	s_waitcnt vmcnt(0)
	ds_write_b128 v231, v[6:9] offset:1024
	s_waitcnt lgkmcnt(0)
	s_waitcnt_vscnt null, 0x0
	s_barrier
	buffer_gl0_inv
	s_and_saveexec_b32 s5, s4
	s_cbranch_execz .LBB63_19
; %bb.18:
	s_clause 0x3
	buffer_load_dword v12, v11, s[0:3], 0 offen offset:8
	buffer_load_dword v13, v11, s[0:3], 0 offen offset:12
	buffer_load_dword v14, v11, s[0:3], 0 offen
	buffer_load_dword v15, v11, s[0:3], 0 offen offset:4
	ds_read_b128 v[1:4], v5
	v_mov_b32_e32 v6, 0
	ds_read_b128 v[6:9], v6 offset:16
	s_waitcnt vmcnt(2) lgkmcnt(1)
	v_mul_f64 v[16:17], v[1:2], v[12:13]
	v_mul_f64 v[12:13], v[3:4], v[12:13]
	s_waitcnt vmcnt(0)
	v_fma_f64 v[3:4], v[3:4], v[14:15], v[16:17]
	v_fma_f64 v[1:2], v[1:2], v[14:15], -v[12:13]
	v_add_f64 v[3:4], v[3:4], 0
	v_add_f64 v[1:2], v[1:2], 0
	s_waitcnt lgkmcnt(0)
	v_mul_f64 v[12:13], v[3:4], v[8:9]
	v_mul_f64 v[8:9], v[1:2], v[8:9]
	v_fma_f64 v[1:2], v[1:2], v[6:7], -v[12:13]
	v_fma_f64 v[3:4], v[3:4], v[6:7], v[8:9]
	buffer_store_dword v1, off, s[0:3], 0 offset:32
	buffer_store_dword v2, off, s[0:3], 0 offset:36
	;; [unrolled: 1-line block ×4, first 2 shown]
.LBB63_19:
	s_or_b32 exec_lo, exec_lo, s5
	v_mov_b32_e32 v4, s76
	s_waitcnt_vscnt null, 0x0
	s_barrier
	buffer_gl0_inv
	v_cmp_gt_u32_e32 vcc_lo, 2, v0
	s_clause 0x3
	buffer_load_dword v1, v4, s[0:3], 0 offen
	buffer_load_dword v2, v4, s[0:3], 0 offen offset:4
	buffer_load_dword v3, v4, s[0:3], 0 offen offset:8
	;; [unrolled: 1-line block ×3, first 2 shown]
	s_waitcnt vmcnt(0)
	ds_write_b128 v5, v[1:4]
	s_waitcnt lgkmcnt(0)
	s_barrier
	buffer_gl0_inv
	s_and_saveexec_b32 s5, vcc_lo
	s_cbranch_execz .LBB63_23
; %bb.20:
	s_clause 0x3
	buffer_load_dword v6, v11, s[0:3], 0 offen offset:8
	buffer_load_dword v7, v11, s[0:3], 0 offen offset:12
	buffer_load_dword v8, v11, s[0:3], 0 offen
	buffer_load_dword v9, v11, s[0:3], 0 offen offset:4
	ds_read_b128 v[1:4], v5
	s_waitcnt vmcnt(2) lgkmcnt(0)
	v_mul_f64 v[12:13], v[3:4], v[6:7]
	v_mul_f64 v[6:7], v[1:2], v[6:7]
	s_waitcnt vmcnt(0)
	v_fma_f64 v[1:2], v[1:2], v[8:9], -v[12:13]
	v_fma_f64 v[3:4], v[3:4], v[8:9], v[6:7]
	v_add_f64 v[1:2], v[1:2], 0
	v_add_f64 v[3:4], v[3:4], 0
	s_and_saveexec_b32 s8, s4
	s_cbranch_execz .LBB63_22
; %bb.21:
	s_clause 0x3
	buffer_load_dword v12, off, s[0:3], 0 offset:40
	buffer_load_dword v13, off, s[0:3], 0 offset:44
	;; [unrolled: 1-line block ×4, first 2 shown]
	v_mov_b32_e32 v6, 0
	ds_read_b128 v[6:9], v6 offset:1040
	s_waitcnt vmcnt(2) lgkmcnt(0)
	v_mul_f64 v[16:17], v[6:7], v[12:13]
	v_mul_f64 v[12:13], v[8:9], v[12:13]
	s_waitcnt vmcnt(0)
	v_fma_f64 v[8:9], v[8:9], v[14:15], v[16:17]
	v_fma_f64 v[6:7], v[6:7], v[14:15], -v[12:13]
	v_add_f64 v[3:4], v[3:4], v[8:9]
	v_add_f64 v[1:2], v[1:2], v[6:7]
.LBB63_22:
	s_or_b32 exec_lo, exec_lo, s8
	v_mov_b32_e32 v6, 0
	ds_read_b128 v[6:9], v6 offset:32
	s_waitcnt lgkmcnt(0)
	v_mul_f64 v[12:13], v[3:4], v[8:9]
	v_mul_f64 v[8:9], v[1:2], v[8:9]
	v_fma_f64 v[1:2], v[1:2], v[6:7], -v[12:13]
	v_fma_f64 v[3:4], v[3:4], v[6:7], v[8:9]
	buffer_store_dword v2, off, s[0:3], 0 offset:52
	buffer_store_dword v1, off, s[0:3], 0 offset:48
	;; [unrolled: 1-line block ×4, first 2 shown]
.LBB63_23:
	s_or_b32 exec_lo, exec_lo, s5
	v_mov_b32_e32 v4, s75
	s_waitcnt_vscnt null, 0x0
	s_barrier
	buffer_gl0_inv
	v_add_nc_u32_e32 v6, -1, v0
	s_clause 0x3
	buffer_load_dword v1, v4, s[0:3], 0 offen
	buffer_load_dword v2, v4, s[0:3], 0 offen offset:4
	buffer_load_dword v3, v4, s[0:3], 0 offen offset:8
	;; [unrolled: 1-line block ×3, first 2 shown]
	s_mov_b32 s8, exec_lo
	s_waitcnt vmcnt(0)
	ds_write_b128 v5, v[1:4]
	s_waitcnt lgkmcnt(0)
	s_barrier
	buffer_gl0_inv
	v_cmpx_gt_u32_e32 3, v0
	s_cbranch_execz .LBB63_27
; %bb.24:
	v_mov_b32_e32 v1, 0
	v_mov_b32_e32 v3, 0
	v_add_nc_u32_e32 v7, -1, v0
	v_or_b32_e32 v8, 0x400, v231
	v_mov_b32_e32 v2, 0
	v_mov_b32_e32 v4, 0
	v_add_nc_u32_e32 v9, 16, v231
	s_mov_b32 s9, 0
	.p2align	6
.LBB63_25:                              ; =>This Inner Loop Header: Depth=1
	s_clause 0x3
	buffer_load_dword v16, v9, s[0:3], 0 offen offset:8
	buffer_load_dword v17, v9, s[0:3], 0 offen offset:12
	buffer_load_dword v18, v9, s[0:3], 0 offen
	buffer_load_dword v19, v9, s[0:3], 0 offen offset:4
	ds_read_b128 v[12:15], v8
	v_add_nc_u32_e32 v7, 1, v7
	v_add_nc_u32_e32 v8, 16, v8
	;; [unrolled: 1-line block ×3, first 2 shown]
	v_cmp_lt_u32_e64 s5, 1, v7
	s_or_b32 s9, s5, s9
	s_waitcnt vmcnt(2) lgkmcnt(0)
	v_mul_f64 v[20:21], v[14:15], v[16:17]
	v_mul_f64 v[16:17], v[12:13], v[16:17]
	s_waitcnt vmcnt(0)
	v_fma_f64 v[12:13], v[12:13], v[18:19], -v[20:21]
	v_fma_f64 v[14:15], v[14:15], v[18:19], v[16:17]
	v_add_f64 v[3:4], v[3:4], v[12:13]
	v_add_f64 v[1:2], v[1:2], v[14:15]
	s_andn2_b32 exec_lo, exec_lo, s9
	s_cbranch_execnz .LBB63_25
; %bb.26:
	s_or_b32 exec_lo, exec_lo, s9
	v_mov_b32_e32 v7, 0
	ds_read_b128 v[7:10], v7 offset:48
	s_waitcnt lgkmcnt(0)
	v_mul_f64 v[12:13], v[1:2], v[9:10]
	v_mul_f64 v[9:10], v[3:4], v[9:10]
	v_fma_f64 v[3:4], v[3:4], v[7:8], -v[12:13]
	v_fma_f64 v[1:2], v[1:2], v[7:8], v[9:10]
	buffer_store_dword v4, off, s[0:3], 0 offset:68
	buffer_store_dword v3, off, s[0:3], 0 offset:64
	;; [unrolled: 1-line block ×4, first 2 shown]
.LBB63_27:
	s_or_b32 exec_lo, exec_lo, s8
	v_mov_b32_e32 v4, s74
	s_waitcnt_vscnt null, 0x0
	s_barrier
	buffer_gl0_inv
	v_cmp_gt_u32_e64 s5, 4, v0
	s_clause 0x3
	buffer_load_dword v1, v4, s[0:3], 0 offen
	buffer_load_dword v2, v4, s[0:3], 0 offen offset:4
	buffer_load_dword v3, v4, s[0:3], 0 offen offset:8
	;; [unrolled: 1-line block ×3, first 2 shown]
	s_waitcnt vmcnt(0)
	ds_write_b128 v5, v[1:4]
	s_waitcnt lgkmcnt(0)
	s_barrier
	buffer_gl0_inv
	s_and_saveexec_b32 s9, s5
	s_cbranch_execz .LBB63_31
; %bb.28:
	v_mov_b32_e32 v1, 0
	v_mov_b32_e32 v3, 0
	v_add_nc_u32_e32 v7, -1, v0
	v_or_b32_e32 v8, 0x400, v231
	v_mov_b32_e32 v2, 0
	v_mov_b32_e32 v4, 0
	v_add_nc_u32_e32 v9, 16, v231
	s_mov_b32 s79, 0
	.p2align	6
.LBB63_29:                              ; =>This Inner Loop Header: Depth=1
	s_clause 0x3
	buffer_load_dword v16, v9, s[0:3], 0 offen offset:8
	buffer_load_dword v17, v9, s[0:3], 0 offen offset:12
	buffer_load_dword v18, v9, s[0:3], 0 offen
	buffer_load_dword v19, v9, s[0:3], 0 offen offset:4
	ds_read_b128 v[12:15], v8
	v_add_nc_u32_e32 v7, 1, v7
	v_add_nc_u32_e32 v8, 16, v8
	;; [unrolled: 1-line block ×3, first 2 shown]
	v_cmp_lt_u32_e64 s8, 2, v7
	s_or_b32 s79, s8, s79
	s_waitcnt vmcnt(2) lgkmcnt(0)
	v_mul_f64 v[20:21], v[14:15], v[16:17]
	v_mul_f64 v[16:17], v[12:13], v[16:17]
	s_waitcnt vmcnt(0)
	v_fma_f64 v[12:13], v[12:13], v[18:19], -v[20:21]
	v_fma_f64 v[14:15], v[14:15], v[18:19], v[16:17]
	v_add_f64 v[3:4], v[3:4], v[12:13]
	v_add_f64 v[1:2], v[1:2], v[14:15]
	s_andn2_b32 exec_lo, exec_lo, s79
	s_cbranch_execnz .LBB63_29
; %bb.30:
	s_or_b32 exec_lo, exec_lo, s79
	v_mov_b32_e32 v7, 0
	ds_read_b128 v[7:10], v7 offset:64
	s_waitcnt lgkmcnt(0)
	v_mul_f64 v[12:13], v[1:2], v[9:10]
	v_mul_f64 v[9:10], v[3:4], v[9:10]
	v_fma_f64 v[3:4], v[3:4], v[7:8], -v[12:13]
	v_fma_f64 v[1:2], v[1:2], v[7:8], v[9:10]
	buffer_store_dword v4, off, s[0:3], 0 offset:84
	buffer_store_dword v3, off, s[0:3], 0 offset:80
	buffer_store_dword v2, off, s[0:3], 0 offset:92
	buffer_store_dword v1, off, s[0:3], 0 offset:88
.LBB63_31:
	s_or_b32 exec_lo, exec_lo, s9
	v_mov_b32_e32 v4, s73
	s_waitcnt_vscnt null, 0x0
	s_barrier
	buffer_gl0_inv
	s_mov_b32 s9, exec_lo
	s_clause 0x3
	buffer_load_dword v1, v4, s[0:3], 0 offen
	buffer_load_dword v2, v4, s[0:3], 0 offen offset:4
	buffer_load_dword v3, v4, s[0:3], 0 offen offset:8
	buffer_load_dword v4, v4, s[0:3], 0 offen offset:12
	s_waitcnt vmcnt(0)
	ds_write_b128 v5, v[1:4]
	s_waitcnt lgkmcnt(0)
	s_barrier
	buffer_gl0_inv
	v_cmpx_gt_u32_e32 5, v0
	s_cbranch_execz .LBB63_35
; %bb.32:
	v_mov_b32_e32 v1, 0
	v_mov_b32_e32 v3, 0
	v_add_nc_u32_e32 v7, -1, v0
	v_or_b32_e32 v8, 0x400, v231
	v_mov_b32_e32 v2, 0
	v_mov_b32_e32 v4, 0
	v_add_nc_u32_e32 v9, 16, v231
	s_mov_b32 s79, 0
	.p2align	6
.LBB63_33:                              ; =>This Inner Loop Header: Depth=1
	s_clause 0x3
	buffer_load_dword v16, v9, s[0:3], 0 offen offset:8
	buffer_load_dword v17, v9, s[0:3], 0 offen offset:12
	buffer_load_dword v18, v9, s[0:3], 0 offen
	buffer_load_dword v19, v9, s[0:3], 0 offen offset:4
	ds_read_b128 v[12:15], v8
	v_add_nc_u32_e32 v7, 1, v7
	v_add_nc_u32_e32 v8, 16, v8
	;; [unrolled: 1-line block ×3, first 2 shown]
	v_cmp_lt_u32_e64 s8, 3, v7
	s_or_b32 s79, s8, s79
	s_waitcnt vmcnt(2) lgkmcnt(0)
	v_mul_f64 v[20:21], v[14:15], v[16:17]
	v_mul_f64 v[16:17], v[12:13], v[16:17]
	s_waitcnt vmcnt(0)
	v_fma_f64 v[12:13], v[12:13], v[18:19], -v[20:21]
	v_fma_f64 v[14:15], v[14:15], v[18:19], v[16:17]
	v_add_f64 v[3:4], v[3:4], v[12:13]
	v_add_f64 v[1:2], v[1:2], v[14:15]
	s_andn2_b32 exec_lo, exec_lo, s79
	s_cbranch_execnz .LBB63_33
; %bb.34:
	s_or_b32 exec_lo, exec_lo, s79
	v_mov_b32_e32 v7, 0
	ds_read_b128 v[7:10], v7 offset:80
	s_waitcnt lgkmcnt(0)
	v_mul_f64 v[12:13], v[1:2], v[9:10]
	v_mul_f64 v[9:10], v[3:4], v[9:10]
	v_fma_f64 v[3:4], v[3:4], v[7:8], -v[12:13]
	v_fma_f64 v[1:2], v[1:2], v[7:8], v[9:10]
	buffer_store_dword v4, off, s[0:3], 0 offset:100
	buffer_store_dword v3, off, s[0:3], 0 offset:96
	;; [unrolled: 1-line block ×4, first 2 shown]
.LBB63_35:
	s_or_b32 exec_lo, exec_lo, s9
	v_mov_b32_e32 v4, s72
	s_waitcnt_vscnt null, 0x0
	s_barrier
	buffer_gl0_inv
	v_cmp_gt_u32_e64 s8, 6, v0
	s_clause 0x3
	buffer_load_dword v1, v4, s[0:3], 0 offen
	buffer_load_dword v2, v4, s[0:3], 0 offen offset:4
	buffer_load_dword v3, v4, s[0:3], 0 offen offset:8
	;; [unrolled: 1-line block ×3, first 2 shown]
	s_waitcnt vmcnt(0)
	ds_write_b128 v5, v[1:4]
	s_waitcnt lgkmcnt(0)
	s_barrier
	buffer_gl0_inv
	s_and_saveexec_b32 s79, s8
	s_cbranch_execz .LBB63_39
; %bb.36:
	v_mov_b32_e32 v1, 0
	v_mov_b32_e32 v3, 0
	v_add_nc_u32_e32 v7, -1, v0
	v_or_b32_e32 v8, 0x400, v231
	v_mov_b32_e32 v2, 0
	v_mov_b32_e32 v4, 0
	v_add_nc_u32_e32 v9, 16, v231
	s_mov_b32 s80, 0
	.p2align	6
.LBB63_37:                              ; =>This Inner Loop Header: Depth=1
	s_clause 0x3
	buffer_load_dword v16, v9, s[0:3], 0 offen offset:8
	buffer_load_dword v17, v9, s[0:3], 0 offen offset:12
	buffer_load_dword v18, v9, s[0:3], 0 offen
	buffer_load_dword v19, v9, s[0:3], 0 offen offset:4
	ds_read_b128 v[12:15], v8
	v_add_nc_u32_e32 v7, 1, v7
	v_add_nc_u32_e32 v8, 16, v8
	;; [unrolled: 1-line block ×3, first 2 shown]
	v_cmp_lt_u32_e64 s9, 4, v7
	s_or_b32 s80, s9, s80
	s_waitcnt vmcnt(2) lgkmcnt(0)
	v_mul_f64 v[20:21], v[14:15], v[16:17]
	v_mul_f64 v[16:17], v[12:13], v[16:17]
	s_waitcnt vmcnt(0)
	v_fma_f64 v[12:13], v[12:13], v[18:19], -v[20:21]
	v_fma_f64 v[14:15], v[14:15], v[18:19], v[16:17]
	v_add_f64 v[3:4], v[3:4], v[12:13]
	v_add_f64 v[1:2], v[1:2], v[14:15]
	s_andn2_b32 exec_lo, exec_lo, s80
	s_cbranch_execnz .LBB63_37
; %bb.38:
	s_or_b32 exec_lo, exec_lo, s80
	v_mov_b32_e32 v7, 0
	ds_read_b128 v[7:10], v7 offset:96
	s_waitcnt lgkmcnt(0)
	v_mul_f64 v[12:13], v[1:2], v[9:10]
	v_mul_f64 v[9:10], v[3:4], v[9:10]
	v_fma_f64 v[3:4], v[3:4], v[7:8], -v[12:13]
	v_fma_f64 v[1:2], v[1:2], v[7:8], v[9:10]
	buffer_store_dword v4, off, s[0:3], 0 offset:116
	buffer_store_dword v3, off, s[0:3], 0 offset:112
	;; [unrolled: 1-line block ×4, first 2 shown]
.LBB63_39:
	s_or_b32 exec_lo, exec_lo, s79
	v_mov_b32_e32 v4, s71
	s_waitcnt_vscnt null, 0x0
	s_barrier
	buffer_gl0_inv
	s_mov_b32 s79, exec_lo
	s_clause 0x3
	buffer_load_dword v1, v4, s[0:3], 0 offen
	buffer_load_dword v2, v4, s[0:3], 0 offen offset:4
	buffer_load_dword v3, v4, s[0:3], 0 offen offset:8
	;; [unrolled: 1-line block ×3, first 2 shown]
	s_waitcnt vmcnt(0)
	ds_write_b128 v5, v[1:4]
	s_waitcnt lgkmcnt(0)
	s_barrier
	buffer_gl0_inv
	v_cmpx_gt_u32_e32 7, v0
	s_cbranch_execz .LBB63_43
; %bb.40:
	v_mov_b32_e32 v1, 0
	v_mov_b32_e32 v3, 0
	v_add_nc_u32_e32 v7, -1, v0
	v_or_b32_e32 v8, 0x400, v231
	v_mov_b32_e32 v2, 0
	v_mov_b32_e32 v4, 0
	v_add_nc_u32_e32 v9, 16, v231
	s_mov_b32 s80, 0
	.p2align	6
.LBB63_41:                              ; =>This Inner Loop Header: Depth=1
	s_clause 0x3
	buffer_load_dword v16, v9, s[0:3], 0 offen offset:8
	buffer_load_dword v17, v9, s[0:3], 0 offen offset:12
	buffer_load_dword v18, v9, s[0:3], 0 offen
	buffer_load_dword v19, v9, s[0:3], 0 offen offset:4
	ds_read_b128 v[12:15], v8
	v_add_nc_u32_e32 v7, 1, v7
	v_add_nc_u32_e32 v8, 16, v8
	;; [unrolled: 1-line block ×3, first 2 shown]
	v_cmp_lt_u32_e64 s9, 5, v7
	s_or_b32 s80, s9, s80
	s_waitcnt vmcnt(2) lgkmcnt(0)
	v_mul_f64 v[20:21], v[14:15], v[16:17]
	v_mul_f64 v[16:17], v[12:13], v[16:17]
	s_waitcnt vmcnt(0)
	v_fma_f64 v[12:13], v[12:13], v[18:19], -v[20:21]
	v_fma_f64 v[14:15], v[14:15], v[18:19], v[16:17]
	v_add_f64 v[3:4], v[3:4], v[12:13]
	v_add_f64 v[1:2], v[1:2], v[14:15]
	s_andn2_b32 exec_lo, exec_lo, s80
	s_cbranch_execnz .LBB63_41
; %bb.42:
	s_or_b32 exec_lo, exec_lo, s80
	v_mov_b32_e32 v7, 0
	ds_read_b128 v[7:10], v7 offset:112
	s_waitcnt lgkmcnt(0)
	v_mul_f64 v[12:13], v[1:2], v[9:10]
	v_mul_f64 v[9:10], v[3:4], v[9:10]
	v_fma_f64 v[3:4], v[3:4], v[7:8], -v[12:13]
	v_fma_f64 v[1:2], v[1:2], v[7:8], v[9:10]
	buffer_store_dword v4, off, s[0:3], 0 offset:132
	buffer_store_dword v3, off, s[0:3], 0 offset:128
	;; [unrolled: 1-line block ×4, first 2 shown]
.LBB63_43:
	s_or_b32 exec_lo, exec_lo, s79
	v_mov_b32_e32 v4, s70
	s_waitcnt_vscnt null, 0x0
	s_barrier
	buffer_gl0_inv
	s_mov_b32 s79, exec_lo
	s_clause 0x3
	buffer_load_dword v1, v4, s[0:3], 0 offen
	buffer_load_dword v2, v4, s[0:3], 0 offen offset:4
	buffer_load_dword v3, v4, s[0:3], 0 offen offset:8
	;; [unrolled: 1-line block ×3, first 2 shown]
	s_waitcnt vmcnt(0)
	ds_write_b128 v5, v[1:4]
	s_waitcnt lgkmcnt(0)
	s_barrier
	buffer_gl0_inv
	v_cmpx_gt_u32_e32 8, v0
	s_cbranch_execz .LBB63_59
; %bb.44:
	s_clause 0x3
	buffer_load_dword v7, v11, s[0:3], 0 offen offset:8
	buffer_load_dword v8, v11, s[0:3], 0 offen offset:12
	buffer_load_dword v9, v11, s[0:3], 0 offen
	buffer_load_dword v10, v11, s[0:3], 0 offen offset:4
	ds_read_b128 v[1:4], v5
	s_mov_b32 s80, exec_lo
	s_waitcnt vmcnt(2) lgkmcnt(0)
	v_mul_f64 v[12:13], v[3:4], v[7:8]
	v_mul_f64 v[7:8], v[1:2], v[7:8]
	s_waitcnt vmcnt(0)
	v_fma_f64 v[1:2], v[1:2], v[9:10], -v[12:13]
	v_fma_f64 v[7:8], v[3:4], v[9:10], v[7:8]
	v_add_f64 v[3:4], v[1:2], 0
	v_add_f64 v[1:2], v[7:8], 0
	v_cmpx_ne_u32_e32 7, v0
	s_cbranch_execz .LBB63_58
; %bb.45:
	s_clause 0x3
	buffer_load_dword v12, v11, s[0:3], 0 offen offset:24
	buffer_load_dword v13, v11, s[0:3], 0 offen offset:28
	buffer_load_dword v14, v11, s[0:3], 0 offen offset:16
	buffer_load_dword v15, v11, s[0:3], 0 offen offset:20
	ds_read_b128 v[7:10], v5 offset:16
	s_waitcnt vmcnt(2) lgkmcnt(0)
	v_mul_f64 v[16:17], v[9:10], v[12:13]
	v_mul_f64 v[12:13], v[7:8], v[12:13]
	s_waitcnt vmcnt(0)
	v_fma_f64 v[7:8], v[7:8], v[14:15], -v[16:17]
	v_fma_f64 v[9:10], v[9:10], v[14:15], v[12:13]
	v_add_f64 v[3:4], v[3:4], v[7:8]
	v_add_f64 v[1:2], v[1:2], v[9:10]
	s_and_saveexec_b32 s9, s8
	s_cbranch_execz .LBB63_57
; %bb.46:
	s_clause 0x3
	buffer_load_dword v12, v11, s[0:3], 0 offen offset:40
	buffer_load_dword v13, v11, s[0:3], 0 offen offset:44
	;; [unrolled: 1-line block ×4, first 2 shown]
	ds_read_b128 v[7:10], v5 offset:32
	s_mov_b32 s81, exec_lo
	s_waitcnt vmcnt(2) lgkmcnt(0)
	v_mul_f64 v[16:17], v[9:10], v[12:13]
	v_mul_f64 v[12:13], v[7:8], v[12:13]
	s_waitcnt vmcnt(0)
	v_fma_f64 v[7:8], v[7:8], v[14:15], -v[16:17]
	v_fma_f64 v[9:10], v[9:10], v[14:15], v[12:13]
	v_add_f64 v[3:4], v[3:4], v[7:8]
	v_add_f64 v[1:2], v[1:2], v[9:10]
	v_cmpx_ne_u32_e32 5, v0
	s_cbranch_execz .LBB63_56
; %bb.47:
	s_clause 0x3
	buffer_load_dword v12, v11, s[0:3], 0 offen offset:56
	buffer_load_dword v13, v11, s[0:3], 0 offen offset:60
	;; [unrolled: 1-line block ×4, first 2 shown]
	ds_read_b128 v[7:10], v5 offset:48
	s_waitcnt vmcnt(2) lgkmcnt(0)
	v_mul_f64 v[16:17], v[9:10], v[12:13]
	v_mul_f64 v[12:13], v[7:8], v[12:13]
	s_waitcnt vmcnt(0)
	v_fma_f64 v[7:8], v[7:8], v[14:15], -v[16:17]
	v_fma_f64 v[9:10], v[9:10], v[14:15], v[12:13]
	v_add_f64 v[3:4], v[3:4], v[7:8]
	v_add_f64 v[1:2], v[1:2], v[9:10]
	s_and_saveexec_b32 s8, s5
	s_cbranch_execz .LBB63_55
; %bb.48:
	s_clause 0x3
	buffer_load_dword v12, v11, s[0:3], 0 offen offset:72
	buffer_load_dword v13, v11, s[0:3], 0 offen offset:76
	;; [unrolled: 1-line block ×4, first 2 shown]
	ds_read_b128 v[7:10], v5 offset:64
	s_mov_b32 s82, exec_lo
	s_waitcnt vmcnt(2) lgkmcnt(0)
	v_mul_f64 v[16:17], v[9:10], v[12:13]
	v_mul_f64 v[12:13], v[7:8], v[12:13]
	s_waitcnt vmcnt(0)
	v_fma_f64 v[7:8], v[7:8], v[14:15], -v[16:17]
	v_fma_f64 v[9:10], v[9:10], v[14:15], v[12:13]
	v_add_f64 v[3:4], v[3:4], v[7:8]
	v_add_f64 v[1:2], v[1:2], v[9:10]
	v_cmpx_ne_u32_e32 3, v0
	s_cbranch_execz .LBB63_54
; %bb.49:
	s_clause 0x3
	buffer_load_dword v12, v11, s[0:3], 0 offen offset:88
	buffer_load_dword v13, v11, s[0:3], 0 offen offset:92
	;; [unrolled: 1-line block ×4, first 2 shown]
	ds_read_b128 v[7:10], v5 offset:80
	s_waitcnt vmcnt(2) lgkmcnt(0)
	v_mul_f64 v[16:17], v[9:10], v[12:13]
	v_mul_f64 v[12:13], v[7:8], v[12:13]
	s_waitcnt vmcnt(0)
	v_fma_f64 v[7:8], v[7:8], v[14:15], -v[16:17]
	v_fma_f64 v[9:10], v[9:10], v[14:15], v[12:13]
	v_add_f64 v[3:4], v[3:4], v[7:8]
	v_add_f64 v[1:2], v[1:2], v[9:10]
	s_and_saveexec_b32 s5, vcc_lo
	s_cbranch_execz .LBB63_53
; %bb.50:
	s_clause 0x3
	buffer_load_dword v12, v11, s[0:3], 0 offen offset:104
	buffer_load_dword v13, v11, s[0:3], 0 offen offset:108
	;; [unrolled: 1-line block ×4, first 2 shown]
	ds_read_b128 v[7:10], v5 offset:96
	s_waitcnt vmcnt(2) lgkmcnt(0)
	v_mul_f64 v[16:17], v[9:10], v[12:13]
	v_mul_f64 v[12:13], v[7:8], v[12:13]
	s_waitcnt vmcnt(0)
	v_fma_f64 v[7:8], v[7:8], v[14:15], -v[16:17]
	v_fma_f64 v[9:10], v[9:10], v[14:15], v[12:13]
	v_add_f64 v[3:4], v[3:4], v[7:8]
	v_add_f64 v[1:2], v[1:2], v[9:10]
	s_and_saveexec_b32 s83, s4
	s_cbranch_execz .LBB63_52
; %bb.51:
	s_clause 0x3
	buffer_load_dword v12, v11, s[0:3], 0 offen offset:120
	buffer_load_dword v13, v11, s[0:3], 0 offen offset:124
	;; [unrolled: 1-line block ×4, first 2 shown]
	ds_read_b128 v[7:10], v5 offset:112
	s_waitcnt vmcnt(2) lgkmcnt(0)
	v_mul_f64 v[16:17], v[9:10], v[12:13]
	v_mul_f64 v[11:12], v[7:8], v[12:13]
	s_waitcnt vmcnt(0)
	v_fma_f64 v[7:8], v[7:8], v[14:15], -v[16:17]
	v_fma_f64 v[9:10], v[9:10], v[14:15], v[11:12]
	v_add_f64 v[3:4], v[3:4], v[7:8]
	v_add_f64 v[1:2], v[1:2], v[9:10]
.LBB63_52:
	s_or_b32 exec_lo, exec_lo, s83
.LBB63_53:
	s_or_b32 exec_lo, exec_lo, s5
.LBB63_54:
	s_or_b32 exec_lo, exec_lo, s82
.LBB63_55:
	s_or_b32 exec_lo, exec_lo, s8
.LBB63_56:
	s_or_b32 exec_lo, exec_lo, s81
.LBB63_57:
	s_or_b32 exec_lo, exec_lo, s9
.LBB63_58:
	s_or_b32 exec_lo, exec_lo, s80
	v_mov_b32_e32 v7, 0
	ds_read_b128 v[7:10], v7 offset:128
	s_waitcnt lgkmcnt(0)
	v_mul_f64 v[11:12], v[1:2], v[9:10]
	v_mul_f64 v[9:10], v[3:4], v[9:10]
	v_fma_f64 v[3:4], v[3:4], v[7:8], -v[11:12]
	v_fma_f64 v[1:2], v[1:2], v[7:8], v[9:10]
	buffer_store_dword v4, off, s[0:3], 0 offset:148
	buffer_store_dword v3, off, s[0:3], 0 offset:144
	;; [unrolled: 1-line block ×4, first 2 shown]
.LBB63_59:
	s_or_b32 exec_lo, exec_lo, s79
	v_mov_b32_e32 v4, s69
	s_waitcnt_vscnt null, 0x0
	s_barrier
	buffer_gl0_inv
	s_mov_b32 s4, exec_lo
	s_clause 0x3
	buffer_load_dword v1, v4, s[0:3], 0 offen
	buffer_load_dword v2, v4, s[0:3], 0 offen offset:4
	buffer_load_dword v3, v4, s[0:3], 0 offen offset:8
	buffer_load_dword v4, v4, s[0:3], 0 offen offset:12
	s_waitcnt vmcnt(0)
	ds_write_b128 v5, v[1:4]
	s_waitcnt lgkmcnt(0)
	s_barrier
	buffer_gl0_inv
	v_cmpx_gt_u32_e32 9, v0
	s_cbranch_execz .LBB63_63
; %bb.60:
	v_mov_b32_e32 v1, 0
	v_mov_b32_e32 v3, 0
	v_add_nc_u32_e32 v7, -1, v0
	v_or_b32_e32 v8, 0x400, v231
	v_mov_b32_e32 v2, 0
	v_mov_b32_e32 v4, 0
	v_add_nc_u32_e32 v9, 16, v231
	s_mov_b32 s5, 0
	.p2align	6
.LBB63_61:                              ; =>This Inner Loop Header: Depth=1
	s_clause 0x3
	buffer_load_dword v14, v9, s[0:3], 0 offen offset:8
	buffer_load_dword v15, v9, s[0:3], 0 offen offset:12
	buffer_load_dword v16, v9, s[0:3], 0 offen
	buffer_load_dword v17, v9, s[0:3], 0 offen offset:4
	ds_read_b128 v[10:13], v8
	v_add_nc_u32_e32 v7, 1, v7
	v_add_nc_u32_e32 v8, 16, v8
	;; [unrolled: 1-line block ×3, first 2 shown]
	v_cmp_lt_u32_e32 vcc_lo, 7, v7
	s_or_b32 s5, vcc_lo, s5
	s_waitcnt vmcnt(2) lgkmcnt(0)
	v_mul_f64 v[18:19], v[12:13], v[14:15]
	v_mul_f64 v[14:15], v[10:11], v[14:15]
	s_waitcnt vmcnt(0)
	v_fma_f64 v[10:11], v[10:11], v[16:17], -v[18:19]
	v_fma_f64 v[12:13], v[12:13], v[16:17], v[14:15]
	v_add_f64 v[3:4], v[3:4], v[10:11]
	v_add_f64 v[1:2], v[1:2], v[12:13]
	s_andn2_b32 exec_lo, exec_lo, s5
	s_cbranch_execnz .LBB63_61
; %bb.62:
	s_or_b32 exec_lo, exec_lo, s5
	v_mov_b32_e32 v7, 0
	ds_read_b128 v[7:10], v7 offset:144
	s_waitcnt lgkmcnt(0)
	v_mul_f64 v[11:12], v[1:2], v[9:10]
	v_mul_f64 v[9:10], v[3:4], v[9:10]
	v_fma_f64 v[3:4], v[3:4], v[7:8], -v[11:12]
	v_fma_f64 v[1:2], v[1:2], v[7:8], v[9:10]
	buffer_store_dword v4, off, s[0:3], 0 offset:164
	buffer_store_dword v3, off, s[0:3], 0 offset:160
	;; [unrolled: 1-line block ×4, first 2 shown]
.LBB63_63:
	s_or_b32 exec_lo, exec_lo, s4
	v_mov_b32_e32 v4, s68
	s_waitcnt_vscnt null, 0x0
	s_barrier
	buffer_gl0_inv
	s_mov_b32 s4, exec_lo
	s_clause 0x3
	buffer_load_dword v1, v4, s[0:3], 0 offen
	buffer_load_dword v2, v4, s[0:3], 0 offen offset:4
	buffer_load_dword v3, v4, s[0:3], 0 offen offset:8
	;; [unrolled: 1-line block ×3, first 2 shown]
	s_waitcnt vmcnt(0)
	ds_write_b128 v5, v[1:4]
	s_waitcnt lgkmcnt(0)
	s_barrier
	buffer_gl0_inv
	v_cmpx_gt_u32_e32 10, v0
	s_cbranch_execz .LBB63_67
; %bb.64:
	v_mov_b32_e32 v1, 0
	v_mov_b32_e32 v3, 0
	v_add_nc_u32_e32 v7, -1, v0
	v_or_b32_e32 v8, 0x400, v231
	v_mov_b32_e32 v2, 0
	v_mov_b32_e32 v4, 0
	v_add_nc_u32_e32 v9, 16, v231
	s_mov_b32 s5, 0
	.p2align	6
.LBB63_65:                              ; =>This Inner Loop Header: Depth=1
	s_clause 0x3
	buffer_load_dword v14, v9, s[0:3], 0 offen offset:8
	buffer_load_dword v15, v9, s[0:3], 0 offen offset:12
	buffer_load_dword v16, v9, s[0:3], 0 offen
	buffer_load_dword v17, v9, s[0:3], 0 offen offset:4
	ds_read_b128 v[10:13], v8
	v_add_nc_u32_e32 v7, 1, v7
	v_add_nc_u32_e32 v8, 16, v8
	;; [unrolled: 1-line block ×3, first 2 shown]
	v_cmp_lt_u32_e32 vcc_lo, 8, v7
	s_or_b32 s5, vcc_lo, s5
	s_waitcnt vmcnt(2) lgkmcnt(0)
	v_mul_f64 v[18:19], v[12:13], v[14:15]
	v_mul_f64 v[14:15], v[10:11], v[14:15]
	s_waitcnt vmcnt(0)
	v_fma_f64 v[10:11], v[10:11], v[16:17], -v[18:19]
	v_fma_f64 v[12:13], v[12:13], v[16:17], v[14:15]
	v_add_f64 v[3:4], v[3:4], v[10:11]
	v_add_f64 v[1:2], v[1:2], v[12:13]
	s_andn2_b32 exec_lo, exec_lo, s5
	s_cbranch_execnz .LBB63_65
; %bb.66:
	s_or_b32 exec_lo, exec_lo, s5
	v_mov_b32_e32 v7, 0
	ds_read_b128 v[7:10], v7 offset:160
	s_waitcnt lgkmcnt(0)
	v_mul_f64 v[11:12], v[1:2], v[9:10]
	v_mul_f64 v[9:10], v[3:4], v[9:10]
	v_fma_f64 v[3:4], v[3:4], v[7:8], -v[11:12]
	v_fma_f64 v[1:2], v[1:2], v[7:8], v[9:10]
	buffer_store_dword v4, off, s[0:3], 0 offset:180
	buffer_store_dword v3, off, s[0:3], 0 offset:176
	;; [unrolled: 1-line block ×4, first 2 shown]
.LBB63_67:
	s_or_b32 exec_lo, exec_lo, s4
	v_mov_b32_e32 v4, s67
	s_waitcnt_vscnt null, 0x0
	s_barrier
	buffer_gl0_inv
	s_mov_b32 s4, exec_lo
	s_clause 0x3
	buffer_load_dword v1, v4, s[0:3], 0 offen
	buffer_load_dword v2, v4, s[0:3], 0 offen offset:4
	buffer_load_dword v3, v4, s[0:3], 0 offen offset:8
	;; [unrolled: 1-line block ×3, first 2 shown]
	s_waitcnt vmcnt(0)
	ds_write_b128 v5, v[1:4]
	s_waitcnt lgkmcnt(0)
	s_barrier
	buffer_gl0_inv
	v_cmpx_gt_u32_e32 11, v0
	s_cbranch_execz .LBB63_71
; %bb.68:
	v_mov_b32_e32 v1, 0
	v_mov_b32_e32 v3, 0
	v_add_nc_u32_e32 v7, -1, v0
	v_or_b32_e32 v8, 0x400, v231
	v_mov_b32_e32 v2, 0
	v_mov_b32_e32 v4, 0
	v_add_nc_u32_e32 v9, 16, v231
	s_mov_b32 s5, 0
	.p2align	6
.LBB63_69:                              ; =>This Inner Loop Header: Depth=1
	s_clause 0x3
	buffer_load_dword v14, v9, s[0:3], 0 offen offset:8
	buffer_load_dword v15, v9, s[0:3], 0 offen offset:12
	buffer_load_dword v16, v9, s[0:3], 0 offen
	buffer_load_dword v17, v9, s[0:3], 0 offen offset:4
	ds_read_b128 v[10:13], v8
	v_add_nc_u32_e32 v7, 1, v7
	v_add_nc_u32_e32 v8, 16, v8
	;; [unrolled: 1-line block ×3, first 2 shown]
	v_cmp_lt_u32_e32 vcc_lo, 9, v7
	s_or_b32 s5, vcc_lo, s5
	s_waitcnt vmcnt(2) lgkmcnt(0)
	v_mul_f64 v[18:19], v[12:13], v[14:15]
	v_mul_f64 v[14:15], v[10:11], v[14:15]
	s_waitcnt vmcnt(0)
	v_fma_f64 v[10:11], v[10:11], v[16:17], -v[18:19]
	v_fma_f64 v[12:13], v[12:13], v[16:17], v[14:15]
	v_add_f64 v[3:4], v[3:4], v[10:11]
	v_add_f64 v[1:2], v[1:2], v[12:13]
	s_andn2_b32 exec_lo, exec_lo, s5
	s_cbranch_execnz .LBB63_69
; %bb.70:
	s_or_b32 exec_lo, exec_lo, s5
	v_mov_b32_e32 v7, 0
	ds_read_b128 v[7:10], v7 offset:176
	s_waitcnt lgkmcnt(0)
	v_mul_f64 v[11:12], v[1:2], v[9:10]
	v_mul_f64 v[9:10], v[3:4], v[9:10]
	v_fma_f64 v[3:4], v[3:4], v[7:8], -v[11:12]
	v_fma_f64 v[1:2], v[1:2], v[7:8], v[9:10]
	buffer_store_dword v4, off, s[0:3], 0 offset:196
	buffer_store_dword v3, off, s[0:3], 0 offset:192
	;; [unrolled: 1-line block ×4, first 2 shown]
.LBB63_71:
	s_or_b32 exec_lo, exec_lo, s4
	v_mov_b32_e32 v4, s66
	s_waitcnt_vscnt null, 0x0
	s_barrier
	buffer_gl0_inv
	s_mov_b32 s4, exec_lo
	s_clause 0x3
	buffer_load_dword v1, v4, s[0:3], 0 offen
	buffer_load_dword v2, v4, s[0:3], 0 offen offset:4
	buffer_load_dword v3, v4, s[0:3], 0 offen offset:8
	;; [unrolled: 1-line block ×3, first 2 shown]
	s_waitcnt vmcnt(0)
	ds_write_b128 v5, v[1:4]
	s_waitcnt lgkmcnt(0)
	s_barrier
	buffer_gl0_inv
	v_cmpx_gt_u32_e32 12, v0
	s_cbranch_execz .LBB63_75
; %bb.72:
	v_mov_b32_e32 v1, 0
	v_mov_b32_e32 v3, 0
	v_add_nc_u32_e32 v7, -1, v0
	v_or_b32_e32 v8, 0x400, v231
	v_mov_b32_e32 v2, 0
	v_mov_b32_e32 v4, 0
	v_add_nc_u32_e32 v9, 16, v231
	s_mov_b32 s5, 0
	.p2align	6
.LBB63_73:                              ; =>This Inner Loop Header: Depth=1
	s_clause 0x3
	buffer_load_dword v14, v9, s[0:3], 0 offen offset:8
	buffer_load_dword v15, v9, s[0:3], 0 offen offset:12
	buffer_load_dword v16, v9, s[0:3], 0 offen
	buffer_load_dword v17, v9, s[0:3], 0 offen offset:4
	ds_read_b128 v[10:13], v8
	v_add_nc_u32_e32 v7, 1, v7
	v_add_nc_u32_e32 v8, 16, v8
	;; [unrolled: 1-line block ×3, first 2 shown]
	v_cmp_lt_u32_e32 vcc_lo, 10, v7
	s_or_b32 s5, vcc_lo, s5
	s_waitcnt vmcnt(2) lgkmcnt(0)
	v_mul_f64 v[18:19], v[12:13], v[14:15]
	v_mul_f64 v[14:15], v[10:11], v[14:15]
	s_waitcnt vmcnt(0)
	v_fma_f64 v[10:11], v[10:11], v[16:17], -v[18:19]
	v_fma_f64 v[12:13], v[12:13], v[16:17], v[14:15]
	v_add_f64 v[3:4], v[3:4], v[10:11]
	v_add_f64 v[1:2], v[1:2], v[12:13]
	s_andn2_b32 exec_lo, exec_lo, s5
	s_cbranch_execnz .LBB63_73
; %bb.74:
	s_or_b32 exec_lo, exec_lo, s5
	v_mov_b32_e32 v7, 0
	ds_read_b128 v[7:10], v7 offset:192
	s_waitcnt lgkmcnt(0)
	v_mul_f64 v[11:12], v[1:2], v[9:10]
	v_mul_f64 v[9:10], v[3:4], v[9:10]
	v_fma_f64 v[3:4], v[3:4], v[7:8], -v[11:12]
	v_fma_f64 v[1:2], v[1:2], v[7:8], v[9:10]
	buffer_store_dword v4, off, s[0:3], 0 offset:212
	buffer_store_dword v3, off, s[0:3], 0 offset:208
	;; [unrolled: 1-line block ×4, first 2 shown]
.LBB63_75:
	s_or_b32 exec_lo, exec_lo, s4
	v_mov_b32_e32 v4, s65
	s_waitcnt_vscnt null, 0x0
	s_barrier
	buffer_gl0_inv
	s_mov_b32 s4, exec_lo
	s_clause 0x3
	buffer_load_dword v1, v4, s[0:3], 0 offen
	buffer_load_dword v2, v4, s[0:3], 0 offen offset:4
	buffer_load_dword v3, v4, s[0:3], 0 offen offset:8
	;; [unrolled: 1-line block ×3, first 2 shown]
	s_waitcnt vmcnt(0)
	ds_write_b128 v5, v[1:4]
	s_waitcnt lgkmcnt(0)
	s_barrier
	buffer_gl0_inv
	v_cmpx_gt_u32_e32 13, v0
	s_cbranch_execz .LBB63_79
; %bb.76:
	v_mov_b32_e32 v1, 0
	v_mov_b32_e32 v3, 0
	v_add_nc_u32_e32 v7, -1, v0
	v_or_b32_e32 v8, 0x400, v231
	v_mov_b32_e32 v2, 0
	v_mov_b32_e32 v4, 0
	v_add_nc_u32_e32 v9, 16, v231
	s_mov_b32 s5, 0
	.p2align	6
.LBB63_77:                              ; =>This Inner Loop Header: Depth=1
	s_clause 0x3
	buffer_load_dword v14, v9, s[0:3], 0 offen offset:8
	buffer_load_dword v15, v9, s[0:3], 0 offen offset:12
	buffer_load_dword v16, v9, s[0:3], 0 offen
	buffer_load_dword v17, v9, s[0:3], 0 offen offset:4
	ds_read_b128 v[10:13], v8
	v_add_nc_u32_e32 v7, 1, v7
	v_add_nc_u32_e32 v8, 16, v8
	;; [unrolled: 1-line block ×3, first 2 shown]
	v_cmp_lt_u32_e32 vcc_lo, 11, v7
	s_or_b32 s5, vcc_lo, s5
	s_waitcnt vmcnt(2) lgkmcnt(0)
	v_mul_f64 v[18:19], v[12:13], v[14:15]
	v_mul_f64 v[14:15], v[10:11], v[14:15]
	s_waitcnt vmcnt(0)
	v_fma_f64 v[10:11], v[10:11], v[16:17], -v[18:19]
	v_fma_f64 v[12:13], v[12:13], v[16:17], v[14:15]
	v_add_f64 v[3:4], v[3:4], v[10:11]
	v_add_f64 v[1:2], v[1:2], v[12:13]
	s_andn2_b32 exec_lo, exec_lo, s5
	s_cbranch_execnz .LBB63_77
; %bb.78:
	s_or_b32 exec_lo, exec_lo, s5
	v_mov_b32_e32 v7, 0
	ds_read_b128 v[7:10], v7 offset:208
	s_waitcnt lgkmcnt(0)
	v_mul_f64 v[11:12], v[1:2], v[9:10]
	v_mul_f64 v[9:10], v[3:4], v[9:10]
	v_fma_f64 v[3:4], v[3:4], v[7:8], -v[11:12]
	v_fma_f64 v[1:2], v[1:2], v[7:8], v[9:10]
	buffer_store_dword v4, off, s[0:3], 0 offset:228
	buffer_store_dword v3, off, s[0:3], 0 offset:224
	;; [unrolled: 1-line block ×4, first 2 shown]
.LBB63_79:
	s_or_b32 exec_lo, exec_lo, s4
	v_mov_b32_e32 v4, s64
	s_waitcnt_vscnt null, 0x0
	s_barrier
	buffer_gl0_inv
	s_mov_b32 s4, exec_lo
	s_clause 0x3
	buffer_load_dword v1, v4, s[0:3], 0 offen
	buffer_load_dword v2, v4, s[0:3], 0 offen offset:4
	buffer_load_dword v3, v4, s[0:3], 0 offen offset:8
	;; [unrolled: 1-line block ×3, first 2 shown]
	s_waitcnt vmcnt(0)
	ds_write_b128 v5, v[1:4]
	s_waitcnt lgkmcnt(0)
	s_barrier
	buffer_gl0_inv
	v_cmpx_gt_u32_e32 14, v0
	s_cbranch_execz .LBB63_83
; %bb.80:
	v_mov_b32_e32 v1, 0
	v_mov_b32_e32 v3, 0
	v_add_nc_u32_e32 v7, -1, v0
	v_or_b32_e32 v8, 0x400, v231
	v_mov_b32_e32 v2, 0
	v_mov_b32_e32 v4, 0
	v_add_nc_u32_e32 v9, 16, v231
	s_mov_b32 s5, 0
	.p2align	6
.LBB63_81:                              ; =>This Inner Loop Header: Depth=1
	s_clause 0x3
	buffer_load_dword v14, v9, s[0:3], 0 offen offset:8
	buffer_load_dword v15, v9, s[0:3], 0 offen offset:12
	buffer_load_dword v16, v9, s[0:3], 0 offen
	buffer_load_dword v17, v9, s[0:3], 0 offen offset:4
	ds_read_b128 v[10:13], v8
	v_add_nc_u32_e32 v7, 1, v7
	v_add_nc_u32_e32 v8, 16, v8
	;; [unrolled: 1-line block ×3, first 2 shown]
	v_cmp_lt_u32_e32 vcc_lo, 12, v7
	s_or_b32 s5, vcc_lo, s5
	s_waitcnt vmcnt(2) lgkmcnt(0)
	v_mul_f64 v[18:19], v[12:13], v[14:15]
	v_mul_f64 v[14:15], v[10:11], v[14:15]
	s_waitcnt vmcnt(0)
	v_fma_f64 v[10:11], v[10:11], v[16:17], -v[18:19]
	v_fma_f64 v[12:13], v[12:13], v[16:17], v[14:15]
	v_add_f64 v[3:4], v[3:4], v[10:11]
	v_add_f64 v[1:2], v[1:2], v[12:13]
	s_andn2_b32 exec_lo, exec_lo, s5
	s_cbranch_execnz .LBB63_81
; %bb.82:
	s_or_b32 exec_lo, exec_lo, s5
	v_mov_b32_e32 v7, 0
	ds_read_b128 v[7:10], v7 offset:224
	s_waitcnt lgkmcnt(0)
	v_mul_f64 v[11:12], v[1:2], v[9:10]
	v_mul_f64 v[9:10], v[3:4], v[9:10]
	v_fma_f64 v[3:4], v[3:4], v[7:8], -v[11:12]
	v_fma_f64 v[1:2], v[1:2], v[7:8], v[9:10]
	buffer_store_dword v4, off, s[0:3], 0 offset:244
	buffer_store_dword v3, off, s[0:3], 0 offset:240
	;; [unrolled: 1-line block ×4, first 2 shown]
.LBB63_83:
	s_or_b32 exec_lo, exec_lo, s4
	v_mov_b32_e32 v4, s63
	s_waitcnt_vscnt null, 0x0
	s_barrier
	buffer_gl0_inv
	s_mov_b32 s4, exec_lo
	s_clause 0x3
	buffer_load_dword v1, v4, s[0:3], 0 offen
	buffer_load_dword v2, v4, s[0:3], 0 offen offset:4
	buffer_load_dword v3, v4, s[0:3], 0 offen offset:8
	;; [unrolled: 1-line block ×3, first 2 shown]
	s_waitcnt vmcnt(0)
	ds_write_b128 v5, v[1:4]
	s_waitcnt lgkmcnt(0)
	s_barrier
	buffer_gl0_inv
	v_cmpx_gt_u32_e32 15, v0
	s_cbranch_execz .LBB63_87
; %bb.84:
	v_mov_b32_e32 v1, 0
	v_mov_b32_e32 v3, 0
	v_add_nc_u32_e32 v7, -1, v0
	v_or_b32_e32 v8, 0x400, v231
	v_mov_b32_e32 v2, 0
	v_mov_b32_e32 v4, 0
	v_add_nc_u32_e32 v9, 16, v231
	s_mov_b32 s5, 0
	.p2align	6
.LBB63_85:                              ; =>This Inner Loop Header: Depth=1
	s_clause 0x3
	buffer_load_dword v14, v9, s[0:3], 0 offen offset:8
	buffer_load_dword v15, v9, s[0:3], 0 offen offset:12
	buffer_load_dword v16, v9, s[0:3], 0 offen
	buffer_load_dword v17, v9, s[0:3], 0 offen offset:4
	ds_read_b128 v[10:13], v8
	v_add_nc_u32_e32 v7, 1, v7
	v_add_nc_u32_e32 v8, 16, v8
	;; [unrolled: 1-line block ×3, first 2 shown]
	v_cmp_lt_u32_e32 vcc_lo, 13, v7
	s_or_b32 s5, vcc_lo, s5
	s_waitcnt vmcnt(2) lgkmcnt(0)
	v_mul_f64 v[18:19], v[12:13], v[14:15]
	v_mul_f64 v[14:15], v[10:11], v[14:15]
	s_waitcnt vmcnt(0)
	v_fma_f64 v[10:11], v[10:11], v[16:17], -v[18:19]
	v_fma_f64 v[12:13], v[12:13], v[16:17], v[14:15]
	v_add_f64 v[3:4], v[3:4], v[10:11]
	v_add_f64 v[1:2], v[1:2], v[12:13]
	s_andn2_b32 exec_lo, exec_lo, s5
	s_cbranch_execnz .LBB63_85
; %bb.86:
	s_or_b32 exec_lo, exec_lo, s5
	v_mov_b32_e32 v7, 0
	ds_read_b128 v[7:10], v7 offset:240
	s_waitcnt lgkmcnt(0)
	v_mul_f64 v[11:12], v[1:2], v[9:10]
	v_mul_f64 v[9:10], v[3:4], v[9:10]
	v_fma_f64 v[3:4], v[3:4], v[7:8], -v[11:12]
	v_fma_f64 v[1:2], v[1:2], v[7:8], v[9:10]
	buffer_store_dword v4, off, s[0:3], 0 offset:260
	buffer_store_dword v3, off, s[0:3], 0 offset:256
	;; [unrolled: 1-line block ×4, first 2 shown]
.LBB63_87:
	s_or_b32 exec_lo, exec_lo, s4
	v_mov_b32_e32 v4, s62
	s_waitcnt_vscnt null, 0x0
	s_barrier
	buffer_gl0_inv
	s_mov_b32 s4, exec_lo
	s_clause 0x3
	buffer_load_dword v1, v4, s[0:3], 0 offen
	buffer_load_dword v2, v4, s[0:3], 0 offen offset:4
	buffer_load_dword v3, v4, s[0:3], 0 offen offset:8
	;; [unrolled: 1-line block ×3, first 2 shown]
	s_waitcnt vmcnt(0)
	ds_write_b128 v5, v[1:4]
	s_waitcnt lgkmcnt(0)
	s_barrier
	buffer_gl0_inv
	v_cmpx_gt_u32_e32 16, v0
	s_cbranch_execz .LBB63_91
; %bb.88:
	v_mov_b32_e32 v1, 0
	v_mov_b32_e32 v3, 0
	v_add_nc_u32_e32 v7, -1, v0
	v_or_b32_e32 v8, 0x400, v231
	v_mov_b32_e32 v2, 0
	v_mov_b32_e32 v4, 0
	v_add_nc_u32_e32 v9, 16, v231
	s_mov_b32 s5, 0
	.p2align	6
.LBB63_89:                              ; =>This Inner Loop Header: Depth=1
	s_clause 0x3
	buffer_load_dword v14, v9, s[0:3], 0 offen offset:8
	buffer_load_dword v15, v9, s[0:3], 0 offen offset:12
	buffer_load_dword v16, v9, s[0:3], 0 offen
	buffer_load_dword v17, v9, s[0:3], 0 offen offset:4
	ds_read_b128 v[10:13], v8
	v_add_nc_u32_e32 v7, 1, v7
	v_add_nc_u32_e32 v8, 16, v8
	;; [unrolled: 1-line block ×3, first 2 shown]
	v_cmp_lt_u32_e32 vcc_lo, 14, v7
	s_or_b32 s5, vcc_lo, s5
	s_waitcnt vmcnt(2) lgkmcnt(0)
	v_mul_f64 v[18:19], v[12:13], v[14:15]
	v_mul_f64 v[14:15], v[10:11], v[14:15]
	s_waitcnt vmcnt(0)
	v_fma_f64 v[10:11], v[10:11], v[16:17], -v[18:19]
	v_fma_f64 v[12:13], v[12:13], v[16:17], v[14:15]
	v_add_f64 v[3:4], v[3:4], v[10:11]
	v_add_f64 v[1:2], v[1:2], v[12:13]
	s_andn2_b32 exec_lo, exec_lo, s5
	s_cbranch_execnz .LBB63_89
; %bb.90:
	s_or_b32 exec_lo, exec_lo, s5
	v_mov_b32_e32 v7, 0
	ds_read_b128 v[7:10], v7 offset:256
	s_waitcnt lgkmcnt(0)
	v_mul_f64 v[11:12], v[1:2], v[9:10]
	v_mul_f64 v[9:10], v[3:4], v[9:10]
	v_fma_f64 v[3:4], v[3:4], v[7:8], -v[11:12]
	v_fma_f64 v[1:2], v[1:2], v[7:8], v[9:10]
	buffer_store_dword v4, off, s[0:3], 0 offset:276
	buffer_store_dword v3, off, s[0:3], 0 offset:272
	;; [unrolled: 1-line block ×4, first 2 shown]
.LBB63_91:
	s_or_b32 exec_lo, exec_lo, s4
	v_mov_b32_e32 v4, s61
	s_waitcnt_vscnt null, 0x0
	s_barrier
	buffer_gl0_inv
	s_mov_b32 s4, exec_lo
	s_clause 0x3
	buffer_load_dword v1, v4, s[0:3], 0 offen
	buffer_load_dword v2, v4, s[0:3], 0 offen offset:4
	buffer_load_dword v3, v4, s[0:3], 0 offen offset:8
	;; [unrolled: 1-line block ×3, first 2 shown]
	s_waitcnt vmcnt(0)
	ds_write_b128 v5, v[1:4]
	s_waitcnt lgkmcnt(0)
	s_barrier
	buffer_gl0_inv
	v_cmpx_gt_u32_e32 17, v0
	s_cbranch_execz .LBB63_95
; %bb.92:
	v_mov_b32_e32 v1, 0
	v_mov_b32_e32 v3, 0
	v_add_nc_u32_e32 v7, -1, v0
	v_or_b32_e32 v8, 0x400, v231
	v_mov_b32_e32 v2, 0
	v_mov_b32_e32 v4, 0
	v_add_nc_u32_e32 v9, 16, v231
	s_mov_b32 s5, 0
	.p2align	6
.LBB63_93:                              ; =>This Inner Loop Header: Depth=1
	s_clause 0x3
	buffer_load_dword v14, v9, s[0:3], 0 offen offset:8
	buffer_load_dword v15, v9, s[0:3], 0 offen offset:12
	buffer_load_dword v16, v9, s[0:3], 0 offen
	buffer_load_dword v17, v9, s[0:3], 0 offen offset:4
	ds_read_b128 v[10:13], v8
	v_add_nc_u32_e32 v7, 1, v7
	v_add_nc_u32_e32 v8, 16, v8
	;; [unrolled: 1-line block ×3, first 2 shown]
	v_cmp_lt_u32_e32 vcc_lo, 15, v7
	s_or_b32 s5, vcc_lo, s5
	s_waitcnt vmcnt(2) lgkmcnt(0)
	v_mul_f64 v[18:19], v[12:13], v[14:15]
	v_mul_f64 v[14:15], v[10:11], v[14:15]
	s_waitcnt vmcnt(0)
	v_fma_f64 v[10:11], v[10:11], v[16:17], -v[18:19]
	v_fma_f64 v[12:13], v[12:13], v[16:17], v[14:15]
	v_add_f64 v[3:4], v[3:4], v[10:11]
	v_add_f64 v[1:2], v[1:2], v[12:13]
	s_andn2_b32 exec_lo, exec_lo, s5
	s_cbranch_execnz .LBB63_93
; %bb.94:
	s_or_b32 exec_lo, exec_lo, s5
	v_mov_b32_e32 v7, 0
	ds_read_b128 v[7:10], v7 offset:272
	s_waitcnt lgkmcnt(0)
	v_mul_f64 v[11:12], v[1:2], v[9:10]
	v_mul_f64 v[9:10], v[3:4], v[9:10]
	v_fma_f64 v[3:4], v[3:4], v[7:8], -v[11:12]
	v_fma_f64 v[1:2], v[1:2], v[7:8], v[9:10]
	buffer_store_dword v4, off, s[0:3], 0 offset:292
	buffer_store_dword v3, off, s[0:3], 0 offset:288
	;; [unrolled: 1-line block ×4, first 2 shown]
.LBB63_95:
	s_or_b32 exec_lo, exec_lo, s4
	v_mov_b32_e32 v4, s60
	s_waitcnt_vscnt null, 0x0
	s_barrier
	buffer_gl0_inv
	s_mov_b32 s4, exec_lo
	s_clause 0x3
	buffer_load_dword v1, v4, s[0:3], 0 offen
	buffer_load_dword v2, v4, s[0:3], 0 offen offset:4
	buffer_load_dword v3, v4, s[0:3], 0 offen offset:8
	buffer_load_dword v4, v4, s[0:3], 0 offen offset:12
	s_waitcnt vmcnt(0)
	ds_write_b128 v5, v[1:4]
	s_waitcnt lgkmcnt(0)
	s_barrier
	buffer_gl0_inv
	v_cmpx_gt_u32_e32 18, v0
	s_cbranch_execz .LBB63_99
; %bb.96:
	v_mov_b32_e32 v1, 0
	v_mov_b32_e32 v3, 0
	v_add_nc_u32_e32 v7, -1, v0
	v_or_b32_e32 v8, 0x400, v231
	v_mov_b32_e32 v2, 0
	v_mov_b32_e32 v4, 0
	v_add_nc_u32_e32 v9, 16, v231
	s_mov_b32 s5, 0
	.p2align	6
.LBB63_97:                              ; =>This Inner Loop Header: Depth=1
	s_clause 0x3
	buffer_load_dword v14, v9, s[0:3], 0 offen offset:8
	buffer_load_dword v15, v9, s[0:3], 0 offen offset:12
	buffer_load_dword v16, v9, s[0:3], 0 offen
	buffer_load_dword v17, v9, s[0:3], 0 offen offset:4
	ds_read_b128 v[10:13], v8
	v_add_nc_u32_e32 v7, 1, v7
	v_add_nc_u32_e32 v8, 16, v8
	;; [unrolled: 1-line block ×3, first 2 shown]
	v_cmp_lt_u32_e32 vcc_lo, 16, v7
	s_or_b32 s5, vcc_lo, s5
	s_waitcnt vmcnt(2) lgkmcnt(0)
	v_mul_f64 v[18:19], v[12:13], v[14:15]
	v_mul_f64 v[14:15], v[10:11], v[14:15]
	s_waitcnt vmcnt(0)
	v_fma_f64 v[10:11], v[10:11], v[16:17], -v[18:19]
	v_fma_f64 v[12:13], v[12:13], v[16:17], v[14:15]
	v_add_f64 v[3:4], v[3:4], v[10:11]
	v_add_f64 v[1:2], v[1:2], v[12:13]
	s_andn2_b32 exec_lo, exec_lo, s5
	s_cbranch_execnz .LBB63_97
; %bb.98:
	s_or_b32 exec_lo, exec_lo, s5
	v_mov_b32_e32 v7, 0
	ds_read_b128 v[7:10], v7 offset:288
	s_waitcnt lgkmcnt(0)
	v_mul_f64 v[11:12], v[1:2], v[9:10]
	v_mul_f64 v[9:10], v[3:4], v[9:10]
	v_fma_f64 v[3:4], v[3:4], v[7:8], -v[11:12]
	v_fma_f64 v[1:2], v[1:2], v[7:8], v[9:10]
	buffer_store_dword v4, off, s[0:3], 0 offset:308
	buffer_store_dword v3, off, s[0:3], 0 offset:304
	;; [unrolled: 1-line block ×4, first 2 shown]
.LBB63_99:
	s_or_b32 exec_lo, exec_lo, s4
	v_mov_b32_e32 v4, s59
	s_waitcnt_vscnt null, 0x0
	s_barrier
	buffer_gl0_inv
	s_mov_b32 s4, exec_lo
	s_clause 0x3
	buffer_load_dword v1, v4, s[0:3], 0 offen
	buffer_load_dword v2, v4, s[0:3], 0 offen offset:4
	buffer_load_dword v3, v4, s[0:3], 0 offen offset:8
	;; [unrolled: 1-line block ×3, first 2 shown]
	s_waitcnt vmcnt(0)
	ds_write_b128 v5, v[1:4]
	s_waitcnt lgkmcnt(0)
	s_barrier
	buffer_gl0_inv
	v_cmpx_gt_u32_e32 19, v0
	s_cbranch_execz .LBB63_103
; %bb.100:
	v_mov_b32_e32 v1, 0
	v_mov_b32_e32 v3, 0
	v_add_nc_u32_e32 v7, -1, v0
	v_or_b32_e32 v8, 0x400, v231
	v_mov_b32_e32 v2, 0
	v_mov_b32_e32 v4, 0
	v_add_nc_u32_e32 v9, 16, v231
	s_mov_b32 s5, 0
	.p2align	6
.LBB63_101:                             ; =>This Inner Loop Header: Depth=1
	s_clause 0x3
	buffer_load_dword v14, v9, s[0:3], 0 offen offset:8
	buffer_load_dword v15, v9, s[0:3], 0 offen offset:12
	buffer_load_dword v16, v9, s[0:3], 0 offen
	buffer_load_dword v17, v9, s[0:3], 0 offen offset:4
	ds_read_b128 v[10:13], v8
	v_add_nc_u32_e32 v7, 1, v7
	v_add_nc_u32_e32 v8, 16, v8
	v_add_nc_u32_e32 v9, 16, v9
	v_cmp_lt_u32_e32 vcc_lo, 17, v7
	s_or_b32 s5, vcc_lo, s5
	s_waitcnt vmcnt(2) lgkmcnt(0)
	v_mul_f64 v[18:19], v[12:13], v[14:15]
	v_mul_f64 v[14:15], v[10:11], v[14:15]
	s_waitcnt vmcnt(0)
	v_fma_f64 v[10:11], v[10:11], v[16:17], -v[18:19]
	v_fma_f64 v[12:13], v[12:13], v[16:17], v[14:15]
	v_add_f64 v[3:4], v[3:4], v[10:11]
	v_add_f64 v[1:2], v[1:2], v[12:13]
	s_andn2_b32 exec_lo, exec_lo, s5
	s_cbranch_execnz .LBB63_101
; %bb.102:
	s_or_b32 exec_lo, exec_lo, s5
	v_mov_b32_e32 v7, 0
	ds_read_b128 v[7:10], v7 offset:304
	s_waitcnt lgkmcnt(0)
	v_mul_f64 v[11:12], v[1:2], v[9:10]
	v_mul_f64 v[9:10], v[3:4], v[9:10]
	v_fma_f64 v[3:4], v[3:4], v[7:8], -v[11:12]
	v_fma_f64 v[1:2], v[1:2], v[7:8], v[9:10]
	buffer_store_dword v4, off, s[0:3], 0 offset:324
	buffer_store_dword v3, off, s[0:3], 0 offset:320
	;; [unrolled: 1-line block ×4, first 2 shown]
.LBB63_103:
	s_or_b32 exec_lo, exec_lo, s4
	v_mov_b32_e32 v4, s58
	s_waitcnt_vscnt null, 0x0
	s_barrier
	buffer_gl0_inv
	s_mov_b32 s4, exec_lo
	s_clause 0x3
	buffer_load_dword v1, v4, s[0:3], 0 offen
	buffer_load_dword v2, v4, s[0:3], 0 offen offset:4
	buffer_load_dword v3, v4, s[0:3], 0 offen offset:8
	;; [unrolled: 1-line block ×3, first 2 shown]
	s_waitcnt vmcnt(0)
	ds_write_b128 v5, v[1:4]
	s_waitcnt lgkmcnt(0)
	s_barrier
	buffer_gl0_inv
	v_cmpx_gt_u32_e32 20, v0
	s_cbranch_execz .LBB63_107
; %bb.104:
	v_mov_b32_e32 v1, 0
	v_mov_b32_e32 v3, 0
	v_add_nc_u32_e32 v7, -1, v0
	v_or_b32_e32 v8, 0x400, v231
	v_mov_b32_e32 v2, 0
	v_mov_b32_e32 v4, 0
	v_add_nc_u32_e32 v9, 16, v231
	s_mov_b32 s5, 0
	.p2align	6
.LBB63_105:                             ; =>This Inner Loop Header: Depth=1
	s_clause 0x3
	buffer_load_dword v14, v9, s[0:3], 0 offen offset:8
	buffer_load_dword v15, v9, s[0:3], 0 offen offset:12
	buffer_load_dword v16, v9, s[0:3], 0 offen
	buffer_load_dword v17, v9, s[0:3], 0 offen offset:4
	ds_read_b128 v[10:13], v8
	v_add_nc_u32_e32 v7, 1, v7
	v_add_nc_u32_e32 v8, 16, v8
	;; [unrolled: 1-line block ×3, first 2 shown]
	v_cmp_lt_u32_e32 vcc_lo, 18, v7
	s_or_b32 s5, vcc_lo, s5
	s_waitcnt vmcnt(2) lgkmcnt(0)
	v_mul_f64 v[18:19], v[12:13], v[14:15]
	v_mul_f64 v[14:15], v[10:11], v[14:15]
	s_waitcnt vmcnt(0)
	v_fma_f64 v[10:11], v[10:11], v[16:17], -v[18:19]
	v_fma_f64 v[12:13], v[12:13], v[16:17], v[14:15]
	v_add_f64 v[3:4], v[3:4], v[10:11]
	v_add_f64 v[1:2], v[1:2], v[12:13]
	s_andn2_b32 exec_lo, exec_lo, s5
	s_cbranch_execnz .LBB63_105
; %bb.106:
	s_or_b32 exec_lo, exec_lo, s5
	v_mov_b32_e32 v7, 0
	ds_read_b128 v[7:10], v7 offset:320
	s_waitcnt lgkmcnt(0)
	v_mul_f64 v[11:12], v[1:2], v[9:10]
	v_mul_f64 v[9:10], v[3:4], v[9:10]
	v_fma_f64 v[3:4], v[3:4], v[7:8], -v[11:12]
	v_fma_f64 v[1:2], v[1:2], v[7:8], v[9:10]
	buffer_store_dword v4, off, s[0:3], 0 offset:340
	buffer_store_dword v3, off, s[0:3], 0 offset:336
	;; [unrolled: 1-line block ×4, first 2 shown]
.LBB63_107:
	s_or_b32 exec_lo, exec_lo, s4
	v_mov_b32_e32 v4, s57
	s_waitcnt_vscnt null, 0x0
	s_barrier
	buffer_gl0_inv
	s_mov_b32 s4, exec_lo
	s_clause 0x3
	buffer_load_dword v1, v4, s[0:3], 0 offen
	buffer_load_dword v2, v4, s[0:3], 0 offen offset:4
	buffer_load_dword v3, v4, s[0:3], 0 offen offset:8
	;; [unrolled: 1-line block ×3, first 2 shown]
	s_waitcnt vmcnt(0)
	ds_write_b128 v5, v[1:4]
	s_waitcnt lgkmcnt(0)
	s_barrier
	buffer_gl0_inv
	v_cmpx_gt_u32_e32 21, v0
	s_cbranch_execz .LBB63_111
; %bb.108:
	v_mov_b32_e32 v1, 0
	v_mov_b32_e32 v3, 0
	v_add_nc_u32_e32 v7, -1, v0
	v_or_b32_e32 v8, 0x400, v231
	v_mov_b32_e32 v2, 0
	v_mov_b32_e32 v4, 0
	v_add_nc_u32_e32 v9, 16, v231
	s_mov_b32 s5, 0
	.p2align	6
.LBB63_109:                             ; =>This Inner Loop Header: Depth=1
	s_clause 0x3
	buffer_load_dword v14, v9, s[0:3], 0 offen offset:8
	buffer_load_dword v15, v9, s[0:3], 0 offen offset:12
	buffer_load_dword v16, v9, s[0:3], 0 offen
	buffer_load_dword v17, v9, s[0:3], 0 offen offset:4
	ds_read_b128 v[10:13], v8
	v_add_nc_u32_e32 v7, 1, v7
	v_add_nc_u32_e32 v8, 16, v8
	;; [unrolled: 1-line block ×3, first 2 shown]
	v_cmp_lt_u32_e32 vcc_lo, 19, v7
	s_or_b32 s5, vcc_lo, s5
	s_waitcnt vmcnt(2) lgkmcnt(0)
	v_mul_f64 v[18:19], v[12:13], v[14:15]
	v_mul_f64 v[14:15], v[10:11], v[14:15]
	s_waitcnt vmcnt(0)
	v_fma_f64 v[10:11], v[10:11], v[16:17], -v[18:19]
	v_fma_f64 v[12:13], v[12:13], v[16:17], v[14:15]
	v_add_f64 v[3:4], v[3:4], v[10:11]
	v_add_f64 v[1:2], v[1:2], v[12:13]
	s_andn2_b32 exec_lo, exec_lo, s5
	s_cbranch_execnz .LBB63_109
; %bb.110:
	s_or_b32 exec_lo, exec_lo, s5
	v_mov_b32_e32 v7, 0
	ds_read_b128 v[7:10], v7 offset:336
	s_waitcnt lgkmcnt(0)
	v_mul_f64 v[11:12], v[1:2], v[9:10]
	v_mul_f64 v[9:10], v[3:4], v[9:10]
	v_fma_f64 v[3:4], v[3:4], v[7:8], -v[11:12]
	v_fma_f64 v[1:2], v[1:2], v[7:8], v[9:10]
	buffer_store_dword v4, off, s[0:3], 0 offset:356
	buffer_store_dword v3, off, s[0:3], 0 offset:352
	;; [unrolled: 1-line block ×4, first 2 shown]
.LBB63_111:
	s_or_b32 exec_lo, exec_lo, s4
	v_mov_b32_e32 v4, s56
	s_waitcnt_vscnt null, 0x0
	s_barrier
	buffer_gl0_inv
	s_mov_b32 s4, exec_lo
	s_clause 0x3
	buffer_load_dword v1, v4, s[0:3], 0 offen
	buffer_load_dword v2, v4, s[0:3], 0 offen offset:4
	buffer_load_dword v3, v4, s[0:3], 0 offen offset:8
	;; [unrolled: 1-line block ×3, first 2 shown]
	s_waitcnt vmcnt(0)
	ds_write_b128 v5, v[1:4]
	s_waitcnt lgkmcnt(0)
	s_barrier
	buffer_gl0_inv
	v_cmpx_gt_u32_e32 22, v0
	s_cbranch_execz .LBB63_115
; %bb.112:
	v_mov_b32_e32 v1, 0
	v_mov_b32_e32 v3, 0
	v_add_nc_u32_e32 v7, -1, v0
	v_or_b32_e32 v8, 0x400, v231
	v_mov_b32_e32 v2, 0
	v_mov_b32_e32 v4, 0
	v_add_nc_u32_e32 v9, 16, v231
	s_mov_b32 s5, 0
	.p2align	6
.LBB63_113:                             ; =>This Inner Loop Header: Depth=1
	s_clause 0x3
	buffer_load_dword v14, v9, s[0:3], 0 offen offset:8
	buffer_load_dword v15, v9, s[0:3], 0 offen offset:12
	buffer_load_dword v16, v9, s[0:3], 0 offen
	buffer_load_dword v17, v9, s[0:3], 0 offen offset:4
	ds_read_b128 v[10:13], v8
	v_add_nc_u32_e32 v7, 1, v7
	v_add_nc_u32_e32 v8, 16, v8
	;; [unrolled: 1-line block ×3, first 2 shown]
	v_cmp_lt_u32_e32 vcc_lo, 20, v7
	s_or_b32 s5, vcc_lo, s5
	s_waitcnt vmcnt(2) lgkmcnt(0)
	v_mul_f64 v[18:19], v[12:13], v[14:15]
	v_mul_f64 v[14:15], v[10:11], v[14:15]
	s_waitcnt vmcnt(0)
	v_fma_f64 v[10:11], v[10:11], v[16:17], -v[18:19]
	v_fma_f64 v[12:13], v[12:13], v[16:17], v[14:15]
	v_add_f64 v[3:4], v[3:4], v[10:11]
	v_add_f64 v[1:2], v[1:2], v[12:13]
	s_andn2_b32 exec_lo, exec_lo, s5
	s_cbranch_execnz .LBB63_113
; %bb.114:
	s_or_b32 exec_lo, exec_lo, s5
	v_mov_b32_e32 v7, 0
	ds_read_b128 v[7:10], v7 offset:352
	s_waitcnt lgkmcnt(0)
	v_mul_f64 v[11:12], v[1:2], v[9:10]
	v_mul_f64 v[9:10], v[3:4], v[9:10]
	v_fma_f64 v[3:4], v[3:4], v[7:8], -v[11:12]
	v_fma_f64 v[1:2], v[1:2], v[7:8], v[9:10]
	buffer_store_dword v4, off, s[0:3], 0 offset:372
	buffer_store_dword v3, off, s[0:3], 0 offset:368
	;; [unrolled: 1-line block ×4, first 2 shown]
.LBB63_115:
	s_or_b32 exec_lo, exec_lo, s4
	v_mov_b32_e32 v4, s55
	s_waitcnt_vscnt null, 0x0
	s_barrier
	buffer_gl0_inv
	s_mov_b32 s4, exec_lo
	s_clause 0x3
	buffer_load_dword v1, v4, s[0:3], 0 offen
	buffer_load_dword v2, v4, s[0:3], 0 offen offset:4
	buffer_load_dword v3, v4, s[0:3], 0 offen offset:8
	;; [unrolled: 1-line block ×3, first 2 shown]
	s_waitcnt vmcnt(0)
	ds_write_b128 v5, v[1:4]
	s_waitcnt lgkmcnt(0)
	s_barrier
	buffer_gl0_inv
	v_cmpx_gt_u32_e32 23, v0
	s_cbranch_execz .LBB63_119
; %bb.116:
	v_mov_b32_e32 v1, 0
	v_mov_b32_e32 v3, 0
	v_add_nc_u32_e32 v7, -1, v0
	v_or_b32_e32 v8, 0x400, v231
	v_mov_b32_e32 v2, 0
	v_mov_b32_e32 v4, 0
	v_add_nc_u32_e32 v9, 16, v231
	s_mov_b32 s5, 0
	.p2align	6
.LBB63_117:                             ; =>This Inner Loop Header: Depth=1
	s_clause 0x3
	buffer_load_dword v14, v9, s[0:3], 0 offen offset:8
	buffer_load_dword v15, v9, s[0:3], 0 offen offset:12
	buffer_load_dword v16, v9, s[0:3], 0 offen
	buffer_load_dword v17, v9, s[0:3], 0 offen offset:4
	ds_read_b128 v[10:13], v8
	v_add_nc_u32_e32 v7, 1, v7
	v_add_nc_u32_e32 v8, 16, v8
	;; [unrolled: 1-line block ×3, first 2 shown]
	v_cmp_lt_u32_e32 vcc_lo, 21, v7
	s_or_b32 s5, vcc_lo, s5
	s_waitcnt vmcnt(2) lgkmcnt(0)
	v_mul_f64 v[18:19], v[12:13], v[14:15]
	v_mul_f64 v[14:15], v[10:11], v[14:15]
	s_waitcnt vmcnt(0)
	v_fma_f64 v[10:11], v[10:11], v[16:17], -v[18:19]
	v_fma_f64 v[12:13], v[12:13], v[16:17], v[14:15]
	v_add_f64 v[3:4], v[3:4], v[10:11]
	v_add_f64 v[1:2], v[1:2], v[12:13]
	s_andn2_b32 exec_lo, exec_lo, s5
	s_cbranch_execnz .LBB63_117
; %bb.118:
	s_or_b32 exec_lo, exec_lo, s5
	v_mov_b32_e32 v7, 0
	ds_read_b128 v[7:10], v7 offset:368
	s_waitcnt lgkmcnt(0)
	v_mul_f64 v[11:12], v[1:2], v[9:10]
	v_mul_f64 v[9:10], v[3:4], v[9:10]
	v_fma_f64 v[3:4], v[3:4], v[7:8], -v[11:12]
	v_fma_f64 v[1:2], v[1:2], v[7:8], v[9:10]
	buffer_store_dword v4, off, s[0:3], 0 offset:388
	buffer_store_dword v3, off, s[0:3], 0 offset:384
	;; [unrolled: 1-line block ×4, first 2 shown]
.LBB63_119:
	s_or_b32 exec_lo, exec_lo, s4
	v_mov_b32_e32 v4, s54
	s_waitcnt_vscnt null, 0x0
	s_barrier
	buffer_gl0_inv
	s_mov_b32 s4, exec_lo
	s_clause 0x3
	buffer_load_dword v1, v4, s[0:3], 0 offen
	buffer_load_dword v2, v4, s[0:3], 0 offen offset:4
	buffer_load_dword v3, v4, s[0:3], 0 offen offset:8
	buffer_load_dword v4, v4, s[0:3], 0 offen offset:12
	s_waitcnt vmcnt(0)
	ds_write_b128 v5, v[1:4]
	s_waitcnt lgkmcnt(0)
	s_barrier
	buffer_gl0_inv
	v_cmpx_gt_u32_e32 24, v0
	s_cbranch_execz .LBB63_123
; %bb.120:
	v_mov_b32_e32 v1, 0
	v_mov_b32_e32 v3, 0
	v_add_nc_u32_e32 v7, -1, v0
	v_or_b32_e32 v8, 0x400, v231
	v_mov_b32_e32 v2, 0
	v_mov_b32_e32 v4, 0
	v_add_nc_u32_e32 v9, 16, v231
	s_mov_b32 s5, 0
	.p2align	6
.LBB63_121:                             ; =>This Inner Loop Header: Depth=1
	s_clause 0x3
	buffer_load_dword v14, v9, s[0:3], 0 offen offset:8
	buffer_load_dword v15, v9, s[0:3], 0 offen offset:12
	buffer_load_dword v16, v9, s[0:3], 0 offen
	buffer_load_dword v17, v9, s[0:3], 0 offen offset:4
	ds_read_b128 v[10:13], v8
	v_add_nc_u32_e32 v7, 1, v7
	v_add_nc_u32_e32 v8, 16, v8
	;; [unrolled: 1-line block ×3, first 2 shown]
	v_cmp_lt_u32_e32 vcc_lo, 22, v7
	s_or_b32 s5, vcc_lo, s5
	s_waitcnt vmcnt(2) lgkmcnt(0)
	v_mul_f64 v[18:19], v[12:13], v[14:15]
	v_mul_f64 v[14:15], v[10:11], v[14:15]
	s_waitcnt vmcnt(0)
	v_fma_f64 v[10:11], v[10:11], v[16:17], -v[18:19]
	v_fma_f64 v[12:13], v[12:13], v[16:17], v[14:15]
	v_add_f64 v[3:4], v[3:4], v[10:11]
	v_add_f64 v[1:2], v[1:2], v[12:13]
	s_andn2_b32 exec_lo, exec_lo, s5
	s_cbranch_execnz .LBB63_121
; %bb.122:
	s_or_b32 exec_lo, exec_lo, s5
	v_mov_b32_e32 v7, 0
	ds_read_b128 v[7:10], v7 offset:384
	s_waitcnt lgkmcnt(0)
	v_mul_f64 v[11:12], v[1:2], v[9:10]
	v_mul_f64 v[9:10], v[3:4], v[9:10]
	v_fma_f64 v[3:4], v[3:4], v[7:8], -v[11:12]
	v_fma_f64 v[1:2], v[1:2], v[7:8], v[9:10]
	buffer_store_dword v4, off, s[0:3], 0 offset:404
	buffer_store_dword v3, off, s[0:3], 0 offset:400
	;; [unrolled: 1-line block ×4, first 2 shown]
.LBB63_123:
	s_or_b32 exec_lo, exec_lo, s4
	v_mov_b32_e32 v4, s53
	s_waitcnt_vscnt null, 0x0
	s_barrier
	buffer_gl0_inv
	s_mov_b32 s4, exec_lo
	s_clause 0x3
	buffer_load_dword v1, v4, s[0:3], 0 offen
	buffer_load_dword v2, v4, s[0:3], 0 offen offset:4
	buffer_load_dword v3, v4, s[0:3], 0 offen offset:8
	;; [unrolled: 1-line block ×3, first 2 shown]
	s_waitcnt vmcnt(0)
	ds_write_b128 v5, v[1:4]
	s_waitcnt lgkmcnt(0)
	s_barrier
	buffer_gl0_inv
	v_cmpx_gt_u32_e32 25, v0
	s_cbranch_execz .LBB63_127
; %bb.124:
	v_mov_b32_e32 v1, 0
	v_mov_b32_e32 v3, 0
	v_add_nc_u32_e32 v7, -1, v0
	v_or_b32_e32 v8, 0x400, v231
	v_mov_b32_e32 v2, 0
	v_mov_b32_e32 v4, 0
	v_add_nc_u32_e32 v9, 16, v231
	s_mov_b32 s5, 0
	.p2align	6
.LBB63_125:                             ; =>This Inner Loop Header: Depth=1
	s_clause 0x3
	buffer_load_dword v14, v9, s[0:3], 0 offen offset:8
	buffer_load_dword v15, v9, s[0:3], 0 offen offset:12
	buffer_load_dword v16, v9, s[0:3], 0 offen
	buffer_load_dword v17, v9, s[0:3], 0 offen offset:4
	ds_read_b128 v[10:13], v8
	v_add_nc_u32_e32 v7, 1, v7
	v_add_nc_u32_e32 v8, 16, v8
	;; [unrolled: 1-line block ×3, first 2 shown]
	v_cmp_lt_u32_e32 vcc_lo, 23, v7
	s_or_b32 s5, vcc_lo, s5
	s_waitcnt vmcnt(2) lgkmcnt(0)
	v_mul_f64 v[18:19], v[12:13], v[14:15]
	v_mul_f64 v[14:15], v[10:11], v[14:15]
	s_waitcnt vmcnt(0)
	v_fma_f64 v[10:11], v[10:11], v[16:17], -v[18:19]
	v_fma_f64 v[12:13], v[12:13], v[16:17], v[14:15]
	v_add_f64 v[3:4], v[3:4], v[10:11]
	v_add_f64 v[1:2], v[1:2], v[12:13]
	s_andn2_b32 exec_lo, exec_lo, s5
	s_cbranch_execnz .LBB63_125
; %bb.126:
	s_or_b32 exec_lo, exec_lo, s5
	v_mov_b32_e32 v7, 0
	ds_read_b128 v[7:10], v7 offset:400
	s_waitcnt lgkmcnt(0)
	v_mul_f64 v[11:12], v[1:2], v[9:10]
	v_mul_f64 v[9:10], v[3:4], v[9:10]
	v_fma_f64 v[3:4], v[3:4], v[7:8], -v[11:12]
	v_fma_f64 v[1:2], v[1:2], v[7:8], v[9:10]
	buffer_store_dword v4, off, s[0:3], 0 offset:420
	buffer_store_dword v3, off, s[0:3], 0 offset:416
	;; [unrolled: 1-line block ×4, first 2 shown]
.LBB63_127:
	s_or_b32 exec_lo, exec_lo, s4
	v_mov_b32_e32 v4, s52
	s_waitcnt_vscnt null, 0x0
	s_barrier
	buffer_gl0_inv
	s_mov_b32 s4, exec_lo
	s_clause 0x3
	buffer_load_dword v1, v4, s[0:3], 0 offen
	buffer_load_dword v2, v4, s[0:3], 0 offen offset:4
	buffer_load_dword v3, v4, s[0:3], 0 offen offset:8
	;; [unrolled: 1-line block ×3, first 2 shown]
	s_waitcnt vmcnt(0)
	ds_write_b128 v5, v[1:4]
	s_waitcnt lgkmcnt(0)
	s_barrier
	buffer_gl0_inv
	v_cmpx_gt_u32_e32 26, v0
	s_cbranch_execz .LBB63_131
; %bb.128:
	v_mov_b32_e32 v1, 0
	v_mov_b32_e32 v3, 0
	v_add_nc_u32_e32 v7, -1, v0
	v_or_b32_e32 v8, 0x400, v231
	v_mov_b32_e32 v2, 0
	v_mov_b32_e32 v4, 0
	v_add_nc_u32_e32 v9, 16, v231
	s_mov_b32 s5, 0
	.p2align	6
.LBB63_129:                             ; =>This Inner Loop Header: Depth=1
	s_clause 0x3
	buffer_load_dword v14, v9, s[0:3], 0 offen offset:8
	buffer_load_dword v15, v9, s[0:3], 0 offen offset:12
	buffer_load_dword v16, v9, s[0:3], 0 offen
	buffer_load_dword v17, v9, s[0:3], 0 offen offset:4
	ds_read_b128 v[10:13], v8
	v_add_nc_u32_e32 v7, 1, v7
	v_add_nc_u32_e32 v8, 16, v8
	;; [unrolled: 1-line block ×3, first 2 shown]
	v_cmp_lt_u32_e32 vcc_lo, 24, v7
	s_or_b32 s5, vcc_lo, s5
	s_waitcnt vmcnt(2) lgkmcnt(0)
	v_mul_f64 v[18:19], v[12:13], v[14:15]
	v_mul_f64 v[14:15], v[10:11], v[14:15]
	s_waitcnt vmcnt(0)
	v_fma_f64 v[10:11], v[10:11], v[16:17], -v[18:19]
	v_fma_f64 v[12:13], v[12:13], v[16:17], v[14:15]
	v_add_f64 v[3:4], v[3:4], v[10:11]
	v_add_f64 v[1:2], v[1:2], v[12:13]
	s_andn2_b32 exec_lo, exec_lo, s5
	s_cbranch_execnz .LBB63_129
; %bb.130:
	s_or_b32 exec_lo, exec_lo, s5
	v_mov_b32_e32 v7, 0
	ds_read_b128 v[7:10], v7 offset:416
	s_waitcnt lgkmcnt(0)
	v_mul_f64 v[11:12], v[1:2], v[9:10]
	v_mul_f64 v[9:10], v[3:4], v[9:10]
	v_fma_f64 v[3:4], v[3:4], v[7:8], -v[11:12]
	v_fma_f64 v[1:2], v[1:2], v[7:8], v[9:10]
	buffer_store_dword v4, off, s[0:3], 0 offset:436
	buffer_store_dword v3, off, s[0:3], 0 offset:432
	;; [unrolled: 1-line block ×4, first 2 shown]
.LBB63_131:
	s_or_b32 exec_lo, exec_lo, s4
	v_mov_b32_e32 v4, s51
	s_waitcnt_vscnt null, 0x0
	s_barrier
	buffer_gl0_inv
	s_mov_b32 s4, exec_lo
	s_clause 0x3
	buffer_load_dword v1, v4, s[0:3], 0 offen
	buffer_load_dword v2, v4, s[0:3], 0 offen offset:4
	buffer_load_dword v3, v4, s[0:3], 0 offen offset:8
	;; [unrolled: 1-line block ×3, first 2 shown]
	s_waitcnt vmcnt(0)
	ds_write_b128 v5, v[1:4]
	s_waitcnt lgkmcnt(0)
	s_barrier
	buffer_gl0_inv
	v_cmpx_gt_u32_e32 27, v0
	s_cbranch_execz .LBB63_135
; %bb.132:
	v_mov_b32_e32 v1, 0
	v_mov_b32_e32 v3, 0
	v_add_nc_u32_e32 v7, -1, v0
	v_or_b32_e32 v8, 0x400, v231
	v_mov_b32_e32 v2, 0
	v_mov_b32_e32 v4, 0
	v_add_nc_u32_e32 v9, 16, v231
	s_mov_b32 s5, 0
	.p2align	6
.LBB63_133:                             ; =>This Inner Loop Header: Depth=1
	s_clause 0x3
	buffer_load_dword v14, v9, s[0:3], 0 offen offset:8
	buffer_load_dword v15, v9, s[0:3], 0 offen offset:12
	buffer_load_dword v16, v9, s[0:3], 0 offen
	buffer_load_dword v17, v9, s[0:3], 0 offen offset:4
	ds_read_b128 v[10:13], v8
	v_add_nc_u32_e32 v7, 1, v7
	v_add_nc_u32_e32 v8, 16, v8
	;; [unrolled: 1-line block ×3, first 2 shown]
	v_cmp_lt_u32_e32 vcc_lo, 25, v7
	s_or_b32 s5, vcc_lo, s5
	s_waitcnt vmcnt(2) lgkmcnt(0)
	v_mul_f64 v[18:19], v[12:13], v[14:15]
	v_mul_f64 v[14:15], v[10:11], v[14:15]
	s_waitcnt vmcnt(0)
	v_fma_f64 v[10:11], v[10:11], v[16:17], -v[18:19]
	v_fma_f64 v[12:13], v[12:13], v[16:17], v[14:15]
	v_add_f64 v[3:4], v[3:4], v[10:11]
	v_add_f64 v[1:2], v[1:2], v[12:13]
	s_andn2_b32 exec_lo, exec_lo, s5
	s_cbranch_execnz .LBB63_133
; %bb.134:
	s_or_b32 exec_lo, exec_lo, s5
	v_mov_b32_e32 v7, 0
	ds_read_b128 v[7:10], v7 offset:432
	s_waitcnt lgkmcnt(0)
	v_mul_f64 v[11:12], v[1:2], v[9:10]
	v_mul_f64 v[9:10], v[3:4], v[9:10]
	v_fma_f64 v[3:4], v[3:4], v[7:8], -v[11:12]
	v_fma_f64 v[1:2], v[1:2], v[7:8], v[9:10]
	buffer_store_dword v4, off, s[0:3], 0 offset:452
	buffer_store_dword v3, off, s[0:3], 0 offset:448
	;; [unrolled: 1-line block ×4, first 2 shown]
.LBB63_135:
	s_or_b32 exec_lo, exec_lo, s4
	v_mov_b32_e32 v4, s50
	s_waitcnt_vscnt null, 0x0
	s_barrier
	buffer_gl0_inv
	s_mov_b32 s4, exec_lo
	s_clause 0x3
	buffer_load_dword v1, v4, s[0:3], 0 offen
	buffer_load_dword v2, v4, s[0:3], 0 offen offset:4
	buffer_load_dword v3, v4, s[0:3], 0 offen offset:8
	;; [unrolled: 1-line block ×3, first 2 shown]
	s_waitcnt vmcnt(0)
	ds_write_b128 v5, v[1:4]
	s_waitcnt lgkmcnt(0)
	s_barrier
	buffer_gl0_inv
	v_cmpx_gt_u32_e32 28, v0
	s_cbranch_execz .LBB63_139
; %bb.136:
	v_mov_b32_e32 v1, 0
	v_mov_b32_e32 v3, 0
	v_add_nc_u32_e32 v7, -1, v0
	v_or_b32_e32 v8, 0x400, v231
	v_mov_b32_e32 v2, 0
	v_mov_b32_e32 v4, 0
	v_add_nc_u32_e32 v9, 16, v231
	s_mov_b32 s5, 0
	.p2align	6
.LBB63_137:                             ; =>This Inner Loop Header: Depth=1
	s_clause 0x3
	buffer_load_dword v14, v9, s[0:3], 0 offen offset:8
	buffer_load_dword v15, v9, s[0:3], 0 offen offset:12
	buffer_load_dword v16, v9, s[0:3], 0 offen
	buffer_load_dword v17, v9, s[0:3], 0 offen offset:4
	ds_read_b128 v[10:13], v8
	v_add_nc_u32_e32 v7, 1, v7
	v_add_nc_u32_e32 v8, 16, v8
	;; [unrolled: 1-line block ×3, first 2 shown]
	v_cmp_lt_u32_e32 vcc_lo, 26, v7
	s_or_b32 s5, vcc_lo, s5
	s_waitcnt vmcnt(2) lgkmcnt(0)
	v_mul_f64 v[18:19], v[12:13], v[14:15]
	v_mul_f64 v[14:15], v[10:11], v[14:15]
	s_waitcnt vmcnt(0)
	v_fma_f64 v[10:11], v[10:11], v[16:17], -v[18:19]
	v_fma_f64 v[12:13], v[12:13], v[16:17], v[14:15]
	v_add_f64 v[3:4], v[3:4], v[10:11]
	v_add_f64 v[1:2], v[1:2], v[12:13]
	s_andn2_b32 exec_lo, exec_lo, s5
	s_cbranch_execnz .LBB63_137
; %bb.138:
	s_or_b32 exec_lo, exec_lo, s5
	v_mov_b32_e32 v7, 0
	ds_read_b128 v[7:10], v7 offset:448
	s_waitcnt lgkmcnt(0)
	v_mul_f64 v[11:12], v[1:2], v[9:10]
	v_mul_f64 v[9:10], v[3:4], v[9:10]
	v_fma_f64 v[3:4], v[3:4], v[7:8], -v[11:12]
	v_fma_f64 v[1:2], v[1:2], v[7:8], v[9:10]
	buffer_store_dword v4, off, s[0:3], 0 offset:468
	buffer_store_dword v3, off, s[0:3], 0 offset:464
	;; [unrolled: 1-line block ×4, first 2 shown]
.LBB63_139:
	s_or_b32 exec_lo, exec_lo, s4
	v_mov_b32_e32 v4, s49
	s_waitcnt_vscnt null, 0x0
	s_barrier
	buffer_gl0_inv
	s_mov_b32 s4, exec_lo
	s_clause 0x3
	buffer_load_dword v1, v4, s[0:3], 0 offen
	buffer_load_dword v2, v4, s[0:3], 0 offen offset:4
	buffer_load_dword v3, v4, s[0:3], 0 offen offset:8
	;; [unrolled: 1-line block ×3, first 2 shown]
	s_waitcnt vmcnt(0)
	ds_write_b128 v5, v[1:4]
	s_waitcnt lgkmcnt(0)
	s_barrier
	buffer_gl0_inv
	v_cmpx_gt_u32_e32 29, v0
	s_cbranch_execz .LBB63_143
; %bb.140:
	v_mov_b32_e32 v1, 0
	v_mov_b32_e32 v3, 0
	v_add_nc_u32_e32 v7, -1, v0
	v_or_b32_e32 v8, 0x400, v231
	v_mov_b32_e32 v2, 0
	v_mov_b32_e32 v4, 0
	v_add_nc_u32_e32 v9, 16, v231
	s_mov_b32 s5, 0
	.p2align	6
.LBB63_141:                             ; =>This Inner Loop Header: Depth=1
	s_clause 0x3
	buffer_load_dword v14, v9, s[0:3], 0 offen offset:8
	buffer_load_dword v15, v9, s[0:3], 0 offen offset:12
	buffer_load_dword v16, v9, s[0:3], 0 offen
	buffer_load_dword v17, v9, s[0:3], 0 offen offset:4
	ds_read_b128 v[10:13], v8
	v_add_nc_u32_e32 v7, 1, v7
	v_add_nc_u32_e32 v8, 16, v8
	v_add_nc_u32_e32 v9, 16, v9
	v_cmp_lt_u32_e32 vcc_lo, 27, v7
	s_or_b32 s5, vcc_lo, s5
	s_waitcnt vmcnt(2) lgkmcnt(0)
	v_mul_f64 v[18:19], v[12:13], v[14:15]
	v_mul_f64 v[14:15], v[10:11], v[14:15]
	s_waitcnt vmcnt(0)
	v_fma_f64 v[10:11], v[10:11], v[16:17], -v[18:19]
	v_fma_f64 v[12:13], v[12:13], v[16:17], v[14:15]
	v_add_f64 v[3:4], v[3:4], v[10:11]
	v_add_f64 v[1:2], v[1:2], v[12:13]
	s_andn2_b32 exec_lo, exec_lo, s5
	s_cbranch_execnz .LBB63_141
; %bb.142:
	s_or_b32 exec_lo, exec_lo, s5
	v_mov_b32_e32 v7, 0
	ds_read_b128 v[7:10], v7 offset:464
	s_waitcnt lgkmcnt(0)
	v_mul_f64 v[11:12], v[1:2], v[9:10]
	v_mul_f64 v[9:10], v[3:4], v[9:10]
	v_fma_f64 v[3:4], v[3:4], v[7:8], -v[11:12]
	v_fma_f64 v[1:2], v[1:2], v[7:8], v[9:10]
	buffer_store_dword v4, off, s[0:3], 0 offset:484
	buffer_store_dword v3, off, s[0:3], 0 offset:480
	;; [unrolled: 1-line block ×4, first 2 shown]
.LBB63_143:
	s_or_b32 exec_lo, exec_lo, s4
	v_mov_b32_e32 v4, s48
	s_waitcnt_vscnt null, 0x0
	s_barrier
	buffer_gl0_inv
	s_mov_b32 s4, exec_lo
	s_clause 0x3
	buffer_load_dword v1, v4, s[0:3], 0 offen
	buffer_load_dword v2, v4, s[0:3], 0 offen offset:4
	buffer_load_dword v3, v4, s[0:3], 0 offen offset:8
	;; [unrolled: 1-line block ×3, first 2 shown]
	s_waitcnt vmcnt(0)
	ds_write_b128 v5, v[1:4]
	s_waitcnt lgkmcnt(0)
	s_barrier
	buffer_gl0_inv
	v_cmpx_gt_u32_e32 30, v0
	s_cbranch_execz .LBB63_147
; %bb.144:
	v_mov_b32_e32 v1, 0
	v_mov_b32_e32 v3, 0
	v_add_nc_u32_e32 v7, -1, v0
	v_or_b32_e32 v8, 0x400, v231
	v_mov_b32_e32 v2, 0
	v_mov_b32_e32 v4, 0
	v_add_nc_u32_e32 v9, 16, v231
	s_mov_b32 s5, 0
	.p2align	6
.LBB63_145:                             ; =>This Inner Loop Header: Depth=1
	s_clause 0x3
	buffer_load_dword v14, v9, s[0:3], 0 offen offset:8
	buffer_load_dword v15, v9, s[0:3], 0 offen offset:12
	buffer_load_dword v16, v9, s[0:3], 0 offen
	buffer_load_dword v17, v9, s[0:3], 0 offen offset:4
	ds_read_b128 v[10:13], v8
	v_add_nc_u32_e32 v7, 1, v7
	v_add_nc_u32_e32 v8, 16, v8
	;; [unrolled: 1-line block ×3, first 2 shown]
	v_cmp_lt_u32_e32 vcc_lo, 28, v7
	s_or_b32 s5, vcc_lo, s5
	s_waitcnt vmcnt(2) lgkmcnt(0)
	v_mul_f64 v[18:19], v[12:13], v[14:15]
	v_mul_f64 v[14:15], v[10:11], v[14:15]
	s_waitcnt vmcnt(0)
	v_fma_f64 v[10:11], v[10:11], v[16:17], -v[18:19]
	v_fma_f64 v[12:13], v[12:13], v[16:17], v[14:15]
	v_add_f64 v[3:4], v[3:4], v[10:11]
	v_add_f64 v[1:2], v[1:2], v[12:13]
	s_andn2_b32 exec_lo, exec_lo, s5
	s_cbranch_execnz .LBB63_145
; %bb.146:
	s_or_b32 exec_lo, exec_lo, s5
	v_mov_b32_e32 v7, 0
	ds_read_b128 v[7:10], v7 offset:480
	s_waitcnt lgkmcnt(0)
	v_mul_f64 v[11:12], v[1:2], v[9:10]
	v_mul_f64 v[9:10], v[3:4], v[9:10]
	v_fma_f64 v[3:4], v[3:4], v[7:8], -v[11:12]
	v_fma_f64 v[1:2], v[1:2], v[7:8], v[9:10]
	buffer_store_dword v4, off, s[0:3], 0 offset:500
	buffer_store_dword v3, off, s[0:3], 0 offset:496
	;; [unrolled: 1-line block ×4, first 2 shown]
.LBB63_147:
	s_or_b32 exec_lo, exec_lo, s4
	v_mov_b32_e32 v4, s47
	s_waitcnt_vscnt null, 0x0
	s_barrier
	buffer_gl0_inv
	s_mov_b32 s4, exec_lo
	s_clause 0x3
	buffer_load_dword v1, v4, s[0:3], 0 offen
	buffer_load_dword v2, v4, s[0:3], 0 offen offset:4
	buffer_load_dword v3, v4, s[0:3], 0 offen offset:8
	;; [unrolled: 1-line block ×3, first 2 shown]
	s_waitcnt vmcnt(0)
	ds_write_b128 v5, v[1:4]
	s_waitcnt lgkmcnt(0)
	s_barrier
	buffer_gl0_inv
	v_cmpx_gt_u32_e32 31, v0
	s_cbranch_execz .LBB63_151
; %bb.148:
	v_mov_b32_e32 v1, 0
	v_mov_b32_e32 v3, 0
	v_add_nc_u32_e32 v7, -1, v0
	v_or_b32_e32 v8, 0x400, v231
	v_mov_b32_e32 v2, 0
	v_mov_b32_e32 v4, 0
	v_add_nc_u32_e32 v9, 16, v231
	s_mov_b32 s5, 0
	.p2align	6
.LBB63_149:                             ; =>This Inner Loop Header: Depth=1
	s_clause 0x3
	buffer_load_dword v14, v9, s[0:3], 0 offen offset:8
	buffer_load_dword v15, v9, s[0:3], 0 offen offset:12
	buffer_load_dword v16, v9, s[0:3], 0 offen
	buffer_load_dword v17, v9, s[0:3], 0 offen offset:4
	ds_read_b128 v[10:13], v8
	v_add_nc_u32_e32 v7, 1, v7
	v_add_nc_u32_e32 v8, 16, v8
	;; [unrolled: 1-line block ×3, first 2 shown]
	v_cmp_lt_u32_e32 vcc_lo, 29, v7
	s_or_b32 s5, vcc_lo, s5
	s_waitcnt vmcnt(2) lgkmcnt(0)
	v_mul_f64 v[18:19], v[12:13], v[14:15]
	v_mul_f64 v[14:15], v[10:11], v[14:15]
	s_waitcnt vmcnt(0)
	v_fma_f64 v[10:11], v[10:11], v[16:17], -v[18:19]
	v_fma_f64 v[12:13], v[12:13], v[16:17], v[14:15]
	v_add_f64 v[3:4], v[3:4], v[10:11]
	v_add_f64 v[1:2], v[1:2], v[12:13]
	s_andn2_b32 exec_lo, exec_lo, s5
	s_cbranch_execnz .LBB63_149
; %bb.150:
	s_or_b32 exec_lo, exec_lo, s5
	v_mov_b32_e32 v7, 0
	ds_read_b128 v[7:10], v7 offset:496
	s_waitcnt lgkmcnt(0)
	v_mul_f64 v[11:12], v[1:2], v[9:10]
	v_mul_f64 v[9:10], v[3:4], v[9:10]
	v_fma_f64 v[3:4], v[3:4], v[7:8], -v[11:12]
	v_fma_f64 v[1:2], v[1:2], v[7:8], v[9:10]
	buffer_store_dword v4, off, s[0:3], 0 offset:516
	buffer_store_dword v3, off, s[0:3], 0 offset:512
	;; [unrolled: 1-line block ×4, first 2 shown]
.LBB63_151:
	s_or_b32 exec_lo, exec_lo, s4
	v_mov_b32_e32 v4, s46
	s_waitcnt_vscnt null, 0x0
	s_barrier
	buffer_gl0_inv
	s_mov_b32 s4, exec_lo
	s_clause 0x3
	buffer_load_dword v1, v4, s[0:3], 0 offen
	buffer_load_dword v2, v4, s[0:3], 0 offen offset:4
	buffer_load_dword v3, v4, s[0:3], 0 offen offset:8
	;; [unrolled: 1-line block ×3, first 2 shown]
	s_waitcnt vmcnt(0)
	ds_write_b128 v5, v[1:4]
	s_waitcnt lgkmcnt(0)
	s_barrier
	buffer_gl0_inv
	v_cmpx_gt_u32_e32 32, v0
	s_cbranch_execz .LBB63_155
; %bb.152:
	v_mov_b32_e32 v1, 0
	v_mov_b32_e32 v3, 0
	v_add_nc_u32_e32 v7, -1, v0
	v_or_b32_e32 v8, 0x400, v231
	v_mov_b32_e32 v2, 0
	v_mov_b32_e32 v4, 0
	v_add_nc_u32_e32 v9, 16, v231
	s_mov_b32 s5, 0
	.p2align	6
.LBB63_153:                             ; =>This Inner Loop Header: Depth=1
	s_clause 0x3
	buffer_load_dword v14, v9, s[0:3], 0 offen offset:8
	buffer_load_dword v15, v9, s[0:3], 0 offen offset:12
	buffer_load_dword v16, v9, s[0:3], 0 offen
	buffer_load_dword v17, v9, s[0:3], 0 offen offset:4
	ds_read_b128 v[10:13], v8
	v_add_nc_u32_e32 v7, 1, v7
	v_add_nc_u32_e32 v8, 16, v8
	;; [unrolled: 1-line block ×3, first 2 shown]
	v_cmp_lt_u32_e32 vcc_lo, 30, v7
	s_or_b32 s5, vcc_lo, s5
	s_waitcnt vmcnt(2) lgkmcnt(0)
	v_mul_f64 v[18:19], v[12:13], v[14:15]
	v_mul_f64 v[14:15], v[10:11], v[14:15]
	s_waitcnt vmcnt(0)
	v_fma_f64 v[10:11], v[10:11], v[16:17], -v[18:19]
	v_fma_f64 v[12:13], v[12:13], v[16:17], v[14:15]
	v_add_f64 v[3:4], v[3:4], v[10:11]
	v_add_f64 v[1:2], v[1:2], v[12:13]
	s_andn2_b32 exec_lo, exec_lo, s5
	s_cbranch_execnz .LBB63_153
; %bb.154:
	s_or_b32 exec_lo, exec_lo, s5
	v_mov_b32_e32 v7, 0
	ds_read_b128 v[7:10], v7 offset:512
	s_waitcnt lgkmcnt(0)
	v_mul_f64 v[11:12], v[1:2], v[9:10]
	v_mul_f64 v[9:10], v[3:4], v[9:10]
	v_fma_f64 v[3:4], v[3:4], v[7:8], -v[11:12]
	v_fma_f64 v[1:2], v[1:2], v[7:8], v[9:10]
	buffer_store_dword v4, off, s[0:3], 0 offset:532
	buffer_store_dword v3, off, s[0:3], 0 offset:528
	;; [unrolled: 1-line block ×4, first 2 shown]
.LBB63_155:
	s_or_b32 exec_lo, exec_lo, s4
	v_mov_b32_e32 v4, s45
	s_waitcnt_vscnt null, 0x0
	s_barrier
	buffer_gl0_inv
	s_mov_b32 s4, exec_lo
	s_clause 0x3
	buffer_load_dword v1, v4, s[0:3], 0 offen
	buffer_load_dword v2, v4, s[0:3], 0 offen offset:4
	buffer_load_dword v3, v4, s[0:3], 0 offen offset:8
	;; [unrolled: 1-line block ×3, first 2 shown]
	s_waitcnt vmcnt(0)
	ds_write_b128 v5, v[1:4]
	s_waitcnt lgkmcnt(0)
	s_barrier
	buffer_gl0_inv
	v_cmpx_gt_u32_e32 33, v0
	s_cbranch_execz .LBB63_159
; %bb.156:
	v_mov_b32_e32 v1, 0
	v_mov_b32_e32 v3, 0
	v_add_nc_u32_e32 v7, -1, v0
	v_or_b32_e32 v8, 0x400, v231
	v_mov_b32_e32 v2, 0
	v_mov_b32_e32 v4, 0
	v_add_nc_u32_e32 v9, 16, v231
	s_mov_b32 s5, 0
	.p2align	6
.LBB63_157:                             ; =>This Inner Loop Header: Depth=1
	s_clause 0x3
	buffer_load_dword v14, v9, s[0:3], 0 offen offset:8
	buffer_load_dword v15, v9, s[0:3], 0 offen offset:12
	buffer_load_dword v16, v9, s[0:3], 0 offen
	buffer_load_dword v17, v9, s[0:3], 0 offen offset:4
	ds_read_b128 v[10:13], v8
	v_add_nc_u32_e32 v7, 1, v7
	v_add_nc_u32_e32 v8, 16, v8
	v_add_nc_u32_e32 v9, 16, v9
	v_cmp_lt_u32_e32 vcc_lo, 31, v7
	s_or_b32 s5, vcc_lo, s5
	s_waitcnt vmcnt(2) lgkmcnt(0)
	v_mul_f64 v[18:19], v[12:13], v[14:15]
	v_mul_f64 v[14:15], v[10:11], v[14:15]
	s_waitcnt vmcnt(0)
	v_fma_f64 v[10:11], v[10:11], v[16:17], -v[18:19]
	v_fma_f64 v[12:13], v[12:13], v[16:17], v[14:15]
	v_add_f64 v[3:4], v[3:4], v[10:11]
	v_add_f64 v[1:2], v[1:2], v[12:13]
	s_andn2_b32 exec_lo, exec_lo, s5
	s_cbranch_execnz .LBB63_157
; %bb.158:
	s_or_b32 exec_lo, exec_lo, s5
	v_mov_b32_e32 v7, 0
	ds_read_b128 v[7:10], v7 offset:528
	s_waitcnt lgkmcnt(0)
	v_mul_f64 v[11:12], v[1:2], v[9:10]
	v_mul_f64 v[9:10], v[3:4], v[9:10]
	v_fma_f64 v[3:4], v[3:4], v[7:8], -v[11:12]
	v_fma_f64 v[1:2], v[1:2], v[7:8], v[9:10]
	buffer_store_dword v4, off, s[0:3], 0 offset:548
	buffer_store_dword v3, off, s[0:3], 0 offset:544
	;; [unrolled: 1-line block ×4, first 2 shown]
.LBB63_159:
	s_or_b32 exec_lo, exec_lo, s4
	v_mov_b32_e32 v4, s44
	s_waitcnt_vscnt null, 0x0
	s_barrier
	buffer_gl0_inv
	s_mov_b32 s4, exec_lo
	s_clause 0x3
	buffer_load_dword v1, v4, s[0:3], 0 offen
	buffer_load_dword v2, v4, s[0:3], 0 offen offset:4
	buffer_load_dword v3, v4, s[0:3], 0 offen offset:8
	buffer_load_dword v4, v4, s[0:3], 0 offen offset:12
	s_waitcnt vmcnt(0)
	ds_write_b128 v5, v[1:4]
	s_waitcnt lgkmcnt(0)
	s_barrier
	buffer_gl0_inv
	v_cmpx_gt_u32_e32 34, v0
	s_cbranch_execz .LBB63_163
; %bb.160:
	v_mov_b32_e32 v1, 0
	v_mov_b32_e32 v3, 0
	v_add_nc_u32_e32 v7, -1, v0
	v_or_b32_e32 v8, 0x400, v231
	v_mov_b32_e32 v2, 0
	v_mov_b32_e32 v4, 0
	v_add_nc_u32_e32 v9, 16, v231
	s_mov_b32 s5, 0
	.p2align	6
.LBB63_161:                             ; =>This Inner Loop Header: Depth=1
	s_clause 0x3
	buffer_load_dword v14, v9, s[0:3], 0 offen offset:8
	buffer_load_dword v15, v9, s[0:3], 0 offen offset:12
	buffer_load_dword v16, v9, s[0:3], 0 offen
	buffer_load_dword v17, v9, s[0:3], 0 offen offset:4
	ds_read_b128 v[10:13], v8
	v_add_nc_u32_e32 v7, 1, v7
	v_add_nc_u32_e32 v8, 16, v8
	;; [unrolled: 1-line block ×3, first 2 shown]
	v_cmp_lt_u32_e32 vcc_lo, 32, v7
	s_or_b32 s5, vcc_lo, s5
	s_waitcnt vmcnt(2) lgkmcnt(0)
	v_mul_f64 v[18:19], v[12:13], v[14:15]
	v_mul_f64 v[14:15], v[10:11], v[14:15]
	s_waitcnt vmcnt(0)
	v_fma_f64 v[10:11], v[10:11], v[16:17], -v[18:19]
	v_fma_f64 v[12:13], v[12:13], v[16:17], v[14:15]
	v_add_f64 v[3:4], v[3:4], v[10:11]
	v_add_f64 v[1:2], v[1:2], v[12:13]
	s_andn2_b32 exec_lo, exec_lo, s5
	s_cbranch_execnz .LBB63_161
; %bb.162:
	s_or_b32 exec_lo, exec_lo, s5
	v_mov_b32_e32 v7, 0
	ds_read_b128 v[7:10], v7 offset:544
	s_waitcnt lgkmcnt(0)
	v_mul_f64 v[11:12], v[1:2], v[9:10]
	v_mul_f64 v[9:10], v[3:4], v[9:10]
	v_fma_f64 v[3:4], v[3:4], v[7:8], -v[11:12]
	v_fma_f64 v[1:2], v[1:2], v[7:8], v[9:10]
	buffer_store_dword v4, off, s[0:3], 0 offset:564
	buffer_store_dword v3, off, s[0:3], 0 offset:560
	;; [unrolled: 1-line block ×4, first 2 shown]
.LBB63_163:
	s_or_b32 exec_lo, exec_lo, s4
	v_mov_b32_e32 v4, s43
	s_waitcnt_vscnt null, 0x0
	s_barrier
	buffer_gl0_inv
	s_mov_b32 s4, exec_lo
	s_clause 0x3
	buffer_load_dword v1, v4, s[0:3], 0 offen
	buffer_load_dword v2, v4, s[0:3], 0 offen offset:4
	buffer_load_dword v3, v4, s[0:3], 0 offen offset:8
	;; [unrolled: 1-line block ×3, first 2 shown]
	s_waitcnt vmcnt(0)
	ds_write_b128 v5, v[1:4]
	s_waitcnt lgkmcnt(0)
	s_barrier
	buffer_gl0_inv
	v_cmpx_gt_u32_e32 35, v0
	s_cbranch_execz .LBB63_167
; %bb.164:
	v_mov_b32_e32 v1, 0
	v_mov_b32_e32 v3, 0
	v_add_nc_u32_e32 v7, -1, v0
	v_or_b32_e32 v8, 0x400, v231
	v_mov_b32_e32 v2, 0
	v_mov_b32_e32 v4, 0
	v_add_nc_u32_e32 v9, 16, v231
	s_mov_b32 s5, 0
	.p2align	6
.LBB63_165:                             ; =>This Inner Loop Header: Depth=1
	s_clause 0x3
	buffer_load_dword v14, v9, s[0:3], 0 offen offset:8
	buffer_load_dword v15, v9, s[0:3], 0 offen offset:12
	buffer_load_dword v16, v9, s[0:3], 0 offen
	buffer_load_dword v17, v9, s[0:3], 0 offen offset:4
	ds_read_b128 v[10:13], v8
	v_add_nc_u32_e32 v7, 1, v7
	v_add_nc_u32_e32 v8, 16, v8
	;; [unrolled: 1-line block ×3, first 2 shown]
	v_cmp_lt_u32_e32 vcc_lo, 33, v7
	s_or_b32 s5, vcc_lo, s5
	s_waitcnt vmcnt(2) lgkmcnt(0)
	v_mul_f64 v[18:19], v[12:13], v[14:15]
	v_mul_f64 v[14:15], v[10:11], v[14:15]
	s_waitcnt vmcnt(0)
	v_fma_f64 v[10:11], v[10:11], v[16:17], -v[18:19]
	v_fma_f64 v[12:13], v[12:13], v[16:17], v[14:15]
	v_add_f64 v[3:4], v[3:4], v[10:11]
	v_add_f64 v[1:2], v[1:2], v[12:13]
	s_andn2_b32 exec_lo, exec_lo, s5
	s_cbranch_execnz .LBB63_165
; %bb.166:
	s_or_b32 exec_lo, exec_lo, s5
	v_mov_b32_e32 v7, 0
	ds_read_b128 v[7:10], v7 offset:560
	s_waitcnt lgkmcnt(0)
	v_mul_f64 v[11:12], v[1:2], v[9:10]
	v_mul_f64 v[9:10], v[3:4], v[9:10]
	v_fma_f64 v[3:4], v[3:4], v[7:8], -v[11:12]
	v_fma_f64 v[1:2], v[1:2], v[7:8], v[9:10]
	buffer_store_dword v4, off, s[0:3], 0 offset:580
	buffer_store_dword v3, off, s[0:3], 0 offset:576
	;; [unrolled: 1-line block ×4, first 2 shown]
.LBB63_167:
	s_or_b32 exec_lo, exec_lo, s4
	v_mov_b32_e32 v4, s42
	s_waitcnt_vscnt null, 0x0
	s_barrier
	buffer_gl0_inv
	s_mov_b32 s4, exec_lo
	s_clause 0x3
	buffer_load_dword v1, v4, s[0:3], 0 offen
	buffer_load_dword v2, v4, s[0:3], 0 offen offset:4
	buffer_load_dword v3, v4, s[0:3], 0 offen offset:8
	;; [unrolled: 1-line block ×3, first 2 shown]
	s_waitcnt vmcnt(0)
	ds_write_b128 v5, v[1:4]
	s_waitcnt lgkmcnt(0)
	s_barrier
	buffer_gl0_inv
	v_cmpx_gt_u32_e32 36, v0
	s_cbranch_execz .LBB63_171
; %bb.168:
	v_mov_b32_e32 v1, 0
	v_mov_b32_e32 v3, 0
	v_add_nc_u32_e32 v7, -1, v0
	v_or_b32_e32 v8, 0x400, v231
	v_mov_b32_e32 v2, 0
	v_mov_b32_e32 v4, 0
	v_add_nc_u32_e32 v9, 16, v231
	s_mov_b32 s5, 0
	.p2align	6
.LBB63_169:                             ; =>This Inner Loop Header: Depth=1
	s_clause 0x3
	buffer_load_dword v14, v9, s[0:3], 0 offen offset:8
	buffer_load_dword v15, v9, s[0:3], 0 offen offset:12
	buffer_load_dword v16, v9, s[0:3], 0 offen
	buffer_load_dword v17, v9, s[0:3], 0 offen offset:4
	ds_read_b128 v[10:13], v8
	v_add_nc_u32_e32 v7, 1, v7
	v_add_nc_u32_e32 v8, 16, v8
	;; [unrolled: 1-line block ×3, first 2 shown]
	v_cmp_lt_u32_e32 vcc_lo, 34, v7
	s_or_b32 s5, vcc_lo, s5
	s_waitcnt vmcnt(2) lgkmcnt(0)
	v_mul_f64 v[18:19], v[12:13], v[14:15]
	v_mul_f64 v[14:15], v[10:11], v[14:15]
	s_waitcnt vmcnt(0)
	v_fma_f64 v[10:11], v[10:11], v[16:17], -v[18:19]
	v_fma_f64 v[12:13], v[12:13], v[16:17], v[14:15]
	v_add_f64 v[3:4], v[3:4], v[10:11]
	v_add_f64 v[1:2], v[1:2], v[12:13]
	s_andn2_b32 exec_lo, exec_lo, s5
	s_cbranch_execnz .LBB63_169
; %bb.170:
	s_or_b32 exec_lo, exec_lo, s5
	v_mov_b32_e32 v7, 0
	ds_read_b128 v[7:10], v7 offset:576
	s_waitcnt lgkmcnt(0)
	v_mul_f64 v[11:12], v[1:2], v[9:10]
	v_mul_f64 v[9:10], v[3:4], v[9:10]
	v_fma_f64 v[3:4], v[3:4], v[7:8], -v[11:12]
	v_fma_f64 v[1:2], v[1:2], v[7:8], v[9:10]
	buffer_store_dword v4, off, s[0:3], 0 offset:596
	buffer_store_dword v3, off, s[0:3], 0 offset:592
	;; [unrolled: 1-line block ×4, first 2 shown]
.LBB63_171:
	s_or_b32 exec_lo, exec_lo, s4
	v_mov_b32_e32 v4, s41
	s_waitcnt_vscnt null, 0x0
	s_barrier
	buffer_gl0_inv
	s_mov_b32 s4, exec_lo
	s_clause 0x3
	buffer_load_dword v1, v4, s[0:3], 0 offen
	buffer_load_dword v2, v4, s[0:3], 0 offen offset:4
	buffer_load_dword v3, v4, s[0:3], 0 offen offset:8
	;; [unrolled: 1-line block ×3, first 2 shown]
	s_waitcnt vmcnt(0)
	ds_write_b128 v5, v[1:4]
	s_waitcnt lgkmcnt(0)
	s_barrier
	buffer_gl0_inv
	v_cmpx_gt_u32_e32 37, v0
	s_cbranch_execz .LBB63_175
; %bb.172:
	v_mov_b32_e32 v1, 0
	v_mov_b32_e32 v3, 0
	v_add_nc_u32_e32 v7, -1, v0
	v_or_b32_e32 v8, 0x400, v231
	v_mov_b32_e32 v2, 0
	v_mov_b32_e32 v4, 0
	v_add_nc_u32_e32 v9, 16, v231
	s_mov_b32 s5, 0
	.p2align	6
.LBB63_173:                             ; =>This Inner Loop Header: Depth=1
	s_clause 0x3
	buffer_load_dword v14, v9, s[0:3], 0 offen offset:8
	buffer_load_dword v15, v9, s[0:3], 0 offen offset:12
	buffer_load_dword v16, v9, s[0:3], 0 offen
	buffer_load_dword v17, v9, s[0:3], 0 offen offset:4
	ds_read_b128 v[10:13], v8
	v_add_nc_u32_e32 v7, 1, v7
	v_add_nc_u32_e32 v8, 16, v8
	;; [unrolled: 1-line block ×3, first 2 shown]
	v_cmp_lt_u32_e32 vcc_lo, 35, v7
	s_or_b32 s5, vcc_lo, s5
	s_waitcnt vmcnt(2) lgkmcnt(0)
	v_mul_f64 v[18:19], v[12:13], v[14:15]
	v_mul_f64 v[14:15], v[10:11], v[14:15]
	s_waitcnt vmcnt(0)
	v_fma_f64 v[10:11], v[10:11], v[16:17], -v[18:19]
	v_fma_f64 v[12:13], v[12:13], v[16:17], v[14:15]
	v_add_f64 v[3:4], v[3:4], v[10:11]
	v_add_f64 v[1:2], v[1:2], v[12:13]
	s_andn2_b32 exec_lo, exec_lo, s5
	s_cbranch_execnz .LBB63_173
; %bb.174:
	s_or_b32 exec_lo, exec_lo, s5
	v_mov_b32_e32 v7, 0
	ds_read_b128 v[7:10], v7 offset:592
	s_waitcnt lgkmcnt(0)
	v_mul_f64 v[11:12], v[1:2], v[9:10]
	v_mul_f64 v[9:10], v[3:4], v[9:10]
	v_fma_f64 v[3:4], v[3:4], v[7:8], -v[11:12]
	v_fma_f64 v[1:2], v[1:2], v[7:8], v[9:10]
	buffer_store_dword v4, off, s[0:3], 0 offset:612
	buffer_store_dword v3, off, s[0:3], 0 offset:608
	buffer_store_dword v2, off, s[0:3], 0 offset:620
	buffer_store_dword v1, off, s[0:3], 0 offset:616
.LBB63_175:
	s_or_b32 exec_lo, exec_lo, s4
	v_mov_b32_e32 v4, s40
	s_waitcnt_vscnt null, 0x0
	s_barrier
	buffer_gl0_inv
	s_mov_b32 s4, exec_lo
	s_clause 0x3
	buffer_load_dword v1, v4, s[0:3], 0 offen
	buffer_load_dword v2, v4, s[0:3], 0 offen offset:4
	buffer_load_dword v3, v4, s[0:3], 0 offen offset:8
	;; [unrolled: 1-line block ×3, first 2 shown]
	s_waitcnt vmcnt(0)
	ds_write_b128 v5, v[1:4]
	s_waitcnt lgkmcnt(0)
	s_barrier
	buffer_gl0_inv
	v_cmpx_gt_u32_e32 38, v0
	s_cbranch_execz .LBB63_179
; %bb.176:
	v_mov_b32_e32 v1, 0
	v_mov_b32_e32 v3, 0
	v_add_nc_u32_e32 v7, -1, v0
	v_or_b32_e32 v8, 0x400, v231
	v_mov_b32_e32 v2, 0
	v_mov_b32_e32 v4, 0
	v_add_nc_u32_e32 v9, 16, v231
	s_mov_b32 s5, 0
	.p2align	6
.LBB63_177:                             ; =>This Inner Loop Header: Depth=1
	s_clause 0x3
	buffer_load_dword v14, v9, s[0:3], 0 offen offset:8
	buffer_load_dword v15, v9, s[0:3], 0 offen offset:12
	buffer_load_dword v16, v9, s[0:3], 0 offen
	buffer_load_dword v17, v9, s[0:3], 0 offen offset:4
	ds_read_b128 v[10:13], v8
	v_add_nc_u32_e32 v7, 1, v7
	v_add_nc_u32_e32 v8, 16, v8
	;; [unrolled: 1-line block ×3, first 2 shown]
	v_cmp_lt_u32_e32 vcc_lo, 36, v7
	s_or_b32 s5, vcc_lo, s5
	s_waitcnt vmcnt(2) lgkmcnt(0)
	v_mul_f64 v[18:19], v[12:13], v[14:15]
	v_mul_f64 v[14:15], v[10:11], v[14:15]
	s_waitcnt vmcnt(0)
	v_fma_f64 v[10:11], v[10:11], v[16:17], -v[18:19]
	v_fma_f64 v[12:13], v[12:13], v[16:17], v[14:15]
	v_add_f64 v[3:4], v[3:4], v[10:11]
	v_add_f64 v[1:2], v[1:2], v[12:13]
	s_andn2_b32 exec_lo, exec_lo, s5
	s_cbranch_execnz .LBB63_177
; %bb.178:
	s_or_b32 exec_lo, exec_lo, s5
	v_mov_b32_e32 v7, 0
	ds_read_b128 v[7:10], v7 offset:608
	s_waitcnt lgkmcnt(0)
	v_mul_f64 v[11:12], v[1:2], v[9:10]
	v_mul_f64 v[9:10], v[3:4], v[9:10]
	v_fma_f64 v[3:4], v[3:4], v[7:8], -v[11:12]
	v_fma_f64 v[1:2], v[1:2], v[7:8], v[9:10]
	buffer_store_dword v4, off, s[0:3], 0 offset:628
	buffer_store_dword v3, off, s[0:3], 0 offset:624
	;; [unrolled: 1-line block ×4, first 2 shown]
.LBB63_179:
	s_or_b32 exec_lo, exec_lo, s4
	v_mov_b32_e32 v4, s39
	s_waitcnt_vscnt null, 0x0
	s_barrier
	buffer_gl0_inv
	s_mov_b32 s4, exec_lo
	s_clause 0x3
	buffer_load_dword v1, v4, s[0:3], 0 offen
	buffer_load_dword v2, v4, s[0:3], 0 offen offset:4
	buffer_load_dword v3, v4, s[0:3], 0 offen offset:8
	;; [unrolled: 1-line block ×3, first 2 shown]
	s_waitcnt vmcnt(0)
	ds_write_b128 v5, v[1:4]
	s_waitcnt lgkmcnt(0)
	s_barrier
	buffer_gl0_inv
	v_cmpx_gt_u32_e32 39, v0
	s_cbranch_execz .LBB63_183
; %bb.180:
	v_mov_b32_e32 v1, 0
	v_mov_b32_e32 v3, 0
	v_add_nc_u32_e32 v7, -1, v0
	v_or_b32_e32 v8, 0x400, v231
	v_mov_b32_e32 v2, 0
	v_mov_b32_e32 v4, 0
	v_add_nc_u32_e32 v9, 16, v231
	s_mov_b32 s5, 0
	.p2align	6
.LBB63_181:                             ; =>This Inner Loop Header: Depth=1
	s_clause 0x3
	buffer_load_dword v14, v9, s[0:3], 0 offen offset:8
	buffer_load_dword v15, v9, s[0:3], 0 offen offset:12
	buffer_load_dword v16, v9, s[0:3], 0 offen
	buffer_load_dword v17, v9, s[0:3], 0 offen offset:4
	ds_read_b128 v[10:13], v8
	v_add_nc_u32_e32 v7, 1, v7
	v_add_nc_u32_e32 v8, 16, v8
	;; [unrolled: 1-line block ×3, first 2 shown]
	v_cmp_lt_u32_e32 vcc_lo, 37, v7
	s_or_b32 s5, vcc_lo, s5
	s_waitcnt vmcnt(2) lgkmcnt(0)
	v_mul_f64 v[18:19], v[12:13], v[14:15]
	v_mul_f64 v[14:15], v[10:11], v[14:15]
	s_waitcnt vmcnt(0)
	v_fma_f64 v[10:11], v[10:11], v[16:17], -v[18:19]
	v_fma_f64 v[12:13], v[12:13], v[16:17], v[14:15]
	v_add_f64 v[3:4], v[3:4], v[10:11]
	v_add_f64 v[1:2], v[1:2], v[12:13]
	s_andn2_b32 exec_lo, exec_lo, s5
	s_cbranch_execnz .LBB63_181
; %bb.182:
	s_or_b32 exec_lo, exec_lo, s5
	v_mov_b32_e32 v7, 0
	ds_read_b128 v[7:10], v7 offset:624
	s_waitcnt lgkmcnt(0)
	v_mul_f64 v[11:12], v[1:2], v[9:10]
	v_mul_f64 v[9:10], v[3:4], v[9:10]
	v_fma_f64 v[3:4], v[3:4], v[7:8], -v[11:12]
	v_fma_f64 v[1:2], v[1:2], v[7:8], v[9:10]
	buffer_store_dword v4, off, s[0:3], 0 offset:644
	buffer_store_dword v3, off, s[0:3], 0 offset:640
	;; [unrolled: 1-line block ×4, first 2 shown]
.LBB63_183:
	s_or_b32 exec_lo, exec_lo, s4
	v_mov_b32_e32 v4, s38
	s_waitcnt_vscnt null, 0x0
	s_barrier
	buffer_gl0_inv
	s_mov_b32 s4, exec_lo
	s_clause 0x3
	buffer_load_dword v1, v4, s[0:3], 0 offen
	buffer_load_dword v2, v4, s[0:3], 0 offen offset:4
	buffer_load_dword v3, v4, s[0:3], 0 offen offset:8
	;; [unrolled: 1-line block ×3, first 2 shown]
	s_waitcnt vmcnt(0)
	ds_write_b128 v5, v[1:4]
	s_waitcnt lgkmcnt(0)
	s_barrier
	buffer_gl0_inv
	v_cmpx_gt_u32_e32 40, v0
	s_cbranch_execz .LBB63_187
; %bb.184:
	v_mov_b32_e32 v1, 0
	v_mov_b32_e32 v3, 0
	v_add_nc_u32_e32 v7, -1, v0
	v_or_b32_e32 v8, 0x400, v231
	v_mov_b32_e32 v2, 0
	v_mov_b32_e32 v4, 0
	v_add_nc_u32_e32 v9, 16, v231
	s_mov_b32 s5, 0
	.p2align	6
.LBB63_185:                             ; =>This Inner Loop Header: Depth=1
	s_clause 0x3
	buffer_load_dword v14, v9, s[0:3], 0 offen offset:8
	buffer_load_dword v15, v9, s[0:3], 0 offen offset:12
	buffer_load_dword v16, v9, s[0:3], 0 offen
	buffer_load_dword v17, v9, s[0:3], 0 offen offset:4
	ds_read_b128 v[10:13], v8
	v_add_nc_u32_e32 v7, 1, v7
	v_add_nc_u32_e32 v8, 16, v8
	;; [unrolled: 1-line block ×3, first 2 shown]
	v_cmp_lt_u32_e32 vcc_lo, 38, v7
	s_or_b32 s5, vcc_lo, s5
	s_waitcnt vmcnt(2) lgkmcnt(0)
	v_mul_f64 v[18:19], v[12:13], v[14:15]
	v_mul_f64 v[14:15], v[10:11], v[14:15]
	s_waitcnt vmcnt(0)
	v_fma_f64 v[10:11], v[10:11], v[16:17], -v[18:19]
	v_fma_f64 v[12:13], v[12:13], v[16:17], v[14:15]
	v_add_f64 v[3:4], v[3:4], v[10:11]
	v_add_f64 v[1:2], v[1:2], v[12:13]
	s_andn2_b32 exec_lo, exec_lo, s5
	s_cbranch_execnz .LBB63_185
; %bb.186:
	s_or_b32 exec_lo, exec_lo, s5
	v_mov_b32_e32 v7, 0
	ds_read_b128 v[7:10], v7 offset:640
	s_waitcnt lgkmcnt(0)
	v_mul_f64 v[11:12], v[1:2], v[9:10]
	v_mul_f64 v[9:10], v[3:4], v[9:10]
	v_fma_f64 v[3:4], v[3:4], v[7:8], -v[11:12]
	v_fma_f64 v[1:2], v[1:2], v[7:8], v[9:10]
	buffer_store_dword v4, off, s[0:3], 0 offset:660
	buffer_store_dword v3, off, s[0:3], 0 offset:656
	;; [unrolled: 1-line block ×4, first 2 shown]
.LBB63_187:
	s_or_b32 exec_lo, exec_lo, s4
	v_mov_b32_e32 v4, s37
	s_waitcnt_vscnt null, 0x0
	s_barrier
	buffer_gl0_inv
	s_mov_b32 s4, exec_lo
	s_clause 0x3
	buffer_load_dword v1, v4, s[0:3], 0 offen
	buffer_load_dword v2, v4, s[0:3], 0 offen offset:4
	buffer_load_dword v3, v4, s[0:3], 0 offen offset:8
	;; [unrolled: 1-line block ×3, first 2 shown]
	s_waitcnt vmcnt(0)
	ds_write_b128 v5, v[1:4]
	s_waitcnt lgkmcnt(0)
	s_barrier
	buffer_gl0_inv
	v_cmpx_gt_u32_e32 41, v0
	s_cbranch_execz .LBB63_191
; %bb.188:
	v_mov_b32_e32 v1, 0
	v_mov_b32_e32 v3, 0
	v_add_nc_u32_e32 v7, -1, v0
	v_or_b32_e32 v8, 0x400, v231
	v_mov_b32_e32 v2, 0
	v_mov_b32_e32 v4, 0
	v_add_nc_u32_e32 v9, 16, v231
	s_mov_b32 s5, 0
	.p2align	6
.LBB63_189:                             ; =>This Inner Loop Header: Depth=1
	s_clause 0x3
	buffer_load_dword v14, v9, s[0:3], 0 offen offset:8
	buffer_load_dword v15, v9, s[0:3], 0 offen offset:12
	buffer_load_dword v16, v9, s[0:3], 0 offen
	buffer_load_dword v17, v9, s[0:3], 0 offen offset:4
	ds_read_b128 v[10:13], v8
	v_add_nc_u32_e32 v7, 1, v7
	v_add_nc_u32_e32 v8, 16, v8
	;; [unrolled: 1-line block ×3, first 2 shown]
	v_cmp_lt_u32_e32 vcc_lo, 39, v7
	s_or_b32 s5, vcc_lo, s5
	s_waitcnt vmcnt(2) lgkmcnt(0)
	v_mul_f64 v[18:19], v[12:13], v[14:15]
	v_mul_f64 v[14:15], v[10:11], v[14:15]
	s_waitcnt vmcnt(0)
	v_fma_f64 v[10:11], v[10:11], v[16:17], -v[18:19]
	v_fma_f64 v[12:13], v[12:13], v[16:17], v[14:15]
	v_add_f64 v[3:4], v[3:4], v[10:11]
	v_add_f64 v[1:2], v[1:2], v[12:13]
	s_andn2_b32 exec_lo, exec_lo, s5
	s_cbranch_execnz .LBB63_189
; %bb.190:
	s_or_b32 exec_lo, exec_lo, s5
	v_mov_b32_e32 v7, 0
	ds_read_b128 v[7:10], v7 offset:656
	s_waitcnt lgkmcnt(0)
	v_mul_f64 v[11:12], v[1:2], v[9:10]
	v_mul_f64 v[9:10], v[3:4], v[9:10]
	v_fma_f64 v[3:4], v[3:4], v[7:8], -v[11:12]
	v_fma_f64 v[1:2], v[1:2], v[7:8], v[9:10]
	buffer_store_dword v4, off, s[0:3], 0 offset:676
	buffer_store_dword v3, off, s[0:3], 0 offset:672
	;; [unrolled: 1-line block ×4, first 2 shown]
.LBB63_191:
	s_or_b32 exec_lo, exec_lo, s4
	v_mov_b32_e32 v4, s36
	s_waitcnt_vscnt null, 0x0
	s_barrier
	buffer_gl0_inv
	s_mov_b32 s4, exec_lo
	s_clause 0x3
	buffer_load_dword v1, v4, s[0:3], 0 offen
	buffer_load_dword v2, v4, s[0:3], 0 offen offset:4
	buffer_load_dword v3, v4, s[0:3], 0 offen offset:8
	;; [unrolled: 1-line block ×3, first 2 shown]
	s_waitcnt vmcnt(0)
	ds_write_b128 v5, v[1:4]
	s_waitcnt lgkmcnt(0)
	s_barrier
	buffer_gl0_inv
	v_cmpx_gt_u32_e32 42, v0
	s_cbranch_execz .LBB63_195
; %bb.192:
	v_mov_b32_e32 v1, 0
	v_mov_b32_e32 v3, 0
	v_add_nc_u32_e32 v7, -1, v0
	v_or_b32_e32 v8, 0x400, v231
	v_mov_b32_e32 v2, 0
	v_mov_b32_e32 v4, 0
	v_add_nc_u32_e32 v9, 16, v231
	s_mov_b32 s5, 0
	.p2align	6
.LBB63_193:                             ; =>This Inner Loop Header: Depth=1
	s_clause 0x3
	buffer_load_dword v14, v9, s[0:3], 0 offen offset:8
	buffer_load_dword v15, v9, s[0:3], 0 offen offset:12
	buffer_load_dword v16, v9, s[0:3], 0 offen
	buffer_load_dword v17, v9, s[0:3], 0 offen offset:4
	ds_read_b128 v[10:13], v8
	v_add_nc_u32_e32 v7, 1, v7
	v_add_nc_u32_e32 v8, 16, v8
	;; [unrolled: 1-line block ×3, first 2 shown]
	v_cmp_lt_u32_e32 vcc_lo, 40, v7
	s_or_b32 s5, vcc_lo, s5
	s_waitcnt vmcnt(2) lgkmcnt(0)
	v_mul_f64 v[18:19], v[12:13], v[14:15]
	v_mul_f64 v[14:15], v[10:11], v[14:15]
	s_waitcnt vmcnt(0)
	v_fma_f64 v[10:11], v[10:11], v[16:17], -v[18:19]
	v_fma_f64 v[12:13], v[12:13], v[16:17], v[14:15]
	v_add_f64 v[3:4], v[3:4], v[10:11]
	v_add_f64 v[1:2], v[1:2], v[12:13]
	s_andn2_b32 exec_lo, exec_lo, s5
	s_cbranch_execnz .LBB63_193
; %bb.194:
	s_or_b32 exec_lo, exec_lo, s5
	v_mov_b32_e32 v7, 0
	ds_read_b128 v[7:10], v7 offset:672
	s_waitcnt lgkmcnt(0)
	v_mul_f64 v[11:12], v[1:2], v[9:10]
	v_mul_f64 v[9:10], v[3:4], v[9:10]
	v_fma_f64 v[3:4], v[3:4], v[7:8], -v[11:12]
	v_fma_f64 v[1:2], v[1:2], v[7:8], v[9:10]
	buffer_store_dword v4, off, s[0:3], 0 offset:692
	buffer_store_dword v3, off, s[0:3], 0 offset:688
	;; [unrolled: 1-line block ×4, first 2 shown]
.LBB63_195:
	s_or_b32 exec_lo, exec_lo, s4
	v_mov_b32_e32 v4, s35
	s_waitcnt_vscnt null, 0x0
	s_barrier
	buffer_gl0_inv
	s_mov_b32 s4, exec_lo
	s_clause 0x3
	buffer_load_dword v1, v4, s[0:3], 0 offen
	buffer_load_dword v2, v4, s[0:3], 0 offen offset:4
	buffer_load_dword v3, v4, s[0:3], 0 offen offset:8
	;; [unrolled: 1-line block ×3, first 2 shown]
	s_waitcnt vmcnt(0)
	ds_write_b128 v5, v[1:4]
	s_waitcnt lgkmcnt(0)
	s_barrier
	buffer_gl0_inv
	v_cmpx_gt_u32_e32 43, v0
	s_cbranch_execz .LBB63_199
; %bb.196:
	v_mov_b32_e32 v1, 0
	v_mov_b32_e32 v3, 0
	v_add_nc_u32_e32 v7, -1, v0
	v_or_b32_e32 v8, 0x400, v231
	v_mov_b32_e32 v2, 0
	v_mov_b32_e32 v4, 0
	v_add_nc_u32_e32 v9, 16, v231
	s_mov_b32 s5, 0
	.p2align	6
.LBB63_197:                             ; =>This Inner Loop Header: Depth=1
	s_clause 0x3
	buffer_load_dword v14, v9, s[0:3], 0 offen offset:8
	buffer_load_dword v15, v9, s[0:3], 0 offen offset:12
	buffer_load_dword v16, v9, s[0:3], 0 offen
	buffer_load_dword v17, v9, s[0:3], 0 offen offset:4
	ds_read_b128 v[10:13], v8
	v_add_nc_u32_e32 v7, 1, v7
	v_add_nc_u32_e32 v8, 16, v8
	;; [unrolled: 1-line block ×3, first 2 shown]
	v_cmp_lt_u32_e32 vcc_lo, 41, v7
	s_or_b32 s5, vcc_lo, s5
	s_waitcnt vmcnt(2) lgkmcnt(0)
	v_mul_f64 v[18:19], v[12:13], v[14:15]
	v_mul_f64 v[14:15], v[10:11], v[14:15]
	s_waitcnt vmcnt(0)
	v_fma_f64 v[10:11], v[10:11], v[16:17], -v[18:19]
	v_fma_f64 v[12:13], v[12:13], v[16:17], v[14:15]
	v_add_f64 v[3:4], v[3:4], v[10:11]
	v_add_f64 v[1:2], v[1:2], v[12:13]
	s_andn2_b32 exec_lo, exec_lo, s5
	s_cbranch_execnz .LBB63_197
; %bb.198:
	s_or_b32 exec_lo, exec_lo, s5
	v_mov_b32_e32 v7, 0
	ds_read_b128 v[7:10], v7 offset:688
	s_waitcnt lgkmcnt(0)
	v_mul_f64 v[11:12], v[1:2], v[9:10]
	v_mul_f64 v[9:10], v[3:4], v[9:10]
	v_fma_f64 v[3:4], v[3:4], v[7:8], -v[11:12]
	v_fma_f64 v[1:2], v[1:2], v[7:8], v[9:10]
	buffer_store_dword v4, off, s[0:3], 0 offset:708
	buffer_store_dword v3, off, s[0:3], 0 offset:704
	;; [unrolled: 1-line block ×4, first 2 shown]
.LBB63_199:
	s_or_b32 exec_lo, exec_lo, s4
	v_mov_b32_e32 v4, s34
	s_waitcnt_vscnt null, 0x0
	s_barrier
	buffer_gl0_inv
	s_mov_b32 s4, exec_lo
	s_clause 0x3
	buffer_load_dword v1, v4, s[0:3], 0 offen
	buffer_load_dword v2, v4, s[0:3], 0 offen offset:4
	buffer_load_dword v3, v4, s[0:3], 0 offen offset:8
	;; [unrolled: 1-line block ×3, first 2 shown]
	s_waitcnt vmcnt(0)
	ds_write_b128 v5, v[1:4]
	s_waitcnt lgkmcnt(0)
	s_barrier
	buffer_gl0_inv
	v_cmpx_gt_u32_e32 44, v0
	s_cbranch_execz .LBB63_203
; %bb.200:
	v_mov_b32_e32 v1, 0
	v_mov_b32_e32 v3, 0
	v_add_nc_u32_e32 v7, -1, v0
	v_or_b32_e32 v8, 0x400, v231
	v_mov_b32_e32 v2, 0
	v_mov_b32_e32 v4, 0
	v_add_nc_u32_e32 v9, 16, v231
	s_mov_b32 s5, 0
	.p2align	6
.LBB63_201:                             ; =>This Inner Loop Header: Depth=1
	s_clause 0x3
	buffer_load_dword v14, v9, s[0:3], 0 offen offset:8
	buffer_load_dword v15, v9, s[0:3], 0 offen offset:12
	buffer_load_dword v16, v9, s[0:3], 0 offen
	buffer_load_dword v17, v9, s[0:3], 0 offen offset:4
	ds_read_b128 v[10:13], v8
	v_add_nc_u32_e32 v7, 1, v7
	v_add_nc_u32_e32 v8, 16, v8
	;; [unrolled: 1-line block ×3, first 2 shown]
	v_cmp_lt_u32_e32 vcc_lo, 42, v7
	s_or_b32 s5, vcc_lo, s5
	s_waitcnt vmcnt(2) lgkmcnt(0)
	v_mul_f64 v[18:19], v[12:13], v[14:15]
	v_mul_f64 v[14:15], v[10:11], v[14:15]
	s_waitcnt vmcnt(0)
	v_fma_f64 v[10:11], v[10:11], v[16:17], -v[18:19]
	v_fma_f64 v[12:13], v[12:13], v[16:17], v[14:15]
	v_add_f64 v[3:4], v[3:4], v[10:11]
	v_add_f64 v[1:2], v[1:2], v[12:13]
	s_andn2_b32 exec_lo, exec_lo, s5
	s_cbranch_execnz .LBB63_201
; %bb.202:
	s_or_b32 exec_lo, exec_lo, s5
	v_mov_b32_e32 v7, 0
	ds_read_b128 v[7:10], v7 offset:704
	s_waitcnt lgkmcnt(0)
	v_mul_f64 v[11:12], v[1:2], v[9:10]
	v_mul_f64 v[9:10], v[3:4], v[9:10]
	v_fma_f64 v[3:4], v[3:4], v[7:8], -v[11:12]
	v_fma_f64 v[1:2], v[1:2], v[7:8], v[9:10]
	buffer_store_dword v4, off, s[0:3], 0 offset:724
	buffer_store_dword v3, off, s[0:3], 0 offset:720
	buffer_store_dword v2, off, s[0:3], 0 offset:732
	buffer_store_dword v1, off, s[0:3], 0 offset:728
.LBB63_203:
	s_or_b32 exec_lo, exec_lo, s4
	v_mov_b32_e32 v4, s33
	s_waitcnt_vscnt null, 0x0
	s_barrier
	buffer_gl0_inv
	s_mov_b32 s4, exec_lo
	s_clause 0x3
	buffer_load_dword v1, v4, s[0:3], 0 offen
	buffer_load_dword v2, v4, s[0:3], 0 offen offset:4
	buffer_load_dword v3, v4, s[0:3], 0 offen offset:8
	;; [unrolled: 1-line block ×3, first 2 shown]
	s_waitcnt vmcnt(0)
	ds_write_b128 v5, v[1:4]
	s_waitcnt lgkmcnt(0)
	s_barrier
	buffer_gl0_inv
	v_cmpx_gt_u32_e32 45, v0
	s_cbranch_execz .LBB63_207
; %bb.204:
	v_mov_b32_e32 v1, 0
	v_mov_b32_e32 v3, 0
	v_add_nc_u32_e32 v7, -1, v0
	v_or_b32_e32 v8, 0x400, v231
	v_mov_b32_e32 v2, 0
	v_mov_b32_e32 v4, 0
	v_add_nc_u32_e32 v9, 16, v231
	s_mov_b32 s5, 0
	.p2align	6
.LBB63_205:                             ; =>This Inner Loop Header: Depth=1
	s_clause 0x3
	buffer_load_dword v14, v9, s[0:3], 0 offen offset:8
	buffer_load_dword v15, v9, s[0:3], 0 offen offset:12
	buffer_load_dword v16, v9, s[0:3], 0 offen
	buffer_load_dword v17, v9, s[0:3], 0 offen offset:4
	ds_read_b128 v[10:13], v8
	v_add_nc_u32_e32 v7, 1, v7
	v_add_nc_u32_e32 v8, 16, v8
	;; [unrolled: 1-line block ×3, first 2 shown]
	v_cmp_lt_u32_e32 vcc_lo, 43, v7
	s_or_b32 s5, vcc_lo, s5
	s_waitcnt vmcnt(2) lgkmcnt(0)
	v_mul_f64 v[18:19], v[12:13], v[14:15]
	v_mul_f64 v[14:15], v[10:11], v[14:15]
	s_waitcnt vmcnt(0)
	v_fma_f64 v[10:11], v[10:11], v[16:17], -v[18:19]
	v_fma_f64 v[12:13], v[12:13], v[16:17], v[14:15]
	v_add_f64 v[3:4], v[3:4], v[10:11]
	v_add_f64 v[1:2], v[1:2], v[12:13]
	s_andn2_b32 exec_lo, exec_lo, s5
	s_cbranch_execnz .LBB63_205
; %bb.206:
	s_or_b32 exec_lo, exec_lo, s5
	v_mov_b32_e32 v7, 0
	ds_read_b128 v[7:10], v7 offset:720
	s_waitcnt lgkmcnt(0)
	v_mul_f64 v[11:12], v[1:2], v[9:10]
	v_mul_f64 v[9:10], v[3:4], v[9:10]
	v_fma_f64 v[3:4], v[3:4], v[7:8], -v[11:12]
	v_fma_f64 v[1:2], v[1:2], v[7:8], v[9:10]
	buffer_store_dword v4, off, s[0:3], 0 offset:740
	buffer_store_dword v3, off, s[0:3], 0 offset:736
	buffer_store_dword v2, off, s[0:3], 0 offset:748
	buffer_store_dword v1, off, s[0:3], 0 offset:744
.LBB63_207:
	s_or_b32 exec_lo, exec_lo, s4
	v_mov_b32_e32 v4, s31
	s_waitcnt_vscnt null, 0x0
	s_barrier
	buffer_gl0_inv
	s_mov_b32 s4, exec_lo
	s_clause 0x3
	buffer_load_dword v1, v4, s[0:3], 0 offen
	buffer_load_dword v2, v4, s[0:3], 0 offen offset:4
	buffer_load_dword v3, v4, s[0:3], 0 offen offset:8
	buffer_load_dword v4, v4, s[0:3], 0 offen offset:12
	s_waitcnt vmcnt(0)
	ds_write_b128 v5, v[1:4]
	s_waitcnt lgkmcnt(0)
	s_barrier
	buffer_gl0_inv
	v_cmpx_gt_u32_e32 46, v0
	s_cbranch_execz .LBB63_211
; %bb.208:
	v_mov_b32_e32 v1, 0
	v_mov_b32_e32 v3, 0
	v_add_nc_u32_e32 v7, -1, v0
	v_or_b32_e32 v8, 0x400, v231
	v_mov_b32_e32 v2, 0
	v_mov_b32_e32 v4, 0
	v_add_nc_u32_e32 v9, 16, v231
	s_mov_b32 s5, 0
	.p2align	6
.LBB63_209:                             ; =>This Inner Loop Header: Depth=1
	s_clause 0x3
	buffer_load_dword v14, v9, s[0:3], 0 offen offset:8
	buffer_load_dword v15, v9, s[0:3], 0 offen offset:12
	buffer_load_dword v16, v9, s[0:3], 0 offen
	buffer_load_dword v17, v9, s[0:3], 0 offen offset:4
	ds_read_b128 v[10:13], v8
	v_add_nc_u32_e32 v7, 1, v7
	v_add_nc_u32_e32 v8, 16, v8
	;; [unrolled: 1-line block ×3, first 2 shown]
	v_cmp_lt_u32_e32 vcc_lo, 44, v7
	s_or_b32 s5, vcc_lo, s5
	s_waitcnt vmcnt(2) lgkmcnt(0)
	v_mul_f64 v[18:19], v[12:13], v[14:15]
	v_mul_f64 v[14:15], v[10:11], v[14:15]
	s_waitcnt vmcnt(0)
	v_fma_f64 v[10:11], v[10:11], v[16:17], -v[18:19]
	v_fma_f64 v[12:13], v[12:13], v[16:17], v[14:15]
	v_add_f64 v[3:4], v[3:4], v[10:11]
	v_add_f64 v[1:2], v[1:2], v[12:13]
	s_andn2_b32 exec_lo, exec_lo, s5
	s_cbranch_execnz .LBB63_209
; %bb.210:
	s_or_b32 exec_lo, exec_lo, s5
	v_mov_b32_e32 v7, 0
	ds_read_b128 v[7:10], v7 offset:736
	s_waitcnt lgkmcnt(0)
	v_mul_f64 v[11:12], v[1:2], v[9:10]
	v_mul_f64 v[9:10], v[3:4], v[9:10]
	v_fma_f64 v[3:4], v[3:4], v[7:8], -v[11:12]
	v_fma_f64 v[1:2], v[1:2], v[7:8], v[9:10]
	buffer_store_dword v4, off, s[0:3], 0 offset:756
	buffer_store_dword v3, off, s[0:3], 0 offset:752
	;; [unrolled: 1-line block ×4, first 2 shown]
.LBB63_211:
	s_or_b32 exec_lo, exec_lo, s4
	v_mov_b32_e32 v4, s30
	s_waitcnt_vscnt null, 0x0
	s_barrier
	buffer_gl0_inv
	s_mov_b32 s4, exec_lo
	s_clause 0x3
	buffer_load_dword v1, v4, s[0:3], 0 offen
	buffer_load_dword v2, v4, s[0:3], 0 offen offset:4
	buffer_load_dword v3, v4, s[0:3], 0 offen offset:8
	;; [unrolled: 1-line block ×3, first 2 shown]
	s_waitcnt vmcnt(0)
	ds_write_b128 v5, v[1:4]
	s_waitcnt lgkmcnt(0)
	s_barrier
	buffer_gl0_inv
	v_cmpx_gt_u32_e32 47, v0
	s_cbranch_execz .LBB63_215
; %bb.212:
	v_mov_b32_e32 v1, 0
	v_mov_b32_e32 v3, 0
	v_add_nc_u32_e32 v7, -1, v0
	v_or_b32_e32 v8, 0x400, v231
	v_mov_b32_e32 v2, 0
	v_mov_b32_e32 v4, 0
	v_add_nc_u32_e32 v9, 16, v231
	s_mov_b32 s5, 0
	.p2align	6
.LBB63_213:                             ; =>This Inner Loop Header: Depth=1
	s_clause 0x3
	buffer_load_dword v14, v9, s[0:3], 0 offen offset:8
	buffer_load_dword v15, v9, s[0:3], 0 offen offset:12
	buffer_load_dword v16, v9, s[0:3], 0 offen
	buffer_load_dword v17, v9, s[0:3], 0 offen offset:4
	ds_read_b128 v[10:13], v8
	v_add_nc_u32_e32 v7, 1, v7
	v_add_nc_u32_e32 v8, 16, v8
	;; [unrolled: 1-line block ×3, first 2 shown]
	v_cmp_lt_u32_e32 vcc_lo, 45, v7
	s_or_b32 s5, vcc_lo, s5
	s_waitcnt vmcnt(2) lgkmcnt(0)
	v_mul_f64 v[18:19], v[12:13], v[14:15]
	v_mul_f64 v[14:15], v[10:11], v[14:15]
	s_waitcnt vmcnt(0)
	v_fma_f64 v[10:11], v[10:11], v[16:17], -v[18:19]
	v_fma_f64 v[12:13], v[12:13], v[16:17], v[14:15]
	v_add_f64 v[3:4], v[3:4], v[10:11]
	v_add_f64 v[1:2], v[1:2], v[12:13]
	s_andn2_b32 exec_lo, exec_lo, s5
	s_cbranch_execnz .LBB63_213
; %bb.214:
	s_or_b32 exec_lo, exec_lo, s5
	v_mov_b32_e32 v7, 0
	ds_read_b128 v[7:10], v7 offset:752
	s_waitcnt lgkmcnt(0)
	v_mul_f64 v[11:12], v[1:2], v[9:10]
	v_mul_f64 v[9:10], v[3:4], v[9:10]
	v_fma_f64 v[3:4], v[3:4], v[7:8], -v[11:12]
	v_fma_f64 v[1:2], v[1:2], v[7:8], v[9:10]
	buffer_store_dword v4, off, s[0:3], 0 offset:772
	buffer_store_dword v3, off, s[0:3], 0 offset:768
	;; [unrolled: 1-line block ×4, first 2 shown]
.LBB63_215:
	s_or_b32 exec_lo, exec_lo, s4
	v_mov_b32_e32 v4, s29
	s_waitcnt_vscnt null, 0x0
	s_barrier
	buffer_gl0_inv
	s_mov_b32 s4, exec_lo
	s_clause 0x3
	buffer_load_dword v1, v4, s[0:3], 0 offen
	buffer_load_dword v2, v4, s[0:3], 0 offen offset:4
	buffer_load_dword v3, v4, s[0:3], 0 offen offset:8
	;; [unrolled: 1-line block ×3, first 2 shown]
	s_waitcnt vmcnt(0)
	ds_write_b128 v5, v[1:4]
	s_waitcnt lgkmcnt(0)
	s_barrier
	buffer_gl0_inv
	v_cmpx_gt_u32_e32 48, v0
	s_cbranch_execz .LBB63_219
; %bb.216:
	v_mov_b32_e32 v1, 0
	v_mov_b32_e32 v3, 0
	v_add_nc_u32_e32 v7, -1, v0
	v_or_b32_e32 v8, 0x400, v231
	v_mov_b32_e32 v2, 0
	v_mov_b32_e32 v4, 0
	v_add_nc_u32_e32 v9, 16, v231
	s_mov_b32 s5, 0
	.p2align	6
.LBB63_217:                             ; =>This Inner Loop Header: Depth=1
	s_clause 0x3
	buffer_load_dword v14, v9, s[0:3], 0 offen offset:8
	buffer_load_dword v15, v9, s[0:3], 0 offen offset:12
	buffer_load_dword v16, v9, s[0:3], 0 offen
	buffer_load_dword v17, v9, s[0:3], 0 offen offset:4
	ds_read_b128 v[10:13], v8
	v_add_nc_u32_e32 v7, 1, v7
	v_add_nc_u32_e32 v8, 16, v8
	;; [unrolled: 1-line block ×3, first 2 shown]
	v_cmp_lt_u32_e32 vcc_lo, 46, v7
	s_or_b32 s5, vcc_lo, s5
	s_waitcnt vmcnt(2) lgkmcnt(0)
	v_mul_f64 v[18:19], v[12:13], v[14:15]
	v_mul_f64 v[14:15], v[10:11], v[14:15]
	s_waitcnt vmcnt(0)
	v_fma_f64 v[10:11], v[10:11], v[16:17], -v[18:19]
	v_fma_f64 v[12:13], v[12:13], v[16:17], v[14:15]
	v_add_f64 v[3:4], v[3:4], v[10:11]
	v_add_f64 v[1:2], v[1:2], v[12:13]
	s_andn2_b32 exec_lo, exec_lo, s5
	s_cbranch_execnz .LBB63_217
; %bb.218:
	s_or_b32 exec_lo, exec_lo, s5
	v_mov_b32_e32 v7, 0
	ds_read_b128 v[7:10], v7 offset:768
	s_waitcnt lgkmcnt(0)
	v_mul_f64 v[11:12], v[1:2], v[9:10]
	v_mul_f64 v[9:10], v[3:4], v[9:10]
	v_fma_f64 v[3:4], v[3:4], v[7:8], -v[11:12]
	v_fma_f64 v[1:2], v[1:2], v[7:8], v[9:10]
	buffer_store_dword v4, off, s[0:3], 0 offset:788
	buffer_store_dword v3, off, s[0:3], 0 offset:784
	;; [unrolled: 1-line block ×4, first 2 shown]
.LBB63_219:
	s_or_b32 exec_lo, exec_lo, s4
	v_mov_b32_e32 v4, s28
	s_waitcnt_vscnt null, 0x0
	s_barrier
	buffer_gl0_inv
	s_mov_b32 s4, exec_lo
	s_clause 0x3
	buffer_load_dword v1, v4, s[0:3], 0 offen
	buffer_load_dword v2, v4, s[0:3], 0 offen offset:4
	buffer_load_dword v3, v4, s[0:3], 0 offen offset:8
	buffer_load_dword v4, v4, s[0:3], 0 offen offset:12
	s_waitcnt vmcnt(0)
	ds_write_b128 v5, v[1:4]
	s_waitcnt lgkmcnt(0)
	s_barrier
	buffer_gl0_inv
	v_cmpx_gt_u32_e32 49, v0
	s_cbranch_execz .LBB63_223
; %bb.220:
	v_mov_b32_e32 v1, 0
	v_mov_b32_e32 v3, 0
	v_add_nc_u32_e32 v7, -1, v0
	v_or_b32_e32 v8, 0x400, v231
	v_mov_b32_e32 v2, 0
	v_mov_b32_e32 v4, 0
	v_add_nc_u32_e32 v9, 16, v231
	s_mov_b32 s5, 0
	.p2align	6
.LBB63_221:                             ; =>This Inner Loop Header: Depth=1
	s_clause 0x3
	buffer_load_dword v14, v9, s[0:3], 0 offen offset:8
	buffer_load_dword v15, v9, s[0:3], 0 offen offset:12
	buffer_load_dword v16, v9, s[0:3], 0 offen
	buffer_load_dword v17, v9, s[0:3], 0 offen offset:4
	ds_read_b128 v[10:13], v8
	v_add_nc_u32_e32 v7, 1, v7
	v_add_nc_u32_e32 v8, 16, v8
	;; [unrolled: 1-line block ×3, first 2 shown]
	v_cmp_lt_u32_e32 vcc_lo, 47, v7
	s_or_b32 s5, vcc_lo, s5
	s_waitcnt vmcnt(2) lgkmcnt(0)
	v_mul_f64 v[18:19], v[12:13], v[14:15]
	v_mul_f64 v[14:15], v[10:11], v[14:15]
	s_waitcnt vmcnt(0)
	v_fma_f64 v[10:11], v[10:11], v[16:17], -v[18:19]
	v_fma_f64 v[12:13], v[12:13], v[16:17], v[14:15]
	v_add_f64 v[3:4], v[3:4], v[10:11]
	v_add_f64 v[1:2], v[1:2], v[12:13]
	s_andn2_b32 exec_lo, exec_lo, s5
	s_cbranch_execnz .LBB63_221
; %bb.222:
	s_or_b32 exec_lo, exec_lo, s5
	v_mov_b32_e32 v7, 0
	ds_read_b128 v[7:10], v7 offset:784
	s_waitcnt lgkmcnt(0)
	v_mul_f64 v[11:12], v[1:2], v[9:10]
	v_mul_f64 v[9:10], v[3:4], v[9:10]
	v_fma_f64 v[3:4], v[3:4], v[7:8], -v[11:12]
	v_fma_f64 v[1:2], v[1:2], v[7:8], v[9:10]
	buffer_store_dword v4, off, s[0:3], 0 offset:804
	buffer_store_dword v3, off, s[0:3], 0 offset:800
	;; [unrolled: 1-line block ×4, first 2 shown]
.LBB63_223:
	s_or_b32 exec_lo, exec_lo, s4
	v_mov_b32_e32 v4, s27
	s_waitcnt_vscnt null, 0x0
	s_barrier
	buffer_gl0_inv
	s_mov_b32 s4, exec_lo
	s_clause 0x3
	buffer_load_dword v1, v4, s[0:3], 0 offen
	buffer_load_dword v2, v4, s[0:3], 0 offen offset:4
	buffer_load_dword v3, v4, s[0:3], 0 offen offset:8
	;; [unrolled: 1-line block ×3, first 2 shown]
	s_waitcnt vmcnt(0)
	ds_write_b128 v5, v[1:4]
	s_waitcnt lgkmcnt(0)
	s_barrier
	buffer_gl0_inv
	v_cmpx_gt_u32_e32 50, v0
	s_cbranch_execz .LBB63_227
; %bb.224:
	v_mov_b32_e32 v1, 0
	v_mov_b32_e32 v3, 0
	v_add_nc_u32_e32 v7, -1, v0
	v_or_b32_e32 v8, 0x400, v231
	v_mov_b32_e32 v2, 0
	v_mov_b32_e32 v4, 0
	v_add_nc_u32_e32 v9, 16, v231
	s_mov_b32 s5, 0
	.p2align	6
.LBB63_225:                             ; =>This Inner Loop Header: Depth=1
	s_clause 0x3
	buffer_load_dword v14, v9, s[0:3], 0 offen offset:8
	buffer_load_dword v15, v9, s[0:3], 0 offen offset:12
	buffer_load_dword v16, v9, s[0:3], 0 offen
	buffer_load_dword v17, v9, s[0:3], 0 offen offset:4
	ds_read_b128 v[10:13], v8
	v_add_nc_u32_e32 v7, 1, v7
	v_add_nc_u32_e32 v8, 16, v8
	;; [unrolled: 1-line block ×3, first 2 shown]
	v_cmp_lt_u32_e32 vcc_lo, 48, v7
	s_or_b32 s5, vcc_lo, s5
	s_waitcnt vmcnt(2) lgkmcnt(0)
	v_mul_f64 v[18:19], v[12:13], v[14:15]
	v_mul_f64 v[14:15], v[10:11], v[14:15]
	s_waitcnt vmcnt(0)
	v_fma_f64 v[10:11], v[10:11], v[16:17], -v[18:19]
	v_fma_f64 v[12:13], v[12:13], v[16:17], v[14:15]
	v_add_f64 v[3:4], v[3:4], v[10:11]
	v_add_f64 v[1:2], v[1:2], v[12:13]
	s_andn2_b32 exec_lo, exec_lo, s5
	s_cbranch_execnz .LBB63_225
; %bb.226:
	s_or_b32 exec_lo, exec_lo, s5
	v_mov_b32_e32 v7, 0
	ds_read_b128 v[7:10], v7 offset:800
	s_waitcnt lgkmcnt(0)
	v_mul_f64 v[11:12], v[1:2], v[9:10]
	v_mul_f64 v[9:10], v[3:4], v[9:10]
	v_fma_f64 v[3:4], v[3:4], v[7:8], -v[11:12]
	v_fma_f64 v[1:2], v[1:2], v[7:8], v[9:10]
	buffer_store_dword v4, off, s[0:3], 0 offset:820
	buffer_store_dword v3, off, s[0:3], 0 offset:816
	;; [unrolled: 1-line block ×4, first 2 shown]
.LBB63_227:
	s_or_b32 exec_lo, exec_lo, s4
	v_mov_b32_e32 v4, s26
	s_waitcnt_vscnt null, 0x0
	s_barrier
	buffer_gl0_inv
	s_mov_b32 s4, exec_lo
	s_clause 0x3
	buffer_load_dword v1, v4, s[0:3], 0 offen
	buffer_load_dword v2, v4, s[0:3], 0 offen offset:4
	buffer_load_dword v3, v4, s[0:3], 0 offen offset:8
	;; [unrolled: 1-line block ×3, first 2 shown]
	s_waitcnt vmcnt(0)
	ds_write_b128 v5, v[1:4]
	s_waitcnt lgkmcnt(0)
	s_barrier
	buffer_gl0_inv
	v_cmpx_gt_u32_e32 51, v0
	s_cbranch_execz .LBB63_231
; %bb.228:
	v_mov_b32_e32 v1, 0
	v_mov_b32_e32 v3, 0
	v_add_nc_u32_e32 v7, -1, v0
	v_or_b32_e32 v8, 0x400, v231
	v_mov_b32_e32 v2, 0
	v_mov_b32_e32 v4, 0
	v_add_nc_u32_e32 v9, 16, v231
	s_mov_b32 s5, 0
	.p2align	6
.LBB63_229:                             ; =>This Inner Loop Header: Depth=1
	s_clause 0x3
	buffer_load_dword v14, v9, s[0:3], 0 offen offset:8
	buffer_load_dword v15, v9, s[0:3], 0 offen offset:12
	buffer_load_dword v16, v9, s[0:3], 0 offen
	buffer_load_dword v17, v9, s[0:3], 0 offen offset:4
	ds_read_b128 v[10:13], v8
	v_add_nc_u32_e32 v7, 1, v7
	v_add_nc_u32_e32 v8, 16, v8
	;; [unrolled: 1-line block ×3, first 2 shown]
	v_cmp_lt_u32_e32 vcc_lo, 49, v7
	s_or_b32 s5, vcc_lo, s5
	s_waitcnt vmcnt(2) lgkmcnt(0)
	v_mul_f64 v[18:19], v[12:13], v[14:15]
	v_mul_f64 v[14:15], v[10:11], v[14:15]
	s_waitcnt vmcnt(0)
	v_fma_f64 v[10:11], v[10:11], v[16:17], -v[18:19]
	v_fma_f64 v[12:13], v[12:13], v[16:17], v[14:15]
	v_add_f64 v[3:4], v[3:4], v[10:11]
	v_add_f64 v[1:2], v[1:2], v[12:13]
	s_andn2_b32 exec_lo, exec_lo, s5
	s_cbranch_execnz .LBB63_229
; %bb.230:
	s_or_b32 exec_lo, exec_lo, s5
	v_mov_b32_e32 v7, 0
	ds_read_b128 v[7:10], v7 offset:816
	s_waitcnt lgkmcnt(0)
	v_mul_f64 v[11:12], v[1:2], v[9:10]
	v_mul_f64 v[9:10], v[3:4], v[9:10]
	v_fma_f64 v[3:4], v[3:4], v[7:8], -v[11:12]
	v_fma_f64 v[1:2], v[1:2], v[7:8], v[9:10]
	buffer_store_dword v4, off, s[0:3], 0 offset:836
	buffer_store_dword v3, off, s[0:3], 0 offset:832
	buffer_store_dword v2, off, s[0:3], 0 offset:844
	buffer_store_dword v1, off, s[0:3], 0 offset:840
.LBB63_231:
	s_or_b32 exec_lo, exec_lo, s4
	v_mov_b32_e32 v4, s25
	s_waitcnt_vscnt null, 0x0
	s_barrier
	buffer_gl0_inv
	s_mov_b32 s4, exec_lo
	s_clause 0x3
	buffer_load_dword v1, v4, s[0:3], 0 offen
	buffer_load_dword v2, v4, s[0:3], 0 offen offset:4
	buffer_load_dword v3, v4, s[0:3], 0 offen offset:8
	buffer_load_dword v4, v4, s[0:3], 0 offen offset:12
	s_waitcnt vmcnt(0)
	ds_write_b128 v5, v[1:4]
	s_waitcnt lgkmcnt(0)
	s_barrier
	buffer_gl0_inv
	v_cmpx_gt_u32_e32 52, v0
	s_cbranch_execz .LBB63_235
; %bb.232:
	v_mov_b32_e32 v1, 0
	v_mov_b32_e32 v3, 0
	v_add_nc_u32_e32 v7, -1, v0
	v_or_b32_e32 v8, 0x400, v231
	v_mov_b32_e32 v2, 0
	v_mov_b32_e32 v4, 0
	v_add_nc_u32_e32 v9, 16, v231
	s_mov_b32 s5, 0
	.p2align	6
.LBB63_233:                             ; =>This Inner Loop Header: Depth=1
	s_clause 0x3
	buffer_load_dword v14, v9, s[0:3], 0 offen offset:8
	buffer_load_dword v15, v9, s[0:3], 0 offen offset:12
	buffer_load_dword v16, v9, s[0:3], 0 offen
	buffer_load_dword v17, v9, s[0:3], 0 offen offset:4
	ds_read_b128 v[10:13], v8
	v_add_nc_u32_e32 v7, 1, v7
	v_add_nc_u32_e32 v8, 16, v8
	;; [unrolled: 1-line block ×3, first 2 shown]
	v_cmp_lt_u32_e32 vcc_lo, 50, v7
	s_or_b32 s5, vcc_lo, s5
	s_waitcnt vmcnt(2) lgkmcnt(0)
	v_mul_f64 v[18:19], v[12:13], v[14:15]
	v_mul_f64 v[14:15], v[10:11], v[14:15]
	s_waitcnt vmcnt(0)
	v_fma_f64 v[10:11], v[10:11], v[16:17], -v[18:19]
	v_fma_f64 v[12:13], v[12:13], v[16:17], v[14:15]
	v_add_f64 v[3:4], v[3:4], v[10:11]
	v_add_f64 v[1:2], v[1:2], v[12:13]
	s_andn2_b32 exec_lo, exec_lo, s5
	s_cbranch_execnz .LBB63_233
; %bb.234:
	s_or_b32 exec_lo, exec_lo, s5
	v_mov_b32_e32 v7, 0
	ds_read_b128 v[7:10], v7 offset:832
	s_waitcnt lgkmcnt(0)
	v_mul_f64 v[11:12], v[1:2], v[9:10]
	v_mul_f64 v[9:10], v[3:4], v[9:10]
	v_fma_f64 v[3:4], v[3:4], v[7:8], -v[11:12]
	v_fma_f64 v[1:2], v[1:2], v[7:8], v[9:10]
	buffer_store_dword v4, off, s[0:3], 0 offset:852
	buffer_store_dword v3, off, s[0:3], 0 offset:848
	;; [unrolled: 1-line block ×4, first 2 shown]
.LBB63_235:
	s_or_b32 exec_lo, exec_lo, s4
	v_mov_b32_e32 v4, s24
	s_waitcnt_vscnt null, 0x0
	s_barrier
	buffer_gl0_inv
	s_mov_b32 s4, exec_lo
	s_clause 0x3
	buffer_load_dword v1, v4, s[0:3], 0 offen
	buffer_load_dword v2, v4, s[0:3], 0 offen offset:4
	buffer_load_dword v3, v4, s[0:3], 0 offen offset:8
	;; [unrolled: 1-line block ×3, first 2 shown]
	s_waitcnt vmcnt(0)
	ds_write_b128 v5, v[1:4]
	s_waitcnt lgkmcnt(0)
	s_barrier
	buffer_gl0_inv
	v_cmpx_gt_u32_e32 53, v0
	s_cbranch_execz .LBB63_239
; %bb.236:
	v_mov_b32_e32 v1, 0
	v_mov_b32_e32 v3, 0
	v_add_nc_u32_e32 v7, -1, v0
	v_or_b32_e32 v8, 0x400, v231
	v_mov_b32_e32 v2, 0
	v_mov_b32_e32 v4, 0
	v_add_nc_u32_e32 v9, 16, v231
	s_mov_b32 s5, 0
	.p2align	6
.LBB63_237:                             ; =>This Inner Loop Header: Depth=1
	s_clause 0x3
	buffer_load_dword v14, v9, s[0:3], 0 offen offset:8
	buffer_load_dword v15, v9, s[0:3], 0 offen offset:12
	buffer_load_dword v16, v9, s[0:3], 0 offen
	buffer_load_dword v17, v9, s[0:3], 0 offen offset:4
	ds_read_b128 v[10:13], v8
	v_add_nc_u32_e32 v7, 1, v7
	v_add_nc_u32_e32 v8, 16, v8
	;; [unrolled: 1-line block ×3, first 2 shown]
	v_cmp_lt_u32_e32 vcc_lo, 51, v7
	s_or_b32 s5, vcc_lo, s5
	s_waitcnt vmcnt(2) lgkmcnt(0)
	v_mul_f64 v[18:19], v[12:13], v[14:15]
	v_mul_f64 v[14:15], v[10:11], v[14:15]
	s_waitcnt vmcnt(0)
	v_fma_f64 v[10:11], v[10:11], v[16:17], -v[18:19]
	v_fma_f64 v[12:13], v[12:13], v[16:17], v[14:15]
	v_add_f64 v[3:4], v[3:4], v[10:11]
	v_add_f64 v[1:2], v[1:2], v[12:13]
	s_andn2_b32 exec_lo, exec_lo, s5
	s_cbranch_execnz .LBB63_237
; %bb.238:
	s_or_b32 exec_lo, exec_lo, s5
	v_mov_b32_e32 v7, 0
	ds_read_b128 v[7:10], v7 offset:848
	s_waitcnt lgkmcnt(0)
	v_mul_f64 v[11:12], v[1:2], v[9:10]
	v_mul_f64 v[9:10], v[3:4], v[9:10]
	v_fma_f64 v[3:4], v[3:4], v[7:8], -v[11:12]
	v_fma_f64 v[1:2], v[1:2], v[7:8], v[9:10]
	buffer_store_dword v4, off, s[0:3], 0 offset:868
	buffer_store_dword v3, off, s[0:3], 0 offset:864
	;; [unrolled: 1-line block ×4, first 2 shown]
.LBB63_239:
	s_or_b32 exec_lo, exec_lo, s4
	v_mov_b32_e32 v4, s23
	s_waitcnt_vscnt null, 0x0
	s_barrier
	buffer_gl0_inv
	s_mov_b32 s4, exec_lo
	s_clause 0x3
	buffer_load_dword v1, v4, s[0:3], 0 offen
	buffer_load_dword v2, v4, s[0:3], 0 offen offset:4
	buffer_load_dword v3, v4, s[0:3], 0 offen offset:8
	;; [unrolled: 1-line block ×3, first 2 shown]
	s_waitcnt vmcnt(0)
	ds_write_b128 v5, v[1:4]
	s_waitcnt lgkmcnt(0)
	s_barrier
	buffer_gl0_inv
	v_cmpx_gt_u32_e32 54, v0
	s_cbranch_execz .LBB63_243
; %bb.240:
	v_mov_b32_e32 v1, 0
	v_mov_b32_e32 v3, 0
	v_add_nc_u32_e32 v7, -1, v0
	v_or_b32_e32 v8, 0x400, v231
	v_mov_b32_e32 v2, 0
	v_mov_b32_e32 v4, 0
	v_add_nc_u32_e32 v9, 16, v231
	s_mov_b32 s5, 0
	.p2align	6
.LBB63_241:                             ; =>This Inner Loop Header: Depth=1
	s_clause 0x3
	buffer_load_dword v14, v9, s[0:3], 0 offen offset:8
	buffer_load_dword v15, v9, s[0:3], 0 offen offset:12
	buffer_load_dword v16, v9, s[0:3], 0 offen
	buffer_load_dword v17, v9, s[0:3], 0 offen offset:4
	ds_read_b128 v[10:13], v8
	v_add_nc_u32_e32 v7, 1, v7
	v_add_nc_u32_e32 v8, 16, v8
	;; [unrolled: 1-line block ×3, first 2 shown]
	v_cmp_lt_u32_e32 vcc_lo, 52, v7
	s_or_b32 s5, vcc_lo, s5
	s_waitcnt vmcnt(2) lgkmcnt(0)
	v_mul_f64 v[18:19], v[12:13], v[14:15]
	v_mul_f64 v[14:15], v[10:11], v[14:15]
	s_waitcnt vmcnt(0)
	v_fma_f64 v[10:11], v[10:11], v[16:17], -v[18:19]
	v_fma_f64 v[12:13], v[12:13], v[16:17], v[14:15]
	v_add_f64 v[3:4], v[3:4], v[10:11]
	v_add_f64 v[1:2], v[1:2], v[12:13]
	s_andn2_b32 exec_lo, exec_lo, s5
	s_cbranch_execnz .LBB63_241
; %bb.242:
	s_or_b32 exec_lo, exec_lo, s5
	v_mov_b32_e32 v7, 0
	ds_read_b128 v[7:10], v7 offset:864
	s_waitcnt lgkmcnt(0)
	v_mul_f64 v[11:12], v[1:2], v[9:10]
	v_mul_f64 v[9:10], v[3:4], v[9:10]
	v_fma_f64 v[3:4], v[3:4], v[7:8], -v[11:12]
	v_fma_f64 v[1:2], v[1:2], v[7:8], v[9:10]
	buffer_store_dword v4, off, s[0:3], 0 offset:884
	buffer_store_dword v3, off, s[0:3], 0 offset:880
	;; [unrolled: 1-line block ×4, first 2 shown]
.LBB63_243:
	s_or_b32 exec_lo, exec_lo, s4
	v_mov_b32_e32 v4, s22
	s_waitcnt_vscnt null, 0x0
	s_barrier
	buffer_gl0_inv
	s_mov_b32 s4, exec_lo
	s_clause 0x3
	buffer_load_dword v1, v4, s[0:3], 0 offen
	buffer_load_dword v2, v4, s[0:3], 0 offen offset:4
	buffer_load_dword v3, v4, s[0:3], 0 offen offset:8
	;; [unrolled: 1-line block ×3, first 2 shown]
	s_waitcnt vmcnt(0)
	ds_write_b128 v5, v[1:4]
	s_waitcnt lgkmcnt(0)
	s_barrier
	buffer_gl0_inv
	v_cmpx_gt_u32_e32 55, v0
	s_cbranch_execz .LBB63_247
; %bb.244:
	v_mov_b32_e32 v1, 0
	v_mov_b32_e32 v3, 0
	v_add_nc_u32_e32 v7, -1, v0
	v_or_b32_e32 v8, 0x400, v231
	v_mov_b32_e32 v2, 0
	v_mov_b32_e32 v4, 0
	v_add_nc_u32_e32 v9, 16, v231
	s_mov_b32 s5, 0
	.p2align	6
.LBB63_245:                             ; =>This Inner Loop Header: Depth=1
	s_clause 0x3
	buffer_load_dword v14, v9, s[0:3], 0 offen offset:8
	buffer_load_dword v15, v9, s[0:3], 0 offen offset:12
	buffer_load_dword v16, v9, s[0:3], 0 offen
	buffer_load_dword v17, v9, s[0:3], 0 offen offset:4
	ds_read_b128 v[10:13], v8
	v_add_nc_u32_e32 v7, 1, v7
	v_add_nc_u32_e32 v8, 16, v8
	;; [unrolled: 1-line block ×3, first 2 shown]
	v_cmp_lt_u32_e32 vcc_lo, 53, v7
	s_or_b32 s5, vcc_lo, s5
	s_waitcnt vmcnt(2) lgkmcnt(0)
	v_mul_f64 v[18:19], v[12:13], v[14:15]
	v_mul_f64 v[14:15], v[10:11], v[14:15]
	s_waitcnt vmcnt(0)
	v_fma_f64 v[10:11], v[10:11], v[16:17], -v[18:19]
	v_fma_f64 v[12:13], v[12:13], v[16:17], v[14:15]
	v_add_f64 v[3:4], v[3:4], v[10:11]
	v_add_f64 v[1:2], v[1:2], v[12:13]
	s_andn2_b32 exec_lo, exec_lo, s5
	s_cbranch_execnz .LBB63_245
; %bb.246:
	s_or_b32 exec_lo, exec_lo, s5
	v_mov_b32_e32 v7, 0
	ds_read_b128 v[7:10], v7 offset:880
	s_waitcnt lgkmcnt(0)
	v_mul_f64 v[11:12], v[1:2], v[9:10]
	v_mul_f64 v[9:10], v[3:4], v[9:10]
	v_fma_f64 v[3:4], v[3:4], v[7:8], -v[11:12]
	v_fma_f64 v[1:2], v[1:2], v[7:8], v[9:10]
	buffer_store_dword v4, off, s[0:3], 0 offset:900
	buffer_store_dword v3, off, s[0:3], 0 offset:896
	;; [unrolled: 1-line block ×4, first 2 shown]
.LBB63_247:
	s_or_b32 exec_lo, exec_lo, s4
	v_mov_b32_e32 v4, s19
	s_waitcnt_vscnt null, 0x0
	s_barrier
	buffer_gl0_inv
	s_mov_b32 s4, exec_lo
	s_clause 0x3
	buffer_load_dword v1, v4, s[0:3], 0 offen
	buffer_load_dword v2, v4, s[0:3], 0 offen offset:4
	buffer_load_dword v3, v4, s[0:3], 0 offen offset:8
	;; [unrolled: 1-line block ×3, first 2 shown]
	s_waitcnt vmcnt(0)
	ds_write_b128 v5, v[1:4]
	s_waitcnt lgkmcnt(0)
	s_barrier
	buffer_gl0_inv
	v_cmpx_gt_u32_e32 56, v0
	s_cbranch_execz .LBB63_251
; %bb.248:
	v_mov_b32_e32 v1, 0
	v_mov_b32_e32 v3, 0
	v_add_nc_u32_e32 v7, -1, v0
	v_or_b32_e32 v8, 0x400, v231
	v_mov_b32_e32 v2, 0
	v_mov_b32_e32 v4, 0
	v_add_nc_u32_e32 v9, 16, v231
	s_mov_b32 s5, 0
	.p2align	6
.LBB63_249:                             ; =>This Inner Loop Header: Depth=1
	s_clause 0x3
	buffer_load_dword v14, v9, s[0:3], 0 offen offset:8
	buffer_load_dword v15, v9, s[0:3], 0 offen offset:12
	buffer_load_dword v16, v9, s[0:3], 0 offen
	buffer_load_dword v17, v9, s[0:3], 0 offen offset:4
	ds_read_b128 v[10:13], v8
	v_add_nc_u32_e32 v7, 1, v7
	v_add_nc_u32_e32 v8, 16, v8
	;; [unrolled: 1-line block ×3, first 2 shown]
	v_cmp_lt_u32_e32 vcc_lo, 54, v7
	s_or_b32 s5, vcc_lo, s5
	s_waitcnt vmcnt(2) lgkmcnt(0)
	v_mul_f64 v[18:19], v[12:13], v[14:15]
	v_mul_f64 v[14:15], v[10:11], v[14:15]
	s_waitcnt vmcnt(0)
	v_fma_f64 v[10:11], v[10:11], v[16:17], -v[18:19]
	v_fma_f64 v[12:13], v[12:13], v[16:17], v[14:15]
	v_add_f64 v[3:4], v[3:4], v[10:11]
	v_add_f64 v[1:2], v[1:2], v[12:13]
	s_andn2_b32 exec_lo, exec_lo, s5
	s_cbranch_execnz .LBB63_249
; %bb.250:
	s_or_b32 exec_lo, exec_lo, s5
	v_mov_b32_e32 v7, 0
	ds_read_b128 v[7:10], v7 offset:896
	s_waitcnt lgkmcnt(0)
	v_mul_f64 v[11:12], v[1:2], v[9:10]
	v_mul_f64 v[9:10], v[3:4], v[9:10]
	v_fma_f64 v[3:4], v[3:4], v[7:8], -v[11:12]
	v_fma_f64 v[1:2], v[1:2], v[7:8], v[9:10]
	buffer_store_dword v4, off, s[0:3], 0 offset:916
	buffer_store_dword v3, off, s[0:3], 0 offset:912
	buffer_store_dword v2, off, s[0:3], 0 offset:924
	buffer_store_dword v1, off, s[0:3], 0 offset:920
.LBB63_251:
	s_or_b32 exec_lo, exec_lo, s4
	v_mov_b32_e32 v4, s18
	s_waitcnt_vscnt null, 0x0
	s_barrier
	buffer_gl0_inv
	s_mov_b32 s4, exec_lo
	s_clause 0x3
	buffer_load_dword v1, v4, s[0:3], 0 offen
	buffer_load_dword v2, v4, s[0:3], 0 offen offset:4
	buffer_load_dword v3, v4, s[0:3], 0 offen offset:8
	;; [unrolled: 1-line block ×3, first 2 shown]
	s_waitcnt vmcnt(0)
	ds_write_b128 v5, v[1:4]
	s_waitcnt lgkmcnt(0)
	s_barrier
	buffer_gl0_inv
	v_cmpx_gt_u32_e32 57, v0
	s_cbranch_execz .LBB63_255
; %bb.252:
	v_mov_b32_e32 v1, 0
	v_mov_b32_e32 v3, 0
	v_add_nc_u32_e32 v7, -1, v0
	v_or_b32_e32 v8, 0x400, v231
	v_mov_b32_e32 v2, 0
	v_mov_b32_e32 v4, 0
	v_add_nc_u32_e32 v9, 16, v231
	s_mov_b32 s5, 0
	.p2align	6
.LBB63_253:                             ; =>This Inner Loop Header: Depth=1
	s_clause 0x3
	buffer_load_dword v14, v9, s[0:3], 0 offen offset:8
	buffer_load_dword v15, v9, s[0:3], 0 offen offset:12
	buffer_load_dword v16, v9, s[0:3], 0 offen
	buffer_load_dword v17, v9, s[0:3], 0 offen offset:4
	ds_read_b128 v[10:13], v8
	v_add_nc_u32_e32 v7, 1, v7
	v_add_nc_u32_e32 v8, 16, v8
	;; [unrolled: 1-line block ×3, first 2 shown]
	v_cmp_lt_u32_e32 vcc_lo, 55, v7
	s_or_b32 s5, vcc_lo, s5
	s_waitcnt vmcnt(2) lgkmcnt(0)
	v_mul_f64 v[18:19], v[12:13], v[14:15]
	v_mul_f64 v[14:15], v[10:11], v[14:15]
	s_waitcnt vmcnt(0)
	v_fma_f64 v[10:11], v[10:11], v[16:17], -v[18:19]
	v_fma_f64 v[12:13], v[12:13], v[16:17], v[14:15]
	v_add_f64 v[3:4], v[3:4], v[10:11]
	v_add_f64 v[1:2], v[1:2], v[12:13]
	s_andn2_b32 exec_lo, exec_lo, s5
	s_cbranch_execnz .LBB63_253
; %bb.254:
	s_or_b32 exec_lo, exec_lo, s5
	v_mov_b32_e32 v7, 0
	ds_read_b128 v[7:10], v7 offset:912
	s_waitcnt lgkmcnt(0)
	v_mul_f64 v[11:12], v[1:2], v[9:10]
	v_mul_f64 v[9:10], v[3:4], v[9:10]
	v_fma_f64 v[3:4], v[3:4], v[7:8], -v[11:12]
	v_fma_f64 v[1:2], v[1:2], v[7:8], v[9:10]
	buffer_store_dword v4, off, s[0:3], 0 offset:932
	buffer_store_dword v3, off, s[0:3], 0 offset:928
	;; [unrolled: 1-line block ×4, first 2 shown]
.LBB63_255:
	s_or_b32 exec_lo, exec_lo, s4
	v_mov_b32_e32 v4, s17
	s_waitcnt_vscnt null, 0x0
	s_barrier
	buffer_gl0_inv
	s_mov_b32 s4, exec_lo
	s_clause 0x3
	buffer_load_dword v1, v4, s[0:3], 0 offen
	buffer_load_dword v2, v4, s[0:3], 0 offen offset:4
	buffer_load_dword v3, v4, s[0:3], 0 offen offset:8
	;; [unrolled: 1-line block ×3, first 2 shown]
	s_waitcnt vmcnt(0)
	ds_write_b128 v5, v[1:4]
	s_waitcnt lgkmcnt(0)
	s_barrier
	buffer_gl0_inv
	v_cmpx_gt_u32_e32 58, v0
	s_cbranch_execz .LBB63_259
; %bb.256:
	v_mov_b32_e32 v1, 0
	v_mov_b32_e32 v3, 0
	v_add_nc_u32_e32 v7, -1, v0
	v_or_b32_e32 v8, 0x400, v231
	v_mov_b32_e32 v2, 0
	v_mov_b32_e32 v4, 0
	v_add_nc_u32_e32 v9, 16, v231
	s_mov_b32 s5, 0
	.p2align	6
.LBB63_257:                             ; =>This Inner Loop Header: Depth=1
	s_clause 0x3
	buffer_load_dword v14, v9, s[0:3], 0 offen offset:8
	buffer_load_dword v15, v9, s[0:3], 0 offen offset:12
	buffer_load_dword v16, v9, s[0:3], 0 offen
	buffer_load_dword v17, v9, s[0:3], 0 offen offset:4
	ds_read_b128 v[10:13], v8
	v_add_nc_u32_e32 v7, 1, v7
	v_add_nc_u32_e32 v8, 16, v8
	;; [unrolled: 1-line block ×3, first 2 shown]
	v_cmp_lt_u32_e32 vcc_lo, 56, v7
	s_or_b32 s5, vcc_lo, s5
	s_waitcnt vmcnt(2) lgkmcnt(0)
	v_mul_f64 v[18:19], v[12:13], v[14:15]
	v_mul_f64 v[14:15], v[10:11], v[14:15]
	s_waitcnt vmcnt(0)
	v_fma_f64 v[10:11], v[10:11], v[16:17], -v[18:19]
	v_fma_f64 v[12:13], v[12:13], v[16:17], v[14:15]
	v_add_f64 v[3:4], v[3:4], v[10:11]
	v_add_f64 v[1:2], v[1:2], v[12:13]
	s_andn2_b32 exec_lo, exec_lo, s5
	s_cbranch_execnz .LBB63_257
; %bb.258:
	s_or_b32 exec_lo, exec_lo, s5
	v_mov_b32_e32 v7, 0
	ds_read_b128 v[7:10], v7 offset:928
	s_waitcnt lgkmcnt(0)
	v_mul_f64 v[11:12], v[1:2], v[9:10]
	v_mul_f64 v[9:10], v[3:4], v[9:10]
	v_fma_f64 v[3:4], v[3:4], v[7:8], -v[11:12]
	v_fma_f64 v[1:2], v[1:2], v[7:8], v[9:10]
	buffer_store_dword v4, off, s[0:3], 0 offset:948
	buffer_store_dword v3, off, s[0:3], 0 offset:944
	;; [unrolled: 1-line block ×4, first 2 shown]
.LBB63_259:
	s_or_b32 exec_lo, exec_lo, s4
	v_mov_b32_e32 v4, s16
	s_waitcnt_vscnt null, 0x0
	s_barrier
	buffer_gl0_inv
	s_mov_b32 s4, exec_lo
	s_clause 0x3
	buffer_load_dword v1, v4, s[0:3], 0 offen
	buffer_load_dword v2, v4, s[0:3], 0 offen offset:4
	buffer_load_dword v3, v4, s[0:3], 0 offen offset:8
	;; [unrolled: 1-line block ×3, first 2 shown]
	s_waitcnt vmcnt(0)
	ds_write_b128 v5, v[1:4]
	s_waitcnt lgkmcnt(0)
	s_barrier
	buffer_gl0_inv
	v_cmpx_gt_u32_e32 59, v0
	s_cbranch_execz .LBB63_263
; %bb.260:
	v_mov_b32_e32 v1, 0
	v_mov_b32_e32 v3, 0
	v_add_nc_u32_e32 v7, -1, v0
	v_or_b32_e32 v8, 0x400, v231
	v_mov_b32_e32 v2, 0
	v_mov_b32_e32 v4, 0
	v_add_nc_u32_e32 v9, 16, v231
	s_mov_b32 s5, 0
	.p2align	6
.LBB63_261:                             ; =>This Inner Loop Header: Depth=1
	s_clause 0x3
	buffer_load_dword v14, v9, s[0:3], 0 offen offset:8
	buffer_load_dword v15, v9, s[0:3], 0 offen offset:12
	buffer_load_dword v16, v9, s[0:3], 0 offen
	buffer_load_dword v17, v9, s[0:3], 0 offen offset:4
	ds_read_b128 v[10:13], v8
	v_add_nc_u32_e32 v7, 1, v7
	v_add_nc_u32_e32 v8, 16, v8
	;; [unrolled: 1-line block ×3, first 2 shown]
	v_cmp_lt_u32_e32 vcc_lo, 57, v7
	s_or_b32 s5, vcc_lo, s5
	s_waitcnt vmcnt(2) lgkmcnt(0)
	v_mul_f64 v[18:19], v[12:13], v[14:15]
	v_mul_f64 v[14:15], v[10:11], v[14:15]
	s_waitcnt vmcnt(0)
	v_fma_f64 v[10:11], v[10:11], v[16:17], -v[18:19]
	v_fma_f64 v[12:13], v[12:13], v[16:17], v[14:15]
	v_add_f64 v[3:4], v[3:4], v[10:11]
	v_add_f64 v[1:2], v[1:2], v[12:13]
	s_andn2_b32 exec_lo, exec_lo, s5
	s_cbranch_execnz .LBB63_261
; %bb.262:
	s_or_b32 exec_lo, exec_lo, s5
	v_mov_b32_e32 v7, 0
	ds_read_b128 v[7:10], v7 offset:944
	s_waitcnt lgkmcnt(0)
	v_mul_f64 v[11:12], v[1:2], v[9:10]
	v_mul_f64 v[9:10], v[3:4], v[9:10]
	v_fma_f64 v[3:4], v[3:4], v[7:8], -v[11:12]
	v_fma_f64 v[1:2], v[1:2], v[7:8], v[9:10]
	buffer_store_dword v4, off, s[0:3], 0 offset:964
	buffer_store_dword v3, off, s[0:3], 0 offset:960
	;; [unrolled: 1-line block ×4, first 2 shown]
.LBB63_263:
	s_or_b32 exec_lo, exec_lo, s4
	v_mov_b32_e32 v4, s15
	s_waitcnt_vscnt null, 0x0
	s_barrier
	buffer_gl0_inv
	s_mov_b32 s4, exec_lo
	s_clause 0x3
	buffer_load_dword v1, v4, s[0:3], 0 offen
	buffer_load_dword v2, v4, s[0:3], 0 offen offset:4
	buffer_load_dword v3, v4, s[0:3], 0 offen offset:8
	;; [unrolled: 1-line block ×3, first 2 shown]
	s_waitcnt vmcnt(0)
	ds_write_b128 v5, v[1:4]
	s_waitcnt lgkmcnt(0)
	s_barrier
	buffer_gl0_inv
	v_cmpx_gt_u32_e32 60, v0
	s_cbranch_execz .LBB63_267
; %bb.264:
	v_mov_b32_e32 v1, 0
	v_mov_b32_e32 v3, 0
	v_add_nc_u32_e32 v7, -1, v0
	v_or_b32_e32 v8, 0x400, v231
	v_mov_b32_e32 v2, 0
	v_mov_b32_e32 v4, 0
	v_add_nc_u32_e32 v9, 16, v231
	s_mov_b32 s5, 0
	.p2align	6
.LBB63_265:                             ; =>This Inner Loop Header: Depth=1
	s_clause 0x3
	buffer_load_dword v14, v9, s[0:3], 0 offen offset:8
	buffer_load_dword v15, v9, s[0:3], 0 offen offset:12
	buffer_load_dword v16, v9, s[0:3], 0 offen
	buffer_load_dword v17, v9, s[0:3], 0 offen offset:4
	ds_read_b128 v[10:13], v8
	v_add_nc_u32_e32 v7, 1, v7
	v_add_nc_u32_e32 v8, 16, v8
	;; [unrolled: 1-line block ×3, first 2 shown]
	v_cmp_lt_u32_e32 vcc_lo, 58, v7
	s_or_b32 s5, vcc_lo, s5
	s_waitcnt vmcnt(2) lgkmcnt(0)
	v_mul_f64 v[18:19], v[12:13], v[14:15]
	v_mul_f64 v[14:15], v[10:11], v[14:15]
	s_waitcnt vmcnt(0)
	v_fma_f64 v[10:11], v[10:11], v[16:17], -v[18:19]
	v_fma_f64 v[12:13], v[12:13], v[16:17], v[14:15]
	v_add_f64 v[3:4], v[3:4], v[10:11]
	v_add_f64 v[1:2], v[1:2], v[12:13]
	s_andn2_b32 exec_lo, exec_lo, s5
	s_cbranch_execnz .LBB63_265
; %bb.266:
	s_or_b32 exec_lo, exec_lo, s5
	v_mov_b32_e32 v7, 0
	ds_read_b128 v[7:10], v7 offset:960
	s_waitcnt lgkmcnt(0)
	v_mul_f64 v[11:12], v[1:2], v[9:10]
	v_mul_f64 v[9:10], v[3:4], v[9:10]
	v_fma_f64 v[3:4], v[3:4], v[7:8], -v[11:12]
	v_fma_f64 v[1:2], v[1:2], v[7:8], v[9:10]
	buffer_store_dword v4, off, s[0:3], 0 offset:980
	buffer_store_dword v3, off, s[0:3], 0 offset:976
	;; [unrolled: 1-line block ×4, first 2 shown]
.LBB63_267:
	s_or_b32 exec_lo, exec_lo, s4
	v_mov_b32_e32 v4, s14
	s_waitcnt_vscnt null, 0x0
	s_barrier
	buffer_gl0_inv
	s_mov_b32 s4, exec_lo
	s_clause 0x3
	buffer_load_dword v1, v4, s[0:3], 0 offen
	buffer_load_dword v2, v4, s[0:3], 0 offen offset:4
	buffer_load_dword v3, v4, s[0:3], 0 offen offset:8
	;; [unrolled: 1-line block ×3, first 2 shown]
	s_waitcnt vmcnt(0)
	ds_write_b128 v5, v[1:4]
	s_waitcnt lgkmcnt(0)
	s_barrier
	buffer_gl0_inv
	v_cmpx_gt_u32_e32 61, v0
	s_cbranch_execz .LBB63_271
; %bb.268:
	v_mov_b32_e32 v1, 0
	v_mov_b32_e32 v3, 0
	v_add_nc_u32_e32 v7, -1, v0
	v_or_b32_e32 v8, 0x400, v231
	v_mov_b32_e32 v2, 0
	v_mov_b32_e32 v4, 0
	v_add_nc_u32_e32 v9, 16, v231
	s_mov_b32 s5, 0
	.p2align	6
.LBB63_269:                             ; =>This Inner Loop Header: Depth=1
	s_clause 0x3
	buffer_load_dword v14, v9, s[0:3], 0 offen offset:8
	buffer_load_dword v15, v9, s[0:3], 0 offen offset:12
	buffer_load_dword v16, v9, s[0:3], 0 offen
	buffer_load_dword v17, v9, s[0:3], 0 offen offset:4
	ds_read_b128 v[10:13], v8
	v_add_nc_u32_e32 v7, 1, v7
	v_add_nc_u32_e32 v8, 16, v8
	;; [unrolled: 1-line block ×3, first 2 shown]
	v_cmp_lt_u32_e32 vcc_lo, 59, v7
	s_or_b32 s5, vcc_lo, s5
	s_waitcnt vmcnt(2) lgkmcnt(0)
	v_mul_f64 v[18:19], v[12:13], v[14:15]
	v_mul_f64 v[14:15], v[10:11], v[14:15]
	s_waitcnt vmcnt(0)
	v_fma_f64 v[10:11], v[10:11], v[16:17], -v[18:19]
	v_fma_f64 v[12:13], v[12:13], v[16:17], v[14:15]
	v_add_f64 v[3:4], v[3:4], v[10:11]
	v_add_f64 v[1:2], v[1:2], v[12:13]
	s_andn2_b32 exec_lo, exec_lo, s5
	s_cbranch_execnz .LBB63_269
; %bb.270:
	s_or_b32 exec_lo, exec_lo, s5
	v_mov_b32_e32 v7, 0
	ds_read_b128 v[7:10], v7 offset:976
	s_waitcnt lgkmcnt(0)
	v_mul_f64 v[11:12], v[1:2], v[9:10]
	v_mul_f64 v[9:10], v[3:4], v[9:10]
	v_fma_f64 v[3:4], v[3:4], v[7:8], -v[11:12]
	v_fma_f64 v[1:2], v[1:2], v[7:8], v[9:10]
	buffer_store_dword v4, off, s[0:3], 0 offset:996
	buffer_store_dword v3, off, s[0:3], 0 offset:992
	;; [unrolled: 1-line block ×4, first 2 shown]
.LBB63_271:
	s_or_b32 exec_lo, exec_lo, s4
	v_mov_b32_e32 v4, s13
	s_waitcnt_vscnt null, 0x0
	s_barrier
	buffer_gl0_inv
	s_mov_b32 s4, exec_lo
	s_clause 0x3
	buffer_load_dword v1, v4, s[0:3], 0 offen
	buffer_load_dword v2, v4, s[0:3], 0 offen offset:4
	buffer_load_dword v3, v4, s[0:3], 0 offen offset:8
	;; [unrolled: 1-line block ×3, first 2 shown]
	s_waitcnt vmcnt(0)
	ds_write_b128 v5, v[1:4]
	s_waitcnt lgkmcnt(0)
	s_barrier
	buffer_gl0_inv
	v_cmpx_gt_u32_e32 62, v0
	s_cbranch_execz .LBB63_275
; %bb.272:
	v_mov_b32_e32 v1, 0
	v_mov_b32_e32 v3, 0
	v_add_nc_u32_e32 v7, -1, v0
	v_or_b32_e32 v8, 0x400, v231
	v_mov_b32_e32 v2, 0
	v_mov_b32_e32 v4, 0
	v_add_nc_u32_e32 v9, 16, v231
	s_mov_b32 s5, 0
	.p2align	6
.LBB63_273:                             ; =>This Inner Loop Header: Depth=1
	s_clause 0x3
	buffer_load_dword v14, v9, s[0:3], 0 offen offset:8
	buffer_load_dword v15, v9, s[0:3], 0 offen offset:12
	buffer_load_dword v16, v9, s[0:3], 0 offen
	buffer_load_dword v17, v9, s[0:3], 0 offen offset:4
	ds_read_b128 v[10:13], v8
	v_add_nc_u32_e32 v7, 1, v7
	v_add_nc_u32_e32 v8, 16, v8
	;; [unrolled: 1-line block ×3, first 2 shown]
	v_cmp_lt_u32_e32 vcc_lo, 60, v7
	s_or_b32 s5, vcc_lo, s5
	s_waitcnt vmcnt(2) lgkmcnt(0)
	v_mul_f64 v[18:19], v[12:13], v[14:15]
	v_mul_f64 v[14:15], v[10:11], v[14:15]
	s_waitcnt vmcnt(0)
	v_fma_f64 v[10:11], v[10:11], v[16:17], -v[18:19]
	v_fma_f64 v[12:13], v[12:13], v[16:17], v[14:15]
	v_add_f64 v[3:4], v[3:4], v[10:11]
	v_add_f64 v[1:2], v[1:2], v[12:13]
	s_andn2_b32 exec_lo, exec_lo, s5
	s_cbranch_execnz .LBB63_273
; %bb.274:
	s_or_b32 exec_lo, exec_lo, s5
	v_mov_b32_e32 v7, 0
	ds_read_b128 v[7:10], v7 offset:992
	s_waitcnt lgkmcnt(0)
	v_mul_f64 v[11:12], v[1:2], v[9:10]
	v_mul_f64 v[9:10], v[3:4], v[9:10]
	v_fma_f64 v[3:4], v[3:4], v[7:8], -v[11:12]
	v_fma_f64 v[1:2], v[1:2], v[7:8], v[9:10]
	buffer_store_dword v4, off, s[0:3], 0 offset:1012
	buffer_store_dword v3, off, s[0:3], 0 offset:1008
	;; [unrolled: 1-line block ×4, first 2 shown]
.LBB63_275:
	s_or_b32 exec_lo, exec_lo, s4
	v_mov_b32_e32 v4, s12
	s_waitcnt_vscnt null, 0x0
	s_barrier
	buffer_gl0_inv
	s_mov_b32 s4, exec_lo
	s_clause 0x3
	buffer_load_dword v1, v4, s[0:3], 0 offen
	buffer_load_dword v2, v4, s[0:3], 0 offen offset:4
	buffer_load_dword v3, v4, s[0:3], 0 offen offset:8
	;; [unrolled: 1-line block ×3, first 2 shown]
	s_waitcnt vmcnt(0)
	ds_write_b128 v5, v[1:4]
	s_waitcnt lgkmcnt(0)
	s_barrier
	buffer_gl0_inv
	v_cmpx_ne_u32_e32 63, v0
	s_cbranch_execz .LBB63_279
; %bb.276:
	v_mov_b32_e32 v1, 0
	v_mov_b32_e32 v3, 0
	;; [unrolled: 1-line block ×4, first 2 shown]
	v_add_nc_u32_e32 v7, 16, v231
	s_mov_b32 s5, 0
	.p2align	6
.LBB63_277:                             ; =>This Inner Loop Header: Depth=1
	s_clause 0x3
	buffer_load_dword v12, v7, s[0:3], 0 offen offset:8
	buffer_load_dword v13, v7, s[0:3], 0 offen offset:12
	buffer_load_dword v14, v7, s[0:3], 0 offen
	buffer_load_dword v15, v7, s[0:3], 0 offen offset:4
	ds_read_b128 v[8:11], v5
	v_add_nc_u32_e32 v6, 1, v6
	v_add_nc_u32_e32 v5, 16, v5
	;; [unrolled: 1-line block ×3, first 2 shown]
	v_cmp_lt_u32_e32 vcc_lo, 61, v6
	s_or_b32 s5, vcc_lo, s5
	s_waitcnt vmcnt(2) lgkmcnt(0)
	v_mul_f64 v[16:17], v[10:11], v[12:13]
	v_mul_f64 v[12:13], v[8:9], v[12:13]
	s_waitcnt vmcnt(0)
	v_fma_f64 v[8:9], v[8:9], v[14:15], -v[16:17]
	v_fma_f64 v[10:11], v[10:11], v[14:15], v[12:13]
	v_add_f64 v[3:4], v[3:4], v[8:9]
	v_add_f64 v[1:2], v[1:2], v[10:11]
	s_andn2_b32 exec_lo, exec_lo, s5
	s_cbranch_execnz .LBB63_277
; %bb.278:
	s_or_b32 exec_lo, exec_lo, s5
	v_mov_b32_e32 v5, 0
	ds_read_b128 v[5:8], v5 offset:1008
	s_waitcnt lgkmcnt(0)
	v_mul_f64 v[9:10], v[1:2], v[7:8]
	v_mul_f64 v[7:8], v[3:4], v[7:8]
	v_fma_f64 v[3:4], v[3:4], v[5:6], -v[9:10]
	v_fma_f64 v[1:2], v[1:2], v[5:6], v[7:8]
	buffer_store_dword v4, off, s[0:3], 0 offset:1028
	buffer_store_dword v3, off, s[0:3], 0 offset:1024
	;; [unrolled: 1-line block ×4, first 2 shown]
.LBB63_279:
	s_or_b32 exec_lo, exec_lo, s4
	s_mov_b32 s5, -1
	s_waitcnt_vscnt null, 0x0
	s_barrier
	buffer_gl0_inv
.LBB63_280:
	s_and_b32 vcc_lo, exec_lo, s5
	s_cbranch_vccz .LBB63_282
; %bb.281:
	s_lshl_b64 s[4:5], s[6:7], 2
	v_mov_b32_e32 v1, 0
	s_add_u32 s4, s10, s4
	s_addc_u32 s5, s11, s5
	global_load_dword v1, v1, s[4:5]
	s_waitcnt vmcnt(0)
	v_cmp_ne_u32_e32 vcc_lo, 0, v1
	s_cbranch_vccz .LBB63_283
.LBB63_282:
	s_endpgm
.LBB63_283:
	v_lshl_or_b32 v69, v0, 4, 0x400
	s_mov_b32 s4, exec_lo
	v_cmpx_eq_u32_e32 63, v0
	s_cbranch_execz .LBB63_285
; %bb.284:
	v_mov_b32_e32 v4, s13
	v_mov_b32_e32 v5, 0
	s_clause 0x3
	buffer_load_dword v1, v4, s[0:3], 0 offen
	buffer_load_dword v2, v4, s[0:3], 0 offen offset:4
	buffer_load_dword v3, v4, s[0:3], 0 offen offset:8
	;; [unrolled: 1-line block ×3, first 2 shown]
	buffer_store_dword v5, off, s[0:3], 0 offset:1008
	buffer_store_dword v5, off, s[0:3], 0 offset:1012
	;; [unrolled: 1-line block ×4, first 2 shown]
	s_waitcnt vmcnt(0)
	ds_write_b128 v69, v[1:4]
.LBB63_285:
	s_or_b32 exec_lo, exec_lo, s4
	s_waitcnt lgkmcnt(0)
	s_waitcnt_vscnt null, 0x0
	s_barrier
	buffer_gl0_inv
	s_clause 0x7
	buffer_load_dword v6, off, s[0:3], 0 offset:1032
	buffer_load_dword v7, off, s[0:3], 0 offset:1036
	;; [unrolled: 1-line block ×8, first 2 shown]
	v_mov_b32_e32 v1, 0
	s_mov_b32 s4, exec_lo
	ds_read_b128 v[2:5], v1 offset:2032
	s_waitcnt vmcnt(6) lgkmcnt(0)
	v_mul_f64 v[14:15], v[4:5], v[6:7]
	v_mul_f64 v[6:7], v[2:3], v[6:7]
	s_waitcnt vmcnt(4)
	v_fma_f64 v[2:3], v[2:3], v[8:9], -v[14:15]
	v_fma_f64 v[4:5], v[4:5], v[8:9], v[6:7]
	v_add_f64 v[2:3], v[2:3], 0
	v_add_f64 v[4:5], v[4:5], 0
	s_waitcnt vmcnt(2)
	v_add_f64 v[2:3], v[10:11], -v[2:3]
	s_waitcnt vmcnt(0)
	v_add_f64 v[4:5], v[12:13], -v[4:5]
	buffer_store_dword v2, off, s[0:3], 0 offset:1008
	buffer_store_dword v3, off, s[0:3], 0 offset:1012
	;; [unrolled: 1-line block ×4, first 2 shown]
	v_cmpx_lt_u32_e32 61, v0
	s_cbranch_execz .LBB63_287
; %bb.286:
	v_mov_b32_e32 v5, s14
	s_clause 0x3
	buffer_load_dword v2, v5, s[0:3], 0 offen
	buffer_load_dword v3, v5, s[0:3], 0 offen offset:4
	buffer_load_dword v4, v5, s[0:3], 0 offen offset:8
	;; [unrolled: 1-line block ×3, first 2 shown]
	buffer_store_dword v1, off, s[0:3], 0 offset:992
	buffer_store_dword v1, off, s[0:3], 0 offset:996
	;; [unrolled: 1-line block ×4, first 2 shown]
	s_waitcnt vmcnt(0)
	ds_write_b128 v69, v[2:5]
.LBB63_287:
	s_or_b32 exec_lo, exec_lo, s4
	s_waitcnt lgkmcnt(0)
	s_waitcnt_vscnt null, 0x0
	s_barrier
	buffer_gl0_inv
	s_clause 0xb
	buffer_load_dword v10, off, s[0:3], 0 offset:1016
	buffer_load_dword v11, off, s[0:3], 0 offset:1020
	buffer_load_dword v12, off, s[0:3], 0 offset:1032
	buffer_load_dword v13, off, s[0:3], 0 offset:1036
	buffer_load_dword v14, off, s[0:3], 0 offset:1008
	buffer_load_dword v15, off, s[0:3], 0 offset:1012
	buffer_load_dword v16, off, s[0:3], 0 offset:1024
	buffer_load_dword v17, off, s[0:3], 0 offset:1028
	buffer_load_dword v18, off, s[0:3], 0 offset:992
	buffer_load_dword v19, off, s[0:3], 0 offset:996
	buffer_load_dword v20, off, s[0:3], 0 offset:1000
	buffer_load_dword v21, off, s[0:3], 0 offset:1004
	ds_read_b128 v[2:5], v1 offset:2016
	ds_read_b128 v[6:9], v1 offset:2032
	s_mov_b32 s4, exec_lo
	s_waitcnt vmcnt(10) lgkmcnt(1)
	v_mul_f64 v[22:23], v[4:5], v[10:11]
	v_mul_f64 v[10:11], v[2:3], v[10:11]
	s_waitcnt vmcnt(8) lgkmcnt(0)
	v_mul_f64 v[24:25], v[8:9], v[12:13]
	v_mul_f64 v[12:13], v[6:7], v[12:13]
	s_waitcnt vmcnt(6)
	v_fma_f64 v[1:2], v[2:3], v[14:15], -v[22:23]
	v_fma_f64 v[3:4], v[4:5], v[14:15], v[10:11]
	s_waitcnt vmcnt(4)
	v_fma_f64 v[5:6], v[6:7], v[16:17], -v[24:25]
	v_fma_f64 v[7:8], v[8:9], v[16:17], v[12:13]
	v_add_f64 v[1:2], v[1:2], 0
	v_add_f64 v[3:4], v[3:4], 0
	;; [unrolled: 1-line block ×4, first 2 shown]
	s_waitcnt vmcnt(2)
	v_add_f64 v[1:2], v[18:19], -v[1:2]
	s_waitcnt vmcnt(0)
	v_add_f64 v[3:4], v[20:21], -v[3:4]
	buffer_store_dword v1, off, s[0:3], 0 offset:992
	buffer_store_dword v2, off, s[0:3], 0 offset:996
	;; [unrolled: 1-line block ×4, first 2 shown]
	v_cmpx_lt_u32_e32 60, v0
	s_cbranch_execz .LBB63_289
; %bb.288:
	v_mov_b32_e32 v4, s15
	v_mov_b32_e32 v5, 0
	s_clause 0x3
	buffer_load_dword v1, v4, s[0:3], 0 offen
	buffer_load_dword v2, v4, s[0:3], 0 offen offset:4
	buffer_load_dword v3, v4, s[0:3], 0 offen offset:8
	;; [unrolled: 1-line block ×3, first 2 shown]
	buffer_store_dword v5, off, s[0:3], 0 offset:976
	buffer_store_dword v5, off, s[0:3], 0 offset:980
	;; [unrolled: 1-line block ×4, first 2 shown]
	s_waitcnt vmcnt(0)
	ds_write_b128 v69, v[1:4]
.LBB63_289:
	s_or_b32 exec_lo, exec_lo, s4
	s_waitcnt lgkmcnt(0)
	s_waitcnt_vscnt null, 0x0
	s_barrier
	buffer_gl0_inv
	s_clause 0xf
	buffer_load_dword v10, off, s[0:3], 0 offset:1000
	buffer_load_dword v11, off, s[0:3], 0 offset:1004
	;; [unrolled: 1-line block ×16, first 2 shown]
	v_mov_b32_e32 v1, 0
	ds_read_b128 v[2:5], v1 offset:2000
	ds_read_b128 v[6:9], v1 offset:2016
	s_mov_b32 s4, exec_lo
	s_waitcnt vmcnt(14) lgkmcnt(1)
	v_mul_f64 v[28:29], v[4:5], v[10:11]
	v_mul_f64 v[30:31], v[2:3], v[10:11]
	s_waitcnt vmcnt(12) lgkmcnt(0)
	v_mul_f64 v[32:33], v[8:9], v[14:15]
	ds_read_b128 v[10:13], v1 offset:2032
	v_mul_f64 v[14:15], v[6:7], v[14:15]
	s_waitcnt vmcnt(10)
	v_fma_f64 v[2:3], v[2:3], v[16:17], -v[28:29]
	v_fma_f64 v[4:5], v[4:5], v[16:17], v[30:31]
	s_waitcnt vmcnt(8) lgkmcnt(0)
	v_mul_f64 v[16:17], v[10:11], v[18:19]
	v_mul_f64 v[18:19], v[12:13], v[18:19]
	s_waitcnt vmcnt(6)
	v_fma_f64 v[6:7], v[6:7], v[20:21], -v[32:33]
	v_fma_f64 v[8:9], v[8:9], v[20:21], v[14:15]
	v_add_f64 v[2:3], v[2:3], 0
	v_add_f64 v[4:5], v[4:5], 0
	s_waitcnt vmcnt(4)
	v_fma_f64 v[10:11], v[10:11], v[22:23], -v[18:19]
	v_add_f64 v[2:3], v[2:3], v[6:7]
	v_fma_f64 v[6:7], v[12:13], v[22:23], v[16:17]
	v_add_f64 v[4:5], v[4:5], v[8:9]
	v_add_f64 v[2:3], v[2:3], v[10:11]
	;; [unrolled: 1-line block ×3, first 2 shown]
	s_waitcnt vmcnt(2)
	v_add_f64 v[2:3], v[24:25], -v[2:3]
	s_waitcnt vmcnt(0)
	v_add_f64 v[4:5], v[26:27], -v[4:5]
	buffer_store_dword v2, off, s[0:3], 0 offset:976
	buffer_store_dword v3, off, s[0:3], 0 offset:980
	;; [unrolled: 1-line block ×4, first 2 shown]
	v_cmpx_lt_u32_e32 59, v0
	s_cbranch_execz .LBB63_291
; %bb.290:
	v_mov_b32_e32 v5, s16
	s_clause 0x3
	buffer_load_dword v2, v5, s[0:3], 0 offen
	buffer_load_dword v3, v5, s[0:3], 0 offen offset:4
	buffer_load_dword v4, v5, s[0:3], 0 offen offset:8
	;; [unrolled: 1-line block ×3, first 2 shown]
	buffer_store_dword v1, off, s[0:3], 0 offset:960
	buffer_store_dword v1, off, s[0:3], 0 offset:964
	;; [unrolled: 1-line block ×4, first 2 shown]
	s_waitcnt vmcnt(0)
	ds_write_b128 v69, v[2:5]
.LBB63_291:
	s_or_b32 exec_lo, exec_lo, s4
	s_waitcnt lgkmcnt(0)
	s_waitcnt_vscnt null, 0x0
	s_barrier
	buffer_gl0_inv
	s_clause 0x13
	buffer_load_dword v10, off, s[0:3], 0 offset:984
	buffer_load_dword v11, off, s[0:3], 0 offset:988
	;; [unrolled: 1-line block ×20, first 2 shown]
	ds_read_b128 v[2:5], v1 offset:1984
	ds_read_b128 v[6:9], v1 offset:2000
	s_mov_b32 s4, exec_lo
	s_waitcnt vmcnt(18) lgkmcnt(1)
	v_mul_f64 v[32:33], v[4:5], v[10:11]
	v_mul_f64 v[34:35], v[2:3], v[10:11]
	s_waitcnt vmcnt(16) lgkmcnt(0)
	v_mul_f64 v[36:37], v[8:9], v[14:15]
	ds_read_b128 v[10:13], v1 offset:2016
	v_mul_f64 v[14:15], v[6:7], v[14:15]
	s_waitcnt vmcnt(14)
	v_fma_f64 v[32:33], v[2:3], v[16:17], -v[32:33]
	v_fma_f64 v[16:17], v[4:5], v[16:17], v[34:35]
	s_waitcnt vmcnt(12) lgkmcnt(0)
	v_mul_f64 v[34:35], v[10:11], v[18:19]
	v_mul_f64 v[18:19], v[12:13], v[18:19]
	s_waitcnt vmcnt(10)
	v_fma_f64 v[5:6], v[6:7], v[20:21], -v[36:37]
	ds_read_b128 v[1:4], v1 offset:2032
	v_fma_f64 v[7:8], v[8:9], v[20:21], v[14:15]
	v_add_f64 v[32:33], v[32:33], 0
	v_add_f64 v[14:15], v[16:17], 0
	s_waitcnt vmcnt(8) lgkmcnt(0)
	v_mul_f64 v[20:21], v[3:4], v[22:23]
	s_waitcnt vmcnt(6)
	v_fma_f64 v[9:10], v[10:11], v[24:25], -v[18:19]
	v_mul_f64 v[16:17], v[1:2], v[22:23]
	v_fma_f64 v[11:12], v[12:13], v[24:25], v[34:35]
	v_add_f64 v[5:6], v[32:33], v[5:6]
	v_add_f64 v[7:8], v[14:15], v[7:8]
	s_waitcnt vmcnt(4)
	v_fma_f64 v[1:2], v[1:2], v[26:27], -v[20:21]
	v_fma_f64 v[3:4], v[3:4], v[26:27], v[16:17]
	v_add_f64 v[5:6], v[5:6], v[9:10]
	v_add_f64 v[7:8], v[7:8], v[11:12]
	;; [unrolled: 1-line block ×4, first 2 shown]
	s_waitcnt vmcnt(2)
	v_add_f64 v[1:2], v[28:29], -v[1:2]
	s_waitcnt vmcnt(0)
	v_add_f64 v[3:4], v[30:31], -v[3:4]
	buffer_store_dword v1, off, s[0:3], 0 offset:960
	buffer_store_dword v2, off, s[0:3], 0 offset:964
	;; [unrolled: 1-line block ×4, first 2 shown]
	v_cmpx_lt_u32_e32 58, v0
	s_cbranch_execz .LBB63_293
; %bb.292:
	v_mov_b32_e32 v4, s17
	v_mov_b32_e32 v5, 0
	s_clause 0x3
	buffer_load_dword v1, v4, s[0:3], 0 offen
	buffer_load_dword v2, v4, s[0:3], 0 offen offset:4
	buffer_load_dword v3, v4, s[0:3], 0 offen offset:8
	;; [unrolled: 1-line block ×3, first 2 shown]
	buffer_store_dword v5, off, s[0:3], 0 offset:944
	buffer_store_dword v5, off, s[0:3], 0 offset:948
	;; [unrolled: 1-line block ×4, first 2 shown]
	s_waitcnt vmcnt(0)
	ds_write_b128 v69, v[1:4]
.LBB63_293:
	s_or_b32 exec_lo, exec_lo, s4
	s_waitcnt lgkmcnt(0)
	s_waitcnt_vscnt null, 0x0
	s_barrier
	buffer_gl0_inv
	s_clause 0x17
	buffer_load_dword v10, off, s[0:3], 0 offset:968
	buffer_load_dword v11, off, s[0:3], 0 offset:972
	;; [unrolled: 1-line block ×24, first 2 shown]
	v_mov_b32_e32 v1, 0
	ds_read_b128 v[2:5], v1 offset:1968
	ds_read_b128 v[6:9], v1 offset:1984
	s_mov_b32 s4, exec_lo
	s_waitcnt vmcnt(22) lgkmcnt(1)
	v_mul_f64 v[36:37], v[4:5], v[10:11]
	v_mul_f64 v[38:39], v[2:3], v[10:11]
	s_waitcnt vmcnt(20) lgkmcnt(0)
	v_mul_f64 v[40:41], v[8:9], v[14:15]
	ds_read_b128 v[10:13], v1 offset:2000
	v_mul_f64 v[14:15], v[6:7], v[14:15]
	s_waitcnt vmcnt(18)
	v_fma_f64 v[36:37], v[2:3], v[16:17], -v[36:37]
	v_fma_f64 v[16:17], v[4:5], v[16:17], v[38:39]
	ds_read_b128 v[2:5], v1 offset:2016
	s_waitcnt vmcnt(16) lgkmcnt(1)
	v_mul_f64 v[38:39], v[10:11], v[18:19]
	v_mul_f64 v[18:19], v[12:13], v[18:19]
	s_waitcnt vmcnt(14)
	v_fma_f64 v[40:41], v[6:7], v[20:21], -v[40:41]
	v_fma_f64 v[14:15], v[8:9], v[20:21], v[14:15]
	ds_read_b128 v[6:9], v1 offset:2032
	s_waitcnt vmcnt(10) lgkmcnt(1)
	v_mul_f64 v[20:21], v[2:3], v[22:23]
	v_add_f64 v[36:37], v[36:37], 0
	v_add_f64 v[16:17], v[16:17], 0
	v_mul_f64 v[22:23], v[4:5], v[22:23]
	s_waitcnt vmcnt(8)
	v_fma_f64 v[10:11], v[10:11], v[28:29], -v[18:19]
	v_fma_f64 v[12:13], v[12:13], v[28:29], v[38:39]
	s_waitcnt vmcnt(5)
	v_fma_f64 v[4:5], v[4:5], v[30:31], v[20:21]
	v_add_f64 v[18:19], v[36:37], v[40:41]
	v_add_f64 v[14:15], v[16:17], v[14:15]
	s_waitcnt lgkmcnt(0)
	v_mul_f64 v[16:17], v[6:7], v[24:25]
	v_mul_f64 v[24:25], v[8:9], v[24:25]
	v_fma_f64 v[2:3], v[2:3], v[30:31], -v[22:23]
	v_add_f64 v[10:11], v[18:19], v[10:11]
	v_add_f64 v[12:13], v[14:15], v[12:13]
	s_waitcnt vmcnt(4)
	v_fma_f64 v[8:9], v[8:9], v[26:27], v[16:17]
	v_fma_f64 v[6:7], v[6:7], v[26:27], -v[24:25]
	v_add_f64 v[2:3], v[10:11], v[2:3]
	v_add_f64 v[4:5], v[12:13], v[4:5]
	;; [unrolled: 1-line block ×4, first 2 shown]
	s_waitcnt vmcnt(2)
	v_add_f64 v[2:3], v[32:33], -v[2:3]
	s_waitcnt vmcnt(0)
	v_add_f64 v[4:5], v[34:35], -v[4:5]
	buffer_store_dword v3, off, s[0:3], 0 offset:948
	buffer_store_dword v2, off, s[0:3], 0 offset:944
	;; [unrolled: 1-line block ×4, first 2 shown]
	v_cmpx_lt_u32_e32 57, v0
	s_cbranch_execz .LBB63_295
; %bb.294:
	v_mov_b32_e32 v5, s18
	s_clause 0x3
	buffer_load_dword v2, v5, s[0:3], 0 offen
	buffer_load_dword v3, v5, s[0:3], 0 offen offset:4
	buffer_load_dword v4, v5, s[0:3], 0 offen offset:8
	;; [unrolled: 1-line block ×3, first 2 shown]
	buffer_store_dword v1, off, s[0:3], 0 offset:928
	buffer_store_dword v1, off, s[0:3], 0 offset:932
	;; [unrolled: 1-line block ×4, first 2 shown]
	s_waitcnt vmcnt(0)
	ds_write_b128 v69, v[2:5]
.LBB63_295:
	s_or_b32 exec_lo, exec_lo, s4
	s_waitcnt lgkmcnt(0)
	s_waitcnt_vscnt null, 0x0
	s_barrier
	buffer_gl0_inv
	s_clause 0x1b
	buffer_load_dword v10, off, s[0:3], 0 offset:952
	buffer_load_dword v11, off, s[0:3], 0 offset:956
	;; [unrolled: 1-line block ×28, first 2 shown]
	ds_read_b128 v[2:5], v1 offset:1952
	ds_read_b128 v[6:9], v1 offset:1968
	s_mov_b32 s4, exec_lo
	s_waitcnt vmcnt(26) lgkmcnt(1)
	v_mul_f64 v[40:41], v[4:5], v[10:11]
	v_mul_f64 v[42:43], v[2:3], v[10:11]
	s_waitcnt vmcnt(24) lgkmcnt(0)
	v_mul_f64 v[44:45], v[8:9], v[14:15]
	ds_read_b128 v[10:13], v1 offset:1984
	v_mul_f64 v[14:15], v[6:7], v[14:15]
	s_waitcnt vmcnt(22)
	v_fma_f64 v[40:41], v[2:3], v[16:17], -v[40:41]
	v_fma_f64 v[16:17], v[4:5], v[16:17], v[42:43]
	ds_read_b128 v[2:5], v1 offset:2000
	s_waitcnt vmcnt(20) lgkmcnt(1)
	v_mul_f64 v[42:43], v[10:11], v[18:19]
	v_mul_f64 v[18:19], v[12:13], v[18:19]
	s_waitcnt vmcnt(18)
	v_fma_f64 v[44:45], v[6:7], v[20:21], -v[44:45]
	v_fma_f64 v[14:15], v[8:9], v[20:21], v[14:15]
	ds_read_b128 v[6:9], v1 offset:2016
	s_waitcnt vmcnt(14) lgkmcnt(1)
	v_mul_f64 v[20:21], v[2:3], v[22:23]
	v_add_f64 v[40:41], v[40:41], 0
	v_add_f64 v[16:17], v[16:17], 0
	v_mul_f64 v[22:23], v[4:5], v[22:23]
	s_waitcnt vmcnt(12)
	v_fma_f64 v[18:19], v[10:11], v[28:29], -v[18:19]
	v_fma_f64 v[28:29], v[12:13], v[28:29], v[42:43]
	ds_read_b128 v[10:13], v1 offset:2032
	v_add_f64 v[40:41], v[40:41], v[44:45]
	v_add_f64 v[14:15], v[16:17], v[14:15]
	s_waitcnt vmcnt(11) lgkmcnt(1)
	v_mul_f64 v[16:17], v[6:7], v[24:25]
	v_mul_f64 v[24:25], v[8:9], v[24:25]
	s_waitcnt vmcnt(9)
	v_fma_f64 v[1:2], v[2:3], v[30:31], -v[22:23]
	v_fma_f64 v[3:4], v[4:5], v[30:31], v[20:21]
	s_waitcnt vmcnt(7) lgkmcnt(0)
	v_mul_f64 v[22:23], v[12:13], v[32:33]
	v_mul_f64 v[20:21], v[10:11], v[32:33]
	v_add_f64 v[18:19], v[40:41], v[18:19]
	v_add_f64 v[14:15], v[14:15], v[28:29]
	s_waitcnt vmcnt(6)
	v_fma_f64 v[5:6], v[6:7], v[26:27], -v[24:25]
	v_fma_f64 v[7:8], v[8:9], v[26:27], v[16:17]
	s_waitcnt vmcnt(4)
	v_fma_f64 v[9:10], v[10:11], v[34:35], -v[22:23]
	v_add_f64 v[1:2], v[18:19], v[1:2]
	v_add_f64 v[3:4], v[14:15], v[3:4]
	v_add_f64 v[1:2], v[1:2], v[5:6]
	v_fma_f64 v[5:6], v[12:13], v[34:35], v[20:21]
	v_add_f64 v[3:4], v[3:4], v[7:8]
	v_add_f64 v[1:2], v[1:2], v[9:10]
	;; [unrolled: 1-line block ×3, first 2 shown]
	s_waitcnt vmcnt(2)
	v_add_f64 v[1:2], v[36:37], -v[1:2]
	s_waitcnt vmcnt(0)
	v_add_f64 v[3:4], v[38:39], -v[3:4]
	buffer_store_dword v2, off, s[0:3], 0 offset:932
	buffer_store_dword v1, off, s[0:3], 0 offset:928
	;; [unrolled: 1-line block ×4, first 2 shown]
	v_cmpx_lt_u32_e32 56, v0
	s_cbranch_execz .LBB63_297
; %bb.296:
	v_mov_b32_e32 v4, s19
	v_mov_b32_e32 v5, 0
	s_clause 0x3
	buffer_load_dword v1, v4, s[0:3], 0 offen
	buffer_load_dword v2, v4, s[0:3], 0 offen offset:4
	buffer_load_dword v3, v4, s[0:3], 0 offen offset:8
	;; [unrolled: 1-line block ×3, first 2 shown]
	buffer_store_dword v5, off, s[0:3], 0 offset:912
	buffer_store_dword v5, off, s[0:3], 0 offset:916
	;; [unrolled: 1-line block ×4, first 2 shown]
	s_waitcnt vmcnt(0)
	ds_write_b128 v69, v[1:4]
.LBB63_297:
	s_or_b32 exec_lo, exec_lo, s4
	s_waitcnt lgkmcnt(0)
	s_waitcnt_vscnt null, 0x0
	s_barrier
	buffer_gl0_inv
	s_clause 0x1f
	buffer_load_dword v10, off, s[0:3], 0 offset:936
	buffer_load_dword v11, off, s[0:3], 0 offset:940
	;; [unrolled: 1-line block ×32, first 2 shown]
	v_mov_b32_e32 v1, 0
	ds_read_b128 v[2:5], v1 offset:1936
	ds_read_b128 v[6:9], v1 offset:1952
	s_mov_b32 s4, exec_lo
	s_waitcnt vmcnt(30) lgkmcnt(1)
	v_mul_f64 v[44:45], v[4:5], v[10:11]
	v_mul_f64 v[46:47], v[2:3], v[10:11]
	s_waitcnt vmcnt(28) lgkmcnt(0)
	v_mul_f64 v[48:49], v[8:9], v[14:15]
	ds_read_b128 v[10:13], v1 offset:1968
	v_mul_f64 v[14:15], v[6:7], v[14:15]
	s_waitcnt vmcnt(26)
	v_fma_f64 v[44:45], v[2:3], v[16:17], -v[44:45]
	v_fma_f64 v[16:17], v[4:5], v[16:17], v[46:47]
	ds_read_b128 v[2:5], v1 offset:1984
	s_waitcnt vmcnt(24) lgkmcnt(1)
	v_mul_f64 v[46:47], v[10:11], v[18:19]
	v_mul_f64 v[18:19], v[12:13], v[18:19]
	s_waitcnt vmcnt(22)
	v_fma_f64 v[48:49], v[6:7], v[20:21], -v[48:49]
	v_fma_f64 v[14:15], v[8:9], v[20:21], v[14:15]
	ds_read_b128 v[6:9], v1 offset:2000
	s_waitcnt vmcnt(18) lgkmcnt(1)
	v_mul_f64 v[20:21], v[2:3], v[22:23]
	v_add_f64 v[44:45], v[44:45], 0
	v_add_f64 v[16:17], v[16:17], 0
	v_mul_f64 v[22:23], v[4:5], v[22:23]
	s_waitcnt vmcnt(16)
	v_fma_f64 v[18:19], v[10:11], v[28:29], -v[18:19]
	v_fma_f64 v[28:29], v[12:13], v[28:29], v[46:47]
	ds_read_b128 v[10:13], v1 offset:2016
	s_waitcnt vmcnt(13)
	v_fma_f64 v[20:21], v[4:5], v[30:31], v[20:21]
	v_add_f64 v[44:45], v[44:45], v[48:49]
	v_add_f64 v[14:15], v[16:17], v[14:15]
	s_waitcnt lgkmcnt(1)
	v_mul_f64 v[16:17], v[6:7], v[24:25]
	v_mul_f64 v[24:25], v[8:9], v[24:25]
	v_fma_f64 v[22:23], v[2:3], v[30:31], -v[22:23]
	s_waitcnt vmcnt(9) lgkmcnt(0)
	v_mul_f64 v[30:31], v[12:13], v[32:33]
	ds_read_b128 v[2:5], v1 offset:2032
	v_add_f64 v[18:19], v[44:45], v[18:19]
	v_add_f64 v[14:15], v[14:15], v[28:29]
	v_mul_f64 v[28:29], v[10:11], v[32:33]
	s_waitcnt vmcnt(8)
	v_fma_f64 v[6:7], v[6:7], v[26:27], -v[24:25]
	v_fma_f64 v[8:9], v[8:9], v[26:27], v[16:17]
	s_waitcnt vmcnt(5)
	v_fma_f64 v[10:11], v[10:11], v[38:39], -v[30:31]
	s_waitcnt lgkmcnt(0)
	v_mul_f64 v[16:17], v[2:3], v[34:35]
	v_add_f64 v[18:19], v[18:19], v[22:23]
	v_add_f64 v[14:15], v[14:15], v[20:21]
	v_mul_f64 v[20:21], v[4:5], v[34:35]
	v_fma_f64 v[12:13], v[12:13], v[38:39], v[28:29]
	s_waitcnt vmcnt(4)
	v_fma_f64 v[4:5], v[4:5], v[36:37], v[16:17]
	v_add_f64 v[6:7], v[18:19], v[6:7]
	v_add_f64 v[8:9], v[14:15], v[8:9]
	v_fma_f64 v[2:3], v[2:3], v[36:37], -v[20:21]
	v_add_f64 v[6:7], v[6:7], v[10:11]
	v_add_f64 v[8:9], v[8:9], v[12:13]
	;; [unrolled: 1-line block ×4, first 2 shown]
	s_waitcnt vmcnt(2)
	v_add_f64 v[2:3], v[40:41], -v[2:3]
	s_waitcnt vmcnt(0)
	v_add_f64 v[4:5], v[42:43], -v[4:5]
	buffer_store_dword v3, off, s[0:3], 0 offset:916
	buffer_store_dword v2, off, s[0:3], 0 offset:912
	;; [unrolled: 1-line block ×4, first 2 shown]
	v_cmpx_lt_u32_e32 55, v0
	s_cbranch_execz .LBB63_299
; %bb.298:
	v_mov_b32_e32 v5, s22
	s_clause 0x3
	buffer_load_dword v2, v5, s[0:3], 0 offen
	buffer_load_dword v3, v5, s[0:3], 0 offen offset:4
	buffer_load_dword v4, v5, s[0:3], 0 offen offset:8
	;; [unrolled: 1-line block ×3, first 2 shown]
	buffer_store_dword v1, off, s[0:3], 0 offset:896
	buffer_store_dword v1, off, s[0:3], 0 offset:900
	;; [unrolled: 1-line block ×4, first 2 shown]
	s_waitcnt vmcnt(0)
	ds_write_b128 v69, v[2:5]
.LBB63_299:
	s_or_b32 exec_lo, exec_lo, s4
	s_waitcnt lgkmcnt(0)
	s_waitcnt_vscnt null, 0x0
	s_barrier
	buffer_gl0_inv
	s_clause 0x23
	buffer_load_dword v10, off, s[0:3], 0 offset:920
	buffer_load_dword v11, off, s[0:3], 0 offset:924
	;; [unrolled: 1-line block ×36, first 2 shown]
	ds_read_b128 v[2:5], v1 offset:1920
	ds_read_b128 v[6:9], v1 offset:1936
	s_mov_b32 s4, exec_lo
	s_waitcnt vmcnt(34) lgkmcnt(1)
	v_mul_f64 v[48:49], v[4:5], v[10:11]
	v_mul_f64 v[50:51], v[2:3], v[10:11]
	s_waitcnt vmcnt(32) lgkmcnt(0)
	v_mul_f64 v[52:53], v[8:9], v[14:15]
	ds_read_b128 v[10:13], v1 offset:1952
	v_mul_f64 v[14:15], v[6:7], v[14:15]
	s_waitcnt vmcnt(30)
	v_fma_f64 v[48:49], v[2:3], v[16:17], -v[48:49]
	v_fma_f64 v[16:17], v[4:5], v[16:17], v[50:51]
	ds_read_b128 v[2:5], v1 offset:1968
	s_waitcnt vmcnt(28) lgkmcnt(1)
	v_mul_f64 v[50:51], v[10:11], v[18:19]
	v_mul_f64 v[18:19], v[12:13], v[18:19]
	s_waitcnt vmcnt(26)
	v_fma_f64 v[52:53], v[6:7], v[20:21], -v[52:53]
	v_fma_f64 v[14:15], v[8:9], v[20:21], v[14:15]
	ds_read_b128 v[6:9], v1 offset:1984
	s_waitcnt vmcnt(22) lgkmcnt(1)
	v_mul_f64 v[20:21], v[2:3], v[22:23]
	v_add_f64 v[48:49], v[48:49], 0
	v_add_f64 v[16:17], v[16:17], 0
	v_mul_f64 v[22:23], v[4:5], v[22:23]
	s_waitcnt vmcnt(20)
	v_fma_f64 v[18:19], v[10:11], v[28:29], -v[18:19]
	v_fma_f64 v[28:29], v[12:13], v[28:29], v[50:51]
	ds_read_b128 v[10:13], v1 offset:2000
	s_waitcnt vmcnt(17)
	v_fma_f64 v[20:21], v[4:5], v[30:31], v[20:21]
	v_add_f64 v[48:49], v[48:49], v[52:53]
	v_add_f64 v[14:15], v[16:17], v[14:15]
	s_waitcnt lgkmcnt(1)
	v_mul_f64 v[16:17], v[6:7], v[24:25]
	v_mul_f64 v[24:25], v[8:9], v[24:25]
	v_fma_f64 v[22:23], v[2:3], v[30:31], -v[22:23]
	s_waitcnt vmcnt(13) lgkmcnt(0)
	v_mul_f64 v[30:31], v[12:13], v[32:33]
	ds_read_b128 v[2:5], v1 offset:2016
	v_add_f64 v[18:19], v[48:49], v[18:19]
	v_add_f64 v[14:15], v[14:15], v[28:29]
	v_mul_f64 v[28:29], v[10:11], v[32:33]
	s_waitcnt vmcnt(12)
	v_fma_f64 v[24:25], v[6:7], v[26:27], -v[24:25]
	v_fma_f64 v[16:17], v[8:9], v[26:27], v[16:17]
	ds_read_b128 v[6:9], v1 offset:2032
	s_waitcnt vmcnt(9)
	v_fma_f64 v[10:11], v[10:11], v[38:39], -v[30:31]
	v_add_f64 v[18:19], v[18:19], v[22:23]
	v_add_f64 v[14:15], v[14:15], v[20:21]
	s_waitcnt lgkmcnt(1)
	v_mul_f64 v[22:23], v[4:5], v[34:35]
	v_mul_f64 v[20:21], v[2:3], v[34:35]
	v_fma_f64 v[12:13], v[12:13], v[38:39], v[28:29]
	v_add_f64 v[18:19], v[18:19], v[24:25]
	v_add_f64 v[14:15], v[14:15], v[16:17]
	s_waitcnt vmcnt(7) lgkmcnt(0)
	v_mul_f64 v[24:25], v[8:9], v[40:41]
	s_waitcnt vmcnt(6)
	v_fma_f64 v[1:2], v[2:3], v[36:37], -v[22:23]
	v_mul_f64 v[16:17], v[6:7], v[40:41]
	v_fma_f64 v[3:4], v[4:5], v[36:37], v[20:21]
	v_add_f64 v[10:11], v[18:19], v[10:11]
	v_add_f64 v[12:13], v[14:15], v[12:13]
	s_waitcnt vmcnt(4)
	v_fma_f64 v[5:6], v[6:7], v[42:43], -v[24:25]
	v_fma_f64 v[7:8], v[8:9], v[42:43], v[16:17]
	v_add_f64 v[1:2], v[10:11], v[1:2]
	v_add_f64 v[3:4], v[12:13], v[3:4]
	;; [unrolled: 1-line block ×4, first 2 shown]
	s_waitcnt vmcnt(2)
	v_add_f64 v[1:2], v[44:45], -v[1:2]
	s_waitcnt vmcnt(0)
	v_add_f64 v[3:4], v[46:47], -v[3:4]
	buffer_store_dword v2, off, s[0:3], 0 offset:900
	buffer_store_dword v1, off, s[0:3], 0 offset:896
	;; [unrolled: 1-line block ×4, first 2 shown]
	v_cmpx_lt_u32_e32 54, v0
	s_cbranch_execz .LBB63_301
; %bb.300:
	v_mov_b32_e32 v4, s23
	v_mov_b32_e32 v5, 0
	s_clause 0x3
	buffer_load_dword v1, v4, s[0:3], 0 offen
	buffer_load_dword v2, v4, s[0:3], 0 offen offset:4
	buffer_load_dword v3, v4, s[0:3], 0 offen offset:8
	;; [unrolled: 1-line block ×3, first 2 shown]
	buffer_store_dword v5, off, s[0:3], 0 offset:880
	buffer_store_dword v5, off, s[0:3], 0 offset:884
	;; [unrolled: 1-line block ×4, first 2 shown]
	s_waitcnt vmcnt(0)
	ds_write_b128 v69, v[1:4]
.LBB63_301:
	s_or_b32 exec_lo, exec_lo, s4
	s_waitcnt lgkmcnt(0)
	s_waitcnt_vscnt null, 0x0
	s_barrier
	buffer_gl0_inv
	s_clause 0x27
	buffer_load_dword v10, off, s[0:3], 0 offset:904
	buffer_load_dword v11, off, s[0:3], 0 offset:908
	;; [unrolled: 1-line block ×40, first 2 shown]
	v_mov_b32_e32 v1, 0
	ds_read_b128 v[2:5], v1 offset:1904
	ds_read_b128 v[6:9], v1 offset:1920
	s_mov_b32 s4, exec_lo
	s_waitcnt vmcnt(38) lgkmcnt(1)
	v_mul_f64 v[52:53], v[4:5], v[10:11]
	v_mul_f64 v[54:55], v[2:3], v[10:11]
	s_waitcnt vmcnt(36) lgkmcnt(0)
	v_mul_f64 v[56:57], v[8:9], v[14:15]
	ds_read_b128 v[10:13], v1 offset:1936
	v_mul_f64 v[14:15], v[6:7], v[14:15]
	s_waitcnt vmcnt(34)
	v_fma_f64 v[52:53], v[2:3], v[16:17], -v[52:53]
	v_fma_f64 v[16:17], v[4:5], v[16:17], v[54:55]
	ds_read_b128 v[2:5], v1 offset:1952
	s_waitcnt vmcnt(32) lgkmcnt(1)
	v_mul_f64 v[54:55], v[10:11], v[18:19]
	v_mul_f64 v[18:19], v[12:13], v[18:19]
	s_waitcnt vmcnt(30)
	v_fma_f64 v[56:57], v[6:7], v[20:21], -v[56:57]
	v_fma_f64 v[14:15], v[8:9], v[20:21], v[14:15]
	ds_read_b128 v[6:9], v1 offset:1968
	s_waitcnt vmcnt(26) lgkmcnt(1)
	v_mul_f64 v[20:21], v[2:3], v[22:23]
	v_add_f64 v[52:53], v[52:53], 0
	v_add_f64 v[16:17], v[16:17], 0
	v_mul_f64 v[22:23], v[4:5], v[22:23]
	s_waitcnt vmcnt(24)
	v_fma_f64 v[18:19], v[10:11], v[28:29], -v[18:19]
	v_fma_f64 v[28:29], v[12:13], v[28:29], v[54:55]
	ds_read_b128 v[10:13], v1 offset:1984
	s_waitcnt vmcnt(21)
	v_fma_f64 v[20:21], v[4:5], v[30:31], v[20:21]
	v_add_f64 v[52:53], v[52:53], v[56:57]
	v_add_f64 v[14:15], v[16:17], v[14:15]
	s_waitcnt lgkmcnt(1)
	v_mul_f64 v[16:17], v[6:7], v[24:25]
	v_mul_f64 v[24:25], v[8:9], v[24:25]
	v_fma_f64 v[22:23], v[2:3], v[30:31], -v[22:23]
	s_waitcnt vmcnt(17) lgkmcnt(0)
	v_mul_f64 v[30:31], v[12:13], v[32:33]
	ds_read_b128 v[2:5], v1 offset:2000
	v_add_f64 v[18:19], v[52:53], v[18:19]
	v_add_f64 v[14:15], v[14:15], v[28:29]
	v_mul_f64 v[28:29], v[10:11], v[32:33]
	s_waitcnt vmcnt(16)
	v_fma_f64 v[24:25], v[6:7], v[26:27], -v[24:25]
	v_fma_f64 v[16:17], v[8:9], v[26:27], v[16:17]
	ds_read_b128 v[6:9], v1 offset:2016
	s_waitcnt vmcnt(13)
	v_fma_f64 v[26:27], v[10:11], v[38:39], -v[30:31]
	v_add_f64 v[18:19], v[18:19], v[22:23]
	v_add_f64 v[14:15], v[14:15], v[20:21]
	s_waitcnt lgkmcnt(1)
	v_mul_f64 v[22:23], v[4:5], v[34:35]
	v_mul_f64 v[20:21], v[2:3], v[34:35]
	v_add_f64 v[18:19], v[18:19], v[24:25]
	v_fma_f64 v[24:25], v[12:13], v[38:39], v[28:29]
	v_add_f64 v[14:15], v[14:15], v[16:17]
	s_waitcnt vmcnt(9) lgkmcnt(0)
	v_mul_f64 v[28:29], v[8:9], v[40:41]
	s_waitcnt vmcnt(8)
	v_fma_f64 v[2:3], v[2:3], v[36:37], -v[22:23]
	ds_read_b128 v[10:13], v1 offset:2032
	v_mul_f64 v[16:17], v[6:7], v[40:41]
	v_fma_f64 v[4:5], v[4:5], v[36:37], v[20:21]
	v_add_f64 v[18:19], v[18:19], v[26:27]
	v_add_f64 v[14:15], v[14:15], v[24:25]
	s_waitcnt vmcnt(7) lgkmcnt(0)
	v_mul_f64 v[22:23], v[12:13], v[42:43]
	s_waitcnt vmcnt(5)
	v_fma_f64 v[6:7], v[6:7], v[46:47], -v[28:29]
	v_mul_f64 v[20:21], v[10:11], v[42:43]
	v_fma_f64 v[8:9], v[8:9], v[46:47], v[16:17]
	v_add_f64 v[2:3], v[18:19], v[2:3]
	v_add_f64 v[4:5], v[14:15], v[4:5]
	s_waitcnt vmcnt(4)
	v_fma_f64 v[10:11], v[10:11], v[44:45], -v[22:23]
	v_add_f64 v[2:3], v[2:3], v[6:7]
	v_fma_f64 v[6:7], v[12:13], v[44:45], v[20:21]
	v_add_f64 v[4:5], v[4:5], v[8:9]
	v_add_f64 v[2:3], v[2:3], v[10:11]
	;; [unrolled: 1-line block ×3, first 2 shown]
	s_waitcnt vmcnt(2)
	v_add_f64 v[2:3], v[48:49], -v[2:3]
	s_waitcnt vmcnt(0)
	v_add_f64 v[4:5], v[50:51], -v[4:5]
	buffer_store_dword v3, off, s[0:3], 0 offset:884
	buffer_store_dword v2, off, s[0:3], 0 offset:880
	;; [unrolled: 1-line block ×4, first 2 shown]
	v_cmpx_lt_u32_e32 53, v0
	s_cbranch_execz .LBB63_303
; %bb.302:
	v_mov_b32_e32 v5, s24
	s_clause 0x3
	buffer_load_dword v2, v5, s[0:3], 0 offen
	buffer_load_dword v3, v5, s[0:3], 0 offen offset:4
	buffer_load_dword v4, v5, s[0:3], 0 offen offset:8
	;; [unrolled: 1-line block ×3, first 2 shown]
	buffer_store_dword v1, off, s[0:3], 0 offset:864
	buffer_store_dword v1, off, s[0:3], 0 offset:868
	;; [unrolled: 1-line block ×4, first 2 shown]
	s_waitcnt vmcnt(0)
	ds_write_b128 v69, v[2:5]
.LBB63_303:
	s_or_b32 exec_lo, exec_lo, s4
	s_waitcnt lgkmcnt(0)
	s_waitcnt_vscnt null, 0x0
	s_barrier
	buffer_gl0_inv
	s_clause 0x2b
	buffer_load_dword v10, off, s[0:3], 0 offset:888
	buffer_load_dword v11, off, s[0:3], 0 offset:892
	;; [unrolled: 1-line block ×44, first 2 shown]
	ds_read_b128 v[2:5], v1 offset:1888
	ds_read_b128 v[6:9], v1 offset:1904
	s_mov_b32 s4, exec_lo
	s_waitcnt vmcnt(42) lgkmcnt(1)
	v_mul_f64 v[56:57], v[4:5], v[10:11]
	v_mul_f64 v[58:59], v[2:3], v[10:11]
	s_waitcnt vmcnt(40) lgkmcnt(0)
	v_mul_f64 v[60:61], v[8:9], v[14:15]
	ds_read_b128 v[10:13], v1 offset:1920
	v_mul_f64 v[14:15], v[6:7], v[14:15]
	s_waitcnt vmcnt(38)
	v_fma_f64 v[56:57], v[2:3], v[16:17], -v[56:57]
	v_fma_f64 v[16:17], v[4:5], v[16:17], v[58:59]
	ds_read_b128 v[2:5], v1 offset:1936
	s_waitcnt vmcnt(36) lgkmcnt(1)
	v_mul_f64 v[58:59], v[10:11], v[18:19]
	v_mul_f64 v[18:19], v[12:13], v[18:19]
	s_waitcnt vmcnt(34)
	v_fma_f64 v[60:61], v[6:7], v[20:21], -v[60:61]
	v_fma_f64 v[14:15], v[8:9], v[20:21], v[14:15]
	ds_read_b128 v[6:9], v1 offset:1952
	s_waitcnt vmcnt(32) lgkmcnt(1)
	v_mul_f64 v[20:21], v[2:3], v[22:23]
	v_add_f64 v[56:57], v[56:57], 0
	v_add_f64 v[16:17], v[16:17], 0
	v_mul_f64 v[22:23], v[4:5], v[22:23]
	s_waitcnt vmcnt(30)
	v_fma_f64 v[18:19], v[10:11], v[24:25], -v[18:19]
	v_fma_f64 v[24:25], v[12:13], v[24:25], v[58:59]
	ds_read_b128 v[10:13], v1 offset:1968
	s_waitcnt vmcnt(26)
	v_fma_f64 v[20:21], v[4:5], v[28:29], v[20:21]
	v_add_f64 v[56:57], v[56:57], v[60:61]
	v_add_f64 v[14:15], v[16:17], v[14:15]
	s_waitcnt lgkmcnt(1)
	v_mul_f64 v[16:17], v[6:7], v[26:27]
	v_mul_f64 v[26:27], v[8:9], v[26:27]
	v_fma_f64 v[22:23], v[2:3], v[28:29], -v[22:23]
	s_waitcnt vmcnt(24) lgkmcnt(0)
	v_mul_f64 v[28:29], v[12:13], v[30:31]
	ds_read_b128 v[2:5], v1 offset:1984
	v_add_f64 v[18:19], v[56:57], v[18:19]
	v_add_f64 v[14:15], v[14:15], v[24:25]
	v_mul_f64 v[24:25], v[10:11], v[30:31]
	s_waitcnt vmcnt(22)
	v_fma_f64 v[26:27], v[6:7], v[32:33], -v[26:27]
	v_fma_f64 v[16:17], v[8:9], v[32:33], v[16:17]
	ds_read_b128 v[6:9], v1 offset:2000
	s_waitcnt vmcnt(18)
	v_fma_f64 v[28:29], v[10:11], v[36:37], -v[28:29]
	v_add_f64 v[18:19], v[18:19], v[22:23]
	v_add_f64 v[14:15], v[14:15], v[20:21]
	s_waitcnt lgkmcnt(1)
	v_mul_f64 v[22:23], v[4:5], v[34:35]
	v_mul_f64 v[20:21], v[2:3], v[34:35]
	v_fma_f64 v[24:25], v[12:13], v[36:37], v[24:25]
	ds_read_b128 v[10:13], v1 offset:2016
	v_add_f64 v[18:19], v[18:19], v[26:27]
	v_add_f64 v[14:15], v[14:15], v[16:17]
	s_waitcnt vmcnt(16) lgkmcnt(1)
	v_mul_f64 v[26:27], v[8:9], v[38:39]
	s_waitcnt vmcnt(14)
	v_fma_f64 v[22:23], v[2:3], v[40:41], -v[22:23]
	v_mul_f64 v[16:17], v[6:7], v[38:39]
	v_fma_f64 v[20:21], v[4:5], v[40:41], v[20:21]
	ds_read_b128 v[1:4], v1 offset:2032
	v_add_f64 v[18:19], v[18:19], v[28:29]
	v_add_f64 v[14:15], v[14:15], v[24:25]
	s_waitcnt vmcnt(12) lgkmcnt(1)
	v_mul_f64 v[28:29], v[12:13], v[42:43]
	s_waitcnt vmcnt(10)
	v_fma_f64 v[5:6], v[6:7], v[44:45], -v[26:27]
	v_mul_f64 v[24:25], v[10:11], v[42:43]
	v_fma_f64 v[7:8], v[8:9], v[44:45], v[16:17]
	s_waitcnt vmcnt(8) lgkmcnt(0)
	v_mul_f64 v[16:17], v[1:2], v[46:47]
	v_add_f64 v[18:19], v[18:19], v[22:23]
	v_add_f64 v[14:15], v[14:15], v[20:21]
	v_mul_f64 v[20:21], v[3:4], v[46:47]
	s_waitcnt vmcnt(6)
	v_fma_f64 v[9:10], v[10:11], v[48:49], -v[28:29]
	v_fma_f64 v[11:12], v[12:13], v[48:49], v[24:25]
	s_waitcnt vmcnt(4)
	v_fma_f64 v[3:4], v[3:4], v[50:51], v[16:17]
	v_add_f64 v[5:6], v[18:19], v[5:6]
	v_add_f64 v[7:8], v[14:15], v[7:8]
	v_fma_f64 v[1:2], v[1:2], v[50:51], -v[20:21]
	v_add_f64 v[5:6], v[5:6], v[9:10]
	v_add_f64 v[7:8], v[7:8], v[11:12]
	;; [unrolled: 1-line block ×4, first 2 shown]
	s_waitcnt vmcnt(2)
	v_add_f64 v[1:2], v[52:53], -v[1:2]
	s_waitcnt vmcnt(0)
	v_add_f64 v[3:4], v[54:55], -v[3:4]
	buffer_store_dword v2, off, s[0:3], 0 offset:868
	buffer_store_dword v1, off, s[0:3], 0 offset:864
	;; [unrolled: 1-line block ×4, first 2 shown]
	v_cmpx_lt_u32_e32 52, v0
	s_cbranch_execz .LBB63_305
; %bb.304:
	v_mov_b32_e32 v4, s25
	v_mov_b32_e32 v5, 0
	s_clause 0x3
	buffer_load_dword v1, v4, s[0:3], 0 offen
	buffer_load_dword v2, v4, s[0:3], 0 offen offset:4
	buffer_load_dword v3, v4, s[0:3], 0 offen offset:8
	;; [unrolled: 1-line block ×3, first 2 shown]
	buffer_store_dword v5, off, s[0:3], 0 offset:848
	buffer_store_dword v5, off, s[0:3], 0 offset:852
	;; [unrolled: 1-line block ×4, first 2 shown]
	s_waitcnt vmcnt(0)
	ds_write_b128 v69, v[1:4]
.LBB63_305:
	s_or_b32 exec_lo, exec_lo, s4
	s_waitcnt lgkmcnt(0)
	s_waitcnt_vscnt null, 0x0
	s_barrier
	buffer_gl0_inv
	s_clause 0x2f
	buffer_load_dword v10, off, s[0:3], 0 offset:872
	buffer_load_dword v11, off, s[0:3], 0 offset:876
	;; [unrolled: 1-line block ×48, first 2 shown]
	v_mov_b32_e32 v1, 0
	ds_read_b128 v[2:5], v1 offset:1872
	ds_read_b128 v[6:9], v1 offset:1888
	s_mov_b32 s4, exec_lo
	s_waitcnt vmcnt(46) lgkmcnt(1)
	v_mul_f64 v[60:61], v[4:5], v[10:11]
	v_mul_f64 v[62:63], v[2:3], v[10:11]
	s_waitcnt vmcnt(44) lgkmcnt(0)
	v_mul_f64 v[64:65], v[8:9], v[14:15]
	ds_read_b128 v[10:13], v1 offset:1904
	v_mul_f64 v[14:15], v[6:7], v[14:15]
	s_waitcnt vmcnt(42)
	v_fma_f64 v[60:61], v[2:3], v[16:17], -v[60:61]
	v_fma_f64 v[16:17], v[4:5], v[16:17], v[62:63]
	ds_read_b128 v[2:5], v1 offset:1920
	s_waitcnt vmcnt(40) lgkmcnt(1)
	v_mul_f64 v[62:63], v[10:11], v[18:19]
	v_mul_f64 v[18:19], v[12:13], v[18:19]
	s_waitcnt vmcnt(38)
	v_fma_f64 v[64:65], v[6:7], v[20:21], -v[64:65]
	v_fma_f64 v[14:15], v[8:9], v[20:21], v[14:15]
	ds_read_b128 v[6:9], v1 offset:1936
	s_waitcnt vmcnt(34) lgkmcnt(1)
	v_mul_f64 v[20:21], v[2:3], v[22:23]
	v_add_f64 v[60:61], v[60:61], 0
	v_add_f64 v[16:17], v[16:17], 0
	v_mul_f64 v[22:23], v[4:5], v[22:23]
	s_waitcnt vmcnt(32)
	v_fma_f64 v[18:19], v[10:11], v[28:29], -v[18:19]
	v_fma_f64 v[28:29], v[12:13], v[28:29], v[62:63]
	ds_read_b128 v[10:13], v1 offset:1952
	s_waitcnt vmcnt(29)
	v_fma_f64 v[20:21], v[4:5], v[30:31], v[20:21]
	v_add_f64 v[60:61], v[60:61], v[64:65]
	v_add_f64 v[14:15], v[16:17], v[14:15]
	s_waitcnt lgkmcnt(1)
	v_mul_f64 v[16:17], v[6:7], v[24:25]
	v_mul_f64 v[24:25], v[8:9], v[24:25]
	v_fma_f64 v[22:23], v[2:3], v[30:31], -v[22:23]
	s_waitcnt vmcnt(25) lgkmcnt(0)
	v_mul_f64 v[30:31], v[12:13], v[32:33]
	ds_read_b128 v[2:5], v1 offset:1968
	v_add_f64 v[18:19], v[60:61], v[18:19]
	v_add_f64 v[14:15], v[14:15], v[28:29]
	v_mul_f64 v[28:29], v[10:11], v[32:33]
	s_waitcnt vmcnt(24)
	v_fma_f64 v[24:25], v[6:7], v[26:27], -v[24:25]
	v_fma_f64 v[16:17], v[8:9], v[26:27], v[16:17]
	ds_read_b128 v[6:9], v1 offset:1984
	s_waitcnt vmcnt(21)
	v_fma_f64 v[26:27], v[10:11], v[38:39], -v[30:31]
	v_add_f64 v[18:19], v[18:19], v[22:23]
	v_add_f64 v[14:15], v[14:15], v[20:21]
	s_waitcnt lgkmcnt(1)
	v_mul_f64 v[22:23], v[4:5], v[34:35]
	v_mul_f64 v[20:21], v[2:3], v[34:35]
	v_add_f64 v[18:19], v[18:19], v[24:25]
	v_fma_f64 v[24:25], v[12:13], v[38:39], v[28:29]
	v_add_f64 v[14:15], v[14:15], v[16:17]
	s_waitcnt vmcnt(17) lgkmcnt(0)
	v_mul_f64 v[28:29], v[8:9], v[40:41]
	s_waitcnt vmcnt(16)
	v_fma_f64 v[22:23], v[2:3], v[36:37], -v[22:23]
	ds_read_b128 v[10:13], v1 offset:2000
	v_mul_f64 v[16:17], v[6:7], v[40:41]
	v_fma_f64 v[20:21], v[4:5], v[36:37], v[20:21]
	ds_read_b128 v[2:5], v1 offset:2016
	v_add_f64 v[18:19], v[18:19], v[26:27]
	v_add_f64 v[14:15], v[14:15], v[24:25]
	s_waitcnt vmcnt(15) lgkmcnt(1)
	v_mul_f64 v[26:27], v[12:13], v[42:43]
	s_waitcnt vmcnt(13)
	v_fma_f64 v[28:29], v[6:7], v[46:47], -v[28:29]
	v_mul_f64 v[24:25], v[10:11], v[42:43]
	v_fma_f64 v[16:17], v[8:9], v[46:47], v[16:17]
	ds_read_b128 v[6:9], v1 offset:2032
	v_add_f64 v[18:19], v[18:19], v[22:23]
	s_waitcnt vmcnt(9) lgkmcnt(1)
	v_mul_f64 v[22:23], v[4:5], v[48:49]
	v_add_f64 v[14:15], v[14:15], v[20:21]
	s_waitcnt vmcnt(8)
	v_fma_f64 v[10:11], v[10:11], v[44:45], -v[26:27]
	v_mul_f64 v[20:21], v[2:3], v[48:49]
	v_fma_f64 v[12:13], v[12:13], v[44:45], v[24:25]
	s_waitcnt vmcnt(7) lgkmcnt(0)
	v_mul_f64 v[24:25], v[8:9], v[50:51]
	v_add_f64 v[18:19], v[18:19], v[28:29]
	s_waitcnt vmcnt(5)
	v_fma_f64 v[2:3], v[2:3], v[54:55], -v[22:23]
	v_add_f64 v[14:15], v[14:15], v[16:17]
	v_mul_f64 v[16:17], v[6:7], v[50:51]
	v_fma_f64 v[4:5], v[4:5], v[54:55], v[20:21]
	s_waitcnt vmcnt(4)
	v_fma_f64 v[6:7], v[6:7], v[52:53], -v[24:25]
	v_add_f64 v[10:11], v[18:19], v[10:11]
	v_add_f64 v[12:13], v[14:15], v[12:13]
	v_fma_f64 v[8:9], v[8:9], v[52:53], v[16:17]
	v_add_f64 v[2:3], v[10:11], v[2:3]
	v_add_f64 v[4:5], v[12:13], v[4:5]
	;; [unrolled: 1-line block ×4, first 2 shown]
	s_waitcnt vmcnt(2)
	v_add_f64 v[2:3], v[56:57], -v[2:3]
	s_waitcnt vmcnt(0)
	v_add_f64 v[4:5], v[58:59], -v[4:5]
	buffer_store_dword v3, off, s[0:3], 0 offset:852
	buffer_store_dword v2, off, s[0:3], 0 offset:848
	;; [unrolled: 1-line block ×4, first 2 shown]
	v_cmpx_lt_u32_e32 51, v0
	s_cbranch_execz .LBB63_307
; %bb.306:
	v_mov_b32_e32 v5, s26
	s_clause 0x3
	buffer_load_dword v2, v5, s[0:3], 0 offen
	buffer_load_dword v3, v5, s[0:3], 0 offen offset:4
	buffer_load_dword v4, v5, s[0:3], 0 offen offset:8
	;; [unrolled: 1-line block ×3, first 2 shown]
	buffer_store_dword v1, off, s[0:3], 0 offset:832
	buffer_store_dword v1, off, s[0:3], 0 offset:836
	;; [unrolled: 1-line block ×4, first 2 shown]
	s_waitcnt vmcnt(0)
	ds_write_b128 v69, v[2:5]
.LBB63_307:
	s_or_b32 exec_lo, exec_lo, s4
	s_waitcnt lgkmcnt(0)
	s_waitcnt_vscnt null, 0x0
	s_barrier
	buffer_gl0_inv
	s_clause 0x2f
	buffer_load_dword v10, off, s[0:3], 0 offset:856
	buffer_load_dword v11, off, s[0:3], 0 offset:860
	;; [unrolled: 1-line block ×48, first 2 shown]
	ds_read_b128 v[2:5], v1 offset:1856
	s_clause 0x3
	buffer_load_dword v60, off, s[0:3], 0 offset:832
	buffer_load_dword v61, off, s[0:3], 0 offset:836
	;; [unrolled: 1-line block ×4, first 2 shown]
	ds_read_b128 v[6:9], v1 offset:1872
	s_mov_b32 s4, exec_lo
	s_waitcnt vmcnt(50) lgkmcnt(1)
	v_mul_f64 v[64:65], v[4:5], v[10:11]
	v_mul_f64 v[66:67], v[2:3], v[10:11]
	ds_read_b128 v[10:13], v1 offset:1888
	s_waitcnt vmcnt(48) lgkmcnt(1)
	v_mul_f64 v[70:71], v[8:9], v[14:15]
	v_mul_f64 v[14:15], v[6:7], v[14:15]
	s_waitcnt vmcnt(46)
	v_fma_f64 v[64:65], v[2:3], v[16:17], -v[64:65]
	v_fma_f64 v[16:17], v[4:5], v[16:17], v[66:67]
	s_waitcnt vmcnt(44) lgkmcnt(0)
	v_mul_f64 v[66:67], v[10:11], v[18:19]
	v_mul_f64 v[18:19], v[12:13], v[18:19]
	s_waitcnt vmcnt(42)
	v_fma_f64 v[70:71], v[6:7], v[20:21], -v[70:71]
	ds_read_b128 v[2:5], v1 offset:1904
	v_fma_f64 v[14:15], v[8:9], v[20:21], v[14:15]
	ds_read_b128 v[6:9], v1 offset:1920
	v_add_f64 v[64:65], v[64:65], 0
	v_add_f64 v[16:17], v[16:17], 0
	s_waitcnt vmcnt(38) lgkmcnt(1)
	v_mul_f64 v[20:21], v[2:3], v[22:23]
	v_mul_f64 v[22:23], v[4:5], v[22:23]
	s_waitcnt vmcnt(36)
	v_fma_f64 v[18:19], v[10:11], v[28:29], -v[18:19]
	v_fma_f64 v[28:29], v[12:13], v[28:29], v[66:67]
	ds_read_b128 v[10:13], v1 offset:1936
	v_add_f64 v[64:65], v[64:65], v[70:71]
	v_add_f64 v[14:15], v[16:17], v[14:15]
	s_waitcnt vmcnt(35) lgkmcnt(1)
	v_mul_f64 v[16:17], v[6:7], v[24:25]
	v_mul_f64 v[24:25], v[8:9], v[24:25]
	s_waitcnt vmcnt(33)
	v_fma_f64 v[22:23], v[2:3], v[30:31], -v[22:23]
	v_fma_f64 v[20:21], v[4:5], v[30:31], v[20:21]
	ds_read_b128 v[2:5], v1 offset:1952
	s_waitcnt vmcnt(29) lgkmcnt(1)
	v_mul_f64 v[30:31], v[12:13], v[32:33]
	v_add_f64 v[18:19], v[64:65], v[18:19]
	v_add_f64 v[14:15], v[14:15], v[28:29]
	v_mul_f64 v[28:29], v[10:11], v[32:33]
	s_waitcnt vmcnt(28)
	v_fma_f64 v[24:25], v[6:7], v[26:27], -v[24:25]
	v_fma_f64 v[16:17], v[8:9], v[26:27], v[16:17]
	ds_read_b128 v[6:9], v1 offset:1968
	s_waitcnt vmcnt(25)
	v_fma_f64 v[26:27], v[10:11], v[38:39], -v[30:31]
	v_add_f64 v[18:19], v[18:19], v[22:23]
	v_add_f64 v[14:15], v[14:15], v[20:21]
	s_waitcnt lgkmcnt(1)
	v_mul_f64 v[22:23], v[4:5], v[34:35]
	v_mul_f64 v[20:21], v[2:3], v[34:35]
	v_add_f64 v[18:19], v[18:19], v[24:25]
	v_fma_f64 v[24:25], v[12:13], v[38:39], v[28:29]
	v_add_f64 v[14:15], v[14:15], v[16:17]
	ds_read_b128 v[10:13], v1 offset:1984
	s_waitcnt vmcnt(21) lgkmcnt(1)
	v_mul_f64 v[28:29], v[8:9], v[40:41]
	s_waitcnt vmcnt(20)
	v_fma_f64 v[22:23], v[2:3], v[36:37], -v[22:23]
	v_mul_f64 v[16:17], v[6:7], v[40:41]
	v_fma_f64 v[20:21], v[4:5], v[36:37], v[20:21]
	ds_read_b128 v[2:5], v1 offset:2000
	v_add_f64 v[18:19], v[18:19], v[26:27]
	s_waitcnt vmcnt(19) lgkmcnt(1)
	v_mul_f64 v[26:27], v[12:13], v[42:43]
	v_add_f64 v[14:15], v[14:15], v[24:25]
	v_mul_f64 v[24:25], v[10:11], v[42:43]
	s_waitcnt vmcnt(17)
	v_fma_f64 v[28:29], v[6:7], v[46:47], -v[28:29]
	v_fma_f64 v[16:17], v[8:9], v[46:47], v[16:17]
	ds_read_b128 v[6:9], v1 offset:2016
	v_add_f64 v[18:19], v[18:19], v[22:23]
	s_waitcnt vmcnt(13) lgkmcnt(1)
	v_mul_f64 v[22:23], v[4:5], v[48:49]
	v_add_f64 v[14:15], v[14:15], v[20:21]
	s_waitcnt vmcnt(12)
	v_fma_f64 v[26:27], v[10:11], v[44:45], -v[26:27]
	v_mul_f64 v[20:21], v[2:3], v[48:49]
	v_fma_f64 v[24:25], v[12:13], v[44:45], v[24:25]
	ds_read_b128 v[10:13], v1 offset:2032
	v_add_f64 v[18:19], v[18:19], v[28:29]
	s_waitcnt vmcnt(11) lgkmcnt(1)
	v_mul_f64 v[28:29], v[8:9], v[50:51]
	v_add_f64 v[14:15], v[14:15], v[16:17]
	s_waitcnt vmcnt(9)
	v_fma_f64 v[1:2], v[2:3], v[54:55], -v[22:23]
	v_mul_f64 v[16:17], v[6:7], v[50:51]
	v_fma_f64 v[3:4], v[4:5], v[54:55], v[20:21]
	s_waitcnt vmcnt(7) lgkmcnt(0)
	v_mul_f64 v[22:23], v[12:13], v[56:57]
	v_mul_f64 v[20:21], v[10:11], v[56:57]
	v_add_f64 v[18:19], v[18:19], v[26:27]
	s_waitcnt vmcnt(6)
	v_fma_f64 v[5:6], v[6:7], v[52:53], -v[28:29]
	v_add_f64 v[14:15], v[14:15], v[24:25]
	v_fma_f64 v[7:8], v[8:9], v[52:53], v[16:17]
	s_waitcnt vmcnt(4)
	v_fma_f64 v[9:10], v[10:11], v[58:59], -v[22:23]
	v_add_f64 v[1:2], v[18:19], v[1:2]
	v_add_f64 v[3:4], v[14:15], v[3:4]
	;; [unrolled: 1-line block ×3, first 2 shown]
	v_fma_f64 v[5:6], v[12:13], v[58:59], v[20:21]
	v_add_f64 v[3:4], v[3:4], v[7:8]
	v_add_f64 v[1:2], v[1:2], v[9:10]
	;; [unrolled: 1-line block ×3, first 2 shown]
	s_waitcnt vmcnt(2)
	v_add_f64 v[1:2], v[60:61], -v[1:2]
	s_waitcnt vmcnt(0)
	v_add_f64 v[3:4], v[62:63], -v[3:4]
	buffer_store_dword v2, off, s[0:3], 0 offset:836
	buffer_store_dword v1, off, s[0:3], 0 offset:832
	;; [unrolled: 1-line block ×4, first 2 shown]
	v_cmpx_lt_u32_e32 50, v0
	s_cbranch_execz .LBB63_309
; %bb.308:
	v_mov_b32_e32 v4, s27
	v_mov_b32_e32 v5, 0
	s_clause 0x3
	buffer_load_dword v1, v4, s[0:3], 0 offen
	buffer_load_dword v2, v4, s[0:3], 0 offen offset:4
	buffer_load_dword v3, v4, s[0:3], 0 offen offset:8
	;; [unrolled: 1-line block ×3, first 2 shown]
	buffer_store_dword v5, off, s[0:3], 0 offset:816
	buffer_store_dword v5, off, s[0:3], 0 offset:820
	;; [unrolled: 1-line block ×4, first 2 shown]
	s_waitcnt vmcnt(0)
	ds_write_b128 v69, v[1:4]
.LBB63_309:
	s_or_b32 exec_lo, exec_lo, s4
	s_waitcnt lgkmcnt(0)
	s_waitcnt_vscnt null, 0x0
	s_barrier
	buffer_gl0_inv
	s_clause 0x33
	buffer_load_dword v10, off, s[0:3], 0 offset:840
	buffer_load_dword v11, off, s[0:3], 0 offset:844
	;; [unrolled: 1-line block ×52, first 2 shown]
	v_mov_b32_e32 v1, 0
	ds_read_b128 v[2:5], v1 offset:1840
	ds_read_b128 v[6:9], v1 offset:1856
	s_clause 0x3
	buffer_load_dword v70, off, s[0:3], 0 offset:816
	buffer_load_dword v71, off, s[0:3], 0 offset:820
	;; [unrolled: 1-line block ×4, first 2 shown]
	s_mov_b32 s4, exec_lo
	s_waitcnt vmcnt(54) lgkmcnt(1)
	v_mul_f64 v[64:65], v[4:5], v[10:11]
	v_mul_f64 v[66:67], v[2:3], v[10:11]
	s_waitcnt vmcnt(52) lgkmcnt(0)
	v_mul_f64 v[74:75], v[8:9], v[14:15]
	ds_read_b128 v[10:13], v1 offset:1872
	v_mul_f64 v[14:15], v[6:7], v[14:15]
	s_waitcnt vmcnt(50)
	v_fma_f64 v[64:65], v[2:3], v[16:17], -v[64:65]
	v_fma_f64 v[16:17], v[4:5], v[16:17], v[66:67]
	ds_read_b128 v[2:5], v1 offset:1888
	s_waitcnt vmcnt(48) lgkmcnt(1)
	v_mul_f64 v[66:67], v[10:11], v[18:19]
	v_mul_f64 v[18:19], v[12:13], v[18:19]
	s_waitcnt vmcnt(46)
	v_fma_f64 v[74:75], v[6:7], v[20:21], -v[74:75]
	v_fma_f64 v[14:15], v[8:9], v[20:21], v[14:15]
	ds_read_b128 v[6:9], v1 offset:1904
	s_waitcnt vmcnt(42) lgkmcnt(1)
	v_mul_f64 v[20:21], v[2:3], v[22:23]
	v_add_f64 v[64:65], v[64:65], 0
	v_add_f64 v[16:17], v[16:17], 0
	v_mul_f64 v[22:23], v[4:5], v[22:23]
	s_waitcnt vmcnt(40)
	v_fma_f64 v[18:19], v[10:11], v[28:29], -v[18:19]
	v_fma_f64 v[28:29], v[12:13], v[28:29], v[66:67]
	ds_read_b128 v[10:13], v1 offset:1920
	s_waitcnt vmcnt(37)
	v_fma_f64 v[20:21], v[4:5], v[30:31], v[20:21]
	v_add_f64 v[64:65], v[64:65], v[74:75]
	v_add_f64 v[14:15], v[16:17], v[14:15]
	s_waitcnt lgkmcnt(1)
	v_mul_f64 v[16:17], v[6:7], v[24:25]
	v_mul_f64 v[24:25], v[8:9], v[24:25]
	v_fma_f64 v[22:23], v[2:3], v[30:31], -v[22:23]
	s_waitcnt vmcnt(33) lgkmcnt(0)
	v_mul_f64 v[30:31], v[12:13], v[32:33]
	ds_read_b128 v[2:5], v1 offset:1936
	v_add_f64 v[18:19], v[64:65], v[18:19]
	v_add_f64 v[14:15], v[14:15], v[28:29]
	v_mul_f64 v[28:29], v[10:11], v[32:33]
	s_waitcnt vmcnt(32)
	v_fma_f64 v[24:25], v[6:7], v[26:27], -v[24:25]
	v_fma_f64 v[16:17], v[8:9], v[26:27], v[16:17]
	ds_read_b128 v[6:9], v1 offset:1952
	s_waitcnt vmcnt(29)
	v_fma_f64 v[26:27], v[10:11], v[38:39], -v[30:31]
	v_add_f64 v[18:19], v[18:19], v[22:23]
	v_add_f64 v[14:15], v[14:15], v[20:21]
	s_waitcnt lgkmcnt(1)
	v_mul_f64 v[22:23], v[4:5], v[34:35]
	v_mul_f64 v[20:21], v[2:3], v[34:35]
	v_add_f64 v[18:19], v[18:19], v[24:25]
	v_fma_f64 v[24:25], v[12:13], v[38:39], v[28:29]
	v_add_f64 v[14:15], v[14:15], v[16:17]
	s_waitcnt vmcnt(25) lgkmcnt(0)
	v_mul_f64 v[28:29], v[8:9], v[40:41]
	s_waitcnt vmcnt(24)
	v_fma_f64 v[22:23], v[2:3], v[36:37], -v[22:23]
	ds_read_b128 v[10:13], v1 offset:1968
	v_mul_f64 v[16:17], v[6:7], v[40:41]
	v_fma_f64 v[20:21], v[4:5], v[36:37], v[20:21]
	ds_read_b128 v[2:5], v1 offset:1984
	v_add_f64 v[18:19], v[18:19], v[26:27]
	v_add_f64 v[14:15], v[14:15], v[24:25]
	s_waitcnt vmcnt(23) lgkmcnt(1)
	v_mul_f64 v[26:27], v[12:13], v[42:43]
	s_waitcnt vmcnt(21)
	v_fma_f64 v[28:29], v[6:7], v[46:47], -v[28:29]
	v_mul_f64 v[24:25], v[10:11], v[42:43]
	v_fma_f64 v[16:17], v[8:9], v[46:47], v[16:17]
	ds_read_b128 v[6:9], v1 offset:2000
	v_add_f64 v[18:19], v[18:19], v[22:23]
	s_waitcnt vmcnt(17) lgkmcnt(1)
	v_mul_f64 v[22:23], v[4:5], v[48:49]
	v_add_f64 v[14:15], v[14:15], v[20:21]
	s_waitcnt vmcnt(16)
	v_fma_f64 v[26:27], v[10:11], v[44:45], -v[26:27]
	v_mul_f64 v[20:21], v[2:3], v[48:49]
	v_fma_f64 v[24:25], v[12:13], v[44:45], v[24:25]
	ds_read_b128 v[10:13], v1 offset:2016
	v_add_f64 v[18:19], v[18:19], v[28:29]
	s_waitcnt vmcnt(15) lgkmcnt(1)
	v_mul_f64 v[28:29], v[8:9], v[50:51]
	v_add_f64 v[14:15], v[14:15], v[16:17]
	;; [unrolled: 9-line block ×3, first 2 shown]
	s_waitcnt vmcnt(8)
	v_fma_f64 v[6:7], v[6:7], v[52:53], -v[28:29]
	v_mul_f64 v[24:25], v[10:11], v[56:57]
	v_fma_f64 v[8:9], v[8:9], v[52:53], v[16:17]
	s_waitcnt vmcnt(7) lgkmcnt(0)
	v_mul_f64 v[16:17], v[2:3], v[58:59]
	v_add_f64 v[18:19], v[18:19], v[22:23]
	s_waitcnt vmcnt(5)
	v_fma_f64 v[10:11], v[10:11], v[62:63], -v[26:27]
	v_add_f64 v[14:15], v[14:15], v[20:21]
	v_mul_f64 v[20:21], v[4:5], v[58:59]
	v_fma_f64 v[12:13], v[12:13], v[62:63], v[24:25]
	s_waitcnt vmcnt(4)
	v_fma_f64 v[4:5], v[4:5], v[60:61], v[16:17]
	v_add_f64 v[6:7], v[18:19], v[6:7]
	v_add_f64 v[8:9], v[14:15], v[8:9]
	v_fma_f64 v[2:3], v[2:3], v[60:61], -v[20:21]
	v_add_f64 v[6:7], v[6:7], v[10:11]
	v_add_f64 v[8:9], v[8:9], v[12:13]
	v_add_f64 v[2:3], v[6:7], v[2:3]
	v_add_f64 v[4:5], v[8:9], v[4:5]
	s_waitcnt vmcnt(2)
	v_add_f64 v[2:3], v[70:71], -v[2:3]
	s_waitcnt vmcnt(0)
	v_add_f64 v[4:5], v[72:73], -v[4:5]
	buffer_store_dword v3, off, s[0:3], 0 offset:820
	buffer_store_dword v2, off, s[0:3], 0 offset:816
	;; [unrolled: 1-line block ×4, first 2 shown]
	v_cmpx_lt_u32_e32 49, v0
	s_cbranch_execz .LBB63_311
; %bb.310:
	v_mov_b32_e32 v5, s28
	s_clause 0x3
	buffer_load_dword v2, v5, s[0:3], 0 offen
	buffer_load_dword v3, v5, s[0:3], 0 offen offset:4
	buffer_load_dword v4, v5, s[0:3], 0 offen offset:8
	;; [unrolled: 1-line block ×3, first 2 shown]
	buffer_store_dword v1, off, s[0:3], 0 offset:800
	buffer_store_dword v1, off, s[0:3], 0 offset:804
	;; [unrolled: 1-line block ×4, first 2 shown]
	s_waitcnt vmcnt(0)
	ds_write_b128 v69, v[2:5]
.LBB63_311:
	s_or_b32 exec_lo, exec_lo, s4
	s_waitcnt lgkmcnt(0)
	s_waitcnt_vscnt null, 0x0
	s_barrier
	buffer_gl0_inv
	s_clause 0x35
	buffer_load_dword v10, off, s[0:3], 0 offset:824
	buffer_load_dword v11, off, s[0:3], 0 offset:828
	buffer_load_dword v14, off, s[0:3], 0 offset:840
	buffer_load_dword v15, off, s[0:3], 0 offset:844
	buffer_load_dword v16, off, s[0:3], 0 offset:816
	buffer_load_dword v17, off, s[0:3], 0 offset:820
	buffer_load_dword v18, off, s[0:3], 0 offset:856
	buffer_load_dword v19, off, s[0:3], 0 offset:860
	buffer_load_dword v20, off, s[0:3], 0 offset:832
	buffer_load_dword v21, off, s[0:3], 0 offset:836
	buffer_load_dword v23, off, s[0:3], 0 offset:876
	buffer_load_dword v24, off, s[0:3], 0 offset:888
	buffer_load_dword v26, off, s[0:3], 0 offset:880
	buffer_load_dword v22, off, s[0:3], 0 offset:872
	buffer_load_dword v28, off, s[0:3], 0 offset:848
	buffer_load_dword v29, off, s[0:3], 0 offset:852
	buffer_load_dword v25, off, s[0:3], 0 offset:892
	buffer_load_dword v31, off, s[0:3], 0 offset:868
	buffer_load_dword v30, off, s[0:3], 0 offset:864
	buffer_load_dword v33, off, s[0:3], 0 offset:908
	buffer_load_dword v34, off, s[0:3], 0 offset:920
	buffer_load_dword v36, off, s[0:3], 0 offset:912
	buffer_load_dword v32, off, s[0:3], 0 offset:904
	buffer_load_dword v27, off, s[0:3], 0 offset:884
	buffer_load_dword v35, off, s[0:3], 0 offset:924
	buffer_load_dword v39, off, s[0:3], 0 offset:900
	buffer_load_dword v38, off, s[0:3], 0 offset:896
	buffer_load_dword v41, off, s[0:3], 0 offset:940
	buffer_load_dword v42, off, s[0:3], 0 offset:952
	buffer_load_dword v44, off, s[0:3], 0 offset:944
	buffer_load_dword v40, off, s[0:3], 0 offset:936
	buffer_load_dword v37, off, s[0:3], 0 offset:916
	buffer_load_dword v43, off, s[0:3], 0 offset:956
	buffer_load_dword v47, off, s[0:3], 0 offset:932
	buffer_load_dword v46, off, s[0:3], 0 offset:928
	buffer_load_dword v49, off, s[0:3], 0 offset:972
	buffer_load_dword v50, off, s[0:3], 0 offset:984
	buffer_load_dword v52, off, s[0:3], 0 offset:976
	buffer_load_dword v48, off, s[0:3], 0 offset:968
	buffer_load_dword v45, off, s[0:3], 0 offset:948
	buffer_load_dword v51, off, s[0:3], 0 offset:988
	buffer_load_dword v55, off, s[0:3], 0 offset:964
	buffer_load_dword v54, off, s[0:3], 0 offset:960
	buffer_load_dword v57, off, s[0:3], 0 offset:1004
	buffer_load_dword v58, off, s[0:3], 0 offset:1016
	buffer_load_dword v60, off, s[0:3], 0 offset:1008
	buffer_load_dword v56, off, s[0:3], 0 offset:1000
	buffer_load_dword v53, off, s[0:3], 0 offset:980
	buffer_load_dword v59, off, s[0:3], 0 offset:1020
	buffer_load_dword v63, off, s[0:3], 0 offset:996
	buffer_load_dword v62, off, s[0:3], 0 offset:992
	buffer_load_dword v65, off, s[0:3], 0 offset:1036
	buffer_load_dword v64, off, s[0:3], 0 offset:1032
	buffer_load_dword v61, off, s[0:3], 0 offset:1012
	ds_read_b128 v[2:5], v1 offset:1824
	s_clause 0x1
	buffer_load_dword v67, off, s[0:3], 0 offset:1028
	buffer_load_dword v66, off, s[0:3], 0 offset:1024
	ds_read_b128 v[6:9], v1 offset:1840
	s_mov_b32 s4, exec_lo
	s_waitcnt vmcnt(54) lgkmcnt(1)
	v_mul_f64 v[70:71], v[4:5], v[10:11]
	v_mul_f64 v[72:73], v[2:3], v[10:11]
	ds_read_b128 v[10:13], v1 offset:1856
	s_waitcnt vmcnt(52) lgkmcnt(1)
	v_mul_f64 v[74:75], v[8:9], v[14:15]
	v_mul_f64 v[14:15], v[6:7], v[14:15]
	s_waitcnt vmcnt(48) lgkmcnt(0)
	v_mul_f64 v[78:79], v[10:11], v[18:19]
	v_fma_f64 v[70:71], v[2:3], v[16:17], -v[70:71]
	v_fma_f64 v[16:17], v[4:5], v[16:17], v[72:73]
	s_clause 0x3
	buffer_load_dword v72, off, s[0:3], 0 offset:800
	buffer_load_dword v73, off, s[0:3], 0 offset:804
	;; [unrolled: 1-line block ×4, first 2 shown]
	v_mul_f64 v[18:19], v[12:13], v[18:19]
	s_waitcnt vmcnt(50)
	v_fma_f64 v[74:75], v[6:7], v[20:21], -v[74:75]
	ds_read_b128 v[2:5], v1 offset:1872
	v_fma_f64 v[14:15], v[8:9], v[20:21], v[14:15]
	ds_read_b128 v[6:9], v1 offset:1888
	v_add_f64 v[70:71], v[70:71], 0
	v_add_f64 v[16:17], v[16:17], 0
	s_waitcnt vmcnt(46) lgkmcnt(1)
	v_mul_f64 v[20:21], v[2:3], v[22:23]
	v_mul_f64 v[22:23], v[4:5], v[22:23]
	s_waitcnt vmcnt(44)
	v_fma_f64 v[18:19], v[10:11], v[28:29], -v[18:19]
	v_fma_f64 v[28:29], v[12:13], v[28:29], v[78:79]
	ds_read_b128 v[10:13], v1 offset:1904
	v_add_f64 v[70:71], v[70:71], v[74:75]
	v_add_f64 v[14:15], v[16:17], v[14:15]
	s_waitcnt vmcnt(43) lgkmcnt(1)
	v_mul_f64 v[16:17], v[6:7], v[24:25]
	v_mul_f64 v[24:25], v[8:9], v[24:25]
	s_waitcnt vmcnt(41)
	v_fma_f64 v[22:23], v[2:3], v[30:31], -v[22:23]
	v_fma_f64 v[20:21], v[4:5], v[30:31], v[20:21]
	ds_read_b128 v[2:5], v1 offset:1920
	s_waitcnt vmcnt(37) lgkmcnt(1)
	v_mul_f64 v[30:31], v[12:13], v[32:33]
	v_add_f64 v[18:19], v[70:71], v[18:19]
	v_add_f64 v[14:15], v[14:15], v[28:29]
	v_mul_f64 v[28:29], v[10:11], v[32:33]
	s_waitcnt vmcnt(36)
	v_fma_f64 v[24:25], v[6:7], v[26:27], -v[24:25]
	v_fma_f64 v[16:17], v[8:9], v[26:27], v[16:17]
	ds_read_b128 v[6:9], v1 offset:1936
	s_waitcnt vmcnt(33)
	v_fma_f64 v[26:27], v[10:11], v[38:39], -v[30:31]
	v_add_f64 v[18:19], v[18:19], v[22:23]
	v_add_f64 v[14:15], v[14:15], v[20:21]
	s_waitcnt lgkmcnt(1)
	v_mul_f64 v[22:23], v[4:5], v[34:35]
	v_mul_f64 v[20:21], v[2:3], v[34:35]
	v_add_f64 v[18:19], v[18:19], v[24:25]
	v_fma_f64 v[24:25], v[12:13], v[38:39], v[28:29]
	v_add_f64 v[14:15], v[14:15], v[16:17]
	ds_read_b128 v[10:13], v1 offset:1952
	s_waitcnt vmcnt(29) lgkmcnt(1)
	v_mul_f64 v[28:29], v[8:9], v[40:41]
	s_waitcnt vmcnt(28)
	v_fma_f64 v[22:23], v[2:3], v[36:37], -v[22:23]
	v_mul_f64 v[16:17], v[6:7], v[40:41]
	v_fma_f64 v[20:21], v[4:5], v[36:37], v[20:21]
	ds_read_b128 v[2:5], v1 offset:1968
	v_add_f64 v[18:19], v[18:19], v[26:27]
	s_waitcnt vmcnt(27) lgkmcnt(1)
	v_mul_f64 v[26:27], v[12:13], v[42:43]
	v_add_f64 v[14:15], v[14:15], v[24:25]
	v_mul_f64 v[24:25], v[10:11], v[42:43]
	s_waitcnt vmcnt(25)
	v_fma_f64 v[28:29], v[6:7], v[46:47], -v[28:29]
	v_fma_f64 v[16:17], v[8:9], v[46:47], v[16:17]
	ds_read_b128 v[6:9], v1 offset:1984
	v_add_f64 v[18:19], v[18:19], v[22:23]
	s_waitcnt vmcnt(21) lgkmcnt(1)
	v_mul_f64 v[22:23], v[4:5], v[48:49]
	v_add_f64 v[14:15], v[14:15], v[20:21]
	s_waitcnt vmcnt(20)
	v_fma_f64 v[26:27], v[10:11], v[44:45], -v[26:27]
	v_mul_f64 v[20:21], v[2:3], v[48:49]
	v_fma_f64 v[24:25], v[12:13], v[44:45], v[24:25]
	ds_read_b128 v[10:13], v1 offset:2000
	v_add_f64 v[18:19], v[18:19], v[28:29]
	s_waitcnt vmcnt(19) lgkmcnt(1)
	v_mul_f64 v[28:29], v[8:9], v[50:51]
	v_add_f64 v[14:15], v[14:15], v[16:17]
	s_waitcnt vmcnt(17)
	v_fma_f64 v[22:23], v[2:3], v[54:55], -v[22:23]
	v_mul_f64 v[16:17], v[6:7], v[50:51]
	;; [unrolled: 9-line block ×4, first 2 shown]
	v_fma_f64 v[12:13], v[12:13], v[62:63], v[24:25]
	s_waitcnt vmcnt(7) lgkmcnt(0)
	v_mul_f64 v[24:25], v[8:9], v[64:65]
	v_add_f64 v[18:19], v[18:19], v[28:29]
	s_waitcnt vmcnt(6)
	v_fma_f64 v[1:2], v[2:3], v[60:61], -v[22:23]
	v_add_f64 v[14:15], v[14:15], v[16:17]
	v_mul_f64 v[16:17], v[6:7], v[64:65]
	v_fma_f64 v[3:4], v[4:5], v[60:61], v[20:21]
	s_waitcnt vmcnt(4)
	v_fma_f64 v[5:6], v[6:7], v[66:67], -v[24:25]
	v_add_f64 v[10:11], v[18:19], v[10:11]
	v_add_f64 v[12:13], v[14:15], v[12:13]
	v_fma_f64 v[7:8], v[8:9], v[66:67], v[16:17]
	v_add_f64 v[1:2], v[10:11], v[1:2]
	v_add_f64 v[3:4], v[12:13], v[3:4]
	v_add_f64 v[1:2], v[1:2], v[5:6]
	v_add_f64 v[3:4], v[3:4], v[7:8]
	s_waitcnt vmcnt(2)
	v_add_f64 v[1:2], v[72:73], -v[1:2]
	s_waitcnt vmcnt(0)
	v_add_f64 v[3:4], v[76:77], -v[3:4]
	buffer_store_dword v2, off, s[0:3], 0 offset:804
	buffer_store_dword v1, off, s[0:3], 0 offset:800
	;; [unrolled: 1-line block ×4, first 2 shown]
	v_cmpx_lt_u32_e32 48, v0
	s_cbranch_execz .LBB63_313
; %bb.312:
	v_mov_b32_e32 v4, s29
	v_mov_b32_e32 v5, 0
	s_clause 0x3
	buffer_load_dword v1, v4, s[0:3], 0 offen
	buffer_load_dword v2, v4, s[0:3], 0 offen offset:4
	buffer_load_dword v3, v4, s[0:3], 0 offen offset:8
	;; [unrolled: 1-line block ×3, first 2 shown]
	buffer_store_dword v5, off, s[0:3], 0 offset:784
	buffer_store_dword v5, off, s[0:3], 0 offset:788
	;; [unrolled: 1-line block ×4, first 2 shown]
	s_waitcnt vmcnt(0)
	ds_write_b128 v69, v[1:4]
.LBB63_313:
	s_or_b32 exec_lo, exec_lo, s4
	s_waitcnt lgkmcnt(0)
	s_waitcnt_vscnt null, 0x0
	s_barrier
	buffer_gl0_inv
	s_clause 0x37
	buffer_load_dword v10, off, s[0:3], 0 offset:808
	buffer_load_dword v11, off, s[0:3], 0 offset:812
	;; [unrolled: 1-line block ×56, first 2 shown]
	v_mov_b32_e32 v1, 0
	s_mov_b32 s4, exec_lo
	ds_read_b128 v[2:5], v1 offset:1808
	s_clause 0x2
	buffer_load_dword v67, off, s[0:3], 0 offset:1036
	buffer_load_dword v73, off, s[0:3], 0 offset:1012
	;; [unrolled: 1-line block ×3, first 2 shown]
	ds_read_b128 v[6:9], v1 offset:1824
	buffer_load_dword v71, off, s[0:3], 0 offset:1028
	s_waitcnt vmcnt(58) lgkmcnt(1)
	v_mul_f64 v[74:75], v[4:5], v[10:11]
	v_mul_f64 v[76:77], v[2:3], v[10:11]
	ds_read_b128 v[10:13], v1 offset:1840
	s_waitcnt vmcnt(56) lgkmcnt(1)
	v_mul_f64 v[78:79], v[8:9], v[14:15]
	v_mul_f64 v[14:15], v[6:7], v[14:15]
	s_waitcnt vmcnt(54)
	v_fma_f64 v[74:75], v[2:3], v[16:17], -v[74:75]
	v_fma_f64 v[16:17], v[4:5], v[16:17], v[76:77]
	s_waitcnt vmcnt(52) lgkmcnt(0)
	v_mul_f64 v[76:77], v[10:11], v[18:19]
	v_mul_f64 v[18:19], v[12:13], v[18:19]
	s_waitcnt vmcnt(50)
	v_fma_f64 v[78:79], v[6:7], v[20:21], -v[78:79]
	ds_read_b128 v[2:5], v1 offset:1856
	v_fma_f64 v[14:15], v[8:9], v[20:21], v[14:15]
	s_clause 0x3
	buffer_load_dword v20, off, s[0:3], 0 offset:784
	buffer_load_dword v21, off, s[0:3], 0 offset:788
	;; [unrolled: 1-line block ×4, first 2 shown]
	ds_read_b128 v[6:9], v1 offset:1872
	v_add_f64 v[74:75], v[74:75], 0
	v_add_f64 v[16:17], v[16:17], 0
	s_waitcnt vmcnt(50) lgkmcnt(1)
	v_mul_f64 v[82:83], v[2:3], v[22:23]
	v_mul_f64 v[22:23], v[4:5], v[22:23]
	s_waitcnt vmcnt(48)
	v_fma_f64 v[18:19], v[10:11], v[28:29], -v[18:19]
	v_fma_f64 v[28:29], v[12:13], v[28:29], v[76:77]
	ds_read_b128 v[10:13], v1 offset:1888
	v_add_f64 v[74:75], v[74:75], v[78:79]
	v_add_f64 v[14:15], v[16:17], v[14:15]
	s_waitcnt vmcnt(47) lgkmcnt(1)
	v_mul_f64 v[16:17], v[6:7], v[24:25]
	v_mul_f64 v[24:25], v[8:9], v[24:25]
	s_waitcnt vmcnt(45)
	v_fma_f64 v[22:23], v[2:3], v[30:31], -v[22:23]
	v_fma_f64 v[30:31], v[4:5], v[30:31], v[82:83]
	;; [unrolled: 9-line block ×3, first 2 shown]
	ds_read_b128 v[6:9], v1 offset:1920
	s_waitcnt vmcnt(39) lgkmcnt(1)
	v_mul_f64 v[26:27], v[4:5], v[34:35]
	v_add_f64 v[18:19], v[18:19], v[22:23]
	v_add_f64 v[14:15], v[14:15], v[30:31]
	v_mul_f64 v[22:23], v[2:3], v[34:35]
	s_waitcnt vmcnt(37)
	v_fma_f64 v[30:31], v[10:11], v[38:39], -v[32:33]
	s_waitcnt vmcnt(32)
	v_fma_f64 v[26:27], v[2:3], v[36:37], -v[26:27]
	v_add_f64 v[18:19], v[18:19], v[24:25]
	v_fma_f64 v[24:25], v[12:13], v[38:39], v[28:29]
	v_add_f64 v[14:15], v[14:15], v[16:17]
	s_waitcnt lgkmcnt(0)
	v_mul_f64 v[28:29], v[8:9], v[40:41]
	ds_read_b128 v[10:13], v1 offset:1936
	v_mul_f64 v[16:17], v[6:7], v[40:41]
	v_fma_f64 v[22:23], v[4:5], v[36:37], v[22:23]
	ds_read_b128 v[2:5], v1 offset:1952
	v_add_f64 v[18:19], v[18:19], v[30:31]
	v_add_f64 v[14:15], v[14:15], v[24:25]
	s_waitcnt vmcnt(31) lgkmcnt(1)
	v_mul_f64 v[30:31], v[12:13], v[42:43]
	s_waitcnt vmcnt(29)
	v_fma_f64 v[28:29], v[6:7], v[46:47], -v[28:29]
	v_mul_f64 v[24:25], v[10:11], v[42:43]
	v_fma_f64 v[16:17], v[8:9], v[46:47], v[16:17]
	ds_read_b128 v[6:9], v1 offset:1968
	v_add_f64 v[18:19], v[18:19], v[26:27]
	s_waitcnt vmcnt(25) lgkmcnt(1)
	v_mul_f64 v[26:27], v[4:5], v[48:49]
	v_add_f64 v[14:15], v[14:15], v[22:23]
	s_waitcnt vmcnt(24)
	v_fma_f64 v[30:31], v[10:11], v[44:45], -v[30:31]
	v_mul_f64 v[22:23], v[2:3], v[48:49]
	v_fma_f64 v[24:25], v[12:13], v[44:45], v[24:25]
	ds_read_b128 v[10:13], v1 offset:1984
	v_add_f64 v[18:19], v[18:19], v[28:29]
	s_waitcnt vmcnt(23) lgkmcnt(1)
	v_mul_f64 v[28:29], v[8:9], v[50:51]
	v_add_f64 v[14:15], v[14:15], v[16:17]
	;; [unrolled: 9-line block ×5, first 2 shown]
	s_waitcnt vmcnt(8)
	v_fma_f64 v[2:3], v[2:3], v[60:61], -v[26:27]
	v_mul_f64 v[16:17], v[6:7], v[64:65]
	v_fma_f64 v[4:5], v[4:5], v[60:61], v[22:23]
	s_waitcnt vmcnt(7) lgkmcnt(0)
	v_mul_f64 v[22:23], v[10:11], v[66:67]
	v_add_f64 v[18:19], v[18:19], v[30:31]
	s_waitcnt vmcnt(5)
	v_fma_f64 v[6:7], v[6:7], v[72:73], -v[28:29]
	v_add_f64 v[14:15], v[14:15], v[24:25]
	v_mul_f64 v[24:25], v[12:13], v[66:67]
	v_fma_f64 v[8:9], v[8:9], v[72:73], v[16:17]
	v_add_f64 v[2:3], v[18:19], v[2:3]
	v_add_f64 v[4:5], v[14:15], v[4:5]
	s_waitcnt vmcnt(4)
	v_fma_f64 v[10:11], v[10:11], v[70:71], -v[24:25]
	v_add_f64 v[2:3], v[2:3], v[6:7]
	v_fma_f64 v[6:7], v[12:13], v[70:71], v[22:23]
	v_add_f64 v[4:5], v[4:5], v[8:9]
	v_add_f64 v[2:3], v[2:3], v[10:11]
	v_add_f64 v[4:5], v[4:5], v[6:7]
	s_waitcnt vmcnt(2)
	v_add_f64 v[2:3], v[20:21], -v[2:3]
	s_waitcnt vmcnt(0)
	v_add_f64 v[4:5], v[80:81], -v[4:5]
	buffer_store_dword v3, off, s[0:3], 0 offset:788
	buffer_store_dword v2, off, s[0:3], 0 offset:784
	;; [unrolled: 1-line block ×4, first 2 shown]
	v_cmpx_lt_u32_e32 47, v0
	s_cbranch_execz .LBB63_315
; %bb.314:
	v_mov_b32_e32 v5, s30
	s_clause 0x3
	buffer_load_dword v2, v5, s[0:3], 0 offen
	buffer_load_dword v3, v5, s[0:3], 0 offen offset:4
	buffer_load_dword v4, v5, s[0:3], 0 offen offset:8
	;; [unrolled: 1-line block ×3, first 2 shown]
	buffer_store_dword v1, off, s[0:3], 0 offset:768
	buffer_store_dword v1, off, s[0:3], 0 offset:772
	buffer_store_dword v1, off, s[0:3], 0 offset:776
	buffer_store_dword v1, off, s[0:3], 0 offset:780
	s_waitcnt vmcnt(0)
	ds_write_b128 v69, v[2:5]
.LBB63_315:
	s_or_b32 exec_lo, exec_lo, s4
	s_waitcnt lgkmcnt(0)
	s_waitcnt_vscnt null, 0x0
	s_barrier
	buffer_gl0_inv
	s_clause 0x37
	buffer_load_dword v10, off, s[0:3], 0 offset:792
	buffer_load_dword v11, off, s[0:3], 0 offset:796
	;; [unrolled: 1-line block ×56, first 2 shown]
	ds_read_b128 v[2:5], v1 offset:1792
	s_clause 0x2
	buffer_load_dword v67, off, s[0:3], 0 offset:1020
	buffer_load_dword v73, off, s[0:3], 0 offset:996
	;; [unrolled: 1-line block ×3, first 2 shown]
	ds_read_b128 v[6:9], v1 offset:1808
	s_clause 0x2
	buffer_load_dword v79, off, s[0:3], 0 offset:1036
	buffer_load_dword v78, off, s[0:3], 0 offset:1032
	;; [unrolled: 1-line block ×3, first 2 shown]
	s_mov_b32 s4, exec_lo
	s_waitcnt vmcnt(60) lgkmcnt(1)
	v_mul_f64 v[74:75], v[4:5], v[10:11]
	v_mul_f64 v[76:77], v[2:3], v[10:11]
	s_waitcnt vmcnt(58) lgkmcnt(0)
	v_mul_f64 v[80:81], v[8:9], v[14:15]
	ds_read_b128 v[10:13], v1 offset:1824
	v_mul_f64 v[14:15], v[6:7], v[14:15]
	s_waitcnt vmcnt(56)
	v_fma_f64 v[74:75], v[2:3], v[16:17], -v[74:75]
	v_fma_f64 v[16:17], v[4:5], v[16:17], v[76:77]
	s_clause 0x1
	buffer_load_dword v77, off, s[0:3], 0 offset:1028
	buffer_load_dword v76, off, s[0:3], 0 offset:1024
	s_waitcnt vmcnt(56) lgkmcnt(0)
	v_mul_f64 v[82:83], v[10:11], v[18:19]
	v_mul_f64 v[18:19], v[12:13], v[18:19]
	s_waitcnt vmcnt(54)
	v_fma_f64 v[80:81], v[6:7], v[20:21], -v[80:81]
	ds_read_b128 v[2:5], v1 offset:1840
	v_fma_f64 v[14:15], v[8:9], v[20:21], v[14:15]
	ds_read_b128 v[6:9], v1 offset:1856
	v_add_f64 v[74:75], v[74:75], 0
	v_add_f64 v[16:17], v[16:17], 0
	s_waitcnt vmcnt(50) lgkmcnt(1)
	v_mul_f64 v[20:21], v[2:3], v[22:23]
	v_mul_f64 v[22:23], v[4:5], v[22:23]
	s_waitcnt vmcnt(48)
	v_fma_f64 v[18:19], v[10:11], v[28:29], -v[18:19]
	v_fma_f64 v[28:29], v[12:13], v[28:29], v[82:83]
	s_waitcnt vmcnt(47) lgkmcnt(0)
	v_mul_f64 v[82:83], v[6:7], v[24:25]
	v_mul_f64 v[24:25], v[8:9], v[24:25]
	v_add_f64 v[74:75], v[74:75], v[80:81]
	v_add_f64 v[14:15], v[16:17], v[14:15]
	s_clause 0x3
	buffer_load_dword v16, off, s[0:3], 0 offset:768
	buffer_load_dword v17, off, s[0:3], 0 offset:772
	;; [unrolled: 1-line block ×4, first 2 shown]
	ds_read_b128 v[10:13], v1 offset:1872
	s_waitcnt vmcnt(49)
	v_fma_f64 v[20:21], v[4:5], v[30:31], v[20:21]
	v_fma_f64 v[22:23], v[2:3], v[30:31], -v[22:23]
	ds_read_b128 v[2:5], v1 offset:1888
	s_waitcnt vmcnt(44)
	v_fma_f64 v[24:25], v[6:7], v[26:27], -v[24:25]
	v_add_f64 v[18:19], v[74:75], v[18:19]
	v_add_f64 v[14:15], v[14:15], v[28:29]
	s_waitcnt lgkmcnt(1)
	v_mul_f64 v[30:31], v[12:13], v[32:33]
	v_mul_f64 v[28:29], v[10:11], v[32:33]
	v_add_f64 v[18:19], v[18:19], v[22:23]
	v_fma_f64 v[22:23], v[8:9], v[26:27], v[82:83]
	v_add_f64 v[14:15], v[14:15], v[20:21]
	s_waitcnt vmcnt(43) lgkmcnt(0)
	v_mul_f64 v[26:27], v[4:5], v[34:35]
	s_waitcnt vmcnt(41)
	v_fma_f64 v[30:31], v[10:11], v[38:39], -v[30:31]
	ds_read_b128 v[6:9], v1 offset:1904
	v_mul_f64 v[20:21], v[2:3], v[34:35]
	v_add_f64 v[18:19], v[18:19], v[24:25]
	v_fma_f64 v[24:25], v[12:13], v[38:39], v[28:29]
	v_add_f64 v[14:15], v[14:15], v[22:23]
	ds_read_b128 v[10:13], v1 offset:1920
	s_waitcnt vmcnt(37) lgkmcnt(1)
	v_mul_f64 v[28:29], v[8:9], v[40:41]
	s_waitcnt vmcnt(36)
	v_fma_f64 v[26:27], v[2:3], v[36:37], -v[26:27]
	v_mul_f64 v[22:23], v[6:7], v[40:41]
	v_fma_f64 v[20:21], v[4:5], v[36:37], v[20:21]
	ds_read_b128 v[2:5], v1 offset:1936
	v_add_f64 v[18:19], v[18:19], v[30:31]
	s_waitcnt vmcnt(35) lgkmcnt(1)
	v_mul_f64 v[30:31], v[12:13], v[42:43]
	v_add_f64 v[14:15], v[14:15], v[24:25]
	v_mul_f64 v[24:25], v[10:11], v[42:43]
	s_waitcnt vmcnt(33)
	v_fma_f64 v[28:29], v[6:7], v[46:47], -v[28:29]
	v_fma_f64 v[22:23], v[8:9], v[46:47], v[22:23]
	ds_read_b128 v[6:9], v1 offset:1952
	v_add_f64 v[18:19], v[18:19], v[26:27]
	s_waitcnt vmcnt(29) lgkmcnt(1)
	v_mul_f64 v[26:27], v[4:5], v[48:49]
	v_add_f64 v[14:15], v[14:15], v[20:21]
	s_waitcnt vmcnt(28)
	v_fma_f64 v[30:31], v[10:11], v[44:45], -v[30:31]
	v_mul_f64 v[20:21], v[2:3], v[48:49]
	v_fma_f64 v[24:25], v[12:13], v[44:45], v[24:25]
	ds_read_b128 v[10:13], v1 offset:1968
	v_add_f64 v[18:19], v[18:19], v[28:29]
	s_waitcnt vmcnt(27) lgkmcnt(1)
	v_mul_f64 v[28:29], v[8:9], v[50:51]
	v_add_f64 v[14:15], v[14:15], v[22:23]
	s_waitcnt vmcnt(25)
	v_fma_f64 v[26:27], v[2:3], v[54:55], -v[26:27]
	v_mul_f64 v[22:23], v[6:7], v[50:51]
	;; [unrolled: 9-line block ×6, first 2 shown]
	v_fma_f64 v[7:8], v[8:9], v[72:73], v[22:23]
	s_waitcnt vmcnt(7) lgkmcnt(0)
	v_mul_f64 v[22:23], v[3:4], v[78:79]
	v_add_f64 v[18:19], v[18:19], v[26:27]
	s_waitcnt vmcnt(6)
	v_fma_f64 v[9:10], v[10:11], v[70:71], -v[30:31]
	v_add_f64 v[14:15], v[14:15], v[20:21]
	v_mul_f64 v[20:21], v[1:2], v[78:79]
	v_fma_f64 v[11:12], v[12:13], v[70:71], v[24:25]
	v_add_f64 v[5:6], v[18:19], v[5:6]
	v_add_f64 v[7:8], v[14:15], v[7:8]
	s_waitcnt vmcnt(4)
	v_fma_f64 v[1:2], v[1:2], v[76:77], -v[22:23]
	v_fma_f64 v[3:4], v[3:4], v[76:77], v[20:21]
	v_add_f64 v[5:6], v[5:6], v[9:10]
	v_add_f64 v[7:8], v[7:8], v[11:12]
	;; [unrolled: 1-line block ×4, first 2 shown]
	s_waitcnt vmcnt(2)
	v_add_f64 v[1:2], v[16:17], -v[1:2]
	s_waitcnt vmcnt(0)
	v_add_f64 v[3:4], v[80:81], -v[3:4]
	buffer_store_dword v2, off, s[0:3], 0 offset:772
	buffer_store_dword v1, off, s[0:3], 0 offset:768
	buffer_store_dword v4, off, s[0:3], 0 offset:780
	buffer_store_dword v3, off, s[0:3], 0 offset:776
	v_cmpx_lt_u32_e32 46, v0
	s_cbranch_execz .LBB63_317
; %bb.316:
	v_mov_b32_e32 v4, s31
	v_mov_b32_e32 v5, 0
	s_clause 0x3
	buffer_load_dword v1, v4, s[0:3], 0 offen
	buffer_load_dword v2, v4, s[0:3], 0 offen offset:4
	buffer_load_dword v3, v4, s[0:3], 0 offen offset:8
	;; [unrolled: 1-line block ×3, first 2 shown]
	buffer_store_dword v5, off, s[0:3], 0 offset:752
	buffer_store_dword v5, off, s[0:3], 0 offset:756
	;; [unrolled: 1-line block ×4, first 2 shown]
	s_waitcnt vmcnt(0)
	ds_write_b128 v69, v[1:4]
.LBB63_317:
	s_or_b32 exec_lo, exec_lo, s4
	s_waitcnt lgkmcnt(0)
	s_waitcnt_vscnt null, 0x0
	s_barrier
	buffer_gl0_inv
	s_clause 0x37
	buffer_load_dword v10, off, s[0:3], 0 offset:776
	buffer_load_dword v11, off, s[0:3], 0 offset:780
	;; [unrolled: 1-line block ×56, first 2 shown]
	v_mov_b32_e32 v1, 0
	s_mov_b32 s4, exec_lo
	ds_read_b128 v[2:5], v1 offset:1776
	s_clause 0x2
	buffer_load_dword v67, off, s[0:3], 0 offset:1004
	buffer_load_dword v73, off, s[0:3], 0 offset:980
	;; [unrolled: 1-line block ×3, first 2 shown]
	ds_read_b128 v[6:9], v1 offset:1792
	s_clause 0x4
	buffer_load_dword v79, off, s[0:3], 0 offset:1020
	buffer_load_dword v80, off, s[0:3], 0 offset:1032
	;; [unrolled: 1-line block ×5, first 2 shown]
	s_waitcnt vmcnt(62) lgkmcnt(1)
	v_mul_f64 v[74:75], v[4:5], v[10:11]
	v_mul_f64 v[76:77], v[2:3], v[10:11]
	s_waitcnt vmcnt(60) lgkmcnt(0)
	v_mul_f64 v[83:84], v[8:9], v[14:15]
	ds_read_b128 v[10:13], v1 offset:1808
	v_mul_f64 v[14:15], v[6:7], v[14:15]
	s_waitcnt vmcnt(58)
	v_fma_f64 v[74:75], v[2:3], v[16:17], -v[74:75]
	v_fma_f64 v[16:17], v[4:5], v[16:17], v[76:77]
	s_clause 0x2
	buffer_load_dword v81, off, s[0:3], 0 offset:1036
	buffer_load_dword v77, off, s[0:3], 0 offset:1012
	;; [unrolled: 1-line block ×3, first 2 shown]
	s_waitcnt vmcnt(59) lgkmcnt(0)
	v_mul_f64 v[85:86], v[10:11], v[18:19]
	v_mul_f64 v[18:19], v[12:13], v[18:19]
	s_waitcnt vmcnt(57)
	v_fma_f64 v[126:127], v[6:7], v[20:21], -v[83:84]
	ds_read_b128 v[2:5], v1 offset:1824
	v_fma_f64 v[14:15], v[8:9], v[20:21], v[14:15]
	buffer_load_dword v83, off, s[0:3], 0 offset:1028
	ds_read_b128 v[6:9], v1 offset:1840
	v_add_f64 v[74:75], v[74:75], 0
	v_add_f64 v[16:17], v[16:17], 0
	s_waitcnt vmcnt(54) lgkmcnt(1)
	v_mul_f64 v[20:21], v[2:3], v[22:23]
	v_mul_f64 v[22:23], v[4:5], v[22:23]
	s_waitcnt vmcnt(52)
	v_fma_f64 v[18:19], v[10:11], v[28:29], -v[18:19]
	v_fma_f64 v[28:29], v[12:13], v[28:29], v[85:86]
	ds_read_b128 v[10:13], v1 offset:1856
	v_add_f64 v[74:75], v[74:75], v[126:127]
	v_add_f64 v[14:15], v[16:17], v[14:15]
	s_waitcnt vmcnt(51) lgkmcnt(1)
	v_mul_f64 v[16:17], v[6:7], v[24:25]
	v_mul_f64 v[24:25], v[8:9], v[24:25]
	s_waitcnt vmcnt(49)
	v_fma_f64 v[20:21], v[4:5], v[30:31], v[20:21]
	v_fma_f64 v[22:23], v[2:3], v[30:31], -v[22:23]
	v_add_f64 v[18:19], v[74:75], v[18:19]
	v_add_f64 v[14:15], v[14:15], v[28:29]
	s_clause 0x3
	buffer_load_dword v28, off, s[0:3], 0 offset:752
	buffer_load_dword v29, off, s[0:3], 0 offset:756
	;; [unrolled: 1-line block ×4, first 2 shown]
	s_waitcnt vmcnt(49) lgkmcnt(0)
	v_mul_f64 v[74:75], v[10:11], v[32:33]
	v_mul_f64 v[32:33], v[12:13], v[32:33]
	s_waitcnt vmcnt(48)
	v_fma_f64 v[24:25], v[6:7], v[26:27], -v[24:25]
	ds_read_b128 v[2:5], v1 offset:1872
	v_fma_f64 v[16:17], v[8:9], v[26:27], v[16:17]
	ds_read_b128 v[6:9], v1 offset:1888
	v_add_f64 v[18:19], v[18:19], v[22:23]
	v_add_f64 v[14:15], v[14:15], v[20:21]
	s_waitcnt vmcnt(47) lgkmcnt(1)
	v_mul_f64 v[22:23], v[4:5], v[34:35]
	s_waitcnt vmcnt(45)
	v_fma_f64 v[26:27], v[10:11], v[38:39], -v[32:33]
	v_mul_f64 v[20:21], v[2:3], v[34:35]
	s_waitcnt vmcnt(41) lgkmcnt(0)
	v_mul_f64 v[32:33], v[8:9], v[40:41]
	v_add_f64 v[18:19], v[18:19], v[24:25]
	v_fma_f64 v[24:25], v[12:13], v[38:39], v[74:75]
	v_add_f64 v[14:15], v[14:15], v[16:17]
	ds_read_b128 v[10:13], v1 offset:1904
	s_waitcnt vmcnt(40)
	v_fma_f64 v[22:23], v[2:3], v[36:37], -v[22:23]
	v_mul_f64 v[16:17], v[6:7], v[40:41]
	v_fma_f64 v[20:21], v[4:5], v[36:37], v[20:21]
	ds_read_b128 v[2:5], v1 offset:1920
	s_waitcnt vmcnt(37)
	v_fma_f64 v[32:33], v[6:7], v[46:47], -v[32:33]
	v_add_f64 v[18:19], v[18:19], v[26:27]
	s_waitcnt lgkmcnt(1)
	v_mul_f64 v[26:27], v[12:13], v[42:43]
	v_add_f64 v[14:15], v[14:15], v[24:25]
	v_mul_f64 v[24:25], v[10:11], v[42:43]
	v_fma_f64 v[16:17], v[8:9], v[46:47], v[16:17]
	ds_read_b128 v[6:9], v1 offset:1936
	v_add_f64 v[18:19], v[18:19], v[22:23]
	s_waitcnt vmcnt(33) lgkmcnt(1)
	v_mul_f64 v[22:23], v[4:5], v[48:49]
	v_add_f64 v[14:15], v[14:15], v[20:21]
	s_waitcnt vmcnt(32)
	v_fma_f64 v[26:27], v[10:11], v[44:45], -v[26:27]
	v_mul_f64 v[20:21], v[2:3], v[48:49]
	v_fma_f64 v[24:25], v[12:13], v[44:45], v[24:25]
	ds_read_b128 v[10:13], v1 offset:1952
	v_add_f64 v[18:19], v[18:19], v[32:33]
	s_waitcnt vmcnt(31) lgkmcnt(1)
	v_mul_f64 v[32:33], v[8:9], v[50:51]
	v_add_f64 v[14:15], v[14:15], v[16:17]
	s_waitcnt vmcnt(29)
	v_fma_f64 v[22:23], v[2:3], v[54:55], -v[22:23]
	;; [unrolled: 9-line block ×7, first 2 shown]
	v_mul_f64 v[20:21], v[2:3], v[78:79]
	v_fma_f64 v[12:13], v[12:13], v[70:71], v[24:25]
	v_add_f64 v[18:19], v[18:19], v[32:33]
	v_add_f64 v[14:15], v[14:15], v[16:17]
	s_waitcnt vmcnt(7) lgkmcnt(0)
	v_mul_f64 v[24:25], v[8:9], v[80:81]
	v_mul_f64 v[16:17], v[6:7], v[80:81]
	s_waitcnt vmcnt(5)
	v_fma_f64 v[2:3], v[2:3], v[76:77], -v[22:23]
	v_fma_f64 v[4:5], v[4:5], v[76:77], v[20:21]
	v_add_f64 v[10:11], v[18:19], v[10:11]
	v_add_f64 v[12:13], v[14:15], v[12:13]
	s_waitcnt vmcnt(4)
	v_fma_f64 v[6:7], v[6:7], v[82:83], -v[24:25]
	v_fma_f64 v[8:9], v[8:9], v[82:83], v[16:17]
	v_add_f64 v[2:3], v[10:11], v[2:3]
	v_add_f64 v[4:5], v[12:13], v[4:5]
	;; [unrolled: 1-line block ×4, first 2 shown]
	s_waitcnt vmcnt(2)
	v_add_f64 v[2:3], v[28:29], -v[2:3]
	s_waitcnt vmcnt(0)
	v_add_f64 v[4:5], v[30:31], -v[4:5]
	buffer_store_dword v3, off, s[0:3], 0 offset:756
	buffer_store_dword v2, off, s[0:3], 0 offset:752
	;; [unrolled: 1-line block ×4, first 2 shown]
	v_cmpx_lt_u32_e32 45, v0
	s_cbranch_execz .LBB63_319
; %bb.318:
	v_mov_b32_e32 v5, s33
	s_clause 0x3
	buffer_load_dword v2, v5, s[0:3], 0 offen
	buffer_load_dword v3, v5, s[0:3], 0 offen offset:4
	buffer_load_dword v4, v5, s[0:3], 0 offen offset:8
	;; [unrolled: 1-line block ×3, first 2 shown]
	buffer_store_dword v1, off, s[0:3], 0 offset:736
	buffer_store_dword v1, off, s[0:3], 0 offset:740
	;; [unrolled: 1-line block ×4, first 2 shown]
	s_waitcnt vmcnt(0)
	ds_write_b128 v69, v[2:5]
.LBB63_319:
	s_or_b32 exec_lo, exec_lo, s4
	s_waitcnt lgkmcnt(0)
	s_waitcnt_vscnt null, 0x0
	s_barrier
	buffer_gl0_inv
	s_clause 0x37
	buffer_load_dword v10, off, s[0:3], 0 offset:760
	buffer_load_dword v11, off, s[0:3], 0 offset:764
	;; [unrolled: 1-line block ×56, first 2 shown]
	ds_read_b128 v[2:5], v1 offset:1760
	s_clause 0x2
	buffer_load_dword v67, off, s[0:3], 0 offset:988
	buffer_load_dword v73, off, s[0:3], 0 offset:964
	;; [unrolled: 1-line block ×3, first 2 shown]
	ds_read_b128 v[6:9], v1 offset:1776
	s_clause 0x4
	buffer_load_dword v79, off, s[0:3], 0 offset:1004
	buffer_load_dword v80, off, s[0:3], 0 offset:1016
	;; [unrolled: 1-line block ×5, first 2 shown]
	s_mov_b32 s4, exec_lo
	s_waitcnt vmcnt(62) lgkmcnt(1)
	v_mul_f64 v[74:75], v[4:5], v[10:11]
	v_mul_f64 v[76:77], v[2:3], v[10:11]
	s_waitcnt vmcnt(60) lgkmcnt(0)
	v_mul_f64 v[83:84], v[8:9], v[14:15]
	ds_read_b128 v[10:13], v1 offset:1792
	v_mul_f64 v[14:15], v[6:7], v[14:15]
	s_waitcnt vmcnt(58)
	v_fma_f64 v[74:75], v[2:3], v[16:17], -v[74:75]
	v_fma_f64 v[16:17], v[4:5], v[16:17], v[76:77]
	s_clause 0x2
	buffer_load_dword v81, off, s[0:3], 0 offset:1020
	buffer_load_dword v77, off, s[0:3], 0 offset:996
	;; [unrolled: 1-line block ×3, first 2 shown]
	s_waitcnt vmcnt(59) lgkmcnt(0)
	v_mul_f64 v[85:86], v[10:11], v[18:19]
	v_mul_f64 v[18:19], v[12:13], v[18:19]
	s_waitcnt vmcnt(57)
	v_fma_f64 v[126:127], v[6:7], v[20:21], -v[83:84]
	ds_read_b128 v[2:5], v1 offset:1808
	v_fma_f64 v[14:15], v[8:9], v[20:21], v[14:15]
	s_clause 0x2
	buffer_load_dword v21, off, s[0:3], 0 offset:1036
	buffer_load_dword v20, off, s[0:3], 0 offset:1032
	;; [unrolled: 1-line block ×3, first 2 shown]
	ds_read_b128 v[6:9], v1 offset:1824
	v_add_f64 v[74:75], v[74:75], 0
	v_add_f64 v[16:17], v[16:17], 0
	s_waitcnt vmcnt(56) lgkmcnt(1)
	v_mul_f64 v[128:129], v[2:3], v[22:23]
	v_mul_f64 v[22:23], v[4:5], v[22:23]
	s_waitcnt vmcnt(54)
	v_fma_f64 v[18:19], v[10:11], v[28:29], -v[18:19]
	v_fma_f64 v[28:29], v[12:13], v[28:29], v[85:86]
	s_waitcnt vmcnt(53) lgkmcnt(0)
	v_mul_f64 v[84:85], v[6:7], v[24:25]
	v_mul_f64 v[24:25], v[8:9], v[24:25]
	v_add_f64 v[74:75], v[74:75], v[126:127]
	v_add_f64 v[14:15], v[16:17], v[14:15]
	s_clause 0x1
	buffer_load_dword v17, off, s[0:3], 0 offset:1028
	buffer_load_dword v16, off, s[0:3], 0 offset:1024
	ds_read_b128 v[10:13], v1 offset:1840
	s_waitcnt vmcnt(53)
	v_fma_f64 v[22:23], v[2:3], v[30:31], -v[22:23]
	v_fma_f64 v[30:31], v[4:5], v[30:31], v[128:129]
	ds_read_b128 v[2:5], v1 offset:1856
	s_waitcnt vmcnt(48)
	v_fma_f64 v[24:25], v[6:7], v[26:27], -v[24:25]
	v_add_f64 v[18:19], v[74:75], v[18:19]
	v_add_f64 v[14:15], v[14:15], v[28:29]
	s_waitcnt lgkmcnt(1)
	v_mul_f64 v[28:29], v[10:11], v[32:33]
	v_mul_f64 v[32:33], v[12:13], v[32:33]
	s_waitcnt vmcnt(47) lgkmcnt(0)
	v_mul_f64 v[74:75], v[2:3], v[34:35]
	v_mul_f64 v[34:35], v[4:5], v[34:35]
	v_add_f64 v[18:19], v[18:19], v[22:23]
	v_fma_f64 v[22:23], v[8:9], v[26:27], v[84:85]
	v_add_f64 v[14:15], v[14:15], v[30:31]
	s_clause 0x3
	buffer_load_dword v26, off, s[0:3], 0 offset:736
	buffer_load_dword v27, off, s[0:3], 0 offset:740
	;; [unrolled: 1-line block ×4, first 2 shown]
	s_waitcnt vmcnt(49)
	v_fma_f64 v[32:33], v[10:11], v[38:39], -v[32:33]
	ds_read_b128 v[6:9], v1 offset:1872
	s_waitcnt vmcnt(44)
	v_fma_f64 v[34:35], v[2:3], v[36:37], -v[34:35]
	v_add_f64 v[18:19], v[18:19], v[24:25]
	v_fma_f64 v[24:25], v[12:13], v[38:39], v[28:29]
	v_add_f64 v[14:15], v[14:15], v[22:23]
	ds_read_b128 v[10:13], v1 offset:1888
	s_waitcnt lgkmcnt(1)
	v_mul_f64 v[28:29], v[8:9], v[40:41]
	v_mul_f64 v[22:23], v[6:7], v[40:41]
	v_add_f64 v[18:19], v[18:19], v[32:33]
	v_fma_f64 v[32:33], v[4:5], v[36:37], v[74:75]
	v_add_f64 v[14:15], v[14:15], v[24:25]
	s_waitcnt vmcnt(43) lgkmcnt(0)
	v_mul_f64 v[36:37], v[12:13], v[42:43]
	s_waitcnt vmcnt(41)
	v_fma_f64 v[28:29], v[6:7], v[46:47], -v[28:29]
	ds_read_b128 v[2:5], v1 offset:1904
	v_mul_f64 v[24:25], v[10:11], v[42:43]
	v_fma_f64 v[22:23], v[8:9], v[46:47], v[22:23]
	ds_read_b128 v[6:9], v1 offset:1920
	v_add_f64 v[18:19], v[18:19], v[34:35]
	v_add_f64 v[14:15], v[14:15], v[32:33]
	s_waitcnt vmcnt(37) lgkmcnt(1)
	v_mul_f64 v[34:35], v[4:5], v[48:49]
	s_waitcnt vmcnt(36)
	v_fma_f64 v[36:37], v[10:11], v[44:45], -v[36:37]
	v_mul_f64 v[32:33], v[2:3], v[48:49]
	v_fma_f64 v[24:25], v[12:13], v[44:45], v[24:25]
	ds_read_b128 v[10:13], v1 offset:1936
	v_add_f64 v[18:19], v[18:19], v[28:29]
	s_waitcnt vmcnt(35) lgkmcnt(1)
	v_mul_f64 v[28:29], v[8:9], v[50:51]
	v_add_f64 v[14:15], v[14:15], v[22:23]
	s_waitcnt vmcnt(33)
	v_fma_f64 v[34:35], v[2:3], v[54:55], -v[34:35]
	v_mul_f64 v[22:23], v[6:7], v[50:51]
	v_fma_f64 v[32:33], v[4:5], v[54:55], v[32:33]
	ds_read_b128 v[2:5], v1 offset:1952
	v_add_f64 v[18:19], v[18:19], v[36:37]
	s_waitcnt vmcnt(29) lgkmcnt(1)
	v_mul_f64 v[36:37], v[12:13], v[56:57]
	v_add_f64 v[14:15], v[14:15], v[24:25]
	;; [unrolled: 9-line block ×6, first 2 shown]
	s_waitcnt vmcnt(12)
	v_fma_f64 v[36:37], v[10:11], v[70:71], -v[36:37]
	v_mul_f64 v[32:33], v[2:3], v[78:79]
	v_fma_f64 v[24:25], v[12:13], v[70:71], v[24:25]
	ds_read_b128 v[10:13], v1 offset:2032
	v_add_f64 v[18:19], v[18:19], v[28:29]
	v_add_f64 v[14:15], v[14:15], v[22:23]
	s_waitcnt vmcnt(11) lgkmcnt(1)
	v_mul_f64 v[28:29], v[8:9], v[80:81]
	v_mul_f64 v[22:23], v[6:7], v[80:81]
	s_waitcnt vmcnt(9)
	v_fma_f64 v[1:2], v[2:3], v[76:77], -v[34:35]
	v_fma_f64 v[3:4], v[4:5], v[76:77], v[32:33]
	v_add_f64 v[18:19], v[18:19], v[36:37]
	v_add_f64 v[14:15], v[14:15], v[24:25]
	s_waitcnt vmcnt(7) lgkmcnt(0)
	v_mul_f64 v[24:25], v[10:11], v[20:21]
	v_mul_f64 v[20:21], v[12:13], v[20:21]
	s_waitcnt vmcnt(6)
	v_fma_f64 v[5:6], v[6:7], v[82:83], -v[28:29]
	v_fma_f64 v[7:8], v[8:9], v[82:83], v[22:23]
	v_add_f64 v[1:2], v[18:19], v[1:2]
	v_add_f64 v[3:4], v[14:15], v[3:4]
	s_waitcnt vmcnt(4)
	v_fma_f64 v[9:10], v[10:11], v[16:17], -v[20:21]
	v_add_f64 v[1:2], v[1:2], v[5:6]
	v_fma_f64 v[5:6], v[12:13], v[16:17], v[24:25]
	v_add_f64 v[3:4], v[3:4], v[7:8]
	v_add_f64 v[1:2], v[1:2], v[9:10]
	;; [unrolled: 1-line block ×3, first 2 shown]
	s_waitcnt vmcnt(2)
	v_add_f64 v[1:2], v[26:27], -v[1:2]
	s_waitcnt vmcnt(0)
	v_add_f64 v[3:4], v[30:31], -v[3:4]
	buffer_store_dword v2, off, s[0:3], 0 offset:740
	buffer_store_dword v1, off, s[0:3], 0 offset:736
	;; [unrolled: 1-line block ×4, first 2 shown]
	v_cmpx_lt_u32_e32 44, v0
	s_cbranch_execz .LBB63_321
; %bb.320:
	v_mov_b32_e32 v4, s34
	v_mov_b32_e32 v5, 0
	s_clause 0x3
	buffer_load_dword v1, v4, s[0:3], 0 offen
	buffer_load_dword v2, v4, s[0:3], 0 offen offset:4
	buffer_load_dword v3, v4, s[0:3], 0 offen offset:8
	;; [unrolled: 1-line block ×3, first 2 shown]
	buffer_store_dword v5, off, s[0:3], 0 offset:720
	buffer_store_dword v5, off, s[0:3], 0 offset:724
	;; [unrolled: 1-line block ×4, first 2 shown]
	s_waitcnt vmcnt(0)
	ds_write_b128 v69, v[1:4]
.LBB63_321:
	s_or_b32 exec_lo, exec_lo, s4
	s_waitcnt lgkmcnt(0)
	s_waitcnt_vscnt null, 0x0
	s_barrier
	buffer_gl0_inv
	s_clause 0x37
	buffer_load_dword v10, off, s[0:3], 0 offset:744
	buffer_load_dword v11, off, s[0:3], 0 offset:748
	;; [unrolled: 1-line block ×56, first 2 shown]
	v_mov_b32_e32 v1, 0
	s_mov_b32 s4, exec_lo
	ds_read_b128 v[2:5], v1 offset:1744
	s_clause 0x2
	buffer_load_dword v67, off, s[0:3], 0 offset:972
	buffer_load_dword v73, off, s[0:3], 0 offset:948
	;; [unrolled: 1-line block ×3, first 2 shown]
	ds_read_b128 v[6:9], v1 offset:1760
	s_clause 0x4
	buffer_load_dword v79, off, s[0:3], 0 offset:988
	buffer_load_dword v80, off, s[0:3], 0 offset:1000
	;; [unrolled: 1-line block ×5, first 2 shown]
	s_waitcnt vmcnt(62) lgkmcnt(1)
	v_mul_f64 v[74:75], v[4:5], v[10:11]
	v_mul_f64 v[76:77], v[2:3], v[10:11]
	s_waitcnt vmcnt(60) lgkmcnt(0)
	v_mul_f64 v[83:84], v[8:9], v[14:15]
	ds_read_b128 v[10:13], v1 offset:1776
	v_mul_f64 v[14:15], v[6:7], v[14:15]
	s_waitcnt vmcnt(58)
	v_fma_f64 v[74:75], v[2:3], v[16:17], -v[74:75]
	v_fma_f64 v[16:17], v[4:5], v[16:17], v[76:77]
	s_clause 0x2
	buffer_load_dword v81, off, s[0:3], 0 offset:1004
	buffer_load_dword v77, off, s[0:3], 0 offset:980
	;; [unrolled: 1-line block ×3, first 2 shown]
	s_waitcnt vmcnt(59) lgkmcnt(0)
	v_mul_f64 v[85:86], v[10:11], v[18:19]
	v_mul_f64 v[18:19], v[12:13], v[18:19]
	s_waitcnt vmcnt(57)
	v_fma_f64 v[126:127], v[6:7], v[20:21], -v[83:84]
	ds_read_b128 v[2:5], v1 offset:1792
	v_fma_f64 v[14:15], v[8:9], v[20:21], v[14:15]
	s_clause 0x4
	buffer_load_dword v21, off, s[0:3], 0 offset:1020
	buffer_load_dword v84, off, s[0:3], 0 offset:1032
	;; [unrolled: 1-line block ×5, first 2 shown]
	ds_read_b128 v[6:9], v1 offset:1808
	v_add_f64 v[74:75], v[74:75], 0
	v_add_f64 v[16:17], v[16:17], 0
	s_waitcnt vmcnt(58) lgkmcnt(1)
	v_mul_f64 v[129:130], v[2:3], v[22:23]
	v_mul_f64 v[22:23], v[4:5], v[22:23]
	s_waitcnt vmcnt(56)
	v_fma_f64 v[18:19], v[10:11], v[28:29], -v[18:19]
	v_fma_f64 v[28:29], v[12:13], v[28:29], v[85:86]
	s_waitcnt vmcnt(55) lgkmcnt(0)
	v_mul_f64 v[86:87], v[6:7], v[24:25]
	v_mul_f64 v[24:25], v[8:9], v[24:25]
	v_add_f64 v[74:75], v[74:75], v[126:127]
	v_add_f64 v[14:15], v[16:17], v[14:15]
	s_clause 0x2
	buffer_load_dword v85, off, s[0:3], 0 offset:1036
	buffer_load_dword v17, off, s[0:3], 0 offset:1012
	;; [unrolled: 1-line block ×3, first 2 shown]
	ds_read_b128 v[10:13], v1 offset:1824
	s_waitcnt vmcnt(56)
	v_fma_f64 v[22:23], v[2:3], v[30:31], -v[22:23]
	v_fma_f64 v[30:31], v[4:5], v[30:31], v[129:130]
	buffer_load_dword v129, off, s[0:3], 0 offset:1028
	ds_read_b128 v[2:5], v1 offset:1840
	s_waitcnt vmcnt(52)
	v_fma_f64 v[24:25], v[6:7], v[26:27], -v[24:25]
	v_add_f64 v[18:19], v[74:75], v[18:19]
	v_add_f64 v[14:15], v[14:15], v[28:29]
	s_waitcnt lgkmcnt(1)
	v_mul_f64 v[28:29], v[10:11], v[32:33]
	v_mul_f64 v[32:33], v[12:13], v[32:33]
	v_add_f64 v[18:19], v[18:19], v[22:23]
	v_fma_f64 v[22:23], v[8:9], v[26:27], v[86:87]
	v_add_f64 v[14:15], v[14:15], v[30:31]
	s_waitcnt vmcnt(51) lgkmcnt(0)
	v_mul_f64 v[30:31], v[4:5], v[34:35]
	s_waitcnt vmcnt(49)
	v_fma_f64 v[32:33], v[10:11], v[38:39], -v[32:33]
	ds_read_b128 v[6:9], v1 offset:1856
	v_mul_f64 v[26:27], v[2:3], v[34:35]
	v_add_f64 v[18:19], v[18:19], v[24:25]
	v_fma_f64 v[24:25], v[12:13], v[38:39], v[28:29]
	v_add_f64 v[14:15], v[14:15], v[22:23]
	s_clause 0x3
	buffer_load_dword v22, off, s[0:3], 0 offset:720
	buffer_load_dword v23, off, s[0:3], 0 offset:724
	;; [unrolled: 1-line block ×4, first 2 shown]
	s_waitcnt vmcnt(49) lgkmcnt(0)
	v_mul_f64 v[38:39], v[8:9], v[40:41]
	s_waitcnt vmcnt(48)
	v_fma_f64 v[30:31], v[2:3], v[36:37], -v[30:31]
	ds_read_b128 v[10:13], v1 offset:1872
	v_mul_f64 v[34:35], v[6:7], v[40:41]
	v_fma_f64 v[26:27], v[4:5], v[36:37], v[26:27]
	ds_read_b128 v[2:5], v1 offset:1888
	v_add_f64 v[18:19], v[18:19], v[32:33]
	v_add_f64 v[14:15], v[14:15], v[24:25]
	s_waitcnt vmcnt(47) lgkmcnt(1)
	v_mul_f64 v[32:33], v[12:13], v[42:43]
	s_waitcnt vmcnt(45)
	v_fma_f64 v[36:37], v[6:7], v[46:47], -v[38:39]
	v_mul_f64 v[24:25], v[10:11], v[42:43]
	v_add_f64 v[18:19], v[18:19], v[30:31]
	v_fma_f64 v[30:31], v[8:9], v[46:47], v[34:35]
	v_add_f64 v[14:15], v[14:15], v[26:27]
	s_waitcnt vmcnt(41) lgkmcnt(0)
	v_mul_f64 v[34:35], v[4:5], v[48:49]
	s_waitcnt vmcnt(40)
	v_fma_f64 v[32:33], v[10:11], v[44:45], -v[32:33]
	ds_read_b128 v[6:9], v1 offset:1904
	v_mul_f64 v[26:27], v[2:3], v[48:49]
	v_fma_f64 v[24:25], v[12:13], v[44:45], v[24:25]
	ds_read_b128 v[10:13], v1 offset:1920
	v_add_f64 v[18:19], v[18:19], v[36:37]
	v_add_f64 v[14:15], v[14:15], v[30:31]
	s_waitcnt vmcnt(39) lgkmcnt(1)
	v_mul_f64 v[36:37], v[8:9], v[50:51]
	s_waitcnt vmcnt(37)
	v_fma_f64 v[34:35], v[2:3], v[54:55], -v[34:35]
	v_mul_f64 v[30:31], v[6:7], v[50:51]
	v_fma_f64 v[26:27], v[4:5], v[54:55], v[26:27]
	ds_read_b128 v[2:5], v1 offset:1936
	v_add_f64 v[18:19], v[18:19], v[32:33]
	s_waitcnt vmcnt(33) lgkmcnt(1)
	v_mul_f64 v[32:33], v[12:13], v[56:57]
	v_add_f64 v[14:15], v[14:15], v[24:25]
	s_waitcnt vmcnt(32)
	v_fma_f64 v[36:37], v[6:7], v[52:53], -v[36:37]
	v_mul_f64 v[24:25], v[10:11], v[56:57]
	v_fma_f64 v[30:31], v[8:9], v[52:53], v[30:31]
	ds_read_b128 v[6:9], v1 offset:1952
	v_add_f64 v[18:19], v[18:19], v[34:35]
	s_waitcnt vmcnt(31) lgkmcnt(1)
	v_mul_f64 v[34:35], v[4:5], v[58:59]
	v_add_f64 v[14:15], v[14:15], v[26:27]
	;; [unrolled: 9-line block ×5, first 2 shown]
	s_waitcnt vmcnt(16)
	v_fma_f64 v[32:33], v[10:11], v[70:71], -v[32:33]
	v_mul_f64 v[26:27], v[2:3], v[78:79]
	v_fma_f64 v[24:25], v[12:13], v[70:71], v[24:25]
	ds_read_b128 v[10:13], v1 offset:2016
	v_add_f64 v[18:19], v[18:19], v[36:37]
	v_add_f64 v[14:15], v[14:15], v[30:31]
	s_waitcnt vmcnt(15) lgkmcnt(1)
	v_mul_f64 v[36:37], v[8:9], v[80:81]
	v_mul_f64 v[30:31], v[6:7], v[80:81]
	s_waitcnt vmcnt(13)
	v_fma_f64 v[34:35], v[2:3], v[76:77], -v[34:35]
	v_fma_f64 v[26:27], v[4:5], v[76:77], v[26:27]
	ds_read_b128 v[2:5], v1 offset:2032
	v_add_f64 v[18:19], v[18:19], v[32:33]
	v_add_f64 v[14:15], v[14:15], v[24:25]
	s_waitcnt vmcnt(9) lgkmcnt(1)
	v_mul_f64 v[24:25], v[10:11], v[20:21]
	v_mul_f64 v[20:21], v[12:13], v[20:21]
	s_waitcnt vmcnt(8)
	v_fma_f64 v[6:7], v[6:7], v[82:83], -v[36:37]
	v_fma_f64 v[8:9], v[8:9], v[82:83], v[30:31]
	v_add_f64 v[18:19], v[18:19], v[34:35]
	v_add_f64 v[14:15], v[14:15], v[26:27]
	s_waitcnt vmcnt(7) lgkmcnt(0)
	v_mul_f64 v[30:31], v[4:5], v[84:85]
	v_mul_f64 v[26:27], v[2:3], v[84:85]
	s_waitcnt vmcnt(5)
	v_fma_f64 v[10:11], v[10:11], v[16:17], -v[20:21]
	v_fma_f64 v[12:13], v[12:13], v[16:17], v[24:25]
	v_add_f64 v[6:7], v[18:19], v[6:7]
	v_add_f64 v[8:9], v[14:15], v[8:9]
	s_waitcnt vmcnt(4)
	v_fma_f64 v[2:3], v[2:3], v[128:129], -v[30:31]
	v_fma_f64 v[4:5], v[4:5], v[128:129], v[26:27]
	v_add_f64 v[6:7], v[6:7], v[10:11]
	v_add_f64 v[8:9], v[8:9], v[12:13]
	;; [unrolled: 1-line block ×4, first 2 shown]
	s_waitcnt vmcnt(2)
	v_add_f64 v[2:3], v[22:23], -v[2:3]
	s_waitcnt vmcnt(0)
	v_add_f64 v[4:5], v[28:29], -v[4:5]
	buffer_store_dword v3, off, s[0:3], 0 offset:724
	buffer_store_dword v2, off, s[0:3], 0 offset:720
	buffer_store_dword v5, off, s[0:3], 0 offset:732
	buffer_store_dword v4, off, s[0:3], 0 offset:728
	v_cmpx_lt_u32_e32 43, v0
	s_cbranch_execz .LBB63_323
; %bb.322:
	v_mov_b32_e32 v5, s35
	s_clause 0x3
	buffer_load_dword v2, v5, s[0:3], 0 offen
	buffer_load_dword v3, v5, s[0:3], 0 offen offset:4
	buffer_load_dword v4, v5, s[0:3], 0 offen offset:8
	buffer_load_dword v5, v5, s[0:3], 0 offen offset:12
	buffer_store_dword v1, off, s[0:3], 0 offset:704
	buffer_store_dword v1, off, s[0:3], 0 offset:708
	;; [unrolled: 1-line block ×4, first 2 shown]
	s_waitcnt vmcnt(0)
	ds_write_b128 v69, v[2:5]
.LBB63_323:
	s_or_b32 exec_lo, exec_lo, s4
	s_waitcnt lgkmcnt(0)
	s_waitcnt_vscnt null, 0x0
	s_barrier
	buffer_gl0_inv
	s_clause 0x37
	buffer_load_dword v10, off, s[0:3], 0 offset:728
	buffer_load_dword v11, off, s[0:3], 0 offset:732
	;; [unrolled: 1-line block ×56, first 2 shown]
	ds_read_b128 v[2:5], v1 offset:1728
	s_clause 0x2
	buffer_load_dword v67, off, s[0:3], 0 offset:956
	buffer_load_dword v73, off, s[0:3], 0 offset:932
	;; [unrolled: 1-line block ×3, first 2 shown]
	ds_read_b128 v[6:9], v1 offset:1744
	s_clause 0x4
	buffer_load_dword v79, off, s[0:3], 0 offset:972
	buffer_load_dword v80, off, s[0:3], 0 offset:984
	;; [unrolled: 1-line block ×5, first 2 shown]
	s_mov_b32 s4, exec_lo
	s_waitcnt vmcnt(62) lgkmcnt(1)
	v_mul_f64 v[74:75], v[4:5], v[10:11]
	v_mul_f64 v[76:77], v[2:3], v[10:11]
	s_waitcnt vmcnt(60) lgkmcnt(0)
	v_mul_f64 v[83:84], v[8:9], v[14:15]
	ds_read_b128 v[10:13], v1 offset:1760
	v_mul_f64 v[14:15], v[6:7], v[14:15]
	s_waitcnt vmcnt(58)
	v_fma_f64 v[74:75], v[2:3], v[16:17], -v[74:75]
	v_fma_f64 v[16:17], v[4:5], v[16:17], v[76:77]
	s_clause 0x2
	buffer_load_dword v81, off, s[0:3], 0 offset:988
	buffer_load_dword v77, off, s[0:3], 0 offset:964
	;; [unrolled: 1-line block ×3, first 2 shown]
	s_waitcnt vmcnt(59) lgkmcnt(0)
	v_mul_f64 v[85:86], v[10:11], v[18:19]
	v_mul_f64 v[18:19], v[12:13], v[18:19]
	s_waitcnt vmcnt(57)
	v_fma_f64 v[126:127], v[6:7], v[20:21], -v[83:84]
	ds_read_b128 v[2:5], v1 offset:1776
	v_fma_f64 v[14:15], v[8:9], v[20:21], v[14:15]
	s_clause 0x4
	buffer_load_dword v21, off, s[0:3], 0 offset:1004
	buffer_load_dword v84, off, s[0:3], 0 offset:1016
	;; [unrolled: 1-line block ×5, first 2 shown]
	ds_read_b128 v[6:9], v1 offset:1792
	v_add_f64 v[74:75], v[74:75], 0
	v_add_f64 v[16:17], v[16:17], 0
	s_waitcnt vmcnt(58) lgkmcnt(1)
	v_mul_f64 v[129:130], v[2:3], v[22:23]
	v_mul_f64 v[22:23], v[4:5], v[22:23]
	s_waitcnt vmcnt(56)
	v_fma_f64 v[18:19], v[10:11], v[28:29], -v[18:19]
	v_fma_f64 v[28:29], v[12:13], v[28:29], v[85:86]
	s_waitcnt vmcnt(55) lgkmcnt(0)
	v_mul_f64 v[86:87], v[6:7], v[24:25]
	v_mul_f64 v[24:25], v[8:9], v[24:25]
	v_add_f64 v[74:75], v[74:75], v[126:127]
	v_add_f64 v[14:15], v[16:17], v[14:15]
	s_clause 0x2
	buffer_load_dword v85, off, s[0:3], 0 offset:1020
	buffer_load_dword v17, off, s[0:3], 0 offset:996
	;; [unrolled: 1-line block ×3, first 2 shown]
	ds_read_b128 v[10:13], v1 offset:1808
	s_waitcnt vmcnt(56)
	v_fma_f64 v[22:23], v[2:3], v[30:31], -v[22:23]
	v_fma_f64 v[30:31], v[4:5], v[30:31], v[129:130]
	s_waitcnt vmcnt(51)
	v_fma_f64 v[24:25], v[6:7], v[26:27], -v[24:25]
	v_add_f64 v[18:19], v[74:75], v[18:19]
	v_add_f64 v[14:15], v[14:15], v[28:29]
	s_clause 0x2
	buffer_load_dword v29, off, s[0:3], 0 offset:1036
	buffer_load_dword v28, off, s[0:3], 0 offset:1032
	buffer_load_dword v129, off, s[0:3], 0 offset:1012
	s_waitcnt lgkmcnt(0)
	v_mul_f64 v[74:75], v[10:11], v[32:33]
	v_mul_f64 v[32:33], v[12:13], v[32:33]
	ds_read_b128 v[2:5], v1 offset:1824
	v_add_f64 v[18:19], v[18:19], v[22:23]
	v_fma_f64 v[22:23], v[8:9], v[26:27], v[86:87]
	v_add_f64 v[14:15], v[14:15], v[30:31]
	s_clause 0x1
	buffer_load_dword v27, off, s[0:3], 0 offset:1028
	buffer_load_dword v26, off, s[0:3], 0 offset:1024
	s_waitcnt vmcnt(55) lgkmcnt(0)
	v_mul_f64 v[30:31], v[2:3], v[34:35]
	v_mul_f64 v[34:35], v[4:5], v[34:35]
	s_waitcnt vmcnt(53)
	v_fma_f64 v[32:33], v[10:11], v[38:39], -v[32:33]
	ds_read_b128 v[6:9], v1 offset:1840
	v_add_f64 v[18:19], v[18:19], v[24:25]
	v_fma_f64 v[24:25], v[12:13], v[38:39], v[74:75]
	v_add_f64 v[14:15], v[14:15], v[22:23]
	ds_read_b128 v[10:13], v1 offset:1856
	s_waitcnt vmcnt(48)
	v_fma_f64 v[30:31], v[4:5], v[36:37], v[30:31]
	s_waitcnt lgkmcnt(1)
	v_mul_f64 v[38:39], v[8:9], v[40:41]
	v_fma_f64 v[34:35], v[2:3], v[36:37], -v[34:35]
	v_mul_f64 v[22:23], v[6:7], v[40:41]
	v_add_f64 v[18:19], v[18:19], v[32:33]
	s_waitcnt vmcnt(47) lgkmcnt(0)
	v_mul_f64 v[40:41], v[12:13], v[42:43]
	v_add_f64 v[14:15], v[14:15], v[24:25]
	s_clause 0x3
	buffer_load_dword v24, off, s[0:3], 0 offset:704
	buffer_load_dword v25, off, s[0:3], 0 offset:708
	;; [unrolled: 1-line block ×4, first 2 shown]
	ds_read_b128 v[2:5], v1 offset:1872
	s_waitcnt vmcnt(49)
	v_fma_f64 v[38:39], v[6:7], v[46:47], -v[38:39]
	v_mul_f64 v[36:37], v[10:11], v[42:43]
	v_fma_f64 v[22:23], v[8:9], v[46:47], v[22:23]
	ds_read_b128 v[6:9], v1 offset:1888
	v_add_f64 v[18:19], v[18:19], v[34:35]
	s_waitcnt vmcnt(44)
	v_fma_f64 v[40:41], v[10:11], v[44:45], -v[40:41]
	v_add_f64 v[14:15], v[14:15], v[30:31]
	s_waitcnt lgkmcnt(1)
	v_mul_f64 v[34:35], v[4:5], v[48:49]
	v_mul_f64 v[30:31], v[2:3], v[48:49]
	v_fma_f64 v[36:37], v[12:13], v[44:45], v[36:37]
	ds_read_b128 v[10:13], v1 offset:1904
	v_add_f64 v[18:19], v[18:19], v[38:39]
	s_waitcnt vmcnt(43) lgkmcnt(1)
	v_mul_f64 v[38:39], v[8:9], v[50:51]
	v_add_f64 v[14:15], v[14:15], v[22:23]
	s_waitcnt vmcnt(41)
	v_fma_f64 v[34:35], v[2:3], v[54:55], -v[34:35]
	v_mul_f64 v[22:23], v[6:7], v[50:51]
	v_fma_f64 v[30:31], v[4:5], v[54:55], v[30:31]
	ds_read_b128 v[2:5], v1 offset:1920
	v_add_f64 v[18:19], v[18:19], v[40:41]
	s_waitcnt vmcnt(37) lgkmcnt(1)
	v_mul_f64 v[40:41], v[12:13], v[56:57]
	v_add_f64 v[14:15], v[14:15], v[36:37]
	s_waitcnt vmcnt(36)
	v_fma_f64 v[38:39], v[6:7], v[52:53], -v[38:39]
	;; [unrolled: 9-line block ×6, first 2 shown]
	v_mul_f64 v[30:31], v[2:3], v[78:79]
	v_fma_f64 v[36:37], v[12:13], v[70:71], v[36:37]
	ds_read_b128 v[10:13], v1 offset:2000
	v_add_f64 v[18:19], v[18:19], v[38:39]
	v_add_f64 v[14:15], v[14:15], v[22:23]
	s_waitcnt vmcnt(19) lgkmcnt(1)
	v_mul_f64 v[38:39], v[8:9], v[80:81]
	v_mul_f64 v[22:23], v[6:7], v[80:81]
	s_waitcnt vmcnt(17)
	v_fma_f64 v[34:35], v[2:3], v[76:77], -v[34:35]
	v_fma_f64 v[30:31], v[4:5], v[76:77], v[30:31]
	ds_read_b128 v[2:5], v1 offset:2016
	v_add_f64 v[18:19], v[18:19], v[40:41]
	v_add_f64 v[14:15], v[14:15], v[36:37]
	s_waitcnt vmcnt(13) lgkmcnt(1)
	v_mul_f64 v[36:37], v[10:11], v[20:21]
	v_mul_f64 v[20:21], v[12:13], v[20:21]
	s_waitcnt vmcnt(12)
	v_fma_f64 v[38:39], v[6:7], v[82:83], -v[38:39]
	v_fma_f64 v[22:23], v[8:9], v[82:83], v[22:23]
	ds_read_b128 v[6:9], v1 offset:2032
	v_add_f64 v[18:19], v[18:19], v[34:35]
	v_add_f64 v[14:15], v[14:15], v[30:31]
	s_waitcnt vmcnt(11) lgkmcnt(1)
	v_mul_f64 v[34:35], v[4:5], v[84:85]
	v_mul_f64 v[30:31], v[2:3], v[84:85]
	s_waitcnt vmcnt(9)
	v_fma_f64 v[10:11], v[10:11], v[16:17], -v[20:21]
	v_fma_f64 v[12:13], v[12:13], v[16:17], v[36:37]
	v_add_f64 v[18:19], v[18:19], v[38:39]
	v_add_f64 v[14:15], v[14:15], v[22:23]
	s_waitcnt vmcnt(7) lgkmcnt(0)
	v_mul_f64 v[20:21], v[8:9], v[28:29]
	s_waitcnt vmcnt(6)
	v_fma_f64 v[1:2], v[2:3], v[128:129], -v[34:35]
	v_mul_f64 v[16:17], v[6:7], v[28:29]
	v_fma_f64 v[3:4], v[4:5], v[128:129], v[30:31]
	v_add_f64 v[10:11], v[18:19], v[10:11]
	v_add_f64 v[12:13], v[14:15], v[12:13]
	s_waitcnt vmcnt(4)
	v_fma_f64 v[5:6], v[6:7], v[26:27], -v[20:21]
	v_fma_f64 v[7:8], v[8:9], v[26:27], v[16:17]
	v_add_f64 v[1:2], v[10:11], v[1:2]
	v_add_f64 v[3:4], v[12:13], v[3:4]
	v_add_f64 v[1:2], v[1:2], v[5:6]
	v_add_f64 v[3:4], v[3:4], v[7:8]
	s_waitcnt vmcnt(2)
	v_add_f64 v[1:2], v[24:25], -v[1:2]
	s_waitcnt vmcnt(0)
	v_add_f64 v[3:4], v[32:33], -v[3:4]
	buffer_store_dword v2, off, s[0:3], 0 offset:708
	buffer_store_dword v1, off, s[0:3], 0 offset:704
	;; [unrolled: 1-line block ×4, first 2 shown]
	v_cmpx_lt_u32_e32 42, v0
	s_cbranch_execz .LBB63_325
; %bb.324:
	v_mov_b32_e32 v4, s36
	v_mov_b32_e32 v5, 0
	s_clause 0x3
	buffer_load_dword v1, v4, s[0:3], 0 offen
	buffer_load_dword v2, v4, s[0:3], 0 offen offset:4
	buffer_load_dword v3, v4, s[0:3], 0 offen offset:8
	;; [unrolled: 1-line block ×3, first 2 shown]
	buffer_store_dword v5, off, s[0:3], 0 offset:688
	buffer_store_dword v5, off, s[0:3], 0 offset:692
	;; [unrolled: 1-line block ×4, first 2 shown]
	s_waitcnt vmcnt(0)
	ds_write_b128 v69, v[1:4]
.LBB63_325:
	s_or_b32 exec_lo, exec_lo, s4
	s_waitcnt lgkmcnt(0)
	s_waitcnt_vscnt null, 0x0
	s_barrier
	buffer_gl0_inv
	s_clause 0x37
	buffer_load_dword v10, off, s[0:3], 0 offset:712
	buffer_load_dword v11, off, s[0:3], 0 offset:716
	;; [unrolled: 1-line block ×56, first 2 shown]
	v_mov_b32_e32 v1, 0
	s_mov_b32 s4, exec_lo
	ds_read_b128 v[2:5], v1 offset:1712
	s_clause 0x2
	buffer_load_dword v67, off, s[0:3], 0 offset:940
	buffer_load_dword v73, off, s[0:3], 0 offset:916
	;; [unrolled: 1-line block ×3, first 2 shown]
	ds_read_b128 v[6:9], v1 offset:1728
	s_clause 0x4
	buffer_load_dword v79, off, s[0:3], 0 offset:956
	buffer_load_dword v80, off, s[0:3], 0 offset:968
	;; [unrolled: 1-line block ×5, first 2 shown]
	s_waitcnt vmcnt(62) lgkmcnt(1)
	v_mul_f64 v[74:75], v[4:5], v[10:11]
	v_mul_f64 v[76:77], v[2:3], v[10:11]
	s_waitcnt vmcnt(60) lgkmcnt(0)
	v_mul_f64 v[83:84], v[8:9], v[14:15]
	ds_read_b128 v[10:13], v1 offset:1744
	v_mul_f64 v[14:15], v[6:7], v[14:15]
	s_waitcnt vmcnt(58)
	v_fma_f64 v[74:75], v[2:3], v[16:17], -v[74:75]
	v_fma_f64 v[16:17], v[4:5], v[16:17], v[76:77]
	s_clause 0x2
	buffer_load_dword v81, off, s[0:3], 0 offset:972
	buffer_load_dword v77, off, s[0:3], 0 offset:948
	;; [unrolled: 1-line block ×3, first 2 shown]
	s_waitcnt vmcnt(59) lgkmcnt(0)
	v_mul_f64 v[85:86], v[10:11], v[18:19]
	v_mul_f64 v[18:19], v[12:13], v[18:19]
	s_waitcnt vmcnt(57)
	v_fma_f64 v[126:127], v[6:7], v[20:21], -v[83:84]
	ds_read_b128 v[2:5], v1 offset:1760
	v_fma_f64 v[14:15], v[8:9], v[20:21], v[14:15]
	s_clause 0x4
	buffer_load_dword v21, off, s[0:3], 0 offset:988
	buffer_load_dword v84, off, s[0:3], 0 offset:1000
	;; [unrolled: 1-line block ×5, first 2 shown]
	ds_read_b128 v[6:9], v1 offset:1776
	v_add_f64 v[74:75], v[74:75], 0
	v_add_f64 v[16:17], v[16:17], 0
	s_waitcnt vmcnt(58) lgkmcnt(1)
	v_mul_f64 v[129:130], v[2:3], v[22:23]
	v_mul_f64 v[22:23], v[4:5], v[22:23]
	s_waitcnt vmcnt(56)
	v_fma_f64 v[18:19], v[10:11], v[28:29], -v[18:19]
	v_fma_f64 v[28:29], v[12:13], v[28:29], v[85:86]
	s_waitcnt vmcnt(55) lgkmcnt(0)
	v_mul_f64 v[86:87], v[6:7], v[24:25]
	v_mul_f64 v[24:25], v[8:9], v[24:25]
	v_add_f64 v[74:75], v[74:75], v[126:127]
	v_add_f64 v[14:15], v[16:17], v[14:15]
	s_clause 0x2
	buffer_load_dword v85, off, s[0:3], 0 offset:1004
	buffer_load_dword v17, off, s[0:3], 0 offset:980
	;; [unrolled: 1-line block ×3, first 2 shown]
	ds_read_b128 v[10:13], v1 offset:1792
	s_waitcnt vmcnt(56)
	v_fma_f64 v[22:23], v[2:3], v[30:31], -v[22:23]
	v_fma_f64 v[30:31], v[4:5], v[30:31], v[129:130]
	s_waitcnt vmcnt(51)
	v_fma_f64 v[24:25], v[6:7], v[26:27], -v[24:25]
	v_add_f64 v[18:19], v[74:75], v[18:19]
	v_add_f64 v[14:15], v[14:15], v[28:29]
	s_clause 0x4
	buffer_load_dword v29, off, s[0:3], 0 offset:1020
	buffer_load_dword v74, off, s[0:3], 0 offset:1032
	;; [unrolled: 1-line block ×5, first 2 shown]
	s_waitcnt lgkmcnt(0)
	v_mul_f64 v[130:131], v[10:11], v[32:33]
	v_mul_f64 v[32:33], v[12:13], v[32:33]
	ds_read_b128 v[2:5], v1 offset:1808
	v_add_f64 v[18:19], v[18:19], v[22:23]
	v_fma_f64 v[22:23], v[8:9], v[26:27], v[86:87]
	v_add_f64 v[14:15], v[14:15], v[30:31]
	s_clause 0x2
	buffer_load_dword v75, off, s[0:3], 0 offset:1036
	buffer_load_dword v27, off, s[0:3], 0 offset:1012
	;; [unrolled: 1-line block ×3, first 2 shown]
	s_waitcnt vmcnt(58) lgkmcnt(0)
	v_mul_f64 v[30:31], v[2:3], v[34:35]
	v_mul_f64 v[34:35], v[4:5], v[34:35]
	s_waitcnt vmcnt(56)
	v_fma_f64 v[32:33], v[10:11], v[38:39], -v[32:33]
	ds_read_b128 v[6:9], v1 offset:1824
	buffer_load_dword v127, off, s[0:3], 0 offset:1028
	v_add_f64 v[18:19], v[18:19], v[24:25]
	v_fma_f64 v[24:25], v[12:13], v[38:39], v[130:131]
	v_add_f64 v[14:15], v[14:15], v[22:23]
	ds_read_b128 v[10:13], v1 offset:1840
	s_waitcnt vmcnt(52)
	v_fma_f64 v[30:31], v[4:5], v[36:37], v[30:31]
	s_waitcnt lgkmcnt(1)
	v_mul_f64 v[38:39], v[8:9], v[40:41]
	v_fma_f64 v[34:35], v[2:3], v[36:37], -v[34:35]
	v_mul_f64 v[22:23], v[6:7], v[40:41]
	ds_read_b128 v[2:5], v1 offset:1856
	v_add_f64 v[18:19], v[18:19], v[32:33]
	s_waitcnt vmcnt(51) lgkmcnt(1)
	v_mul_f64 v[32:33], v[12:13], v[42:43]
	v_add_f64 v[14:15], v[14:15], v[24:25]
	v_mul_f64 v[24:25], v[10:11], v[42:43]
	s_waitcnt vmcnt(49)
	v_fma_f64 v[36:37], v[6:7], v[46:47], -v[38:39]
	s_waitcnt vmcnt(45) lgkmcnt(0)
	v_mul_f64 v[40:41], v[4:5], v[48:49]
	v_fma_f64 v[22:23], v[8:9], v[46:47], v[22:23]
	v_mul_f64 v[38:39], v[2:3], v[48:49]
	v_add_f64 v[18:19], v[18:19], v[34:35]
	s_waitcnt vmcnt(44)
	v_fma_f64 v[32:33], v[10:11], v[44:45], -v[32:33]
	v_add_f64 v[14:15], v[14:15], v[30:31]
	s_clause 0x3
	buffer_load_dword v30, off, s[0:3], 0 offset:688
	buffer_load_dword v31, off, s[0:3], 0 offset:692
	;; [unrolled: 1-line block ×4, first 2 shown]
	ds_read_b128 v[6:9], v1 offset:1872
	v_fma_f64 v[24:25], v[12:13], v[44:45], v[24:25]
	ds_read_b128 v[10:13], v1 offset:1888
	s_waitcnt vmcnt(45)
	v_fma_f64 v[40:41], v[2:3], v[54:55], -v[40:41]
	v_add_f64 v[18:19], v[18:19], v[36:37]
	v_add_f64 v[14:15], v[14:15], v[22:23]
	s_waitcnt lgkmcnt(1)
	v_mul_f64 v[36:37], v[8:9], v[50:51]
	v_mul_f64 v[22:23], v[6:7], v[50:51]
	v_add_f64 v[18:19], v[18:19], v[32:33]
	v_fma_f64 v[32:33], v[4:5], v[54:55], v[38:39]
	v_add_f64 v[14:15], v[14:15], v[24:25]
	s_waitcnt vmcnt(41) lgkmcnt(0)
	v_mul_f64 v[38:39], v[12:13], v[56:57]
	s_waitcnt vmcnt(40)
	v_fma_f64 v[36:37], v[6:7], v[52:53], -v[36:37]
	ds_read_b128 v[2:5], v1 offset:1904
	v_mul_f64 v[24:25], v[10:11], v[56:57]
	v_fma_f64 v[22:23], v[8:9], v[52:53], v[22:23]
	ds_read_b128 v[6:9], v1 offset:1920
	v_add_f64 v[18:19], v[18:19], v[40:41]
	v_add_f64 v[14:15], v[14:15], v[32:33]
	s_waitcnt vmcnt(39) lgkmcnt(1)
	v_mul_f64 v[40:41], v[4:5], v[58:59]
	s_waitcnt vmcnt(37)
	v_fma_f64 v[38:39], v[10:11], v[62:63], -v[38:39]
	v_mul_f64 v[32:33], v[2:3], v[58:59]
	v_fma_f64 v[24:25], v[12:13], v[62:63], v[24:25]
	ds_read_b128 v[10:13], v1 offset:1936
	v_add_f64 v[18:19], v[18:19], v[36:37]
	s_waitcnt vmcnt(33) lgkmcnt(1)
	v_mul_f64 v[36:37], v[8:9], v[64:65]
	v_add_f64 v[14:15], v[14:15], v[22:23]
	s_waitcnt vmcnt(32)
	v_fma_f64 v[40:41], v[2:3], v[60:61], -v[40:41]
	v_mul_f64 v[22:23], v[6:7], v[64:65]
	v_fma_f64 v[32:33], v[4:5], v[60:61], v[32:33]
	ds_read_b128 v[2:5], v1 offset:1952
	v_add_f64 v[18:19], v[18:19], v[38:39]
	s_waitcnt vmcnt(31) lgkmcnt(1)
	v_mul_f64 v[38:39], v[12:13], v[66:67]
	v_add_f64 v[14:15], v[14:15], v[24:25]
	;; [unrolled: 9-line block ×3, first 2 shown]
	s_waitcnt vmcnt(24)
	v_fma_f64 v[38:39], v[10:11], v[70:71], -v[38:39]
	v_mul_f64 v[32:33], v[2:3], v[78:79]
	v_fma_f64 v[24:25], v[12:13], v[70:71], v[24:25]
	ds_read_b128 v[10:13], v1 offset:1984
	v_add_f64 v[18:19], v[18:19], v[36:37]
	v_add_f64 v[14:15], v[14:15], v[22:23]
	s_waitcnt vmcnt(23) lgkmcnt(1)
	v_mul_f64 v[36:37], v[8:9], v[80:81]
	v_mul_f64 v[22:23], v[6:7], v[80:81]
	s_waitcnt vmcnt(21)
	v_fma_f64 v[40:41], v[2:3], v[76:77], -v[40:41]
	v_fma_f64 v[32:33], v[4:5], v[76:77], v[32:33]
	ds_read_b128 v[2:5], v1 offset:2000
	v_add_f64 v[18:19], v[18:19], v[38:39]
	v_add_f64 v[14:15], v[14:15], v[24:25]
	s_waitcnt vmcnt(17) lgkmcnt(1)
	v_mul_f64 v[24:25], v[10:11], v[20:21]
	v_mul_f64 v[20:21], v[12:13], v[20:21]
	s_waitcnt vmcnt(16)
	v_fma_f64 v[36:37], v[6:7], v[82:83], -v[36:37]
	;; [unrolled: 9-line block ×3, first 2 shown]
	v_fma_f64 v[16:17], v[12:13], v[16:17], v[24:25]
	ds_read_b128 v[10:13], v1 offset:2032
	v_add_f64 v[18:19], v[18:19], v[36:37]
	v_add_f64 v[14:15], v[14:15], v[22:23]
	s_waitcnt vmcnt(9) lgkmcnt(1)
	v_mul_f64 v[24:25], v[8:9], v[28:29]
	s_waitcnt vmcnt(8)
	v_fma_f64 v[2:3], v[2:3], v[128:129], -v[38:39]
	v_mul_f64 v[22:23], v[6:7], v[28:29]
	v_fma_f64 v[4:5], v[4:5], v[128:129], v[32:33]
	v_add_f64 v[18:19], v[18:19], v[20:21]
	v_add_f64 v[14:15], v[14:15], v[16:17]
	s_waitcnt vmcnt(7) lgkmcnt(0)
	v_mul_f64 v[20:21], v[12:13], v[74:75]
	v_mul_f64 v[16:17], v[10:11], v[74:75]
	s_waitcnt vmcnt(5)
	v_fma_f64 v[6:7], v[6:7], v[26:27], -v[24:25]
	v_fma_f64 v[8:9], v[8:9], v[26:27], v[22:23]
	v_add_f64 v[2:3], v[18:19], v[2:3]
	v_add_f64 v[4:5], v[14:15], v[4:5]
	s_waitcnt vmcnt(4)
	v_fma_f64 v[10:11], v[10:11], v[126:127], -v[20:21]
	v_add_f64 v[2:3], v[2:3], v[6:7]
	v_fma_f64 v[6:7], v[12:13], v[126:127], v[16:17]
	v_add_f64 v[4:5], v[4:5], v[8:9]
	v_add_f64 v[2:3], v[2:3], v[10:11]
	;; [unrolled: 1-line block ×3, first 2 shown]
	s_waitcnt vmcnt(2)
	v_add_f64 v[2:3], v[30:31], -v[2:3]
	s_waitcnt vmcnt(0)
	v_add_f64 v[4:5], v[34:35], -v[4:5]
	buffer_store_dword v3, off, s[0:3], 0 offset:692
	buffer_store_dword v2, off, s[0:3], 0 offset:688
	;; [unrolled: 1-line block ×4, first 2 shown]
	v_cmpx_lt_u32_e32 41, v0
	s_cbranch_execz .LBB63_327
; %bb.326:
	v_mov_b32_e32 v5, s37
	s_clause 0x3
	buffer_load_dword v2, v5, s[0:3], 0 offen
	buffer_load_dword v3, v5, s[0:3], 0 offen offset:4
	buffer_load_dword v4, v5, s[0:3], 0 offen offset:8
	;; [unrolled: 1-line block ×3, first 2 shown]
	buffer_store_dword v1, off, s[0:3], 0 offset:672
	buffer_store_dword v1, off, s[0:3], 0 offset:676
	;; [unrolled: 1-line block ×4, first 2 shown]
	s_waitcnt vmcnt(0)
	ds_write_b128 v69, v[2:5]
.LBB63_327:
	s_or_b32 exec_lo, exec_lo, s4
	s_waitcnt lgkmcnt(0)
	s_waitcnt_vscnt null, 0x0
	s_barrier
	buffer_gl0_inv
	s_clause 0x37
	buffer_load_dword v10, off, s[0:3], 0 offset:696
	buffer_load_dword v11, off, s[0:3], 0 offset:700
	;; [unrolled: 1-line block ×56, first 2 shown]
	ds_read_b128 v[2:5], v1 offset:1696
	s_clause 0x2
	buffer_load_dword v67, off, s[0:3], 0 offset:924
	buffer_load_dword v73, off, s[0:3], 0 offset:900
	;; [unrolled: 1-line block ×3, first 2 shown]
	ds_read_b128 v[6:9], v1 offset:1712
	s_clause 0x4
	buffer_load_dword v79, off, s[0:3], 0 offset:940
	buffer_load_dword v80, off, s[0:3], 0 offset:952
	;; [unrolled: 1-line block ×5, first 2 shown]
	s_mov_b32 s4, exec_lo
	s_waitcnt vmcnt(62) lgkmcnt(1)
	v_mul_f64 v[74:75], v[4:5], v[10:11]
	v_mul_f64 v[76:77], v[2:3], v[10:11]
	s_waitcnt vmcnt(60) lgkmcnt(0)
	v_mul_f64 v[83:84], v[8:9], v[14:15]
	ds_read_b128 v[10:13], v1 offset:1728
	v_mul_f64 v[14:15], v[6:7], v[14:15]
	s_waitcnt vmcnt(58)
	v_fma_f64 v[74:75], v[2:3], v[16:17], -v[74:75]
	v_fma_f64 v[16:17], v[4:5], v[16:17], v[76:77]
	s_clause 0x2
	buffer_load_dword v81, off, s[0:3], 0 offset:956
	buffer_load_dword v77, off, s[0:3], 0 offset:932
	;; [unrolled: 1-line block ×3, first 2 shown]
	s_waitcnt vmcnt(59) lgkmcnt(0)
	v_mul_f64 v[85:86], v[10:11], v[18:19]
	v_mul_f64 v[18:19], v[12:13], v[18:19]
	s_waitcnt vmcnt(57)
	v_fma_f64 v[126:127], v[6:7], v[20:21], -v[83:84]
	ds_read_b128 v[2:5], v1 offset:1744
	v_fma_f64 v[14:15], v[8:9], v[20:21], v[14:15]
	s_clause 0x4
	buffer_load_dword v21, off, s[0:3], 0 offset:972
	buffer_load_dword v84, off, s[0:3], 0 offset:984
	;; [unrolled: 1-line block ×5, first 2 shown]
	ds_read_b128 v[6:9], v1 offset:1760
	v_add_f64 v[74:75], v[74:75], 0
	v_add_f64 v[16:17], v[16:17], 0
	s_waitcnt vmcnt(58) lgkmcnt(1)
	v_mul_f64 v[129:130], v[2:3], v[22:23]
	v_mul_f64 v[22:23], v[4:5], v[22:23]
	s_waitcnt vmcnt(56)
	v_fma_f64 v[18:19], v[10:11], v[28:29], -v[18:19]
	v_fma_f64 v[28:29], v[12:13], v[28:29], v[85:86]
	s_waitcnt vmcnt(55) lgkmcnt(0)
	v_mul_f64 v[86:87], v[6:7], v[24:25]
	v_mul_f64 v[24:25], v[8:9], v[24:25]
	v_add_f64 v[74:75], v[74:75], v[126:127]
	v_add_f64 v[14:15], v[16:17], v[14:15]
	s_clause 0x2
	buffer_load_dword v85, off, s[0:3], 0 offset:988
	buffer_load_dword v17, off, s[0:3], 0 offset:964
	;; [unrolled: 1-line block ×3, first 2 shown]
	ds_read_b128 v[10:13], v1 offset:1776
	s_waitcnt vmcnt(56)
	v_fma_f64 v[22:23], v[2:3], v[30:31], -v[22:23]
	v_fma_f64 v[30:31], v[4:5], v[30:31], v[129:130]
	s_waitcnt vmcnt(51)
	v_fma_f64 v[24:25], v[6:7], v[26:27], -v[24:25]
	v_add_f64 v[18:19], v[74:75], v[18:19]
	v_add_f64 v[14:15], v[14:15], v[28:29]
	s_clause 0x4
	buffer_load_dword v29, off, s[0:3], 0 offset:1004
	buffer_load_dword v74, off, s[0:3], 0 offset:1016
	buffer_load_dword v126, off, s[0:3], 0 offset:1008
	buffer_load_dword v28, off, s[0:3], 0 offset:1000
	buffer_load_dword v129, off, s[0:3], 0 offset:980
	s_waitcnt lgkmcnt(0)
	v_mul_f64 v[130:131], v[10:11], v[32:33]
	v_mul_f64 v[32:33], v[12:13], v[32:33]
	ds_read_b128 v[2:5], v1 offset:1792
	v_add_f64 v[18:19], v[18:19], v[22:23]
	v_fma_f64 v[22:23], v[8:9], v[26:27], v[86:87]
	v_add_f64 v[14:15], v[14:15], v[30:31]
	s_clause 0x2
	buffer_load_dword v75, off, s[0:3], 0 offset:1020
	buffer_load_dword v27, off, s[0:3], 0 offset:996
	;; [unrolled: 1-line block ×3, first 2 shown]
	s_waitcnt vmcnt(58) lgkmcnt(0)
	v_mul_f64 v[30:31], v[2:3], v[34:35]
	v_mul_f64 v[34:35], v[4:5], v[34:35]
	s_waitcnt vmcnt(56)
	v_fma_f64 v[32:33], v[10:11], v[38:39], -v[32:33]
	ds_read_b128 v[6:9], v1 offset:1808
	v_add_f64 v[18:19], v[18:19], v[24:25]
	v_fma_f64 v[24:25], v[12:13], v[38:39], v[130:131]
	v_add_f64 v[14:15], v[14:15], v[22:23]
	s_clause 0x2
	buffer_load_dword v23, off, s[0:3], 0 offset:1036
	buffer_load_dword v22, off, s[0:3], 0 offset:1032
	;; [unrolled: 1-line block ×3, first 2 shown]
	ds_read_b128 v[10:13], v1 offset:1824
	s_waitcnt vmcnt(55) lgkmcnt(1)
	v_mul_f64 v[38:39], v[6:7], v[40:41]
	v_mul_f64 v[40:41], v[8:9], v[40:41]
	s_waitcnt vmcnt(54)
	v_fma_f64 v[34:35], v[2:3], v[36:37], -v[34:35]
	v_fma_f64 v[30:31], v[4:5], v[36:37], v[30:31]
	v_add_f64 v[18:19], v[18:19], v[32:33]
	v_add_f64 v[14:15], v[14:15], v[24:25]
	s_clause 0x1
	buffer_load_dword v25, off, s[0:3], 0 offset:1028
	buffer_load_dword v24, off, s[0:3], 0 offset:1024
	s_waitcnt vmcnt(55) lgkmcnt(0)
	v_mul_f64 v[36:37], v[12:13], v[42:43]
	ds_read_b128 v[2:5], v1 offset:1840
	s_waitcnt vmcnt(53)
	v_fma_f64 v[40:41], v[6:7], v[46:47], -v[40:41]
	v_mul_f64 v[32:33], v[10:11], v[42:43]
	v_add_f64 v[18:19], v[18:19], v[34:35]
	v_fma_f64 v[34:35], v[8:9], v[46:47], v[38:39]
	v_add_f64 v[14:15], v[14:15], v[30:31]
	ds_read_b128 v[6:9], v1 offset:1856
	s_waitcnt vmcnt(49) lgkmcnt(1)
	v_mul_f64 v[38:39], v[4:5], v[48:49]
	s_waitcnt vmcnt(48)
	v_fma_f64 v[36:37], v[10:11], v[44:45], -v[36:37]
	v_mul_f64 v[30:31], v[2:3], v[48:49]
	v_fma_f64 v[32:33], v[12:13], v[44:45], v[32:33]
	v_add_f64 v[18:19], v[18:19], v[40:41]
	s_waitcnt vmcnt(47) lgkmcnt(0)
	v_mul_f64 v[44:45], v[8:9], v[50:51]
	v_add_f64 v[14:15], v[14:15], v[34:35]
	s_clause 0x3
	buffer_load_dword v34, off, s[0:3], 0 offset:672
	buffer_load_dword v35, off, s[0:3], 0 offset:676
	;; [unrolled: 1-line block ×4, first 2 shown]
	s_waitcnt vmcnt(49)
	v_fma_f64 v[38:39], v[2:3], v[54:55], -v[38:39]
	ds_read_b128 v[10:13], v1 offset:1872
	v_mul_f64 v[42:43], v[6:7], v[50:51]
	v_fma_f64 v[30:31], v[4:5], v[54:55], v[30:31]
	ds_read_b128 v[2:5], v1 offset:1888
	v_add_f64 v[18:19], v[18:19], v[36:37]
	s_waitcnt vmcnt(44)
	v_fma_f64 v[44:45], v[6:7], v[52:53], -v[44:45]
	v_add_f64 v[14:15], v[14:15], v[32:33]
	s_waitcnt lgkmcnt(1)
	v_mul_f64 v[36:37], v[12:13], v[56:57]
	v_mul_f64 v[32:33], v[10:11], v[56:57]
	v_add_f64 v[18:19], v[18:19], v[38:39]
	v_fma_f64 v[38:39], v[8:9], v[52:53], v[42:43]
	v_add_f64 v[14:15], v[14:15], v[30:31]
	s_waitcnt vmcnt(43) lgkmcnt(0)
	v_mul_f64 v[42:43], v[4:5], v[58:59]
	s_waitcnt vmcnt(41)
	v_fma_f64 v[36:37], v[10:11], v[62:63], -v[36:37]
	ds_read_b128 v[6:9], v1 offset:1904
	v_mul_f64 v[30:31], v[2:3], v[58:59]
	v_fma_f64 v[32:33], v[12:13], v[62:63], v[32:33]
	ds_read_b128 v[10:13], v1 offset:1920
	v_add_f64 v[18:19], v[18:19], v[44:45]
	v_add_f64 v[14:15], v[14:15], v[38:39]
	s_waitcnt vmcnt(37) lgkmcnt(1)
	v_mul_f64 v[44:45], v[8:9], v[64:65]
	s_waitcnt vmcnt(36)
	v_fma_f64 v[42:43], v[2:3], v[60:61], -v[42:43]
	v_mul_f64 v[38:39], v[6:7], v[64:65]
	v_fma_f64 v[30:31], v[4:5], v[60:61], v[30:31]
	ds_read_b128 v[2:5], v1 offset:1936
	v_add_f64 v[18:19], v[18:19], v[36:37]
	s_waitcnt vmcnt(35) lgkmcnt(1)
	v_mul_f64 v[36:37], v[12:13], v[66:67]
	v_add_f64 v[14:15], v[14:15], v[32:33]
	s_waitcnt vmcnt(33)
	v_fma_f64 v[44:45], v[6:7], v[72:73], -v[44:45]
	v_mul_f64 v[32:33], v[10:11], v[66:67]
	v_fma_f64 v[38:39], v[8:9], v[72:73], v[38:39]
	ds_read_b128 v[6:9], v1 offset:1952
	v_add_f64 v[18:19], v[18:19], v[42:43]
	s_waitcnt vmcnt(29) lgkmcnt(1)
	v_mul_f64 v[42:43], v[4:5], v[78:79]
	v_add_f64 v[14:15], v[14:15], v[30:31]
	s_waitcnt vmcnt(28)
	v_fma_f64 v[36:37], v[10:11], v[70:71], -v[36:37]
	v_mul_f64 v[30:31], v[2:3], v[78:79]
	v_fma_f64 v[32:33], v[12:13], v[70:71], v[32:33]
	ds_read_b128 v[10:13], v1 offset:1968
	v_add_f64 v[18:19], v[18:19], v[44:45]
	v_add_f64 v[14:15], v[14:15], v[38:39]
	s_waitcnt vmcnt(27) lgkmcnt(1)
	v_mul_f64 v[44:45], v[8:9], v[80:81]
	v_mul_f64 v[38:39], v[6:7], v[80:81]
	s_waitcnt vmcnt(25)
	v_fma_f64 v[42:43], v[2:3], v[76:77], -v[42:43]
	v_fma_f64 v[30:31], v[4:5], v[76:77], v[30:31]
	ds_read_b128 v[2:5], v1 offset:1984
	v_add_f64 v[18:19], v[18:19], v[36:37]
	v_add_f64 v[14:15], v[14:15], v[32:33]
	s_waitcnt vmcnt(21) lgkmcnt(1)
	v_mul_f64 v[32:33], v[10:11], v[20:21]
	v_mul_f64 v[20:21], v[12:13], v[20:21]
	s_waitcnt vmcnt(20)
	v_fma_f64 v[36:37], v[6:7], v[82:83], -v[44:45]
	;; [unrolled: 9-line block ×4, first 2 shown]
	v_add_f64 v[18:19], v[18:19], v[20:21]
	v_fma_f64 v[20:21], v[4:5], v[128:129], v[30:31]
	v_add_f64 v[14:15], v[14:15], v[16:17]
	ds_read_b128 v[1:4], v1 offset:2032
	s_waitcnt vmcnt(11) lgkmcnt(1)
	v_mul_f64 v[30:31], v[12:13], v[74:75]
	v_mul_f64 v[16:17], v[10:11], v[74:75]
	s_waitcnt vmcnt(9)
	v_fma_f64 v[5:6], v[6:7], v[26:27], -v[28:29]
	v_fma_f64 v[7:8], v[8:9], v[26:27], v[32:33]
	v_add_f64 v[18:19], v[18:19], v[36:37]
	v_add_f64 v[14:15], v[14:15], v[20:21]
	s_waitcnt vmcnt(7) lgkmcnt(0)
	v_mul_f64 v[20:21], v[1:2], v[22:23]
	v_mul_f64 v[22:23], v[3:4], v[22:23]
	s_waitcnt vmcnt(6)
	v_fma_f64 v[9:10], v[10:11], v[126:127], -v[30:31]
	v_fma_f64 v[11:12], v[12:13], v[126:127], v[16:17]
	v_add_f64 v[5:6], v[18:19], v[5:6]
	v_add_f64 v[7:8], v[14:15], v[7:8]
	s_waitcnt vmcnt(4)
	v_fma_f64 v[1:2], v[1:2], v[24:25], -v[22:23]
	v_fma_f64 v[3:4], v[3:4], v[24:25], v[20:21]
	v_add_f64 v[5:6], v[5:6], v[9:10]
	v_add_f64 v[7:8], v[7:8], v[11:12]
	;; [unrolled: 1-line block ×4, first 2 shown]
	s_waitcnt vmcnt(2)
	v_add_f64 v[1:2], v[34:35], -v[1:2]
	s_waitcnt vmcnt(0)
	v_add_f64 v[3:4], v[40:41], -v[3:4]
	buffer_store_dword v2, off, s[0:3], 0 offset:676
	buffer_store_dword v1, off, s[0:3], 0 offset:672
	;; [unrolled: 1-line block ×4, first 2 shown]
	v_cmpx_lt_u32_e32 40, v0
	s_cbranch_execz .LBB63_329
; %bb.328:
	v_mov_b32_e32 v4, s38
	v_mov_b32_e32 v5, 0
	s_clause 0x3
	buffer_load_dword v1, v4, s[0:3], 0 offen
	buffer_load_dword v2, v4, s[0:3], 0 offen offset:4
	buffer_load_dword v3, v4, s[0:3], 0 offen offset:8
	;; [unrolled: 1-line block ×3, first 2 shown]
	buffer_store_dword v5, off, s[0:3], 0 offset:656
	buffer_store_dword v5, off, s[0:3], 0 offset:660
	buffer_store_dword v5, off, s[0:3], 0 offset:664
	buffer_store_dword v5, off, s[0:3], 0 offset:668
	s_waitcnt vmcnt(0)
	ds_write_b128 v69, v[1:4]
.LBB63_329:
	s_or_b32 exec_lo, exec_lo, s4
	s_waitcnt lgkmcnt(0)
	s_waitcnt_vscnt null, 0x0
	s_barrier
	buffer_gl0_inv
	s_clause 0x37
	buffer_load_dword v10, off, s[0:3], 0 offset:680
	buffer_load_dword v11, off, s[0:3], 0 offset:684
	;; [unrolled: 1-line block ×56, first 2 shown]
	v_mov_b32_e32 v1, 0
	s_mov_b32 s4, exec_lo
	ds_read_b128 v[2:5], v1 offset:1680
	s_clause 0x2
	buffer_load_dword v67, off, s[0:3], 0 offset:908
	buffer_load_dword v73, off, s[0:3], 0 offset:884
	;; [unrolled: 1-line block ×3, first 2 shown]
	ds_read_b128 v[6:9], v1 offset:1696
	s_clause 0x4
	buffer_load_dword v79, off, s[0:3], 0 offset:924
	buffer_load_dword v80, off, s[0:3], 0 offset:936
	;; [unrolled: 1-line block ×5, first 2 shown]
	s_waitcnt vmcnt(62) lgkmcnt(1)
	v_mul_f64 v[74:75], v[4:5], v[10:11]
	v_mul_f64 v[76:77], v[2:3], v[10:11]
	s_waitcnt vmcnt(60) lgkmcnt(0)
	v_mul_f64 v[83:84], v[8:9], v[14:15]
	ds_read_b128 v[10:13], v1 offset:1712
	v_mul_f64 v[14:15], v[6:7], v[14:15]
	s_waitcnt vmcnt(58)
	v_fma_f64 v[74:75], v[2:3], v[16:17], -v[74:75]
	v_fma_f64 v[16:17], v[4:5], v[16:17], v[76:77]
	s_clause 0x2
	buffer_load_dword v81, off, s[0:3], 0 offset:940
	buffer_load_dword v77, off, s[0:3], 0 offset:916
	;; [unrolled: 1-line block ×3, first 2 shown]
	s_waitcnt vmcnt(59) lgkmcnt(0)
	v_mul_f64 v[85:86], v[10:11], v[18:19]
	v_mul_f64 v[18:19], v[12:13], v[18:19]
	s_waitcnt vmcnt(57)
	v_fma_f64 v[126:127], v[6:7], v[20:21], -v[83:84]
	ds_read_b128 v[2:5], v1 offset:1728
	v_fma_f64 v[14:15], v[8:9], v[20:21], v[14:15]
	s_clause 0x4
	buffer_load_dword v21, off, s[0:3], 0 offset:956
	buffer_load_dword v84, off, s[0:3], 0 offset:968
	;; [unrolled: 1-line block ×5, first 2 shown]
	ds_read_b128 v[6:9], v1 offset:1744
	v_add_f64 v[74:75], v[74:75], 0
	v_add_f64 v[16:17], v[16:17], 0
	s_waitcnt vmcnt(58) lgkmcnt(1)
	v_mul_f64 v[129:130], v[2:3], v[22:23]
	v_mul_f64 v[22:23], v[4:5], v[22:23]
	s_waitcnt vmcnt(56)
	v_fma_f64 v[18:19], v[10:11], v[28:29], -v[18:19]
	v_fma_f64 v[28:29], v[12:13], v[28:29], v[85:86]
	s_waitcnt vmcnt(55) lgkmcnt(0)
	v_mul_f64 v[86:87], v[6:7], v[24:25]
	v_mul_f64 v[24:25], v[8:9], v[24:25]
	v_add_f64 v[74:75], v[74:75], v[126:127]
	v_add_f64 v[14:15], v[16:17], v[14:15]
	s_clause 0x2
	buffer_load_dword v85, off, s[0:3], 0 offset:972
	buffer_load_dword v17, off, s[0:3], 0 offset:948
	;; [unrolled: 1-line block ×3, first 2 shown]
	ds_read_b128 v[10:13], v1 offset:1760
	s_waitcnt vmcnt(56)
	v_fma_f64 v[22:23], v[2:3], v[30:31], -v[22:23]
	v_fma_f64 v[30:31], v[4:5], v[30:31], v[129:130]
	s_waitcnt vmcnt(51)
	v_fma_f64 v[24:25], v[6:7], v[26:27], -v[24:25]
	v_add_f64 v[18:19], v[74:75], v[18:19]
	v_add_f64 v[14:15], v[14:15], v[28:29]
	s_clause 0x4
	buffer_load_dword v29, off, s[0:3], 0 offset:988
	buffer_load_dword v74, off, s[0:3], 0 offset:1000
	;; [unrolled: 1-line block ×5, first 2 shown]
	s_waitcnt lgkmcnt(0)
	v_mul_f64 v[130:131], v[10:11], v[32:33]
	v_mul_f64 v[32:33], v[12:13], v[32:33]
	ds_read_b128 v[2:5], v1 offset:1776
	v_add_f64 v[18:19], v[18:19], v[22:23]
	v_fma_f64 v[22:23], v[8:9], v[26:27], v[86:87]
	v_add_f64 v[14:15], v[14:15], v[30:31]
	s_clause 0x2
	buffer_load_dword v75, off, s[0:3], 0 offset:1004
	buffer_load_dword v27, off, s[0:3], 0 offset:980
	buffer_load_dword v26, off, s[0:3], 0 offset:976
	s_waitcnt vmcnt(58) lgkmcnt(0)
	v_mul_f64 v[30:31], v[2:3], v[34:35]
	v_mul_f64 v[34:35], v[4:5], v[34:35]
	s_waitcnt vmcnt(56)
	v_fma_f64 v[32:33], v[10:11], v[38:39], -v[32:33]
	ds_read_b128 v[6:9], v1 offset:1792
	v_add_f64 v[18:19], v[18:19], v[24:25]
	v_fma_f64 v[24:25], v[12:13], v[38:39], v[130:131]
	v_add_f64 v[14:15], v[14:15], v[22:23]
	s_clause 0x4
	buffer_load_dword v23, off, s[0:3], 0 offset:1020
	buffer_load_dword v38, off, s[0:3], 0 offset:1032
	;; [unrolled: 1-line block ×5, first 2 shown]
	ds_read_b128 v[10:13], v1 offset:1808
	s_waitcnt vmcnt(57) lgkmcnt(1)
	v_mul_f64 v[130:131], v[6:7], v[40:41]
	v_mul_f64 v[40:41], v[8:9], v[40:41]
	s_waitcnt vmcnt(56)
	v_fma_f64 v[34:35], v[2:3], v[36:37], -v[34:35]
	v_fma_f64 v[30:31], v[4:5], v[36:37], v[30:31]
	v_add_f64 v[18:19], v[18:19], v[32:33]
	v_add_f64 v[14:15], v[14:15], v[24:25]
	s_clause 0x2
	buffer_load_dword v39, off, s[0:3], 0 offset:1036
	buffer_load_dword v25, off, s[0:3], 0 offset:1012
	;; [unrolled: 1-line block ×3, first 2 shown]
	s_waitcnt vmcnt(58) lgkmcnt(0)
	v_mul_f64 v[36:37], v[12:13], v[42:43]
	ds_read_b128 v[2:5], v1 offset:1824
	s_waitcnt vmcnt(56)
	v_fma_f64 v[40:41], v[6:7], v[46:47], -v[40:41]
	v_mul_f64 v[32:33], v[10:11], v[42:43]
	buffer_load_dword v87, off, s[0:3], 0 offset:1028
	v_add_f64 v[18:19], v[18:19], v[34:35]
	v_fma_f64 v[34:35], v[8:9], v[46:47], v[130:131]
	v_add_f64 v[14:15], v[14:15], v[30:31]
	ds_read_b128 v[6:9], v1 offset:1840
	s_waitcnt vmcnt(53) lgkmcnt(1)
	v_mul_f64 v[42:43], v[4:5], v[48:49]
	s_waitcnt vmcnt(52)
	v_fma_f64 v[36:37], v[10:11], v[44:45], -v[36:37]
	v_mul_f64 v[30:31], v[2:3], v[48:49]
	v_fma_f64 v[32:33], v[12:13], v[44:45], v[32:33]
	ds_read_b128 v[10:13], v1 offset:1856
	v_add_f64 v[18:19], v[18:19], v[40:41]
	s_waitcnt vmcnt(51) lgkmcnt(1)
	v_mul_f64 v[40:41], v[8:9], v[50:51]
	v_add_f64 v[14:15], v[14:15], v[34:35]
	v_mul_f64 v[34:35], v[6:7], v[50:51]
	s_waitcnt vmcnt(49)
	v_fma_f64 v[42:43], v[2:3], v[54:55], -v[42:43]
	v_fma_f64 v[30:31], v[4:5], v[54:55], v[30:31]
	s_waitcnt vmcnt(45) lgkmcnt(0)
	v_mul_f64 v[46:47], v[12:13], v[56:57]
	v_mul_f64 v[44:45], v[10:11], v[56:57]
	v_add_f64 v[18:19], v[18:19], v[36:37]
	s_waitcnt vmcnt(44)
	v_fma_f64 v[40:41], v[6:7], v[52:53], -v[40:41]
	v_add_f64 v[14:15], v[14:15], v[32:33]
	s_clause 0x3
	buffer_load_dword v32, off, s[0:3], 0 offset:656
	buffer_load_dword v33, off, s[0:3], 0 offset:660
	;; [unrolled: 1-line block ×4, first 2 shown]
	ds_read_b128 v[2:5], v1 offset:1872
	v_fma_f64 v[34:35], v[8:9], v[52:53], v[34:35]
	ds_read_b128 v[6:9], v1 offset:1888
	s_waitcnt vmcnt(45)
	v_fma_f64 v[46:47], v[10:11], v[62:63], -v[46:47]
	v_add_f64 v[18:19], v[18:19], v[42:43]
	v_add_f64 v[14:15], v[14:15], v[30:31]
	s_waitcnt lgkmcnt(1)
	v_mul_f64 v[42:43], v[4:5], v[58:59]
	v_mul_f64 v[30:31], v[2:3], v[58:59]
	v_add_f64 v[18:19], v[18:19], v[40:41]
	v_fma_f64 v[40:41], v[12:13], v[62:63], v[44:45]
	v_add_f64 v[14:15], v[14:15], v[34:35]
	s_waitcnt vmcnt(41) lgkmcnt(0)
	v_mul_f64 v[44:45], v[8:9], v[64:65]
	s_waitcnt vmcnt(40)
	v_fma_f64 v[42:43], v[2:3], v[60:61], -v[42:43]
	ds_read_b128 v[10:13], v1 offset:1904
	v_mul_f64 v[34:35], v[6:7], v[64:65]
	v_fma_f64 v[30:31], v[4:5], v[60:61], v[30:31]
	ds_read_b128 v[2:5], v1 offset:1920
	v_add_f64 v[18:19], v[18:19], v[46:47]
	v_add_f64 v[14:15], v[14:15], v[40:41]
	s_waitcnt vmcnt(39) lgkmcnt(1)
	v_mul_f64 v[46:47], v[12:13], v[66:67]
	s_waitcnt vmcnt(37)
	v_fma_f64 v[44:45], v[6:7], v[72:73], -v[44:45]
	v_mul_f64 v[40:41], v[10:11], v[66:67]
	v_fma_f64 v[34:35], v[8:9], v[72:73], v[34:35]
	ds_read_b128 v[6:9], v1 offset:1936
	v_add_f64 v[18:19], v[18:19], v[42:43]
	s_waitcnt vmcnt(33) lgkmcnt(1)
	v_mul_f64 v[42:43], v[4:5], v[78:79]
	v_add_f64 v[14:15], v[14:15], v[30:31]
	s_waitcnt vmcnt(32)
	v_fma_f64 v[46:47], v[10:11], v[70:71], -v[46:47]
	v_mul_f64 v[30:31], v[2:3], v[78:79]
	v_fma_f64 v[40:41], v[12:13], v[70:71], v[40:41]
	ds_read_b128 v[10:13], v1 offset:1952
	v_add_f64 v[18:19], v[18:19], v[44:45]
	v_add_f64 v[14:15], v[14:15], v[34:35]
	s_waitcnt vmcnt(31) lgkmcnt(1)
	v_mul_f64 v[44:45], v[8:9], v[80:81]
	v_mul_f64 v[34:35], v[6:7], v[80:81]
	s_waitcnt vmcnt(29)
	v_fma_f64 v[42:43], v[2:3], v[76:77], -v[42:43]
	v_fma_f64 v[30:31], v[4:5], v[76:77], v[30:31]
	ds_read_b128 v[2:5], v1 offset:1968
	v_add_f64 v[18:19], v[18:19], v[46:47]
	v_add_f64 v[14:15], v[14:15], v[40:41]
	s_waitcnt vmcnt(25) lgkmcnt(1)
	v_mul_f64 v[40:41], v[10:11], v[20:21]
	v_mul_f64 v[20:21], v[12:13], v[20:21]
	s_waitcnt vmcnt(24)
	v_fma_f64 v[44:45], v[6:7], v[82:83], -v[44:45]
	;; [unrolled: 9-line block ×4, first 2 shown]
	v_add_f64 v[18:19], v[18:19], v[20:21]
	v_fma_f64 v[20:21], v[4:5], v[128:129], v[30:31]
	v_add_f64 v[14:15], v[14:15], v[16:17]
	ds_read_b128 v[2:5], v1 offset:2016
	s_waitcnt vmcnt(15) lgkmcnt(1)
	v_mul_f64 v[30:31], v[12:13], v[74:75]
	v_mul_f64 v[16:17], v[10:11], v[74:75]
	s_waitcnt vmcnt(13)
	v_fma_f64 v[28:29], v[6:7], v[26:27], -v[28:29]
	v_fma_f64 v[26:27], v[8:9], v[26:27], v[34:35]
	ds_read_b128 v[6:9], v1 offset:2032
	v_add_f64 v[18:19], v[18:19], v[40:41]
	v_add_f64 v[14:15], v[14:15], v[20:21]
	s_waitcnt vmcnt(9) lgkmcnt(1)
	v_mul_f64 v[20:21], v[2:3], v[22:23]
	v_mul_f64 v[22:23], v[4:5], v[22:23]
	s_waitcnt vmcnt(8)
	v_fma_f64 v[10:11], v[10:11], v[126:127], -v[30:31]
	v_fma_f64 v[12:13], v[12:13], v[126:127], v[16:17]
	v_add_f64 v[18:19], v[18:19], v[28:29]
	v_add_f64 v[14:15], v[14:15], v[26:27]
	s_waitcnt vmcnt(7) lgkmcnt(0)
	v_mul_f64 v[26:27], v[8:9], v[38:39]
	v_mul_f64 v[16:17], v[6:7], v[38:39]
	s_waitcnt vmcnt(5)
	v_fma_f64 v[2:3], v[2:3], v[24:25], -v[22:23]
	v_fma_f64 v[4:5], v[4:5], v[24:25], v[20:21]
	v_add_f64 v[10:11], v[18:19], v[10:11]
	v_add_f64 v[12:13], v[14:15], v[12:13]
	s_waitcnt vmcnt(4)
	v_fma_f64 v[6:7], v[6:7], v[86:87], -v[26:27]
	v_fma_f64 v[8:9], v[8:9], v[86:87], v[16:17]
	v_add_f64 v[2:3], v[10:11], v[2:3]
	v_add_f64 v[4:5], v[12:13], v[4:5]
	;; [unrolled: 1-line block ×4, first 2 shown]
	s_waitcnt vmcnt(2)
	v_add_f64 v[2:3], v[32:33], -v[2:3]
	s_waitcnt vmcnt(0)
	v_add_f64 v[4:5], v[36:37], -v[4:5]
	buffer_store_dword v3, off, s[0:3], 0 offset:660
	buffer_store_dword v2, off, s[0:3], 0 offset:656
	;; [unrolled: 1-line block ×4, first 2 shown]
	v_cmpx_lt_u32_e32 39, v0
	s_cbranch_execz .LBB63_331
; %bb.330:
	v_mov_b32_e32 v5, s39
	s_clause 0x3
	buffer_load_dword v2, v5, s[0:3], 0 offen
	buffer_load_dword v3, v5, s[0:3], 0 offen offset:4
	buffer_load_dword v4, v5, s[0:3], 0 offen offset:8
	;; [unrolled: 1-line block ×3, first 2 shown]
	buffer_store_dword v1, off, s[0:3], 0 offset:640
	buffer_store_dword v1, off, s[0:3], 0 offset:644
	;; [unrolled: 1-line block ×4, first 2 shown]
	s_waitcnt vmcnt(0)
	ds_write_b128 v69, v[2:5]
.LBB63_331:
	s_or_b32 exec_lo, exec_lo, s4
	s_waitcnt lgkmcnt(0)
	s_waitcnt_vscnt null, 0x0
	s_barrier
	buffer_gl0_inv
	s_clause 0x37
	buffer_load_dword v10, off, s[0:3], 0 offset:664
	buffer_load_dword v11, off, s[0:3], 0 offset:668
	;; [unrolled: 1-line block ×56, first 2 shown]
	ds_read_b128 v[2:5], v1 offset:1664
	s_clause 0x2
	buffer_load_dword v67, off, s[0:3], 0 offset:892
	buffer_load_dword v73, off, s[0:3], 0 offset:868
	;; [unrolled: 1-line block ×3, first 2 shown]
	ds_read_b128 v[6:9], v1 offset:1680
	s_clause 0x4
	buffer_load_dword v79, off, s[0:3], 0 offset:908
	buffer_load_dword v80, off, s[0:3], 0 offset:920
	;; [unrolled: 1-line block ×5, first 2 shown]
	s_mov_b32 s4, exec_lo
	s_waitcnt vmcnt(62) lgkmcnt(1)
	v_mul_f64 v[74:75], v[4:5], v[10:11]
	v_mul_f64 v[76:77], v[2:3], v[10:11]
	s_waitcnt vmcnt(60) lgkmcnt(0)
	v_mul_f64 v[83:84], v[8:9], v[14:15]
	ds_read_b128 v[10:13], v1 offset:1696
	v_mul_f64 v[14:15], v[6:7], v[14:15]
	s_waitcnt vmcnt(58)
	v_fma_f64 v[74:75], v[2:3], v[16:17], -v[74:75]
	v_fma_f64 v[16:17], v[4:5], v[16:17], v[76:77]
	s_clause 0x2
	buffer_load_dword v81, off, s[0:3], 0 offset:924
	buffer_load_dword v77, off, s[0:3], 0 offset:900
	;; [unrolled: 1-line block ×3, first 2 shown]
	s_waitcnt vmcnt(59) lgkmcnt(0)
	v_mul_f64 v[85:86], v[10:11], v[18:19]
	v_mul_f64 v[18:19], v[12:13], v[18:19]
	s_waitcnt vmcnt(57)
	v_fma_f64 v[126:127], v[6:7], v[20:21], -v[83:84]
	ds_read_b128 v[2:5], v1 offset:1712
	v_fma_f64 v[14:15], v[8:9], v[20:21], v[14:15]
	s_clause 0x4
	buffer_load_dword v21, off, s[0:3], 0 offset:940
	buffer_load_dword v84, off, s[0:3], 0 offset:952
	buffer_load_dword v128, off, s[0:3], 0 offset:944
	buffer_load_dword v20, off, s[0:3], 0 offset:936
	buffer_load_dword v83, off, s[0:3], 0 offset:916
	ds_read_b128 v[6:9], v1 offset:1728
	v_add_f64 v[74:75], v[74:75], 0
	v_add_f64 v[16:17], v[16:17], 0
	s_waitcnt vmcnt(58) lgkmcnt(1)
	v_mul_f64 v[129:130], v[2:3], v[22:23]
	v_mul_f64 v[22:23], v[4:5], v[22:23]
	s_waitcnt vmcnt(56)
	v_fma_f64 v[18:19], v[10:11], v[28:29], -v[18:19]
	v_fma_f64 v[28:29], v[12:13], v[28:29], v[85:86]
	s_waitcnt vmcnt(55) lgkmcnt(0)
	v_mul_f64 v[86:87], v[6:7], v[24:25]
	v_mul_f64 v[24:25], v[8:9], v[24:25]
	v_add_f64 v[74:75], v[74:75], v[126:127]
	v_add_f64 v[14:15], v[16:17], v[14:15]
	s_clause 0x2
	buffer_load_dword v85, off, s[0:3], 0 offset:956
	buffer_load_dword v17, off, s[0:3], 0 offset:932
	;; [unrolled: 1-line block ×3, first 2 shown]
	ds_read_b128 v[10:13], v1 offset:1744
	s_waitcnt vmcnt(56)
	v_fma_f64 v[22:23], v[2:3], v[30:31], -v[22:23]
	v_fma_f64 v[30:31], v[4:5], v[30:31], v[129:130]
	s_waitcnt vmcnt(51)
	v_fma_f64 v[24:25], v[6:7], v[26:27], -v[24:25]
	v_add_f64 v[18:19], v[74:75], v[18:19]
	v_add_f64 v[14:15], v[14:15], v[28:29]
	s_clause 0x4
	buffer_load_dword v29, off, s[0:3], 0 offset:972
	buffer_load_dword v74, off, s[0:3], 0 offset:984
	;; [unrolled: 1-line block ×5, first 2 shown]
	s_waitcnt lgkmcnt(0)
	v_mul_f64 v[130:131], v[10:11], v[32:33]
	v_mul_f64 v[32:33], v[12:13], v[32:33]
	ds_read_b128 v[2:5], v1 offset:1760
	v_add_f64 v[18:19], v[18:19], v[22:23]
	v_fma_f64 v[22:23], v[8:9], v[26:27], v[86:87]
	v_add_f64 v[14:15], v[14:15], v[30:31]
	s_clause 0x2
	buffer_load_dword v75, off, s[0:3], 0 offset:988
	buffer_load_dword v27, off, s[0:3], 0 offset:964
	;; [unrolled: 1-line block ×3, first 2 shown]
	s_waitcnt vmcnt(58) lgkmcnt(0)
	v_mul_f64 v[30:31], v[2:3], v[34:35]
	v_mul_f64 v[34:35], v[4:5], v[34:35]
	s_waitcnt vmcnt(56)
	v_fma_f64 v[32:33], v[10:11], v[38:39], -v[32:33]
	ds_read_b128 v[6:9], v1 offset:1776
	v_add_f64 v[18:19], v[18:19], v[24:25]
	v_fma_f64 v[24:25], v[12:13], v[38:39], v[130:131]
	v_add_f64 v[14:15], v[14:15], v[22:23]
	s_clause 0x4
	buffer_load_dword v23, off, s[0:3], 0 offset:1004
	buffer_load_dword v38, off, s[0:3], 0 offset:1016
	;; [unrolled: 1-line block ×5, first 2 shown]
	ds_read_b128 v[10:13], v1 offset:1792
	s_waitcnt vmcnt(57) lgkmcnt(1)
	v_mul_f64 v[130:131], v[6:7], v[40:41]
	v_mul_f64 v[40:41], v[8:9], v[40:41]
	s_waitcnt vmcnt(56)
	v_fma_f64 v[34:35], v[2:3], v[36:37], -v[34:35]
	v_fma_f64 v[30:31], v[4:5], v[36:37], v[30:31]
	v_add_f64 v[18:19], v[18:19], v[32:33]
	v_add_f64 v[14:15], v[14:15], v[24:25]
	s_clause 0x2
	buffer_load_dword v39, off, s[0:3], 0 offset:1020
	buffer_load_dword v25, off, s[0:3], 0 offset:996
	;; [unrolled: 1-line block ×3, first 2 shown]
	s_waitcnt vmcnt(58) lgkmcnt(0)
	v_mul_f64 v[36:37], v[12:13], v[42:43]
	ds_read_b128 v[2:5], v1 offset:1808
	s_waitcnt vmcnt(56)
	v_fma_f64 v[40:41], v[6:7], v[46:47], -v[40:41]
	v_mul_f64 v[32:33], v[10:11], v[42:43]
	v_add_f64 v[18:19], v[18:19], v[34:35]
	v_fma_f64 v[34:35], v[8:9], v[46:47], v[130:131]
	v_add_f64 v[14:15], v[14:15], v[30:31]
	s_clause 0x2
	buffer_load_dword v31, off, s[0:3], 0 offset:1036
	buffer_load_dword v30, off, s[0:3], 0 offset:1032
	;; [unrolled: 1-line block ×3, first 2 shown]
	s_waitcnt vmcnt(55) lgkmcnt(0)
	v_mul_f64 v[46:47], v[4:5], v[48:49]
	s_waitcnt vmcnt(54)
	v_fma_f64 v[36:37], v[10:11], v[44:45], -v[36:37]
	ds_read_b128 v[6:9], v1 offset:1824
	v_mul_f64 v[42:43], v[2:3], v[48:49]
	v_fma_f64 v[32:33], v[12:13], v[44:45], v[32:33]
	v_add_f64 v[18:19], v[18:19], v[40:41]
	v_add_f64 v[14:15], v[14:15], v[34:35]
	s_clause 0x1
	buffer_load_dword v35, off, s[0:3], 0 offset:1028
	buffer_load_dword v34, off, s[0:3], 0 offset:1024
	s_waitcnt vmcnt(55) lgkmcnt(0)
	v_mul_f64 v[44:45], v[8:9], v[50:51]
	s_waitcnt vmcnt(53)
	v_fma_f64 v[46:47], v[2:3], v[54:55], -v[46:47]
	ds_read_b128 v[10:13], v1 offset:1840
	v_mul_f64 v[40:41], v[6:7], v[50:51]
	v_add_f64 v[18:19], v[18:19], v[36:37]
	v_fma_f64 v[36:37], v[4:5], v[54:55], v[42:43]
	v_add_f64 v[14:15], v[14:15], v[32:33]
	ds_read_b128 v[2:5], v1 offset:1856
	s_waitcnt vmcnt(49) lgkmcnt(1)
	v_mul_f64 v[42:43], v[12:13], v[56:57]
	s_waitcnt vmcnt(48)
	v_fma_f64 v[44:45], v[6:7], v[52:53], -v[44:45]
	v_mul_f64 v[32:33], v[10:11], v[56:57]
	v_fma_f64 v[40:41], v[8:9], v[52:53], v[40:41]
	v_add_f64 v[18:19], v[18:19], v[46:47]
	s_waitcnt vmcnt(47) lgkmcnt(0)
	v_mul_f64 v[50:51], v[4:5], v[58:59]
	v_add_f64 v[14:15], v[14:15], v[36:37]
	s_clause 0x3
	buffer_load_dword v36, off, s[0:3], 0 offset:640
	buffer_load_dword v37, off, s[0:3], 0 offset:644
	;; [unrolled: 1-line block ×4, first 2 shown]
	s_waitcnt vmcnt(49)
	v_fma_f64 v[42:43], v[10:11], v[62:63], -v[42:43]
	ds_read_b128 v[6:9], v1 offset:1872
	v_mul_f64 v[48:49], v[2:3], v[58:59]
	v_fma_f64 v[32:33], v[12:13], v[62:63], v[32:33]
	ds_read_b128 v[10:13], v1 offset:1888
	v_add_f64 v[18:19], v[18:19], v[44:45]
	s_waitcnt vmcnt(44)
	v_fma_f64 v[50:51], v[2:3], v[60:61], -v[50:51]
	v_add_f64 v[14:15], v[14:15], v[40:41]
	s_waitcnt lgkmcnt(1)
	v_mul_f64 v[44:45], v[8:9], v[64:65]
	v_mul_f64 v[40:41], v[6:7], v[64:65]
	v_add_f64 v[18:19], v[18:19], v[42:43]
	v_fma_f64 v[42:43], v[4:5], v[60:61], v[48:49]
	v_add_f64 v[14:15], v[14:15], v[32:33]
	s_waitcnt vmcnt(43) lgkmcnt(0)
	v_mul_f64 v[48:49], v[12:13], v[66:67]
	s_waitcnt vmcnt(41)
	v_fma_f64 v[44:45], v[6:7], v[72:73], -v[44:45]
	ds_read_b128 v[2:5], v1 offset:1904
	v_mul_f64 v[32:33], v[10:11], v[66:67]
	v_fma_f64 v[40:41], v[8:9], v[72:73], v[40:41]
	ds_read_b128 v[6:9], v1 offset:1920
	v_add_f64 v[18:19], v[18:19], v[50:51]
	v_add_f64 v[14:15], v[14:15], v[42:43]
	s_waitcnt vmcnt(37) lgkmcnt(1)
	v_mul_f64 v[50:51], v[4:5], v[78:79]
	s_waitcnt vmcnt(36)
	v_fma_f64 v[48:49], v[10:11], v[70:71], -v[48:49]
	v_mul_f64 v[42:43], v[2:3], v[78:79]
	v_fma_f64 v[32:33], v[12:13], v[70:71], v[32:33]
	ds_read_b128 v[10:13], v1 offset:1936
	v_add_f64 v[18:19], v[18:19], v[44:45]
	v_add_f64 v[14:15], v[14:15], v[40:41]
	s_waitcnt vmcnt(35) lgkmcnt(1)
	v_mul_f64 v[44:45], v[8:9], v[80:81]
	v_mul_f64 v[40:41], v[6:7], v[80:81]
	s_waitcnt vmcnt(33)
	v_fma_f64 v[50:51], v[2:3], v[76:77], -v[50:51]
	v_fma_f64 v[42:43], v[4:5], v[76:77], v[42:43]
	ds_read_b128 v[2:5], v1 offset:1952
	v_add_f64 v[18:19], v[18:19], v[48:49]
	v_add_f64 v[14:15], v[14:15], v[32:33]
	s_waitcnt vmcnt(29) lgkmcnt(1)
	v_mul_f64 v[32:33], v[10:11], v[20:21]
	v_mul_f64 v[20:21], v[12:13], v[20:21]
	s_waitcnt vmcnt(28)
	v_fma_f64 v[44:45], v[6:7], v[82:83], -v[44:45]
	;; [unrolled: 9-line block ×4, first 2 shown]
	v_add_f64 v[18:19], v[18:19], v[20:21]
	v_fma_f64 v[20:21], v[4:5], v[128:129], v[42:43]
	v_add_f64 v[14:15], v[14:15], v[16:17]
	ds_read_b128 v[2:5], v1 offset:2000
	s_waitcnt vmcnt(19) lgkmcnt(1)
	v_mul_f64 v[42:43], v[12:13], v[74:75]
	v_mul_f64 v[16:17], v[10:11], v[74:75]
	s_waitcnt vmcnt(17)
	v_fma_f64 v[28:29], v[6:7], v[26:27], -v[28:29]
	v_fma_f64 v[26:27], v[8:9], v[26:27], v[32:33]
	ds_read_b128 v[6:9], v1 offset:2016
	v_add_f64 v[18:19], v[18:19], v[40:41]
	v_add_f64 v[14:15], v[14:15], v[20:21]
	s_waitcnt vmcnt(13) lgkmcnt(1)
	v_mul_f64 v[20:21], v[2:3], v[22:23]
	v_mul_f64 v[22:23], v[4:5], v[22:23]
	s_waitcnt vmcnt(12)
	v_fma_f64 v[32:33], v[10:11], v[126:127], -v[42:43]
	v_fma_f64 v[16:17], v[12:13], v[126:127], v[16:17]
	ds_read_b128 v[10:13], v1 offset:2032
	v_add_f64 v[18:19], v[18:19], v[28:29]
	v_add_f64 v[14:15], v[14:15], v[26:27]
	s_waitcnt vmcnt(11) lgkmcnt(1)
	v_mul_f64 v[28:29], v[8:9], v[38:39]
	v_mul_f64 v[26:27], v[6:7], v[38:39]
	s_waitcnt vmcnt(9)
	v_fma_f64 v[1:2], v[2:3], v[24:25], -v[22:23]
	v_fma_f64 v[3:4], v[4:5], v[24:25], v[20:21]
	v_add_f64 v[18:19], v[18:19], v[32:33]
	v_add_f64 v[14:15], v[14:15], v[16:17]
	s_waitcnt vmcnt(7) lgkmcnt(0)
	v_mul_f64 v[20:21], v[12:13], v[30:31]
	s_waitcnt vmcnt(6)
	v_fma_f64 v[5:6], v[6:7], v[86:87], -v[28:29]
	v_mul_f64 v[16:17], v[10:11], v[30:31]
	v_fma_f64 v[7:8], v[8:9], v[86:87], v[26:27]
	v_add_f64 v[1:2], v[18:19], v[1:2]
	v_add_f64 v[3:4], v[14:15], v[3:4]
	s_waitcnt vmcnt(4)
	v_fma_f64 v[9:10], v[10:11], v[34:35], -v[20:21]
	v_add_f64 v[1:2], v[1:2], v[5:6]
	v_fma_f64 v[5:6], v[12:13], v[34:35], v[16:17]
	v_add_f64 v[3:4], v[3:4], v[7:8]
	v_add_f64 v[1:2], v[1:2], v[9:10]
	;; [unrolled: 1-line block ×3, first 2 shown]
	s_waitcnt vmcnt(2)
	v_add_f64 v[1:2], v[36:37], -v[1:2]
	s_waitcnt vmcnt(0)
	v_add_f64 v[3:4], v[46:47], -v[3:4]
	buffer_store_dword v2, off, s[0:3], 0 offset:644
	buffer_store_dword v1, off, s[0:3], 0 offset:640
	;; [unrolled: 1-line block ×4, first 2 shown]
	v_cmpx_lt_u32_e32 38, v0
	s_cbranch_execz .LBB63_333
; %bb.332:
	v_mov_b32_e32 v4, s40
	v_mov_b32_e32 v5, 0
	s_clause 0x3
	buffer_load_dword v1, v4, s[0:3], 0 offen
	buffer_load_dword v2, v4, s[0:3], 0 offen offset:4
	buffer_load_dword v3, v4, s[0:3], 0 offen offset:8
	;; [unrolled: 1-line block ×3, first 2 shown]
	buffer_store_dword v5, off, s[0:3], 0 offset:624
	buffer_store_dword v5, off, s[0:3], 0 offset:628
	;; [unrolled: 1-line block ×4, first 2 shown]
	s_waitcnt vmcnt(0)
	ds_write_b128 v69, v[1:4]
.LBB63_333:
	s_or_b32 exec_lo, exec_lo, s4
	s_waitcnt lgkmcnt(0)
	s_waitcnt_vscnt null, 0x0
	s_barrier
	buffer_gl0_inv
	s_clause 0x37
	buffer_load_dword v10, off, s[0:3], 0 offset:648
	buffer_load_dword v11, off, s[0:3], 0 offset:652
	;; [unrolled: 1-line block ×56, first 2 shown]
	v_mov_b32_e32 v1, 0
	s_mov_b32 s4, exec_lo
	ds_read_b128 v[2:5], v1 offset:1648
	s_clause 0x2
	buffer_load_dword v67, off, s[0:3], 0 offset:876
	buffer_load_dword v73, off, s[0:3], 0 offset:852
	;; [unrolled: 1-line block ×3, first 2 shown]
	ds_read_b128 v[6:9], v1 offset:1664
	s_clause 0x4
	buffer_load_dword v79, off, s[0:3], 0 offset:892
	buffer_load_dword v80, off, s[0:3], 0 offset:904
	;; [unrolled: 1-line block ×5, first 2 shown]
	s_waitcnt vmcnt(62) lgkmcnt(1)
	v_mul_f64 v[74:75], v[4:5], v[10:11]
	v_mul_f64 v[76:77], v[2:3], v[10:11]
	s_waitcnt vmcnt(60) lgkmcnt(0)
	v_mul_f64 v[83:84], v[8:9], v[14:15]
	ds_read_b128 v[10:13], v1 offset:1680
	v_mul_f64 v[14:15], v[6:7], v[14:15]
	s_waitcnt vmcnt(58)
	v_fma_f64 v[74:75], v[2:3], v[16:17], -v[74:75]
	v_fma_f64 v[16:17], v[4:5], v[16:17], v[76:77]
	s_clause 0x2
	buffer_load_dword v81, off, s[0:3], 0 offset:908
	buffer_load_dword v77, off, s[0:3], 0 offset:884
	;; [unrolled: 1-line block ×3, first 2 shown]
	s_waitcnt vmcnt(59) lgkmcnt(0)
	v_mul_f64 v[85:86], v[10:11], v[18:19]
	v_mul_f64 v[18:19], v[12:13], v[18:19]
	s_waitcnt vmcnt(57)
	v_fma_f64 v[126:127], v[6:7], v[20:21], -v[83:84]
	ds_read_b128 v[2:5], v1 offset:1696
	v_fma_f64 v[14:15], v[8:9], v[20:21], v[14:15]
	s_clause 0x4
	buffer_load_dword v21, off, s[0:3], 0 offset:924
	buffer_load_dword v84, off, s[0:3], 0 offset:936
	;; [unrolled: 1-line block ×5, first 2 shown]
	ds_read_b128 v[6:9], v1 offset:1712
	v_add_f64 v[74:75], v[74:75], 0
	v_add_f64 v[16:17], v[16:17], 0
	s_waitcnt vmcnt(58) lgkmcnt(1)
	v_mul_f64 v[129:130], v[2:3], v[22:23]
	v_mul_f64 v[22:23], v[4:5], v[22:23]
	s_waitcnt vmcnt(56)
	v_fma_f64 v[18:19], v[10:11], v[28:29], -v[18:19]
	v_fma_f64 v[28:29], v[12:13], v[28:29], v[85:86]
	s_waitcnt vmcnt(55) lgkmcnt(0)
	v_mul_f64 v[86:87], v[6:7], v[24:25]
	v_mul_f64 v[24:25], v[8:9], v[24:25]
	v_add_f64 v[74:75], v[74:75], v[126:127]
	v_add_f64 v[14:15], v[16:17], v[14:15]
	s_clause 0x2
	buffer_load_dword v85, off, s[0:3], 0 offset:940
	buffer_load_dword v17, off, s[0:3], 0 offset:916
	;; [unrolled: 1-line block ×3, first 2 shown]
	ds_read_b128 v[10:13], v1 offset:1728
	s_waitcnt vmcnt(56)
	v_fma_f64 v[22:23], v[2:3], v[30:31], -v[22:23]
	v_fma_f64 v[30:31], v[4:5], v[30:31], v[129:130]
	s_waitcnt vmcnt(51)
	v_fma_f64 v[24:25], v[6:7], v[26:27], -v[24:25]
	v_add_f64 v[18:19], v[74:75], v[18:19]
	v_add_f64 v[14:15], v[14:15], v[28:29]
	s_clause 0x4
	buffer_load_dword v29, off, s[0:3], 0 offset:956
	buffer_load_dword v74, off, s[0:3], 0 offset:968
	;; [unrolled: 1-line block ×5, first 2 shown]
	s_waitcnt lgkmcnt(0)
	v_mul_f64 v[130:131], v[10:11], v[32:33]
	v_mul_f64 v[32:33], v[12:13], v[32:33]
	ds_read_b128 v[2:5], v1 offset:1744
	v_add_f64 v[18:19], v[18:19], v[22:23]
	v_fma_f64 v[22:23], v[8:9], v[26:27], v[86:87]
	v_add_f64 v[14:15], v[14:15], v[30:31]
	s_clause 0x2
	buffer_load_dword v75, off, s[0:3], 0 offset:972
	buffer_load_dword v27, off, s[0:3], 0 offset:948
	;; [unrolled: 1-line block ×3, first 2 shown]
	s_waitcnt vmcnt(58) lgkmcnt(0)
	v_mul_f64 v[30:31], v[2:3], v[34:35]
	v_mul_f64 v[34:35], v[4:5], v[34:35]
	s_waitcnt vmcnt(56)
	v_fma_f64 v[32:33], v[10:11], v[38:39], -v[32:33]
	ds_read_b128 v[6:9], v1 offset:1760
	v_add_f64 v[18:19], v[18:19], v[24:25]
	v_fma_f64 v[24:25], v[12:13], v[38:39], v[130:131]
	v_add_f64 v[14:15], v[14:15], v[22:23]
	s_clause 0x4
	buffer_load_dword v23, off, s[0:3], 0 offset:988
	buffer_load_dword v38, off, s[0:3], 0 offset:1000
	;; [unrolled: 1-line block ×5, first 2 shown]
	ds_read_b128 v[10:13], v1 offset:1776
	s_waitcnt vmcnt(57) lgkmcnt(1)
	v_mul_f64 v[130:131], v[6:7], v[40:41]
	v_mul_f64 v[40:41], v[8:9], v[40:41]
	s_waitcnt vmcnt(56)
	v_fma_f64 v[34:35], v[2:3], v[36:37], -v[34:35]
	v_fma_f64 v[30:31], v[4:5], v[36:37], v[30:31]
	v_add_f64 v[18:19], v[18:19], v[32:33]
	v_add_f64 v[14:15], v[14:15], v[24:25]
	s_clause 0x2
	buffer_load_dword v39, off, s[0:3], 0 offset:1004
	buffer_load_dword v25, off, s[0:3], 0 offset:980
	;; [unrolled: 1-line block ×3, first 2 shown]
	s_waitcnt vmcnt(58) lgkmcnt(0)
	v_mul_f64 v[36:37], v[12:13], v[42:43]
	ds_read_b128 v[2:5], v1 offset:1792
	s_waitcnt vmcnt(56)
	v_fma_f64 v[40:41], v[6:7], v[46:47], -v[40:41]
	v_mul_f64 v[32:33], v[10:11], v[42:43]
	v_add_f64 v[18:19], v[18:19], v[34:35]
	v_fma_f64 v[34:35], v[8:9], v[46:47], v[130:131]
	v_add_f64 v[14:15], v[14:15], v[30:31]
	s_clause 0x4
	buffer_load_dword v31, off, s[0:3], 0 offset:1020
	buffer_load_dword v42, off, s[0:3], 0 offset:1032
	;; [unrolled: 1-line block ×5, first 2 shown]
	s_waitcnt vmcnt(57) lgkmcnt(0)
	v_mul_f64 v[130:131], v[2:3], v[48:49]
	v_mul_f64 v[47:48], v[4:5], v[48:49]
	s_waitcnt vmcnt(56)
	v_fma_f64 v[36:37], v[10:11], v[44:45], -v[36:37]
	ds_read_b128 v[6:9], v1 offset:1808
	v_fma_f64 v[32:33], v[12:13], v[44:45], v[32:33]
	v_add_f64 v[18:19], v[18:19], v[40:41]
	v_add_f64 v[14:15], v[14:15], v[34:35]
	s_clause 0x2
	buffer_load_dword v43, off, s[0:3], 0 offset:1036
	buffer_load_dword v35, off, s[0:3], 0 offset:1012
	buffer_load_dword v34, off, s[0:3], 0 offset:1008
	ds_read_b128 v[10:13], v1 offset:1824
	s_waitcnt vmcnt(58) lgkmcnt(1)
	v_mul_f64 v[44:45], v[8:9], v[50:51]
	s_waitcnt vmcnt(56)
	v_fma_f64 v[48:49], v[2:3], v[54:55], -v[47:48]
	v_mul_f64 v[40:41], v[6:7], v[50:51]
	buffer_load_dword v47, off, s[0:3], 0 offset:1028
	v_add_f64 v[18:19], v[18:19], v[36:37]
	v_fma_f64 v[36:37], v[4:5], v[54:55], v[130:131]
	v_add_f64 v[14:15], v[14:15], v[32:33]
	ds_read_b128 v[2:5], v1 offset:1840
	s_waitcnt vmcnt(53) lgkmcnt(1)
	v_mul_f64 v[50:51], v[12:13], v[56:57]
	s_waitcnt vmcnt(52)
	v_fma_f64 v[44:45], v[6:7], v[52:53], -v[44:45]
	v_mul_f64 v[32:33], v[10:11], v[56:57]
	v_fma_f64 v[40:41], v[8:9], v[52:53], v[40:41]
	ds_read_b128 v[6:9], v1 offset:1856
	v_add_f64 v[18:19], v[18:19], v[48:49]
	s_waitcnt vmcnt(51) lgkmcnt(1)
	v_mul_f64 v[48:49], v[4:5], v[58:59]
	v_add_f64 v[14:15], v[14:15], v[36:37]
	v_mul_f64 v[36:37], v[2:3], v[58:59]
	s_waitcnt vmcnt(49)
	v_fma_f64 v[50:51], v[10:11], v[62:63], -v[50:51]
	v_fma_f64 v[32:33], v[12:13], v[62:63], v[32:33]
	s_waitcnt vmcnt(45) lgkmcnt(0)
	v_mul_f64 v[54:55], v[8:9], v[64:65]
	v_mul_f64 v[52:53], v[6:7], v[64:65]
	v_add_f64 v[18:19], v[18:19], v[44:45]
	s_waitcnt vmcnt(44)
	v_fma_f64 v[48:49], v[2:3], v[60:61], -v[48:49]
	v_add_f64 v[14:15], v[14:15], v[40:41]
	s_clause 0x3
	buffer_load_dword v40, off, s[0:3], 0 offset:624
	buffer_load_dword v41, off, s[0:3], 0 offset:628
	;; [unrolled: 1-line block ×4, first 2 shown]
	ds_read_b128 v[10:13], v1 offset:1872
	v_fma_f64 v[36:37], v[4:5], v[60:61], v[36:37]
	ds_read_b128 v[2:5], v1 offset:1888
	s_waitcnt vmcnt(45)
	v_fma_f64 v[54:55], v[6:7], v[72:73], -v[54:55]
	v_add_f64 v[18:19], v[18:19], v[50:51]
	v_add_f64 v[14:15], v[14:15], v[32:33]
	s_waitcnt lgkmcnt(1)
	v_mul_f64 v[50:51], v[12:13], v[66:67]
	v_mul_f64 v[32:33], v[10:11], v[66:67]
	v_add_f64 v[18:19], v[18:19], v[48:49]
	v_fma_f64 v[48:49], v[8:9], v[72:73], v[52:53]
	v_add_f64 v[14:15], v[14:15], v[36:37]
	s_waitcnt vmcnt(41) lgkmcnt(0)
	v_mul_f64 v[52:53], v[4:5], v[78:79]
	s_waitcnt vmcnt(40)
	v_fma_f64 v[50:51], v[10:11], v[70:71], -v[50:51]
	ds_read_b128 v[6:9], v1 offset:1904
	v_mul_f64 v[36:37], v[2:3], v[78:79]
	v_fma_f64 v[32:33], v[12:13], v[70:71], v[32:33]
	ds_read_b128 v[10:13], v1 offset:1920
	v_add_f64 v[18:19], v[18:19], v[54:55]
	v_add_f64 v[14:15], v[14:15], v[48:49]
	s_waitcnt vmcnt(39) lgkmcnt(1)
	v_mul_f64 v[54:55], v[8:9], v[80:81]
	v_mul_f64 v[48:49], v[6:7], v[80:81]
	s_waitcnt vmcnt(37)
	v_fma_f64 v[52:53], v[2:3], v[76:77], -v[52:53]
	v_fma_f64 v[36:37], v[4:5], v[76:77], v[36:37]
	ds_read_b128 v[2:5], v1 offset:1936
	v_add_f64 v[18:19], v[18:19], v[50:51]
	v_add_f64 v[14:15], v[14:15], v[32:33]
	s_waitcnt vmcnt(33) lgkmcnt(1)
	v_mul_f64 v[32:33], v[10:11], v[20:21]
	v_mul_f64 v[20:21], v[12:13], v[20:21]
	s_waitcnt vmcnt(32)
	v_fma_f64 v[50:51], v[6:7], v[82:83], -v[54:55]
	;; [unrolled: 9-line block ×4, first 2 shown]
	v_add_f64 v[18:19], v[18:19], v[20:21]
	v_fma_f64 v[20:21], v[4:5], v[128:129], v[36:37]
	v_add_f64 v[14:15], v[14:15], v[16:17]
	ds_read_b128 v[2:5], v1 offset:1984
	s_waitcnt vmcnt(23) lgkmcnt(1)
	v_mul_f64 v[36:37], v[12:13], v[74:75]
	v_mul_f64 v[16:17], v[10:11], v[74:75]
	s_waitcnt vmcnt(21)
	v_fma_f64 v[28:29], v[6:7], v[26:27], -v[28:29]
	v_fma_f64 v[26:27], v[8:9], v[26:27], v[32:33]
	ds_read_b128 v[6:9], v1 offset:2000
	v_add_f64 v[18:19], v[18:19], v[48:49]
	v_add_f64 v[14:15], v[14:15], v[20:21]
	s_waitcnt vmcnt(17) lgkmcnt(1)
	v_mul_f64 v[20:21], v[2:3], v[22:23]
	v_mul_f64 v[22:23], v[4:5], v[22:23]
	s_waitcnt vmcnt(16)
	v_fma_f64 v[32:33], v[10:11], v[126:127], -v[36:37]
	v_fma_f64 v[16:17], v[12:13], v[126:127], v[16:17]
	ds_read_b128 v[10:13], v1 offset:2016
	v_add_f64 v[18:19], v[18:19], v[28:29]
	v_add_f64 v[14:15], v[14:15], v[26:27]
	;; [unrolled: 9-line block ×3, first 2 shown]
	s_waitcnt vmcnt(9) lgkmcnt(1)
	v_mul_f64 v[24:25], v[12:13], v[30:31]
	s_waitcnt vmcnt(8)
	v_fma_f64 v[6:7], v[6:7], v[86:87], -v[28:29]
	v_mul_f64 v[16:17], v[10:11], v[30:31]
	v_fma_f64 v[8:9], v[8:9], v[86:87], v[26:27]
	v_add_f64 v[18:19], v[18:19], v[22:23]
	v_add_f64 v[14:15], v[14:15], v[20:21]
	s_waitcnt vmcnt(7) lgkmcnt(0)
	v_mul_f64 v[22:23], v[4:5], v[42:43]
	v_mul_f64 v[20:21], v[2:3], v[42:43]
	s_waitcnt vmcnt(5)
	v_fma_f64 v[10:11], v[10:11], v[34:35], -v[24:25]
	v_fma_f64 v[12:13], v[12:13], v[34:35], v[16:17]
	v_add_f64 v[6:7], v[18:19], v[6:7]
	v_add_f64 v[8:9], v[14:15], v[8:9]
	s_waitcnt vmcnt(4)
	v_fma_f64 v[2:3], v[2:3], v[46:47], -v[22:23]
	v_fma_f64 v[4:5], v[4:5], v[46:47], v[20:21]
	v_add_f64 v[6:7], v[6:7], v[10:11]
	v_add_f64 v[8:9], v[8:9], v[12:13]
	;; [unrolled: 1-line block ×4, first 2 shown]
	s_waitcnt vmcnt(2)
	v_add_f64 v[2:3], v[40:41], -v[2:3]
	s_waitcnt vmcnt(0)
	v_add_f64 v[4:5], v[44:45], -v[4:5]
	buffer_store_dword v3, off, s[0:3], 0 offset:628
	buffer_store_dword v2, off, s[0:3], 0 offset:624
	;; [unrolled: 1-line block ×4, first 2 shown]
	v_cmpx_lt_u32_e32 37, v0
	s_cbranch_execz .LBB63_335
; %bb.334:
	v_mov_b32_e32 v5, s41
	s_clause 0x3
	buffer_load_dword v2, v5, s[0:3], 0 offen
	buffer_load_dword v3, v5, s[0:3], 0 offen offset:4
	buffer_load_dword v4, v5, s[0:3], 0 offen offset:8
	;; [unrolled: 1-line block ×3, first 2 shown]
	buffer_store_dword v1, off, s[0:3], 0 offset:608
	buffer_store_dword v1, off, s[0:3], 0 offset:612
	;; [unrolled: 1-line block ×4, first 2 shown]
	s_waitcnt vmcnt(0)
	ds_write_b128 v69, v[2:5]
.LBB63_335:
	s_or_b32 exec_lo, exec_lo, s4
	s_waitcnt lgkmcnt(0)
	s_waitcnt_vscnt null, 0x0
	s_barrier
	buffer_gl0_inv
	s_clause 0x37
	buffer_load_dword v10, off, s[0:3], 0 offset:632
	buffer_load_dword v11, off, s[0:3], 0 offset:636
	;; [unrolled: 1-line block ×56, first 2 shown]
	ds_read_b128 v[2:5], v1 offset:1632
	s_clause 0x2
	buffer_load_dword v67, off, s[0:3], 0 offset:860
	buffer_load_dword v73, off, s[0:3], 0 offset:836
	;; [unrolled: 1-line block ×3, first 2 shown]
	ds_read_b128 v[6:9], v1 offset:1648
	s_clause 0x4
	buffer_load_dword v79, off, s[0:3], 0 offset:876
	buffer_load_dword v80, off, s[0:3], 0 offset:888
	;; [unrolled: 1-line block ×5, first 2 shown]
	s_mov_b32 s4, exec_lo
	s_waitcnt vmcnt(62) lgkmcnt(1)
	v_mul_f64 v[74:75], v[4:5], v[10:11]
	v_mul_f64 v[76:77], v[2:3], v[10:11]
	s_waitcnt vmcnt(60) lgkmcnt(0)
	v_mul_f64 v[83:84], v[8:9], v[14:15]
	ds_read_b128 v[10:13], v1 offset:1664
	v_mul_f64 v[14:15], v[6:7], v[14:15]
	s_waitcnt vmcnt(58)
	v_fma_f64 v[74:75], v[2:3], v[16:17], -v[74:75]
	v_fma_f64 v[16:17], v[4:5], v[16:17], v[76:77]
	s_clause 0x2
	buffer_load_dword v81, off, s[0:3], 0 offset:892
	buffer_load_dword v77, off, s[0:3], 0 offset:868
	;; [unrolled: 1-line block ×3, first 2 shown]
	s_waitcnt vmcnt(59) lgkmcnt(0)
	v_mul_f64 v[85:86], v[10:11], v[18:19]
	v_mul_f64 v[18:19], v[12:13], v[18:19]
	s_waitcnt vmcnt(57)
	v_fma_f64 v[126:127], v[6:7], v[20:21], -v[83:84]
	ds_read_b128 v[2:5], v1 offset:1680
	v_fma_f64 v[14:15], v[8:9], v[20:21], v[14:15]
	s_clause 0x4
	buffer_load_dword v21, off, s[0:3], 0 offset:908
	buffer_load_dword v84, off, s[0:3], 0 offset:920
	;; [unrolled: 1-line block ×5, first 2 shown]
	ds_read_b128 v[6:9], v1 offset:1696
	v_add_f64 v[74:75], v[74:75], 0
	v_add_f64 v[16:17], v[16:17], 0
	s_waitcnt vmcnt(58) lgkmcnt(1)
	v_mul_f64 v[129:130], v[2:3], v[22:23]
	v_mul_f64 v[22:23], v[4:5], v[22:23]
	s_waitcnt vmcnt(56)
	v_fma_f64 v[18:19], v[10:11], v[28:29], -v[18:19]
	v_fma_f64 v[28:29], v[12:13], v[28:29], v[85:86]
	s_waitcnt vmcnt(55) lgkmcnt(0)
	v_mul_f64 v[86:87], v[6:7], v[24:25]
	v_mul_f64 v[24:25], v[8:9], v[24:25]
	v_add_f64 v[74:75], v[74:75], v[126:127]
	v_add_f64 v[14:15], v[16:17], v[14:15]
	s_clause 0x2
	buffer_load_dword v85, off, s[0:3], 0 offset:924
	buffer_load_dword v17, off, s[0:3], 0 offset:900
	;; [unrolled: 1-line block ×3, first 2 shown]
	ds_read_b128 v[10:13], v1 offset:1712
	s_waitcnt vmcnt(56)
	v_fma_f64 v[22:23], v[2:3], v[30:31], -v[22:23]
	v_fma_f64 v[30:31], v[4:5], v[30:31], v[129:130]
	s_waitcnt vmcnt(51)
	v_fma_f64 v[24:25], v[6:7], v[26:27], -v[24:25]
	v_add_f64 v[18:19], v[74:75], v[18:19]
	v_add_f64 v[14:15], v[14:15], v[28:29]
	s_clause 0x4
	buffer_load_dword v29, off, s[0:3], 0 offset:940
	buffer_load_dword v74, off, s[0:3], 0 offset:952
	;; [unrolled: 1-line block ×5, first 2 shown]
	s_waitcnt lgkmcnt(0)
	v_mul_f64 v[130:131], v[10:11], v[32:33]
	v_mul_f64 v[32:33], v[12:13], v[32:33]
	ds_read_b128 v[2:5], v1 offset:1728
	v_add_f64 v[18:19], v[18:19], v[22:23]
	v_fma_f64 v[22:23], v[8:9], v[26:27], v[86:87]
	v_add_f64 v[14:15], v[14:15], v[30:31]
	s_clause 0x2
	buffer_load_dword v75, off, s[0:3], 0 offset:956
	buffer_load_dword v27, off, s[0:3], 0 offset:932
	;; [unrolled: 1-line block ×3, first 2 shown]
	s_waitcnt vmcnt(58) lgkmcnt(0)
	v_mul_f64 v[30:31], v[2:3], v[34:35]
	v_mul_f64 v[34:35], v[4:5], v[34:35]
	s_waitcnt vmcnt(56)
	v_fma_f64 v[32:33], v[10:11], v[38:39], -v[32:33]
	ds_read_b128 v[6:9], v1 offset:1744
	v_add_f64 v[18:19], v[18:19], v[24:25]
	v_fma_f64 v[24:25], v[12:13], v[38:39], v[130:131]
	v_add_f64 v[14:15], v[14:15], v[22:23]
	s_clause 0x4
	buffer_load_dword v23, off, s[0:3], 0 offset:972
	buffer_load_dword v38, off, s[0:3], 0 offset:984
	;; [unrolled: 1-line block ×5, first 2 shown]
	ds_read_b128 v[10:13], v1 offset:1760
	s_waitcnt vmcnt(57) lgkmcnt(1)
	v_mul_f64 v[130:131], v[6:7], v[40:41]
	v_mul_f64 v[40:41], v[8:9], v[40:41]
	s_waitcnt vmcnt(56)
	v_fma_f64 v[34:35], v[2:3], v[36:37], -v[34:35]
	v_fma_f64 v[30:31], v[4:5], v[36:37], v[30:31]
	v_add_f64 v[18:19], v[18:19], v[32:33]
	v_add_f64 v[14:15], v[14:15], v[24:25]
	s_clause 0x2
	buffer_load_dword v39, off, s[0:3], 0 offset:988
	buffer_load_dword v25, off, s[0:3], 0 offset:964
	;; [unrolled: 1-line block ×3, first 2 shown]
	s_waitcnt vmcnt(58) lgkmcnt(0)
	v_mul_f64 v[36:37], v[12:13], v[42:43]
	ds_read_b128 v[2:5], v1 offset:1776
	s_waitcnt vmcnt(56)
	v_fma_f64 v[40:41], v[6:7], v[46:47], -v[40:41]
	v_mul_f64 v[32:33], v[10:11], v[42:43]
	v_add_f64 v[18:19], v[18:19], v[34:35]
	v_fma_f64 v[34:35], v[8:9], v[46:47], v[130:131]
	v_add_f64 v[14:15], v[14:15], v[30:31]
	s_clause 0x4
	buffer_load_dword v31, off, s[0:3], 0 offset:1004
	buffer_load_dword v42, off, s[0:3], 0 offset:1016
	;; [unrolled: 1-line block ×5, first 2 shown]
	s_waitcnt vmcnt(57) lgkmcnt(0)
	v_mul_f64 v[130:131], v[2:3], v[48:49]
	v_mul_f64 v[47:48], v[4:5], v[48:49]
	s_waitcnt vmcnt(56)
	v_fma_f64 v[36:37], v[10:11], v[44:45], -v[36:37]
	ds_read_b128 v[6:9], v1 offset:1792
	v_fma_f64 v[32:33], v[12:13], v[44:45], v[32:33]
	v_add_f64 v[18:19], v[18:19], v[40:41]
	v_add_f64 v[14:15], v[14:15], v[34:35]
	s_clause 0x2
	buffer_load_dword v43, off, s[0:3], 0 offset:1020
	buffer_load_dword v35, off, s[0:3], 0 offset:996
	;; [unrolled: 1-line block ×3, first 2 shown]
	ds_read_b128 v[10:13], v1 offset:1808
	s_waitcnt vmcnt(58) lgkmcnt(1)
	v_mul_f64 v[44:45], v[8:9], v[50:51]
	s_waitcnt vmcnt(56)
	v_fma_f64 v[48:49], v[2:3], v[54:55], -v[47:48]
	v_mul_f64 v[40:41], v[6:7], v[50:51]
	v_add_f64 v[18:19], v[18:19], v[36:37]
	v_fma_f64 v[36:37], v[4:5], v[54:55], v[130:131]
	v_add_f64 v[14:15], v[14:15], v[32:33]
	s_clause 0x2
	buffer_load_dword v33, off, s[0:3], 0 offset:1036
	buffer_load_dword v32, off, s[0:3], 0 offset:1032
	;; [unrolled: 1-line block ×3, first 2 shown]
	s_waitcnt vmcnt(55) lgkmcnt(0)
	v_mul_f64 v[54:55], v[12:13], v[56:57]
	s_waitcnt vmcnt(54)
	v_fma_f64 v[44:45], v[6:7], v[52:53], -v[44:45]
	ds_read_b128 v[2:5], v1 offset:1824
	v_mul_f64 v[50:51], v[10:11], v[56:57]
	v_fma_f64 v[40:41], v[8:9], v[52:53], v[40:41]
	v_add_f64 v[18:19], v[18:19], v[48:49]
	v_add_f64 v[14:15], v[14:15], v[36:37]
	s_clause 0x1
	buffer_load_dword v37, off, s[0:3], 0 offset:1028
	buffer_load_dword v36, off, s[0:3], 0 offset:1024
	s_waitcnt vmcnt(55) lgkmcnt(0)
	v_mul_f64 v[52:53], v[4:5], v[58:59]
	s_waitcnt vmcnt(53)
	v_fma_f64 v[54:55], v[10:11], v[62:63], -v[54:55]
	ds_read_b128 v[6:9], v1 offset:1840
	v_mul_f64 v[48:49], v[2:3], v[58:59]
	v_add_f64 v[18:19], v[18:19], v[44:45]
	v_fma_f64 v[44:45], v[12:13], v[62:63], v[50:51]
	v_add_f64 v[14:15], v[14:15], v[40:41]
	ds_read_b128 v[10:13], v1 offset:1856
	s_waitcnt vmcnt(49) lgkmcnt(1)
	v_mul_f64 v[50:51], v[8:9], v[64:65]
	s_waitcnt vmcnt(48)
	v_fma_f64 v[52:53], v[2:3], v[60:61], -v[52:53]
	v_mul_f64 v[40:41], v[6:7], v[64:65]
	v_fma_f64 v[48:49], v[4:5], v[60:61], v[48:49]
	v_add_f64 v[18:19], v[18:19], v[54:55]
	s_waitcnt vmcnt(47) lgkmcnt(0)
	v_mul_f64 v[58:59], v[12:13], v[66:67]
	v_add_f64 v[14:15], v[14:15], v[44:45]
	s_clause 0x3
	buffer_load_dword v44, off, s[0:3], 0 offset:608
	buffer_load_dword v45, off, s[0:3], 0 offset:612
	;; [unrolled: 1-line block ×4, first 2 shown]
	s_waitcnt vmcnt(49)
	v_fma_f64 v[50:51], v[6:7], v[72:73], -v[50:51]
	ds_read_b128 v[2:5], v1 offset:1872
	v_mul_f64 v[56:57], v[10:11], v[66:67]
	v_fma_f64 v[40:41], v[8:9], v[72:73], v[40:41]
	ds_read_b128 v[6:9], v1 offset:1888
	v_add_f64 v[18:19], v[18:19], v[52:53]
	s_waitcnt vmcnt(44)
	v_fma_f64 v[58:59], v[10:11], v[70:71], -v[58:59]
	v_add_f64 v[14:15], v[14:15], v[48:49]
	s_waitcnt lgkmcnt(1)
	v_mul_f64 v[52:53], v[4:5], v[78:79]
	v_mul_f64 v[48:49], v[2:3], v[78:79]
	v_add_f64 v[18:19], v[18:19], v[50:51]
	v_fma_f64 v[50:51], v[12:13], v[70:71], v[56:57]
	v_add_f64 v[14:15], v[14:15], v[40:41]
	ds_read_b128 v[10:13], v1 offset:1904
	s_waitcnt vmcnt(43) lgkmcnt(1)
	v_mul_f64 v[56:57], v[8:9], v[80:81]
	v_mul_f64 v[40:41], v[6:7], v[80:81]
	s_waitcnt vmcnt(41)
	v_fma_f64 v[52:53], v[2:3], v[76:77], -v[52:53]
	v_fma_f64 v[48:49], v[4:5], v[76:77], v[48:49]
	ds_read_b128 v[2:5], v1 offset:1920
	v_add_f64 v[18:19], v[18:19], v[58:59]
	v_add_f64 v[14:15], v[14:15], v[50:51]
	s_waitcnt vmcnt(37) lgkmcnt(1)
	v_mul_f64 v[50:51], v[10:11], v[20:21]
	v_mul_f64 v[20:21], v[12:13], v[20:21]
	s_waitcnt vmcnt(36)
	v_fma_f64 v[56:57], v[6:7], v[82:83], -v[56:57]
	v_fma_f64 v[40:41], v[8:9], v[82:83], v[40:41]
	ds_read_b128 v[6:9], v1 offset:1936
	v_add_f64 v[18:19], v[18:19], v[52:53]
	v_add_f64 v[14:15], v[14:15], v[48:49]
	;; [unrolled: 9-line block ×3, first 2 shown]
	s_waitcnt vmcnt(29) lgkmcnt(1)
	v_mul_f64 v[40:41], v[6:7], v[28:29]
	v_mul_f64 v[28:29], v[8:9], v[28:29]
	s_waitcnt vmcnt(28)
	v_fma_f64 v[50:51], v[2:3], v[128:129], -v[52:53]
	v_add_f64 v[18:19], v[18:19], v[20:21]
	v_fma_f64 v[20:21], v[4:5], v[128:129], v[48:49]
	v_add_f64 v[14:15], v[14:15], v[16:17]
	ds_read_b128 v[2:5], v1 offset:1968
	s_waitcnt vmcnt(27) lgkmcnt(1)
	v_mul_f64 v[48:49], v[12:13], v[74:75]
	v_mul_f64 v[16:17], v[10:11], v[74:75]
	s_waitcnt vmcnt(25)
	v_fma_f64 v[28:29], v[6:7], v[26:27], -v[28:29]
	v_fma_f64 v[26:27], v[8:9], v[26:27], v[40:41]
	ds_read_b128 v[6:9], v1 offset:1984
	v_add_f64 v[18:19], v[18:19], v[50:51]
	v_add_f64 v[14:15], v[14:15], v[20:21]
	s_waitcnt vmcnt(21) lgkmcnt(1)
	v_mul_f64 v[20:21], v[2:3], v[22:23]
	v_mul_f64 v[22:23], v[4:5], v[22:23]
	s_waitcnt vmcnt(20)
	v_fma_f64 v[40:41], v[10:11], v[126:127], -v[48:49]
	v_fma_f64 v[16:17], v[12:13], v[126:127], v[16:17]
	ds_read_b128 v[10:13], v1 offset:2000
	v_add_f64 v[18:19], v[18:19], v[28:29]
	v_add_f64 v[14:15], v[14:15], v[26:27]
	;; [unrolled: 9-line block ×3, first 2 shown]
	s_waitcnt vmcnt(13) lgkmcnt(1)
	v_mul_f64 v[24:25], v[12:13], v[30:31]
	s_waitcnt vmcnt(12)
	v_fma_f64 v[28:29], v[6:7], v[86:87], -v[28:29]
	v_mul_f64 v[16:17], v[10:11], v[30:31]
	v_add_f64 v[18:19], v[18:19], v[22:23]
	v_fma_f64 v[22:23], v[8:9], v[86:87], v[26:27]
	v_add_f64 v[14:15], v[14:15], v[20:21]
	ds_read_b128 v[6:9], v1 offset:2032
	s_waitcnt vmcnt(11) lgkmcnt(1)
	v_mul_f64 v[26:27], v[4:5], v[42:43]
	v_mul_f64 v[20:21], v[2:3], v[42:43]
	s_waitcnt vmcnt(9)
	v_fma_f64 v[10:11], v[10:11], v[34:35], -v[24:25]
	v_fma_f64 v[12:13], v[12:13], v[34:35], v[16:17]
	v_add_f64 v[18:19], v[18:19], v[28:29]
	v_add_f64 v[14:15], v[14:15], v[22:23]
	s_waitcnt vmcnt(7) lgkmcnt(0)
	v_mul_f64 v[22:23], v[8:9], v[32:33]
	s_waitcnt vmcnt(6)
	v_fma_f64 v[1:2], v[2:3], v[46:47], -v[26:27]
	v_mul_f64 v[16:17], v[6:7], v[32:33]
	v_fma_f64 v[3:4], v[4:5], v[46:47], v[20:21]
	v_add_f64 v[10:11], v[18:19], v[10:11]
	v_add_f64 v[12:13], v[14:15], v[12:13]
	s_waitcnt vmcnt(4)
	v_fma_f64 v[5:6], v[6:7], v[36:37], -v[22:23]
	v_fma_f64 v[7:8], v[8:9], v[36:37], v[16:17]
	v_add_f64 v[1:2], v[10:11], v[1:2]
	v_add_f64 v[3:4], v[12:13], v[3:4]
	;; [unrolled: 1-line block ×4, first 2 shown]
	s_waitcnt vmcnt(2)
	v_add_f64 v[1:2], v[44:45], -v[1:2]
	s_waitcnt vmcnt(0)
	v_add_f64 v[3:4], v[54:55], -v[3:4]
	buffer_store_dword v2, off, s[0:3], 0 offset:612
	buffer_store_dword v1, off, s[0:3], 0 offset:608
	;; [unrolled: 1-line block ×4, first 2 shown]
	v_cmpx_lt_u32_e32 36, v0
	s_cbranch_execz .LBB63_337
; %bb.336:
	v_mov_b32_e32 v4, s42
	v_mov_b32_e32 v5, 0
	s_clause 0x3
	buffer_load_dword v1, v4, s[0:3], 0 offen
	buffer_load_dword v2, v4, s[0:3], 0 offen offset:4
	buffer_load_dword v3, v4, s[0:3], 0 offen offset:8
	;; [unrolled: 1-line block ×3, first 2 shown]
	buffer_store_dword v5, off, s[0:3], 0 offset:592
	buffer_store_dword v5, off, s[0:3], 0 offset:596
	;; [unrolled: 1-line block ×4, first 2 shown]
	s_waitcnt vmcnt(0)
	ds_write_b128 v69, v[1:4]
.LBB63_337:
	s_or_b32 exec_lo, exec_lo, s4
	s_waitcnt lgkmcnt(0)
	s_waitcnt_vscnt null, 0x0
	s_barrier
	buffer_gl0_inv
	s_clause 0x37
	buffer_load_dword v10, off, s[0:3], 0 offset:616
	buffer_load_dword v11, off, s[0:3], 0 offset:620
	;; [unrolled: 1-line block ×56, first 2 shown]
	v_mov_b32_e32 v1, 0
	s_mov_b32 s4, exec_lo
	ds_read_b128 v[2:5], v1 offset:1616
	s_clause 0x2
	buffer_load_dword v67, off, s[0:3], 0 offset:844
	buffer_load_dword v73, off, s[0:3], 0 offset:820
	;; [unrolled: 1-line block ×3, first 2 shown]
	ds_read_b128 v[6:9], v1 offset:1632
	s_clause 0x4
	buffer_load_dword v79, off, s[0:3], 0 offset:860
	buffer_load_dword v80, off, s[0:3], 0 offset:872
	;; [unrolled: 1-line block ×5, first 2 shown]
	s_waitcnt vmcnt(62) lgkmcnt(1)
	v_mul_f64 v[74:75], v[4:5], v[10:11]
	v_mul_f64 v[76:77], v[2:3], v[10:11]
	s_waitcnt vmcnt(60) lgkmcnt(0)
	v_mul_f64 v[83:84], v[8:9], v[14:15]
	ds_read_b128 v[10:13], v1 offset:1648
	v_mul_f64 v[14:15], v[6:7], v[14:15]
	s_waitcnt vmcnt(58)
	v_fma_f64 v[74:75], v[2:3], v[16:17], -v[74:75]
	v_fma_f64 v[16:17], v[4:5], v[16:17], v[76:77]
	s_clause 0x2
	buffer_load_dword v81, off, s[0:3], 0 offset:876
	buffer_load_dword v77, off, s[0:3], 0 offset:852
	;; [unrolled: 1-line block ×3, first 2 shown]
	s_waitcnt vmcnt(59) lgkmcnt(0)
	v_mul_f64 v[85:86], v[10:11], v[18:19]
	v_mul_f64 v[18:19], v[12:13], v[18:19]
	s_waitcnt vmcnt(57)
	v_fma_f64 v[126:127], v[6:7], v[20:21], -v[83:84]
	ds_read_b128 v[2:5], v1 offset:1664
	v_fma_f64 v[14:15], v[8:9], v[20:21], v[14:15]
	s_clause 0x4
	buffer_load_dword v21, off, s[0:3], 0 offset:892
	buffer_load_dword v84, off, s[0:3], 0 offset:904
	;; [unrolled: 1-line block ×5, first 2 shown]
	ds_read_b128 v[6:9], v1 offset:1680
	v_add_f64 v[74:75], v[74:75], 0
	v_add_f64 v[16:17], v[16:17], 0
	s_waitcnt vmcnt(58) lgkmcnt(1)
	v_mul_f64 v[129:130], v[2:3], v[22:23]
	v_mul_f64 v[22:23], v[4:5], v[22:23]
	s_waitcnt vmcnt(56)
	v_fma_f64 v[18:19], v[10:11], v[28:29], -v[18:19]
	v_fma_f64 v[28:29], v[12:13], v[28:29], v[85:86]
	s_waitcnt vmcnt(55) lgkmcnt(0)
	v_mul_f64 v[86:87], v[6:7], v[24:25]
	v_mul_f64 v[24:25], v[8:9], v[24:25]
	v_add_f64 v[74:75], v[74:75], v[126:127]
	v_add_f64 v[14:15], v[16:17], v[14:15]
	s_clause 0x2
	buffer_load_dword v85, off, s[0:3], 0 offset:908
	buffer_load_dword v17, off, s[0:3], 0 offset:884
	buffer_load_dword v16, off, s[0:3], 0 offset:880
	ds_read_b128 v[10:13], v1 offset:1696
	s_waitcnt vmcnt(56)
	v_fma_f64 v[22:23], v[2:3], v[30:31], -v[22:23]
	v_fma_f64 v[30:31], v[4:5], v[30:31], v[129:130]
	s_waitcnt vmcnt(51)
	v_fma_f64 v[24:25], v[6:7], v[26:27], -v[24:25]
	v_add_f64 v[18:19], v[74:75], v[18:19]
	v_add_f64 v[14:15], v[14:15], v[28:29]
	s_clause 0x4
	buffer_load_dword v29, off, s[0:3], 0 offset:924
	buffer_load_dword v74, off, s[0:3], 0 offset:936
	;; [unrolled: 1-line block ×5, first 2 shown]
	s_waitcnt lgkmcnt(0)
	v_mul_f64 v[130:131], v[10:11], v[32:33]
	v_mul_f64 v[32:33], v[12:13], v[32:33]
	ds_read_b128 v[2:5], v1 offset:1712
	v_add_f64 v[18:19], v[18:19], v[22:23]
	v_fma_f64 v[22:23], v[8:9], v[26:27], v[86:87]
	v_add_f64 v[14:15], v[14:15], v[30:31]
	s_clause 0x2
	buffer_load_dword v75, off, s[0:3], 0 offset:940
	buffer_load_dword v27, off, s[0:3], 0 offset:916
	;; [unrolled: 1-line block ×3, first 2 shown]
	s_waitcnt vmcnt(58) lgkmcnt(0)
	v_mul_f64 v[30:31], v[2:3], v[34:35]
	v_mul_f64 v[34:35], v[4:5], v[34:35]
	s_waitcnt vmcnt(56)
	v_fma_f64 v[32:33], v[10:11], v[38:39], -v[32:33]
	ds_read_b128 v[6:9], v1 offset:1728
	v_add_f64 v[18:19], v[18:19], v[24:25]
	v_fma_f64 v[24:25], v[12:13], v[38:39], v[130:131]
	v_add_f64 v[14:15], v[14:15], v[22:23]
	s_clause 0x4
	buffer_load_dword v23, off, s[0:3], 0 offset:956
	buffer_load_dword v38, off, s[0:3], 0 offset:968
	;; [unrolled: 1-line block ×5, first 2 shown]
	ds_read_b128 v[10:13], v1 offset:1744
	s_waitcnt vmcnt(57) lgkmcnt(1)
	v_mul_f64 v[130:131], v[6:7], v[40:41]
	v_mul_f64 v[40:41], v[8:9], v[40:41]
	s_waitcnt vmcnt(56)
	v_fma_f64 v[34:35], v[2:3], v[36:37], -v[34:35]
	v_fma_f64 v[30:31], v[4:5], v[36:37], v[30:31]
	v_add_f64 v[18:19], v[18:19], v[32:33]
	v_add_f64 v[14:15], v[14:15], v[24:25]
	s_clause 0x2
	buffer_load_dword v39, off, s[0:3], 0 offset:972
	buffer_load_dword v25, off, s[0:3], 0 offset:948
	buffer_load_dword v24, off, s[0:3], 0 offset:944
	s_waitcnt vmcnt(58) lgkmcnt(0)
	v_mul_f64 v[36:37], v[12:13], v[42:43]
	ds_read_b128 v[2:5], v1 offset:1760
	s_waitcnt vmcnt(56)
	v_fma_f64 v[40:41], v[6:7], v[46:47], -v[40:41]
	v_mul_f64 v[32:33], v[10:11], v[42:43]
	v_add_f64 v[18:19], v[18:19], v[34:35]
	v_fma_f64 v[34:35], v[8:9], v[46:47], v[130:131]
	v_add_f64 v[14:15], v[14:15], v[30:31]
	s_clause 0x4
	buffer_load_dword v31, off, s[0:3], 0 offset:988
	buffer_load_dword v42, off, s[0:3], 0 offset:1000
	;; [unrolled: 1-line block ×5, first 2 shown]
	s_waitcnt vmcnt(57) lgkmcnt(0)
	v_mul_f64 v[130:131], v[2:3], v[48:49]
	v_mul_f64 v[47:48], v[4:5], v[48:49]
	s_waitcnt vmcnt(56)
	v_fma_f64 v[36:37], v[10:11], v[44:45], -v[36:37]
	ds_read_b128 v[6:9], v1 offset:1776
	v_fma_f64 v[32:33], v[12:13], v[44:45], v[32:33]
	v_add_f64 v[18:19], v[18:19], v[40:41]
	v_add_f64 v[14:15], v[14:15], v[34:35]
	s_clause 0x2
	buffer_load_dword v43, off, s[0:3], 0 offset:1004
	buffer_load_dword v35, off, s[0:3], 0 offset:980
	buffer_load_dword v34, off, s[0:3], 0 offset:976
	ds_read_b128 v[10:13], v1 offset:1792
	s_waitcnt vmcnt(58) lgkmcnt(1)
	v_mul_f64 v[44:45], v[8:9], v[50:51]
	s_waitcnt vmcnt(56)
	v_fma_f64 v[48:49], v[2:3], v[54:55], -v[47:48]
	v_mul_f64 v[40:41], v[6:7], v[50:51]
	v_add_f64 v[18:19], v[18:19], v[36:37]
	v_fma_f64 v[36:37], v[4:5], v[54:55], v[130:131]
	v_add_f64 v[14:15], v[14:15], v[32:33]
	s_clause 0x4
	buffer_load_dword v33, off, s[0:3], 0 offset:1020
	buffer_load_dword v50, off, s[0:3], 0 offset:1032
	buffer_load_dword v54, off, s[0:3], 0 offset:1024
	buffer_load_dword v32, off, s[0:3], 0 offset:1016
	buffer_load_dword v47, off, s[0:3], 0 offset:996
	s_waitcnt vmcnt(57) lgkmcnt(0)
	v_mul_f64 v[130:131], v[10:11], v[56:57]
	v_mul_f64 v[55:56], v[12:13], v[56:57]
	s_waitcnt vmcnt(56)
	v_fma_f64 v[44:45], v[6:7], v[52:53], -v[44:45]
	ds_read_b128 v[2:5], v1 offset:1808
	v_fma_f64 v[40:41], v[8:9], v[52:53], v[40:41]
	v_add_f64 v[18:19], v[18:19], v[48:49]
	v_add_f64 v[14:15], v[14:15], v[36:37]
	s_clause 0x2
	buffer_load_dword v51, off, s[0:3], 0 offset:1036
	buffer_load_dword v37, off, s[0:3], 0 offset:1012
	;; [unrolled: 1-line block ×3, first 2 shown]
	ds_read_b128 v[6:9], v1 offset:1824
	s_waitcnt vmcnt(58) lgkmcnt(1)
	v_mul_f64 v[52:53], v[4:5], v[58:59]
	s_waitcnt vmcnt(56)
	v_fma_f64 v[56:57], v[10:11], v[62:63], -v[55:56]
	v_mul_f64 v[48:49], v[2:3], v[58:59]
	buffer_load_dword v55, off, s[0:3], 0 offset:1028
	v_add_f64 v[18:19], v[18:19], v[44:45]
	v_fma_f64 v[44:45], v[12:13], v[62:63], v[130:131]
	v_add_f64 v[14:15], v[14:15], v[40:41]
	ds_read_b128 v[10:13], v1 offset:1840
	s_waitcnt vmcnt(53) lgkmcnt(1)
	v_mul_f64 v[58:59], v[8:9], v[64:65]
	s_waitcnt vmcnt(52)
	v_fma_f64 v[52:53], v[2:3], v[60:61], -v[52:53]
	v_mul_f64 v[40:41], v[6:7], v[64:65]
	v_fma_f64 v[48:49], v[4:5], v[60:61], v[48:49]
	ds_read_b128 v[2:5], v1 offset:1856
	v_add_f64 v[18:19], v[18:19], v[56:57]
	s_waitcnt vmcnt(51) lgkmcnt(1)
	v_mul_f64 v[56:57], v[12:13], v[66:67]
	v_add_f64 v[14:15], v[14:15], v[44:45]
	v_mul_f64 v[44:45], v[10:11], v[66:67]
	s_waitcnt vmcnt(49)
	v_fma_f64 v[58:59], v[6:7], v[72:73], -v[58:59]
	v_fma_f64 v[40:41], v[8:9], v[72:73], v[40:41]
	s_waitcnt vmcnt(45) lgkmcnt(0)
	v_mul_f64 v[62:63], v[4:5], v[78:79]
	v_mul_f64 v[60:61], v[2:3], v[78:79]
	v_add_f64 v[18:19], v[18:19], v[52:53]
	s_waitcnt vmcnt(44)
	v_fma_f64 v[56:57], v[10:11], v[70:71], -v[56:57]
	v_add_f64 v[14:15], v[14:15], v[48:49]
	s_clause 0x3
	buffer_load_dword v48, off, s[0:3], 0 offset:592
	buffer_load_dword v49, off, s[0:3], 0 offset:596
	;; [unrolled: 1-line block ×4, first 2 shown]
	ds_read_b128 v[6:9], v1 offset:1872
	v_fma_f64 v[44:45], v[12:13], v[70:71], v[44:45]
	ds_read_b128 v[10:13], v1 offset:1888
	v_add_f64 v[18:19], v[18:19], v[58:59]
	v_add_f64 v[14:15], v[14:15], v[40:41]
	s_waitcnt vmcnt(47) lgkmcnt(1)
	v_mul_f64 v[58:59], v[8:9], v[80:81]
	v_mul_f64 v[40:41], v[6:7], v[80:81]
	s_waitcnt vmcnt(45)
	v_fma_f64 v[62:63], v[2:3], v[76:77], -v[62:63]
	v_add_f64 v[18:19], v[18:19], v[56:57]
	v_fma_f64 v[56:57], v[4:5], v[76:77], v[60:61]
	v_add_f64 v[14:15], v[14:15], v[44:45]
	s_waitcnt vmcnt(41) lgkmcnt(0)
	v_mul_f64 v[44:45], v[10:11], v[20:21]
	v_mul_f64 v[20:21], v[12:13], v[20:21]
	ds_read_b128 v[2:5], v1 offset:1904
	s_waitcnt vmcnt(40)
	v_fma_f64 v[58:59], v[6:7], v[82:83], -v[58:59]
	v_fma_f64 v[40:41], v[8:9], v[82:83], v[40:41]
	ds_read_b128 v[6:9], v1 offset:1920
	v_add_f64 v[18:19], v[18:19], v[62:63]
	v_add_f64 v[14:15], v[14:15], v[56:57]
	s_waitcnt vmcnt(39) lgkmcnt(1)
	v_mul_f64 v[60:61], v[4:5], v[84:85]
	v_mul_f64 v[56:57], v[2:3], v[84:85]
	s_waitcnt vmcnt(37)
	v_fma_f64 v[20:21], v[10:11], v[16:17], -v[20:21]
	v_fma_f64 v[16:17], v[12:13], v[16:17], v[44:45]
	ds_read_b128 v[10:13], v1 offset:1936
	v_add_f64 v[18:19], v[18:19], v[58:59]
	v_add_f64 v[14:15], v[14:15], v[40:41]
	s_waitcnt vmcnt(33) lgkmcnt(1)
	v_mul_f64 v[40:41], v[6:7], v[28:29]
	v_mul_f64 v[28:29], v[8:9], v[28:29]
	s_waitcnt vmcnt(32)
	v_fma_f64 v[44:45], v[2:3], v[128:129], -v[60:61]
	v_add_f64 v[18:19], v[18:19], v[20:21]
	v_fma_f64 v[20:21], v[4:5], v[128:129], v[56:57]
	v_add_f64 v[14:15], v[14:15], v[16:17]
	ds_read_b128 v[2:5], v1 offset:1952
	s_waitcnt vmcnt(31) lgkmcnt(1)
	v_mul_f64 v[56:57], v[12:13], v[74:75]
	v_mul_f64 v[16:17], v[10:11], v[74:75]
	s_waitcnt vmcnt(29)
	v_fma_f64 v[28:29], v[6:7], v[26:27], -v[28:29]
	v_fma_f64 v[26:27], v[8:9], v[26:27], v[40:41]
	ds_read_b128 v[6:9], v1 offset:1968
	v_add_f64 v[18:19], v[18:19], v[44:45]
	v_add_f64 v[14:15], v[14:15], v[20:21]
	s_waitcnt vmcnt(25) lgkmcnt(1)
	v_mul_f64 v[20:21], v[2:3], v[22:23]
	v_mul_f64 v[22:23], v[4:5], v[22:23]
	s_waitcnt vmcnt(24)
	v_fma_f64 v[40:41], v[10:11], v[126:127], -v[56:57]
	v_fma_f64 v[16:17], v[12:13], v[126:127], v[16:17]
	ds_read_b128 v[10:13], v1 offset:1984
	v_add_f64 v[18:19], v[18:19], v[28:29]
	v_add_f64 v[14:15], v[14:15], v[26:27]
	;; [unrolled: 9-line block ×3, first 2 shown]
	s_waitcnt vmcnt(17) lgkmcnt(1)
	v_mul_f64 v[24:25], v[12:13], v[30:31]
	s_waitcnt vmcnt(16)
	v_fma_f64 v[28:29], v[6:7], v[86:87], -v[28:29]
	v_mul_f64 v[16:17], v[10:11], v[30:31]
	v_add_f64 v[18:19], v[18:19], v[22:23]
	v_fma_f64 v[22:23], v[8:9], v[86:87], v[26:27]
	v_add_f64 v[14:15], v[14:15], v[20:21]
	ds_read_b128 v[6:9], v1 offset:2016
	s_waitcnt vmcnt(15) lgkmcnt(1)
	v_mul_f64 v[26:27], v[4:5], v[42:43]
	v_mul_f64 v[20:21], v[2:3], v[42:43]
	s_waitcnt vmcnt(13)
	v_fma_f64 v[24:25], v[10:11], v[34:35], -v[24:25]
	v_fma_f64 v[16:17], v[12:13], v[34:35], v[16:17]
	ds_read_b128 v[10:13], v1 offset:2032
	v_add_f64 v[18:19], v[18:19], v[28:29]
	v_add_f64 v[14:15], v[14:15], v[22:23]
	s_waitcnt vmcnt(9) lgkmcnt(1)
	v_mul_f64 v[28:29], v[8:9], v[32:33]
	s_waitcnt vmcnt(8)
	v_fma_f64 v[2:3], v[2:3], v[46:47], -v[26:27]
	v_mul_f64 v[22:23], v[6:7], v[32:33]
	v_fma_f64 v[4:5], v[4:5], v[46:47], v[20:21]
	v_add_f64 v[18:19], v[18:19], v[24:25]
	v_add_f64 v[14:15], v[14:15], v[16:17]
	s_waitcnt vmcnt(7) lgkmcnt(0)
	v_mul_f64 v[20:21], v[12:13], v[50:51]
	v_mul_f64 v[16:17], v[10:11], v[50:51]
	s_waitcnt vmcnt(5)
	v_fma_f64 v[6:7], v[6:7], v[36:37], -v[28:29]
	v_fma_f64 v[8:9], v[8:9], v[36:37], v[22:23]
	v_add_f64 v[2:3], v[18:19], v[2:3]
	v_add_f64 v[4:5], v[14:15], v[4:5]
	s_waitcnt vmcnt(4)
	v_fma_f64 v[10:11], v[10:11], v[54:55], -v[20:21]
	v_add_f64 v[2:3], v[2:3], v[6:7]
	v_fma_f64 v[6:7], v[12:13], v[54:55], v[16:17]
	v_add_f64 v[4:5], v[4:5], v[8:9]
	v_add_f64 v[2:3], v[2:3], v[10:11]
	;; [unrolled: 1-line block ×3, first 2 shown]
	s_waitcnt vmcnt(2)
	v_add_f64 v[2:3], v[48:49], -v[2:3]
	s_waitcnt vmcnt(0)
	v_add_f64 v[4:5], v[52:53], -v[4:5]
	buffer_store_dword v3, off, s[0:3], 0 offset:596
	buffer_store_dword v2, off, s[0:3], 0 offset:592
	;; [unrolled: 1-line block ×4, first 2 shown]
	v_cmpx_lt_u32_e32 35, v0
	s_cbranch_execz .LBB63_339
; %bb.338:
	v_mov_b32_e32 v5, s43
	s_clause 0x3
	buffer_load_dword v2, v5, s[0:3], 0 offen
	buffer_load_dword v3, v5, s[0:3], 0 offen offset:4
	buffer_load_dword v4, v5, s[0:3], 0 offen offset:8
	;; [unrolled: 1-line block ×3, first 2 shown]
	buffer_store_dword v1, off, s[0:3], 0 offset:576
	buffer_store_dword v1, off, s[0:3], 0 offset:580
	;; [unrolled: 1-line block ×4, first 2 shown]
	s_waitcnt vmcnt(0)
	ds_write_b128 v69, v[2:5]
.LBB63_339:
	s_or_b32 exec_lo, exec_lo, s4
	s_waitcnt lgkmcnt(0)
	s_waitcnt_vscnt null, 0x0
	s_barrier
	buffer_gl0_inv
	s_clause 0x37
	buffer_load_dword v10, off, s[0:3], 0 offset:600
	buffer_load_dword v11, off, s[0:3], 0 offset:604
	;; [unrolled: 1-line block ×56, first 2 shown]
	ds_read_b128 v[2:5], v1 offset:1600
	s_clause 0x2
	buffer_load_dword v67, off, s[0:3], 0 offset:828
	buffer_load_dword v73, off, s[0:3], 0 offset:804
	;; [unrolled: 1-line block ×3, first 2 shown]
	ds_read_b128 v[6:9], v1 offset:1616
	s_clause 0x4
	buffer_load_dword v79, off, s[0:3], 0 offset:844
	buffer_load_dword v80, off, s[0:3], 0 offset:856
	;; [unrolled: 1-line block ×5, first 2 shown]
	s_mov_b32 s4, exec_lo
	s_waitcnt vmcnt(62) lgkmcnt(1)
	v_mul_f64 v[74:75], v[4:5], v[10:11]
	v_mul_f64 v[76:77], v[2:3], v[10:11]
	s_waitcnt vmcnt(60) lgkmcnt(0)
	v_mul_f64 v[83:84], v[8:9], v[14:15]
	ds_read_b128 v[10:13], v1 offset:1632
	v_mul_f64 v[14:15], v[6:7], v[14:15]
	s_waitcnt vmcnt(58)
	v_fma_f64 v[74:75], v[2:3], v[16:17], -v[74:75]
	v_fma_f64 v[16:17], v[4:5], v[16:17], v[76:77]
	s_clause 0x2
	buffer_load_dword v81, off, s[0:3], 0 offset:860
	buffer_load_dword v77, off, s[0:3], 0 offset:836
	;; [unrolled: 1-line block ×3, first 2 shown]
	s_waitcnt vmcnt(59) lgkmcnt(0)
	v_mul_f64 v[85:86], v[10:11], v[18:19]
	v_mul_f64 v[18:19], v[12:13], v[18:19]
	s_waitcnt vmcnt(57)
	v_fma_f64 v[126:127], v[6:7], v[20:21], -v[83:84]
	ds_read_b128 v[2:5], v1 offset:1648
	v_fma_f64 v[14:15], v[8:9], v[20:21], v[14:15]
	s_clause 0x4
	buffer_load_dword v21, off, s[0:3], 0 offset:876
	buffer_load_dword v84, off, s[0:3], 0 offset:888
	;; [unrolled: 1-line block ×5, first 2 shown]
	ds_read_b128 v[6:9], v1 offset:1664
	v_add_f64 v[74:75], v[74:75], 0
	v_add_f64 v[16:17], v[16:17], 0
	s_waitcnt vmcnt(58) lgkmcnt(1)
	v_mul_f64 v[129:130], v[2:3], v[22:23]
	v_mul_f64 v[22:23], v[4:5], v[22:23]
	s_waitcnt vmcnt(56)
	v_fma_f64 v[18:19], v[10:11], v[28:29], -v[18:19]
	v_fma_f64 v[28:29], v[12:13], v[28:29], v[85:86]
	s_waitcnt vmcnt(55) lgkmcnt(0)
	v_mul_f64 v[86:87], v[6:7], v[24:25]
	v_mul_f64 v[24:25], v[8:9], v[24:25]
	v_add_f64 v[74:75], v[74:75], v[126:127]
	v_add_f64 v[14:15], v[16:17], v[14:15]
	s_clause 0x2
	buffer_load_dword v85, off, s[0:3], 0 offset:892
	buffer_load_dword v17, off, s[0:3], 0 offset:868
	;; [unrolled: 1-line block ×3, first 2 shown]
	ds_read_b128 v[10:13], v1 offset:1680
	s_waitcnt vmcnt(56)
	v_fma_f64 v[22:23], v[2:3], v[30:31], -v[22:23]
	v_fma_f64 v[30:31], v[4:5], v[30:31], v[129:130]
	s_waitcnt vmcnt(51)
	v_fma_f64 v[24:25], v[6:7], v[26:27], -v[24:25]
	v_add_f64 v[18:19], v[74:75], v[18:19]
	v_add_f64 v[14:15], v[14:15], v[28:29]
	s_clause 0x4
	buffer_load_dword v29, off, s[0:3], 0 offset:908
	buffer_load_dword v74, off, s[0:3], 0 offset:920
	;; [unrolled: 1-line block ×5, first 2 shown]
	s_waitcnt lgkmcnt(0)
	v_mul_f64 v[130:131], v[10:11], v[32:33]
	v_mul_f64 v[32:33], v[12:13], v[32:33]
	ds_read_b128 v[2:5], v1 offset:1696
	v_add_f64 v[18:19], v[18:19], v[22:23]
	v_fma_f64 v[22:23], v[8:9], v[26:27], v[86:87]
	v_add_f64 v[14:15], v[14:15], v[30:31]
	s_clause 0x2
	buffer_load_dword v75, off, s[0:3], 0 offset:924
	buffer_load_dword v27, off, s[0:3], 0 offset:900
	;; [unrolled: 1-line block ×3, first 2 shown]
	s_waitcnt vmcnt(58) lgkmcnt(0)
	v_mul_f64 v[30:31], v[2:3], v[34:35]
	v_mul_f64 v[34:35], v[4:5], v[34:35]
	s_waitcnt vmcnt(56)
	v_fma_f64 v[32:33], v[10:11], v[38:39], -v[32:33]
	ds_read_b128 v[6:9], v1 offset:1712
	v_add_f64 v[18:19], v[18:19], v[24:25]
	v_fma_f64 v[24:25], v[12:13], v[38:39], v[130:131]
	v_add_f64 v[14:15], v[14:15], v[22:23]
	s_clause 0x4
	buffer_load_dword v23, off, s[0:3], 0 offset:940
	buffer_load_dword v38, off, s[0:3], 0 offset:952
	buffer_load_dword v86, off, s[0:3], 0 offset:944
	buffer_load_dword v22, off, s[0:3], 0 offset:936
	buffer_load_dword v127, off, s[0:3], 0 offset:916
	ds_read_b128 v[10:13], v1 offset:1728
	s_waitcnt vmcnt(57) lgkmcnt(1)
	v_mul_f64 v[130:131], v[6:7], v[40:41]
	v_mul_f64 v[40:41], v[8:9], v[40:41]
	s_waitcnt vmcnt(56)
	v_fma_f64 v[34:35], v[2:3], v[36:37], -v[34:35]
	v_fma_f64 v[30:31], v[4:5], v[36:37], v[30:31]
	v_add_f64 v[18:19], v[18:19], v[32:33]
	v_add_f64 v[14:15], v[14:15], v[24:25]
	s_clause 0x2
	buffer_load_dword v39, off, s[0:3], 0 offset:956
	buffer_load_dword v25, off, s[0:3], 0 offset:932
	;; [unrolled: 1-line block ×3, first 2 shown]
	s_waitcnt vmcnt(58) lgkmcnt(0)
	v_mul_f64 v[36:37], v[12:13], v[42:43]
	ds_read_b128 v[2:5], v1 offset:1744
	s_waitcnt vmcnt(56)
	v_fma_f64 v[40:41], v[6:7], v[46:47], -v[40:41]
	v_mul_f64 v[32:33], v[10:11], v[42:43]
	v_add_f64 v[18:19], v[18:19], v[34:35]
	v_fma_f64 v[34:35], v[8:9], v[46:47], v[130:131]
	v_add_f64 v[14:15], v[14:15], v[30:31]
	s_clause 0x4
	buffer_load_dword v31, off, s[0:3], 0 offset:972
	buffer_load_dword v42, off, s[0:3], 0 offset:984
	;; [unrolled: 1-line block ×5, first 2 shown]
	s_waitcnt vmcnt(57) lgkmcnt(0)
	v_mul_f64 v[130:131], v[2:3], v[48:49]
	v_mul_f64 v[47:48], v[4:5], v[48:49]
	s_waitcnt vmcnt(56)
	v_fma_f64 v[36:37], v[10:11], v[44:45], -v[36:37]
	ds_read_b128 v[6:9], v1 offset:1760
	v_fma_f64 v[32:33], v[12:13], v[44:45], v[32:33]
	v_add_f64 v[18:19], v[18:19], v[40:41]
	v_add_f64 v[14:15], v[14:15], v[34:35]
	s_clause 0x2
	buffer_load_dword v43, off, s[0:3], 0 offset:988
	buffer_load_dword v35, off, s[0:3], 0 offset:964
	;; [unrolled: 1-line block ×3, first 2 shown]
	ds_read_b128 v[10:13], v1 offset:1776
	s_waitcnt vmcnt(58) lgkmcnt(1)
	v_mul_f64 v[44:45], v[8:9], v[50:51]
	s_waitcnt vmcnt(56)
	v_fma_f64 v[48:49], v[2:3], v[54:55], -v[47:48]
	v_mul_f64 v[40:41], v[6:7], v[50:51]
	v_add_f64 v[18:19], v[18:19], v[36:37]
	v_fma_f64 v[36:37], v[4:5], v[54:55], v[130:131]
	v_add_f64 v[14:15], v[14:15], v[32:33]
	s_clause 0x4
	buffer_load_dword v33, off, s[0:3], 0 offset:1004
	buffer_load_dword v50, off, s[0:3], 0 offset:1016
	;; [unrolled: 1-line block ×5, first 2 shown]
	s_waitcnt vmcnt(57) lgkmcnt(0)
	v_mul_f64 v[130:131], v[10:11], v[56:57]
	v_mul_f64 v[55:56], v[12:13], v[56:57]
	s_waitcnt vmcnt(56)
	v_fma_f64 v[44:45], v[6:7], v[52:53], -v[44:45]
	ds_read_b128 v[2:5], v1 offset:1792
	v_fma_f64 v[40:41], v[8:9], v[52:53], v[40:41]
	v_add_f64 v[18:19], v[18:19], v[48:49]
	v_add_f64 v[14:15], v[14:15], v[36:37]
	s_clause 0x2
	buffer_load_dword v51, off, s[0:3], 0 offset:1020
	buffer_load_dword v37, off, s[0:3], 0 offset:996
	buffer_load_dword v36, off, s[0:3], 0 offset:992
	ds_read_b128 v[6:9], v1 offset:1808
	s_waitcnt vmcnt(58) lgkmcnt(1)
	v_mul_f64 v[52:53], v[4:5], v[58:59]
	s_waitcnt vmcnt(56)
	v_fma_f64 v[56:57], v[10:11], v[62:63], -v[55:56]
	v_mul_f64 v[48:49], v[2:3], v[58:59]
	v_add_f64 v[18:19], v[18:19], v[44:45]
	v_fma_f64 v[44:45], v[12:13], v[62:63], v[130:131]
	v_add_f64 v[14:15], v[14:15], v[40:41]
	s_clause 0x2
	buffer_load_dword v41, off, s[0:3], 0 offset:1036
	buffer_load_dword v40, off, s[0:3], 0 offset:1032
	;; [unrolled: 1-line block ×3, first 2 shown]
	s_waitcnt vmcnt(55) lgkmcnt(0)
	v_mul_f64 v[62:63], v[8:9], v[64:65]
	s_waitcnt vmcnt(54)
	v_fma_f64 v[52:53], v[2:3], v[60:61], -v[52:53]
	ds_read_b128 v[10:13], v1 offset:1824
	v_mul_f64 v[58:59], v[6:7], v[64:65]
	v_fma_f64 v[48:49], v[4:5], v[60:61], v[48:49]
	v_add_f64 v[18:19], v[18:19], v[56:57]
	v_add_f64 v[14:15], v[14:15], v[44:45]
	s_clause 0x1
	buffer_load_dword v45, off, s[0:3], 0 offset:1028
	buffer_load_dword v44, off, s[0:3], 0 offset:1024
	s_waitcnt vmcnt(55) lgkmcnt(0)
	v_mul_f64 v[60:61], v[12:13], v[66:67]
	s_waitcnt vmcnt(53)
	v_fma_f64 v[62:63], v[6:7], v[72:73], -v[62:63]
	ds_read_b128 v[2:5], v1 offset:1840
	v_mul_f64 v[56:57], v[10:11], v[66:67]
	v_add_f64 v[18:19], v[18:19], v[52:53]
	v_fma_f64 v[52:53], v[8:9], v[72:73], v[58:59]
	v_add_f64 v[14:15], v[14:15], v[48:49]
	ds_read_b128 v[6:9], v1 offset:1856
	s_waitcnt vmcnt(49) lgkmcnt(1)
	v_mul_f64 v[58:59], v[4:5], v[78:79]
	s_waitcnt vmcnt(48)
	v_fma_f64 v[60:61], v[10:11], v[70:71], -v[60:61]
	v_mul_f64 v[48:49], v[2:3], v[78:79]
	v_fma_f64 v[56:57], v[12:13], v[70:71], v[56:57]
	v_add_f64 v[18:19], v[18:19], v[62:63]
	v_add_f64 v[14:15], v[14:15], v[52:53]
	s_clause 0x3
	buffer_load_dword v52, off, s[0:3], 0 offset:576
	buffer_load_dword v53, off, s[0:3], 0 offset:580
	;; [unrolled: 1-line block ×4, first 2 shown]
	ds_read_b128 v[10:13], v1 offset:1872
	s_waitcnt vmcnt(51) lgkmcnt(1)
	v_mul_f64 v[66:67], v[8:9], v[80:81]
	v_mul_f64 v[64:65], v[6:7], v[80:81]
	s_waitcnt vmcnt(49)
	v_fma_f64 v[58:59], v[2:3], v[76:77], -v[58:59]
	v_fma_f64 v[48:49], v[4:5], v[76:77], v[48:49]
	ds_read_b128 v[2:5], v1 offset:1888
	v_add_f64 v[18:19], v[18:19], v[60:61]
	v_add_f64 v[14:15], v[14:15], v[56:57]
	s_waitcnt vmcnt(45) lgkmcnt(1)
	v_mul_f64 v[56:57], v[10:11], v[20:21]
	v_mul_f64 v[20:21], v[12:13], v[20:21]
	s_waitcnt vmcnt(44)
	v_fma_f64 v[60:61], v[6:7], v[82:83], -v[66:67]
	v_add_f64 v[18:19], v[18:19], v[58:59]
	v_fma_f64 v[58:59], v[8:9], v[82:83], v[64:65]
	v_add_f64 v[14:15], v[14:15], v[48:49]
	ds_read_b128 v[6:9], v1 offset:1904
	s_waitcnt vmcnt(43) lgkmcnt(1)
	v_mul_f64 v[64:65], v[4:5], v[84:85]
	v_mul_f64 v[48:49], v[2:3], v[84:85]
	s_waitcnt vmcnt(41)
	v_fma_f64 v[20:21], v[10:11], v[16:17], -v[20:21]
	v_fma_f64 v[16:17], v[12:13], v[16:17], v[56:57]
	ds_read_b128 v[10:13], v1 offset:1920
	v_add_f64 v[18:19], v[18:19], v[60:61]
	v_add_f64 v[14:15], v[14:15], v[58:59]
	s_waitcnt vmcnt(37) lgkmcnt(1)
	v_mul_f64 v[56:57], v[6:7], v[28:29]
	v_mul_f64 v[28:29], v[8:9], v[28:29]
	s_waitcnt vmcnt(36)
	v_fma_f64 v[58:59], v[2:3], v[128:129], -v[64:65]
	v_add_f64 v[18:19], v[18:19], v[20:21]
	v_fma_f64 v[20:21], v[4:5], v[128:129], v[48:49]
	v_add_f64 v[14:15], v[14:15], v[16:17]
	ds_read_b128 v[2:5], v1 offset:1936
	s_waitcnt vmcnt(35) lgkmcnt(1)
	v_mul_f64 v[48:49], v[12:13], v[74:75]
	v_mul_f64 v[16:17], v[10:11], v[74:75]
	s_waitcnt vmcnt(33)
	v_fma_f64 v[28:29], v[6:7], v[26:27], -v[28:29]
	v_fma_f64 v[26:27], v[8:9], v[26:27], v[56:57]
	ds_read_b128 v[6:9], v1 offset:1952
	v_add_f64 v[18:19], v[18:19], v[58:59]
	v_add_f64 v[14:15], v[14:15], v[20:21]
	s_waitcnt vmcnt(29) lgkmcnt(1)
	v_mul_f64 v[20:21], v[2:3], v[22:23]
	v_mul_f64 v[22:23], v[4:5], v[22:23]
	s_waitcnt vmcnt(28)
	v_fma_f64 v[48:49], v[10:11], v[126:127], -v[48:49]
	v_fma_f64 v[16:17], v[12:13], v[126:127], v[16:17]
	ds_read_b128 v[10:13], v1 offset:1968
	v_add_f64 v[18:19], v[18:19], v[28:29]
	v_add_f64 v[14:15], v[14:15], v[26:27]
	;; [unrolled: 9-line block ×3, first 2 shown]
	s_waitcnt vmcnt(21) lgkmcnt(1)
	v_mul_f64 v[24:25], v[12:13], v[30:31]
	s_waitcnt vmcnt(20)
	v_fma_f64 v[28:29], v[6:7], v[86:87], -v[28:29]
	v_mul_f64 v[16:17], v[10:11], v[30:31]
	v_add_f64 v[18:19], v[18:19], v[22:23]
	v_fma_f64 v[22:23], v[8:9], v[86:87], v[26:27]
	v_add_f64 v[14:15], v[14:15], v[20:21]
	ds_read_b128 v[6:9], v1 offset:2000
	s_waitcnt vmcnt(19) lgkmcnt(1)
	v_mul_f64 v[26:27], v[4:5], v[42:43]
	v_mul_f64 v[20:21], v[2:3], v[42:43]
	s_waitcnt vmcnt(17)
	v_fma_f64 v[24:25], v[10:11], v[34:35], -v[24:25]
	v_fma_f64 v[16:17], v[12:13], v[34:35], v[16:17]
	ds_read_b128 v[10:13], v1 offset:2016
	v_add_f64 v[18:19], v[18:19], v[28:29]
	v_add_f64 v[14:15], v[14:15], v[22:23]
	s_waitcnt vmcnt(13) lgkmcnt(1)
	v_mul_f64 v[28:29], v[8:9], v[32:33]
	s_waitcnt vmcnt(12)
	v_fma_f64 v[26:27], v[2:3], v[46:47], -v[26:27]
	v_mul_f64 v[22:23], v[6:7], v[32:33]
	v_fma_f64 v[20:21], v[4:5], v[46:47], v[20:21]
	ds_read_b128 v[1:4], v1 offset:2032
	v_add_f64 v[18:19], v[18:19], v[24:25]
	v_add_f64 v[14:15], v[14:15], v[16:17]
	s_waitcnt vmcnt(11) lgkmcnt(1)
	v_mul_f64 v[24:25], v[12:13], v[50:51]
	v_mul_f64 v[16:17], v[10:11], v[50:51]
	s_waitcnt vmcnt(9)
	v_fma_f64 v[5:6], v[6:7], v[36:37], -v[28:29]
	v_fma_f64 v[7:8], v[8:9], v[36:37], v[22:23]
	v_add_f64 v[18:19], v[18:19], v[26:27]
	v_add_f64 v[14:15], v[14:15], v[20:21]
	s_waitcnt vmcnt(7) lgkmcnt(0)
	v_mul_f64 v[22:23], v[3:4], v[40:41]
	s_waitcnt vmcnt(6)
	v_fma_f64 v[9:10], v[10:11], v[54:55], -v[24:25]
	v_mul_f64 v[20:21], v[1:2], v[40:41]
	v_fma_f64 v[11:12], v[12:13], v[54:55], v[16:17]
	v_add_f64 v[5:6], v[18:19], v[5:6]
	v_add_f64 v[7:8], v[14:15], v[7:8]
	s_waitcnt vmcnt(4)
	v_fma_f64 v[1:2], v[1:2], v[44:45], -v[22:23]
	v_fma_f64 v[3:4], v[3:4], v[44:45], v[20:21]
	v_add_f64 v[5:6], v[5:6], v[9:10]
	v_add_f64 v[7:8], v[7:8], v[11:12]
	;; [unrolled: 1-line block ×4, first 2 shown]
	s_waitcnt vmcnt(2)
	v_add_f64 v[1:2], v[52:53], -v[1:2]
	s_waitcnt vmcnt(0)
	v_add_f64 v[3:4], v[62:63], -v[3:4]
	buffer_store_dword v2, off, s[0:3], 0 offset:580
	buffer_store_dword v1, off, s[0:3], 0 offset:576
	;; [unrolled: 1-line block ×4, first 2 shown]
	v_cmpx_lt_u32_e32 34, v0
	s_cbranch_execz .LBB63_341
; %bb.340:
	v_mov_b32_e32 v4, s44
	v_mov_b32_e32 v5, 0
	s_clause 0x3
	buffer_load_dword v1, v4, s[0:3], 0 offen
	buffer_load_dword v2, v4, s[0:3], 0 offen offset:4
	buffer_load_dword v3, v4, s[0:3], 0 offen offset:8
	;; [unrolled: 1-line block ×3, first 2 shown]
	buffer_store_dword v5, off, s[0:3], 0 offset:560
	buffer_store_dword v5, off, s[0:3], 0 offset:564
	;; [unrolled: 1-line block ×4, first 2 shown]
	s_waitcnt vmcnt(0)
	ds_write_b128 v69, v[1:4]
.LBB63_341:
	s_or_b32 exec_lo, exec_lo, s4
	s_waitcnt lgkmcnt(0)
	s_waitcnt_vscnt null, 0x0
	s_barrier
	buffer_gl0_inv
	s_clause 0x37
	buffer_load_dword v9, off, s[0:3], 0 offset:584
	buffer_load_dword v10, off, s[0:3], 0 offset:588
	;; [unrolled: 1-line block ×56, first 2 shown]
	v_mov_b32_e32 v11, 0
	s_mov_b32 s4, exec_lo
	ds_read_b128 v[5:8], v11 offset:1584
	s_clause 0x2
	buffer_load_dword v71, off, s[0:3], 0 offset:812
	buffer_load_dword v75, off, s[0:3], 0 offset:788
	;; [unrolled: 1-line block ×3, first 2 shown]
	ds_read_b128 v[12:15], v11 offset:1600
	s_clause 0x4
	buffer_load_dword v79, off, s[0:3], 0 offset:828
	buffer_load_dword v80, off, s[0:3], 0 offset:840
	;; [unrolled: 1-line block ×5, first 2 shown]
	ds_read_b128 v[16:19], v11 offset:1616
	s_waitcnt vmcnt(62) lgkmcnt(2)
	v_mul_f64 v[76:77], v[7:8], v[9:10]
	v_mul_f64 v[9:10], v[5:6], v[9:10]
	s_waitcnt vmcnt(60) lgkmcnt(1)
	v_mul_f64 v[83:84], v[14:15], v[20:21]
	v_mul_f64 v[20:21], v[12:13], v[20:21]
	;; [unrolled: 3-line block ×3, first 2 shown]
	v_fma_f64 v[76:77], v[5:6], v[22:23], -v[76:77]
	v_fma_f64 v[9:10], v[7:8], v[22:23], v[9:10]
	s_clause 0x2
	buffer_load_dword v81, off, s[0:3], 0 offset:844
	buffer_load_dword v23, off, s[0:3], 0 offset:820
	;; [unrolled: 1-line block ×3, first 2 shown]
	s_waitcnt vmcnt(57)
	v_fma_f64 v[12:13], v[12:13], v[1:2], -v[83:84]
	ds_read_b128 v[5:8], v11 offset:1632
	v_fma_f64 v[14:15], v[14:15], v[1:2], v[20:21]
	s_clause 0x4
	buffer_load_dword v21, off, s[0:3], 0 offset:860
	buffer_load_dword v84, off, s[0:3], 0 offset:872
	;; [unrolled: 1-line block ×5, first 2 shown]
	s_waitcnt vmcnt(56)
	v_fma_f64 v[16:17], v[16:17], v[30:31], -v[126:127]
	ds_read_b128 v[1:4], v11 offset:1648
	v_fma_f64 v[18:19], v[18:19], v[30:31], v[85:86]
	s_clause 0x2
	buffer_load_dword v85, off, s[0:3], 0 offset:876
	buffer_load_dword v31, off, s[0:3], 0 offset:852
	;; [unrolled: 1-line block ×3, first 2 shown]
	v_add_f64 v[76:77], v[76:77], 0
	v_add_f64 v[9:10], v[9:10], 0
	s_waitcnt lgkmcnt(1)
	v_mul_f64 v[129:130], v[5:6], v[24:25]
	v_mul_f64 v[24:25], v[7:8], v[24:25]
	s_waitcnt vmcnt(58) lgkmcnt(0)
	v_mul_f64 v[86:87], v[1:2], v[26:27]
	v_mul_f64 v[26:27], v[3:4], v[26:27]
	v_add_f64 v[76:77], v[76:77], v[12:13]
	v_add_f64 v[9:10], v[9:10], v[14:15]
	ds_read_b128 v[12:15], v11 offset:1664
	s_waitcnt vmcnt(56)
	v_fma_f64 v[24:25], v[5:6], v[32:33], -v[24:25]
	v_fma_f64 v[32:33], v[7:8], v[32:33], v[129:130]
	s_waitcnt vmcnt(51)
	v_fma_f64 v[26:27], v[1:2], v[28:29], -v[26:27]
	s_waitcnt lgkmcnt(0)
	v_mul_f64 v[130:131], v[12:13], v[34:35]
	v_add_f64 v[16:17], v[76:77], v[16:17]
	v_add_f64 v[9:10], v[9:10], v[18:19]
	s_clause 0x4
	buffer_load_dword v19, off, s[0:3], 0 offset:892
	buffer_load_dword v76, off, s[0:3], 0 offset:904
	;; [unrolled: 1-line block ×5, first 2 shown]
	v_mul_f64 v[34:35], v[14:15], v[34:35]
	ds_read_b128 v[5:8], v11 offset:1680
	v_add_f64 v[16:17], v[16:17], v[24:25]
	v_fma_f64 v[24:25], v[3:4], v[28:29], v[86:87]
	v_add_f64 v[9:10], v[9:10], v[32:33]
	s_clause 0x2
	buffer_load_dword v77, off, s[0:3], 0 offset:908
	buffer_load_dword v29, off, s[0:3], 0 offset:884
	;; [unrolled: 1-line block ×3, first 2 shown]
	s_waitcnt vmcnt(58) lgkmcnt(0)
	v_mul_f64 v[32:33], v[5:6], v[36:37]
	v_mul_f64 v[36:37], v[7:8], v[36:37]
	s_waitcnt vmcnt(56)
	v_fma_f64 v[34:35], v[12:13], v[40:41], -v[34:35]
	ds_read_b128 v[1:4], v11 offset:1696
	v_add_f64 v[16:17], v[16:17], v[26:27]
	v_fma_f64 v[26:27], v[14:15], v[40:41], v[130:131]
	v_add_f64 v[9:10], v[9:10], v[24:25]
	s_clause 0x4
	buffer_load_dword v25, off, s[0:3], 0 offset:924
	buffer_load_dword v40, off, s[0:3], 0 offset:936
	;; [unrolled: 1-line block ×5, first 2 shown]
	ds_read_b128 v[12:15], v11 offset:1712
	s_waitcnt vmcnt(57) lgkmcnt(1)
	v_mul_f64 v[130:131], v[1:2], v[42:43]
	v_mul_f64 v[42:43], v[3:4], v[42:43]
	s_waitcnt vmcnt(56)
	v_fma_f64 v[36:37], v[5:6], v[38:39], -v[36:37]
	v_fma_f64 v[32:33], v[7:8], v[38:39], v[32:33]
	v_add_f64 v[16:17], v[16:17], v[34:35]
	v_add_f64 v[9:10], v[9:10], v[26:27]
	s_clause 0x2
	buffer_load_dword v41, off, s[0:3], 0 offset:940
	buffer_load_dword v27, off, s[0:3], 0 offset:916
	;; [unrolled: 1-line block ×3, first 2 shown]
	s_waitcnt vmcnt(58) lgkmcnt(0)
	v_mul_f64 v[38:39], v[14:15], v[44:45]
	ds_read_b128 v[5:8], v11 offset:1728
	s_waitcnt vmcnt(56)
	v_fma_f64 v[42:43], v[1:2], v[48:49], -v[42:43]
	v_mul_f64 v[34:35], v[12:13], v[44:45]
	v_add_f64 v[16:17], v[16:17], v[36:37]
	v_fma_f64 v[36:37], v[3:4], v[48:49], v[130:131]
	v_add_f64 v[9:10], v[9:10], v[32:33]
	s_clause 0x4
	buffer_load_dword v33, off, s[0:3], 0 offset:956
	buffer_load_dword v44, off, s[0:3], 0 offset:968
	buffer_load_dword v48, off, s[0:3], 0 offset:960
	buffer_load_dword v32, off, s[0:3], 0 offset:952
	buffer_load_dword v87, off, s[0:3], 0 offset:932
	s_waitcnt vmcnt(57) lgkmcnt(0)
	v_mul_f64 v[130:131], v[5:6], v[50:51]
	v_mul_f64 v[49:50], v[7:8], v[50:51]
	s_waitcnt vmcnt(56)
	v_fma_f64 v[38:39], v[12:13], v[46:47], -v[38:39]
	ds_read_b128 v[1:4], v11 offset:1744
	v_fma_f64 v[34:35], v[14:15], v[46:47], v[34:35]
	v_add_f64 v[16:17], v[16:17], v[42:43]
	v_add_f64 v[9:10], v[9:10], v[36:37]
	s_clause 0x2
	buffer_load_dword v45, off, s[0:3], 0 offset:972
	buffer_load_dword v37, off, s[0:3], 0 offset:948
	buffer_load_dword v36, off, s[0:3], 0 offset:944
	ds_read_b128 v[12:15], v11 offset:1760
	s_waitcnt vmcnt(58) lgkmcnt(1)
	v_mul_f64 v[46:47], v[3:4], v[52:53]
	s_waitcnt vmcnt(56)
	v_fma_f64 v[50:51], v[5:6], v[56:57], -v[49:50]
	v_mul_f64 v[42:43], v[1:2], v[52:53]
	v_add_f64 v[16:17], v[16:17], v[38:39]
	v_fma_f64 v[38:39], v[7:8], v[56:57], v[130:131]
	v_add_f64 v[9:10], v[9:10], v[34:35]
	s_clause 0x4
	buffer_load_dword v35, off, s[0:3], 0 offset:988
	buffer_load_dword v52, off, s[0:3], 0 offset:1000
	buffer_load_dword v56, off, s[0:3], 0 offset:992
	buffer_load_dword v34, off, s[0:3], 0 offset:984
	buffer_load_dword v49, off, s[0:3], 0 offset:964
	s_waitcnt vmcnt(57) lgkmcnt(0)
	v_mul_f64 v[130:131], v[12:13], v[58:59]
	v_mul_f64 v[57:58], v[14:15], v[58:59]
	s_waitcnt vmcnt(56)
	v_fma_f64 v[46:47], v[1:2], v[54:55], -v[46:47]
	ds_read_b128 v[5:8], v11 offset:1776
	v_fma_f64 v[42:43], v[3:4], v[54:55], v[42:43]
	v_add_f64 v[16:17], v[16:17], v[50:51]
	v_add_f64 v[9:10], v[9:10], v[38:39]
	s_clause 0x2
	buffer_load_dword v53, off, s[0:3], 0 offset:1004
	buffer_load_dword v39, off, s[0:3], 0 offset:980
	buffer_load_dword v38, off, s[0:3], 0 offset:976
	ds_read_b128 v[1:4], v11 offset:1792
	s_waitcnt vmcnt(58) lgkmcnt(1)
	v_mul_f64 v[54:55], v[7:8], v[60:61]
	;; [unrolled: 28-line block ×3, first 2 shown]
	s_waitcnt vmcnt(56)
	v_fma_f64 v[66:67], v[1:2], v[74:75], -v[65:66]
	v_mul_f64 v[58:59], v[12:13], v[70:71]
	buffer_load_dword v65, off, s[0:3], 0 offset:1028
	v_add_f64 v[16:17], v[16:17], v[54:55]
	v_fma_f64 v[54:55], v[3:4], v[74:75], v[130:131]
	v_add_f64 v[9:10], v[9:10], v[50:51]
	ds_read_b128 v[1:4], v11 offset:1840
	s_waitcnt vmcnt(53) lgkmcnt(1)
	v_mul_f64 v[70:71], v[7:8], v[78:79]
	s_waitcnt vmcnt(52)
	v_fma_f64 v[62:63], v[12:13], v[72:73], -v[62:63]
	v_mul_f64 v[50:51], v[5:6], v[78:79]
	v_fma_f64 v[58:59], v[14:15], v[72:73], v[58:59]
	ds_read_b128 v[12:15], v11 offset:1856
	v_add_f64 v[16:17], v[16:17], v[66:67]
	v_add_f64 v[9:10], v[9:10], v[54:55]
	s_waitcnt vmcnt(51) lgkmcnt(1)
	v_mul_f64 v[66:67], v[3:4], v[80:81]
	v_mul_f64 v[54:55], v[1:2], v[80:81]
	s_waitcnt vmcnt(49)
	v_fma_f64 v[70:71], v[5:6], v[22:23], -v[70:71]
	v_fma_f64 v[22:23], v[7:8], v[22:23], v[50:51]
	v_add_f64 v[16:17], v[16:17], v[62:63]
	s_waitcnt vmcnt(45) lgkmcnt(0)
	v_mul_f64 v[62:63], v[12:13], v[20:21]
	v_add_f64 v[9:10], v[9:10], v[58:59]
	s_clause 0x3
	buffer_load_dword v50, off, s[0:3], 0 offset:560
	buffer_load_dword v51, off, s[0:3], 0 offset:564
	;; [unrolled: 1-line block ×4, first 2 shown]
	v_mul_f64 v[20:21], v[14:15], v[20:21]
	ds_read_b128 v[5:8], v11 offset:1872
	s_waitcnt vmcnt(48)
	v_fma_f64 v[66:67], v[1:2], v[82:83], -v[66:67]
	v_fma_f64 v[54:55], v[3:4], v[82:83], v[54:55]
	ds_read_b128 v[1:4], v11 offset:1888
	v_add_f64 v[16:17], v[16:17], v[70:71]
	v_add_f64 v[9:10], v[9:10], v[22:23]
	s_waitcnt vmcnt(47) lgkmcnt(1)
	v_mul_f64 v[70:71], v[7:8], v[84:85]
	s_waitcnt vmcnt(45)
	v_fma_f64 v[20:21], v[12:13], v[30:31], -v[20:21]
	v_mul_f64 v[22:23], v[5:6], v[84:85]
	v_fma_f64 v[30:31], v[14:15], v[30:31], v[62:63]
	ds_read_b128 v[12:15], v11 offset:1904
	v_add_f64 v[16:17], v[16:17], v[66:67]
	v_add_f64 v[9:10], v[9:10], v[54:55]
	s_waitcnt vmcnt(41) lgkmcnt(1)
	v_mul_f64 v[54:55], v[1:2], v[18:19]
	v_mul_f64 v[18:19], v[3:4], v[18:19]
	s_waitcnt vmcnt(40)
	v_fma_f64 v[62:63], v[5:6], v[128:129], -v[70:71]
	v_add_f64 v[16:17], v[16:17], v[20:21]
	v_fma_f64 v[20:21], v[7:8], v[128:129], v[22:23]
	v_add_f64 v[9:10], v[9:10], v[30:31]
	ds_read_b128 v[5:8], v11 offset:1920
	s_waitcnt vmcnt(39) lgkmcnt(1)
	v_mul_f64 v[30:31], v[14:15], v[76:77]
	v_mul_f64 v[22:23], v[12:13], v[76:77]
	s_waitcnt vmcnt(37)
	v_fma_f64 v[18:19], v[1:2], v[28:29], -v[18:19]
	v_fma_f64 v[28:29], v[3:4], v[28:29], v[54:55]
	ds_read_b128 v[1:4], v11 offset:1936
	v_add_f64 v[16:17], v[16:17], v[62:63]
	v_add_f64 v[9:10], v[9:10], v[20:21]
	s_waitcnt vmcnt(33) lgkmcnt(1)
	v_mul_f64 v[20:21], v[5:6], v[24:25]
	v_mul_f64 v[24:25], v[7:8], v[24:25]
	s_waitcnt vmcnt(32)
	v_fma_f64 v[30:31], v[12:13], v[126:127], -v[30:31]
	v_add_f64 v[16:17], v[16:17], v[18:19]
	v_fma_f64 v[18:19], v[14:15], v[126:127], v[22:23]
	v_add_f64 v[9:10], v[9:10], v[28:29]
	ds_read_b128 v[12:15], v11 offset:1952
	s_waitcnt vmcnt(31) lgkmcnt(1)
	v_mul_f64 v[28:29], v[3:4], v[40:41]
	v_mul_f64 v[22:23], v[1:2], v[40:41]
	s_waitcnt vmcnt(29)
	v_fma_f64 v[24:25], v[5:6], v[26:27], -v[24:25]
	v_fma_f64 v[20:21], v[7:8], v[26:27], v[20:21]
	ds_read_b128 v[5:8], v11 offset:1968
	v_add_f64 v[16:17], v[16:17], v[30:31]
	v_add_f64 v[9:10], v[9:10], v[18:19]
	s_waitcnt vmcnt(25) lgkmcnt(1)
	v_mul_f64 v[26:27], v[14:15], v[32:33]
	s_waitcnt vmcnt(24)
	v_fma_f64 v[28:29], v[1:2], v[86:87], -v[28:29]
	v_mul_f64 v[18:19], v[12:13], v[32:33]
	v_fma_f64 v[22:23], v[3:4], v[86:87], v[22:23]
	ds_read_b128 v[1:4], v11 offset:1984
	v_add_f64 v[16:17], v[16:17], v[24:25]
	v_add_f64 v[9:10], v[9:10], v[20:21]
	s_waitcnt vmcnt(23) lgkmcnt(1)
	v_mul_f64 v[24:25], v[7:8], v[44:45]
	v_mul_f64 v[20:21], v[5:6], v[44:45]
	s_waitcnt vmcnt(21)
	v_fma_f64 v[26:27], v[12:13], v[36:37], -v[26:27]
	v_fma_f64 v[18:19], v[14:15], v[36:37], v[18:19]
	ds_read_b128 v[12:15], v11 offset:2000
	v_add_f64 v[16:17], v[16:17], v[28:29]
	v_add_f64 v[9:10], v[9:10], v[22:23]
	s_waitcnt vmcnt(17) lgkmcnt(1)
	v_mul_f64 v[28:29], v[3:4], v[34:35]
	s_waitcnt vmcnt(16)
	v_fma_f64 v[24:25], v[5:6], v[48:49], -v[24:25]
	v_mul_f64 v[22:23], v[1:2], v[34:35]
	v_fma_f64 v[20:21], v[7:8], v[48:49], v[20:21]
	ds_read_b128 v[5:8], v11 offset:2016
	v_add_f64 v[16:17], v[16:17], v[26:27]
	v_add_f64 v[9:10], v[9:10], v[18:19]
	s_waitcnt vmcnt(15) lgkmcnt(1)
	v_mul_f64 v[26:27], v[14:15], v[52:53]
	v_mul_f64 v[18:19], v[12:13], v[52:53]
	s_waitcnt vmcnt(13)
	v_fma_f64 v[28:29], v[1:2], v[38:39], -v[28:29]
	v_fma_f64 v[22:23], v[3:4], v[38:39], v[22:23]
	ds_read_b128 v[1:4], v11 offset:2032
	v_add_f64 v[16:17], v[16:17], v[24:25]
	v_add_f64 v[9:10], v[9:10], v[20:21]
	s_waitcnt vmcnt(9) lgkmcnt(1)
	v_mul_f64 v[24:25], v[7:8], v[42:43]
	s_waitcnt vmcnt(8)
	v_fma_f64 v[12:13], v[12:13], v[56:57], -v[26:27]
	v_mul_f64 v[20:21], v[5:6], v[42:43]
	v_fma_f64 v[14:15], v[14:15], v[56:57], v[18:19]
	v_add_f64 v[16:17], v[16:17], v[28:29]
	v_add_f64 v[9:10], v[9:10], v[22:23]
	s_waitcnt vmcnt(7) lgkmcnt(0)
	v_mul_f64 v[22:23], v[3:4], v[60:61]
	v_mul_f64 v[18:19], v[1:2], v[60:61]
	s_waitcnt vmcnt(5)
	v_fma_f64 v[5:6], v[5:6], v[46:47], -v[24:25]
	v_fma_f64 v[7:8], v[7:8], v[46:47], v[20:21]
	v_add_f64 v[12:13], v[16:17], v[12:13]
	v_add_f64 v[9:10], v[9:10], v[14:15]
	s_waitcnt vmcnt(4)
	v_fma_f64 v[1:2], v[1:2], v[64:65], -v[22:23]
	v_fma_f64 v[3:4], v[3:4], v[64:65], v[18:19]
	v_add_f64 v[5:6], v[12:13], v[5:6]
	v_add_f64 v[7:8], v[9:10], v[7:8]
	;; [unrolled: 1-line block ×4, first 2 shown]
	s_waitcnt vmcnt(2)
	v_add_f64 v[1:2], v[50:51], -v[1:2]
	s_waitcnt vmcnt(0)
	v_add_f64 v[3:4], v[58:59], -v[3:4]
	buffer_store_dword v2, off, s[0:3], 0 offset:564
	buffer_store_dword v1, off, s[0:3], 0 offset:560
	;; [unrolled: 1-line block ×4, first 2 shown]
	v_cmpx_lt_u32_e32 33, v0
	s_cbranch_execz .LBB63_343
; %bb.342:
	v_mov_b32_e32 v4, s45
	s_clause 0x3
	buffer_load_dword v1, v4, s[0:3], 0 offen
	buffer_load_dword v2, v4, s[0:3], 0 offen offset:4
	buffer_load_dword v3, v4, s[0:3], 0 offen offset:8
	;; [unrolled: 1-line block ×3, first 2 shown]
	buffer_store_dword v11, off, s[0:3], 0 offset:544
	buffer_store_dword v11, off, s[0:3], 0 offset:548
	;; [unrolled: 1-line block ×4, first 2 shown]
	s_waitcnt vmcnt(0)
	ds_write_b128 v69, v[1:4]
.LBB63_343:
	s_or_b32 exec_lo, exec_lo, s4
	s_waitcnt lgkmcnt(0)
	s_waitcnt_vscnt null, 0x0
	s_barrier
	buffer_gl0_inv
	s_clause 0x37
	buffer_load_dword v9, off, s[0:3], 0 offset:568
	buffer_load_dword v10, off, s[0:3], 0 offset:572
	;; [unrolled: 1-line block ×56, first 2 shown]
	ds_read_b128 v[12:15], v11 offset:1568
	s_clause 0x2
	buffer_load_dword v71, off, s[0:3], 0 offset:796
	buffer_load_dword v75, off, s[0:3], 0 offset:772
	buffer_load_dword v74, off, s[0:3], 0 offset:768
	ds_read_b128 v[16:19], v11 offset:1584
	s_clause 0x4
	buffer_load_dword v79, off, s[0:3], 0 offset:812
	buffer_load_dword v80, off, s[0:3], 0 offset:824
	;; [unrolled: 1-line block ×5, first 2 shown]
	ds_read_b128 v[20:23], v11 offset:1600
	s_clause 0x2
	buffer_load_dword v81, off, s[0:3], 0 offset:828
	buffer_load_dword v86, off, s[0:3], 0 offset:804
	;; [unrolled: 1-line block ×3, first 2 shown]
	s_mov_b32 s4, exec_lo
	s_waitcnt vmcnt(62) lgkmcnt(2)
	v_mul_f64 v[76:77], v[14:15], v[9:10]
	v_mul_f64 v[9:10], v[12:13], v[9:10]
	s_waitcnt lgkmcnt(1)
	v_mul_f64 v[83:84], v[18:19], v[5:6]
	s_waitcnt vmcnt(59) lgkmcnt(0)
	v_mul_f64 v[126:127], v[22:23], v[3:4]
	v_fma_f64 v[12:13], v[12:13], v[7:8], -v[76:77]
	v_mul_f64 v[76:77], v[16:17], v[5:6]
	v_fma_f64 v[9:10], v[14:15], v[7:8], v[9:10]
	s_waitcnt vmcnt(57)
	v_fma_f64 v[16:17], v[16:17], v[1:2], -v[83:84]
	ds_read_b128 v[5:8], v11 offset:1616
	v_mul_f64 v[14:15], v[20:21], v[3:4]
	s_waitcnt vmcnt(51)
	v_fma_f64 v[20:21], v[20:21], v[30:31], -v[126:127]
	v_add_f64 v[12:13], v[12:13], 0
	v_fma_f64 v[18:19], v[18:19], v[1:2], v[76:77]
	v_add_f64 v[9:10], v[9:10], 0
	s_clause 0x4
	buffer_load_dword v77, off, s[0:3], 0 offset:844
	buffer_load_dword v128, off, s[0:3], 0 offset:856
	;; [unrolled: 1-line block ×5, first 2 shown]
	s_waitcnt lgkmcnt(0)
	v_mul_f64 v[131:132], v[5:6], v[24:25]
	v_mul_f64 v[24:25], v[7:8], v[24:25]
	ds_read_b128 v[1:4], v11 offset:1632
	v_fma_f64 v[22:23], v[22:23], v[30:31], v[14:15]
	v_add_f64 v[16:17], v[12:13], v[16:17]
	v_add_f64 v[9:10], v[9:10], v[18:19]
	s_clause 0x2
	buffer_load_dword v129, off, s[0:3], 0 offset:860
	buffer_load_dword v19, off, s[0:3], 0 offset:836
	;; [unrolled: 1-line block ×3, first 2 shown]
	s_waitcnt vmcnt(58) lgkmcnt(0)
	v_mul_f64 v[30:31], v[1:2], v[26:27]
	v_mul_f64 v[26:27], v[3:4], v[26:27]
	s_waitcnt vmcnt(56)
	v_fma_f64 v[24:25], v[5:6], v[32:33], -v[24:25]
	ds_read_b128 v[12:15], v11 offset:1648
	v_add_f64 v[16:17], v[16:17], v[20:21]
	v_fma_f64 v[20:21], v[7:8], v[32:33], v[131:132]
	v_add_f64 v[9:10], v[9:10], v[22:23]
	s_clause 0x4
	buffer_load_dword v23, off, s[0:3], 0 offset:876
	buffer_load_dword v32, off, s[0:3], 0 offset:888
	;; [unrolled: 1-line block ×5, first 2 shown]
	ds_read_b128 v[5:8], v11 offset:1664
	s_waitcnt vmcnt(57) lgkmcnt(1)
	v_mul_f64 v[132:133], v[12:13], v[34:35]
	v_mul_f64 v[34:35], v[14:15], v[34:35]
	s_waitcnt vmcnt(56)
	v_fma_f64 v[26:27], v[1:2], v[28:29], -v[26:27]
	v_add_f64 v[16:17], v[16:17], v[24:25]
	v_fma_f64 v[24:25], v[3:4], v[28:29], v[30:31]
	v_add_f64 v[9:10], v[9:10], v[20:21]
	s_clause 0x2
	buffer_load_dword v33, off, s[0:3], 0 offset:892
	buffer_load_dword v21, off, s[0:3], 0 offset:868
	;; [unrolled: 1-line block ×3, first 2 shown]
	s_waitcnt vmcnt(58) lgkmcnt(0)
	v_mul_f64 v[30:31], v[7:8], v[36:37]
	ds_read_b128 v[1:4], v11 offset:1680
	s_waitcnt vmcnt(56)
	v_fma_f64 v[34:35], v[12:13], v[40:41], -v[34:35]
	v_mul_f64 v[28:29], v[5:6], v[36:37]
	v_add_f64 v[16:17], v[16:17], v[26:27]
	v_fma_f64 v[26:27], v[14:15], v[40:41], v[132:133]
	v_add_f64 v[9:10], v[9:10], v[24:25]
	s_clause 0x4
	buffer_load_dword v25, off, s[0:3], 0 offset:908
	buffer_load_dword v36, off, s[0:3], 0 offset:920
	buffer_load_dword v40, off, s[0:3], 0 offset:912
	buffer_load_dword v24, off, s[0:3], 0 offset:904
	buffer_load_dword v127, off, s[0:3], 0 offset:884
	s_waitcnt vmcnt(57) lgkmcnt(0)
	v_mul_f64 v[132:133], v[1:2], v[42:43]
	v_mul_f64 v[41:42], v[3:4], v[42:43]
	s_waitcnt vmcnt(56)
	v_fma_f64 v[30:31], v[5:6], v[38:39], -v[30:31]
	ds_read_b128 v[12:15], v11 offset:1696
	v_fma_f64 v[28:29], v[7:8], v[38:39], v[28:29]
	v_add_f64 v[16:17], v[16:17], v[34:35]
	v_add_f64 v[9:10], v[9:10], v[26:27]
	s_clause 0x2
	buffer_load_dword v37, off, s[0:3], 0 offset:924
	buffer_load_dword v27, off, s[0:3], 0 offset:900
	buffer_load_dword v26, off, s[0:3], 0 offset:896
	ds_read_b128 v[5:8], v11 offset:1712
	s_waitcnt vmcnt(58) lgkmcnt(1)
	v_mul_f64 v[38:39], v[14:15], v[44:45]
	s_waitcnt vmcnt(56)
	v_fma_f64 v[42:43], v[1:2], v[48:49], -v[41:42]
	v_mul_f64 v[34:35], v[12:13], v[44:45]
	v_add_f64 v[16:17], v[16:17], v[30:31]
	v_fma_f64 v[30:31], v[3:4], v[48:49], v[132:133]
	v_add_f64 v[9:10], v[9:10], v[28:29]
	s_clause 0x4
	buffer_load_dword v29, off, s[0:3], 0 offset:940
	buffer_load_dword v44, off, s[0:3], 0 offset:952
	buffer_load_dword v48, off, s[0:3], 0 offset:944
	buffer_load_dword v28, off, s[0:3], 0 offset:936
	buffer_load_dword v41, off, s[0:3], 0 offset:916
	s_waitcnt vmcnt(57) lgkmcnt(0)
	v_mul_f64 v[132:133], v[5:6], v[50:51]
	v_mul_f64 v[49:50], v[7:8], v[50:51]
	s_waitcnt vmcnt(56)
	v_fma_f64 v[38:39], v[12:13], v[46:47], -v[38:39]
	ds_read_b128 v[1:4], v11 offset:1728
	v_fma_f64 v[34:35], v[14:15], v[46:47], v[34:35]
	v_add_f64 v[16:17], v[16:17], v[42:43]
	v_add_f64 v[9:10], v[9:10], v[30:31]
	s_clause 0x2
	buffer_load_dword v45, off, s[0:3], 0 offset:956
	buffer_load_dword v31, off, s[0:3], 0 offset:932
	buffer_load_dword v30, off, s[0:3], 0 offset:928
	ds_read_b128 v[12:15], v11 offset:1744
	s_waitcnt vmcnt(58) lgkmcnt(1)
	v_mul_f64 v[46:47], v[3:4], v[52:53]
	;; [unrolled: 28-line block ×4, first 2 shown]
	s_waitcnt vmcnt(56)
	v_fma_f64 v[66:67], v[1:2], v[74:75], -v[65:66]
	v_mul_f64 v[58:59], v[12:13], v[70:71]
	v_add_f64 v[16:17], v[16:17], v[54:55]
	v_fma_f64 v[54:55], v[3:4], v[74:75], v[132:133]
	v_add_f64 v[9:10], v[9:10], v[50:51]
	s_clause 0x2
	buffer_load_dword v51, off, s[0:3], 0 offset:1036
	buffer_load_dword v50, off, s[0:3], 0 offset:1032
	;; [unrolled: 1-line block ×3, first 2 shown]
	s_waitcnt vmcnt(55) lgkmcnt(0)
	v_mul_f64 v[74:75], v[7:8], v[78:79]
	s_waitcnt vmcnt(54)
	v_fma_f64 v[62:63], v[12:13], v[72:73], -v[62:63]
	ds_read_b128 v[1:4], v11 offset:1824
	v_mul_f64 v[70:71], v[5:6], v[78:79]
	v_fma_f64 v[58:59], v[14:15], v[72:73], v[58:59]
	v_add_f64 v[16:17], v[16:17], v[66:67]
	v_add_f64 v[9:10], v[9:10], v[54:55]
	s_clause 0x1
	buffer_load_dword v55, off, s[0:3], 0 offset:1028
	buffer_load_dword v54, off, s[0:3], 0 offset:1024
	s_waitcnt vmcnt(55) lgkmcnt(0)
	v_mul_f64 v[72:73], v[3:4], v[80:81]
	s_waitcnt vmcnt(53)
	v_fma_f64 v[74:75], v[5:6], v[85:86], -v[74:75]
	ds_read_b128 v[12:15], v11 offset:1840
	v_mul_f64 v[66:67], v[1:2], v[80:81]
	v_add_f64 v[16:17], v[16:17], v[62:63]
	v_fma_f64 v[62:63], v[7:8], v[85:86], v[70:71]
	v_add_f64 v[9:10], v[9:10], v[58:59]
	ds_read_b128 v[5:8], v11 offset:1856
	s_waitcnt vmcnt(49) lgkmcnt(1)
	v_mul_f64 v[70:71], v[14:15], v[76:77]
	s_waitcnt vmcnt(48)
	v_fma_f64 v[72:73], v[1:2], v[82:83], -v[72:73]
	v_mul_f64 v[58:59], v[12:13], v[76:77]
	v_fma_f64 v[66:67], v[3:4], v[82:83], v[66:67]
	v_add_f64 v[16:17], v[16:17], v[74:75]
	v_add_f64 v[9:10], v[9:10], v[62:63]
	s_clause 0x3
	buffer_load_dword v62, off, s[0:3], 0 offset:544
	buffer_load_dword v63, off, s[0:3], 0 offset:548
	;; [unrolled: 1-line block ×4, first 2 shown]
	ds_read_b128 v[1:4], v11 offset:1872
	s_waitcnt vmcnt(51) lgkmcnt(1)
	v_mul_f64 v[78:79], v[7:8], v[128:129]
	v_mul_f64 v[76:77], v[5:6], v[128:129]
	s_waitcnt vmcnt(49)
	v_fma_f64 v[70:71], v[12:13], v[18:19], -v[70:71]
	v_fma_f64 v[18:19], v[14:15], v[18:19], v[58:59]
	ds_read_b128 v[12:15], v11 offset:1888
	v_add_f64 v[16:17], v[16:17], v[72:73]
	v_add_f64 v[9:10], v[9:10], v[66:67]
	s_waitcnt vmcnt(45) lgkmcnt(1)
	v_mul_f64 v[58:59], v[1:2], v[22:23]
	v_mul_f64 v[22:23], v[3:4], v[22:23]
	s_waitcnt vmcnt(44)
	v_fma_f64 v[66:67], v[5:6], v[130:131], -v[78:79]
	v_add_f64 v[16:17], v[16:17], v[70:71]
	v_fma_f64 v[70:71], v[7:8], v[130:131], v[76:77]
	v_add_f64 v[9:10], v[9:10], v[18:19]
	ds_read_b128 v[5:8], v11 offset:1904
	s_waitcnt vmcnt(43) lgkmcnt(1)
	v_mul_f64 v[18:19], v[12:13], v[32:33]
	v_mul_f64 v[32:33], v[14:15], v[32:33]
	s_waitcnt vmcnt(41)
	v_fma_f64 v[22:23], v[1:2], v[20:21], -v[22:23]
	v_fma_f64 v[20:21], v[3:4], v[20:21], v[58:59]
	ds_read_b128 v[1:4], v11 offset:1920
	v_add_f64 v[16:17], v[16:17], v[66:67]
	v_add_f64 v[9:10], v[9:10], v[70:71]
	s_waitcnt vmcnt(37) lgkmcnt(1)
	v_mul_f64 v[58:59], v[5:6], v[24:25]
	v_mul_f64 v[24:25], v[7:8], v[24:25]
	s_waitcnt vmcnt(36)
	v_fma_f64 v[32:33], v[12:13], v[126:127], -v[32:33]
	v_fma_f64 v[18:19], v[14:15], v[126:127], v[18:19]
	ds_read_b128 v[12:15], v11 offset:1936
	v_add_f64 v[16:17], v[16:17], v[22:23]
	v_add_f64 v[9:10], v[9:10], v[20:21]
	s_waitcnt vmcnt(35) lgkmcnt(1)
	v_mul_f64 v[22:23], v[3:4], v[36:37]
	v_mul_f64 v[20:21], v[1:2], v[36:37]
	s_waitcnt vmcnt(33)
	v_fma_f64 v[24:25], v[5:6], v[26:27], -v[24:25]
	v_fma_f64 v[26:27], v[7:8], v[26:27], v[58:59]
	ds_read_b128 v[5:8], v11 offset:1952
	v_add_f64 v[16:17], v[16:17], v[32:33]
	v_add_f64 v[9:10], v[9:10], v[18:19]
	s_waitcnt vmcnt(29) lgkmcnt(1)
	v_mul_f64 v[18:19], v[12:13], v[28:29]
	v_mul_f64 v[28:29], v[14:15], v[28:29]
	s_waitcnt vmcnt(28)
	v_fma_f64 v[22:23], v[1:2], v[40:41], -v[22:23]
	v_fma_f64 v[20:21], v[3:4], v[40:41], v[20:21]
	ds_read_b128 v[1:4], v11 offset:1968
	v_add_f64 v[16:17], v[16:17], v[24:25]
	v_add_f64 v[9:10], v[9:10], v[26:27]
	s_waitcnt vmcnt(27) lgkmcnt(1)
	v_mul_f64 v[26:27], v[7:8], v[44:45]
	v_mul_f64 v[24:25], v[5:6], v[44:45]
	s_waitcnt vmcnt(25)
	v_fma_f64 v[28:29], v[12:13], v[30:31], -v[28:29]
	v_fma_f64 v[18:19], v[14:15], v[30:31], v[18:19]
	ds_read_b128 v[12:15], v11 offset:1984
	v_add_f64 v[16:17], v[16:17], v[22:23]
	v_add_f64 v[9:10], v[9:10], v[20:21]
	s_waitcnt vmcnt(21) lgkmcnt(1)
	v_mul_f64 v[22:23], v[3:4], v[34:35]
	s_waitcnt vmcnt(20)
	v_fma_f64 v[26:27], v[5:6], v[48:49], -v[26:27]
	v_mul_f64 v[20:21], v[1:2], v[34:35]
	v_fma_f64 v[24:25], v[7:8], v[48:49], v[24:25]
	ds_read_b128 v[5:8], v11 offset:2000
	v_add_f64 v[16:17], v[16:17], v[28:29]
	v_add_f64 v[9:10], v[9:10], v[18:19]
	s_waitcnt vmcnt(19) lgkmcnt(1)
	v_mul_f64 v[28:29], v[14:15], v[52:53]
	v_mul_f64 v[18:19], v[12:13], v[52:53]
	s_waitcnt vmcnt(17)
	v_fma_f64 v[22:23], v[1:2], v[38:39], -v[22:23]
	v_fma_f64 v[20:21], v[3:4], v[38:39], v[20:21]
	ds_read_b128 v[1:4], v11 offset:2016
	v_add_f64 v[16:17], v[16:17], v[26:27]
	v_add_f64 v[9:10], v[9:10], v[24:25]
	s_waitcnt vmcnt(13) lgkmcnt(1)
	v_mul_f64 v[26:27], v[7:8], v[42:43]
	s_waitcnt vmcnt(12)
	v_fma_f64 v[28:29], v[12:13], v[56:57], -v[28:29]
	v_mul_f64 v[24:25], v[5:6], v[42:43]
	v_fma_f64 v[13:14], v[14:15], v[56:57], v[18:19]
	v_add_f64 v[16:17], v[16:17], v[22:23]
	v_add_f64 v[18:19], v[9:10], v[20:21]
	ds_read_b128 v[9:12], v11 offset:2032
	s_waitcnt vmcnt(11) lgkmcnt(1)
	v_mul_f64 v[22:23], v[3:4], v[60:61]
	v_mul_f64 v[20:21], v[1:2], v[60:61]
	s_waitcnt vmcnt(9)
	v_fma_f64 v[5:6], v[5:6], v[46:47], -v[26:27]
	v_fma_f64 v[7:8], v[7:8], v[46:47], v[24:25]
	v_add_f64 v[15:16], v[16:17], v[28:29]
	v_add_f64 v[13:14], v[18:19], v[13:14]
	s_waitcnt vmcnt(7) lgkmcnt(0)
	v_mul_f64 v[24:25], v[11:12], v[50:51]
	s_waitcnt vmcnt(6)
	v_fma_f64 v[1:2], v[1:2], v[64:65], -v[22:23]
	v_mul_f64 v[17:18], v[9:10], v[50:51]
	v_fma_f64 v[3:4], v[3:4], v[64:65], v[20:21]
	v_add_f64 v[5:6], v[15:16], v[5:6]
	v_add_f64 v[7:8], v[13:14], v[7:8]
	s_waitcnt vmcnt(4)
	v_fma_f64 v[9:10], v[9:10], v[54:55], -v[24:25]
	v_add_f64 v[1:2], v[5:6], v[1:2]
	v_fma_f64 v[5:6], v[11:12], v[54:55], v[17:18]
	v_add_f64 v[3:4], v[7:8], v[3:4]
	v_add_f64 v[1:2], v[1:2], v[9:10]
	;; [unrolled: 1-line block ×3, first 2 shown]
	s_waitcnt vmcnt(2)
	v_add_f64 v[1:2], v[62:63], -v[1:2]
	s_waitcnt vmcnt(0)
	v_add_f64 v[3:4], v[74:75], -v[3:4]
	buffer_store_dword v2, off, s[0:3], 0 offset:548
	buffer_store_dword v1, off, s[0:3], 0 offset:544
	;; [unrolled: 1-line block ×4, first 2 shown]
	v_cmpx_lt_u32_e32 32, v0
	s_cbranch_execz .LBB63_345
; %bb.344:
	v_mov_b32_e32 v4, s46
	v_mov_b32_e32 v5, 0
	s_clause 0x3
	buffer_load_dword v1, v4, s[0:3], 0 offen
	buffer_load_dword v2, v4, s[0:3], 0 offen offset:4
	buffer_load_dword v3, v4, s[0:3], 0 offen offset:8
	;; [unrolled: 1-line block ×3, first 2 shown]
	buffer_store_dword v5, off, s[0:3], 0 offset:528
	buffer_store_dword v5, off, s[0:3], 0 offset:532
	;; [unrolled: 1-line block ×4, first 2 shown]
	s_waitcnt vmcnt(0)
	ds_write_b128 v69, v[1:4]
.LBB63_345:
	s_or_b32 exec_lo, exec_lo, s4
	s_waitcnt lgkmcnt(0)
	s_waitcnt_vscnt null, 0x0
	s_barrier
	buffer_gl0_inv
	s_clause 0x37
	buffer_load_dword v9, off, s[0:3], 0 offset:552
	buffer_load_dword v10, off, s[0:3], 0 offset:556
	buffer_load_dword v5, off, s[0:3], 0 offset:568
	buffer_load_dword v6, off, s[0:3], 0 offset:572
	buffer_load_dword v7, off, s[0:3], 0 offset:544
	buffer_load_dword v8, off, s[0:3], 0 offset:548
	buffer_load_dword v3, off, s[0:3], 0 offset:584
	buffer_load_dword v4, off, s[0:3], 0 offset:588
	buffer_load_dword v1, off, s[0:3], 0 offset:560
	buffer_load_dword v2, off, s[0:3], 0 offset:564
	buffer_load_dword v14, off, s[0:3], 0 offset:604
	buffer_load_dword v30, off, s[0:3], 0 offset:616
	buffer_load_dword v11, off, s[0:3], 0 offset:608
	buffer_load_dword v13, off, s[0:3], 0 offset:600
	buffer_load_dword v32, off, s[0:3], 0 offset:576
	buffer_load_dword v33, off, s[0:3], 0 offset:580
	buffer_load_dword v31, off, s[0:3], 0 offset:620
	buffer_load_dword v35, off, s[0:3], 0 offset:596
	buffer_load_dword v34, off, s[0:3], 0 offset:592
	buffer_load_dword v37, off, s[0:3], 0 offset:636
	buffer_load_dword v38, off, s[0:3], 0 offset:648
	buffer_load_dword v15, off, s[0:3], 0 offset:640
	buffer_load_dword v36, off, s[0:3], 0 offset:632
	buffer_load_dword v12, off, s[0:3], 0 offset:612
	buffer_load_dword v39, off, s[0:3], 0 offset:652
	buffer_load_dword v41, off, s[0:3], 0 offset:628
	buffer_load_dword v40, off, s[0:3], 0 offset:624
	buffer_load_dword v43, off, s[0:3], 0 offset:668
	buffer_load_dword v44, off, s[0:3], 0 offset:680
	buffer_load_dword v46, off, s[0:3], 0 offset:672
	buffer_load_dword v42, off, s[0:3], 0 offset:664
	buffer_load_dword v16, off, s[0:3], 0 offset:644
	buffer_load_dword v45, off, s[0:3], 0 offset:684
	buffer_load_dword v49, off, s[0:3], 0 offset:660
	buffer_load_dword v48, off, s[0:3], 0 offset:656
	buffer_load_dword v51, off, s[0:3], 0 offset:700
	buffer_load_dword v52, off, s[0:3], 0 offset:712
	buffer_load_dword v54, off, s[0:3], 0 offset:704
	buffer_load_dword v50, off, s[0:3], 0 offset:696
	buffer_load_dword v47, off, s[0:3], 0 offset:676
	buffer_load_dword v53, off, s[0:3], 0 offset:716
	buffer_load_dword v57, off, s[0:3], 0 offset:692
	buffer_load_dword v56, off, s[0:3], 0 offset:688
	buffer_load_dword v59, off, s[0:3], 0 offset:732
	buffer_load_dword v60, off, s[0:3], 0 offset:744
	buffer_load_dword v62, off, s[0:3], 0 offset:736
	buffer_load_dword v58, off, s[0:3], 0 offset:728
	buffer_load_dword v55, off, s[0:3], 0 offset:708
	buffer_load_dword v61, off, s[0:3], 0 offset:748
	buffer_load_dword v65, off, s[0:3], 0 offset:724
	buffer_load_dword v64, off, s[0:3], 0 offset:720
	buffer_load_dword v67, off, s[0:3], 0 offset:764
	buffer_load_dword v70, off, s[0:3], 0 offset:776
	buffer_load_dword v72, off, s[0:3], 0 offset:768
	buffer_load_dword v66, off, s[0:3], 0 offset:760
	buffer_load_dword v63, off, s[0:3], 0 offset:740
	v_mov_b32_e32 v29, 0
	s_mov_b32 s4, exec_lo
	ds_read_b128 v[17:20], v29 offset:1552
	s_clause 0x2
	buffer_load_dword v71, off, s[0:3], 0 offset:780
	buffer_load_dword v75, off, s[0:3], 0 offset:756
	;; [unrolled: 1-line block ×3, first 2 shown]
	ds_read_b128 v[21:24], v29 offset:1568
	s_clause 0x4
	buffer_load_dword v79, off, s[0:3], 0 offset:796
	buffer_load_dword v80, off, s[0:3], 0 offset:808
	;; [unrolled: 1-line block ×5, first 2 shown]
	ds_read_b128 v[25:28], v29 offset:1584
	s_clause 0x2
	buffer_load_dword v81, off, s[0:3], 0 offset:812
	buffer_load_dword v86, off, s[0:3], 0 offset:788
	;; [unrolled: 1-line block ×3, first 2 shown]
	s_waitcnt vmcnt(62) lgkmcnt(2)
	v_mul_f64 v[76:77], v[19:20], v[9:10]
	v_mul_f64 v[9:10], v[17:18], v[9:10]
	s_waitcnt lgkmcnt(1)
	v_mul_f64 v[83:84], v[23:24], v[5:6]
	s_waitcnt vmcnt(59) lgkmcnt(0)
	v_mul_f64 v[126:127], v[27:28], v[3:4]
	v_fma_f64 v[17:18], v[17:18], v[7:8], -v[76:77]
	v_mul_f64 v[76:77], v[21:22], v[5:6]
	v_fma_f64 v[9:10], v[19:20], v[7:8], v[9:10]
	s_waitcnt vmcnt(57)
	v_fma_f64 v[21:22], v[21:22], v[1:2], -v[83:84]
	ds_read_b128 v[5:8], v29 offset:1600
	v_mul_f64 v[19:20], v[25:26], v[3:4]
	s_waitcnt vmcnt(51)
	v_fma_f64 v[25:26], v[25:26], v[32:33], -v[126:127]
	v_add_f64 v[17:18], v[17:18], 0
	v_fma_f64 v[23:24], v[23:24], v[1:2], v[76:77]
	v_add_f64 v[9:10], v[9:10], 0
	s_clause 0x4
	buffer_load_dword v77, off, s[0:3], 0 offset:828
	buffer_load_dword v128, off, s[0:3], 0 offset:840
	;; [unrolled: 1-line block ×5, first 2 shown]
	s_waitcnt lgkmcnt(0)
	v_mul_f64 v[131:132], v[5:6], v[13:14]
	v_mul_f64 v[13:14], v[7:8], v[13:14]
	ds_read_b128 v[1:4], v29 offset:1616
	v_fma_f64 v[27:28], v[27:28], v[32:33], v[19:20]
	v_add_f64 v[21:22], v[17:18], v[21:22]
	v_add_f64 v[9:10], v[9:10], v[23:24]
	s_clause 0x2
	buffer_load_dword v129, off, s[0:3], 0 offset:844
	buffer_load_dword v24, off, s[0:3], 0 offset:820
	;; [unrolled: 1-line block ×3, first 2 shown]
	s_waitcnt vmcnt(58) lgkmcnt(0)
	v_mul_f64 v[32:33], v[1:2], v[30:31]
	v_mul_f64 v[30:31], v[3:4], v[30:31]
	s_waitcnt vmcnt(56)
	v_fma_f64 v[13:14], v[5:6], v[34:35], -v[13:14]
	ds_read_b128 v[17:20], v29 offset:1632
	v_add_f64 v[21:22], v[21:22], v[25:26]
	v_fma_f64 v[25:26], v[7:8], v[34:35], v[131:132]
	v_add_f64 v[9:10], v[9:10], v[27:28]
	s_clause 0x4
	buffer_load_dword v28, off, s[0:3], 0 offset:860
	buffer_load_dword v34, off, s[0:3], 0 offset:872
	;; [unrolled: 1-line block ×5, first 2 shown]
	ds_read_b128 v[5:8], v29 offset:1648
	s_waitcnt vmcnt(57) lgkmcnt(1)
	v_mul_f64 v[132:133], v[17:18], v[36:37]
	v_mul_f64 v[36:37], v[19:20], v[36:37]
	s_waitcnt vmcnt(56)
	v_fma_f64 v[30:31], v[1:2], v[11:12], -v[30:31]
	v_fma_f64 v[11:12], v[3:4], v[11:12], v[32:33]
	v_add_f64 v[13:14], v[21:22], v[13:14]
	s_clause 0x2
	buffer_load_dword v35, off, s[0:3], 0 offset:876
	buffer_load_dword v22, off, s[0:3], 0 offset:852
	buffer_load_dword v21, off, s[0:3], 0 offset:848
	v_add_f64 v[9:10], v[9:10], v[25:26]
	s_waitcnt vmcnt(58) lgkmcnt(0)
	v_mul_f64 v[32:33], v[7:8], v[38:39]
	ds_read_b128 v[1:4], v29 offset:1664
	v_mul_f64 v[25:26], v[5:6], v[38:39]
	s_waitcnt vmcnt(56)
	v_fma_f64 v[17:18], v[17:18], v[40:41], -v[36:37]
	v_fma_f64 v[19:20], v[19:20], v[40:41], v[132:133]
	s_clause 0x4
	buffer_load_dword v37, off, s[0:3], 0 offset:892
	buffer_load_dword v38, off, s[0:3], 0 offset:904
	;; [unrolled: 1-line block ×5, first 2 shown]
	v_add_f64 v[13:14], v[13:14], v[30:31]
	v_add_f64 v[30:31], v[9:10], v[11:12]
	s_waitcnt vmcnt(57) lgkmcnt(0)
	v_mul_f64 v[132:133], v[1:2], v[42:43]
	v_mul_f64 v[41:42], v[3:4], v[42:43]
	s_waitcnt vmcnt(56)
	v_fma_f64 v[32:33], v[5:6], v[15:16], -v[32:33]
	ds_read_b128 v[9:12], v29 offset:1680
	v_fma_f64 v[15:16], v[7:8], v[15:16], v[25:26]
	v_add_f64 v[13:14], v[13:14], v[17:18]
	v_add_f64 v[17:18], v[30:31], v[19:20]
	s_clause 0x2
	buffer_load_dword v39, off, s[0:3], 0 offset:908
	buffer_load_dword v20, off, s[0:3], 0 offset:884
	;; [unrolled: 1-line block ×3, first 2 shown]
	s_waitcnt vmcnt(58) lgkmcnt(0)
	v_mul_f64 v[30:31], v[11:12], v[44:45]
	s_waitcnt vmcnt(56)
	v_fma_f64 v[42:43], v[1:2], v[48:49], -v[41:42]
	ds_read_b128 v[5:8], v29 offset:1696
	v_mul_f64 v[25:26], v[9:10], v[44:45]
	v_add_f64 v[13:14], v[13:14], v[32:33]
	v_fma_f64 v[32:33], v[3:4], v[48:49], v[132:133]
	v_add_f64 v[15:16], v[17:18], v[15:16]
	s_clause 0x4
	buffer_load_dword v18, off, s[0:3], 0 offset:924
	buffer_load_dword v44, off, s[0:3], 0 offset:936
	buffer_load_dword v48, off, s[0:3], 0 offset:928
	buffer_load_dword v17, off, s[0:3], 0 offset:920
	buffer_load_dword v41, off, s[0:3], 0 offset:900
	s_waitcnt vmcnt(57) lgkmcnt(0)
	v_mul_f64 v[132:133], v[5:6], v[50:51]
	v_mul_f64 v[49:50], v[7:8], v[50:51]
	s_waitcnt vmcnt(56)
	v_fma_f64 v[30:31], v[9:10], v[46:47], -v[30:31]
	ds_read_b128 v[1:4], v29 offset:1712
	v_fma_f64 v[25:26], v[11:12], v[46:47], v[25:26]
	v_add_f64 v[13:14], v[13:14], v[42:43]
	v_add_f64 v[15:16], v[15:16], v[32:33]
	s_clause 0x2
	buffer_load_dword v45, off, s[0:3], 0 offset:940
	buffer_load_dword v33, off, s[0:3], 0 offset:916
	buffer_load_dword v32, off, s[0:3], 0 offset:912
	ds_read_b128 v[9:12], v29 offset:1728
	s_waitcnt vmcnt(58) lgkmcnt(1)
	v_mul_f64 v[46:47], v[3:4], v[52:53]
	s_waitcnt vmcnt(56)
	v_fma_f64 v[50:51], v[5:6], v[56:57], -v[49:50]
	v_mul_f64 v[42:43], v[1:2], v[52:53]
	v_add_f64 v[13:14], v[13:14], v[30:31]
	v_fma_f64 v[30:31], v[7:8], v[56:57], v[132:133]
	v_add_f64 v[15:16], v[15:16], v[25:26]
	s_clause 0x4
	buffer_load_dword v26, off, s[0:3], 0 offset:956
	buffer_load_dword v52, off, s[0:3], 0 offset:968
	buffer_load_dword v56, off, s[0:3], 0 offset:960
	buffer_load_dword v25, off, s[0:3], 0 offset:952
	buffer_load_dword v49, off, s[0:3], 0 offset:932
	s_waitcnt vmcnt(57) lgkmcnt(0)
	v_mul_f64 v[132:133], v[9:10], v[58:59]
	v_mul_f64 v[57:58], v[11:12], v[58:59]
	s_waitcnt vmcnt(56)
	v_fma_f64 v[46:47], v[1:2], v[54:55], -v[46:47]
	ds_read_b128 v[5:8], v29 offset:1744
	v_fma_f64 v[42:43], v[3:4], v[54:55], v[42:43]
	v_add_f64 v[13:14], v[13:14], v[50:51]
	v_add_f64 v[15:16], v[15:16], v[30:31]
	s_clause 0x2
	buffer_load_dword v53, off, s[0:3], 0 offset:972
	buffer_load_dword v31, off, s[0:3], 0 offset:948
	buffer_load_dword v30, off, s[0:3], 0 offset:944
	ds_read_b128 v[1:4], v29 offset:1760
	s_waitcnt vmcnt(58) lgkmcnt(1)
	v_mul_f64 v[54:55], v[7:8], v[60:61]
	s_waitcnt vmcnt(56)
	v_fma_f64 v[58:59], v[9:10], v[64:65], -v[57:58]
	;; [unrolled: 28-line block ×4, first 2 shown]
	v_mul_f64 v[66:67], v[1:2], v[80:81]
	buffer_load_dword v75, off, s[0:3], 0 offset:1028
	v_add_f64 v[13:14], v[13:14], v[62:63]
	v_fma_f64 v[62:63], v[7:8], v[85:86], v[132:133]
	v_add_f64 v[15:16], v[15:16], v[58:59]
	ds_read_b128 v[5:8], v29 offset:1840
	s_waitcnt vmcnt(53) lgkmcnt(1)
	v_mul_f64 v[58:59], v[9:10], v[76:77]
	v_mul_f64 v[76:77], v[11:12], v[76:77]
	s_waitcnt vmcnt(52)
	v_fma_f64 v[72:73], v[1:2], v[82:83], -v[72:73]
	v_fma_f64 v[66:67], v[3:4], v[82:83], v[66:67]
	ds_read_b128 v[1:4], v29 offset:1856
	v_add_f64 v[13:14], v[13:14], v[78:79]
	v_add_f64 v[15:16], v[15:16], v[62:63]
	s_waitcnt vmcnt(51) lgkmcnt(1)
	v_mul_f64 v[78:79], v[7:8], v[128:129]
	v_mul_f64 v[62:63], v[5:6], v[128:129]
	s_waitcnt vmcnt(49)
	v_fma_f64 v[76:77], v[9:10], v[23:24], -v[76:77]
	v_fma_f64 v[23:24], v[11:12], v[23:24], v[58:59]
	v_add_f64 v[13:14], v[13:14], v[72:73]
	v_add_f64 v[15:16], v[15:16], v[66:67]
	s_clause 0x3
	buffer_load_dword v58, off, s[0:3], 0 offset:528
	buffer_load_dword v59, off, s[0:3], 0 offset:532
	;; [unrolled: 1-line block ×4, first 2 shown]
	ds_read_b128 v[9:12], v29 offset:1872
	s_waitcnt vmcnt(49) lgkmcnt(1)
	v_mul_f64 v[72:73], v[1:2], v[27:28]
	v_mul_f64 v[27:28], v[3:4], v[27:28]
	s_waitcnt vmcnt(48)
	v_fma_f64 v[78:79], v[5:6], v[130:131], -v[78:79]
	v_fma_f64 v[62:63], v[7:8], v[130:131], v[62:63]
	ds_read_b128 v[5:8], v29 offset:1888
	v_add_f64 v[13:14], v[13:14], v[76:77]
	v_add_f64 v[15:16], v[15:16], v[23:24]
	s_waitcnt vmcnt(47) lgkmcnt(1)
	v_mul_f64 v[23:24], v[9:10], v[34:35]
	v_mul_f64 v[34:35], v[11:12], v[34:35]
	s_waitcnt vmcnt(45)
	v_fma_f64 v[27:28], v[1:2], v[21:22], -v[27:28]
	v_fma_f64 v[21:22], v[3:4], v[21:22], v[72:73]
	ds_read_b128 v[1:4], v29 offset:1904
	v_add_f64 v[13:14], v[13:14], v[78:79]
	v_add_f64 v[15:16], v[15:16], v[62:63]
	s_waitcnt vmcnt(41) lgkmcnt(1)
	v_mul_f64 v[62:63], v[5:6], v[36:37]
	v_mul_f64 v[36:37], v[7:8], v[36:37]
	s_waitcnt vmcnt(40)
	v_fma_f64 v[23:24], v[11:12], v[126:127], v[23:24]
	v_fma_f64 v[34:35], v[9:10], v[126:127], -v[34:35]
	ds_read_b128 v[9:12], v29 offset:1920
	v_add_f64 v[13:14], v[13:14], v[27:28]
	v_add_f64 v[15:16], v[15:16], v[21:22]
	s_waitcnt vmcnt(39) lgkmcnt(1)
	v_mul_f64 v[27:28], v[3:4], v[38:39]
	v_mul_f64 v[21:22], v[1:2], v[38:39]
	s_waitcnt vmcnt(37)
	v_fma_f64 v[36:37], v[5:6], v[19:20], -v[36:37]
	v_fma_f64 v[19:20], v[7:8], v[19:20], v[62:63]
	ds_read_b128 v[5:8], v29 offset:1936
	v_add_f64 v[13:14], v[13:14], v[34:35]
	v_add_f64 v[15:16], v[15:16], v[23:24]
	s_waitcnt vmcnt(33) lgkmcnt(1)
	v_mul_f64 v[23:24], v[9:10], v[17:18]
	v_mul_f64 v[17:18], v[11:12], v[17:18]
	s_waitcnt vmcnt(32)
	v_fma_f64 v[27:28], v[1:2], v[40:41], -v[27:28]
	v_fma_f64 v[21:22], v[3:4], v[40:41], v[21:22]
	;; [unrolled: 9-line block ×3, first 2 shown]
	ds_read_b128 v[9:12], v29 offset:1968
	v_add_f64 v[13:14], v[13:14], v[27:28]
	v_add_f64 v[15:16], v[15:16], v[21:22]
	s_waitcnt vmcnt(25) lgkmcnt(1)
	v_mul_f64 v[21:22], v[1:2], v[25:26]
	v_mul_f64 v[25:26], v[3:4], v[25:26]
	s_waitcnt vmcnt(24)
	v_fma_f64 v[27:28], v[5:6], v[48:49], -v[34:35]
	v_add_f64 v[13:14], v[13:14], v[17:18]
	v_fma_f64 v[17:18], v[7:8], v[48:49], v[19:20]
	v_add_f64 v[15:16], v[15:16], v[23:24]
	ds_read_b128 v[5:8], v29 offset:1984
	s_waitcnt vmcnt(23) lgkmcnt(1)
	v_mul_f64 v[23:24], v[11:12], v[52:53]
	v_mul_f64 v[19:20], v[9:10], v[52:53]
	s_waitcnt vmcnt(21)
	v_fma_f64 v[25:26], v[1:2], v[30:31], -v[25:26]
	v_fma_f64 v[21:22], v[3:4], v[30:31], v[21:22]
	ds_read_b128 v[1:4], v29 offset:2000
	v_add_f64 v[13:14], v[13:14], v[27:28]
	v_add_f64 v[15:16], v[15:16], v[17:18]
	s_waitcnt vmcnt(17) lgkmcnt(1)
	v_mul_f64 v[27:28], v[7:8], v[42:43]
	s_waitcnt vmcnt(16)
	v_fma_f64 v[23:24], v[9:10], v[56:57], -v[23:24]
	v_mul_f64 v[17:18], v[5:6], v[42:43]
	v_fma_f64 v[19:20], v[11:12], v[56:57], v[19:20]
	ds_read_b128 v[9:12], v29 offset:2016
	v_add_f64 v[13:14], v[13:14], v[25:26]
	v_add_f64 v[15:16], v[15:16], v[21:22]
	s_waitcnt vmcnt(15) lgkmcnt(1)
	v_mul_f64 v[25:26], v[3:4], v[60:61]
	v_mul_f64 v[21:22], v[1:2], v[60:61]
	s_waitcnt vmcnt(13)
	v_fma_f64 v[27:28], v[5:6], v[46:47], -v[27:28]
	v_fma_f64 v[17:18], v[7:8], v[46:47], v[17:18]
	ds_read_b128 v[5:8], v29 offset:2032
	v_add_f64 v[13:14], v[13:14], v[23:24]
	v_add_f64 v[15:16], v[15:16], v[19:20]
	s_waitcnt vmcnt(9) lgkmcnt(1)
	v_mul_f64 v[23:24], v[11:12], v[50:51]
	s_waitcnt vmcnt(8)
	v_fma_f64 v[1:2], v[1:2], v[64:65], -v[25:26]
	v_mul_f64 v[19:20], v[9:10], v[50:51]
	v_fma_f64 v[3:4], v[3:4], v[64:65], v[21:22]
	v_add_f64 v[13:14], v[13:14], v[27:28]
	v_add_f64 v[15:16], v[15:16], v[17:18]
	s_waitcnt vmcnt(7) lgkmcnt(0)
	v_mul_f64 v[21:22], v[7:8], v[70:71]
	v_mul_f64 v[17:18], v[5:6], v[70:71]
	s_waitcnt vmcnt(5)
	v_fma_f64 v[9:10], v[9:10], v[54:55], -v[23:24]
	v_fma_f64 v[11:12], v[11:12], v[54:55], v[19:20]
	v_add_f64 v[1:2], v[13:14], v[1:2]
	v_add_f64 v[3:4], v[15:16], v[3:4]
	s_waitcnt vmcnt(4)
	v_fma_f64 v[5:6], v[5:6], v[74:75], -v[21:22]
	v_fma_f64 v[7:8], v[7:8], v[74:75], v[17:18]
	v_add_f64 v[1:2], v[1:2], v[9:10]
	v_add_f64 v[3:4], v[3:4], v[11:12]
	;; [unrolled: 1-line block ×4, first 2 shown]
	s_waitcnt vmcnt(2)
	v_add_f64 v[1:2], v[58:59], -v[1:2]
	s_waitcnt vmcnt(0)
	v_add_f64 v[3:4], v[66:67], -v[3:4]
	buffer_store_dword v2, off, s[0:3], 0 offset:532
	buffer_store_dword v1, off, s[0:3], 0 offset:528
	buffer_store_dword v4, off, s[0:3], 0 offset:540
	buffer_store_dword v3, off, s[0:3], 0 offset:536
	v_cmpx_lt_u32_e32 31, v0
	s_cbranch_execz .LBB63_347
; %bb.346:
	v_mov_b32_e32 v4, s47
	s_clause 0x3
	buffer_load_dword v1, v4, s[0:3], 0 offen
	buffer_load_dword v2, v4, s[0:3], 0 offen offset:4
	buffer_load_dword v3, v4, s[0:3], 0 offen offset:8
	;; [unrolled: 1-line block ×3, first 2 shown]
	buffer_store_dword v29, off, s[0:3], 0 offset:512
	buffer_store_dword v29, off, s[0:3], 0 offset:516
	buffer_store_dword v29, off, s[0:3], 0 offset:520
	buffer_store_dword v29, off, s[0:3], 0 offset:524
	s_waitcnt vmcnt(0)
	ds_write_b128 v69, v[1:4]
.LBB63_347:
	s_or_b32 exec_lo, exec_lo, s4
	s_waitcnt lgkmcnt(0)
	s_waitcnt_vscnt null, 0x0
	s_barrier
	buffer_gl0_inv
	s_clause 0x37
	buffer_load_dword v9, off, s[0:3], 0 offset:536
	buffer_load_dword v10, off, s[0:3], 0 offset:540
	;; [unrolled: 1-line block ×56, first 2 shown]
	ds_read_b128 v[30:33], v29 offset:1536
	s_clause 0x2
	buffer_load_dword v71, off, s[0:3], 0 offset:764
	buffer_load_dword v75, off, s[0:3], 0 offset:740
	;; [unrolled: 1-line block ×3, first 2 shown]
	ds_read_b128 v[34:37], v29 offset:1552
	s_clause 0x4
	buffer_load_dword v79, off, s[0:3], 0 offset:780
	buffer_load_dword v80, off, s[0:3], 0 offset:792
	;; [unrolled: 1-line block ×5, first 2 shown]
	ds_read_b128 v[38:41], v29 offset:1568
	s_clause 0x2
	buffer_load_dword v81, off, s[0:3], 0 offset:796
	buffer_load_dword v86, off, s[0:3], 0 offset:772
	;; [unrolled: 1-line block ×3, first 2 shown]
	s_mov_b32 s4, exec_lo
	s_waitcnt vmcnt(62) lgkmcnt(2)
	v_mul_f64 v[76:77], v[32:33], v[9:10]
	v_mul_f64 v[9:10], v[30:31], v[9:10]
	s_waitcnt lgkmcnt(1)
	v_mul_f64 v[83:84], v[36:37], v[5:6]
	s_waitcnt vmcnt(59) lgkmcnt(0)
	v_mul_f64 v[126:127], v[40:41], v[3:4]
	v_fma_f64 v[30:31], v[30:31], v[7:8], -v[76:77]
	v_mul_f64 v[76:77], v[34:35], v[5:6]
	v_fma_f64 v[9:10], v[32:33], v[7:8], v[9:10]
	s_waitcnt vmcnt(57)
	v_fma_f64 v[34:35], v[34:35], v[1:2], -v[83:84]
	ds_read_b128 v[5:8], v29 offset:1584
	v_mul_f64 v[32:33], v[38:39], v[3:4]
	s_waitcnt vmcnt(51)
	v_fma_f64 v[38:39], v[38:39], v[25:26], -v[126:127]
	v_add_f64 v[30:31], v[30:31], 0
	v_fma_f64 v[36:37], v[36:37], v[1:2], v[76:77]
	v_add_f64 v[9:10], v[9:10], 0
	s_clause 0x4
	buffer_load_dword v77, off, s[0:3], 0 offset:812
	buffer_load_dword v128, off, s[0:3], 0 offset:824
	buffer_load_dword v130, off, s[0:3], 0 offset:816
	buffer_load_dword v76, off, s[0:3], 0 offset:808
	buffer_load_dword v83, off, s[0:3], 0 offset:788
	s_waitcnt lgkmcnt(0)
	v_mul_f64 v[131:132], v[5:6], v[13:14]
	v_mul_f64 v[13:14], v[7:8], v[13:14]
	ds_read_b128 v[1:4], v29 offset:1600
	v_fma_f64 v[25:26], v[40:41], v[25:26], v[32:33]
	v_add_f64 v[34:35], v[30:31], v[34:35]
	v_add_f64 v[9:10], v[9:10], v[36:37]
	s_clause 0x2
	buffer_load_dword v129, off, s[0:3], 0 offset:828
	buffer_load_dword v37, off, s[0:3], 0 offset:804
	;; [unrolled: 1-line block ×3, first 2 shown]
	s_waitcnt vmcnt(58) lgkmcnt(0)
	v_mul_f64 v[40:41], v[1:2], v[17:18]
	v_mul_f64 v[17:18], v[3:4], v[17:18]
	s_waitcnt vmcnt(56)
	v_fma_f64 v[13:14], v[5:6], v[19:20], -v[13:14]
	ds_read_b128 v[30:33], v29 offset:1616
	v_fma_f64 v[19:20], v[7:8], v[19:20], v[131:132]
	v_add_f64 v[34:35], v[34:35], v[38:39]
	v_add_f64 v[9:10], v[9:10], v[25:26]
	s_clause 0x4
	buffer_load_dword v26, off, s[0:3], 0 offset:844
	buffer_load_dword v38, off, s[0:3], 0 offset:856
	;; [unrolled: 1-line block ×5, first 2 shown]
	ds_read_b128 v[5:8], v29 offset:1632
	s_waitcnt vmcnt(57) lgkmcnt(1)
	v_mul_f64 v[132:133], v[30:31], v[21:22]
	v_mul_f64 v[21:22], v[32:33], v[21:22]
	s_waitcnt vmcnt(56)
	v_fma_f64 v[17:18], v[1:2], v[11:12], -v[17:18]
	v_fma_f64 v[11:12], v[3:4], v[11:12], v[40:41]
	v_add_f64 v[13:14], v[34:35], v[13:14]
	v_add_f64 v[9:10], v[9:10], v[19:20]
	s_clause 0x2
	buffer_load_dword v39, off, s[0:3], 0 offset:860
	buffer_load_dword v20, off, s[0:3], 0 offset:836
	;; [unrolled: 1-line block ×3, first 2 shown]
	s_waitcnt vmcnt(58) lgkmcnt(0)
	v_mul_f64 v[34:35], v[5:6], v[27:28]
	v_mul_f64 v[27:28], v[7:8], v[27:28]
	s_waitcnt vmcnt(56)
	v_fma_f64 v[21:22], v[30:31], v[42:43], -v[21:22]
	ds_read_b128 v[1:4], v29 offset:1648
	v_add_f64 v[13:14], v[13:14], v[17:18]
	v_fma_f64 v[17:18], v[32:33], v[42:43], v[132:133]
	v_add_f64 v[30:31], v[9:10], v[11:12]
	s_clause 0x4
	buffer_load_dword v33, off, s[0:3], 0 offset:876
	buffer_load_dword v40, off, s[0:3], 0 offset:888
	;; [unrolled: 1-line block ×5, first 2 shown]
	ds_read_b128 v[9:12], v29 offset:1664
	s_waitcnt vmcnt(57) lgkmcnt(1)
	v_mul_f64 v[132:133], v[1:2], v[44:45]
	v_mul_f64 v[43:44], v[3:4], v[44:45]
	s_waitcnt vmcnt(56)
	v_fma_f64 v[27:28], v[5:6], v[15:16], -v[27:28]
	v_fma_f64 v[15:16], v[7:8], v[15:16], v[34:35]
	v_add_f64 v[13:14], v[13:14], v[21:22]
	s_clause 0x2
	buffer_load_dword v41, off, s[0:3], 0 offset:892
	buffer_load_dword v22, off, s[0:3], 0 offset:868
	;; [unrolled: 1-line block ×3, first 2 shown]
	v_add_f64 v[17:18], v[30:31], v[17:18]
	s_waitcnt vmcnt(58) lgkmcnt(0)
	v_mul_f64 v[34:35], v[11:12], v[46:47]
	ds_read_b128 v[5:8], v29 offset:1680
	v_mul_f64 v[30:31], v[9:10], v[46:47]
	s_waitcnt vmcnt(56)
	v_fma_f64 v[44:45], v[1:2], v[48:49], -v[43:44]
	v_add_f64 v[13:14], v[13:14], v[27:28]
	v_fma_f64 v[27:28], v[3:4], v[48:49], v[132:133]
	v_add_f64 v[15:16], v[17:18], v[15:16]
	s_clause 0x4
	buffer_load_dword v18, off, s[0:3], 0 offset:908
	buffer_load_dword v46, off, s[0:3], 0 offset:920
	buffer_load_dword v48, off, s[0:3], 0 offset:912
	buffer_load_dword v17, off, s[0:3], 0 offset:904
	buffer_load_dword v43, off, s[0:3], 0 offset:884
	s_waitcnt vmcnt(57) lgkmcnt(0)
	v_mul_f64 v[132:133], v[5:6], v[50:51]
	v_mul_f64 v[49:50], v[7:8], v[50:51]
	s_waitcnt vmcnt(56)
	v_fma_f64 v[34:35], v[9:10], v[23:24], -v[34:35]
	ds_read_b128 v[1:4], v29 offset:1696
	v_fma_f64 v[23:24], v[11:12], v[23:24], v[30:31]
	v_add_f64 v[13:14], v[13:14], v[44:45]
	v_add_f64 v[15:16], v[15:16], v[27:28]
	s_clause 0x2
	buffer_load_dword v47, off, s[0:3], 0 offset:924
	buffer_load_dword v28, off, s[0:3], 0 offset:900
	buffer_load_dword v27, off, s[0:3], 0 offset:896
	ds_read_b128 v[9:12], v29 offset:1712
	s_waitcnt vmcnt(58) lgkmcnt(1)
	v_mul_f64 v[44:45], v[3:4], v[52:53]
	s_waitcnt vmcnt(56)
	v_fma_f64 v[50:51], v[5:6], v[56:57], -v[49:50]
	v_mul_f64 v[30:31], v[1:2], v[52:53]
	v_add_f64 v[13:14], v[13:14], v[34:35]
	v_fma_f64 v[34:35], v[7:8], v[56:57], v[132:133]
	v_add_f64 v[15:16], v[15:16], v[23:24]
	s_clause 0x4
	buffer_load_dword v24, off, s[0:3], 0 offset:940
	buffer_load_dword v52, off, s[0:3], 0 offset:952
	buffer_load_dword v56, off, s[0:3], 0 offset:944
	buffer_load_dword v23, off, s[0:3], 0 offset:936
	buffer_load_dword v49, off, s[0:3], 0 offset:916
	s_waitcnt vmcnt(57) lgkmcnt(0)
	v_mul_f64 v[132:133], v[9:10], v[58:59]
	v_mul_f64 v[57:58], v[11:12], v[58:59]
	s_waitcnt vmcnt(56)
	v_fma_f64 v[44:45], v[1:2], v[54:55], -v[44:45]
	ds_read_b128 v[5:8], v29 offset:1728
	v_fma_f64 v[30:31], v[3:4], v[54:55], v[30:31]
	v_add_f64 v[13:14], v[13:14], v[50:51]
	v_add_f64 v[15:16], v[15:16], v[34:35]
	s_clause 0x2
	buffer_load_dword v53, off, s[0:3], 0 offset:956
	buffer_load_dword v35, off, s[0:3], 0 offset:932
	buffer_load_dword v34, off, s[0:3], 0 offset:928
	ds_read_b128 v[1:4], v29 offset:1744
	s_waitcnt vmcnt(58) lgkmcnt(1)
	v_mul_f64 v[54:55], v[7:8], v[60:61]
	s_waitcnt vmcnt(56)
	v_fma_f64 v[58:59], v[9:10], v[64:65], -v[57:58]
	v_mul_f64 v[50:51], v[5:6], v[60:61]
	;; [unrolled: 28-line block ×4, first 2 shown]
	v_add_f64 v[13:14], v[13:14], v[62:63]
	v_fma_f64 v[62:63], v[7:8], v[85:86], v[132:133]
	v_add_f64 v[15:16], v[15:16], v[58:59]
	s_clause 0x2
	buffer_load_dword v59, off, s[0:3], 0 offset:1036
	buffer_load_dword v58, off, s[0:3], 0 offset:1032
	;; [unrolled: 1-line block ×3, first 2 shown]
	ds_read_b128 v[5:8], v29 offset:1824
	s_waitcnt vmcnt(55) lgkmcnt(1)
	v_mul_f64 v[80:81], v[9:10], v[76:77]
	v_mul_f64 v[76:77], v[11:12], v[76:77]
	s_waitcnt vmcnt(54)
	v_fma_f64 v[72:73], v[1:2], v[82:83], -v[72:73]
	v_fma_f64 v[66:67], v[3:4], v[82:83], v[66:67]
	v_add_f64 v[13:14], v[13:14], v[78:79]
	v_add_f64 v[15:16], v[15:16], v[62:63]
	s_clause 0x1
	buffer_load_dword v63, off, s[0:3], 0 offset:1028
	buffer_load_dword v62, off, s[0:3], 0 offset:1024
	ds_read_b128 v[1:4], v29 offset:1840
	s_waitcnt vmcnt(55) lgkmcnt(1)
	v_mul_f64 v[82:83], v[7:8], v[128:129]
	v_mul_f64 v[78:79], v[5:6], v[128:129]
	s_waitcnt vmcnt(53)
	v_fma_f64 v[76:77], v[9:10], v[36:37], -v[76:77]
	v_fma_f64 v[36:37], v[11:12], v[36:37], v[80:81]
	ds_read_b128 v[9:12], v29 offset:1856
	v_add_f64 v[13:14], v[13:14], v[72:73]
	v_add_f64 v[15:16], v[15:16], v[66:67]
	s_waitcnt vmcnt(49) lgkmcnt(1)
	v_mul_f64 v[66:67], v[1:2], v[25:26]
	v_mul_f64 v[25:26], v[3:4], v[25:26]
	s_waitcnt vmcnt(48)
	v_fma_f64 v[72:73], v[5:6], v[130:131], -v[82:83]
	v_add_f64 v[13:14], v[13:14], v[76:77]
	v_fma_f64 v[76:77], v[7:8], v[130:131], v[78:79]
	v_add_f64 v[15:16], v[15:16], v[36:37]
	s_clause 0x3
	buffer_load_dword v36, off, s[0:3], 0 offset:512
	buffer_load_dword v37, off, s[0:3], 0 offset:516
	;; [unrolled: 1-line block ×4, first 2 shown]
	ds_read_b128 v[5:8], v29 offset:1872
	s_waitcnt vmcnt(51) lgkmcnt(1)
	v_mul_f64 v[80:81], v[9:10], v[38:39]
	v_mul_f64 v[38:39], v[11:12], v[38:39]
	s_waitcnt vmcnt(49)
	v_fma_f64 v[25:26], v[1:2], v[19:20], -v[25:26]
	v_fma_f64 v[19:20], v[3:4], v[19:20], v[66:67]
	ds_read_b128 v[1:4], v29 offset:1888
	v_add_f64 v[13:14], v[13:14], v[72:73]
	v_add_f64 v[15:16], v[15:16], v[76:77]
	s_waitcnt vmcnt(45) lgkmcnt(1)
	v_mul_f64 v[66:67], v[5:6], v[32:33]
	v_mul_f64 v[32:33], v[7:8], v[32:33]
	s_waitcnt vmcnt(44)
	v_fma_f64 v[38:39], v[9:10], v[126:127], -v[38:39]
	v_add_f64 v[13:14], v[13:14], v[25:26]
	v_fma_f64 v[25:26], v[11:12], v[126:127], v[80:81]
	v_add_f64 v[15:16], v[15:16], v[19:20]
	ds_read_b128 v[9:12], v29 offset:1904
	s_waitcnt vmcnt(43) lgkmcnt(1)
	v_mul_f64 v[19:20], v[1:2], v[40:41]
	v_mul_f64 v[40:41], v[3:4], v[40:41]
	s_waitcnt vmcnt(41)
	v_fma_f64 v[32:33], v[5:6], v[21:22], -v[32:33]
	v_fma_f64 v[21:22], v[7:8], v[21:22], v[66:67]
	ds_read_b128 v[5:8], v29 offset:1920
	v_add_f64 v[13:14], v[13:14], v[38:39]
	v_add_f64 v[15:16], v[15:16], v[25:26]
	s_waitcnt vmcnt(37) lgkmcnt(1)
	v_mul_f64 v[25:26], v[9:10], v[17:18]
	v_mul_f64 v[17:18], v[11:12], v[17:18]
	s_waitcnt vmcnt(36)
	v_fma_f64 v[38:39], v[1:2], v[42:43], -v[40:41]
	v_fma_f64 v[19:20], v[3:4], v[42:43], v[19:20]
	ds_read_b128 v[1:4], v29 offset:1936
	v_add_f64 v[13:14], v[13:14], v[32:33]
	v_add_f64 v[15:16], v[15:16], v[21:22]
	;; [unrolled: 9-line block ×3, first 2 shown]
	s_waitcnt vmcnt(29) lgkmcnt(1)
	v_mul_f64 v[19:20], v[1:2], v[23:24]
	v_mul_f64 v[23:24], v[3:4], v[23:24]
	s_waitcnt vmcnt(28)
	v_fma_f64 v[27:28], v[5:6], v[48:49], -v[32:33]
	v_add_f64 v[13:14], v[13:14], v[17:18]
	v_fma_f64 v[17:18], v[7:8], v[48:49], v[21:22]
	v_add_f64 v[15:16], v[15:16], v[25:26]
	ds_read_b128 v[5:8], v29 offset:1968
	s_waitcnt vmcnt(27) lgkmcnt(1)
	v_mul_f64 v[25:26], v[11:12], v[52:53]
	v_mul_f64 v[21:22], v[9:10], v[52:53]
	s_waitcnt vmcnt(25)
	v_fma_f64 v[23:24], v[1:2], v[34:35], -v[23:24]
	v_fma_f64 v[19:20], v[3:4], v[34:35], v[19:20]
	ds_read_b128 v[1:4], v29 offset:1984
	v_add_f64 v[13:14], v[13:14], v[27:28]
	v_add_f64 v[15:16], v[15:16], v[17:18]
	s_waitcnt vmcnt(21) lgkmcnt(1)
	v_mul_f64 v[27:28], v[7:8], v[30:31]
	s_waitcnt vmcnt(20)
	v_fma_f64 v[25:26], v[9:10], v[56:57], -v[25:26]
	v_mul_f64 v[17:18], v[5:6], v[30:31]
	v_fma_f64 v[21:22], v[11:12], v[56:57], v[21:22]
	ds_read_b128 v[9:12], v29 offset:2000
	v_add_f64 v[13:14], v[13:14], v[23:24]
	v_add_f64 v[15:16], v[15:16], v[19:20]
	s_waitcnt vmcnt(19) lgkmcnt(1)
	v_mul_f64 v[23:24], v[3:4], v[60:61]
	v_mul_f64 v[19:20], v[1:2], v[60:61]
	s_waitcnt vmcnt(17)
	v_fma_f64 v[27:28], v[5:6], v[44:45], -v[27:28]
	v_fma_f64 v[17:18], v[7:8], v[44:45], v[17:18]
	ds_read_b128 v[5:8], v29 offset:2016
	v_add_f64 v[13:14], v[13:14], v[25:26]
	v_add_f64 v[15:16], v[15:16], v[21:22]
	s_waitcnt vmcnt(13) lgkmcnt(1)
	v_mul_f64 v[25:26], v[11:12], v[50:51]
	s_waitcnt vmcnt(12)
	v_fma_f64 v[23:24], v[1:2], v[64:65], -v[23:24]
	v_mul_f64 v[21:22], v[9:10], v[50:51]
	v_fma_f64 v[19:20], v[3:4], v[64:65], v[19:20]
	ds_read_b128 v[1:4], v29 offset:2032
	v_add_f64 v[13:14], v[13:14], v[27:28]
	v_add_f64 v[15:16], v[15:16], v[17:18]
	s_waitcnt vmcnt(11) lgkmcnt(1)
	v_mul_f64 v[27:28], v[7:8], v[70:71]
	v_mul_f64 v[17:18], v[5:6], v[70:71]
	s_waitcnt vmcnt(9)
	v_fma_f64 v[9:10], v[9:10], v[54:55], -v[25:26]
	v_fma_f64 v[11:12], v[11:12], v[54:55], v[21:22]
	v_add_f64 v[13:14], v[13:14], v[23:24]
	v_add_f64 v[15:16], v[15:16], v[19:20]
	s_waitcnt vmcnt(7) lgkmcnt(0)
	v_mul_f64 v[21:22], v[3:4], v[58:59]
	s_waitcnt vmcnt(6)
	v_fma_f64 v[5:6], v[5:6], v[74:75], -v[27:28]
	v_mul_f64 v[19:20], v[1:2], v[58:59]
	v_fma_f64 v[7:8], v[7:8], v[74:75], v[17:18]
	v_add_f64 v[9:10], v[13:14], v[9:10]
	v_add_f64 v[11:12], v[15:16], v[11:12]
	s_waitcnt vmcnt(4)
	v_fma_f64 v[1:2], v[1:2], v[62:63], -v[21:22]
	v_fma_f64 v[3:4], v[3:4], v[62:63], v[19:20]
	v_add_f64 v[5:6], v[9:10], v[5:6]
	v_add_f64 v[7:8], v[11:12], v[7:8]
	;; [unrolled: 1-line block ×4, first 2 shown]
	s_waitcnt vmcnt(2)
	v_add_f64 v[1:2], v[36:37], -v[1:2]
	s_waitcnt vmcnt(0)
	v_add_f64 v[3:4], v[78:79], -v[3:4]
	buffer_store_dword v2, off, s[0:3], 0 offset:516
	buffer_store_dword v1, off, s[0:3], 0 offset:512
	;; [unrolled: 1-line block ×4, first 2 shown]
	v_cmpx_lt_u32_e32 30, v0
	s_cbranch_execz .LBB63_349
; %bb.348:
	v_mov_b32_e32 v4, s48
	v_mov_b32_e32 v5, 0
	s_clause 0x3
	buffer_load_dword v1, v4, s[0:3], 0 offen
	buffer_load_dword v2, v4, s[0:3], 0 offen offset:4
	buffer_load_dword v3, v4, s[0:3], 0 offen offset:8
	;; [unrolled: 1-line block ×3, first 2 shown]
	buffer_store_dword v5, off, s[0:3], 0 offset:496
	buffer_store_dword v5, off, s[0:3], 0 offset:500
	;; [unrolled: 1-line block ×4, first 2 shown]
	s_waitcnt vmcnt(0)
	ds_write_b128 v69, v[1:4]
.LBB63_349:
	s_or_b32 exec_lo, exec_lo, s4
	s_waitcnt lgkmcnt(0)
	s_waitcnt_vscnt null, 0x0
	s_barrier
	buffer_gl0_inv
	s_clause 0x37
	buffer_load_dword v9, off, s[0:3], 0 offset:520
	buffer_load_dword v10, off, s[0:3], 0 offset:524
	;; [unrolled: 1-line block ×56, first 2 shown]
	v_mov_b32_e32 v51, 0
	s_mov_b32 s4, exec_lo
	ds_read_b128 v[39:42], v51 offset:1520
	s_clause 0x2
	buffer_load_dword v71, off, s[0:3], 0 offset:748
	buffer_load_dword v75, off, s[0:3], 0 offset:724
	;; [unrolled: 1-line block ×3, first 2 shown]
	ds_read_b128 v[43:46], v51 offset:1536
	s_clause 0x4
	buffer_load_dword v79, off, s[0:3], 0 offset:764
	buffer_load_dword v80, off, s[0:3], 0 offset:776
	;; [unrolled: 1-line block ×5, first 2 shown]
	ds_read_b128 v[47:50], v51 offset:1552
	s_clause 0x2
	buffer_load_dword v81, off, s[0:3], 0 offset:780
	buffer_load_dword v86, off, s[0:3], 0 offset:756
	;; [unrolled: 1-line block ×3, first 2 shown]
	s_waitcnt vmcnt(62) lgkmcnt(2)
	v_mul_f64 v[76:77], v[41:42], v[9:10]
	v_mul_f64 v[9:10], v[39:40], v[9:10]
	s_waitcnt lgkmcnt(1)
	v_mul_f64 v[83:84], v[45:46], v[5:6]
	s_waitcnt vmcnt(59) lgkmcnt(0)
	v_mul_f64 v[126:127], v[49:50], v[3:4]
	v_fma_f64 v[39:40], v[39:40], v[7:8], -v[76:77]
	v_mul_f64 v[76:77], v[43:44], v[5:6]
	v_fma_f64 v[9:10], v[41:42], v[7:8], v[9:10]
	s_waitcnt vmcnt(57)
	v_fma_f64 v[43:44], v[43:44], v[1:2], -v[83:84]
	ds_read_b128 v[5:8], v51 offset:1568
	v_mul_f64 v[41:42], v[47:48], v[3:4]
	s_waitcnt vmcnt(51)
	v_fma_f64 v[47:48], v[47:48], v[25:26], -v[126:127]
	v_add_f64 v[39:40], v[39:40], 0
	v_fma_f64 v[45:46], v[45:46], v[1:2], v[76:77]
	v_add_f64 v[9:10], v[9:10], 0
	s_clause 0x4
	buffer_load_dword v77, off, s[0:3], 0 offset:796
	buffer_load_dword v128, off, s[0:3], 0 offset:808
	;; [unrolled: 1-line block ×5, first 2 shown]
	s_waitcnt lgkmcnt(0)
	v_mul_f64 v[131:132], v[5:6], v[13:14]
	v_mul_f64 v[13:14], v[7:8], v[13:14]
	ds_read_b128 v[1:4], v51 offset:1584
	v_fma_f64 v[25:26], v[49:50], v[25:26], v[41:42]
	v_add_f64 v[43:44], v[39:40], v[43:44]
	v_add_f64 v[9:10], v[9:10], v[45:46]
	s_clause 0x2
	buffer_load_dword v129, off, s[0:3], 0 offset:812
	buffer_load_dword v46, off, s[0:3], 0 offset:788
	buffer_load_dword v45, off, s[0:3], 0 offset:784
	s_waitcnt vmcnt(58) lgkmcnt(0)
	v_mul_f64 v[49:50], v[1:2], v[17:18]
	v_mul_f64 v[17:18], v[3:4], v[17:18]
	s_waitcnt vmcnt(56)
	v_fma_f64 v[13:14], v[5:6], v[19:20], -v[13:14]
	ds_read_b128 v[39:42], v51 offset:1600
	v_fma_f64 v[19:20], v[7:8], v[19:20], v[131:132]
	v_add_f64 v[43:44], v[43:44], v[47:48]
	v_add_f64 v[9:10], v[9:10], v[25:26]
	s_clause 0x4
	buffer_load_dword v26, off, s[0:3], 0 offset:828
	buffer_load_dword v47, off, s[0:3], 0 offset:840
	;; [unrolled: 1-line block ×5, first 2 shown]
	ds_read_b128 v[5:8], v51 offset:1616
	s_waitcnt vmcnt(57) lgkmcnt(1)
	v_mul_f64 v[132:133], v[39:40], v[21:22]
	v_mul_f64 v[21:22], v[41:42], v[21:22]
	s_waitcnt vmcnt(56)
	v_fma_f64 v[17:18], v[1:2], v[11:12], -v[17:18]
	v_fma_f64 v[11:12], v[3:4], v[11:12], v[49:50]
	v_add_f64 v[13:14], v[43:44], v[13:14]
	v_add_f64 v[9:10], v[9:10], v[19:20]
	s_clause 0x2
	buffer_load_dword v48, off, s[0:3], 0 offset:844
	buffer_load_dword v20, off, s[0:3], 0 offset:820
	;; [unrolled: 1-line block ×3, first 2 shown]
	s_waitcnt vmcnt(58) lgkmcnt(0)
	v_mul_f64 v[43:44], v[5:6], v[27:28]
	v_mul_f64 v[27:28], v[7:8], v[27:28]
	s_waitcnt vmcnt(56)
	v_fma_f64 v[21:22], v[39:40], v[29:30], -v[21:22]
	ds_read_b128 v[1:4], v51 offset:1632
	v_add_f64 v[13:14], v[13:14], v[17:18]
	v_fma_f64 v[17:18], v[41:42], v[29:30], v[132:133]
	v_add_f64 v[29:30], v[9:10], v[11:12]
	s_clause 0x4
	buffer_load_dword v40, off, s[0:3], 0 offset:860
	buffer_load_dword v41, off, s[0:3], 0 offset:872
	;; [unrolled: 1-line block ×5, first 2 shown]
	ds_read_b128 v[9:12], v51 offset:1648
	s_waitcnt vmcnt(57) lgkmcnt(1)
	v_mul_f64 v[132:133], v[1:2], v[31:32]
	v_mul_f64 v[31:32], v[3:4], v[31:32]
	s_waitcnt vmcnt(56)
	v_fma_f64 v[27:28], v[5:6], v[15:16], -v[27:28]
	v_fma_f64 v[15:16], v[7:8], v[15:16], v[43:44]
	v_add_f64 v[13:14], v[13:14], v[21:22]
	s_clause 0x2
	buffer_load_dword v42, off, s[0:3], 0 offset:876
	buffer_load_dword v22, off, s[0:3], 0 offset:852
	;; [unrolled: 1-line block ×3, first 2 shown]
	v_add_f64 v[17:18], v[29:30], v[17:18]
	s_waitcnt vmcnt(58) lgkmcnt(0)
	v_mul_f64 v[29:30], v[9:10], v[35:36]
	v_mul_f64 v[35:36], v[11:12], v[35:36]
	ds_read_b128 v[5:8], v51 offset:1664
	s_waitcnt vmcnt(56)
	v_fma_f64 v[31:32], v[1:2], v[37:38], -v[31:32]
	v_add_f64 v[13:14], v[13:14], v[27:28]
	v_fma_f64 v[27:28], v[3:4], v[37:38], v[132:133]
	v_add_f64 v[15:16], v[17:18], v[15:16]
	s_clause 0x4
	buffer_load_dword v18, off, s[0:3], 0 offset:892
	buffer_load_dword v37, off, s[0:3], 0 offset:904
	buffer_load_dword v43, off, s[0:3], 0 offset:896
	buffer_load_dword v17, off, s[0:3], 0 offset:888
	buffer_load_dword v50, off, s[0:3], 0 offset:868
	s_waitcnt vmcnt(57) lgkmcnt(0)
	v_mul_f64 v[132:133], v[5:6], v[52:53]
	v_mul_f64 v[52:53], v[7:8], v[52:53]
	s_waitcnt vmcnt(56)
	v_fma_f64 v[35:36], v[9:10], v[23:24], -v[35:36]
	ds_read_b128 v[1:4], v51 offset:1680
	v_fma_f64 v[23:24], v[11:12], v[23:24], v[29:30]
	v_add_f64 v[13:14], v[13:14], v[31:32]
	v_add_f64 v[15:16], v[15:16], v[27:28]
	s_clause 0x2
	buffer_load_dword v38, off, s[0:3], 0 offset:908
	buffer_load_dword v28, off, s[0:3], 0 offset:884
	;; [unrolled: 1-line block ×3, first 2 shown]
	ds_read_b128 v[9:12], v51 offset:1696
	s_waitcnt vmcnt(58) lgkmcnt(1)
	v_mul_f64 v[31:32], v[3:4], v[54:55]
	s_waitcnt vmcnt(56)
	v_fma_f64 v[52:53], v[5:6], v[56:57], -v[52:53]
	v_mul_f64 v[29:30], v[1:2], v[54:55]
	v_add_f64 v[13:14], v[13:14], v[35:36]
	v_fma_f64 v[35:36], v[7:8], v[56:57], v[132:133]
	v_add_f64 v[15:16], v[15:16], v[23:24]
	s_clause 0x4
	buffer_load_dword v24, off, s[0:3], 0 offset:924
	buffer_load_dword v54, off, s[0:3], 0 offset:936
	;; [unrolled: 1-line block ×5, first 2 shown]
	s_waitcnt vmcnt(57) lgkmcnt(0)
	v_mul_f64 v[132:133], v[9:10], v[58:59]
	v_mul_f64 v[57:58], v[11:12], v[58:59]
	s_waitcnt vmcnt(56)
	v_fma_f64 v[31:32], v[1:2], v[33:34], -v[31:32]
	ds_read_b128 v[5:8], v51 offset:1712
	v_fma_f64 v[29:30], v[3:4], v[33:34], v[29:30]
	s_clause 0x2
	buffer_load_dword v55, off, s[0:3], 0 offset:940
	buffer_load_dword v34, off, s[0:3], 0 offset:916
	;; [unrolled: 1-line block ×3, first 2 shown]
	ds_read_b128 v[1:4], v51 offset:1728
	v_add_f64 v[13:14], v[13:14], v[52:53]
	v_add_f64 v[15:16], v[15:16], v[35:36]
	s_waitcnt vmcnt(58) lgkmcnt(1)
	v_mul_f64 v[52:53], v[7:8], v[60:61]
	s_waitcnt vmcnt(56)
	v_fma_f64 v[58:59], v[9:10], v[64:65], -v[57:58]
	v_mul_f64 v[35:36], v[5:6], v[60:61]
	v_add_f64 v[13:14], v[13:14], v[31:32]
	v_fma_f64 v[31:32], v[11:12], v[64:65], v[132:133]
	v_add_f64 v[15:16], v[15:16], v[29:30]
	s_clause 0x4
	buffer_load_dword v30, off, s[0:3], 0 offset:956
	buffer_load_dword v60, off, s[0:3], 0 offset:968
	buffer_load_dword v64, off, s[0:3], 0 offset:960
	buffer_load_dword v29, off, s[0:3], 0 offset:952
	buffer_load_dword v57, off, s[0:3], 0 offset:932
	s_waitcnt vmcnt(57) lgkmcnt(0)
	v_mul_f64 v[132:133], v[1:2], v[66:67]
	v_mul_f64 v[65:66], v[3:4], v[66:67]
	s_waitcnt vmcnt(56)
	v_fma_f64 v[52:53], v[5:6], v[62:63], -v[52:53]
	ds_read_b128 v[9:12], v51 offset:1744
	v_fma_f64 v[35:36], v[7:8], v[62:63], v[35:36]
	v_add_f64 v[13:14], v[13:14], v[58:59]
	v_add_f64 v[15:16], v[15:16], v[31:32]
	s_clause 0x2
	buffer_load_dword v61, off, s[0:3], 0 offset:972
	buffer_load_dword v32, off, s[0:3], 0 offset:948
	;; [unrolled: 1-line block ×3, first 2 shown]
	ds_read_b128 v[5:8], v51 offset:1760
	s_waitcnt vmcnt(58) lgkmcnt(1)
	v_mul_f64 v[62:63], v[11:12], v[70:71]
	s_waitcnt vmcnt(56)
	v_fma_f64 v[66:67], v[1:2], v[74:75], -v[65:66]
	v_mul_f64 v[58:59], v[9:10], v[70:71]
	v_add_f64 v[13:14], v[13:14], v[52:53]
	v_fma_f64 v[52:53], v[3:4], v[74:75], v[132:133]
	v_add_f64 v[15:16], v[15:16], v[35:36]
	s_clause 0x4
	buffer_load_dword v36, off, s[0:3], 0 offset:988
	buffer_load_dword v70, off, s[0:3], 0 offset:1000
	;; [unrolled: 1-line block ×5, first 2 shown]
	s_waitcnt vmcnt(57) lgkmcnt(0)
	v_mul_f64 v[132:133], v[5:6], v[78:79]
	v_mul_f64 v[78:79], v[7:8], v[78:79]
	s_waitcnt vmcnt(56)
	v_fma_f64 v[62:63], v[9:10], v[72:73], -v[62:63]
	ds_read_b128 v[1:4], v51 offset:1776
	v_fma_f64 v[58:59], v[11:12], v[72:73], v[58:59]
	v_add_f64 v[13:14], v[13:14], v[66:67]
	v_add_f64 v[15:16], v[15:16], v[52:53]
	s_clause 0x2
	buffer_load_dword v71, off, s[0:3], 0 offset:1004
	buffer_load_dword v53, off, s[0:3], 0 offset:980
	;; [unrolled: 1-line block ×3, first 2 shown]
	ds_read_b128 v[9:12], v51 offset:1792
	s_waitcnt vmcnt(58) lgkmcnt(1)
	v_mul_f64 v[72:73], v[3:4], v[80:81]
	s_waitcnt vmcnt(56)
	v_fma_f64 v[78:79], v[5:6], v[85:86], -v[78:79]
	v_mul_f64 v[66:67], v[1:2], v[80:81]
	v_add_f64 v[13:14], v[13:14], v[62:63]
	v_fma_f64 v[62:63], v[7:8], v[85:86], v[132:133]
	v_add_f64 v[15:16], v[15:16], v[58:59]
	s_clause 0x4
	buffer_load_dword v59, off, s[0:3], 0 offset:1020
	buffer_load_dword v80, off, s[0:3], 0 offset:1032
	buffer_load_dword v84, off, s[0:3], 0 offset:1024
	buffer_load_dword v58, off, s[0:3], 0 offset:1016
	buffer_load_dword v75, off, s[0:3], 0 offset:996
	ds_read_b128 v[5:8], v51 offset:1808
	s_waitcnt vmcnt(57) lgkmcnt(1)
	v_mul_f64 v[85:86], v[9:10], v[76:77]
	v_mul_f64 v[76:77], v[11:12], v[76:77]
	s_waitcnt vmcnt(56)
	v_fma_f64 v[72:73], v[1:2], v[82:83], -v[72:73]
	v_fma_f64 v[66:67], v[3:4], v[82:83], v[66:67]
	v_add_f64 v[13:14], v[13:14], v[78:79]
	v_add_f64 v[15:16], v[15:16], v[62:63]
	s_clause 0x2
	buffer_load_dword v81, off, s[0:3], 0 offset:1036
	buffer_load_dword v63, off, s[0:3], 0 offset:1012
	;; [unrolled: 1-line block ×3, first 2 shown]
	ds_read_b128 v[1:4], v51 offset:1824
	s_waitcnt vmcnt(58) lgkmcnt(1)
	v_mul_f64 v[82:83], v[7:8], v[128:129]
	v_mul_f64 v[78:79], v[5:6], v[128:129]
	s_waitcnt vmcnt(56)
	v_fma_f64 v[76:77], v[9:10], v[45:46], -v[76:77]
	v_fma_f64 v[45:46], v[11:12], v[45:46], v[85:86]
	buffer_load_dword v85, off, s[0:3], 0 offset:1028
	ds_read_b128 v[9:12], v51 offset:1840
	v_add_f64 v[13:14], v[13:14], v[72:73]
	v_add_f64 v[15:16], v[15:16], v[66:67]
	s_waitcnt vmcnt(53) lgkmcnt(1)
	v_mul_f64 v[66:67], v[1:2], v[25:26]
	v_mul_f64 v[25:26], v[3:4], v[25:26]
	s_waitcnt vmcnt(52)
	v_fma_f64 v[72:73], v[5:6], v[130:131], -v[82:83]
	v_add_f64 v[13:14], v[13:14], v[76:77]
	v_fma_f64 v[76:77], v[7:8], v[130:131], v[78:79]
	v_add_f64 v[15:16], v[15:16], v[45:46]
	ds_read_b128 v[5:8], v51 offset:1856
	s_waitcnt vmcnt(51) lgkmcnt(1)
	v_mul_f64 v[45:46], v[9:10], v[47:48]
	v_mul_f64 v[47:48], v[11:12], v[47:48]
	s_waitcnt vmcnt(49)
	v_fma_f64 v[25:26], v[1:2], v[19:20], -v[25:26]
	v_fma_f64 v[19:20], v[3:4], v[19:20], v[66:67]
	v_add_f64 v[13:14], v[13:14], v[72:73]
	s_clause 0x3
	buffer_load_dword v66, off, s[0:3], 0 offset:496
	buffer_load_dword v67, off, s[0:3], 0 offset:500
	;; [unrolled: 1-line block ×4, first 2 shown]
	v_add_f64 v[15:16], v[15:16], v[76:77]
	ds_read_b128 v[1:4], v51 offset:1872
	s_waitcnt vmcnt(49) lgkmcnt(1)
	v_mul_f64 v[76:77], v[5:6], v[39:40]
	v_mul_f64 v[39:40], v[7:8], v[39:40]
	s_waitcnt vmcnt(48)
	v_fma_f64 v[47:48], v[9:10], v[126:127], -v[47:48]
	v_add_f64 v[13:14], v[13:14], v[25:26]
	v_fma_f64 v[25:26], v[11:12], v[126:127], v[45:46]
	v_add_f64 v[15:16], v[15:16], v[19:20]
	ds_read_b128 v[9:12], v51 offset:1888
	s_waitcnt vmcnt(47) lgkmcnt(1)
	v_mul_f64 v[19:20], v[1:2], v[41:42]
	v_mul_f64 v[41:42], v[3:4], v[41:42]
	s_waitcnt vmcnt(45)
	v_fma_f64 v[39:40], v[5:6], v[21:22], -v[39:40]
	v_fma_f64 v[21:22], v[7:8], v[21:22], v[76:77]
	ds_read_b128 v[5:8], v51 offset:1904
	v_add_f64 v[13:14], v[13:14], v[47:48]
	v_add_f64 v[15:16], v[15:16], v[25:26]
	s_waitcnt vmcnt(41) lgkmcnt(1)
	v_mul_f64 v[25:26], v[9:10], v[17:18]
	v_mul_f64 v[17:18], v[11:12], v[17:18]
	s_waitcnt vmcnt(40)
	v_fma_f64 v[41:42], v[1:2], v[49:50], -v[41:42]
	v_fma_f64 v[19:20], v[3:4], v[49:50], v[19:20]
	ds_read_b128 v[1:4], v51 offset:1920
	v_add_f64 v[13:14], v[13:14], v[39:40]
	v_add_f64 v[15:16], v[15:16], v[21:22]
	;; [unrolled: 9-line block ×3, first 2 shown]
	s_waitcnt vmcnt(33) lgkmcnt(1)
	v_mul_f64 v[19:20], v[1:2], v[23:24]
	v_mul_f64 v[23:24], v[3:4], v[23:24]
	s_waitcnt vmcnt(32)
	v_fma_f64 v[27:28], v[5:6], v[43:44], -v[37:38]
	v_add_f64 v[13:14], v[13:14], v[17:18]
	v_fma_f64 v[17:18], v[7:8], v[43:44], v[21:22]
	v_add_f64 v[15:16], v[15:16], v[25:26]
	ds_read_b128 v[5:8], v51 offset:1952
	s_waitcnt vmcnt(31) lgkmcnt(1)
	v_mul_f64 v[25:26], v[11:12], v[54:55]
	v_mul_f64 v[21:22], v[9:10], v[54:55]
	s_waitcnt vmcnt(29)
	v_fma_f64 v[19:20], v[3:4], v[33:34], v[19:20]
	v_fma_f64 v[23:24], v[1:2], v[33:34], -v[23:24]
	ds_read_b128 v[1:4], v51 offset:1968
	v_add_f64 v[13:14], v[13:14], v[27:28]
	v_add_f64 v[15:16], v[15:16], v[17:18]
	s_waitcnt vmcnt(25) lgkmcnt(1)
	v_mul_f64 v[27:28], v[7:8], v[29:30]
	s_waitcnt vmcnt(24)
	v_fma_f64 v[25:26], v[9:10], v[56:57], -v[25:26]
	v_mul_f64 v[17:18], v[5:6], v[29:30]
	v_fma_f64 v[21:22], v[11:12], v[56:57], v[21:22]
	ds_read_b128 v[9:12], v51 offset:1984
	v_add_f64 v[13:14], v[13:14], v[23:24]
	v_add_f64 v[15:16], v[15:16], v[19:20]
	s_waitcnt vmcnt(23) lgkmcnt(1)
	v_mul_f64 v[23:24], v[3:4], v[60:61]
	v_mul_f64 v[19:20], v[1:2], v[60:61]
	s_waitcnt vmcnt(21)
	v_fma_f64 v[27:28], v[5:6], v[31:32], -v[27:28]
	v_fma_f64 v[17:18], v[7:8], v[31:32], v[17:18]
	ds_read_b128 v[5:8], v51 offset:2000
	v_add_f64 v[13:14], v[13:14], v[25:26]
	v_add_f64 v[15:16], v[15:16], v[21:22]
	s_waitcnt vmcnt(17) lgkmcnt(1)
	v_mul_f64 v[25:26], v[11:12], v[35:36]
	s_waitcnt vmcnt(16)
	v_fma_f64 v[23:24], v[1:2], v[64:65], -v[23:24]
	v_mul_f64 v[21:22], v[9:10], v[35:36]
	v_fma_f64 v[19:20], v[3:4], v[64:65], v[19:20]
	ds_read_b128 v[1:4], v51 offset:2016
	v_add_f64 v[13:14], v[13:14], v[27:28]
	v_add_f64 v[15:16], v[15:16], v[17:18]
	s_waitcnt vmcnt(15) lgkmcnt(1)
	v_mul_f64 v[27:28], v[7:8], v[70:71]
	v_mul_f64 v[17:18], v[5:6], v[70:71]
	s_waitcnt vmcnt(13)
	v_fma_f64 v[25:26], v[9:10], v[52:53], -v[25:26]
	v_fma_f64 v[21:22], v[11:12], v[52:53], v[21:22]
	ds_read_b128 v[9:12], v51 offset:2032
	v_add_f64 v[13:14], v[13:14], v[23:24]
	v_add_f64 v[15:16], v[15:16], v[19:20]
	s_waitcnt vmcnt(9) lgkmcnt(1)
	v_mul_f64 v[23:24], v[3:4], v[58:59]
	s_waitcnt vmcnt(8)
	v_fma_f64 v[5:6], v[5:6], v[74:75], -v[27:28]
	v_mul_f64 v[19:20], v[1:2], v[58:59]
	v_fma_f64 v[7:8], v[7:8], v[74:75], v[17:18]
	v_add_f64 v[13:14], v[13:14], v[25:26]
	v_add_f64 v[15:16], v[15:16], v[21:22]
	s_waitcnt vmcnt(7) lgkmcnt(0)
	v_mul_f64 v[21:22], v[11:12], v[80:81]
	v_mul_f64 v[17:18], v[9:10], v[80:81]
	s_waitcnt vmcnt(5)
	v_fma_f64 v[1:2], v[1:2], v[62:63], -v[23:24]
	v_fma_f64 v[3:4], v[3:4], v[62:63], v[19:20]
	v_add_f64 v[5:6], v[13:14], v[5:6]
	v_add_f64 v[7:8], v[15:16], v[7:8]
	s_waitcnt vmcnt(4)
	v_fma_f64 v[9:10], v[9:10], v[84:85], -v[21:22]
	v_add_f64 v[1:2], v[5:6], v[1:2]
	v_fma_f64 v[5:6], v[11:12], v[84:85], v[17:18]
	v_add_f64 v[3:4], v[7:8], v[3:4]
	v_add_f64 v[1:2], v[1:2], v[9:10]
	;; [unrolled: 1-line block ×3, first 2 shown]
	s_waitcnt vmcnt(2)
	v_add_f64 v[1:2], v[66:67], -v[1:2]
	s_waitcnt vmcnt(0)
	v_add_f64 v[3:4], v[72:73], -v[3:4]
	buffer_store_dword v2, off, s[0:3], 0 offset:500
	buffer_store_dword v1, off, s[0:3], 0 offset:496
	;; [unrolled: 1-line block ×4, first 2 shown]
	v_cmpx_lt_u32_e32 29, v0
	s_cbranch_execz .LBB63_351
; %bb.350:
	v_mov_b32_e32 v4, s49
	s_clause 0x3
	buffer_load_dword v1, v4, s[0:3], 0 offen
	buffer_load_dword v2, v4, s[0:3], 0 offen offset:4
	buffer_load_dword v3, v4, s[0:3], 0 offen offset:8
	;; [unrolled: 1-line block ×3, first 2 shown]
	buffer_store_dword v51, off, s[0:3], 0 offset:480
	buffer_store_dword v51, off, s[0:3], 0 offset:484
	;; [unrolled: 1-line block ×4, first 2 shown]
	s_waitcnt vmcnt(0)
	ds_write_b128 v69, v[1:4]
.LBB63_351:
	s_or_b32 exec_lo, exec_lo, s4
	s_waitcnt lgkmcnt(0)
	s_waitcnt_vscnt null, 0x0
	s_barrier
	buffer_gl0_inv
	s_clause 0x37
	buffer_load_dword v9, off, s[0:3], 0 offset:504
	buffer_load_dword v10, off, s[0:3], 0 offset:508
	buffer_load_dword v5, off, s[0:3], 0 offset:520
	buffer_load_dword v6, off, s[0:3], 0 offset:524
	buffer_load_dword v7, off, s[0:3], 0 offset:496
	buffer_load_dword v8, off, s[0:3], 0 offset:500
	buffer_load_dword v3, off, s[0:3], 0 offset:536
	buffer_load_dword v4, off, s[0:3], 0 offset:540
	buffer_load_dword v1, off, s[0:3], 0 offset:512
	buffer_load_dword v2, off, s[0:3], 0 offset:516
	buffer_load_dword v14, off, s[0:3], 0 offset:556
	buffer_load_dword v17, off, s[0:3], 0 offset:568
	buffer_load_dword v11, off, s[0:3], 0 offset:560
	buffer_load_dword v13, off, s[0:3], 0 offset:552
	buffer_load_dword v25, off, s[0:3], 0 offset:528
	buffer_load_dword v26, off, s[0:3], 0 offset:532
	buffer_load_dword v18, off, s[0:3], 0 offset:572
	buffer_load_dword v20, off, s[0:3], 0 offset:548
	buffer_load_dword v19, off, s[0:3], 0 offset:544
	buffer_load_dword v22, off, s[0:3], 0 offset:588
	buffer_load_dword v27, off, s[0:3], 0 offset:600
	buffer_load_dword v15, off, s[0:3], 0 offset:592
	buffer_load_dword v21, off, s[0:3], 0 offset:584
	buffer_load_dword v12, off, s[0:3], 0 offset:564
	buffer_load_dword v28, off, s[0:3], 0 offset:604
	buffer_load_dword v30, off, s[0:3], 0 offset:580
	buffer_load_dword v29, off, s[0:3], 0 offset:576
	buffer_load_dword v32, off, s[0:3], 0 offset:620
	buffer_load_dword v35, off, s[0:3], 0 offset:632
	buffer_load_dword v23, off, s[0:3], 0 offset:624
	buffer_load_dword v31, off, s[0:3], 0 offset:616
	buffer_load_dword v16, off, s[0:3], 0 offset:596
	buffer_load_dword v36, off, s[0:3], 0 offset:636
	buffer_load_dword v38, off, s[0:3], 0 offset:612
	buffer_load_dword v37, off, s[0:3], 0 offset:608
	buffer_load_dword v40, off, s[0:3], 0 offset:652
	buffer_load_dword v43, off, s[0:3], 0 offset:664
	buffer_load_dword v33, off, s[0:3], 0 offset:656
	buffer_load_dword v39, off, s[0:3], 0 offset:648
	buffer_load_dword v24, off, s[0:3], 0 offset:628
	buffer_load_dword v44, off, s[0:3], 0 offset:668
	buffer_load_dword v46, off, s[0:3], 0 offset:644
	buffer_load_dword v45, off, s[0:3], 0 offset:640
	buffer_load_dword v48, off, s[0:3], 0 offset:684
	buffer_load_dword v64, off, s[0:3], 0 offset:696
	buffer_load_dword v41, off, s[0:3], 0 offset:688
	buffer_load_dword v47, off, s[0:3], 0 offset:680
	buffer_load_dword v34, off, s[0:3], 0 offset:660
	buffer_load_dword v65, off, s[0:3], 0 offset:700
	buffer_load_dword v67, off, s[0:3], 0 offset:676
	buffer_load_dword v66, off, s[0:3], 0 offset:672
	buffer_load_dword v71, off, s[0:3], 0 offset:716
	buffer_load_dword v72, off, s[0:3], 0 offset:728
	buffer_load_dword v49, off, s[0:3], 0 offset:720
	buffer_load_dword v70, off, s[0:3], 0 offset:712
	buffer_load_dword v42, off, s[0:3], 0 offset:692
	ds_read_b128 v[52:55], v51 offset:1504
	s_clause 0x2
	buffer_load_dword v73, off, s[0:3], 0 offset:732
	buffer_load_dword v75, off, s[0:3], 0 offset:708
	;; [unrolled: 1-line block ×3, first 2 shown]
	ds_read_b128 v[56:59], v51 offset:1520
	s_clause 0x4
	buffer_load_dword v79, off, s[0:3], 0 offset:748
	buffer_load_dword v80, off, s[0:3], 0 offset:760
	;; [unrolled: 1-line block ×5, first 2 shown]
	ds_read_b128 v[60:63], v51 offset:1536
	s_clause 0x2
	buffer_load_dword v81, off, s[0:3], 0 offset:764
	buffer_load_dword v86, off, s[0:3], 0 offset:740
	;; [unrolled: 1-line block ×3, first 2 shown]
	s_mov_b32 s4, exec_lo
	s_waitcnt vmcnt(62) lgkmcnt(2)
	v_mul_f64 v[76:77], v[54:55], v[9:10]
	v_mul_f64 v[9:10], v[52:53], v[9:10]
	s_waitcnt lgkmcnt(1)
	v_mul_f64 v[83:84], v[58:59], v[5:6]
	s_waitcnt vmcnt(59) lgkmcnt(0)
	v_mul_f64 v[126:127], v[62:63], v[3:4]
	v_fma_f64 v[52:53], v[52:53], v[7:8], -v[76:77]
	v_mul_f64 v[76:77], v[56:57], v[5:6]
	v_fma_f64 v[9:10], v[54:55], v[7:8], v[9:10]
	s_waitcnt vmcnt(57)
	v_fma_f64 v[56:57], v[56:57], v[1:2], -v[83:84]
	ds_read_b128 v[5:8], v51 offset:1552
	v_mul_f64 v[54:55], v[60:61], v[3:4]
	s_waitcnt vmcnt(51)
	v_fma_f64 v[60:61], v[60:61], v[25:26], -v[126:127]
	v_add_f64 v[52:53], v[52:53], 0
	v_fma_f64 v[58:59], v[58:59], v[1:2], v[76:77]
	v_add_f64 v[9:10], v[9:10], 0
	s_clause 0x4
	buffer_load_dword v77, off, s[0:3], 0 offset:780
	buffer_load_dword v128, off, s[0:3], 0 offset:792
	;; [unrolled: 1-line block ×5, first 2 shown]
	s_waitcnt lgkmcnt(0)
	v_mul_f64 v[131:132], v[5:6], v[13:14]
	v_mul_f64 v[13:14], v[7:8], v[13:14]
	ds_read_b128 v[1:4], v51 offset:1568
	v_fma_f64 v[25:26], v[62:63], v[25:26], v[54:55]
	v_add_f64 v[56:57], v[52:53], v[56:57]
	v_add_f64 v[9:10], v[9:10], v[58:59]
	s_clause 0x2
	buffer_load_dword v129, off, s[0:3], 0 offset:796
	buffer_load_dword v59, off, s[0:3], 0 offset:772
	;; [unrolled: 1-line block ×3, first 2 shown]
	s_waitcnt vmcnt(58) lgkmcnt(0)
	v_mul_f64 v[62:63], v[1:2], v[17:18]
	v_mul_f64 v[17:18], v[3:4], v[17:18]
	s_waitcnt vmcnt(56)
	v_fma_f64 v[13:14], v[5:6], v[19:20], -v[13:14]
	ds_read_b128 v[52:55], v51 offset:1584
	v_fma_f64 v[19:20], v[7:8], v[19:20], v[131:132]
	v_add_f64 v[56:57], v[56:57], v[60:61]
	v_add_f64 v[9:10], v[9:10], v[25:26]
	s_clause 0x4
	buffer_load_dword v26, off, s[0:3], 0 offset:812
	buffer_load_dword v60, off, s[0:3], 0 offset:824
	;; [unrolled: 1-line block ×5, first 2 shown]
	ds_read_b128 v[5:8], v51 offset:1600
	s_waitcnt vmcnt(57) lgkmcnt(1)
	v_mul_f64 v[132:133], v[52:53], v[21:22]
	v_mul_f64 v[21:22], v[54:55], v[21:22]
	s_waitcnt vmcnt(56)
	v_fma_f64 v[17:18], v[1:2], v[11:12], -v[17:18]
	v_fma_f64 v[11:12], v[3:4], v[11:12], v[62:63]
	v_add_f64 v[13:14], v[56:57], v[13:14]
	v_add_f64 v[9:10], v[9:10], v[19:20]
	s_clause 0x2
	buffer_load_dword v61, off, s[0:3], 0 offset:828
	buffer_load_dword v20, off, s[0:3], 0 offset:804
	;; [unrolled: 1-line block ×3, first 2 shown]
	s_waitcnt vmcnt(58) lgkmcnt(0)
	v_mul_f64 v[56:57], v[5:6], v[27:28]
	v_mul_f64 v[27:28], v[7:8], v[27:28]
	s_waitcnt vmcnt(56)
	v_fma_f64 v[21:22], v[52:53], v[29:30], -v[21:22]
	ds_read_b128 v[1:4], v51 offset:1616
	v_add_f64 v[13:14], v[13:14], v[17:18]
	v_fma_f64 v[17:18], v[54:55], v[29:30], v[132:133]
	v_add_f64 v[29:30], v[9:10], v[11:12]
	s_clause 0x4
	buffer_load_dword v53, off, s[0:3], 0 offset:844
	buffer_load_dword v54, off, s[0:3], 0 offset:856
	;; [unrolled: 1-line block ×5, first 2 shown]
	ds_read_b128 v[9:12], v51 offset:1632
	s_waitcnt vmcnt(57) lgkmcnt(1)
	v_mul_f64 v[132:133], v[1:2], v[31:32]
	v_mul_f64 v[31:32], v[3:4], v[31:32]
	s_waitcnt vmcnt(56)
	v_fma_f64 v[27:28], v[5:6], v[15:16], -v[27:28]
	v_fma_f64 v[15:16], v[7:8], v[15:16], v[56:57]
	v_add_f64 v[13:14], v[13:14], v[21:22]
	s_clause 0x2
	buffer_load_dword v55, off, s[0:3], 0 offset:860
	buffer_load_dword v22, off, s[0:3], 0 offset:836
	;; [unrolled: 1-line block ×3, first 2 shown]
	v_add_f64 v[17:18], v[29:30], v[17:18]
	s_waitcnt vmcnt(58) lgkmcnt(0)
	v_mul_f64 v[29:30], v[9:10], v[35:36]
	v_mul_f64 v[35:36], v[11:12], v[35:36]
	ds_read_b128 v[5:8], v51 offset:1648
	s_waitcnt vmcnt(56)
	v_fma_f64 v[31:32], v[1:2], v[37:38], -v[31:32]
	v_add_f64 v[13:14], v[13:14], v[27:28]
	v_fma_f64 v[27:28], v[3:4], v[37:38], v[132:133]
	v_add_f64 v[15:16], v[17:18], v[15:16]
	s_clause 0x4
	buffer_load_dword v18, off, s[0:3], 0 offset:876
	buffer_load_dword v37, off, s[0:3], 0 offset:888
	;; [unrolled: 1-line block ×5, first 2 shown]
	s_waitcnt vmcnt(57) lgkmcnt(0)
	v_mul_f64 v[132:133], v[5:6], v[39:40]
	v_mul_f64 v[39:40], v[7:8], v[39:40]
	s_waitcnt vmcnt(56)
	v_fma_f64 v[35:36], v[9:10], v[23:24], -v[35:36]
	ds_read_b128 v[1:4], v51 offset:1664
	v_fma_f64 v[23:24], v[11:12], v[23:24], v[29:30]
	v_add_f64 v[13:14], v[13:14], v[31:32]
	v_add_f64 v[15:16], v[15:16], v[27:28]
	s_clause 0x2
	buffer_load_dword v38, off, s[0:3], 0 offset:892
	buffer_load_dword v28, off, s[0:3], 0 offset:868
	;; [unrolled: 1-line block ×3, first 2 shown]
	ds_read_b128 v[9:12], v51 offset:1680
	s_waitcnt vmcnt(58) lgkmcnt(1)
	v_mul_f64 v[31:32], v[3:4], v[43:44]
	s_waitcnt vmcnt(56)
	v_fma_f64 v[39:40], v[5:6], v[45:46], -v[39:40]
	v_mul_f64 v[29:30], v[1:2], v[43:44]
	v_add_f64 v[13:14], v[13:14], v[35:36]
	v_fma_f64 v[35:36], v[7:8], v[45:46], v[132:133]
	v_add_f64 v[15:16], v[15:16], v[23:24]
	s_clause 0x4
	buffer_load_dword v24, off, s[0:3], 0 offset:908
	buffer_load_dword v43, off, s[0:3], 0 offset:920
	;; [unrolled: 1-line block ×5, first 2 shown]
	s_waitcnt vmcnt(57) lgkmcnt(0)
	v_mul_f64 v[132:133], v[9:10], v[47:48]
	v_mul_f64 v[46:47], v[11:12], v[47:48]
	s_waitcnt vmcnt(56)
	v_fma_f64 v[31:32], v[1:2], v[33:34], -v[31:32]
	ds_read_b128 v[5:8], v51 offset:1696
	v_fma_f64 v[29:30], v[3:4], v[33:34], v[29:30]
	s_clause 0x2
	buffer_load_dword v44, off, s[0:3], 0 offset:924
	buffer_load_dword v34, off, s[0:3], 0 offset:900
	;; [unrolled: 1-line block ×3, first 2 shown]
	ds_read_b128 v[1:4], v51 offset:1712
	v_add_f64 v[13:14], v[13:14], v[39:40]
	v_add_f64 v[15:16], v[15:16], v[35:36]
	s_waitcnt vmcnt(58) lgkmcnt(1)
	v_mul_f64 v[39:40], v[7:8], v[64:65]
	s_waitcnt vmcnt(56)
	v_fma_f64 v[47:48], v[9:10], v[66:67], -v[46:47]
	v_mul_f64 v[35:36], v[5:6], v[64:65]
	v_add_f64 v[13:14], v[13:14], v[31:32]
	v_fma_f64 v[31:32], v[11:12], v[66:67], v[132:133]
	v_add_f64 v[15:16], v[15:16], v[29:30]
	s_clause 0x4
	buffer_load_dword v30, off, s[0:3], 0 offset:940
	buffer_load_dword v64, off, s[0:3], 0 offset:952
	;; [unrolled: 1-line block ×5, first 2 shown]
	s_waitcnt vmcnt(57) lgkmcnt(0)
	v_mul_f64 v[67:68], v[1:2], v[70:71]
	v_mul_f64 v[70:71], v[3:4], v[70:71]
	s_waitcnt vmcnt(56)
	v_fma_f64 v[39:40], v[5:6], v[41:42], -v[39:40]
	ds_read_b128 v[9:12], v51 offset:1728
	v_fma_f64 v[35:36], v[7:8], v[41:42], v[35:36]
	v_add_f64 v[13:14], v[13:14], v[47:48]
	v_add_f64 v[15:16], v[15:16], v[31:32]
	s_clause 0x2
	buffer_load_dword v65, off, s[0:3], 0 offset:956
	buffer_load_dword v32, off, s[0:3], 0 offset:932
	;; [unrolled: 1-line block ×3, first 2 shown]
	ds_read_b128 v[5:8], v51 offset:1744
	s_waitcnt vmcnt(58) lgkmcnt(1)
	v_mul_f64 v[47:48], v[11:12], v[72:73]
	s_waitcnt vmcnt(56)
	v_fma_f64 v[70:71], v[1:2], v[74:75], -v[70:71]
	v_mul_f64 v[41:42], v[9:10], v[72:73]
	v_add_f64 v[13:14], v[13:14], v[39:40]
	v_fma_f64 v[39:40], v[3:4], v[74:75], v[67:68]
	v_add_f64 v[15:16], v[15:16], v[35:36]
	s_clause 0x4
	buffer_load_dword v36, off, s[0:3], 0 offset:972
	buffer_load_dword v72, off, s[0:3], 0 offset:984
	;; [unrolled: 1-line block ×5, first 2 shown]
	s_waitcnt vmcnt(57) lgkmcnt(0)
	v_mul_f64 v[132:133], v[5:6], v[78:79]
	v_mul_f64 v[78:79], v[7:8], v[78:79]
	s_waitcnt vmcnt(56)
	v_fma_f64 v[47:48], v[9:10], v[49:50], -v[47:48]
	ds_read_b128 v[1:4], v51 offset:1760
	v_fma_f64 v[41:42], v[11:12], v[49:50], v[41:42]
	v_add_f64 v[13:14], v[13:14], v[70:71]
	v_add_f64 v[15:16], v[15:16], v[39:40]
	s_clause 0x2
	buffer_load_dword v73, off, s[0:3], 0 offset:988
	buffer_load_dword v40, off, s[0:3], 0 offset:964
	;; [unrolled: 1-line block ×3, first 2 shown]
	ds_read_b128 v[9:12], v51 offset:1776
	s_waitcnt vmcnt(58) lgkmcnt(1)
	v_mul_f64 v[70:71], v[3:4], v[80:81]
	s_waitcnt vmcnt(56)
	v_fma_f64 v[78:79], v[5:6], v[85:86], -v[78:79]
	v_mul_f64 v[49:50], v[1:2], v[80:81]
	v_add_f64 v[13:14], v[13:14], v[47:48]
	v_fma_f64 v[47:48], v[7:8], v[85:86], v[132:133]
	v_add_f64 v[15:16], v[15:16], v[41:42]
	s_clause 0x4
	buffer_load_dword v42, off, s[0:3], 0 offset:1004
	buffer_load_dword v80, off, s[0:3], 0 offset:1016
	;; [unrolled: 1-line block ×5, first 2 shown]
	ds_read_b128 v[5:8], v51 offset:1792
	s_waitcnt vmcnt(57) lgkmcnt(1)
	v_mul_f64 v[85:86], v[9:10], v[76:77]
	v_mul_f64 v[76:77], v[11:12], v[76:77]
	s_waitcnt vmcnt(56)
	v_fma_f64 v[70:71], v[1:2], v[82:83], -v[70:71]
	v_fma_f64 v[49:50], v[3:4], v[82:83], v[49:50]
	v_add_f64 v[13:14], v[13:14], v[78:79]
	v_add_f64 v[15:16], v[15:16], v[47:48]
	s_clause 0x2
	buffer_load_dword v81, off, s[0:3], 0 offset:1020
	buffer_load_dword v48, off, s[0:3], 0 offset:996
	;; [unrolled: 1-line block ×3, first 2 shown]
	ds_read_b128 v[1:4], v51 offset:1808
	s_waitcnt vmcnt(58) lgkmcnt(1)
	v_mul_f64 v[82:83], v[7:8], v[128:129]
	v_mul_f64 v[78:79], v[5:6], v[128:129]
	s_waitcnt vmcnt(56)
	v_fma_f64 v[76:77], v[9:10], v[58:59], -v[76:77]
	v_fma_f64 v[58:59], v[11:12], v[58:59], v[85:86]
	v_add_f64 v[13:14], v[13:14], v[70:71]
	v_add_f64 v[15:16], v[15:16], v[49:50]
	s_clause 0x2
	buffer_load_dword v50, off, s[0:3], 0 offset:1036
	buffer_load_dword v49, off, s[0:3], 0 offset:1032
	;; [unrolled: 1-line block ×3, first 2 shown]
	ds_read_b128 v[9:12], v51 offset:1824
	s_waitcnt vmcnt(55) lgkmcnt(1)
	v_mul_f64 v[70:71], v[1:2], v[25:26]
	v_mul_f64 v[25:26], v[3:4], v[25:26]
	s_waitcnt vmcnt(54)
	v_fma_f64 v[82:83], v[5:6], v[130:131], -v[82:83]
	v_add_f64 v[13:14], v[13:14], v[76:77]
	v_fma_f64 v[76:77], v[7:8], v[130:131], v[78:79]
	v_add_f64 v[15:16], v[15:16], v[58:59]
	s_clause 0x1
	buffer_load_dword v59, off, s[0:3], 0 offset:1028
	buffer_load_dword v58, off, s[0:3], 0 offset:1024
	ds_read_b128 v[5:8], v51 offset:1840
	s_waitcnt vmcnt(55) lgkmcnt(1)
	v_mul_f64 v[78:79], v[9:10], v[60:61]
	v_mul_f64 v[60:61], v[11:12], v[60:61]
	s_waitcnt vmcnt(53)
	v_fma_f64 v[25:26], v[1:2], v[19:20], -v[25:26]
	v_fma_f64 v[19:20], v[3:4], v[19:20], v[70:71]
	ds_read_b128 v[1:4], v51 offset:1856
	v_add_f64 v[13:14], v[13:14], v[82:83]
	v_add_f64 v[15:16], v[15:16], v[76:77]
	s_waitcnt vmcnt(49) lgkmcnt(1)
	v_mul_f64 v[70:71], v[5:6], v[52:53]
	v_mul_f64 v[52:53], v[7:8], v[52:53]
	s_waitcnt vmcnt(48)
	v_fma_f64 v[60:61], v[9:10], v[126:127], -v[60:61]
	v_add_f64 v[13:14], v[13:14], v[25:26]
	v_fma_f64 v[25:26], v[11:12], v[126:127], v[78:79]
	v_add_f64 v[15:16], v[15:16], v[19:20]
	s_clause 0x3
	buffer_load_dword v19, off, s[0:3], 0 offset:480
	buffer_load_dword v20, off, s[0:3], 0 offset:484
	;; [unrolled: 1-line block ×4, first 2 shown]
	ds_read_b128 v[9:12], v51 offset:1872
	s_waitcnt vmcnt(51) lgkmcnt(1)
	v_mul_f64 v[78:79], v[1:2], v[54:55]
	v_mul_f64 v[54:55], v[3:4], v[54:55]
	s_waitcnt vmcnt(49)
	v_fma_f64 v[52:53], v[5:6], v[21:22], -v[52:53]
	v_fma_f64 v[21:22], v[7:8], v[21:22], v[70:71]
	ds_read_b128 v[5:8], v51 offset:1888
	v_add_f64 v[13:14], v[13:14], v[60:61]
	v_add_f64 v[15:16], v[15:16], v[25:26]
	s_waitcnt vmcnt(45) lgkmcnt(1)
	v_mul_f64 v[25:26], v[9:10], v[17:18]
	v_mul_f64 v[17:18], v[11:12], v[17:18]
	s_waitcnt vmcnt(44)
	v_fma_f64 v[54:55], v[1:2], v[62:63], -v[54:55]
	v_add_f64 v[13:14], v[13:14], v[52:53]
	v_fma_f64 v[52:53], v[3:4], v[62:63], v[78:79]
	v_add_f64 v[15:16], v[15:16], v[21:22]
	ds_read_b128 v[1:4], v51 offset:1904
	s_waitcnt vmcnt(43) lgkmcnt(1)
	v_mul_f64 v[21:22], v[5:6], v[37:38]
	v_mul_f64 v[37:38], v[7:8], v[37:38]
	s_waitcnt vmcnt(41)
	v_fma_f64 v[17:18], v[9:10], v[27:28], -v[17:18]
	v_fma_f64 v[25:26], v[11:12], v[27:28], v[25:26]
	ds_read_b128 v[9:12], v51 offset:1920
	v_add_f64 v[13:14], v[13:14], v[54:55]
	v_add_f64 v[15:16], v[15:16], v[52:53]
	s_waitcnt vmcnt(37) lgkmcnt(1)
	v_mul_f64 v[27:28], v[1:2], v[23:24]
	v_mul_f64 v[23:24], v[3:4], v[23:24]
	s_waitcnt vmcnt(36)
	v_fma_f64 v[37:38], v[5:6], v[56:57], -v[37:38]
	v_add_f64 v[13:14], v[13:14], v[17:18]
	v_fma_f64 v[17:18], v[7:8], v[56:57], v[21:22]
	v_add_f64 v[15:16], v[15:16], v[25:26]
	s_waitcnt vmcnt(35) lgkmcnt(0)
	v_mul_f64 v[25:26], v[11:12], v[43:44]
	ds_read_b128 v[5:8], v51 offset:1936
	v_mul_f64 v[21:22], v[9:10], v[43:44]
	s_waitcnt vmcnt(33)
	v_fma_f64 v[27:28], v[3:4], v[33:34], v[27:28]
	v_fma_f64 v[23:24], v[1:2], v[33:34], -v[23:24]
	ds_read_b128 v[1:4], v51 offset:1952
	v_add_f64 v[13:14], v[13:14], v[37:38]
	v_add_f64 v[15:16], v[15:16], v[17:18]
	s_waitcnt vmcnt(29) lgkmcnt(1)
	v_mul_f64 v[17:18], v[5:6], v[29:30]
	v_mul_f64 v[29:30], v[7:8], v[29:30]
	s_waitcnt vmcnt(28)
	v_fma_f64 v[25:26], v[9:10], v[45:46], -v[25:26]
	v_fma_f64 v[21:22], v[11:12], v[45:46], v[21:22]
	ds_read_b128 v[9:12], v51 offset:1968
	v_add_f64 v[13:14], v[13:14], v[23:24]
	v_add_f64 v[15:16], v[15:16], v[27:28]
	s_waitcnt vmcnt(27) lgkmcnt(1)
	v_mul_f64 v[27:28], v[3:4], v[64:65]
	v_mul_f64 v[23:24], v[1:2], v[64:65]
	s_waitcnt vmcnt(25)
	v_fma_f64 v[29:30], v[5:6], v[31:32], -v[29:30]
	v_fma_f64 v[17:18], v[7:8], v[31:32], v[17:18]
	ds_read_b128 v[5:8], v51 offset:1984
	v_add_f64 v[13:14], v[13:14], v[25:26]
	v_add_f64 v[15:16], v[15:16], v[21:22]
	s_waitcnt vmcnt(21) lgkmcnt(1)
	v_mul_f64 v[25:26], v[11:12], v[35:36]
	s_waitcnt vmcnt(20)
	v_fma_f64 v[27:28], v[1:2], v[66:67], -v[27:28]
	v_mul_f64 v[21:22], v[9:10], v[35:36]
	v_fma_f64 v[23:24], v[3:4], v[66:67], v[23:24]
	ds_read_b128 v[1:4], v51 offset:2000
	v_add_f64 v[13:14], v[13:14], v[29:30]
	v_add_f64 v[15:16], v[15:16], v[17:18]
	s_waitcnt vmcnt(19) lgkmcnt(1)
	v_mul_f64 v[29:30], v[7:8], v[72:73]
	v_mul_f64 v[17:18], v[5:6], v[72:73]
	s_waitcnt vmcnt(17)
	v_fma_f64 v[25:26], v[9:10], v[39:40], -v[25:26]
	v_fma_f64 v[21:22], v[11:12], v[39:40], v[21:22]
	ds_read_b128 v[9:12], v51 offset:2016
	v_add_f64 v[13:14], v[13:14], v[27:28]
	v_add_f64 v[15:16], v[15:16], v[23:24]
	s_waitcnt vmcnt(13) lgkmcnt(1)
	v_mul_f64 v[27:28], v[3:4], v[41:42]
	s_waitcnt vmcnt(12)
	v_fma_f64 v[29:30], v[5:6], v[74:75], -v[29:30]
	v_mul_f64 v[23:24], v[1:2], v[41:42]
	v_fma_f64 v[17:18], v[7:8], v[74:75], v[17:18]
	ds_read_b128 v[5:8], v51 offset:2032
	v_add_f64 v[13:14], v[13:14], v[25:26]
	v_add_f64 v[15:16], v[15:16], v[21:22]
	s_waitcnt vmcnt(11) lgkmcnt(1)
	v_mul_f64 v[25:26], v[11:12], v[80:81]
	v_mul_f64 v[21:22], v[9:10], v[80:81]
	s_waitcnt vmcnt(9)
	v_fma_f64 v[1:2], v[1:2], v[47:48], -v[27:28]
	v_fma_f64 v[3:4], v[3:4], v[47:48], v[23:24]
	v_add_f64 v[13:14], v[13:14], v[29:30]
	v_add_f64 v[15:16], v[15:16], v[17:18]
	s_waitcnt vmcnt(7) lgkmcnt(0)
	v_mul_f64 v[23:24], v[7:8], v[49:50]
	s_waitcnt vmcnt(6)
	v_fma_f64 v[9:10], v[9:10], v[84:85], -v[25:26]
	v_mul_f64 v[17:18], v[5:6], v[49:50]
	v_fma_f64 v[11:12], v[11:12], v[84:85], v[21:22]
	v_add_f64 v[1:2], v[13:14], v[1:2]
	v_add_f64 v[3:4], v[15:16], v[3:4]
	s_waitcnt vmcnt(4)
	v_fma_f64 v[5:6], v[5:6], v[58:59], -v[23:24]
	v_fma_f64 v[7:8], v[7:8], v[58:59], v[17:18]
	v_add_f64 v[1:2], v[1:2], v[9:10]
	v_add_f64 v[3:4], v[3:4], v[11:12]
	;; [unrolled: 1-line block ×4, first 2 shown]
	s_waitcnt vmcnt(2)
	v_add_f64 v[1:2], v[19:20], -v[1:2]
	s_waitcnt vmcnt(0)
	v_add_f64 v[3:4], v[76:77], -v[3:4]
	buffer_store_dword v2, off, s[0:3], 0 offset:484
	buffer_store_dword v1, off, s[0:3], 0 offset:480
	buffer_store_dword v4, off, s[0:3], 0 offset:492
	buffer_store_dword v3, off, s[0:3], 0 offset:488
	v_cmpx_lt_u32_e32 28, v0
	s_cbranch_execz .LBB63_353
; %bb.352:
	v_mov_b32_e32 v4, s50
	v_mov_b32_e32 v5, 0
	s_clause 0x3
	buffer_load_dword v1, v4, s[0:3], 0 offen
	buffer_load_dword v2, v4, s[0:3], 0 offen offset:4
	buffer_load_dword v3, v4, s[0:3], 0 offen offset:8
	;; [unrolled: 1-line block ×3, first 2 shown]
	buffer_store_dword v5, off, s[0:3], 0 offset:464
	buffer_store_dword v5, off, s[0:3], 0 offset:468
	;; [unrolled: 1-line block ×4, first 2 shown]
	s_waitcnt vmcnt(0)
	ds_write_b128 v69, v[1:4]
.LBB63_353:
	s_or_b32 exec_lo, exec_lo, s4
	s_waitcnt lgkmcnt(0)
	s_waitcnt_vscnt null, 0x0
	s_barrier
	buffer_gl0_inv
	s_clause 0x37
	buffer_load_dword v9, off, s[0:3], 0 offset:488
	buffer_load_dword v10, off, s[0:3], 0 offset:492
	;; [unrolled: 1-line block ×56, first 2 shown]
	v_mov_b32_e32 v61, 0
	s_mov_b32 s4, exec_lo
	ds_read_b128 v[62:65], v61 offset:1488
	s_clause 0x2
	buffer_load_dword v58, off, s[0:3], 0 offset:716
	buffer_load_dword v60, off, s[0:3], 0 offset:692
	;; [unrolled: 1-line block ×3, first 2 shown]
	ds_read_b128 v[70:73], v61 offset:1504
	s_clause 0x4
	buffer_load_dword v79, off, s[0:3], 0 offset:732
	buffer_load_dword v80, off, s[0:3], 0 offset:744
	;; [unrolled: 1-line block ×5, first 2 shown]
	ds_read_b128 v[74:77], v61 offset:1520
	s_clause 0x2
	buffer_load_dword v81, off, s[0:3], 0 offset:748
	buffer_load_dword v86, off, s[0:3], 0 offset:724
	;; [unrolled: 1-line block ×3, first 2 shown]
	s_waitcnt vmcnt(62) lgkmcnt(2)
	v_mul_f64 v[66:67], v[64:65], v[9:10]
	v_mul_f64 v[9:10], v[62:63], v[9:10]
	s_waitcnt lgkmcnt(1)
	v_mul_f64 v[83:84], v[72:73], v[5:6]
	s_waitcnt vmcnt(59) lgkmcnt(0)
	v_mul_f64 v[126:127], v[76:77], v[3:4]
	v_fma_f64 v[62:63], v[62:63], v[7:8], -v[66:67]
	v_mul_f64 v[66:67], v[70:71], v[5:6]
	v_fma_f64 v[9:10], v[64:65], v[7:8], v[9:10]
	s_waitcnt vmcnt(57)
	v_fma_f64 v[70:71], v[70:71], v[1:2], -v[83:84]
	ds_read_b128 v[5:8], v61 offset:1536
	v_mul_f64 v[64:65], v[74:75], v[3:4]
	s_waitcnt vmcnt(51)
	v_fma_f64 v[74:75], v[74:75], v[25:26], -v[126:127]
	v_add_f64 v[62:63], v[62:63], 0
	v_fma_f64 v[66:67], v[72:73], v[1:2], v[66:67]
	v_add_f64 v[9:10], v[9:10], 0
	s_clause 0x4
	buffer_load_dword v73, off, s[0:3], 0 offset:764
	buffer_load_dword v128, off, s[0:3], 0 offset:776
	;; [unrolled: 1-line block ×5, first 2 shown]
	s_waitcnt lgkmcnt(0)
	v_mul_f64 v[131:132], v[5:6], v[13:14]
	v_mul_f64 v[13:14], v[7:8], v[13:14]
	ds_read_b128 v[1:4], v61 offset:1552
	v_fma_f64 v[25:26], v[76:77], v[25:26], v[64:65]
	v_add_f64 v[70:71], v[62:63], v[70:71]
	v_add_f64 v[9:10], v[9:10], v[66:67]
	s_clause 0x2
	buffer_load_dword v129, off, s[0:3], 0 offset:780
	buffer_load_dword v67, off, s[0:3], 0 offset:756
	;; [unrolled: 1-line block ×3, first 2 shown]
	s_waitcnt vmcnt(58) lgkmcnt(0)
	v_mul_f64 v[76:77], v[1:2], v[17:18]
	v_mul_f64 v[17:18], v[3:4], v[17:18]
	s_waitcnt vmcnt(56)
	v_fma_f64 v[13:14], v[5:6], v[19:20], -v[13:14]
	ds_read_b128 v[62:65], v61 offset:1568
	v_fma_f64 v[19:20], v[7:8], v[19:20], v[131:132]
	v_add_f64 v[70:71], v[70:71], v[74:75]
	v_add_f64 v[9:10], v[9:10], v[25:26]
	s_clause 0x4
	buffer_load_dword v26, off, s[0:3], 0 offset:796
	buffer_load_dword v74, off, s[0:3], 0 offset:808
	;; [unrolled: 1-line block ×5, first 2 shown]
	ds_read_b128 v[5:8], v61 offset:1584
	s_waitcnt vmcnt(57) lgkmcnt(1)
	v_mul_f64 v[132:133], v[62:63], v[21:22]
	v_mul_f64 v[21:22], v[64:65], v[21:22]
	s_waitcnt vmcnt(56)
	v_fma_f64 v[17:18], v[1:2], v[11:12], -v[17:18]
	v_fma_f64 v[11:12], v[3:4], v[11:12], v[76:77]
	v_add_f64 v[13:14], v[70:71], v[13:14]
	v_add_f64 v[9:10], v[9:10], v[19:20]
	s_clause 0x2
	buffer_load_dword v75, off, s[0:3], 0 offset:812
	buffer_load_dword v20, off, s[0:3], 0 offset:788
	;; [unrolled: 1-line block ×3, first 2 shown]
	s_waitcnt vmcnt(58) lgkmcnt(0)
	v_mul_f64 v[70:71], v[5:6], v[27:28]
	v_mul_f64 v[27:28], v[7:8], v[27:28]
	s_waitcnt vmcnt(56)
	v_fma_f64 v[21:22], v[62:63], v[29:30], -v[21:22]
	ds_read_b128 v[1:4], v61 offset:1600
	v_add_f64 v[13:14], v[13:14], v[17:18]
	v_fma_f64 v[17:18], v[64:65], v[29:30], v[132:133]
	v_add_f64 v[29:30], v[9:10], v[11:12]
	s_clause 0x4
	buffer_load_dword v63, off, s[0:3], 0 offset:828
	buffer_load_dword v64, off, s[0:3], 0 offset:840
	;; [unrolled: 1-line block ×5, first 2 shown]
	ds_read_b128 v[9:12], v61 offset:1616
	s_waitcnt vmcnt(57) lgkmcnt(1)
	v_mul_f64 v[132:133], v[1:2], v[31:32]
	v_mul_f64 v[31:32], v[3:4], v[31:32]
	s_waitcnt vmcnt(56)
	v_fma_f64 v[27:28], v[5:6], v[15:16], -v[27:28]
	v_fma_f64 v[15:16], v[7:8], v[15:16], v[70:71]
	v_add_f64 v[13:14], v[13:14], v[21:22]
	s_clause 0x2
	buffer_load_dword v65, off, s[0:3], 0 offset:844
	buffer_load_dword v22, off, s[0:3], 0 offset:820
	;; [unrolled: 1-line block ×3, first 2 shown]
	v_add_f64 v[17:18], v[29:30], v[17:18]
	s_waitcnt vmcnt(58) lgkmcnt(0)
	v_mul_f64 v[29:30], v[9:10], v[35:36]
	v_mul_f64 v[35:36], v[11:12], v[35:36]
	ds_read_b128 v[5:8], v61 offset:1632
	s_waitcnt vmcnt(56)
	v_fma_f64 v[31:32], v[1:2], v[37:38], -v[31:32]
	v_add_f64 v[13:14], v[13:14], v[27:28]
	v_fma_f64 v[27:28], v[3:4], v[37:38], v[132:133]
	v_add_f64 v[15:16], v[17:18], v[15:16]
	s_clause 0x4
	buffer_load_dword v18, off, s[0:3], 0 offset:860
	buffer_load_dword v37, off, s[0:3], 0 offset:872
	;; [unrolled: 1-line block ×5, first 2 shown]
	s_waitcnt vmcnt(57) lgkmcnt(0)
	v_mul_f64 v[132:133], v[5:6], v[39:40]
	v_mul_f64 v[39:40], v[7:8], v[39:40]
	s_waitcnt vmcnt(56)
	v_fma_f64 v[35:36], v[9:10], v[23:24], -v[35:36]
	ds_read_b128 v[1:4], v61 offset:1648
	v_fma_f64 v[23:24], v[11:12], v[23:24], v[29:30]
	v_add_f64 v[13:14], v[13:14], v[31:32]
	v_add_f64 v[15:16], v[15:16], v[27:28]
	s_clause 0x2
	buffer_load_dword v38, off, s[0:3], 0 offset:876
	buffer_load_dword v28, off, s[0:3], 0 offset:852
	;; [unrolled: 1-line block ×3, first 2 shown]
	ds_read_b128 v[9:12], v61 offset:1664
	s_waitcnt vmcnt(58) lgkmcnt(1)
	v_mul_f64 v[31:32], v[3:4], v[43:44]
	s_waitcnt vmcnt(56)
	v_fma_f64 v[39:40], v[5:6], v[45:46], -v[39:40]
	v_mul_f64 v[29:30], v[1:2], v[43:44]
	v_add_f64 v[13:14], v[13:14], v[35:36]
	v_fma_f64 v[35:36], v[7:8], v[45:46], v[132:133]
	v_add_f64 v[15:16], v[15:16], v[23:24]
	s_clause 0x4
	buffer_load_dword v24, off, s[0:3], 0 offset:892
	buffer_load_dword v43, off, s[0:3], 0 offset:904
	;; [unrolled: 1-line block ×5, first 2 shown]
	s_waitcnt vmcnt(57) lgkmcnt(0)
	v_mul_f64 v[132:133], v[9:10], v[47:48]
	v_mul_f64 v[46:47], v[11:12], v[47:48]
	s_waitcnt vmcnt(56)
	v_fma_f64 v[31:32], v[1:2], v[33:34], -v[31:32]
	ds_read_b128 v[5:8], v61 offset:1680
	v_fma_f64 v[29:30], v[3:4], v[33:34], v[29:30]
	s_clause 0x2
	buffer_load_dword v44, off, s[0:3], 0 offset:908
	buffer_load_dword v34, off, s[0:3], 0 offset:884
	buffer_load_dword v33, off, s[0:3], 0 offset:880
	ds_read_b128 v[1:4], v61 offset:1696
	v_add_f64 v[13:14], v[13:14], v[39:40]
	v_add_f64 v[15:16], v[15:16], v[35:36]
	s_waitcnt vmcnt(58) lgkmcnt(1)
	v_mul_f64 v[39:40], v[7:8], v[51:52]
	s_waitcnt vmcnt(56)
	v_fma_f64 v[47:48], v[9:10], v[53:54], -v[46:47]
	v_mul_f64 v[35:36], v[5:6], v[51:52]
	v_add_f64 v[13:14], v[13:14], v[31:32]
	v_fma_f64 v[31:32], v[11:12], v[53:54], v[132:133]
	v_add_f64 v[15:16], v[15:16], v[29:30]
	s_clause 0x4
	buffer_load_dword v30, off, s[0:3], 0 offset:924
	buffer_load_dword v51, off, s[0:3], 0 offset:936
	;; [unrolled: 1-line block ×5, first 2 shown]
	s_waitcnt vmcnt(57) lgkmcnt(0)
	v_mul_f64 v[132:133], v[1:2], v[55:56]
	v_mul_f64 v[54:55], v[3:4], v[55:56]
	s_waitcnt vmcnt(56)
	v_fma_f64 v[39:40], v[5:6], v[41:42], -v[39:40]
	ds_read_b128 v[9:12], v61 offset:1712
	v_fma_f64 v[35:36], v[7:8], v[41:42], v[35:36]
	v_add_f64 v[13:14], v[13:14], v[47:48]
	v_add_f64 v[15:16], v[15:16], v[31:32]
	s_clause 0x2
	buffer_load_dword v52, off, s[0:3], 0 offset:940
	buffer_load_dword v32, off, s[0:3], 0 offset:916
	;; [unrolled: 1-line block ×3, first 2 shown]
	ds_read_b128 v[5:8], v61 offset:1728
	s_waitcnt vmcnt(58) lgkmcnt(1)
	v_mul_f64 v[47:48], v[11:12], v[57:58]
	s_waitcnt vmcnt(56)
	v_fma_f64 v[55:56], v[1:2], v[59:60], -v[54:55]
	v_mul_f64 v[41:42], v[9:10], v[57:58]
	v_add_f64 v[13:14], v[13:14], v[39:40]
	v_fma_f64 v[39:40], v[3:4], v[59:60], v[132:133]
	v_add_f64 v[15:16], v[15:16], v[35:36]
	s_clause 0x4
	buffer_load_dword v36, off, s[0:3], 0 offset:956
	buffer_load_dword v57, off, s[0:3], 0 offset:968
	;; [unrolled: 1-line block ×5, first 2 shown]
	s_waitcnt vmcnt(57) lgkmcnt(0)
	v_mul_f64 v[132:133], v[5:6], v[78:79]
	v_mul_f64 v[78:79], v[7:8], v[78:79]
	s_waitcnt vmcnt(56)
	v_fma_f64 v[47:48], v[9:10], v[49:50], -v[47:48]
	ds_read_b128 v[1:4], v61 offset:1744
	v_fma_f64 v[41:42], v[11:12], v[49:50], v[41:42]
	v_add_f64 v[13:14], v[13:14], v[55:56]
	v_add_f64 v[15:16], v[15:16], v[39:40]
	s_clause 0x2
	buffer_load_dword v58, off, s[0:3], 0 offset:972
	buffer_load_dword v40, off, s[0:3], 0 offset:948
	;; [unrolled: 1-line block ×3, first 2 shown]
	ds_read_b128 v[9:12], v61 offset:1760
	s_waitcnt vmcnt(58) lgkmcnt(1)
	v_mul_f64 v[55:56], v[3:4], v[80:81]
	s_waitcnt vmcnt(56)
	v_fma_f64 v[78:79], v[5:6], v[85:86], -v[78:79]
	v_mul_f64 v[49:50], v[1:2], v[80:81]
	v_add_f64 v[13:14], v[13:14], v[47:48]
	v_fma_f64 v[47:48], v[7:8], v[85:86], v[132:133]
	v_add_f64 v[15:16], v[15:16], v[41:42]
	s_clause 0x4
	buffer_load_dword v42, off, s[0:3], 0 offset:988
	buffer_load_dword v80, off, s[0:3], 0 offset:1000
	;; [unrolled: 1-line block ×5, first 2 shown]
	ds_read_b128 v[5:8], v61 offset:1776
	s_waitcnt vmcnt(57) lgkmcnt(1)
	v_mul_f64 v[85:86], v[9:10], v[72:73]
	v_mul_f64 v[72:73], v[11:12], v[72:73]
	s_waitcnt vmcnt(56)
	v_fma_f64 v[55:56], v[1:2], v[82:83], -v[55:56]
	v_fma_f64 v[49:50], v[3:4], v[82:83], v[49:50]
	v_add_f64 v[13:14], v[13:14], v[78:79]
	v_add_f64 v[15:16], v[15:16], v[47:48]
	s_clause 0x2
	buffer_load_dword v81, off, s[0:3], 0 offset:1004
	buffer_load_dword v48, off, s[0:3], 0 offset:980
	;; [unrolled: 1-line block ×3, first 2 shown]
	ds_read_b128 v[1:4], v61 offset:1792
	s_waitcnt vmcnt(58) lgkmcnt(1)
	v_mul_f64 v[82:83], v[7:8], v[128:129]
	v_mul_f64 v[78:79], v[5:6], v[128:129]
	s_waitcnt vmcnt(56)
	v_fma_f64 v[72:73], v[9:10], v[66:67], -v[72:73]
	v_add_f64 v[13:14], v[13:14], v[55:56]
	v_fma_f64 v[55:56], v[11:12], v[66:67], v[85:86]
	v_add_f64 v[15:16], v[15:16], v[49:50]
	s_clause 0x4
	buffer_load_dword v50, off, s[0:3], 0 offset:1020
	buffer_load_dword v66, off, s[0:3], 0 offset:1032
	;; [unrolled: 1-line block ×5, first 2 shown]
	ds_read_b128 v[9:12], v61 offset:1808
	s_waitcnt vmcnt(57) lgkmcnt(1)
	v_mul_f64 v[128:129], v[1:2], v[25:26]
	v_mul_f64 v[25:26], v[3:4], v[25:26]
	s_waitcnt vmcnt(56)
	v_fma_f64 v[82:83], v[5:6], v[130:131], -v[82:83]
	v_add_f64 v[13:14], v[13:14], v[72:73]
	v_fma_f64 v[72:73], v[7:8], v[130:131], v[78:79]
	v_add_f64 v[15:16], v[15:16], v[55:56]
	s_clause 0x2
	buffer_load_dword v67, off, s[0:3], 0 offset:1036
	buffer_load_dword v56, off, s[0:3], 0 offset:1012
	;; [unrolled: 1-line block ×3, first 2 shown]
	ds_read_b128 v[5:8], v61 offset:1824
	buffer_load_dword v87, off, s[0:3], 0 offset:1028
	s_waitcnt vmcnt(59) lgkmcnt(1)
	v_mul_f64 v[78:79], v[9:10], v[74:75]
	v_mul_f64 v[74:75], v[11:12], v[74:75]
	s_waitcnt vmcnt(57)
	v_fma_f64 v[25:26], v[1:2], v[19:20], -v[25:26]
	v_fma_f64 v[19:20], v[3:4], v[19:20], v[128:129]
	ds_read_b128 v[1:4], v61 offset:1840
	v_add_f64 v[13:14], v[13:14], v[82:83]
	v_add_f64 v[15:16], v[15:16], v[72:73]
	s_waitcnt vmcnt(53) lgkmcnt(1)
	v_mul_f64 v[72:73], v[5:6], v[62:63]
	v_mul_f64 v[62:63], v[7:8], v[62:63]
	s_waitcnt vmcnt(52)
	v_fma_f64 v[74:75], v[9:10], v[126:127], -v[74:75]
	v_add_f64 v[13:14], v[13:14], v[25:26]
	v_fma_f64 v[25:26], v[11:12], v[126:127], v[78:79]
	v_add_f64 v[15:16], v[15:16], v[19:20]
	ds_read_b128 v[9:12], v61 offset:1856
	s_waitcnt vmcnt(51) lgkmcnt(1)
	v_mul_f64 v[19:20], v[1:2], v[64:65]
	v_mul_f64 v[64:65], v[3:4], v[64:65]
	s_waitcnt vmcnt(49)
	v_fma_f64 v[62:63], v[5:6], v[21:22], -v[62:63]
	v_fma_f64 v[21:22], v[7:8], v[21:22], v[72:73]
	v_add_f64 v[13:14], v[13:14], v[74:75]
	v_add_f64 v[15:16], v[15:16], v[25:26]
	s_clause 0x3
	buffer_load_dword v25, off, s[0:3], 0 offset:464
	buffer_load_dword v26, off, s[0:3], 0 offset:468
	;; [unrolled: 1-line block ×4, first 2 shown]
	ds_read_b128 v[5:8], v61 offset:1872
	s_waitcnt vmcnt(49) lgkmcnt(1)
	v_mul_f64 v[74:75], v[9:10], v[17:18]
	v_mul_f64 v[17:18], v[11:12], v[17:18]
	s_waitcnt vmcnt(48)
	v_fma_f64 v[64:65], v[1:2], v[76:77], -v[64:65]
	v_fma_f64 v[19:20], v[3:4], v[76:77], v[19:20]
	ds_read_b128 v[1:4], v61 offset:1888
	v_add_f64 v[13:14], v[13:14], v[62:63]
	v_add_f64 v[15:16], v[15:16], v[21:22]
	s_waitcnt vmcnt(47) lgkmcnt(1)
	v_mul_f64 v[21:22], v[5:6], v[37:38]
	v_mul_f64 v[37:38], v[7:8], v[37:38]
	s_waitcnt vmcnt(45)
	v_fma_f64 v[17:18], v[9:10], v[27:28], -v[17:18]
	v_fma_f64 v[27:28], v[11:12], v[27:28], v[74:75]
	ds_read_b128 v[9:12], v61 offset:1904
	v_add_f64 v[13:14], v[13:14], v[64:65]
	v_add_f64 v[15:16], v[15:16], v[19:20]
	s_waitcnt vmcnt(41) lgkmcnt(1)
	v_mul_f64 v[19:20], v[1:2], v[23:24]
	v_mul_f64 v[23:24], v[3:4], v[23:24]
	s_waitcnt vmcnt(40)
	v_fma_f64 v[37:38], v[5:6], v[70:71], -v[37:38]
	v_add_f64 v[13:14], v[13:14], v[17:18]
	v_fma_f64 v[17:18], v[7:8], v[70:71], v[21:22]
	v_add_f64 v[15:16], v[15:16], v[27:28]
	ds_read_b128 v[5:8], v61 offset:1920
	s_waitcnt vmcnt(39) lgkmcnt(1)
	v_mul_f64 v[27:28], v[11:12], v[43:44]
	v_mul_f64 v[21:22], v[9:10], v[43:44]
	s_waitcnt vmcnt(37)
	v_fma_f64 v[19:20], v[3:4], v[33:34], v[19:20]
	v_fma_f64 v[23:24], v[1:2], v[33:34], -v[23:24]
	ds_read_b128 v[1:4], v61 offset:1936
	v_add_f64 v[13:14], v[13:14], v[37:38]
	v_add_f64 v[15:16], v[15:16], v[17:18]
	s_waitcnt vmcnt(33) lgkmcnt(1)
	v_mul_f64 v[17:18], v[5:6], v[29:30]
	v_mul_f64 v[29:30], v[7:8], v[29:30]
	s_waitcnt vmcnt(32)
	v_fma_f64 v[27:28], v[9:10], v[45:46], -v[27:28]
	v_fma_f64 v[21:22], v[11:12], v[45:46], v[21:22]
	ds_read_b128 v[9:12], v61 offset:1952
	v_add_f64 v[13:14], v[13:14], v[23:24]
	v_add_f64 v[15:16], v[15:16], v[19:20]
	s_waitcnt vmcnt(31) lgkmcnt(1)
	v_mul_f64 v[23:24], v[3:4], v[51:52]
	v_mul_f64 v[19:20], v[1:2], v[51:52]
	s_waitcnt vmcnt(29)
	v_fma_f64 v[29:30], v[5:6], v[31:32], -v[29:30]
	v_fma_f64 v[17:18], v[7:8], v[31:32], v[17:18]
	ds_read_b128 v[5:8], v61 offset:1968
	v_add_f64 v[13:14], v[13:14], v[27:28]
	v_add_f64 v[15:16], v[15:16], v[21:22]
	s_waitcnt vmcnt(25) lgkmcnt(1)
	v_mul_f64 v[27:28], v[11:12], v[35:36]
	s_waitcnt vmcnt(24)
	v_fma_f64 v[23:24], v[1:2], v[53:54], -v[23:24]
	v_mul_f64 v[21:22], v[9:10], v[35:36]
	v_fma_f64 v[19:20], v[3:4], v[53:54], v[19:20]
	ds_read_b128 v[1:4], v61 offset:1984
	v_add_f64 v[13:14], v[13:14], v[29:30]
	v_add_f64 v[15:16], v[15:16], v[17:18]
	s_waitcnt vmcnt(23) lgkmcnt(1)
	v_mul_f64 v[29:30], v[7:8], v[57:58]
	v_mul_f64 v[17:18], v[5:6], v[57:58]
	s_waitcnt vmcnt(21)
	v_fma_f64 v[27:28], v[9:10], v[39:40], -v[27:28]
	v_fma_f64 v[21:22], v[11:12], v[39:40], v[21:22]
	ds_read_b128 v[9:12], v61 offset:2000
	v_add_f64 v[13:14], v[13:14], v[23:24]
	v_add_f64 v[15:16], v[15:16], v[19:20]
	s_waitcnt vmcnt(17) lgkmcnt(1)
	v_mul_f64 v[23:24], v[3:4], v[41:42]
	s_waitcnt vmcnt(16)
	v_fma_f64 v[29:30], v[5:6], v[59:60], -v[29:30]
	v_mul_f64 v[19:20], v[1:2], v[41:42]
	v_fma_f64 v[17:18], v[7:8], v[59:60], v[17:18]
	ds_read_b128 v[5:8], v61 offset:2016
	v_add_f64 v[13:14], v[13:14], v[27:28]
	v_add_f64 v[15:16], v[15:16], v[21:22]
	s_waitcnt vmcnt(15) lgkmcnt(1)
	v_mul_f64 v[27:28], v[11:12], v[80:81]
	v_mul_f64 v[21:22], v[9:10], v[80:81]
	s_waitcnt vmcnt(13)
	v_fma_f64 v[23:24], v[1:2], v[47:48], -v[23:24]
	v_fma_f64 v[19:20], v[3:4], v[47:48], v[19:20]
	ds_read_b128 v[1:4], v61 offset:2032
	v_add_f64 v[13:14], v[13:14], v[29:30]
	v_add_f64 v[15:16], v[15:16], v[17:18]
	s_waitcnt vmcnt(9) lgkmcnt(1)
	v_mul_f64 v[29:30], v[7:8], v[49:50]
	s_waitcnt vmcnt(8)
	v_fma_f64 v[9:10], v[9:10], v[84:85], -v[27:28]
	v_mul_f64 v[17:18], v[5:6], v[49:50]
	v_fma_f64 v[11:12], v[11:12], v[84:85], v[21:22]
	v_add_f64 v[13:14], v[13:14], v[23:24]
	v_add_f64 v[15:16], v[15:16], v[19:20]
	s_waitcnt vmcnt(7) lgkmcnt(0)
	v_mul_f64 v[21:22], v[3:4], v[66:67]
	v_mul_f64 v[19:20], v[1:2], v[66:67]
	s_waitcnt vmcnt(5)
	v_fma_f64 v[5:6], v[5:6], v[55:56], -v[29:30]
	v_fma_f64 v[7:8], v[7:8], v[55:56], v[17:18]
	v_add_f64 v[9:10], v[13:14], v[9:10]
	v_add_f64 v[11:12], v[15:16], v[11:12]
	s_waitcnt vmcnt(4)
	v_fma_f64 v[1:2], v[1:2], v[86:87], -v[21:22]
	v_fma_f64 v[3:4], v[3:4], v[86:87], v[19:20]
	v_add_f64 v[5:6], v[9:10], v[5:6]
	v_add_f64 v[7:8], v[11:12], v[7:8]
	;; [unrolled: 1-line block ×4, first 2 shown]
	s_waitcnt vmcnt(2)
	v_add_f64 v[1:2], v[25:26], -v[1:2]
	s_waitcnt vmcnt(0)
	v_add_f64 v[3:4], v[72:73], -v[3:4]
	buffer_store_dword v2, off, s[0:3], 0 offset:468
	buffer_store_dword v1, off, s[0:3], 0 offset:464
	;; [unrolled: 1-line block ×4, first 2 shown]
	v_cmpx_lt_u32_e32 27, v0
	s_cbranch_execz .LBB63_355
; %bb.354:
	v_mov_b32_e32 v4, s51
	s_clause 0x3
	buffer_load_dword v1, v4, s[0:3], 0 offen
	buffer_load_dword v2, v4, s[0:3], 0 offen offset:4
	buffer_load_dword v3, v4, s[0:3], 0 offen offset:8
	;; [unrolled: 1-line block ×3, first 2 shown]
	buffer_store_dword v61, off, s[0:3], 0 offset:448
	buffer_store_dword v61, off, s[0:3], 0 offset:452
	;; [unrolled: 1-line block ×4, first 2 shown]
	s_waitcnt vmcnt(0)
	ds_write_b128 v69, v[1:4]
.LBB63_355:
	s_or_b32 exec_lo, exec_lo, s4
	s_waitcnt lgkmcnt(0)
	s_waitcnt_vscnt null, 0x0
	s_barrier
	buffer_gl0_inv
	s_clause 0x37
	buffer_load_dword v9, off, s[0:3], 0 offset:472
	buffer_load_dword v10, off, s[0:3], 0 offset:476
	;; [unrolled: 1-line block ×56, first 2 shown]
	ds_read_b128 v[62:65], v61 offset:1472
	s_clause 0x2
	buffer_load_dword v58, off, s[0:3], 0 offset:700
	buffer_load_dword v60, off, s[0:3], 0 offset:676
	;; [unrolled: 1-line block ×3, first 2 shown]
	ds_read_b128 v[70:73], v61 offset:1488
	s_clause 0x4
	buffer_load_dword v79, off, s[0:3], 0 offset:716
	buffer_load_dword v80, off, s[0:3], 0 offset:728
	;; [unrolled: 1-line block ×5, first 2 shown]
	ds_read_b128 v[74:77], v61 offset:1504
	s_clause 0x2
	buffer_load_dword v81, off, s[0:3], 0 offset:732
	buffer_load_dword v86, off, s[0:3], 0 offset:708
	;; [unrolled: 1-line block ×3, first 2 shown]
	s_mov_b32 s4, exec_lo
	s_waitcnt vmcnt(62) lgkmcnt(2)
	v_mul_f64 v[66:67], v[64:65], v[9:10]
	v_mul_f64 v[9:10], v[62:63], v[9:10]
	s_waitcnt lgkmcnt(1)
	v_mul_f64 v[83:84], v[72:73], v[5:6]
	s_waitcnt vmcnt(59) lgkmcnt(0)
	v_mul_f64 v[126:127], v[76:77], v[3:4]
	v_fma_f64 v[62:63], v[62:63], v[7:8], -v[66:67]
	v_mul_f64 v[66:67], v[70:71], v[5:6]
	v_fma_f64 v[9:10], v[64:65], v[7:8], v[9:10]
	s_waitcnt vmcnt(57)
	v_fma_f64 v[70:71], v[70:71], v[1:2], -v[83:84]
	ds_read_b128 v[5:8], v61 offset:1520
	v_mul_f64 v[64:65], v[74:75], v[3:4]
	s_waitcnt vmcnt(51)
	v_fma_f64 v[74:75], v[74:75], v[25:26], -v[126:127]
	v_add_f64 v[62:63], v[62:63], 0
	v_fma_f64 v[66:67], v[72:73], v[1:2], v[66:67]
	v_add_f64 v[9:10], v[9:10], 0
	s_clause 0x4
	buffer_load_dword v73, off, s[0:3], 0 offset:748
	buffer_load_dword v128, off, s[0:3], 0 offset:760
	;; [unrolled: 1-line block ×5, first 2 shown]
	s_waitcnt lgkmcnt(0)
	v_mul_f64 v[131:132], v[5:6], v[13:14]
	v_mul_f64 v[13:14], v[7:8], v[13:14]
	ds_read_b128 v[1:4], v61 offset:1536
	v_fma_f64 v[25:26], v[76:77], v[25:26], v[64:65]
	v_add_f64 v[70:71], v[62:63], v[70:71]
	v_add_f64 v[9:10], v[9:10], v[66:67]
	s_clause 0x2
	buffer_load_dword v129, off, s[0:3], 0 offset:764
	buffer_load_dword v67, off, s[0:3], 0 offset:740
	;; [unrolled: 1-line block ×3, first 2 shown]
	s_waitcnt vmcnt(58) lgkmcnt(0)
	v_mul_f64 v[76:77], v[1:2], v[17:18]
	v_mul_f64 v[17:18], v[3:4], v[17:18]
	s_waitcnt vmcnt(56)
	v_fma_f64 v[13:14], v[5:6], v[19:20], -v[13:14]
	ds_read_b128 v[62:65], v61 offset:1552
	v_fma_f64 v[19:20], v[7:8], v[19:20], v[131:132]
	v_add_f64 v[70:71], v[70:71], v[74:75]
	v_add_f64 v[9:10], v[9:10], v[25:26]
	s_clause 0x4
	buffer_load_dword v26, off, s[0:3], 0 offset:780
	buffer_load_dword v74, off, s[0:3], 0 offset:792
	;; [unrolled: 1-line block ×5, first 2 shown]
	ds_read_b128 v[5:8], v61 offset:1568
	s_waitcnt vmcnt(57) lgkmcnt(1)
	v_mul_f64 v[132:133], v[62:63], v[21:22]
	v_mul_f64 v[21:22], v[64:65], v[21:22]
	s_waitcnt vmcnt(56)
	v_fma_f64 v[17:18], v[1:2], v[11:12], -v[17:18]
	v_fma_f64 v[11:12], v[3:4], v[11:12], v[76:77]
	v_add_f64 v[13:14], v[70:71], v[13:14]
	v_add_f64 v[9:10], v[9:10], v[19:20]
	s_clause 0x2
	buffer_load_dword v75, off, s[0:3], 0 offset:796
	buffer_load_dword v20, off, s[0:3], 0 offset:772
	;; [unrolled: 1-line block ×3, first 2 shown]
	s_waitcnt vmcnt(58) lgkmcnt(0)
	v_mul_f64 v[70:71], v[5:6], v[27:28]
	v_mul_f64 v[27:28], v[7:8], v[27:28]
	s_waitcnt vmcnt(56)
	v_fma_f64 v[21:22], v[62:63], v[29:30], -v[21:22]
	ds_read_b128 v[1:4], v61 offset:1584
	v_add_f64 v[13:14], v[13:14], v[17:18]
	v_fma_f64 v[17:18], v[64:65], v[29:30], v[132:133]
	v_add_f64 v[29:30], v[9:10], v[11:12]
	s_clause 0x4
	buffer_load_dword v63, off, s[0:3], 0 offset:812
	buffer_load_dword v64, off, s[0:3], 0 offset:824
	buffer_load_dword v76, off, s[0:3], 0 offset:816
	buffer_load_dword v62, off, s[0:3], 0 offset:808
	buffer_load_dword v127, off, s[0:3], 0 offset:788
	ds_read_b128 v[9:12], v61 offset:1600
	s_waitcnt vmcnt(57) lgkmcnt(1)
	v_mul_f64 v[132:133], v[1:2], v[31:32]
	v_mul_f64 v[31:32], v[3:4], v[31:32]
	s_waitcnt vmcnt(56)
	v_fma_f64 v[27:28], v[5:6], v[15:16], -v[27:28]
	v_fma_f64 v[15:16], v[7:8], v[15:16], v[70:71]
	v_add_f64 v[13:14], v[13:14], v[21:22]
	s_clause 0x2
	buffer_load_dword v65, off, s[0:3], 0 offset:828
	buffer_load_dword v22, off, s[0:3], 0 offset:804
	;; [unrolled: 1-line block ×3, first 2 shown]
	v_add_f64 v[17:18], v[29:30], v[17:18]
	s_waitcnt vmcnt(58) lgkmcnt(0)
	v_mul_f64 v[29:30], v[9:10], v[35:36]
	v_mul_f64 v[35:36], v[11:12], v[35:36]
	ds_read_b128 v[5:8], v61 offset:1616
	s_waitcnt vmcnt(56)
	v_fma_f64 v[31:32], v[1:2], v[37:38], -v[31:32]
	v_add_f64 v[13:14], v[13:14], v[27:28]
	v_fma_f64 v[27:28], v[3:4], v[37:38], v[132:133]
	v_add_f64 v[15:16], v[17:18], v[15:16]
	s_clause 0x4
	buffer_load_dword v18, off, s[0:3], 0 offset:844
	buffer_load_dword v37, off, s[0:3], 0 offset:856
	;; [unrolled: 1-line block ×5, first 2 shown]
	s_waitcnt vmcnt(57) lgkmcnt(0)
	v_mul_f64 v[132:133], v[5:6], v[39:40]
	v_mul_f64 v[39:40], v[7:8], v[39:40]
	s_waitcnt vmcnt(56)
	v_fma_f64 v[35:36], v[9:10], v[23:24], -v[35:36]
	ds_read_b128 v[1:4], v61 offset:1632
	v_fma_f64 v[23:24], v[11:12], v[23:24], v[29:30]
	v_add_f64 v[13:14], v[13:14], v[31:32]
	v_add_f64 v[15:16], v[15:16], v[27:28]
	s_clause 0x2
	buffer_load_dword v38, off, s[0:3], 0 offset:860
	buffer_load_dword v28, off, s[0:3], 0 offset:836
	;; [unrolled: 1-line block ×3, first 2 shown]
	ds_read_b128 v[9:12], v61 offset:1648
	s_waitcnt vmcnt(58) lgkmcnt(1)
	v_mul_f64 v[31:32], v[3:4], v[43:44]
	s_waitcnt vmcnt(56)
	v_fma_f64 v[39:40], v[5:6], v[45:46], -v[39:40]
	v_mul_f64 v[29:30], v[1:2], v[43:44]
	v_add_f64 v[13:14], v[13:14], v[35:36]
	v_fma_f64 v[35:36], v[7:8], v[45:46], v[132:133]
	v_add_f64 v[15:16], v[15:16], v[23:24]
	s_clause 0x4
	buffer_load_dword v24, off, s[0:3], 0 offset:876
	buffer_load_dword v43, off, s[0:3], 0 offset:888
	;; [unrolled: 1-line block ×5, first 2 shown]
	s_waitcnt vmcnt(57) lgkmcnt(0)
	v_mul_f64 v[132:133], v[9:10], v[47:48]
	v_mul_f64 v[46:47], v[11:12], v[47:48]
	s_waitcnt vmcnt(56)
	v_fma_f64 v[31:32], v[1:2], v[33:34], -v[31:32]
	ds_read_b128 v[5:8], v61 offset:1664
	v_fma_f64 v[29:30], v[3:4], v[33:34], v[29:30]
	s_clause 0x2
	buffer_load_dword v44, off, s[0:3], 0 offset:892
	buffer_load_dword v34, off, s[0:3], 0 offset:868
	;; [unrolled: 1-line block ×3, first 2 shown]
	ds_read_b128 v[1:4], v61 offset:1680
	v_add_f64 v[13:14], v[13:14], v[39:40]
	v_add_f64 v[15:16], v[15:16], v[35:36]
	s_waitcnt vmcnt(58) lgkmcnt(1)
	v_mul_f64 v[39:40], v[7:8], v[51:52]
	s_waitcnt vmcnt(56)
	v_fma_f64 v[47:48], v[9:10], v[53:54], -v[46:47]
	v_mul_f64 v[35:36], v[5:6], v[51:52]
	v_add_f64 v[13:14], v[13:14], v[31:32]
	v_fma_f64 v[31:32], v[11:12], v[53:54], v[132:133]
	v_add_f64 v[15:16], v[15:16], v[29:30]
	s_clause 0x4
	buffer_load_dword v30, off, s[0:3], 0 offset:908
	buffer_load_dword v51, off, s[0:3], 0 offset:920
	;; [unrolled: 1-line block ×5, first 2 shown]
	s_waitcnt vmcnt(57) lgkmcnt(0)
	v_mul_f64 v[132:133], v[1:2], v[55:56]
	v_mul_f64 v[54:55], v[3:4], v[55:56]
	s_waitcnt vmcnt(56)
	v_fma_f64 v[39:40], v[5:6], v[41:42], -v[39:40]
	ds_read_b128 v[9:12], v61 offset:1696
	v_fma_f64 v[35:36], v[7:8], v[41:42], v[35:36]
	v_add_f64 v[13:14], v[13:14], v[47:48]
	v_add_f64 v[15:16], v[15:16], v[31:32]
	s_clause 0x2
	buffer_load_dword v52, off, s[0:3], 0 offset:924
	buffer_load_dword v32, off, s[0:3], 0 offset:900
	;; [unrolled: 1-line block ×3, first 2 shown]
	ds_read_b128 v[5:8], v61 offset:1712
	s_waitcnt vmcnt(58) lgkmcnt(1)
	v_mul_f64 v[47:48], v[11:12], v[57:58]
	s_waitcnt vmcnt(56)
	v_fma_f64 v[55:56], v[1:2], v[59:60], -v[54:55]
	v_mul_f64 v[41:42], v[9:10], v[57:58]
	v_add_f64 v[13:14], v[13:14], v[39:40]
	v_fma_f64 v[39:40], v[3:4], v[59:60], v[132:133]
	v_add_f64 v[15:16], v[15:16], v[35:36]
	s_clause 0x4
	buffer_load_dword v36, off, s[0:3], 0 offset:940
	buffer_load_dword v57, off, s[0:3], 0 offset:952
	;; [unrolled: 1-line block ×5, first 2 shown]
	s_waitcnt vmcnt(57) lgkmcnt(0)
	v_mul_f64 v[132:133], v[5:6], v[78:79]
	v_mul_f64 v[78:79], v[7:8], v[78:79]
	s_waitcnt vmcnt(56)
	v_fma_f64 v[47:48], v[9:10], v[49:50], -v[47:48]
	ds_read_b128 v[1:4], v61 offset:1728
	v_fma_f64 v[41:42], v[11:12], v[49:50], v[41:42]
	v_add_f64 v[13:14], v[13:14], v[55:56]
	v_add_f64 v[15:16], v[15:16], v[39:40]
	s_clause 0x2
	buffer_load_dword v58, off, s[0:3], 0 offset:956
	buffer_load_dword v40, off, s[0:3], 0 offset:932
	;; [unrolled: 1-line block ×3, first 2 shown]
	ds_read_b128 v[9:12], v61 offset:1744
	s_waitcnt vmcnt(58) lgkmcnt(1)
	v_mul_f64 v[55:56], v[3:4], v[80:81]
	s_waitcnt vmcnt(56)
	v_fma_f64 v[78:79], v[5:6], v[85:86], -v[78:79]
	v_mul_f64 v[49:50], v[1:2], v[80:81]
	v_add_f64 v[13:14], v[13:14], v[47:48]
	v_fma_f64 v[47:48], v[7:8], v[85:86], v[132:133]
	v_add_f64 v[15:16], v[15:16], v[41:42]
	s_clause 0x4
	buffer_load_dword v42, off, s[0:3], 0 offset:972
	buffer_load_dword v80, off, s[0:3], 0 offset:984
	;; [unrolled: 1-line block ×5, first 2 shown]
	ds_read_b128 v[5:8], v61 offset:1760
	s_waitcnt vmcnt(57) lgkmcnt(1)
	v_mul_f64 v[85:86], v[9:10], v[72:73]
	v_mul_f64 v[72:73], v[11:12], v[72:73]
	s_waitcnt vmcnt(56)
	v_fma_f64 v[55:56], v[1:2], v[82:83], -v[55:56]
	v_fma_f64 v[49:50], v[3:4], v[82:83], v[49:50]
	v_add_f64 v[13:14], v[13:14], v[78:79]
	v_add_f64 v[15:16], v[15:16], v[47:48]
	s_clause 0x2
	buffer_load_dword v81, off, s[0:3], 0 offset:988
	buffer_load_dword v48, off, s[0:3], 0 offset:964
	;; [unrolled: 1-line block ×3, first 2 shown]
	ds_read_b128 v[1:4], v61 offset:1776
	s_waitcnt vmcnt(58) lgkmcnt(1)
	v_mul_f64 v[82:83], v[7:8], v[128:129]
	v_mul_f64 v[78:79], v[5:6], v[128:129]
	s_waitcnt vmcnt(56)
	v_fma_f64 v[72:73], v[9:10], v[66:67], -v[72:73]
	v_add_f64 v[13:14], v[13:14], v[55:56]
	v_fma_f64 v[55:56], v[11:12], v[66:67], v[85:86]
	v_add_f64 v[15:16], v[15:16], v[49:50]
	s_clause 0x4
	buffer_load_dword v50, off, s[0:3], 0 offset:1004
	buffer_load_dword v66, off, s[0:3], 0 offset:1016
	;; [unrolled: 1-line block ×5, first 2 shown]
	ds_read_b128 v[9:12], v61 offset:1792
	s_waitcnt vmcnt(57) lgkmcnt(1)
	v_mul_f64 v[128:129], v[1:2], v[25:26]
	v_mul_f64 v[25:26], v[3:4], v[25:26]
	s_waitcnt vmcnt(56)
	v_fma_f64 v[82:83], v[5:6], v[130:131], -v[82:83]
	v_add_f64 v[13:14], v[13:14], v[72:73]
	v_fma_f64 v[72:73], v[7:8], v[130:131], v[78:79]
	v_add_f64 v[15:16], v[15:16], v[55:56]
	s_clause 0x2
	buffer_load_dword v67, off, s[0:3], 0 offset:1020
	buffer_load_dword v56, off, s[0:3], 0 offset:996
	;; [unrolled: 1-line block ×3, first 2 shown]
	ds_read_b128 v[5:8], v61 offset:1808
	s_waitcnt vmcnt(58) lgkmcnt(1)
	v_mul_f64 v[78:79], v[9:10], v[74:75]
	v_mul_f64 v[74:75], v[11:12], v[74:75]
	s_waitcnt vmcnt(56)
	v_fma_f64 v[25:26], v[1:2], v[19:20], -v[25:26]
	v_fma_f64 v[19:20], v[3:4], v[19:20], v[128:129]
	v_add_f64 v[13:14], v[13:14], v[82:83]
	v_add_f64 v[15:16], v[15:16], v[72:73]
	s_clause 0x2
	buffer_load_dword v73, off, s[0:3], 0 offset:1036
	buffer_load_dword v72, off, s[0:3], 0 offset:1032
	;; [unrolled: 1-line block ×3, first 2 shown]
	ds_read_b128 v[1:4], v61 offset:1824
	s_waitcnt vmcnt(55) lgkmcnt(1)
	v_mul_f64 v[82:83], v[5:6], v[62:63]
	v_mul_f64 v[62:63], v[7:8], v[62:63]
	s_waitcnt vmcnt(54)
	v_fma_f64 v[74:75], v[9:10], v[126:127], -v[74:75]
	v_add_f64 v[13:14], v[13:14], v[25:26]
	v_fma_f64 v[25:26], v[11:12], v[126:127], v[78:79]
	v_add_f64 v[15:16], v[15:16], v[19:20]
	s_clause 0x1
	buffer_load_dword v20, off, s[0:3], 0 offset:1028
	buffer_load_dword v19, off, s[0:3], 0 offset:1024
	ds_read_b128 v[9:12], v61 offset:1840
	s_waitcnt vmcnt(55) lgkmcnt(1)
	v_mul_f64 v[78:79], v[1:2], v[64:65]
	v_mul_f64 v[64:65], v[3:4], v[64:65]
	s_waitcnt vmcnt(53)
	v_fma_f64 v[62:63], v[5:6], v[21:22], -v[62:63]
	v_fma_f64 v[21:22], v[7:8], v[21:22], v[82:83]
	ds_read_b128 v[5:8], v61 offset:1856
	v_add_f64 v[13:14], v[13:14], v[74:75]
	v_add_f64 v[15:16], v[15:16], v[25:26]
	s_waitcnt vmcnt(49) lgkmcnt(1)
	v_mul_f64 v[25:26], v[9:10], v[17:18]
	v_mul_f64 v[17:18], v[11:12], v[17:18]
	s_waitcnt vmcnt(48)
	v_fma_f64 v[64:65], v[1:2], v[76:77], -v[64:65]
	v_add_f64 v[13:14], v[13:14], v[62:63]
	v_fma_f64 v[62:63], v[3:4], v[76:77], v[78:79]
	v_add_f64 v[15:16], v[15:16], v[21:22]
	s_clause 0x3
	buffer_load_dword v21, off, s[0:3], 0 offset:448
	buffer_load_dword v22, off, s[0:3], 0 offset:452
	;; [unrolled: 1-line block ×4, first 2 shown]
	ds_read_b128 v[1:4], v61 offset:1872
	s_waitcnt vmcnt(51) lgkmcnt(1)
	v_mul_f64 v[76:77], v[5:6], v[37:38]
	v_mul_f64 v[37:38], v[7:8], v[37:38]
	s_waitcnt vmcnt(49)
	v_fma_f64 v[17:18], v[9:10], v[27:28], -v[17:18]
	v_fma_f64 v[25:26], v[11:12], v[27:28], v[25:26]
	ds_read_b128 v[9:12], v61 offset:1888
	v_add_f64 v[13:14], v[13:14], v[64:65]
	v_add_f64 v[15:16], v[15:16], v[62:63]
	s_waitcnt vmcnt(45) lgkmcnt(1)
	v_mul_f64 v[27:28], v[1:2], v[23:24]
	v_mul_f64 v[23:24], v[3:4], v[23:24]
	s_waitcnt vmcnt(44)
	v_fma_f64 v[37:38], v[5:6], v[70:71], -v[37:38]
	v_add_f64 v[13:14], v[13:14], v[17:18]
	v_fma_f64 v[17:18], v[7:8], v[70:71], v[76:77]
	v_add_f64 v[15:16], v[15:16], v[25:26]
	s_waitcnt vmcnt(43) lgkmcnt(0)
	v_mul_f64 v[25:26], v[9:10], v[43:44]
	v_mul_f64 v[43:44], v[11:12], v[43:44]
	ds_read_b128 v[5:8], v61 offset:1904
	s_waitcnt vmcnt(41)
	v_fma_f64 v[27:28], v[3:4], v[33:34], v[27:28]
	v_fma_f64 v[23:24], v[1:2], v[33:34], -v[23:24]
	ds_read_b128 v[1:4], v61 offset:1920
	v_add_f64 v[13:14], v[13:14], v[37:38]
	v_add_f64 v[15:16], v[15:16], v[17:18]
	s_waitcnt vmcnt(37) lgkmcnt(1)
	v_mul_f64 v[17:18], v[5:6], v[29:30]
	v_mul_f64 v[29:30], v[7:8], v[29:30]
	s_waitcnt vmcnt(36)
	v_fma_f64 v[33:34], v[9:10], v[45:46], -v[43:44]
	v_add_f64 v[13:14], v[13:14], v[23:24]
	v_fma_f64 v[23:24], v[11:12], v[45:46], v[25:26]
	v_add_f64 v[15:16], v[15:16], v[27:28]
	ds_read_b128 v[9:12], v61 offset:1936
	s_waitcnt vmcnt(35) lgkmcnt(1)
	v_mul_f64 v[27:28], v[3:4], v[51:52]
	v_mul_f64 v[25:26], v[1:2], v[51:52]
	s_waitcnt vmcnt(33)
	v_fma_f64 v[29:30], v[5:6], v[31:32], -v[29:30]
	v_fma_f64 v[17:18], v[7:8], v[31:32], v[17:18]
	ds_read_b128 v[5:8], v61 offset:1952
	v_add_f64 v[13:14], v[13:14], v[33:34]
	v_add_f64 v[15:16], v[15:16], v[23:24]
	s_waitcnt vmcnt(29) lgkmcnt(1)
	v_mul_f64 v[31:32], v[11:12], v[35:36]
	s_waitcnt vmcnt(28)
	v_fma_f64 v[27:28], v[1:2], v[53:54], -v[27:28]
	v_mul_f64 v[23:24], v[9:10], v[35:36]
	v_fma_f64 v[25:26], v[3:4], v[53:54], v[25:26]
	ds_read_b128 v[1:4], v61 offset:1968
	v_add_f64 v[13:14], v[13:14], v[29:30]
	v_add_f64 v[15:16], v[15:16], v[17:18]
	s_waitcnt vmcnt(27) lgkmcnt(1)
	v_mul_f64 v[29:30], v[7:8], v[57:58]
	v_mul_f64 v[17:18], v[5:6], v[57:58]
	s_waitcnt vmcnt(25)
	v_fma_f64 v[31:32], v[9:10], v[39:40], -v[31:32]
	v_fma_f64 v[23:24], v[11:12], v[39:40], v[23:24]
	ds_read_b128 v[9:12], v61 offset:1984
	v_add_f64 v[13:14], v[13:14], v[27:28]
	v_add_f64 v[15:16], v[15:16], v[25:26]
	s_waitcnt vmcnt(21) lgkmcnt(1)
	v_mul_f64 v[27:28], v[3:4], v[41:42]
	s_waitcnt vmcnt(20)
	v_fma_f64 v[29:30], v[5:6], v[59:60], -v[29:30]
	v_mul_f64 v[25:26], v[1:2], v[41:42]
	v_fma_f64 v[17:18], v[7:8], v[59:60], v[17:18]
	ds_read_b128 v[5:8], v61 offset:2000
	v_add_f64 v[13:14], v[13:14], v[31:32]
	v_add_f64 v[15:16], v[15:16], v[23:24]
	;; [unrolled: 18-line block ×3, first 2 shown]
	s_waitcnt vmcnt(11) lgkmcnt(1)
	v_mul_f64 v[27:28], v[3:4], v[66:67]
	v_mul_f64 v[25:26], v[1:2], v[66:67]
	s_waitcnt vmcnt(9)
	v_fma_f64 v[5:6], v[5:6], v[55:56], -v[29:30]
	v_fma_f64 v[7:8], v[7:8], v[55:56], v[17:18]
	v_add_f64 v[13:14], v[13:14], v[31:32]
	v_add_f64 v[15:16], v[15:16], v[23:24]
	s_waitcnt vmcnt(7) lgkmcnt(0)
	v_mul_f64 v[23:24], v[11:12], v[72:73]
	s_waitcnt vmcnt(6)
	v_fma_f64 v[1:2], v[1:2], v[86:87], -v[27:28]
	v_mul_f64 v[17:18], v[9:10], v[72:73]
	v_fma_f64 v[3:4], v[3:4], v[86:87], v[25:26]
	v_add_f64 v[5:6], v[13:14], v[5:6]
	v_add_f64 v[7:8], v[15:16], v[7:8]
	s_waitcnt vmcnt(4)
	v_fma_f64 v[9:10], v[9:10], v[19:20], -v[23:24]
	v_add_f64 v[1:2], v[5:6], v[1:2]
	v_fma_f64 v[5:6], v[11:12], v[19:20], v[17:18]
	v_add_f64 v[3:4], v[7:8], v[3:4]
	v_add_f64 v[1:2], v[1:2], v[9:10]
	;; [unrolled: 1-line block ×3, first 2 shown]
	s_waitcnt vmcnt(2)
	v_add_f64 v[1:2], v[21:22], -v[1:2]
	s_waitcnt vmcnt(0)
	v_add_f64 v[3:4], v[74:75], -v[3:4]
	buffer_store_dword v2, off, s[0:3], 0 offset:452
	buffer_store_dword v1, off, s[0:3], 0 offset:448
	;; [unrolled: 1-line block ×4, first 2 shown]
	v_cmpx_lt_u32_e32 26, v0
	s_cbranch_execz .LBB63_357
; %bb.356:
	v_mov_b32_e32 v4, s52
	v_mov_b32_e32 v5, 0
	s_clause 0x3
	buffer_load_dword v1, v4, s[0:3], 0 offen
	buffer_load_dword v2, v4, s[0:3], 0 offen offset:4
	buffer_load_dword v3, v4, s[0:3], 0 offen offset:8
	;; [unrolled: 1-line block ×3, first 2 shown]
	buffer_store_dword v5, off, s[0:3], 0 offset:432
	buffer_store_dword v5, off, s[0:3], 0 offset:436
	;; [unrolled: 1-line block ×4, first 2 shown]
	s_waitcnt vmcnt(0)
	ds_write_b128 v69, v[1:4]
.LBB63_357:
	s_or_b32 exec_lo, exec_lo, s4
	s_waitcnt lgkmcnt(0)
	s_waitcnt_vscnt null, 0x0
	s_barrier
	buffer_gl0_inv
	s_clause 0x37
	buffer_load_dword v9, off, s[0:3], 0 offset:456
	buffer_load_dword v10, off, s[0:3], 0 offset:460
	;; [unrolled: 1-line block ×56, first 2 shown]
	v_mov_b32_e32 v61, 0
	s_mov_b32 s4, exec_lo
	ds_read_b128 v[62:65], v61 offset:1456
	s_clause 0x2
	buffer_load_dword v58, off, s[0:3], 0 offset:684
	buffer_load_dword v60, off, s[0:3], 0 offset:660
	;; [unrolled: 1-line block ×3, first 2 shown]
	ds_read_b128 v[70:73], v61 offset:1472
	s_clause 0x4
	buffer_load_dword v79, off, s[0:3], 0 offset:700
	buffer_load_dword v80, off, s[0:3], 0 offset:712
	;; [unrolled: 1-line block ×5, first 2 shown]
	ds_read_b128 v[74:77], v61 offset:1488
	s_clause 0x2
	buffer_load_dword v81, off, s[0:3], 0 offset:716
	buffer_load_dword v86, off, s[0:3], 0 offset:692
	;; [unrolled: 1-line block ×3, first 2 shown]
	s_waitcnt vmcnt(62) lgkmcnt(2)
	v_mul_f64 v[66:67], v[64:65], v[9:10]
	v_mul_f64 v[9:10], v[62:63], v[9:10]
	s_waitcnt lgkmcnt(1)
	v_mul_f64 v[83:84], v[72:73], v[5:6]
	s_waitcnt vmcnt(59) lgkmcnt(0)
	v_mul_f64 v[126:127], v[76:77], v[3:4]
	v_fma_f64 v[62:63], v[62:63], v[7:8], -v[66:67]
	v_mul_f64 v[66:67], v[70:71], v[5:6]
	v_fma_f64 v[9:10], v[64:65], v[7:8], v[9:10]
	s_waitcnt vmcnt(57)
	v_fma_f64 v[70:71], v[70:71], v[1:2], -v[83:84]
	ds_read_b128 v[5:8], v61 offset:1504
	v_mul_f64 v[64:65], v[74:75], v[3:4]
	s_waitcnt vmcnt(51)
	v_fma_f64 v[74:75], v[74:75], v[25:26], -v[126:127]
	v_add_f64 v[62:63], v[62:63], 0
	v_fma_f64 v[66:67], v[72:73], v[1:2], v[66:67]
	v_add_f64 v[9:10], v[9:10], 0
	s_clause 0x4
	buffer_load_dword v73, off, s[0:3], 0 offset:732
	buffer_load_dword v128, off, s[0:3], 0 offset:744
	;; [unrolled: 1-line block ×5, first 2 shown]
	s_waitcnt lgkmcnt(0)
	v_mul_f64 v[131:132], v[5:6], v[13:14]
	v_mul_f64 v[13:14], v[7:8], v[13:14]
	ds_read_b128 v[1:4], v61 offset:1520
	v_fma_f64 v[25:26], v[76:77], v[25:26], v[64:65]
	v_add_f64 v[70:71], v[62:63], v[70:71]
	v_add_f64 v[9:10], v[9:10], v[66:67]
	s_clause 0x2
	buffer_load_dword v129, off, s[0:3], 0 offset:748
	buffer_load_dword v67, off, s[0:3], 0 offset:724
	;; [unrolled: 1-line block ×3, first 2 shown]
	s_waitcnt vmcnt(58) lgkmcnt(0)
	v_mul_f64 v[76:77], v[1:2], v[17:18]
	v_mul_f64 v[17:18], v[3:4], v[17:18]
	s_waitcnt vmcnt(56)
	v_fma_f64 v[13:14], v[5:6], v[19:20], -v[13:14]
	ds_read_b128 v[62:65], v61 offset:1536
	v_fma_f64 v[19:20], v[7:8], v[19:20], v[131:132]
	v_add_f64 v[70:71], v[70:71], v[74:75]
	v_add_f64 v[9:10], v[9:10], v[25:26]
	s_clause 0x4
	buffer_load_dword v26, off, s[0:3], 0 offset:764
	buffer_load_dword v74, off, s[0:3], 0 offset:776
	;; [unrolled: 1-line block ×5, first 2 shown]
	ds_read_b128 v[5:8], v61 offset:1552
	s_waitcnt vmcnt(57) lgkmcnt(1)
	v_mul_f64 v[132:133], v[62:63], v[21:22]
	v_mul_f64 v[21:22], v[64:65], v[21:22]
	s_waitcnt vmcnt(56)
	v_fma_f64 v[17:18], v[1:2], v[11:12], -v[17:18]
	v_fma_f64 v[11:12], v[3:4], v[11:12], v[76:77]
	v_add_f64 v[13:14], v[70:71], v[13:14]
	v_add_f64 v[9:10], v[9:10], v[19:20]
	s_clause 0x2
	buffer_load_dword v75, off, s[0:3], 0 offset:780
	buffer_load_dword v20, off, s[0:3], 0 offset:756
	;; [unrolled: 1-line block ×3, first 2 shown]
	s_waitcnt vmcnt(58) lgkmcnt(0)
	v_mul_f64 v[70:71], v[5:6], v[27:28]
	v_mul_f64 v[27:28], v[7:8], v[27:28]
	s_waitcnt vmcnt(56)
	v_fma_f64 v[21:22], v[62:63], v[29:30], -v[21:22]
	ds_read_b128 v[1:4], v61 offset:1568
	v_add_f64 v[13:14], v[13:14], v[17:18]
	v_fma_f64 v[17:18], v[64:65], v[29:30], v[132:133]
	v_add_f64 v[29:30], v[9:10], v[11:12]
	s_clause 0x4
	buffer_load_dword v63, off, s[0:3], 0 offset:796
	buffer_load_dword v64, off, s[0:3], 0 offset:808
	;; [unrolled: 1-line block ×5, first 2 shown]
	ds_read_b128 v[9:12], v61 offset:1584
	s_waitcnt vmcnt(57) lgkmcnt(1)
	v_mul_f64 v[132:133], v[1:2], v[31:32]
	v_mul_f64 v[31:32], v[3:4], v[31:32]
	s_waitcnt vmcnt(56)
	v_fma_f64 v[27:28], v[5:6], v[15:16], -v[27:28]
	v_fma_f64 v[15:16], v[7:8], v[15:16], v[70:71]
	v_add_f64 v[13:14], v[13:14], v[21:22]
	s_clause 0x2
	buffer_load_dword v65, off, s[0:3], 0 offset:812
	buffer_load_dword v22, off, s[0:3], 0 offset:788
	;; [unrolled: 1-line block ×3, first 2 shown]
	v_add_f64 v[17:18], v[29:30], v[17:18]
	s_waitcnt vmcnt(58) lgkmcnt(0)
	v_mul_f64 v[29:30], v[9:10], v[35:36]
	v_mul_f64 v[35:36], v[11:12], v[35:36]
	ds_read_b128 v[5:8], v61 offset:1600
	s_waitcnt vmcnt(56)
	v_fma_f64 v[31:32], v[1:2], v[37:38], -v[31:32]
	v_add_f64 v[13:14], v[13:14], v[27:28]
	v_fma_f64 v[27:28], v[3:4], v[37:38], v[132:133]
	v_add_f64 v[15:16], v[17:18], v[15:16]
	s_clause 0x4
	buffer_load_dword v18, off, s[0:3], 0 offset:828
	buffer_load_dword v37, off, s[0:3], 0 offset:840
	;; [unrolled: 1-line block ×5, first 2 shown]
	s_waitcnt vmcnt(57) lgkmcnt(0)
	v_mul_f64 v[132:133], v[5:6], v[39:40]
	v_mul_f64 v[39:40], v[7:8], v[39:40]
	s_waitcnt vmcnt(56)
	v_fma_f64 v[35:36], v[9:10], v[23:24], -v[35:36]
	ds_read_b128 v[1:4], v61 offset:1616
	v_fma_f64 v[23:24], v[11:12], v[23:24], v[29:30]
	v_add_f64 v[13:14], v[13:14], v[31:32]
	v_add_f64 v[15:16], v[15:16], v[27:28]
	s_clause 0x2
	buffer_load_dword v38, off, s[0:3], 0 offset:844
	buffer_load_dword v28, off, s[0:3], 0 offset:820
	buffer_load_dword v27, off, s[0:3], 0 offset:816
	ds_read_b128 v[9:12], v61 offset:1632
	s_waitcnt vmcnt(58) lgkmcnt(1)
	v_mul_f64 v[31:32], v[3:4], v[43:44]
	s_waitcnt vmcnt(56)
	v_fma_f64 v[39:40], v[5:6], v[45:46], -v[39:40]
	v_mul_f64 v[29:30], v[1:2], v[43:44]
	v_add_f64 v[13:14], v[13:14], v[35:36]
	v_fma_f64 v[35:36], v[7:8], v[45:46], v[132:133]
	v_add_f64 v[15:16], v[15:16], v[23:24]
	s_clause 0x4
	buffer_load_dword v24, off, s[0:3], 0 offset:860
	buffer_load_dword v43, off, s[0:3], 0 offset:872
	;; [unrolled: 1-line block ×5, first 2 shown]
	s_waitcnt vmcnt(57) lgkmcnt(0)
	v_mul_f64 v[132:133], v[9:10], v[47:48]
	v_mul_f64 v[46:47], v[11:12], v[47:48]
	s_waitcnt vmcnt(56)
	v_fma_f64 v[31:32], v[1:2], v[33:34], -v[31:32]
	ds_read_b128 v[5:8], v61 offset:1648
	v_fma_f64 v[29:30], v[3:4], v[33:34], v[29:30]
	s_clause 0x2
	buffer_load_dword v44, off, s[0:3], 0 offset:876
	buffer_load_dword v34, off, s[0:3], 0 offset:852
	;; [unrolled: 1-line block ×3, first 2 shown]
	ds_read_b128 v[1:4], v61 offset:1664
	v_add_f64 v[13:14], v[13:14], v[39:40]
	v_add_f64 v[15:16], v[15:16], v[35:36]
	s_waitcnt vmcnt(58) lgkmcnt(1)
	v_mul_f64 v[39:40], v[7:8], v[51:52]
	s_waitcnt vmcnt(56)
	v_fma_f64 v[47:48], v[9:10], v[53:54], -v[46:47]
	v_mul_f64 v[35:36], v[5:6], v[51:52]
	v_add_f64 v[13:14], v[13:14], v[31:32]
	v_fma_f64 v[31:32], v[11:12], v[53:54], v[132:133]
	v_add_f64 v[15:16], v[15:16], v[29:30]
	s_clause 0x4
	buffer_load_dword v30, off, s[0:3], 0 offset:892
	buffer_load_dword v51, off, s[0:3], 0 offset:904
	;; [unrolled: 1-line block ×5, first 2 shown]
	s_waitcnt vmcnt(57) lgkmcnt(0)
	v_mul_f64 v[132:133], v[1:2], v[55:56]
	v_mul_f64 v[54:55], v[3:4], v[55:56]
	s_waitcnt vmcnt(56)
	v_fma_f64 v[39:40], v[5:6], v[41:42], -v[39:40]
	ds_read_b128 v[9:12], v61 offset:1680
	v_fma_f64 v[35:36], v[7:8], v[41:42], v[35:36]
	v_add_f64 v[13:14], v[13:14], v[47:48]
	v_add_f64 v[15:16], v[15:16], v[31:32]
	s_clause 0x2
	buffer_load_dword v52, off, s[0:3], 0 offset:908
	buffer_load_dword v32, off, s[0:3], 0 offset:884
	;; [unrolled: 1-line block ×3, first 2 shown]
	ds_read_b128 v[5:8], v61 offset:1696
	s_waitcnt vmcnt(58) lgkmcnt(1)
	v_mul_f64 v[47:48], v[11:12], v[57:58]
	s_waitcnt vmcnt(56)
	v_fma_f64 v[55:56], v[1:2], v[59:60], -v[54:55]
	v_mul_f64 v[41:42], v[9:10], v[57:58]
	v_add_f64 v[13:14], v[13:14], v[39:40]
	v_fma_f64 v[39:40], v[3:4], v[59:60], v[132:133]
	v_add_f64 v[15:16], v[15:16], v[35:36]
	s_clause 0x4
	buffer_load_dword v36, off, s[0:3], 0 offset:924
	buffer_load_dword v57, off, s[0:3], 0 offset:936
	;; [unrolled: 1-line block ×5, first 2 shown]
	s_waitcnt vmcnt(57) lgkmcnt(0)
	v_mul_f64 v[132:133], v[5:6], v[78:79]
	v_mul_f64 v[78:79], v[7:8], v[78:79]
	s_waitcnt vmcnt(56)
	v_fma_f64 v[47:48], v[9:10], v[49:50], -v[47:48]
	ds_read_b128 v[1:4], v61 offset:1712
	v_fma_f64 v[41:42], v[11:12], v[49:50], v[41:42]
	v_add_f64 v[13:14], v[13:14], v[55:56]
	v_add_f64 v[15:16], v[15:16], v[39:40]
	s_clause 0x2
	buffer_load_dword v58, off, s[0:3], 0 offset:940
	buffer_load_dword v40, off, s[0:3], 0 offset:916
	;; [unrolled: 1-line block ×3, first 2 shown]
	ds_read_b128 v[9:12], v61 offset:1728
	s_waitcnt vmcnt(58) lgkmcnt(1)
	v_mul_f64 v[55:56], v[3:4], v[80:81]
	s_waitcnt vmcnt(56)
	v_fma_f64 v[78:79], v[5:6], v[85:86], -v[78:79]
	v_mul_f64 v[49:50], v[1:2], v[80:81]
	v_add_f64 v[13:14], v[13:14], v[47:48]
	v_fma_f64 v[47:48], v[7:8], v[85:86], v[132:133]
	v_add_f64 v[15:16], v[15:16], v[41:42]
	s_clause 0x4
	buffer_load_dword v42, off, s[0:3], 0 offset:956
	buffer_load_dword v80, off, s[0:3], 0 offset:968
	;; [unrolled: 1-line block ×5, first 2 shown]
	ds_read_b128 v[5:8], v61 offset:1744
	s_waitcnt vmcnt(57) lgkmcnt(1)
	v_mul_f64 v[85:86], v[9:10], v[72:73]
	v_mul_f64 v[72:73], v[11:12], v[72:73]
	s_waitcnt vmcnt(56)
	v_fma_f64 v[55:56], v[1:2], v[82:83], -v[55:56]
	v_fma_f64 v[49:50], v[3:4], v[82:83], v[49:50]
	v_add_f64 v[13:14], v[13:14], v[78:79]
	v_add_f64 v[15:16], v[15:16], v[47:48]
	s_clause 0x2
	buffer_load_dword v81, off, s[0:3], 0 offset:972
	buffer_load_dword v48, off, s[0:3], 0 offset:948
	;; [unrolled: 1-line block ×3, first 2 shown]
	ds_read_b128 v[1:4], v61 offset:1760
	s_waitcnt vmcnt(58) lgkmcnt(1)
	v_mul_f64 v[82:83], v[7:8], v[128:129]
	v_mul_f64 v[78:79], v[5:6], v[128:129]
	s_waitcnt vmcnt(56)
	v_fma_f64 v[72:73], v[9:10], v[66:67], -v[72:73]
	v_add_f64 v[13:14], v[13:14], v[55:56]
	v_fma_f64 v[55:56], v[11:12], v[66:67], v[85:86]
	v_add_f64 v[15:16], v[15:16], v[49:50]
	s_clause 0x4
	buffer_load_dword v50, off, s[0:3], 0 offset:988
	buffer_load_dword v66, off, s[0:3], 0 offset:1000
	;; [unrolled: 1-line block ×5, first 2 shown]
	ds_read_b128 v[9:12], v61 offset:1776
	s_waitcnt vmcnt(57) lgkmcnt(1)
	v_mul_f64 v[128:129], v[1:2], v[25:26]
	v_mul_f64 v[25:26], v[3:4], v[25:26]
	s_waitcnt vmcnt(56)
	v_fma_f64 v[82:83], v[5:6], v[130:131], -v[82:83]
	v_add_f64 v[13:14], v[13:14], v[72:73]
	v_fma_f64 v[72:73], v[7:8], v[130:131], v[78:79]
	v_add_f64 v[15:16], v[15:16], v[55:56]
	s_clause 0x2
	buffer_load_dword v67, off, s[0:3], 0 offset:1004
	buffer_load_dword v56, off, s[0:3], 0 offset:980
	;; [unrolled: 1-line block ×3, first 2 shown]
	ds_read_b128 v[5:8], v61 offset:1792
	s_waitcnt vmcnt(58) lgkmcnt(1)
	v_mul_f64 v[78:79], v[9:10], v[74:75]
	v_mul_f64 v[74:75], v[11:12], v[74:75]
	s_waitcnt vmcnt(56)
	v_fma_f64 v[25:26], v[1:2], v[19:20], -v[25:26]
	v_fma_f64 v[19:20], v[3:4], v[19:20], v[128:129]
	v_add_f64 v[13:14], v[13:14], v[82:83]
	v_add_f64 v[15:16], v[15:16], v[72:73]
	s_clause 0x4
	buffer_load_dword v73, off, s[0:3], 0 offset:1020
	buffer_load_dword v82, off, s[0:3], 0 offset:1032
	;; [unrolled: 1-line block ×5, first 2 shown]
	ds_read_b128 v[1:4], v61 offset:1808
	s_waitcnt vmcnt(57) lgkmcnt(1)
	v_mul_f64 v[129:130], v[5:6], v[62:63]
	v_mul_f64 v[62:63], v[7:8], v[62:63]
	s_waitcnt vmcnt(56)
	v_fma_f64 v[74:75], v[9:10], v[126:127], -v[74:75]
	v_add_f64 v[13:14], v[13:14], v[25:26]
	v_fma_f64 v[25:26], v[11:12], v[126:127], v[78:79]
	v_add_f64 v[15:16], v[15:16], v[19:20]
	s_clause 0x2
	buffer_load_dword v83, off, s[0:3], 0 offset:1036
	buffer_load_dword v20, off, s[0:3], 0 offset:1012
	;; [unrolled: 1-line block ×3, first 2 shown]
	ds_read_b128 v[9:12], v61 offset:1824
	s_waitcnt vmcnt(58) lgkmcnt(1)
	v_mul_f64 v[78:79], v[1:2], v[64:65]
	v_mul_f64 v[64:65], v[3:4], v[64:65]
	s_waitcnt vmcnt(56)
	v_fma_f64 v[62:63], v[5:6], v[21:22], -v[62:63]
	v_fma_f64 v[21:22], v[7:8], v[21:22], v[129:130]
	buffer_load_dword v129, off, s[0:3], 0 offset:1028
	ds_read_b128 v[5:8], v61 offset:1840
	v_add_f64 v[13:14], v[13:14], v[74:75]
	v_add_f64 v[15:16], v[15:16], v[25:26]
	s_waitcnt vmcnt(53) lgkmcnt(1)
	v_mul_f64 v[25:26], v[9:10], v[17:18]
	v_mul_f64 v[17:18], v[11:12], v[17:18]
	s_waitcnt vmcnt(52)
	v_fma_f64 v[64:65], v[1:2], v[76:77], -v[64:65]
	v_add_f64 v[13:14], v[13:14], v[62:63]
	v_fma_f64 v[62:63], v[3:4], v[76:77], v[78:79]
	v_add_f64 v[15:16], v[15:16], v[21:22]
	ds_read_b128 v[1:4], v61 offset:1856
	s_waitcnt vmcnt(51) lgkmcnt(1)
	v_mul_f64 v[21:22], v[5:6], v[37:38]
	v_mul_f64 v[37:38], v[7:8], v[37:38]
	s_waitcnt vmcnt(49)
	v_fma_f64 v[17:18], v[9:10], v[27:28], -v[17:18]
	v_fma_f64 v[25:26], v[11:12], v[27:28], v[25:26]
	v_add_f64 v[13:14], v[13:14], v[64:65]
	v_add_f64 v[15:16], v[15:16], v[62:63]
	s_clause 0x3
	buffer_load_dword v27, off, s[0:3], 0 offset:432
	buffer_load_dword v28, off, s[0:3], 0 offset:436
	;; [unrolled: 1-line block ×4, first 2 shown]
	ds_read_b128 v[9:12], v61 offset:1872
	s_waitcnt vmcnt(49) lgkmcnt(1)
	v_mul_f64 v[64:65], v[1:2], v[23:24]
	v_mul_f64 v[23:24], v[3:4], v[23:24]
	s_waitcnt vmcnt(48)
	v_fma_f64 v[37:38], v[5:6], v[70:71], -v[37:38]
	v_add_f64 v[13:14], v[13:14], v[17:18]
	v_fma_f64 v[17:18], v[7:8], v[70:71], v[21:22]
	v_add_f64 v[15:16], v[15:16], v[25:26]
	ds_read_b128 v[5:8], v61 offset:1888
	s_waitcnt vmcnt(47) lgkmcnt(1)
	v_mul_f64 v[25:26], v[11:12], v[43:44]
	v_mul_f64 v[21:22], v[9:10], v[43:44]
	s_waitcnt vmcnt(45)
	v_fma_f64 v[23:24], v[1:2], v[33:34], -v[23:24]
	v_fma_f64 v[33:34], v[3:4], v[33:34], v[64:65]
	ds_read_b128 v[1:4], v61 offset:1904
	v_add_f64 v[13:14], v[13:14], v[37:38]
	v_add_f64 v[15:16], v[15:16], v[17:18]
	s_waitcnt vmcnt(41) lgkmcnt(1)
	v_mul_f64 v[17:18], v[5:6], v[29:30]
	v_mul_f64 v[29:30], v[7:8], v[29:30]
	s_waitcnt vmcnt(40)
	v_fma_f64 v[25:26], v[9:10], v[45:46], -v[25:26]
	v_fma_f64 v[21:22], v[11:12], v[45:46], v[21:22]
	ds_read_b128 v[9:12], v61 offset:1920
	v_add_f64 v[13:14], v[13:14], v[23:24]
	v_add_f64 v[15:16], v[15:16], v[33:34]
	;; [unrolled: 9-line block ×3, first 2 shown]
	s_waitcnt vmcnt(33) lgkmcnt(1)
	v_mul_f64 v[25:26], v[11:12], v[35:36]
	s_waitcnt vmcnt(32)
	v_fma_f64 v[31:32], v[1:2], v[53:54], -v[33:34]
	v_mul_f64 v[21:22], v[9:10], v[35:36]
	v_fma_f64 v[23:24], v[3:4], v[53:54], v[23:24]
	ds_read_b128 v[1:4], v61 offset:1952
	v_add_f64 v[13:14], v[13:14], v[29:30]
	v_add_f64 v[15:16], v[15:16], v[17:18]
	s_waitcnt vmcnt(31) lgkmcnt(1)
	v_mul_f64 v[29:30], v[7:8], v[57:58]
	v_mul_f64 v[17:18], v[5:6], v[57:58]
	s_waitcnt vmcnt(29)
	v_fma_f64 v[25:26], v[9:10], v[39:40], -v[25:26]
	v_fma_f64 v[21:22], v[11:12], v[39:40], v[21:22]
	ds_read_b128 v[9:12], v61 offset:1968
	v_add_f64 v[13:14], v[13:14], v[31:32]
	v_add_f64 v[15:16], v[15:16], v[23:24]
	s_waitcnt vmcnt(25) lgkmcnt(1)
	v_mul_f64 v[31:32], v[3:4], v[41:42]
	s_waitcnt vmcnt(24)
	v_fma_f64 v[29:30], v[5:6], v[59:60], -v[29:30]
	v_mul_f64 v[23:24], v[1:2], v[41:42]
	v_fma_f64 v[17:18], v[7:8], v[59:60], v[17:18]
	ds_read_b128 v[5:8], v61 offset:1984
	v_add_f64 v[13:14], v[13:14], v[25:26]
	v_add_f64 v[15:16], v[15:16], v[21:22]
	s_waitcnt vmcnt(23) lgkmcnt(1)
	v_mul_f64 v[25:26], v[11:12], v[80:81]
	v_mul_f64 v[21:22], v[9:10], v[80:81]
	s_waitcnt vmcnt(21)
	v_fma_f64 v[31:32], v[1:2], v[47:48], -v[31:32]
	v_fma_f64 v[23:24], v[3:4], v[47:48], v[23:24]
	ds_read_b128 v[1:4], v61 offset:2000
	v_add_f64 v[13:14], v[13:14], v[29:30]
	v_add_f64 v[15:16], v[15:16], v[17:18]
	;; [unrolled: 18-line block ×3, first 2 shown]
	s_waitcnt vmcnt(9) lgkmcnt(1)
	v_mul_f64 v[25:26], v[11:12], v[72:73]
	s_waitcnt vmcnt(8)
	v_fma_f64 v[1:2], v[1:2], v[86:87], -v[31:32]
	v_mul_f64 v[21:22], v[9:10], v[72:73]
	v_fma_f64 v[3:4], v[3:4], v[86:87], v[23:24]
	v_add_f64 v[13:14], v[13:14], v[29:30]
	v_add_f64 v[15:16], v[15:16], v[17:18]
	s_waitcnt vmcnt(7) lgkmcnt(0)
	v_mul_f64 v[23:24], v[7:8], v[82:83]
	v_mul_f64 v[17:18], v[5:6], v[82:83]
	s_waitcnt vmcnt(5)
	v_fma_f64 v[9:10], v[9:10], v[19:20], -v[25:26]
	v_fma_f64 v[11:12], v[11:12], v[19:20], v[21:22]
	v_add_f64 v[1:2], v[13:14], v[1:2]
	v_add_f64 v[3:4], v[15:16], v[3:4]
	s_waitcnt vmcnt(4)
	v_fma_f64 v[5:6], v[5:6], v[128:129], -v[23:24]
	v_fma_f64 v[7:8], v[7:8], v[128:129], v[17:18]
	v_add_f64 v[1:2], v[1:2], v[9:10]
	v_add_f64 v[3:4], v[3:4], v[11:12]
	;; [unrolled: 1-line block ×4, first 2 shown]
	s_waitcnt vmcnt(2)
	v_add_f64 v[1:2], v[27:28], -v[1:2]
	s_waitcnt vmcnt(0)
	v_add_f64 v[3:4], v[62:63], -v[3:4]
	buffer_store_dword v2, off, s[0:3], 0 offset:436
	buffer_store_dword v1, off, s[0:3], 0 offset:432
	;; [unrolled: 1-line block ×4, first 2 shown]
	v_cmpx_lt_u32_e32 25, v0
	s_cbranch_execz .LBB63_359
; %bb.358:
	v_mov_b32_e32 v4, s53
	s_clause 0x3
	buffer_load_dword v1, v4, s[0:3], 0 offen
	buffer_load_dword v2, v4, s[0:3], 0 offen offset:4
	buffer_load_dword v3, v4, s[0:3], 0 offen offset:8
	;; [unrolled: 1-line block ×3, first 2 shown]
	buffer_store_dword v61, off, s[0:3], 0 offset:416
	buffer_store_dword v61, off, s[0:3], 0 offset:420
	;; [unrolled: 1-line block ×4, first 2 shown]
	s_waitcnt vmcnt(0)
	ds_write_b128 v69, v[1:4]
.LBB63_359:
	s_or_b32 exec_lo, exec_lo, s4
	s_waitcnt lgkmcnt(0)
	s_waitcnt_vscnt null, 0x0
	s_barrier
	buffer_gl0_inv
	s_clause 0x37
	buffer_load_dword v9, off, s[0:3], 0 offset:440
	buffer_load_dword v10, off, s[0:3], 0 offset:444
	;; [unrolled: 1-line block ×56, first 2 shown]
	ds_read_b128 v[62:65], v61 offset:1440
	s_clause 0x2
	buffer_load_dword v58, off, s[0:3], 0 offset:668
	buffer_load_dword v60, off, s[0:3], 0 offset:644
	buffer_load_dword v59, off, s[0:3], 0 offset:640
	ds_read_b128 v[70:73], v61 offset:1456
	s_clause 0x4
	buffer_load_dword v79, off, s[0:3], 0 offset:684
	buffer_load_dword v80, off, s[0:3], 0 offset:696
	;; [unrolled: 1-line block ×5, first 2 shown]
	ds_read_b128 v[74:77], v61 offset:1472
	s_clause 0x2
	buffer_load_dword v81, off, s[0:3], 0 offset:700
	buffer_load_dword v86, off, s[0:3], 0 offset:676
	;; [unrolled: 1-line block ×3, first 2 shown]
	s_mov_b32 s4, exec_lo
	s_waitcnt vmcnt(62) lgkmcnt(2)
	v_mul_f64 v[66:67], v[64:65], v[9:10]
	v_mul_f64 v[9:10], v[62:63], v[9:10]
	s_waitcnt lgkmcnt(1)
	v_mul_f64 v[83:84], v[72:73], v[5:6]
	s_waitcnt vmcnt(59) lgkmcnt(0)
	v_mul_f64 v[126:127], v[76:77], v[3:4]
	v_fma_f64 v[62:63], v[62:63], v[7:8], -v[66:67]
	v_mul_f64 v[66:67], v[70:71], v[5:6]
	v_fma_f64 v[9:10], v[64:65], v[7:8], v[9:10]
	s_waitcnt vmcnt(57)
	v_fma_f64 v[70:71], v[70:71], v[1:2], -v[83:84]
	ds_read_b128 v[5:8], v61 offset:1488
	v_mul_f64 v[64:65], v[74:75], v[3:4]
	s_waitcnt vmcnt(51)
	v_fma_f64 v[74:75], v[74:75], v[25:26], -v[126:127]
	v_add_f64 v[62:63], v[62:63], 0
	v_fma_f64 v[66:67], v[72:73], v[1:2], v[66:67]
	v_add_f64 v[9:10], v[9:10], 0
	s_clause 0x4
	buffer_load_dword v73, off, s[0:3], 0 offset:716
	buffer_load_dword v128, off, s[0:3], 0 offset:728
	;; [unrolled: 1-line block ×5, first 2 shown]
	s_waitcnt lgkmcnt(0)
	v_mul_f64 v[131:132], v[5:6], v[13:14]
	v_mul_f64 v[13:14], v[7:8], v[13:14]
	ds_read_b128 v[1:4], v61 offset:1504
	v_fma_f64 v[25:26], v[76:77], v[25:26], v[64:65]
	v_add_f64 v[70:71], v[62:63], v[70:71]
	v_add_f64 v[9:10], v[9:10], v[66:67]
	s_clause 0x2
	buffer_load_dword v129, off, s[0:3], 0 offset:732
	buffer_load_dword v67, off, s[0:3], 0 offset:708
	;; [unrolled: 1-line block ×3, first 2 shown]
	s_waitcnt vmcnt(58) lgkmcnt(0)
	v_mul_f64 v[76:77], v[1:2], v[17:18]
	v_mul_f64 v[17:18], v[3:4], v[17:18]
	s_waitcnt vmcnt(56)
	v_fma_f64 v[13:14], v[5:6], v[19:20], -v[13:14]
	ds_read_b128 v[62:65], v61 offset:1520
	v_fma_f64 v[19:20], v[7:8], v[19:20], v[131:132]
	v_add_f64 v[70:71], v[70:71], v[74:75]
	v_add_f64 v[9:10], v[9:10], v[25:26]
	s_clause 0x4
	buffer_load_dword v26, off, s[0:3], 0 offset:748
	buffer_load_dword v74, off, s[0:3], 0 offset:760
	;; [unrolled: 1-line block ×5, first 2 shown]
	ds_read_b128 v[5:8], v61 offset:1536
	s_waitcnt vmcnt(57) lgkmcnt(1)
	v_mul_f64 v[132:133], v[62:63], v[21:22]
	v_mul_f64 v[21:22], v[64:65], v[21:22]
	s_waitcnt vmcnt(56)
	v_fma_f64 v[17:18], v[1:2], v[11:12], -v[17:18]
	v_fma_f64 v[11:12], v[3:4], v[11:12], v[76:77]
	v_add_f64 v[13:14], v[70:71], v[13:14]
	v_add_f64 v[9:10], v[9:10], v[19:20]
	s_clause 0x2
	buffer_load_dword v75, off, s[0:3], 0 offset:764
	buffer_load_dword v20, off, s[0:3], 0 offset:740
	;; [unrolled: 1-line block ×3, first 2 shown]
	s_waitcnt vmcnt(58) lgkmcnt(0)
	v_mul_f64 v[70:71], v[5:6], v[27:28]
	v_mul_f64 v[27:28], v[7:8], v[27:28]
	s_waitcnt vmcnt(56)
	v_fma_f64 v[21:22], v[62:63], v[29:30], -v[21:22]
	ds_read_b128 v[1:4], v61 offset:1552
	v_add_f64 v[13:14], v[13:14], v[17:18]
	v_fma_f64 v[17:18], v[64:65], v[29:30], v[132:133]
	v_add_f64 v[29:30], v[9:10], v[11:12]
	s_clause 0x4
	buffer_load_dword v63, off, s[0:3], 0 offset:780
	buffer_load_dword v64, off, s[0:3], 0 offset:792
	;; [unrolled: 1-line block ×5, first 2 shown]
	ds_read_b128 v[9:12], v61 offset:1568
	s_waitcnt vmcnt(57) lgkmcnt(1)
	v_mul_f64 v[132:133], v[1:2], v[31:32]
	v_mul_f64 v[31:32], v[3:4], v[31:32]
	s_waitcnt vmcnt(56)
	v_fma_f64 v[27:28], v[5:6], v[15:16], -v[27:28]
	v_fma_f64 v[15:16], v[7:8], v[15:16], v[70:71]
	v_add_f64 v[13:14], v[13:14], v[21:22]
	s_clause 0x2
	buffer_load_dword v65, off, s[0:3], 0 offset:796
	buffer_load_dword v22, off, s[0:3], 0 offset:772
	;; [unrolled: 1-line block ×3, first 2 shown]
	v_add_f64 v[17:18], v[29:30], v[17:18]
	s_waitcnt vmcnt(58) lgkmcnt(0)
	v_mul_f64 v[29:30], v[9:10], v[35:36]
	v_mul_f64 v[35:36], v[11:12], v[35:36]
	ds_read_b128 v[5:8], v61 offset:1584
	s_waitcnt vmcnt(56)
	v_fma_f64 v[31:32], v[1:2], v[37:38], -v[31:32]
	v_add_f64 v[13:14], v[13:14], v[27:28]
	v_fma_f64 v[27:28], v[3:4], v[37:38], v[132:133]
	v_add_f64 v[15:16], v[17:18], v[15:16]
	s_clause 0x4
	buffer_load_dword v18, off, s[0:3], 0 offset:812
	buffer_load_dword v37, off, s[0:3], 0 offset:824
	buffer_load_dword v70, off, s[0:3], 0 offset:816
	buffer_load_dword v17, off, s[0:3], 0 offset:808
	buffer_load_dword v77, off, s[0:3], 0 offset:788
	s_waitcnt vmcnt(57) lgkmcnt(0)
	v_mul_f64 v[132:133], v[5:6], v[39:40]
	v_mul_f64 v[39:40], v[7:8], v[39:40]
	s_waitcnt vmcnt(56)
	v_fma_f64 v[35:36], v[9:10], v[23:24], -v[35:36]
	ds_read_b128 v[1:4], v61 offset:1600
	v_fma_f64 v[23:24], v[11:12], v[23:24], v[29:30]
	v_add_f64 v[13:14], v[13:14], v[31:32]
	v_add_f64 v[15:16], v[15:16], v[27:28]
	s_clause 0x2
	buffer_load_dword v38, off, s[0:3], 0 offset:828
	buffer_load_dword v28, off, s[0:3], 0 offset:804
	;; [unrolled: 1-line block ×3, first 2 shown]
	ds_read_b128 v[9:12], v61 offset:1616
	s_waitcnt vmcnt(58) lgkmcnt(1)
	v_mul_f64 v[31:32], v[3:4], v[43:44]
	s_waitcnt vmcnt(56)
	v_fma_f64 v[39:40], v[5:6], v[45:46], -v[39:40]
	v_mul_f64 v[29:30], v[1:2], v[43:44]
	v_add_f64 v[13:14], v[13:14], v[35:36]
	v_fma_f64 v[35:36], v[7:8], v[45:46], v[132:133]
	v_add_f64 v[15:16], v[15:16], v[23:24]
	s_clause 0x4
	buffer_load_dword v24, off, s[0:3], 0 offset:844
	buffer_load_dword v43, off, s[0:3], 0 offset:856
	;; [unrolled: 1-line block ×5, first 2 shown]
	s_waitcnt vmcnt(57) lgkmcnt(0)
	v_mul_f64 v[132:133], v[9:10], v[47:48]
	v_mul_f64 v[46:47], v[11:12], v[47:48]
	s_waitcnt vmcnt(56)
	v_fma_f64 v[31:32], v[1:2], v[33:34], -v[31:32]
	ds_read_b128 v[5:8], v61 offset:1632
	v_fma_f64 v[29:30], v[3:4], v[33:34], v[29:30]
	s_clause 0x2
	buffer_load_dword v44, off, s[0:3], 0 offset:860
	buffer_load_dword v34, off, s[0:3], 0 offset:836
	;; [unrolled: 1-line block ×3, first 2 shown]
	ds_read_b128 v[1:4], v61 offset:1648
	v_add_f64 v[13:14], v[13:14], v[39:40]
	v_add_f64 v[15:16], v[15:16], v[35:36]
	s_waitcnt vmcnt(58) lgkmcnt(1)
	v_mul_f64 v[39:40], v[7:8], v[51:52]
	s_waitcnt vmcnt(56)
	v_fma_f64 v[47:48], v[9:10], v[53:54], -v[46:47]
	v_mul_f64 v[35:36], v[5:6], v[51:52]
	v_add_f64 v[13:14], v[13:14], v[31:32]
	v_fma_f64 v[31:32], v[11:12], v[53:54], v[132:133]
	v_add_f64 v[15:16], v[15:16], v[29:30]
	s_clause 0x4
	buffer_load_dword v30, off, s[0:3], 0 offset:876
	buffer_load_dword v51, off, s[0:3], 0 offset:888
	;; [unrolled: 1-line block ×5, first 2 shown]
	s_waitcnt vmcnt(57) lgkmcnt(0)
	v_mul_f64 v[132:133], v[1:2], v[55:56]
	v_mul_f64 v[54:55], v[3:4], v[55:56]
	s_waitcnt vmcnt(56)
	v_fma_f64 v[39:40], v[5:6], v[41:42], -v[39:40]
	ds_read_b128 v[9:12], v61 offset:1664
	v_fma_f64 v[35:36], v[7:8], v[41:42], v[35:36]
	v_add_f64 v[13:14], v[13:14], v[47:48]
	v_add_f64 v[15:16], v[15:16], v[31:32]
	s_clause 0x2
	buffer_load_dword v52, off, s[0:3], 0 offset:892
	buffer_load_dword v32, off, s[0:3], 0 offset:868
	;; [unrolled: 1-line block ×3, first 2 shown]
	ds_read_b128 v[5:8], v61 offset:1680
	s_waitcnt vmcnt(58) lgkmcnt(1)
	v_mul_f64 v[47:48], v[11:12], v[57:58]
	s_waitcnt vmcnt(56)
	v_fma_f64 v[55:56], v[1:2], v[59:60], -v[54:55]
	v_mul_f64 v[41:42], v[9:10], v[57:58]
	v_add_f64 v[13:14], v[13:14], v[39:40]
	v_fma_f64 v[39:40], v[3:4], v[59:60], v[132:133]
	v_add_f64 v[15:16], v[15:16], v[35:36]
	s_clause 0x4
	buffer_load_dword v36, off, s[0:3], 0 offset:908
	buffer_load_dword v57, off, s[0:3], 0 offset:920
	;; [unrolled: 1-line block ×5, first 2 shown]
	s_waitcnt vmcnt(57) lgkmcnt(0)
	v_mul_f64 v[132:133], v[5:6], v[78:79]
	v_mul_f64 v[78:79], v[7:8], v[78:79]
	s_waitcnt vmcnt(56)
	v_fma_f64 v[47:48], v[9:10], v[49:50], -v[47:48]
	ds_read_b128 v[1:4], v61 offset:1696
	v_fma_f64 v[41:42], v[11:12], v[49:50], v[41:42]
	v_add_f64 v[13:14], v[13:14], v[55:56]
	v_add_f64 v[15:16], v[15:16], v[39:40]
	s_clause 0x2
	buffer_load_dword v58, off, s[0:3], 0 offset:924
	buffer_load_dword v40, off, s[0:3], 0 offset:900
	;; [unrolled: 1-line block ×3, first 2 shown]
	ds_read_b128 v[9:12], v61 offset:1712
	s_waitcnt vmcnt(58) lgkmcnt(1)
	v_mul_f64 v[55:56], v[3:4], v[80:81]
	s_waitcnt vmcnt(56)
	v_fma_f64 v[78:79], v[5:6], v[85:86], -v[78:79]
	v_mul_f64 v[49:50], v[1:2], v[80:81]
	v_add_f64 v[13:14], v[13:14], v[47:48]
	v_fma_f64 v[47:48], v[7:8], v[85:86], v[132:133]
	v_add_f64 v[15:16], v[15:16], v[41:42]
	s_clause 0x4
	buffer_load_dword v42, off, s[0:3], 0 offset:940
	buffer_load_dword v80, off, s[0:3], 0 offset:952
	;; [unrolled: 1-line block ×5, first 2 shown]
	ds_read_b128 v[5:8], v61 offset:1728
	s_waitcnt vmcnt(57) lgkmcnt(1)
	v_mul_f64 v[85:86], v[9:10], v[72:73]
	v_mul_f64 v[72:73], v[11:12], v[72:73]
	s_waitcnt vmcnt(56)
	v_fma_f64 v[55:56], v[1:2], v[82:83], -v[55:56]
	v_fma_f64 v[49:50], v[3:4], v[82:83], v[49:50]
	v_add_f64 v[13:14], v[13:14], v[78:79]
	v_add_f64 v[15:16], v[15:16], v[47:48]
	s_clause 0x2
	buffer_load_dword v81, off, s[0:3], 0 offset:956
	buffer_load_dword v48, off, s[0:3], 0 offset:932
	;; [unrolled: 1-line block ×3, first 2 shown]
	ds_read_b128 v[1:4], v61 offset:1744
	s_waitcnt vmcnt(58) lgkmcnt(1)
	v_mul_f64 v[82:83], v[7:8], v[128:129]
	v_mul_f64 v[78:79], v[5:6], v[128:129]
	s_waitcnt vmcnt(56)
	v_fma_f64 v[72:73], v[9:10], v[66:67], -v[72:73]
	v_add_f64 v[13:14], v[13:14], v[55:56]
	v_fma_f64 v[55:56], v[11:12], v[66:67], v[85:86]
	v_add_f64 v[15:16], v[15:16], v[49:50]
	s_clause 0x4
	buffer_load_dword v50, off, s[0:3], 0 offset:972
	buffer_load_dword v66, off, s[0:3], 0 offset:984
	;; [unrolled: 1-line block ×5, first 2 shown]
	ds_read_b128 v[9:12], v61 offset:1760
	s_waitcnt vmcnt(57) lgkmcnt(1)
	v_mul_f64 v[128:129], v[1:2], v[25:26]
	v_mul_f64 v[25:26], v[3:4], v[25:26]
	s_waitcnt vmcnt(56)
	v_fma_f64 v[82:83], v[5:6], v[130:131], -v[82:83]
	v_add_f64 v[13:14], v[13:14], v[72:73]
	v_fma_f64 v[72:73], v[7:8], v[130:131], v[78:79]
	v_add_f64 v[15:16], v[15:16], v[55:56]
	s_clause 0x2
	buffer_load_dword v67, off, s[0:3], 0 offset:988
	buffer_load_dword v56, off, s[0:3], 0 offset:964
	;; [unrolled: 1-line block ×3, first 2 shown]
	ds_read_b128 v[5:8], v61 offset:1776
	s_waitcnt vmcnt(58) lgkmcnt(1)
	v_mul_f64 v[78:79], v[9:10], v[74:75]
	v_mul_f64 v[74:75], v[11:12], v[74:75]
	s_waitcnt vmcnt(56)
	v_fma_f64 v[25:26], v[1:2], v[19:20], -v[25:26]
	v_fma_f64 v[19:20], v[3:4], v[19:20], v[128:129]
	v_add_f64 v[13:14], v[13:14], v[82:83]
	v_add_f64 v[15:16], v[15:16], v[72:73]
	s_clause 0x4
	buffer_load_dword v73, off, s[0:3], 0 offset:1004
	buffer_load_dword v82, off, s[0:3], 0 offset:1016
	;; [unrolled: 1-line block ×5, first 2 shown]
	ds_read_b128 v[1:4], v61 offset:1792
	s_waitcnt vmcnt(57) lgkmcnt(1)
	v_mul_f64 v[129:130], v[5:6], v[62:63]
	v_mul_f64 v[62:63], v[7:8], v[62:63]
	s_waitcnt vmcnt(56)
	v_fma_f64 v[74:75], v[9:10], v[126:127], -v[74:75]
	v_add_f64 v[13:14], v[13:14], v[25:26]
	v_fma_f64 v[25:26], v[11:12], v[126:127], v[78:79]
	v_add_f64 v[15:16], v[15:16], v[19:20]
	s_clause 0x2
	buffer_load_dword v83, off, s[0:3], 0 offset:1020
	buffer_load_dword v20, off, s[0:3], 0 offset:996
	;; [unrolled: 1-line block ×3, first 2 shown]
	ds_read_b128 v[9:12], v61 offset:1808
	s_waitcnt vmcnt(58) lgkmcnt(1)
	v_mul_f64 v[78:79], v[1:2], v[64:65]
	v_mul_f64 v[64:65], v[3:4], v[64:65]
	s_waitcnt vmcnt(56)
	v_fma_f64 v[62:63], v[5:6], v[21:22], -v[62:63]
	v_fma_f64 v[21:22], v[7:8], v[21:22], v[129:130]
	v_add_f64 v[13:14], v[13:14], v[74:75]
	v_add_f64 v[15:16], v[15:16], v[25:26]
	s_clause 0x2
	buffer_load_dword v26, off, s[0:3], 0 offset:1036
	buffer_load_dword v25, off, s[0:3], 0 offset:1032
	buffer_load_dword v129, off, s[0:3], 0 offset:1012
	ds_read_b128 v[5:8], v61 offset:1824
	s_waitcnt vmcnt(55) lgkmcnt(1)
	v_mul_f64 v[74:75], v[9:10], v[17:18]
	v_mul_f64 v[17:18], v[11:12], v[17:18]
	s_waitcnt vmcnt(54)
	v_fma_f64 v[64:65], v[1:2], v[76:77], -v[64:65]
	v_add_f64 v[13:14], v[13:14], v[62:63]
	v_fma_f64 v[62:63], v[3:4], v[76:77], v[78:79]
	v_add_f64 v[15:16], v[15:16], v[21:22]
	s_clause 0x1
	buffer_load_dword v22, off, s[0:3], 0 offset:1028
	buffer_load_dword v21, off, s[0:3], 0 offset:1024
	ds_read_b128 v[1:4], v61 offset:1840
	s_waitcnt vmcnt(55) lgkmcnt(1)
	v_mul_f64 v[76:77], v[5:6], v[37:38]
	v_mul_f64 v[37:38], v[7:8], v[37:38]
	s_waitcnt vmcnt(53)
	v_fma_f64 v[17:18], v[9:10], v[27:28], -v[17:18]
	v_fma_f64 v[27:28], v[11:12], v[27:28], v[74:75]
	ds_read_b128 v[9:12], v61 offset:1856
	v_add_f64 v[13:14], v[13:14], v[64:65]
	v_add_f64 v[15:16], v[15:16], v[62:63]
	s_waitcnt vmcnt(49) lgkmcnt(1)
	v_mul_f64 v[62:63], v[1:2], v[23:24]
	v_mul_f64 v[23:24], v[3:4], v[23:24]
	s_waitcnt vmcnt(48)
	v_fma_f64 v[37:38], v[5:6], v[70:71], -v[37:38]
	v_add_f64 v[13:14], v[13:14], v[17:18]
	v_fma_f64 v[17:18], v[7:8], v[70:71], v[76:77]
	v_add_f64 v[15:16], v[15:16], v[27:28]
	s_clause 0x3
	buffer_load_dword v27, off, s[0:3], 0 offset:416
	buffer_load_dword v28, off, s[0:3], 0 offset:420
	;; [unrolled: 1-line block ×4, first 2 shown]
	s_waitcnt vmcnt(51) lgkmcnt(0)
	v_mul_f64 v[70:71], v[9:10], v[43:44]
	v_mul_f64 v[43:44], v[11:12], v[43:44]
	ds_read_b128 v[5:8], v61 offset:1872
	s_waitcnt vmcnt(49)
	v_fma_f64 v[23:24], v[1:2], v[33:34], -v[23:24]
	v_fma_f64 v[33:34], v[3:4], v[33:34], v[62:63]
	ds_read_b128 v[1:4], v61 offset:1888
	v_add_f64 v[13:14], v[13:14], v[37:38]
	v_add_f64 v[15:16], v[15:16], v[17:18]
	s_waitcnt vmcnt(45) lgkmcnt(1)
	v_mul_f64 v[17:18], v[5:6], v[29:30]
	v_mul_f64 v[29:30], v[7:8], v[29:30]
	s_waitcnt vmcnt(44)
	v_fma_f64 v[37:38], v[9:10], v[45:46], -v[43:44]
	v_add_f64 v[13:14], v[13:14], v[23:24]
	v_fma_f64 v[23:24], v[11:12], v[45:46], v[70:71]
	v_add_f64 v[15:16], v[15:16], v[33:34]
	ds_read_b128 v[9:12], v61 offset:1904
	s_waitcnt vmcnt(43) lgkmcnt(1)
	v_mul_f64 v[43:44], v[3:4], v[51:52]
	v_mul_f64 v[33:34], v[1:2], v[51:52]
	s_waitcnt vmcnt(41)
	v_fma_f64 v[29:30], v[5:6], v[31:32], -v[29:30]
	v_fma_f64 v[17:18], v[7:8], v[31:32], v[17:18]
	ds_read_b128 v[5:8], v61 offset:1920
	v_add_f64 v[13:14], v[13:14], v[37:38]
	v_add_f64 v[15:16], v[15:16], v[23:24]
	s_waitcnt vmcnt(37) lgkmcnt(1)
	v_mul_f64 v[23:24], v[9:10], v[35:36]
	v_mul_f64 v[31:32], v[11:12], v[35:36]
	s_waitcnt vmcnt(36)
	v_fma_f64 v[35:36], v[1:2], v[53:54], -v[43:44]
	v_add_f64 v[13:14], v[13:14], v[29:30]
	v_fma_f64 v[29:30], v[3:4], v[53:54], v[33:34]
	v_add_f64 v[15:16], v[15:16], v[17:18]
	ds_read_b128 v[1:4], v61 offset:1936
	s_waitcnt vmcnt(35) lgkmcnt(1)
	v_mul_f64 v[33:34], v[7:8], v[57:58]
	v_mul_f64 v[17:18], v[5:6], v[57:58]
	s_waitcnt vmcnt(33)
	v_fma_f64 v[31:32], v[9:10], v[39:40], -v[31:32]
	v_fma_f64 v[23:24], v[11:12], v[39:40], v[23:24]
	ds_read_b128 v[9:12], v61 offset:1952
	v_add_f64 v[13:14], v[13:14], v[35:36]
	v_add_f64 v[15:16], v[15:16], v[29:30]
	s_waitcnt vmcnt(29) lgkmcnt(1)
	v_mul_f64 v[35:36], v[3:4], v[41:42]
	s_waitcnt vmcnt(28)
	v_fma_f64 v[33:34], v[5:6], v[59:60], -v[33:34]
	v_mul_f64 v[29:30], v[1:2], v[41:42]
	v_fma_f64 v[17:18], v[7:8], v[59:60], v[17:18]
	ds_read_b128 v[5:8], v61 offset:1968
	v_add_f64 v[13:14], v[13:14], v[31:32]
	v_add_f64 v[15:16], v[15:16], v[23:24]
	s_waitcnt vmcnt(27) lgkmcnt(1)
	v_mul_f64 v[31:32], v[11:12], v[80:81]
	v_mul_f64 v[23:24], v[9:10], v[80:81]
	s_waitcnt vmcnt(25)
	v_fma_f64 v[35:36], v[1:2], v[47:48], -v[35:36]
	v_fma_f64 v[29:30], v[3:4], v[47:48], v[29:30]
	ds_read_b128 v[1:4], v61 offset:1984
	v_add_f64 v[13:14], v[13:14], v[33:34]
	v_add_f64 v[15:16], v[15:16], v[17:18]
	s_waitcnt vmcnt(21) lgkmcnt(1)
	v_mul_f64 v[33:34], v[7:8], v[49:50]
	s_waitcnt vmcnt(20)
	v_fma_f64 v[31:32], v[9:10], v[84:85], -v[31:32]
	v_mul_f64 v[17:18], v[5:6], v[49:50]
	v_fma_f64 v[23:24], v[11:12], v[84:85], v[23:24]
	ds_read_b128 v[9:12], v61 offset:2000
	v_add_f64 v[13:14], v[13:14], v[35:36]
	v_add_f64 v[15:16], v[15:16], v[29:30]
	;; [unrolled: 18-line block ×3, first 2 shown]
	s_waitcnt vmcnt(11) lgkmcnt(1)
	v_mul_f64 v[33:34], v[7:8], v[82:83]
	v_mul_f64 v[17:18], v[5:6], v[82:83]
	s_waitcnt vmcnt(9)
	v_fma_f64 v[9:10], v[9:10], v[19:20], -v[31:32]
	v_fma_f64 v[11:12], v[11:12], v[19:20], v[23:24]
	v_add_f64 v[13:14], v[13:14], v[35:36]
	v_add_f64 v[15:16], v[15:16], v[29:30]
	s_waitcnt vmcnt(7) lgkmcnt(0)
	v_mul_f64 v[23:24], v[3:4], v[25:26]
	s_waitcnt vmcnt(6)
	v_fma_f64 v[5:6], v[5:6], v[128:129], -v[33:34]
	v_mul_f64 v[19:20], v[1:2], v[25:26]
	v_fma_f64 v[7:8], v[7:8], v[128:129], v[17:18]
	v_add_f64 v[9:10], v[13:14], v[9:10]
	v_add_f64 v[11:12], v[15:16], v[11:12]
	s_waitcnt vmcnt(4)
	v_fma_f64 v[1:2], v[1:2], v[21:22], -v[23:24]
	v_fma_f64 v[3:4], v[3:4], v[21:22], v[19:20]
	v_add_f64 v[5:6], v[9:10], v[5:6]
	v_add_f64 v[7:8], v[11:12], v[7:8]
	;; [unrolled: 1-line block ×4, first 2 shown]
	s_waitcnt vmcnt(2)
	v_add_f64 v[1:2], v[27:28], -v[1:2]
	s_waitcnt vmcnt(0)
	v_add_f64 v[3:4], v[64:65], -v[3:4]
	buffer_store_dword v2, off, s[0:3], 0 offset:420
	buffer_store_dword v1, off, s[0:3], 0 offset:416
	;; [unrolled: 1-line block ×4, first 2 shown]
	v_cmpx_lt_u32_e32 24, v0
	s_cbranch_execz .LBB63_361
; %bb.360:
	v_mov_b32_e32 v4, s54
	v_mov_b32_e32 v5, 0
	s_clause 0x3
	buffer_load_dword v1, v4, s[0:3], 0 offen
	buffer_load_dword v2, v4, s[0:3], 0 offen offset:4
	buffer_load_dword v3, v4, s[0:3], 0 offen offset:8
	;; [unrolled: 1-line block ×3, first 2 shown]
	buffer_store_dword v5, off, s[0:3], 0 offset:400
	buffer_store_dword v5, off, s[0:3], 0 offset:404
	;; [unrolled: 1-line block ×4, first 2 shown]
	s_waitcnt vmcnt(0)
	ds_write_b128 v69, v[1:4]
.LBB63_361:
	s_or_b32 exec_lo, exec_lo, s4
	s_waitcnt lgkmcnt(0)
	s_waitcnt_vscnt null, 0x0
	s_barrier
	buffer_gl0_inv
	s_clause 0x37
	buffer_load_dword v9, off, s[0:3], 0 offset:424
	buffer_load_dword v10, off, s[0:3], 0 offset:428
	;; [unrolled: 1-line block ×56, first 2 shown]
	v_mov_b32_e32 v61, 0
	s_mov_b32 s4, exec_lo
	ds_read_b128 v[62:65], v61 offset:1424
	s_clause 0x2
	buffer_load_dword v58, off, s[0:3], 0 offset:652
	buffer_load_dword v60, off, s[0:3], 0 offset:628
	;; [unrolled: 1-line block ×3, first 2 shown]
	ds_read_b128 v[70:73], v61 offset:1440
	s_clause 0x4
	buffer_load_dword v79, off, s[0:3], 0 offset:668
	buffer_load_dword v80, off, s[0:3], 0 offset:680
	;; [unrolled: 1-line block ×5, first 2 shown]
	ds_read_b128 v[74:77], v61 offset:1456
	s_clause 0x2
	buffer_load_dword v81, off, s[0:3], 0 offset:684
	buffer_load_dword v86, off, s[0:3], 0 offset:660
	;; [unrolled: 1-line block ×3, first 2 shown]
	s_waitcnt vmcnt(62) lgkmcnt(2)
	v_mul_f64 v[66:67], v[64:65], v[9:10]
	v_mul_f64 v[9:10], v[62:63], v[9:10]
	s_waitcnt lgkmcnt(1)
	v_mul_f64 v[83:84], v[72:73], v[5:6]
	s_waitcnt vmcnt(59) lgkmcnt(0)
	v_mul_f64 v[126:127], v[76:77], v[3:4]
	v_fma_f64 v[62:63], v[62:63], v[7:8], -v[66:67]
	v_mul_f64 v[66:67], v[70:71], v[5:6]
	v_fma_f64 v[9:10], v[64:65], v[7:8], v[9:10]
	s_waitcnt vmcnt(57)
	v_fma_f64 v[70:71], v[70:71], v[1:2], -v[83:84]
	ds_read_b128 v[5:8], v61 offset:1472
	v_mul_f64 v[64:65], v[74:75], v[3:4]
	s_waitcnt vmcnt(51)
	v_fma_f64 v[74:75], v[74:75], v[25:26], -v[126:127]
	v_add_f64 v[62:63], v[62:63], 0
	v_fma_f64 v[66:67], v[72:73], v[1:2], v[66:67]
	v_add_f64 v[9:10], v[9:10], 0
	s_clause 0x4
	buffer_load_dword v73, off, s[0:3], 0 offset:700
	buffer_load_dword v128, off, s[0:3], 0 offset:712
	;; [unrolled: 1-line block ×5, first 2 shown]
	s_waitcnt lgkmcnt(0)
	v_mul_f64 v[131:132], v[5:6], v[13:14]
	v_mul_f64 v[13:14], v[7:8], v[13:14]
	ds_read_b128 v[1:4], v61 offset:1488
	v_fma_f64 v[25:26], v[76:77], v[25:26], v[64:65]
	v_add_f64 v[70:71], v[62:63], v[70:71]
	v_add_f64 v[9:10], v[9:10], v[66:67]
	s_clause 0x2
	buffer_load_dword v129, off, s[0:3], 0 offset:716
	buffer_load_dword v67, off, s[0:3], 0 offset:692
	;; [unrolled: 1-line block ×3, first 2 shown]
	s_waitcnt vmcnt(58) lgkmcnt(0)
	v_mul_f64 v[76:77], v[1:2], v[17:18]
	v_mul_f64 v[17:18], v[3:4], v[17:18]
	s_waitcnt vmcnt(56)
	v_fma_f64 v[13:14], v[5:6], v[19:20], -v[13:14]
	ds_read_b128 v[62:65], v61 offset:1504
	v_fma_f64 v[19:20], v[7:8], v[19:20], v[131:132]
	v_add_f64 v[70:71], v[70:71], v[74:75]
	v_add_f64 v[9:10], v[9:10], v[25:26]
	s_clause 0x4
	buffer_load_dword v26, off, s[0:3], 0 offset:732
	buffer_load_dword v74, off, s[0:3], 0 offset:744
	;; [unrolled: 1-line block ×5, first 2 shown]
	ds_read_b128 v[5:8], v61 offset:1520
	s_waitcnt vmcnt(57) lgkmcnt(1)
	v_mul_f64 v[132:133], v[62:63], v[21:22]
	v_mul_f64 v[21:22], v[64:65], v[21:22]
	s_waitcnt vmcnt(56)
	v_fma_f64 v[17:18], v[1:2], v[11:12], -v[17:18]
	v_fma_f64 v[11:12], v[3:4], v[11:12], v[76:77]
	v_add_f64 v[13:14], v[70:71], v[13:14]
	v_add_f64 v[9:10], v[9:10], v[19:20]
	s_clause 0x2
	buffer_load_dword v75, off, s[0:3], 0 offset:748
	buffer_load_dword v20, off, s[0:3], 0 offset:724
	buffer_load_dword v19, off, s[0:3], 0 offset:720
	s_waitcnt vmcnt(58) lgkmcnt(0)
	v_mul_f64 v[70:71], v[5:6], v[27:28]
	v_mul_f64 v[27:28], v[7:8], v[27:28]
	s_waitcnt vmcnt(56)
	v_fma_f64 v[21:22], v[62:63], v[29:30], -v[21:22]
	ds_read_b128 v[1:4], v61 offset:1536
	v_add_f64 v[13:14], v[13:14], v[17:18]
	v_fma_f64 v[17:18], v[64:65], v[29:30], v[132:133]
	v_add_f64 v[29:30], v[9:10], v[11:12]
	s_clause 0x4
	buffer_load_dword v63, off, s[0:3], 0 offset:764
	buffer_load_dword v64, off, s[0:3], 0 offset:776
	;; [unrolled: 1-line block ×5, first 2 shown]
	ds_read_b128 v[9:12], v61 offset:1552
	s_waitcnt vmcnt(57) lgkmcnt(1)
	v_mul_f64 v[132:133], v[1:2], v[31:32]
	v_mul_f64 v[31:32], v[3:4], v[31:32]
	s_waitcnt vmcnt(56)
	v_fma_f64 v[27:28], v[5:6], v[15:16], -v[27:28]
	v_fma_f64 v[15:16], v[7:8], v[15:16], v[70:71]
	v_add_f64 v[13:14], v[13:14], v[21:22]
	s_clause 0x2
	buffer_load_dword v65, off, s[0:3], 0 offset:780
	buffer_load_dword v22, off, s[0:3], 0 offset:756
	;; [unrolled: 1-line block ×3, first 2 shown]
	v_add_f64 v[17:18], v[29:30], v[17:18]
	s_waitcnt vmcnt(58) lgkmcnt(0)
	v_mul_f64 v[29:30], v[9:10], v[35:36]
	v_mul_f64 v[35:36], v[11:12], v[35:36]
	ds_read_b128 v[5:8], v61 offset:1568
	s_waitcnt vmcnt(56)
	v_fma_f64 v[31:32], v[1:2], v[37:38], -v[31:32]
	v_add_f64 v[13:14], v[13:14], v[27:28]
	v_fma_f64 v[27:28], v[3:4], v[37:38], v[132:133]
	v_add_f64 v[15:16], v[17:18], v[15:16]
	s_clause 0x4
	buffer_load_dword v18, off, s[0:3], 0 offset:796
	buffer_load_dword v37, off, s[0:3], 0 offset:808
	;; [unrolled: 1-line block ×5, first 2 shown]
	s_waitcnt vmcnt(57) lgkmcnt(0)
	v_mul_f64 v[132:133], v[5:6], v[39:40]
	v_mul_f64 v[39:40], v[7:8], v[39:40]
	s_waitcnt vmcnt(56)
	v_fma_f64 v[35:36], v[9:10], v[23:24], -v[35:36]
	ds_read_b128 v[1:4], v61 offset:1584
	v_fma_f64 v[23:24], v[11:12], v[23:24], v[29:30]
	v_add_f64 v[13:14], v[13:14], v[31:32]
	v_add_f64 v[15:16], v[15:16], v[27:28]
	s_clause 0x2
	buffer_load_dword v38, off, s[0:3], 0 offset:812
	buffer_load_dword v28, off, s[0:3], 0 offset:788
	;; [unrolled: 1-line block ×3, first 2 shown]
	ds_read_b128 v[9:12], v61 offset:1600
	s_waitcnt vmcnt(58) lgkmcnt(1)
	v_mul_f64 v[31:32], v[3:4], v[43:44]
	s_waitcnt vmcnt(56)
	v_fma_f64 v[39:40], v[5:6], v[45:46], -v[39:40]
	v_mul_f64 v[29:30], v[1:2], v[43:44]
	v_add_f64 v[13:14], v[13:14], v[35:36]
	v_fma_f64 v[35:36], v[7:8], v[45:46], v[132:133]
	v_add_f64 v[15:16], v[15:16], v[23:24]
	s_clause 0x4
	buffer_load_dword v24, off, s[0:3], 0 offset:828
	buffer_load_dword v43, off, s[0:3], 0 offset:840
	;; [unrolled: 1-line block ×5, first 2 shown]
	s_waitcnt vmcnt(57) lgkmcnt(0)
	v_mul_f64 v[132:133], v[9:10], v[47:48]
	v_mul_f64 v[46:47], v[11:12], v[47:48]
	s_waitcnt vmcnt(56)
	v_fma_f64 v[31:32], v[1:2], v[33:34], -v[31:32]
	ds_read_b128 v[5:8], v61 offset:1616
	v_fma_f64 v[29:30], v[3:4], v[33:34], v[29:30]
	s_clause 0x2
	buffer_load_dword v44, off, s[0:3], 0 offset:844
	buffer_load_dword v34, off, s[0:3], 0 offset:820
	;; [unrolled: 1-line block ×3, first 2 shown]
	ds_read_b128 v[1:4], v61 offset:1632
	v_add_f64 v[13:14], v[13:14], v[39:40]
	v_add_f64 v[15:16], v[15:16], v[35:36]
	s_waitcnt vmcnt(58) lgkmcnt(1)
	v_mul_f64 v[39:40], v[7:8], v[51:52]
	s_waitcnt vmcnt(56)
	v_fma_f64 v[47:48], v[9:10], v[53:54], -v[46:47]
	v_mul_f64 v[35:36], v[5:6], v[51:52]
	v_add_f64 v[13:14], v[13:14], v[31:32]
	v_fma_f64 v[31:32], v[11:12], v[53:54], v[132:133]
	v_add_f64 v[15:16], v[15:16], v[29:30]
	s_clause 0x4
	buffer_load_dword v30, off, s[0:3], 0 offset:860
	buffer_load_dword v51, off, s[0:3], 0 offset:872
	;; [unrolled: 1-line block ×5, first 2 shown]
	s_waitcnt vmcnt(57) lgkmcnt(0)
	v_mul_f64 v[132:133], v[1:2], v[55:56]
	v_mul_f64 v[54:55], v[3:4], v[55:56]
	s_waitcnt vmcnt(56)
	v_fma_f64 v[39:40], v[5:6], v[41:42], -v[39:40]
	ds_read_b128 v[9:12], v61 offset:1648
	v_fma_f64 v[35:36], v[7:8], v[41:42], v[35:36]
	v_add_f64 v[13:14], v[13:14], v[47:48]
	v_add_f64 v[15:16], v[15:16], v[31:32]
	s_clause 0x2
	buffer_load_dword v52, off, s[0:3], 0 offset:876
	buffer_load_dword v32, off, s[0:3], 0 offset:852
	;; [unrolled: 1-line block ×3, first 2 shown]
	ds_read_b128 v[5:8], v61 offset:1664
	s_waitcnt vmcnt(58) lgkmcnt(1)
	v_mul_f64 v[47:48], v[11:12], v[57:58]
	s_waitcnt vmcnt(56)
	v_fma_f64 v[55:56], v[1:2], v[59:60], -v[54:55]
	v_mul_f64 v[41:42], v[9:10], v[57:58]
	v_add_f64 v[13:14], v[13:14], v[39:40]
	v_fma_f64 v[39:40], v[3:4], v[59:60], v[132:133]
	v_add_f64 v[15:16], v[15:16], v[35:36]
	s_clause 0x4
	buffer_load_dword v36, off, s[0:3], 0 offset:892
	buffer_load_dword v57, off, s[0:3], 0 offset:904
	;; [unrolled: 1-line block ×5, first 2 shown]
	s_waitcnt vmcnt(57) lgkmcnt(0)
	v_mul_f64 v[132:133], v[5:6], v[78:79]
	v_mul_f64 v[78:79], v[7:8], v[78:79]
	s_waitcnt vmcnt(56)
	v_fma_f64 v[47:48], v[9:10], v[49:50], -v[47:48]
	ds_read_b128 v[1:4], v61 offset:1680
	v_fma_f64 v[41:42], v[11:12], v[49:50], v[41:42]
	v_add_f64 v[13:14], v[13:14], v[55:56]
	v_add_f64 v[15:16], v[15:16], v[39:40]
	s_clause 0x2
	buffer_load_dword v58, off, s[0:3], 0 offset:908
	buffer_load_dword v40, off, s[0:3], 0 offset:884
	;; [unrolled: 1-line block ×3, first 2 shown]
	ds_read_b128 v[9:12], v61 offset:1696
	s_waitcnt vmcnt(58) lgkmcnt(1)
	v_mul_f64 v[55:56], v[3:4], v[80:81]
	s_waitcnt vmcnt(56)
	v_fma_f64 v[78:79], v[5:6], v[85:86], -v[78:79]
	v_mul_f64 v[49:50], v[1:2], v[80:81]
	v_add_f64 v[13:14], v[13:14], v[47:48]
	v_fma_f64 v[47:48], v[7:8], v[85:86], v[132:133]
	v_add_f64 v[15:16], v[15:16], v[41:42]
	s_clause 0x4
	buffer_load_dword v42, off, s[0:3], 0 offset:924
	buffer_load_dword v80, off, s[0:3], 0 offset:936
	;; [unrolled: 1-line block ×5, first 2 shown]
	ds_read_b128 v[5:8], v61 offset:1712
	s_waitcnt vmcnt(57) lgkmcnt(1)
	v_mul_f64 v[85:86], v[9:10], v[72:73]
	v_mul_f64 v[72:73], v[11:12], v[72:73]
	s_waitcnt vmcnt(56)
	v_fma_f64 v[55:56], v[1:2], v[82:83], -v[55:56]
	v_fma_f64 v[49:50], v[3:4], v[82:83], v[49:50]
	v_add_f64 v[13:14], v[13:14], v[78:79]
	v_add_f64 v[15:16], v[15:16], v[47:48]
	s_clause 0x2
	buffer_load_dword v81, off, s[0:3], 0 offset:940
	buffer_load_dword v48, off, s[0:3], 0 offset:916
	;; [unrolled: 1-line block ×3, first 2 shown]
	ds_read_b128 v[1:4], v61 offset:1728
	s_waitcnt vmcnt(58) lgkmcnt(1)
	v_mul_f64 v[82:83], v[7:8], v[128:129]
	v_mul_f64 v[78:79], v[5:6], v[128:129]
	s_waitcnt vmcnt(56)
	v_fma_f64 v[72:73], v[9:10], v[66:67], -v[72:73]
	v_add_f64 v[13:14], v[13:14], v[55:56]
	v_fma_f64 v[55:56], v[11:12], v[66:67], v[85:86]
	v_add_f64 v[15:16], v[15:16], v[49:50]
	s_clause 0x4
	buffer_load_dword v50, off, s[0:3], 0 offset:956
	buffer_load_dword v66, off, s[0:3], 0 offset:968
	;; [unrolled: 1-line block ×5, first 2 shown]
	ds_read_b128 v[9:12], v61 offset:1744
	s_waitcnt vmcnt(57) lgkmcnt(1)
	v_mul_f64 v[128:129], v[1:2], v[25:26]
	v_mul_f64 v[25:26], v[3:4], v[25:26]
	s_waitcnt vmcnt(56)
	v_fma_f64 v[82:83], v[5:6], v[130:131], -v[82:83]
	v_add_f64 v[13:14], v[13:14], v[72:73]
	v_fma_f64 v[72:73], v[7:8], v[130:131], v[78:79]
	v_add_f64 v[15:16], v[15:16], v[55:56]
	s_clause 0x2
	buffer_load_dword v67, off, s[0:3], 0 offset:972
	buffer_load_dword v56, off, s[0:3], 0 offset:948
	;; [unrolled: 1-line block ×3, first 2 shown]
	ds_read_b128 v[5:8], v61 offset:1760
	s_waitcnt vmcnt(58) lgkmcnt(1)
	v_mul_f64 v[78:79], v[9:10], v[74:75]
	v_mul_f64 v[74:75], v[11:12], v[74:75]
	s_waitcnt vmcnt(56)
	v_fma_f64 v[25:26], v[1:2], v[19:20], -v[25:26]
	v_fma_f64 v[19:20], v[3:4], v[19:20], v[128:129]
	v_add_f64 v[13:14], v[13:14], v[82:83]
	v_add_f64 v[15:16], v[15:16], v[72:73]
	s_clause 0x4
	buffer_load_dword v73, off, s[0:3], 0 offset:988
	buffer_load_dword v82, off, s[0:3], 0 offset:1000
	buffer_load_dword v128, off, s[0:3], 0 offset:992
	buffer_load_dword v72, off, s[0:3], 0 offset:984
	buffer_load_dword v87, off, s[0:3], 0 offset:964
	ds_read_b128 v[1:4], v61 offset:1776
	s_waitcnt vmcnt(57) lgkmcnt(1)
	v_mul_f64 v[129:130], v[5:6], v[62:63]
	v_mul_f64 v[62:63], v[7:8], v[62:63]
	s_waitcnt vmcnt(56)
	v_fma_f64 v[74:75], v[9:10], v[126:127], -v[74:75]
	v_add_f64 v[13:14], v[13:14], v[25:26]
	v_fma_f64 v[25:26], v[11:12], v[126:127], v[78:79]
	v_add_f64 v[15:16], v[15:16], v[19:20]
	s_clause 0x2
	buffer_load_dword v83, off, s[0:3], 0 offset:1004
	buffer_load_dword v20, off, s[0:3], 0 offset:980
	;; [unrolled: 1-line block ×3, first 2 shown]
	ds_read_b128 v[9:12], v61 offset:1792
	s_waitcnt vmcnt(58) lgkmcnt(1)
	v_mul_f64 v[78:79], v[1:2], v[64:65]
	v_mul_f64 v[64:65], v[3:4], v[64:65]
	s_waitcnt vmcnt(56)
	v_fma_f64 v[62:63], v[5:6], v[21:22], -v[62:63]
	v_fma_f64 v[21:22], v[7:8], v[21:22], v[129:130]
	v_add_f64 v[13:14], v[13:14], v[74:75]
	v_add_f64 v[15:16], v[15:16], v[25:26]
	s_clause 0x4
	buffer_load_dword v26, off, s[0:3], 0 offset:1020
	buffer_load_dword v74, off, s[0:3], 0 offset:1032
	;; [unrolled: 1-line block ×5, first 2 shown]
	ds_read_b128 v[5:8], v61 offset:1808
	s_waitcnt vmcnt(57) lgkmcnt(1)
	v_mul_f64 v[130:131], v[9:10], v[17:18]
	v_mul_f64 v[17:18], v[11:12], v[17:18]
	s_waitcnt vmcnt(56)
	v_fma_f64 v[64:65], v[1:2], v[76:77], -v[64:65]
	v_add_f64 v[13:14], v[13:14], v[62:63]
	v_fma_f64 v[62:63], v[3:4], v[76:77], v[78:79]
	v_add_f64 v[15:16], v[15:16], v[21:22]
	s_clause 0x2
	buffer_load_dword v75, off, s[0:3], 0 offset:1036
	buffer_load_dword v22, off, s[0:3], 0 offset:1012
	;; [unrolled: 1-line block ×3, first 2 shown]
	ds_read_b128 v[1:4], v61 offset:1824
	buffer_load_dword v127, off, s[0:3], 0 offset:1028
	s_waitcnt vmcnt(59) lgkmcnt(1)
	v_mul_f64 v[76:77], v[5:6], v[37:38]
	v_mul_f64 v[37:38], v[7:8], v[37:38]
	s_waitcnt vmcnt(57)
	v_fma_f64 v[17:18], v[9:10], v[27:28], -v[17:18]
	v_fma_f64 v[27:28], v[11:12], v[27:28], v[130:131]
	ds_read_b128 v[9:12], v61 offset:1840
	v_add_f64 v[13:14], v[13:14], v[64:65]
	v_add_f64 v[15:16], v[15:16], v[62:63]
	s_waitcnt vmcnt(53) lgkmcnt(1)
	v_mul_f64 v[62:63], v[1:2], v[23:24]
	v_mul_f64 v[23:24], v[3:4], v[23:24]
	s_waitcnt vmcnt(52)
	v_fma_f64 v[37:38], v[5:6], v[70:71], -v[37:38]
	v_add_f64 v[13:14], v[13:14], v[17:18]
	v_fma_f64 v[17:18], v[7:8], v[70:71], v[76:77]
	v_add_f64 v[15:16], v[15:16], v[27:28]
	s_waitcnt vmcnt(51) lgkmcnt(0)
	v_mul_f64 v[27:28], v[9:10], v[43:44]
	v_mul_f64 v[43:44], v[11:12], v[43:44]
	ds_read_b128 v[5:8], v61 offset:1856
	s_waitcnt vmcnt(49)
	v_fma_f64 v[23:24], v[1:2], v[33:34], -v[23:24]
	v_fma_f64 v[33:34], v[3:4], v[33:34], v[62:63]
	v_add_f64 v[13:14], v[13:14], v[37:38]
	v_add_f64 v[15:16], v[15:16], v[17:18]
	s_clause 0x3
	buffer_load_dword v17, off, s[0:3], 0 offset:400
	buffer_load_dword v18, off, s[0:3], 0 offset:404
	;; [unrolled: 1-line block ×4, first 2 shown]
	ds_read_b128 v[1:4], v61 offset:1872
	s_waitcnt vmcnt(49) lgkmcnt(1)
	v_mul_f64 v[62:63], v[5:6], v[29:30]
	v_mul_f64 v[29:30], v[7:8], v[29:30]
	s_waitcnt vmcnt(48)
	v_fma_f64 v[43:44], v[9:10], v[45:46], -v[43:44]
	v_add_f64 v[13:14], v[13:14], v[23:24]
	v_fma_f64 v[23:24], v[11:12], v[45:46], v[27:28]
	v_add_f64 v[15:16], v[15:16], v[33:34]
	ds_read_b128 v[9:12], v61 offset:1888
	s_waitcnt vmcnt(47) lgkmcnt(1)
	v_mul_f64 v[33:34], v[3:4], v[51:52]
	v_mul_f64 v[27:28], v[1:2], v[51:52]
	s_waitcnt vmcnt(45)
	v_fma_f64 v[29:30], v[5:6], v[31:32], -v[29:30]
	v_fma_f64 v[31:32], v[7:8], v[31:32], v[62:63]
	ds_read_b128 v[5:8], v61 offset:1904
	v_add_f64 v[13:14], v[13:14], v[43:44]
	v_add_f64 v[15:16], v[15:16], v[23:24]
	s_waitcnt vmcnt(41) lgkmcnt(1)
	v_mul_f64 v[23:24], v[9:10], v[35:36]
	v_mul_f64 v[35:36], v[11:12], v[35:36]
	s_waitcnt vmcnt(40)
	v_fma_f64 v[33:34], v[1:2], v[53:54], -v[33:34]
	v_fma_f64 v[27:28], v[3:4], v[53:54], v[27:28]
	ds_read_b128 v[1:4], v61 offset:1920
	v_add_f64 v[13:14], v[13:14], v[29:30]
	v_add_f64 v[15:16], v[15:16], v[31:32]
	;; [unrolled: 9-line block ×3, first 2 shown]
	s_waitcnt vmcnt(33) lgkmcnt(1)
	v_mul_f64 v[33:34], v[3:4], v[41:42]
	s_waitcnt vmcnt(32)
	v_fma_f64 v[31:32], v[5:6], v[59:60], -v[31:32]
	v_mul_f64 v[27:28], v[1:2], v[41:42]
	v_fma_f64 v[29:30], v[7:8], v[59:60], v[29:30]
	ds_read_b128 v[5:8], v61 offset:1952
	v_add_f64 v[13:14], v[13:14], v[35:36]
	v_add_f64 v[15:16], v[15:16], v[23:24]
	s_waitcnt vmcnt(31) lgkmcnt(1)
	v_mul_f64 v[35:36], v[11:12], v[80:81]
	v_mul_f64 v[23:24], v[9:10], v[80:81]
	s_waitcnt vmcnt(29)
	v_fma_f64 v[33:34], v[1:2], v[47:48], -v[33:34]
	v_fma_f64 v[27:28], v[3:4], v[47:48], v[27:28]
	ds_read_b128 v[1:4], v61 offset:1968
	v_add_f64 v[13:14], v[13:14], v[31:32]
	v_add_f64 v[15:16], v[15:16], v[29:30]
	s_waitcnt vmcnt(25) lgkmcnt(1)
	v_mul_f64 v[31:32], v[7:8], v[49:50]
	s_waitcnt vmcnt(24)
	v_fma_f64 v[35:36], v[9:10], v[84:85], -v[35:36]
	v_mul_f64 v[29:30], v[5:6], v[49:50]
	v_fma_f64 v[23:24], v[11:12], v[84:85], v[23:24]
	ds_read_b128 v[9:12], v61 offset:1984
	v_add_f64 v[13:14], v[13:14], v[33:34]
	v_add_f64 v[15:16], v[15:16], v[27:28]
	s_waitcnt vmcnt(23) lgkmcnt(1)
	v_mul_f64 v[33:34], v[3:4], v[66:67]
	v_mul_f64 v[27:28], v[1:2], v[66:67]
	s_waitcnt vmcnt(21)
	v_fma_f64 v[31:32], v[5:6], v[55:56], -v[31:32]
	v_fma_f64 v[29:30], v[7:8], v[55:56], v[29:30]
	ds_read_b128 v[5:8], v61 offset:2000
	v_add_f64 v[13:14], v[13:14], v[35:36]
	v_add_f64 v[15:16], v[15:16], v[23:24]
	;; [unrolled: 18-line block ×3, first 2 shown]
	s_waitcnt vmcnt(9) lgkmcnt(1)
	v_mul_f64 v[23:24], v[1:2], v[25:26]
	v_mul_f64 v[25:26], v[3:4], v[25:26]
	s_waitcnt vmcnt(8)
	v_fma_f64 v[5:6], v[5:6], v[128:129], -v[31:32]
	v_fma_f64 v[7:8], v[7:8], v[128:129], v[29:30]
	v_add_f64 v[13:14], v[13:14], v[35:36]
	v_add_f64 v[15:16], v[15:16], v[19:20]
	s_waitcnt vmcnt(7) lgkmcnt(0)
	v_mul_f64 v[27:28], v[11:12], v[74:75]
	v_mul_f64 v[19:20], v[9:10], v[74:75]
	s_waitcnt vmcnt(5)
	v_fma_f64 v[1:2], v[1:2], v[21:22], -v[25:26]
	v_fma_f64 v[3:4], v[3:4], v[21:22], v[23:24]
	v_add_f64 v[5:6], v[13:14], v[5:6]
	v_add_f64 v[7:8], v[15:16], v[7:8]
	s_waitcnt vmcnt(4)
	v_fma_f64 v[9:10], v[9:10], v[126:127], -v[27:28]
	v_add_f64 v[1:2], v[5:6], v[1:2]
	v_fma_f64 v[5:6], v[11:12], v[126:127], v[19:20]
	v_add_f64 v[3:4], v[7:8], v[3:4]
	v_add_f64 v[1:2], v[1:2], v[9:10]
	;; [unrolled: 1-line block ×3, first 2 shown]
	s_waitcnt vmcnt(2)
	v_add_f64 v[1:2], v[17:18], -v[1:2]
	s_waitcnt vmcnt(0)
	v_add_f64 v[3:4], v[37:38], -v[3:4]
	buffer_store_dword v2, off, s[0:3], 0 offset:404
	buffer_store_dword v1, off, s[0:3], 0 offset:400
	;; [unrolled: 1-line block ×4, first 2 shown]
	v_cmpx_lt_u32_e32 23, v0
	s_cbranch_execz .LBB63_363
; %bb.362:
	v_mov_b32_e32 v4, s55
	s_clause 0x3
	buffer_load_dword v1, v4, s[0:3], 0 offen
	buffer_load_dword v2, v4, s[0:3], 0 offen offset:4
	buffer_load_dword v3, v4, s[0:3], 0 offen offset:8
	;; [unrolled: 1-line block ×3, first 2 shown]
	buffer_store_dword v61, off, s[0:3], 0 offset:384
	buffer_store_dword v61, off, s[0:3], 0 offset:388
	;; [unrolled: 1-line block ×4, first 2 shown]
	s_waitcnt vmcnt(0)
	ds_write_b128 v69, v[1:4]
.LBB63_363:
	s_or_b32 exec_lo, exec_lo, s4
	s_waitcnt lgkmcnt(0)
	s_waitcnt_vscnt null, 0x0
	s_barrier
	buffer_gl0_inv
	s_clause 0x37
	buffer_load_dword v9, off, s[0:3], 0 offset:408
	buffer_load_dword v10, off, s[0:3], 0 offset:412
	;; [unrolled: 1-line block ×56, first 2 shown]
	ds_read_b128 v[62:65], v61 offset:1408
	s_clause 0x2
	buffer_load_dword v58, off, s[0:3], 0 offset:636
	buffer_load_dword v60, off, s[0:3], 0 offset:612
	;; [unrolled: 1-line block ×3, first 2 shown]
	ds_read_b128 v[70:73], v61 offset:1424
	s_clause 0x4
	buffer_load_dword v79, off, s[0:3], 0 offset:652
	buffer_load_dword v80, off, s[0:3], 0 offset:664
	;; [unrolled: 1-line block ×5, first 2 shown]
	ds_read_b128 v[74:77], v61 offset:1440
	s_clause 0x2
	buffer_load_dword v81, off, s[0:3], 0 offset:668
	buffer_load_dword v86, off, s[0:3], 0 offset:644
	;; [unrolled: 1-line block ×3, first 2 shown]
	s_mov_b32 s4, exec_lo
	s_waitcnt vmcnt(62) lgkmcnt(2)
	v_mul_f64 v[66:67], v[64:65], v[9:10]
	v_mul_f64 v[9:10], v[62:63], v[9:10]
	s_waitcnt lgkmcnt(1)
	v_mul_f64 v[83:84], v[72:73], v[5:6]
	s_waitcnt vmcnt(59) lgkmcnt(0)
	v_mul_f64 v[126:127], v[76:77], v[3:4]
	v_fma_f64 v[62:63], v[62:63], v[7:8], -v[66:67]
	v_mul_f64 v[66:67], v[70:71], v[5:6]
	v_fma_f64 v[9:10], v[64:65], v[7:8], v[9:10]
	s_waitcnt vmcnt(57)
	v_fma_f64 v[70:71], v[70:71], v[1:2], -v[83:84]
	ds_read_b128 v[5:8], v61 offset:1456
	v_mul_f64 v[64:65], v[74:75], v[3:4]
	s_waitcnt vmcnt(51)
	v_fma_f64 v[74:75], v[74:75], v[25:26], -v[126:127]
	v_add_f64 v[62:63], v[62:63], 0
	v_fma_f64 v[66:67], v[72:73], v[1:2], v[66:67]
	v_add_f64 v[9:10], v[9:10], 0
	s_clause 0x4
	buffer_load_dword v73, off, s[0:3], 0 offset:684
	buffer_load_dword v128, off, s[0:3], 0 offset:696
	;; [unrolled: 1-line block ×5, first 2 shown]
	s_waitcnt lgkmcnt(0)
	v_mul_f64 v[131:132], v[5:6], v[13:14]
	v_mul_f64 v[13:14], v[7:8], v[13:14]
	ds_read_b128 v[1:4], v61 offset:1472
	v_fma_f64 v[25:26], v[76:77], v[25:26], v[64:65]
	v_add_f64 v[70:71], v[62:63], v[70:71]
	v_add_f64 v[9:10], v[9:10], v[66:67]
	s_clause 0x2
	buffer_load_dword v129, off, s[0:3], 0 offset:700
	buffer_load_dword v67, off, s[0:3], 0 offset:676
	;; [unrolled: 1-line block ×3, first 2 shown]
	s_waitcnt vmcnt(58) lgkmcnt(0)
	v_mul_f64 v[76:77], v[1:2], v[17:18]
	v_mul_f64 v[17:18], v[3:4], v[17:18]
	s_waitcnt vmcnt(56)
	v_fma_f64 v[13:14], v[5:6], v[19:20], -v[13:14]
	ds_read_b128 v[62:65], v61 offset:1488
	v_fma_f64 v[19:20], v[7:8], v[19:20], v[131:132]
	v_add_f64 v[70:71], v[70:71], v[74:75]
	v_add_f64 v[9:10], v[9:10], v[25:26]
	s_clause 0x4
	buffer_load_dword v26, off, s[0:3], 0 offset:716
	buffer_load_dword v74, off, s[0:3], 0 offset:728
	;; [unrolled: 1-line block ×5, first 2 shown]
	ds_read_b128 v[5:8], v61 offset:1504
	s_waitcnt vmcnt(57) lgkmcnt(1)
	v_mul_f64 v[132:133], v[62:63], v[21:22]
	v_mul_f64 v[21:22], v[64:65], v[21:22]
	s_waitcnt vmcnt(56)
	v_fma_f64 v[17:18], v[1:2], v[11:12], -v[17:18]
	v_fma_f64 v[11:12], v[3:4], v[11:12], v[76:77]
	v_add_f64 v[13:14], v[70:71], v[13:14]
	v_add_f64 v[9:10], v[9:10], v[19:20]
	s_clause 0x2
	buffer_load_dword v75, off, s[0:3], 0 offset:732
	buffer_load_dword v20, off, s[0:3], 0 offset:708
	;; [unrolled: 1-line block ×3, first 2 shown]
	s_waitcnt vmcnt(58) lgkmcnt(0)
	v_mul_f64 v[70:71], v[5:6], v[27:28]
	v_mul_f64 v[27:28], v[7:8], v[27:28]
	s_waitcnt vmcnt(56)
	v_fma_f64 v[21:22], v[62:63], v[29:30], -v[21:22]
	ds_read_b128 v[1:4], v61 offset:1520
	v_add_f64 v[13:14], v[13:14], v[17:18]
	v_fma_f64 v[17:18], v[64:65], v[29:30], v[132:133]
	v_add_f64 v[29:30], v[9:10], v[11:12]
	s_clause 0x4
	buffer_load_dword v63, off, s[0:3], 0 offset:748
	buffer_load_dword v64, off, s[0:3], 0 offset:760
	;; [unrolled: 1-line block ×5, first 2 shown]
	ds_read_b128 v[9:12], v61 offset:1536
	s_waitcnt vmcnt(57) lgkmcnt(1)
	v_mul_f64 v[132:133], v[1:2], v[31:32]
	v_mul_f64 v[31:32], v[3:4], v[31:32]
	s_waitcnt vmcnt(56)
	v_fma_f64 v[27:28], v[5:6], v[15:16], -v[27:28]
	v_fma_f64 v[15:16], v[7:8], v[15:16], v[70:71]
	v_add_f64 v[13:14], v[13:14], v[21:22]
	s_clause 0x2
	buffer_load_dword v65, off, s[0:3], 0 offset:764
	buffer_load_dword v22, off, s[0:3], 0 offset:740
	;; [unrolled: 1-line block ×3, first 2 shown]
	v_add_f64 v[17:18], v[29:30], v[17:18]
	s_waitcnt vmcnt(58) lgkmcnt(0)
	v_mul_f64 v[29:30], v[9:10], v[35:36]
	v_mul_f64 v[35:36], v[11:12], v[35:36]
	ds_read_b128 v[5:8], v61 offset:1552
	s_waitcnt vmcnt(56)
	v_fma_f64 v[31:32], v[1:2], v[37:38], -v[31:32]
	v_add_f64 v[13:14], v[13:14], v[27:28]
	v_fma_f64 v[27:28], v[3:4], v[37:38], v[132:133]
	v_add_f64 v[15:16], v[17:18], v[15:16]
	s_clause 0x4
	buffer_load_dword v18, off, s[0:3], 0 offset:780
	buffer_load_dword v37, off, s[0:3], 0 offset:792
	;; [unrolled: 1-line block ×5, first 2 shown]
	s_waitcnt vmcnt(57) lgkmcnt(0)
	v_mul_f64 v[132:133], v[5:6], v[39:40]
	v_mul_f64 v[39:40], v[7:8], v[39:40]
	s_waitcnt vmcnt(56)
	v_fma_f64 v[35:36], v[9:10], v[23:24], -v[35:36]
	ds_read_b128 v[1:4], v61 offset:1568
	v_fma_f64 v[23:24], v[11:12], v[23:24], v[29:30]
	v_add_f64 v[13:14], v[13:14], v[31:32]
	v_add_f64 v[15:16], v[15:16], v[27:28]
	s_clause 0x2
	buffer_load_dword v38, off, s[0:3], 0 offset:796
	buffer_load_dword v28, off, s[0:3], 0 offset:772
	buffer_load_dword v27, off, s[0:3], 0 offset:768
	ds_read_b128 v[9:12], v61 offset:1584
	s_waitcnt vmcnt(58) lgkmcnt(1)
	v_mul_f64 v[31:32], v[3:4], v[43:44]
	s_waitcnt vmcnt(56)
	v_fma_f64 v[39:40], v[5:6], v[45:46], -v[39:40]
	v_mul_f64 v[29:30], v[1:2], v[43:44]
	v_add_f64 v[13:14], v[13:14], v[35:36]
	v_fma_f64 v[35:36], v[7:8], v[45:46], v[132:133]
	v_add_f64 v[15:16], v[15:16], v[23:24]
	s_clause 0x4
	buffer_load_dword v24, off, s[0:3], 0 offset:812
	buffer_load_dword v43, off, s[0:3], 0 offset:824
	;; [unrolled: 1-line block ×5, first 2 shown]
	s_waitcnt vmcnt(57) lgkmcnt(0)
	v_mul_f64 v[132:133], v[9:10], v[47:48]
	v_mul_f64 v[46:47], v[11:12], v[47:48]
	s_waitcnt vmcnt(56)
	v_fma_f64 v[31:32], v[1:2], v[33:34], -v[31:32]
	ds_read_b128 v[5:8], v61 offset:1600
	v_fma_f64 v[29:30], v[3:4], v[33:34], v[29:30]
	s_clause 0x2
	buffer_load_dword v44, off, s[0:3], 0 offset:828
	buffer_load_dword v34, off, s[0:3], 0 offset:804
	;; [unrolled: 1-line block ×3, first 2 shown]
	ds_read_b128 v[1:4], v61 offset:1616
	v_add_f64 v[13:14], v[13:14], v[39:40]
	v_add_f64 v[15:16], v[15:16], v[35:36]
	s_waitcnt vmcnt(58) lgkmcnt(1)
	v_mul_f64 v[39:40], v[7:8], v[51:52]
	s_waitcnt vmcnt(56)
	v_fma_f64 v[47:48], v[9:10], v[53:54], -v[46:47]
	v_mul_f64 v[35:36], v[5:6], v[51:52]
	v_add_f64 v[13:14], v[13:14], v[31:32]
	v_fma_f64 v[31:32], v[11:12], v[53:54], v[132:133]
	v_add_f64 v[15:16], v[15:16], v[29:30]
	s_clause 0x4
	buffer_load_dword v30, off, s[0:3], 0 offset:844
	buffer_load_dword v51, off, s[0:3], 0 offset:856
	;; [unrolled: 1-line block ×5, first 2 shown]
	s_waitcnt vmcnt(57) lgkmcnt(0)
	v_mul_f64 v[132:133], v[1:2], v[55:56]
	v_mul_f64 v[54:55], v[3:4], v[55:56]
	s_waitcnt vmcnt(56)
	v_fma_f64 v[39:40], v[5:6], v[41:42], -v[39:40]
	ds_read_b128 v[9:12], v61 offset:1632
	v_fma_f64 v[35:36], v[7:8], v[41:42], v[35:36]
	v_add_f64 v[13:14], v[13:14], v[47:48]
	v_add_f64 v[15:16], v[15:16], v[31:32]
	s_clause 0x2
	buffer_load_dword v52, off, s[0:3], 0 offset:860
	buffer_load_dword v32, off, s[0:3], 0 offset:836
	;; [unrolled: 1-line block ×3, first 2 shown]
	ds_read_b128 v[5:8], v61 offset:1648
	s_waitcnt vmcnt(58) lgkmcnt(1)
	v_mul_f64 v[47:48], v[11:12], v[57:58]
	s_waitcnt vmcnt(56)
	v_fma_f64 v[55:56], v[1:2], v[59:60], -v[54:55]
	v_mul_f64 v[41:42], v[9:10], v[57:58]
	v_add_f64 v[13:14], v[13:14], v[39:40]
	v_fma_f64 v[39:40], v[3:4], v[59:60], v[132:133]
	v_add_f64 v[15:16], v[15:16], v[35:36]
	s_clause 0x4
	buffer_load_dword v36, off, s[0:3], 0 offset:876
	buffer_load_dword v57, off, s[0:3], 0 offset:888
	;; [unrolled: 1-line block ×5, first 2 shown]
	s_waitcnt vmcnt(57) lgkmcnt(0)
	v_mul_f64 v[132:133], v[5:6], v[78:79]
	v_mul_f64 v[78:79], v[7:8], v[78:79]
	s_waitcnt vmcnt(56)
	v_fma_f64 v[47:48], v[9:10], v[49:50], -v[47:48]
	ds_read_b128 v[1:4], v61 offset:1664
	v_fma_f64 v[41:42], v[11:12], v[49:50], v[41:42]
	v_add_f64 v[13:14], v[13:14], v[55:56]
	v_add_f64 v[15:16], v[15:16], v[39:40]
	s_clause 0x2
	buffer_load_dword v58, off, s[0:3], 0 offset:892
	buffer_load_dword v40, off, s[0:3], 0 offset:868
	;; [unrolled: 1-line block ×3, first 2 shown]
	ds_read_b128 v[9:12], v61 offset:1680
	s_waitcnt vmcnt(58) lgkmcnt(1)
	v_mul_f64 v[55:56], v[3:4], v[80:81]
	s_waitcnt vmcnt(56)
	v_fma_f64 v[78:79], v[5:6], v[85:86], -v[78:79]
	v_mul_f64 v[49:50], v[1:2], v[80:81]
	v_add_f64 v[13:14], v[13:14], v[47:48]
	v_fma_f64 v[47:48], v[7:8], v[85:86], v[132:133]
	v_add_f64 v[15:16], v[15:16], v[41:42]
	s_clause 0x4
	buffer_load_dword v42, off, s[0:3], 0 offset:908
	buffer_load_dword v80, off, s[0:3], 0 offset:920
	;; [unrolled: 1-line block ×5, first 2 shown]
	ds_read_b128 v[5:8], v61 offset:1696
	s_waitcnt vmcnt(57) lgkmcnt(1)
	v_mul_f64 v[85:86], v[9:10], v[72:73]
	v_mul_f64 v[72:73], v[11:12], v[72:73]
	s_waitcnt vmcnt(56)
	v_fma_f64 v[55:56], v[1:2], v[82:83], -v[55:56]
	v_fma_f64 v[49:50], v[3:4], v[82:83], v[49:50]
	v_add_f64 v[13:14], v[13:14], v[78:79]
	v_add_f64 v[15:16], v[15:16], v[47:48]
	s_clause 0x2
	buffer_load_dword v81, off, s[0:3], 0 offset:924
	buffer_load_dword v48, off, s[0:3], 0 offset:900
	buffer_load_dword v47, off, s[0:3], 0 offset:896
	ds_read_b128 v[1:4], v61 offset:1712
	s_waitcnt vmcnt(58) lgkmcnt(1)
	v_mul_f64 v[82:83], v[7:8], v[128:129]
	v_mul_f64 v[78:79], v[5:6], v[128:129]
	s_waitcnt vmcnt(56)
	v_fma_f64 v[72:73], v[9:10], v[66:67], -v[72:73]
	v_add_f64 v[13:14], v[13:14], v[55:56]
	v_fma_f64 v[55:56], v[11:12], v[66:67], v[85:86]
	v_add_f64 v[15:16], v[15:16], v[49:50]
	s_clause 0x4
	buffer_load_dword v50, off, s[0:3], 0 offset:940
	buffer_load_dword v66, off, s[0:3], 0 offset:952
	buffer_load_dword v86, off, s[0:3], 0 offset:944
	buffer_load_dword v49, off, s[0:3], 0 offset:936
	buffer_load_dword v85, off, s[0:3], 0 offset:916
	ds_read_b128 v[9:12], v61 offset:1728
	s_waitcnt vmcnt(57) lgkmcnt(1)
	v_mul_f64 v[128:129], v[1:2], v[25:26]
	v_mul_f64 v[25:26], v[3:4], v[25:26]
	s_waitcnt vmcnt(56)
	v_fma_f64 v[82:83], v[5:6], v[130:131], -v[82:83]
	v_add_f64 v[13:14], v[13:14], v[72:73]
	v_fma_f64 v[72:73], v[7:8], v[130:131], v[78:79]
	v_add_f64 v[15:16], v[15:16], v[55:56]
	s_clause 0x2
	buffer_load_dword v67, off, s[0:3], 0 offset:956
	buffer_load_dword v56, off, s[0:3], 0 offset:932
	buffer_load_dword v55, off, s[0:3], 0 offset:928
	ds_read_b128 v[5:8], v61 offset:1744
	s_waitcnt vmcnt(58) lgkmcnt(1)
	v_mul_f64 v[78:79], v[9:10], v[74:75]
	v_mul_f64 v[74:75], v[11:12], v[74:75]
	s_waitcnt vmcnt(56)
	v_fma_f64 v[25:26], v[1:2], v[19:20], -v[25:26]
	v_fma_f64 v[19:20], v[3:4], v[19:20], v[128:129]
	v_add_f64 v[13:14], v[13:14], v[82:83]
	v_add_f64 v[15:16], v[15:16], v[72:73]
	s_clause 0x4
	buffer_load_dword v73, off, s[0:3], 0 offset:972
	buffer_load_dword v82, off, s[0:3], 0 offset:984
	buffer_load_dword v128, off, s[0:3], 0 offset:976
	buffer_load_dword v72, off, s[0:3], 0 offset:968
	buffer_load_dword v87, off, s[0:3], 0 offset:948
	ds_read_b128 v[1:4], v61 offset:1760
	s_waitcnt vmcnt(57) lgkmcnt(1)
	v_mul_f64 v[129:130], v[5:6], v[62:63]
	v_mul_f64 v[62:63], v[7:8], v[62:63]
	s_waitcnt vmcnt(56)
	v_fma_f64 v[74:75], v[9:10], v[126:127], -v[74:75]
	v_add_f64 v[13:14], v[13:14], v[25:26]
	v_fma_f64 v[25:26], v[11:12], v[126:127], v[78:79]
	v_add_f64 v[15:16], v[15:16], v[19:20]
	s_clause 0x2
	buffer_load_dword v83, off, s[0:3], 0 offset:988
	buffer_load_dword v20, off, s[0:3], 0 offset:964
	buffer_load_dword v19, off, s[0:3], 0 offset:960
	ds_read_b128 v[9:12], v61 offset:1776
	s_waitcnt vmcnt(58) lgkmcnt(1)
	v_mul_f64 v[78:79], v[1:2], v[64:65]
	v_mul_f64 v[64:65], v[3:4], v[64:65]
	s_waitcnt vmcnt(56)
	v_fma_f64 v[62:63], v[5:6], v[21:22], -v[62:63]
	v_fma_f64 v[21:22], v[7:8], v[21:22], v[129:130]
	v_add_f64 v[13:14], v[13:14], v[74:75]
	;; [unrolled: 28-line block ×3, first 2 shown]
	v_add_f64 v[15:16], v[15:16], v[62:63]
	s_clause 0x2
	buffer_load_dword v63, off, s[0:3], 0 offset:1036
	buffer_load_dword v62, off, s[0:3], 0 offset:1032
	;; [unrolled: 1-line block ×3, first 2 shown]
	ds_read_b128 v[9:12], v61 offset:1824
	s_waitcnt vmcnt(55) lgkmcnt(1)
	v_mul_f64 v[64:65], v[1:2], v[23:24]
	v_mul_f64 v[23:24], v[3:4], v[23:24]
	s_waitcnt vmcnt(54)
	v_fma_f64 v[37:38], v[5:6], v[70:71], -v[37:38]
	v_add_f64 v[13:14], v[13:14], v[17:18]
	v_fma_f64 v[17:18], v[7:8], v[70:71], v[76:77]
	v_add_f64 v[15:16], v[15:16], v[27:28]
	s_clause 0x1
	buffer_load_dword v28, off, s[0:3], 0 offset:1028
	buffer_load_dword v27, off, s[0:3], 0 offset:1024
	s_waitcnt vmcnt(55) lgkmcnt(0)
	v_mul_f64 v[70:71], v[9:10], v[43:44]
	v_mul_f64 v[43:44], v[11:12], v[43:44]
	ds_read_b128 v[5:8], v61 offset:1840
	s_waitcnt vmcnt(53)
	v_fma_f64 v[23:24], v[1:2], v[33:34], -v[23:24]
	v_fma_f64 v[33:34], v[3:4], v[33:34], v[64:65]
	ds_read_b128 v[1:4], v61 offset:1856
	v_add_f64 v[13:14], v[13:14], v[37:38]
	v_add_f64 v[15:16], v[15:16], v[17:18]
	s_waitcnt vmcnt(49) lgkmcnt(1)
	v_mul_f64 v[17:18], v[5:6], v[29:30]
	v_mul_f64 v[29:30], v[7:8], v[29:30]
	s_waitcnt vmcnt(48)
	v_fma_f64 v[37:38], v[9:10], v[45:46], -v[43:44]
	v_add_f64 v[13:14], v[13:14], v[23:24]
	v_fma_f64 v[23:24], v[11:12], v[45:46], v[70:71]
	v_add_f64 v[15:16], v[15:16], v[33:34]
	s_clause 0x3
	buffer_load_dword v33, off, s[0:3], 0 offset:384
	buffer_load_dword v34, off, s[0:3], 0 offset:388
	buffer_load_dword v43, off, s[0:3], 0 offset:392
	buffer_load_dword v44, off, s[0:3], 0 offset:396
	ds_read_b128 v[9:12], v61 offset:1872
	s_waitcnt vmcnt(51) lgkmcnt(1)
	v_mul_f64 v[45:46], v[1:2], v[51:52]
	v_mul_f64 v[51:52], v[3:4], v[51:52]
	s_waitcnt vmcnt(49)
	v_fma_f64 v[29:30], v[5:6], v[31:32], -v[29:30]
	v_fma_f64 v[17:18], v[7:8], v[31:32], v[17:18]
	ds_read_b128 v[5:8], v61 offset:1888
	v_add_f64 v[13:14], v[13:14], v[37:38]
	v_add_f64 v[15:16], v[15:16], v[23:24]
	s_waitcnt vmcnt(45) lgkmcnt(1)
	v_mul_f64 v[23:24], v[9:10], v[35:36]
	v_mul_f64 v[31:32], v[11:12], v[35:36]
	s_waitcnt vmcnt(44)
	v_fma_f64 v[35:36], v[1:2], v[53:54], -v[51:52]
	v_add_f64 v[13:14], v[13:14], v[29:30]
	v_fma_f64 v[29:30], v[3:4], v[53:54], v[45:46]
	v_add_f64 v[15:16], v[15:16], v[17:18]
	ds_read_b128 v[1:4], v61 offset:1904
	s_waitcnt vmcnt(43) lgkmcnt(1)
	v_mul_f64 v[37:38], v[7:8], v[57:58]
	v_mul_f64 v[17:18], v[5:6], v[57:58]
	s_waitcnt vmcnt(41)
	v_fma_f64 v[31:32], v[9:10], v[39:40], -v[31:32]
	v_fma_f64 v[23:24], v[11:12], v[39:40], v[23:24]
	ds_read_b128 v[9:12], v61 offset:1920
	v_add_f64 v[13:14], v[13:14], v[35:36]
	v_add_f64 v[15:16], v[15:16], v[29:30]
	s_waitcnt vmcnt(37) lgkmcnt(1)
	v_mul_f64 v[35:36], v[3:4], v[41:42]
	s_waitcnt vmcnt(36)
	v_fma_f64 v[37:38], v[5:6], v[59:60], -v[37:38]
	v_mul_f64 v[29:30], v[1:2], v[41:42]
	v_fma_f64 v[17:18], v[7:8], v[59:60], v[17:18]
	ds_read_b128 v[5:8], v61 offset:1936
	v_add_f64 v[13:14], v[13:14], v[31:32]
	v_add_f64 v[15:16], v[15:16], v[23:24]
	s_waitcnt vmcnt(35) lgkmcnt(1)
	v_mul_f64 v[31:32], v[11:12], v[80:81]
	v_mul_f64 v[23:24], v[9:10], v[80:81]
	s_waitcnt vmcnt(33)
	v_fma_f64 v[35:36], v[1:2], v[47:48], -v[35:36]
	v_fma_f64 v[29:30], v[3:4], v[47:48], v[29:30]
	ds_read_b128 v[1:4], v61 offset:1952
	v_add_f64 v[13:14], v[13:14], v[37:38]
	v_add_f64 v[15:16], v[15:16], v[17:18]
	s_waitcnt vmcnt(29) lgkmcnt(1)
	v_mul_f64 v[37:38], v[7:8], v[49:50]
	s_waitcnt vmcnt(28)
	v_fma_f64 v[31:32], v[9:10], v[84:85], -v[31:32]
	v_mul_f64 v[17:18], v[5:6], v[49:50]
	v_fma_f64 v[23:24], v[11:12], v[84:85], v[23:24]
	ds_read_b128 v[9:12], v61 offset:1968
	v_add_f64 v[13:14], v[13:14], v[35:36]
	v_add_f64 v[15:16], v[15:16], v[29:30]
	;; [unrolled: 18-line block ×3, first 2 shown]
	s_waitcnt vmcnt(19) lgkmcnt(1)
	v_mul_f64 v[37:38], v[7:8], v[82:83]
	v_mul_f64 v[17:18], v[5:6], v[82:83]
	s_waitcnt vmcnt(17)
	v_fma_f64 v[31:32], v[9:10], v[19:20], -v[31:32]
	v_fma_f64 v[19:20], v[11:12], v[19:20], v[23:24]
	ds_read_b128 v[9:12], v61 offset:2016
	v_add_f64 v[13:14], v[13:14], v[35:36]
	v_add_f64 v[15:16], v[15:16], v[29:30]
	s_waitcnt vmcnt(13) lgkmcnt(1)
	v_mul_f64 v[23:24], v[1:2], v[25:26]
	v_mul_f64 v[25:26], v[3:4], v[25:26]
	s_waitcnt vmcnt(12)
	v_fma_f64 v[29:30], v[5:6], v[128:129], -v[37:38]
	v_fma_f64 v[17:18], v[7:8], v[128:129], v[17:18]
	ds_read_b128 v[5:8], v61 offset:2032
	v_add_f64 v[13:14], v[13:14], v[31:32]
	v_add_f64 v[15:16], v[15:16], v[19:20]
	s_waitcnt vmcnt(11) lgkmcnt(1)
	v_mul_f64 v[31:32], v[11:12], v[74:75]
	v_mul_f64 v[19:20], v[9:10], v[74:75]
	s_waitcnt vmcnt(9)
	v_fma_f64 v[1:2], v[1:2], v[21:22], -v[25:26]
	v_fma_f64 v[3:4], v[3:4], v[21:22], v[23:24]
	v_add_f64 v[13:14], v[13:14], v[29:30]
	v_add_f64 v[15:16], v[15:16], v[17:18]
	s_waitcnt vmcnt(7) lgkmcnt(0)
	v_mul_f64 v[21:22], v[7:8], v[62:63]
	s_waitcnt vmcnt(6)
	v_fma_f64 v[9:10], v[9:10], v[126:127], -v[31:32]
	v_mul_f64 v[17:18], v[5:6], v[62:63]
	v_fma_f64 v[11:12], v[11:12], v[126:127], v[19:20]
	v_add_f64 v[1:2], v[13:14], v[1:2]
	v_add_f64 v[3:4], v[15:16], v[3:4]
	s_waitcnt vmcnt(4)
	v_fma_f64 v[5:6], v[5:6], v[27:28], -v[21:22]
	v_fma_f64 v[7:8], v[7:8], v[27:28], v[17:18]
	v_add_f64 v[1:2], v[1:2], v[9:10]
	v_add_f64 v[3:4], v[3:4], v[11:12]
	;; [unrolled: 1-line block ×4, first 2 shown]
	s_waitcnt vmcnt(2)
	v_add_f64 v[1:2], v[33:34], -v[1:2]
	s_waitcnt vmcnt(0)
	v_add_f64 v[3:4], v[43:44], -v[3:4]
	buffer_store_dword v2, off, s[0:3], 0 offset:388
	buffer_store_dword v1, off, s[0:3], 0 offset:384
	;; [unrolled: 1-line block ×4, first 2 shown]
	v_cmpx_lt_u32_e32 22, v0
	s_cbranch_execz .LBB63_365
; %bb.364:
	v_mov_b32_e32 v4, s56
	v_mov_b32_e32 v5, 0
	s_clause 0x3
	buffer_load_dword v1, v4, s[0:3], 0 offen
	buffer_load_dword v2, v4, s[0:3], 0 offen offset:4
	buffer_load_dword v3, v4, s[0:3], 0 offen offset:8
	;; [unrolled: 1-line block ×3, first 2 shown]
	buffer_store_dword v5, off, s[0:3], 0 offset:368
	buffer_store_dword v5, off, s[0:3], 0 offset:372
	;; [unrolled: 1-line block ×4, first 2 shown]
	s_waitcnt vmcnt(0)
	ds_write_b128 v69, v[1:4]
.LBB63_365:
	s_or_b32 exec_lo, exec_lo, s4
	s_waitcnt lgkmcnt(0)
	s_waitcnt_vscnt null, 0x0
	s_barrier
	buffer_gl0_inv
	s_clause 0x37
	buffer_load_dword v9, off, s[0:3], 0 offset:392
	buffer_load_dword v10, off, s[0:3], 0 offset:396
	buffer_load_dword v5, off, s[0:3], 0 offset:408
	buffer_load_dword v6, off, s[0:3], 0 offset:412
	buffer_load_dword v7, off, s[0:3], 0 offset:384
	buffer_load_dword v8, off, s[0:3], 0 offset:388
	buffer_load_dword v3, off, s[0:3], 0 offset:424
	buffer_load_dword v4, off, s[0:3], 0 offset:428
	buffer_load_dword v1, off, s[0:3], 0 offset:400
	buffer_load_dword v2, off, s[0:3], 0 offset:404
	buffer_load_dword v14, off, s[0:3], 0 offset:444
	buffer_load_dword v17, off, s[0:3], 0 offset:456
	buffer_load_dword v11, off, s[0:3], 0 offset:448
	buffer_load_dword v13, off, s[0:3], 0 offset:440
	buffer_load_dword v25, off, s[0:3], 0 offset:416
	buffer_load_dword v26, off, s[0:3], 0 offset:420
	buffer_load_dword v18, off, s[0:3], 0 offset:460
	buffer_load_dword v20, off, s[0:3], 0 offset:436
	buffer_load_dword v19, off, s[0:3], 0 offset:432
	buffer_load_dword v22, off, s[0:3], 0 offset:476
	buffer_load_dword v27, off, s[0:3], 0 offset:488
	buffer_load_dword v15, off, s[0:3], 0 offset:480
	buffer_load_dword v21, off, s[0:3], 0 offset:472
	buffer_load_dword v12, off, s[0:3], 0 offset:452
	buffer_load_dword v28, off, s[0:3], 0 offset:492
	buffer_load_dword v30, off, s[0:3], 0 offset:468
	buffer_load_dword v29, off, s[0:3], 0 offset:464
	buffer_load_dword v32, off, s[0:3], 0 offset:508
	buffer_load_dword v35, off, s[0:3], 0 offset:520
	buffer_load_dword v23, off, s[0:3], 0 offset:512
	buffer_load_dword v31, off, s[0:3], 0 offset:504
	buffer_load_dword v16, off, s[0:3], 0 offset:484
	buffer_load_dword v36, off, s[0:3], 0 offset:524
	buffer_load_dword v38, off, s[0:3], 0 offset:500
	buffer_load_dword v37, off, s[0:3], 0 offset:496
	buffer_load_dword v40, off, s[0:3], 0 offset:540
	buffer_load_dword v43, off, s[0:3], 0 offset:552
	buffer_load_dword v33, off, s[0:3], 0 offset:544
	buffer_load_dword v39, off, s[0:3], 0 offset:536
	buffer_load_dword v24, off, s[0:3], 0 offset:516
	buffer_load_dword v44, off, s[0:3], 0 offset:556
	buffer_load_dword v46, off, s[0:3], 0 offset:532
	buffer_load_dword v45, off, s[0:3], 0 offset:528
	buffer_load_dword v48, off, s[0:3], 0 offset:572
	buffer_load_dword v51, off, s[0:3], 0 offset:584
	buffer_load_dword v41, off, s[0:3], 0 offset:576
	buffer_load_dword v47, off, s[0:3], 0 offset:568
	buffer_load_dword v34, off, s[0:3], 0 offset:548
	buffer_load_dword v52, off, s[0:3], 0 offset:588
	buffer_load_dword v54, off, s[0:3], 0 offset:564
	buffer_load_dword v53, off, s[0:3], 0 offset:560
	buffer_load_dword v56, off, s[0:3], 0 offset:604
	buffer_load_dword v57, off, s[0:3], 0 offset:616
	buffer_load_dword v49, off, s[0:3], 0 offset:608
	buffer_load_dword v55, off, s[0:3], 0 offset:600
	buffer_load_dword v42, off, s[0:3], 0 offset:580
	v_mov_b32_e32 v61, 0
	s_mov_b32 s4, exec_lo
	ds_read_b128 v[62:65], v61 offset:1392
	s_clause 0x2
	buffer_load_dword v58, off, s[0:3], 0 offset:620
	buffer_load_dword v60, off, s[0:3], 0 offset:596
	;; [unrolled: 1-line block ×3, first 2 shown]
	ds_read_b128 v[70:73], v61 offset:1408
	s_clause 0x4
	buffer_load_dword v79, off, s[0:3], 0 offset:636
	buffer_load_dword v80, off, s[0:3], 0 offset:648
	;; [unrolled: 1-line block ×5, first 2 shown]
	ds_read_b128 v[74:77], v61 offset:1424
	s_clause 0x2
	buffer_load_dword v81, off, s[0:3], 0 offset:652
	buffer_load_dword v86, off, s[0:3], 0 offset:628
	;; [unrolled: 1-line block ×3, first 2 shown]
	s_waitcnt vmcnt(62) lgkmcnt(2)
	v_mul_f64 v[66:67], v[64:65], v[9:10]
	v_mul_f64 v[9:10], v[62:63], v[9:10]
	s_waitcnt lgkmcnt(1)
	v_mul_f64 v[83:84], v[72:73], v[5:6]
	s_waitcnt vmcnt(59) lgkmcnt(0)
	v_mul_f64 v[126:127], v[76:77], v[3:4]
	v_fma_f64 v[62:63], v[62:63], v[7:8], -v[66:67]
	v_mul_f64 v[66:67], v[70:71], v[5:6]
	v_fma_f64 v[9:10], v[64:65], v[7:8], v[9:10]
	s_waitcnt vmcnt(57)
	v_fma_f64 v[70:71], v[70:71], v[1:2], -v[83:84]
	ds_read_b128 v[5:8], v61 offset:1440
	v_mul_f64 v[64:65], v[74:75], v[3:4]
	s_waitcnt vmcnt(51)
	v_fma_f64 v[74:75], v[74:75], v[25:26], -v[126:127]
	v_add_f64 v[62:63], v[62:63], 0
	v_fma_f64 v[66:67], v[72:73], v[1:2], v[66:67]
	v_add_f64 v[9:10], v[9:10], 0
	s_clause 0x4
	buffer_load_dword v73, off, s[0:3], 0 offset:668
	buffer_load_dword v128, off, s[0:3], 0 offset:680
	;; [unrolled: 1-line block ×5, first 2 shown]
	s_waitcnt lgkmcnt(0)
	v_mul_f64 v[131:132], v[5:6], v[13:14]
	v_mul_f64 v[13:14], v[7:8], v[13:14]
	ds_read_b128 v[1:4], v61 offset:1456
	v_fma_f64 v[25:26], v[76:77], v[25:26], v[64:65]
	v_add_f64 v[70:71], v[62:63], v[70:71]
	v_add_f64 v[9:10], v[9:10], v[66:67]
	s_clause 0x2
	buffer_load_dword v129, off, s[0:3], 0 offset:684
	buffer_load_dword v67, off, s[0:3], 0 offset:660
	;; [unrolled: 1-line block ×3, first 2 shown]
	s_waitcnt vmcnt(58) lgkmcnt(0)
	v_mul_f64 v[76:77], v[1:2], v[17:18]
	v_mul_f64 v[17:18], v[3:4], v[17:18]
	s_waitcnt vmcnt(56)
	v_fma_f64 v[13:14], v[5:6], v[19:20], -v[13:14]
	ds_read_b128 v[62:65], v61 offset:1472
	v_fma_f64 v[19:20], v[7:8], v[19:20], v[131:132]
	v_add_f64 v[70:71], v[70:71], v[74:75]
	v_add_f64 v[9:10], v[9:10], v[25:26]
	s_clause 0x4
	buffer_load_dword v26, off, s[0:3], 0 offset:700
	buffer_load_dword v74, off, s[0:3], 0 offset:712
	;; [unrolled: 1-line block ×5, first 2 shown]
	ds_read_b128 v[5:8], v61 offset:1488
	s_waitcnt vmcnt(57) lgkmcnt(1)
	v_mul_f64 v[132:133], v[62:63], v[21:22]
	v_mul_f64 v[21:22], v[64:65], v[21:22]
	s_waitcnt vmcnt(56)
	v_fma_f64 v[17:18], v[1:2], v[11:12], -v[17:18]
	v_fma_f64 v[11:12], v[3:4], v[11:12], v[76:77]
	v_add_f64 v[13:14], v[70:71], v[13:14]
	v_add_f64 v[9:10], v[9:10], v[19:20]
	s_clause 0x2
	buffer_load_dword v75, off, s[0:3], 0 offset:716
	buffer_load_dword v20, off, s[0:3], 0 offset:692
	;; [unrolled: 1-line block ×3, first 2 shown]
	s_waitcnt vmcnt(58) lgkmcnt(0)
	v_mul_f64 v[70:71], v[5:6], v[27:28]
	v_mul_f64 v[27:28], v[7:8], v[27:28]
	s_waitcnt vmcnt(56)
	v_fma_f64 v[21:22], v[62:63], v[29:30], -v[21:22]
	ds_read_b128 v[1:4], v61 offset:1504
	v_add_f64 v[13:14], v[13:14], v[17:18]
	v_fma_f64 v[17:18], v[64:65], v[29:30], v[132:133]
	v_add_f64 v[29:30], v[9:10], v[11:12]
	s_clause 0x4
	buffer_load_dword v63, off, s[0:3], 0 offset:732
	buffer_load_dword v64, off, s[0:3], 0 offset:744
	;; [unrolled: 1-line block ×5, first 2 shown]
	ds_read_b128 v[9:12], v61 offset:1520
	s_waitcnt vmcnt(57) lgkmcnt(1)
	v_mul_f64 v[132:133], v[1:2], v[31:32]
	v_mul_f64 v[31:32], v[3:4], v[31:32]
	s_waitcnt vmcnt(56)
	v_fma_f64 v[27:28], v[5:6], v[15:16], -v[27:28]
	v_fma_f64 v[15:16], v[7:8], v[15:16], v[70:71]
	v_add_f64 v[13:14], v[13:14], v[21:22]
	s_clause 0x2
	buffer_load_dword v65, off, s[0:3], 0 offset:748
	buffer_load_dword v22, off, s[0:3], 0 offset:724
	;; [unrolled: 1-line block ×3, first 2 shown]
	v_add_f64 v[17:18], v[29:30], v[17:18]
	s_waitcnt vmcnt(58) lgkmcnt(0)
	v_mul_f64 v[29:30], v[9:10], v[35:36]
	v_mul_f64 v[35:36], v[11:12], v[35:36]
	ds_read_b128 v[5:8], v61 offset:1536
	s_waitcnt vmcnt(56)
	v_fma_f64 v[31:32], v[1:2], v[37:38], -v[31:32]
	v_add_f64 v[13:14], v[13:14], v[27:28]
	v_fma_f64 v[27:28], v[3:4], v[37:38], v[132:133]
	v_add_f64 v[15:16], v[17:18], v[15:16]
	s_clause 0x4
	buffer_load_dword v18, off, s[0:3], 0 offset:764
	buffer_load_dword v37, off, s[0:3], 0 offset:776
	;; [unrolled: 1-line block ×5, first 2 shown]
	s_waitcnt vmcnt(57) lgkmcnt(0)
	v_mul_f64 v[132:133], v[5:6], v[39:40]
	v_mul_f64 v[39:40], v[7:8], v[39:40]
	s_waitcnt vmcnt(56)
	v_fma_f64 v[35:36], v[9:10], v[23:24], -v[35:36]
	ds_read_b128 v[1:4], v61 offset:1552
	v_fma_f64 v[23:24], v[11:12], v[23:24], v[29:30]
	v_add_f64 v[13:14], v[13:14], v[31:32]
	v_add_f64 v[15:16], v[15:16], v[27:28]
	s_clause 0x2
	buffer_load_dword v38, off, s[0:3], 0 offset:780
	buffer_load_dword v28, off, s[0:3], 0 offset:756
	;; [unrolled: 1-line block ×3, first 2 shown]
	ds_read_b128 v[9:12], v61 offset:1568
	s_waitcnt vmcnt(58) lgkmcnt(1)
	v_mul_f64 v[31:32], v[3:4], v[43:44]
	s_waitcnt vmcnt(56)
	v_fma_f64 v[39:40], v[5:6], v[45:46], -v[39:40]
	v_mul_f64 v[29:30], v[1:2], v[43:44]
	v_add_f64 v[13:14], v[13:14], v[35:36]
	v_fma_f64 v[35:36], v[7:8], v[45:46], v[132:133]
	v_add_f64 v[15:16], v[15:16], v[23:24]
	s_clause 0x4
	buffer_load_dword v24, off, s[0:3], 0 offset:796
	buffer_load_dword v43, off, s[0:3], 0 offset:808
	;; [unrolled: 1-line block ×5, first 2 shown]
	s_waitcnt vmcnt(57) lgkmcnt(0)
	v_mul_f64 v[132:133], v[9:10], v[47:48]
	v_mul_f64 v[46:47], v[11:12], v[47:48]
	s_waitcnt vmcnt(56)
	v_fma_f64 v[31:32], v[1:2], v[33:34], -v[31:32]
	ds_read_b128 v[5:8], v61 offset:1584
	v_fma_f64 v[29:30], v[3:4], v[33:34], v[29:30]
	s_clause 0x2
	buffer_load_dword v44, off, s[0:3], 0 offset:812
	buffer_load_dword v34, off, s[0:3], 0 offset:788
	;; [unrolled: 1-line block ×3, first 2 shown]
	ds_read_b128 v[1:4], v61 offset:1600
	v_add_f64 v[13:14], v[13:14], v[39:40]
	v_add_f64 v[15:16], v[15:16], v[35:36]
	s_waitcnt vmcnt(58) lgkmcnt(1)
	v_mul_f64 v[39:40], v[7:8], v[51:52]
	s_waitcnt vmcnt(56)
	v_fma_f64 v[47:48], v[9:10], v[53:54], -v[46:47]
	v_mul_f64 v[35:36], v[5:6], v[51:52]
	v_add_f64 v[13:14], v[13:14], v[31:32]
	v_fma_f64 v[31:32], v[11:12], v[53:54], v[132:133]
	v_add_f64 v[15:16], v[15:16], v[29:30]
	s_clause 0x4
	buffer_load_dword v30, off, s[0:3], 0 offset:828
	buffer_load_dword v51, off, s[0:3], 0 offset:840
	;; [unrolled: 1-line block ×5, first 2 shown]
	s_waitcnt vmcnt(57) lgkmcnt(0)
	v_mul_f64 v[132:133], v[1:2], v[55:56]
	v_mul_f64 v[54:55], v[3:4], v[55:56]
	s_waitcnt vmcnt(56)
	v_fma_f64 v[39:40], v[5:6], v[41:42], -v[39:40]
	ds_read_b128 v[9:12], v61 offset:1616
	v_fma_f64 v[35:36], v[7:8], v[41:42], v[35:36]
	v_add_f64 v[13:14], v[13:14], v[47:48]
	v_add_f64 v[15:16], v[15:16], v[31:32]
	s_clause 0x2
	buffer_load_dword v52, off, s[0:3], 0 offset:844
	buffer_load_dword v32, off, s[0:3], 0 offset:820
	;; [unrolled: 1-line block ×3, first 2 shown]
	ds_read_b128 v[5:8], v61 offset:1632
	s_waitcnt vmcnt(58) lgkmcnt(1)
	v_mul_f64 v[47:48], v[11:12], v[57:58]
	s_waitcnt vmcnt(56)
	v_fma_f64 v[55:56], v[1:2], v[59:60], -v[54:55]
	v_mul_f64 v[41:42], v[9:10], v[57:58]
	v_add_f64 v[13:14], v[13:14], v[39:40]
	v_fma_f64 v[39:40], v[3:4], v[59:60], v[132:133]
	v_add_f64 v[15:16], v[15:16], v[35:36]
	s_clause 0x4
	buffer_load_dword v36, off, s[0:3], 0 offset:860
	buffer_load_dword v57, off, s[0:3], 0 offset:872
	;; [unrolled: 1-line block ×5, first 2 shown]
	s_waitcnt vmcnt(57) lgkmcnt(0)
	v_mul_f64 v[132:133], v[5:6], v[78:79]
	v_mul_f64 v[78:79], v[7:8], v[78:79]
	s_waitcnt vmcnt(56)
	v_fma_f64 v[47:48], v[9:10], v[49:50], -v[47:48]
	ds_read_b128 v[1:4], v61 offset:1648
	v_fma_f64 v[41:42], v[11:12], v[49:50], v[41:42]
	v_add_f64 v[13:14], v[13:14], v[55:56]
	v_add_f64 v[15:16], v[15:16], v[39:40]
	s_clause 0x2
	buffer_load_dword v58, off, s[0:3], 0 offset:876
	buffer_load_dword v40, off, s[0:3], 0 offset:852
	;; [unrolled: 1-line block ×3, first 2 shown]
	ds_read_b128 v[9:12], v61 offset:1664
	s_waitcnt vmcnt(58) lgkmcnt(1)
	v_mul_f64 v[55:56], v[3:4], v[80:81]
	s_waitcnt vmcnt(56)
	v_fma_f64 v[78:79], v[5:6], v[85:86], -v[78:79]
	v_mul_f64 v[49:50], v[1:2], v[80:81]
	v_add_f64 v[13:14], v[13:14], v[47:48]
	v_fma_f64 v[47:48], v[7:8], v[85:86], v[132:133]
	v_add_f64 v[15:16], v[15:16], v[41:42]
	s_clause 0x4
	buffer_load_dword v42, off, s[0:3], 0 offset:892
	buffer_load_dword v80, off, s[0:3], 0 offset:904
	;; [unrolled: 1-line block ×5, first 2 shown]
	ds_read_b128 v[5:8], v61 offset:1680
	s_waitcnt vmcnt(57) lgkmcnt(1)
	v_mul_f64 v[85:86], v[9:10], v[72:73]
	v_mul_f64 v[72:73], v[11:12], v[72:73]
	s_waitcnt vmcnt(56)
	v_fma_f64 v[55:56], v[1:2], v[82:83], -v[55:56]
	v_fma_f64 v[49:50], v[3:4], v[82:83], v[49:50]
	v_add_f64 v[13:14], v[13:14], v[78:79]
	v_add_f64 v[15:16], v[15:16], v[47:48]
	s_clause 0x2
	buffer_load_dword v81, off, s[0:3], 0 offset:908
	buffer_load_dword v48, off, s[0:3], 0 offset:884
	;; [unrolled: 1-line block ×3, first 2 shown]
	ds_read_b128 v[1:4], v61 offset:1696
	s_waitcnt vmcnt(58) lgkmcnt(1)
	v_mul_f64 v[82:83], v[7:8], v[128:129]
	v_mul_f64 v[78:79], v[5:6], v[128:129]
	s_waitcnt vmcnt(56)
	v_fma_f64 v[72:73], v[9:10], v[66:67], -v[72:73]
	v_add_f64 v[13:14], v[13:14], v[55:56]
	v_fma_f64 v[55:56], v[11:12], v[66:67], v[85:86]
	v_add_f64 v[15:16], v[15:16], v[49:50]
	s_clause 0x4
	buffer_load_dword v50, off, s[0:3], 0 offset:924
	buffer_load_dword v66, off, s[0:3], 0 offset:936
	buffer_load_dword v86, off, s[0:3], 0 offset:928
	buffer_load_dword v49, off, s[0:3], 0 offset:920
	buffer_load_dword v85, off, s[0:3], 0 offset:900
	ds_read_b128 v[9:12], v61 offset:1712
	s_waitcnt vmcnt(57) lgkmcnt(1)
	v_mul_f64 v[128:129], v[1:2], v[25:26]
	v_mul_f64 v[25:26], v[3:4], v[25:26]
	s_waitcnt vmcnt(56)
	v_fma_f64 v[82:83], v[5:6], v[130:131], -v[82:83]
	v_add_f64 v[13:14], v[13:14], v[72:73]
	v_fma_f64 v[72:73], v[7:8], v[130:131], v[78:79]
	v_add_f64 v[15:16], v[15:16], v[55:56]
	s_clause 0x2
	buffer_load_dword v67, off, s[0:3], 0 offset:940
	buffer_load_dword v56, off, s[0:3], 0 offset:916
	buffer_load_dword v55, off, s[0:3], 0 offset:912
	ds_read_b128 v[5:8], v61 offset:1728
	s_waitcnt vmcnt(58) lgkmcnt(1)
	v_mul_f64 v[78:79], v[9:10], v[74:75]
	v_mul_f64 v[74:75], v[11:12], v[74:75]
	s_waitcnt vmcnt(56)
	v_fma_f64 v[25:26], v[1:2], v[19:20], -v[25:26]
	v_fma_f64 v[19:20], v[3:4], v[19:20], v[128:129]
	v_add_f64 v[13:14], v[13:14], v[82:83]
	v_add_f64 v[15:16], v[15:16], v[72:73]
	s_clause 0x4
	buffer_load_dword v73, off, s[0:3], 0 offset:956
	buffer_load_dword v82, off, s[0:3], 0 offset:968
	buffer_load_dword v128, off, s[0:3], 0 offset:960
	buffer_load_dword v72, off, s[0:3], 0 offset:952
	buffer_load_dword v87, off, s[0:3], 0 offset:932
	ds_read_b128 v[1:4], v61 offset:1744
	s_waitcnt vmcnt(57) lgkmcnt(1)
	v_mul_f64 v[129:130], v[5:6], v[62:63]
	v_mul_f64 v[62:63], v[7:8], v[62:63]
	s_waitcnt vmcnt(56)
	v_fma_f64 v[74:75], v[9:10], v[126:127], -v[74:75]
	v_add_f64 v[13:14], v[13:14], v[25:26]
	v_fma_f64 v[25:26], v[11:12], v[126:127], v[78:79]
	v_add_f64 v[15:16], v[15:16], v[19:20]
	s_clause 0x2
	buffer_load_dword v83, off, s[0:3], 0 offset:972
	buffer_load_dword v20, off, s[0:3], 0 offset:948
	buffer_load_dword v19, off, s[0:3], 0 offset:944
	ds_read_b128 v[9:12], v61 offset:1760
	s_waitcnt vmcnt(58) lgkmcnt(1)
	v_mul_f64 v[78:79], v[1:2], v[64:65]
	v_mul_f64 v[64:65], v[3:4], v[64:65]
	s_waitcnt vmcnt(56)
	v_fma_f64 v[62:63], v[5:6], v[21:22], -v[62:63]
	v_fma_f64 v[21:22], v[7:8], v[21:22], v[129:130]
	v_add_f64 v[13:14], v[13:14], v[74:75]
	;; [unrolled: 28-line block ×3, first 2 shown]
	v_add_f64 v[15:16], v[15:16], v[62:63]
	s_clause 0x4
	buffer_load_dword v63, off, s[0:3], 0 offset:1020
	buffer_load_dword v64, off, s[0:3], 0 offset:1032
	;; [unrolled: 1-line block ×5, first 2 shown]
	ds_read_b128 v[9:12], v61 offset:1808
	s_waitcnt vmcnt(57) lgkmcnt(1)
	v_mul_f64 v[130:131], v[1:2], v[23:24]
	v_mul_f64 v[23:24], v[3:4], v[23:24]
	s_waitcnt vmcnt(56)
	v_fma_f64 v[37:38], v[5:6], v[70:71], -v[37:38]
	v_add_f64 v[13:14], v[13:14], v[17:18]
	v_fma_f64 v[17:18], v[7:8], v[70:71], v[76:77]
	v_add_f64 v[15:16], v[15:16], v[27:28]
	s_clause 0x2
	buffer_load_dword v65, off, s[0:3], 0 offset:1036
	buffer_load_dword v28, off, s[0:3], 0 offset:1012
	;; [unrolled: 1-line block ×3, first 2 shown]
	s_waitcnt vmcnt(58) lgkmcnt(0)
	v_mul_f64 v[70:71], v[9:10], v[43:44]
	v_mul_f64 v[43:44], v[11:12], v[43:44]
	ds_read_b128 v[5:8], v61 offset:1824
	buffer_load_dword v79, off, s[0:3], 0 offset:1028
	s_waitcnt vmcnt(57)
	v_fma_f64 v[23:24], v[1:2], v[33:34], -v[23:24]
	v_fma_f64 v[33:34], v[3:4], v[33:34], v[130:131]
	ds_read_b128 v[1:4], v61 offset:1840
	v_add_f64 v[13:14], v[13:14], v[37:38]
	v_add_f64 v[15:16], v[15:16], v[17:18]
	s_waitcnt vmcnt(53) lgkmcnt(1)
	v_mul_f64 v[17:18], v[5:6], v[29:30]
	v_mul_f64 v[29:30], v[7:8], v[29:30]
	s_waitcnt vmcnt(52)
	v_fma_f64 v[37:38], v[9:10], v[45:46], -v[43:44]
	v_add_f64 v[13:14], v[13:14], v[23:24]
	v_fma_f64 v[23:24], v[11:12], v[45:46], v[70:71]
	v_add_f64 v[15:16], v[15:16], v[33:34]
	ds_read_b128 v[9:12], v61 offset:1856
	s_waitcnt vmcnt(51) lgkmcnt(1)
	v_mul_f64 v[43:44], v[3:4], v[51:52]
	v_mul_f64 v[33:34], v[1:2], v[51:52]
	s_waitcnt vmcnt(49)
	v_fma_f64 v[29:30], v[5:6], v[31:32], -v[29:30]
	v_fma_f64 v[17:18], v[7:8], v[31:32], v[17:18]
	v_add_f64 v[13:14], v[13:14], v[37:38]
	v_add_f64 v[15:16], v[15:16], v[23:24]
	s_clause 0x3
	buffer_load_dword v23, off, s[0:3], 0 offset:368
	buffer_load_dword v24, off, s[0:3], 0 offset:372
	;; [unrolled: 1-line block ×4, first 2 shown]
	ds_read_b128 v[5:8], v61 offset:1872
	s_waitcnt vmcnt(49) lgkmcnt(1)
	v_mul_f64 v[37:38], v[9:10], v[35:36]
	v_mul_f64 v[35:36], v[11:12], v[35:36]
	s_waitcnt vmcnt(48)
	v_fma_f64 v[43:44], v[1:2], v[53:54], -v[43:44]
	v_add_f64 v[13:14], v[13:14], v[29:30]
	v_fma_f64 v[29:30], v[3:4], v[53:54], v[33:34]
	v_add_f64 v[15:16], v[15:16], v[17:18]
	ds_read_b128 v[1:4], v61 offset:1888
	s_waitcnt vmcnt(47) lgkmcnt(1)
	v_mul_f64 v[33:34], v[7:8], v[57:58]
	v_mul_f64 v[17:18], v[5:6], v[57:58]
	s_waitcnt vmcnt(45)
	v_fma_f64 v[35:36], v[9:10], v[39:40], -v[35:36]
	v_fma_f64 v[37:38], v[11:12], v[39:40], v[37:38]
	ds_read_b128 v[9:12], v61 offset:1904
	v_add_f64 v[13:14], v[13:14], v[43:44]
	v_add_f64 v[15:16], v[15:16], v[29:30]
	s_waitcnt vmcnt(41) lgkmcnt(1)
	v_mul_f64 v[39:40], v[3:4], v[41:42]
	s_waitcnt vmcnt(40)
	v_fma_f64 v[33:34], v[5:6], v[59:60], -v[33:34]
	v_mul_f64 v[29:30], v[1:2], v[41:42]
	v_fma_f64 v[17:18], v[7:8], v[59:60], v[17:18]
	ds_read_b128 v[5:8], v61 offset:1920
	v_add_f64 v[13:14], v[13:14], v[35:36]
	v_add_f64 v[15:16], v[15:16], v[37:38]
	s_waitcnt vmcnt(39) lgkmcnt(1)
	v_mul_f64 v[37:38], v[11:12], v[80:81]
	v_mul_f64 v[35:36], v[9:10], v[80:81]
	s_waitcnt vmcnt(37)
	v_fma_f64 v[39:40], v[1:2], v[47:48], -v[39:40]
	v_fma_f64 v[29:30], v[3:4], v[47:48], v[29:30]
	ds_read_b128 v[1:4], v61 offset:1936
	v_add_f64 v[13:14], v[13:14], v[33:34]
	v_add_f64 v[15:16], v[15:16], v[17:18]
	s_waitcnt vmcnt(33) lgkmcnt(1)
	v_mul_f64 v[33:34], v[7:8], v[49:50]
	s_waitcnt vmcnt(32)
	v_fma_f64 v[37:38], v[9:10], v[84:85], -v[37:38]
	v_mul_f64 v[17:18], v[5:6], v[49:50]
	v_fma_f64 v[35:36], v[11:12], v[84:85], v[35:36]
	ds_read_b128 v[9:12], v61 offset:1952
	v_add_f64 v[13:14], v[13:14], v[39:40]
	v_add_f64 v[15:16], v[15:16], v[29:30]
	;; [unrolled: 18-line block ×3, first 2 shown]
	s_waitcnt vmcnt(23) lgkmcnt(1)
	v_mul_f64 v[33:34], v[7:8], v[82:83]
	v_mul_f64 v[17:18], v[5:6], v[82:83]
	s_waitcnt vmcnt(21)
	v_fma_f64 v[37:38], v[9:10], v[19:20], -v[37:38]
	v_fma_f64 v[19:20], v[11:12], v[19:20], v[35:36]
	ds_read_b128 v[9:12], v61 offset:2000
	v_add_f64 v[13:14], v[13:14], v[39:40]
	v_add_f64 v[15:16], v[15:16], v[29:30]
	s_waitcnt vmcnt(17) lgkmcnt(1)
	v_mul_f64 v[29:30], v[1:2], v[25:26]
	v_mul_f64 v[25:26], v[3:4], v[25:26]
	s_waitcnt vmcnt(16)
	v_fma_f64 v[33:34], v[5:6], v[128:129], -v[33:34]
	v_fma_f64 v[17:18], v[7:8], v[128:129], v[17:18]
	ds_read_b128 v[5:8], v61 offset:2016
	v_add_f64 v[13:14], v[13:14], v[37:38]
	v_add_f64 v[15:16], v[15:16], v[19:20]
	;; [unrolled: 9-line block ×3, first 2 shown]
	s_waitcnt vmcnt(9) lgkmcnt(1)
	v_mul_f64 v[29:30], v[7:8], v[62:63]
	s_waitcnt vmcnt(8)
	v_fma_f64 v[9:10], v[9:10], v[126:127], -v[35:36]
	v_mul_f64 v[17:18], v[5:6], v[62:63]
	v_fma_f64 v[11:12], v[11:12], v[126:127], v[19:20]
	v_add_f64 v[13:14], v[13:14], v[25:26]
	v_add_f64 v[15:16], v[15:16], v[21:22]
	s_waitcnt vmcnt(7) lgkmcnt(0)
	v_mul_f64 v[21:22], v[3:4], v[64:65]
	v_mul_f64 v[19:20], v[1:2], v[64:65]
	s_waitcnt vmcnt(5)
	v_fma_f64 v[5:6], v[5:6], v[27:28], -v[29:30]
	v_fma_f64 v[7:8], v[7:8], v[27:28], v[17:18]
	v_add_f64 v[9:10], v[13:14], v[9:10]
	v_add_f64 v[11:12], v[15:16], v[11:12]
	s_waitcnt vmcnt(4)
	v_fma_f64 v[1:2], v[1:2], v[78:79], -v[21:22]
	v_fma_f64 v[3:4], v[3:4], v[78:79], v[19:20]
	v_add_f64 v[5:6], v[9:10], v[5:6]
	v_add_f64 v[7:8], v[11:12], v[7:8]
	;; [unrolled: 1-line block ×4, first 2 shown]
	s_waitcnt vmcnt(2)
	v_add_f64 v[1:2], v[23:24], -v[1:2]
	s_waitcnt vmcnt(0)
	v_add_f64 v[3:4], v[31:32], -v[3:4]
	buffer_store_dword v2, off, s[0:3], 0 offset:372
	buffer_store_dword v1, off, s[0:3], 0 offset:368
	;; [unrolled: 1-line block ×4, first 2 shown]
	v_cmpx_lt_u32_e32 21, v0
	s_cbranch_execz .LBB63_367
; %bb.366:
	v_mov_b32_e32 v4, s57
	s_clause 0x3
	buffer_load_dword v1, v4, s[0:3], 0 offen
	buffer_load_dword v2, v4, s[0:3], 0 offen offset:4
	buffer_load_dword v3, v4, s[0:3], 0 offen offset:8
	;; [unrolled: 1-line block ×3, first 2 shown]
	buffer_store_dword v61, off, s[0:3], 0 offset:352
	buffer_store_dword v61, off, s[0:3], 0 offset:356
	;; [unrolled: 1-line block ×4, first 2 shown]
	s_waitcnt vmcnt(0)
	ds_write_b128 v69, v[1:4]
.LBB63_367:
	s_or_b32 exec_lo, exec_lo, s4
	s_waitcnt lgkmcnt(0)
	s_waitcnt_vscnt null, 0x0
	s_barrier
	buffer_gl0_inv
	s_clause 0x37
	buffer_load_dword v9, off, s[0:3], 0 offset:376
	buffer_load_dword v10, off, s[0:3], 0 offset:380
	;; [unrolled: 1-line block ×56, first 2 shown]
	ds_read_b128 v[62:65], v61 offset:1376
	s_clause 0x2
	buffer_load_dword v58, off, s[0:3], 0 offset:604
	buffer_load_dword v60, off, s[0:3], 0 offset:580
	;; [unrolled: 1-line block ×3, first 2 shown]
	ds_read_b128 v[70:73], v61 offset:1392
	s_clause 0x4
	buffer_load_dword v79, off, s[0:3], 0 offset:620
	buffer_load_dword v80, off, s[0:3], 0 offset:632
	;; [unrolled: 1-line block ×5, first 2 shown]
	ds_read_b128 v[74:77], v61 offset:1408
	s_clause 0x2
	buffer_load_dword v81, off, s[0:3], 0 offset:636
	buffer_load_dword v86, off, s[0:3], 0 offset:612
	;; [unrolled: 1-line block ×3, first 2 shown]
	s_mov_b32 s4, exec_lo
	s_waitcnt vmcnt(62) lgkmcnt(2)
	v_mul_f64 v[66:67], v[64:65], v[9:10]
	v_mul_f64 v[9:10], v[62:63], v[9:10]
	s_waitcnt lgkmcnt(1)
	v_mul_f64 v[83:84], v[72:73], v[5:6]
	s_waitcnt vmcnt(59) lgkmcnt(0)
	v_mul_f64 v[126:127], v[76:77], v[3:4]
	v_fma_f64 v[62:63], v[62:63], v[7:8], -v[66:67]
	v_mul_f64 v[66:67], v[70:71], v[5:6]
	v_fma_f64 v[9:10], v[64:65], v[7:8], v[9:10]
	s_waitcnt vmcnt(57)
	v_fma_f64 v[70:71], v[70:71], v[1:2], -v[83:84]
	ds_read_b128 v[5:8], v61 offset:1424
	v_mul_f64 v[64:65], v[74:75], v[3:4]
	s_waitcnt vmcnt(51)
	v_fma_f64 v[74:75], v[74:75], v[25:26], -v[126:127]
	v_add_f64 v[62:63], v[62:63], 0
	v_fma_f64 v[66:67], v[72:73], v[1:2], v[66:67]
	v_add_f64 v[9:10], v[9:10], 0
	s_clause 0x4
	buffer_load_dword v73, off, s[0:3], 0 offset:652
	buffer_load_dword v128, off, s[0:3], 0 offset:664
	;; [unrolled: 1-line block ×5, first 2 shown]
	s_waitcnt lgkmcnt(0)
	v_mul_f64 v[131:132], v[5:6], v[13:14]
	v_mul_f64 v[13:14], v[7:8], v[13:14]
	ds_read_b128 v[1:4], v61 offset:1440
	v_fma_f64 v[25:26], v[76:77], v[25:26], v[64:65]
	v_add_f64 v[70:71], v[62:63], v[70:71]
	v_add_f64 v[9:10], v[9:10], v[66:67]
	s_clause 0x2
	buffer_load_dword v129, off, s[0:3], 0 offset:668
	buffer_load_dword v67, off, s[0:3], 0 offset:644
	buffer_load_dword v66, off, s[0:3], 0 offset:640
	s_waitcnt vmcnt(58) lgkmcnt(0)
	v_mul_f64 v[76:77], v[1:2], v[17:18]
	v_mul_f64 v[17:18], v[3:4], v[17:18]
	s_waitcnt vmcnt(56)
	v_fma_f64 v[13:14], v[5:6], v[19:20], -v[13:14]
	ds_read_b128 v[62:65], v61 offset:1456
	v_fma_f64 v[19:20], v[7:8], v[19:20], v[131:132]
	v_add_f64 v[70:71], v[70:71], v[74:75]
	v_add_f64 v[9:10], v[9:10], v[25:26]
	s_clause 0x4
	buffer_load_dword v26, off, s[0:3], 0 offset:684
	buffer_load_dword v74, off, s[0:3], 0 offset:696
	;; [unrolled: 1-line block ×5, first 2 shown]
	ds_read_b128 v[5:8], v61 offset:1472
	s_waitcnt vmcnt(57) lgkmcnt(1)
	v_mul_f64 v[132:133], v[62:63], v[21:22]
	v_mul_f64 v[21:22], v[64:65], v[21:22]
	s_waitcnt vmcnt(56)
	v_fma_f64 v[17:18], v[1:2], v[11:12], -v[17:18]
	v_fma_f64 v[11:12], v[3:4], v[11:12], v[76:77]
	v_add_f64 v[13:14], v[70:71], v[13:14]
	v_add_f64 v[9:10], v[9:10], v[19:20]
	s_clause 0x2
	buffer_load_dword v75, off, s[0:3], 0 offset:700
	buffer_load_dword v20, off, s[0:3], 0 offset:676
	buffer_load_dword v19, off, s[0:3], 0 offset:672
	s_waitcnt vmcnt(58) lgkmcnt(0)
	v_mul_f64 v[70:71], v[5:6], v[27:28]
	v_mul_f64 v[27:28], v[7:8], v[27:28]
	s_waitcnt vmcnt(56)
	v_fma_f64 v[21:22], v[62:63], v[29:30], -v[21:22]
	ds_read_b128 v[1:4], v61 offset:1488
	v_add_f64 v[13:14], v[13:14], v[17:18]
	v_fma_f64 v[17:18], v[64:65], v[29:30], v[132:133]
	v_add_f64 v[29:30], v[9:10], v[11:12]
	s_clause 0x4
	buffer_load_dword v63, off, s[0:3], 0 offset:716
	buffer_load_dword v64, off, s[0:3], 0 offset:728
	;; [unrolled: 1-line block ×5, first 2 shown]
	ds_read_b128 v[9:12], v61 offset:1504
	s_waitcnt vmcnt(57) lgkmcnt(1)
	v_mul_f64 v[132:133], v[1:2], v[31:32]
	v_mul_f64 v[31:32], v[3:4], v[31:32]
	s_waitcnt vmcnt(56)
	v_fma_f64 v[27:28], v[5:6], v[15:16], -v[27:28]
	v_fma_f64 v[15:16], v[7:8], v[15:16], v[70:71]
	v_add_f64 v[13:14], v[13:14], v[21:22]
	s_clause 0x2
	buffer_load_dword v65, off, s[0:3], 0 offset:732
	buffer_load_dword v22, off, s[0:3], 0 offset:708
	;; [unrolled: 1-line block ×3, first 2 shown]
	v_add_f64 v[17:18], v[29:30], v[17:18]
	s_waitcnt vmcnt(58) lgkmcnt(0)
	v_mul_f64 v[29:30], v[9:10], v[35:36]
	v_mul_f64 v[35:36], v[11:12], v[35:36]
	ds_read_b128 v[5:8], v61 offset:1520
	s_waitcnt vmcnt(56)
	v_fma_f64 v[31:32], v[1:2], v[37:38], -v[31:32]
	v_add_f64 v[13:14], v[13:14], v[27:28]
	v_fma_f64 v[27:28], v[3:4], v[37:38], v[132:133]
	v_add_f64 v[15:16], v[17:18], v[15:16]
	s_clause 0x4
	buffer_load_dword v18, off, s[0:3], 0 offset:748
	buffer_load_dword v37, off, s[0:3], 0 offset:760
	;; [unrolled: 1-line block ×5, first 2 shown]
	s_waitcnt vmcnt(57) lgkmcnt(0)
	v_mul_f64 v[132:133], v[5:6], v[39:40]
	v_mul_f64 v[39:40], v[7:8], v[39:40]
	s_waitcnt vmcnt(56)
	v_fma_f64 v[35:36], v[9:10], v[23:24], -v[35:36]
	ds_read_b128 v[1:4], v61 offset:1536
	v_fma_f64 v[23:24], v[11:12], v[23:24], v[29:30]
	v_add_f64 v[13:14], v[13:14], v[31:32]
	v_add_f64 v[15:16], v[15:16], v[27:28]
	s_clause 0x2
	buffer_load_dword v38, off, s[0:3], 0 offset:764
	buffer_load_dword v28, off, s[0:3], 0 offset:740
	;; [unrolled: 1-line block ×3, first 2 shown]
	ds_read_b128 v[9:12], v61 offset:1552
	s_waitcnt vmcnt(58) lgkmcnt(1)
	v_mul_f64 v[31:32], v[3:4], v[43:44]
	s_waitcnt vmcnt(56)
	v_fma_f64 v[39:40], v[5:6], v[45:46], -v[39:40]
	v_mul_f64 v[29:30], v[1:2], v[43:44]
	v_add_f64 v[13:14], v[13:14], v[35:36]
	v_fma_f64 v[35:36], v[7:8], v[45:46], v[132:133]
	v_add_f64 v[15:16], v[15:16], v[23:24]
	s_clause 0x4
	buffer_load_dword v24, off, s[0:3], 0 offset:780
	buffer_load_dword v43, off, s[0:3], 0 offset:792
	;; [unrolled: 1-line block ×5, first 2 shown]
	s_waitcnt vmcnt(57) lgkmcnt(0)
	v_mul_f64 v[132:133], v[9:10], v[47:48]
	v_mul_f64 v[46:47], v[11:12], v[47:48]
	s_waitcnt vmcnt(56)
	v_fma_f64 v[31:32], v[1:2], v[33:34], -v[31:32]
	ds_read_b128 v[5:8], v61 offset:1568
	v_fma_f64 v[29:30], v[3:4], v[33:34], v[29:30]
	s_clause 0x2
	buffer_load_dword v44, off, s[0:3], 0 offset:796
	buffer_load_dword v34, off, s[0:3], 0 offset:772
	;; [unrolled: 1-line block ×3, first 2 shown]
	ds_read_b128 v[1:4], v61 offset:1584
	v_add_f64 v[13:14], v[13:14], v[39:40]
	v_add_f64 v[15:16], v[15:16], v[35:36]
	s_waitcnt vmcnt(58) lgkmcnt(1)
	v_mul_f64 v[39:40], v[7:8], v[51:52]
	s_waitcnt vmcnt(56)
	v_fma_f64 v[47:48], v[9:10], v[53:54], -v[46:47]
	v_mul_f64 v[35:36], v[5:6], v[51:52]
	v_add_f64 v[13:14], v[13:14], v[31:32]
	v_fma_f64 v[31:32], v[11:12], v[53:54], v[132:133]
	v_add_f64 v[15:16], v[15:16], v[29:30]
	s_clause 0x4
	buffer_load_dword v30, off, s[0:3], 0 offset:812
	buffer_load_dword v51, off, s[0:3], 0 offset:824
	buffer_load_dword v53, off, s[0:3], 0 offset:816
	buffer_load_dword v29, off, s[0:3], 0 offset:808
	buffer_load_dword v46, off, s[0:3], 0 offset:788
	s_waitcnt vmcnt(57) lgkmcnt(0)
	v_mul_f64 v[132:133], v[1:2], v[55:56]
	v_mul_f64 v[54:55], v[3:4], v[55:56]
	s_waitcnt vmcnt(56)
	v_fma_f64 v[39:40], v[5:6], v[41:42], -v[39:40]
	ds_read_b128 v[9:12], v61 offset:1600
	v_fma_f64 v[35:36], v[7:8], v[41:42], v[35:36]
	v_add_f64 v[13:14], v[13:14], v[47:48]
	v_add_f64 v[15:16], v[15:16], v[31:32]
	s_clause 0x2
	buffer_load_dword v52, off, s[0:3], 0 offset:828
	buffer_load_dword v32, off, s[0:3], 0 offset:804
	;; [unrolled: 1-line block ×3, first 2 shown]
	ds_read_b128 v[5:8], v61 offset:1616
	s_waitcnt vmcnt(58) lgkmcnt(1)
	v_mul_f64 v[47:48], v[11:12], v[57:58]
	s_waitcnt vmcnt(56)
	v_fma_f64 v[55:56], v[1:2], v[59:60], -v[54:55]
	v_mul_f64 v[41:42], v[9:10], v[57:58]
	v_add_f64 v[13:14], v[13:14], v[39:40]
	v_fma_f64 v[39:40], v[3:4], v[59:60], v[132:133]
	v_add_f64 v[15:16], v[15:16], v[35:36]
	s_clause 0x4
	buffer_load_dword v36, off, s[0:3], 0 offset:844
	buffer_load_dword v57, off, s[0:3], 0 offset:856
	;; [unrolled: 1-line block ×5, first 2 shown]
	s_waitcnt vmcnt(57) lgkmcnt(0)
	v_mul_f64 v[132:133], v[5:6], v[78:79]
	v_mul_f64 v[78:79], v[7:8], v[78:79]
	s_waitcnt vmcnt(56)
	v_fma_f64 v[47:48], v[9:10], v[49:50], -v[47:48]
	ds_read_b128 v[1:4], v61 offset:1632
	v_fma_f64 v[41:42], v[11:12], v[49:50], v[41:42]
	v_add_f64 v[13:14], v[13:14], v[55:56]
	v_add_f64 v[15:16], v[15:16], v[39:40]
	s_clause 0x2
	buffer_load_dword v58, off, s[0:3], 0 offset:860
	buffer_load_dword v40, off, s[0:3], 0 offset:836
	;; [unrolled: 1-line block ×3, first 2 shown]
	ds_read_b128 v[9:12], v61 offset:1648
	s_waitcnt vmcnt(58) lgkmcnt(1)
	v_mul_f64 v[55:56], v[3:4], v[80:81]
	s_waitcnt vmcnt(56)
	v_fma_f64 v[78:79], v[5:6], v[85:86], -v[78:79]
	v_mul_f64 v[49:50], v[1:2], v[80:81]
	v_add_f64 v[13:14], v[13:14], v[47:48]
	v_fma_f64 v[47:48], v[7:8], v[85:86], v[132:133]
	v_add_f64 v[15:16], v[15:16], v[41:42]
	s_clause 0x4
	buffer_load_dword v42, off, s[0:3], 0 offset:876
	buffer_load_dword v80, off, s[0:3], 0 offset:888
	buffer_load_dword v84, off, s[0:3], 0 offset:880
	buffer_load_dword v41, off, s[0:3], 0 offset:872
	buffer_load_dword v60, off, s[0:3], 0 offset:852
	ds_read_b128 v[5:8], v61 offset:1664
	s_waitcnt vmcnt(57) lgkmcnt(1)
	v_mul_f64 v[85:86], v[9:10], v[72:73]
	v_mul_f64 v[72:73], v[11:12], v[72:73]
	s_waitcnt vmcnt(56)
	v_fma_f64 v[55:56], v[1:2], v[82:83], -v[55:56]
	v_fma_f64 v[49:50], v[3:4], v[82:83], v[49:50]
	v_add_f64 v[13:14], v[13:14], v[78:79]
	v_add_f64 v[15:16], v[15:16], v[47:48]
	s_clause 0x2
	buffer_load_dword v81, off, s[0:3], 0 offset:892
	buffer_load_dword v48, off, s[0:3], 0 offset:868
	;; [unrolled: 1-line block ×3, first 2 shown]
	ds_read_b128 v[1:4], v61 offset:1680
	s_waitcnt vmcnt(58) lgkmcnt(1)
	v_mul_f64 v[82:83], v[7:8], v[128:129]
	v_mul_f64 v[78:79], v[5:6], v[128:129]
	s_waitcnt vmcnt(56)
	v_fma_f64 v[72:73], v[9:10], v[66:67], -v[72:73]
	v_add_f64 v[13:14], v[13:14], v[55:56]
	v_fma_f64 v[55:56], v[11:12], v[66:67], v[85:86]
	v_add_f64 v[15:16], v[15:16], v[49:50]
	s_clause 0x4
	buffer_load_dword v50, off, s[0:3], 0 offset:908
	buffer_load_dword v66, off, s[0:3], 0 offset:920
	buffer_load_dword v86, off, s[0:3], 0 offset:912
	buffer_load_dword v49, off, s[0:3], 0 offset:904
	buffer_load_dword v85, off, s[0:3], 0 offset:884
	ds_read_b128 v[9:12], v61 offset:1696
	s_waitcnt vmcnt(57) lgkmcnt(1)
	v_mul_f64 v[128:129], v[1:2], v[25:26]
	v_mul_f64 v[25:26], v[3:4], v[25:26]
	s_waitcnt vmcnt(56)
	v_fma_f64 v[82:83], v[5:6], v[130:131], -v[82:83]
	v_add_f64 v[13:14], v[13:14], v[72:73]
	v_fma_f64 v[72:73], v[7:8], v[130:131], v[78:79]
	v_add_f64 v[15:16], v[15:16], v[55:56]
	s_clause 0x2
	buffer_load_dword v67, off, s[0:3], 0 offset:924
	buffer_load_dword v56, off, s[0:3], 0 offset:900
	buffer_load_dword v55, off, s[0:3], 0 offset:896
	ds_read_b128 v[5:8], v61 offset:1712
	s_waitcnt vmcnt(58) lgkmcnt(1)
	v_mul_f64 v[78:79], v[9:10], v[74:75]
	v_mul_f64 v[74:75], v[11:12], v[74:75]
	s_waitcnt vmcnt(56)
	v_fma_f64 v[25:26], v[1:2], v[19:20], -v[25:26]
	v_fma_f64 v[19:20], v[3:4], v[19:20], v[128:129]
	v_add_f64 v[13:14], v[13:14], v[82:83]
	v_add_f64 v[15:16], v[15:16], v[72:73]
	s_clause 0x4
	buffer_load_dword v73, off, s[0:3], 0 offset:940
	buffer_load_dword v82, off, s[0:3], 0 offset:952
	buffer_load_dword v128, off, s[0:3], 0 offset:944
	buffer_load_dword v72, off, s[0:3], 0 offset:936
	buffer_load_dword v87, off, s[0:3], 0 offset:916
	ds_read_b128 v[1:4], v61 offset:1728
	s_waitcnt vmcnt(57) lgkmcnt(1)
	v_mul_f64 v[129:130], v[5:6], v[62:63]
	v_mul_f64 v[62:63], v[7:8], v[62:63]
	s_waitcnt vmcnt(56)
	v_fma_f64 v[74:75], v[9:10], v[126:127], -v[74:75]
	v_add_f64 v[13:14], v[13:14], v[25:26]
	v_fma_f64 v[25:26], v[11:12], v[126:127], v[78:79]
	v_add_f64 v[15:16], v[15:16], v[19:20]
	s_clause 0x2
	buffer_load_dword v83, off, s[0:3], 0 offset:956
	buffer_load_dword v20, off, s[0:3], 0 offset:932
	buffer_load_dword v19, off, s[0:3], 0 offset:928
	ds_read_b128 v[9:12], v61 offset:1744
	s_waitcnt vmcnt(58) lgkmcnt(1)
	v_mul_f64 v[78:79], v[1:2], v[64:65]
	v_mul_f64 v[64:65], v[3:4], v[64:65]
	s_waitcnt vmcnt(56)
	v_fma_f64 v[62:63], v[5:6], v[21:22], -v[62:63]
	v_fma_f64 v[21:22], v[7:8], v[21:22], v[129:130]
	v_add_f64 v[13:14], v[13:14], v[74:75]
	;; [unrolled: 28-line block ×3, first 2 shown]
	v_add_f64 v[15:16], v[15:16], v[62:63]
	s_clause 0x4
	buffer_load_dword v63, off, s[0:3], 0 offset:1004
	buffer_load_dword v64, off, s[0:3], 0 offset:1016
	;; [unrolled: 1-line block ×5, first 2 shown]
	ds_read_b128 v[9:12], v61 offset:1792
	s_waitcnt vmcnt(57) lgkmcnt(1)
	v_mul_f64 v[130:131], v[1:2], v[23:24]
	v_mul_f64 v[23:24], v[3:4], v[23:24]
	s_waitcnt vmcnt(56)
	v_fma_f64 v[37:38], v[5:6], v[70:71], -v[37:38]
	v_add_f64 v[13:14], v[13:14], v[17:18]
	v_fma_f64 v[17:18], v[7:8], v[70:71], v[76:77]
	v_add_f64 v[15:16], v[15:16], v[27:28]
	s_clause 0x2
	buffer_load_dword v65, off, s[0:3], 0 offset:1020
	buffer_load_dword v28, off, s[0:3], 0 offset:996
	;; [unrolled: 1-line block ×3, first 2 shown]
	s_waitcnt vmcnt(58) lgkmcnt(0)
	v_mul_f64 v[70:71], v[9:10], v[43:44]
	v_mul_f64 v[43:44], v[11:12], v[43:44]
	ds_read_b128 v[5:8], v61 offset:1808
	s_waitcnt vmcnt(56)
	v_fma_f64 v[23:24], v[1:2], v[33:34], -v[23:24]
	v_fma_f64 v[33:34], v[3:4], v[33:34], v[130:131]
	v_add_f64 v[13:14], v[13:14], v[37:38]
	v_add_f64 v[15:16], v[15:16], v[17:18]
	s_clause 0x2
	buffer_load_dword v18, off, s[0:3], 0 offset:1036
	buffer_load_dword v17, off, s[0:3], 0 offset:1032
	;; [unrolled: 1-line block ×3, first 2 shown]
	ds_read_b128 v[1:4], v61 offset:1824
	s_waitcnt vmcnt(55) lgkmcnt(1)
	v_mul_f64 v[37:38], v[5:6], v[29:30]
	v_mul_f64 v[29:30], v[7:8], v[29:30]
	s_waitcnt vmcnt(54)
	v_fma_f64 v[43:44], v[9:10], v[45:46], -v[43:44]
	v_add_f64 v[13:14], v[13:14], v[23:24]
	v_fma_f64 v[23:24], v[11:12], v[45:46], v[70:71]
	v_add_f64 v[15:16], v[15:16], v[33:34]
	s_clause 0x1
	buffer_load_dword v34, off, s[0:3], 0 offset:1028
	buffer_load_dword v33, off, s[0:3], 0 offset:1024
	ds_read_b128 v[9:12], v61 offset:1840
	s_waitcnt vmcnt(55) lgkmcnt(1)
	v_mul_f64 v[45:46], v[1:2], v[51:52]
	v_mul_f64 v[51:52], v[3:4], v[51:52]
	s_waitcnt vmcnt(53)
	v_fma_f64 v[29:30], v[5:6], v[31:32], -v[29:30]
	v_fma_f64 v[31:32], v[7:8], v[31:32], v[37:38]
	ds_read_b128 v[5:8], v61 offset:1856
	v_add_f64 v[13:14], v[13:14], v[43:44]
	v_add_f64 v[15:16], v[15:16], v[23:24]
	s_waitcnt vmcnt(49) lgkmcnt(1)
	v_mul_f64 v[23:24], v[9:10], v[35:36]
	v_mul_f64 v[35:36], v[11:12], v[35:36]
	s_waitcnt vmcnt(48)
	v_fma_f64 v[37:38], v[1:2], v[53:54], -v[51:52]
	v_add_f64 v[13:14], v[13:14], v[29:30]
	v_fma_f64 v[29:30], v[3:4], v[53:54], v[45:46]
	v_add_f64 v[15:16], v[15:16], v[31:32]
	s_clause 0x3
	buffer_load_dword v31, off, s[0:3], 0 offset:352
	buffer_load_dword v32, off, s[0:3], 0 offset:356
	;; [unrolled: 1-line block ×4, first 2 shown]
	ds_read_b128 v[1:4], v61 offset:1872
	s_waitcnt vmcnt(51) lgkmcnt(1)
	v_mul_f64 v[51:52], v[7:8], v[57:58]
	v_mul_f64 v[45:46], v[5:6], v[57:58]
	s_waitcnt vmcnt(49)
	v_fma_f64 v[35:36], v[9:10], v[39:40], -v[35:36]
	v_fma_f64 v[23:24], v[11:12], v[39:40], v[23:24]
	ds_read_b128 v[9:12], v61 offset:1888
	v_add_f64 v[13:14], v[13:14], v[37:38]
	v_add_f64 v[15:16], v[15:16], v[29:30]
	s_waitcnt vmcnt(45) lgkmcnt(1)
	v_mul_f64 v[37:38], v[3:4], v[41:42]
	s_waitcnt vmcnt(44)
	v_fma_f64 v[39:40], v[5:6], v[59:60], -v[51:52]
	v_mul_f64 v[29:30], v[1:2], v[41:42]
	v_add_f64 v[13:14], v[13:14], v[35:36]
	v_fma_f64 v[35:36], v[7:8], v[59:60], v[45:46]
	v_add_f64 v[15:16], v[15:16], v[23:24]
	ds_read_b128 v[5:8], v61 offset:1904
	s_waitcnt vmcnt(43) lgkmcnt(1)
	v_mul_f64 v[41:42], v[11:12], v[80:81]
	v_mul_f64 v[23:24], v[9:10], v[80:81]
	s_waitcnt vmcnt(41)
	v_fma_f64 v[37:38], v[1:2], v[47:48], -v[37:38]
	v_fma_f64 v[29:30], v[3:4], v[47:48], v[29:30]
	ds_read_b128 v[1:4], v61 offset:1920
	v_add_f64 v[13:14], v[13:14], v[39:40]
	v_add_f64 v[15:16], v[15:16], v[35:36]
	s_waitcnt vmcnt(37) lgkmcnt(1)
	v_mul_f64 v[39:40], v[7:8], v[49:50]
	s_waitcnt vmcnt(36)
	v_fma_f64 v[41:42], v[9:10], v[84:85], -v[41:42]
	v_mul_f64 v[35:36], v[5:6], v[49:50]
	v_fma_f64 v[23:24], v[11:12], v[84:85], v[23:24]
	ds_read_b128 v[9:12], v61 offset:1936
	v_add_f64 v[13:14], v[13:14], v[37:38]
	v_add_f64 v[15:16], v[15:16], v[29:30]
	s_waitcnt vmcnt(35) lgkmcnt(1)
	v_mul_f64 v[37:38], v[3:4], v[66:67]
	v_mul_f64 v[29:30], v[1:2], v[66:67]
	s_waitcnt vmcnt(33)
	v_fma_f64 v[39:40], v[5:6], v[55:56], -v[39:40]
	v_fma_f64 v[35:36], v[7:8], v[55:56], v[35:36]
	ds_read_b128 v[5:8], v61 offset:1952
	v_add_f64 v[13:14], v[13:14], v[41:42]
	v_add_f64 v[15:16], v[15:16], v[23:24]
	s_waitcnt vmcnt(29) lgkmcnt(1)
	v_mul_f64 v[41:42], v[11:12], v[72:73]
	s_waitcnt vmcnt(28)
	v_fma_f64 v[37:38], v[1:2], v[86:87], -v[37:38]
	v_mul_f64 v[23:24], v[9:10], v[72:73]
	v_fma_f64 v[29:30], v[3:4], v[86:87], v[29:30]
	ds_read_b128 v[1:4], v61 offset:1968
	v_add_f64 v[13:14], v[13:14], v[39:40]
	v_add_f64 v[15:16], v[15:16], v[35:36]
	s_waitcnt vmcnt(27) lgkmcnt(1)
	v_mul_f64 v[39:40], v[7:8], v[82:83]
	v_mul_f64 v[35:36], v[5:6], v[82:83]
	s_waitcnt vmcnt(25)
	v_fma_f64 v[41:42], v[9:10], v[19:20], -v[41:42]
	v_fma_f64 v[19:20], v[11:12], v[19:20], v[23:24]
	ds_read_b128 v[9:12], v61 offset:1984
	v_add_f64 v[13:14], v[13:14], v[37:38]
	v_add_f64 v[15:16], v[15:16], v[29:30]
	s_waitcnt vmcnt(21) lgkmcnt(1)
	v_mul_f64 v[23:24], v[1:2], v[25:26]
	v_mul_f64 v[25:26], v[3:4], v[25:26]
	s_waitcnt vmcnt(20)
	v_fma_f64 v[29:30], v[5:6], v[128:129], -v[39:40]
	;; [unrolled: 9-line block ×3, first 2 shown]
	v_fma_f64 v[21:22], v[3:4], v[21:22], v[23:24]
	ds_read_b128 v[1:4], v61 offset:2016
	v_add_f64 v[13:14], v[13:14], v[29:30]
	v_add_f64 v[15:16], v[15:16], v[35:36]
	s_waitcnt vmcnt(13) lgkmcnt(1)
	v_mul_f64 v[29:30], v[7:8], v[62:63]
	s_waitcnt vmcnt(12)
	v_fma_f64 v[35:36], v[9:10], v[126:127], -v[37:38]
	v_mul_f64 v[23:24], v[5:6], v[62:63]
	v_fma_f64 v[19:20], v[11:12], v[126:127], v[19:20]
	ds_read_b128 v[9:12], v61 offset:2032
	v_add_f64 v[13:14], v[13:14], v[25:26]
	v_add_f64 v[15:16], v[15:16], v[21:22]
	s_waitcnt vmcnt(11) lgkmcnt(1)
	v_mul_f64 v[25:26], v[3:4], v[64:65]
	v_mul_f64 v[21:22], v[1:2], v[64:65]
	s_waitcnt vmcnt(9)
	v_fma_f64 v[5:6], v[5:6], v[27:28], -v[29:30]
	v_fma_f64 v[7:8], v[7:8], v[27:28], v[23:24]
	v_add_f64 v[13:14], v[13:14], v[35:36]
	v_add_f64 v[15:16], v[15:16], v[19:20]
	s_waitcnt vmcnt(7) lgkmcnt(0)
	v_mul_f64 v[19:20], v[9:10], v[17:18]
	v_mul_f64 v[17:18], v[11:12], v[17:18]
	s_waitcnt vmcnt(6)
	v_fma_f64 v[1:2], v[1:2], v[78:79], -v[25:26]
	v_fma_f64 v[3:4], v[3:4], v[78:79], v[21:22]
	v_add_f64 v[5:6], v[13:14], v[5:6]
	v_add_f64 v[7:8], v[15:16], v[7:8]
	s_waitcnt vmcnt(4)
	v_fma_f64 v[9:10], v[9:10], v[33:34], -v[17:18]
	v_add_f64 v[1:2], v[5:6], v[1:2]
	v_fma_f64 v[5:6], v[11:12], v[33:34], v[19:20]
	v_add_f64 v[3:4], v[7:8], v[3:4]
	v_add_f64 v[1:2], v[1:2], v[9:10]
	;; [unrolled: 1-line block ×3, first 2 shown]
	s_waitcnt vmcnt(2)
	v_add_f64 v[1:2], v[31:32], -v[1:2]
	s_waitcnt vmcnt(0)
	v_add_f64 v[3:4], v[43:44], -v[3:4]
	buffer_store_dword v2, off, s[0:3], 0 offset:356
	buffer_store_dword v1, off, s[0:3], 0 offset:352
	;; [unrolled: 1-line block ×4, first 2 shown]
	v_cmpx_lt_u32_e32 20, v0
	s_cbranch_execz .LBB63_369
; %bb.368:
	v_mov_b32_e32 v4, s58
	v_mov_b32_e32 v5, 0
	s_clause 0x3
	buffer_load_dword v1, v4, s[0:3], 0 offen
	buffer_load_dword v2, v4, s[0:3], 0 offen offset:4
	buffer_load_dword v3, v4, s[0:3], 0 offen offset:8
	;; [unrolled: 1-line block ×3, first 2 shown]
	buffer_store_dword v5, off, s[0:3], 0 offset:336
	buffer_store_dword v5, off, s[0:3], 0 offset:340
	buffer_store_dword v5, off, s[0:3], 0 offset:344
	buffer_store_dword v5, off, s[0:3], 0 offset:348
	s_waitcnt vmcnt(0)
	ds_write_b128 v69, v[1:4]
.LBB63_369:
	s_or_b32 exec_lo, exec_lo, s4
	s_waitcnt lgkmcnt(0)
	s_waitcnt_vscnt null, 0x0
	s_barrier
	buffer_gl0_inv
	s_clause 0x37
	buffer_load_dword v9, off, s[0:3], 0 offset:360
	buffer_load_dword v10, off, s[0:3], 0 offset:364
	;; [unrolled: 1-line block ×56, first 2 shown]
	v_mov_b32_e32 v61, 0
	s_mov_b32 s4, exec_lo
	ds_read_b128 v[62:65], v61 offset:1360
	s_clause 0x2
	buffer_load_dword v58, off, s[0:3], 0 offset:588
	buffer_load_dword v60, off, s[0:3], 0 offset:564
	;; [unrolled: 1-line block ×3, first 2 shown]
	ds_read_b128 v[70:73], v61 offset:1376
	s_clause 0x4
	buffer_load_dword v79, off, s[0:3], 0 offset:604
	buffer_load_dword v80, off, s[0:3], 0 offset:616
	;; [unrolled: 1-line block ×5, first 2 shown]
	ds_read_b128 v[74:77], v61 offset:1392
	s_clause 0x2
	buffer_load_dword v81, off, s[0:3], 0 offset:620
	buffer_load_dword v86, off, s[0:3], 0 offset:596
	;; [unrolled: 1-line block ×3, first 2 shown]
	s_waitcnt vmcnt(62) lgkmcnt(2)
	v_mul_f64 v[66:67], v[64:65], v[9:10]
	v_mul_f64 v[9:10], v[62:63], v[9:10]
	s_waitcnt lgkmcnt(1)
	v_mul_f64 v[83:84], v[72:73], v[5:6]
	s_waitcnt vmcnt(59) lgkmcnt(0)
	v_mul_f64 v[126:127], v[76:77], v[3:4]
	v_fma_f64 v[62:63], v[62:63], v[7:8], -v[66:67]
	v_mul_f64 v[66:67], v[70:71], v[5:6]
	v_fma_f64 v[9:10], v[64:65], v[7:8], v[9:10]
	s_waitcnt vmcnt(57)
	v_fma_f64 v[70:71], v[70:71], v[1:2], -v[83:84]
	ds_read_b128 v[5:8], v61 offset:1408
	v_mul_f64 v[64:65], v[74:75], v[3:4]
	s_waitcnt vmcnt(51)
	v_fma_f64 v[74:75], v[74:75], v[25:26], -v[126:127]
	v_add_f64 v[62:63], v[62:63], 0
	v_fma_f64 v[66:67], v[72:73], v[1:2], v[66:67]
	v_add_f64 v[9:10], v[9:10], 0
	s_clause 0x4
	buffer_load_dword v73, off, s[0:3], 0 offset:636
	buffer_load_dword v128, off, s[0:3], 0 offset:648
	;; [unrolled: 1-line block ×5, first 2 shown]
	s_waitcnt lgkmcnt(0)
	v_mul_f64 v[131:132], v[5:6], v[13:14]
	v_mul_f64 v[13:14], v[7:8], v[13:14]
	ds_read_b128 v[1:4], v61 offset:1424
	v_fma_f64 v[25:26], v[76:77], v[25:26], v[64:65]
	v_add_f64 v[70:71], v[62:63], v[70:71]
	v_add_f64 v[9:10], v[9:10], v[66:67]
	s_clause 0x2
	buffer_load_dword v129, off, s[0:3], 0 offset:652
	buffer_load_dword v67, off, s[0:3], 0 offset:628
	;; [unrolled: 1-line block ×3, first 2 shown]
	s_waitcnt vmcnt(58) lgkmcnt(0)
	v_mul_f64 v[76:77], v[1:2], v[17:18]
	v_mul_f64 v[17:18], v[3:4], v[17:18]
	s_waitcnt vmcnt(56)
	v_fma_f64 v[13:14], v[5:6], v[19:20], -v[13:14]
	ds_read_b128 v[62:65], v61 offset:1440
	v_fma_f64 v[19:20], v[7:8], v[19:20], v[131:132]
	v_add_f64 v[70:71], v[70:71], v[74:75]
	v_add_f64 v[9:10], v[9:10], v[25:26]
	s_clause 0x4
	buffer_load_dword v26, off, s[0:3], 0 offset:668
	buffer_load_dword v74, off, s[0:3], 0 offset:680
	;; [unrolled: 1-line block ×5, first 2 shown]
	ds_read_b128 v[5:8], v61 offset:1456
	s_waitcnt vmcnt(57) lgkmcnt(1)
	v_mul_f64 v[132:133], v[62:63], v[21:22]
	v_mul_f64 v[21:22], v[64:65], v[21:22]
	s_waitcnt vmcnt(56)
	v_fma_f64 v[17:18], v[1:2], v[11:12], -v[17:18]
	v_fma_f64 v[11:12], v[3:4], v[11:12], v[76:77]
	v_add_f64 v[13:14], v[70:71], v[13:14]
	v_add_f64 v[9:10], v[9:10], v[19:20]
	s_clause 0x2
	buffer_load_dword v75, off, s[0:3], 0 offset:684
	buffer_load_dword v20, off, s[0:3], 0 offset:660
	;; [unrolled: 1-line block ×3, first 2 shown]
	s_waitcnt vmcnt(58) lgkmcnt(0)
	v_mul_f64 v[70:71], v[5:6], v[27:28]
	v_mul_f64 v[27:28], v[7:8], v[27:28]
	s_waitcnt vmcnt(56)
	v_fma_f64 v[21:22], v[62:63], v[29:30], -v[21:22]
	ds_read_b128 v[1:4], v61 offset:1472
	v_add_f64 v[13:14], v[13:14], v[17:18]
	v_fma_f64 v[17:18], v[64:65], v[29:30], v[132:133]
	v_add_f64 v[29:30], v[9:10], v[11:12]
	s_clause 0x4
	buffer_load_dword v63, off, s[0:3], 0 offset:700
	buffer_load_dword v64, off, s[0:3], 0 offset:712
	;; [unrolled: 1-line block ×5, first 2 shown]
	ds_read_b128 v[9:12], v61 offset:1488
	s_waitcnt vmcnt(57) lgkmcnt(1)
	v_mul_f64 v[132:133], v[1:2], v[31:32]
	v_mul_f64 v[31:32], v[3:4], v[31:32]
	s_waitcnt vmcnt(56)
	v_fma_f64 v[27:28], v[5:6], v[15:16], -v[27:28]
	v_fma_f64 v[15:16], v[7:8], v[15:16], v[70:71]
	v_add_f64 v[13:14], v[13:14], v[21:22]
	s_clause 0x2
	buffer_load_dword v65, off, s[0:3], 0 offset:716
	buffer_load_dword v22, off, s[0:3], 0 offset:692
	;; [unrolled: 1-line block ×3, first 2 shown]
	v_add_f64 v[17:18], v[29:30], v[17:18]
	s_waitcnt vmcnt(58) lgkmcnt(0)
	v_mul_f64 v[29:30], v[9:10], v[35:36]
	v_mul_f64 v[35:36], v[11:12], v[35:36]
	ds_read_b128 v[5:8], v61 offset:1504
	s_waitcnt vmcnt(56)
	v_fma_f64 v[31:32], v[1:2], v[37:38], -v[31:32]
	v_add_f64 v[13:14], v[13:14], v[27:28]
	v_fma_f64 v[27:28], v[3:4], v[37:38], v[132:133]
	v_add_f64 v[15:16], v[17:18], v[15:16]
	s_clause 0x4
	buffer_load_dword v18, off, s[0:3], 0 offset:732
	buffer_load_dword v37, off, s[0:3], 0 offset:744
	;; [unrolled: 1-line block ×5, first 2 shown]
	s_waitcnt vmcnt(57) lgkmcnt(0)
	v_mul_f64 v[132:133], v[5:6], v[39:40]
	v_mul_f64 v[39:40], v[7:8], v[39:40]
	s_waitcnt vmcnt(56)
	v_fma_f64 v[35:36], v[9:10], v[23:24], -v[35:36]
	ds_read_b128 v[1:4], v61 offset:1520
	v_fma_f64 v[23:24], v[11:12], v[23:24], v[29:30]
	v_add_f64 v[13:14], v[13:14], v[31:32]
	v_add_f64 v[15:16], v[15:16], v[27:28]
	s_clause 0x2
	buffer_load_dword v38, off, s[0:3], 0 offset:748
	buffer_load_dword v28, off, s[0:3], 0 offset:724
	;; [unrolled: 1-line block ×3, first 2 shown]
	ds_read_b128 v[9:12], v61 offset:1536
	s_waitcnt vmcnt(58) lgkmcnt(1)
	v_mul_f64 v[31:32], v[3:4], v[43:44]
	s_waitcnt vmcnt(56)
	v_fma_f64 v[39:40], v[5:6], v[45:46], -v[39:40]
	v_mul_f64 v[29:30], v[1:2], v[43:44]
	v_add_f64 v[13:14], v[13:14], v[35:36]
	v_fma_f64 v[35:36], v[7:8], v[45:46], v[132:133]
	v_add_f64 v[15:16], v[15:16], v[23:24]
	s_clause 0x4
	buffer_load_dword v24, off, s[0:3], 0 offset:764
	buffer_load_dword v43, off, s[0:3], 0 offset:776
	;; [unrolled: 1-line block ×5, first 2 shown]
	s_waitcnt vmcnt(57) lgkmcnt(0)
	v_mul_f64 v[132:133], v[9:10], v[47:48]
	v_mul_f64 v[46:47], v[11:12], v[47:48]
	s_waitcnt vmcnt(56)
	v_fma_f64 v[31:32], v[1:2], v[33:34], -v[31:32]
	ds_read_b128 v[5:8], v61 offset:1552
	v_fma_f64 v[29:30], v[3:4], v[33:34], v[29:30]
	s_clause 0x2
	buffer_load_dword v44, off, s[0:3], 0 offset:780
	buffer_load_dword v34, off, s[0:3], 0 offset:756
	;; [unrolled: 1-line block ×3, first 2 shown]
	ds_read_b128 v[1:4], v61 offset:1568
	v_add_f64 v[13:14], v[13:14], v[39:40]
	v_add_f64 v[15:16], v[15:16], v[35:36]
	s_waitcnt vmcnt(58) lgkmcnt(1)
	v_mul_f64 v[39:40], v[7:8], v[51:52]
	s_waitcnt vmcnt(56)
	v_fma_f64 v[47:48], v[9:10], v[53:54], -v[46:47]
	v_mul_f64 v[35:36], v[5:6], v[51:52]
	v_add_f64 v[13:14], v[13:14], v[31:32]
	v_fma_f64 v[31:32], v[11:12], v[53:54], v[132:133]
	v_add_f64 v[15:16], v[15:16], v[29:30]
	s_clause 0x4
	buffer_load_dword v30, off, s[0:3], 0 offset:796
	buffer_load_dword v51, off, s[0:3], 0 offset:808
	;; [unrolled: 1-line block ×5, first 2 shown]
	s_waitcnt vmcnt(57) lgkmcnt(0)
	v_mul_f64 v[132:133], v[1:2], v[55:56]
	v_mul_f64 v[54:55], v[3:4], v[55:56]
	s_waitcnt vmcnt(56)
	v_fma_f64 v[39:40], v[5:6], v[41:42], -v[39:40]
	ds_read_b128 v[9:12], v61 offset:1584
	v_fma_f64 v[35:36], v[7:8], v[41:42], v[35:36]
	v_add_f64 v[13:14], v[13:14], v[47:48]
	v_add_f64 v[15:16], v[15:16], v[31:32]
	s_clause 0x2
	buffer_load_dword v52, off, s[0:3], 0 offset:812
	buffer_load_dword v32, off, s[0:3], 0 offset:788
	;; [unrolled: 1-line block ×3, first 2 shown]
	ds_read_b128 v[5:8], v61 offset:1600
	s_waitcnt vmcnt(58) lgkmcnt(1)
	v_mul_f64 v[47:48], v[11:12], v[57:58]
	s_waitcnt vmcnt(56)
	v_fma_f64 v[55:56], v[1:2], v[59:60], -v[54:55]
	v_mul_f64 v[41:42], v[9:10], v[57:58]
	v_add_f64 v[13:14], v[13:14], v[39:40]
	v_fma_f64 v[39:40], v[3:4], v[59:60], v[132:133]
	v_add_f64 v[15:16], v[15:16], v[35:36]
	s_clause 0x4
	buffer_load_dword v36, off, s[0:3], 0 offset:828
	buffer_load_dword v57, off, s[0:3], 0 offset:840
	;; [unrolled: 1-line block ×5, first 2 shown]
	s_waitcnt vmcnt(57) lgkmcnt(0)
	v_mul_f64 v[132:133], v[5:6], v[78:79]
	v_mul_f64 v[78:79], v[7:8], v[78:79]
	s_waitcnt vmcnt(56)
	v_fma_f64 v[47:48], v[9:10], v[49:50], -v[47:48]
	ds_read_b128 v[1:4], v61 offset:1616
	v_fma_f64 v[41:42], v[11:12], v[49:50], v[41:42]
	v_add_f64 v[13:14], v[13:14], v[55:56]
	v_add_f64 v[15:16], v[15:16], v[39:40]
	s_clause 0x2
	buffer_load_dword v58, off, s[0:3], 0 offset:844
	buffer_load_dword v40, off, s[0:3], 0 offset:820
	;; [unrolled: 1-line block ×3, first 2 shown]
	ds_read_b128 v[9:12], v61 offset:1632
	s_waitcnt vmcnt(58) lgkmcnt(1)
	v_mul_f64 v[55:56], v[3:4], v[80:81]
	s_waitcnt vmcnt(56)
	v_fma_f64 v[78:79], v[5:6], v[85:86], -v[78:79]
	v_mul_f64 v[49:50], v[1:2], v[80:81]
	v_add_f64 v[13:14], v[13:14], v[47:48]
	v_fma_f64 v[47:48], v[7:8], v[85:86], v[132:133]
	v_add_f64 v[15:16], v[15:16], v[41:42]
	s_clause 0x4
	buffer_load_dword v42, off, s[0:3], 0 offset:860
	buffer_load_dword v80, off, s[0:3], 0 offset:872
	;; [unrolled: 1-line block ×5, first 2 shown]
	ds_read_b128 v[5:8], v61 offset:1648
	s_waitcnt vmcnt(57) lgkmcnt(1)
	v_mul_f64 v[85:86], v[9:10], v[72:73]
	v_mul_f64 v[72:73], v[11:12], v[72:73]
	s_waitcnt vmcnt(56)
	v_fma_f64 v[55:56], v[1:2], v[82:83], -v[55:56]
	v_fma_f64 v[49:50], v[3:4], v[82:83], v[49:50]
	v_add_f64 v[13:14], v[13:14], v[78:79]
	v_add_f64 v[15:16], v[15:16], v[47:48]
	s_clause 0x2
	buffer_load_dword v81, off, s[0:3], 0 offset:876
	buffer_load_dword v48, off, s[0:3], 0 offset:852
	;; [unrolled: 1-line block ×3, first 2 shown]
	ds_read_b128 v[1:4], v61 offset:1664
	s_waitcnt vmcnt(58) lgkmcnt(1)
	v_mul_f64 v[82:83], v[7:8], v[128:129]
	v_mul_f64 v[78:79], v[5:6], v[128:129]
	s_waitcnt vmcnt(56)
	v_fma_f64 v[72:73], v[9:10], v[66:67], -v[72:73]
	v_add_f64 v[13:14], v[13:14], v[55:56]
	v_fma_f64 v[55:56], v[11:12], v[66:67], v[85:86]
	v_add_f64 v[15:16], v[15:16], v[49:50]
	s_clause 0x4
	buffer_load_dword v50, off, s[0:3], 0 offset:892
	buffer_load_dword v66, off, s[0:3], 0 offset:904
	buffer_load_dword v86, off, s[0:3], 0 offset:896
	buffer_load_dword v49, off, s[0:3], 0 offset:888
	buffer_load_dword v85, off, s[0:3], 0 offset:868
	ds_read_b128 v[9:12], v61 offset:1680
	s_waitcnt vmcnt(57) lgkmcnt(1)
	v_mul_f64 v[128:129], v[1:2], v[25:26]
	v_mul_f64 v[25:26], v[3:4], v[25:26]
	s_waitcnt vmcnt(56)
	v_fma_f64 v[82:83], v[5:6], v[130:131], -v[82:83]
	v_add_f64 v[13:14], v[13:14], v[72:73]
	v_fma_f64 v[72:73], v[7:8], v[130:131], v[78:79]
	v_add_f64 v[15:16], v[15:16], v[55:56]
	s_clause 0x2
	buffer_load_dword v67, off, s[0:3], 0 offset:908
	buffer_load_dword v56, off, s[0:3], 0 offset:884
	buffer_load_dword v55, off, s[0:3], 0 offset:880
	ds_read_b128 v[5:8], v61 offset:1696
	s_waitcnt vmcnt(58) lgkmcnt(1)
	v_mul_f64 v[78:79], v[9:10], v[74:75]
	v_mul_f64 v[74:75], v[11:12], v[74:75]
	s_waitcnt vmcnt(56)
	v_fma_f64 v[25:26], v[1:2], v[19:20], -v[25:26]
	v_fma_f64 v[19:20], v[3:4], v[19:20], v[128:129]
	v_add_f64 v[13:14], v[13:14], v[82:83]
	v_add_f64 v[15:16], v[15:16], v[72:73]
	s_clause 0x4
	buffer_load_dword v73, off, s[0:3], 0 offset:924
	buffer_load_dword v82, off, s[0:3], 0 offset:936
	buffer_load_dword v128, off, s[0:3], 0 offset:928
	buffer_load_dword v72, off, s[0:3], 0 offset:920
	buffer_load_dword v87, off, s[0:3], 0 offset:900
	ds_read_b128 v[1:4], v61 offset:1712
	s_waitcnt vmcnt(57) lgkmcnt(1)
	v_mul_f64 v[129:130], v[5:6], v[62:63]
	v_mul_f64 v[62:63], v[7:8], v[62:63]
	s_waitcnt vmcnt(56)
	v_fma_f64 v[74:75], v[9:10], v[126:127], -v[74:75]
	v_add_f64 v[13:14], v[13:14], v[25:26]
	v_fma_f64 v[25:26], v[11:12], v[126:127], v[78:79]
	v_add_f64 v[15:16], v[15:16], v[19:20]
	s_clause 0x2
	buffer_load_dword v83, off, s[0:3], 0 offset:940
	buffer_load_dword v20, off, s[0:3], 0 offset:916
	buffer_load_dword v19, off, s[0:3], 0 offset:912
	ds_read_b128 v[9:12], v61 offset:1728
	s_waitcnt vmcnt(58) lgkmcnt(1)
	v_mul_f64 v[78:79], v[1:2], v[64:65]
	v_mul_f64 v[64:65], v[3:4], v[64:65]
	s_waitcnt vmcnt(56)
	v_fma_f64 v[62:63], v[5:6], v[21:22], -v[62:63]
	v_fma_f64 v[21:22], v[7:8], v[21:22], v[129:130]
	v_add_f64 v[13:14], v[13:14], v[74:75]
	;; [unrolled: 28-line block ×3, first 2 shown]
	v_add_f64 v[15:16], v[15:16], v[62:63]
	s_clause 0x4
	buffer_load_dword v63, off, s[0:3], 0 offset:988
	buffer_load_dword v64, off, s[0:3], 0 offset:1000
	;; [unrolled: 1-line block ×5, first 2 shown]
	ds_read_b128 v[9:12], v61 offset:1776
	s_waitcnt vmcnt(57) lgkmcnt(1)
	v_mul_f64 v[130:131], v[1:2], v[23:24]
	v_mul_f64 v[23:24], v[3:4], v[23:24]
	s_waitcnt vmcnt(56)
	v_fma_f64 v[37:38], v[5:6], v[70:71], -v[37:38]
	v_add_f64 v[13:14], v[13:14], v[17:18]
	v_fma_f64 v[17:18], v[7:8], v[70:71], v[76:77]
	v_add_f64 v[15:16], v[15:16], v[27:28]
	s_clause 0x2
	buffer_load_dword v65, off, s[0:3], 0 offset:1004
	buffer_load_dword v28, off, s[0:3], 0 offset:980
	buffer_load_dword v27, off, s[0:3], 0 offset:976
	s_waitcnt vmcnt(58) lgkmcnt(0)
	v_mul_f64 v[70:71], v[9:10], v[43:44]
	v_mul_f64 v[43:44], v[11:12], v[43:44]
	ds_read_b128 v[5:8], v61 offset:1792
	s_waitcnt vmcnt(56)
	v_fma_f64 v[23:24], v[1:2], v[33:34], -v[23:24]
	v_fma_f64 v[33:34], v[3:4], v[33:34], v[130:131]
	v_add_f64 v[13:14], v[13:14], v[37:38]
	v_add_f64 v[15:16], v[15:16], v[17:18]
	s_clause 0x4
	buffer_load_dword v18, off, s[0:3], 0 offset:1020
	buffer_load_dword v37, off, s[0:3], 0 offset:1032
	;; [unrolled: 1-line block ×5, first 2 shown]
	ds_read_b128 v[1:4], v61 offset:1808
	s_waitcnt vmcnt(57) lgkmcnt(1)
	v_mul_f64 v[130:131], v[5:6], v[29:30]
	v_mul_f64 v[29:30], v[7:8], v[29:30]
	s_waitcnt vmcnt(56)
	v_fma_f64 v[43:44], v[9:10], v[45:46], -v[43:44]
	v_add_f64 v[13:14], v[13:14], v[23:24]
	v_fma_f64 v[23:24], v[11:12], v[45:46], v[70:71]
	v_add_f64 v[15:16], v[15:16], v[33:34]
	s_clause 0x2
	buffer_load_dword v38, off, s[0:3], 0 offset:1036
	buffer_load_dword v34, off, s[0:3], 0 offset:1012
	;; [unrolled: 1-line block ×3, first 2 shown]
	ds_read_b128 v[9:12], v61 offset:1824
	buffer_load_dword v77, off, s[0:3], 0 offset:1028
	s_waitcnt vmcnt(59) lgkmcnt(1)
	v_mul_f64 v[45:46], v[1:2], v[51:52]
	v_mul_f64 v[51:52], v[3:4], v[51:52]
	s_waitcnt vmcnt(57)
	v_fma_f64 v[29:30], v[5:6], v[31:32], -v[29:30]
	v_fma_f64 v[31:32], v[7:8], v[31:32], v[130:131]
	ds_read_b128 v[5:8], v61 offset:1840
	v_add_f64 v[13:14], v[13:14], v[43:44]
	v_add_f64 v[15:16], v[15:16], v[23:24]
	s_waitcnt vmcnt(53) lgkmcnt(1)
	v_mul_f64 v[23:24], v[9:10], v[35:36]
	v_mul_f64 v[35:36], v[11:12], v[35:36]
	s_waitcnt vmcnt(52)
	v_fma_f64 v[43:44], v[1:2], v[53:54], -v[51:52]
	v_add_f64 v[13:14], v[13:14], v[29:30]
	v_fma_f64 v[29:30], v[3:4], v[53:54], v[45:46]
	v_add_f64 v[15:16], v[15:16], v[31:32]
	ds_read_b128 v[1:4], v61 offset:1856
	s_waitcnt vmcnt(51) lgkmcnt(1)
	v_mul_f64 v[45:46], v[7:8], v[57:58]
	v_mul_f64 v[31:32], v[5:6], v[57:58]
	s_waitcnt vmcnt(49)
	v_fma_f64 v[35:36], v[9:10], v[39:40], -v[35:36]
	v_fma_f64 v[23:24], v[11:12], v[39:40], v[23:24]
	v_add_f64 v[13:14], v[13:14], v[43:44]
	v_add_f64 v[15:16], v[15:16], v[29:30]
	s_clause 0x3
	buffer_load_dword v29, off, s[0:3], 0 offset:336
	buffer_load_dword v30, off, s[0:3], 0 offset:340
	;; [unrolled: 1-line block ×4, first 2 shown]
	ds_read_b128 v[9:12], v61 offset:1872
	s_waitcnt vmcnt(49) lgkmcnt(1)
	v_mul_f64 v[43:44], v[1:2], v[41:42]
	v_mul_f64 v[41:42], v[3:4], v[41:42]
	s_waitcnt vmcnt(48)
	v_fma_f64 v[45:46], v[5:6], v[59:60], -v[45:46]
	v_fma_f64 v[31:32], v[7:8], v[59:60], v[31:32]
	ds_read_b128 v[5:8], v61 offset:1888
	v_add_f64 v[13:14], v[13:14], v[35:36]
	v_add_f64 v[15:16], v[15:16], v[23:24]
	s_waitcnt vmcnt(47) lgkmcnt(1)
	v_mul_f64 v[35:36], v[11:12], v[80:81]
	v_mul_f64 v[23:24], v[9:10], v[80:81]
	s_waitcnt vmcnt(45)
	v_fma_f64 v[41:42], v[1:2], v[47:48], -v[41:42]
	v_fma_f64 v[43:44], v[3:4], v[47:48], v[43:44]
	ds_read_b128 v[1:4], v61 offset:1904
	v_add_f64 v[13:14], v[13:14], v[45:46]
	v_add_f64 v[15:16], v[15:16], v[31:32]
	s_waitcnt vmcnt(41) lgkmcnt(1)
	v_mul_f64 v[45:46], v[7:8], v[49:50]
	s_waitcnt vmcnt(40)
	v_fma_f64 v[35:36], v[9:10], v[84:85], -v[35:36]
	v_mul_f64 v[31:32], v[5:6], v[49:50]
	v_fma_f64 v[23:24], v[11:12], v[84:85], v[23:24]
	ds_read_b128 v[9:12], v61 offset:1920
	v_add_f64 v[13:14], v[13:14], v[41:42]
	v_add_f64 v[15:16], v[15:16], v[43:44]
	s_waitcnt vmcnt(39) lgkmcnt(1)
	v_mul_f64 v[43:44], v[3:4], v[66:67]
	v_mul_f64 v[41:42], v[1:2], v[66:67]
	s_waitcnt vmcnt(37)
	v_fma_f64 v[45:46], v[5:6], v[55:56], -v[45:46]
	v_fma_f64 v[31:32], v[7:8], v[55:56], v[31:32]
	ds_read_b128 v[5:8], v61 offset:1936
	v_add_f64 v[13:14], v[13:14], v[35:36]
	v_add_f64 v[15:16], v[15:16], v[23:24]
	s_waitcnt vmcnt(33) lgkmcnt(1)
	v_mul_f64 v[35:36], v[11:12], v[72:73]
	s_waitcnt vmcnt(32)
	v_fma_f64 v[43:44], v[1:2], v[86:87], -v[43:44]
	v_mul_f64 v[23:24], v[9:10], v[72:73]
	v_fma_f64 v[41:42], v[3:4], v[86:87], v[41:42]
	ds_read_b128 v[1:4], v61 offset:1952
	v_add_f64 v[13:14], v[13:14], v[45:46]
	v_add_f64 v[15:16], v[15:16], v[31:32]
	s_waitcnt vmcnt(31) lgkmcnt(1)
	v_mul_f64 v[45:46], v[7:8], v[82:83]
	v_mul_f64 v[31:32], v[5:6], v[82:83]
	s_waitcnt vmcnt(29)
	v_fma_f64 v[35:36], v[9:10], v[19:20], -v[35:36]
	v_fma_f64 v[19:20], v[11:12], v[19:20], v[23:24]
	ds_read_b128 v[9:12], v61 offset:1968
	v_add_f64 v[13:14], v[13:14], v[43:44]
	v_add_f64 v[15:16], v[15:16], v[41:42]
	s_waitcnt vmcnt(25) lgkmcnt(1)
	v_mul_f64 v[23:24], v[1:2], v[25:26]
	v_mul_f64 v[25:26], v[3:4], v[25:26]
	s_waitcnt vmcnt(24)
	v_fma_f64 v[41:42], v[5:6], v[128:129], -v[45:46]
	;; [unrolled: 9-line block ×3, first 2 shown]
	v_fma_f64 v[21:22], v[3:4], v[21:22], v[23:24]
	ds_read_b128 v[1:4], v61 offset:2000
	v_add_f64 v[13:14], v[13:14], v[41:42]
	v_add_f64 v[15:16], v[15:16], v[31:32]
	s_waitcnt vmcnt(17) lgkmcnt(1)
	v_mul_f64 v[31:32], v[7:8], v[62:63]
	s_waitcnt vmcnt(16)
	v_fma_f64 v[35:36], v[9:10], v[126:127], -v[35:36]
	v_mul_f64 v[23:24], v[5:6], v[62:63]
	v_fma_f64 v[19:20], v[11:12], v[126:127], v[19:20]
	ds_read_b128 v[9:12], v61 offset:2016
	v_add_f64 v[13:14], v[13:14], v[25:26]
	v_add_f64 v[15:16], v[15:16], v[21:22]
	s_waitcnt vmcnt(15) lgkmcnt(1)
	v_mul_f64 v[25:26], v[3:4], v[64:65]
	v_mul_f64 v[21:22], v[1:2], v[64:65]
	s_waitcnt vmcnt(13)
	v_fma_f64 v[31:32], v[5:6], v[27:28], -v[31:32]
	v_fma_f64 v[23:24], v[7:8], v[27:28], v[23:24]
	ds_read_b128 v[5:8], v61 offset:2032
	v_add_f64 v[13:14], v[13:14], v[35:36]
	v_add_f64 v[15:16], v[15:16], v[19:20]
	s_waitcnt vmcnt(9) lgkmcnt(1)
	v_mul_f64 v[19:20], v[9:10], v[17:18]
	v_mul_f64 v[17:18], v[11:12], v[17:18]
	s_waitcnt vmcnt(8)
	v_fma_f64 v[1:2], v[1:2], v[78:79], -v[25:26]
	v_fma_f64 v[3:4], v[3:4], v[78:79], v[21:22]
	v_add_f64 v[13:14], v[13:14], v[31:32]
	v_add_f64 v[15:16], v[15:16], v[23:24]
	s_waitcnt vmcnt(7) lgkmcnt(0)
	v_mul_f64 v[23:24], v[7:8], v[37:38]
	v_mul_f64 v[21:22], v[5:6], v[37:38]
	s_waitcnt vmcnt(5)
	v_fma_f64 v[9:10], v[9:10], v[33:34], -v[17:18]
	v_fma_f64 v[11:12], v[11:12], v[33:34], v[19:20]
	v_add_f64 v[1:2], v[13:14], v[1:2]
	v_add_f64 v[3:4], v[15:16], v[3:4]
	s_waitcnt vmcnt(4)
	v_fma_f64 v[5:6], v[5:6], v[76:77], -v[23:24]
	v_fma_f64 v[7:8], v[7:8], v[76:77], v[21:22]
	v_add_f64 v[1:2], v[1:2], v[9:10]
	v_add_f64 v[3:4], v[3:4], v[11:12]
	v_add_f64 v[1:2], v[1:2], v[5:6]
	v_add_f64 v[3:4], v[3:4], v[7:8]
	s_waitcnt vmcnt(2)
	v_add_f64 v[1:2], v[29:30], -v[1:2]
	s_waitcnt vmcnt(0)
	v_add_f64 v[3:4], v[39:40], -v[3:4]
	buffer_store_dword v2, off, s[0:3], 0 offset:340
	buffer_store_dword v1, off, s[0:3], 0 offset:336
	;; [unrolled: 1-line block ×4, first 2 shown]
	v_cmpx_lt_u32_e32 19, v0
	s_cbranch_execz .LBB63_371
; %bb.370:
	v_mov_b32_e32 v4, s59
	s_clause 0x3
	buffer_load_dword v1, v4, s[0:3], 0 offen
	buffer_load_dword v2, v4, s[0:3], 0 offen offset:4
	buffer_load_dword v3, v4, s[0:3], 0 offen offset:8
	;; [unrolled: 1-line block ×3, first 2 shown]
	buffer_store_dword v61, off, s[0:3], 0 offset:320
	buffer_store_dword v61, off, s[0:3], 0 offset:324
	;; [unrolled: 1-line block ×4, first 2 shown]
	s_waitcnt vmcnt(0)
	ds_write_b128 v69, v[1:4]
.LBB63_371:
	s_or_b32 exec_lo, exec_lo, s4
	s_waitcnt lgkmcnt(0)
	s_waitcnt_vscnt null, 0x0
	s_barrier
	buffer_gl0_inv
	s_clause 0x37
	buffer_load_dword v9, off, s[0:3], 0 offset:344
	buffer_load_dword v10, off, s[0:3], 0 offset:348
	;; [unrolled: 1-line block ×56, first 2 shown]
	ds_read_b128 v[62:65], v61 offset:1344
	s_clause 0x2
	buffer_load_dword v58, off, s[0:3], 0 offset:572
	buffer_load_dword v60, off, s[0:3], 0 offset:548
	;; [unrolled: 1-line block ×3, first 2 shown]
	ds_read_b128 v[70:73], v61 offset:1360
	s_clause 0x4
	buffer_load_dword v79, off, s[0:3], 0 offset:588
	buffer_load_dword v80, off, s[0:3], 0 offset:600
	;; [unrolled: 1-line block ×5, first 2 shown]
	ds_read_b128 v[74:77], v61 offset:1376
	s_clause 0x2
	buffer_load_dword v81, off, s[0:3], 0 offset:604
	buffer_load_dword v86, off, s[0:3], 0 offset:580
	;; [unrolled: 1-line block ×3, first 2 shown]
	s_mov_b32 s4, exec_lo
	s_waitcnt vmcnt(62) lgkmcnt(2)
	v_mul_f64 v[66:67], v[64:65], v[9:10]
	v_mul_f64 v[9:10], v[62:63], v[9:10]
	s_waitcnt lgkmcnt(1)
	v_mul_f64 v[83:84], v[72:73], v[5:6]
	s_waitcnt vmcnt(59) lgkmcnt(0)
	v_mul_f64 v[126:127], v[76:77], v[3:4]
	v_fma_f64 v[62:63], v[62:63], v[7:8], -v[66:67]
	v_mul_f64 v[66:67], v[70:71], v[5:6]
	v_fma_f64 v[9:10], v[64:65], v[7:8], v[9:10]
	s_waitcnt vmcnt(57)
	v_fma_f64 v[70:71], v[70:71], v[1:2], -v[83:84]
	ds_read_b128 v[5:8], v61 offset:1392
	v_mul_f64 v[64:65], v[74:75], v[3:4]
	s_waitcnt vmcnt(51)
	v_fma_f64 v[74:75], v[74:75], v[25:26], -v[126:127]
	v_add_f64 v[62:63], v[62:63], 0
	v_fma_f64 v[66:67], v[72:73], v[1:2], v[66:67]
	v_add_f64 v[9:10], v[9:10], 0
	s_clause 0x4
	buffer_load_dword v73, off, s[0:3], 0 offset:620
	buffer_load_dword v128, off, s[0:3], 0 offset:632
	;; [unrolled: 1-line block ×5, first 2 shown]
	s_waitcnt lgkmcnt(0)
	v_mul_f64 v[131:132], v[5:6], v[13:14]
	v_mul_f64 v[13:14], v[7:8], v[13:14]
	ds_read_b128 v[1:4], v61 offset:1408
	v_fma_f64 v[25:26], v[76:77], v[25:26], v[64:65]
	v_add_f64 v[70:71], v[62:63], v[70:71]
	v_add_f64 v[9:10], v[9:10], v[66:67]
	s_clause 0x2
	buffer_load_dword v129, off, s[0:3], 0 offset:636
	buffer_load_dword v67, off, s[0:3], 0 offset:612
	;; [unrolled: 1-line block ×3, first 2 shown]
	s_waitcnt vmcnt(58) lgkmcnt(0)
	v_mul_f64 v[76:77], v[1:2], v[17:18]
	v_mul_f64 v[17:18], v[3:4], v[17:18]
	s_waitcnt vmcnt(56)
	v_fma_f64 v[13:14], v[5:6], v[19:20], -v[13:14]
	ds_read_b128 v[62:65], v61 offset:1424
	v_fma_f64 v[19:20], v[7:8], v[19:20], v[131:132]
	v_add_f64 v[70:71], v[70:71], v[74:75]
	v_add_f64 v[9:10], v[9:10], v[25:26]
	s_clause 0x4
	buffer_load_dword v26, off, s[0:3], 0 offset:652
	buffer_load_dword v74, off, s[0:3], 0 offset:664
	;; [unrolled: 1-line block ×5, first 2 shown]
	ds_read_b128 v[5:8], v61 offset:1440
	s_waitcnt vmcnt(57) lgkmcnt(1)
	v_mul_f64 v[132:133], v[62:63], v[21:22]
	v_mul_f64 v[21:22], v[64:65], v[21:22]
	s_waitcnt vmcnt(56)
	v_fma_f64 v[17:18], v[1:2], v[11:12], -v[17:18]
	v_fma_f64 v[11:12], v[3:4], v[11:12], v[76:77]
	v_add_f64 v[13:14], v[70:71], v[13:14]
	v_add_f64 v[9:10], v[9:10], v[19:20]
	s_clause 0x2
	buffer_load_dword v75, off, s[0:3], 0 offset:668
	buffer_load_dword v20, off, s[0:3], 0 offset:644
	;; [unrolled: 1-line block ×3, first 2 shown]
	s_waitcnt vmcnt(58) lgkmcnt(0)
	v_mul_f64 v[70:71], v[5:6], v[27:28]
	v_mul_f64 v[27:28], v[7:8], v[27:28]
	s_waitcnt vmcnt(56)
	v_fma_f64 v[21:22], v[62:63], v[29:30], -v[21:22]
	ds_read_b128 v[1:4], v61 offset:1456
	v_add_f64 v[13:14], v[13:14], v[17:18]
	v_fma_f64 v[17:18], v[64:65], v[29:30], v[132:133]
	v_add_f64 v[29:30], v[9:10], v[11:12]
	s_clause 0x4
	buffer_load_dword v63, off, s[0:3], 0 offset:684
	buffer_load_dword v64, off, s[0:3], 0 offset:696
	;; [unrolled: 1-line block ×5, first 2 shown]
	ds_read_b128 v[9:12], v61 offset:1472
	s_waitcnt vmcnt(57) lgkmcnt(1)
	v_mul_f64 v[132:133], v[1:2], v[31:32]
	v_mul_f64 v[31:32], v[3:4], v[31:32]
	s_waitcnt vmcnt(56)
	v_fma_f64 v[27:28], v[5:6], v[15:16], -v[27:28]
	v_fma_f64 v[15:16], v[7:8], v[15:16], v[70:71]
	v_add_f64 v[13:14], v[13:14], v[21:22]
	s_clause 0x2
	buffer_load_dword v65, off, s[0:3], 0 offset:700
	buffer_load_dword v22, off, s[0:3], 0 offset:676
	;; [unrolled: 1-line block ×3, first 2 shown]
	v_add_f64 v[17:18], v[29:30], v[17:18]
	s_waitcnt vmcnt(58) lgkmcnt(0)
	v_mul_f64 v[29:30], v[9:10], v[35:36]
	v_mul_f64 v[35:36], v[11:12], v[35:36]
	ds_read_b128 v[5:8], v61 offset:1488
	s_waitcnt vmcnt(56)
	v_fma_f64 v[31:32], v[1:2], v[37:38], -v[31:32]
	v_add_f64 v[13:14], v[13:14], v[27:28]
	v_fma_f64 v[27:28], v[3:4], v[37:38], v[132:133]
	v_add_f64 v[15:16], v[17:18], v[15:16]
	s_clause 0x4
	buffer_load_dword v18, off, s[0:3], 0 offset:716
	buffer_load_dword v37, off, s[0:3], 0 offset:728
	;; [unrolled: 1-line block ×5, first 2 shown]
	s_waitcnt vmcnt(57) lgkmcnt(0)
	v_mul_f64 v[132:133], v[5:6], v[39:40]
	v_mul_f64 v[39:40], v[7:8], v[39:40]
	s_waitcnt vmcnt(56)
	v_fma_f64 v[35:36], v[9:10], v[23:24], -v[35:36]
	ds_read_b128 v[1:4], v61 offset:1504
	v_fma_f64 v[23:24], v[11:12], v[23:24], v[29:30]
	v_add_f64 v[13:14], v[13:14], v[31:32]
	v_add_f64 v[15:16], v[15:16], v[27:28]
	s_clause 0x2
	buffer_load_dword v38, off, s[0:3], 0 offset:732
	buffer_load_dword v28, off, s[0:3], 0 offset:708
	;; [unrolled: 1-line block ×3, first 2 shown]
	ds_read_b128 v[9:12], v61 offset:1520
	s_waitcnt vmcnt(58) lgkmcnt(1)
	v_mul_f64 v[31:32], v[3:4], v[43:44]
	s_waitcnt vmcnt(56)
	v_fma_f64 v[39:40], v[5:6], v[45:46], -v[39:40]
	v_mul_f64 v[29:30], v[1:2], v[43:44]
	v_add_f64 v[13:14], v[13:14], v[35:36]
	v_fma_f64 v[35:36], v[7:8], v[45:46], v[132:133]
	v_add_f64 v[15:16], v[15:16], v[23:24]
	s_clause 0x4
	buffer_load_dword v24, off, s[0:3], 0 offset:748
	buffer_load_dword v43, off, s[0:3], 0 offset:760
	;; [unrolled: 1-line block ×5, first 2 shown]
	s_waitcnt vmcnt(57) lgkmcnt(0)
	v_mul_f64 v[132:133], v[9:10], v[47:48]
	v_mul_f64 v[46:47], v[11:12], v[47:48]
	s_waitcnt vmcnt(56)
	v_fma_f64 v[31:32], v[1:2], v[33:34], -v[31:32]
	ds_read_b128 v[5:8], v61 offset:1536
	v_fma_f64 v[29:30], v[3:4], v[33:34], v[29:30]
	s_clause 0x2
	buffer_load_dword v44, off, s[0:3], 0 offset:764
	buffer_load_dword v34, off, s[0:3], 0 offset:740
	;; [unrolled: 1-line block ×3, first 2 shown]
	ds_read_b128 v[1:4], v61 offset:1552
	v_add_f64 v[13:14], v[13:14], v[39:40]
	v_add_f64 v[15:16], v[15:16], v[35:36]
	s_waitcnt vmcnt(58) lgkmcnt(1)
	v_mul_f64 v[39:40], v[7:8], v[51:52]
	s_waitcnt vmcnt(56)
	v_fma_f64 v[47:48], v[9:10], v[53:54], -v[46:47]
	v_mul_f64 v[35:36], v[5:6], v[51:52]
	v_add_f64 v[13:14], v[13:14], v[31:32]
	v_fma_f64 v[31:32], v[11:12], v[53:54], v[132:133]
	v_add_f64 v[15:16], v[15:16], v[29:30]
	s_clause 0x4
	buffer_load_dword v30, off, s[0:3], 0 offset:780
	buffer_load_dword v51, off, s[0:3], 0 offset:792
	;; [unrolled: 1-line block ×5, first 2 shown]
	s_waitcnt vmcnt(57) lgkmcnt(0)
	v_mul_f64 v[132:133], v[1:2], v[55:56]
	v_mul_f64 v[54:55], v[3:4], v[55:56]
	s_waitcnt vmcnt(56)
	v_fma_f64 v[39:40], v[5:6], v[41:42], -v[39:40]
	ds_read_b128 v[9:12], v61 offset:1568
	v_fma_f64 v[35:36], v[7:8], v[41:42], v[35:36]
	v_add_f64 v[13:14], v[13:14], v[47:48]
	v_add_f64 v[15:16], v[15:16], v[31:32]
	s_clause 0x2
	buffer_load_dword v52, off, s[0:3], 0 offset:796
	buffer_load_dword v32, off, s[0:3], 0 offset:772
	;; [unrolled: 1-line block ×3, first 2 shown]
	ds_read_b128 v[5:8], v61 offset:1584
	s_waitcnt vmcnt(58) lgkmcnt(1)
	v_mul_f64 v[47:48], v[11:12], v[57:58]
	s_waitcnt vmcnt(56)
	v_fma_f64 v[55:56], v[1:2], v[59:60], -v[54:55]
	v_mul_f64 v[41:42], v[9:10], v[57:58]
	v_add_f64 v[13:14], v[13:14], v[39:40]
	v_fma_f64 v[39:40], v[3:4], v[59:60], v[132:133]
	v_add_f64 v[15:16], v[15:16], v[35:36]
	s_clause 0x4
	buffer_load_dword v36, off, s[0:3], 0 offset:812
	buffer_load_dword v57, off, s[0:3], 0 offset:824
	;; [unrolled: 1-line block ×5, first 2 shown]
	s_waitcnt vmcnt(57) lgkmcnt(0)
	v_mul_f64 v[132:133], v[5:6], v[78:79]
	v_mul_f64 v[78:79], v[7:8], v[78:79]
	s_waitcnt vmcnt(56)
	v_fma_f64 v[47:48], v[9:10], v[49:50], -v[47:48]
	ds_read_b128 v[1:4], v61 offset:1600
	v_fma_f64 v[41:42], v[11:12], v[49:50], v[41:42]
	v_add_f64 v[13:14], v[13:14], v[55:56]
	v_add_f64 v[15:16], v[15:16], v[39:40]
	s_clause 0x2
	buffer_load_dword v58, off, s[0:3], 0 offset:828
	buffer_load_dword v40, off, s[0:3], 0 offset:804
	;; [unrolled: 1-line block ×3, first 2 shown]
	ds_read_b128 v[9:12], v61 offset:1616
	s_waitcnt vmcnt(58) lgkmcnt(1)
	v_mul_f64 v[55:56], v[3:4], v[80:81]
	s_waitcnt vmcnt(56)
	v_fma_f64 v[78:79], v[5:6], v[85:86], -v[78:79]
	v_mul_f64 v[49:50], v[1:2], v[80:81]
	v_add_f64 v[13:14], v[13:14], v[47:48]
	v_fma_f64 v[47:48], v[7:8], v[85:86], v[132:133]
	v_add_f64 v[15:16], v[15:16], v[41:42]
	s_clause 0x4
	buffer_load_dword v42, off, s[0:3], 0 offset:844
	buffer_load_dword v80, off, s[0:3], 0 offset:856
	;; [unrolled: 1-line block ×5, first 2 shown]
	ds_read_b128 v[5:8], v61 offset:1632
	s_waitcnt vmcnt(57) lgkmcnt(1)
	v_mul_f64 v[85:86], v[9:10], v[72:73]
	v_mul_f64 v[72:73], v[11:12], v[72:73]
	s_waitcnt vmcnt(56)
	v_fma_f64 v[55:56], v[1:2], v[82:83], -v[55:56]
	v_fma_f64 v[49:50], v[3:4], v[82:83], v[49:50]
	v_add_f64 v[13:14], v[13:14], v[78:79]
	v_add_f64 v[15:16], v[15:16], v[47:48]
	s_clause 0x2
	buffer_load_dword v81, off, s[0:3], 0 offset:860
	buffer_load_dword v48, off, s[0:3], 0 offset:836
	;; [unrolled: 1-line block ×3, first 2 shown]
	ds_read_b128 v[1:4], v61 offset:1648
	s_waitcnt vmcnt(58) lgkmcnt(1)
	v_mul_f64 v[82:83], v[7:8], v[128:129]
	v_mul_f64 v[78:79], v[5:6], v[128:129]
	s_waitcnt vmcnt(56)
	v_fma_f64 v[72:73], v[9:10], v[66:67], -v[72:73]
	v_add_f64 v[13:14], v[13:14], v[55:56]
	v_fma_f64 v[55:56], v[11:12], v[66:67], v[85:86]
	v_add_f64 v[15:16], v[15:16], v[49:50]
	s_clause 0x4
	buffer_load_dword v50, off, s[0:3], 0 offset:876
	buffer_load_dword v66, off, s[0:3], 0 offset:888
	buffer_load_dword v86, off, s[0:3], 0 offset:880
	buffer_load_dword v49, off, s[0:3], 0 offset:872
	buffer_load_dword v85, off, s[0:3], 0 offset:852
	ds_read_b128 v[9:12], v61 offset:1664
	s_waitcnt vmcnt(57) lgkmcnt(1)
	v_mul_f64 v[128:129], v[1:2], v[25:26]
	v_mul_f64 v[25:26], v[3:4], v[25:26]
	s_waitcnt vmcnt(56)
	v_fma_f64 v[82:83], v[5:6], v[130:131], -v[82:83]
	v_add_f64 v[13:14], v[13:14], v[72:73]
	v_fma_f64 v[72:73], v[7:8], v[130:131], v[78:79]
	v_add_f64 v[15:16], v[15:16], v[55:56]
	s_clause 0x2
	buffer_load_dword v67, off, s[0:3], 0 offset:892
	buffer_load_dword v56, off, s[0:3], 0 offset:868
	buffer_load_dword v55, off, s[0:3], 0 offset:864
	ds_read_b128 v[5:8], v61 offset:1680
	s_waitcnt vmcnt(58) lgkmcnt(1)
	v_mul_f64 v[78:79], v[9:10], v[74:75]
	v_mul_f64 v[74:75], v[11:12], v[74:75]
	s_waitcnt vmcnt(56)
	v_fma_f64 v[25:26], v[1:2], v[19:20], -v[25:26]
	v_fma_f64 v[19:20], v[3:4], v[19:20], v[128:129]
	v_add_f64 v[13:14], v[13:14], v[82:83]
	v_add_f64 v[15:16], v[15:16], v[72:73]
	s_clause 0x4
	buffer_load_dword v73, off, s[0:3], 0 offset:908
	buffer_load_dword v82, off, s[0:3], 0 offset:920
	buffer_load_dword v128, off, s[0:3], 0 offset:912
	buffer_load_dword v72, off, s[0:3], 0 offset:904
	buffer_load_dword v87, off, s[0:3], 0 offset:884
	ds_read_b128 v[1:4], v61 offset:1696
	s_waitcnt vmcnt(57) lgkmcnt(1)
	v_mul_f64 v[129:130], v[5:6], v[62:63]
	v_mul_f64 v[62:63], v[7:8], v[62:63]
	s_waitcnt vmcnt(56)
	v_fma_f64 v[74:75], v[9:10], v[126:127], -v[74:75]
	v_add_f64 v[13:14], v[13:14], v[25:26]
	v_fma_f64 v[25:26], v[11:12], v[126:127], v[78:79]
	v_add_f64 v[15:16], v[15:16], v[19:20]
	s_clause 0x2
	buffer_load_dword v83, off, s[0:3], 0 offset:924
	buffer_load_dword v20, off, s[0:3], 0 offset:900
	buffer_load_dword v19, off, s[0:3], 0 offset:896
	ds_read_b128 v[9:12], v61 offset:1712
	s_waitcnt vmcnt(58) lgkmcnt(1)
	v_mul_f64 v[78:79], v[1:2], v[64:65]
	v_mul_f64 v[64:65], v[3:4], v[64:65]
	s_waitcnt vmcnt(56)
	v_fma_f64 v[62:63], v[5:6], v[21:22], -v[62:63]
	v_fma_f64 v[21:22], v[7:8], v[21:22], v[129:130]
	v_add_f64 v[13:14], v[13:14], v[74:75]
	;; [unrolled: 28-line block ×3, first 2 shown]
	v_add_f64 v[15:16], v[15:16], v[62:63]
	s_clause 0x4
	buffer_load_dword v63, off, s[0:3], 0 offset:972
	buffer_load_dword v64, off, s[0:3], 0 offset:984
	;; [unrolled: 1-line block ×5, first 2 shown]
	ds_read_b128 v[9:12], v61 offset:1760
	s_waitcnt vmcnt(57) lgkmcnt(1)
	v_mul_f64 v[130:131], v[1:2], v[23:24]
	v_mul_f64 v[23:24], v[3:4], v[23:24]
	s_waitcnt vmcnt(56)
	v_fma_f64 v[37:38], v[5:6], v[70:71], -v[37:38]
	v_add_f64 v[13:14], v[13:14], v[17:18]
	v_fma_f64 v[17:18], v[7:8], v[70:71], v[76:77]
	v_add_f64 v[15:16], v[15:16], v[27:28]
	s_clause 0x2
	buffer_load_dword v65, off, s[0:3], 0 offset:988
	buffer_load_dword v28, off, s[0:3], 0 offset:964
	;; [unrolled: 1-line block ×3, first 2 shown]
	s_waitcnt vmcnt(58) lgkmcnt(0)
	v_mul_f64 v[70:71], v[9:10], v[43:44]
	v_mul_f64 v[43:44], v[11:12], v[43:44]
	ds_read_b128 v[5:8], v61 offset:1776
	s_waitcnt vmcnt(56)
	v_fma_f64 v[23:24], v[1:2], v[33:34], -v[23:24]
	v_fma_f64 v[33:34], v[3:4], v[33:34], v[130:131]
	v_add_f64 v[13:14], v[13:14], v[37:38]
	v_add_f64 v[15:16], v[15:16], v[17:18]
	s_clause 0x4
	buffer_load_dword v18, off, s[0:3], 0 offset:1004
	buffer_load_dword v37, off, s[0:3], 0 offset:1016
	;; [unrolled: 1-line block ×5, first 2 shown]
	ds_read_b128 v[1:4], v61 offset:1792
	s_waitcnt vmcnt(57) lgkmcnt(1)
	v_mul_f64 v[130:131], v[5:6], v[29:30]
	v_mul_f64 v[29:30], v[7:8], v[29:30]
	s_waitcnt vmcnt(56)
	v_fma_f64 v[43:44], v[9:10], v[45:46], -v[43:44]
	v_add_f64 v[13:14], v[13:14], v[23:24]
	v_fma_f64 v[23:24], v[11:12], v[45:46], v[70:71]
	v_add_f64 v[15:16], v[15:16], v[33:34]
	s_clause 0x2
	buffer_load_dword v38, off, s[0:3], 0 offset:1020
	buffer_load_dword v34, off, s[0:3], 0 offset:996
	;; [unrolled: 1-line block ×3, first 2 shown]
	ds_read_b128 v[9:12], v61 offset:1808
	s_waitcnt vmcnt(58) lgkmcnt(1)
	v_mul_f64 v[45:46], v[1:2], v[51:52]
	v_mul_f64 v[51:52], v[3:4], v[51:52]
	s_waitcnt vmcnt(56)
	v_fma_f64 v[29:30], v[5:6], v[31:32], -v[29:30]
	v_fma_f64 v[31:32], v[7:8], v[31:32], v[130:131]
	v_add_f64 v[13:14], v[13:14], v[43:44]
	v_add_f64 v[15:16], v[15:16], v[23:24]
	s_clause 0x2
	buffer_load_dword v24, off, s[0:3], 0 offset:1036
	buffer_load_dword v23, off, s[0:3], 0 offset:1032
	;; [unrolled: 1-line block ×3, first 2 shown]
	ds_read_b128 v[5:8], v61 offset:1824
	s_waitcnt vmcnt(55) lgkmcnt(1)
	v_mul_f64 v[43:44], v[9:10], v[35:36]
	v_mul_f64 v[35:36], v[11:12], v[35:36]
	s_waitcnt vmcnt(54)
	v_fma_f64 v[51:52], v[1:2], v[53:54], -v[51:52]
	v_add_f64 v[13:14], v[13:14], v[29:30]
	v_fma_f64 v[29:30], v[3:4], v[53:54], v[45:46]
	v_add_f64 v[15:16], v[15:16], v[31:32]
	s_clause 0x1
	buffer_load_dword v32, off, s[0:3], 0 offset:1028
	buffer_load_dword v31, off, s[0:3], 0 offset:1024
	ds_read_b128 v[1:4], v61 offset:1840
	s_waitcnt vmcnt(55) lgkmcnt(1)
	v_mul_f64 v[53:54], v[7:8], v[57:58]
	v_mul_f64 v[45:46], v[5:6], v[57:58]
	s_waitcnt vmcnt(53)
	v_fma_f64 v[35:36], v[9:10], v[39:40], -v[35:36]
	v_fma_f64 v[39:40], v[11:12], v[39:40], v[43:44]
	ds_read_b128 v[9:12], v61 offset:1856
	v_add_f64 v[13:14], v[13:14], v[51:52]
	v_add_f64 v[15:16], v[15:16], v[29:30]
	s_waitcnt vmcnt(49) lgkmcnt(1)
	v_mul_f64 v[29:30], v[1:2], v[41:42]
	v_mul_f64 v[41:42], v[3:4], v[41:42]
	s_waitcnt vmcnt(48)
	v_fma_f64 v[43:44], v[5:6], v[59:60], -v[53:54]
	v_add_f64 v[13:14], v[13:14], v[35:36]
	v_fma_f64 v[35:36], v[7:8], v[59:60], v[45:46]
	v_add_f64 v[15:16], v[15:16], v[39:40]
	s_clause 0x3
	buffer_load_dword v39, off, s[0:3], 0 offset:320
	buffer_load_dword v40, off, s[0:3], 0 offset:324
	;; [unrolled: 1-line block ×4, first 2 shown]
	ds_read_b128 v[5:8], v61 offset:1872
	s_waitcnt vmcnt(51) lgkmcnt(1)
	v_mul_f64 v[53:54], v[11:12], v[80:81]
	v_mul_f64 v[51:52], v[9:10], v[80:81]
	s_waitcnt vmcnt(49)
	v_fma_f64 v[41:42], v[1:2], v[47:48], -v[41:42]
	v_fma_f64 v[29:30], v[3:4], v[47:48], v[29:30]
	ds_read_b128 v[1:4], v61 offset:1888
	v_add_f64 v[13:14], v[13:14], v[43:44]
	v_add_f64 v[15:16], v[15:16], v[35:36]
	s_waitcnt vmcnt(45) lgkmcnt(1)
	v_mul_f64 v[43:44], v[7:8], v[49:50]
	s_waitcnt vmcnt(44)
	v_fma_f64 v[47:48], v[9:10], v[84:85], -v[53:54]
	v_mul_f64 v[35:36], v[5:6], v[49:50]
	v_add_f64 v[13:14], v[13:14], v[41:42]
	v_fma_f64 v[41:42], v[11:12], v[84:85], v[51:52]
	v_add_f64 v[15:16], v[15:16], v[29:30]
	ds_read_b128 v[9:12], v61 offset:1904
	s_waitcnt vmcnt(43) lgkmcnt(1)
	v_mul_f64 v[49:50], v[3:4], v[66:67]
	v_mul_f64 v[29:30], v[1:2], v[66:67]
	s_waitcnt vmcnt(41)
	v_fma_f64 v[43:44], v[5:6], v[55:56], -v[43:44]
	v_fma_f64 v[35:36], v[7:8], v[55:56], v[35:36]
	ds_read_b128 v[5:8], v61 offset:1920
	v_add_f64 v[13:14], v[13:14], v[47:48]
	v_add_f64 v[15:16], v[15:16], v[41:42]
	s_waitcnt vmcnt(37) lgkmcnt(1)
	v_mul_f64 v[47:48], v[11:12], v[72:73]
	s_waitcnt vmcnt(36)
	v_fma_f64 v[49:50], v[1:2], v[86:87], -v[49:50]
	v_mul_f64 v[41:42], v[9:10], v[72:73]
	v_fma_f64 v[29:30], v[3:4], v[86:87], v[29:30]
	ds_read_b128 v[1:4], v61 offset:1936
	v_add_f64 v[13:14], v[13:14], v[43:44]
	v_add_f64 v[15:16], v[15:16], v[35:36]
	s_waitcnt vmcnt(35) lgkmcnt(1)
	v_mul_f64 v[43:44], v[7:8], v[82:83]
	v_mul_f64 v[35:36], v[5:6], v[82:83]
	s_waitcnt vmcnt(33)
	v_fma_f64 v[47:48], v[9:10], v[19:20], -v[47:48]
	v_fma_f64 v[19:20], v[11:12], v[19:20], v[41:42]
	ds_read_b128 v[9:12], v61 offset:1952
	v_add_f64 v[13:14], v[13:14], v[49:50]
	v_add_f64 v[15:16], v[15:16], v[29:30]
	s_waitcnt vmcnt(29) lgkmcnt(1)
	v_mul_f64 v[29:30], v[1:2], v[25:26]
	v_mul_f64 v[25:26], v[3:4], v[25:26]
	s_waitcnt vmcnt(28)
	v_fma_f64 v[41:42], v[5:6], v[128:129], -v[43:44]
	;; [unrolled: 9-line block ×3, first 2 shown]
	v_fma_f64 v[21:22], v[3:4], v[21:22], v[29:30]
	ds_read_b128 v[1:4], v61 offset:1984
	v_add_f64 v[13:14], v[13:14], v[41:42]
	v_add_f64 v[15:16], v[15:16], v[35:36]
	s_waitcnt vmcnt(21) lgkmcnt(1)
	v_mul_f64 v[35:36], v[7:8], v[62:63]
	s_waitcnt vmcnt(20)
	v_fma_f64 v[41:42], v[9:10], v[126:127], -v[43:44]
	v_mul_f64 v[29:30], v[5:6], v[62:63]
	v_fma_f64 v[19:20], v[11:12], v[126:127], v[19:20]
	ds_read_b128 v[9:12], v61 offset:2000
	v_add_f64 v[13:14], v[13:14], v[25:26]
	v_add_f64 v[15:16], v[15:16], v[21:22]
	s_waitcnt vmcnt(19) lgkmcnt(1)
	v_mul_f64 v[25:26], v[3:4], v[64:65]
	v_mul_f64 v[21:22], v[1:2], v[64:65]
	s_waitcnt vmcnt(17)
	v_fma_f64 v[35:36], v[5:6], v[27:28], -v[35:36]
	v_fma_f64 v[27:28], v[7:8], v[27:28], v[29:30]
	ds_read_b128 v[5:8], v61 offset:2016
	v_add_f64 v[13:14], v[13:14], v[41:42]
	v_add_f64 v[15:16], v[15:16], v[19:20]
	s_waitcnt vmcnt(13) lgkmcnt(1)
	v_mul_f64 v[19:20], v[9:10], v[17:18]
	v_mul_f64 v[17:18], v[11:12], v[17:18]
	s_waitcnt vmcnt(12)
	v_fma_f64 v[25:26], v[1:2], v[78:79], -v[25:26]
	;; [unrolled: 9-line block ×3, first 2 shown]
	v_fma_f64 v[11:12], v[11:12], v[33:34], v[19:20]
	v_add_f64 v[13:14], v[13:14], v[25:26]
	v_add_f64 v[15:16], v[15:16], v[21:22]
	s_waitcnt vmcnt(7) lgkmcnt(0)
	v_mul_f64 v[19:20], v[3:4], v[23:24]
	s_waitcnt vmcnt(6)
	v_fma_f64 v[5:6], v[5:6], v[76:77], -v[29:30]
	v_mul_f64 v[17:18], v[1:2], v[23:24]
	v_fma_f64 v[7:8], v[7:8], v[76:77], v[27:28]
	v_add_f64 v[9:10], v[13:14], v[9:10]
	v_add_f64 v[11:12], v[15:16], v[11:12]
	s_waitcnt vmcnt(4)
	v_fma_f64 v[1:2], v[1:2], v[31:32], -v[19:20]
	v_fma_f64 v[3:4], v[3:4], v[31:32], v[17:18]
	v_add_f64 v[5:6], v[9:10], v[5:6]
	v_add_f64 v[7:8], v[11:12], v[7:8]
	;; [unrolled: 1-line block ×4, first 2 shown]
	s_waitcnt vmcnt(2)
	v_add_f64 v[1:2], v[39:40], -v[1:2]
	s_waitcnt vmcnt(0)
	v_add_f64 v[3:4], v[45:46], -v[3:4]
	buffer_store_dword v2, off, s[0:3], 0 offset:324
	buffer_store_dword v1, off, s[0:3], 0 offset:320
	;; [unrolled: 1-line block ×4, first 2 shown]
	v_cmpx_lt_u32_e32 18, v0
	s_cbranch_execz .LBB63_373
; %bb.372:
	v_mov_b32_e32 v4, s60
	v_mov_b32_e32 v5, 0
	s_clause 0x3
	buffer_load_dword v1, v4, s[0:3], 0 offen
	buffer_load_dword v2, v4, s[0:3], 0 offen offset:4
	buffer_load_dword v3, v4, s[0:3], 0 offen offset:8
	buffer_load_dword v4, v4, s[0:3], 0 offen offset:12
	buffer_store_dword v5, off, s[0:3], 0 offset:304
	buffer_store_dword v5, off, s[0:3], 0 offset:308
	;; [unrolled: 1-line block ×4, first 2 shown]
	s_waitcnt vmcnt(0)
	ds_write_b128 v69, v[1:4]
.LBB63_373:
	s_or_b32 exec_lo, exec_lo, s4
	s_waitcnt lgkmcnt(0)
	s_waitcnt_vscnt null, 0x0
	s_barrier
	buffer_gl0_inv
	s_clause 0x37
	buffer_load_dword v13, off, s[0:3], 0 offset:328
	buffer_load_dword v14, off, s[0:3], 0 offset:332
	;; [unrolled: 1-line block ×56, first 2 shown]
	v_mov_b32_e32 v70, 0
	s_mov_b32 s4, exec_lo
	ds_read_b128 v[65:68], v70 offset:1328
	s_clause 0x2
	buffer_load_dword v62, off, s[0:3], 0 offset:556
	buffer_load_dword v64, off, s[0:3], 0 offset:532
	;; [unrolled: 1-line block ×3, first 2 shown]
	ds_read_b128 v[1:4], v70 offset:1344
	s_clause 0x4
	buffer_load_dword v78, off, s[0:3], 0 offset:572
	buffer_load_dword v79, off, s[0:3], 0 offset:584
	;; [unrolled: 1-line block ×5, first 2 shown]
	ds_read_b128 v[71:74], v70 offset:1360
	s_waitcnt vmcnt(62) lgkmcnt(2)
	v_mul_f64 v[75:76], v[67:68], v[13:14]
	v_mul_f64 v[13:14], v[65:66], v[13:14]
	s_waitcnt vmcnt(60) lgkmcnt(1)
	v_mul_f64 v[82:83], v[3:4], v[9:10]
	s_waitcnt vmcnt(56) lgkmcnt(0)
	v_mul_f64 v[84:85], v[71:72], v[7:8]
	v_mul_f64 v[7:8], v[73:74], v[7:8]
	v_fma_f64 v[65:66], v[65:66], v[11:12], -v[75:76]
	v_mul_f64 v[75:76], v[1:2], v[9:10]
	v_fma_f64 v[13:14], v[67:68], v[11:12], v[13:14]
	s_clause 0x2
	buffer_load_dword v80, off, s[0:3], 0 offset:588
	buffer_load_dword v68, off, s[0:3], 0 offset:564
	;; [unrolled: 1-line block ×3, first 2 shown]
	s_waitcnt vmcnt(57)
	v_fma_f64 v[86:87], v[1:2], v[5:6], -v[82:83]
	ds_read_b128 v[9:12], v70 offset:1376
	s_waitcnt vmcnt(51)
	v_fma_f64 v[71:72], v[71:72], v[29:30], -v[7:8]
	v_fma_f64 v[29:30], v[73:74], v[29:30], v[84:85]
	v_add_f64 v[65:66], v[65:66], 0
	v_fma_f64 v[5:6], v[3:4], v[5:6], v[75:76]
	v_add_f64 v[13:14], v[13:14], 0
	s_clause 0x4
	buffer_load_dword v76, off, s[0:3], 0 offset:604
	buffer_load_dword v83, off, s[0:3], 0 offset:616
	;; [unrolled: 1-line block ×5, first 2 shown]
	s_waitcnt lgkmcnt(0)
	v_mul_f64 v[127:128], v[9:10], v[17:18]
	v_mul_f64 v[17:18], v[11:12], v[17:18]
	ds_read_b128 v[1:4], v70 offset:1392
	s_clause 0x2
	buffer_load_dword v84, off, s[0:3], 0 offset:620
	buffer_load_dword v74, off, s[0:3], 0 offset:596
	;; [unrolled: 1-line block ×3, first 2 shown]
	v_add_f64 v[65:66], v[65:66], v[86:87]
	v_add_f64 v[13:14], v[13:14], v[5:6]
	ds_read_b128 v[5:8], v70 offset:1408
	s_waitcnt vmcnt(58) lgkmcnt(1)
	v_mul_f64 v[85:86], v[1:2], v[21:22]
	v_mul_f64 v[21:22], v[3:4], v[21:22]
	s_waitcnt vmcnt(56)
	v_fma_f64 v[17:18], v[9:10], v[23:24], -v[17:18]
	v_fma_f64 v[23:24], v[11:12], v[23:24], v[127:128]
	v_add_f64 v[65:66], v[65:66], v[71:72]
	s_waitcnt vmcnt(52) lgkmcnt(0)
	v_mul_f64 v[129:130], v[5:6], v[25:26]
	v_add_f64 v[13:14], v[13:14], v[29:30]
	s_clause 0x4
	buffer_load_dword v30, off, s[0:3], 0 offset:636
	buffer_load_dword v71, off, s[0:3], 0 offset:648
	buffer_load_dword v128, off, s[0:3], 0 offset:640
	buffer_load_dword v29, off, s[0:3], 0 offset:632
	buffer_load_dword v127, off, s[0:3], 0 offset:612
	v_mul_f64 v[25:26], v[7:8], v[25:26]
	s_waitcnt vmcnt(56)
	v_fma_f64 v[21:22], v[1:2], v[15:16], -v[21:22]
	ds_read_b128 v[9:12], v70 offset:1424
	v_fma_f64 v[15:16], v[3:4], v[15:16], v[85:86]
	v_add_f64 v[17:18], v[65:66], v[17:18]
	v_add_f64 v[13:14], v[13:14], v[23:24]
	s_clause 0x2
	buffer_load_dword v72, off, s[0:3], 0 offset:652
	buffer_load_dword v24, off, s[0:3], 0 offset:628
	;; [unrolled: 1-line block ×3, first 2 shown]
	s_waitcnt vmcnt(58) lgkmcnt(0)
	v_mul_f64 v[65:66], v[9:10], v[31:32]
	v_mul_f64 v[31:32], v[11:12], v[31:32]
	s_waitcnt vmcnt(56)
	v_fma_f64 v[25:26], v[5:6], v[33:34], -v[25:26]
	ds_read_b128 v[1:4], v70 offset:1440
	v_add_f64 v[17:18], v[17:18], v[21:22]
	v_fma_f64 v[21:22], v[7:8], v[33:34], v[129:130]
	v_add_f64 v[13:14], v[13:14], v[15:16]
	s_clause 0x4
	buffer_load_dword v16, off, s[0:3], 0 offset:668
	buffer_load_dword v33, off, s[0:3], 0 offset:680
	;; [unrolled: 1-line block ×5, first 2 shown]
	ds_read_b128 v[5:8], v70 offset:1456
	s_waitcnt vmcnt(57) lgkmcnt(1)
	v_mul_f64 v[86:87], v[1:2], v[35:36]
	v_mul_f64 v[35:36], v[3:4], v[35:36]
	s_waitcnt vmcnt(56)
	v_fma_f64 v[31:32], v[9:10], v[19:20], -v[31:32]
	v_fma_f64 v[19:20], v[11:12], v[19:20], v[65:66]
	v_add_f64 v[17:18], v[17:18], v[25:26]
	v_add_f64 v[13:14], v[13:14], v[21:22]
	s_clause 0x2
	buffer_load_dword v34, off, s[0:3], 0 offset:684
	buffer_load_dword v22, off, s[0:3], 0 offset:660
	;; [unrolled: 1-line block ×3, first 2 shown]
	s_waitcnt vmcnt(58) lgkmcnt(0)
	v_mul_f64 v[25:26], v[5:6], v[39:40]
	v_mul_f64 v[39:40], v[7:8], v[39:40]
	s_waitcnt vmcnt(56)
	v_fma_f64 v[35:36], v[1:2], v[41:42], -v[35:36]
	ds_read_b128 v[9:12], v70 offset:1472
	v_add_f64 v[17:18], v[17:18], v[31:32]
	v_fma_f64 v[31:32], v[3:4], v[41:42], v[86:87]
	v_add_f64 v[13:14], v[13:14], v[19:20]
	s_clause 0x4
	buffer_load_dword v20, off, s[0:3], 0 offset:700
	buffer_load_dword v41, off, s[0:3], 0 offset:712
	;; [unrolled: 1-line block ×5, first 2 shown]
	ds_read_b128 v[1:4], v70 offset:1488
	s_waitcnt vmcnt(57) lgkmcnt(1)
	v_mul_f64 v[130:131], v[9:10], v[43:44]
	v_mul_f64 v[43:44], v[11:12], v[43:44]
	s_waitcnt vmcnt(56)
	v_fma_f64 v[39:40], v[5:6], v[27:28], -v[39:40]
	v_fma_f64 v[25:26], v[7:8], v[27:28], v[25:26]
	s_clause 0x2
	buffer_load_dword v42, off, s[0:3], 0 offset:716
	buffer_load_dword v28, off, s[0:3], 0 offset:692
	;; [unrolled: 1-line block ×3, first 2 shown]
	ds_read_b128 v[5:8], v70 offset:1504
	v_add_f64 v[17:18], v[17:18], v[35:36]
	v_add_f64 v[13:14], v[13:14], v[31:32]
	s_waitcnt vmcnt(58) lgkmcnt(1)
	v_mul_f64 v[35:36], v[3:4], v[47:48]
	v_mul_f64 v[31:32], v[1:2], v[47:48]
	s_waitcnt vmcnt(56)
	v_fma_f64 v[43:44], v[9:10], v[49:50], -v[43:44]
	v_add_f64 v[17:18], v[17:18], v[39:40]
	v_fma_f64 v[39:40], v[11:12], v[49:50], v[130:131]
	v_add_f64 v[13:14], v[13:14], v[25:26]
	s_clause 0x4
	buffer_load_dword v26, off, s[0:3], 0 offset:732
	buffer_load_dword v47, off, s[0:3], 0 offset:744
	;; [unrolled: 1-line block ×5, first 2 shown]
	s_waitcnt vmcnt(57) lgkmcnt(0)
	v_mul_f64 v[130:131], v[5:6], v[51:52]
	v_mul_f64 v[50:51], v[7:8], v[51:52]
	s_waitcnt vmcnt(56)
	v_fma_f64 v[35:36], v[1:2], v[37:38], -v[35:36]
	ds_read_b128 v[9:12], v70 offset:1520
	v_fma_f64 v[31:32], v[3:4], v[37:38], v[31:32]
	s_clause 0x2
	buffer_load_dword v48, off, s[0:3], 0 offset:748
	buffer_load_dword v38, off, s[0:3], 0 offset:724
	;; [unrolled: 1-line block ×3, first 2 shown]
	ds_read_b128 v[1:4], v70 offset:1536
	v_add_f64 v[17:18], v[17:18], v[43:44]
	v_add_f64 v[13:14], v[13:14], v[39:40]
	s_waitcnt vmcnt(58) lgkmcnt(1)
	v_mul_f64 v[43:44], v[11:12], v[55:56]
	s_waitcnt vmcnt(56)
	v_fma_f64 v[51:52], v[5:6], v[57:58], -v[50:51]
	v_mul_f64 v[39:40], v[9:10], v[55:56]
	v_add_f64 v[17:18], v[17:18], v[35:36]
	v_fma_f64 v[35:36], v[7:8], v[57:58], v[130:131]
	v_add_f64 v[13:14], v[13:14], v[31:32]
	s_clause 0x4
	buffer_load_dword v32, off, s[0:3], 0 offset:764
	buffer_load_dword v55, off, s[0:3], 0 offset:776
	;; [unrolled: 1-line block ×5, first 2 shown]
	s_waitcnt vmcnt(57) lgkmcnt(0)
	v_mul_f64 v[130:131], v[1:2], v[59:60]
	v_mul_f64 v[58:59], v[3:4], v[59:60]
	s_waitcnt vmcnt(56)
	v_fma_f64 v[43:44], v[9:10], v[45:46], -v[43:44]
	ds_read_b128 v[5:8], v70 offset:1552
	v_fma_f64 v[39:40], v[11:12], v[45:46], v[39:40]
	v_add_f64 v[17:18], v[17:18], v[51:52]
	v_add_f64 v[13:14], v[13:14], v[35:36]
	s_clause 0x2
	buffer_load_dword v56, off, s[0:3], 0 offset:780
	buffer_load_dword v36, off, s[0:3], 0 offset:756
	;; [unrolled: 1-line block ×3, first 2 shown]
	ds_read_b128 v[9:12], v70 offset:1568
	s_waitcnt vmcnt(58) lgkmcnt(1)
	v_mul_f64 v[51:52], v[7:8], v[61:62]
	s_waitcnt vmcnt(56)
	v_fma_f64 v[59:60], v[1:2], v[63:64], -v[58:59]
	v_mul_f64 v[45:46], v[5:6], v[61:62]
	v_add_f64 v[17:18], v[17:18], v[43:44]
	v_fma_f64 v[43:44], v[3:4], v[63:64], v[130:131]
	v_add_f64 v[13:14], v[13:14], v[39:40]
	s_clause 0x4
	buffer_load_dword v40, off, s[0:3], 0 offset:796
	buffer_load_dword v61, off, s[0:3], 0 offset:808
	;; [unrolled: 1-line block ×5, first 2 shown]
	s_waitcnt vmcnt(57) lgkmcnt(0)
	v_mul_f64 v[130:131], v[9:10], v[77:78]
	v_mul_f64 v[77:78], v[11:12], v[77:78]
	s_waitcnt vmcnt(56)
	v_fma_f64 v[51:52], v[5:6], v[53:54], -v[51:52]
	ds_read_b128 v[1:4], v70 offset:1584
	v_fma_f64 v[45:46], v[7:8], v[53:54], v[45:46]
	v_add_f64 v[17:18], v[17:18], v[59:60]
	v_add_f64 v[13:14], v[13:14], v[43:44]
	s_clause 0x2
	buffer_load_dword v62, off, s[0:3], 0 offset:812
	buffer_load_dword v44, off, s[0:3], 0 offset:788
	;; [unrolled: 1-line block ×3, first 2 shown]
	ds_read_b128 v[5:8], v70 offset:1600
	s_waitcnt vmcnt(58) lgkmcnt(1)
	v_mul_f64 v[59:60], v[3:4], v[79:80]
	v_mul_f64 v[53:54], v[1:2], v[79:80]
	s_waitcnt vmcnt(56)
	v_fma_f64 v[77:78], v[9:10], v[67:68], -v[77:78]
	v_add_f64 v[17:18], v[17:18], v[51:52]
	v_fma_f64 v[51:52], v[11:12], v[67:68], v[130:131]
	v_add_f64 v[13:14], v[13:14], v[45:46]
	s_clause 0x4
	buffer_load_dword v46, off, s[0:3], 0 offset:828
	buffer_load_dword v67, off, s[0:3], 0 offset:840
	;; [unrolled: 1-line block ×5, first 2 shown]
	ds_read_b128 v[9:12], v70 offset:1616
	s_waitcnt vmcnt(57) lgkmcnt(1)
	v_mul_f64 v[130:131], v[5:6], v[75:76]
	v_mul_f64 v[75:76], v[7:8], v[75:76]
	s_waitcnt vmcnt(56)
	v_fma_f64 v[59:60], v[1:2], v[81:82], -v[59:60]
	v_fma_f64 v[53:54], v[3:4], v[81:82], v[53:54]
	v_add_f64 v[17:18], v[17:18], v[77:78]
	v_add_f64 v[13:14], v[13:14], v[51:52]
	s_clause 0x2
	buffer_load_dword v68, off, s[0:3], 0 offset:844
	buffer_load_dword v52, off, s[0:3], 0 offset:820
	;; [unrolled: 1-line block ×3, first 2 shown]
	s_waitcnt vmcnt(58) lgkmcnt(0)
	v_mul_f64 v[81:82], v[11:12], v[83:84]
	ds_read_b128 v[1:4], v70 offset:1632
	v_mul_f64 v[77:78], v[9:10], v[83:84]
	s_waitcnt vmcnt(56)
	v_fma_f64 v[75:76], v[5:6], v[73:74], -v[75:76]
	v_add_f64 v[17:18], v[17:18], v[59:60]
	v_fma_f64 v[59:60], v[7:8], v[73:74], v[130:131]
	v_add_f64 v[13:14], v[13:14], v[53:54]
	s_clause 0x4
	buffer_load_dword v54, off, s[0:3], 0 offset:860
	buffer_load_dword v73, off, s[0:3], 0 offset:872
	buffer_load_dword v83, off, s[0:3], 0 offset:864
	buffer_load_dword v53, off, s[0:3], 0 offset:856
	buffer_load_dword v80, off, s[0:3], 0 offset:836
	ds_read_b128 v[5:8], v70 offset:1648
	s_waitcnt vmcnt(57) lgkmcnt(1)
	v_mul_f64 v[130:131], v[1:2], v[29:30]
	v_mul_f64 v[29:30], v[3:4], v[29:30]
	s_waitcnt vmcnt(56)
	v_fma_f64 v[81:82], v[9:10], v[126:127], -v[81:82]
	v_add_f64 v[17:18], v[17:18], v[75:76]
	v_fma_f64 v[75:76], v[11:12], v[126:127], v[77:78]
	v_add_f64 v[13:14], v[13:14], v[59:60]
	s_clause 0x2
	buffer_load_dword v74, off, s[0:3], 0 offset:876
	buffer_load_dword v60, off, s[0:3], 0 offset:852
	;; [unrolled: 1-line block ×3, first 2 shown]
	ds_read_b128 v[9:12], v70 offset:1664
	s_waitcnt vmcnt(58) lgkmcnt(1)
	v_mul_f64 v[77:78], v[5:6], v[71:72]
	v_mul_f64 v[71:72], v[7:8], v[71:72]
	s_waitcnt vmcnt(56)
	v_fma_f64 v[29:30], v[1:2], v[23:24], -v[29:30]
	v_fma_f64 v[23:24], v[3:4], v[23:24], v[130:131]
	v_add_f64 v[17:18], v[17:18], v[81:82]
	v_add_f64 v[13:14], v[13:14], v[75:76]
	s_clause 0x4
	buffer_load_dword v76, off, s[0:3], 0 offset:892
	buffer_load_dword v81, off, s[0:3], 0 offset:904
	;; [unrolled: 1-line block ×5, first 2 shown]
	ds_read_b128 v[1:4], v70 offset:1680
	s_waitcnt vmcnt(57) lgkmcnt(1)
	v_mul_f64 v[130:131], v[9:10], v[15:16]
	v_mul_f64 v[15:16], v[11:12], v[15:16]
	s_waitcnt vmcnt(56)
	v_fma_f64 v[71:72], v[5:6], v[128:129], -v[71:72]
	v_add_f64 v[17:18], v[17:18], v[29:30]
	v_fma_f64 v[29:30], v[7:8], v[128:129], v[77:78]
	v_add_f64 v[13:14], v[13:14], v[23:24]
	s_clause 0x2
	buffer_load_dword v82, off, s[0:3], 0 offset:908
	buffer_load_dword v24, off, s[0:3], 0 offset:884
	;; [unrolled: 1-line block ×3, first 2 shown]
	ds_read_b128 v[5:8], v70 offset:1696
	s_waitcnt vmcnt(58) lgkmcnt(1)
	v_mul_f64 v[77:78], v[1:2], v[33:34]
	v_mul_f64 v[33:34], v[3:4], v[33:34]
	s_waitcnt vmcnt(56)
	v_fma_f64 v[15:16], v[9:10], v[21:22], -v[15:16]
	v_fma_f64 v[21:22], v[11:12], v[21:22], v[130:131]
	v_add_f64 v[17:18], v[17:18], v[71:72]
	v_add_f64 v[13:14], v[13:14], v[29:30]
	s_clause 0x4
	buffer_load_dword v30, off, s[0:3], 0 offset:924
	buffer_load_dword v71, off, s[0:3], 0 offset:936
	;; [unrolled: 1-line block ×5, first 2 shown]
	ds_read_b128 v[9:12], v70 offset:1712
	s_waitcnt vmcnt(57) lgkmcnt(1)
	v_mul_f64 v[129:130], v[5:6], v[19:20]
	v_mul_f64 v[19:20], v[7:8], v[19:20]
	s_waitcnt vmcnt(56)
	v_fma_f64 v[33:34], v[1:2], v[85:86], -v[33:34]
	v_add_f64 v[15:16], v[17:18], v[15:16]
	v_fma_f64 v[17:18], v[3:4], v[85:86], v[77:78]
	v_add_f64 v[13:14], v[13:14], v[21:22]
	s_clause 0x2
	buffer_load_dword v72, off, s[0:3], 0 offset:940
	buffer_load_dword v22, off, s[0:3], 0 offset:916
	;; [unrolled: 1-line block ×3, first 2 shown]
	s_waitcnt vmcnt(58) lgkmcnt(0)
	v_mul_f64 v[77:78], v[9:10], v[41:42]
	v_mul_f64 v[41:42], v[11:12], v[41:42]
	ds_read_b128 v[1:4], v70 offset:1728
	s_waitcnt vmcnt(56)
	v_fma_f64 v[19:20], v[5:6], v[27:28], -v[19:20]
	v_fma_f64 v[27:28], v[7:8], v[27:28], v[129:130]
	v_add_f64 v[15:16], v[15:16], v[33:34]
	v_add_f64 v[13:14], v[13:14], v[17:18]
	s_clause 0x4
	buffer_load_dword v18, off, s[0:3], 0 offset:956
	buffer_load_dword v33, off, s[0:3], 0 offset:968
	;; [unrolled: 1-line block ×5, first 2 shown]
	ds_read_b128 v[5:8], v70 offset:1744
	s_waitcnt vmcnt(57) lgkmcnt(1)
	v_mul_f64 v[86:87], v[1:2], v[25:26]
	v_mul_f64 v[25:26], v[3:4], v[25:26]
	s_waitcnt vmcnt(56)
	v_fma_f64 v[41:42], v[9:10], v[65:66], -v[41:42]
	v_add_f64 v[15:16], v[15:16], v[19:20]
	v_fma_f64 v[19:20], v[11:12], v[65:66], v[77:78]
	v_add_f64 v[13:14], v[13:14], v[27:28]
	s_clause 0x2
	buffer_load_dword v34, off, s[0:3], 0 offset:972
	buffer_load_dword v28, off, s[0:3], 0 offset:948
	buffer_load_dword v27, off, s[0:3], 0 offset:944
	s_waitcnt vmcnt(58) lgkmcnt(0)
	v_mul_f64 v[65:66], v[5:6], v[47:48]
	v_mul_f64 v[47:48], v[7:8], v[47:48]
	ds_read_b128 v[9:12], v70 offset:1760
	s_waitcnt vmcnt(56)
	v_fma_f64 v[25:26], v[1:2], v[37:38], -v[25:26]
	v_fma_f64 v[37:38], v[3:4], v[37:38], v[86:87]
	v_add_f64 v[15:16], v[15:16], v[41:42]
	v_add_f64 v[13:14], v[13:14], v[19:20]
	s_clause 0x4
	buffer_load_dword v20, off, s[0:3], 0 offset:988
	buffer_load_dword v41, off, s[0:3], 0 offset:1000
	buffer_load_dword v77, off, s[0:3], 0 offset:992
	buffer_load_dword v19, off, s[0:3], 0 offset:984
	buffer_load_dword v86, off, s[0:3], 0 offset:964
	ds_read_b128 v[1:4], v70 offset:1776
	s_waitcnt vmcnt(57) lgkmcnt(1)
	v_mul_f64 v[130:131], v[9:10], v[31:32]
	v_mul_f64 v[31:32], v[11:12], v[31:32]
	s_waitcnt vmcnt(56)
	v_fma_f64 v[47:48], v[5:6], v[49:50], -v[47:48]
	v_add_f64 v[15:16], v[15:16], v[25:26]
	v_fma_f64 v[25:26], v[7:8], v[49:50], v[65:66]
	v_add_f64 v[13:14], v[13:14], v[37:38]
	s_clause 0x2
	buffer_load_dword v42, off, s[0:3], 0 offset:1004
	buffer_load_dword v38, off, s[0:3], 0 offset:980
	buffer_load_dword v37, off, s[0:3], 0 offset:976
	ds_read_b128 v[5:8], v70 offset:1792
	s_waitcnt vmcnt(58) lgkmcnt(1)
	v_mul_f64 v[49:50], v[1:2], v[55:56]
	v_mul_f64 v[55:56], v[3:4], v[55:56]
	s_waitcnt vmcnt(56)
	v_fma_f64 v[31:32], v[9:10], v[35:36], -v[31:32]
	v_fma_f64 v[35:36], v[11:12], v[35:36], v[130:131]
	v_add_f64 v[15:16], v[15:16], v[47:48]
	v_add_f64 v[13:14], v[13:14], v[25:26]
	s_clause 0x4
	buffer_load_dword v26, off, s[0:3], 0 offset:1020
	buffer_load_dword v47, off, s[0:3], 0 offset:1032
	;; [unrolled: 1-line block ×5, first 2 shown]
	ds_read_b128 v[9:12], v70 offset:1808
	s_waitcnt vmcnt(57) lgkmcnt(1)
	v_mul_f64 v[130:131], v[5:6], v[39:40]
	v_mul_f64 v[39:40], v[7:8], v[39:40]
	s_waitcnt vmcnt(56)
	v_fma_f64 v[55:56], v[1:2], v[57:58], -v[55:56]
	v_add_f64 v[15:16], v[15:16], v[31:32]
	v_fma_f64 v[31:32], v[3:4], v[57:58], v[49:50]
	v_add_f64 v[13:14], v[13:14], v[35:36]
	s_clause 0x2
	buffer_load_dword v48, off, s[0:3], 0 offset:1036
	buffer_load_dword v36, off, s[0:3], 0 offset:1012
	;; [unrolled: 1-line block ×3, first 2 shown]
	ds_read_b128 v[1:4], v70 offset:1824
	buffer_load_dword v66, off, s[0:3], 0 offset:1028
	s_waitcnt vmcnt(59) lgkmcnt(1)
	v_mul_f64 v[57:58], v[11:12], v[61:62]
	v_mul_f64 v[49:50], v[9:10], v[61:62]
	s_waitcnt vmcnt(57)
	v_fma_f64 v[39:40], v[5:6], v[43:44], -v[39:40]
	v_fma_f64 v[43:44], v[7:8], v[43:44], v[130:131]
	ds_read_b128 v[5:8], v70 offset:1840
	v_add_f64 v[15:16], v[15:16], v[55:56]
	v_add_f64 v[13:14], v[13:14], v[31:32]
	s_waitcnt vmcnt(53) lgkmcnt(1)
	v_mul_f64 v[31:32], v[1:2], v[45:46]
	v_mul_f64 v[45:46], v[3:4], v[45:46]
	s_waitcnt vmcnt(52)
	v_fma_f64 v[55:56], v[9:10], v[63:64], -v[57:58]
	v_add_f64 v[15:16], v[15:16], v[39:40]
	v_fma_f64 v[39:40], v[11:12], v[63:64], v[49:50]
	v_add_f64 v[13:14], v[13:14], v[43:44]
	ds_read_b128 v[9:12], v70 offset:1856
	s_waitcnt vmcnt(51) lgkmcnt(1)
	v_mul_f64 v[49:50], v[7:8], v[67:68]
	v_mul_f64 v[43:44], v[5:6], v[67:68]
	s_waitcnt vmcnt(49)
	v_fma_f64 v[45:46], v[1:2], v[51:52], -v[45:46]
	v_fma_f64 v[31:32], v[3:4], v[51:52], v[31:32]
	v_add_f64 v[15:16], v[15:16], v[55:56]
	v_add_f64 v[13:14], v[13:14], v[39:40]
	s_clause 0x3
	buffer_load_dword v39, off, s[0:3], 0 offset:304
	buffer_load_dword v40, off, s[0:3], 0 offset:308
	;; [unrolled: 1-line block ×4, first 2 shown]
	ds_read_b128 v[1:4], v70 offset:1872
	s_waitcnt vmcnt(49) lgkmcnt(1)
	v_mul_f64 v[55:56], v[9:10], v[53:54]
	v_mul_f64 v[53:54], v[11:12], v[53:54]
	s_waitcnt vmcnt(48)
	v_fma_f64 v[49:50], v[5:6], v[79:80], -v[49:50]
	v_fma_f64 v[43:44], v[7:8], v[79:80], v[43:44]
	ds_read_b128 v[5:8], v70 offset:1888
	v_add_f64 v[15:16], v[15:16], v[45:46]
	v_add_f64 v[13:14], v[13:14], v[31:32]
	s_waitcnt vmcnt(47) lgkmcnt(1)
	v_mul_f64 v[45:46], v[3:4], v[73:74]
	v_mul_f64 v[31:32], v[1:2], v[73:74]
	s_waitcnt vmcnt(45)
	v_fma_f64 v[53:54], v[9:10], v[59:60], -v[53:54]
	v_add_f64 v[15:16], v[15:16], v[49:50]
	v_fma_f64 v[49:50], v[11:12], v[59:60], v[55:56]
	v_add_f64 v[13:14], v[13:14], v[43:44]
	ds_read_b128 v[9:12], v70 offset:1904
	s_waitcnt vmcnt(41) lgkmcnt(1)
	v_mul_f64 v[55:56], v[7:8], v[75:76]
	s_waitcnt vmcnt(40)
	v_fma_f64 v[45:46], v[1:2], v[83:84], -v[45:46]
	v_mul_f64 v[43:44], v[5:6], v[75:76]
	v_fma_f64 v[31:32], v[3:4], v[83:84], v[31:32]
	ds_read_b128 v[1:4], v70 offset:1920
	v_add_f64 v[15:16], v[15:16], v[53:54]
	v_add_f64 v[13:14], v[13:14], v[49:50]
	s_waitcnt vmcnt(39) lgkmcnt(1)
	v_mul_f64 v[53:54], v[11:12], v[81:82]
	v_mul_f64 v[49:50], v[9:10], v[81:82]
	s_waitcnt vmcnt(37)
	v_fma_f64 v[55:56], v[5:6], v[23:24], -v[55:56]
	v_fma_f64 v[23:24], v[7:8], v[23:24], v[43:44]
	ds_read_b128 v[5:8], v70 offset:1936
	v_add_f64 v[15:16], v[15:16], v[45:46]
	v_add_f64 v[13:14], v[13:14], v[31:32]
	s_waitcnt vmcnt(33) lgkmcnt(1)
	v_mul_f64 v[31:32], v[1:2], v[29:30]
	v_mul_f64 v[29:30], v[3:4], v[29:30]
	s_waitcnt vmcnt(32)
	v_fma_f64 v[43:44], v[9:10], v[126:127], -v[53:54]
	;; [unrolled: 9-line block ×6, first 2 shown]
	v_add_f64 v[15:16], v[15:16], v[17:18]
	v_fma_f64 v[17:18], v[3:4], v[85:86], v[21:22]
	v_add_f64 v[13:14], v[13:14], v[27:28]
	ds_read_b128 v[1:4], v70 offset:2016
	s_waitcnt vmcnt(15) lgkmcnt(1)
	v_mul_f64 v[27:28], v[11:12], v[41:42]
	v_mul_f64 v[21:22], v[9:10], v[41:42]
	s_waitcnt vmcnt(13)
	v_fma_f64 v[19:20], v[5:6], v[37:38], -v[19:20]
	v_fma_f64 v[23:24], v[7:8], v[37:38], v[23:24]
	ds_read_b128 v[5:8], v70 offset:2032
	v_add_f64 v[15:16], v[15:16], v[29:30]
	v_add_f64 v[13:14], v[13:14], v[17:18]
	s_waitcnt vmcnt(9) lgkmcnt(1)
	v_mul_f64 v[17:18], v[1:2], v[25:26]
	v_mul_f64 v[25:26], v[3:4], v[25:26]
	s_waitcnt vmcnt(8)
	v_fma_f64 v[9:10], v[9:10], v[77:78], -v[27:28]
	v_fma_f64 v[11:12], v[11:12], v[77:78], v[21:22]
	v_add_f64 v[15:16], v[15:16], v[19:20]
	v_add_f64 v[13:14], v[13:14], v[23:24]
	s_waitcnt vmcnt(7) lgkmcnt(0)
	v_mul_f64 v[21:22], v[7:8], v[47:48]
	v_mul_f64 v[19:20], v[5:6], v[47:48]
	s_waitcnt vmcnt(5)
	v_fma_f64 v[1:2], v[1:2], v[35:36], -v[25:26]
	v_fma_f64 v[3:4], v[3:4], v[35:36], v[17:18]
	v_add_f64 v[9:10], v[15:16], v[9:10]
	v_add_f64 v[11:12], v[13:14], v[11:12]
	s_waitcnt vmcnt(4)
	v_fma_f64 v[5:6], v[5:6], v[65:66], -v[21:22]
	v_fma_f64 v[7:8], v[7:8], v[65:66], v[19:20]
	v_add_f64 v[1:2], v[9:10], v[1:2]
	v_add_f64 v[3:4], v[11:12], v[3:4]
	;; [unrolled: 1-line block ×4, first 2 shown]
	s_waitcnt vmcnt(2)
	v_add_f64 v[1:2], v[39:40], -v[1:2]
	s_waitcnt vmcnt(0)
	v_add_f64 v[3:4], v[51:52], -v[3:4]
	buffer_store_dword v2, off, s[0:3], 0 offset:308
	buffer_store_dword v1, off, s[0:3], 0 offset:304
	;; [unrolled: 1-line block ×4, first 2 shown]
	v_cmpx_lt_u32_e32 17, v0
	s_cbranch_execz .LBB63_375
; %bb.374:
	v_mov_b32_e32 v4, s61
	s_clause 0x3
	buffer_load_dword v1, v4, s[0:3], 0 offen
	buffer_load_dword v2, v4, s[0:3], 0 offen offset:4
	buffer_load_dword v3, v4, s[0:3], 0 offen offset:8
	;; [unrolled: 1-line block ×3, first 2 shown]
	buffer_store_dword v70, off, s[0:3], 0 offset:288
	buffer_store_dword v70, off, s[0:3], 0 offset:292
	;; [unrolled: 1-line block ×4, first 2 shown]
	s_waitcnt vmcnt(0)
	ds_write_b128 v69, v[1:4]
.LBB63_375:
	s_or_b32 exec_lo, exec_lo, s4
	s_waitcnt lgkmcnt(0)
	s_waitcnt_vscnt null, 0x0
	s_barrier
	buffer_gl0_inv
	s_clause 0x37
	buffer_load_dword v17, off, s[0:3], 0 offset:312
	buffer_load_dword v18, off, s[0:3], 0 offset:316
	;; [unrolled: 1-line block ×56, first 2 shown]
	ds_read_b128 v[5:8], v70 offset:1312
	s_clause 0x2
	buffer_load_dword v66, off, s[0:3], 0 offset:540
	buffer_load_dword v68, off, s[0:3], 0 offset:516
	;; [unrolled: 1-line block ×3, first 2 shown]
	ds_read_b128 v[1:4], v70 offset:1328
	s_clause 0x4
	buffer_load_dword v78, off, s[0:3], 0 offset:556
	buffer_load_dword v79, off, s[0:3], 0 offset:568
	;; [unrolled: 1-line block ×5, first 2 shown]
	ds_read_b128 v[71:74], v70 offset:1344
	s_mov_b32 s4, exec_lo
	s_waitcnt vmcnt(62) lgkmcnt(2)
	v_mul_f64 v[75:76], v[7:8], v[17:18]
	v_mul_f64 v[17:18], v[5:6], v[17:18]
	s_waitcnt vmcnt(60) lgkmcnt(1)
	v_mul_f64 v[82:83], v[3:4], v[13:14]
	v_mul_f64 v[13:14], v[1:2], v[13:14]
	;; [unrolled: 3-line block ×3, first 2 shown]
	v_fma_f64 v[75:76], v[5:6], v[15:16], -v[75:76]
	v_fma_f64 v[15:16], v[7:8], v[15:16], v[17:18]
	s_clause 0x2
	buffer_load_dword v80, off, s[0:3], 0 offset:572
	buffer_load_dword v18, off, s[0:3], 0 offset:548
	buffer_load_dword v17, off, s[0:3], 0 offset:544
	s_waitcnt vmcnt(57)
	v_fma_f64 v[86:87], v[1:2], v[9:10], -v[82:83]
	ds_read_b128 v[5:8], v70 offset:1360
	v_fma_f64 v[9:10], v[3:4], v[9:10], v[13:14]
	s_waitcnt vmcnt(51)
	v_fma_f64 v[71:72], v[71:72], v[33:34], -v[11:12]
	v_fma_f64 v[33:34], v[73:74], v[33:34], v[84:85]
	v_add_f64 v[75:76], v[75:76], 0
	v_add_f64 v[13:14], v[15:16], 0
	s_clause 0x4
	buffer_load_dword v16, off, s[0:3], 0 offset:588
	buffer_load_dword v83, off, s[0:3], 0 offset:600
	;; [unrolled: 1-line block ×5, first 2 shown]
	s_waitcnt lgkmcnt(0)
	v_mul_f64 v[127:128], v[5:6], v[21:22]
	v_mul_f64 v[21:22], v[7:8], v[21:22]
	ds_read_b128 v[1:4], v70 offset:1376
	s_clause 0x2
	buffer_load_dword v84, off, s[0:3], 0 offset:604
	buffer_load_dword v74, off, s[0:3], 0 offset:580
	;; [unrolled: 1-line block ×3, first 2 shown]
	v_add_f64 v[75:76], v[75:76], v[86:87]
	v_add_f64 v[13:14], v[13:14], v[9:10]
	ds_read_b128 v[9:12], v70 offset:1392
	s_waitcnt vmcnt(58) lgkmcnt(1)
	v_mul_f64 v[85:86], v[1:2], v[25:26]
	v_mul_f64 v[25:26], v[3:4], v[25:26]
	s_waitcnt vmcnt(56)
	v_fma_f64 v[21:22], v[5:6], v[27:28], -v[21:22]
	v_fma_f64 v[27:28], v[7:8], v[27:28], v[127:128]
	s_waitcnt vmcnt(52) lgkmcnt(0)
	v_mul_f64 v[129:130], v[9:10], v[29:30]
	v_add_f64 v[71:72], v[75:76], v[71:72]
	v_add_f64 v[13:14], v[13:14], v[33:34]
	s_clause 0x4
	buffer_load_dword v34, off, s[0:3], 0 offset:620
	buffer_load_dword v75, off, s[0:3], 0 offset:632
	;; [unrolled: 1-line block ×5, first 2 shown]
	v_mul_f64 v[29:30], v[11:12], v[29:30]
	s_waitcnt vmcnt(56)
	v_fma_f64 v[25:26], v[1:2], v[19:20], -v[25:26]
	ds_read_b128 v[5:8], v70 offset:1408
	v_fma_f64 v[19:20], v[3:4], v[19:20], v[85:86]
	v_add_f64 v[21:22], v[71:72], v[21:22]
	v_add_f64 v[13:14], v[13:14], v[27:28]
	s_clause 0x2
	buffer_load_dword v76, off, s[0:3], 0 offset:636
	buffer_load_dword v28, off, s[0:3], 0 offset:612
	;; [unrolled: 1-line block ×3, first 2 shown]
	s_waitcnt vmcnt(58) lgkmcnt(0)
	v_mul_f64 v[71:72], v[5:6], v[35:36]
	v_mul_f64 v[35:36], v[7:8], v[35:36]
	s_waitcnt vmcnt(56)
	v_fma_f64 v[29:30], v[9:10], v[37:38], -v[29:30]
	ds_read_b128 v[1:4], v70 offset:1424
	v_add_f64 v[21:22], v[21:22], v[25:26]
	v_fma_f64 v[25:26], v[11:12], v[37:38], v[129:130]
	v_add_f64 v[13:14], v[13:14], v[19:20]
	s_clause 0x4
	buffer_load_dword v20, off, s[0:3], 0 offset:652
	buffer_load_dword v37, off, s[0:3], 0 offset:664
	buffer_load_dword v85, off, s[0:3], 0 offset:656
	buffer_load_dword v19, off, s[0:3], 0 offset:648
	buffer_load_dword v129, off, s[0:3], 0 offset:628
	s_waitcnt vmcnt(57) lgkmcnt(0)
	v_mul_f64 v[86:87], v[1:2], v[39:40]
	v_mul_f64 v[39:40], v[3:4], v[39:40]
	s_waitcnt vmcnt(56)
	v_fma_f64 v[35:36], v[5:6], v[23:24], -v[35:36]
	ds_read_b128 v[9:12], v70 offset:1440
	v_fma_f64 v[23:24], v[7:8], v[23:24], v[71:72]
	v_add_f64 v[21:22], v[21:22], v[29:30]
	v_add_f64 v[13:14], v[13:14], v[25:26]
	s_clause 0x2
	buffer_load_dword v38, off, s[0:3], 0 offset:668
	buffer_load_dword v26, off, s[0:3], 0 offset:644
	;; [unrolled: 1-line block ×3, first 2 shown]
	ds_read_b128 v[5:8], v70 offset:1456
	s_waitcnt vmcnt(58) lgkmcnt(1)
	v_mul_f64 v[29:30], v[9:10], v[43:44]
	v_mul_f64 v[43:44], v[11:12], v[43:44]
	s_waitcnt vmcnt(56)
	v_fma_f64 v[39:40], v[1:2], v[45:46], -v[39:40]
	v_add_f64 v[21:22], v[21:22], v[35:36]
	v_fma_f64 v[35:36], v[3:4], v[45:46], v[86:87]
	v_add_f64 v[13:14], v[13:14], v[23:24]
	s_clause 0x4
	buffer_load_dword v24, off, s[0:3], 0 offset:684
	buffer_load_dword v45, off, s[0:3], 0 offset:696
	;; [unrolled: 1-line block ×5, first 2 shown]
	s_waitcnt vmcnt(57) lgkmcnt(0)
	v_mul_f64 v[130:131], v[5:6], v[47:48]
	v_mul_f64 v[47:48], v[7:8], v[47:48]
	s_waitcnt vmcnt(56)
	v_fma_f64 v[43:44], v[9:10], v[31:32], -v[43:44]
	ds_read_b128 v[1:4], v70 offset:1472
	v_fma_f64 v[29:30], v[11:12], v[31:32], v[29:30]
	s_clause 0x2
	buffer_load_dword v46, off, s[0:3], 0 offset:700
	buffer_load_dword v32, off, s[0:3], 0 offset:676
	;; [unrolled: 1-line block ×3, first 2 shown]
	ds_read_b128 v[9:12], v70 offset:1488
	v_add_f64 v[21:22], v[21:22], v[39:40]
	v_add_f64 v[13:14], v[13:14], v[35:36]
	s_waitcnt vmcnt(58) lgkmcnt(1)
	v_mul_f64 v[39:40], v[3:4], v[51:52]
	s_waitcnt vmcnt(56)
	v_fma_f64 v[47:48], v[5:6], v[53:54], -v[47:48]
	v_mul_f64 v[35:36], v[1:2], v[51:52]
	v_add_f64 v[21:22], v[21:22], v[43:44]
	v_fma_f64 v[43:44], v[7:8], v[53:54], v[130:131]
	v_add_f64 v[13:14], v[13:14], v[29:30]
	s_clause 0x4
	buffer_load_dword v30, off, s[0:3], 0 offset:716
	buffer_load_dword v51, off, s[0:3], 0 offset:728
	;; [unrolled: 1-line block ×5, first 2 shown]
	s_waitcnt vmcnt(57) lgkmcnt(0)
	v_mul_f64 v[130:131], v[9:10], v[55:56]
	v_mul_f64 v[54:55], v[11:12], v[55:56]
	s_waitcnt vmcnt(56)
	v_fma_f64 v[39:40], v[1:2], v[41:42], -v[39:40]
	ds_read_b128 v[5:8], v70 offset:1504
	v_fma_f64 v[35:36], v[3:4], v[41:42], v[35:36]
	s_clause 0x2
	buffer_load_dword v52, off, s[0:3], 0 offset:732
	buffer_load_dword v42, off, s[0:3], 0 offset:708
	;; [unrolled: 1-line block ×3, first 2 shown]
	ds_read_b128 v[1:4], v70 offset:1520
	v_add_f64 v[21:22], v[21:22], v[47:48]
	v_add_f64 v[13:14], v[13:14], v[43:44]
	s_waitcnt vmcnt(58) lgkmcnt(1)
	v_mul_f64 v[47:48], v[7:8], v[59:60]
	s_waitcnt vmcnt(56)
	v_fma_f64 v[55:56], v[9:10], v[61:62], -v[54:55]
	v_mul_f64 v[43:44], v[5:6], v[59:60]
	v_add_f64 v[21:22], v[21:22], v[39:40]
	v_fma_f64 v[39:40], v[11:12], v[61:62], v[130:131]
	v_add_f64 v[13:14], v[13:14], v[35:36]
	s_clause 0x4
	buffer_load_dword v36, off, s[0:3], 0 offset:748
	buffer_load_dword v59, off, s[0:3], 0 offset:760
	buffer_load_dword v61, off, s[0:3], 0 offset:752
	buffer_load_dword v35, off, s[0:3], 0 offset:744
	buffer_load_dword v54, off, s[0:3], 0 offset:724
	s_waitcnt vmcnt(57) lgkmcnt(0)
	v_mul_f64 v[130:131], v[1:2], v[63:64]
	v_mul_f64 v[62:63], v[3:4], v[63:64]
	s_waitcnt vmcnt(56)
	v_fma_f64 v[47:48], v[5:6], v[49:50], -v[47:48]
	ds_read_b128 v[9:12], v70 offset:1536
	v_fma_f64 v[43:44], v[7:8], v[49:50], v[43:44]
	v_add_f64 v[21:22], v[21:22], v[55:56]
	v_add_f64 v[13:14], v[13:14], v[39:40]
	s_clause 0x2
	buffer_load_dword v60, off, s[0:3], 0 offset:764
	buffer_load_dword v40, off, s[0:3], 0 offset:740
	;; [unrolled: 1-line block ×3, first 2 shown]
	ds_read_b128 v[5:8], v70 offset:1552
	s_waitcnt vmcnt(58) lgkmcnt(1)
	v_mul_f64 v[55:56], v[11:12], v[65:66]
	s_waitcnt vmcnt(56)
	v_fma_f64 v[63:64], v[1:2], v[67:68], -v[62:63]
	v_mul_f64 v[49:50], v[9:10], v[65:66]
	v_add_f64 v[21:22], v[21:22], v[47:48]
	v_fma_f64 v[47:48], v[3:4], v[67:68], v[130:131]
	v_add_f64 v[13:14], v[13:14], v[43:44]
	s_clause 0x4
	buffer_load_dword v44, off, s[0:3], 0 offset:780
	buffer_load_dword v65, off, s[0:3], 0 offset:792
	;; [unrolled: 1-line block ×5, first 2 shown]
	s_waitcnt vmcnt(57) lgkmcnt(0)
	v_mul_f64 v[130:131], v[5:6], v[77:78]
	v_mul_f64 v[77:78], v[7:8], v[77:78]
	s_waitcnt vmcnt(56)
	v_fma_f64 v[55:56], v[9:10], v[57:58], -v[55:56]
	ds_read_b128 v[1:4], v70 offset:1568
	v_fma_f64 v[49:50], v[11:12], v[57:58], v[49:50]
	v_add_f64 v[21:22], v[21:22], v[63:64]
	v_add_f64 v[13:14], v[13:14], v[47:48]
	s_clause 0x2
	buffer_load_dword v66, off, s[0:3], 0 offset:796
	buffer_load_dword v48, off, s[0:3], 0 offset:772
	;; [unrolled: 1-line block ×3, first 2 shown]
	ds_read_b128 v[9:12], v70 offset:1584
	s_waitcnt vmcnt(58) lgkmcnt(1)
	v_mul_f64 v[63:64], v[3:4], v[79:80]
	v_mul_f64 v[57:58], v[1:2], v[79:80]
	s_waitcnt vmcnt(56)
	v_fma_f64 v[77:78], v[5:6], v[17:18], -v[77:78]
	v_fma_f64 v[17:18], v[7:8], v[17:18], v[130:131]
	v_add_f64 v[21:22], v[21:22], v[55:56]
	v_add_f64 v[13:14], v[13:14], v[49:50]
	s_clause 0x4
	buffer_load_dword v50, off, s[0:3], 0 offset:812
	buffer_load_dword v55, off, s[0:3], 0 offset:824
	;; [unrolled: 1-line block ×5, first 2 shown]
	ds_read_b128 v[5:8], v70 offset:1600
	s_waitcnt vmcnt(57) lgkmcnt(1)
	v_mul_f64 v[130:131], v[9:10], v[15:16]
	v_mul_f64 v[15:16], v[11:12], v[15:16]
	s_waitcnt vmcnt(56)
	v_fma_f64 v[63:64], v[1:2], v[81:82], -v[63:64]
	v_fma_f64 v[57:58], v[3:4], v[81:82], v[57:58]
	v_add_f64 v[21:22], v[21:22], v[77:78]
	v_add_f64 v[13:14], v[13:14], v[17:18]
	s_clause 0x2
	buffer_load_dword v56, off, s[0:3], 0 offset:828
	buffer_load_dword v18, off, s[0:3], 0 offset:804
	;; [unrolled: 1-line block ×3, first 2 shown]
	s_waitcnt vmcnt(58) lgkmcnt(0)
	v_mul_f64 v[81:82], v[7:8], v[83:84]
	ds_read_b128 v[1:4], v70 offset:1616
	v_mul_f64 v[77:78], v[5:6], v[83:84]
	s_waitcnt vmcnt(56)
	v_fma_f64 v[15:16], v[9:10], v[73:74], -v[15:16]
	v_add_f64 v[21:22], v[21:22], v[63:64]
	v_fma_f64 v[63:64], v[11:12], v[73:74], v[130:131]
	v_add_f64 v[13:14], v[13:14], v[57:58]
	s_clause 0x4
	buffer_load_dword v58, off, s[0:3], 0 offset:844
	buffer_load_dword v73, off, s[0:3], 0 offset:856
	;; [unrolled: 1-line block ×5, first 2 shown]
	ds_read_b128 v[9:12], v70 offset:1632
	s_waitcnt vmcnt(57) lgkmcnt(1)
	v_mul_f64 v[130:131], v[1:2], v[33:34]
	v_mul_f64 v[33:34], v[3:4], v[33:34]
	s_waitcnt vmcnt(56)
	v_fma_f64 v[81:82], v[5:6], v[126:127], -v[81:82]
	v_add_f64 v[15:16], v[21:22], v[15:16]
	v_fma_f64 v[21:22], v[7:8], v[126:127], v[77:78]
	v_add_f64 v[13:14], v[13:14], v[63:64]
	s_clause 0x2
	buffer_load_dword v74, off, s[0:3], 0 offset:860
	buffer_load_dword v64, off, s[0:3], 0 offset:836
	;; [unrolled: 1-line block ×3, first 2 shown]
	ds_read_b128 v[5:8], v70 offset:1648
	s_waitcnt vmcnt(58) lgkmcnt(1)
	v_mul_f64 v[77:78], v[9:10], v[75:76]
	v_mul_f64 v[75:76], v[11:12], v[75:76]
	s_waitcnt vmcnt(56)
	v_fma_f64 v[33:34], v[1:2], v[27:28], -v[33:34]
	v_fma_f64 v[27:28], v[3:4], v[27:28], v[130:131]
	v_add_f64 v[15:16], v[15:16], v[81:82]
	v_add_f64 v[13:14], v[13:14], v[21:22]
	s_clause 0x4
	buffer_load_dword v22, off, s[0:3], 0 offset:876
	buffer_load_dword v81, off, s[0:3], 0 offset:888
	;; [unrolled: 1-line block ×5, first 2 shown]
	ds_read_b128 v[1:4], v70 offset:1664
	s_waitcnt vmcnt(57) lgkmcnt(1)
	v_mul_f64 v[130:131], v[5:6], v[19:20]
	v_mul_f64 v[19:20], v[7:8], v[19:20]
	s_waitcnt vmcnt(56)
	v_fma_f64 v[75:76], v[9:10], v[128:129], -v[75:76]
	v_add_f64 v[15:16], v[15:16], v[33:34]
	v_fma_f64 v[33:34], v[11:12], v[128:129], v[77:78]
	v_add_f64 v[13:14], v[13:14], v[27:28]
	s_clause 0x2
	buffer_load_dword v82, off, s[0:3], 0 offset:892
	buffer_load_dword v28, off, s[0:3], 0 offset:868
	buffer_load_dword v27, off, s[0:3], 0 offset:864
	ds_read_b128 v[9:12], v70 offset:1680
	s_waitcnt vmcnt(58) lgkmcnt(1)
	v_mul_f64 v[77:78], v[1:2], v[37:38]
	v_mul_f64 v[37:38], v[3:4], v[37:38]
	s_waitcnt vmcnt(56)
	v_fma_f64 v[19:20], v[5:6], v[25:26], -v[19:20]
	v_fma_f64 v[25:26], v[7:8], v[25:26], v[130:131]
	v_add_f64 v[15:16], v[15:16], v[75:76]
	v_add_f64 v[13:14], v[13:14], v[33:34]
	s_clause 0x4
	buffer_load_dword v34, off, s[0:3], 0 offset:908
	buffer_load_dword v75, off, s[0:3], 0 offset:920
	;; [unrolled: 1-line block ×5, first 2 shown]
	ds_read_b128 v[5:8], v70 offset:1696
	s_waitcnt vmcnt(57) lgkmcnt(1)
	v_mul_f64 v[129:130], v[9:10], v[23:24]
	v_mul_f64 v[23:24], v[11:12], v[23:24]
	s_waitcnt vmcnt(56)
	v_fma_f64 v[37:38], v[1:2], v[85:86], -v[37:38]
	v_add_f64 v[15:16], v[15:16], v[19:20]
	v_fma_f64 v[19:20], v[3:4], v[85:86], v[77:78]
	v_add_f64 v[13:14], v[13:14], v[25:26]
	s_clause 0x2
	buffer_load_dword v76, off, s[0:3], 0 offset:924
	buffer_load_dword v26, off, s[0:3], 0 offset:900
	;; [unrolled: 1-line block ×3, first 2 shown]
	s_waitcnt vmcnt(58) lgkmcnt(0)
	v_mul_f64 v[77:78], v[5:6], v[45:46]
	v_mul_f64 v[45:46], v[7:8], v[45:46]
	ds_read_b128 v[1:4], v70 offset:1712
	s_waitcnt vmcnt(56)
	v_fma_f64 v[23:24], v[9:10], v[31:32], -v[23:24]
	v_fma_f64 v[31:32], v[11:12], v[31:32], v[129:130]
	v_add_f64 v[15:16], v[15:16], v[37:38]
	v_add_f64 v[13:14], v[13:14], v[19:20]
	s_clause 0x4
	buffer_load_dword v20, off, s[0:3], 0 offset:940
	buffer_load_dword v37, off, s[0:3], 0 offset:952
	;; [unrolled: 1-line block ×5, first 2 shown]
	ds_read_b128 v[9:12], v70 offset:1728
	s_waitcnt vmcnt(57) lgkmcnt(1)
	v_mul_f64 v[86:87], v[1:2], v[29:30]
	v_mul_f64 v[29:30], v[3:4], v[29:30]
	s_waitcnt vmcnt(56)
	v_fma_f64 v[45:46], v[5:6], v[71:72], -v[45:46]
	v_add_f64 v[15:16], v[15:16], v[23:24]
	v_fma_f64 v[23:24], v[7:8], v[71:72], v[77:78]
	v_add_f64 v[13:14], v[13:14], v[31:32]
	s_clause 0x2
	buffer_load_dword v38, off, s[0:3], 0 offset:956
	buffer_load_dword v32, off, s[0:3], 0 offset:932
	;; [unrolled: 1-line block ×3, first 2 shown]
	s_waitcnt vmcnt(58) lgkmcnt(0)
	v_mul_f64 v[71:72], v[9:10], v[51:52]
	v_mul_f64 v[51:52], v[11:12], v[51:52]
	ds_read_b128 v[5:8], v70 offset:1744
	s_waitcnt vmcnt(56)
	v_fma_f64 v[29:30], v[1:2], v[41:42], -v[29:30]
	v_fma_f64 v[41:42], v[3:4], v[41:42], v[86:87]
	v_add_f64 v[15:16], v[15:16], v[45:46]
	v_add_f64 v[13:14], v[13:14], v[23:24]
	s_clause 0x4
	buffer_load_dword v24, off, s[0:3], 0 offset:972
	buffer_load_dword v45, off, s[0:3], 0 offset:984
	;; [unrolled: 1-line block ×5, first 2 shown]
	ds_read_b128 v[1:4], v70 offset:1760
	s_waitcnt vmcnt(57) lgkmcnt(1)
	v_mul_f64 v[130:131], v[5:6], v[35:36]
	v_mul_f64 v[35:36], v[7:8], v[35:36]
	s_waitcnt vmcnt(56)
	v_fma_f64 v[51:52], v[9:10], v[53:54], -v[51:52]
	v_add_f64 v[15:16], v[15:16], v[29:30]
	v_fma_f64 v[29:30], v[11:12], v[53:54], v[71:72]
	v_add_f64 v[13:14], v[13:14], v[41:42]
	s_clause 0x2
	buffer_load_dword v46, off, s[0:3], 0 offset:988
	buffer_load_dword v42, off, s[0:3], 0 offset:964
	;; [unrolled: 1-line block ×3, first 2 shown]
	ds_read_b128 v[9:12], v70 offset:1776
	s_waitcnt vmcnt(58) lgkmcnt(1)
	v_mul_f64 v[53:54], v[1:2], v[59:60]
	v_mul_f64 v[59:60], v[3:4], v[59:60]
	s_waitcnt vmcnt(56)
	v_fma_f64 v[35:36], v[5:6], v[39:40], -v[35:36]
	v_fma_f64 v[39:40], v[7:8], v[39:40], v[130:131]
	v_add_f64 v[15:16], v[15:16], v[51:52]
	v_add_f64 v[13:14], v[13:14], v[29:30]
	s_clause 0x4
	buffer_load_dword v30, off, s[0:3], 0 offset:1004
	buffer_load_dword v51, off, s[0:3], 0 offset:1016
	;; [unrolled: 1-line block ×5, first 2 shown]
	ds_read_b128 v[5:8], v70 offset:1792
	s_waitcnt vmcnt(57) lgkmcnt(1)
	v_mul_f64 v[130:131], v[9:10], v[43:44]
	v_mul_f64 v[43:44], v[11:12], v[43:44]
	s_waitcnt vmcnt(56)
	v_fma_f64 v[59:60], v[1:2], v[61:62], -v[59:60]
	v_add_f64 v[15:16], v[15:16], v[35:36]
	v_fma_f64 v[35:36], v[3:4], v[61:62], v[53:54]
	v_add_f64 v[13:14], v[13:14], v[39:40]
	s_clause 0x2
	buffer_load_dword v52, off, s[0:3], 0 offset:1020
	buffer_load_dword v40, off, s[0:3], 0 offset:996
	;; [unrolled: 1-line block ×3, first 2 shown]
	ds_read_b128 v[1:4], v70 offset:1808
	s_waitcnt vmcnt(58) lgkmcnt(1)
	v_mul_f64 v[61:62], v[7:8], v[65:66]
	v_mul_f64 v[53:54], v[5:6], v[65:66]
	s_waitcnt vmcnt(56)
	v_fma_f64 v[43:44], v[9:10], v[47:48], -v[43:44]
	v_fma_f64 v[47:48], v[11:12], v[47:48], v[130:131]
	v_add_f64 v[15:16], v[15:16], v[59:60]
	v_add_f64 v[13:14], v[13:14], v[35:36]
	s_clause 0x2
	buffer_load_dword v36, off, s[0:3], 0 offset:1036
	buffer_load_dword v35, off, s[0:3], 0 offset:1032
	;; [unrolled: 1-line block ×3, first 2 shown]
	ds_read_b128 v[9:12], v70 offset:1824
	s_waitcnt vmcnt(55) lgkmcnt(1)
	v_mul_f64 v[59:60], v[1:2], v[49:50]
	v_mul_f64 v[49:50], v[3:4], v[49:50]
	s_waitcnt vmcnt(54)
	v_fma_f64 v[61:62], v[5:6], v[67:68], -v[61:62]
	v_add_f64 v[15:16], v[15:16], v[43:44]
	v_fma_f64 v[43:44], v[7:8], v[67:68], v[53:54]
	v_add_f64 v[13:14], v[13:14], v[47:48]
	s_clause 0x1
	buffer_load_dword v48, off, s[0:3], 0 offset:1028
	buffer_load_dword v47, off, s[0:3], 0 offset:1024
	ds_read_b128 v[5:8], v70 offset:1840
	s_waitcnt vmcnt(55) lgkmcnt(1)
	v_mul_f64 v[53:54], v[9:10], v[55:56]
	v_mul_f64 v[55:56], v[11:12], v[55:56]
	s_waitcnt vmcnt(53)
	v_fma_f64 v[49:50], v[1:2], v[17:18], -v[49:50]
	v_fma_f64 v[17:18], v[3:4], v[17:18], v[59:60]
	ds_read_b128 v[1:4], v70 offset:1856
	v_add_f64 v[15:16], v[15:16], v[61:62]
	v_add_f64 v[13:14], v[13:14], v[43:44]
	s_waitcnt vmcnt(49) lgkmcnt(1)
	v_mul_f64 v[43:44], v[5:6], v[57:58]
	v_mul_f64 v[57:58], v[7:8], v[57:58]
	s_waitcnt vmcnt(48)
	v_fma_f64 v[55:56], v[9:10], v[79:80], -v[55:56]
	v_add_f64 v[15:16], v[15:16], v[49:50]
	v_fma_f64 v[49:50], v[11:12], v[79:80], v[53:54]
	v_add_f64 v[13:14], v[13:14], v[17:18]
	s_clause 0x3
	buffer_load_dword v17, off, s[0:3], 0 offset:288
	buffer_load_dword v18, off, s[0:3], 0 offset:292
	;; [unrolled: 1-line block ×4, first 2 shown]
	ds_read_b128 v[9:12], v70 offset:1872
	s_waitcnt vmcnt(51) lgkmcnt(1)
	v_mul_f64 v[61:62], v[3:4], v[73:74]
	v_mul_f64 v[59:60], v[1:2], v[73:74]
	s_waitcnt vmcnt(49)
	v_fma_f64 v[57:58], v[5:6], v[63:64], -v[57:58]
	v_fma_f64 v[43:44], v[7:8], v[63:64], v[43:44]
	ds_read_b128 v[5:8], v70 offset:1888
	v_add_f64 v[15:16], v[15:16], v[55:56]
	v_add_f64 v[13:14], v[13:14], v[49:50]
	s_waitcnt vmcnt(45) lgkmcnt(1)
	v_mul_f64 v[49:50], v[9:10], v[21:22]
	v_mul_f64 v[21:22], v[11:12], v[21:22]
	s_waitcnt vmcnt(44)
	v_fma_f64 v[55:56], v[1:2], v[83:84], -v[61:62]
	v_add_f64 v[15:16], v[15:16], v[57:58]
	v_fma_f64 v[57:58], v[3:4], v[83:84], v[59:60]
	v_add_f64 v[13:14], v[13:14], v[43:44]
	ds_read_b128 v[1:4], v70 offset:1904
	s_waitcnt vmcnt(43) lgkmcnt(1)
	v_mul_f64 v[59:60], v[7:8], v[81:82]
	v_mul_f64 v[43:44], v[5:6], v[81:82]
	s_waitcnt vmcnt(41)
	v_fma_f64 v[21:22], v[9:10], v[27:28], -v[21:22]
	v_fma_f64 v[27:28], v[11:12], v[27:28], v[49:50]
	ds_read_b128 v[9:12], v70 offset:1920
	v_add_f64 v[15:16], v[15:16], v[55:56]
	v_add_f64 v[13:14], v[13:14], v[57:58]
	s_waitcnt vmcnt(37) lgkmcnt(1)
	v_mul_f64 v[49:50], v[1:2], v[33:34]
	v_mul_f64 v[33:34], v[3:4], v[33:34]
	s_waitcnt vmcnt(36)
	v_fma_f64 v[55:56], v[5:6], v[126:127], -v[59:60]
	v_add_f64 v[15:16], v[15:16], v[21:22]
	v_fma_f64 v[21:22], v[7:8], v[126:127], v[43:44]
	v_add_f64 v[13:14], v[13:14], v[27:28]
	ds_read_b128 v[5:8], v70 offset:1936
	s_waitcnt vmcnt(35) lgkmcnt(1)
	v_mul_f64 v[43:44], v[11:12], v[75:76]
	v_mul_f64 v[27:28], v[9:10], v[75:76]
	s_waitcnt vmcnt(33)
	v_fma_f64 v[33:34], v[1:2], v[25:26], -v[33:34]
	v_fma_f64 v[25:26], v[3:4], v[25:26], v[49:50]
	ds_read_b128 v[1:4], v70 offset:1952
	v_add_f64 v[15:16], v[15:16], v[55:56]
	v_add_f64 v[13:14], v[13:14], v[21:22]
	s_waitcnt vmcnt(29) lgkmcnt(1)
	v_mul_f64 v[21:22], v[5:6], v[19:20]
	v_mul_f64 v[19:20], v[7:8], v[19:20]
	s_waitcnt vmcnt(28)
	v_fma_f64 v[43:44], v[9:10], v[128:129], -v[43:44]
	v_fma_f64 v[27:28], v[11:12], v[128:129], v[27:28]
	ds_read_b128 v[9:12], v70 offset:1968
	v_add_f64 v[15:16], v[15:16], v[33:34]
	v_add_f64 v[13:14], v[13:14], v[25:26]
	;; [unrolled: 9-line block ×3, first 2 shown]
	s_waitcnt vmcnt(21) lgkmcnt(1)
	v_mul_f64 v[27:28], v[9:10], v[23:24]
	v_mul_f64 v[23:24], v[11:12], v[23:24]
	s_waitcnt vmcnt(20)
	v_fma_f64 v[31:32], v[1:2], v[85:86], -v[33:34]
	v_add_f64 v[15:16], v[15:16], v[19:20]
	v_fma_f64 v[19:20], v[3:4], v[85:86], v[25:26]
	v_add_f64 v[13:14], v[13:14], v[21:22]
	ds_read_b128 v[1:4], v70 offset:2000
	s_waitcnt vmcnt(19) lgkmcnt(1)
	v_mul_f64 v[25:26], v[7:8], v[45:46]
	v_mul_f64 v[21:22], v[5:6], v[45:46]
	s_waitcnt vmcnt(17)
	v_fma_f64 v[23:24], v[9:10], v[41:42], -v[23:24]
	v_fma_f64 v[27:28], v[11:12], v[41:42], v[27:28]
	ds_read_b128 v[9:12], v70 offset:2016
	v_add_f64 v[15:16], v[15:16], v[31:32]
	v_add_f64 v[13:14], v[13:14], v[19:20]
	s_waitcnt vmcnt(13) lgkmcnt(1)
	v_mul_f64 v[19:20], v[1:2], v[29:30]
	v_mul_f64 v[29:30], v[3:4], v[29:30]
	s_waitcnt vmcnt(12)
	v_fma_f64 v[25:26], v[5:6], v[77:78], -v[25:26]
	v_fma_f64 v[21:22], v[7:8], v[77:78], v[21:22]
	ds_read_b128 v[5:8], v70 offset:2032
	v_add_f64 v[15:16], v[15:16], v[23:24]
	v_add_f64 v[13:14], v[13:14], v[27:28]
	s_waitcnt vmcnt(11) lgkmcnt(1)
	v_mul_f64 v[27:28], v[11:12], v[51:52]
	v_mul_f64 v[23:24], v[9:10], v[51:52]
	s_waitcnt vmcnt(9)
	v_fma_f64 v[1:2], v[1:2], v[39:40], -v[29:30]
	v_fma_f64 v[3:4], v[3:4], v[39:40], v[19:20]
	v_add_f64 v[15:16], v[15:16], v[25:26]
	v_add_f64 v[13:14], v[13:14], v[21:22]
	s_waitcnt vmcnt(7) lgkmcnt(0)
	v_mul_f64 v[21:22], v[7:8], v[35:36]
	s_waitcnt vmcnt(6)
	v_fma_f64 v[9:10], v[9:10], v[71:72], -v[27:28]
	v_mul_f64 v[19:20], v[5:6], v[35:36]
	v_fma_f64 v[11:12], v[11:12], v[71:72], v[23:24]
	v_add_f64 v[1:2], v[15:16], v[1:2]
	v_add_f64 v[3:4], v[13:14], v[3:4]
	s_waitcnt vmcnt(4)
	v_fma_f64 v[5:6], v[5:6], v[47:48], -v[21:22]
	v_fma_f64 v[7:8], v[7:8], v[47:48], v[19:20]
	v_add_f64 v[1:2], v[1:2], v[9:10]
	v_add_f64 v[3:4], v[3:4], v[11:12]
	;; [unrolled: 1-line block ×4, first 2 shown]
	s_waitcnt vmcnt(2)
	v_add_f64 v[1:2], v[17:18], -v[1:2]
	s_waitcnt vmcnt(0)
	v_add_f64 v[3:4], v[53:54], -v[3:4]
	buffer_store_dword v2, off, s[0:3], 0 offset:292
	buffer_store_dword v1, off, s[0:3], 0 offset:288
	;; [unrolled: 1-line block ×4, first 2 shown]
	v_cmpx_lt_u32_e32 16, v0
	s_cbranch_execz .LBB63_377
; %bb.376:
	v_mov_b32_e32 v4, s62
	v_mov_b32_e32 v5, 0
	s_clause 0x3
	buffer_load_dword v1, v4, s[0:3], 0 offen
	buffer_load_dword v2, v4, s[0:3], 0 offen offset:4
	buffer_load_dword v3, v4, s[0:3], 0 offen offset:8
	;; [unrolled: 1-line block ×3, first 2 shown]
	buffer_store_dword v5, off, s[0:3], 0 offset:272
	buffer_store_dword v5, off, s[0:3], 0 offset:276
	;; [unrolled: 1-line block ×4, first 2 shown]
	s_waitcnt vmcnt(0)
	ds_write_b128 v69, v[1:4]
.LBB63_377:
	s_or_b32 exec_lo, exec_lo, s4
	s_waitcnt lgkmcnt(0)
	s_waitcnt_vscnt null, 0x0
	s_barrier
	buffer_gl0_inv
	s_clause 0x37
	buffer_load_dword v17, off, s[0:3], 0 offset:296
	buffer_load_dword v18, off, s[0:3], 0 offset:300
	;; [unrolled: 1-line block ×56, first 2 shown]
	v_mov_b32_e32 v70, 0
	s_mov_b32 s4, exec_lo
	ds_read_b128 v[5:8], v70 offset:1296
	s_clause 0x2
	buffer_load_dword v66, off, s[0:3], 0 offset:524
	buffer_load_dword v68, off, s[0:3], 0 offset:500
	;; [unrolled: 1-line block ×3, first 2 shown]
	ds_read_b128 v[1:4], v70 offset:1312
	s_clause 0x4
	buffer_load_dword v78, off, s[0:3], 0 offset:540
	buffer_load_dword v79, off, s[0:3], 0 offset:552
	buffer_load_dword v81, off, s[0:3], 0 offset:544
	buffer_load_dword v77, off, s[0:3], 0 offset:536
	buffer_load_dword v58, off, s[0:3], 0 offset:516
	ds_read_b128 v[71:74], v70 offset:1328
	s_waitcnt vmcnt(62) lgkmcnt(2)
	v_mul_f64 v[75:76], v[7:8], v[17:18]
	v_mul_f64 v[17:18], v[5:6], v[17:18]
	s_waitcnt vmcnt(60) lgkmcnt(1)
	v_mul_f64 v[82:83], v[3:4], v[13:14]
	v_mul_f64 v[13:14], v[1:2], v[13:14]
	;; [unrolled: 3-line block ×3, first 2 shown]
	v_fma_f64 v[75:76], v[5:6], v[15:16], -v[75:76]
	v_fma_f64 v[15:16], v[7:8], v[15:16], v[17:18]
	s_clause 0x2
	buffer_load_dword v80, off, s[0:3], 0 offset:556
	buffer_load_dword v18, off, s[0:3], 0 offset:532
	;; [unrolled: 1-line block ×3, first 2 shown]
	s_waitcnt vmcnt(57)
	v_fma_f64 v[86:87], v[1:2], v[9:10], -v[82:83]
	ds_read_b128 v[5:8], v70 offset:1344
	v_fma_f64 v[9:10], v[3:4], v[9:10], v[13:14]
	s_waitcnt vmcnt(51)
	v_fma_f64 v[71:72], v[71:72], v[33:34], -v[11:12]
	v_fma_f64 v[33:34], v[73:74], v[33:34], v[84:85]
	v_add_f64 v[75:76], v[75:76], 0
	v_add_f64 v[13:14], v[15:16], 0
	s_clause 0x4
	buffer_load_dword v16, off, s[0:3], 0 offset:572
	buffer_load_dword v83, off, s[0:3], 0 offset:584
	;; [unrolled: 1-line block ×5, first 2 shown]
	s_waitcnt lgkmcnt(0)
	v_mul_f64 v[127:128], v[5:6], v[21:22]
	v_mul_f64 v[21:22], v[7:8], v[21:22]
	ds_read_b128 v[1:4], v70 offset:1360
	s_clause 0x2
	buffer_load_dword v84, off, s[0:3], 0 offset:588
	buffer_load_dword v74, off, s[0:3], 0 offset:564
	;; [unrolled: 1-line block ×3, first 2 shown]
	v_add_f64 v[75:76], v[75:76], v[86:87]
	v_add_f64 v[13:14], v[13:14], v[9:10]
	ds_read_b128 v[9:12], v70 offset:1376
	s_waitcnt vmcnt(58) lgkmcnt(1)
	v_mul_f64 v[85:86], v[1:2], v[25:26]
	v_mul_f64 v[25:26], v[3:4], v[25:26]
	s_waitcnt vmcnt(56)
	v_fma_f64 v[21:22], v[5:6], v[27:28], -v[21:22]
	v_fma_f64 v[27:28], v[7:8], v[27:28], v[127:128]
	s_waitcnt vmcnt(52) lgkmcnt(0)
	v_mul_f64 v[129:130], v[9:10], v[29:30]
	v_add_f64 v[71:72], v[75:76], v[71:72]
	v_add_f64 v[13:14], v[13:14], v[33:34]
	s_clause 0x4
	buffer_load_dword v34, off, s[0:3], 0 offset:604
	buffer_load_dword v75, off, s[0:3], 0 offset:616
	;; [unrolled: 1-line block ×5, first 2 shown]
	v_mul_f64 v[29:30], v[11:12], v[29:30]
	s_waitcnt vmcnt(56)
	v_fma_f64 v[25:26], v[1:2], v[19:20], -v[25:26]
	ds_read_b128 v[5:8], v70 offset:1392
	v_fma_f64 v[19:20], v[3:4], v[19:20], v[85:86]
	v_add_f64 v[21:22], v[71:72], v[21:22]
	v_add_f64 v[13:14], v[13:14], v[27:28]
	s_clause 0x2
	buffer_load_dword v76, off, s[0:3], 0 offset:620
	buffer_load_dword v28, off, s[0:3], 0 offset:596
	buffer_load_dword v27, off, s[0:3], 0 offset:592
	s_waitcnt vmcnt(58) lgkmcnt(0)
	v_mul_f64 v[71:72], v[5:6], v[35:36]
	v_mul_f64 v[35:36], v[7:8], v[35:36]
	s_waitcnt vmcnt(56)
	v_fma_f64 v[29:30], v[9:10], v[37:38], -v[29:30]
	ds_read_b128 v[1:4], v70 offset:1408
	v_add_f64 v[21:22], v[21:22], v[25:26]
	v_fma_f64 v[25:26], v[11:12], v[37:38], v[129:130]
	v_add_f64 v[13:14], v[13:14], v[19:20]
	s_clause 0x4
	buffer_load_dword v20, off, s[0:3], 0 offset:636
	buffer_load_dword v37, off, s[0:3], 0 offset:648
	;; [unrolled: 1-line block ×5, first 2 shown]
	s_waitcnt vmcnt(57) lgkmcnt(0)
	v_mul_f64 v[86:87], v[1:2], v[39:40]
	v_mul_f64 v[39:40], v[3:4], v[39:40]
	s_waitcnt vmcnt(56)
	v_fma_f64 v[35:36], v[5:6], v[23:24], -v[35:36]
	ds_read_b128 v[9:12], v70 offset:1424
	v_fma_f64 v[23:24], v[7:8], v[23:24], v[71:72]
	v_add_f64 v[21:22], v[21:22], v[29:30]
	v_add_f64 v[13:14], v[13:14], v[25:26]
	s_clause 0x2
	buffer_load_dword v38, off, s[0:3], 0 offset:652
	buffer_load_dword v26, off, s[0:3], 0 offset:628
	;; [unrolled: 1-line block ×3, first 2 shown]
	ds_read_b128 v[5:8], v70 offset:1440
	s_waitcnt vmcnt(58) lgkmcnt(1)
	v_mul_f64 v[29:30], v[9:10], v[43:44]
	v_mul_f64 v[43:44], v[11:12], v[43:44]
	s_waitcnt vmcnt(56)
	v_fma_f64 v[39:40], v[1:2], v[45:46], -v[39:40]
	v_add_f64 v[21:22], v[21:22], v[35:36]
	v_fma_f64 v[35:36], v[3:4], v[45:46], v[86:87]
	v_add_f64 v[13:14], v[13:14], v[23:24]
	s_clause 0x4
	buffer_load_dword v24, off, s[0:3], 0 offset:668
	buffer_load_dword v45, off, s[0:3], 0 offset:680
	;; [unrolled: 1-line block ×5, first 2 shown]
	s_waitcnt vmcnt(57) lgkmcnt(0)
	v_mul_f64 v[130:131], v[5:6], v[47:48]
	v_mul_f64 v[47:48], v[7:8], v[47:48]
	s_waitcnt vmcnt(56)
	v_fma_f64 v[43:44], v[9:10], v[31:32], -v[43:44]
	ds_read_b128 v[1:4], v70 offset:1456
	v_fma_f64 v[29:30], v[11:12], v[31:32], v[29:30]
	s_clause 0x2
	buffer_load_dword v46, off, s[0:3], 0 offset:684
	buffer_load_dword v32, off, s[0:3], 0 offset:660
	;; [unrolled: 1-line block ×3, first 2 shown]
	ds_read_b128 v[9:12], v70 offset:1472
	v_add_f64 v[21:22], v[21:22], v[39:40]
	v_add_f64 v[13:14], v[13:14], v[35:36]
	s_waitcnt vmcnt(58) lgkmcnt(1)
	v_mul_f64 v[39:40], v[3:4], v[51:52]
	s_waitcnt vmcnt(56)
	v_fma_f64 v[47:48], v[5:6], v[53:54], -v[47:48]
	v_mul_f64 v[35:36], v[1:2], v[51:52]
	v_add_f64 v[21:22], v[21:22], v[43:44]
	v_fma_f64 v[43:44], v[7:8], v[53:54], v[130:131]
	v_add_f64 v[13:14], v[13:14], v[29:30]
	s_clause 0x4
	buffer_load_dword v30, off, s[0:3], 0 offset:700
	buffer_load_dword v51, off, s[0:3], 0 offset:712
	buffer_load_dword v53, off, s[0:3], 0 offset:704
	buffer_load_dword v29, off, s[0:3], 0 offset:696
	buffer_load_dword v72, off, s[0:3], 0 offset:676
	s_waitcnt vmcnt(57) lgkmcnt(0)
	v_mul_f64 v[130:131], v[9:10], v[55:56]
	v_mul_f64 v[54:55], v[11:12], v[55:56]
	s_waitcnt vmcnt(56)
	v_fma_f64 v[39:40], v[1:2], v[41:42], -v[39:40]
	ds_read_b128 v[5:8], v70 offset:1488
	v_fma_f64 v[35:36], v[3:4], v[41:42], v[35:36]
	s_clause 0x2
	buffer_load_dword v52, off, s[0:3], 0 offset:716
	buffer_load_dword v42, off, s[0:3], 0 offset:692
	;; [unrolled: 1-line block ×3, first 2 shown]
	ds_read_b128 v[1:4], v70 offset:1504
	v_add_f64 v[21:22], v[21:22], v[47:48]
	v_add_f64 v[13:14], v[13:14], v[43:44]
	s_waitcnt vmcnt(58) lgkmcnt(1)
	v_mul_f64 v[47:48], v[7:8], v[59:60]
	s_waitcnt vmcnt(56)
	v_fma_f64 v[55:56], v[9:10], v[61:62], -v[54:55]
	v_mul_f64 v[43:44], v[5:6], v[59:60]
	v_add_f64 v[21:22], v[21:22], v[39:40]
	v_fma_f64 v[39:40], v[11:12], v[61:62], v[130:131]
	v_add_f64 v[13:14], v[13:14], v[35:36]
	s_clause 0x4
	buffer_load_dword v36, off, s[0:3], 0 offset:732
	buffer_load_dword v59, off, s[0:3], 0 offset:744
	;; [unrolled: 1-line block ×5, first 2 shown]
	s_waitcnt vmcnt(57) lgkmcnt(0)
	v_mul_f64 v[130:131], v[1:2], v[63:64]
	v_mul_f64 v[62:63], v[3:4], v[63:64]
	s_waitcnt vmcnt(56)
	v_fma_f64 v[47:48], v[5:6], v[49:50], -v[47:48]
	ds_read_b128 v[9:12], v70 offset:1520
	v_fma_f64 v[43:44], v[7:8], v[49:50], v[43:44]
	v_add_f64 v[21:22], v[21:22], v[55:56]
	v_add_f64 v[13:14], v[13:14], v[39:40]
	s_clause 0x2
	buffer_load_dword v60, off, s[0:3], 0 offset:748
	buffer_load_dword v40, off, s[0:3], 0 offset:724
	;; [unrolled: 1-line block ×3, first 2 shown]
	ds_read_b128 v[5:8], v70 offset:1536
	s_waitcnt vmcnt(58) lgkmcnt(1)
	v_mul_f64 v[55:56], v[11:12], v[65:66]
	s_waitcnt vmcnt(56)
	v_fma_f64 v[63:64], v[1:2], v[67:68], -v[62:63]
	v_mul_f64 v[49:50], v[9:10], v[65:66]
	v_add_f64 v[21:22], v[21:22], v[47:48]
	v_fma_f64 v[47:48], v[3:4], v[67:68], v[130:131]
	v_add_f64 v[13:14], v[13:14], v[43:44]
	s_clause 0x4
	buffer_load_dword v44, off, s[0:3], 0 offset:764
	buffer_load_dword v65, off, s[0:3], 0 offset:776
	;; [unrolled: 1-line block ×5, first 2 shown]
	s_waitcnt vmcnt(57) lgkmcnt(0)
	v_mul_f64 v[130:131], v[5:6], v[77:78]
	v_mul_f64 v[77:78], v[7:8], v[77:78]
	s_waitcnt vmcnt(56)
	v_fma_f64 v[55:56], v[9:10], v[57:58], -v[55:56]
	ds_read_b128 v[1:4], v70 offset:1552
	v_fma_f64 v[49:50], v[11:12], v[57:58], v[49:50]
	v_add_f64 v[21:22], v[21:22], v[63:64]
	v_add_f64 v[13:14], v[13:14], v[47:48]
	s_clause 0x2
	buffer_load_dword v66, off, s[0:3], 0 offset:780
	buffer_load_dword v48, off, s[0:3], 0 offset:756
	;; [unrolled: 1-line block ×3, first 2 shown]
	ds_read_b128 v[9:12], v70 offset:1568
	s_waitcnt vmcnt(58) lgkmcnt(1)
	v_mul_f64 v[63:64], v[3:4], v[79:80]
	v_mul_f64 v[57:58], v[1:2], v[79:80]
	s_waitcnt vmcnt(56)
	v_fma_f64 v[77:78], v[5:6], v[17:18], -v[77:78]
	v_fma_f64 v[17:18], v[7:8], v[17:18], v[130:131]
	v_add_f64 v[21:22], v[21:22], v[55:56]
	v_add_f64 v[13:14], v[13:14], v[49:50]
	s_clause 0x4
	buffer_load_dword v50, off, s[0:3], 0 offset:796
	buffer_load_dword v55, off, s[0:3], 0 offset:808
	;; [unrolled: 1-line block ×5, first 2 shown]
	ds_read_b128 v[5:8], v70 offset:1584
	s_waitcnt vmcnt(57) lgkmcnt(1)
	v_mul_f64 v[130:131], v[9:10], v[15:16]
	v_mul_f64 v[15:16], v[11:12], v[15:16]
	s_waitcnt vmcnt(56)
	v_fma_f64 v[63:64], v[1:2], v[81:82], -v[63:64]
	v_fma_f64 v[57:58], v[3:4], v[81:82], v[57:58]
	v_add_f64 v[21:22], v[21:22], v[77:78]
	v_add_f64 v[13:14], v[13:14], v[17:18]
	s_clause 0x2
	buffer_load_dword v56, off, s[0:3], 0 offset:812
	buffer_load_dword v18, off, s[0:3], 0 offset:788
	;; [unrolled: 1-line block ×3, first 2 shown]
	s_waitcnt vmcnt(58) lgkmcnt(0)
	v_mul_f64 v[81:82], v[7:8], v[83:84]
	ds_read_b128 v[1:4], v70 offset:1600
	v_mul_f64 v[77:78], v[5:6], v[83:84]
	s_waitcnt vmcnt(56)
	v_fma_f64 v[15:16], v[9:10], v[73:74], -v[15:16]
	v_add_f64 v[21:22], v[21:22], v[63:64]
	v_fma_f64 v[63:64], v[11:12], v[73:74], v[130:131]
	v_add_f64 v[13:14], v[13:14], v[57:58]
	s_clause 0x4
	buffer_load_dword v58, off, s[0:3], 0 offset:828
	buffer_load_dword v73, off, s[0:3], 0 offset:840
	;; [unrolled: 1-line block ×5, first 2 shown]
	ds_read_b128 v[9:12], v70 offset:1616
	s_waitcnt vmcnt(57) lgkmcnt(1)
	v_mul_f64 v[130:131], v[1:2], v[33:34]
	v_mul_f64 v[33:34], v[3:4], v[33:34]
	s_waitcnt vmcnt(56)
	v_fma_f64 v[81:82], v[5:6], v[126:127], -v[81:82]
	v_add_f64 v[15:16], v[21:22], v[15:16]
	v_fma_f64 v[21:22], v[7:8], v[126:127], v[77:78]
	v_add_f64 v[13:14], v[13:14], v[63:64]
	s_clause 0x2
	buffer_load_dword v74, off, s[0:3], 0 offset:844
	buffer_load_dword v64, off, s[0:3], 0 offset:820
	;; [unrolled: 1-line block ×3, first 2 shown]
	ds_read_b128 v[5:8], v70 offset:1632
	s_waitcnt vmcnt(58) lgkmcnt(1)
	v_mul_f64 v[77:78], v[9:10], v[75:76]
	v_mul_f64 v[75:76], v[11:12], v[75:76]
	s_waitcnt vmcnt(56)
	v_fma_f64 v[33:34], v[1:2], v[27:28], -v[33:34]
	v_fma_f64 v[27:28], v[3:4], v[27:28], v[130:131]
	v_add_f64 v[15:16], v[15:16], v[81:82]
	v_add_f64 v[13:14], v[13:14], v[21:22]
	s_clause 0x4
	buffer_load_dword v22, off, s[0:3], 0 offset:860
	buffer_load_dword v81, off, s[0:3], 0 offset:872
	;; [unrolled: 1-line block ×5, first 2 shown]
	ds_read_b128 v[1:4], v70 offset:1648
	s_waitcnt vmcnt(57) lgkmcnt(1)
	v_mul_f64 v[130:131], v[5:6], v[19:20]
	v_mul_f64 v[19:20], v[7:8], v[19:20]
	s_waitcnt vmcnt(56)
	v_fma_f64 v[75:76], v[9:10], v[128:129], -v[75:76]
	v_add_f64 v[15:16], v[15:16], v[33:34]
	v_fma_f64 v[33:34], v[11:12], v[128:129], v[77:78]
	v_add_f64 v[13:14], v[13:14], v[27:28]
	s_clause 0x2
	buffer_load_dword v82, off, s[0:3], 0 offset:876
	buffer_load_dword v28, off, s[0:3], 0 offset:852
	;; [unrolled: 1-line block ×3, first 2 shown]
	ds_read_b128 v[9:12], v70 offset:1664
	s_waitcnt vmcnt(58) lgkmcnt(1)
	v_mul_f64 v[77:78], v[1:2], v[37:38]
	v_mul_f64 v[37:38], v[3:4], v[37:38]
	s_waitcnt vmcnt(56)
	v_fma_f64 v[19:20], v[5:6], v[25:26], -v[19:20]
	v_fma_f64 v[25:26], v[7:8], v[25:26], v[130:131]
	v_add_f64 v[15:16], v[15:16], v[75:76]
	v_add_f64 v[13:14], v[13:14], v[33:34]
	s_clause 0x4
	buffer_load_dword v34, off, s[0:3], 0 offset:892
	buffer_load_dword v75, off, s[0:3], 0 offset:904
	;; [unrolled: 1-line block ×5, first 2 shown]
	ds_read_b128 v[5:8], v70 offset:1680
	s_waitcnt vmcnt(57) lgkmcnt(1)
	v_mul_f64 v[129:130], v[9:10], v[23:24]
	v_mul_f64 v[23:24], v[11:12], v[23:24]
	s_waitcnt vmcnt(56)
	v_fma_f64 v[37:38], v[1:2], v[85:86], -v[37:38]
	v_add_f64 v[15:16], v[15:16], v[19:20]
	v_fma_f64 v[19:20], v[3:4], v[85:86], v[77:78]
	v_add_f64 v[13:14], v[13:14], v[25:26]
	s_clause 0x2
	buffer_load_dword v76, off, s[0:3], 0 offset:908
	buffer_load_dword v26, off, s[0:3], 0 offset:884
	;; [unrolled: 1-line block ×3, first 2 shown]
	s_waitcnt vmcnt(58) lgkmcnt(0)
	v_mul_f64 v[77:78], v[5:6], v[45:46]
	v_mul_f64 v[45:46], v[7:8], v[45:46]
	ds_read_b128 v[1:4], v70 offset:1696
	s_waitcnt vmcnt(56)
	v_fma_f64 v[23:24], v[9:10], v[31:32], -v[23:24]
	v_fma_f64 v[31:32], v[11:12], v[31:32], v[129:130]
	v_add_f64 v[15:16], v[15:16], v[37:38]
	v_add_f64 v[13:14], v[13:14], v[19:20]
	s_clause 0x4
	buffer_load_dword v20, off, s[0:3], 0 offset:924
	buffer_load_dword v37, off, s[0:3], 0 offset:936
	;; [unrolled: 1-line block ×5, first 2 shown]
	ds_read_b128 v[9:12], v70 offset:1712
	s_waitcnt vmcnt(57) lgkmcnt(1)
	v_mul_f64 v[86:87], v[1:2], v[29:30]
	v_mul_f64 v[29:30], v[3:4], v[29:30]
	s_waitcnt vmcnt(56)
	v_fma_f64 v[45:46], v[5:6], v[71:72], -v[45:46]
	v_add_f64 v[15:16], v[15:16], v[23:24]
	v_fma_f64 v[23:24], v[7:8], v[71:72], v[77:78]
	v_add_f64 v[13:14], v[13:14], v[31:32]
	s_clause 0x2
	buffer_load_dword v38, off, s[0:3], 0 offset:940
	buffer_load_dword v32, off, s[0:3], 0 offset:916
	;; [unrolled: 1-line block ×3, first 2 shown]
	s_waitcnt vmcnt(58) lgkmcnt(0)
	v_mul_f64 v[71:72], v[9:10], v[51:52]
	v_mul_f64 v[51:52], v[11:12], v[51:52]
	ds_read_b128 v[5:8], v70 offset:1728
	s_waitcnt vmcnt(56)
	v_fma_f64 v[29:30], v[1:2], v[41:42], -v[29:30]
	v_fma_f64 v[41:42], v[3:4], v[41:42], v[86:87]
	v_add_f64 v[15:16], v[15:16], v[45:46]
	v_add_f64 v[13:14], v[13:14], v[23:24]
	s_clause 0x4
	buffer_load_dword v24, off, s[0:3], 0 offset:956
	buffer_load_dword v45, off, s[0:3], 0 offset:968
	;; [unrolled: 1-line block ×5, first 2 shown]
	ds_read_b128 v[1:4], v70 offset:1744
	s_waitcnt vmcnt(57) lgkmcnt(1)
	v_mul_f64 v[130:131], v[5:6], v[35:36]
	v_mul_f64 v[35:36], v[7:8], v[35:36]
	s_waitcnt vmcnt(56)
	v_fma_f64 v[51:52], v[9:10], v[53:54], -v[51:52]
	v_add_f64 v[15:16], v[15:16], v[29:30]
	v_fma_f64 v[29:30], v[11:12], v[53:54], v[71:72]
	v_add_f64 v[13:14], v[13:14], v[41:42]
	s_clause 0x2
	buffer_load_dword v46, off, s[0:3], 0 offset:972
	buffer_load_dword v42, off, s[0:3], 0 offset:948
	;; [unrolled: 1-line block ×3, first 2 shown]
	ds_read_b128 v[9:12], v70 offset:1760
	s_waitcnt vmcnt(58) lgkmcnt(1)
	v_mul_f64 v[53:54], v[1:2], v[59:60]
	v_mul_f64 v[59:60], v[3:4], v[59:60]
	s_waitcnt vmcnt(56)
	v_fma_f64 v[35:36], v[5:6], v[39:40], -v[35:36]
	v_fma_f64 v[39:40], v[7:8], v[39:40], v[130:131]
	v_add_f64 v[15:16], v[15:16], v[51:52]
	v_add_f64 v[13:14], v[13:14], v[29:30]
	s_clause 0x4
	buffer_load_dword v30, off, s[0:3], 0 offset:988
	buffer_load_dword v51, off, s[0:3], 0 offset:1000
	buffer_load_dword v71, off, s[0:3], 0 offset:992
	buffer_load_dword v29, off, s[0:3], 0 offset:984
	buffer_load_dword v78, off, s[0:3], 0 offset:964
	ds_read_b128 v[5:8], v70 offset:1776
	s_waitcnt vmcnt(57) lgkmcnt(1)
	v_mul_f64 v[130:131], v[9:10], v[43:44]
	v_mul_f64 v[43:44], v[11:12], v[43:44]
	s_waitcnt vmcnt(56)
	v_fma_f64 v[59:60], v[1:2], v[61:62], -v[59:60]
	v_add_f64 v[15:16], v[15:16], v[35:36]
	v_fma_f64 v[35:36], v[3:4], v[61:62], v[53:54]
	v_add_f64 v[13:14], v[13:14], v[39:40]
	s_clause 0x2
	buffer_load_dword v52, off, s[0:3], 0 offset:1004
	buffer_load_dword v40, off, s[0:3], 0 offset:980
	;; [unrolled: 1-line block ×3, first 2 shown]
	ds_read_b128 v[1:4], v70 offset:1792
	s_waitcnt vmcnt(58) lgkmcnt(1)
	v_mul_f64 v[61:62], v[7:8], v[65:66]
	v_mul_f64 v[53:54], v[5:6], v[65:66]
	s_waitcnt vmcnt(56)
	v_fma_f64 v[43:44], v[9:10], v[47:48], -v[43:44]
	v_fma_f64 v[47:48], v[11:12], v[47:48], v[130:131]
	v_add_f64 v[15:16], v[15:16], v[59:60]
	v_add_f64 v[13:14], v[13:14], v[35:36]
	s_clause 0x4
	buffer_load_dword v36, off, s[0:3], 0 offset:1020
	buffer_load_dword v59, off, s[0:3], 0 offset:1032
	;; [unrolled: 1-line block ×5, first 2 shown]
	ds_read_b128 v[9:12], v70 offset:1808
	s_waitcnt vmcnt(57) lgkmcnt(1)
	v_mul_f64 v[130:131], v[1:2], v[49:50]
	v_mul_f64 v[49:50], v[3:4], v[49:50]
	s_waitcnt vmcnt(56)
	v_fma_f64 v[61:62], v[5:6], v[67:68], -v[61:62]
	v_add_f64 v[15:16], v[15:16], v[43:44]
	v_fma_f64 v[43:44], v[7:8], v[67:68], v[53:54]
	v_add_f64 v[13:14], v[13:14], v[47:48]
	s_clause 0x2
	buffer_load_dword v60, off, s[0:3], 0 offset:1036
	buffer_load_dword v48, off, s[0:3], 0 offset:1012
	buffer_load_dword v47, off, s[0:3], 0 offset:1008
	ds_read_b128 v[5:8], v70 offset:1824
	buffer_load_dword v66, off, s[0:3], 0 offset:1028
	s_waitcnt vmcnt(59) lgkmcnt(1)
	v_mul_f64 v[53:54], v[9:10], v[55:56]
	v_mul_f64 v[55:56], v[11:12], v[55:56]
	s_waitcnt vmcnt(57)
	v_fma_f64 v[49:50], v[1:2], v[17:18], -v[49:50]
	v_fma_f64 v[17:18], v[3:4], v[17:18], v[130:131]
	ds_read_b128 v[1:4], v70 offset:1840
	v_add_f64 v[15:16], v[15:16], v[61:62]
	v_add_f64 v[13:14], v[13:14], v[43:44]
	s_waitcnt vmcnt(53) lgkmcnt(1)
	v_mul_f64 v[43:44], v[5:6], v[57:58]
	v_mul_f64 v[57:58], v[7:8], v[57:58]
	s_waitcnt vmcnt(52)
	v_fma_f64 v[55:56], v[9:10], v[79:80], -v[55:56]
	v_add_f64 v[15:16], v[15:16], v[49:50]
	v_fma_f64 v[49:50], v[11:12], v[79:80], v[53:54]
	v_add_f64 v[13:14], v[13:14], v[17:18]
	ds_read_b128 v[9:12], v70 offset:1856
	s_waitcnt vmcnt(51) lgkmcnt(1)
	v_mul_f64 v[53:54], v[3:4], v[73:74]
	v_mul_f64 v[17:18], v[1:2], v[73:74]
	s_waitcnt vmcnt(49)
	v_fma_f64 v[57:58], v[5:6], v[63:64], -v[57:58]
	v_fma_f64 v[43:44], v[7:8], v[63:64], v[43:44]
	v_add_f64 v[15:16], v[15:16], v[55:56]
	v_add_f64 v[13:14], v[13:14], v[49:50]
	s_clause 0x3
	buffer_load_dword v49, off, s[0:3], 0 offset:272
	buffer_load_dword v50, off, s[0:3], 0 offset:276
	buffer_load_dword v55, off, s[0:3], 0 offset:280
	buffer_load_dword v56, off, s[0:3], 0 offset:284
	ds_read_b128 v[5:8], v70 offset:1872
	s_waitcnt vmcnt(49) lgkmcnt(1)
	v_mul_f64 v[61:62], v[9:10], v[21:22]
	v_mul_f64 v[21:22], v[11:12], v[21:22]
	s_waitcnt vmcnt(48)
	v_fma_f64 v[53:54], v[1:2], v[83:84], -v[53:54]
	v_fma_f64 v[17:18], v[3:4], v[83:84], v[17:18]
	ds_read_b128 v[1:4], v70 offset:1888
	v_add_f64 v[15:16], v[15:16], v[57:58]
	v_add_f64 v[13:14], v[13:14], v[43:44]
	s_waitcnt vmcnt(47) lgkmcnt(1)
	v_mul_f64 v[57:58], v[7:8], v[81:82]
	v_mul_f64 v[43:44], v[5:6], v[81:82]
	s_waitcnt vmcnt(45)
	v_fma_f64 v[21:22], v[9:10], v[27:28], -v[21:22]
	v_fma_f64 v[27:28], v[11:12], v[27:28], v[61:62]
	ds_read_b128 v[9:12], v70 offset:1904
	v_add_f64 v[15:16], v[15:16], v[53:54]
	v_add_f64 v[13:14], v[13:14], v[17:18]
	s_waitcnt vmcnt(41) lgkmcnt(1)
	v_mul_f64 v[17:18], v[1:2], v[33:34]
	v_mul_f64 v[33:34], v[3:4], v[33:34]
	s_waitcnt vmcnt(40)
	v_fma_f64 v[53:54], v[5:6], v[126:127], -v[57:58]
	v_add_f64 v[15:16], v[15:16], v[21:22]
	v_fma_f64 v[21:22], v[7:8], v[126:127], v[43:44]
	v_add_f64 v[13:14], v[13:14], v[27:28]
	ds_read_b128 v[5:8], v70 offset:1920
	s_waitcnt vmcnt(39) lgkmcnt(1)
	v_mul_f64 v[43:44], v[11:12], v[75:76]
	v_mul_f64 v[27:28], v[9:10], v[75:76]
	s_waitcnt vmcnt(37)
	v_fma_f64 v[33:34], v[1:2], v[25:26], -v[33:34]
	v_fma_f64 v[17:18], v[3:4], v[25:26], v[17:18]
	ds_read_b128 v[1:4], v70 offset:1936
	v_add_f64 v[15:16], v[15:16], v[53:54]
	v_add_f64 v[13:14], v[13:14], v[21:22]
	s_waitcnt vmcnt(33) lgkmcnt(1)
	v_mul_f64 v[21:22], v[5:6], v[19:20]
	v_mul_f64 v[19:20], v[7:8], v[19:20]
	s_waitcnt vmcnt(32)
	v_fma_f64 v[25:26], v[9:10], v[128:129], -v[43:44]
	v_fma_f64 v[27:28], v[11:12], v[128:129], v[27:28]
	ds_read_b128 v[9:12], v70 offset:1952
	v_add_f64 v[15:16], v[15:16], v[33:34]
	v_add_f64 v[13:14], v[13:14], v[17:18]
	;; [unrolled: 9-line block ×5, first 2 shown]
	s_waitcnt vmcnt(17) lgkmcnt(1)
	v_mul_f64 v[27:28], v[3:4], v[29:30]
	s_waitcnt vmcnt(16)
	v_fma_f64 v[21:22], v[5:6], v[77:78], -v[21:22]
	v_mul_f64 v[17:18], v[1:2], v[29:30]
	v_fma_f64 v[19:20], v[7:8], v[77:78], v[19:20]
	ds_read_b128 v[5:8], v70 offset:2016
	v_add_f64 v[15:16], v[15:16], v[23:24]
	v_add_f64 v[13:14], v[13:14], v[25:26]
	s_waitcnt vmcnt(15) lgkmcnt(1)
	v_mul_f64 v[25:26], v[11:12], v[51:52]
	v_mul_f64 v[23:24], v[9:10], v[51:52]
	s_waitcnt vmcnt(13)
	v_fma_f64 v[27:28], v[1:2], v[39:40], -v[27:28]
	v_fma_f64 v[17:18], v[3:4], v[39:40], v[17:18]
	ds_read_b128 v[1:4], v70 offset:2032
	v_add_f64 v[15:16], v[15:16], v[21:22]
	v_add_f64 v[13:14], v[13:14], v[19:20]
	s_waitcnt vmcnt(9) lgkmcnt(1)
	v_mul_f64 v[21:22], v[7:8], v[35:36]
	s_waitcnt vmcnt(8)
	v_fma_f64 v[9:10], v[9:10], v[71:72], -v[25:26]
	v_mul_f64 v[19:20], v[5:6], v[35:36]
	v_fma_f64 v[11:12], v[11:12], v[71:72], v[23:24]
	v_add_f64 v[15:16], v[15:16], v[27:28]
	v_add_f64 v[13:14], v[13:14], v[17:18]
	s_waitcnt vmcnt(7) lgkmcnt(0)
	v_mul_f64 v[23:24], v[3:4], v[59:60]
	v_mul_f64 v[17:18], v[1:2], v[59:60]
	s_waitcnt vmcnt(5)
	v_fma_f64 v[5:6], v[5:6], v[47:48], -v[21:22]
	v_fma_f64 v[7:8], v[7:8], v[47:48], v[19:20]
	v_add_f64 v[9:10], v[15:16], v[9:10]
	v_add_f64 v[11:12], v[13:14], v[11:12]
	s_waitcnt vmcnt(4)
	v_fma_f64 v[1:2], v[1:2], v[65:66], -v[23:24]
	v_fma_f64 v[3:4], v[3:4], v[65:66], v[17:18]
	v_add_f64 v[5:6], v[9:10], v[5:6]
	v_add_f64 v[7:8], v[11:12], v[7:8]
	v_add_f64 v[1:2], v[5:6], v[1:2]
	v_add_f64 v[3:4], v[7:8], v[3:4]
	s_waitcnt vmcnt(2)
	v_add_f64 v[1:2], v[49:50], -v[1:2]
	s_waitcnt vmcnt(0)
	v_add_f64 v[3:4], v[55:56], -v[3:4]
	buffer_store_dword v2, off, s[0:3], 0 offset:276
	buffer_store_dword v1, off, s[0:3], 0 offset:272
	;; [unrolled: 1-line block ×4, first 2 shown]
	v_cmpx_lt_u32_e32 15, v0
	s_cbranch_execz .LBB63_379
; %bb.378:
	v_mov_b32_e32 v4, s63
	s_clause 0x3
	buffer_load_dword v1, v4, s[0:3], 0 offen
	buffer_load_dword v2, v4, s[0:3], 0 offen offset:4
	buffer_load_dword v3, v4, s[0:3], 0 offen offset:8
	;; [unrolled: 1-line block ×3, first 2 shown]
	buffer_store_dword v70, off, s[0:3], 0 offset:256
	buffer_store_dword v70, off, s[0:3], 0 offset:260
	;; [unrolled: 1-line block ×4, first 2 shown]
	s_waitcnt vmcnt(0)
	ds_write_b128 v69, v[1:4]
.LBB63_379:
	s_or_b32 exec_lo, exec_lo, s4
	s_waitcnt lgkmcnt(0)
	s_waitcnt_vscnt null, 0x0
	s_barrier
	buffer_gl0_inv
	s_clause 0x37
	buffer_load_dword v17, off, s[0:3], 0 offset:280
	buffer_load_dword v18, off, s[0:3], 0 offset:284
	;; [unrolled: 1-line block ×56, first 2 shown]
	ds_read_b128 v[5:8], v70 offset:1280
	s_clause 0x2
	buffer_load_dword v66, off, s[0:3], 0 offset:508
	buffer_load_dword v68, off, s[0:3], 0 offset:484
	;; [unrolled: 1-line block ×3, first 2 shown]
	ds_read_b128 v[1:4], v70 offset:1296
	s_clause 0x4
	buffer_load_dword v78, off, s[0:3], 0 offset:524
	buffer_load_dword v79, off, s[0:3], 0 offset:536
	;; [unrolled: 1-line block ×5, first 2 shown]
	ds_read_b128 v[71:74], v70 offset:1312
	s_mov_b32 s4, exec_lo
	s_waitcnt vmcnt(62) lgkmcnt(2)
	v_mul_f64 v[75:76], v[7:8], v[17:18]
	v_mul_f64 v[17:18], v[5:6], v[17:18]
	s_waitcnt vmcnt(60) lgkmcnt(1)
	v_mul_f64 v[82:83], v[3:4], v[13:14]
	v_mul_f64 v[13:14], v[1:2], v[13:14]
	;; [unrolled: 3-line block ×3, first 2 shown]
	v_fma_f64 v[75:76], v[5:6], v[15:16], -v[75:76]
	v_fma_f64 v[15:16], v[7:8], v[15:16], v[17:18]
	s_clause 0x2
	buffer_load_dword v80, off, s[0:3], 0 offset:540
	buffer_load_dword v18, off, s[0:3], 0 offset:516
	;; [unrolled: 1-line block ×3, first 2 shown]
	s_waitcnt vmcnt(57)
	v_fma_f64 v[86:87], v[1:2], v[9:10], -v[82:83]
	ds_read_b128 v[5:8], v70 offset:1328
	v_fma_f64 v[9:10], v[3:4], v[9:10], v[13:14]
	s_waitcnt vmcnt(51)
	v_fma_f64 v[71:72], v[71:72], v[33:34], -v[11:12]
	v_fma_f64 v[33:34], v[73:74], v[33:34], v[84:85]
	v_add_f64 v[75:76], v[75:76], 0
	v_add_f64 v[13:14], v[15:16], 0
	s_clause 0x4
	buffer_load_dword v16, off, s[0:3], 0 offset:556
	buffer_load_dword v83, off, s[0:3], 0 offset:568
	;; [unrolled: 1-line block ×5, first 2 shown]
	s_waitcnt lgkmcnt(0)
	v_mul_f64 v[127:128], v[5:6], v[21:22]
	v_mul_f64 v[21:22], v[7:8], v[21:22]
	ds_read_b128 v[1:4], v70 offset:1344
	s_clause 0x2
	buffer_load_dword v84, off, s[0:3], 0 offset:572
	buffer_load_dword v74, off, s[0:3], 0 offset:548
	;; [unrolled: 1-line block ×3, first 2 shown]
	v_add_f64 v[75:76], v[75:76], v[86:87]
	v_add_f64 v[13:14], v[13:14], v[9:10]
	ds_read_b128 v[9:12], v70 offset:1360
	s_waitcnt vmcnt(58) lgkmcnt(1)
	v_mul_f64 v[85:86], v[1:2], v[25:26]
	v_mul_f64 v[25:26], v[3:4], v[25:26]
	s_waitcnt vmcnt(56)
	v_fma_f64 v[21:22], v[5:6], v[27:28], -v[21:22]
	v_fma_f64 v[27:28], v[7:8], v[27:28], v[127:128]
	s_waitcnt vmcnt(52) lgkmcnt(0)
	v_mul_f64 v[129:130], v[9:10], v[29:30]
	v_add_f64 v[71:72], v[75:76], v[71:72]
	v_add_f64 v[13:14], v[13:14], v[33:34]
	s_clause 0x4
	buffer_load_dword v34, off, s[0:3], 0 offset:588
	buffer_load_dword v75, off, s[0:3], 0 offset:600
	buffer_load_dword v128, off, s[0:3], 0 offset:592
	buffer_load_dword v33, off, s[0:3], 0 offset:584
	buffer_load_dword v127, off, s[0:3], 0 offset:564
	v_mul_f64 v[29:30], v[11:12], v[29:30]
	s_waitcnt vmcnt(56)
	v_fma_f64 v[25:26], v[1:2], v[19:20], -v[25:26]
	ds_read_b128 v[5:8], v70 offset:1376
	v_fma_f64 v[19:20], v[3:4], v[19:20], v[85:86]
	v_add_f64 v[21:22], v[71:72], v[21:22]
	v_add_f64 v[13:14], v[13:14], v[27:28]
	s_clause 0x2
	buffer_load_dword v76, off, s[0:3], 0 offset:604
	buffer_load_dword v28, off, s[0:3], 0 offset:580
	;; [unrolled: 1-line block ×3, first 2 shown]
	s_waitcnt vmcnt(58) lgkmcnt(0)
	v_mul_f64 v[71:72], v[5:6], v[35:36]
	v_mul_f64 v[35:36], v[7:8], v[35:36]
	s_waitcnt vmcnt(56)
	v_fma_f64 v[29:30], v[9:10], v[37:38], -v[29:30]
	ds_read_b128 v[1:4], v70 offset:1392
	v_add_f64 v[21:22], v[21:22], v[25:26]
	v_fma_f64 v[25:26], v[11:12], v[37:38], v[129:130]
	v_add_f64 v[13:14], v[13:14], v[19:20]
	s_clause 0x4
	buffer_load_dword v20, off, s[0:3], 0 offset:620
	buffer_load_dword v37, off, s[0:3], 0 offset:632
	;; [unrolled: 1-line block ×5, first 2 shown]
	s_waitcnt vmcnt(57) lgkmcnt(0)
	v_mul_f64 v[86:87], v[1:2], v[39:40]
	v_mul_f64 v[39:40], v[3:4], v[39:40]
	s_waitcnt vmcnt(56)
	v_fma_f64 v[35:36], v[5:6], v[23:24], -v[35:36]
	ds_read_b128 v[9:12], v70 offset:1408
	v_fma_f64 v[23:24], v[7:8], v[23:24], v[71:72]
	v_add_f64 v[21:22], v[21:22], v[29:30]
	v_add_f64 v[13:14], v[13:14], v[25:26]
	s_clause 0x2
	buffer_load_dword v38, off, s[0:3], 0 offset:636
	buffer_load_dword v26, off, s[0:3], 0 offset:612
	;; [unrolled: 1-line block ×3, first 2 shown]
	ds_read_b128 v[5:8], v70 offset:1424
	s_waitcnt vmcnt(58) lgkmcnt(1)
	v_mul_f64 v[29:30], v[9:10], v[43:44]
	v_mul_f64 v[43:44], v[11:12], v[43:44]
	s_waitcnt vmcnt(56)
	v_fma_f64 v[39:40], v[1:2], v[45:46], -v[39:40]
	v_add_f64 v[21:22], v[21:22], v[35:36]
	v_fma_f64 v[35:36], v[3:4], v[45:46], v[86:87]
	v_add_f64 v[13:14], v[13:14], v[23:24]
	s_clause 0x4
	buffer_load_dword v24, off, s[0:3], 0 offset:652
	buffer_load_dword v45, off, s[0:3], 0 offset:664
	;; [unrolled: 1-line block ×5, first 2 shown]
	s_waitcnt vmcnt(57) lgkmcnt(0)
	v_mul_f64 v[130:131], v[5:6], v[47:48]
	v_mul_f64 v[47:48], v[7:8], v[47:48]
	s_waitcnt vmcnt(56)
	v_fma_f64 v[43:44], v[9:10], v[31:32], -v[43:44]
	ds_read_b128 v[1:4], v70 offset:1440
	v_fma_f64 v[29:30], v[11:12], v[31:32], v[29:30]
	s_clause 0x2
	buffer_load_dword v46, off, s[0:3], 0 offset:668
	buffer_load_dword v32, off, s[0:3], 0 offset:644
	;; [unrolled: 1-line block ×3, first 2 shown]
	ds_read_b128 v[9:12], v70 offset:1456
	v_add_f64 v[21:22], v[21:22], v[39:40]
	v_add_f64 v[13:14], v[13:14], v[35:36]
	s_waitcnt vmcnt(58) lgkmcnt(1)
	v_mul_f64 v[39:40], v[3:4], v[51:52]
	s_waitcnt vmcnt(56)
	v_fma_f64 v[47:48], v[5:6], v[53:54], -v[47:48]
	v_mul_f64 v[35:36], v[1:2], v[51:52]
	v_add_f64 v[21:22], v[21:22], v[43:44]
	v_fma_f64 v[43:44], v[7:8], v[53:54], v[130:131]
	v_add_f64 v[13:14], v[13:14], v[29:30]
	s_clause 0x4
	buffer_load_dword v30, off, s[0:3], 0 offset:684
	buffer_load_dword v51, off, s[0:3], 0 offset:696
	;; [unrolled: 1-line block ×5, first 2 shown]
	s_waitcnt vmcnt(57) lgkmcnt(0)
	v_mul_f64 v[130:131], v[9:10], v[55:56]
	v_mul_f64 v[54:55], v[11:12], v[55:56]
	s_waitcnt vmcnt(56)
	v_fma_f64 v[39:40], v[1:2], v[41:42], -v[39:40]
	ds_read_b128 v[5:8], v70 offset:1472
	v_fma_f64 v[35:36], v[3:4], v[41:42], v[35:36]
	s_clause 0x2
	buffer_load_dword v52, off, s[0:3], 0 offset:700
	buffer_load_dword v42, off, s[0:3], 0 offset:676
	;; [unrolled: 1-line block ×3, first 2 shown]
	ds_read_b128 v[1:4], v70 offset:1488
	v_add_f64 v[21:22], v[21:22], v[47:48]
	v_add_f64 v[13:14], v[13:14], v[43:44]
	s_waitcnt vmcnt(58) lgkmcnt(1)
	v_mul_f64 v[47:48], v[7:8], v[59:60]
	s_waitcnt vmcnt(56)
	v_fma_f64 v[55:56], v[9:10], v[61:62], -v[54:55]
	v_mul_f64 v[43:44], v[5:6], v[59:60]
	v_add_f64 v[21:22], v[21:22], v[39:40]
	v_fma_f64 v[39:40], v[11:12], v[61:62], v[130:131]
	v_add_f64 v[13:14], v[13:14], v[35:36]
	s_clause 0x4
	buffer_load_dword v36, off, s[0:3], 0 offset:716
	buffer_load_dword v59, off, s[0:3], 0 offset:728
	;; [unrolled: 1-line block ×5, first 2 shown]
	s_waitcnt vmcnt(57) lgkmcnt(0)
	v_mul_f64 v[130:131], v[1:2], v[63:64]
	v_mul_f64 v[62:63], v[3:4], v[63:64]
	s_waitcnt vmcnt(56)
	v_fma_f64 v[47:48], v[5:6], v[49:50], -v[47:48]
	ds_read_b128 v[9:12], v70 offset:1504
	v_fma_f64 v[43:44], v[7:8], v[49:50], v[43:44]
	v_add_f64 v[21:22], v[21:22], v[55:56]
	v_add_f64 v[13:14], v[13:14], v[39:40]
	s_clause 0x2
	buffer_load_dword v60, off, s[0:3], 0 offset:732
	buffer_load_dword v40, off, s[0:3], 0 offset:708
	;; [unrolled: 1-line block ×3, first 2 shown]
	ds_read_b128 v[5:8], v70 offset:1520
	s_waitcnt vmcnt(58) lgkmcnt(1)
	v_mul_f64 v[55:56], v[11:12], v[65:66]
	s_waitcnt vmcnt(56)
	v_fma_f64 v[63:64], v[1:2], v[67:68], -v[62:63]
	v_mul_f64 v[49:50], v[9:10], v[65:66]
	v_add_f64 v[21:22], v[21:22], v[47:48]
	v_fma_f64 v[47:48], v[3:4], v[67:68], v[130:131]
	v_add_f64 v[13:14], v[13:14], v[43:44]
	s_clause 0x4
	buffer_load_dword v44, off, s[0:3], 0 offset:748
	buffer_load_dword v65, off, s[0:3], 0 offset:760
	buffer_load_dword v67, off, s[0:3], 0 offset:752
	buffer_load_dword v43, off, s[0:3], 0 offset:744
	buffer_load_dword v62, off, s[0:3], 0 offset:724
	s_waitcnt vmcnt(57) lgkmcnt(0)
	v_mul_f64 v[130:131], v[5:6], v[77:78]
	v_mul_f64 v[77:78], v[7:8], v[77:78]
	s_waitcnt vmcnt(56)
	v_fma_f64 v[55:56], v[9:10], v[57:58], -v[55:56]
	ds_read_b128 v[1:4], v70 offset:1536
	v_fma_f64 v[49:50], v[11:12], v[57:58], v[49:50]
	v_add_f64 v[21:22], v[21:22], v[63:64]
	v_add_f64 v[13:14], v[13:14], v[47:48]
	s_clause 0x2
	buffer_load_dword v66, off, s[0:3], 0 offset:764
	buffer_load_dword v48, off, s[0:3], 0 offset:740
	;; [unrolled: 1-line block ×3, first 2 shown]
	ds_read_b128 v[9:12], v70 offset:1552
	s_waitcnt vmcnt(58) lgkmcnt(1)
	v_mul_f64 v[63:64], v[3:4], v[79:80]
	v_mul_f64 v[57:58], v[1:2], v[79:80]
	s_waitcnt vmcnt(56)
	v_fma_f64 v[77:78], v[5:6], v[17:18], -v[77:78]
	v_fma_f64 v[17:18], v[7:8], v[17:18], v[130:131]
	v_add_f64 v[21:22], v[21:22], v[55:56]
	v_add_f64 v[13:14], v[13:14], v[49:50]
	s_clause 0x4
	buffer_load_dword v50, off, s[0:3], 0 offset:780
	buffer_load_dword v55, off, s[0:3], 0 offset:792
	;; [unrolled: 1-line block ×5, first 2 shown]
	ds_read_b128 v[5:8], v70 offset:1568
	s_waitcnt vmcnt(57) lgkmcnt(1)
	v_mul_f64 v[130:131], v[9:10], v[15:16]
	v_mul_f64 v[15:16], v[11:12], v[15:16]
	s_waitcnt vmcnt(56)
	v_fma_f64 v[63:64], v[1:2], v[81:82], -v[63:64]
	v_fma_f64 v[57:58], v[3:4], v[81:82], v[57:58]
	v_add_f64 v[21:22], v[21:22], v[77:78]
	v_add_f64 v[13:14], v[13:14], v[17:18]
	s_clause 0x2
	buffer_load_dword v56, off, s[0:3], 0 offset:796
	buffer_load_dword v18, off, s[0:3], 0 offset:772
	;; [unrolled: 1-line block ×3, first 2 shown]
	s_waitcnt vmcnt(58) lgkmcnt(0)
	v_mul_f64 v[81:82], v[7:8], v[83:84]
	ds_read_b128 v[1:4], v70 offset:1584
	v_mul_f64 v[77:78], v[5:6], v[83:84]
	s_waitcnt vmcnt(56)
	v_fma_f64 v[15:16], v[9:10], v[73:74], -v[15:16]
	v_add_f64 v[21:22], v[21:22], v[63:64]
	v_fma_f64 v[63:64], v[11:12], v[73:74], v[130:131]
	v_add_f64 v[13:14], v[13:14], v[57:58]
	s_clause 0x4
	buffer_load_dword v58, off, s[0:3], 0 offset:812
	buffer_load_dword v73, off, s[0:3], 0 offset:824
	;; [unrolled: 1-line block ×5, first 2 shown]
	ds_read_b128 v[9:12], v70 offset:1600
	s_waitcnt vmcnt(57) lgkmcnt(1)
	v_mul_f64 v[130:131], v[1:2], v[33:34]
	v_mul_f64 v[33:34], v[3:4], v[33:34]
	s_waitcnt vmcnt(56)
	v_fma_f64 v[81:82], v[5:6], v[126:127], -v[81:82]
	v_add_f64 v[15:16], v[21:22], v[15:16]
	v_fma_f64 v[21:22], v[7:8], v[126:127], v[77:78]
	v_add_f64 v[13:14], v[13:14], v[63:64]
	s_clause 0x2
	buffer_load_dword v74, off, s[0:3], 0 offset:828
	buffer_load_dword v64, off, s[0:3], 0 offset:804
	;; [unrolled: 1-line block ×3, first 2 shown]
	ds_read_b128 v[5:8], v70 offset:1616
	s_waitcnt vmcnt(58) lgkmcnt(1)
	v_mul_f64 v[77:78], v[9:10], v[75:76]
	v_mul_f64 v[75:76], v[11:12], v[75:76]
	s_waitcnt vmcnt(56)
	v_fma_f64 v[33:34], v[1:2], v[27:28], -v[33:34]
	v_fma_f64 v[27:28], v[3:4], v[27:28], v[130:131]
	v_add_f64 v[15:16], v[15:16], v[81:82]
	v_add_f64 v[13:14], v[13:14], v[21:22]
	s_clause 0x4
	buffer_load_dword v22, off, s[0:3], 0 offset:844
	buffer_load_dword v81, off, s[0:3], 0 offset:856
	;; [unrolled: 1-line block ×5, first 2 shown]
	ds_read_b128 v[1:4], v70 offset:1632
	s_waitcnt vmcnt(57) lgkmcnt(1)
	v_mul_f64 v[130:131], v[5:6], v[19:20]
	v_mul_f64 v[19:20], v[7:8], v[19:20]
	s_waitcnt vmcnt(56)
	v_fma_f64 v[75:76], v[9:10], v[128:129], -v[75:76]
	v_add_f64 v[15:16], v[15:16], v[33:34]
	v_fma_f64 v[33:34], v[11:12], v[128:129], v[77:78]
	v_add_f64 v[13:14], v[13:14], v[27:28]
	s_clause 0x2
	buffer_load_dword v82, off, s[0:3], 0 offset:860
	buffer_load_dword v28, off, s[0:3], 0 offset:836
	;; [unrolled: 1-line block ×3, first 2 shown]
	ds_read_b128 v[9:12], v70 offset:1648
	s_waitcnt vmcnt(58) lgkmcnt(1)
	v_mul_f64 v[77:78], v[1:2], v[37:38]
	v_mul_f64 v[37:38], v[3:4], v[37:38]
	s_waitcnt vmcnt(56)
	v_fma_f64 v[19:20], v[5:6], v[25:26], -v[19:20]
	v_fma_f64 v[25:26], v[7:8], v[25:26], v[130:131]
	v_add_f64 v[15:16], v[15:16], v[75:76]
	v_add_f64 v[13:14], v[13:14], v[33:34]
	s_clause 0x4
	buffer_load_dword v34, off, s[0:3], 0 offset:876
	buffer_load_dword v75, off, s[0:3], 0 offset:888
	;; [unrolled: 1-line block ×5, first 2 shown]
	ds_read_b128 v[5:8], v70 offset:1664
	s_waitcnt vmcnt(57) lgkmcnt(1)
	v_mul_f64 v[129:130], v[9:10], v[23:24]
	v_mul_f64 v[23:24], v[11:12], v[23:24]
	s_waitcnt vmcnt(56)
	v_fma_f64 v[37:38], v[1:2], v[85:86], -v[37:38]
	v_add_f64 v[15:16], v[15:16], v[19:20]
	v_fma_f64 v[19:20], v[3:4], v[85:86], v[77:78]
	v_add_f64 v[13:14], v[13:14], v[25:26]
	s_clause 0x2
	buffer_load_dword v76, off, s[0:3], 0 offset:892
	buffer_load_dword v26, off, s[0:3], 0 offset:868
	;; [unrolled: 1-line block ×3, first 2 shown]
	s_waitcnt vmcnt(58) lgkmcnt(0)
	v_mul_f64 v[77:78], v[5:6], v[45:46]
	v_mul_f64 v[45:46], v[7:8], v[45:46]
	ds_read_b128 v[1:4], v70 offset:1680
	s_waitcnt vmcnt(56)
	v_fma_f64 v[23:24], v[9:10], v[31:32], -v[23:24]
	v_fma_f64 v[31:32], v[11:12], v[31:32], v[129:130]
	v_add_f64 v[15:16], v[15:16], v[37:38]
	v_add_f64 v[13:14], v[13:14], v[19:20]
	s_clause 0x4
	buffer_load_dword v20, off, s[0:3], 0 offset:908
	buffer_load_dword v37, off, s[0:3], 0 offset:920
	;; [unrolled: 1-line block ×5, first 2 shown]
	ds_read_b128 v[9:12], v70 offset:1696
	s_waitcnt vmcnt(57) lgkmcnt(1)
	v_mul_f64 v[86:87], v[1:2], v[29:30]
	v_mul_f64 v[29:30], v[3:4], v[29:30]
	s_waitcnt vmcnt(56)
	v_fma_f64 v[45:46], v[5:6], v[71:72], -v[45:46]
	v_add_f64 v[15:16], v[15:16], v[23:24]
	v_fma_f64 v[23:24], v[7:8], v[71:72], v[77:78]
	v_add_f64 v[13:14], v[13:14], v[31:32]
	s_clause 0x2
	buffer_load_dword v38, off, s[0:3], 0 offset:924
	buffer_load_dword v32, off, s[0:3], 0 offset:900
	buffer_load_dword v31, off, s[0:3], 0 offset:896
	s_waitcnt vmcnt(58) lgkmcnt(0)
	v_mul_f64 v[71:72], v[9:10], v[51:52]
	v_mul_f64 v[51:52], v[11:12], v[51:52]
	ds_read_b128 v[5:8], v70 offset:1712
	s_waitcnt vmcnt(56)
	v_fma_f64 v[29:30], v[1:2], v[41:42], -v[29:30]
	v_fma_f64 v[41:42], v[3:4], v[41:42], v[86:87]
	v_add_f64 v[15:16], v[15:16], v[45:46]
	v_add_f64 v[13:14], v[13:14], v[23:24]
	s_clause 0x4
	buffer_load_dword v24, off, s[0:3], 0 offset:940
	buffer_load_dword v45, off, s[0:3], 0 offset:952
	buffer_load_dword v77, off, s[0:3], 0 offset:944
	buffer_load_dword v23, off, s[0:3], 0 offset:936
	buffer_load_dword v86, off, s[0:3], 0 offset:916
	ds_read_b128 v[1:4], v70 offset:1728
	s_waitcnt vmcnt(57) lgkmcnt(1)
	v_mul_f64 v[130:131], v[5:6], v[35:36]
	v_mul_f64 v[35:36], v[7:8], v[35:36]
	s_waitcnt vmcnt(56)
	v_fma_f64 v[51:52], v[9:10], v[53:54], -v[51:52]
	v_add_f64 v[15:16], v[15:16], v[29:30]
	v_fma_f64 v[29:30], v[11:12], v[53:54], v[71:72]
	v_add_f64 v[13:14], v[13:14], v[41:42]
	s_clause 0x2
	buffer_load_dword v46, off, s[0:3], 0 offset:956
	buffer_load_dword v42, off, s[0:3], 0 offset:932
	buffer_load_dword v41, off, s[0:3], 0 offset:928
	ds_read_b128 v[9:12], v70 offset:1744
	s_waitcnt vmcnt(58) lgkmcnt(1)
	v_mul_f64 v[53:54], v[1:2], v[59:60]
	v_mul_f64 v[59:60], v[3:4], v[59:60]
	s_waitcnt vmcnt(56)
	v_fma_f64 v[35:36], v[5:6], v[39:40], -v[35:36]
	v_fma_f64 v[39:40], v[7:8], v[39:40], v[130:131]
	v_add_f64 v[15:16], v[15:16], v[51:52]
	v_add_f64 v[13:14], v[13:14], v[29:30]
	s_clause 0x4
	buffer_load_dword v30, off, s[0:3], 0 offset:972
	buffer_load_dword v51, off, s[0:3], 0 offset:984
	buffer_load_dword v71, off, s[0:3], 0 offset:976
	buffer_load_dword v29, off, s[0:3], 0 offset:968
	buffer_load_dword v78, off, s[0:3], 0 offset:948
	ds_read_b128 v[5:8], v70 offset:1760
	s_waitcnt vmcnt(57) lgkmcnt(1)
	v_mul_f64 v[130:131], v[9:10], v[43:44]
	v_mul_f64 v[43:44], v[11:12], v[43:44]
	s_waitcnt vmcnt(56)
	v_fma_f64 v[59:60], v[1:2], v[61:62], -v[59:60]
	v_add_f64 v[15:16], v[15:16], v[35:36]
	v_fma_f64 v[35:36], v[3:4], v[61:62], v[53:54]
	v_add_f64 v[13:14], v[13:14], v[39:40]
	s_clause 0x2
	buffer_load_dword v52, off, s[0:3], 0 offset:988
	buffer_load_dword v40, off, s[0:3], 0 offset:964
	buffer_load_dword v39, off, s[0:3], 0 offset:960
	ds_read_b128 v[1:4], v70 offset:1776
	s_waitcnt vmcnt(58) lgkmcnt(1)
	v_mul_f64 v[61:62], v[7:8], v[65:66]
	v_mul_f64 v[53:54], v[5:6], v[65:66]
	;; [unrolled: 28-line block ×3, first 2 shown]
	s_waitcnt vmcnt(56)
	v_fma_f64 v[49:50], v[1:2], v[17:18], -v[49:50]
	v_fma_f64 v[17:18], v[3:4], v[17:18], v[130:131]
	v_add_f64 v[15:16], v[15:16], v[61:62]
	v_add_f64 v[13:14], v[13:14], v[43:44]
	s_clause 0x2
	buffer_load_dword v44, off, s[0:3], 0 offset:1036
	buffer_load_dword v43, off, s[0:3], 0 offset:1032
	;; [unrolled: 1-line block ×3, first 2 shown]
	ds_read_b128 v[1:4], v70 offset:1824
	s_waitcnt vmcnt(55) lgkmcnt(1)
	v_mul_f64 v[61:62], v[5:6], v[57:58]
	v_mul_f64 v[57:58], v[7:8], v[57:58]
	s_waitcnt vmcnt(54)
	v_fma_f64 v[55:56], v[9:10], v[79:80], -v[55:56]
	v_add_f64 v[15:16], v[15:16], v[49:50]
	v_fma_f64 v[49:50], v[11:12], v[79:80], v[53:54]
	v_add_f64 v[13:14], v[13:14], v[17:18]
	s_clause 0x1
	buffer_load_dword v18, off, s[0:3], 0 offset:1028
	buffer_load_dword v17, off, s[0:3], 0 offset:1024
	ds_read_b128 v[9:12], v70 offset:1840
	s_waitcnt vmcnt(55) lgkmcnt(1)
	v_mul_f64 v[67:68], v[3:4], v[73:74]
	v_mul_f64 v[53:54], v[1:2], v[73:74]
	s_waitcnt vmcnt(53)
	v_fma_f64 v[57:58], v[5:6], v[63:64], -v[57:58]
	v_add_f64 v[15:16], v[15:16], v[55:56]
	v_fma_f64 v[55:56], v[7:8], v[63:64], v[61:62]
	v_add_f64 v[13:14], v[13:14], v[49:50]
	ds_read_b128 v[5:8], v70 offset:1856
	s_waitcnt vmcnt(49) lgkmcnt(1)
	v_mul_f64 v[49:50], v[9:10], v[21:22]
	v_mul_f64 v[21:22], v[11:12], v[21:22]
	s_waitcnt vmcnt(48)
	v_fma_f64 v[61:62], v[1:2], v[83:84], -v[67:68]
	v_fma_f64 v[53:54], v[3:4], v[83:84], v[53:54]
	v_add_f64 v[15:16], v[15:16], v[57:58]
	v_add_f64 v[13:14], v[13:14], v[55:56]
	s_clause 0x3
	buffer_load_dword v55, off, s[0:3], 0 offset:256
	buffer_load_dword v56, off, s[0:3], 0 offset:260
	;; [unrolled: 1-line block ×4, first 2 shown]
	ds_read_b128 v[1:4], v70 offset:1872
	s_waitcnt vmcnt(51) lgkmcnt(1)
	v_mul_f64 v[67:68], v[7:8], v[81:82]
	v_mul_f64 v[63:64], v[5:6], v[81:82]
	s_waitcnt vmcnt(49)
	v_fma_f64 v[21:22], v[9:10], v[27:28], -v[21:22]
	v_fma_f64 v[27:28], v[11:12], v[27:28], v[49:50]
	ds_read_b128 v[9:12], v70 offset:1888
	v_add_f64 v[15:16], v[15:16], v[61:62]
	v_add_f64 v[13:14], v[13:14], v[53:54]
	s_waitcnt vmcnt(45) lgkmcnt(1)
	v_mul_f64 v[49:50], v[1:2], v[33:34]
	v_mul_f64 v[33:34], v[3:4], v[33:34]
	s_waitcnt vmcnt(44)
	v_fma_f64 v[53:54], v[5:6], v[126:127], -v[67:68]
	v_add_f64 v[15:16], v[15:16], v[21:22]
	v_fma_f64 v[21:22], v[7:8], v[126:127], v[63:64]
	v_add_f64 v[13:14], v[13:14], v[27:28]
	ds_read_b128 v[5:8], v70 offset:1904
	s_waitcnt vmcnt(43) lgkmcnt(1)
	v_mul_f64 v[61:62], v[11:12], v[75:76]
	v_mul_f64 v[27:28], v[9:10], v[75:76]
	s_waitcnt vmcnt(41)
	v_fma_f64 v[33:34], v[1:2], v[25:26], -v[33:34]
	v_fma_f64 v[25:26], v[3:4], v[25:26], v[49:50]
	ds_read_b128 v[1:4], v70 offset:1920
	v_add_f64 v[15:16], v[15:16], v[53:54]
	v_add_f64 v[13:14], v[13:14], v[21:22]
	s_waitcnt vmcnt(37) lgkmcnt(1)
	v_mul_f64 v[21:22], v[5:6], v[19:20]
	v_mul_f64 v[19:20], v[7:8], v[19:20]
	s_waitcnt vmcnt(36)
	v_fma_f64 v[49:50], v[9:10], v[128:129], -v[61:62]
	v_fma_f64 v[27:28], v[11:12], v[128:129], v[27:28]
	ds_read_b128 v[9:12], v70 offset:1936
	v_add_f64 v[15:16], v[15:16], v[33:34]
	v_add_f64 v[13:14], v[13:14], v[25:26]
	;; [unrolled: 9-line block ×3, first 2 shown]
	s_waitcnt vmcnt(29) lgkmcnt(1)
	v_mul_f64 v[27:28], v[9:10], v[23:24]
	v_mul_f64 v[23:24], v[11:12], v[23:24]
	s_waitcnt vmcnt(28)
	v_fma_f64 v[31:32], v[1:2], v[85:86], -v[33:34]
	v_add_f64 v[15:16], v[15:16], v[19:20]
	v_fma_f64 v[19:20], v[3:4], v[85:86], v[25:26]
	v_add_f64 v[13:14], v[13:14], v[21:22]
	ds_read_b128 v[1:4], v70 offset:1968
	s_waitcnt vmcnt(27) lgkmcnt(1)
	v_mul_f64 v[25:26], v[7:8], v[45:46]
	v_mul_f64 v[21:22], v[5:6], v[45:46]
	s_waitcnt vmcnt(25)
	v_fma_f64 v[23:24], v[9:10], v[41:42], -v[23:24]
	v_fma_f64 v[27:28], v[11:12], v[41:42], v[27:28]
	ds_read_b128 v[9:12], v70 offset:1984
	v_add_f64 v[15:16], v[15:16], v[31:32]
	v_add_f64 v[13:14], v[13:14], v[19:20]
	s_waitcnt vmcnt(21) lgkmcnt(1)
	v_mul_f64 v[19:20], v[1:2], v[29:30]
	v_mul_f64 v[29:30], v[3:4], v[29:30]
	s_waitcnt vmcnt(20)
	v_fma_f64 v[25:26], v[5:6], v[77:78], -v[25:26]
	v_fma_f64 v[21:22], v[7:8], v[77:78], v[21:22]
	ds_read_b128 v[5:8], v70 offset:2000
	v_add_f64 v[15:16], v[15:16], v[23:24]
	v_add_f64 v[13:14], v[13:14], v[27:28]
	;; [unrolled: 9-line block ×3, first 2 shown]
	s_waitcnt vmcnt(13) lgkmcnt(1)
	v_mul_f64 v[25:26], v[7:8], v[35:36]
	s_waitcnt vmcnt(12)
	v_fma_f64 v[27:28], v[9:10], v[71:72], -v[27:28]
	v_mul_f64 v[21:22], v[5:6], v[35:36]
	v_fma_f64 v[23:24], v[11:12], v[71:72], v[23:24]
	ds_read_b128 v[9:12], v70 offset:2032
	v_add_f64 v[15:16], v[15:16], v[29:30]
	v_add_f64 v[13:14], v[13:14], v[19:20]
	s_waitcnt vmcnt(11) lgkmcnt(1)
	v_mul_f64 v[29:30], v[3:4], v[59:60]
	v_mul_f64 v[19:20], v[1:2], v[59:60]
	s_waitcnt vmcnt(9)
	v_fma_f64 v[5:6], v[5:6], v[47:48], -v[25:26]
	v_fma_f64 v[7:8], v[7:8], v[47:48], v[21:22]
	v_add_f64 v[15:16], v[15:16], v[27:28]
	v_add_f64 v[13:14], v[13:14], v[23:24]
	s_waitcnt vmcnt(7) lgkmcnt(0)
	v_mul_f64 v[23:24], v[11:12], v[43:44]
	s_waitcnt vmcnt(6)
	v_fma_f64 v[1:2], v[1:2], v[65:66], -v[29:30]
	v_mul_f64 v[21:22], v[9:10], v[43:44]
	v_fma_f64 v[3:4], v[3:4], v[65:66], v[19:20]
	v_add_f64 v[5:6], v[15:16], v[5:6]
	v_add_f64 v[7:8], v[13:14], v[7:8]
	s_waitcnt vmcnt(4)
	v_fma_f64 v[9:10], v[9:10], v[17:18], -v[23:24]
	v_add_f64 v[1:2], v[5:6], v[1:2]
	v_fma_f64 v[5:6], v[11:12], v[17:18], v[21:22]
	v_add_f64 v[3:4], v[7:8], v[3:4]
	v_add_f64 v[1:2], v[1:2], v[9:10]
	v_add_f64 v[3:4], v[3:4], v[5:6]
	s_waitcnt vmcnt(2)
	v_add_f64 v[1:2], v[55:56], -v[1:2]
	s_waitcnt vmcnt(0)
	v_add_f64 v[3:4], v[57:58], -v[3:4]
	buffer_store_dword v2, off, s[0:3], 0 offset:260
	buffer_store_dword v1, off, s[0:3], 0 offset:256
	;; [unrolled: 1-line block ×4, first 2 shown]
	v_cmpx_lt_u32_e32 14, v0
	s_cbranch_execz .LBB63_381
; %bb.380:
	v_mov_b32_e32 v4, s64
	v_mov_b32_e32 v5, 0
	s_clause 0x3
	buffer_load_dword v1, v4, s[0:3], 0 offen
	buffer_load_dword v2, v4, s[0:3], 0 offen offset:4
	buffer_load_dword v3, v4, s[0:3], 0 offen offset:8
	buffer_load_dword v4, v4, s[0:3], 0 offen offset:12
	buffer_store_dword v5, off, s[0:3], 0 offset:240
	buffer_store_dword v5, off, s[0:3], 0 offset:244
	;; [unrolled: 1-line block ×4, first 2 shown]
	s_waitcnt vmcnt(0)
	ds_write_b128 v69, v[1:4]
.LBB63_381:
	s_or_b32 exec_lo, exec_lo, s4
	s_waitcnt lgkmcnt(0)
	s_waitcnt_vscnt null, 0x0
	s_barrier
	buffer_gl0_inv
	s_clause 0x37
	buffer_load_dword v17, off, s[0:3], 0 offset:264
	buffer_load_dword v18, off, s[0:3], 0 offset:268
	;; [unrolled: 1-line block ×56, first 2 shown]
	v_mov_b32_e32 v70, 0
	s_mov_b32 s4, exec_lo
	ds_read_b128 v[5:8], v70 offset:1264
	s_clause 0x2
	buffer_load_dword v66, off, s[0:3], 0 offset:492
	buffer_load_dword v68, off, s[0:3], 0 offset:468
	;; [unrolled: 1-line block ×3, first 2 shown]
	ds_read_b128 v[1:4], v70 offset:1280
	s_clause 0x4
	buffer_load_dword v78, off, s[0:3], 0 offset:508
	buffer_load_dword v79, off, s[0:3], 0 offset:520
	;; [unrolled: 1-line block ×5, first 2 shown]
	ds_read_b128 v[71:74], v70 offset:1296
	s_waitcnt vmcnt(62) lgkmcnt(2)
	v_mul_f64 v[75:76], v[7:8], v[17:18]
	v_mul_f64 v[17:18], v[5:6], v[17:18]
	s_waitcnt vmcnt(60) lgkmcnt(1)
	v_mul_f64 v[82:83], v[3:4], v[13:14]
	v_mul_f64 v[13:14], v[1:2], v[13:14]
	;; [unrolled: 3-line block ×3, first 2 shown]
	v_fma_f64 v[75:76], v[5:6], v[15:16], -v[75:76]
	v_fma_f64 v[15:16], v[7:8], v[15:16], v[17:18]
	s_clause 0x2
	buffer_load_dword v80, off, s[0:3], 0 offset:524
	buffer_load_dword v18, off, s[0:3], 0 offset:500
	;; [unrolled: 1-line block ×3, first 2 shown]
	s_waitcnt vmcnt(57)
	v_fma_f64 v[86:87], v[1:2], v[9:10], -v[82:83]
	ds_read_b128 v[5:8], v70 offset:1312
	v_fma_f64 v[9:10], v[3:4], v[9:10], v[13:14]
	s_waitcnt vmcnt(51)
	v_fma_f64 v[71:72], v[71:72], v[33:34], -v[11:12]
	v_fma_f64 v[33:34], v[73:74], v[33:34], v[84:85]
	v_add_f64 v[75:76], v[75:76], 0
	v_add_f64 v[13:14], v[15:16], 0
	s_clause 0x4
	buffer_load_dword v16, off, s[0:3], 0 offset:540
	buffer_load_dword v83, off, s[0:3], 0 offset:552
	;; [unrolled: 1-line block ×5, first 2 shown]
	s_waitcnt lgkmcnt(0)
	v_mul_f64 v[127:128], v[5:6], v[21:22]
	v_mul_f64 v[21:22], v[7:8], v[21:22]
	ds_read_b128 v[1:4], v70 offset:1328
	s_clause 0x2
	buffer_load_dword v84, off, s[0:3], 0 offset:556
	buffer_load_dword v74, off, s[0:3], 0 offset:532
	;; [unrolled: 1-line block ×3, first 2 shown]
	v_add_f64 v[75:76], v[75:76], v[86:87]
	v_add_f64 v[13:14], v[13:14], v[9:10]
	ds_read_b128 v[9:12], v70 offset:1344
	s_waitcnt vmcnt(58) lgkmcnt(1)
	v_mul_f64 v[85:86], v[1:2], v[25:26]
	v_mul_f64 v[25:26], v[3:4], v[25:26]
	s_waitcnt vmcnt(56)
	v_fma_f64 v[21:22], v[5:6], v[27:28], -v[21:22]
	v_fma_f64 v[27:28], v[7:8], v[27:28], v[127:128]
	s_waitcnt vmcnt(52) lgkmcnt(0)
	v_mul_f64 v[129:130], v[9:10], v[29:30]
	v_add_f64 v[71:72], v[75:76], v[71:72]
	v_add_f64 v[13:14], v[13:14], v[33:34]
	s_clause 0x4
	buffer_load_dword v34, off, s[0:3], 0 offset:572
	buffer_load_dword v75, off, s[0:3], 0 offset:584
	;; [unrolled: 1-line block ×5, first 2 shown]
	v_mul_f64 v[29:30], v[11:12], v[29:30]
	s_waitcnt vmcnt(56)
	v_fma_f64 v[25:26], v[1:2], v[19:20], -v[25:26]
	ds_read_b128 v[5:8], v70 offset:1360
	v_fma_f64 v[19:20], v[3:4], v[19:20], v[85:86]
	v_add_f64 v[21:22], v[71:72], v[21:22]
	v_add_f64 v[13:14], v[13:14], v[27:28]
	s_clause 0x2
	buffer_load_dword v76, off, s[0:3], 0 offset:588
	buffer_load_dword v28, off, s[0:3], 0 offset:564
	buffer_load_dword v27, off, s[0:3], 0 offset:560
	s_waitcnt vmcnt(58) lgkmcnt(0)
	v_mul_f64 v[71:72], v[5:6], v[35:36]
	v_mul_f64 v[35:36], v[7:8], v[35:36]
	s_waitcnt vmcnt(56)
	v_fma_f64 v[29:30], v[9:10], v[37:38], -v[29:30]
	ds_read_b128 v[1:4], v70 offset:1376
	v_add_f64 v[21:22], v[21:22], v[25:26]
	v_fma_f64 v[25:26], v[11:12], v[37:38], v[129:130]
	v_add_f64 v[13:14], v[13:14], v[19:20]
	s_clause 0x4
	buffer_load_dword v20, off, s[0:3], 0 offset:604
	buffer_load_dword v37, off, s[0:3], 0 offset:616
	;; [unrolled: 1-line block ×5, first 2 shown]
	s_waitcnt vmcnt(57) lgkmcnt(0)
	v_mul_f64 v[86:87], v[1:2], v[39:40]
	v_mul_f64 v[39:40], v[3:4], v[39:40]
	s_waitcnt vmcnt(56)
	v_fma_f64 v[35:36], v[5:6], v[23:24], -v[35:36]
	ds_read_b128 v[9:12], v70 offset:1392
	v_fma_f64 v[23:24], v[7:8], v[23:24], v[71:72]
	v_add_f64 v[21:22], v[21:22], v[29:30]
	v_add_f64 v[13:14], v[13:14], v[25:26]
	s_clause 0x2
	buffer_load_dword v38, off, s[0:3], 0 offset:620
	buffer_load_dword v26, off, s[0:3], 0 offset:596
	;; [unrolled: 1-line block ×3, first 2 shown]
	ds_read_b128 v[5:8], v70 offset:1408
	s_waitcnt vmcnt(58) lgkmcnt(1)
	v_mul_f64 v[29:30], v[9:10], v[43:44]
	v_mul_f64 v[43:44], v[11:12], v[43:44]
	s_waitcnt vmcnt(56)
	v_fma_f64 v[39:40], v[1:2], v[45:46], -v[39:40]
	v_add_f64 v[21:22], v[21:22], v[35:36]
	v_fma_f64 v[35:36], v[3:4], v[45:46], v[86:87]
	v_add_f64 v[13:14], v[13:14], v[23:24]
	s_clause 0x4
	buffer_load_dword v24, off, s[0:3], 0 offset:636
	buffer_load_dword v45, off, s[0:3], 0 offset:648
	;; [unrolled: 1-line block ×5, first 2 shown]
	s_waitcnt vmcnt(57) lgkmcnt(0)
	v_mul_f64 v[130:131], v[5:6], v[47:48]
	v_mul_f64 v[47:48], v[7:8], v[47:48]
	s_waitcnt vmcnt(56)
	v_fma_f64 v[43:44], v[9:10], v[31:32], -v[43:44]
	ds_read_b128 v[1:4], v70 offset:1424
	v_fma_f64 v[29:30], v[11:12], v[31:32], v[29:30]
	s_clause 0x2
	buffer_load_dword v46, off, s[0:3], 0 offset:652
	buffer_load_dword v32, off, s[0:3], 0 offset:628
	;; [unrolled: 1-line block ×3, first 2 shown]
	ds_read_b128 v[9:12], v70 offset:1440
	v_add_f64 v[21:22], v[21:22], v[39:40]
	v_add_f64 v[13:14], v[13:14], v[35:36]
	s_waitcnt vmcnt(58) lgkmcnt(1)
	v_mul_f64 v[39:40], v[3:4], v[51:52]
	s_waitcnt vmcnt(56)
	v_fma_f64 v[47:48], v[5:6], v[53:54], -v[47:48]
	v_mul_f64 v[35:36], v[1:2], v[51:52]
	v_add_f64 v[21:22], v[21:22], v[43:44]
	v_fma_f64 v[43:44], v[7:8], v[53:54], v[130:131]
	v_add_f64 v[13:14], v[13:14], v[29:30]
	s_clause 0x4
	buffer_load_dword v30, off, s[0:3], 0 offset:668
	buffer_load_dword v51, off, s[0:3], 0 offset:680
	;; [unrolled: 1-line block ×5, first 2 shown]
	s_waitcnt vmcnt(57) lgkmcnt(0)
	v_mul_f64 v[130:131], v[9:10], v[55:56]
	v_mul_f64 v[54:55], v[11:12], v[55:56]
	s_waitcnt vmcnt(56)
	v_fma_f64 v[39:40], v[1:2], v[41:42], -v[39:40]
	ds_read_b128 v[5:8], v70 offset:1456
	v_fma_f64 v[35:36], v[3:4], v[41:42], v[35:36]
	s_clause 0x2
	buffer_load_dword v52, off, s[0:3], 0 offset:684
	buffer_load_dword v42, off, s[0:3], 0 offset:660
	buffer_load_dword v41, off, s[0:3], 0 offset:656
	ds_read_b128 v[1:4], v70 offset:1472
	v_add_f64 v[21:22], v[21:22], v[47:48]
	v_add_f64 v[13:14], v[13:14], v[43:44]
	s_waitcnt vmcnt(58) lgkmcnt(1)
	v_mul_f64 v[47:48], v[7:8], v[59:60]
	s_waitcnt vmcnt(56)
	v_fma_f64 v[55:56], v[9:10], v[61:62], -v[54:55]
	v_mul_f64 v[43:44], v[5:6], v[59:60]
	v_add_f64 v[21:22], v[21:22], v[39:40]
	v_fma_f64 v[39:40], v[11:12], v[61:62], v[130:131]
	v_add_f64 v[13:14], v[13:14], v[35:36]
	s_clause 0x4
	buffer_load_dword v36, off, s[0:3], 0 offset:700
	buffer_load_dword v59, off, s[0:3], 0 offset:712
	;; [unrolled: 1-line block ×5, first 2 shown]
	s_waitcnt vmcnt(57) lgkmcnt(0)
	v_mul_f64 v[130:131], v[1:2], v[63:64]
	v_mul_f64 v[62:63], v[3:4], v[63:64]
	s_waitcnt vmcnt(56)
	v_fma_f64 v[47:48], v[5:6], v[49:50], -v[47:48]
	ds_read_b128 v[9:12], v70 offset:1488
	v_fma_f64 v[43:44], v[7:8], v[49:50], v[43:44]
	v_add_f64 v[21:22], v[21:22], v[55:56]
	v_add_f64 v[13:14], v[13:14], v[39:40]
	s_clause 0x2
	buffer_load_dword v60, off, s[0:3], 0 offset:716
	buffer_load_dword v40, off, s[0:3], 0 offset:692
	;; [unrolled: 1-line block ×3, first 2 shown]
	ds_read_b128 v[5:8], v70 offset:1504
	s_waitcnt vmcnt(58) lgkmcnt(1)
	v_mul_f64 v[55:56], v[11:12], v[65:66]
	s_waitcnt vmcnt(56)
	v_fma_f64 v[63:64], v[1:2], v[67:68], -v[62:63]
	v_mul_f64 v[49:50], v[9:10], v[65:66]
	v_add_f64 v[21:22], v[21:22], v[47:48]
	v_fma_f64 v[47:48], v[3:4], v[67:68], v[130:131]
	v_add_f64 v[13:14], v[13:14], v[43:44]
	s_clause 0x4
	buffer_load_dword v44, off, s[0:3], 0 offset:732
	buffer_load_dword v65, off, s[0:3], 0 offset:744
	;; [unrolled: 1-line block ×5, first 2 shown]
	s_waitcnt vmcnt(57) lgkmcnt(0)
	v_mul_f64 v[130:131], v[5:6], v[77:78]
	v_mul_f64 v[77:78], v[7:8], v[77:78]
	s_waitcnt vmcnt(56)
	v_fma_f64 v[55:56], v[9:10], v[57:58], -v[55:56]
	ds_read_b128 v[1:4], v70 offset:1520
	v_fma_f64 v[49:50], v[11:12], v[57:58], v[49:50]
	v_add_f64 v[21:22], v[21:22], v[63:64]
	v_add_f64 v[13:14], v[13:14], v[47:48]
	s_clause 0x2
	buffer_load_dword v66, off, s[0:3], 0 offset:748
	buffer_load_dword v48, off, s[0:3], 0 offset:724
	;; [unrolled: 1-line block ×3, first 2 shown]
	ds_read_b128 v[9:12], v70 offset:1536
	s_waitcnt vmcnt(58) lgkmcnt(1)
	v_mul_f64 v[63:64], v[3:4], v[79:80]
	v_mul_f64 v[57:58], v[1:2], v[79:80]
	s_waitcnt vmcnt(56)
	v_fma_f64 v[77:78], v[5:6], v[17:18], -v[77:78]
	v_fma_f64 v[17:18], v[7:8], v[17:18], v[130:131]
	v_add_f64 v[21:22], v[21:22], v[55:56]
	v_add_f64 v[13:14], v[13:14], v[49:50]
	s_clause 0x4
	buffer_load_dword v50, off, s[0:3], 0 offset:764
	buffer_load_dword v55, off, s[0:3], 0 offset:776
	;; [unrolled: 1-line block ×5, first 2 shown]
	ds_read_b128 v[5:8], v70 offset:1552
	s_waitcnt vmcnt(57) lgkmcnt(1)
	v_mul_f64 v[130:131], v[9:10], v[15:16]
	v_mul_f64 v[15:16], v[11:12], v[15:16]
	s_waitcnt vmcnt(56)
	v_fma_f64 v[63:64], v[1:2], v[81:82], -v[63:64]
	v_fma_f64 v[57:58], v[3:4], v[81:82], v[57:58]
	v_add_f64 v[21:22], v[21:22], v[77:78]
	v_add_f64 v[13:14], v[13:14], v[17:18]
	s_clause 0x2
	buffer_load_dword v56, off, s[0:3], 0 offset:780
	buffer_load_dword v18, off, s[0:3], 0 offset:756
	;; [unrolled: 1-line block ×3, first 2 shown]
	s_waitcnt vmcnt(58) lgkmcnt(0)
	v_mul_f64 v[81:82], v[7:8], v[83:84]
	ds_read_b128 v[1:4], v70 offset:1568
	v_mul_f64 v[77:78], v[5:6], v[83:84]
	s_waitcnt vmcnt(56)
	v_fma_f64 v[15:16], v[9:10], v[73:74], -v[15:16]
	v_add_f64 v[21:22], v[21:22], v[63:64]
	v_fma_f64 v[63:64], v[11:12], v[73:74], v[130:131]
	v_add_f64 v[13:14], v[13:14], v[57:58]
	s_clause 0x4
	buffer_load_dword v58, off, s[0:3], 0 offset:796
	buffer_load_dword v73, off, s[0:3], 0 offset:808
	;; [unrolled: 1-line block ×5, first 2 shown]
	ds_read_b128 v[9:12], v70 offset:1584
	s_waitcnt vmcnt(57) lgkmcnt(1)
	v_mul_f64 v[130:131], v[1:2], v[33:34]
	v_mul_f64 v[33:34], v[3:4], v[33:34]
	s_waitcnt vmcnt(56)
	v_fma_f64 v[81:82], v[5:6], v[126:127], -v[81:82]
	v_add_f64 v[15:16], v[21:22], v[15:16]
	v_fma_f64 v[21:22], v[7:8], v[126:127], v[77:78]
	v_add_f64 v[13:14], v[13:14], v[63:64]
	s_clause 0x2
	buffer_load_dword v74, off, s[0:3], 0 offset:812
	buffer_load_dword v64, off, s[0:3], 0 offset:788
	;; [unrolled: 1-line block ×3, first 2 shown]
	ds_read_b128 v[5:8], v70 offset:1600
	s_waitcnt vmcnt(58) lgkmcnt(1)
	v_mul_f64 v[77:78], v[9:10], v[75:76]
	v_mul_f64 v[75:76], v[11:12], v[75:76]
	s_waitcnt vmcnt(56)
	v_fma_f64 v[33:34], v[1:2], v[27:28], -v[33:34]
	v_fma_f64 v[27:28], v[3:4], v[27:28], v[130:131]
	v_add_f64 v[15:16], v[15:16], v[81:82]
	v_add_f64 v[13:14], v[13:14], v[21:22]
	s_clause 0x4
	buffer_load_dword v22, off, s[0:3], 0 offset:828
	buffer_load_dword v81, off, s[0:3], 0 offset:840
	;; [unrolled: 1-line block ×5, first 2 shown]
	ds_read_b128 v[1:4], v70 offset:1616
	s_waitcnt vmcnt(57) lgkmcnt(1)
	v_mul_f64 v[130:131], v[5:6], v[19:20]
	v_mul_f64 v[19:20], v[7:8], v[19:20]
	s_waitcnt vmcnt(56)
	v_fma_f64 v[75:76], v[9:10], v[128:129], -v[75:76]
	v_add_f64 v[15:16], v[15:16], v[33:34]
	v_fma_f64 v[33:34], v[11:12], v[128:129], v[77:78]
	v_add_f64 v[13:14], v[13:14], v[27:28]
	s_clause 0x2
	buffer_load_dword v82, off, s[0:3], 0 offset:844
	buffer_load_dword v28, off, s[0:3], 0 offset:820
	;; [unrolled: 1-line block ×3, first 2 shown]
	ds_read_b128 v[9:12], v70 offset:1632
	s_waitcnt vmcnt(58) lgkmcnt(1)
	v_mul_f64 v[77:78], v[1:2], v[37:38]
	v_mul_f64 v[37:38], v[3:4], v[37:38]
	s_waitcnt vmcnt(56)
	v_fma_f64 v[19:20], v[5:6], v[25:26], -v[19:20]
	v_fma_f64 v[25:26], v[7:8], v[25:26], v[130:131]
	v_add_f64 v[15:16], v[15:16], v[75:76]
	v_add_f64 v[13:14], v[13:14], v[33:34]
	s_clause 0x4
	buffer_load_dword v34, off, s[0:3], 0 offset:860
	buffer_load_dword v75, off, s[0:3], 0 offset:872
	;; [unrolled: 1-line block ×5, first 2 shown]
	ds_read_b128 v[5:8], v70 offset:1648
	s_waitcnt vmcnt(57) lgkmcnt(1)
	v_mul_f64 v[129:130], v[9:10], v[23:24]
	v_mul_f64 v[23:24], v[11:12], v[23:24]
	s_waitcnt vmcnt(56)
	v_fma_f64 v[37:38], v[1:2], v[85:86], -v[37:38]
	v_add_f64 v[15:16], v[15:16], v[19:20]
	v_fma_f64 v[19:20], v[3:4], v[85:86], v[77:78]
	v_add_f64 v[13:14], v[13:14], v[25:26]
	s_clause 0x2
	buffer_load_dword v76, off, s[0:3], 0 offset:876
	buffer_load_dword v26, off, s[0:3], 0 offset:852
	;; [unrolled: 1-line block ×3, first 2 shown]
	s_waitcnt vmcnt(58) lgkmcnt(0)
	v_mul_f64 v[77:78], v[5:6], v[45:46]
	v_mul_f64 v[45:46], v[7:8], v[45:46]
	ds_read_b128 v[1:4], v70 offset:1664
	s_waitcnt vmcnt(56)
	v_fma_f64 v[23:24], v[9:10], v[31:32], -v[23:24]
	v_fma_f64 v[31:32], v[11:12], v[31:32], v[129:130]
	v_add_f64 v[15:16], v[15:16], v[37:38]
	v_add_f64 v[13:14], v[13:14], v[19:20]
	s_clause 0x4
	buffer_load_dword v20, off, s[0:3], 0 offset:892
	buffer_load_dword v37, off, s[0:3], 0 offset:904
	buffer_load_dword v85, off, s[0:3], 0 offset:896
	buffer_load_dword v19, off, s[0:3], 0 offset:888
	buffer_load_dword v129, off, s[0:3], 0 offset:868
	ds_read_b128 v[9:12], v70 offset:1680
	s_waitcnt vmcnt(57) lgkmcnt(1)
	v_mul_f64 v[86:87], v[1:2], v[29:30]
	v_mul_f64 v[29:30], v[3:4], v[29:30]
	s_waitcnt vmcnt(56)
	v_fma_f64 v[45:46], v[5:6], v[71:72], -v[45:46]
	v_add_f64 v[15:16], v[15:16], v[23:24]
	v_fma_f64 v[23:24], v[7:8], v[71:72], v[77:78]
	v_add_f64 v[13:14], v[13:14], v[31:32]
	s_clause 0x2
	buffer_load_dword v38, off, s[0:3], 0 offset:908
	buffer_load_dword v32, off, s[0:3], 0 offset:884
	buffer_load_dword v31, off, s[0:3], 0 offset:880
	s_waitcnt vmcnt(58) lgkmcnt(0)
	v_mul_f64 v[71:72], v[9:10], v[51:52]
	v_mul_f64 v[51:52], v[11:12], v[51:52]
	ds_read_b128 v[5:8], v70 offset:1696
	s_waitcnt vmcnt(56)
	v_fma_f64 v[29:30], v[1:2], v[41:42], -v[29:30]
	v_fma_f64 v[41:42], v[3:4], v[41:42], v[86:87]
	v_add_f64 v[15:16], v[15:16], v[45:46]
	v_add_f64 v[13:14], v[13:14], v[23:24]
	s_clause 0x4
	buffer_load_dword v24, off, s[0:3], 0 offset:924
	buffer_load_dword v45, off, s[0:3], 0 offset:936
	buffer_load_dword v77, off, s[0:3], 0 offset:928
	buffer_load_dword v23, off, s[0:3], 0 offset:920
	buffer_load_dword v86, off, s[0:3], 0 offset:900
	ds_read_b128 v[1:4], v70 offset:1712
	s_waitcnt vmcnt(57) lgkmcnt(1)
	v_mul_f64 v[130:131], v[5:6], v[35:36]
	v_mul_f64 v[35:36], v[7:8], v[35:36]
	s_waitcnt vmcnt(56)
	v_fma_f64 v[51:52], v[9:10], v[53:54], -v[51:52]
	v_add_f64 v[15:16], v[15:16], v[29:30]
	v_fma_f64 v[29:30], v[11:12], v[53:54], v[71:72]
	v_add_f64 v[13:14], v[13:14], v[41:42]
	s_clause 0x2
	buffer_load_dword v46, off, s[0:3], 0 offset:940
	buffer_load_dword v42, off, s[0:3], 0 offset:916
	buffer_load_dword v41, off, s[0:3], 0 offset:912
	ds_read_b128 v[9:12], v70 offset:1728
	s_waitcnt vmcnt(58) lgkmcnt(1)
	v_mul_f64 v[53:54], v[1:2], v[59:60]
	v_mul_f64 v[59:60], v[3:4], v[59:60]
	s_waitcnt vmcnt(56)
	v_fma_f64 v[35:36], v[5:6], v[39:40], -v[35:36]
	v_fma_f64 v[39:40], v[7:8], v[39:40], v[130:131]
	v_add_f64 v[15:16], v[15:16], v[51:52]
	v_add_f64 v[13:14], v[13:14], v[29:30]
	s_clause 0x4
	buffer_load_dword v30, off, s[0:3], 0 offset:956
	buffer_load_dword v51, off, s[0:3], 0 offset:968
	buffer_load_dword v71, off, s[0:3], 0 offset:960
	buffer_load_dword v29, off, s[0:3], 0 offset:952
	buffer_load_dword v78, off, s[0:3], 0 offset:932
	ds_read_b128 v[5:8], v70 offset:1744
	s_waitcnt vmcnt(57) lgkmcnt(1)
	v_mul_f64 v[130:131], v[9:10], v[43:44]
	v_mul_f64 v[43:44], v[11:12], v[43:44]
	s_waitcnt vmcnt(56)
	v_fma_f64 v[59:60], v[1:2], v[61:62], -v[59:60]
	v_add_f64 v[15:16], v[15:16], v[35:36]
	v_fma_f64 v[35:36], v[3:4], v[61:62], v[53:54]
	v_add_f64 v[13:14], v[13:14], v[39:40]
	s_clause 0x2
	buffer_load_dword v52, off, s[0:3], 0 offset:972
	buffer_load_dword v40, off, s[0:3], 0 offset:948
	buffer_load_dword v39, off, s[0:3], 0 offset:944
	ds_read_b128 v[1:4], v70 offset:1760
	s_waitcnt vmcnt(58) lgkmcnt(1)
	v_mul_f64 v[61:62], v[7:8], v[65:66]
	v_mul_f64 v[53:54], v[5:6], v[65:66]
	;; [unrolled: 28-line block ×3, first 2 shown]
	s_waitcnt vmcnt(56)
	v_fma_f64 v[49:50], v[1:2], v[17:18], -v[49:50]
	v_fma_f64 v[17:18], v[3:4], v[17:18], v[130:131]
	v_add_f64 v[15:16], v[15:16], v[61:62]
	v_add_f64 v[13:14], v[13:14], v[43:44]
	s_clause 0x4
	buffer_load_dword v44, off, s[0:3], 0 offset:1020
	buffer_load_dword v61, off, s[0:3], 0 offset:1032
	;; [unrolled: 1-line block ×5, first 2 shown]
	ds_read_b128 v[1:4], v70 offset:1808
	s_waitcnt vmcnt(57) lgkmcnt(1)
	v_mul_f64 v[130:131], v[5:6], v[57:58]
	v_mul_f64 v[57:58], v[7:8], v[57:58]
	s_waitcnt vmcnt(56)
	v_fma_f64 v[55:56], v[9:10], v[79:80], -v[55:56]
	v_add_f64 v[15:16], v[15:16], v[49:50]
	v_fma_f64 v[49:50], v[11:12], v[79:80], v[53:54]
	v_add_f64 v[13:14], v[13:14], v[17:18]
	s_clause 0x2
	buffer_load_dword v62, off, s[0:3], 0 offset:1036
	buffer_load_dword v18, off, s[0:3], 0 offset:1012
	;; [unrolled: 1-line block ×3, first 2 shown]
	ds_read_b128 v[9:12], v70 offset:1824
	buffer_load_dword v68, off, s[0:3], 0 offset:1028
	s_waitcnt vmcnt(59) lgkmcnt(1)
	v_mul_f64 v[53:54], v[1:2], v[73:74]
	v_mul_f64 v[73:74], v[3:4], v[73:74]
	s_waitcnt vmcnt(57)
	v_fma_f64 v[57:58], v[5:6], v[63:64], -v[57:58]
	v_add_f64 v[15:16], v[15:16], v[55:56]
	v_fma_f64 v[55:56], v[7:8], v[63:64], v[130:131]
	v_add_f64 v[13:14], v[13:14], v[49:50]
	ds_read_b128 v[5:8], v70 offset:1840
	s_waitcnt vmcnt(53) lgkmcnt(1)
	v_mul_f64 v[49:50], v[9:10], v[21:22]
	v_mul_f64 v[21:22], v[11:12], v[21:22]
	s_waitcnt vmcnt(52)
	v_fma_f64 v[63:64], v[1:2], v[83:84], -v[73:74]
	v_fma_f64 v[53:54], v[3:4], v[83:84], v[53:54]
	ds_read_b128 v[1:4], v70 offset:1856
	v_add_f64 v[15:16], v[15:16], v[57:58]
	v_add_f64 v[13:14], v[13:14], v[55:56]
	s_waitcnt vmcnt(51) lgkmcnt(1)
	v_mul_f64 v[57:58], v[7:8], v[81:82]
	v_mul_f64 v[55:56], v[5:6], v[81:82]
	s_waitcnt vmcnt(49)
	v_fma_f64 v[21:22], v[9:10], v[27:28], -v[21:22]
	v_fma_f64 v[27:28], v[11:12], v[27:28], v[49:50]
	v_add_f64 v[15:16], v[15:16], v[63:64]
	v_add_f64 v[13:14], v[13:14], v[53:54]
	s_clause 0x3
	buffer_load_dword v49, off, s[0:3], 0 offset:240
	buffer_load_dword v50, off, s[0:3], 0 offset:244
	;; [unrolled: 1-line block ×4, first 2 shown]
	ds_read_b128 v[9:12], v70 offset:1872
	s_waitcnt vmcnt(49) lgkmcnt(1)
	v_mul_f64 v[63:64], v[1:2], v[33:34]
	v_mul_f64 v[33:34], v[3:4], v[33:34]
	s_waitcnt vmcnt(48)
	v_fma_f64 v[57:58], v[5:6], v[126:127], -v[57:58]
	v_add_f64 v[15:16], v[15:16], v[21:22]
	v_fma_f64 v[21:22], v[7:8], v[126:127], v[55:56]
	v_add_f64 v[13:14], v[13:14], v[27:28]
	ds_read_b128 v[5:8], v70 offset:1888
	s_waitcnt vmcnt(47) lgkmcnt(1)
	v_mul_f64 v[55:56], v[11:12], v[75:76]
	v_mul_f64 v[27:28], v[9:10], v[75:76]
	s_waitcnt vmcnt(45)
	v_fma_f64 v[33:34], v[1:2], v[25:26], -v[33:34]
	v_fma_f64 v[25:26], v[3:4], v[25:26], v[63:64]
	ds_read_b128 v[1:4], v70 offset:1904
	v_add_f64 v[15:16], v[15:16], v[57:58]
	v_add_f64 v[13:14], v[13:14], v[21:22]
	s_waitcnt vmcnt(41) lgkmcnt(1)
	v_mul_f64 v[21:22], v[5:6], v[19:20]
	v_mul_f64 v[19:20], v[7:8], v[19:20]
	s_waitcnt vmcnt(40)
	v_fma_f64 v[55:56], v[9:10], v[128:129], -v[55:56]
	v_fma_f64 v[27:28], v[11:12], v[128:129], v[27:28]
	ds_read_b128 v[9:12], v70 offset:1920
	v_add_f64 v[15:16], v[15:16], v[33:34]
	v_add_f64 v[13:14], v[13:14], v[25:26]
	;; [unrolled: 9-line block ×3, first 2 shown]
	s_waitcnt vmcnt(33) lgkmcnt(1)
	v_mul_f64 v[27:28], v[9:10], v[23:24]
	v_mul_f64 v[23:24], v[11:12], v[23:24]
	s_waitcnt vmcnt(32)
	v_fma_f64 v[31:32], v[1:2], v[85:86], -v[33:34]
	v_add_f64 v[15:16], v[15:16], v[19:20]
	v_fma_f64 v[19:20], v[3:4], v[85:86], v[25:26]
	v_add_f64 v[13:14], v[13:14], v[21:22]
	ds_read_b128 v[1:4], v70 offset:1952
	s_waitcnt vmcnt(31) lgkmcnt(1)
	v_mul_f64 v[25:26], v[7:8], v[45:46]
	v_mul_f64 v[21:22], v[5:6], v[45:46]
	s_waitcnt vmcnt(29)
	v_fma_f64 v[23:24], v[9:10], v[41:42], -v[23:24]
	v_fma_f64 v[27:28], v[11:12], v[41:42], v[27:28]
	ds_read_b128 v[9:12], v70 offset:1968
	v_add_f64 v[15:16], v[15:16], v[31:32]
	v_add_f64 v[13:14], v[13:14], v[19:20]
	s_waitcnt vmcnt(25) lgkmcnt(1)
	v_mul_f64 v[19:20], v[1:2], v[29:30]
	v_mul_f64 v[29:30], v[3:4], v[29:30]
	s_waitcnt vmcnt(24)
	v_fma_f64 v[25:26], v[5:6], v[77:78], -v[25:26]
	v_fma_f64 v[21:22], v[7:8], v[77:78], v[21:22]
	ds_read_b128 v[5:8], v70 offset:1984
	v_add_f64 v[15:16], v[15:16], v[23:24]
	v_add_f64 v[13:14], v[13:14], v[27:28]
	;; [unrolled: 9-line block ×3, first 2 shown]
	s_waitcnt vmcnt(17) lgkmcnt(1)
	v_mul_f64 v[25:26], v[7:8], v[35:36]
	s_waitcnt vmcnt(16)
	v_fma_f64 v[27:28], v[9:10], v[71:72], -v[27:28]
	v_mul_f64 v[21:22], v[5:6], v[35:36]
	v_fma_f64 v[23:24], v[11:12], v[71:72], v[23:24]
	ds_read_b128 v[9:12], v70 offset:2016
	v_add_f64 v[15:16], v[15:16], v[29:30]
	v_add_f64 v[13:14], v[13:14], v[19:20]
	s_waitcnt vmcnt(15) lgkmcnt(1)
	v_mul_f64 v[29:30], v[3:4], v[59:60]
	v_mul_f64 v[19:20], v[1:2], v[59:60]
	s_waitcnt vmcnt(13)
	v_fma_f64 v[25:26], v[5:6], v[47:48], -v[25:26]
	v_fma_f64 v[21:22], v[7:8], v[47:48], v[21:22]
	ds_read_b128 v[5:8], v70 offset:2032
	v_add_f64 v[15:16], v[15:16], v[27:28]
	v_add_f64 v[13:14], v[13:14], v[23:24]
	s_waitcnt vmcnt(9) lgkmcnt(1)
	v_mul_f64 v[27:28], v[11:12], v[43:44]
	s_waitcnt vmcnt(8)
	v_fma_f64 v[1:2], v[1:2], v[65:66], -v[29:30]
	v_mul_f64 v[23:24], v[9:10], v[43:44]
	v_fma_f64 v[3:4], v[3:4], v[65:66], v[19:20]
	v_add_f64 v[15:16], v[15:16], v[25:26]
	v_add_f64 v[13:14], v[13:14], v[21:22]
	s_waitcnt vmcnt(7) lgkmcnt(0)
	v_mul_f64 v[21:22], v[7:8], v[61:62]
	v_mul_f64 v[19:20], v[5:6], v[61:62]
	s_waitcnt vmcnt(5)
	v_fma_f64 v[9:10], v[9:10], v[17:18], -v[27:28]
	v_fma_f64 v[11:12], v[11:12], v[17:18], v[23:24]
	v_add_f64 v[1:2], v[15:16], v[1:2]
	v_add_f64 v[3:4], v[13:14], v[3:4]
	s_waitcnt vmcnt(4)
	v_fma_f64 v[5:6], v[5:6], v[67:68], -v[21:22]
	v_fma_f64 v[7:8], v[7:8], v[67:68], v[19:20]
	v_add_f64 v[1:2], v[1:2], v[9:10]
	v_add_f64 v[3:4], v[3:4], v[11:12]
	;; [unrolled: 1-line block ×4, first 2 shown]
	s_waitcnt vmcnt(2)
	v_add_f64 v[1:2], v[49:50], -v[1:2]
	s_waitcnt vmcnt(0)
	v_add_f64 v[3:4], v[53:54], -v[3:4]
	buffer_store_dword v2, off, s[0:3], 0 offset:244
	buffer_store_dword v1, off, s[0:3], 0 offset:240
	;; [unrolled: 1-line block ×4, first 2 shown]
	v_cmpx_lt_u32_e32 13, v0
	s_cbranch_execz .LBB63_383
; %bb.382:
	v_mov_b32_e32 v4, s65
	s_clause 0x3
	buffer_load_dword v1, v4, s[0:3], 0 offen
	buffer_load_dword v2, v4, s[0:3], 0 offen offset:4
	buffer_load_dword v3, v4, s[0:3], 0 offen offset:8
	;; [unrolled: 1-line block ×3, first 2 shown]
	buffer_store_dword v70, off, s[0:3], 0 offset:224
	buffer_store_dword v70, off, s[0:3], 0 offset:228
	;; [unrolled: 1-line block ×4, first 2 shown]
	s_waitcnt vmcnt(0)
	ds_write_b128 v69, v[1:4]
.LBB63_383:
	s_or_b32 exec_lo, exec_lo, s4
	s_waitcnt lgkmcnt(0)
	s_waitcnt_vscnt null, 0x0
	s_barrier
	buffer_gl0_inv
	s_clause 0x37
	buffer_load_dword v17, off, s[0:3], 0 offset:248
	buffer_load_dword v18, off, s[0:3], 0 offset:252
	;; [unrolled: 1-line block ×56, first 2 shown]
	ds_read_b128 v[5:8], v70 offset:1248
	s_clause 0x2
	buffer_load_dword v66, off, s[0:3], 0 offset:476
	buffer_load_dword v68, off, s[0:3], 0 offset:452
	;; [unrolled: 1-line block ×3, first 2 shown]
	ds_read_b128 v[1:4], v70 offset:1264
	s_clause 0x4
	buffer_load_dword v78, off, s[0:3], 0 offset:492
	buffer_load_dword v79, off, s[0:3], 0 offset:504
	;; [unrolled: 1-line block ×5, first 2 shown]
	ds_read_b128 v[71:74], v70 offset:1280
	s_mov_b32 s4, exec_lo
	s_waitcnt vmcnt(62) lgkmcnt(2)
	v_mul_f64 v[75:76], v[7:8], v[17:18]
	v_mul_f64 v[17:18], v[5:6], v[17:18]
	s_waitcnt vmcnt(60) lgkmcnt(1)
	v_mul_f64 v[82:83], v[3:4], v[13:14]
	v_mul_f64 v[13:14], v[1:2], v[13:14]
	;; [unrolled: 3-line block ×3, first 2 shown]
	v_fma_f64 v[75:76], v[5:6], v[15:16], -v[75:76]
	v_fma_f64 v[15:16], v[7:8], v[15:16], v[17:18]
	s_clause 0x2
	buffer_load_dword v80, off, s[0:3], 0 offset:508
	buffer_load_dword v18, off, s[0:3], 0 offset:484
	;; [unrolled: 1-line block ×3, first 2 shown]
	s_waitcnt vmcnt(57)
	v_fma_f64 v[86:87], v[1:2], v[9:10], -v[82:83]
	ds_read_b128 v[5:8], v70 offset:1296
	v_fma_f64 v[9:10], v[3:4], v[9:10], v[13:14]
	s_waitcnt vmcnt(51)
	v_fma_f64 v[71:72], v[71:72], v[33:34], -v[11:12]
	v_fma_f64 v[33:34], v[73:74], v[33:34], v[84:85]
	v_add_f64 v[75:76], v[75:76], 0
	v_add_f64 v[13:14], v[15:16], 0
	s_clause 0x4
	buffer_load_dword v16, off, s[0:3], 0 offset:524
	buffer_load_dword v83, off, s[0:3], 0 offset:536
	;; [unrolled: 1-line block ×5, first 2 shown]
	s_waitcnt lgkmcnt(0)
	v_mul_f64 v[127:128], v[5:6], v[21:22]
	v_mul_f64 v[21:22], v[7:8], v[21:22]
	ds_read_b128 v[1:4], v70 offset:1312
	s_clause 0x2
	buffer_load_dword v84, off, s[0:3], 0 offset:540
	buffer_load_dword v74, off, s[0:3], 0 offset:516
	;; [unrolled: 1-line block ×3, first 2 shown]
	v_add_f64 v[75:76], v[75:76], v[86:87]
	v_add_f64 v[13:14], v[13:14], v[9:10]
	ds_read_b128 v[9:12], v70 offset:1328
	s_waitcnt vmcnt(58) lgkmcnt(1)
	v_mul_f64 v[85:86], v[1:2], v[25:26]
	v_mul_f64 v[25:26], v[3:4], v[25:26]
	s_waitcnt vmcnt(56)
	v_fma_f64 v[21:22], v[5:6], v[27:28], -v[21:22]
	v_fma_f64 v[27:28], v[7:8], v[27:28], v[127:128]
	s_waitcnt vmcnt(52) lgkmcnt(0)
	v_mul_f64 v[129:130], v[9:10], v[29:30]
	v_add_f64 v[71:72], v[75:76], v[71:72]
	v_add_f64 v[13:14], v[13:14], v[33:34]
	s_clause 0x4
	buffer_load_dword v34, off, s[0:3], 0 offset:556
	buffer_load_dword v75, off, s[0:3], 0 offset:568
	;; [unrolled: 1-line block ×5, first 2 shown]
	v_mul_f64 v[29:30], v[11:12], v[29:30]
	s_waitcnt vmcnt(56)
	v_fma_f64 v[25:26], v[1:2], v[19:20], -v[25:26]
	ds_read_b128 v[5:8], v70 offset:1344
	v_fma_f64 v[19:20], v[3:4], v[19:20], v[85:86]
	v_add_f64 v[21:22], v[71:72], v[21:22]
	v_add_f64 v[13:14], v[13:14], v[27:28]
	s_clause 0x2
	buffer_load_dword v76, off, s[0:3], 0 offset:572
	buffer_load_dword v28, off, s[0:3], 0 offset:548
	;; [unrolled: 1-line block ×3, first 2 shown]
	s_waitcnt vmcnt(58) lgkmcnt(0)
	v_mul_f64 v[71:72], v[5:6], v[35:36]
	v_mul_f64 v[35:36], v[7:8], v[35:36]
	s_waitcnt vmcnt(56)
	v_fma_f64 v[29:30], v[9:10], v[37:38], -v[29:30]
	ds_read_b128 v[1:4], v70 offset:1360
	v_add_f64 v[21:22], v[21:22], v[25:26]
	v_fma_f64 v[25:26], v[11:12], v[37:38], v[129:130]
	v_add_f64 v[13:14], v[13:14], v[19:20]
	s_clause 0x4
	buffer_load_dword v20, off, s[0:3], 0 offset:588
	buffer_load_dword v37, off, s[0:3], 0 offset:600
	;; [unrolled: 1-line block ×5, first 2 shown]
	s_waitcnt vmcnt(57) lgkmcnt(0)
	v_mul_f64 v[86:87], v[1:2], v[39:40]
	v_mul_f64 v[39:40], v[3:4], v[39:40]
	s_waitcnt vmcnt(56)
	v_fma_f64 v[35:36], v[5:6], v[23:24], -v[35:36]
	ds_read_b128 v[9:12], v70 offset:1376
	v_fma_f64 v[23:24], v[7:8], v[23:24], v[71:72]
	v_add_f64 v[21:22], v[21:22], v[29:30]
	v_add_f64 v[13:14], v[13:14], v[25:26]
	s_clause 0x2
	buffer_load_dword v38, off, s[0:3], 0 offset:604
	buffer_load_dword v26, off, s[0:3], 0 offset:580
	;; [unrolled: 1-line block ×3, first 2 shown]
	ds_read_b128 v[5:8], v70 offset:1392
	s_waitcnt vmcnt(58) lgkmcnt(1)
	v_mul_f64 v[29:30], v[9:10], v[43:44]
	v_mul_f64 v[43:44], v[11:12], v[43:44]
	s_waitcnt vmcnt(56)
	v_fma_f64 v[39:40], v[1:2], v[45:46], -v[39:40]
	v_add_f64 v[21:22], v[21:22], v[35:36]
	v_fma_f64 v[35:36], v[3:4], v[45:46], v[86:87]
	v_add_f64 v[13:14], v[13:14], v[23:24]
	s_clause 0x4
	buffer_load_dword v24, off, s[0:3], 0 offset:620
	buffer_load_dword v45, off, s[0:3], 0 offset:632
	;; [unrolled: 1-line block ×5, first 2 shown]
	s_waitcnt vmcnt(57) lgkmcnt(0)
	v_mul_f64 v[130:131], v[5:6], v[47:48]
	v_mul_f64 v[47:48], v[7:8], v[47:48]
	s_waitcnt vmcnt(56)
	v_fma_f64 v[43:44], v[9:10], v[31:32], -v[43:44]
	ds_read_b128 v[1:4], v70 offset:1408
	v_fma_f64 v[29:30], v[11:12], v[31:32], v[29:30]
	s_clause 0x2
	buffer_load_dword v46, off, s[0:3], 0 offset:636
	buffer_load_dword v32, off, s[0:3], 0 offset:612
	;; [unrolled: 1-line block ×3, first 2 shown]
	ds_read_b128 v[9:12], v70 offset:1424
	v_add_f64 v[21:22], v[21:22], v[39:40]
	v_add_f64 v[13:14], v[13:14], v[35:36]
	s_waitcnt vmcnt(58) lgkmcnt(1)
	v_mul_f64 v[39:40], v[3:4], v[51:52]
	s_waitcnt vmcnt(56)
	v_fma_f64 v[47:48], v[5:6], v[53:54], -v[47:48]
	v_mul_f64 v[35:36], v[1:2], v[51:52]
	v_add_f64 v[21:22], v[21:22], v[43:44]
	v_fma_f64 v[43:44], v[7:8], v[53:54], v[130:131]
	v_add_f64 v[13:14], v[13:14], v[29:30]
	s_clause 0x4
	buffer_load_dword v30, off, s[0:3], 0 offset:652
	buffer_load_dword v51, off, s[0:3], 0 offset:664
	;; [unrolled: 1-line block ×5, first 2 shown]
	s_waitcnt vmcnt(57) lgkmcnt(0)
	v_mul_f64 v[130:131], v[9:10], v[55:56]
	v_mul_f64 v[54:55], v[11:12], v[55:56]
	s_waitcnt vmcnt(56)
	v_fma_f64 v[39:40], v[1:2], v[41:42], -v[39:40]
	ds_read_b128 v[5:8], v70 offset:1440
	v_fma_f64 v[35:36], v[3:4], v[41:42], v[35:36]
	s_clause 0x2
	buffer_load_dword v52, off, s[0:3], 0 offset:668
	buffer_load_dword v42, off, s[0:3], 0 offset:644
	;; [unrolled: 1-line block ×3, first 2 shown]
	ds_read_b128 v[1:4], v70 offset:1456
	v_add_f64 v[21:22], v[21:22], v[47:48]
	v_add_f64 v[13:14], v[13:14], v[43:44]
	s_waitcnt vmcnt(58) lgkmcnt(1)
	v_mul_f64 v[47:48], v[7:8], v[59:60]
	s_waitcnt vmcnt(56)
	v_fma_f64 v[55:56], v[9:10], v[61:62], -v[54:55]
	v_mul_f64 v[43:44], v[5:6], v[59:60]
	v_add_f64 v[21:22], v[21:22], v[39:40]
	v_fma_f64 v[39:40], v[11:12], v[61:62], v[130:131]
	v_add_f64 v[13:14], v[13:14], v[35:36]
	s_clause 0x4
	buffer_load_dword v36, off, s[0:3], 0 offset:684
	buffer_load_dword v59, off, s[0:3], 0 offset:696
	;; [unrolled: 1-line block ×5, first 2 shown]
	s_waitcnt vmcnt(57) lgkmcnt(0)
	v_mul_f64 v[130:131], v[1:2], v[63:64]
	v_mul_f64 v[62:63], v[3:4], v[63:64]
	s_waitcnt vmcnt(56)
	v_fma_f64 v[47:48], v[5:6], v[49:50], -v[47:48]
	ds_read_b128 v[9:12], v70 offset:1472
	v_fma_f64 v[43:44], v[7:8], v[49:50], v[43:44]
	v_add_f64 v[21:22], v[21:22], v[55:56]
	v_add_f64 v[13:14], v[13:14], v[39:40]
	s_clause 0x2
	buffer_load_dword v60, off, s[0:3], 0 offset:700
	buffer_load_dword v40, off, s[0:3], 0 offset:676
	;; [unrolled: 1-line block ×3, first 2 shown]
	ds_read_b128 v[5:8], v70 offset:1488
	s_waitcnt vmcnt(58) lgkmcnt(1)
	v_mul_f64 v[55:56], v[11:12], v[65:66]
	s_waitcnt vmcnt(56)
	v_fma_f64 v[63:64], v[1:2], v[67:68], -v[62:63]
	v_mul_f64 v[49:50], v[9:10], v[65:66]
	v_add_f64 v[21:22], v[21:22], v[47:48]
	v_fma_f64 v[47:48], v[3:4], v[67:68], v[130:131]
	v_add_f64 v[13:14], v[13:14], v[43:44]
	s_clause 0x4
	buffer_load_dword v44, off, s[0:3], 0 offset:716
	buffer_load_dword v65, off, s[0:3], 0 offset:728
	buffer_load_dword v67, off, s[0:3], 0 offset:720
	buffer_load_dword v43, off, s[0:3], 0 offset:712
	buffer_load_dword v62, off, s[0:3], 0 offset:692
	s_waitcnt vmcnt(57) lgkmcnt(0)
	v_mul_f64 v[130:131], v[5:6], v[77:78]
	v_mul_f64 v[77:78], v[7:8], v[77:78]
	s_waitcnt vmcnt(56)
	v_fma_f64 v[55:56], v[9:10], v[57:58], -v[55:56]
	ds_read_b128 v[1:4], v70 offset:1504
	v_fma_f64 v[49:50], v[11:12], v[57:58], v[49:50]
	v_add_f64 v[21:22], v[21:22], v[63:64]
	v_add_f64 v[13:14], v[13:14], v[47:48]
	s_clause 0x2
	buffer_load_dword v66, off, s[0:3], 0 offset:732
	buffer_load_dword v48, off, s[0:3], 0 offset:708
	;; [unrolled: 1-line block ×3, first 2 shown]
	ds_read_b128 v[9:12], v70 offset:1520
	s_waitcnt vmcnt(58) lgkmcnt(1)
	v_mul_f64 v[63:64], v[3:4], v[79:80]
	v_mul_f64 v[57:58], v[1:2], v[79:80]
	s_waitcnt vmcnt(56)
	v_fma_f64 v[77:78], v[5:6], v[17:18], -v[77:78]
	v_fma_f64 v[17:18], v[7:8], v[17:18], v[130:131]
	v_add_f64 v[21:22], v[21:22], v[55:56]
	v_add_f64 v[13:14], v[13:14], v[49:50]
	s_clause 0x4
	buffer_load_dword v50, off, s[0:3], 0 offset:748
	buffer_load_dword v55, off, s[0:3], 0 offset:760
	;; [unrolled: 1-line block ×5, first 2 shown]
	ds_read_b128 v[5:8], v70 offset:1536
	s_waitcnt vmcnt(57) lgkmcnt(1)
	v_mul_f64 v[130:131], v[9:10], v[15:16]
	v_mul_f64 v[15:16], v[11:12], v[15:16]
	s_waitcnt vmcnt(56)
	v_fma_f64 v[63:64], v[1:2], v[81:82], -v[63:64]
	v_fma_f64 v[57:58], v[3:4], v[81:82], v[57:58]
	v_add_f64 v[21:22], v[21:22], v[77:78]
	v_add_f64 v[13:14], v[13:14], v[17:18]
	s_clause 0x2
	buffer_load_dword v56, off, s[0:3], 0 offset:764
	buffer_load_dword v18, off, s[0:3], 0 offset:740
	;; [unrolled: 1-line block ×3, first 2 shown]
	s_waitcnt vmcnt(58) lgkmcnt(0)
	v_mul_f64 v[81:82], v[7:8], v[83:84]
	ds_read_b128 v[1:4], v70 offset:1552
	v_mul_f64 v[77:78], v[5:6], v[83:84]
	s_waitcnt vmcnt(56)
	v_fma_f64 v[15:16], v[9:10], v[73:74], -v[15:16]
	v_add_f64 v[21:22], v[21:22], v[63:64]
	v_fma_f64 v[63:64], v[11:12], v[73:74], v[130:131]
	v_add_f64 v[13:14], v[13:14], v[57:58]
	s_clause 0x4
	buffer_load_dword v58, off, s[0:3], 0 offset:780
	buffer_load_dword v73, off, s[0:3], 0 offset:792
	;; [unrolled: 1-line block ×5, first 2 shown]
	ds_read_b128 v[9:12], v70 offset:1568
	s_waitcnt vmcnt(57) lgkmcnt(1)
	v_mul_f64 v[130:131], v[1:2], v[33:34]
	v_mul_f64 v[33:34], v[3:4], v[33:34]
	s_waitcnt vmcnt(56)
	v_fma_f64 v[81:82], v[5:6], v[126:127], -v[81:82]
	v_add_f64 v[15:16], v[21:22], v[15:16]
	v_fma_f64 v[21:22], v[7:8], v[126:127], v[77:78]
	v_add_f64 v[13:14], v[13:14], v[63:64]
	s_clause 0x2
	buffer_load_dword v74, off, s[0:3], 0 offset:796
	buffer_load_dword v64, off, s[0:3], 0 offset:772
	;; [unrolled: 1-line block ×3, first 2 shown]
	ds_read_b128 v[5:8], v70 offset:1584
	s_waitcnt vmcnt(58) lgkmcnt(1)
	v_mul_f64 v[77:78], v[9:10], v[75:76]
	v_mul_f64 v[75:76], v[11:12], v[75:76]
	s_waitcnt vmcnt(56)
	v_fma_f64 v[33:34], v[1:2], v[27:28], -v[33:34]
	v_fma_f64 v[27:28], v[3:4], v[27:28], v[130:131]
	v_add_f64 v[15:16], v[15:16], v[81:82]
	v_add_f64 v[13:14], v[13:14], v[21:22]
	s_clause 0x4
	buffer_load_dword v22, off, s[0:3], 0 offset:812
	buffer_load_dword v81, off, s[0:3], 0 offset:824
	;; [unrolled: 1-line block ×5, first 2 shown]
	ds_read_b128 v[1:4], v70 offset:1600
	s_waitcnt vmcnt(57) lgkmcnt(1)
	v_mul_f64 v[130:131], v[5:6], v[19:20]
	v_mul_f64 v[19:20], v[7:8], v[19:20]
	s_waitcnt vmcnt(56)
	v_fma_f64 v[75:76], v[9:10], v[128:129], -v[75:76]
	v_add_f64 v[15:16], v[15:16], v[33:34]
	v_fma_f64 v[33:34], v[11:12], v[128:129], v[77:78]
	v_add_f64 v[13:14], v[13:14], v[27:28]
	s_clause 0x2
	buffer_load_dword v82, off, s[0:3], 0 offset:828
	buffer_load_dword v28, off, s[0:3], 0 offset:804
	;; [unrolled: 1-line block ×3, first 2 shown]
	ds_read_b128 v[9:12], v70 offset:1616
	s_waitcnt vmcnt(58) lgkmcnt(1)
	v_mul_f64 v[77:78], v[1:2], v[37:38]
	v_mul_f64 v[37:38], v[3:4], v[37:38]
	s_waitcnt vmcnt(56)
	v_fma_f64 v[19:20], v[5:6], v[25:26], -v[19:20]
	v_fma_f64 v[25:26], v[7:8], v[25:26], v[130:131]
	v_add_f64 v[15:16], v[15:16], v[75:76]
	v_add_f64 v[13:14], v[13:14], v[33:34]
	s_clause 0x4
	buffer_load_dword v34, off, s[0:3], 0 offset:844
	buffer_load_dword v75, off, s[0:3], 0 offset:856
	;; [unrolled: 1-line block ×5, first 2 shown]
	ds_read_b128 v[5:8], v70 offset:1632
	s_waitcnt vmcnt(57) lgkmcnt(1)
	v_mul_f64 v[129:130], v[9:10], v[23:24]
	v_mul_f64 v[23:24], v[11:12], v[23:24]
	s_waitcnt vmcnt(56)
	v_fma_f64 v[37:38], v[1:2], v[85:86], -v[37:38]
	v_add_f64 v[15:16], v[15:16], v[19:20]
	v_fma_f64 v[19:20], v[3:4], v[85:86], v[77:78]
	v_add_f64 v[13:14], v[13:14], v[25:26]
	s_clause 0x2
	buffer_load_dword v76, off, s[0:3], 0 offset:860
	buffer_load_dword v26, off, s[0:3], 0 offset:836
	buffer_load_dword v25, off, s[0:3], 0 offset:832
	s_waitcnt vmcnt(58) lgkmcnt(0)
	v_mul_f64 v[77:78], v[5:6], v[45:46]
	v_mul_f64 v[45:46], v[7:8], v[45:46]
	ds_read_b128 v[1:4], v70 offset:1648
	s_waitcnt vmcnt(56)
	v_fma_f64 v[23:24], v[9:10], v[31:32], -v[23:24]
	v_fma_f64 v[31:32], v[11:12], v[31:32], v[129:130]
	v_add_f64 v[15:16], v[15:16], v[37:38]
	v_add_f64 v[13:14], v[13:14], v[19:20]
	s_clause 0x4
	buffer_load_dword v20, off, s[0:3], 0 offset:876
	buffer_load_dword v37, off, s[0:3], 0 offset:888
	buffer_load_dword v85, off, s[0:3], 0 offset:880
	buffer_load_dword v19, off, s[0:3], 0 offset:872
	buffer_load_dword v129, off, s[0:3], 0 offset:852
	ds_read_b128 v[9:12], v70 offset:1664
	s_waitcnt vmcnt(57) lgkmcnt(1)
	v_mul_f64 v[86:87], v[1:2], v[29:30]
	v_mul_f64 v[29:30], v[3:4], v[29:30]
	s_waitcnt vmcnt(56)
	v_fma_f64 v[45:46], v[5:6], v[71:72], -v[45:46]
	v_add_f64 v[15:16], v[15:16], v[23:24]
	v_fma_f64 v[23:24], v[7:8], v[71:72], v[77:78]
	v_add_f64 v[13:14], v[13:14], v[31:32]
	s_clause 0x2
	buffer_load_dword v38, off, s[0:3], 0 offset:892
	buffer_load_dword v32, off, s[0:3], 0 offset:868
	buffer_load_dword v31, off, s[0:3], 0 offset:864
	s_waitcnt vmcnt(58) lgkmcnt(0)
	v_mul_f64 v[71:72], v[9:10], v[51:52]
	v_mul_f64 v[51:52], v[11:12], v[51:52]
	ds_read_b128 v[5:8], v70 offset:1680
	s_waitcnt vmcnt(56)
	v_fma_f64 v[29:30], v[1:2], v[41:42], -v[29:30]
	v_fma_f64 v[41:42], v[3:4], v[41:42], v[86:87]
	v_add_f64 v[15:16], v[15:16], v[45:46]
	v_add_f64 v[13:14], v[13:14], v[23:24]
	s_clause 0x4
	buffer_load_dword v24, off, s[0:3], 0 offset:908
	buffer_load_dword v45, off, s[0:3], 0 offset:920
	buffer_load_dword v77, off, s[0:3], 0 offset:912
	buffer_load_dword v23, off, s[0:3], 0 offset:904
	buffer_load_dword v86, off, s[0:3], 0 offset:884
	ds_read_b128 v[1:4], v70 offset:1696
	s_waitcnt vmcnt(57) lgkmcnt(1)
	v_mul_f64 v[130:131], v[5:6], v[35:36]
	v_mul_f64 v[35:36], v[7:8], v[35:36]
	s_waitcnt vmcnt(56)
	v_fma_f64 v[51:52], v[9:10], v[53:54], -v[51:52]
	v_add_f64 v[15:16], v[15:16], v[29:30]
	v_fma_f64 v[29:30], v[11:12], v[53:54], v[71:72]
	v_add_f64 v[13:14], v[13:14], v[41:42]
	s_clause 0x2
	buffer_load_dword v46, off, s[0:3], 0 offset:924
	buffer_load_dword v42, off, s[0:3], 0 offset:900
	buffer_load_dword v41, off, s[0:3], 0 offset:896
	ds_read_b128 v[9:12], v70 offset:1712
	s_waitcnt vmcnt(58) lgkmcnt(1)
	v_mul_f64 v[53:54], v[1:2], v[59:60]
	v_mul_f64 v[59:60], v[3:4], v[59:60]
	s_waitcnt vmcnt(56)
	v_fma_f64 v[35:36], v[5:6], v[39:40], -v[35:36]
	v_fma_f64 v[39:40], v[7:8], v[39:40], v[130:131]
	v_add_f64 v[15:16], v[15:16], v[51:52]
	v_add_f64 v[13:14], v[13:14], v[29:30]
	s_clause 0x4
	buffer_load_dword v30, off, s[0:3], 0 offset:940
	buffer_load_dword v51, off, s[0:3], 0 offset:952
	buffer_load_dword v71, off, s[0:3], 0 offset:944
	buffer_load_dword v29, off, s[0:3], 0 offset:936
	buffer_load_dword v78, off, s[0:3], 0 offset:916
	ds_read_b128 v[5:8], v70 offset:1728
	s_waitcnt vmcnt(57) lgkmcnt(1)
	v_mul_f64 v[130:131], v[9:10], v[43:44]
	v_mul_f64 v[43:44], v[11:12], v[43:44]
	s_waitcnt vmcnt(56)
	v_fma_f64 v[59:60], v[1:2], v[61:62], -v[59:60]
	v_add_f64 v[15:16], v[15:16], v[35:36]
	v_fma_f64 v[35:36], v[3:4], v[61:62], v[53:54]
	v_add_f64 v[13:14], v[13:14], v[39:40]
	s_clause 0x2
	buffer_load_dword v52, off, s[0:3], 0 offset:956
	buffer_load_dword v40, off, s[0:3], 0 offset:932
	buffer_load_dword v39, off, s[0:3], 0 offset:928
	ds_read_b128 v[1:4], v70 offset:1744
	s_waitcnt vmcnt(58) lgkmcnt(1)
	v_mul_f64 v[61:62], v[7:8], v[65:66]
	v_mul_f64 v[53:54], v[5:6], v[65:66]
	;; [unrolled: 28-line block ×4, first 2 shown]
	s_waitcnt vmcnt(56)
	v_fma_f64 v[57:58], v[5:6], v[63:64], -v[57:58]
	v_add_f64 v[15:16], v[15:16], v[55:56]
	v_fma_f64 v[55:56], v[7:8], v[63:64], v[130:131]
	v_add_f64 v[13:14], v[13:14], v[49:50]
	s_clause 0x2
	buffer_load_dword v50, off, s[0:3], 0 offset:1036
	buffer_load_dword v49, off, s[0:3], 0 offset:1032
	buffer_load_dword v68, off, s[0:3], 0 offset:1012
	ds_read_b128 v[5:8], v70 offset:1824
	s_waitcnt vmcnt(55) lgkmcnt(1)
	v_mul_f64 v[63:64], v[9:10], v[21:22]
	v_mul_f64 v[21:22], v[11:12], v[21:22]
	s_waitcnt vmcnt(54)
	v_fma_f64 v[73:74], v[1:2], v[83:84], -v[73:74]
	v_fma_f64 v[53:54], v[3:4], v[83:84], v[53:54]
	v_add_f64 v[15:16], v[15:16], v[57:58]
	v_add_f64 v[13:14], v[13:14], v[55:56]
	s_clause 0x1
	buffer_load_dword v56, off, s[0:3], 0 offset:1028
	buffer_load_dword v55, off, s[0:3], 0 offset:1024
	ds_read_b128 v[1:4], v70 offset:1840
	s_waitcnt vmcnt(55) lgkmcnt(1)
	v_mul_f64 v[79:80], v[7:8], v[81:82]
	v_mul_f64 v[57:58], v[5:6], v[81:82]
	s_waitcnt vmcnt(53)
	v_fma_f64 v[21:22], v[9:10], v[27:28], -v[21:22]
	v_fma_f64 v[27:28], v[11:12], v[27:28], v[63:64]
	ds_read_b128 v[9:12], v70 offset:1856
	v_add_f64 v[15:16], v[15:16], v[73:74]
	v_add_f64 v[13:14], v[13:14], v[53:54]
	s_waitcnt vmcnt(49) lgkmcnt(1)
	v_mul_f64 v[53:54], v[1:2], v[33:34]
	v_mul_f64 v[33:34], v[3:4], v[33:34]
	s_waitcnt vmcnt(48)
	v_fma_f64 v[63:64], v[5:6], v[126:127], -v[79:80]
	v_add_f64 v[15:16], v[15:16], v[21:22]
	v_fma_f64 v[21:22], v[7:8], v[126:127], v[57:58]
	v_add_f64 v[13:14], v[13:14], v[27:28]
	s_clause 0x3
	buffer_load_dword v27, off, s[0:3], 0 offset:224
	buffer_load_dword v28, off, s[0:3], 0 offset:228
	;; [unrolled: 1-line block ×4, first 2 shown]
	ds_read_b128 v[5:8], v70 offset:1872
	s_waitcnt vmcnt(51) lgkmcnt(1)
	v_mul_f64 v[73:74], v[9:10], v[75:76]
	v_mul_f64 v[75:76], v[11:12], v[75:76]
	s_waitcnt vmcnt(49)
	v_fma_f64 v[33:34], v[1:2], v[25:26], -v[33:34]
	v_fma_f64 v[25:26], v[3:4], v[25:26], v[53:54]
	ds_read_b128 v[1:4], v70 offset:1888
	v_add_f64 v[15:16], v[15:16], v[63:64]
	v_add_f64 v[13:14], v[13:14], v[21:22]
	s_waitcnt vmcnt(45) lgkmcnt(1)
	v_mul_f64 v[21:22], v[5:6], v[19:20]
	v_mul_f64 v[19:20], v[7:8], v[19:20]
	s_waitcnt vmcnt(44)
	v_fma_f64 v[53:54], v[9:10], v[128:129], -v[75:76]
	v_add_f64 v[15:16], v[15:16], v[33:34]
	v_fma_f64 v[33:34], v[11:12], v[128:129], v[73:74]
	v_add_f64 v[13:14], v[13:14], v[25:26]
	ds_read_b128 v[9:12], v70 offset:1904
	s_waitcnt vmcnt(43) lgkmcnt(1)
	v_mul_f64 v[25:26], v[1:2], v[37:38]
	v_mul_f64 v[37:38], v[3:4], v[37:38]
	s_waitcnt vmcnt(41)
	v_fma_f64 v[19:20], v[5:6], v[31:32], -v[19:20]
	v_fma_f64 v[21:22], v[7:8], v[31:32], v[21:22]
	ds_read_b128 v[5:8], v70 offset:1920
	v_add_f64 v[15:16], v[15:16], v[53:54]
	v_add_f64 v[13:14], v[13:14], v[33:34]
	s_waitcnt vmcnt(37) lgkmcnt(1)
	v_mul_f64 v[31:32], v[9:10], v[23:24]
	v_mul_f64 v[23:24], v[11:12], v[23:24]
	s_waitcnt vmcnt(36)
	v_fma_f64 v[33:34], v[1:2], v[85:86], -v[37:38]
	v_add_f64 v[15:16], v[15:16], v[19:20]
	v_fma_f64 v[19:20], v[3:4], v[85:86], v[25:26]
	v_add_f64 v[13:14], v[13:14], v[21:22]
	ds_read_b128 v[1:4], v70 offset:1936
	s_waitcnt vmcnt(35) lgkmcnt(1)
	v_mul_f64 v[25:26], v[7:8], v[45:46]
	v_mul_f64 v[21:22], v[5:6], v[45:46]
	s_waitcnt vmcnt(33)
	v_fma_f64 v[23:24], v[9:10], v[41:42], -v[23:24]
	v_fma_f64 v[31:32], v[11:12], v[41:42], v[31:32]
	ds_read_b128 v[9:12], v70 offset:1952
	v_add_f64 v[15:16], v[15:16], v[33:34]
	v_add_f64 v[13:14], v[13:14], v[19:20]
	s_waitcnt vmcnt(29) lgkmcnt(1)
	v_mul_f64 v[19:20], v[1:2], v[29:30]
	v_mul_f64 v[29:30], v[3:4], v[29:30]
	s_waitcnt vmcnt(28)
	v_fma_f64 v[25:26], v[5:6], v[77:78], -v[25:26]
	v_fma_f64 v[21:22], v[7:8], v[77:78], v[21:22]
	ds_read_b128 v[5:8], v70 offset:1968
	v_add_f64 v[15:16], v[15:16], v[23:24]
	v_add_f64 v[13:14], v[13:14], v[31:32]
	;; [unrolled: 9-line block ×3, first 2 shown]
	s_waitcnt vmcnt(21) lgkmcnt(1)
	v_mul_f64 v[25:26], v[7:8], v[35:36]
	s_waitcnt vmcnt(20)
	v_fma_f64 v[31:32], v[9:10], v[71:72], -v[31:32]
	v_mul_f64 v[21:22], v[5:6], v[35:36]
	v_fma_f64 v[23:24], v[11:12], v[71:72], v[23:24]
	ds_read_b128 v[9:12], v70 offset:2000
	v_add_f64 v[15:16], v[15:16], v[29:30]
	v_add_f64 v[13:14], v[13:14], v[19:20]
	s_waitcnt vmcnt(19) lgkmcnt(1)
	v_mul_f64 v[29:30], v[3:4], v[59:60]
	v_mul_f64 v[19:20], v[1:2], v[59:60]
	s_waitcnt vmcnt(17)
	v_fma_f64 v[25:26], v[5:6], v[47:48], -v[25:26]
	v_fma_f64 v[21:22], v[7:8], v[47:48], v[21:22]
	ds_read_b128 v[5:8], v70 offset:2016
	v_add_f64 v[15:16], v[15:16], v[31:32]
	v_add_f64 v[13:14], v[13:14], v[23:24]
	s_waitcnt vmcnt(13) lgkmcnt(1)
	v_mul_f64 v[31:32], v[11:12], v[43:44]
	s_waitcnt vmcnt(12)
	v_fma_f64 v[29:30], v[1:2], v[65:66], -v[29:30]
	v_mul_f64 v[23:24], v[9:10], v[43:44]
	v_fma_f64 v[19:20], v[3:4], v[65:66], v[19:20]
	ds_read_b128 v[1:4], v70 offset:2032
	v_add_f64 v[15:16], v[15:16], v[25:26]
	v_add_f64 v[13:14], v[13:14], v[21:22]
	s_waitcnt vmcnt(11) lgkmcnt(1)
	v_mul_f64 v[25:26], v[7:8], v[61:62]
	v_mul_f64 v[21:22], v[5:6], v[61:62]
	s_waitcnt vmcnt(9)
	v_fma_f64 v[9:10], v[9:10], v[17:18], -v[31:32]
	v_fma_f64 v[11:12], v[11:12], v[17:18], v[23:24]
	v_add_f64 v[15:16], v[15:16], v[29:30]
	v_add_f64 v[13:14], v[13:14], v[19:20]
	s_waitcnt vmcnt(7) lgkmcnt(0)
	v_mul_f64 v[19:20], v[3:4], v[49:50]
	s_waitcnt vmcnt(6)
	v_fma_f64 v[5:6], v[5:6], v[67:68], -v[25:26]
	v_mul_f64 v[17:18], v[1:2], v[49:50]
	v_fma_f64 v[7:8], v[7:8], v[67:68], v[21:22]
	v_add_f64 v[9:10], v[15:16], v[9:10]
	v_add_f64 v[11:12], v[13:14], v[11:12]
	s_waitcnt vmcnt(4)
	v_fma_f64 v[1:2], v[1:2], v[55:56], -v[19:20]
	v_fma_f64 v[3:4], v[3:4], v[55:56], v[17:18]
	v_add_f64 v[5:6], v[9:10], v[5:6]
	v_add_f64 v[7:8], v[11:12], v[7:8]
	;; [unrolled: 1-line block ×4, first 2 shown]
	s_waitcnt vmcnt(2)
	v_add_f64 v[1:2], v[27:28], -v[1:2]
	s_waitcnt vmcnt(0)
	v_add_f64 v[3:4], v[57:58], -v[3:4]
	buffer_store_dword v2, off, s[0:3], 0 offset:228
	buffer_store_dword v1, off, s[0:3], 0 offset:224
	;; [unrolled: 1-line block ×4, first 2 shown]
	v_cmpx_lt_u32_e32 12, v0
	s_cbranch_execz .LBB63_385
; %bb.384:
	v_mov_b32_e32 v4, s66
	v_mov_b32_e32 v5, 0
	s_clause 0x3
	buffer_load_dword v1, v4, s[0:3], 0 offen
	buffer_load_dword v2, v4, s[0:3], 0 offen offset:4
	buffer_load_dword v3, v4, s[0:3], 0 offen offset:8
	;; [unrolled: 1-line block ×3, first 2 shown]
	buffer_store_dword v5, off, s[0:3], 0 offset:208
	buffer_store_dword v5, off, s[0:3], 0 offset:212
	;; [unrolled: 1-line block ×4, first 2 shown]
	s_waitcnt vmcnt(0)
	ds_write_b128 v69, v[1:4]
.LBB63_385:
	s_or_b32 exec_lo, exec_lo, s4
	s_waitcnt lgkmcnt(0)
	s_waitcnt_vscnt null, 0x0
	s_barrier
	buffer_gl0_inv
	s_clause 0x37
	buffer_load_dword v17, off, s[0:3], 0 offset:232
	buffer_load_dword v18, off, s[0:3], 0 offset:236
	;; [unrolled: 1-line block ×56, first 2 shown]
	v_mov_b32_e32 v70, 0
	s_mov_b32 s4, exec_lo
	ds_read_b128 v[5:8], v70 offset:1232
	s_clause 0x2
	buffer_load_dword v66, off, s[0:3], 0 offset:460
	buffer_load_dword v68, off, s[0:3], 0 offset:436
	;; [unrolled: 1-line block ×3, first 2 shown]
	ds_read_b128 v[1:4], v70 offset:1248
	s_clause 0x4
	buffer_load_dword v78, off, s[0:3], 0 offset:476
	buffer_load_dword v79, off, s[0:3], 0 offset:488
	;; [unrolled: 1-line block ×5, first 2 shown]
	ds_read_b128 v[71:74], v70 offset:1264
	s_waitcnt vmcnt(62) lgkmcnt(2)
	v_mul_f64 v[75:76], v[7:8], v[17:18]
	v_mul_f64 v[17:18], v[5:6], v[17:18]
	s_waitcnt vmcnt(60) lgkmcnt(1)
	v_mul_f64 v[82:83], v[3:4], v[13:14]
	v_mul_f64 v[13:14], v[1:2], v[13:14]
	;; [unrolled: 3-line block ×3, first 2 shown]
	v_fma_f64 v[75:76], v[5:6], v[15:16], -v[75:76]
	v_fma_f64 v[15:16], v[7:8], v[15:16], v[17:18]
	s_clause 0x2
	buffer_load_dword v80, off, s[0:3], 0 offset:492
	buffer_load_dword v18, off, s[0:3], 0 offset:468
	;; [unrolled: 1-line block ×3, first 2 shown]
	s_waitcnt vmcnt(57)
	v_fma_f64 v[86:87], v[1:2], v[9:10], -v[82:83]
	ds_read_b128 v[5:8], v70 offset:1280
	v_fma_f64 v[9:10], v[3:4], v[9:10], v[13:14]
	s_waitcnt vmcnt(51)
	v_fma_f64 v[71:72], v[71:72], v[33:34], -v[11:12]
	v_fma_f64 v[33:34], v[73:74], v[33:34], v[84:85]
	v_add_f64 v[75:76], v[75:76], 0
	v_add_f64 v[13:14], v[15:16], 0
	s_clause 0x4
	buffer_load_dword v16, off, s[0:3], 0 offset:508
	buffer_load_dword v83, off, s[0:3], 0 offset:520
	;; [unrolled: 1-line block ×5, first 2 shown]
	s_waitcnt lgkmcnt(0)
	v_mul_f64 v[127:128], v[5:6], v[21:22]
	v_mul_f64 v[21:22], v[7:8], v[21:22]
	ds_read_b128 v[1:4], v70 offset:1296
	s_clause 0x2
	buffer_load_dword v84, off, s[0:3], 0 offset:524
	buffer_load_dword v74, off, s[0:3], 0 offset:500
	;; [unrolled: 1-line block ×3, first 2 shown]
	v_add_f64 v[75:76], v[75:76], v[86:87]
	v_add_f64 v[13:14], v[13:14], v[9:10]
	ds_read_b128 v[9:12], v70 offset:1312
	s_waitcnt vmcnt(58) lgkmcnt(1)
	v_mul_f64 v[85:86], v[1:2], v[25:26]
	v_mul_f64 v[25:26], v[3:4], v[25:26]
	s_waitcnt vmcnt(56)
	v_fma_f64 v[21:22], v[5:6], v[27:28], -v[21:22]
	v_fma_f64 v[27:28], v[7:8], v[27:28], v[127:128]
	s_waitcnt vmcnt(52) lgkmcnt(0)
	v_mul_f64 v[129:130], v[9:10], v[29:30]
	v_add_f64 v[71:72], v[75:76], v[71:72]
	v_add_f64 v[13:14], v[13:14], v[33:34]
	s_clause 0x4
	buffer_load_dword v34, off, s[0:3], 0 offset:540
	buffer_load_dword v75, off, s[0:3], 0 offset:552
	;; [unrolled: 1-line block ×5, first 2 shown]
	v_mul_f64 v[29:30], v[11:12], v[29:30]
	s_waitcnt vmcnt(56)
	v_fma_f64 v[25:26], v[1:2], v[19:20], -v[25:26]
	ds_read_b128 v[5:8], v70 offset:1328
	v_fma_f64 v[19:20], v[3:4], v[19:20], v[85:86]
	v_add_f64 v[21:22], v[71:72], v[21:22]
	v_add_f64 v[13:14], v[13:14], v[27:28]
	s_clause 0x2
	buffer_load_dword v76, off, s[0:3], 0 offset:556
	buffer_load_dword v28, off, s[0:3], 0 offset:532
	;; [unrolled: 1-line block ×3, first 2 shown]
	s_waitcnt vmcnt(58) lgkmcnt(0)
	v_mul_f64 v[71:72], v[5:6], v[35:36]
	v_mul_f64 v[35:36], v[7:8], v[35:36]
	s_waitcnt vmcnt(56)
	v_fma_f64 v[29:30], v[9:10], v[37:38], -v[29:30]
	ds_read_b128 v[1:4], v70 offset:1344
	v_add_f64 v[21:22], v[21:22], v[25:26]
	v_fma_f64 v[25:26], v[11:12], v[37:38], v[129:130]
	v_add_f64 v[13:14], v[13:14], v[19:20]
	s_clause 0x4
	buffer_load_dword v20, off, s[0:3], 0 offset:572
	buffer_load_dword v37, off, s[0:3], 0 offset:584
	;; [unrolled: 1-line block ×5, first 2 shown]
	s_waitcnt vmcnt(57) lgkmcnt(0)
	v_mul_f64 v[86:87], v[1:2], v[39:40]
	v_mul_f64 v[39:40], v[3:4], v[39:40]
	s_waitcnt vmcnt(56)
	v_fma_f64 v[35:36], v[5:6], v[23:24], -v[35:36]
	ds_read_b128 v[9:12], v70 offset:1360
	v_fma_f64 v[23:24], v[7:8], v[23:24], v[71:72]
	v_add_f64 v[21:22], v[21:22], v[29:30]
	v_add_f64 v[13:14], v[13:14], v[25:26]
	s_clause 0x2
	buffer_load_dword v38, off, s[0:3], 0 offset:588
	buffer_load_dword v26, off, s[0:3], 0 offset:564
	;; [unrolled: 1-line block ×3, first 2 shown]
	ds_read_b128 v[5:8], v70 offset:1376
	s_waitcnt vmcnt(58) lgkmcnt(1)
	v_mul_f64 v[29:30], v[9:10], v[43:44]
	v_mul_f64 v[43:44], v[11:12], v[43:44]
	s_waitcnt vmcnt(56)
	v_fma_f64 v[39:40], v[1:2], v[45:46], -v[39:40]
	v_add_f64 v[21:22], v[21:22], v[35:36]
	v_fma_f64 v[35:36], v[3:4], v[45:46], v[86:87]
	v_add_f64 v[13:14], v[13:14], v[23:24]
	s_clause 0x4
	buffer_load_dword v24, off, s[0:3], 0 offset:604
	buffer_load_dword v45, off, s[0:3], 0 offset:616
	;; [unrolled: 1-line block ×5, first 2 shown]
	s_waitcnt vmcnt(57) lgkmcnt(0)
	v_mul_f64 v[130:131], v[5:6], v[47:48]
	v_mul_f64 v[47:48], v[7:8], v[47:48]
	s_waitcnt vmcnt(56)
	v_fma_f64 v[43:44], v[9:10], v[31:32], -v[43:44]
	ds_read_b128 v[1:4], v70 offset:1392
	v_fma_f64 v[29:30], v[11:12], v[31:32], v[29:30]
	s_clause 0x2
	buffer_load_dword v46, off, s[0:3], 0 offset:620
	buffer_load_dword v32, off, s[0:3], 0 offset:596
	;; [unrolled: 1-line block ×3, first 2 shown]
	ds_read_b128 v[9:12], v70 offset:1408
	v_add_f64 v[21:22], v[21:22], v[39:40]
	v_add_f64 v[13:14], v[13:14], v[35:36]
	s_waitcnt vmcnt(58) lgkmcnt(1)
	v_mul_f64 v[39:40], v[3:4], v[51:52]
	s_waitcnt vmcnt(56)
	v_fma_f64 v[47:48], v[5:6], v[53:54], -v[47:48]
	v_mul_f64 v[35:36], v[1:2], v[51:52]
	v_add_f64 v[21:22], v[21:22], v[43:44]
	v_fma_f64 v[43:44], v[7:8], v[53:54], v[130:131]
	v_add_f64 v[13:14], v[13:14], v[29:30]
	s_clause 0x4
	buffer_load_dword v30, off, s[0:3], 0 offset:636
	buffer_load_dword v51, off, s[0:3], 0 offset:648
	;; [unrolled: 1-line block ×5, first 2 shown]
	s_waitcnt vmcnt(57) lgkmcnt(0)
	v_mul_f64 v[130:131], v[9:10], v[55:56]
	v_mul_f64 v[54:55], v[11:12], v[55:56]
	s_waitcnt vmcnt(56)
	v_fma_f64 v[39:40], v[1:2], v[41:42], -v[39:40]
	ds_read_b128 v[5:8], v70 offset:1424
	v_fma_f64 v[35:36], v[3:4], v[41:42], v[35:36]
	s_clause 0x2
	buffer_load_dword v52, off, s[0:3], 0 offset:652
	buffer_load_dword v42, off, s[0:3], 0 offset:628
	;; [unrolled: 1-line block ×3, first 2 shown]
	ds_read_b128 v[1:4], v70 offset:1440
	v_add_f64 v[21:22], v[21:22], v[47:48]
	v_add_f64 v[13:14], v[13:14], v[43:44]
	s_waitcnt vmcnt(58) lgkmcnt(1)
	v_mul_f64 v[47:48], v[7:8], v[59:60]
	s_waitcnt vmcnt(56)
	v_fma_f64 v[55:56], v[9:10], v[61:62], -v[54:55]
	v_mul_f64 v[43:44], v[5:6], v[59:60]
	v_add_f64 v[21:22], v[21:22], v[39:40]
	v_fma_f64 v[39:40], v[11:12], v[61:62], v[130:131]
	v_add_f64 v[13:14], v[13:14], v[35:36]
	s_clause 0x4
	buffer_load_dword v36, off, s[0:3], 0 offset:668
	buffer_load_dword v59, off, s[0:3], 0 offset:680
	;; [unrolled: 1-line block ×5, first 2 shown]
	s_waitcnt vmcnt(57) lgkmcnt(0)
	v_mul_f64 v[130:131], v[1:2], v[63:64]
	v_mul_f64 v[62:63], v[3:4], v[63:64]
	s_waitcnt vmcnt(56)
	v_fma_f64 v[47:48], v[5:6], v[49:50], -v[47:48]
	ds_read_b128 v[9:12], v70 offset:1456
	v_fma_f64 v[43:44], v[7:8], v[49:50], v[43:44]
	v_add_f64 v[21:22], v[21:22], v[55:56]
	v_add_f64 v[13:14], v[13:14], v[39:40]
	s_clause 0x2
	buffer_load_dword v60, off, s[0:3], 0 offset:684
	buffer_load_dword v40, off, s[0:3], 0 offset:660
	buffer_load_dword v39, off, s[0:3], 0 offset:656
	ds_read_b128 v[5:8], v70 offset:1472
	s_waitcnt vmcnt(58) lgkmcnt(1)
	v_mul_f64 v[55:56], v[11:12], v[65:66]
	s_waitcnt vmcnt(56)
	v_fma_f64 v[63:64], v[1:2], v[67:68], -v[62:63]
	v_mul_f64 v[49:50], v[9:10], v[65:66]
	v_add_f64 v[21:22], v[21:22], v[47:48]
	v_fma_f64 v[47:48], v[3:4], v[67:68], v[130:131]
	v_add_f64 v[13:14], v[13:14], v[43:44]
	s_clause 0x4
	buffer_load_dword v44, off, s[0:3], 0 offset:700
	buffer_load_dword v65, off, s[0:3], 0 offset:712
	;; [unrolled: 1-line block ×5, first 2 shown]
	s_waitcnt vmcnt(57) lgkmcnt(0)
	v_mul_f64 v[130:131], v[5:6], v[77:78]
	v_mul_f64 v[77:78], v[7:8], v[77:78]
	s_waitcnt vmcnt(56)
	v_fma_f64 v[55:56], v[9:10], v[57:58], -v[55:56]
	ds_read_b128 v[1:4], v70 offset:1488
	v_fma_f64 v[49:50], v[11:12], v[57:58], v[49:50]
	v_add_f64 v[21:22], v[21:22], v[63:64]
	v_add_f64 v[13:14], v[13:14], v[47:48]
	s_clause 0x2
	buffer_load_dword v66, off, s[0:3], 0 offset:716
	buffer_load_dword v48, off, s[0:3], 0 offset:692
	;; [unrolled: 1-line block ×3, first 2 shown]
	ds_read_b128 v[9:12], v70 offset:1504
	s_waitcnt vmcnt(58) lgkmcnt(1)
	v_mul_f64 v[63:64], v[3:4], v[79:80]
	v_mul_f64 v[57:58], v[1:2], v[79:80]
	s_waitcnt vmcnt(56)
	v_fma_f64 v[77:78], v[5:6], v[17:18], -v[77:78]
	v_fma_f64 v[17:18], v[7:8], v[17:18], v[130:131]
	v_add_f64 v[21:22], v[21:22], v[55:56]
	v_add_f64 v[13:14], v[13:14], v[49:50]
	s_clause 0x4
	buffer_load_dword v50, off, s[0:3], 0 offset:732
	buffer_load_dword v55, off, s[0:3], 0 offset:744
	;; [unrolled: 1-line block ×5, first 2 shown]
	ds_read_b128 v[5:8], v70 offset:1520
	s_waitcnt vmcnt(57) lgkmcnt(1)
	v_mul_f64 v[130:131], v[9:10], v[15:16]
	v_mul_f64 v[15:16], v[11:12], v[15:16]
	s_waitcnt vmcnt(56)
	v_fma_f64 v[63:64], v[1:2], v[81:82], -v[63:64]
	v_fma_f64 v[57:58], v[3:4], v[81:82], v[57:58]
	v_add_f64 v[21:22], v[21:22], v[77:78]
	v_add_f64 v[13:14], v[13:14], v[17:18]
	s_clause 0x2
	buffer_load_dword v56, off, s[0:3], 0 offset:748
	buffer_load_dword v18, off, s[0:3], 0 offset:724
	;; [unrolled: 1-line block ×3, first 2 shown]
	s_waitcnt vmcnt(58) lgkmcnt(0)
	v_mul_f64 v[81:82], v[7:8], v[83:84]
	ds_read_b128 v[1:4], v70 offset:1536
	v_mul_f64 v[77:78], v[5:6], v[83:84]
	s_waitcnt vmcnt(56)
	v_fma_f64 v[15:16], v[9:10], v[73:74], -v[15:16]
	v_add_f64 v[21:22], v[21:22], v[63:64]
	v_fma_f64 v[63:64], v[11:12], v[73:74], v[130:131]
	v_add_f64 v[13:14], v[13:14], v[57:58]
	s_clause 0x4
	buffer_load_dword v58, off, s[0:3], 0 offset:764
	buffer_load_dword v73, off, s[0:3], 0 offset:776
	;; [unrolled: 1-line block ×5, first 2 shown]
	ds_read_b128 v[9:12], v70 offset:1552
	s_waitcnt vmcnt(57) lgkmcnt(1)
	v_mul_f64 v[130:131], v[1:2], v[33:34]
	v_mul_f64 v[33:34], v[3:4], v[33:34]
	s_waitcnt vmcnt(56)
	v_fma_f64 v[81:82], v[5:6], v[126:127], -v[81:82]
	v_add_f64 v[15:16], v[21:22], v[15:16]
	v_fma_f64 v[21:22], v[7:8], v[126:127], v[77:78]
	v_add_f64 v[13:14], v[13:14], v[63:64]
	s_clause 0x2
	buffer_load_dword v74, off, s[0:3], 0 offset:780
	buffer_load_dword v64, off, s[0:3], 0 offset:756
	;; [unrolled: 1-line block ×3, first 2 shown]
	ds_read_b128 v[5:8], v70 offset:1568
	s_waitcnt vmcnt(58) lgkmcnt(1)
	v_mul_f64 v[77:78], v[9:10], v[75:76]
	v_mul_f64 v[75:76], v[11:12], v[75:76]
	s_waitcnt vmcnt(56)
	v_fma_f64 v[33:34], v[1:2], v[27:28], -v[33:34]
	v_fma_f64 v[27:28], v[3:4], v[27:28], v[130:131]
	v_add_f64 v[15:16], v[15:16], v[81:82]
	v_add_f64 v[13:14], v[13:14], v[21:22]
	s_clause 0x4
	buffer_load_dword v22, off, s[0:3], 0 offset:796
	buffer_load_dword v81, off, s[0:3], 0 offset:808
	;; [unrolled: 1-line block ×5, first 2 shown]
	ds_read_b128 v[1:4], v70 offset:1584
	s_waitcnt vmcnt(57) lgkmcnt(1)
	v_mul_f64 v[130:131], v[5:6], v[19:20]
	v_mul_f64 v[19:20], v[7:8], v[19:20]
	s_waitcnt vmcnt(56)
	v_fma_f64 v[75:76], v[9:10], v[128:129], -v[75:76]
	v_add_f64 v[15:16], v[15:16], v[33:34]
	v_fma_f64 v[33:34], v[11:12], v[128:129], v[77:78]
	v_add_f64 v[13:14], v[13:14], v[27:28]
	s_clause 0x2
	buffer_load_dword v82, off, s[0:3], 0 offset:812
	buffer_load_dword v28, off, s[0:3], 0 offset:788
	buffer_load_dword v27, off, s[0:3], 0 offset:784
	ds_read_b128 v[9:12], v70 offset:1600
	s_waitcnt vmcnt(58) lgkmcnt(1)
	v_mul_f64 v[77:78], v[1:2], v[37:38]
	v_mul_f64 v[37:38], v[3:4], v[37:38]
	s_waitcnt vmcnt(56)
	v_fma_f64 v[19:20], v[5:6], v[25:26], -v[19:20]
	v_fma_f64 v[25:26], v[7:8], v[25:26], v[130:131]
	v_add_f64 v[15:16], v[15:16], v[75:76]
	v_add_f64 v[13:14], v[13:14], v[33:34]
	s_clause 0x4
	buffer_load_dword v34, off, s[0:3], 0 offset:828
	buffer_load_dword v75, off, s[0:3], 0 offset:840
	;; [unrolled: 1-line block ×5, first 2 shown]
	ds_read_b128 v[5:8], v70 offset:1616
	s_waitcnt vmcnt(57) lgkmcnt(1)
	v_mul_f64 v[129:130], v[9:10], v[23:24]
	v_mul_f64 v[23:24], v[11:12], v[23:24]
	s_waitcnt vmcnt(56)
	v_fma_f64 v[37:38], v[1:2], v[85:86], -v[37:38]
	v_add_f64 v[15:16], v[15:16], v[19:20]
	v_fma_f64 v[19:20], v[3:4], v[85:86], v[77:78]
	v_add_f64 v[13:14], v[13:14], v[25:26]
	s_clause 0x2
	buffer_load_dword v76, off, s[0:3], 0 offset:844
	buffer_load_dword v26, off, s[0:3], 0 offset:820
	;; [unrolled: 1-line block ×3, first 2 shown]
	s_waitcnt vmcnt(58) lgkmcnt(0)
	v_mul_f64 v[77:78], v[5:6], v[45:46]
	v_mul_f64 v[45:46], v[7:8], v[45:46]
	ds_read_b128 v[1:4], v70 offset:1632
	s_waitcnt vmcnt(56)
	v_fma_f64 v[23:24], v[9:10], v[31:32], -v[23:24]
	v_fma_f64 v[31:32], v[11:12], v[31:32], v[129:130]
	v_add_f64 v[15:16], v[15:16], v[37:38]
	v_add_f64 v[13:14], v[13:14], v[19:20]
	s_clause 0x4
	buffer_load_dword v20, off, s[0:3], 0 offset:860
	buffer_load_dword v37, off, s[0:3], 0 offset:872
	;; [unrolled: 1-line block ×5, first 2 shown]
	ds_read_b128 v[9:12], v70 offset:1648
	s_waitcnt vmcnt(57) lgkmcnt(1)
	v_mul_f64 v[86:87], v[1:2], v[29:30]
	v_mul_f64 v[29:30], v[3:4], v[29:30]
	s_waitcnt vmcnt(56)
	v_fma_f64 v[45:46], v[5:6], v[71:72], -v[45:46]
	v_add_f64 v[15:16], v[15:16], v[23:24]
	v_fma_f64 v[23:24], v[7:8], v[71:72], v[77:78]
	v_add_f64 v[13:14], v[13:14], v[31:32]
	s_clause 0x2
	buffer_load_dword v38, off, s[0:3], 0 offset:876
	buffer_load_dword v32, off, s[0:3], 0 offset:852
	;; [unrolled: 1-line block ×3, first 2 shown]
	s_waitcnt vmcnt(58) lgkmcnt(0)
	v_mul_f64 v[71:72], v[9:10], v[51:52]
	v_mul_f64 v[51:52], v[11:12], v[51:52]
	ds_read_b128 v[5:8], v70 offset:1664
	s_waitcnt vmcnt(56)
	v_fma_f64 v[29:30], v[1:2], v[41:42], -v[29:30]
	v_fma_f64 v[41:42], v[3:4], v[41:42], v[86:87]
	v_add_f64 v[15:16], v[15:16], v[45:46]
	v_add_f64 v[13:14], v[13:14], v[23:24]
	s_clause 0x4
	buffer_load_dword v24, off, s[0:3], 0 offset:892
	buffer_load_dword v45, off, s[0:3], 0 offset:904
	buffer_load_dword v77, off, s[0:3], 0 offset:896
	buffer_load_dword v23, off, s[0:3], 0 offset:888
	buffer_load_dword v86, off, s[0:3], 0 offset:868
	ds_read_b128 v[1:4], v70 offset:1680
	s_waitcnt vmcnt(57) lgkmcnt(1)
	v_mul_f64 v[130:131], v[5:6], v[35:36]
	v_mul_f64 v[35:36], v[7:8], v[35:36]
	s_waitcnt vmcnt(56)
	v_fma_f64 v[51:52], v[9:10], v[53:54], -v[51:52]
	v_add_f64 v[15:16], v[15:16], v[29:30]
	v_fma_f64 v[29:30], v[11:12], v[53:54], v[71:72]
	v_add_f64 v[13:14], v[13:14], v[41:42]
	s_clause 0x2
	buffer_load_dword v46, off, s[0:3], 0 offset:908
	buffer_load_dword v42, off, s[0:3], 0 offset:884
	buffer_load_dword v41, off, s[0:3], 0 offset:880
	ds_read_b128 v[9:12], v70 offset:1696
	s_waitcnt vmcnt(58) lgkmcnt(1)
	v_mul_f64 v[53:54], v[1:2], v[59:60]
	v_mul_f64 v[59:60], v[3:4], v[59:60]
	s_waitcnt vmcnt(56)
	v_fma_f64 v[35:36], v[5:6], v[39:40], -v[35:36]
	v_fma_f64 v[39:40], v[7:8], v[39:40], v[130:131]
	v_add_f64 v[15:16], v[15:16], v[51:52]
	v_add_f64 v[13:14], v[13:14], v[29:30]
	s_clause 0x4
	buffer_load_dword v30, off, s[0:3], 0 offset:924
	buffer_load_dword v51, off, s[0:3], 0 offset:936
	buffer_load_dword v71, off, s[0:3], 0 offset:928
	buffer_load_dword v29, off, s[0:3], 0 offset:920
	buffer_load_dword v78, off, s[0:3], 0 offset:900
	ds_read_b128 v[5:8], v70 offset:1712
	s_waitcnt vmcnt(57) lgkmcnt(1)
	v_mul_f64 v[130:131], v[9:10], v[43:44]
	v_mul_f64 v[43:44], v[11:12], v[43:44]
	s_waitcnt vmcnt(56)
	v_fma_f64 v[59:60], v[1:2], v[61:62], -v[59:60]
	v_add_f64 v[15:16], v[15:16], v[35:36]
	v_fma_f64 v[35:36], v[3:4], v[61:62], v[53:54]
	v_add_f64 v[13:14], v[13:14], v[39:40]
	s_clause 0x2
	buffer_load_dword v52, off, s[0:3], 0 offset:940
	buffer_load_dword v40, off, s[0:3], 0 offset:916
	buffer_load_dword v39, off, s[0:3], 0 offset:912
	ds_read_b128 v[1:4], v70 offset:1728
	s_waitcnt vmcnt(58) lgkmcnt(1)
	v_mul_f64 v[61:62], v[7:8], v[65:66]
	v_mul_f64 v[53:54], v[5:6], v[65:66]
	;; [unrolled: 28-line block ×4, first 2 shown]
	s_waitcnt vmcnt(56)
	v_fma_f64 v[57:58], v[5:6], v[63:64], -v[57:58]
	v_add_f64 v[15:16], v[15:16], v[55:56]
	v_fma_f64 v[55:56], v[7:8], v[63:64], v[130:131]
	v_add_f64 v[13:14], v[13:14], v[49:50]
	s_clause 0x4
	buffer_load_dword v50, off, s[0:3], 0 offset:1020
	buffer_load_dword v63, off, s[0:3], 0 offset:1032
	;; [unrolled: 1-line block ×5, first 2 shown]
	ds_read_b128 v[5:8], v70 offset:1808
	s_waitcnt vmcnt(57) lgkmcnt(1)
	v_mul_f64 v[130:131], v[9:10], v[21:22]
	v_mul_f64 v[21:22], v[11:12], v[21:22]
	s_waitcnt vmcnt(56)
	v_fma_f64 v[73:74], v[1:2], v[83:84], -v[73:74]
	v_fma_f64 v[53:54], v[3:4], v[83:84], v[53:54]
	v_add_f64 v[15:16], v[15:16], v[57:58]
	v_add_f64 v[13:14], v[13:14], v[55:56]
	s_clause 0x2
	buffer_load_dword v64, off, s[0:3], 0 offset:1036
	buffer_load_dword v56, off, s[0:3], 0 offset:1012
	;; [unrolled: 1-line block ×3, first 2 shown]
	ds_read_b128 v[1:4], v70 offset:1824
	buffer_load_dword v80, off, s[0:3], 0 offset:1028
	s_waitcnt vmcnt(59) lgkmcnt(1)
	v_mul_f64 v[57:58], v[5:6], v[81:82]
	v_mul_f64 v[81:82], v[7:8], v[81:82]
	s_waitcnt vmcnt(57)
	v_fma_f64 v[21:22], v[9:10], v[27:28], -v[21:22]
	v_fma_f64 v[27:28], v[11:12], v[27:28], v[130:131]
	ds_read_b128 v[9:12], v70 offset:1840
	v_add_f64 v[15:16], v[15:16], v[73:74]
	v_add_f64 v[13:14], v[13:14], v[53:54]
	s_waitcnt vmcnt(53) lgkmcnt(1)
	v_mul_f64 v[53:54], v[1:2], v[33:34]
	v_mul_f64 v[33:34], v[3:4], v[33:34]
	s_waitcnt vmcnt(52)
	v_fma_f64 v[73:74], v[5:6], v[126:127], -v[81:82]
	v_add_f64 v[15:16], v[15:16], v[21:22]
	v_fma_f64 v[21:22], v[7:8], v[126:127], v[57:58]
	v_add_f64 v[13:14], v[13:14], v[27:28]
	ds_read_b128 v[5:8], v70 offset:1856
	s_waitcnt vmcnt(51) lgkmcnt(1)
	v_mul_f64 v[57:58], v[11:12], v[75:76]
	v_mul_f64 v[27:28], v[9:10], v[75:76]
	s_waitcnt vmcnt(49)
	v_fma_f64 v[33:34], v[1:2], v[25:26], -v[33:34]
	v_fma_f64 v[25:26], v[3:4], v[25:26], v[53:54]
	v_add_f64 v[15:16], v[15:16], v[73:74]
	v_add_f64 v[13:14], v[13:14], v[21:22]
	s_clause 0x3
	buffer_load_dword v21, off, s[0:3], 0 offset:208
	buffer_load_dword v22, off, s[0:3], 0 offset:212
	;; [unrolled: 1-line block ×4, first 2 shown]
	ds_read_b128 v[1:4], v70 offset:1872
	s_waitcnt vmcnt(49) lgkmcnt(1)
	v_mul_f64 v[73:74], v[5:6], v[19:20]
	v_mul_f64 v[19:20], v[7:8], v[19:20]
	s_waitcnt vmcnt(48)
	v_fma_f64 v[57:58], v[9:10], v[128:129], -v[57:58]
	v_fma_f64 v[27:28], v[11:12], v[128:129], v[27:28]
	ds_read_b128 v[9:12], v70 offset:1888
	v_add_f64 v[15:16], v[15:16], v[33:34]
	v_add_f64 v[13:14], v[13:14], v[25:26]
	s_waitcnt vmcnt(47) lgkmcnt(1)
	v_mul_f64 v[33:34], v[3:4], v[37:38]
	v_mul_f64 v[25:26], v[1:2], v[37:38]
	s_waitcnt vmcnt(45)
	v_fma_f64 v[19:20], v[5:6], v[31:32], -v[19:20]
	v_fma_f64 v[31:32], v[7:8], v[31:32], v[73:74]
	ds_read_b128 v[5:8], v70 offset:1904
	v_add_f64 v[15:16], v[15:16], v[57:58]
	v_add_f64 v[13:14], v[13:14], v[27:28]
	s_waitcnt vmcnt(41) lgkmcnt(1)
	v_mul_f64 v[27:28], v[9:10], v[23:24]
	v_mul_f64 v[23:24], v[11:12], v[23:24]
	s_waitcnt vmcnt(40)
	v_fma_f64 v[33:34], v[1:2], v[85:86], -v[33:34]
	v_add_f64 v[15:16], v[15:16], v[19:20]
	v_fma_f64 v[19:20], v[3:4], v[85:86], v[25:26]
	v_add_f64 v[13:14], v[13:14], v[31:32]
	ds_read_b128 v[1:4], v70 offset:1920
	s_waitcnt vmcnt(39) lgkmcnt(1)
	v_mul_f64 v[31:32], v[7:8], v[45:46]
	v_mul_f64 v[25:26], v[5:6], v[45:46]
	s_waitcnt vmcnt(37)
	v_fma_f64 v[23:24], v[9:10], v[41:42], -v[23:24]
	v_fma_f64 v[27:28], v[11:12], v[41:42], v[27:28]
	ds_read_b128 v[9:12], v70 offset:1936
	v_add_f64 v[15:16], v[15:16], v[33:34]
	v_add_f64 v[13:14], v[13:14], v[19:20]
	s_waitcnt vmcnt(33) lgkmcnt(1)
	v_mul_f64 v[19:20], v[1:2], v[29:30]
	v_mul_f64 v[29:30], v[3:4], v[29:30]
	s_waitcnt vmcnt(32)
	v_fma_f64 v[31:32], v[5:6], v[77:78], -v[31:32]
	v_add_f64 v[15:16], v[15:16], v[23:24]
	v_fma_f64 v[23:24], v[7:8], v[77:78], v[25:26]
	v_add_f64 v[13:14], v[13:14], v[27:28]
	ds_read_b128 v[5:8], v70 offset:1952
	s_waitcnt vmcnt(31) lgkmcnt(1)
	v_mul_f64 v[27:28], v[11:12], v[51:52]
	v_mul_f64 v[25:26], v[9:10], v[51:52]
	s_waitcnt vmcnt(29)
	v_fma_f64 v[29:30], v[1:2], v[39:40], -v[29:30]
	v_fma_f64 v[19:20], v[3:4], v[39:40], v[19:20]
	ds_read_b128 v[1:4], v70 offset:1968
	v_add_f64 v[15:16], v[15:16], v[31:32]
	v_add_f64 v[13:14], v[13:14], v[23:24]
	s_waitcnt vmcnt(25) lgkmcnt(1)
	v_mul_f64 v[31:32], v[7:8], v[35:36]
	s_waitcnt vmcnt(24)
	v_fma_f64 v[27:28], v[9:10], v[71:72], -v[27:28]
	v_mul_f64 v[23:24], v[5:6], v[35:36]
	v_fma_f64 v[25:26], v[11:12], v[71:72], v[25:26]
	ds_read_b128 v[9:12], v70 offset:1984
	v_add_f64 v[15:16], v[15:16], v[29:30]
	v_add_f64 v[13:14], v[13:14], v[19:20]
	s_waitcnt vmcnt(23) lgkmcnt(1)
	v_mul_f64 v[29:30], v[3:4], v[59:60]
	v_mul_f64 v[19:20], v[1:2], v[59:60]
	s_waitcnt vmcnt(21)
	v_fma_f64 v[31:32], v[5:6], v[47:48], -v[31:32]
	v_fma_f64 v[23:24], v[7:8], v[47:48], v[23:24]
	ds_read_b128 v[5:8], v70 offset:2000
	v_add_f64 v[15:16], v[15:16], v[27:28]
	v_add_f64 v[13:14], v[13:14], v[25:26]
	s_waitcnt vmcnt(17) lgkmcnt(1)
	v_mul_f64 v[27:28], v[11:12], v[43:44]
	s_waitcnt vmcnt(16)
	v_fma_f64 v[29:30], v[1:2], v[65:66], -v[29:30]
	v_mul_f64 v[25:26], v[9:10], v[43:44]
	v_fma_f64 v[19:20], v[3:4], v[65:66], v[19:20]
	ds_read_b128 v[1:4], v70 offset:2016
	v_add_f64 v[15:16], v[15:16], v[31:32]
	v_add_f64 v[13:14], v[13:14], v[23:24]
	s_waitcnt vmcnt(15) lgkmcnt(1)
	v_mul_f64 v[31:32], v[7:8], v[61:62]
	v_mul_f64 v[23:24], v[5:6], v[61:62]
	s_waitcnt vmcnt(13)
	v_fma_f64 v[27:28], v[9:10], v[17:18], -v[27:28]
	v_fma_f64 v[17:18], v[11:12], v[17:18], v[25:26]
	ds_read_b128 v[9:12], v70 offset:2032
	v_add_f64 v[15:16], v[15:16], v[29:30]
	v_add_f64 v[13:14], v[13:14], v[19:20]
	s_waitcnt vmcnt(9) lgkmcnt(1)
	v_mul_f64 v[25:26], v[3:4], v[49:50]
	s_waitcnt vmcnt(8)
	v_fma_f64 v[5:6], v[5:6], v[67:68], -v[31:32]
	v_mul_f64 v[19:20], v[1:2], v[49:50]
	v_fma_f64 v[7:8], v[7:8], v[67:68], v[23:24]
	v_add_f64 v[15:16], v[15:16], v[27:28]
	v_add_f64 v[13:14], v[13:14], v[17:18]
	s_waitcnt vmcnt(7) lgkmcnt(0)
	v_mul_f64 v[23:24], v[11:12], v[63:64]
	v_mul_f64 v[17:18], v[9:10], v[63:64]
	s_waitcnt vmcnt(5)
	v_fma_f64 v[1:2], v[1:2], v[55:56], -v[25:26]
	v_fma_f64 v[3:4], v[3:4], v[55:56], v[19:20]
	v_add_f64 v[5:6], v[15:16], v[5:6]
	v_add_f64 v[7:8], v[13:14], v[7:8]
	s_waitcnt vmcnt(4)
	v_fma_f64 v[9:10], v[9:10], v[79:80], -v[23:24]
	v_add_f64 v[1:2], v[5:6], v[1:2]
	v_fma_f64 v[5:6], v[11:12], v[79:80], v[17:18]
	v_add_f64 v[3:4], v[7:8], v[3:4]
	v_add_f64 v[1:2], v[1:2], v[9:10]
	;; [unrolled: 1-line block ×3, first 2 shown]
	s_waitcnt vmcnt(2)
	v_add_f64 v[1:2], v[21:22], -v[1:2]
	s_waitcnt vmcnt(0)
	v_add_f64 v[3:4], v[53:54], -v[3:4]
	buffer_store_dword v2, off, s[0:3], 0 offset:212
	buffer_store_dword v1, off, s[0:3], 0 offset:208
	;; [unrolled: 1-line block ×4, first 2 shown]
	v_cmpx_lt_u32_e32 11, v0
	s_cbranch_execz .LBB63_387
; %bb.386:
	v_mov_b32_e32 v4, s67
	s_clause 0x3
	buffer_load_dword v1, v4, s[0:3], 0 offen
	buffer_load_dword v2, v4, s[0:3], 0 offen offset:4
	buffer_load_dword v3, v4, s[0:3], 0 offen offset:8
	;; [unrolled: 1-line block ×3, first 2 shown]
	buffer_store_dword v70, off, s[0:3], 0 offset:192
	buffer_store_dword v70, off, s[0:3], 0 offset:196
	;; [unrolled: 1-line block ×4, first 2 shown]
	s_waitcnt vmcnt(0)
	ds_write_b128 v69, v[1:4]
.LBB63_387:
	s_or_b32 exec_lo, exec_lo, s4
	s_waitcnt lgkmcnt(0)
	s_waitcnt_vscnt null, 0x0
	s_barrier
	buffer_gl0_inv
	s_clause 0x37
	buffer_load_dword v17, off, s[0:3], 0 offset:216
	buffer_load_dword v18, off, s[0:3], 0 offset:220
	;; [unrolled: 1-line block ×56, first 2 shown]
	ds_read_b128 v[5:8], v70 offset:1216
	s_clause 0x2
	buffer_load_dword v66, off, s[0:3], 0 offset:444
	buffer_load_dword v68, off, s[0:3], 0 offset:420
	;; [unrolled: 1-line block ×3, first 2 shown]
	ds_read_b128 v[1:4], v70 offset:1232
	s_clause 0x4
	buffer_load_dword v78, off, s[0:3], 0 offset:460
	buffer_load_dword v79, off, s[0:3], 0 offset:472
	buffer_load_dword v81, off, s[0:3], 0 offset:464
	buffer_load_dword v77, off, s[0:3], 0 offset:456
	buffer_load_dword v58, off, s[0:3], 0 offset:436
	ds_read_b128 v[71:74], v70 offset:1248
	s_mov_b32 s4, exec_lo
	s_waitcnt vmcnt(62) lgkmcnt(2)
	v_mul_f64 v[75:76], v[7:8], v[17:18]
	v_mul_f64 v[17:18], v[5:6], v[17:18]
	s_waitcnt vmcnt(60) lgkmcnt(1)
	v_mul_f64 v[82:83], v[3:4], v[13:14]
	v_mul_f64 v[13:14], v[1:2], v[13:14]
	;; [unrolled: 3-line block ×3, first 2 shown]
	v_fma_f64 v[75:76], v[5:6], v[15:16], -v[75:76]
	v_fma_f64 v[15:16], v[7:8], v[15:16], v[17:18]
	s_clause 0x2
	buffer_load_dword v80, off, s[0:3], 0 offset:476
	buffer_load_dword v18, off, s[0:3], 0 offset:452
	;; [unrolled: 1-line block ×3, first 2 shown]
	s_waitcnt vmcnt(57)
	v_fma_f64 v[86:87], v[1:2], v[9:10], -v[82:83]
	ds_read_b128 v[5:8], v70 offset:1264
	v_fma_f64 v[9:10], v[3:4], v[9:10], v[13:14]
	s_waitcnt vmcnt(51)
	v_fma_f64 v[71:72], v[71:72], v[33:34], -v[11:12]
	v_fma_f64 v[33:34], v[73:74], v[33:34], v[84:85]
	v_add_f64 v[75:76], v[75:76], 0
	v_add_f64 v[13:14], v[15:16], 0
	s_clause 0x4
	buffer_load_dword v16, off, s[0:3], 0 offset:492
	buffer_load_dword v83, off, s[0:3], 0 offset:504
	;; [unrolled: 1-line block ×5, first 2 shown]
	s_waitcnt lgkmcnt(0)
	v_mul_f64 v[127:128], v[5:6], v[21:22]
	v_mul_f64 v[21:22], v[7:8], v[21:22]
	ds_read_b128 v[1:4], v70 offset:1280
	s_clause 0x2
	buffer_load_dword v84, off, s[0:3], 0 offset:508
	buffer_load_dword v74, off, s[0:3], 0 offset:484
	buffer_load_dword v73, off, s[0:3], 0 offset:480
	v_add_f64 v[75:76], v[75:76], v[86:87]
	v_add_f64 v[13:14], v[13:14], v[9:10]
	ds_read_b128 v[9:12], v70 offset:1296
	s_waitcnt vmcnt(58) lgkmcnt(1)
	v_mul_f64 v[85:86], v[1:2], v[25:26]
	v_mul_f64 v[25:26], v[3:4], v[25:26]
	s_waitcnt vmcnt(56)
	v_fma_f64 v[21:22], v[5:6], v[27:28], -v[21:22]
	v_fma_f64 v[27:28], v[7:8], v[27:28], v[127:128]
	s_waitcnt vmcnt(52) lgkmcnt(0)
	v_mul_f64 v[129:130], v[9:10], v[29:30]
	v_add_f64 v[71:72], v[75:76], v[71:72]
	v_add_f64 v[13:14], v[13:14], v[33:34]
	s_clause 0x4
	buffer_load_dword v34, off, s[0:3], 0 offset:524
	buffer_load_dword v75, off, s[0:3], 0 offset:536
	buffer_load_dword v128, off, s[0:3], 0 offset:528
	buffer_load_dword v33, off, s[0:3], 0 offset:520
	buffer_load_dword v127, off, s[0:3], 0 offset:500
	v_mul_f64 v[29:30], v[11:12], v[29:30]
	s_waitcnt vmcnt(56)
	v_fma_f64 v[25:26], v[1:2], v[19:20], -v[25:26]
	ds_read_b128 v[5:8], v70 offset:1312
	v_fma_f64 v[19:20], v[3:4], v[19:20], v[85:86]
	v_add_f64 v[21:22], v[71:72], v[21:22]
	v_add_f64 v[13:14], v[13:14], v[27:28]
	s_clause 0x2
	buffer_load_dword v76, off, s[0:3], 0 offset:540
	buffer_load_dword v28, off, s[0:3], 0 offset:516
	;; [unrolled: 1-line block ×3, first 2 shown]
	s_waitcnt vmcnt(58) lgkmcnt(0)
	v_mul_f64 v[71:72], v[5:6], v[35:36]
	v_mul_f64 v[35:36], v[7:8], v[35:36]
	s_waitcnt vmcnt(56)
	v_fma_f64 v[29:30], v[9:10], v[37:38], -v[29:30]
	ds_read_b128 v[1:4], v70 offset:1328
	v_add_f64 v[21:22], v[21:22], v[25:26]
	v_fma_f64 v[25:26], v[11:12], v[37:38], v[129:130]
	v_add_f64 v[13:14], v[13:14], v[19:20]
	s_clause 0x4
	buffer_load_dword v20, off, s[0:3], 0 offset:556
	buffer_load_dword v37, off, s[0:3], 0 offset:568
	;; [unrolled: 1-line block ×5, first 2 shown]
	s_waitcnt vmcnt(57) lgkmcnt(0)
	v_mul_f64 v[86:87], v[1:2], v[39:40]
	v_mul_f64 v[39:40], v[3:4], v[39:40]
	s_waitcnt vmcnt(56)
	v_fma_f64 v[35:36], v[5:6], v[23:24], -v[35:36]
	ds_read_b128 v[9:12], v70 offset:1344
	v_fma_f64 v[23:24], v[7:8], v[23:24], v[71:72]
	v_add_f64 v[21:22], v[21:22], v[29:30]
	v_add_f64 v[13:14], v[13:14], v[25:26]
	s_clause 0x2
	buffer_load_dword v38, off, s[0:3], 0 offset:572
	buffer_load_dword v26, off, s[0:3], 0 offset:548
	;; [unrolled: 1-line block ×3, first 2 shown]
	ds_read_b128 v[5:8], v70 offset:1360
	s_waitcnt vmcnt(58) lgkmcnt(1)
	v_mul_f64 v[29:30], v[9:10], v[43:44]
	v_mul_f64 v[43:44], v[11:12], v[43:44]
	s_waitcnt vmcnt(56)
	v_fma_f64 v[39:40], v[1:2], v[45:46], -v[39:40]
	v_add_f64 v[21:22], v[21:22], v[35:36]
	v_fma_f64 v[35:36], v[3:4], v[45:46], v[86:87]
	v_add_f64 v[13:14], v[13:14], v[23:24]
	s_clause 0x4
	buffer_load_dword v24, off, s[0:3], 0 offset:588
	buffer_load_dword v45, off, s[0:3], 0 offset:600
	;; [unrolled: 1-line block ×5, first 2 shown]
	s_waitcnt vmcnt(57) lgkmcnt(0)
	v_mul_f64 v[130:131], v[5:6], v[47:48]
	v_mul_f64 v[47:48], v[7:8], v[47:48]
	s_waitcnt vmcnt(56)
	v_fma_f64 v[43:44], v[9:10], v[31:32], -v[43:44]
	ds_read_b128 v[1:4], v70 offset:1376
	v_fma_f64 v[29:30], v[11:12], v[31:32], v[29:30]
	s_clause 0x2
	buffer_load_dword v46, off, s[0:3], 0 offset:604
	buffer_load_dword v32, off, s[0:3], 0 offset:580
	;; [unrolled: 1-line block ×3, first 2 shown]
	ds_read_b128 v[9:12], v70 offset:1392
	v_add_f64 v[21:22], v[21:22], v[39:40]
	v_add_f64 v[13:14], v[13:14], v[35:36]
	s_waitcnt vmcnt(58) lgkmcnt(1)
	v_mul_f64 v[39:40], v[3:4], v[51:52]
	s_waitcnt vmcnt(56)
	v_fma_f64 v[47:48], v[5:6], v[53:54], -v[47:48]
	v_mul_f64 v[35:36], v[1:2], v[51:52]
	v_add_f64 v[21:22], v[21:22], v[43:44]
	v_fma_f64 v[43:44], v[7:8], v[53:54], v[130:131]
	v_add_f64 v[13:14], v[13:14], v[29:30]
	s_clause 0x4
	buffer_load_dword v30, off, s[0:3], 0 offset:620
	buffer_load_dword v51, off, s[0:3], 0 offset:632
	;; [unrolled: 1-line block ×5, first 2 shown]
	s_waitcnt vmcnt(57) lgkmcnt(0)
	v_mul_f64 v[130:131], v[9:10], v[55:56]
	v_mul_f64 v[54:55], v[11:12], v[55:56]
	s_waitcnt vmcnt(56)
	v_fma_f64 v[39:40], v[1:2], v[41:42], -v[39:40]
	ds_read_b128 v[5:8], v70 offset:1408
	v_fma_f64 v[35:36], v[3:4], v[41:42], v[35:36]
	s_clause 0x2
	buffer_load_dword v52, off, s[0:3], 0 offset:636
	buffer_load_dword v42, off, s[0:3], 0 offset:612
	;; [unrolled: 1-line block ×3, first 2 shown]
	ds_read_b128 v[1:4], v70 offset:1424
	v_add_f64 v[21:22], v[21:22], v[47:48]
	v_add_f64 v[13:14], v[13:14], v[43:44]
	s_waitcnt vmcnt(58) lgkmcnt(1)
	v_mul_f64 v[47:48], v[7:8], v[59:60]
	s_waitcnt vmcnt(56)
	v_fma_f64 v[55:56], v[9:10], v[61:62], -v[54:55]
	v_mul_f64 v[43:44], v[5:6], v[59:60]
	v_add_f64 v[21:22], v[21:22], v[39:40]
	v_fma_f64 v[39:40], v[11:12], v[61:62], v[130:131]
	v_add_f64 v[13:14], v[13:14], v[35:36]
	s_clause 0x4
	buffer_load_dword v36, off, s[0:3], 0 offset:652
	buffer_load_dword v59, off, s[0:3], 0 offset:664
	buffer_load_dword v61, off, s[0:3], 0 offset:656
	buffer_load_dword v35, off, s[0:3], 0 offset:648
	buffer_load_dword v54, off, s[0:3], 0 offset:628
	s_waitcnt vmcnt(57) lgkmcnt(0)
	v_mul_f64 v[130:131], v[1:2], v[63:64]
	v_mul_f64 v[62:63], v[3:4], v[63:64]
	s_waitcnt vmcnt(56)
	v_fma_f64 v[47:48], v[5:6], v[49:50], -v[47:48]
	ds_read_b128 v[9:12], v70 offset:1440
	v_fma_f64 v[43:44], v[7:8], v[49:50], v[43:44]
	v_add_f64 v[21:22], v[21:22], v[55:56]
	v_add_f64 v[13:14], v[13:14], v[39:40]
	s_clause 0x2
	buffer_load_dword v60, off, s[0:3], 0 offset:668
	buffer_load_dword v40, off, s[0:3], 0 offset:644
	;; [unrolled: 1-line block ×3, first 2 shown]
	ds_read_b128 v[5:8], v70 offset:1456
	s_waitcnt vmcnt(58) lgkmcnt(1)
	v_mul_f64 v[55:56], v[11:12], v[65:66]
	s_waitcnt vmcnt(56)
	v_fma_f64 v[63:64], v[1:2], v[67:68], -v[62:63]
	v_mul_f64 v[49:50], v[9:10], v[65:66]
	v_add_f64 v[21:22], v[21:22], v[47:48]
	v_fma_f64 v[47:48], v[3:4], v[67:68], v[130:131]
	v_add_f64 v[13:14], v[13:14], v[43:44]
	s_clause 0x4
	buffer_load_dword v44, off, s[0:3], 0 offset:684
	buffer_load_dword v65, off, s[0:3], 0 offset:696
	buffer_load_dword v67, off, s[0:3], 0 offset:688
	buffer_load_dword v43, off, s[0:3], 0 offset:680
	buffer_load_dword v62, off, s[0:3], 0 offset:660
	s_waitcnt vmcnt(57) lgkmcnt(0)
	v_mul_f64 v[130:131], v[5:6], v[77:78]
	v_mul_f64 v[77:78], v[7:8], v[77:78]
	s_waitcnt vmcnt(56)
	v_fma_f64 v[55:56], v[9:10], v[57:58], -v[55:56]
	ds_read_b128 v[1:4], v70 offset:1472
	v_fma_f64 v[49:50], v[11:12], v[57:58], v[49:50]
	v_add_f64 v[21:22], v[21:22], v[63:64]
	v_add_f64 v[13:14], v[13:14], v[47:48]
	s_clause 0x2
	buffer_load_dword v66, off, s[0:3], 0 offset:700
	buffer_load_dword v48, off, s[0:3], 0 offset:676
	;; [unrolled: 1-line block ×3, first 2 shown]
	ds_read_b128 v[9:12], v70 offset:1488
	s_waitcnt vmcnt(58) lgkmcnt(1)
	v_mul_f64 v[63:64], v[3:4], v[79:80]
	v_mul_f64 v[57:58], v[1:2], v[79:80]
	s_waitcnt vmcnt(56)
	v_fma_f64 v[77:78], v[5:6], v[17:18], -v[77:78]
	v_fma_f64 v[17:18], v[7:8], v[17:18], v[130:131]
	v_add_f64 v[21:22], v[21:22], v[55:56]
	v_add_f64 v[13:14], v[13:14], v[49:50]
	s_clause 0x4
	buffer_load_dword v50, off, s[0:3], 0 offset:716
	buffer_load_dword v55, off, s[0:3], 0 offset:728
	;; [unrolled: 1-line block ×5, first 2 shown]
	ds_read_b128 v[5:8], v70 offset:1504
	s_waitcnt vmcnt(57) lgkmcnt(1)
	v_mul_f64 v[130:131], v[9:10], v[15:16]
	v_mul_f64 v[15:16], v[11:12], v[15:16]
	s_waitcnt vmcnt(56)
	v_fma_f64 v[63:64], v[1:2], v[81:82], -v[63:64]
	v_fma_f64 v[57:58], v[3:4], v[81:82], v[57:58]
	v_add_f64 v[21:22], v[21:22], v[77:78]
	v_add_f64 v[13:14], v[13:14], v[17:18]
	s_clause 0x2
	buffer_load_dword v56, off, s[0:3], 0 offset:732
	buffer_load_dword v18, off, s[0:3], 0 offset:708
	;; [unrolled: 1-line block ×3, first 2 shown]
	s_waitcnt vmcnt(58) lgkmcnt(0)
	v_mul_f64 v[81:82], v[7:8], v[83:84]
	ds_read_b128 v[1:4], v70 offset:1520
	v_mul_f64 v[77:78], v[5:6], v[83:84]
	s_waitcnt vmcnt(56)
	v_fma_f64 v[15:16], v[9:10], v[73:74], -v[15:16]
	v_add_f64 v[21:22], v[21:22], v[63:64]
	v_fma_f64 v[63:64], v[11:12], v[73:74], v[130:131]
	v_add_f64 v[13:14], v[13:14], v[57:58]
	s_clause 0x4
	buffer_load_dword v58, off, s[0:3], 0 offset:748
	buffer_load_dword v73, off, s[0:3], 0 offset:760
	;; [unrolled: 1-line block ×5, first 2 shown]
	ds_read_b128 v[9:12], v70 offset:1536
	s_waitcnt vmcnt(57) lgkmcnt(1)
	v_mul_f64 v[130:131], v[1:2], v[33:34]
	v_mul_f64 v[33:34], v[3:4], v[33:34]
	s_waitcnt vmcnt(56)
	v_fma_f64 v[81:82], v[5:6], v[126:127], -v[81:82]
	v_add_f64 v[15:16], v[21:22], v[15:16]
	v_fma_f64 v[21:22], v[7:8], v[126:127], v[77:78]
	v_add_f64 v[13:14], v[13:14], v[63:64]
	s_clause 0x2
	buffer_load_dword v74, off, s[0:3], 0 offset:764
	buffer_load_dword v64, off, s[0:3], 0 offset:740
	;; [unrolled: 1-line block ×3, first 2 shown]
	ds_read_b128 v[5:8], v70 offset:1552
	s_waitcnt vmcnt(58) lgkmcnt(1)
	v_mul_f64 v[77:78], v[9:10], v[75:76]
	v_mul_f64 v[75:76], v[11:12], v[75:76]
	s_waitcnt vmcnt(56)
	v_fma_f64 v[33:34], v[1:2], v[27:28], -v[33:34]
	v_fma_f64 v[27:28], v[3:4], v[27:28], v[130:131]
	v_add_f64 v[15:16], v[15:16], v[81:82]
	v_add_f64 v[13:14], v[13:14], v[21:22]
	s_clause 0x4
	buffer_load_dword v22, off, s[0:3], 0 offset:780
	buffer_load_dword v81, off, s[0:3], 0 offset:792
	;; [unrolled: 1-line block ×5, first 2 shown]
	ds_read_b128 v[1:4], v70 offset:1568
	s_waitcnt vmcnt(57) lgkmcnt(1)
	v_mul_f64 v[130:131], v[5:6], v[19:20]
	v_mul_f64 v[19:20], v[7:8], v[19:20]
	s_waitcnt vmcnt(56)
	v_fma_f64 v[75:76], v[9:10], v[128:129], -v[75:76]
	v_add_f64 v[15:16], v[15:16], v[33:34]
	v_fma_f64 v[33:34], v[11:12], v[128:129], v[77:78]
	v_add_f64 v[13:14], v[13:14], v[27:28]
	s_clause 0x2
	buffer_load_dword v82, off, s[0:3], 0 offset:796
	buffer_load_dword v28, off, s[0:3], 0 offset:772
	;; [unrolled: 1-line block ×3, first 2 shown]
	ds_read_b128 v[9:12], v70 offset:1584
	s_waitcnt vmcnt(58) lgkmcnt(1)
	v_mul_f64 v[77:78], v[1:2], v[37:38]
	v_mul_f64 v[37:38], v[3:4], v[37:38]
	s_waitcnt vmcnt(56)
	v_fma_f64 v[19:20], v[5:6], v[25:26], -v[19:20]
	v_fma_f64 v[25:26], v[7:8], v[25:26], v[130:131]
	v_add_f64 v[15:16], v[15:16], v[75:76]
	v_add_f64 v[13:14], v[13:14], v[33:34]
	s_clause 0x4
	buffer_load_dword v34, off, s[0:3], 0 offset:812
	buffer_load_dword v75, off, s[0:3], 0 offset:824
	;; [unrolled: 1-line block ×5, first 2 shown]
	ds_read_b128 v[5:8], v70 offset:1600
	s_waitcnt vmcnt(57) lgkmcnt(1)
	v_mul_f64 v[129:130], v[9:10], v[23:24]
	v_mul_f64 v[23:24], v[11:12], v[23:24]
	s_waitcnt vmcnt(56)
	v_fma_f64 v[37:38], v[1:2], v[85:86], -v[37:38]
	v_add_f64 v[15:16], v[15:16], v[19:20]
	v_fma_f64 v[19:20], v[3:4], v[85:86], v[77:78]
	v_add_f64 v[13:14], v[13:14], v[25:26]
	s_clause 0x2
	buffer_load_dword v76, off, s[0:3], 0 offset:828
	buffer_load_dword v26, off, s[0:3], 0 offset:804
	;; [unrolled: 1-line block ×3, first 2 shown]
	s_waitcnt vmcnt(58) lgkmcnt(0)
	v_mul_f64 v[77:78], v[5:6], v[45:46]
	v_mul_f64 v[45:46], v[7:8], v[45:46]
	ds_read_b128 v[1:4], v70 offset:1616
	s_waitcnt vmcnt(56)
	v_fma_f64 v[23:24], v[9:10], v[31:32], -v[23:24]
	v_fma_f64 v[31:32], v[11:12], v[31:32], v[129:130]
	v_add_f64 v[15:16], v[15:16], v[37:38]
	v_add_f64 v[13:14], v[13:14], v[19:20]
	s_clause 0x4
	buffer_load_dword v20, off, s[0:3], 0 offset:844
	buffer_load_dword v37, off, s[0:3], 0 offset:856
	;; [unrolled: 1-line block ×5, first 2 shown]
	ds_read_b128 v[9:12], v70 offset:1632
	s_waitcnt vmcnt(57) lgkmcnt(1)
	v_mul_f64 v[86:87], v[1:2], v[29:30]
	v_mul_f64 v[29:30], v[3:4], v[29:30]
	s_waitcnt vmcnt(56)
	v_fma_f64 v[45:46], v[5:6], v[71:72], -v[45:46]
	v_add_f64 v[15:16], v[15:16], v[23:24]
	v_fma_f64 v[23:24], v[7:8], v[71:72], v[77:78]
	v_add_f64 v[13:14], v[13:14], v[31:32]
	s_clause 0x2
	buffer_load_dword v38, off, s[0:3], 0 offset:860
	buffer_load_dword v32, off, s[0:3], 0 offset:836
	buffer_load_dword v31, off, s[0:3], 0 offset:832
	s_waitcnt vmcnt(58) lgkmcnt(0)
	v_mul_f64 v[71:72], v[9:10], v[51:52]
	v_mul_f64 v[51:52], v[11:12], v[51:52]
	ds_read_b128 v[5:8], v70 offset:1648
	s_waitcnt vmcnt(56)
	v_fma_f64 v[29:30], v[1:2], v[41:42], -v[29:30]
	v_fma_f64 v[41:42], v[3:4], v[41:42], v[86:87]
	v_add_f64 v[15:16], v[15:16], v[45:46]
	v_add_f64 v[13:14], v[13:14], v[23:24]
	s_clause 0x4
	buffer_load_dword v24, off, s[0:3], 0 offset:876
	buffer_load_dword v45, off, s[0:3], 0 offset:888
	buffer_load_dword v77, off, s[0:3], 0 offset:880
	buffer_load_dword v23, off, s[0:3], 0 offset:872
	buffer_load_dword v86, off, s[0:3], 0 offset:852
	ds_read_b128 v[1:4], v70 offset:1664
	s_waitcnt vmcnt(57) lgkmcnt(1)
	v_mul_f64 v[130:131], v[5:6], v[35:36]
	v_mul_f64 v[35:36], v[7:8], v[35:36]
	s_waitcnt vmcnt(56)
	v_fma_f64 v[51:52], v[9:10], v[53:54], -v[51:52]
	v_add_f64 v[15:16], v[15:16], v[29:30]
	v_fma_f64 v[29:30], v[11:12], v[53:54], v[71:72]
	v_add_f64 v[13:14], v[13:14], v[41:42]
	s_clause 0x2
	buffer_load_dword v46, off, s[0:3], 0 offset:892
	buffer_load_dword v42, off, s[0:3], 0 offset:868
	buffer_load_dword v41, off, s[0:3], 0 offset:864
	ds_read_b128 v[9:12], v70 offset:1680
	s_waitcnt vmcnt(58) lgkmcnt(1)
	v_mul_f64 v[53:54], v[1:2], v[59:60]
	v_mul_f64 v[59:60], v[3:4], v[59:60]
	s_waitcnt vmcnt(56)
	v_fma_f64 v[35:36], v[5:6], v[39:40], -v[35:36]
	v_fma_f64 v[39:40], v[7:8], v[39:40], v[130:131]
	v_add_f64 v[15:16], v[15:16], v[51:52]
	v_add_f64 v[13:14], v[13:14], v[29:30]
	s_clause 0x4
	buffer_load_dword v30, off, s[0:3], 0 offset:908
	buffer_load_dword v51, off, s[0:3], 0 offset:920
	buffer_load_dword v71, off, s[0:3], 0 offset:912
	buffer_load_dword v29, off, s[0:3], 0 offset:904
	buffer_load_dword v78, off, s[0:3], 0 offset:884
	ds_read_b128 v[5:8], v70 offset:1696
	s_waitcnt vmcnt(57) lgkmcnt(1)
	v_mul_f64 v[130:131], v[9:10], v[43:44]
	v_mul_f64 v[43:44], v[11:12], v[43:44]
	s_waitcnt vmcnt(56)
	v_fma_f64 v[59:60], v[1:2], v[61:62], -v[59:60]
	v_add_f64 v[15:16], v[15:16], v[35:36]
	v_fma_f64 v[35:36], v[3:4], v[61:62], v[53:54]
	v_add_f64 v[13:14], v[13:14], v[39:40]
	s_clause 0x2
	buffer_load_dword v52, off, s[0:3], 0 offset:924
	buffer_load_dword v40, off, s[0:3], 0 offset:900
	buffer_load_dword v39, off, s[0:3], 0 offset:896
	ds_read_b128 v[1:4], v70 offset:1712
	s_waitcnt vmcnt(58) lgkmcnt(1)
	v_mul_f64 v[61:62], v[7:8], v[65:66]
	v_mul_f64 v[53:54], v[5:6], v[65:66]
	;; [unrolled: 28-line block ×4, first 2 shown]
	s_waitcnt vmcnt(56)
	v_fma_f64 v[57:58], v[5:6], v[63:64], -v[57:58]
	v_add_f64 v[15:16], v[15:16], v[55:56]
	v_fma_f64 v[55:56], v[7:8], v[63:64], v[130:131]
	v_add_f64 v[13:14], v[13:14], v[49:50]
	s_clause 0x4
	buffer_load_dword v50, off, s[0:3], 0 offset:1004
	buffer_load_dword v63, off, s[0:3], 0 offset:1016
	buffer_load_dword v79, off, s[0:3], 0 offset:1008
	buffer_load_dword v49, off, s[0:3], 0 offset:1000
	buffer_load_dword v68, off, s[0:3], 0 offset:980
	ds_read_b128 v[5:8], v70 offset:1792
	s_waitcnt vmcnt(57) lgkmcnt(1)
	v_mul_f64 v[130:131], v[9:10], v[21:22]
	v_mul_f64 v[21:22], v[11:12], v[21:22]
	s_waitcnt vmcnt(56)
	v_fma_f64 v[73:74], v[1:2], v[83:84], -v[73:74]
	v_fma_f64 v[53:54], v[3:4], v[83:84], v[53:54]
	v_add_f64 v[15:16], v[15:16], v[57:58]
	v_add_f64 v[13:14], v[13:14], v[55:56]
	s_clause 0x2
	buffer_load_dword v64, off, s[0:3], 0 offset:1020
	buffer_load_dword v56, off, s[0:3], 0 offset:996
	;; [unrolled: 1-line block ×3, first 2 shown]
	ds_read_b128 v[1:4], v70 offset:1808
	s_waitcnt vmcnt(58) lgkmcnt(1)
	v_mul_f64 v[57:58], v[5:6], v[81:82]
	v_mul_f64 v[81:82], v[7:8], v[81:82]
	s_waitcnt vmcnt(56)
	v_fma_f64 v[21:22], v[9:10], v[27:28], -v[21:22]
	v_fma_f64 v[27:28], v[11:12], v[27:28], v[130:131]
	v_add_f64 v[15:16], v[15:16], v[73:74]
	v_add_f64 v[13:14], v[13:14], v[53:54]
	s_clause 0x2
	buffer_load_dword v54, off, s[0:3], 0 offset:1036
	buffer_load_dword v53, off, s[0:3], 0 offset:1032
	;; [unrolled: 1-line block ×3, first 2 shown]
	ds_read_b128 v[9:12], v70 offset:1824
	s_waitcnt vmcnt(55) lgkmcnt(1)
	v_mul_f64 v[73:74], v[1:2], v[33:34]
	v_mul_f64 v[33:34], v[3:4], v[33:34]
	s_waitcnt vmcnt(54)
	v_fma_f64 v[81:82], v[5:6], v[126:127], -v[81:82]
	v_add_f64 v[15:16], v[15:16], v[21:22]
	v_fma_f64 v[21:22], v[7:8], v[126:127], v[57:58]
	v_add_f64 v[13:14], v[13:14], v[27:28]
	s_clause 0x1
	buffer_load_dword v28, off, s[0:3], 0 offset:1028
	buffer_load_dword v27, off, s[0:3], 0 offset:1024
	ds_read_b128 v[5:8], v70 offset:1840
	s_waitcnt vmcnt(55) lgkmcnt(1)
	v_mul_f64 v[57:58], v[9:10], v[75:76]
	v_mul_f64 v[75:76], v[11:12], v[75:76]
	s_waitcnt vmcnt(53)
	v_fma_f64 v[33:34], v[1:2], v[25:26], -v[33:34]
	v_fma_f64 v[25:26], v[3:4], v[25:26], v[73:74]
	ds_read_b128 v[1:4], v70 offset:1856
	v_add_f64 v[15:16], v[15:16], v[81:82]
	v_add_f64 v[13:14], v[13:14], v[21:22]
	s_waitcnt vmcnt(49) lgkmcnt(1)
	v_mul_f64 v[21:22], v[5:6], v[19:20]
	v_mul_f64 v[19:20], v[7:8], v[19:20]
	s_waitcnt vmcnt(48)
	v_fma_f64 v[73:74], v[9:10], v[128:129], -v[75:76]
	v_add_f64 v[15:16], v[15:16], v[33:34]
	v_fma_f64 v[33:34], v[11:12], v[128:129], v[57:58]
	v_add_f64 v[13:14], v[13:14], v[25:26]
	s_clause 0x3
	buffer_load_dword v25, off, s[0:3], 0 offset:192
	buffer_load_dword v26, off, s[0:3], 0 offset:196
	;; [unrolled: 1-line block ×4, first 2 shown]
	ds_read_b128 v[9:12], v70 offset:1872
	s_waitcnt vmcnt(51) lgkmcnt(1)
	v_mul_f64 v[75:76], v[1:2], v[37:38]
	v_mul_f64 v[37:38], v[3:4], v[37:38]
	s_waitcnt vmcnt(49)
	v_fma_f64 v[19:20], v[5:6], v[31:32], -v[19:20]
	v_fma_f64 v[21:22], v[7:8], v[31:32], v[21:22]
	ds_read_b128 v[5:8], v70 offset:1888
	v_add_f64 v[15:16], v[15:16], v[73:74]
	v_add_f64 v[13:14], v[13:14], v[33:34]
	s_waitcnt vmcnt(45) lgkmcnt(1)
	v_mul_f64 v[31:32], v[9:10], v[23:24]
	v_mul_f64 v[23:24], v[11:12], v[23:24]
	s_waitcnt vmcnt(44)
	v_fma_f64 v[33:34], v[1:2], v[85:86], -v[37:38]
	v_add_f64 v[15:16], v[15:16], v[19:20]
	v_fma_f64 v[19:20], v[3:4], v[85:86], v[75:76]
	v_add_f64 v[13:14], v[13:14], v[21:22]
	ds_read_b128 v[1:4], v70 offset:1904
	s_waitcnt vmcnt(43) lgkmcnt(1)
	v_mul_f64 v[37:38], v[7:8], v[45:46]
	v_mul_f64 v[21:22], v[5:6], v[45:46]
	s_waitcnt vmcnt(41)
	v_fma_f64 v[23:24], v[9:10], v[41:42], -v[23:24]
	v_fma_f64 v[31:32], v[11:12], v[41:42], v[31:32]
	ds_read_b128 v[9:12], v70 offset:1920
	v_add_f64 v[15:16], v[15:16], v[33:34]
	v_add_f64 v[13:14], v[13:14], v[19:20]
	s_waitcnt vmcnt(37) lgkmcnt(1)
	v_mul_f64 v[19:20], v[1:2], v[29:30]
	v_mul_f64 v[29:30], v[3:4], v[29:30]
	s_waitcnt vmcnt(36)
	v_fma_f64 v[33:34], v[5:6], v[77:78], -v[37:38]
	v_fma_f64 v[21:22], v[7:8], v[77:78], v[21:22]
	ds_read_b128 v[5:8], v70 offset:1936
	v_add_f64 v[15:16], v[15:16], v[23:24]
	v_add_f64 v[13:14], v[13:14], v[31:32]
	;; [unrolled: 9-line block ×3, first 2 shown]
	s_waitcnt vmcnt(29) lgkmcnt(1)
	v_mul_f64 v[33:34], v[7:8], v[35:36]
	s_waitcnt vmcnt(28)
	v_fma_f64 v[31:32], v[9:10], v[71:72], -v[31:32]
	v_mul_f64 v[21:22], v[5:6], v[35:36]
	v_fma_f64 v[23:24], v[11:12], v[71:72], v[23:24]
	ds_read_b128 v[9:12], v70 offset:1968
	v_add_f64 v[15:16], v[15:16], v[29:30]
	v_add_f64 v[13:14], v[13:14], v[19:20]
	s_waitcnt vmcnt(27) lgkmcnt(1)
	v_mul_f64 v[29:30], v[3:4], v[59:60]
	v_mul_f64 v[19:20], v[1:2], v[59:60]
	s_waitcnt vmcnt(25)
	v_fma_f64 v[33:34], v[5:6], v[47:48], -v[33:34]
	v_fma_f64 v[21:22], v[7:8], v[47:48], v[21:22]
	ds_read_b128 v[5:8], v70 offset:1984
	v_add_f64 v[15:16], v[15:16], v[31:32]
	v_add_f64 v[13:14], v[13:14], v[23:24]
	s_waitcnt vmcnt(21) lgkmcnt(1)
	v_mul_f64 v[31:32], v[11:12], v[43:44]
	s_waitcnt vmcnt(20)
	v_fma_f64 v[29:30], v[1:2], v[65:66], -v[29:30]
	v_mul_f64 v[23:24], v[9:10], v[43:44]
	v_fma_f64 v[19:20], v[3:4], v[65:66], v[19:20]
	ds_read_b128 v[1:4], v70 offset:2000
	v_add_f64 v[15:16], v[15:16], v[33:34]
	v_add_f64 v[13:14], v[13:14], v[21:22]
	s_waitcnt vmcnt(19) lgkmcnt(1)
	v_mul_f64 v[33:34], v[7:8], v[61:62]
	v_mul_f64 v[21:22], v[5:6], v[61:62]
	s_waitcnt vmcnt(17)
	v_fma_f64 v[31:32], v[9:10], v[17:18], -v[31:32]
	v_fma_f64 v[17:18], v[11:12], v[17:18], v[23:24]
	ds_read_b128 v[9:12], v70 offset:2016
	v_add_f64 v[15:16], v[15:16], v[29:30]
	v_add_f64 v[13:14], v[13:14], v[19:20]
	s_waitcnt vmcnt(13) lgkmcnt(1)
	v_mul_f64 v[23:24], v[3:4], v[49:50]
	s_waitcnt vmcnt(12)
	v_fma_f64 v[29:30], v[5:6], v[67:68], -v[33:34]
	v_mul_f64 v[19:20], v[1:2], v[49:50]
	v_fma_f64 v[21:22], v[7:8], v[67:68], v[21:22]
	ds_read_b128 v[5:8], v70 offset:2032
	v_add_f64 v[15:16], v[15:16], v[31:32]
	v_add_f64 v[13:14], v[13:14], v[17:18]
	s_waitcnt vmcnt(11) lgkmcnt(1)
	v_mul_f64 v[31:32], v[11:12], v[63:64]
	v_mul_f64 v[17:18], v[9:10], v[63:64]
	s_waitcnt vmcnt(9)
	v_fma_f64 v[1:2], v[1:2], v[55:56], -v[23:24]
	v_fma_f64 v[3:4], v[3:4], v[55:56], v[19:20]
	v_add_f64 v[15:16], v[15:16], v[29:30]
	v_add_f64 v[13:14], v[13:14], v[21:22]
	s_waitcnt vmcnt(7) lgkmcnt(0)
	v_mul_f64 v[21:22], v[7:8], v[53:54]
	s_waitcnt vmcnt(6)
	v_fma_f64 v[9:10], v[9:10], v[79:80], -v[31:32]
	v_mul_f64 v[19:20], v[5:6], v[53:54]
	v_fma_f64 v[11:12], v[11:12], v[79:80], v[17:18]
	v_add_f64 v[1:2], v[15:16], v[1:2]
	v_add_f64 v[3:4], v[13:14], v[3:4]
	s_waitcnt vmcnt(4)
	v_fma_f64 v[5:6], v[5:6], v[27:28], -v[21:22]
	v_fma_f64 v[7:8], v[7:8], v[27:28], v[19:20]
	v_add_f64 v[1:2], v[1:2], v[9:10]
	v_add_f64 v[3:4], v[3:4], v[11:12]
	;; [unrolled: 1-line block ×4, first 2 shown]
	s_waitcnt vmcnt(2)
	v_add_f64 v[1:2], v[25:26], -v[1:2]
	s_waitcnt vmcnt(0)
	v_add_f64 v[3:4], v[57:58], -v[3:4]
	buffer_store_dword v2, off, s[0:3], 0 offset:196
	buffer_store_dword v1, off, s[0:3], 0 offset:192
	;; [unrolled: 1-line block ×4, first 2 shown]
	v_cmpx_lt_u32_e32 10, v0
	s_cbranch_execz .LBB63_389
; %bb.388:
	v_mov_b32_e32 v4, s68
	v_mov_b32_e32 v5, 0
	s_clause 0x3
	buffer_load_dword v1, v4, s[0:3], 0 offen
	buffer_load_dword v2, v4, s[0:3], 0 offen offset:4
	buffer_load_dword v3, v4, s[0:3], 0 offen offset:8
	;; [unrolled: 1-line block ×3, first 2 shown]
	buffer_store_dword v5, off, s[0:3], 0 offset:176
	buffer_store_dword v5, off, s[0:3], 0 offset:180
	;; [unrolled: 1-line block ×4, first 2 shown]
	s_waitcnt vmcnt(0)
	ds_write_b128 v69, v[1:4]
.LBB63_389:
	s_or_b32 exec_lo, exec_lo, s4
	s_waitcnt lgkmcnt(0)
	s_waitcnt_vscnt null, 0x0
	s_barrier
	buffer_gl0_inv
	s_clause 0x37
	buffer_load_dword v17, off, s[0:3], 0 offset:200
	buffer_load_dword v18, off, s[0:3], 0 offset:204
	buffer_load_dword v13, off, s[0:3], 0 offset:216
	buffer_load_dword v14, off, s[0:3], 0 offset:220
	buffer_load_dword v15, off, s[0:3], 0 offset:192
	buffer_load_dword v16, off, s[0:3], 0 offset:196
	buffer_load_dword v11, off, s[0:3], 0 offset:232
	buffer_load_dword v12, off, s[0:3], 0 offset:236
	buffer_load_dword v9, off, s[0:3], 0 offset:208
	buffer_load_dword v10, off, s[0:3], 0 offset:212
	buffer_load_dword v22, off, s[0:3], 0 offset:252
	buffer_load_dword v25, off, s[0:3], 0 offset:264
	buffer_load_dword v19, off, s[0:3], 0 offset:256
	buffer_load_dword v21, off, s[0:3], 0 offset:248
	buffer_load_dword v33, off, s[0:3], 0 offset:224
	buffer_load_dword v34, off, s[0:3], 0 offset:228
	buffer_load_dword v26, off, s[0:3], 0 offset:268
	buffer_load_dword v28, off, s[0:3], 0 offset:244
	buffer_load_dword v27, off, s[0:3], 0 offset:240
	buffer_load_dword v30, off, s[0:3], 0 offset:284
	buffer_load_dword v35, off, s[0:3], 0 offset:296
	buffer_load_dword v23, off, s[0:3], 0 offset:288
	buffer_load_dword v29, off, s[0:3], 0 offset:280
	buffer_load_dword v20, off, s[0:3], 0 offset:260
	buffer_load_dword v36, off, s[0:3], 0 offset:300
	buffer_load_dword v38, off, s[0:3], 0 offset:276
	buffer_load_dword v37, off, s[0:3], 0 offset:272
	buffer_load_dword v40, off, s[0:3], 0 offset:316
	buffer_load_dword v43, off, s[0:3], 0 offset:328
	buffer_load_dword v31, off, s[0:3], 0 offset:320
	buffer_load_dword v39, off, s[0:3], 0 offset:312
	buffer_load_dword v24, off, s[0:3], 0 offset:292
	buffer_load_dword v44, off, s[0:3], 0 offset:332
	buffer_load_dword v46, off, s[0:3], 0 offset:308
	buffer_load_dword v45, off, s[0:3], 0 offset:304
	buffer_load_dword v48, off, s[0:3], 0 offset:348
	buffer_load_dword v51, off, s[0:3], 0 offset:360
	buffer_load_dword v41, off, s[0:3], 0 offset:352
	buffer_load_dword v47, off, s[0:3], 0 offset:344
	buffer_load_dword v32, off, s[0:3], 0 offset:324
	buffer_load_dword v52, off, s[0:3], 0 offset:364
	buffer_load_dword v54, off, s[0:3], 0 offset:340
	buffer_load_dword v53, off, s[0:3], 0 offset:336
	buffer_load_dword v56, off, s[0:3], 0 offset:380
	buffer_load_dword v59, off, s[0:3], 0 offset:392
	buffer_load_dword v49, off, s[0:3], 0 offset:384
	buffer_load_dword v55, off, s[0:3], 0 offset:376
	buffer_load_dword v42, off, s[0:3], 0 offset:356
	buffer_load_dword v60, off, s[0:3], 0 offset:396
	buffer_load_dword v62, off, s[0:3], 0 offset:372
	buffer_load_dword v61, off, s[0:3], 0 offset:368
	buffer_load_dword v64, off, s[0:3], 0 offset:412
	buffer_load_dword v65, off, s[0:3], 0 offset:424
	buffer_load_dword v57, off, s[0:3], 0 offset:416
	buffer_load_dword v63, off, s[0:3], 0 offset:408
	buffer_load_dword v50, off, s[0:3], 0 offset:388
	v_mov_b32_e32 v70, 0
	s_mov_b32 s4, exec_lo
	ds_read_b128 v[5:8], v70 offset:1200
	s_clause 0x2
	buffer_load_dword v66, off, s[0:3], 0 offset:428
	buffer_load_dword v68, off, s[0:3], 0 offset:404
	;; [unrolled: 1-line block ×3, first 2 shown]
	ds_read_b128 v[1:4], v70 offset:1216
	s_clause 0x4
	buffer_load_dword v78, off, s[0:3], 0 offset:444
	buffer_load_dword v79, off, s[0:3], 0 offset:456
	;; [unrolled: 1-line block ×5, first 2 shown]
	ds_read_b128 v[71:74], v70 offset:1232
	s_waitcnt vmcnt(62) lgkmcnt(2)
	v_mul_f64 v[75:76], v[7:8], v[17:18]
	v_mul_f64 v[17:18], v[5:6], v[17:18]
	s_waitcnt vmcnt(60) lgkmcnt(1)
	v_mul_f64 v[82:83], v[3:4], v[13:14]
	v_mul_f64 v[13:14], v[1:2], v[13:14]
	;; [unrolled: 3-line block ×3, first 2 shown]
	v_fma_f64 v[75:76], v[5:6], v[15:16], -v[75:76]
	v_fma_f64 v[15:16], v[7:8], v[15:16], v[17:18]
	s_clause 0x2
	buffer_load_dword v80, off, s[0:3], 0 offset:460
	buffer_load_dword v18, off, s[0:3], 0 offset:436
	;; [unrolled: 1-line block ×3, first 2 shown]
	s_waitcnt vmcnt(57)
	v_fma_f64 v[86:87], v[1:2], v[9:10], -v[82:83]
	ds_read_b128 v[5:8], v70 offset:1248
	v_fma_f64 v[9:10], v[3:4], v[9:10], v[13:14]
	s_waitcnt vmcnt(51)
	v_fma_f64 v[71:72], v[71:72], v[33:34], -v[11:12]
	v_fma_f64 v[33:34], v[73:74], v[33:34], v[84:85]
	v_add_f64 v[75:76], v[75:76], 0
	v_add_f64 v[13:14], v[15:16], 0
	s_clause 0x4
	buffer_load_dword v16, off, s[0:3], 0 offset:476
	buffer_load_dword v83, off, s[0:3], 0 offset:488
	;; [unrolled: 1-line block ×5, first 2 shown]
	s_waitcnt lgkmcnt(0)
	v_mul_f64 v[127:128], v[5:6], v[21:22]
	v_mul_f64 v[21:22], v[7:8], v[21:22]
	ds_read_b128 v[1:4], v70 offset:1264
	s_clause 0x2
	buffer_load_dword v84, off, s[0:3], 0 offset:492
	buffer_load_dword v74, off, s[0:3], 0 offset:468
	;; [unrolled: 1-line block ×3, first 2 shown]
	v_add_f64 v[75:76], v[75:76], v[86:87]
	v_add_f64 v[13:14], v[13:14], v[9:10]
	ds_read_b128 v[9:12], v70 offset:1280
	s_waitcnt vmcnt(58) lgkmcnt(1)
	v_mul_f64 v[85:86], v[1:2], v[25:26]
	v_mul_f64 v[25:26], v[3:4], v[25:26]
	s_waitcnt vmcnt(56)
	v_fma_f64 v[21:22], v[5:6], v[27:28], -v[21:22]
	v_fma_f64 v[27:28], v[7:8], v[27:28], v[127:128]
	s_waitcnt vmcnt(52) lgkmcnt(0)
	v_mul_f64 v[129:130], v[9:10], v[29:30]
	v_add_f64 v[71:72], v[75:76], v[71:72]
	v_add_f64 v[13:14], v[13:14], v[33:34]
	s_clause 0x4
	buffer_load_dword v34, off, s[0:3], 0 offset:508
	buffer_load_dword v75, off, s[0:3], 0 offset:520
	;; [unrolled: 1-line block ×5, first 2 shown]
	v_mul_f64 v[29:30], v[11:12], v[29:30]
	s_waitcnt vmcnt(56)
	v_fma_f64 v[25:26], v[1:2], v[19:20], -v[25:26]
	ds_read_b128 v[5:8], v70 offset:1296
	v_fma_f64 v[19:20], v[3:4], v[19:20], v[85:86]
	v_add_f64 v[21:22], v[71:72], v[21:22]
	v_add_f64 v[13:14], v[13:14], v[27:28]
	s_clause 0x2
	buffer_load_dword v76, off, s[0:3], 0 offset:524
	buffer_load_dword v28, off, s[0:3], 0 offset:500
	;; [unrolled: 1-line block ×3, first 2 shown]
	s_waitcnt vmcnt(58) lgkmcnt(0)
	v_mul_f64 v[71:72], v[5:6], v[35:36]
	v_mul_f64 v[35:36], v[7:8], v[35:36]
	s_waitcnt vmcnt(56)
	v_fma_f64 v[29:30], v[9:10], v[37:38], -v[29:30]
	ds_read_b128 v[1:4], v70 offset:1312
	v_add_f64 v[21:22], v[21:22], v[25:26]
	v_fma_f64 v[25:26], v[11:12], v[37:38], v[129:130]
	v_add_f64 v[13:14], v[13:14], v[19:20]
	s_clause 0x4
	buffer_load_dword v20, off, s[0:3], 0 offset:540
	buffer_load_dword v37, off, s[0:3], 0 offset:552
	buffer_load_dword v85, off, s[0:3], 0 offset:544
	buffer_load_dword v19, off, s[0:3], 0 offset:536
	buffer_load_dword v129, off, s[0:3], 0 offset:516
	s_waitcnt vmcnt(57) lgkmcnt(0)
	v_mul_f64 v[86:87], v[1:2], v[39:40]
	v_mul_f64 v[39:40], v[3:4], v[39:40]
	s_waitcnt vmcnt(56)
	v_fma_f64 v[35:36], v[5:6], v[23:24], -v[35:36]
	ds_read_b128 v[9:12], v70 offset:1328
	v_fma_f64 v[23:24], v[7:8], v[23:24], v[71:72]
	v_add_f64 v[21:22], v[21:22], v[29:30]
	v_add_f64 v[13:14], v[13:14], v[25:26]
	s_clause 0x2
	buffer_load_dword v38, off, s[0:3], 0 offset:556
	buffer_load_dword v26, off, s[0:3], 0 offset:532
	;; [unrolled: 1-line block ×3, first 2 shown]
	ds_read_b128 v[5:8], v70 offset:1344
	s_waitcnt vmcnt(58) lgkmcnt(1)
	v_mul_f64 v[29:30], v[9:10], v[43:44]
	v_mul_f64 v[43:44], v[11:12], v[43:44]
	s_waitcnt vmcnt(56)
	v_fma_f64 v[39:40], v[1:2], v[45:46], -v[39:40]
	v_add_f64 v[21:22], v[21:22], v[35:36]
	v_fma_f64 v[35:36], v[3:4], v[45:46], v[86:87]
	v_add_f64 v[13:14], v[13:14], v[23:24]
	s_clause 0x4
	buffer_load_dword v24, off, s[0:3], 0 offset:572
	buffer_load_dword v45, off, s[0:3], 0 offset:584
	;; [unrolled: 1-line block ×5, first 2 shown]
	s_waitcnt vmcnt(57) lgkmcnt(0)
	v_mul_f64 v[130:131], v[5:6], v[47:48]
	v_mul_f64 v[47:48], v[7:8], v[47:48]
	s_waitcnt vmcnt(56)
	v_fma_f64 v[43:44], v[9:10], v[31:32], -v[43:44]
	ds_read_b128 v[1:4], v70 offset:1360
	v_fma_f64 v[29:30], v[11:12], v[31:32], v[29:30]
	s_clause 0x2
	buffer_load_dword v46, off, s[0:3], 0 offset:588
	buffer_load_dword v32, off, s[0:3], 0 offset:564
	buffer_load_dword v31, off, s[0:3], 0 offset:560
	ds_read_b128 v[9:12], v70 offset:1376
	v_add_f64 v[21:22], v[21:22], v[39:40]
	v_add_f64 v[13:14], v[13:14], v[35:36]
	s_waitcnt vmcnt(58) lgkmcnt(1)
	v_mul_f64 v[39:40], v[3:4], v[51:52]
	s_waitcnt vmcnt(56)
	v_fma_f64 v[47:48], v[5:6], v[53:54], -v[47:48]
	v_mul_f64 v[35:36], v[1:2], v[51:52]
	v_add_f64 v[21:22], v[21:22], v[43:44]
	v_fma_f64 v[43:44], v[7:8], v[53:54], v[130:131]
	v_add_f64 v[13:14], v[13:14], v[29:30]
	s_clause 0x4
	buffer_load_dword v30, off, s[0:3], 0 offset:604
	buffer_load_dword v51, off, s[0:3], 0 offset:616
	;; [unrolled: 1-line block ×5, first 2 shown]
	s_waitcnt vmcnt(57) lgkmcnt(0)
	v_mul_f64 v[130:131], v[9:10], v[55:56]
	v_mul_f64 v[54:55], v[11:12], v[55:56]
	s_waitcnt vmcnt(56)
	v_fma_f64 v[39:40], v[1:2], v[41:42], -v[39:40]
	ds_read_b128 v[5:8], v70 offset:1392
	v_fma_f64 v[35:36], v[3:4], v[41:42], v[35:36]
	s_clause 0x2
	buffer_load_dword v52, off, s[0:3], 0 offset:620
	buffer_load_dword v42, off, s[0:3], 0 offset:596
	;; [unrolled: 1-line block ×3, first 2 shown]
	ds_read_b128 v[1:4], v70 offset:1408
	v_add_f64 v[21:22], v[21:22], v[47:48]
	v_add_f64 v[13:14], v[13:14], v[43:44]
	s_waitcnt vmcnt(58) lgkmcnt(1)
	v_mul_f64 v[47:48], v[7:8], v[59:60]
	s_waitcnt vmcnt(56)
	v_fma_f64 v[55:56], v[9:10], v[61:62], -v[54:55]
	v_mul_f64 v[43:44], v[5:6], v[59:60]
	v_add_f64 v[21:22], v[21:22], v[39:40]
	v_fma_f64 v[39:40], v[11:12], v[61:62], v[130:131]
	v_add_f64 v[13:14], v[13:14], v[35:36]
	s_clause 0x4
	buffer_load_dword v36, off, s[0:3], 0 offset:636
	buffer_load_dword v59, off, s[0:3], 0 offset:648
	;; [unrolled: 1-line block ×5, first 2 shown]
	s_waitcnt vmcnt(57) lgkmcnt(0)
	v_mul_f64 v[130:131], v[1:2], v[63:64]
	v_mul_f64 v[62:63], v[3:4], v[63:64]
	s_waitcnt vmcnt(56)
	v_fma_f64 v[47:48], v[5:6], v[49:50], -v[47:48]
	ds_read_b128 v[9:12], v70 offset:1424
	v_fma_f64 v[43:44], v[7:8], v[49:50], v[43:44]
	v_add_f64 v[21:22], v[21:22], v[55:56]
	v_add_f64 v[13:14], v[13:14], v[39:40]
	s_clause 0x2
	buffer_load_dword v60, off, s[0:3], 0 offset:652
	buffer_load_dword v40, off, s[0:3], 0 offset:628
	;; [unrolled: 1-line block ×3, first 2 shown]
	ds_read_b128 v[5:8], v70 offset:1440
	s_waitcnt vmcnt(58) lgkmcnt(1)
	v_mul_f64 v[55:56], v[11:12], v[65:66]
	s_waitcnt vmcnt(56)
	v_fma_f64 v[63:64], v[1:2], v[67:68], -v[62:63]
	v_mul_f64 v[49:50], v[9:10], v[65:66]
	v_add_f64 v[21:22], v[21:22], v[47:48]
	v_fma_f64 v[47:48], v[3:4], v[67:68], v[130:131]
	v_add_f64 v[13:14], v[13:14], v[43:44]
	s_clause 0x4
	buffer_load_dword v44, off, s[0:3], 0 offset:668
	buffer_load_dword v65, off, s[0:3], 0 offset:680
	;; [unrolled: 1-line block ×5, first 2 shown]
	s_waitcnt vmcnt(57) lgkmcnt(0)
	v_mul_f64 v[130:131], v[5:6], v[77:78]
	v_mul_f64 v[77:78], v[7:8], v[77:78]
	s_waitcnt vmcnt(56)
	v_fma_f64 v[55:56], v[9:10], v[57:58], -v[55:56]
	ds_read_b128 v[1:4], v70 offset:1456
	v_fma_f64 v[49:50], v[11:12], v[57:58], v[49:50]
	v_add_f64 v[21:22], v[21:22], v[63:64]
	v_add_f64 v[13:14], v[13:14], v[47:48]
	s_clause 0x2
	buffer_load_dword v66, off, s[0:3], 0 offset:684
	buffer_load_dword v48, off, s[0:3], 0 offset:660
	buffer_load_dword v47, off, s[0:3], 0 offset:656
	ds_read_b128 v[9:12], v70 offset:1472
	s_waitcnt vmcnt(58) lgkmcnt(1)
	v_mul_f64 v[63:64], v[3:4], v[79:80]
	v_mul_f64 v[57:58], v[1:2], v[79:80]
	s_waitcnt vmcnt(56)
	v_fma_f64 v[77:78], v[5:6], v[17:18], -v[77:78]
	v_fma_f64 v[17:18], v[7:8], v[17:18], v[130:131]
	v_add_f64 v[21:22], v[21:22], v[55:56]
	v_add_f64 v[13:14], v[13:14], v[49:50]
	s_clause 0x4
	buffer_load_dword v50, off, s[0:3], 0 offset:700
	buffer_load_dword v55, off, s[0:3], 0 offset:712
	;; [unrolled: 1-line block ×5, first 2 shown]
	ds_read_b128 v[5:8], v70 offset:1488
	s_waitcnt vmcnt(57) lgkmcnt(1)
	v_mul_f64 v[130:131], v[9:10], v[15:16]
	v_mul_f64 v[15:16], v[11:12], v[15:16]
	s_waitcnt vmcnt(56)
	v_fma_f64 v[63:64], v[1:2], v[81:82], -v[63:64]
	v_fma_f64 v[57:58], v[3:4], v[81:82], v[57:58]
	v_add_f64 v[21:22], v[21:22], v[77:78]
	v_add_f64 v[13:14], v[13:14], v[17:18]
	s_clause 0x2
	buffer_load_dword v56, off, s[0:3], 0 offset:716
	buffer_load_dword v18, off, s[0:3], 0 offset:692
	;; [unrolled: 1-line block ×3, first 2 shown]
	s_waitcnt vmcnt(58) lgkmcnt(0)
	v_mul_f64 v[81:82], v[7:8], v[83:84]
	ds_read_b128 v[1:4], v70 offset:1504
	v_mul_f64 v[77:78], v[5:6], v[83:84]
	s_waitcnt vmcnt(56)
	v_fma_f64 v[15:16], v[9:10], v[73:74], -v[15:16]
	v_add_f64 v[21:22], v[21:22], v[63:64]
	v_fma_f64 v[63:64], v[11:12], v[73:74], v[130:131]
	v_add_f64 v[13:14], v[13:14], v[57:58]
	s_clause 0x4
	buffer_load_dword v58, off, s[0:3], 0 offset:732
	buffer_load_dword v73, off, s[0:3], 0 offset:744
	buffer_load_dword v83, off, s[0:3], 0 offset:736
	buffer_load_dword v57, off, s[0:3], 0 offset:728
	buffer_load_dword v80, off, s[0:3], 0 offset:708
	ds_read_b128 v[9:12], v70 offset:1520
	s_waitcnt vmcnt(57) lgkmcnt(1)
	v_mul_f64 v[130:131], v[1:2], v[33:34]
	v_mul_f64 v[33:34], v[3:4], v[33:34]
	s_waitcnt vmcnt(56)
	v_fma_f64 v[81:82], v[5:6], v[126:127], -v[81:82]
	v_add_f64 v[15:16], v[21:22], v[15:16]
	v_fma_f64 v[21:22], v[7:8], v[126:127], v[77:78]
	v_add_f64 v[13:14], v[13:14], v[63:64]
	s_clause 0x2
	buffer_load_dword v74, off, s[0:3], 0 offset:748
	buffer_load_dword v64, off, s[0:3], 0 offset:724
	;; [unrolled: 1-line block ×3, first 2 shown]
	ds_read_b128 v[5:8], v70 offset:1536
	s_waitcnt vmcnt(58) lgkmcnt(1)
	v_mul_f64 v[77:78], v[9:10], v[75:76]
	v_mul_f64 v[75:76], v[11:12], v[75:76]
	s_waitcnt vmcnt(56)
	v_fma_f64 v[33:34], v[1:2], v[27:28], -v[33:34]
	v_fma_f64 v[27:28], v[3:4], v[27:28], v[130:131]
	v_add_f64 v[15:16], v[15:16], v[81:82]
	v_add_f64 v[13:14], v[13:14], v[21:22]
	s_clause 0x4
	buffer_load_dword v22, off, s[0:3], 0 offset:764
	buffer_load_dword v81, off, s[0:3], 0 offset:776
	;; [unrolled: 1-line block ×5, first 2 shown]
	ds_read_b128 v[1:4], v70 offset:1552
	s_waitcnt vmcnt(57) lgkmcnt(1)
	v_mul_f64 v[130:131], v[5:6], v[19:20]
	v_mul_f64 v[19:20], v[7:8], v[19:20]
	s_waitcnt vmcnt(56)
	v_fma_f64 v[75:76], v[9:10], v[128:129], -v[75:76]
	v_add_f64 v[15:16], v[15:16], v[33:34]
	v_fma_f64 v[33:34], v[11:12], v[128:129], v[77:78]
	v_add_f64 v[13:14], v[13:14], v[27:28]
	s_clause 0x2
	buffer_load_dword v82, off, s[0:3], 0 offset:780
	buffer_load_dword v28, off, s[0:3], 0 offset:756
	;; [unrolled: 1-line block ×3, first 2 shown]
	ds_read_b128 v[9:12], v70 offset:1568
	s_waitcnt vmcnt(58) lgkmcnt(1)
	v_mul_f64 v[77:78], v[1:2], v[37:38]
	v_mul_f64 v[37:38], v[3:4], v[37:38]
	s_waitcnt vmcnt(56)
	v_fma_f64 v[19:20], v[5:6], v[25:26], -v[19:20]
	v_fma_f64 v[25:26], v[7:8], v[25:26], v[130:131]
	v_add_f64 v[15:16], v[15:16], v[75:76]
	v_add_f64 v[13:14], v[13:14], v[33:34]
	s_clause 0x4
	buffer_load_dword v34, off, s[0:3], 0 offset:796
	buffer_load_dword v75, off, s[0:3], 0 offset:808
	;; [unrolled: 1-line block ×5, first 2 shown]
	ds_read_b128 v[5:8], v70 offset:1584
	s_waitcnt vmcnt(57) lgkmcnt(1)
	v_mul_f64 v[129:130], v[9:10], v[23:24]
	v_mul_f64 v[23:24], v[11:12], v[23:24]
	s_waitcnt vmcnt(56)
	v_fma_f64 v[37:38], v[1:2], v[85:86], -v[37:38]
	v_add_f64 v[15:16], v[15:16], v[19:20]
	v_fma_f64 v[19:20], v[3:4], v[85:86], v[77:78]
	v_add_f64 v[13:14], v[13:14], v[25:26]
	s_clause 0x2
	buffer_load_dword v76, off, s[0:3], 0 offset:812
	buffer_load_dword v26, off, s[0:3], 0 offset:788
	;; [unrolled: 1-line block ×3, first 2 shown]
	s_waitcnt vmcnt(58) lgkmcnt(0)
	v_mul_f64 v[77:78], v[5:6], v[45:46]
	v_mul_f64 v[45:46], v[7:8], v[45:46]
	ds_read_b128 v[1:4], v70 offset:1600
	s_waitcnt vmcnt(56)
	v_fma_f64 v[23:24], v[9:10], v[31:32], -v[23:24]
	v_fma_f64 v[31:32], v[11:12], v[31:32], v[129:130]
	v_add_f64 v[15:16], v[15:16], v[37:38]
	v_add_f64 v[13:14], v[13:14], v[19:20]
	s_clause 0x4
	buffer_load_dword v20, off, s[0:3], 0 offset:828
	buffer_load_dword v37, off, s[0:3], 0 offset:840
	;; [unrolled: 1-line block ×5, first 2 shown]
	ds_read_b128 v[9:12], v70 offset:1616
	s_waitcnt vmcnt(57) lgkmcnt(1)
	v_mul_f64 v[86:87], v[1:2], v[29:30]
	v_mul_f64 v[29:30], v[3:4], v[29:30]
	s_waitcnt vmcnt(56)
	v_fma_f64 v[45:46], v[5:6], v[71:72], -v[45:46]
	v_add_f64 v[15:16], v[15:16], v[23:24]
	v_fma_f64 v[23:24], v[7:8], v[71:72], v[77:78]
	v_add_f64 v[13:14], v[13:14], v[31:32]
	s_clause 0x2
	buffer_load_dword v38, off, s[0:3], 0 offset:844
	buffer_load_dword v32, off, s[0:3], 0 offset:820
	;; [unrolled: 1-line block ×3, first 2 shown]
	s_waitcnt vmcnt(58) lgkmcnt(0)
	v_mul_f64 v[71:72], v[9:10], v[51:52]
	v_mul_f64 v[51:52], v[11:12], v[51:52]
	ds_read_b128 v[5:8], v70 offset:1632
	s_waitcnt vmcnt(56)
	v_fma_f64 v[29:30], v[1:2], v[41:42], -v[29:30]
	v_fma_f64 v[41:42], v[3:4], v[41:42], v[86:87]
	v_add_f64 v[15:16], v[15:16], v[45:46]
	v_add_f64 v[13:14], v[13:14], v[23:24]
	s_clause 0x4
	buffer_load_dword v24, off, s[0:3], 0 offset:860
	buffer_load_dword v45, off, s[0:3], 0 offset:872
	buffer_load_dword v77, off, s[0:3], 0 offset:864
	buffer_load_dword v23, off, s[0:3], 0 offset:856
	buffer_load_dword v86, off, s[0:3], 0 offset:836
	ds_read_b128 v[1:4], v70 offset:1648
	s_waitcnt vmcnt(57) lgkmcnt(1)
	v_mul_f64 v[130:131], v[5:6], v[35:36]
	v_mul_f64 v[35:36], v[7:8], v[35:36]
	s_waitcnt vmcnt(56)
	v_fma_f64 v[51:52], v[9:10], v[53:54], -v[51:52]
	v_add_f64 v[15:16], v[15:16], v[29:30]
	v_fma_f64 v[29:30], v[11:12], v[53:54], v[71:72]
	v_add_f64 v[13:14], v[13:14], v[41:42]
	s_clause 0x2
	buffer_load_dword v46, off, s[0:3], 0 offset:876
	buffer_load_dword v42, off, s[0:3], 0 offset:852
	buffer_load_dword v41, off, s[0:3], 0 offset:848
	ds_read_b128 v[9:12], v70 offset:1664
	s_waitcnt vmcnt(58) lgkmcnt(1)
	v_mul_f64 v[53:54], v[1:2], v[59:60]
	v_mul_f64 v[59:60], v[3:4], v[59:60]
	s_waitcnt vmcnt(56)
	v_fma_f64 v[35:36], v[5:6], v[39:40], -v[35:36]
	v_fma_f64 v[39:40], v[7:8], v[39:40], v[130:131]
	v_add_f64 v[15:16], v[15:16], v[51:52]
	v_add_f64 v[13:14], v[13:14], v[29:30]
	s_clause 0x4
	buffer_load_dword v30, off, s[0:3], 0 offset:892
	buffer_load_dword v51, off, s[0:3], 0 offset:904
	buffer_load_dword v71, off, s[0:3], 0 offset:896
	buffer_load_dword v29, off, s[0:3], 0 offset:888
	buffer_load_dword v78, off, s[0:3], 0 offset:868
	ds_read_b128 v[5:8], v70 offset:1680
	s_waitcnt vmcnt(57) lgkmcnt(1)
	v_mul_f64 v[130:131], v[9:10], v[43:44]
	v_mul_f64 v[43:44], v[11:12], v[43:44]
	s_waitcnt vmcnt(56)
	v_fma_f64 v[59:60], v[1:2], v[61:62], -v[59:60]
	v_add_f64 v[15:16], v[15:16], v[35:36]
	v_fma_f64 v[35:36], v[3:4], v[61:62], v[53:54]
	v_add_f64 v[13:14], v[13:14], v[39:40]
	s_clause 0x2
	buffer_load_dword v52, off, s[0:3], 0 offset:908
	buffer_load_dword v40, off, s[0:3], 0 offset:884
	buffer_load_dword v39, off, s[0:3], 0 offset:880
	ds_read_b128 v[1:4], v70 offset:1696
	s_waitcnt vmcnt(58) lgkmcnt(1)
	v_mul_f64 v[61:62], v[7:8], v[65:66]
	v_mul_f64 v[53:54], v[5:6], v[65:66]
	;; [unrolled: 28-line block ×4, first 2 shown]
	s_waitcnt vmcnt(56)
	v_fma_f64 v[57:58], v[5:6], v[63:64], -v[57:58]
	v_add_f64 v[15:16], v[15:16], v[55:56]
	v_fma_f64 v[55:56], v[7:8], v[63:64], v[130:131]
	v_add_f64 v[13:14], v[13:14], v[49:50]
	s_clause 0x4
	buffer_load_dword v50, off, s[0:3], 0 offset:988
	buffer_load_dword v63, off, s[0:3], 0 offset:1000
	;; [unrolled: 1-line block ×5, first 2 shown]
	ds_read_b128 v[5:8], v70 offset:1776
	s_waitcnt vmcnt(57) lgkmcnt(1)
	v_mul_f64 v[130:131], v[9:10], v[21:22]
	v_mul_f64 v[21:22], v[11:12], v[21:22]
	s_waitcnt vmcnt(56)
	v_fma_f64 v[73:74], v[1:2], v[83:84], -v[73:74]
	v_fma_f64 v[53:54], v[3:4], v[83:84], v[53:54]
	v_add_f64 v[15:16], v[15:16], v[57:58]
	v_add_f64 v[13:14], v[13:14], v[55:56]
	s_clause 0x2
	buffer_load_dword v64, off, s[0:3], 0 offset:1004
	buffer_load_dword v56, off, s[0:3], 0 offset:980
	;; [unrolled: 1-line block ×3, first 2 shown]
	ds_read_b128 v[1:4], v70 offset:1792
	s_waitcnt vmcnt(58) lgkmcnt(1)
	v_mul_f64 v[57:58], v[5:6], v[81:82]
	v_mul_f64 v[81:82], v[7:8], v[81:82]
	s_waitcnt vmcnt(56)
	v_fma_f64 v[21:22], v[9:10], v[27:28], -v[21:22]
	v_fma_f64 v[27:28], v[11:12], v[27:28], v[130:131]
	v_add_f64 v[15:16], v[15:16], v[73:74]
	v_add_f64 v[13:14], v[13:14], v[53:54]
	s_clause 0x4
	buffer_load_dword v54, off, s[0:3], 0 offset:1020
	buffer_load_dword v73, off, s[0:3], 0 offset:1032
	buffer_load_dword v83, off, s[0:3], 0 offset:1024
	buffer_load_dword v53, off, s[0:3], 0 offset:1016
	buffer_load_dword v80, off, s[0:3], 0 offset:996
	ds_read_b128 v[9:12], v70 offset:1808
	s_waitcnt vmcnt(57) lgkmcnt(1)
	v_mul_f64 v[130:131], v[1:2], v[33:34]
	v_mul_f64 v[33:34], v[3:4], v[33:34]
	s_waitcnt vmcnt(56)
	v_fma_f64 v[81:82], v[5:6], v[126:127], -v[81:82]
	v_add_f64 v[15:16], v[15:16], v[21:22]
	v_fma_f64 v[21:22], v[7:8], v[126:127], v[57:58]
	v_add_f64 v[13:14], v[13:14], v[27:28]
	s_clause 0x2
	buffer_load_dword v74, off, s[0:3], 0 offset:1036
	buffer_load_dword v28, off, s[0:3], 0 offset:1012
	;; [unrolled: 1-line block ×3, first 2 shown]
	ds_read_b128 v[5:8], v70 offset:1824
	buffer_load_dword v84, off, s[0:3], 0 offset:1028
	s_waitcnt vmcnt(59) lgkmcnt(1)
	v_mul_f64 v[57:58], v[9:10], v[75:76]
	v_mul_f64 v[75:76], v[11:12], v[75:76]
	s_waitcnt vmcnt(57)
	v_fma_f64 v[33:34], v[1:2], v[25:26], -v[33:34]
	v_fma_f64 v[25:26], v[3:4], v[25:26], v[130:131]
	ds_read_b128 v[1:4], v70 offset:1840
	v_add_f64 v[15:16], v[15:16], v[81:82]
	v_add_f64 v[13:14], v[13:14], v[21:22]
	s_waitcnt vmcnt(53) lgkmcnt(1)
	v_mul_f64 v[21:22], v[5:6], v[19:20]
	v_mul_f64 v[19:20], v[7:8], v[19:20]
	s_waitcnt vmcnt(52)
	v_fma_f64 v[75:76], v[9:10], v[128:129], -v[75:76]
	v_add_f64 v[15:16], v[15:16], v[33:34]
	v_fma_f64 v[33:34], v[11:12], v[128:129], v[57:58]
	v_add_f64 v[13:14], v[13:14], v[25:26]
	ds_read_b128 v[9:12], v70 offset:1856
	s_waitcnt vmcnt(51) lgkmcnt(1)
	v_mul_f64 v[25:26], v[1:2], v[37:38]
	v_mul_f64 v[37:38], v[3:4], v[37:38]
	s_waitcnt vmcnt(49)
	v_fma_f64 v[19:20], v[5:6], v[31:32], -v[19:20]
	v_fma_f64 v[21:22], v[7:8], v[31:32], v[21:22]
	v_add_f64 v[15:16], v[15:16], v[75:76]
	v_add_f64 v[13:14], v[13:14], v[33:34]
	s_clause 0x3
	buffer_load_dword v31, off, s[0:3], 0 offset:176
	buffer_load_dword v32, off, s[0:3], 0 offset:180
	;; [unrolled: 1-line block ×4, first 2 shown]
	ds_read_b128 v[5:8], v70 offset:1872
	s_waitcnt vmcnt(49) lgkmcnt(1)
	v_mul_f64 v[57:58], v[9:10], v[23:24]
	v_mul_f64 v[23:24], v[11:12], v[23:24]
	s_waitcnt vmcnt(48)
	v_fma_f64 v[37:38], v[1:2], v[85:86], -v[37:38]
	v_add_f64 v[15:16], v[15:16], v[19:20]
	v_fma_f64 v[19:20], v[3:4], v[85:86], v[25:26]
	v_add_f64 v[13:14], v[13:14], v[21:22]
	ds_read_b128 v[1:4], v70 offset:1888
	s_waitcnt vmcnt(47) lgkmcnt(1)
	v_mul_f64 v[25:26], v[7:8], v[45:46]
	v_mul_f64 v[21:22], v[5:6], v[45:46]
	s_waitcnt vmcnt(45)
	v_fma_f64 v[23:24], v[9:10], v[41:42], -v[23:24]
	v_add_f64 v[15:16], v[15:16], v[37:38]
	v_fma_f64 v[37:38], v[11:12], v[41:42], v[57:58]
	v_add_f64 v[13:14], v[13:14], v[19:20]
	ds_read_b128 v[9:12], v70 offset:1904
	s_waitcnt vmcnt(41) lgkmcnt(1)
	v_mul_f64 v[19:20], v[1:2], v[29:30]
	v_mul_f64 v[29:30], v[3:4], v[29:30]
	s_waitcnt vmcnt(40)
	v_fma_f64 v[25:26], v[5:6], v[77:78], -v[25:26]
	v_fma_f64 v[21:22], v[7:8], v[77:78], v[21:22]
	ds_read_b128 v[5:8], v70 offset:1920
	v_add_f64 v[15:16], v[15:16], v[23:24]
	v_add_f64 v[13:14], v[13:14], v[37:38]
	s_waitcnt vmcnt(39) lgkmcnt(1)
	v_mul_f64 v[37:38], v[11:12], v[51:52]
	v_mul_f64 v[23:24], v[9:10], v[51:52]
	s_waitcnt vmcnt(37)
	v_fma_f64 v[29:30], v[1:2], v[39:40], -v[29:30]
	v_fma_f64 v[19:20], v[3:4], v[39:40], v[19:20]
	ds_read_b128 v[1:4], v70 offset:1936
	v_add_f64 v[15:16], v[15:16], v[25:26]
	v_add_f64 v[13:14], v[13:14], v[21:22]
	;; [unrolled: 9-line block ×4, first 2 shown]
	s_waitcnt vmcnt(25) lgkmcnt(1)
	v_mul_f64 v[35:36], v[11:12], v[43:44]
	s_waitcnt vmcnt(24)
	v_fma_f64 v[29:30], v[1:2], v[65:66], -v[29:30]
	v_mul_f64 v[23:24], v[9:10], v[43:44]
	v_fma_f64 v[19:20], v[3:4], v[65:66], v[19:20]
	ds_read_b128 v[1:4], v70 offset:1984
	v_add_f64 v[15:16], v[15:16], v[25:26]
	v_add_f64 v[13:14], v[13:14], v[21:22]
	s_waitcnt vmcnt(23) lgkmcnt(1)
	v_mul_f64 v[25:26], v[7:8], v[61:62]
	v_mul_f64 v[21:22], v[5:6], v[61:62]
	s_waitcnt vmcnt(21)
	v_fma_f64 v[35:36], v[9:10], v[17:18], -v[35:36]
	v_fma_f64 v[17:18], v[11:12], v[17:18], v[23:24]
	ds_read_b128 v[9:12], v70 offset:2000
	v_add_f64 v[15:16], v[15:16], v[29:30]
	v_add_f64 v[13:14], v[13:14], v[19:20]
	s_waitcnt vmcnt(17) lgkmcnt(1)
	v_mul_f64 v[23:24], v[3:4], v[49:50]
	s_waitcnt vmcnt(16)
	v_fma_f64 v[25:26], v[5:6], v[67:68], -v[25:26]
	v_mul_f64 v[19:20], v[1:2], v[49:50]
	v_fma_f64 v[21:22], v[7:8], v[67:68], v[21:22]
	ds_read_b128 v[5:8], v70 offset:2016
	v_add_f64 v[15:16], v[15:16], v[35:36]
	v_add_f64 v[13:14], v[13:14], v[17:18]
	s_waitcnt vmcnt(15) lgkmcnt(1)
	v_mul_f64 v[29:30], v[11:12], v[63:64]
	v_mul_f64 v[17:18], v[9:10], v[63:64]
	s_waitcnt vmcnt(13)
	v_fma_f64 v[23:24], v[1:2], v[55:56], -v[23:24]
	v_fma_f64 v[19:20], v[3:4], v[55:56], v[19:20]
	ds_read_b128 v[1:4], v70 offset:2032
	v_add_f64 v[15:16], v[15:16], v[25:26]
	v_add_f64 v[13:14], v[13:14], v[21:22]
	s_waitcnt vmcnt(9) lgkmcnt(1)
	v_mul_f64 v[25:26], v[7:8], v[53:54]
	s_waitcnt vmcnt(8)
	v_fma_f64 v[9:10], v[9:10], v[79:80], -v[29:30]
	v_mul_f64 v[21:22], v[5:6], v[53:54]
	v_fma_f64 v[11:12], v[11:12], v[79:80], v[17:18]
	v_add_f64 v[15:16], v[15:16], v[23:24]
	v_add_f64 v[13:14], v[13:14], v[19:20]
	s_waitcnt vmcnt(7) lgkmcnt(0)
	v_mul_f64 v[19:20], v[3:4], v[73:74]
	v_mul_f64 v[17:18], v[1:2], v[73:74]
	s_waitcnt vmcnt(5)
	v_fma_f64 v[5:6], v[5:6], v[27:28], -v[25:26]
	v_fma_f64 v[7:8], v[7:8], v[27:28], v[21:22]
	v_add_f64 v[9:10], v[15:16], v[9:10]
	v_add_f64 v[11:12], v[13:14], v[11:12]
	s_waitcnt vmcnt(4)
	v_fma_f64 v[1:2], v[1:2], v[83:84], -v[19:20]
	v_fma_f64 v[3:4], v[3:4], v[83:84], v[17:18]
	v_add_f64 v[5:6], v[9:10], v[5:6]
	v_add_f64 v[7:8], v[11:12], v[7:8]
	;; [unrolled: 1-line block ×4, first 2 shown]
	s_waitcnt vmcnt(2)
	v_add_f64 v[1:2], v[31:32], -v[1:2]
	s_waitcnt vmcnt(0)
	v_add_f64 v[3:4], v[33:34], -v[3:4]
	buffer_store_dword v2, off, s[0:3], 0 offset:180
	buffer_store_dword v1, off, s[0:3], 0 offset:176
	buffer_store_dword v4, off, s[0:3], 0 offset:188
	buffer_store_dword v3, off, s[0:3], 0 offset:184
	v_cmpx_lt_u32_e32 9, v0
	s_cbranch_execz .LBB63_391
; %bb.390:
	v_mov_b32_e32 v4, s69
	s_clause 0x3
	buffer_load_dword v1, v4, s[0:3], 0 offen
	buffer_load_dword v2, v4, s[0:3], 0 offen offset:4
	buffer_load_dword v3, v4, s[0:3], 0 offen offset:8
	;; [unrolled: 1-line block ×3, first 2 shown]
	buffer_store_dword v70, off, s[0:3], 0 offset:160
	buffer_store_dword v70, off, s[0:3], 0 offset:164
	;; [unrolled: 1-line block ×4, first 2 shown]
	s_waitcnt vmcnt(0)
	ds_write_b128 v69, v[1:4]
.LBB63_391:
	s_or_b32 exec_lo, exec_lo, s4
	s_waitcnt lgkmcnt(0)
	s_waitcnt_vscnt null, 0x0
	s_barrier
	buffer_gl0_inv
	s_clause 0x37
	buffer_load_dword v17, off, s[0:3], 0 offset:184
	buffer_load_dword v18, off, s[0:3], 0 offset:188
	;; [unrolled: 1-line block ×56, first 2 shown]
	ds_read_b128 v[5:8], v70 offset:1184
	s_clause 0x2
	buffer_load_dword v66, off, s[0:3], 0 offset:412
	buffer_load_dword v68, off, s[0:3], 0 offset:388
	;; [unrolled: 1-line block ×3, first 2 shown]
	ds_read_b128 v[1:4], v70 offset:1200
	s_clause 0x4
	buffer_load_dword v78, off, s[0:3], 0 offset:428
	buffer_load_dword v79, off, s[0:3], 0 offset:440
	;; [unrolled: 1-line block ×5, first 2 shown]
	ds_read_b128 v[71:74], v70 offset:1216
	s_mov_b32 s4, exec_lo
	s_waitcnt vmcnt(62) lgkmcnt(2)
	v_mul_f64 v[75:76], v[7:8], v[17:18]
	v_mul_f64 v[17:18], v[5:6], v[17:18]
	s_waitcnt vmcnt(60) lgkmcnt(1)
	v_mul_f64 v[82:83], v[3:4], v[13:14]
	v_mul_f64 v[13:14], v[1:2], v[13:14]
	;; [unrolled: 3-line block ×3, first 2 shown]
	v_fma_f64 v[75:76], v[5:6], v[15:16], -v[75:76]
	v_fma_f64 v[15:16], v[7:8], v[15:16], v[17:18]
	s_clause 0x2
	buffer_load_dword v80, off, s[0:3], 0 offset:444
	buffer_load_dword v18, off, s[0:3], 0 offset:420
	;; [unrolled: 1-line block ×3, first 2 shown]
	s_waitcnt vmcnt(57)
	v_fma_f64 v[86:87], v[1:2], v[9:10], -v[82:83]
	ds_read_b128 v[5:8], v70 offset:1232
	v_fma_f64 v[9:10], v[3:4], v[9:10], v[13:14]
	s_waitcnt vmcnt(51)
	v_fma_f64 v[71:72], v[71:72], v[33:34], -v[11:12]
	v_fma_f64 v[33:34], v[73:74], v[33:34], v[84:85]
	v_add_f64 v[75:76], v[75:76], 0
	v_add_f64 v[13:14], v[15:16], 0
	s_clause 0x4
	buffer_load_dword v16, off, s[0:3], 0 offset:460
	buffer_load_dword v83, off, s[0:3], 0 offset:472
	;; [unrolled: 1-line block ×5, first 2 shown]
	s_waitcnt lgkmcnt(0)
	v_mul_f64 v[127:128], v[5:6], v[21:22]
	v_mul_f64 v[21:22], v[7:8], v[21:22]
	ds_read_b128 v[1:4], v70 offset:1248
	s_clause 0x2
	buffer_load_dword v84, off, s[0:3], 0 offset:476
	buffer_load_dword v74, off, s[0:3], 0 offset:452
	buffer_load_dword v73, off, s[0:3], 0 offset:448
	v_add_f64 v[75:76], v[75:76], v[86:87]
	v_add_f64 v[13:14], v[13:14], v[9:10]
	ds_read_b128 v[9:12], v70 offset:1264
	s_waitcnt vmcnt(58) lgkmcnt(1)
	v_mul_f64 v[85:86], v[1:2], v[25:26]
	v_mul_f64 v[25:26], v[3:4], v[25:26]
	s_waitcnt vmcnt(56)
	v_fma_f64 v[21:22], v[5:6], v[27:28], -v[21:22]
	v_fma_f64 v[27:28], v[7:8], v[27:28], v[127:128]
	s_waitcnt vmcnt(52) lgkmcnt(0)
	v_mul_f64 v[129:130], v[9:10], v[29:30]
	v_add_f64 v[71:72], v[75:76], v[71:72]
	v_add_f64 v[13:14], v[13:14], v[33:34]
	s_clause 0x4
	buffer_load_dword v34, off, s[0:3], 0 offset:492
	buffer_load_dword v75, off, s[0:3], 0 offset:504
	;; [unrolled: 1-line block ×5, first 2 shown]
	v_mul_f64 v[29:30], v[11:12], v[29:30]
	s_waitcnt vmcnt(56)
	v_fma_f64 v[25:26], v[1:2], v[19:20], -v[25:26]
	ds_read_b128 v[5:8], v70 offset:1280
	v_fma_f64 v[19:20], v[3:4], v[19:20], v[85:86]
	v_add_f64 v[21:22], v[71:72], v[21:22]
	v_add_f64 v[13:14], v[13:14], v[27:28]
	s_clause 0x2
	buffer_load_dword v76, off, s[0:3], 0 offset:508
	buffer_load_dword v28, off, s[0:3], 0 offset:484
	;; [unrolled: 1-line block ×3, first 2 shown]
	s_waitcnt vmcnt(58) lgkmcnt(0)
	v_mul_f64 v[71:72], v[5:6], v[35:36]
	v_mul_f64 v[35:36], v[7:8], v[35:36]
	s_waitcnt vmcnt(56)
	v_fma_f64 v[29:30], v[9:10], v[37:38], -v[29:30]
	ds_read_b128 v[1:4], v70 offset:1296
	v_add_f64 v[21:22], v[21:22], v[25:26]
	v_fma_f64 v[25:26], v[11:12], v[37:38], v[129:130]
	v_add_f64 v[13:14], v[13:14], v[19:20]
	s_clause 0x4
	buffer_load_dword v20, off, s[0:3], 0 offset:524
	buffer_load_dword v37, off, s[0:3], 0 offset:536
	buffer_load_dword v85, off, s[0:3], 0 offset:528
	buffer_load_dword v19, off, s[0:3], 0 offset:520
	buffer_load_dword v129, off, s[0:3], 0 offset:500
	s_waitcnt vmcnt(57) lgkmcnt(0)
	v_mul_f64 v[86:87], v[1:2], v[39:40]
	v_mul_f64 v[39:40], v[3:4], v[39:40]
	s_waitcnt vmcnt(56)
	v_fma_f64 v[35:36], v[5:6], v[23:24], -v[35:36]
	ds_read_b128 v[9:12], v70 offset:1312
	v_fma_f64 v[23:24], v[7:8], v[23:24], v[71:72]
	v_add_f64 v[21:22], v[21:22], v[29:30]
	v_add_f64 v[13:14], v[13:14], v[25:26]
	s_clause 0x2
	buffer_load_dword v38, off, s[0:3], 0 offset:540
	buffer_load_dword v26, off, s[0:3], 0 offset:516
	;; [unrolled: 1-line block ×3, first 2 shown]
	ds_read_b128 v[5:8], v70 offset:1328
	s_waitcnt vmcnt(58) lgkmcnt(1)
	v_mul_f64 v[29:30], v[9:10], v[43:44]
	v_mul_f64 v[43:44], v[11:12], v[43:44]
	s_waitcnt vmcnt(56)
	v_fma_f64 v[39:40], v[1:2], v[45:46], -v[39:40]
	v_add_f64 v[21:22], v[21:22], v[35:36]
	v_fma_f64 v[35:36], v[3:4], v[45:46], v[86:87]
	v_add_f64 v[13:14], v[13:14], v[23:24]
	s_clause 0x4
	buffer_load_dword v24, off, s[0:3], 0 offset:556
	buffer_load_dword v45, off, s[0:3], 0 offset:568
	;; [unrolled: 1-line block ×5, first 2 shown]
	s_waitcnt vmcnt(57) lgkmcnt(0)
	v_mul_f64 v[130:131], v[5:6], v[47:48]
	v_mul_f64 v[47:48], v[7:8], v[47:48]
	s_waitcnt vmcnt(56)
	v_fma_f64 v[43:44], v[9:10], v[31:32], -v[43:44]
	ds_read_b128 v[1:4], v70 offset:1344
	v_fma_f64 v[29:30], v[11:12], v[31:32], v[29:30]
	s_clause 0x2
	buffer_load_dword v46, off, s[0:3], 0 offset:572
	buffer_load_dword v32, off, s[0:3], 0 offset:548
	;; [unrolled: 1-line block ×3, first 2 shown]
	ds_read_b128 v[9:12], v70 offset:1360
	v_add_f64 v[21:22], v[21:22], v[39:40]
	v_add_f64 v[13:14], v[13:14], v[35:36]
	s_waitcnt vmcnt(58) lgkmcnt(1)
	v_mul_f64 v[39:40], v[3:4], v[51:52]
	s_waitcnt vmcnt(56)
	v_fma_f64 v[47:48], v[5:6], v[53:54], -v[47:48]
	v_mul_f64 v[35:36], v[1:2], v[51:52]
	v_add_f64 v[21:22], v[21:22], v[43:44]
	v_fma_f64 v[43:44], v[7:8], v[53:54], v[130:131]
	v_add_f64 v[13:14], v[13:14], v[29:30]
	s_clause 0x4
	buffer_load_dword v30, off, s[0:3], 0 offset:588
	buffer_load_dword v51, off, s[0:3], 0 offset:600
	;; [unrolled: 1-line block ×5, first 2 shown]
	s_waitcnt vmcnt(57) lgkmcnt(0)
	v_mul_f64 v[130:131], v[9:10], v[55:56]
	v_mul_f64 v[54:55], v[11:12], v[55:56]
	s_waitcnt vmcnt(56)
	v_fma_f64 v[39:40], v[1:2], v[41:42], -v[39:40]
	ds_read_b128 v[5:8], v70 offset:1376
	v_fma_f64 v[35:36], v[3:4], v[41:42], v[35:36]
	s_clause 0x2
	buffer_load_dword v52, off, s[0:3], 0 offset:604
	buffer_load_dword v42, off, s[0:3], 0 offset:580
	;; [unrolled: 1-line block ×3, first 2 shown]
	ds_read_b128 v[1:4], v70 offset:1392
	v_add_f64 v[21:22], v[21:22], v[47:48]
	v_add_f64 v[13:14], v[13:14], v[43:44]
	s_waitcnt vmcnt(58) lgkmcnt(1)
	v_mul_f64 v[47:48], v[7:8], v[59:60]
	s_waitcnt vmcnt(56)
	v_fma_f64 v[55:56], v[9:10], v[61:62], -v[54:55]
	v_mul_f64 v[43:44], v[5:6], v[59:60]
	v_add_f64 v[21:22], v[21:22], v[39:40]
	v_fma_f64 v[39:40], v[11:12], v[61:62], v[130:131]
	v_add_f64 v[13:14], v[13:14], v[35:36]
	s_clause 0x4
	buffer_load_dword v36, off, s[0:3], 0 offset:620
	buffer_load_dword v59, off, s[0:3], 0 offset:632
	buffer_load_dword v61, off, s[0:3], 0 offset:624
	buffer_load_dword v35, off, s[0:3], 0 offset:616
	buffer_load_dword v54, off, s[0:3], 0 offset:596
	s_waitcnt vmcnt(57) lgkmcnt(0)
	v_mul_f64 v[130:131], v[1:2], v[63:64]
	v_mul_f64 v[62:63], v[3:4], v[63:64]
	s_waitcnt vmcnt(56)
	v_fma_f64 v[47:48], v[5:6], v[49:50], -v[47:48]
	ds_read_b128 v[9:12], v70 offset:1408
	v_fma_f64 v[43:44], v[7:8], v[49:50], v[43:44]
	v_add_f64 v[21:22], v[21:22], v[55:56]
	v_add_f64 v[13:14], v[13:14], v[39:40]
	s_clause 0x2
	buffer_load_dword v60, off, s[0:3], 0 offset:636
	buffer_load_dword v40, off, s[0:3], 0 offset:612
	;; [unrolled: 1-line block ×3, first 2 shown]
	ds_read_b128 v[5:8], v70 offset:1424
	s_waitcnt vmcnt(58) lgkmcnt(1)
	v_mul_f64 v[55:56], v[11:12], v[65:66]
	s_waitcnt vmcnt(56)
	v_fma_f64 v[63:64], v[1:2], v[67:68], -v[62:63]
	v_mul_f64 v[49:50], v[9:10], v[65:66]
	v_add_f64 v[21:22], v[21:22], v[47:48]
	v_fma_f64 v[47:48], v[3:4], v[67:68], v[130:131]
	v_add_f64 v[13:14], v[13:14], v[43:44]
	s_clause 0x4
	buffer_load_dword v44, off, s[0:3], 0 offset:652
	buffer_load_dword v65, off, s[0:3], 0 offset:664
	buffer_load_dword v67, off, s[0:3], 0 offset:656
	buffer_load_dword v43, off, s[0:3], 0 offset:648
	buffer_load_dword v62, off, s[0:3], 0 offset:628
	s_waitcnt vmcnt(57) lgkmcnt(0)
	v_mul_f64 v[130:131], v[5:6], v[77:78]
	v_mul_f64 v[77:78], v[7:8], v[77:78]
	s_waitcnt vmcnt(56)
	v_fma_f64 v[55:56], v[9:10], v[57:58], -v[55:56]
	ds_read_b128 v[1:4], v70 offset:1440
	v_fma_f64 v[49:50], v[11:12], v[57:58], v[49:50]
	v_add_f64 v[21:22], v[21:22], v[63:64]
	v_add_f64 v[13:14], v[13:14], v[47:48]
	s_clause 0x2
	buffer_load_dword v66, off, s[0:3], 0 offset:668
	buffer_load_dword v48, off, s[0:3], 0 offset:644
	;; [unrolled: 1-line block ×3, first 2 shown]
	ds_read_b128 v[9:12], v70 offset:1456
	s_waitcnt vmcnt(58) lgkmcnt(1)
	v_mul_f64 v[63:64], v[3:4], v[79:80]
	v_mul_f64 v[57:58], v[1:2], v[79:80]
	s_waitcnt vmcnt(56)
	v_fma_f64 v[77:78], v[5:6], v[17:18], -v[77:78]
	v_fma_f64 v[17:18], v[7:8], v[17:18], v[130:131]
	v_add_f64 v[21:22], v[21:22], v[55:56]
	v_add_f64 v[13:14], v[13:14], v[49:50]
	s_clause 0x4
	buffer_load_dword v50, off, s[0:3], 0 offset:684
	buffer_load_dword v55, off, s[0:3], 0 offset:696
	;; [unrolled: 1-line block ×5, first 2 shown]
	ds_read_b128 v[5:8], v70 offset:1472
	s_waitcnt vmcnt(57) lgkmcnt(1)
	v_mul_f64 v[130:131], v[9:10], v[15:16]
	v_mul_f64 v[15:16], v[11:12], v[15:16]
	s_waitcnt vmcnt(56)
	v_fma_f64 v[63:64], v[1:2], v[81:82], -v[63:64]
	v_fma_f64 v[57:58], v[3:4], v[81:82], v[57:58]
	v_add_f64 v[21:22], v[21:22], v[77:78]
	v_add_f64 v[13:14], v[13:14], v[17:18]
	s_clause 0x2
	buffer_load_dword v56, off, s[0:3], 0 offset:700
	buffer_load_dword v18, off, s[0:3], 0 offset:676
	;; [unrolled: 1-line block ×3, first 2 shown]
	s_waitcnt vmcnt(58) lgkmcnt(0)
	v_mul_f64 v[81:82], v[7:8], v[83:84]
	ds_read_b128 v[1:4], v70 offset:1488
	v_mul_f64 v[77:78], v[5:6], v[83:84]
	s_waitcnt vmcnt(56)
	v_fma_f64 v[15:16], v[9:10], v[73:74], -v[15:16]
	v_add_f64 v[21:22], v[21:22], v[63:64]
	v_fma_f64 v[63:64], v[11:12], v[73:74], v[130:131]
	v_add_f64 v[13:14], v[13:14], v[57:58]
	s_clause 0x4
	buffer_load_dword v58, off, s[0:3], 0 offset:716
	buffer_load_dword v73, off, s[0:3], 0 offset:728
	;; [unrolled: 1-line block ×5, first 2 shown]
	ds_read_b128 v[9:12], v70 offset:1504
	s_waitcnt vmcnt(57) lgkmcnt(1)
	v_mul_f64 v[130:131], v[1:2], v[33:34]
	v_mul_f64 v[33:34], v[3:4], v[33:34]
	s_waitcnt vmcnt(56)
	v_fma_f64 v[81:82], v[5:6], v[126:127], -v[81:82]
	v_add_f64 v[15:16], v[21:22], v[15:16]
	v_fma_f64 v[21:22], v[7:8], v[126:127], v[77:78]
	v_add_f64 v[13:14], v[13:14], v[63:64]
	s_clause 0x2
	buffer_load_dword v74, off, s[0:3], 0 offset:732
	buffer_load_dword v64, off, s[0:3], 0 offset:708
	;; [unrolled: 1-line block ×3, first 2 shown]
	ds_read_b128 v[5:8], v70 offset:1520
	s_waitcnt vmcnt(58) lgkmcnt(1)
	v_mul_f64 v[77:78], v[9:10], v[75:76]
	v_mul_f64 v[75:76], v[11:12], v[75:76]
	s_waitcnt vmcnt(56)
	v_fma_f64 v[33:34], v[1:2], v[27:28], -v[33:34]
	v_fma_f64 v[27:28], v[3:4], v[27:28], v[130:131]
	v_add_f64 v[15:16], v[15:16], v[81:82]
	v_add_f64 v[13:14], v[13:14], v[21:22]
	s_clause 0x4
	buffer_load_dword v22, off, s[0:3], 0 offset:748
	buffer_load_dword v81, off, s[0:3], 0 offset:760
	;; [unrolled: 1-line block ×5, first 2 shown]
	ds_read_b128 v[1:4], v70 offset:1536
	s_waitcnt vmcnt(57) lgkmcnt(1)
	v_mul_f64 v[130:131], v[5:6], v[19:20]
	v_mul_f64 v[19:20], v[7:8], v[19:20]
	s_waitcnt vmcnt(56)
	v_fma_f64 v[75:76], v[9:10], v[128:129], -v[75:76]
	v_add_f64 v[15:16], v[15:16], v[33:34]
	v_fma_f64 v[33:34], v[11:12], v[128:129], v[77:78]
	v_add_f64 v[13:14], v[13:14], v[27:28]
	s_clause 0x2
	buffer_load_dword v82, off, s[0:3], 0 offset:764
	buffer_load_dword v28, off, s[0:3], 0 offset:740
	;; [unrolled: 1-line block ×3, first 2 shown]
	ds_read_b128 v[9:12], v70 offset:1552
	s_waitcnt vmcnt(58) lgkmcnt(1)
	v_mul_f64 v[77:78], v[1:2], v[37:38]
	v_mul_f64 v[37:38], v[3:4], v[37:38]
	s_waitcnt vmcnt(56)
	v_fma_f64 v[19:20], v[5:6], v[25:26], -v[19:20]
	v_fma_f64 v[25:26], v[7:8], v[25:26], v[130:131]
	v_add_f64 v[15:16], v[15:16], v[75:76]
	v_add_f64 v[13:14], v[13:14], v[33:34]
	s_clause 0x4
	buffer_load_dword v34, off, s[0:3], 0 offset:780
	buffer_load_dword v75, off, s[0:3], 0 offset:792
	;; [unrolled: 1-line block ×5, first 2 shown]
	ds_read_b128 v[5:8], v70 offset:1568
	s_waitcnt vmcnt(57) lgkmcnt(1)
	v_mul_f64 v[129:130], v[9:10], v[23:24]
	v_mul_f64 v[23:24], v[11:12], v[23:24]
	s_waitcnt vmcnt(56)
	v_fma_f64 v[37:38], v[1:2], v[85:86], -v[37:38]
	v_add_f64 v[15:16], v[15:16], v[19:20]
	v_fma_f64 v[19:20], v[3:4], v[85:86], v[77:78]
	v_add_f64 v[13:14], v[13:14], v[25:26]
	s_clause 0x2
	buffer_load_dword v76, off, s[0:3], 0 offset:796
	buffer_load_dword v26, off, s[0:3], 0 offset:772
	buffer_load_dword v25, off, s[0:3], 0 offset:768
	s_waitcnt vmcnt(58) lgkmcnt(0)
	v_mul_f64 v[77:78], v[5:6], v[45:46]
	v_mul_f64 v[45:46], v[7:8], v[45:46]
	ds_read_b128 v[1:4], v70 offset:1584
	s_waitcnt vmcnt(56)
	v_fma_f64 v[23:24], v[9:10], v[31:32], -v[23:24]
	v_fma_f64 v[31:32], v[11:12], v[31:32], v[129:130]
	v_add_f64 v[15:16], v[15:16], v[37:38]
	v_add_f64 v[13:14], v[13:14], v[19:20]
	s_clause 0x4
	buffer_load_dword v20, off, s[0:3], 0 offset:812
	buffer_load_dword v37, off, s[0:3], 0 offset:824
	;; [unrolled: 1-line block ×5, first 2 shown]
	ds_read_b128 v[9:12], v70 offset:1600
	s_waitcnt vmcnt(57) lgkmcnt(1)
	v_mul_f64 v[86:87], v[1:2], v[29:30]
	v_mul_f64 v[29:30], v[3:4], v[29:30]
	s_waitcnt vmcnt(56)
	v_fma_f64 v[45:46], v[5:6], v[71:72], -v[45:46]
	v_add_f64 v[15:16], v[15:16], v[23:24]
	v_fma_f64 v[23:24], v[7:8], v[71:72], v[77:78]
	v_add_f64 v[13:14], v[13:14], v[31:32]
	s_clause 0x2
	buffer_load_dword v38, off, s[0:3], 0 offset:828
	buffer_load_dword v32, off, s[0:3], 0 offset:804
	;; [unrolled: 1-line block ×3, first 2 shown]
	s_waitcnt vmcnt(58) lgkmcnt(0)
	v_mul_f64 v[71:72], v[9:10], v[51:52]
	v_mul_f64 v[51:52], v[11:12], v[51:52]
	ds_read_b128 v[5:8], v70 offset:1616
	s_waitcnt vmcnt(56)
	v_fma_f64 v[29:30], v[1:2], v[41:42], -v[29:30]
	v_fma_f64 v[41:42], v[3:4], v[41:42], v[86:87]
	v_add_f64 v[15:16], v[15:16], v[45:46]
	v_add_f64 v[13:14], v[13:14], v[23:24]
	s_clause 0x4
	buffer_load_dword v24, off, s[0:3], 0 offset:844
	buffer_load_dword v45, off, s[0:3], 0 offset:856
	buffer_load_dword v77, off, s[0:3], 0 offset:848
	buffer_load_dword v23, off, s[0:3], 0 offset:840
	buffer_load_dword v86, off, s[0:3], 0 offset:820
	ds_read_b128 v[1:4], v70 offset:1632
	s_waitcnt vmcnt(57) lgkmcnt(1)
	v_mul_f64 v[130:131], v[5:6], v[35:36]
	v_mul_f64 v[35:36], v[7:8], v[35:36]
	s_waitcnt vmcnt(56)
	v_fma_f64 v[51:52], v[9:10], v[53:54], -v[51:52]
	v_add_f64 v[15:16], v[15:16], v[29:30]
	v_fma_f64 v[29:30], v[11:12], v[53:54], v[71:72]
	v_add_f64 v[13:14], v[13:14], v[41:42]
	s_clause 0x2
	buffer_load_dword v46, off, s[0:3], 0 offset:860
	buffer_load_dword v42, off, s[0:3], 0 offset:836
	buffer_load_dword v41, off, s[0:3], 0 offset:832
	ds_read_b128 v[9:12], v70 offset:1648
	s_waitcnt vmcnt(58) lgkmcnt(1)
	v_mul_f64 v[53:54], v[1:2], v[59:60]
	v_mul_f64 v[59:60], v[3:4], v[59:60]
	s_waitcnt vmcnt(56)
	v_fma_f64 v[35:36], v[5:6], v[39:40], -v[35:36]
	v_fma_f64 v[39:40], v[7:8], v[39:40], v[130:131]
	v_add_f64 v[15:16], v[15:16], v[51:52]
	v_add_f64 v[13:14], v[13:14], v[29:30]
	s_clause 0x4
	buffer_load_dword v30, off, s[0:3], 0 offset:876
	buffer_load_dword v51, off, s[0:3], 0 offset:888
	buffer_load_dword v71, off, s[0:3], 0 offset:880
	buffer_load_dword v29, off, s[0:3], 0 offset:872
	buffer_load_dword v78, off, s[0:3], 0 offset:852
	ds_read_b128 v[5:8], v70 offset:1664
	s_waitcnt vmcnt(57) lgkmcnt(1)
	v_mul_f64 v[130:131], v[9:10], v[43:44]
	v_mul_f64 v[43:44], v[11:12], v[43:44]
	s_waitcnt vmcnt(56)
	v_fma_f64 v[59:60], v[1:2], v[61:62], -v[59:60]
	v_add_f64 v[15:16], v[15:16], v[35:36]
	v_fma_f64 v[35:36], v[3:4], v[61:62], v[53:54]
	v_add_f64 v[13:14], v[13:14], v[39:40]
	s_clause 0x2
	buffer_load_dword v52, off, s[0:3], 0 offset:892
	buffer_load_dword v40, off, s[0:3], 0 offset:868
	buffer_load_dword v39, off, s[0:3], 0 offset:864
	ds_read_b128 v[1:4], v70 offset:1680
	s_waitcnt vmcnt(58) lgkmcnt(1)
	v_mul_f64 v[61:62], v[7:8], v[65:66]
	v_mul_f64 v[53:54], v[5:6], v[65:66]
	;; [unrolled: 28-line block ×4, first 2 shown]
	s_waitcnt vmcnt(56)
	v_fma_f64 v[57:58], v[5:6], v[63:64], -v[57:58]
	v_add_f64 v[15:16], v[15:16], v[55:56]
	v_fma_f64 v[55:56], v[7:8], v[63:64], v[130:131]
	v_add_f64 v[13:14], v[13:14], v[49:50]
	s_clause 0x4
	buffer_load_dword v50, off, s[0:3], 0 offset:972
	buffer_load_dword v63, off, s[0:3], 0 offset:984
	;; [unrolled: 1-line block ×5, first 2 shown]
	ds_read_b128 v[5:8], v70 offset:1760
	s_waitcnt vmcnt(57) lgkmcnt(1)
	v_mul_f64 v[130:131], v[9:10], v[21:22]
	v_mul_f64 v[21:22], v[11:12], v[21:22]
	s_waitcnt vmcnt(56)
	v_fma_f64 v[73:74], v[1:2], v[83:84], -v[73:74]
	v_fma_f64 v[53:54], v[3:4], v[83:84], v[53:54]
	v_add_f64 v[15:16], v[15:16], v[57:58]
	v_add_f64 v[13:14], v[13:14], v[55:56]
	s_clause 0x2
	buffer_load_dword v64, off, s[0:3], 0 offset:988
	buffer_load_dword v56, off, s[0:3], 0 offset:964
	;; [unrolled: 1-line block ×3, first 2 shown]
	ds_read_b128 v[1:4], v70 offset:1776
	s_waitcnt vmcnt(58) lgkmcnt(1)
	v_mul_f64 v[57:58], v[5:6], v[81:82]
	v_mul_f64 v[81:82], v[7:8], v[81:82]
	s_waitcnt vmcnt(56)
	v_fma_f64 v[21:22], v[9:10], v[27:28], -v[21:22]
	v_fma_f64 v[27:28], v[11:12], v[27:28], v[130:131]
	v_add_f64 v[15:16], v[15:16], v[73:74]
	v_add_f64 v[13:14], v[13:14], v[53:54]
	s_clause 0x4
	buffer_load_dword v54, off, s[0:3], 0 offset:1004
	buffer_load_dword v73, off, s[0:3], 0 offset:1016
	buffer_load_dword v83, off, s[0:3], 0 offset:1008
	buffer_load_dword v53, off, s[0:3], 0 offset:1000
	buffer_load_dword v80, off, s[0:3], 0 offset:980
	ds_read_b128 v[9:12], v70 offset:1792
	s_waitcnt vmcnt(57) lgkmcnt(1)
	v_mul_f64 v[130:131], v[1:2], v[33:34]
	v_mul_f64 v[33:34], v[3:4], v[33:34]
	s_waitcnt vmcnt(56)
	v_fma_f64 v[81:82], v[5:6], v[126:127], -v[81:82]
	v_add_f64 v[15:16], v[15:16], v[21:22]
	v_fma_f64 v[21:22], v[7:8], v[126:127], v[57:58]
	v_add_f64 v[13:14], v[13:14], v[27:28]
	s_clause 0x2
	buffer_load_dword v74, off, s[0:3], 0 offset:1020
	buffer_load_dword v28, off, s[0:3], 0 offset:996
	;; [unrolled: 1-line block ×3, first 2 shown]
	ds_read_b128 v[5:8], v70 offset:1808
	s_waitcnt vmcnt(58) lgkmcnt(1)
	v_mul_f64 v[57:58], v[9:10], v[75:76]
	v_mul_f64 v[75:76], v[11:12], v[75:76]
	s_waitcnt vmcnt(56)
	v_fma_f64 v[33:34], v[1:2], v[25:26], -v[33:34]
	v_fma_f64 v[25:26], v[3:4], v[25:26], v[130:131]
	v_add_f64 v[15:16], v[15:16], v[81:82]
	v_add_f64 v[13:14], v[13:14], v[21:22]
	s_clause 0x2
	buffer_load_dword v22, off, s[0:3], 0 offset:1036
	buffer_load_dword v21, off, s[0:3], 0 offset:1032
	;; [unrolled: 1-line block ×3, first 2 shown]
	ds_read_b128 v[1:4], v70 offset:1824
	s_waitcnt vmcnt(55) lgkmcnt(1)
	v_mul_f64 v[81:82], v[5:6], v[19:20]
	v_mul_f64 v[19:20], v[7:8], v[19:20]
	s_waitcnt vmcnt(54)
	v_fma_f64 v[75:76], v[9:10], v[128:129], -v[75:76]
	v_add_f64 v[15:16], v[15:16], v[33:34]
	v_fma_f64 v[33:34], v[11:12], v[128:129], v[57:58]
	v_add_f64 v[13:14], v[13:14], v[25:26]
	s_clause 0x1
	buffer_load_dword v26, off, s[0:3], 0 offset:1028
	buffer_load_dword v25, off, s[0:3], 0 offset:1024
	ds_read_b128 v[9:12], v70 offset:1840
	s_waitcnt vmcnt(55) lgkmcnt(1)
	v_mul_f64 v[57:58], v[1:2], v[37:38]
	v_mul_f64 v[37:38], v[3:4], v[37:38]
	s_waitcnt vmcnt(53)
	v_fma_f64 v[19:20], v[5:6], v[31:32], -v[19:20]
	v_fma_f64 v[31:32], v[7:8], v[31:32], v[81:82]
	ds_read_b128 v[5:8], v70 offset:1856
	v_add_f64 v[15:16], v[15:16], v[75:76]
	v_add_f64 v[13:14], v[13:14], v[33:34]
	s_waitcnt vmcnt(49) lgkmcnt(1)
	v_mul_f64 v[33:34], v[9:10], v[23:24]
	v_mul_f64 v[23:24], v[11:12], v[23:24]
	s_waitcnt vmcnt(48)
	v_fma_f64 v[37:38], v[1:2], v[85:86], -v[37:38]
	v_add_f64 v[15:16], v[15:16], v[19:20]
	v_fma_f64 v[19:20], v[3:4], v[85:86], v[57:58]
	v_add_f64 v[13:14], v[13:14], v[31:32]
	s_clause 0x3
	buffer_load_dword v31, off, s[0:3], 0 offset:160
	buffer_load_dword v32, off, s[0:3], 0 offset:164
	;; [unrolled: 1-line block ×4, first 2 shown]
	ds_read_b128 v[1:4], v70 offset:1872
	s_waitcnt vmcnt(51) lgkmcnt(1)
	v_mul_f64 v[75:76], v[5:6], v[45:46]
	v_mul_f64 v[45:46], v[7:8], v[45:46]
	s_waitcnt vmcnt(49)
	v_fma_f64 v[23:24], v[9:10], v[41:42], -v[23:24]
	v_fma_f64 v[33:34], v[11:12], v[41:42], v[33:34]
	ds_read_b128 v[9:12], v70 offset:1888
	v_add_f64 v[15:16], v[15:16], v[37:38]
	v_add_f64 v[13:14], v[13:14], v[19:20]
	s_waitcnt vmcnt(45) lgkmcnt(1)
	v_mul_f64 v[19:20], v[1:2], v[29:30]
	v_mul_f64 v[29:30], v[3:4], v[29:30]
	s_waitcnt vmcnt(44)
	v_fma_f64 v[37:38], v[5:6], v[77:78], -v[45:46]
	v_add_f64 v[15:16], v[15:16], v[23:24]
	v_fma_f64 v[23:24], v[7:8], v[77:78], v[75:76]
	v_add_f64 v[13:14], v[13:14], v[33:34]
	ds_read_b128 v[5:8], v70 offset:1904
	s_waitcnt vmcnt(43) lgkmcnt(1)
	v_mul_f64 v[41:42], v[11:12], v[51:52]
	v_mul_f64 v[33:34], v[9:10], v[51:52]
	s_waitcnt vmcnt(41)
	v_fma_f64 v[29:30], v[1:2], v[39:40], -v[29:30]
	v_fma_f64 v[19:20], v[3:4], v[39:40], v[19:20]
	ds_read_b128 v[1:4], v70 offset:1920
	v_add_f64 v[15:16], v[15:16], v[37:38]
	v_add_f64 v[13:14], v[13:14], v[23:24]
	s_waitcnt vmcnt(37) lgkmcnt(1)
	v_mul_f64 v[23:24], v[5:6], v[35:36]
	v_mul_f64 v[35:36], v[7:8], v[35:36]
	s_waitcnt vmcnt(36)
	v_fma_f64 v[37:38], v[9:10], v[71:72], -v[41:42]
	v_add_f64 v[15:16], v[15:16], v[29:30]
	v_fma_f64 v[29:30], v[11:12], v[71:72], v[33:34]
	v_add_f64 v[13:14], v[13:14], v[19:20]
	ds_read_b128 v[9:12], v70 offset:1936
	s_waitcnt vmcnt(35) lgkmcnt(1)
	v_mul_f64 v[33:34], v[3:4], v[59:60]
	v_mul_f64 v[19:20], v[1:2], v[59:60]
	s_waitcnt vmcnt(33)
	v_fma_f64 v[35:36], v[5:6], v[47:48], -v[35:36]
	v_fma_f64 v[23:24], v[7:8], v[47:48], v[23:24]
	ds_read_b128 v[5:8], v70 offset:1952
	v_add_f64 v[15:16], v[15:16], v[37:38]
	v_add_f64 v[13:14], v[13:14], v[29:30]
	s_waitcnt vmcnt(29) lgkmcnt(1)
	v_mul_f64 v[37:38], v[11:12], v[43:44]
	s_waitcnt vmcnt(28)
	v_fma_f64 v[33:34], v[1:2], v[65:66], -v[33:34]
	v_mul_f64 v[29:30], v[9:10], v[43:44]
	v_fma_f64 v[19:20], v[3:4], v[65:66], v[19:20]
	ds_read_b128 v[1:4], v70 offset:1968
	v_add_f64 v[15:16], v[15:16], v[35:36]
	v_add_f64 v[13:14], v[13:14], v[23:24]
	s_waitcnt vmcnt(27) lgkmcnt(1)
	v_mul_f64 v[35:36], v[7:8], v[61:62]
	v_mul_f64 v[23:24], v[5:6], v[61:62]
	s_waitcnt vmcnt(25)
	v_fma_f64 v[37:38], v[9:10], v[17:18], -v[37:38]
	v_fma_f64 v[17:18], v[11:12], v[17:18], v[29:30]
	ds_read_b128 v[9:12], v70 offset:1984
	v_add_f64 v[15:16], v[15:16], v[33:34]
	v_add_f64 v[13:14], v[13:14], v[19:20]
	s_waitcnt vmcnt(21) lgkmcnt(1)
	v_mul_f64 v[29:30], v[3:4], v[49:50]
	s_waitcnt vmcnt(20)
	v_fma_f64 v[33:34], v[5:6], v[67:68], -v[35:36]
	v_mul_f64 v[19:20], v[1:2], v[49:50]
	v_fma_f64 v[23:24], v[7:8], v[67:68], v[23:24]
	ds_read_b128 v[5:8], v70 offset:2000
	v_add_f64 v[15:16], v[15:16], v[37:38]
	v_add_f64 v[13:14], v[13:14], v[17:18]
	;; [unrolled: 18-line block ×3, first 2 shown]
	s_waitcnt vmcnt(11) lgkmcnt(1)
	v_mul_f64 v[29:30], v[3:4], v[73:74]
	v_mul_f64 v[19:20], v[1:2], v[73:74]
	s_waitcnt vmcnt(9)
	v_fma_f64 v[5:6], v[5:6], v[27:28], -v[33:34]
	v_fma_f64 v[7:8], v[7:8], v[27:28], v[23:24]
	v_add_f64 v[15:16], v[15:16], v[35:36]
	v_add_f64 v[13:14], v[13:14], v[17:18]
	s_waitcnt vmcnt(7) lgkmcnt(0)
	v_mul_f64 v[17:18], v[9:10], v[21:22]
	v_mul_f64 v[21:22], v[11:12], v[21:22]
	s_waitcnt vmcnt(6)
	v_fma_f64 v[1:2], v[1:2], v[83:84], -v[29:30]
	v_fma_f64 v[3:4], v[3:4], v[83:84], v[19:20]
	v_add_f64 v[5:6], v[15:16], v[5:6]
	v_add_f64 v[7:8], v[13:14], v[7:8]
	s_waitcnt vmcnt(4)
	v_fma_f64 v[9:10], v[9:10], v[25:26], -v[21:22]
	v_add_f64 v[1:2], v[5:6], v[1:2]
	v_fma_f64 v[5:6], v[11:12], v[25:26], v[17:18]
	v_add_f64 v[3:4], v[7:8], v[3:4]
	v_add_f64 v[1:2], v[1:2], v[9:10]
	;; [unrolled: 1-line block ×3, first 2 shown]
	s_waitcnt vmcnt(2)
	v_add_f64 v[1:2], v[31:32], -v[1:2]
	s_waitcnt vmcnt(0)
	v_add_f64 v[3:4], v[57:58], -v[3:4]
	buffer_store_dword v2, off, s[0:3], 0 offset:164
	buffer_store_dword v1, off, s[0:3], 0 offset:160
	;; [unrolled: 1-line block ×4, first 2 shown]
	v_cmpx_lt_u32_e32 8, v0
	s_cbranch_execz .LBB63_393
; %bb.392:
	v_mov_b32_e32 v4, s70
	v_mov_b32_e32 v5, 0
	s_clause 0x3
	buffer_load_dword v1, v4, s[0:3], 0 offen
	buffer_load_dword v2, v4, s[0:3], 0 offen offset:4
	buffer_load_dword v3, v4, s[0:3], 0 offen offset:8
	;; [unrolled: 1-line block ×3, first 2 shown]
	buffer_store_dword v5, off, s[0:3], 0 offset:144
	buffer_store_dword v5, off, s[0:3], 0 offset:148
	;; [unrolled: 1-line block ×4, first 2 shown]
	s_waitcnt vmcnt(0)
	ds_write_b128 v69, v[1:4]
.LBB63_393:
	s_or_b32 exec_lo, exec_lo, s4
	s_waitcnt lgkmcnt(0)
	s_waitcnt_vscnt null, 0x0
	s_barrier
	buffer_gl0_inv
	s_clause 0x37
	buffer_load_dword v17, off, s[0:3], 0 offset:168
	buffer_load_dword v18, off, s[0:3], 0 offset:172
	;; [unrolled: 1-line block ×56, first 2 shown]
	v_mov_b32_e32 v70, 0
	s_mov_b32 s4, exec_lo
	ds_read_b128 v[5:8], v70 offset:1168
	s_clause 0x2
	buffer_load_dword v66, off, s[0:3], 0 offset:396
	buffer_load_dword v68, off, s[0:3], 0 offset:372
	buffer_load_dword v67, off, s[0:3], 0 offset:368
	ds_read_b128 v[1:4], v70 offset:1184
	s_clause 0x4
	buffer_load_dword v78, off, s[0:3], 0 offset:412
	buffer_load_dword v79, off, s[0:3], 0 offset:424
	;; [unrolled: 1-line block ×5, first 2 shown]
	ds_read_b128 v[71:74], v70 offset:1200
	s_waitcnt vmcnt(62) lgkmcnt(2)
	v_mul_f64 v[75:76], v[7:8], v[17:18]
	v_mul_f64 v[17:18], v[5:6], v[17:18]
	s_waitcnt vmcnt(60) lgkmcnt(1)
	v_mul_f64 v[82:83], v[3:4], v[13:14]
	v_mul_f64 v[13:14], v[1:2], v[13:14]
	;; [unrolled: 3-line block ×3, first 2 shown]
	v_fma_f64 v[75:76], v[5:6], v[15:16], -v[75:76]
	v_fma_f64 v[15:16], v[7:8], v[15:16], v[17:18]
	s_clause 0x2
	buffer_load_dword v80, off, s[0:3], 0 offset:428
	buffer_load_dword v18, off, s[0:3], 0 offset:404
	;; [unrolled: 1-line block ×3, first 2 shown]
	s_waitcnt vmcnt(57)
	v_fma_f64 v[86:87], v[1:2], v[9:10], -v[82:83]
	ds_read_b128 v[5:8], v70 offset:1216
	v_fma_f64 v[9:10], v[3:4], v[9:10], v[13:14]
	s_waitcnt vmcnt(51)
	v_fma_f64 v[71:72], v[71:72], v[33:34], -v[11:12]
	v_fma_f64 v[33:34], v[73:74], v[33:34], v[84:85]
	v_add_f64 v[75:76], v[75:76], 0
	v_add_f64 v[13:14], v[15:16], 0
	s_clause 0x4
	buffer_load_dword v16, off, s[0:3], 0 offset:444
	buffer_load_dword v83, off, s[0:3], 0 offset:456
	;; [unrolled: 1-line block ×5, first 2 shown]
	s_waitcnt lgkmcnt(0)
	v_mul_f64 v[127:128], v[5:6], v[21:22]
	v_mul_f64 v[21:22], v[7:8], v[21:22]
	ds_read_b128 v[1:4], v70 offset:1232
	s_clause 0x2
	buffer_load_dword v84, off, s[0:3], 0 offset:460
	buffer_load_dword v74, off, s[0:3], 0 offset:436
	;; [unrolled: 1-line block ×3, first 2 shown]
	v_add_f64 v[75:76], v[75:76], v[86:87]
	v_add_f64 v[13:14], v[13:14], v[9:10]
	ds_read_b128 v[9:12], v70 offset:1248
	s_waitcnt vmcnt(58) lgkmcnt(1)
	v_mul_f64 v[85:86], v[1:2], v[25:26]
	v_mul_f64 v[25:26], v[3:4], v[25:26]
	s_waitcnt vmcnt(56)
	v_fma_f64 v[21:22], v[5:6], v[27:28], -v[21:22]
	v_fma_f64 v[27:28], v[7:8], v[27:28], v[127:128]
	s_waitcnt vmcnt(52) lgkmcnt(0)
	v_mul_f64 v[129:130], v[9:10], v[29:30]
	v_add_f64 v[71:72], v[75:76], v[71:72]
	v_add_f64 v[13:14], v[13:14], v[33:34]
	s_clause 0x4
	buffer_load_dword v34, off, s[0:3], 0 offset:476
	buffer_load_dword v75, off, s[0:3], 0 offset:488
	;; [unrolled: 1-line block ×5, first 2 shown]
	v_mul_f64 v[29:30], v[11:12], v[29:30]
	s_waitcnt vmcnt(56)
	v_fma_f64 v[25:26], v[1:2], v[19:20], -v[25:26]
	ds_read_b128 v[5:8], v70 offset:1264
	v_fma_f64 v[19:20], v[3:4], v[19:20], v[85:86]
	v_add_f64 v[21:22], v[71:72], v[21:22]
	v_add_f64 v[13:14], v[13:14], v[27:28]
	s_clause 0x2
	buffer_load_dword v76, off, s[0:3], 0 offset:492
	buffer_load_dword v28, off, s[0:3], 0 offset:468
	;; [unrolled: 1-line block ×3, first 2 shown]
	s_waitcnt vmcnt(58) lgkmcnt(0)
	v_mul_f64 v[71:72], v[5:6], v[35:36]
	v_mul_f64 v[35:36], v[7:8], v[35:36]
	s_waitcnt vmcnt(56)
	v_fma_f64 v[29:30], v[9:10], v[37:38], -v[29:30]
	ds_read_b128 v[1:4], v70 offset:1280
	v_add_f64 v[21:22], v[21:22], v[25:26]
	v_fma_f64 v[25:26], v[11:12], v[37:38], v[129:130]
	v_add_f64 v[13:14], v[13:14], v[19:20]
	s_clause 0x4
	buffer_load_dword v20, off, s[0:3], 0 offset:508
	buffer_load_dword v37, off, s[0:3], 0 offset:520
	;; [unrolled: 1-line block ×5, first 2 shown]
	s_waitcnt vmcnt(57) lgkmcnt(0)
	v_mul_f64 v[86:87], v[1:2], v[39:40]
	v_mul_f64 v[39:40], v[3:4], v[39:40]
	s_waitcnt vmcnt(56)
	v_fma_f64 v[35:36], v[5:6], v[23:24], -v[35:36]
	ds_read_b128 v[9:12], v70 offset:1296
	v_fma_f64 v[23:24], v[7:8], v[23:24], v[71:72]
	v_add_f64 v[21:22], v[21:22], v[29:30]
	v_add_f64 v[13:14], v[13:14], v[25:26]
	s_clause 0x2
	buffer_load_dword v38, off, s[0:3], 0 offset:524
	buffer_load_dword v26, off, s[0:3], 0 offset:500
	;; [unrolled: 1-line block ×3, first 2 shown]
	ds_read_b128 v[5:8], v70 offset:1312
	s_waitcnt vmcnt(58) lgkmcnt(1)
	v_mul_f64 v[29:30], v[9:10], v[43:44]
	v_mul_f64 v[43:44], v[11:12], v[43:44]
	s_waitcnt vmcnt(56)
	v_fma_f64 v[39:40], v[1:2], v[45:46], -v[39:40]
	v_add_f64 v[21:22], v[21:22], v[35:36]
	v_fma_f64 v[35:36], v[3:4], v[45:46], v[86:87]
	v_add_f64 v[13:14], v[13:14], v[23:24]
	s_clause 0x4
	buffer_load_dword v24, off, s[0:3], 0 offset:540
	buffer_load_dword v45, off, s[0:3], 0 offset:552
	;; [unrolled: 1-line block ×5, first 2 shown]
	s_waitcnt vmcnt(57) lgkmcnt(0)
	v_mul_f64 v[130:131], v[5:6], v[47:48]
	v_mul_f64 v[47:48], v[7:8], v[47:48]
	s_waitcnt vmcnt(56)
	v_fma_f64 v[43:44], v[9:10], v[31:32], -v[43:44]
	ds_read_b128 v[1:4], v70 offset:1328
	v_fma_f64 v[29:30], v[11:12], v[31:32], v[29:30]
	s_clause 0x2
	buffer_load_dword v46, off, s[0:3], 0 offset:556
	buffer_load_dword v32, off, s[0:3], 0 offset:532
	;; [unrolled: 1-line block ×3, first 2 shown]
	ds_read_b128 v[9:12], v70 offset:1344
	v_add_f64 v[21:22], v[21:22], v[39:40]
	v_add_f64 v[13:14], v[13:14], v[35:36]
	s_waitcnt vmcnt(58) lgkmcnt(1)
	v_mul_f64 v[39:40], v[3:4], v[51:52]
	s_waitcnt vmcnt(56)
	v_fma_f64 v[47:48], v[5:6], v[53:54], -v[47:48]
	v_mul_f64 v[35:36], v[1:2], v[51:52]
	v_add_f64 v[21:22], v[21:22], v[43:44]
	v_fma_f64 v[43:44], v[7:8], v[53:54], v[130:131]
	v_add_f64 v[13:14], v[13:14], v[29:30]
	s_clause 0x4
	buffer_load_dword v30, off, s[0:3], 0 offset:572
	buffer_load_dword v51, off, s[0:3], 0 offset:584
	;; [unrolled: 1-line block ×5, first 2 shown]
	s_waitcnt vmcnt(57) lgkmcnt(0)
	v_mul_f64 v[130:131], v[9:10], v[55:56]
	v_mul_f64 v[54:55], v[11:12], v[55:56]
	s_waitcnt vmcnt(56)
	v_fma_f64 v[39:40], v[1:2], v[41:42], -v[39:40]
	ds_read_b128 v[5:8], v70 offset:1360
	v_fma_f64 v[35:36], v[3:4], v[41:42], v[35:36]
	s_clause 0x2
	buffer_load_dword v52, off, s[0:3], 0 offset:588
	buffer_load_dword v42, off, s[0:3], 0 offset:564
	;; [unrolled: 1-line block ×3, first 2 shown]
	ds_read_b128 v[1:4], v70 offset:1376
	v_add_f64 v[21:22], v[21:22], v[47:48]
	v_add_f64 v[13:14], v[13:14], v[43:44]
	s_waitcnt vmcnt(58) lgkmcnt(1)
	v_mul_f64 v[47:48], v[7:8], v[59:60]
	s_waitcnt vmcnt(56)
	v_fma_f64 v[55:56], v[9:10], v[61:62], -v[54:55]
	v_mul_f64 v[43:44], v[5:6], v[59:60]
	v_add_f64 v[21:22], v[21:22], v[39:40]
	v_fma_f64 v[39:40], v[11:12], v[61:62], v[130:131]
	v_add_f64 v[13:14], v[13:14], v[35:36]
	s_clause 0x4
	buffer_load_dword v36, off, s[0:3], 0 offset:604
	buffer_load_dword v59, off, s[0:3], 0 offset:616
	;; [unrolled: 1-line block ×5, first 2 shown]
	s_waitcnt vmcnt(57) lgkmcnt(0)
	v_mul_f64 v[130:131], v[1:2], v[63:64]
	v_mul_f64 v[62:63], v[3:4], v[63:64]
	s_waitcnt vmcnt(56)
	v_fma_f64 v[47:48], v[5:6], v[49:50], -v[47:48]
	ds_read_b128 v[9:12], v70 offset:1392
	v_fma_f64 v[43:44], v[7:8], v[49:50], v[43:44]
	v_add_f64 v[21:22], v[21:22], v[55:56]
	v_add_f64 v[13:14], v[13:14], v[39:40]
	s_clause 0x2
	buffer_load_dword v60, off, s[0:3], 0 offset:620
	buffer_load_dword v40, off, s[0:3], 0 offset:596
	;; [unrolled: 1-line block ×3, first 2 shown]
	ds_read_b128 v[5:8], v70 offset:1408
	s_waitcnt vmcnt(58) lgkmcnt(1)
	v_mul_f64 v[55:56], v[11:12], v[65:66]
	s_waitcnt vmcnt(56)
	v_fma_f64 v[63:64], v[1:2], v[67:68], -v[62:63]
	v_mul_f64 v[49:50], v[9:10], v[65:66]
	v_add_f64 v[21:22], v[21:22], v[47:48]
	v_fma_f64 v[47:48], v[3:4], v[67:68], v[130:131]
	v_add_f64 v[13:14], v[13:14], v[43:44]
	s_clause 0x4
	buffer_load_dword v44, off, s[0:3], 0 offset:636
	buffer_load_dword v65, off, s[0:3], 0 offset:648
	;; [unrolled: 1-line block ×5, first 2 shown]
	s_waitcnt vmcnt(57) lgkmcnt(0)
	v_mul_f64 v[130:131], v[5:6], v[77:78]
	v_mul_f64 v[77:78], v[7:8], v[77:78]
	s_waitcnt vmcnt(56)
	v_fma_f64 v[55:56], v[9:10], v[57:58], -v[55:56]
	ds_read_b128 v[1:4], v70 offset:1424
	v_fma_f64 v[49:50], v[11:12], v[57:58], v[49:50]
	v_add_f64 v[21:22], v[21:22], v[63:64]
	v_add_f64 v[13:14], v[13:14], v[47:48]
	s_clause 0x2
	buffer_load_dword v66, off, s[0:3], 0 offset:652
	buffer_load_dword v48, off, s[0:3], 0 offset:628
	;; [unrolled: 1-line block ×3, first 2 shown]
	ds_read_b128 v[9:12], v70 offset:1440
	s_waitcnt vmcnt(58) lgkmcnt(1)
	v_mul_f64 v[63:64], v[3:4], v[79:80]
	v_mul_f64 v[57:58], v[1:2], v[79:80]
	s_waitcnt vmcnt(56)
	v_fma_f64 v[77:78], v[5:6], v[17:18], -v[77:78]
	v_fma_f64 v[17:18], v[7:8], v[17:18], v[130:131]
	v_add_f64 v[21:22], v[21:22], v[55:56]
	v_add_f64 v[13:14], v[13:14], v[49:50]
	s_clause 0x4
	buffer_load_dword v50, off, s[0:3], 0 offset:668
	buffer_load_dword v55, off, s[0:3], 0 offset:680
	;; [unrolled: 1-line block ×5, first 2 shown]
	ds_read_b128 v[5:8], v70 offset:1456
	s_waitcnt vmcnt(57) lgkmcnt(1)
	v_mul_f64 v[130:131], v[9:10], v[15:16]
	v_mul_f64 v[15:16], v[11:12], v[15:16]
	s_waitcnt vmcnt(56)
	v_fma_f64 v[63:64], v[1:2], v[81:82], -v[63:64]
	v_fma_f64 v[57:58], v[3:4], v[81:82], v[57:58]
	v_add_f64 v[21:22], v[21:22], v[77:78]
	v_add_f64 v[13:14], v[13:14], v[17:18]
	s_clause 0x2
	buffer_load_dword v56, off, s[0:3], 0 offset:684
	buffer_load_dword v18, off, s[0:3], 0 offset:660
	;; [unrolled: 1-line block ×3, first 2 shown]
	s_waitcnt vmcnt(58) lgkmcnt(0)
	v_mul_f64 v[81:82], v[7:8], v[83:84]
	ds_read_b128 v[1:4], v70 offset:1472
	v_mul_f64 v[77:78], v[5:6], v[83:84]
	s_waitcnt vmcnt(56)
	v_fma_f64 v[15:16], v[9:10], v[73:74], -v[15:16]
	v_add_f64 v[21:22], v[21:22], v[63:64]
	v_fma_f64 v[63:64], v[11:12], v[73:74], v[130:131]
	v_add_f64 v[13:14], v[13:14], v[57:58]
	s_clause 0x4
	buffer_load_dword v58, off, s[0:3], 0 offset:700
	buffer_load_dword v73, off, s[0:3], 0 offset:712
	buffer_load_dword v83, off, s[0:3], 0 offset:704
	buffer_load_dword v57, off, s[0:3], 0 offset:696
	buffer_load_dword v80, off, s[0:3], 0 offset:676
	ds_read_b128 v[9:12], v70 offset:1488
	s_waitcnt vmcnt(57) lgkmcnt(1)
	v_mul_f64 v[130:131], v[1:2], v[33:34]
	v_mul_f64 v[33:34], v[3:4], v[33:34]
	s_waitcnt vmcnt(56)
	v_fma_f64 v[81:82], v[5:6], v[126:127], -v[81:82]
	v_add_f64 v[15:16], v[21:22], v[15:16]
	v_fma_f64 v[21:22], v[7:8], v[126:127], v[77:78]
	v_add_f64 v[13:14], v[13:14], v[63:64]
	s_clause 0x2
	buffer_load_dword v74, off, s[0:3], 0 offset:716
	buffer_load_dword v64, off, s[0:3], 0 offset:692
	;; [unrolled: 1-line block ×3, first 2 shown]
	ds_read_b128 v[5:8], v70 offset:1504
	s_waitcnt vmcnt(58) lgkmcnt(1)
	v_mul_f64 v[77:78], v[9:10], v[75:76]
	v_mul_f64 v[75:76], v[11:12], v[75:76]
	s_waitcnt vmcnt(56)
	v_fma_f64 v[33:34], v[1:2], v[27:28], -v[33:34]
	v_fma_f64 v[27:28], v[3:4], v[27:28], v[130:131]
	v_add_f64 v[15:16], v[15:16], v[81:82]
	v_add_f64 v[13:14], v[13:14], v[21:22]
	s_clause 0x4
	buffer_load_dword v22, off, s[0:3], 0 offset:732
	buffer_load_dword v81, off, s[0:3], 0 offset:744
	;; [unrolled: 1-line block ×5, first 2 shown]
	ds_read_b128 v[1:4], v70 offset:1520
	s_waitcnt vmcnt(57) lgkmcnt(1)
	v_mul_f64 v[130:131], v[5:6], v[19:20]
	v_mul_f64 v[19:20], v[7:8], v[19:20]
	s_waitcnt vmcnt(56)
	v_fma_f64 v[75:76], v[9:10], v[128:129], -v[75:76]
	v_add_f64 v[15:16], v[15:16], v[33:34]
	v_fma_f64 v[33:34], v[11:12], v[128:129], v[77:78]
	v_add_f64 v[13:14], v[13:14], v[27:28]
	s_clause 0x2
	buffer_load_dword v82, off, s[0:3], 0 offset:748
	buffer_load_dword v28, off, s[0:3], 0 offset:724
	;; [unrolled: 1-line block ×3, first 2 shown]
	ds_read_b128 v[9:12], v70 offset:1536
	s_waitcnt vmcnt(58) lgkmcnt(1)
	v_mul_f64 v[77:78], v[1:2], v[37:38]
	v_mul_f64 v[37:38], v[3:4], v[37:38]
	s_waitcnt vmcnt(56)
	v_fma_f64 v[19:20], v[5:6], v[25:26], -v[19:20]
	v_fma_f64 v[25:26], v[7:8], v[25:26], v[130:131]
	v_add_f64 v[15:16], v[15:16], v[75:76]
	v_add_f64 v[13:14], v[13:14], v[33:34]
	s_clause 0x4
	buffer_load_dword v34, off, s[0:3], 0 offset:764
	buffer_load_dword v75, off, s[0:3], 0 offset:776
	buffer_load_dword v128, off, s[0:3], 0 offset:768
	buffer_load_dword v33, off, s[0:3], 0 offset:760
	buffer_load_dword v127, off, s[0:3], 0 offset:740
	ds_read_b128 v[5:8], v70 offset:1552
	s_waitcnt vmcnt(57) lgkmcnt(1)
	v_mul_f64 v[129:130], v[9:10], v[23:24]
	v_mul_f64 v[23:24], v[11:12], v[23:24]
	s_waitcnt vmcnt(56)
	v_fma_f64 v[37:38], v[1:2], v[85:86], -v[37:38]
	v_add_f64 v[15:16], v[15:16], v[19:20]
	v_fma_f64 v[19:20], v[3:4], v[85:86], v[77:78]
	v_add_f64 v[13:14], v[13:14], v[25:26]
	s_clause 0x2
	buffer_load_dword v76, off, s[0:3], 0 offset:780
	buffer_load_dword v26, off, s[0:3], 0 offset:756
	;; [unrolled: 1-line block ×3, first 2 shown]
	s_waitcnt vmcnt(58) lgkmcnt(0)
	v_mul_f64 v[77:78], v[5:6], v[45:46]
	v_mul_f64 v[45:46], v[7:8], v[45:46]
	ds_read_b128 v[1:4], v70 offset:1568
	s_waitcnt vmcnt(56)
	v_fma_f64 v[23:24], v[9:10], v[31:32], -v[23:24]
	v_fma_f64 v[31:32], v[11:12], v[31:32], v[129:130]
	v_add_f64 v[15:16], v[15:16], v[37:38]
	v_add_f64 v[13:14], v[13:14], v[19:20]
	s_clause 0x4
	buffer_load_dword v20, off, s[0:3], 0 offset:796
	buffer_load_dword v37, off, s[0:3], 0 offset:808
	;; [unrolled: 1-line block ×5, first 2 shown]
	ds_read_b128 v[9:12], v70 offset:1584
	s_waitcnt vmcnt(57) lgkmcnt(1)
	v_mul_f64 v[86:87], v[1:2], v[29:30]
	v_mul_f64 v[29:30], v[3:4], v[29:30]
	s_waitcnt vmcnt(56)
	v_fma_f64 v[45:46], v[5:6], v[71:72], -v[45:46]
	v_add_f64 v[15:16], v[15:16], v[23:24]
	v_fma_f64 v[23:24], v[7:8], v[71:72], v[77:78]
	v_add_f64 v[13:14], v[13:14], v[31:32]
	s_clause 0x2
	buffer_load_dword v38, off, s[0:3], 0 offset:812
	buffer_load_dword v32, off, s[0:3], 0 offset:788
	;; [unrolled: 1-line block ×3, first 2 shown]
	s_waitcnt vmcnt(58) lgkmcnt(0)
	v_mul_f64 v[71:72], v[9:10], v[51:52]
	v_mul_f64 v[51:52], v[11:12], v[51:52]
	ds_read_b128 v[5:8], v70 offset:1600
	s_waitcnt vmcnt(56)
	v_fma_f64 v[29:30], v[1:2], v[41:42], -v[29:30]
	v_fma_f64 v[41:42], v[3:4], v[41:42], v[86:87]
	v_add_f64 v[15:16], v[15:16], v[45:46]
	v_add_f64 v[13:14], v[13:14], v[23:24]
	s_clause 0x4
	buffer_load_dword v24, off, s[0:3], 0 offset:828
	buffer_load_dword v45, off, s[0:3], 0 offset:840
	buffer_load_dword v77, off, s[0:3], 0 offset:832
	buffer_load_dword v23, off, s[0:3], 0 offset:824
	buffer_load_dword v86, off, s[0:3], 0 offset:804
	ds_read_b128 v[1:4], v70 offset:1616
	s_waitcnt vmcnt(57) lgkmcnt(1)
	v_mul_f64 v[130:131], v[5:6], v[35:36]
	v_mul_f64 v[35:36], v[7:8], v[35:36]
	s_waitcnt vmcnt(56)
	v_fma_f64 v[51:52], v[9:10], v[53:54], -v[51:52]
	v_add_f64 v[15:16], v[15:16], v[29:30]
	v_fma_f64 v[29:30], v[11:12], v[53:54], v[71:72]
	v_add_f64 v[13:14], v[13:14], v[41:42]
	s_clause 0x2
	buffer_load_dword v46, off, s[0:3], 0 offset:844
	buffer_load_dword v42, off, s[0:3], 0 offset:820
	buffer_load_dword v41, off, s[0:3], 0 offset:816
	ds_read_b128 v[9:12], v70 offset:1632
	s_waitcnt vmcnt(58) lgkmcnt(1)
	v_mul_f64 v[53:54], v[1:2], v[59:60]
	v_mul_f64 v[59:60], v[3:4], v[59:60]
	s_waitcnt vmcnt(56)
	v_fma_f64 v[35:36], v[5:6], v[39:40], -v[35:36]
	v_fma_f64 v[39:40], v[7:8], v[39:40], v[130:131]
	v_add_f64 v[15:16], v[15:16], v[51:52]
	v_add_f64 v[13:14], v[13:14], v[29:30]
	s_clause 0x4
	buffer_load_dword v30, off, s[0:3], 0 offset:860
	buffer_load_dword v51, off, s[0:3], 0 offset:872
	buffer_load_dword v71, off, s[0:3], 0 offset:864
	buffer_load_dword v29, off, s[0:3], 0 offset:856
	buffer_load_dword v78, off, s[0:3], 0 offset:836
	ds_read_b128 v[5:8], v70 offset:1648
	s_waitcnt vmcnt(57) lgkmcnt(1)
	v_mul_f64 v[130:131], v[9:10], v[43:44]
	v_mul_f64 v[43:44], v[11:12], v[43:44]
	s_waitcnt vmcnt(56)
	v_fma_f64 v[59:60], v[1:2], v[61:62], -v[59:60]
	v_add_f64 v[15:16], v[15:16], v[35:36]
	v_fma_f64 v[35:36], v[3:4], v[61:62], v[53:54]
	v_add_f64 v[13:14], v[13:14], v[39:40]
	s_clause 0x2
	buffer_load_dword v52, off, s[0:3], 0 offset:876
	buffer_load_dword v40, off, s[0:3], 0 offset:852
	buffer_load_dword v39, off, s[0:3], 0 offset:848
	ds_read_b128 v[1:4], v70 offset:1664
	s_waitcnt vmcnt(58) lgkmcnt(1)
	v_mul_f64 v[61:62], v[7:8], v[65:66]
	v_mul_f64 v[53:54], v[5:6], v[65:66]
	s_waitcnt vmcnt(56)
	v_fma_f64 v[43:44], v[9:10], v[47:48], -v[43:44]
	v_fma_f64 v[47:48], v[11:12], v[47:48], v[130:131]
	v_add_f64 v[15:16], v[15:16], v[59:60]
	v_add_f64 v[13:14], v[13:14], v[35:36]
	s_clause 0x4
	buffer_load_dword v36, off, s[0:3], 0 offset:892
	buffer_load_dword v59, off, s[0:3], 0 offset:904
	buffer_load_dword v65, off, s[0:3], 0 offset:896
	buffer_load_dword v35, off, s[0:3], 0 offset:888
	buffer_load_dword v72, off, s[0:3], 0 offset:868
	ds_read_b128 v[9:12], v70 offset:1680
	s_waitcnt vmcnt(57) lgkmcnt(1)
	v_mul_f64 v[130:131], v[1:2], v[49:50]
	v_mul_f64 v[49:50], v[3:4], v[49:50]
	s_waitcnt vmcnt(56)
	v_fma_f64 v[61:62], v[5:6], v[67:68], -v[61:62]
	v_add_f64 v[15:16], v[15:16], v[43:44]
	v_fma_f64 v[43:44], v[7:8], v[67:68], v[53:54]
	v_add_f64 v[13:14], v[13:14], v[47:48]
	s_clause 0x2
	buffer_load_dword v60, off, s[0:3], 0 offset:908
	buffer_load_dword v48, off, s[0:3], 0 offset:884
	buffer_load_dword v47, off, s[0:3], 0 offset:880
	ds_read_b128 v[5:8], v70 offset:1696
	s_waitcnt vmcnt(58) lgkmcnt(1)
	v_mul_f64 v[53:54], v[9:10], v[55:56]
	v_mul_f64 v[55:56], v[11:12], v[55:56]
	s_waitcnt vmcnt(56)
	v_fma_f64 v[49:50], v[1:2], v[17:18], -v[49:50]
	v_fma_f64 v[17:18], v[3:4], v[17:18], v[130:131]
	v_add_f64 v[15:16], v[15:16], v[61:62]
	v_add_f64 v[13:14], v[13:14], v[43:44]
	s_clause 0x4
	buffer_load_dword v44, off, s[0:3], 0 offset:924
	buffer_load_dword v61, off, s[0:3], 0 offset:936
	buffer_load_dword v67, off, s[0:3], 0 offset:928
	buffer_load_dword v43, off, s[0:3], 0 offset:920
	buffer_load_dword v66, off, s[0:3], 0 offset:900
	ds_read_b128 v[1:4], v70 offset:1712
	s_waitcnt vmcnt(57) lgkmcnt(1)
	v_mul_f64 v[130:131], v[5:6], v[57:58]
	v_mul_f64 v[57:58], v[7:8], v[57:58]
	s_waitcnt vmcnt(56)
	v_fma_f64 v[55:56], v[9:10], v[79:80], -v[55:56]
	v_add_f64 v[15:16], v[15:16], v[49:50]
	v_fma_f64 v[49:50], v[11:12], v[79:80], v[53:54]
	v_add_f64 v[13:14], v[13:14], v[17:18]
	s_clause 0x2
	buffer_load_dword v62, off, s[0:3], 0 offset:940
	buffer_load_dword v18, off, s[0:3], 0 offset:916
	buffer_load_dword v17, off, s[0:3], 0 offset:912
	ds_read_b128 v[9:12], v70 offset:1728
	s_waitcnt vmcnt(58) lgkmcnt(1)
	v_mul_f64 v[53:54], v[1:2], v[73:74]
	v_mul_f64 v[73:74], v[3:4], v[73:74]
	s_waitcnt vmcnt(56)
	v_fma_f64 v[57:58], v[5:6], v[63:64], -v[57:58]
	v_add_f64 v[15:16], v[15:16], v[55:56]
	v_fma_f64 v[55:56], v[7:8], v[63:64], v[130:131]
	v_add_f64 v[13:14], v[13:14], v[49:50]
	s_clause 0x4
	buffer_load_dword v50, off, s[0:3], 0 offset:956
	buffer_load_dword v63, off, s[0:3], 0 offset:968
	;; [unrolled: 1-line block ×5, first 2 shown]
	ds_read_b128 v[5:8], v70 offset:1744
	s_waitcnt vmcnt(57) lgkmcnt(1)
	v_mul_f64 v[130:131], v[9:10], v[21:22]
	v_mul_f64 v[21:22], v[11:12], v[21:22]
	s_waitcnt vmcnt(56)
	v_fma_f64 v[73:74], v[1:2], v[83:84], -v[73:74]
	v_fma_f64 v[53:54], v[3:4], v[83:84], v[53:54]
	v_add_f64 v[15:16], v[15:16], v[57:58]
	v_add_f64 v[13:14], v[13:14], v[55:56]
	s_clause 0x2
	buffer_load_dword v64, off, s[0:3], 0 offset:972
	buffer_load_dword v56, off, s[0:3], 0 offset:948
	;; [unrolled: 1-line block ×3, first 2 shown]
	ds_read_b128 v[1:4], v70 offset:1760
	s_waitcnt vmcnt(58) lgkmcnt(1)
	v_mul_f64 v[57:58], v[5:6], v[81:82]
	v_mul_f64 v[81:82], v[7:8], v[81:82]
	s_waitcnt vmcnt(56)
	v_fma_f64 v[21:22], v[9:10], v[27:28], -v[21:22]
	v_fma_f64 v[27:28], v[11:12], v[27:28], v[130:131]
	v_add_f64 v[15:16], v[15:16], v[73:74]
	v_add_f64 v[13:14], v[13:14], v[53:54]
	s_clause 0x4
	buffer_load_dword v54, off, s[0:3], 0 offset:988
	buffer_load_dword v73, off, s[0:3], 0 offset:1000
	;; [unrolled: 1-line block ×5, first 2 shown]
	ds_read_b128 v[9:12], v70 offset:1776
	s_waitcnt vmcnt(57) lgkmcnt(1)
	v_mul_f64 v[130:131], v[1:2], v[33:34]
	v_mul_f64 v[33:34], v[3:4], v[33:34]
	s_waitcnt vmcnt(56)
	v_fma_f64 v[81:82], v[5:6], v[126:127], -v[81:82]
	v_add_f64 v[15:16], v[15:16], v[21:22]
	v_fma_f64 v[21:22], v[7:8], v[126:127], v[57:58]
	v_add_f64 v[13:14], v[13:14], v[27:28]
	s_clause 0x2
	buffer_load_dword v74, off, s[0:3], 0 offset:1004
	buffer_load_dword v28, off, s[0:3], 0 offset:980
	;; [unrolled: 1-line block ×3, first 2 shown]
	ds_read_b128 v[5:8], v70 offset:1792
	s_waitcnt vmcnt(58) lgkmcnt(1)
	v_mul_f64 v[57:58], v[9:10], v[75:76]
	v_mul_f64 v[75:76], v[11:12], v[75:76]
	s_waitcnt vmcnt(56)
	v_fma_f64 v[33:34], v[1:2], v[25:26], -v[33:34]
	v_fma_f64 v[25:26], v[3:4], v[25:26], v[130:131]
	v_add_f64 v[15:16], v[15:16], v[81:82]
	v_add_f64 v[13:14], v[13:14], v[21:22]
	s_clause 0x4
	buffer_load_dword v22, off, s[0:3], 0 offset:1020
	buffer_load_dword v81, off, s[0:3], 0 offset:1032
	;; [unrolled: 1-line block ×5, first 2 shown]
	ds_read_b128 v[1:4], v70 offset:1808
	s_waitcnt vmcnt(57) lgkmcnt(1)
	v_mul_f64 v[130:131], v[5:6], v[19:20]
	v_mul_f64 v[19:20], v[7:8], v[19:20]
	s_waitcnt vmcnt(56)
	v_fma_f64 v[75:76], v[9:10], v[128:129], -v[75:76]
	v_add_f64 v[15:16], v[15:16], v[33:34]
	v_fma_f64 v[33:34], v[11:12], v[128:129], v[57:58]
	v_add_f64 v[13:14], v[13:14], v[25:26]
	s_clause 0x2
	buffer_load_dword v82, off, s[0:3], 0 offset:1036
	buffer_load_dword v26, off, s[0:3], 0 offset:1012
	;; [unrolled: 1-line block ×3, first 2 shown]
	ds_read_b128 v[9:12], v70 offset:1824
	buffer_load_dword v127, off, s[0:3], 0 offset:1028
	s_waitcnt vmcnt(59) lgkmcnt(1)
	v_mul_f64 v[57:58], v[1:2], v[37:38]
	v_mul_f64 v[37:38], v[3:4], v[37:38]
	s_waitcnt vmcnt(57)
	v_fma_f64 v[19:20], v[5:6], v[31:32], -v[19:20]
	v_fma_f64 v[31:32], v[7:8], v[31:32], v[130:131]
	ds_read_b128 v[5:8], v70 offset:1840
	v_add_f64 v[15:16], v[15:16], v[75:76]
	v_add_f64 v[13:14], v[13:14], v[33:34]
	s_waitcnt vmcnt(53) lgkmcnt(1)
	v_mul_f64 v[33:34], v[9:10], v[23:24]
	v_mul_f64 v[23:24], v[11:12], v[23:24]
	s_waitcnt vmcnt(52)
	v_fma_f64 v[37:38], v[1:2], v[85:86], -v[37:38]
	v_add_f64 v[15:16], v[15:16], v[19:20]
	v_fma_f64 v[19:20], v[3:4], v[85:86], v[57:58]
	v_add_f64 v[13:14], v[13:14], v[31:32]
	ds_read_b128 v[1:4], v70 offset:1856
	s_waitcnt vmcnt(51) lgkmcnt(1)
	v_mul_f64 v[31:32], v[5:6], v[45:46]
	v_mul_f64 v[45:46], v[7:8], v[45:46]
	s_waitcnt vmcnt(49)
	v_fma_f64 v[23:24], v[9:10], v[41:42], -v[23:24]
	v_fma_f64 v[33:34], v[11:12], v[41:42], v[33:34]
	v_add_f64 v[15:16], v[15:16], v[37:38]
	v_add_f64 v[13:14], v[13:14], v[19:20]
	s_clause 0x3
	buffer_load_dword v19, off, s[0:3], 0 offset:144
	buffer_load_dword v20, off, s[0:3], 0 offset:148
	;; [unrolled: 1-line block ×4, first 2 shown]
	ds_read_b128 v[9:12], v70 offset:1872
	s_waitcnt vmcnt(49) lgkmcnt(1)
	v_mul_f64 v[41:42], v[1:2], v[29:30]
	v_mul_f64 v[29:30], v[3:4], v[29:30]
	s_waitcnt vmcnt(48)
	v_fma_f64 v[45:46], v[5:6], v[77:78], -v[45:46]
	v_add_f64 v[15:16], v[15:16], v[23:24]
	v_fma_f64 v[23:24], v[7:8], v[77:78], v[31:32]
	v_add_f64 v[13:14], v[13:14], v[33:34]
	ds_read_b128 v[5:8], v70 offset:1888
	s_waitcnt vmcnt(47) lgkmcnt(1)
	v_mul_f64 v[33:34], v[11:12], v[51:52]
	v_mul_f64 v[31:32], v[9:10], v[51:52]
	s_waitcnt vmcnt(45)
	v_fma_f64 v[29:30], v[1:2], v[39:40], -v[29:30]
	v_fma_f64 v[39:40], v[3:4], v[39:40], v[41:42]
	ds_read_b128 v[1:4], v70 offset:1904
	v_add_f64 v[15:16], v[15:16], v[45:46]
	v_add_f64 v[13:14], v[13:14], v[23:24]
	s_waitcnt vmcnt(41) lgkmcnt(1)
	v_mul_f64 v[23:24], v[5:6], v[35:36]
	v_mul_f64 v[35:36], v[7:8], v[35:36]
	s_waitcnt vmcnt(40)
	v_fma_f64 v[33:34], v[9:10], v[71:72], -v[33:34]
	v_add_f64 v[15:16], v[15:16], v[29:30]
	v_fma_f64 v[29:30], v[11:12], v[71:72], v[31:32]
	v_add_f64 v[13:14], v[13:14], v[39:40]
	ds_read_b128 v[9:12], v70 offset:1920
	s_waitcnt vmcnt(39) lgkmcnt(1)
	v_mul_f64 v[39:40], v[3:4], v[59:60]
	v_mul_f64 v[31:32], v[1:2], v[59:60]
	s_waitcnt vmcnt(37)
	v_fma_f64 v[35:36], v[5:6], v[47:48], -v[35:36]
	v_fma_f64 v[23:24], v[7:8], v[47:48], v[23:24]
	ds_read_b128 v[5:8], v70 offset:1936
	v_add_f64 v[15:16], v[15:16], v[33:34]
	v_add_f64 v[13:14], v[13:14], v[29:30]
	s_waitcnt vmcnt(33) lgkmcnt(1)
	v_mul_f64 v[33:34], v[11:12], v[43:44]
	s_waitcnt vmcnt(32)
	v_fma_f64 v[39:40], v[1:2], v[65:66], -v[39:40]
	v_mul_f64 v[29:30], v[9:10], v[43:44]
	v_fma_f64 v[31:32], v[3:4], v[65:66], v[31:32]
	ds_read_b128 v[1:4], v70 offset:1952
	v_add_f64 v[15:16], v[15:16], v[35:36]
	v_add_f64 v[13:14], v[13:14], v[23:24]
	s_waitcnt vmcnt(31) lgkmcnt(1)
	v_mul_f64 v[35:36], v[7:8], v[61:62]
	v_mul_f64 v[23:24], v[5:6], v[61:62]
	s_waitcnt vmcnt(29)
	v_fma_f64 v[33:34], v[9:10], v[17:18], -v[33:34]
	v_fma_f64 v[17:18], v[11:12], v[17:18], v[29:30]
	ds_read_b128 v[9:12], v70 offset:1968
	v_add_f64 v[15:16], v[15:16], v[39:40]
	v_add_f64 v[13:14], v[13:14], v[31:32]
	s_waitcnt vmcnt(25) lgkmcnt(1)
	v_mul_f64 v[31:32], v[3:4], v[49:50]
	s_waitcnt vmcnt(24)
	v_fma_f64 v[35:36], v[5:6], v[67:68], -v[35:36]
	v_mul_f64 v[29:30], v[1:2], v[49:50]
	v_fma_f64 v[23:24], v[7:8], v[67:68], v[23:24]
	ds_read_b128 v[5:8], v70 offset:1984
	v_add_f64 v[15:16], v[15:16], v[33:34]
	v_add_f64 v[13:14], v[13:14], v[17:18]
	;; [unrolled: 18-line block ×3, first 2 shown]
	s_waitcnt vmcnt(15) lgkmcnt(1)
	v_mul_f64 v[31:32], v[3:4], v[73:74]
	v_mul_f64 v[29:30], v[1:2], v[73:74]
	s_waitcnt vmcnt(13)
	v_fma_f64 v[35:36], v[5:6], v[27:28], -v[35:36]
	v_fma_f64 v[23:24], v[7:8], v[27:28], v[23:24]
	ds_read_b128 v[5:8], v70 offset:2032
	v_add_f64 v[15:16], v[15:16], v[33:34]
	v_add_f64 v[13:14], v[13:14], v[17:18]
	s_waitcnt vmcnt(9) lgkmcnt(1)
	v_mul_f64 v[17:18], v[9:10], v[21:22]
	v_mul_f64 v[21:22], v[11:12], v[21:22]
	s_waitcnt vmcnt(8)
	v_fma_f64 v[1:2], v[1:2], v[83:84], -v[31:32]
	v_fma_f64 v[3:4], v[3:4], v[83:84], v[29:30]
	v_add_f64 v[15:16], v[15:16], v[35:36]
	v_add_f64 v[13:14], v[13:14], v[23:24]
	s_waitcnt vmcnt(7) lgkmcnt(0)
	v_mul_f64 v[27:28], v[7:8], v[81:82]
	v_mul_f64 v[23:24], v[5:6], v[81:82]
	s_waitcnt vmcnt(5)
	v_fma_f64 v[9:10], v[9:10], v[25:26], -v[21:22]
	v_fma_f64 v[11:12], v[11:12], v[25:26], v[17:18]
	v_add_f64 v[1:2], v[15:16], v[1:2]
	v_add_f64 v[3:4], v[13:14], v[3:4]
	s_waitcnt vmcnt(4)
	v_fma_f64 v[5:6], v[5:6], v[126:127], -v[27:28]
	v_fma_f64 v[7:8], v[7:8], v[126:127], v[23:24]
	v_add_f64 v[1:2], v[1:2], v[9:10]
	v_add_f64 v[3:4], v[3:4], v[11:12]
	;; [unrolled: 1-line block ×4, first 2 shown]
	s_waitcnt vmcnt(2)
	v_add_f64 v[1:2], v[19:20], -v[1:2]
	s_waitcnt vmcnt(0)
	v_add_f64 v[3:4], v[37:38], -v[3:4]
	buffer_store_dword v2, off, s[0:3], 0 offset:148
	buffer_store_dword v1, off, s[0:3], 0 offset:144
	;; [unrolled: 1-line block ×4, first 2 shown]
	v_cmpx_lt_u32_e32 7, v0
	s_cbranch_execz .LBB63_395
; %bb.394:
	v_mov_b32_e32 v4, s71
	s_clause 0x3
	buffer_load_dword v1, v4, s[0:3], 0 offen
	buffer_load_dword v2, v4, s[0:3], 0 offen offset:4
	buffer_load_dword v3, v4, s[0:3], 0 offen offset:8
	;; [unrolled: 1-line block ×3, first 2 shown]
	buffer_store_dword v70, off, s[0:3], 0 offset:128
	buffer_store_dword v70, off, s[0:3], 0 offset:132
	;; [unrolled: 1-line block ×4, first 2 shown]
	s_waitcnt vmcnt(0)
	ds_write_b128 v69, v[1:4]
.LBB63_395:
	s_or_b32 exec_lo, exec_lo, s4
	s_waitcnt lgkmcnt(0)
	s_waitcnt_vscnt null, 0x0
	s_barrier
	buffer_gl0_inv
	s_clause 0x37
	buffer_load_dword v17, off, s[0:3], 0 offset:152
	buffer_load_dword v18, off, s[0:3], 0 offset:156
	;; [unrolled: 1-line block ×56, first 2 shown]
	ds_read_b128 v[5:8], v70 offset:1152
	s_clause 0x2
	buffer_load_dword v66, off, s[0:3], 0 offset:380
	buffer_load_dword v68, off, s[0:3], 0 offset:356
	;; [unrolled: 1-line block ×3, first 2 shown]
	ds_read_b128 v[1:4], v70 offset:1168
	s_clause 0x4
	buffer_load_dword v78, off, s[0:3], 0 offset:396
	buffer_load_dword v79, off, s[0:3], 0 offset:408
	buffer_load_dword v81, off, s[0:3], 0 offset:400
	buffer_load_dword v77, off, s[0:3], 0 offset:392
	buffer_load_dword v58, off, s[0:3], 0 offset:372
	ds_read_b128 v[71:74], v70 offset:1184
	s_mov_b32 s4, exec_lo
	s_waitcnt vmcnt(62) lgkmcnt(2)
	v_mul_f64 v[75:76], v[7:8], v[17:18]
	v_mul_f64 v[17:18], v[5:6], v[17:18]
	s_waitcnt vmcnt(60) lgkmcnt(1)
	v_mul_f64 v[82:83], v[3:4], v[13:14]
	v_mul_f64 v[13:14], v[1:2], v[13:14]
	;; [unrolled: 3-line block ×3, first 2 shown]
	v_fma_f64 v[75:76], v[5:6], v[15:16], -v[75:76]
	v_fma_f64 v[15:16], v[7:8], v[15:16], v[17:18]
	s_clause 0x2
	buffer_load_dword v80, off, s[0:3], 0 offset:412
	buffer_load_dword v18, off, s[0:3], 0 offset:388
	;; [unrolled: 1-line block ×3, first 2 shown]
	s_waitcnt vmcnt(57)
	v_fma_f64 v[86:87], v[1:2], v[9:10], -v[82:83]
	ds_read_b128 v[5:8], v70 offset:1200
	v_fma_f64 v[9:10], v[3:4], v[9:10], v[13:14]
	s_waitcnt vmcnt(51)
	v_fma_f64 v[71:72], v[71:72], v[33:34], -v[11:12]
	v_fma_f64 v[33:34], v[73:74], v[33:34], v[84:85]
	v_add_f64 v[75:76], v[75:76], 0
	v_add_f64 v[13:14], v[15:16], 0
	s_clause 0x4
	buffer_load_dword v16, off, s[0:3], 0 offset:428
	buffer_load_dword v83, off, s[0:3], 0 offset:440
	;; [unrolled: 1-line block ×5, first 2 shown]
	s_waitcnt lgkmcnt(0)
	v_mul_f64 v[127:128], v[5:6], v[21:22]
	v_mul_f64 v[21:22], v[7:8], v[21:22]
	ds_read_b128 v[1:4], v70 offset:1216
	s_clause 0x2
	buffer_load_dword v84, off, s[0:3], 0 offset:444
	buffer_load_dword v74, off, s[0:3], 0 offset:420
	;; [unrolled: 1-line block ×3, first 2 shown]
	v_add_f64 v[75:76], v[75:76], v[86:87]
	v_add_f64 v[13:14], v[13:14], v[9:10]
	ds_read_b128 v[9:12], v70 offset:1232
	s_waitcnt vmcnt(58) lgkmcnt(1)
	v_mul_f64 v[85:86], v[1:2], v[25:26]
	v_mul_f64 v[25:26], v[3:4], v[25:26]
	s_waitcnt vmcnt(56)
	v_fma_f64 v[21:22], v[5:6], v[27:28], -v[21:22]
	v_fma_f64 v[27:28], v[7:8], v[27:28], v[127:128]
	s_waitcnt vmcnt(52) lgkmcnt(0)
	v_mul_f64 v[129:130], v[9:10], v[29:30]
	v_add_f64 v[71:72], v[75:76], v[71:72]
	v_add_f64 v[13:14], v[13:14], v[33:34]
	s_clause 0x4
	buffer_load_dword v34, off, s[0:3], 0 offset:460
	buffer_load_dword v75, off, s[0:3], 0 offset:472
	;; [unrolled: 1-line block ×5, first 2 shown]
	v_mul_f64 v[29:30], v[11:12], v[29:30]
	s_waitcnt vmcnt(56)
	v_fma_f64 v[25:26], v[1:2], v[19:20], -v[25:26]
	ds_read_b128 v[5:8], v70 offset:1248
	v_fma_f64 v[19:20], v[3:4], v[19:20], v[85:86]
	v_add_f64 v[21:22], v[71:72], v[21:22]
	v_add_f64 v[13:14], v[13:14], v[27:28]
	s_clause 0x2
	buffer_load_dword v76, off, s[0:3], 0 offset:476
	buffer_load_dword v28, off, s[0:3], 0 offset:452
	;; [unrolled: 1-line block ×3, first 2 shown]
	s_waitcnt vmcnt(58) lgkmcnt(0)
	v_mul_f64 v[71:72], v[5:6], v[35:36]
	v_mul_f64 v[35:36], v[7:8], v[35:36]
	s_waitcnt vmcnt(56)
	v_fma_f64 v[29:30], v[9:10], v[37:38], -v[29:30]
	ds_read_b128 v[1:4], v70 offset:1264
	v_add_f64 v[21:22], v[21:22], v[25:26]
	v_fma_f64 v[25:26], v[11:12], v[37:38], v[129:130]
	v_add_f64 v[13:14], v[13:14], v[19:20]
	s_clause 0x4
	buffer_load_dword v20, off, s[0:3], 0 offset:492
	buffer_load_dword v37, off, s[0:3], 0 offset:504
	;; [unrolled: 1-line block ×5, first 2 shown]
	s_waitcnt vmcnt(57) lgkmcnt(0)
	v_mul_f64 v[86:87], v[1:2], v[39:40]
	v_mul_f64 v[39:40], v[3:4], v[39:40]
	s_waitcnt vmcnt(56)
	v_fma_f64 v[35:36], v[5:6], v[23:24], -v[35:36]
	ds_read_b128 v[9:12], v70 offset:1280
	v_fma_f64 v[23:24], v[7:8], v[23:24], v[71:72]
	v_add_f64 v[21:22], v[21:22], v[29:30]
	v_add_f64 v[13:14], v[13:14], v[25:26]
	s_clause 0x2
	buffer_load_dword v38, off, s[0:3], 0 offset:508
	buffer_load_dword v26, off, s[0:3], 0 offset:484
	;; [unrolled: 1-line block ×3, first 2 shown]
	ds_read_b128 v[5:8], v70 offset:1296
	s_waitcnt vmcnt(58) lgkmcnt(1)
	v_mul_f64 v[29:30], v[9:10], v[43:44]
	v_mul_f64 v[43:44], v[11:12], v[43:44]
	s_waitcnt vmcnt(56)
	v_fma_f64 v[39:40], v[1:2], v[45:46], -v[39:40]
	v_add_f64 v[21:22], v[21:22], v[35:36]
	v_fma_f64 v[35:36], v[3:4], v[45:46], v[86:87]
	v_add_f64 v[13:14], v[13:14], v[23:24]
	s_clause 0x4
	buffer_load_dword v24, off, s[0:3], 0 offset:524
	buffer_load_dword v45, off, s[0:3], 0 offset:536
	buffer_load_dword v71, off, s[0:3], 0 offset:528
	buffer_load_dword v23, off, s[0:3], 0 offset:520
	buffer_load_dword v86, off, s[0:3], 0 offset:500
	s_waitcnt vmcnt(57) lgkmcnt(0)
	v_mul_f64 v[130:131], v[5:6], v[47:48]
	v_mul_f64 v[47:48], v[7:8], v[47:48]
	s_waitcnt vmcnt(56)
	v_fma_f64 v[43:44], v[9:10], v[31:32], -v[43:44]
	ds_read_b128 v[1:4], v70 offset:1312
	v_fma_f64 v[29:30], v[11:12], v[31:32], v[29:30]
	s_clause 0x2
	buffer_load_dword v46, off, s[0:3], 0 offset:540
	buffer_load_dword v32, off, s[0:3], 0 offset:516
	buffer_load_dword v31, off, s[0:3], 0 offset:512
	ds_read_b128 v[9:12], v70 offset:1328
	v_add_f64 v[21:22], v[21:22], v[39:40]
	v_add_f64 v[13:14], v[13:14], v[35:36]
	s_waitcnt vmcnt(58) lgkmcnt(1)
	v_mul_f64 v[39:40], v[3:4], v[51:52]
	s_waitcnt vmcnt(56)
	v_fma_f64 v[47:48], v[5:6], v[53:54], -v[47:48]
	v_mul_f64 v[35:36], v[1:2], v[51:52]
	v_add_f64 v[21:22], v[21:22], v[43:44]
	v_fma_f64 v[43:44], v[7:8], v[53:54], v[130:131]
	v_add_f64 v[13:14], v[13:14], v[29:30]
	s_clause 0x4
	buffer_load_dword v30, off, s[0:3], 0 offset:556
	buffer_load_dword v51, off, s[0:3], 0 offset:568
	;; [unrolled: 1-line block ×5, first 2 shown]
	s_waitcnt vmcnt(57) lgkmcnt(0)
	v_mul_f64 v[130:131], v[9:10], v[55:56]
	v_mul_f64 v[54:55], v[11:12], v[55:56]
	s_waitcnt vmcnt(56)
	v_fma_f64 v[39:40], v[1:2], v[41:42], -v[39:40]
	ds_read_b128 v[5:8], v70 offset:1344
	v_fma_f64 v[35:36], v[3:4], v[41:42], v[35:36]
	s_clause 0x2
	buffer_load_dword v52, off, s[0:3], 0 offset:572
	buffer_load_dword v42, off, s[0:3], 0 offset:548
	;; [unrolled: 1-line block ×3, first 2 shown]
	ds_read_b128 v[1:4], v70 offset:1360
	v_add_f64 v[21:22], v[21:22], v[47:48]
	v_add_f64 v[13:14], v[13:14], v[43:44]
	s_waitcnt vmcnt(58) lgkmcnt(1)
	v_mul_f64 v[47:48], v[7:8], v[59:60]
	s_waitcnt vmcnt(56)
	v_fma_f64 v[55:56], v[9:10], v[61:62], -v[54:55]
	v_mul_f64 v[43:44], v[5:6], v[59:60]
	v_add_f64 v[21:22], v[21:22], v[39:40]
	v_fma_f64 v[39:40], v[11:12], v[61:62], v[130:131]
	v_add_f64 v[13:14], v[13:14], v[35:36]
	s_clause 0x4
	buffer_load_dword v36, off, s[0:3], 0 offset:588
	buffer_load_dword v59, off, s[0:3], 0 offset:600
	;; [unrolled: 1-line block ×5, first 2 shown]
	s_waitcnt vmcnt(57) lgkmcnt(0)
	v_mul_f64 v[130:131], v[1:2], v[63:64]
	v_mul_f64 v[62:63], v[3:4], v[63:64]
	s_waitcnt vmcnt(56)
	v_fma_f64 v[47:48], v[5:6], v[49:50], -v[47:48]
	ds_read_b128 v[9:12], v70 offset:1376
	v_fma_f64 v[43:44], v[7:8], v[49:50], v[43:44]
	v_add_f64 v[21:22], v[21:22], v[55:56]
	v_add_f64 v[13:14], v[13:14], v[39:40]
	s_clause 0x2
	buffer_load_dword v60, off, s[0:3], 0 offset:604
	buffer_load_dword v40, off, s[0:3], 0 offset:580
	;; [unrolled: 1-line block ×3, first 2 shown]
	ds_read_b128 v[5:8], v70 offset:1392
	s_waitcnt vmcnt(58) lgkmcnt(1)
	v_mul_f64 v[55:56], v[11:12], v[65:66]
	s_waitcnt vmcnt(56)
	v_fma_f64 v[63:64], v[1:2], v[67:68], -v[62:63]
	v_mul_f64 v[49:50], v[9:10], v[65:66]
	v_add_f64 v[21:22], v[21:22], v[47:48]
	v_fma_f64 v[47:48], v[3:4], v[67:68], v[130:131]
	v_add_f64 v[13:14], v[13:14], v[43:44]
	s_clause 0x4
	buffer_load_dword v44, off, s[0:3], 0 offset:620
	buffer_load_dword v65, off, s[0:3], 0 offset:632
	;; [unrolled: 1-line block ×5, first 2 shown]
	s_waitcnt vmcnt(57) lgkmcnt(0)
	v_mul_f64 v[130:131], v[5:6], v[77:78]
	v_mul_f64 v[77:78], v[7:8], v[77:78]
	s_waitcnt vmcnt(56)
	v_fma_f64 v[55:56], v[9:10], v[57:58], -v[55:56]
	ds_read_b128 v[1:4], v70 offset:1408
	v_fma_f64 v[49:50], v[11:12], v[57:58], v[49:50]
	v_add_f64 v[21:22], v[21:22], v[63:64]
	v_add_f64 v[13:14], v[13:14], v[47:48]
	s_clause 0x2
	buffer_load_dword v66, off, s[0:3], 0 offset:636
	buffer_load_dword v48, off, s[0:3], 0 offset:612
	;; [unrolled: 1-line block ×3, first 2 shown]
	ds_read_b128 v[9:12], v70 offset:1424
	s_waitcnt vmcnt(58) lgkmcnt(1)
	v_mul_f64 v[63:64], v[3:4], v[79:80]
	v_mul_f64 v[57:58], v[1:2], v[79:80]
	s_waitcnt vmcnt(56)
	v_fma_f64 v[77:78], v[5:6], v[17:18], -v[77:78]
	v_fma_f64 v[17:18], v[7:8], v[17:18], v[130:131]
	v_add_f64 v[21:22], v[21:22], v[55:56]
	v_add_f64 v[13:14], v[13:14], v[49:50]
	s_clause 0x4
	buffer_load_dword v50, off, s[0:3], 0 offset:652
	buffer_load_dword v55, off, s[0:3], 0 offset:664
	;; [unrolled: 1-line block ×5, first 2 shown]
	ds_read_b128 v[5:8], v70 offset:1440
	s_waitcnt vmcnt(57) lgkmcnt(1)
	v_mul_f64 v[130:131], v[9:10], v[15:16]
	v_mul_f64 v[15:16], v[11:12], v[15:16]
	s_waitcnt vmcnt(56)
	v_fma_f64 v[63:64], v[1:2], v[81:82], -v[63:64]
	v_fma_f64 v[57:58], v[3:4], v[81:82], v[57:58]
	v_add_f64 v[21:22], v[21:22], v[77:78]
	v_add_f64 v[13:14], v[13:14], v[17:18]
	s_clause 0x2
	buffer_load_dword v56, off, s[0:3], 0 offset:668
	buffer_load_dword v18, off, s[0:3], 0 offset:644
	buffer_load_dword v17, off, s[0:3], 0 offset:640
	s_waitcnt vmcnt(58) lgkmcnt(0)
	v_mul_f64 v[81:82], v[7:8], v[83:84]
	ds_read_b128 v[1:4], v70 offset:1456
	v_mul_f64 v[77:78], v[5:6], v[83:84]
	s_waitcnt vmcnt(56)
	v_fma_f64 v[15:16], v[9:10], v[73:74], -v[15:16]
	v_add_f64 v[21:22], v[21:22], v[63:64]
	v_fma_f64 v[63:64], v[11:12], v[73:74], v[130:131]
	v_add_f64 v[13:14], v[13:14], v[57:58]
	s_clause 0x4
	buffer_load_dword v58, off, s[0:3], 0 offset:684
	buffer_load_dword v73, off, s[0:3], 0 offset:696
	;; [unrolled: 1-line block ×5, first 2 shown]
	ds_read_b128 v[9:12], v70 offset:1472
	s_waitcnt vmcnt(57) lgkmcnt(1)
	v_mul_f64 v[130:131], v[1:2], v[33:34]
	v_mul_f64 v[33:34], v[3:4], v[33:34]
	s_waitcnt vmcnt(56)
	v_fma_f64 v[81:82], v[5:6], v[126:127], -v[81:82]
	v_add_f64 v[15:16], v[21:22], v[15:16]
	v_fma_f64 v[21:22], v[7:8], v[126:127], v[77:78]
	v_add_f64 v[13:14], v[13:14], v[63:64]
	s_clause 0x2
	buffer_load_dword v74, off, s[0:3], 0 offset:700
	buffer_load_dword v64, off, s[0:3], 0 offset:676
	;; [unrolled: 1-line block ×3, first 2 shown]
	ds_read_b128 v[5:8], v70 offset:1488
	s_waitcnt vmcnt(58) lgkmcnt(1)
	v_mul_f64 v[77:78], v[9:10], v[75:76]
	v_mul_f64 v[75:76], v[11:12], v[75:76]
	s_waitcnt vmcnt(56)
	v_fma_f64 v[33:34], v[1:2], v[27:28], -v[33:34]
	v_fma_f64 v[27:28], v[3:4], v[27:28], v[130:131]
	v_add_f64 v[15:16], v[15:16], v[81:82]
	v_add_f64 v[13:14], v[13:14], v[21:22]
	s_clause 0x4
	buffer_load_dword v22, off, s[0:3], 0 offset:716
	buffer_load_dword v81, off, s[0:3], 0 offset:728
	;; [unrolled: 1-line block ×5, first 2 shown]
	ds_read_b128 v[1:4], v70 offset:1504
	s_waitcnt vmcnt(57) lgkmcnt(1)
	v_mul_f64 v[130:131], v[5:6], v[19:20]
	v_mul_f64 v[19:20], v[7:8], v[19:20]
	s_waitcnt vmcnt(56)
	v_fma_f64 v[75:76], v[9:10], v[128:129], -v[75:76]
	v_add_f64 v[15:16], v[15:16], v[33:34]
	v_fma_f64 v[33:34], v[11:12], v[128:129], v[77:78]
	v_add_f64 v[13:14], v[13:14], v[27:28]
	s_clause 0x2
	buffer_load_dword v82, off, s[0:3], 0 offset:732
	buffer_load_dword v28, off, s[0:3], 0 offset:708
	;; [unrolled: 1-line block ×3, first 2 shown]
	ds_read_b128 v[9:12], v70 offset:1520
	s_waitcnt vmcnt(58) lgkmcnt(1)
	v_mul_f64 v[77:78], v[1:2], v[37:38]
	v_mul_f64 v[37:38], v[3:4], v[37:38]
	s_waitcnt vmcnt(56)
	v_fma_f64 v[19:20], v[5:6], v[25:26], -v[19:20]
	v_fma_f64 v[25:26], v[7:8], v[25:26], v[130:131]
	v_add_f64 v[15:16], v[15:16], v[75:76]
	v_add_f64 v[13:14], v[13:14], v[33:34]
	s_clause 0x4
	buffer_load_dword v34, off, s[0:3], 0 offset:748
	buffer_load_dword v75, off, s[0:3], 0 offset:760
	;; [unrolled: 1-line block ×5, first 2 shown]
	ds_read_b128 v[5:8], v70 offset:1536
	s_waitcnt vmcnt(57) lgkmcnt(1)
	v_mul_f64 v[129:130], v[9:10], v[23:24]
	v_mul_f64 v[23:24], v[11:12], v[23:24]
	s_waitcnt vmcnt(56)
	v_fma_f64 v[37:38], v[1:2], v[85:86], -v[37:38]
	v_add_f64 v[15:16], v[15:16], v[19:20]
	v_fma_f64 v[19:20], v[3:4], v[85:86], v[77:78]
	v_add_f64 v[13:14], v[13:14], v[25:26]
	s_clause 0x2
	buffer_load_dword v76, off, s[0:3], 0 offset:764
	buffer_load_dword v26, off, s[0:3], 0 offset:740
	buffer_load_dword v25, off, s[0:3], 0 offset:736
	s_waitcnt vmcnt(58) lgkmcnt(0)
	v_mul_f64 v[77:78], v[5:6], v[45:46]
	v_mul_f64 v[45:46], v[7:8], v[45:46]
	ds_read_b128 v[1:4], v70 offset:1552
	s_waitcnt vmcnt(56)
	v_fma_f64 v[23:24], v[9:10], v[31:32], -v[23:24]
	v_fma_f64 v[31:32], v[11:12], v[31:32], v[129:130]
	v_add_f64 v[15:16], v[15:16], v[37:38]
	v_add_f64 v[13:14], v[13:14], v[19:20]
	s_clause 0x4
	buffer_load_dword v20, off, s[0:3], 0 offset:780
	buffer_load_dword v37, off, s[0:3], 0 offset:792
	;; [unrolled: 1-line block ×5, first 2 shown]
	ds_read_b128 v[9:12], v70 offset:1568
	s_waitcnt vmcnt(57) lgkmcnt(1)
	v_mul_f64 v[86:87], v[1:2], v[29:30]
	v_mul_f64 v[29:30], v[3:4], v[29:30]
	s_waitcnt vmcnt(56)
	v_fma_f64 v[45:46], v[5:6], v[71:72], -v[45:46]
	v_add_f64 v[15:16], v[15:16], v[23:24]
	v_fma_f64 v[23:24], v[7:8], v[71:72], v[77:78]
	v_add_f64 v[13:14], v[13:14], v[31:32]
	s_clause 0x2
	buffer_load_dword v38, off, s[0:3], 0 offset:796
	buffer_load_dword v32, off, s[0:3], 0 offset:772
	;; [unrolled: 1-line block ×3, first 2 shown]
	s_waitcnt vmcnt(58) lgkmcnt(0)
	v_mul_f64 v[71:72], v[9:10], v[51:52]
	v_mul_f64 v[51:52], v[11:12], v[51:52]
	ds_read_b128 v[5:8], v70 offset:1584
	s_waitcnt vmcnt(56)
	v_fma_f64 v[29:30], v[1:2], v[41:42], -v[29:30]
	v_fma_f64 v[41:42], v[3:4], v[41:42], v[86:87]
	v_add_f64 v[15:16], v[15:16], v[45:46]
	v_add_f64 v[13:14], v[13:14], v[23:24]
	s_clause 0x4
	buffer_load_dword v24, off, s[0:3], 0 offset:812
	buffer_load_dword v45, off, s[0:3], 0 offset:824
	buffer_load_dword v77, off, s[0:3], 0 offset:816
	buffer_load_dword v23, off, s[0:3], 0 offset:808
	buffer_load_dword v86, off, s[0:3], 0 offset:788
	ds_read_b128 v[1:4], v70 offset:1600
	s_waitcnt vmcnt(57) lgkmcnt(1)
	v_mul_f64 v[130:131], v[5:6], v[35:36]
	v_mul_f64 v[35:36], v[7:8], v[35:36]
	s_waitcnt vmcnt(56)
	v_fma_f64 v[51:52], v[9:10], v[53:54], -v[51:52]
	v_add_f64 v[15:16], v[15:16], v[29:30]
	v_fma_f64 v[29:30], v[11:12], v[53:54], v[71:72]
	v_add_f64 v[13:14], v[13:14], v[41:42]
	s_clause 0x2
	buffer_load_dword v46, off, s[0:3], 0 offset:828
	buffer_load_dword v42, off, s[0:3], 0 offset:804
	buffer_load_dword v41, off, s[0:3], 0 offset:800
	ds_read_b128 v[9:12], v70 offset:1616
	s_waitcnt vmcnt(58) lgkmcnt(1)
	v_mul_f64 v[53:54], v[1:2], v[59:60]
	v_mul_f64 v[59:60], v[3:4], v[59:60]
	s_waitcnt vmcnt(56)
	v_fma_f64 v[35:36], v[5:6], v[39:40], -v[35:36]
	v_fma_f64 v[39:40], v[7:8], v[39:40], v[130:131]
	v_add_f64 v[15:16], v[15:16], v[51:52]
	v_add_f64 v[13:14], v[13:14], v[29:30]
	s_clause 0x4
	buffer_load_dword v30, off, s[0:3], 0 offset:844
	buffer_load_dword v51, off, s[0:3], 0 offset:856
	buffer_load_dword v71, off, s[0:3], 0 offset:848
	buffer_load_dword v29, off, s[0:3], 0 offset:840
	buffer_load_dword v78, off, s[0:3], 0 offset:820
	ds_read_b128 v[5:8], v70 offset:1632
	s_waitcnt vmcnt(57) lgkmcnt(1)
	v_mul_f64 v[130:131], v[9:10], v[43:44]
	v_mul_f64 v[43:44], v[11:12], v[43:44]
	s_waitcnt vmcnt(56)
	v_fma_f64 v[59:60], v[1:2], v[61:62], -v[59:60]
	v_add_f64 v[15:16], v[15:16], v[35:36]
	v_fma_f64 v[35:36], v[3:4], v[61:62], v[53:54]
	v_add_f64 v[13:14], v[13:14], v[39:40]
	s_clause 0x2
	buffer_load_dword v52, off, s[0:3], 0 offset:860
	buffer_load_dword v40, off, s[0:3], 0 offset:836
	buffer_load_dword v39, off, s[0:3], 0 offset:832
	ds_read_b128 v[1:4], v70 offset:1648
	s_waitcnt vmcnt(58) lgkmcnt(1)
	v_mul_f64 v[61:62], v[7:8], v[65:66]
	v_mul_f64 v[53:54], v[5:6], v[65:66]
	;; [unrolled: 28-line block ×4, first 2 shown]
	s_waitcnt vmcnt(56)
	v_fma_f64 v[57:58], v[5:6], v[63:64], -v[57:58]
	v_add_f64 v[15:16], v[15:16], v[55:56]
	v_fma_f64 v[55:56], v[7:8], v[63:64], v[130:131]
	v_add_f64 v[13:14], v[13:14], v[49:50]
	s_clause 0x4
	buffer_load_dword v50, off, s[0:3], 0 offset:940
	buffer_load_dword v63, off, s[0:3], 0 offset:952
	buffer_load_dword v79, off, s[0:3], 0 offset:944
	buffer_load_dword v49, off, s[0:3], 0 offset:936
	buffer_load_dword v68, off, s[0:3], 0 offset:916
	ds_read_b128 v[5:8], v70 offset:1728
	s_waitcnt vmcnt(57) lgkmcnt(1)
	v_mul_f64 v[130:131], v[9:10], v[21:22]
	v_mul_f64 v[21:22], v[11:12], v[21:22]
	s_waitcnt vmcnt(56)
	v_fma_f64 v[73:74], v[1:2], v[83:84], -v[73:74]
	v_fma_f64 v[53:54], v[3:4], v[83:84], v[53:54]
	v_add_f64 v[15:16], v[15:16], v[57:58]
	v_add_f64 v[13:14], v[13:14], v[55:56]
	s_clause 0x2
	buffer_load_dword v64, off, s[0:3], 0 offset:956
	buffer_load_dword v56, off, s[0:3], 0 offset:932
	buffer_load_dword v55, off, s[0:3], 0 offset:928
	ds_read_b128 v[1:4], v70 offset:1744
	s_waitcnt vmcnt(58) lgkmcnt(1)
	v_mul_f64 v[57:58], v[5:6], v[81:82]
	v_mul_f64 v[81:82], v[7:8], v[81:82]
	s_waitcnt vmcnt(56)
	v_fma_f64 v[21:22], v[9:10], v[27:28], -v[21:22]
	v_fma_f64 v[27:28], v[11:12], v[27:28], v[130:131]
	v_add_f64 v[15:16], v[15:16], v[73:74]
	v_add_f64 v[13:14], v[13:14], v[53:54]
	s_clause 0x4
	buffer_load_dword v54, off, s[0:3], 0 offset:972
	buffer_load_dword v73, off, s[0:3], 0 offset:984
	;; [unrolled: 1-line block ×5, first 2 shown]
	ds_read_b128 v[9:12], v70 offset:1760
	s_waitcnt vmcnt(57) lgkmcnt(1)
	v_mul_f64 v[130:131], v[1:2], v[33:34]
	v_mul_f64 v[33:34], v[3:4], v[33:34]
	s_waitcnt vmcnt(56)
	v_fma_f64 v[81:82], v[5:6], v[126:127], -v[81:82]
	v_add_f64 v[15:16], v[15:16], v[21:22]
	v_fma_f64 v[21:22], v[7:8], v[126:127], v[57:58]
	v_add_f64 v[13:14], v[13:14], v[27:28]
	s_clause 0x2
	buffer_load_dword v74, off, s[0:3], 0 offset:988
	buffer_load_dword v28, off, s[0:3], 0 offset:964
	;; [unrolled: 1-line block ×3, first 2 shown]
	ds_read_b128 v[5:8], v70 offset:1776
	s_waitcnt vmcnt(58) lgkmcnt(1)
	v_mul_f64 v[57:58], v[9:10], v[75:76]
	v_mul_f64 v[75:76], v[11:12], v[75:76]
	s_waitcnt vmcnt(56)
	v_fma_f64 v[33:34], v[1:2], v[25:26], -v[33:34]
	v_fma_f64 v[25:26], v[3:4], v[25:26], v[130:131]
	v_add_f64 v[15:16], v[15:16], v[81:82]
	v_add_f64 v[13:14], v[13:14], v[21:22]
	s_clause 0x4
	buffer_load_dword v22, off, s[0:3], 0 offset:1004
	buffer_load_dword v81, off, s[0:3], 0 offset:1016
	buffer_load_dword v126, off, s[0:3], 0 offset:1008
	buffer_load_dword v21, off, s[0:3], 0 offset:1000
	buffer_load_dword v84, off, s[0:3], 0 offset:980
	ds_read_b128 v[1:4], v70 offset:1792
	s_waitcnt vmcnt(57) lgkmcnt(1)
	v_mul_f64 v[130:131], v[5:6], v[19:20]
	v_mul_f64 v[19:20], v[7:8], v[19:20]
	s_waitcnt vmcnt(56)
	v_fma_f64 v[75:76], v[9:10], v[128:129], -v[75:76]
	v_add_f64 v[15:16], v[15:16], v[33:34]
	v_fma_f64 v[33:34], v[11:12], v[128:129], v[57:58]
	v_add_f64 v[13:14], v[13:14], v[25:26]
	s_clause 0x2
	buffer_load_dword v82, off, s[0:3], 0 offset:1020
	buffer_load_dword v26, off, s[0:3], 0 offset:996
	;; [unrolled: 1-line block ×3, first 2 shown]
	ds_read_b128 v[9:12], v70 offset:1808
	s_waitcnt vmcnt(58) lgkmcnt(1)
	v_mul_f64 v[57:58], v[1:2], v[37:38]
	v_mul_f64 v[37:38], v[3:4], v[37:38]
	s_waitcnt vmcnt(56)
	v_fma_f64 v[19:20], v[5:6], v[31:32], -v[19:20]
	v_fma_f64 v[31:32], v[7:8], v[31:32], v[130:131]
	v_add_f64 v[15:16], v[15:16], v[75:76]
	v_add_f64 v[13:14], v[13:14], v[33:34]
	s_clause 0x2
	buffer_load_dword v34, off, s[0:3], 0 offset:1036
	buffer_load_dword v33, off, s[0:3], 0 offset:1032
	;; [unrolled: 1-line block ×3, first 2 shown]
	ds_read_b128 v[5:8], v70 offset:1824
	s_waitcnt vmcnt(55) lgkmcnt(1)
	v_mul_f64 v[75:76], v[9:10], v[23:24]
	v_mul_f64 v[23:24], v[11:12], v[23:24]
	s_waitcnt vmcnt(54)
	v_fma_f64 v[37:38], v[1:2], v[85:86], -v[37:38]
	v_add_f64 v[15:16], v[15:16], v[19:20]
	v_fma_f64 v[19:20], v[3:4], v[85:86], v[57:58]
	v_add_f64 v[13:14], v[13:14], v[31:32]
	s_clause 0x1
	buffer_load_dword v32, off, s[0:3], 0 offset:1028
	buffer_load_dword v31, off, s[0:3], 0 offset:1024
	ds_read_b128 v[1:4], v70 offset:1840
	s_waitcnt vmcnt(55) lgkmcnt(1)
	v_mul_f64 v[57:58], v[5:6], v[45:46]
	v_mul_f64 v[45:46], v[7:8], v[45:46]
	s_waitcnt vmcnt(53)
	v_fma_f64 v[23:24], v[9:10], v[41:42], -v[23:24]
	v_add_f64 v[15:16], v[15:16], v[37:38]
	v_fma_f64 v[37:38], v[11:12], v[41:42], v[75:76]
	v_add_f64 v[13:14], v[13:14], v[19:20]
	ds_read_b128 v[9:12], v70 offset:1856
	s_waitcnt vmcnt(49) lgkmcnt(1)
	v_mul_f64 v[19:20], v[1:2], v[29:30]
	v_mul_f64 v[29:30], v[3:4], v[29:30]
	s_waitcnt vmcnt(48)
	v_fma_f64 v[41:42], v[5:6], v[77:78], -v[45:46]
	v_add_f64 v[15:16], v[15:16], v[23:24]
	v_fma_f64 v[23:24], v[7:8], v[77:78], v[57:58]
	v_add_f64 v[13:14], v[13:14], v[37:38]
	s_clause 0x3
	buffer_load_dword v37, off, s[0:3], 0 offset:128
	buffer_load_dword v38, off, s[0:3], 0 offset:132
	;; [unrolled: 1-line block ×4, first 2 shown]
	ds_read_b128 v[5:8], v70 offset:1872
	s_waitcnt vmcnt(51) lgkmcnt(1)
	v_mul_f64 v[57:58], v[9:10], v[51:52]
	v_mul_f64 v[51:52], v[11:12], v[51:52]
	s_waitcnt vmcnt(49)
	v_fma_f64 v[29:30], v[1:2], v[39:40], -v[29:30]
	v_fma_f64 v[19:20], v[3:4], v[39:40], v[19:20]
	ds_read_b128 v[1:4], v70 offset:1888
	v_add_f64 v[15:16], v[15:16], v[41:42]
	v_add_f64 v[13:14], v[13:14], v[23:24]
	s_waitcnt vmcnt(45) lgkmcnt(1)
	v_mul_f64 v[23:24], v[5:6], v[35:36]
	v_mul_f64 v[35:36], v[7:8], v[35:36]
	s_waitcnt vmcnt(44)
	v_fma_f64 v[39:40], v[9:10], v[71:72], -v[51:52]
	v_add_f64 v[15:16], v[15:16], v[29:30]
	v_fma_f64 v[29:30], v[11:12], v[71:72], v[57:58]
	v_add_f64 v[13:14], v[13:14], v[19:20]
	ds_read_b128 v[9:12], v70 offset:1904
	s_waitcnt vmcnt(43) lgkmcnt(1)
	v_mul_f64 v[41:42], v[3:4], v[59:60]
	v_mul_f64 v[19:20], v[1:2], v[59:60]
	s_waitcnt vmcnt(41)
	v_fma_f64 v[35:36], v[5:6], v[47:48], -v[35:36]
	v_fma_f64 v[23:24], v[7:8], v[47:48], v[23:24]
	ds_read_b128 v[5:8], v70 offset:1920
	v_add_f64 v[15:16], v[15:16], v[39:40]
	v_add_f64 v[13:14], v[13:14], v[29:30]
	s_waitcnt vmcnt(37) lgkmcnt(1)
	v_mul_f64 v[39:40], v[11:12], v[43:44]
	s_waitcnt vmcnt(36)
	v_fma_f64 v[41:42], v[1:2], v[65:66], -v[41:42]
	v_mul_f64 v[29:30], v[9:10], v[43:44]
	v_fma_f64 v[19:20], v[3:4], v[65:66], v[19:20]
	ds_read_b128 v[1:4], v70 offset:1936
	v_add_f64 v[15:16], v[15:16], v[35:36]
	v_add_f64 v[13:14], v[13:14], v[23:24]
	s_waitcnt vmcnt(35) lgkmcnt(1)
	v_mul_f64 v[35:36], v[7:8], v[61:62]
	v_mul_f64 v[23:24], v[5:6], v[61:62]
	s_waitcnt vmcnt(33)
	v_fma_f64 v[39:40], v[9:10], v[17:18], -v[39:40]
	v_fma_f64 v[17:18], v[11:12], v[17:18], v[29:30]
	ds_read_b128 v[9:12], v70 offset:1952
	v_add_f64 v[15:16], v[15:16], v[41:42]
	v_add_f64 v[13:14], v[13:14], v[19:20]
	s_waitcnt vmcnt(29) lgkmcnt(1)
	v_mul_f64 v[29:30], v[3:4], v[49:50]
	s_waitcnt vmcnt(28)
	v_fma_f64 v[35:36], v[5:6], v[67:68], -v[35:36]
	v_mul_f64 v[19:20], v[1:2], v[49:50]
	v_fma_f64 v[23:24], v[7:8], v[67:68], v[23:24]
	ds_read_b128 v[5:8], v70 offset:1968
	v_add_f64 v[15:16], v[15:16], v[39:40]
	v_add_f64 v[13:14], v[13:14], v[17:18]
	;; [unrolled: 18-line block ×3, first 2 shown]
	s_waitcnt vmcnt(19) lgkmcnt(1)
	v_mul_f64 v[29:30], v[3:4], v[73:74]
	v_mul_f64 v[19:20], v[1:2], v[73:74]
	s_waitcnt vmcnt(17)
	v_fma_f64 v[35:36], v[5:6], v[27:28], -v[35:36]
	v_fma_f64 v[23:24], v[7:8], v[27:28], v[23:24]
	ds_read_b128 v[5:8], v70 offset:2016
	v_add_f64 v[15:16], v[15:16], v[39:40]
	v_add_f64 v[13:14], v[13:14], v[17:18]
	s_waitcnt vmcnt(13) lgkmcnt(1)
	v_mul_f64 v[17:18], v[9:10], v[21:22]
	v_mul_f64 v[21:22], v[11:12], v[21:22]
	s_waitcnt vmcnt(12)
	v_fma_f64 v[27:28], v[1:2], v[83:84], -v[29:30]
	v_fma_f64 v[19:20], v[3:4], v[83:84], v[19:20]
	ds_read_b128 v[1:4], v70 offset:2032
	v_add_f64 v[15:16], v[15:16], v[35:36]
	v_add_f64 v[13:14], v[13:14], v[23:24]
	s_waitcnt vmcnt(11) lgkmcnt(1)
	v_mul_f64 v[29:30], v[7:8], v[81:82]
	v_mul_f64 v[23:24], v[5:6], v[81:82]
	s_waitcnt vmcnt(9)
	v_fma_f64 v[9:10], v[9:10], v[25:26], -v[21:22]
	v_fma_f64 v[11:12], v[11:12], v[25:26], v[17:18]
	v_add_f64 v[15:16], v[15:16], v[27:28]
	v_add_f64 v[13:14], v[13:14], v[19:20]
	s_waitcnt vmcnt(7) lgkmcnt(0)
	v_mul_f64 v[19:20], v[3:4], v[33:34]
	s_waitcnt vmcnt(6)
	v_fma_f64 v[5:6], v[5:6], v[126:127], -v[29:30]
	v_mul_f64 v[17:18], v[1:2], v[33:34]
	v_fma_f64 v[7:8], v[7:8], v[126:127], v[23:24]
	v_add_f64 v[9:10], v[15:16], v[9:10]
	v_add_f64 v[11:12], v[13:14], v[11:12]
	s_waitcnt vmcnt(4)
	v_fma_f64 v[1:2], v[1:2], v[31:32], -v[19:20]
	v_fma_f64 v[3:4], v[3:4], v[31:32], v[17:18]
	v_add_f64 v[5:6], v[9:10], v[5:6]
	v_add_f64 v[7:8], v[11:12], v[7:8]
	;; [unrolled: 1-line block ×4, first 2 shown]
	s_waitcnt vmcnt(2)
	v_add_f64 v[1:2], v[37:38], -v[1:2]
	s_waitcnt vmcnt(0)
	v_add_f64 v[3:4], v[45:46], -v[3:4]
	buffer_store_dword v2, off, s[0:3], 0 offset:132
	buffer_store_dword v1, off, s[0:3], 0 offset:128
	;; [unrolled: 1-line block ×4, first 2 shown]
	v_cmpx_lt_u32_e32 6, v0
	s_cbranch_execz .LBB63_397
; %bb.396:
	v_mov_b32_e32 v4, s72
	v_mov_b32_e32 v5, 0
	s_clause 0x3
	buffer_load_dword v1, v4, s[0:3], 0 offen
	buffer_load_dword v2, v4, s[0:3], 0 offen offset:4
	buffer_load_dword v3, v4, s[0:3], 0 offen offset:8
	;; [unrolled: 1-line block ×3, first 2 shown]
	buffer_store_dword v5, off, s[0:3], 0 offset:112
	buffer_store_dword v5, off, s[0:3], 0 offset:116
	;; [unrolled: 1-line block ×4, first 2 shown]
	s_waitcnt vmcnt(0)
	ds_write_b128 v69, v[1:4]
.LBB63_397:
	s_or_b32 exec_lo, exec_lo, s4
	s_waitcnt lgkmcnt(0)
	s_waitcnt_vscnt null, 0x0
	s_barrier
	buffer_gl0_inv
	s_clause 0x37
	buffer_load_dword v17, off, s[0:3], 0 offset:136
	buffer_load_dword v18, off, s[0:3], 0 offset:140
	buffer_load_dword v13, off, s[0:3], 0 offset:152
	buffer_load_dword v14, off, s[0:3], 0 offset:156
	buffer_load_dword v15, off, s[0:3], 0 offset:128
	buffer_load_dword v16, off, s[0:3], 0 offset:132
	buffer_load_dword v11, off, s[0:3], 0 offset:168
	buffer_load_dword v12, off, s[0:3], 0 offset:172
	buffer_load_dword v9, off, s[0:3], 0 offset:144
	buffer_load_dword v10, off, s[0:3], 0 offset:148
	buffer_load_dword v22, off, s[0:3], 0 offset:188
	buffer_load_dword v25, off, s[0:3], 0 offset:200
	buffer_load_dword v19, off, s[0:3], 0 offset:192
	buffer_load_dword v21, off, s[0:3], 0 offset:184
	buffer_load_dword v33, off, s[0:3], 0 offset:160
	buffer_load_dword v34, off, s[0:3], 0 offset:164
	buffer_load_dword v26, off, s[0:3], 0 offset:204
	buffer_load_dword v28, off, s[0:3], 0 offset:180
	buffer_load_dword v27, off, s[0:3], 0 offset:176
	buffer_load_dword v30, off, s[0:3], 0 offset:220
	buffer_load_dword v35, off, s[0:3], 0 offset:232
	buffer_load_dword v23, off, s[0:3], 0 offset:224
	buffer_load_dword v29, off, s[0:3], 0 offset:216
	buffer_load_dword v20, off, s[0:3], 0 offset:196
	buffer_load_dword v36, off, s[0:3], 0 offset:236
	buffer_load_dword v38, off, s[0:3], 0 offset:212
	buffer_load_dword v37, off, s[0:3], 0 offset:208
	buffer_load_dword v40, off, s[0:3], 0 offset:252
	buffer_load_dword v43, off, s[0:3], 0 offset:264
	buffer_load_dword v31, off, s[0:3], 0 offset:256
	buffer_load_dword v39, off, s[0:3], 0 offset:248
	buffer_load_dword v24, off, s[0:3], 0 offset:228
	buffer_load_dword v44, off, s[0:3], 0 offset:268
	buffer_load_dword v46, off, s[0:3], 0 offset:244
	buffer_load_dword v45, off, s[0:3], 0 offset:240
	buffer_load_dword v48, off, s[0:3], 0 offset:284
	buffer_load_dword v51, off, s[0:3], 0 offset:296
	buffer_load_dword v41, off, s[0:3], 0 offset:288
	buffer_load_dword v47, off, s[0:3], 0 offset:280
	buffer_load_dword v32, off, s[0:3], 0 offset:260
	buffer_load_dword v52, off, s[0:3], 0 offset:300
	buffer_load_dword v54, off, s[0:3], 0 offset:276
	buffer_load_dword v53, off, s[0:3], 0 offset:272
	buffer_load_dword v56, off, s[0:3], 0 offset:316
	buffer_load_dword v59, off, s[0:3], 0 offset:328
	buffer_load_dword v49, off, s[0:3], 0 offset:320
	buffer_load_dword v55, off, s[0:3], 0 offset:312
	buffer_load_dword v42, off, s[0:3], 0 offset:292
	buffer_load_dword v60, off, s[0:3], 0 offset:332
	buffer_load_dword v62, off, s[0:3], 0 offset:308
	buffer_load_dword v61, off, s[0:3], 0 offset:304
	buffer_load_dword v64, off, s[0:3], 0 offset:348
	buffer_load_dword v65, off, s[0:3], 0 offset:360
	buffer_load_dword v57, off, s[0:3], 0 offset:352
	buffer_load_dword v63, off, s[0:3], 0 offset:344
	buffer_load_dword v50, off, s[0:3], 0 offset:324
	v_mov_b32_e32 v70, 0
	s_mov_b32 s4, exec_lo
	ds_read_b128 v[5:8], v70 offset:1136
	s_clause 0x2
	buffer_load_dword v66, off, s[0:3], 0 offset:364
	buffer_load_dword v68, off, s[0:3], 0 offset:340
	;; [unrolled: 1-line block ×3, first 2 shown]
	ds_read_b128 v[1:4], v70 offset:1152
	s_clause 0x4
	buffer_load_dword v78, off, s[0:3], 0 offset:380
	buffer_load_dword v79, off, s[0:3], 0 offset:392
	;; [unrolled: 1-line block ×5, first 2 shown]
	ds_read_b128 v[71:74], v70 offset:1168
	s_waitcnt vmcnt(62) lgkmcnt(2)
	v_mul_f64 v[75:76], v[7:8], v[17:18]
	v_mul_f64 v[17:18], v[5:6], v[17:18]
	s_waitcnt vmcnt(60) lgkmcnt(1)
	v_mul_f64 v[82:83], v[3:4], v[13:14]
	v_mul_f64 v[13:14], v[1:2], v[13:14]
	;; [unrolled: 3-line block ×3, first 2 shown]
	v_fma_f64 v[75:76], v[5:6], v[15:16], -v[75:76]
	v_fma_f64 v[15:16], v[7:8], v[15:16], v[17:18]
	s_clause 0x2
	buffer_load_dword v80, off, s[0:3], 0 offset:396
	buffer_load_dword v18, off, s[0:3], 0 offset:372
	;; [unrolled: 1-line block ×3, first 2 shown]
	s_waitcnt vmcnt(57)
	v_fma_f64 v[86:87], v[1:2], v[9:10], -v[82:83]
	ds_read_b128 v[5:8], v70 offset:1184
	v_fma_f64 v[9:10], v[3:4], v[9:10], v[13:14]
	s_waitcnt vmcnt(51)
	v_fma_f64 v[71:72], v[71:72], v[33:34], -v[11:12]
	v_fma_f64 v[33:34], v[73:74], v[33:34], v[84:85]
	v_add_f64 v[75:76], v[75:76], 0
	v_add_f64 v[13:14], v[15:16], 0
	s_clause 0x4
	buffer_load_dword v16, off, s[0:3], 0 offset:412
	buffer_load_dword v83, off, s[0:3], 0 offset:424
	;; [unrolled: 1-line block ×5, first 2 shown]
	s_waitcnt lgkmcnt(0)
	v_mul_f64 v[127:128], v[5:6], v[21:22]
	v_mul_f64 v[21:22], v[7:8], v[21:22]
	ds_read_b128 v[1:4], v70 offset:1200
	s_clause 0x2
	buffer_load_dword v84, off, s[0:3], 0 offset:428
	buffer_load_dword v74, off, s[0:3], 0 offset:404
	;; [unrolled: 1-line block ×3, first 2 shown]
	v_add_f64 v[75:76], v[75:76], v[86:87]
	v_add_f64 v[13:14], v[13:14], v[9:10]
	ds_read_b128 v[9:12], v70 offset:1216
	s_waitcnt vmcnt(58) lgkmcnt(1)
	v_mul_f64 v[85:86], v[1:2], v[25:26]
	v_mul_f64 v[25:26], v[3:4], v[25:26]
	s_waitcnt vmcnt(56)
	v_fma_f64 v[21:22], v[5:6], v[27:28], -v[21:22]
	v_fma_f64 v[27:28], v[7:8], v[27:28], v[127:128]
	s_waitcnt vmcnt(52) lgkmcnt(0)
	v_mul_f64 v[129:130], v[9:10], v[29:30]
	v_add_f64 v[71:72], v[75:76], v[71:72]
	v_add_f64 v[13:14], v[13:14], v[33:34]
	s_clause 0x4
	buffer_load_dword v34, off, s[0:3], 0 offset:444
	buffer_load_dword v75, off, s[0:3], 0 offset:456
	;; [unrolled: 1-line block ×5, first 2 shown]
	v_mul_f64 v[29:30], v[11:12], v[29:30]
	s_waitcnt vmcnt(56)
	v_fma_f64 v[25:26], v[1:2], v[19:20], -v[25:26]
	ds_read_b128 v[5:8], v70 offset:1232
	v_fma_f64 v[19:20], v[3:4], v[19:20], v[85:86]
	v_add_f64 v[21:22], v[71:72], v[21:22]
	v_add_f64 v[13:14], v[13:14], v[27:28]
	s_clause 0x2
	buffer_load_dword v76, off, s[0:3], 0 offset:460
	buffer_load_dword v28, off, s[0:3], 0 offset:436
	;; [unrolled: 1-line block ×3, first 2 shown]
	s_waitcnt vmcnt(58) lgkmcnt(0)
	v_mul_f64 v[71:72], v[5:6], v[35:36]
	v_mul_f64 v[35:36], v[7:8], v[35:36]
	s_waitcnt vmcnt(56)
	v_fma_f64 v[29:30], v[9:10], v[37:38], -v[29:30]
	ds_read_b128 v[1:4], v70 offset:1248
	v_add_f64 v[21:22], v[21:22], v[25:26]
	v_fma_f64 v[25:26], v[11:12], v[37:38], v[129:130]
	v_add_f64 v[13:14], v[13:14], v[19:20]
	s_clause 0x4
	buffer_load_dword v20, off, s[0:3], 0 offset:476
	buffer_load_dword v37, off, s[0:3], 0 offset:488
	;; [unrolled: 1-line block ×5, first 2 shown]
	s_waitcnt vmcnt(57) lgkmcnt(0)
	v_mul_f64 v[86:87], v[1:2], v[39:40]
	v_mul_f64 v[39:40], v[3:4], v[39:40]
	s_waitcnt vmcnt(56)
	v_fma_f64 v[35:36], v[5:6], v[23:24], -v[35:36]
	ds_read_b128 v[9:12], v70 offset:1264
	v_fma_f64 v[23:24], v[7:8], v[23:24], v[71:72]
	v_add_f64 v[21:22], v[21:22], v[29:30]
	v_add_f64 v[13:14], v[13:14], v[25:26]
	s_clause 0x2
	buffer_load_dword v38, off, s[0:3], 0 offset:492
	buffer_load_dword v26, off, s[0:3], 0 offset:468
	;; [unrolled: 1-line block ×3, first 2 shown]
	ds_read_b128 v[5:8], v70 offset:1280
	s_waitcnt vmcnt(58) lgkmcnt(1)
	v_mul_f64 v[29:30], v[9:10], v[43:44]
	v_mul_f64 v[43:44], v[11:12], v[43:44]
	s_waitcnt vmcnt(56)
	v_fma_f64 v[39:40], v[1:2], v[45:46], -v[39:40]
	v_add_f64 v[21:22], v[21:22], v[35:36]
	v_fma_f64 v[35:36], v[3:4], v[45:46], v[86:87]
	v_add_f64 v[13:14], v[13:14], v[23:24]
	s_clause 0x4
	buffer_load_dword v24, off, s[0:3], 0 offset:508
	buffer_load_dword v45, off, s[0:3], 0 offset:520
	;; [unrolled: 1-line block ×5, first 2 shown]
	s_waitcnt vmcnt(57) lgkmcnt(0)
	v_mul_f64 v[130:131], v[5:6], v[47:48]
	v_mul_f64 v[47:48], v[7:8], v[47:48]
	s_waitcnt vmcnt(56)
	v_fma_f64 v[43:44], v[9:10], v[31:32], -v[43:44]
	ds_read_b128 v[1:4], v70 offset:1296
	v_fma_f64 v[29:30], v[11:12], v[31:32], v[29:30]
	s_clause 0x2
	buffer_load_dword v46, off, s[0:3], 0 offset:524
	buffer_load_dword v32, off, s[0:3], 0 offset:500
	buffer_load_dword v31, off, s[0:3], 0 offset:496
	ds_read_b128 v[9:12], v70 offset:1312
	v_add_f64 v[21:22], v[21:22], v[39:40]
	v_add_f64 v[13:14], v[13:14], v[35:36]
	s_waitcnt vmcnt(58) lgkmcnt(1)
	v_mul_f64 v[39:40], v[3:4], v[51:52]
	s_waitcnt vmcnt(56)
	v_fma_f64 v[47:48], v[5:6], v[53:54], -v[47:48]
	v_mul_f64 v[35:36], v[1:2], v[51:52]
	v_add_f64 v[21:22], v[21:22], v[43:44]
	v_fma_f64 v[43:44], v[7:8], v[53:54], v[130:131]
	v_add_f64 v[13:14], v[13:14], v[29:30]
	s_clause 0x4
	buffer_load_dword v30, off, s[0:3], 0 offset:540
	buffer_load_dword v51, off, s[0:3], 0 offset:552
	;; [unrolled: 1-line block ×5, first 2 shown]
	s_waitcnt vmcnt(57) lgkmcnt(0)
	v_mul_f64 v[130:131], v[9:10], v[55:56]
	v_mul_f64 v[54:55], v[11:12], v[55:56]
	s_waitcnt vmcnt(56)
	v_fma_f64 v[39:40], v[1:2], v[41:42], -v[39:40]
	ds_read_b128 v[5:8], v70 offset:1328
	v_fma_f64 v[35:36], v[3:4], v[41:42], v[35:36]
	s_clause 0x2
	buffer_load_dword v52, off, s[0:3], 0 offset:556
	buffer_load_dword v42, off, s[0:3], 0 offset:532
	buffer_load_dword v41, off, s[0:3], 0 offset:528
	ds_read_b128 v[1:4], v70 offset:1344
	v_add_f64 v[21:22], v[21:22], v[47:48]
	v_add_f64 v[13:14], v[13:14], v[43:44]
	s_waitcnt vmcnt(58) lgkmcnt(1)
	v_mul_f64 v[47:48], v[7:8], v[59:60]
	s_waitcnt vmcnt(56)
	v_fma_f64 v[55:56], v[9:10], v[61:62], -v[54:55]
	v_mul_f64 v[43:44], v[5:6], v[59:60]
	v_add_f64 v[21:22], v[21:22], v[39:40]
	v_fma_f64 v[39:40], v[11:12], v[61:62], v[130:131]
	v_add_f64 v[13:14], v[13:14], v[35:36]
	s_clause 0x4
	buffer_load_dword v36, off, s[0:3], 0 offset:572
	buffer_load_dword v59, off, s[0:3], 0 offset:584
	buffer_load_dword v61, off, s[0:3], 0 offset:576
	buffer_load_dword v35, off, s[0:3], 0 offset:568
	buffer_load_dword v54, off, s[0:3], 0 offset:548
	s_waitcnt vmcnt(57) lgkmcnt(0)
	v_mul_f64 v[130:131], v[1:2], v[63:64]
	v_mul_f64 v[62:63], v[3:4], v[63:64]
	s_waitcnt vmcnt(56)
	v_fma_f64 v[47:48], v[5:6], v[49:50], -v[47:48]
	ds_read_b128 v[9:12], v70 offset:1360
	v_fma_f64 v[43:44], v[7:8], v[49:50], v[43:44]
	v_add_f64 v[21:22], v[21:22], v[55:56]
	v_add_f64 v[13:14], v[13:14], v[39:40]
	s_clause 0x2
	buffer_load_dword v60, off, s[0:3], 0 offset:588
	buffer_load_dword v40, off, s[0:3], 0 offset:564
	;; [unrolled: 1-line block ×3, first 2 shown]
	ds_read_b128 v[5:8], v70 offset:1376
	s_waitcnt vmcnt(58) lgkmcnt(1)
	v_mul_f64 v[55:56], v[11:12], v[65:66]
	s_waitcnt vmcnt(56)
	v_fma_f64 v[63:64], v[1:2], v[67:68], -v[62:63]
	v_mul_f64 v[49:50], v[9:10], v[65:66]
	v_add_f64 v[21:22], v[21:22], v[47:48]
	v_fma_f64 v[47:48], v[3:4], v[67:68], v[130:131]
	v_add_f64 v[13:14], v[13:14], v[43:44]
	s_clause 0x4
	buffer_load_dword v44, off, s[0:3], 0 offset:604
	buffer_load_dword v65, off, s[0:3], 0 offset:616
	;; [unrolled: 1-line block ×5, first 2 shown]
	s_waitcnt vmcnt(57) lgkmcnt(0)
	v_mul_f64 v[130:131], v[5:6], v[77:78]
	v_mul_f64 v[77:78], v[7:8], v[77:78]
	s_waitcnt vmcnt(56)
	v_fma_f64 v[55:56], v[9:10], v[57:58], -v[55:56]
	ds_read_b128 v[1:4], v70 offset:1392
	v_fma_f64 v[49:50], v[11:12], v[57:58], v[49:50]
	v_add_f64 v[21:22], v[21:22], v[63:64]
	v_add_f64 v[13:14], v[13:14], v[47:48]
	s_clause 0x2
	buffer_load_dword v66, off, s[0:3], 0 offset:620
	buffer_load_dword v48, off, s[0:3], 0 offset:596
	;; [unrolled: 1-line block ×3, first 2 shown]
	ds_read_b128 v[9:12], v70 offset:1408
	s_waitcnt vmcnt(58) lgkmcnt(1)
	v_mul_f64 v[63:64], v[3:4], v[79:80]
	v_mul_f64 v[57:58], v[1:2], v[79:80]
	s_waitcnt vmcnt(56)
	v_fma_f64 v[77:78], v[5:6], v[17:18], -v[77:78]
	v_fma_f64 v[17:18], v[7:8], v[17:18], v[130:131]
	v_add_f64 v[21:22], v[21:22], v[55:56]
	v_add_f64 v[13:14], v[13:14], v[49:50]
	s_clause 0x4
	buffer_load_dword v50, off, s[0:3], 0 offset:636
	buffer_load_dword v55, off, s[0:3], 0 offset:648
	;; [unrolled: 1-line block ×5, first 2 shown]
	ds_read_b128 v[5:8], v70 offset:1424
	s_waitcnt vmcnt(57) lgkmcnt(1)
	v_mul_f64 v[130:131], v[9:10], v[15:16]
	v_mul_f64 v[15:16], v[11:12], v[15:16]
	s_waitcnt vmcnt(56)
	v_fma_f64 v[63:64], v[1:2], v[81:82], -v[63:64]
	v_fma_f64 v[57:58], v[3:4], v[81:82], v[57:58]
	v_add_f64 v[21:22], v[21:22], v[77:78]
	v_add_f64 v[13:14], v[13:14], v[17:18]
	s_clause 0x2
	buffer_load_dword v56, off, s[0:3], 0 offset:652
	buffer_load_dword v18, off, s[0:3], 0 offset:628
	;; [unrolled: 1-line block ×3, first 2 shown]
	s_waitcnt vmcnt(58) lgkmcnt(0)
	v_mul_f64 v[81:82], v[7:8], v[83:84]
	ds_read_b128 v[1:4], v70 offset:1440
	v_mul_f64 v[77:78], v[5:6], v[83:84]
	s_waitcnt vmcnt(56)
	v_fma_f64 v[15:16], v[9:10], v[73:74], -v[15:16]
	v_add_f64 v[21:22], v[21:22], v[63:64]
	v_fma_f64 v[63:64], v[11:12], v[73:74], v[130:131]
	v_add_f64 v[13:14], v[13:14], v[57:58]
	s_clause 0x4
	buffer_load_dword v58, off, s[0:3], 0 offset:668
	buffer_load_dword v73, off, s[0:3], 0 offset:680
	;; [unrolled: 1-line block ×5, first 2 shown]
	ds_read_b128 v[9:12], v70 offset:1456
	s_waitcnt vmcnt(57) lgkmcnt(1)
	v_mul_f64 v[130:131], v[1:2], v[33:34]
	v_mul_f64 v[33:34], v[3:4], v[33:34]
	s_waitcnt vmcnt(56)
	v_fma_f64 v[81:82], v[5:6], v[126:127], -v[81:82]
	v_add_f64 v[15:16], v[21:22], v[15:16]
	v_fma_f64 v[21:22], v[7:8], v[126:127], v[77:78]
	v_add_f64 v[13:14], v[13:14], v[63:64]
	s_clause 0x2
	buffer_load_dword v74, off, s[0:3], 0 offset:684
	buffer_load_dword v64, off, s[0:3], 0 offset:660
	;; [unrolled: 1-line block ×3, first 2 shown]
	ds_read_b128 v[5:8], v70 offset:1472
	s_waitcnt vmcnt(58) lgkmcnt(1)
	v_mul_f64 v[77:78], v[9:10], v[75:76]
	v_mul_f64 v[75:76], v[11:12], v[75:76]
	s_waitcnt vmcnt(56)
	v_fma_f64 v[33:34], v[1:2], v[27:28], -v[33:34]
	v_fma_f64 v[27:28], v[3:4], v[27:28], v[130:131]
	v_add_f64 v[15:16], v[15:16], v[81:82]
	v_add_f64 v[13:14], v[13:14], v[21:22]
	s_clause 0x4
	buffer_load_dword v22, off, s[0:3], 0 offset:700
	buffer_load_dword v81, off, s[0:3], 0 offset:712
	;; [unrolled: 1-line block ×5, first 2 shown]
	ds_read_b128 v[1:4], v70 offset:1488
	s_waitcnt vmcnt(57) lgkmcnt(1)
	v_mul_f64 v[130:131], v[5:6], v[19:20]
	v_mul_f64 v[19:20], v[7:8], v[19:20]
	s_waitcnt vmcnt(56)
	v_fma_f64 v[75:76], v[9:10], v[128:129], -v[75:76]
	v_add_f64 v[15:16], v[15:16], v[33:34]
	v_fma_f64 v[33:34], v[11:12], v[128:129], v[77:78]
	v_add_f64 v[13:14], v[13:14], v[27:28]
	s_clause 0x2
	buffer_load_dword v82, off, s[0:3], 0 offset:716
	buffer_load_dword v28, off, s[0:3], 0 offset:692
	;; [unrolled: 1-line block ×3, first 2 shown]
	ds_read_b128 v[9:12], v70 offset:1504
	s_waitcnt vmcnt(58) lgkmcnt(1)
	v_mul_f64 v[77:78], v[1:2], v[37:38]
	v_mul_f64 v[37:38], v[3:4], v[37:38]
	s_waitcnt vmcnt(56)
	v_fma_f64 v[19:20], v[5:6], v[25:26], -v[19:20]
	v_fma_f64 v[25:26], v[7:8], v[25:26], v[130:131]
	v_add_f64 v[15:16], v[15:16], v[75:76]
	v_add_f64 v[13:14], v[13:14], v[33:34]
	s_clause 0x4
	buffer_load_dword v34, off, s[0:3], 0 offset:732
	buffer_load_dword v75, off, s[0:3], 0 offset:744
	;; [unrolled: 1-line block ×5, first 2 shown]
	ds_read_b128 v[5:8], v70 offset:1520
	s_waitcnt vmcnt(57) lgkmcnt(1)
	v_mul_f64 v[129:130], v[9:10], v[23:24]
	v_mul_f64 v[23:24], v[11:12], v[23:24]
	s_waitcnt vmcnt(56)
	v_fma_f64 v[37:38], v[1:2], v[85:86], -v[37:38]
	v_add_f64 v[15:16], v[15:16], v[19:20]
	v_fma_f64 v[19:20], v[3:4], v[85:86], v[77:78]
	v_add_f64 v[13:14], v[13:14], v[25:26]
	s_clause 0x2
	buffer_load_dword v76, off, s[0:3], 0 offset:748
	buffer_load_dword v26, off, s[0:3], 0 offset:724
	;; [unrolled: 1-line block ×3, first 2 shown]
	s_waitcnt vmcnt(58) lgkmcnt(0)
	v_mul_f64 v[77:78], v[5:6], v[45:46]
	v_mul_f64 v[45:46], v[7:8], v[45:46]
	ds_read_b128 v[1:4], v70 offset:1536
	s_waitcnt vmcnt(56)
	v_fma_f64 v[23:24], v[9:10], v[31:32], -v[23:24]
	v_fma_f64 v[31:32], v[11:12], v[31:32], v[129:130]
	v_add_f64 v[15:16], v[15:16], v[37:38]
	v_add_f64 v[13:14], v[13:14], v[19:20]
	s_clause 0x4
	buffer_load_dword v20, off, s[0:3], 0 offset:764
	buffer_load_dword v37, off, s[0:3], 0 offset:776
	;; [unrolled: 1-line block ×5, first 2 shown]
	ds_read_b128 v[9:12], v70 offset:1552
	s_waitcnt vmcnt(57) lgkmcnt(1)
	v_mul_f64 v[86:87], v[1:2], v[29:30]
	v_mul_f64 v[29:30], v[3:4], v[29:30]
	s_waitcnt vmcnt(56)
	v_fma_f64 v[45:46], v[5:6], v[71:72], -v[45:46]
	v_add_f64 v[15:16], v[15:16], v[23:24]
	v_fma_f64 v[23:24], v[7:8], v[71:72], v[77:78]
	v_add_f64 v[13:14], v[13:14], v[31:32]
	s_clause 0x2
	buffer_load_dword v38, off, s[0:3], 0 offset:780
	buffer_load_dword v32, off, s[0:3], 0 offset:756
	;; [unrolled: 1-line block ×3, first 2 shown]
	s_waitcnt vmcnt(58) lgkmcnt(0)
	v_mul_f64 v[71:72], v[9:10], v[51:52]
	v_mul_f64 v[51:52], v[11:12], v[51:52]
	ds_read_b128 v[5:8], v70 offset:1568
	s_waitcnt vmcnt(56)
	v_fma_f64 v[29:30], v[1:2], v[41:42], -v[29:30]
	v_fma_f64 v[41:42], v[3:4], v[41:42], v[86:87]
	v_add_f64 v[15:16], v[15:16], v[45:46]
	v_add_f64 v[13:14], v[13:14], v[23:24]
	s_clause 0x4
	buffer_load_dword v24, off, s[0:3], 0 offset:796
	buffer_load_dword v45, off, s[0:3], 0 offset:808
	buffer_load_dword v77, off, s[0:3], 0 offset:800
	buffer_load_dword v23, off, s[0:3], 0 offset:792
	buffer_load_dword v86, off, s[0:3], 0 offset:772
	ds_read_b128 v[1:4], v70 offset:1584
	s_waitcnt vmcnt(57) lgkmcnt(1)
	v_mul_f64 v[130:131], v[5:6], v[35:36]
	v_mul_f64 v[35:36], v[7:8], v[35:36]
	s_waitcnt vmcnt(56)
	v_fma_f64 v[51:52], v[9:10], v[53:54], -v[51:52]
	v_add_f64 v[15:16], v[15:16], v[29:30]
	v_fma_f64 v[29:30], v[11:12], v[53:54], v[71:72]
	v_add_f64 v[13:14], v[13:14], v[41:42]
	s_clause 0x2
	buffer_load_dword v46, off, s[0:3], 0 offset:812
	buffer_load_dword v42, off, s[0:3], 0 offset:788
	buffer_load_dword v41, off, s[0:3], 0 offset:784
	ds_read_b128 v[9:12], v70 offset:1600
	s_waitcnt vmcnt(58) lgkmcnt(1)
	v_mul_f64 v[53:54], v[1:2], v[59:60]
	v_mul_f64 v[59:60], v[3:4], v[59:60]
	s_waitcnt vmcnt(56)
	v_fma_f64 v[35:36], v[5:6], v[39:40], -v[35:36]
	v_fma_f64 v[39:40], v[7:8], v[39:40], v[130:131]
	v_add_f64 v[15:16], v[15:16], v[51:52]
	v_add_f64 v[13:14], v[13:14], v[29:30]
	s_clause 0x4
	buffer_load_dword v30, off, s[0:3], 0 offset:828
	buffer_load_dword v51, off, s[0:3], 0 offset:840
	buffer_load_dword v71, off, s[0:3], 0 offset:832
	buffer_load_dword v29, off, s[0:3], 0 offset:824
	buffer_load_dword v78, off, s[0:3], 0 offset:804
	ds_read_b128 v[5:8], v70 offset:1616
	s_waitcnt vmcnt(57) lgkmcnt(1)
	v_mul_f64 v[130:131], v[9:10], v[43:44]
	v_mul_f64 v[43:44], v[11:12], v[43:44]
	s_waitcnt vmcnt(56)
	v_fma_f64 v[59:60], v[1:2], v[61:62], -v[59:60]
	v_add_f64 v[15:16], v[15:16], v[35:36]
	v_fma_f64 v[35:36], v[3:4], v[61:62], v[53:54]
	v_add_f64 v[13:14], v[13:14], v[39:40]
	s_clause 0x2
	buffer_load_dword v52, off, s[0:3], 0 offset:844
	buffer_load_dword v40, off, s[0:3], 0 offset:820
	buffer_load_dword v39, off, s[0:3], 0 offset:816
	ds_read_b128 v[1:4], v70 offset:1632
	s_waitcnt vmcnt(58) lgkmcnt(1)
	v_mul_f64 v[61:62], v[7:8], v[65:66]
	v_mul_f64 v[53:54], v[5:6], v[65:66]
	;; [unrolled: 28-line block ×4, first 2 shown]
	s_waitcnt vmcnt(56)
	v_fma_f64 v[57:58], v[5:6], v[63:64], -v[57:58]
	v_add_f64 v[15:16], v[15:16], v[55:56]
	v_fma_f64 v[55:56], v[7:8], v[63:64], v[130:131]
	v_add_f64 v[13:14], v[13:14], v[49:50]
	s_clause 0x4
	buffer_load_dword v50, off, s[0:3], 0 offset:924
	buffer_load_dword v63, off, s[0:3], 0 offset:936
	;; [unrolled: 1-line block ×5, first 2 shown]
	ds_read_b128 v[5:8], v70 offset:1712
	s_waitcnt vmcnt(57) lgkmcnt(1)
	v_mul_f64 v[130:131], v[9:10], v[21:22]
	v_mul_f64 v[21:22], v[11:12], v[21:22]
	s_waitcnt vmcnt(56)
	v_fma_f64 v[73:74], v[1:2], v[83:84], -v[73:74]
	v_fma_f64 v[53:54], v[3:4], v[83:84], v[53:54]
	v_add_f64 v[15:16], v[15:16], v[57:58]
	v_add_f64 v[13:14], v[13:14], v[55:56]
	s_clause 0x2
	buffer_load_dword v64, off, s[0:3], 0 offset:940
	buffer_load_dword v56, off, s[0:3], 0 offset:916
	buffer_load_dword v55, off, s[0:3], 0 offset:912
	ds_read_b128 v[1:4], v70 offset:1728
	s_waitcnt vmcnt(58) lgkmcnt(1)
	v_mul_f64 v[57:58], v[5:6], v[81:82]
	v_mul_f64 v[81:82], v[7:8], v[81:82]
	s_waitcnt vmcnt(56)
	v_fma_f64 v[21:22], v[9:10], v[27:28], -v[21:22]
	v_fma_f64 v[27:28], v[11:12], v[27:28], v[130:131]
	v_add_f64 v[15:16], v[15:16], v[73:74]
	v_add_f64 v[13:14], v[13:14], v[53:54]
	s_clause 0x4
	buffer_load_dword v54, off, s[0:3], 0 offset:956
	buffer_load_dword v73, off, s[0:3], 0 offset:968
	buffer_load_dword v83, off, s[0:3], 0 offset:960
	buffer_load_dword v53, off, s[0:3], 0 offset:952
	buffer_load_dword v80, off, s[0:3], 0 offset:932
	ds_read_b128 v[9:12], v70 offset:1744
	s_waitcnt vmcnt(57) lgkmcnt(1)
	v_mul_f64 v[130:131], v[1:2], v[33:34]
	v_mul_f64 v[33:34], v[3:4], v[33:34]
	s_waitcnt vmcnt(56)
	v_fma_f64 v[81:82], v[5:6], v[126:127], -v[81:82]
	v_add_f64 v[15:16], v[15:16], v[21:22]
	v_fma_f64 v[21:22], v[7:8], v[126:127], v[57:58]
	v_add_f64 v[13:14], v[13:14], v[27:28]
	s_clause 0x2
	buffer_load_dword v74, off, s[0:3], 0 offset:972
	buffer_load_dword v28, off, s[0:3], 0 offset:948
	buffer_load_dword v27, off, s[0:3], 0 offset:944
	ds_read_b128 v[5:8], v70 offset:1760
	s_waitcnt vmcnt(58) lgkmcnt(1)
	v_mul_f64 v[57:58], v[9:10], v[75:76]
	v_mul_f64 v[75:76], v[11:12], v[75:76]
	s_waitcnt vmcnt(56)
	v_fma_f64 v[33:34], v[1:2], v[25:26], -v[33:34]
	v_fma_f64 v[25:26], v[3:4], v[25:26], v[130:131]
	v_add_f64 v[15:16], v[15:16], v[81:82]
	v_add_f64 v[13:14], v[13:14], v[21:22]
	s_clause 0x4
	buffer_load_dword v22, off, s[0:3], 0 offset:988
	buffer_load_dword v81, off, s[0:3], 0 offset:1000
	buffer_load_dword v126, off, s[0:3], 0 offset:992
	buffer_load_dword v21, off, s[0:3], 0 offset:984
	buffer_load_dword v84, off, s[0:3], 0 offset:964
	ds_read_b128 v[1:4], v70 offset:1776
	s_waitcnt vmcnt(57) lgkmcnt(1)
	v_mul_f64 v[130:131], v[5:6], v[19:20]
	v_mul_f64 v[19:20], v[7:8], v[19:20]
	s_waitcnt vmcnt(56)
	v_fma_f64 v[75:76], v[9:10], v[128:129], -v[75:76]
	v_add_f64 v[15:16], v[15:16], v[33:34]
	v_fma_f64 v[33:34], v[11:12], v[128:129], v[57:58]
	;; [unrolled: 28-line block ×3, first 2 shown]
	v_add_f64 v[13:14], v[13:14], v[31:32]
	s_clause 0x2
	buffer_load_dword v76, off, s[0:3], 0 offset:1036
	buffer_load_dword v32, off, s[0:3], 0 offset:1012
	;; [unrolled: 1-line block ×3, first 2 shown]
	ds_read_b128 v[1:4], v70 offset:1824
	s_waitcnt vmcnt(58) lgkmcnt(1)
	v_mul_f64 v[57:58], v[5:6], v[45:46]
	v_mul_f64 v[45:46], v[7:8], v[45:46]
	s_waitcnt vmcnt(56)
	v_fma_f64 v[23:24], v[9:10], v[41:42], -v[23:24]
	v_add_f64 v[15:16], v[15:16], v[37:38]
	v_fma_f64 v[37:38], v[11:12], v[41:42], v[129:130]
	v_add_f64 v[13:14], v[13:14], v[19:20]
	buffer_load_dword v129, off, s[0:3], 0 offset:1028
	ds_read_b128 v[9:12], v70 offset:1840
	s_waitcnt vmcnt(53) lgkmcnt(1)
	v_mul_f64 v[19:20], v[1:2], v[29:30]
	v_mul_f64 v[29:30], v[3:4], v[29:30]
	s_waitcnt vmcnt(52)
	v_fma_f64 v[41:42], v[5:6], v[77:78], -v[45:46]
	v_add_f64 v[15:16], v[15:16], v[23:24]
	v_fma_f64 v[23:24], v[7:8], v[77:78], v[57:58]
	v_add_f64 v[13:14], v[13:14], v[37:38]
	ds_read_b128 v[5:8], v70 offset:1856
	s_waitcnt vmcnt(51) lgkmcnt(1)
	v_mul_f64 v[45:46], v[11:12], v[51:52]
	v_mul_f64 v[37:38], v[9:10], v[51:52]
	s_waitcnt vmcnt(49)
	v_fma_f64 v[29:30], v[1:2], v[39:40], -v[29:30]
	v_fma_f64 v[19:20], v[3:4], v[39:40], v[19:20]
	v_add_f64 v[15:16], v[15:16], v[41:42]
	v_add_f64 v[13:14], v[13:14], v[23:24]
	s_clause 0x3
	buffer_load_dword v23, off, s[0:3], 0 offset:112
	buffer_load_dword v24, off, s[0:3], 0 offset:116
	;; [unrolled: 1-line block ×4, first 2 shown]
	ds_read_b128 v[1:4], v70 offset:1872
	s_waitcnt vmcnt(49) lgkmcnt(1)
	v_mul_f64 v[41:42], v[5:6], v[35:36]
	v_mul_f64 v[35:36], v[7:8], v[35:36]
	s_waitcnt vmcnt(48)
	v_fma_f64 v[45:46], v[9:10], v[71:72], -v[45:46]
	v_add_f64 v[15:16], v[15:16], v[29:30]
	v_fma_f64 v[29:30], v[11:12], v[71:72], v[37:38]
	v_add_f64 v[13:14], v[13:14], v[19:20]
	ds_read_b128 v[9:12], v70 offset:1888
	s_waitcnt vmcnt(47) lgkmcnt(1)
	v_mul_f64 v[37:38], v[3:4], v[59:60]
	v_mul_f64 v[19:20], v[1:2], v[59:60]
	s_waitcnt vmcnt(45)
	v_fma_f64 v[35:36], v[5:6], v[47:48], -v[35:36]
	v_fma_f64 v[41:42], v[7:8], v[47:48], v[41:42]
	ds_read_b128 v[5:8], v70 offset:1904
	v_add_f64 v[15:16], v[15:16], v[45:46]
	v_add_f64 v[13:14], v[13:14], v[29:30]
	s_waitcnt vmcnt(41) lgkmcnt(1)
	v_mul_f64 v[29:30], v[9:10], v[43:44]
	v_mul_f64 v[43:44], v[11:12], v[43:44]
	s_waitcnt vmcnt(40)
	v_fma_f64 v[37:38], v[1:2], v[65:66], -v[37:38]
	v_fma_f64 v[19:20], v[3:4], v[65:66], v[19:20]
	ds_read_b128 v[1:4], v70 offset:1920
	v_add_f64 v[15:16], v[15:16], v[35:36]
	v_add_f64 v[13:14], v[13:14], v[41:42]
	;; [unrolled: 9-line block ×3, first 2 shown]
	s_waitcnt vmcnt(33) lgkmcnt(1)
	v_mul_f64 v[29:30], v[3:4], v[49:50]
	s_waitcnt vmcnt(32)
	v_fma_f64 v[37:38], v[5:6], v[67:68], -v[41:42]
	v_mul_f64 v[19:20], v[1:2], v[49:50]
	v_fma_f64 v[35:36], v[7:8], v[67:68], v[35:36]
	ds_read_b128 v[5:8], v70 offset:1952
	v_add_f64 v[15:16], v[15:16], v[43:44]
	v_add_f64 v[13:14], v[13:14], v[17:18]
	s_waitcnt vmcnt(31) lgkmcnt(1)
	v_mul_f64 v[41:42], v[11:12], v[63:64]
	v_mul_f64 v[17:18], v[9:10], v[63:64]
	s_waitcnt vmcnt(29)
	v_fma_f64 v[29:30], v[1:2], v[55:56], -v[29:30]
	v_fma_f64 v[19:20], v[3:4], v[55:56], v[19:20]
	ds_read_b128 v[1:4], v70 offset:1968
	v_add_f64 v[15:16], v[15:16], v[37:38]
	v_add_f64 v[13:14], v[13:14], v[35:36]
	s_waitcnt vmcnt(25) lgkmcnt(1)
	v_mul_f64 v[37:38], v[7:8], v[53:54]
	s_waitcnt vmcnt(24)
	v_fma_f64 v[41:42], v[9:10], v[79:80], -v[41:42]
	v_mul_f64 v[35:36], v[5:6], v[53:54]
	v_fma_f64 v[17:18], v[11:12], v[79:80], v[17:18]
	ds_read_b128 v[9:12], v70 offset:1984
	v_add_f64 v[15:16], v[15:16], v[29:30]
	v_add_f64 v[13:14], v[13:14], v[19:20]
	s_waitcnt vmcnt(23) lgkmcnt(1)
	v_mul_f64 v[29:30], v[3:4], v[73:74]
	v_mul_f64 v[19:20], v[1:2], v[73:74]
	s_waitcnt vmcnt(21)
	v_fma_f64 v[37:38], v[5:6], v[27:28], -v[37:38]
	v_fma_f64 v[27:28], v[7:8], v[27:28], v[35:36]
	ds_read_b128 v[5:8], v70 offset:2000
	v_add_f64 v[15:16], v[15:16], v[41:42]
	v_add_f64 v[13:14], v[13:14], v[17:18]
	s_waitcnt vmcnt(17) lgkmcnt(1)
	v_mul_f64 v[17:18], v[9:10], v[21:22]
	v_mul_f64 v[21:22], v[11:12], v[21:22]
	s_waitcnt vmcnt(16)
	v_fma_f64 v[29:30], v[1:2], v[83:84], -v[29:30]
	;; [unrolled: 9-line block ×3, first 2 shown]
	v_fma_f64 v[17:18], v[11:12], v[25:26], v[17:18]
	ds_read_b128 v[9:12], v70 offset:2032
	v_add_f64 v[15:16], v[15:16], v[29:30]
	v_add_f64 v[13:14], v[13:14], v[19:20]
	s_waitcnt vmcnt(9) lgkmcnt(1)
	v_mul_f64 v[25:26], v[3:4], v[33:34]
	s_waitcnt vmcnt(8)
	v_fma_f64 v[5:6], v[5:6], v[126:127], -v[35:36]
	v_mul_f64 v[19:20], v[1:2], v[33:34]
	v_fma_f64 v[7:8], v[7:8], v[126:127], v[27:28]
	v_add_f64 v[15:16], v[15:16], v[21:22]
	v_add_f64 v[13:14], v[13:14], v[17:18]
	s_waitcnt vmcnt(7) lgkmcnt(0)
	v_mul_f64 v[21:22], v[11:12], v[75:76]
	v_mul_f64 v[17:18], v[9:10], v[75:76]
	s_waitcnt vmcnt(5)
	v_fma_f64 v[1:2], v[1:2], v[31:32], -v[25:26]
	v_fma_f64 v[3:4], v[3:4], v[31:32], v[19:20]
	v_add_f64 v[5:6], v[15:16], v[5:6]
	v_add_f64 v[7:8], v[13:14], v[7:8]
	s_waitcnt vmcnt(4)
	v_fma_f64 v[9:10], v[9:10], v[128:129], -v[21:22]
	v_add_f64 v[1:2], v[5:6], v[1:2]
	v_fma_f64 v[5:6], v[11:12], v[128:129], v[17:18]
	v_add_f64 v[3:4], v[7:8], v[3:4]
	v_add_f64 v[1:2], v[1:2], v[9:10]
	;; [unrolled: 1-line block ×3, first 2 shown]
	s_waitcnt vmcnt(2)
	v_add_f64 v[1:2], v[23:24], -v[1:2]
	s_waitcnt vmcnt(0)
	v_add_f64 v[3:4], v[39:40], -v[3:4]
	buffer_store_dword v2, off, s[0:3], 0 offset:116
	buffer_store_dword v1, off, s[0:3], 0 offset:112
	;; [unrolled: 1-line block ×4, first 2 shown]
	v_cmpx_lt_u32_e32 5, v0
	s_cbranch_execz .LBB63_399
; %bb.398:
	v_mov_b32_e32 v4, s73
	s_clause 0x3
	buffer_load_dword v1, v4, s[0:3], 0 offen
	buffer_load_dword v2, v4, s[0:3], 0 offen offset:4
	buffer_load_dword v3, v4, s[0:3], 0 offen offset:8
	buffer_load_dword v4, v4, s[0:3], 0 offen offset:12
	buffer_store_dword v70, off, s[0:3], 0 offset:96
	buffer_store_dword v70, off, s[0:3], 0 offset:100
	;; [unrolled: 1-line block ×4, first 2 shown]
	s_waitcnt vmcnt(0)
	ds_write_b128 v69, v[1:4]
.LBB63_399:
	s_or_b32 exec_lo, exec_lo, s4
	s_waitcnt lgkmcnt(0)
	s_waitcnt_vscnt null, 0x0
	s_barrier
	buffer_gl0_inv
	s_clause 0x37
	buffer_load_dword v17, off, s[0:3], 0 offset:120
	buffer_load_dword v18, off, s[0:3], 0 offset:124
	buffer_load_dword v13, off, s[0:3], 0 offset:136
	buffer_load_dword v14, off, s[0:3], 0 offset:140
	buffer_load_dword v15, off, s[0:3], 0 offset:112
	buffer_load_dword v16, off, s[0:3], 0 offset:116
	buffer_load_dword v11, off, s[0:3], 0 offset:152
	buffer_load_dword v12, off, s[0:3], 0 offset:156
	buffer_load_dword v9, off, s[0:3], 0 offset:128
	buffer_load_dword v10, off, s[0:3], 0 offset:132
	buffer_load_dword v22, off, s[0:3], 0 offset:172
	buffer_load_dword v25, off, s[0:3], 0 offset:184
	buffer_load_dword v19, off, s[0:3], 0 offset:176
	buffer_load_dword v21, off, s[0:3], 0 offset:168
	buffer_load_dword v33, off, s[0:3], 0 offset:144
	buffer_load_dword v34, off, s[0:3], 0 offset:148
	buffer_load_dword v26, off, s[0:3], 0 offset:188
	buffer_load_dword v28, off, s[0:3], 0 offset:164
	buffer_load_dword v27, off, s[0:3], 0 offset:160
	buffer_load_dword v30, off, s[0:3], 0 offset:204
	buffer_load_dword v35, off, s[0:3], 0 offset:216
	buffer_load_dword v23, off, s[0:3], 0 offset:208
	buffer_load_dword v29, off, s[0:3], 0 offset:200
	buffer_load_dword v20, off, s[0:3], 0 offset:180
	buffer_load_dword v36, off, s[0:3], 0 offset:220
	buffer_load_dword v38, off, s[0:3], 0 offset:196
	buffer_load_dword v37, off, s[0:3], 0 offset:192
	buffer_load_dword v40, off, s[0:3], 0 offset:236
	buffer_load_dword v43, off, s[0:3], 0 offset:248
	buffer_load_dword v31, off, s[0:3], 0 offset:240
	buffer_load_dword v39, off, s[0:3], 0 offset:232
	buffer_load_dword v24, off, s[0:3], 0 offset:212
	buffer_load_dword v44, off, s[0:3], 0 offset:252
	buffer_load_dword v46, off, s[0:3], 0 offset:228
	buffer_load_dword v45, off, s[0:3], 0 offset:224
	buffer_load_dword v48, off, s[0:3], 0 offset:268
	buffer_load_dword v51, off, s[0:3], 0 offset:280
	buffer_load_dword v41, off, s[0:3], 0 offset:272
	buffer_load_dword v47, off, s[0:3], 0 offset:264
	buffer_load_dword v32, off, s[0:3], 0 offset:244
	buffer_load_dword v52, off, s[0:3], 0 offset:284
	buffer_load_dword v54, off, s[0:3], 0 offset:260
	buffer_load_dword v53, off, s[0:3], 0 offset:256
	buffer_load_dword v56, off, s[0:3], 0 offset:300
	buffer_load_dword v59, off, s[0:3], 0 offset:312
	buffer_load_dword v49, off, s[0:3], 0 offset:304
	buffer_load_dword v55, off, s[0:3], 0 offset:296
	buffer_load_dword v42, off, s[0:3], 0 offset:276
	buffer_load_dword v60, off, s[0:3], 0 offset:316
	buffer_load_dword v62, off, s[0:3], 0 offset:292
	buffer_load_dword v61, off, s[0:3], 0 offset:288
	buffer_load_dword v64, off, s[0:3], 0 offset:332
	buffer_load_dword v65, off, s[0:3], 0 offset:344
	buffer_load_dword v57, off, s[0:3], 0 offset:336
	buffer_load_dword v63, off, s[0:3], 0 offset:328
	buffer_load_dword v50, off, s[0:3], 0 offset:308
	ds_read_b128 v[5:8], v70 offset:1120
	s_clause 0x2
	buffer_load_dword v66, off, s[0:3], 0 offset:348
	buffer_load_dword v68, off, s[0:3], 0 offset:324
	;; [unrolled: 1-line block ×3, first 2 shown]
	ds_read_b128 v[1:4], v70 offset:1136
	s_clause 0x4
	buffer_load_dword v78, off, s[0:3], 0 offset:364
	buffer_load_dword v79, off, s[0:3], 0 offset:376
	buffer_load_dword v81, off, s[0:3], 0 offset:368
	buffer_load_dword v77, off, s[0:3], 0 offset:360
	buffer_load_dword v58, off, s[0:3], 0 offset:340
	ds_read_b128 v[71:74], v70 offset:1152
	s_mov_b32 s4, exec_lo
	s_waitcnt vmcnt(62) lgkmcnt(2)
	v_mul_f64 v[75:76], v[7:8], v[17:18]
	v_mul_f64 v[17:18], v[5:6], v[17:18]
	s_waitcnt vmcnt(60) lgkmcnt(1)
	v_mul_f64 v[82:83], v[3:4], v[13:14]
	v_mul_f64 v[13:14], v[1:2], v[13:14]
	;; [unrolled: 3-line block ×3, first 2 shown]
	v_fma_f64 v[75:76], v[5:6], v[15:16], -v[75:76]
	v_fma_f64 v[15:16], v[7:8], v[15:16], v[17:18]
	s_clause 0x2
	buffer_load_dword v80, off, s[0:3], 0 offset:380
	buffer_load_dword v18, off, s[0:3], 0 offset:356
	;; [unrolled: 1-line block ×3, first 2 shown]
	s_waitcnt vmcnt(57)
	v_fma_f64 v[86:87], v[1:2], v[9:10], -v[82:83]
	ds_read_b128 v[5:8], v70 offset:1168
	v_fma_f64 v[9:10], v[3:4], v[9:10], v[13:14]
	s_waitcnt vmcnt(51)
	v_fma_f64 v[71:72], v[71:72], v[33:34], -v[11:12]
	v_fma_f64 v[33:34], v[73:74], v[33:34], v[84:85]
	v_add_f64 v[75:76], v[75:76], 0
	v_add_f64 v[13:14], v[15:16], 0
	s_clause 0x4
	buffer_load_dword v16, off, s[0:3], 0 offset:396
	buffer_load_dword v83, off, s[0:3], 0 offset:408
	;; [unrolled: 1-line block ×5, first 2 shown]
	s_waitcnt lgkmcnt(0)
	v_mul_f64 v[127:128], v[5:6], v[21:22]
	v_mul_f64 v[21:22], v[7:8], v[21:22]
	ds_read_b128 v[1:4], v70 offset:1184
	s_clause 0x2
	buffer_load_dword v84, off, s[0:3], 0 offset:412
	buffer_load_dword v74, off, s[0:3], 0 offset:388
	;; [unrolled: 1-line block ×3, first 2 shown]
	v_add_f64 v[75:76], v[75:76], v[86:87]
	v_add_f64 v[13:14], v[13:14], v[9:10]
	ds_read_b128 v[9:12], v70 offset:1200
	s_waitcnt vmcnt(58) lgkmcnt(1)
	v_mul_f64 v[85:86], v[1:2], v[25:26]
	v_mul_f64 v[25:26], v[3:4], v[25:26]
	s_waitcnt vmcnt(56)
	v_fma_f64 v[21:22], v[5:6], v[27:28], -v[21:22]
	v_fma_f64 v[27:28], v[7:8], v[27:28], v[127:128]
	s_waitcnt vmcnt(52) lgkmcnt(0)
	v_mul_f64 v[129:130], v[9:10], v[29:30]
	v_add_f64 v[71:72], v[75:76], v[71:72]
	v_add_f64 v[13:14], v[13:14], v[33:34]
	s_clause 0x4
	buffer_load_dword v34, off, s[0:3], 0 offset:428
	buffer_load_dword v75, off, s[0:3], 0 offset:440
	;; [unrolled: 1-line block ×5, first 2 shown]
	v_mul_f64 v[29:30], v[11:12], v[29:30]
	s_waitcnt vmcnt(56)
	v_fma_f64 v[25:26], v[1:2], v[19:20], -v[25:26]
	ds_read_b128 v[5:8], v70 offset:1216
	v_fma_f64 v[19:20], v[3:4], v[19:20], v[85:86]
	v_add_f64 v[21:22], v[71:72], v[21:22]
	v_add_f64 v[13:14], v[13:14], v[27:28]
	s_clause 0x2
	buffer_load_dword v76, off, s[0:3], 0 offset:444
	buffer_load_dword v28, off, s[0:3], 0 offset:420
	;; [unrolled: 1-line block ×3, first 2 shown]
	s_waitcnt vmcnt(58) lgkmcnt(0)
	v_mul_f64 v[71:72], v[5:6], v[35:36]
	v_mul_f64 v[35:36], v[7:8], v[35:36]
	s_waitcnt vmcnt(56)
	v_fma_f64 v[29:30], v[9:10], v[37:38], -v[29:30]
	ds_read_b128 v[1:4], v70 offset:1232
	v_add_f64 v[21:22], v[21:22], v[25:26]
	v_fma_f64 v[25:26], v[11:12], v[37:38], v[129:130]
	v_add_f64 v[13:14], v[13:14], v[19:20]
	s_clause 0x4
	buffer_load_dword v20, off, s[0:3], 0 offset:460
	buffer_load_dword v37, off, s[0:3], 0 offset:472
	;; [unrolled: 1-line block ×5, first 2 shown]
	s_waitcnt vmcnt(57) lgkmcnt(0)
	v_mul_f64 v[86:87], v[1:2], v[39:40]
	v_mul_f64 v[39:40], v[3:4], v[39:40]
	s_waitcnt vmcnt(56)
	v_fma_f64 v[35:36], v[5:6], v[23:24], -v[35:36]
	ds_read_b128 v[9:12], v70 offset:1248
	v_fma_f64 v[23:24], v[7:8], v[23:24], v[71:72]
	v_add_f64 v[21:22], v[21:22], v[29:30]
	v_add_f64 v[13:14], v[13:14], v[25:26]
	s_clause 0x2
	buffer_load_dword v38, off, s[0:3], 0 offset:476
	buffer_load_dword v26, off, s[0:3], 0 offset:452
	;; [unrolled: 1-line block ×3, first 2 shown]
	ds_read_b128 v[5:8], v70 offset:1264
	s_waitcnt vmcnt(58) lgkmcnt(1)
	v_mul_f64 v[29:30], v[9:10], v[43:44]
	v_mul_f64 v[43:44], v[11:12], v[43:44]
	s_waitcnt vmcnt(56)
	v_fma_f64 v[39:40], v[1:2], v[45:46], -v[39:40]
	v_add_f64 v[21:22], v[21:22], v[35:36]
	v_fma_f64 v[35:36], v[3:4], v[45:46], v[86:87]
	v_add_f64 v[13:14], v[13:14], v[23:24]
	s_clause 0x4
	buffer_load_dword v24, off, s[0:3], 0 offset:492
	buffer_load_dword v45, off, s[0:3], 0 offset:504
	;; [unrolled: 1-line block ×5, first 2 shown]
	s_waitcnt vmcnt(57) lgkmcnt(0)
	v_mul_f64 v[130:131], v[5:6], v[47:48]
	v_mul_f64 v[47:48], v[7:8], v[47:48]
	s_waitcnt vmcnt(56)
	v_fma_f64 v[43:44], v[9:10], v[31:32], -v[43:44]
	ds_read_b128 v[1:4], v70 offset:1280
	v_fma_f64 v[29:30], v[11:12], v[31:32], v[29:30]
	s_clause 0x2
	buffer_load_dword v46, off, s[0:3], 0 offset:508
	buffer_load_dword v32, off, s[0:3], 0 offset:484
	;; [unrolled: 1-line block ×3, first 2 shown]
	ds_read_b128 v[9:12], v70 offset:1296
	v_add_f64 v[21:22], v[21:22], v[39:40]
	v_add_f64 v[13:14], v[13:14], v[35:36]
	s_waitcnt vmcnt(58) lgkmcnt(1)
	v_mul_f64 v[39:40], v[3:4], v[51:52]
	s_waitcnt vmcnt(56)
	v_fma_f64 v[47:48], v[5:6], v[53:54], -v[47:48]
	v_mul_f64 v[35:36], v[1:2], v[51:52]
	v_add_f64 v[21:22], v[21:22], v[43:44]
	v_fma_f64 v[43:44], v[7:8], v[53:54], v[130:131]
	v_add_f64 v[13:14], v[13:14], v[29:30]
	s_clause 0x4
	buffer_load_dword v30, off, s[0:3], 0 offset:524
	buffer_load_dword v51, off, s[0:3], 0 offset:536
	;; [unrolled: 1-line block ×5, first 2 shown]
	s_waitcnt vmcnt(57) lgkmcnt(0)
	v_mul_f64 v[130:131], v[9:10], v[55:56]
	v_mul_f64 v[54:55], v[11:12], v[55:56]
	s_waitcnt vmcnt(56)
	v_fma_f64 v[39:40], v[1:2], v[41:42], -v[39:40]
	ds_read_b128 v[5:8], v70 offset:1312
	v_fma_f64 v[35:36], v[3:4], v[41:42], v[35:36]
	s_clause 0x2
	buffer_load_dword v52, off, s[0:3], 0 offset:540
	buffer_load_dword v42, off, s[0:3], 0 offset:516
	;; [unrolled: 1-line block ×3, first 2 shown]
	ds_read_b128 v[1:4], v70 offset:1328
	v_add_f64 v[21:22], v[21:22], v[47:48]
	v_add_f64 v[13:14], v[13:14], v[43:44]
	s_waitcnt vmcnt(58) lgkmcnt(1)
	v_mul_f64 v[47:48], v[7:8], v[59:60]
	s_waitcnt vmcnt(56)
	v_fma_f64 v[55:56], v[9:10], v[61:62], -v[54:55]
	v_mul_f64 v[43:44], v[5:6], v[59:60]
	v_add_f64 v[21:22], v[21:22], v[39:40]
	v_fma_f64 v[39:40], v[11:12], v[61:62], v[130:131]
	v_add_f64 v[13:14], v[13:14], v[35:36]
	s_clause 0x4
	buffer_load_dword v36, off, s[0:3], 0 offset:556
	buffer_load_dword v59, off, s[0:3], 0 offset:568
	;; [unrolled: 1-line block ×5, first 2 shown]
	s_waitcnt vmcnt(57) lgkmcnt(0)
	v_mul_f64 v[130:131], v[1:2], v[63:64]
	v_mul_f64 v[62:63], v[3:4], v[63:64]
	s_waitcnt vmcnt(56)
	v_fma_f64 v[47:48], v[5:6], v[49:50], -v[47:48]
	ds_read_b128 v[9:12], v70 offset:1344
	v_fma_f64 v[43:44], v[7:8], v[49:50], v[43:44]
	v_add_f64 v[21:22], v[21:22], v[55:56]
	v_add_f64 v[13:14], v[13:14], v[39:40]
	s_clause 0x2
	buffer_load_dword v60, off, s[0:3], 0 offset:572
	buffer_load_dword v40, off, s[0:3], 0 offset:548
	;; [unrolled: 1-line block ×3, first 2 shown]
	ds_read_b128 v[5:8], v70 offset:1360
	s_waitcnt vmcnt(58) lgkmcnt(1)
	v_mul_f64 v[55:56], v[11:12], v[65:66]
	s_waitcnt vmcnt(56)
	v_fma_f64 v[63:64], v[1:2], v[67:68], -v[62:63]
	v_mul_f64 v[49:50], v[9:10], v[65:66]
	v_add_f64 v[21:22], v[21:22], v[47:48]
	v_fma_f64 v[47:48], v[3:4], v[67:68], v[130:131]
	v_add_f64 v[13:14], v[13:14], v[43:44]
	s_clause 0x4
	buffer_load_dword v44, off, s[0:3], 0 offset:588
	buffer_load_dword v65, off, s[0:3], 0 offset:600
	;; [unrolled: 1-line block ×5, first 2 shown]
	s_waitcnt vmcnt(57) lgkmcnt(0)
	v_mul_f64 v[130:131], v[5:6], v[77:78]
	v_mul_f64 v[77:78], v[7:8], v[77:78]
	s_waitcnt vmcnt(56)
	v_fma_f64 v[55:56], v[9:10], v[57:58], -v[55:56]
	ds_read_b128 v[1:4], v70 offset:1376
	v_fma_f64 v[49:50], v[11:12], v[57:58], v[49:50]
	v_add_f64 v[21:22], v[21:22], v[63:64]
	v_add_f64 v[13:14], v[13:14], v[47:48]
	s_clause 0x2
	buffer_load_dword v66, off, s[0:3], 0 offset:604
	buffer_load_dword v48, off, s[0:3], 0 offset:580
	;; [unrolled: 1-line block ×3, first 2 shown]
	ds_read_b128 v[9:12], v70 offset:1392
	s_waitcnt vmcnt(58) lgkmcnt(1)
	v_mul_f64 v[63:64], v[3:4], v[79:80]
	v_mul_f64 v[57:58], v[1:2], v[79:80]
	s_waitcnt vmcnt(56)
	v_fma_f64 v[77:78], v[5:6], v[17:18], -v[77:78]
	v_fma_f64 v[17:18], v[7:8], v[17:18], v[130:131]
	v_add_f64 v[21:22], v[21:22], v[55:56]
	v_add_f64 v[13:14], v[13:14], v[49:50]
	s_clause 0x4
	buffer_load_dword v50, off, s[0:3], 0 offset:620
	buffer_load_dword v55, off, s[0:3], 0 offset:632
	;; [unrolled: 1-line block ×5, first 2 shown]
	ds_read_b128 v[5:8], v70 offset:1408
	s_waitcnt vmcnt(57) lgkmcnt(1)
	v_mul_f64 v[130:131], v[9:10], v[15:16]
	v_mul_f64 v[15:16], v[11:12], v[15:16]
	s_waitcnt vmcnt(56)
	v_fma_f64 v[63:64], v[1:2], v[81:82], -v[63:64]
	v_fma_f64 v[57:58], v[3:4], v[81:82], v[57:58]
	v_add_f64 v[21:22], v[21:22], v[77:78]
	v_add_f64 v[13:14], v[13:14], v[17:18]
	s_clause 0x2
	buffer_load_dword v56, off, s[0:3], 0 offset:636
	buffer_load_dword v18, off, s[0:3], 0 offset:612
	;; [unrolled: 1-line block ×3, first 2 shown]
	s_waitcnt vmcnt(58) lgkmcnt(0)
	v_mul_f64 v[81:82], v[7:8], v[83:84]
	ds_read_b128 v[1:4], v70 offset:1424
	v_mul_f64 v[77:78], v[5:6], v[83:84]
	s_waitcnt vmcnt(56)
	v_fma_f64 v[15:16], v[9:10], v[73:74], -v[15:16]
	v_add_f64 v[21:22], v[21:22], v[63:64]
	v_fma_f64 v[63:64], v[11:12], v[73:74], v[130:131]
	v_add_f64 v[13:14], v[13:14], v[57:58]
	s_clause 0x4
	buffer_load_dword v58, off, s[0:3], 0 offset:652
	buffer_load_dword v73, off, s[0:3], 0 offset:664
	;; [unrolled: 1-line block ×5, first 2 shown]
	ds_read_b128 v[9:12], v70 offset:1440
	s_waitcnt vmcnt(57) lgkmcnt(1)
	v_mul_f64 v[130:131], v[1:2], v[33:34]
	v_mul_f64 v[33:34], v[3:4], v[33:34]
	s_waitcnt vmcnt(56)
	v_fma_f64 v[81:82], v[5:6], v[126:127], -v[81:82]
	v_add_f64 v[15:16], v[21:22], v[15:16]
	v_fma_f64 v[21:22], v[7:8], v[126:127], v[77:78]
	v_add_f64 v[13:14], v[13:14], v[63:64]
	s_clause 0x2
	buffer_load_dword v74, off, s[0:3], 0 offset:668
	buffer_load_dword v64, off, s[0:3], 0 offset:644
	buffer_load_dword v63, off, s[0:3], 0 offset:640
	ds_read_b128 v[5:8], v70 offset:1456
	s_waitcnt vmcnt(58) lgkmcnt(1)
	v_mul_f64 v[77:78], v[9:10], v[75:76]
	v_mul_f64 v[75:76], v[11:12], v[75:76]
	s_waitcnt vmcnt(56)
	v_fma_f64 v[33:34], v[1:2], v[27:28], -v[33:34]
	v_fma_f64 v[27:28], v[3:4], v[27:28], v[130:131]
	v_add_f64 v[15:16], v[15:16], v[81:82]
	v_add_f64 v[13:14], v[13:14], v[21:22]
	s_clause 0x4
	buffer_load_dword v22, off, s[0:3], 0 offset:684
	buffer_load_dword v81, off, s[0:3], 0 offset:696
	;; [unrolled: 1-line block ×5, first 2 shown]
	ds_read_b128 v[1:4], v70 offset:1472
	s_waitcnt vmcnt(57) lgkmcnt(1)
	v_mul_f64 v[130:131], v[5:6], v[19:20]
	v_mul_f64 v[19:20], v[7:8], v[19:20]
	s_waitcnt vmcnt(56)
	v_fma_f64 v[75:76], v[9:10], v[128:129], -v[75:76]
	v_add_f64 v[15:16], v[15:16], v[33:34]
	v_fma_f64 v[33:34], v[11:12], v[128:129], v[77:78]
	v_add_f64 v[13:14], v[13:14], v[27:28]
	s_clause 0x2
	buffer_load_dword v82, off, s[0:3], 0 offset:700
	buffer_load_dword v28, off, s[0:3], 0 offset:676
	;; [unrolled: 1-line block ×3, first 2 shown]
	ds_read_b128 v[9:12], v70 offset:1488
	s_waitcnt vmcnt(58) lgkmcnt(1)
	v_mul_f64 v[77:78], v[1:2], v[37:38]
	v_mul_f64 v[37:38], v[3:4], v[37:38]
	s_waitcnt vmcnt(56)
	v_fma_f64 v[19:20], v[5:6], v[25:26], -v[19:20]
	v_fma_f64 v[25:26], v[7:8], v[25:26], v[130:131]
	v_add_f64 v[15:16], v[15:16], v[75:76]
	v_add_f64 v[13:14], v[13:14], v[33:34]
	s_clause 0x4
	buffer_load_dword v34, off, s[0:3], 0 offset:716
	buffer_load_dword v75, off, s[0:3], 0 offset:728
	;; [unrolled: 1-line block ×5, first 2 shown]
	ds_read_b128 v[5:8], v70 offset:1504
	s_waitcnt vmcnt(57) lgkmcnt(1)
	v_mul_f64 v[129:130], v[9:10], v[23:24]
	v_mul_f64 v[23:24], v[11:12], v[23:24]
	s_waitcnt vmcnt(56)
	v_fma_f64 v[37:38], v[1:2], v[85:86], -v[37:38]
	v_add_f64 v[15:16], v[15:16], v[19:20]
	v_fma_f64 v[19:20], v[3:4], v[85:86], v[77:78]
	v_add_f64 v[13:14], v[13:14], v[25:26]
	s_clause 0x2
	buffer_load_dword v76, off, s[0:3], 0 offset:732
	buffer_load_dword v26, off, s[0:3], 0 offset:708
	;; [unrolled: 1-line block ×3, first 2 shown]
	s_waitcnt vmcnt(58) lgkmcnt(0)
	v_mul_f64 v[77:78], v[5:6], v[45:46]
	v_mul_f64 v[45:46], v[7:8], v[45:46]
	ds_read_b128 v[1:4], v70 offset:1520
	s_waitcnt vmcnt(56)
	v_fma_f64 v[23:24], v[9:10], v[31:32], -v[23:24]
	v_fma_f64 v[31:32], v[11:12], v[31:32], v[129:130]
	v_add_f64 v[15:16], v[15:16], v[37:38]
	v_add_f64 v[13:14], v[13:14], v[19:20]
	s_clause 0x4
	buffer_load_dword v20, off, s[0:3], 0 offset:748
	buffer_load_dword v37, off, s[0:3], 0 offset:760
	;; [unrolled: 1-line block ×5, first 2 shown]
	ds_read_b128 v[9:12], v70 offset:1536
	s_waitcnt vmcnt(57) lgkmcnt(1)
	v_mul_f64 v[86:87], v[1:2], v[29:30]
	v_mul_f64 v[29:30], v[3:4], v[29:30]
	s_waitcnt vmcnt(56)
	v_fma_f64 v[45:46], v[5:6], v[71:72], -v[45:46]
	v_add_f64 v[15:16], v[15:16], v[23:24]
	v_fma_f64 v[23:24], v[7:8], v[71:72], v[77:78]
	v_add_f64 v[13:14], v[13:14], v[31:32]
	s_clause 0x2
	buffer_load_dword v38, off, s[0:3], 0 offset:764
	buffer_load_dword v32, off, s[0:3], 0 offset:740
	;; [unrolled: 1-line block ×3, first 2 shown]
	s_waitcnt vmcnt(58) lgkmcnt(0)
	v_mul_f64 v[71:72], v[9:10], v[51:52]
	v_mul_f64 v[51:52], v[11:12], v[51:52]
	ds_read_b128 v[5:8], v70 offset:1552
	s_waitcnt vmcnt(56)
	v_fma_f64 v[29:30], v[1:2], v[41:42], -v[29:30]
	v_fma_f64 v[41:42], v[3:4], v[41:42], v[86:87]
	v_add_f64 v[15:16], v[15:16], v[45:46]
	v_add_f64 v[13:14], v[13:14], v[23:24]
	s_clause 0x4
	buffer_load_dword v24, off, s[0:3], 0 offset:780
	buffer_load_dword v45, off, s[0:3], 0 offset:792
	buffer_load_dword v77, off, s[0:3], 0 offset:784
	buffer_load_dword v23, off, s[0:3], 0 offset:776
	buffer_load_dword v86, off, s[0:3], 0 offset:756
	ds_read_b128 v[1:4], v70 offset:1568
	s_waitcnt vmcnt(57) lgkmcnt(1)
	v_mul_f64 v[130:131], v[5:6], v[35:36]
	v_mul_f64 v[35:36], v[7:8], v[35:36]
	s_waitcnt vmcnt(56)
	v_fma_f64 v[51:52], v[9:10], v[53:54], -v[51:52]
	v_add_f64 v[15:16], v[15:16], v[29:30]
	v_fma_f64 v[29:30], v[11:12], v[53:54], v[71:72]
	v_add_f64 v[13:14], v[13:14], v[41:42]
	s_clause 0x2
	buffer_load_dword v46, off, s[0:3], 0 offset:796
	buffer_load_dword v42, off, s[0:3], 0 offset:772
	buffer_load_dword v41, off, s[0:3], 0 offset:768
	ds_read_b128 v[9:12], v70 offset:1584
	s_waitcnt vmcnt(58) lgkmcnt(1)
	v_mul_f64 v[53:54], v[1:2], v[59:60]
	v_mul_f64 v[59:60], v[3:4], v[59:60]
	s_waitcnt vmcnt(56)
	v_fma_f64 v[35:36], v[5:6], v[39:40], -v[35:36]
	v_fma_f64 v[39:40], v[7:8], v[39:40], v[130:131]
	v_add_f64 v[15:16], v[15:16], v[51:52]
	v_add_f64 v[13:14], v[13:14], v[29:30]
	s_clause 0x4
	buffer_load_dword v30, off, s[0:3], 0 offset:812
	buffer_load_dword v51, off, s[0:3], 0 offset:824
	buffer_load_dword v71, off, s[0:3], 0 offset:816
	buffer_load_dword v29, off, s[0:3], 0 offset:808
	buffer_load_dword v78, off, s[0:3], 0 offset:788
	ds_read_b128 v[5:8], v70 offset:1600
	s_waitcnt vmcnt(57) lgkmcnt(1)
	v_mul_f64 v[130:131], v[9:10], v[43:44]
	v_mul_f64 v[43:44], v[11:12], v[43:44]
	s_waitcnt vmcnt(56)
	v_fma_f64 v[59:60], v[1:2], v[61:62], -v[59:60]
	v_add_f64 v[15:16], v[15:16], v[35:36]
	v_fma_f64 v[35:36], v[3:4], v[61:62], v[53:54]
	v_add_f64 v[13:14], v[13:14], v[39:40]
	s_clause 0x2
	buffer_load_dword v52, off, s[0:3], 0 offset:828
	buffer_load_dword v40, off, s[0:3], 0 offset:804
	buffer_load_dword v39, off, s[0:3], 0 offset:800
	ds_read_b128 v[1:4], v70 offset:1616
	s_waitcnt vmcnt(58) lgkmcnt(1)
	v_mul_f64 v[61:62], v[7:8], v[65:66]
	v_mul_f64 v[53:54], v[5:6], v[65:66]
	;; [unrolled: 28-line block ×4, first 2 shown]
	s_waitcnt vmcnt(56)
	v_fma_f64 v[57:58], v[5:6], v[63:64], -v[57:58]
	v_add_f64 v[15:16], v[15:16], v[55:56]
	v_fma_f64 v[55:56], v[7:8], v[63:64], v[130:131]
	v_add_f64 v[13:14], v[13:14], v[49:50]
	s_clause 0x4
	buffer_load_dword v50, off, s[0:3], 0 offset:908
	buffer_load_dword v63, off, s[0:3], 0 offset:920
	;; [unrolled: 1-line block ×5, first 2 shown]
	ds_read_b128 v[5:8], v70 offset:1696
	s_waitcnt vmcnt(57) lgkmcnt(1)
	v_mul_f64 v[130:131], v[9:10], v[21:22]
	v_mul_f64 v[21:22], v[11:12], v[21:22]
	s_waitcnt vmcnt(56)
	v_fma_f64 v[73:74], v[1:2], v[83:84], -v[73:74]
	v_fma_f64 v[53:54], v[3:4], v[83:84], v[53:54]
	v_add_f64 v[15:16], v[15:16], v[57:58]
	v_add_f64 v[13:14], v[13:14], v[55:56]
	s_clause 0x2
	buffer_load_dword v64, off, s[0:3], 0 offset:924
	buffer_load_dword v56, off, s[0:3], 0 offset:900
	buffer_load_dword v55, off, s[0:3], 0 offset:896
	ds_read_b128 v[1:4], v70 offset:1712
	s_waitcnt vmcnt(58) lgkmcnt(1)
	v_mul_f64 v[57:58], v[5:6], v[81:82]
	v_mul_f64 v[81:82], v[7:8], v[81:82]
	s_waitcnt vmcnt(56)
	v_fma_f64 v[21:22], v[9:10], v[27:28], -v[21:22]
	v_fma_f64 v[27:28], v[11:12], v[27:28], v[130:131]
	v_add_f64 v[15:16], v[15:16], v[73:74]
	v_add_f64 v[13:14], v[13:14], v[53:54]
	s_clause 0x4
	buffer_load_dword v54, off, s[0:3], 0 offset:940
	buffer_load_dword v73, off, s[0:3], 0 offset:952
	buffer_load_dword v83, off, s[0:3], 0 offset:944
	buffer_load_dword v53, off, s[0:3], 0 offset:936
	buffer_load_dword v80, off, s[0:3], 0 offset:916
	ds_read_b128 v[9:12], v70 offset:1728
	s_waitcnt vmcnt(57) lgkmcnt(1)
	v_mul_f64 v[130:131], v[1:2], v[33:34]
	v_mul_f64 v[33:34], v[3:4], v[33:34]
	s_waitcnt vmcnt(56)
	v_fma_f64 v[81:82], v[5:6], v[126:127], -v[81:82]
	v_add_f64 v[15:16], v[15:16], v[21:22]
	v_fma_f64 v[21:22], v[7:8], v[126:127], v[57:58]
	v_add_f64 v[13:14], v[13:14], v[27:28]
	s_clause 0x2
	buffer_load_dword v74, off, s[0:3], 0 offset:956
	buffer_load_dword v28, off, s[0:3], 0 offset:932
	buffer_load_dword v27, off, s[0:3], 0 offset:928
	ds_read_b128 v[5:8], v70 offset:1744
	s_waitcnt vmcnt(58) lgkmcnt(1)
	v_mul_f64 v[57:58], v[9:10], v[75:76]
	v_mul_f64 v[75:76], v[11:12], v[75:76]
	s_waitcnt vmcnt(56)
	v_fma_f64 v[33:34], v[1:2], v[25:26], -v[33:34]
	v_fma_f64 v[25:26], v[3:4], v[25:26], v[130:131]
	v_add_f64 v[15:16], v[15:16], v[81:82]
	v_add_f64 v[13:14], v[13:14], v[21:22]
	s_clause 0x4
	buffer_load_dword v22, off, s[0:3], 0 offset:972
	buffer_load_dword v81, off, s[0:3], 0 offset:984
	buffer_load_dword v126, off, s[0:3], 0 offset:976
	buffer_load_dword v21, off, s[0:3], 0 offset:968
	buffer_load_dword v84, off, s[0:3], 0 offset:948
	ds_read_b128 v[1:4], v70 offset:1760
	s_waitcnt vmcnt(57) lgkmcnt(1)
	v_mul_f64 v[130:131], v[5:6], v[19:20]
	v_mul_f64 v[19:20], v[7:8], v[19:20]
	s_waitcnt vmcnt(56)
	v_fma_f64 v[75:76], v[9:10], v[128:129], -v[75:76]
	v_add_f64 v[15:16], v[15:16], v[33:34]
	v_fma_f64 v[33:34], v[11:12], v[128:129], v[57:58]
	;; [unrolled: 28-line block ×3, first 2 shown]
	v_add_f64 v[13:14], v[13:14], v[31:32]
	s_clause 0x2
	buffer_load_dword v76, off, s[0:3], 0 offset:1020
	buffer_load_dword v32, off, s[0:3], 0 offset:996
	;; [unrolled: 1-line block ×3, first 2 shown]
	ds_read_b128 v[1:4], v70 offset:1808
	s_waitcnt vmcnt(58) lgkmcnt(1)
	v_mul_f64 v[57:58], v[5:6], v[45:46]
	v_mul_f64 v[45:46], v[7:8], v[45:46]
	s_waitcnt vmcnt(56)
	v_fma_f64 v[23:24], v[9:10], v[41:42], -v[23:24]
	v_add_f64 v[15:16], v[15:16], v[37:38]
	v_fma_f64 v[37:38], v[11:12], v[41:42], v[129:130]
	v_add_f64 v[13:14], v[13:14], v[19:20]
	s_clause 0x2
	buffer_load_dword v20, off, s[0:3], 0 offset:1036
	buffer_load_dword v19, off, s[0:3], 0 offset:1032
	;; [unrolled: 1-line block ×3, first 2 shown]
	ds_read_b128 v[9:12], v70 offset:1824
	s_waitcnt vmcnt(55) lgkmcnt(1)
	v_mul_f64 v[41:42], v[1:2], v[29:30]
	v_mul_f64 v[29:30], v[3:4], v[29:30]
	s_waitcnt vmcnt(54)
	v_fma_f64 v[45:46], v[5:6], v[77:78], -v[45:46]
	v_add_f64 v[15:16], v[15:16], v[23:24]
	v_fma_f64 v[23:24], v[7:8], v[77:78], v[57:58]
	v_add_f64 v[13:14], v[13:14], v[37:38]
	s_clause 0x1
	buffer_load_dword v38, off, s[0:3], 0 offset:1028
	buffer_load_dword v37, off, s[0:3], 0 offset:1024
	ds_read_b128 v[5:8], v70 offset:1840
	s_waitcnt vmcnt(55) lgkmcnt(1)
	v_mul_f64 v[57:58], v[9:10], v[51:52]
	v_mul_f64 v[51:52], v[11:12], v[51:52]
	s_waitcnt vmcnt(53)
	v_fma_f64 v[29:30], v[1:2], v[39:40], -v[29:30]
	v_fma_f64 v[39:40], v[3:4], v[39:40], v[41:42]
	ds_read_b128 v[1:4], v70 offset:1856
	v_add_f64 v[15:16], v[15:16], v[45:46]
	v_add_f64 v[13:14], v[13:14], v[23:24]
	s_waitcnt vmcnt(49) lgkmcnt(1)
	v_mul_f64 v[23:24], v[5:6], v[35:36]
	v_mul_f64 v[35:36], v[7:8], v[35:36]
	s_waitcnt vmcnt(48)
	v_fma_f64 v[41:42], v[9:10], v[71:72], -v[51:52]
	v_add_f64 v[15:16], v[15:16], v[29:30]
	v_fma_f64 v[29:30], v[11:12], v[71:72], v[57:58]
	v_add_f64 v[13:14], v[13:14], v[39:40]
	s_clause 0x3
	buffer_load_dword v39, off, s[0:3], 0 offset:96
	buffer_load_dword v40, off, s[0:3], 0 offset:100
	;; [unrolled: 1-line block ×4, first 2 shown]
	ds_read_b128 v[9:12], v70 offset:1872
	s_waitcnt vmcnt(51) lgkmcnt(1)
	v_mul_f64 v[57:58], v[3:4], v[59:60]
	v_mul_f64 v[51:52], v[1:2], v[59:60]
	s_waitcnt vmcnt(49)
	v_fma_f64 v[35:36], v[5:6], v[47:48], -v[35:36]
	v_fma_f64 v[23:24], v[7:8], v[47:48], v[23:24]
	ds_read_b128 v[5:8], v70 offset:1888
	v_add_f64 v[15:16], v[15:16], v[41:42]
	v_add_f64 v[13:14], v[13:14], v[29:30]
	s_waitcnt vmcnt(45) lgkmcnt(1)
	v_mul_f64 v[29:30], v[9:10], v[43:44]
	v_mul_f64 v[41:42], v[11:12], v[43:44]
	s_waitcnt vmcnt(44)
	v_fma_f64 v[43:44], v[1:2], v[65:66], -v[57:58]
	v_add_f64 v[15:16], v[15:16], v[35:36]
	v_fma_f64 v[35:36], v[3:4], v[65:66], v[51:52]
	v_add_f64 v[13:14], v[13:14], v[23:24]
	ds_read_b128 v[1:4], v70 offset:1904
	s_waitcnt vmcnt(43) lgkmcnt(1)
	v_mul_f64 v[47:48], v[7:8], v[61:62]
	v_mul_f64 v[23:24], v[5:6], v[61:62]
	s_waitcnt vmcnt(41)
	v_fma_f64 v[41:42], v[9:10], v[17:18], -v[41:42]
	v_fma_f64 v[17:18], v[11:12], v[17:18], v[29:30]
	ds_read_b128 v[9:12], v70 offset:1920
	v_add_f64 v[15:16], v[15:16], v[43:44]
	v_add_f64 v[13:14], v[13:14], v[35:36]
	s_waitcnt vmcnt(37) lgkmcnt(1)
	v_mul_f64 v[35:36], v[3:4], v[49:50]
	s_waitcnt vmcnt(36)
	v_fma_f64 v[43:44], v[5:6], v[67:68], -v[47:48]
	v_mul_f64 v[29:30], v[1:2], v[49:50]
	v_fma_f64 v[23:24], v[7:8], v[67:68], v[23:24]
	ds_read_b128 v[5:8], v70 offset:1936
	v_add_f64 v[15:16], v[15:16], v[41:42]
	v_add_f64 v[13:14], v[13:14], v[17:18]
	s_waitcnt vmcnt(35) lgkmcnt(1)
	v_mul_f64 v[41:42], v[11:12], v[63:64]
	v_mul_f64 v[17:18], v[9:10], v[63:64]
	s_waitcnt vmcnt(33)
	v_fma_f64 v[35:36], v[1:2], v[55:56], -v[35:36]
	v_fma_f64 v[29:30], v[3:4], v[55:56], v[29:30]
	ds_read_b128 v[1:4], v70 offset:1952
	v_add_f64 v[15:16], v[15:16], v[43:44]
	v_add_f64 v[13:14], v[13:14], v[23:24]
	s_waitcnt vmcnt(29) lgkmcnt(1)
	v_mul_f64 v[43:44], v[7:8], v[53:54]
	s_waitcnt vmcnt(28)
	v_fma_f64 v[41:42], v[9:10], v[79:80], -v[41:42]
	v_mul_f64 v[23:24], v[5:6], v[53:54]
	v_fma_f64 v[17:18], v[11:12], v[79:80], v[17:18]
	ds_read_b128 v[9:12], v70 offset:1968
	v_add_f64 v[15:16], v[15:16], v[35:36]
	v_add_f64 v[13:14], v[13:14], v[29:30]
	s_waitcnt vmcnt(27) lgkmcnt(1)
	v_mul_f64 v[35:36], v[3:4], v[73:74]
	v_mul_f64 v[29:30], v[1:2], v[73:74]
	s_waitcnt vmcnt(25)
	v_fma_f64 v[43:44], v[5:6], v[27:28], -v[43:44]
	v_fma_f64 v[23:24], v[7:8], v[27:28], v[23:24]
	ds_read_b128 v[5:8], v70 offset:1984
	v_add_f64 v[15:16], v[15:16], v[41:42]
	v_add_f64 v[13:14], v[13:14], v[17:18]
	s_waitcnt vmcnt(21) lgkmcnt(1)
	v_mul_f64 v[17:18], v[9:10], v[21:22]
	v_mul_f64 v[21:22], v[11:12], v[21:22]
	s_waitcnt vmcnt(20)
	v_fma_f64 v[27:28], v[1:2], v[83:84], -v[35:36]
	;; [unrolled: 9-line block ×3, first 2 shown]
	v_fma_f64 v[17:18], v[11:12], v[25:26], v[17:18]
	ds_read_b128 v[9:12], v70 offset:2016
	v_add_f64 v[15:16], v[15:16], v[27:28]
	v_add_f64 v[13:14], v[13:14], v[29:30]
	s_waitcnt vmcnt(13) lgkmcnt(1)
	v_mul_f64 v[27:28], v[3:4], v[33:34]
	s_waitcnt vmcnt(12)
	v_fma_f64 v[29:30], v[5:6], v[126:127], -v[35:36]
	v_mul_f64 v[25:26], v[1:2], v[33:34]
	v_add_f64 v[15:16], v[15:16], v[21:22]
	v_fma_f64 v[21:22], v[7:8], v[126:127], v[23:24]
	v_add_f64 v[13:14], v[13:14], v[17:18]
	ds_read_b128 v[5:8], v70 offset:2032
	s_waitcnt vmcnt(11) lgkmcnt(1)
	v_mul_f64 v[23:24], v[11:12], v[75:76]
	v_mul_f64 v[17:18], v[9:10], v[75:76]
	s_waitcnt vmcnt(9)
	v_fma_f64 v[1:2], v[1:2], v[31:32], -v[27:28]
	v_fma_f64 v[3:4], v[3:4], v[31:32], v[25:26]
	v_add_f64 v[15:16], v[15:16], v[29:30]
	v_add_f64 v[13:14], v[13:14], v[21:22]
	s_waitcnt vmcnt(7) lgkmcnt(0)
	v_mul_f64 v[21:22], v[5:6], v[19:20]
	v_mul_f64 v[19:20], v[7:8], v[19:20]
	s_waitcnt vmcnt(6)
	v_fma_f64 v[9:10], v[9:10], v[128:129], -v[23:24]
	v_fma_f64 v[11:12], v[11:12], v[128:129], v[17:18]
	v_add_f64 v[1:2], v[15:16], v[1:2]
	v_add_f64 v[3:4], v[13:14], v[3:4]
	s_waitcnt vmcnt(4)
	v_fma_f64 v[5:6], v[5:6], v[37:38], -v[19:20]
	v_fma_f64 v[7:8], v[7:8], v[37:38], v[21:22]
	v_add_f64 v[1:2], v[1:2], v[9:10]
	v_add_f64 v[3:4], v[3:4], v[11:12]
	;; [unrolled: 1-line block ×4, first 2 shown]
	s_waitcnt vmcnt(2)
	v_add_f64 v[1:2], v[39:40], -v[1:2]
	s_waitcnt vmcnt(0)
	v_add_f64 v[3:4], v[45:46], -v[3:4]
	buffer_store_dword v2, off, s[0:3], 0 offset:100
	buffer_store_dword v1, off, s[0:3], 0 offset:96
	;; [unrolled: 1-line block ×4, first 2 shown]
	v_cmpx_lt_u32_e32 4, v0
	s_cbranch_execz .LBB63_401
; %bb.400:
	v_mov_b32_e32 v4, s74
	v_mov_b32_e32 v5, 0
	s_clause 0x3
	buffer_load_dword v1, v4, s[0:3], 0 offen
	buffer_load_dword v2, v4, s[0:3], 0 offen offset:4
	buffer_load_dword v3, v4, s[0:3], 0 offen offset:8
	;; [unrolled: 1-line block ×3, first 2 shown]
	buffer_store_dword v5, off, s[0:3], 0 offset:80
	buffer_store_dword v5, off, s[0:3], 0 offset:84
	buffer_store_dword v5, off, s[0:3], 0 offset:88
	buffer_store_dword v5, off, s[0:3], 0 offset:92
	s_waitcnt vmcnt(0)
	ds_write_b128 v69, v[1:4]
.LBB63_401:
	s_or_b32 exec_lo, exec_lo, s4
	s_waitcnt lgkmcnt(0)
	s_waitcnt_vscnt null, 0x0
	s_barrier
	buffer_gl0_inv
	s_clause 0x37
	buffer_load_dword v17, off, s[0:3], 0 offset:104
	buffer_load_dword v18, off, s[0:3], 0 offset:108
	;; [unrolled: 1-line block ×56, first 2 shown]
	v_mov_b32_e32 v70, 0
	s_mov_b32 s4, exec_lo
	ds_read_b128 v[5:8], v70 offset:1104
	s_clause 0x2
	buffer_load_dword v66, off, s[0:3], 0 offset:332
	buffer_load_dword v68, off, s[0:3], 0 offset:308
	;; [unrolled: 1-line block ×3, first 2 shown]
	ds_read_b128 v[1:4], v70 offset:1120
	s_clause 0x4
	buffer_load_dword v78, off, s[0:3], 0 offset:348
	buffer_load_dword v79, off, s[0:3], 0 offset:360
	;; [unrolled: 1-line block ×5, first 2 shown]
	ds_read_b128 v[71:74], v70 offset:1136
	s_waitcnt vmcnt(62) lgkmcnt(2)
	v_mul_f64 v[75:76], v[7:8], v[17:18]
	v_mul_f64 v[17:18], v[5:6], v[17:18]
	s_waitcnt vmcnt(60) lgkmcnt(1)
	v_mul_f64 v[82:83], v[3:4], v[13:14]
	v_mul_f64 v[13:14], v[1:2], v[13:14]
	;; [unrolled: 3-line block ×3, first 2 shown]
	v_fma_f64 v[75:76], v[5:6], v[15:16], -v[75:76]
	v_fma_f64 v[15:16], v[7:8], v[15:16], v[17:18]
	s_clause 0x2
	buffer_load_dword v80, off, s[0:3], 0 offset:364
	buffer_load_dword v18, off, s[0:3], 0 offset:340
	buffer_load_dword v17, off, s[0:3], 0 offset:336
	s_waitcnt vmcnt(57)
	v_fma_f64 v[86:87], v[1:2], v[9:10], -v[82:83]
	ds_read_b128 v[5:8], v70 offset:1152
	v_fma_f64 v[9:10], v[3:4], v[9:10], v[13:14]
	s_waitcnt vmcnt(51)
	v_fma_f64 v[71:72], v[71:72], v[33:34], -v[11:12]
	v_fma_f64 v[33:34], v[73:74], v[33:34], v[84:85]
	v_add_f64 v[75:76], v[75:76], 0
	v_add_f64 v[13:14], v[15:16], 0
	s_clause 0x4
	buffer_load_dword v16, off, s[0:3], 0 offset:380
	buffer_load_dword v83, off, s[0:3], 0 offset:392
	;; [unrolled: 1-line block ×5, first 2 shown]
	s_waitcnt lgkmcnt(0)
	v_mul_f64 v[127:128], v[5:6], v[21:22]
	v_mul_f64 v[21:22], v[7:8], v[21:22]
	ds_read_b128 v[1:4], v70 offset:1168
	s_clause 0x2
	buffer_load_dword v84, off, s[0:3], 0 offset:396
	buffer_load_dword v74, off, s[0:3], 0 offset:372
	;; [unrolled: 1-line block ×3, first 2 shown]
	v_add_f64 v[75:76], v[75:76], v[86:87]
	v_add_f64 v[13:14], v[13:14], v[9:10]
	ds_read_b128 v[9:12], v70 offset:1184
	s_waitcnt vmcnt(58) lgkmcnt(1)
	v_mul_f64 v[85:86], v[1:2], v[25:26]
	v_mul_f64 v[25:26], v[3:4], v[25:26]
	s_waitcnt vmcnt(56)
	v_fma_f64 v[21:22], v[5:6], v[27:28], -v[21:22]
	v_fma_f64 v[27:28], v[7:8], v[27:28], v[127:128]
	s_waitcnt vmcnt(52) lgkmcnt(0)
	v_mul_f64 v[129:130], v[9:10], v[29:30]
	v_add_f64 v[71:72], v[75:76], v[71:72]
	v_add_f64 v[13:14], v[13:14], v[33:34]
	s_clause 0x4
	buffer_load_dword v34, off, s[0:3], 0 offset:412
	buffer_load_dword v75, off, s[0:3], 0 offset:424
	;; [unrolled: 1-line block ×5, first 2 shown]
	v_mul_f64 v[29:30], v[11:12], v[29:30]
	s_waitcnt vmcnt(56)
	v_fma_f64 v[25:26], v[1:2], v[19:20], -v[25:26]
	ds_read_b128 v[5:8], v70 offset:1200
	v_fma_f64 v[19:20], v[3:4], v[19:20], v[85:86]
	v_add_f64 v[21:22], v[71:72], v[21:22]
	v_add_f64 v[13:14], v[13:14], v[27:28]
	s_clause 0x2
	buffer_load_dword v76, off, s[0:3], 0 offset:428
	buffer_load_dword v28, off, s[0:3], 0 offset:404
	;; [unrolled: 1-line block ×3, first 2 shown]
	s_waitcnt vmcnt(58) lgkmcnt(0)
	v_mul_f64 v[71:72], v[5:6], v[35:36]
	v_mul_f64 v[35:36], v[7:8], v[35:36]
	s_waitcnt vmcnt(56)
	v_fma_f64 v[29:30], v[9:10], v[37:38], -v[29:30]
	ds_read_b128 v[1:4], v70 offset:1216
	v_add_f64 v[21:22], v[21:22], v[25:26]
	v_fma_f64 v[25:26], v[11:12], v[37:38], v[129:130]
	v_add_f64 v[13:14], v[13:14], v[19:20]
	s_clause 0x4
	buffer_load_dword v20, off, s[0:3], 0 offset:444
	buffer_load_dword v37, off, s[0:3], 0 offset:456
	;; [unrolled: 1-line block ×5, first 2 shown]
	s_waitcnt vmcnt(57) lgkmcnt(0)
	v_mul_f64 v[86:87], v[1:2], v[39:40]
	v_mul_f64 v[39:40], v[3:4], v[39:40]
	s_waitcnt vmcnt(56)
	v_fma_f64 v[35:36], v[5:6], v[23:24], -v[35:36]
	ds_read_b128 v[9:12], v70 offset:1232
	v_fma_f64 v[23:24], v[7:8], v[23:24], v[71:72]
	v_add_f64 v[21:22], v[21:22], v[29:30]
	v_add_f64 v[13:14], v[13:14], v[25:26]
	s_clause 0x2
	buffer_load_dword v38, off, s[0:3], 0 offset:460
	buffer_load_dword v26, off, s[0:3], 0 offset:436
	;; [unrolled: 1-line block ×3, first 2 shown]
	ds_read_b128 v[5:8], v70 offset:1248
	s_waitcnt vmcnt(58) lgkmcnt(1)
	v_mul_f64 v[29:30], v[9:10], v[43:44]
	v_mul_f64 v[43:44], v[11:12], v[43:44]
	s_waitcnt vmcnt(56)
	v_fma_f64 v[39:40], v[1:2], v[45:46], -v[39:40]
	v_add_f64 v[21:22], v[21:22], v[35:36]
	v_fma_f64 v[35:36], v[3:4], v[45:46], v[86:87]
	v_add_f64 v[13:14], v[13:14], v[23:24]
	s_clause 0x4
	buffer_load_dword v24, off, s[0:3], 0 offset:476
	buffer_load_dword v45, off, s[0:3], 0 offset:488
	;; [unrolled: 1-line block ×5, first 2 shown]
	s_waitcnt vmcnt(57) lgkmcnt(0)
	v_mul_f64 v[130:131], v[5:6], v[47:48]
	v_mul_f64 v[47:48], v[7:8], v[47:48]
	s_waitcnt vmcnt(56)
	v_fma_f64 v[43:44], v[9:10], v[31:32], -v[43:44]
	ds_read_b128 v[1:4], v70 offset:1264
	v_fma_f64 v[29:30], v[11:12], v[31:32], v[29:30]
	s_clause 0x2
	buffer_load_dword v46, off, s[0:3], 0 offset:492
	buffer_load_dword v32, off, s[0:3], 0 offset:468
	;; [unrolled: 1-line block ×3, first 2 shown]
	ds_read_b128 v[9:12], v70 offset:1280
	v_add_f64 v[21:22], v[21:22], v[39:40]
	v_add_f64 v[13:14], v[13:14], v[35:36]
	s_waitcnt vmcnt(58) lgkmcnt(1)
	v_mul_f64 v[39:40], v[3:4], v[51:52]
	s_waitcnt vmcnt(56)
	v_fma_f64 v[47:48], v[5:6], v[53:54], -v[47:48]
	v_mul_f64 v[35:36], v[1:2], v[51:52]
	v_add_f64 v[21:22], v[21:22], v[43:44]
	v_fma_f64 v[43:44], v[7:8], v[53:54], v[130:131]
	v_add_f64 v[13:14], v[13:14], v[29:30]
	s_clause 0x4
	buffer_load_dword v30, off, s[0:3], 0 offset:508
	buffer_load_dword v51, off, s[0:3], 0 offset:520
	;; [unrolled: 1-line block ×5, first 2 shown]
	s_waitcnt vmcnt(57) lgkmcnt(0)
	v_mul_f64 v[130:131], v[9:10], v[55:56]
	v_mul_f64 v[54:55], v[11:12], v[55:56]
	s_waitcnt vmcnt(56)
	v_fma_f64 v[39:40], v[1:2], v[41:42], -v[39:40]
	ds_read_b128 v[5:8], v70 offset:1296
	v_fma_f64 v[35:36], v[3:4], v[41:42], v[35:36]
	s_clause 0x2
	buffer_load_dword v52, off, s[0:3], 0 offset:524
	buffer_load_dword v42, off, s[0:3], 0 offset:500
	;; [unrolled: 1-line block ×3, first 2 shown]
	ds_read_b128 v[1:4], v70 offset:1312
	v_add_f64 v[21:22], v[21:22], v[47:48]
	v_add_f64 v[13:14], v[13:14], v[43:44]
	s_waitcnt vmcnt(58) lgkmcnt(1)
	v_mul_f64 v[47:48], v[7:8], v[59:60]
	s_waitcnt vmcnt(56)
	v_fma_f64 v[55:56], v[9:10], v[61:62], -v[54:55]
	v_mul_f64 v[43:44], v[5:6], v[59:60]
	v_add_f64 v[21:22], v[21:22], v[39:40]
	v_fma_f64 v[39:40], v[11:12], v[61:62], v[130:131]
	v_add_f64 v[13:14], v[13:14], v[35:36]
	s_clause 0x4
	buffer_load_dword v36, off, s[0:3], 0 offset:540
	buffer_load_dword v59, off, s[0:3], 0 offset:552
	;; [unrolled: 1-line block ×5, first 2 shown]
	s_waitcnt vmcnt(57) lgkmcnt(0)
	v_mul_f64 v[130:131], v[1:2], v[63:64]
	v_mul_f64 v[62:63], v[3:4], v[63:64]
	s_waitcnt vmcnt(56)
	v_fma_f64 v[47:48], v[5:6], v[49:50], -v[47:48]
	ds_read_b128 v[9:12], v70 offset:1328
	v_fma_f64 v[43:44], v[7:8], v[49:50], v[43:44]
	v_add_f64 v[21:22], v[21:22], v[55:56]
	v_add_f64 v[13:14], v[13:14], v[39:40]
	s_clause 0x2
	buffer_load_dword v60, off, s[0:3], 0 offset:556
	buffer_load_dword v40, off, s[0:3], 0 offset:532
	;; [unrolled: 1-line block ×3, first 2 shown]
	ds_read_b128 v[5:8], v70 offset:1344
	s_waitcnt vmcnt(58) lgkmcnt(1)
	v_mul_f64 v[55:56], v[11:12], v[65:66]
	s_waitcnt vmcnt(56)
	v_fma_f64 v[63:64], v[1:2], v[67:68], -v[62:63]
	v_mul_f64 v[49:50], v[9:10], v[65:66]
	v_add_f64 v[21:22], v[21:22], v[47:48]
	v_fma_f64 v[47:48], v[3:4], v[67:68], v[130:131]
	v_add_f64 v[13:14], v[13:14], v[43:44]
	s_clause 0x4
	buffer_load_dword v44, off, s[0:3], 0 offset:572
	buffer_load_dword v65, off, s[0:3], 0 offset:584
	;; [unrolled: 1-line block ×5, first 2 shown]
	s_waitcnt vmcnt(57) lgkmcnt(0)
	v_mul_f64 v[130:131], v[5:6], v[77:78]
	v_mul_f64 v[77:78], v[7:8], v[77:78]
	s_waitcnt vmcnt(56)
	v_fma_f64 v[55:56], v[9:10], v[57:58], -v[55:56]
	ds_read_b128 v[1:4], v70 offset:1360
	v_fma_f64 v[49:50], v[11:12], v[57:58], v[49:50]
	v_add_f64 v[21:22], v[21:22], v[63:64]
	v_add_f64 v[13:14], v[13:14], v[47:48]
	s_clause 0x2
	buffer_load_dword v66, off, s[0:3], 0 offset:588
	buffer_load_dword v48, off, s[0:3], 0 offset:564
	;; [unrolled: 1-line block ×3, first 2 shown]
	ds_read_b128 v[9:12], v70 offset:1376
	s_waitcnt vmcnt(58) lgkmcnt(1)
	v_mul_f64 v[63:64], v[3:4], v[79:80]
	v_mul_f64 v[57:58], v[1:2], v[79:80]
	s_waitcnt vmcnt(56)
	v_fma_f64 v[77:78], v[5:6], v[17:18], -v[77:78]
	v_fma_f64 v[17:18], v[7:8], v[17:18], v[130:131]
	v_add_f64 v[21:22], v[21:22], v[55:56]
	v_add_f64 v[13:14], v[13:14], v[49:50]
	s_clause 0x4
	buffer_load_dword v50, off, s[0:3], 0 offset:604
	buffer_load_dword v55, off, s[0:3], 0 offset:616
	;; [unrolled: 1-line block ×5, first 2 shown]
	ds_read_b128 v[5:8], v70 offset:1392
	s_waitcnt vmcnt(57) lgkmcnt(1)
	v_mul_f64 v[130:131], v[9:10], v[15:16]
	v_mul_f64 v[15:16], v[11:12], v[15:16]
	s_waitcnt vmcnt(56)
	v_fma_f64 v[63:64], v[1:2], v[81:82], -v[63:64]
	v_fma_f64 v[57:58], v[3:4], v[81:82], v[57:58]
	v_add_f64 v[21:22], v[21:22], v[77:78]
	v_add_f64 v[13:14], v[13:14], v[17:18]
	s_clause 0x2
	buffer_load_dword v56, off, s[0:3], 0 offset:620
	buffer_load_dword v18, off, s[0:3], 0 offset:596
	;; [unrolled: 1-line block ×3, first 2 shown]
	s_waitcnt vmcnt(58) lgkmcnt(0)
	v_mul_f64 v[81:82], v[7:8], v[83:84]
	ds_read_b128 v[1:4], v70 offset:1408
	v_mul_f64 v[77:78], v[5:6], v[83:84]
	s_waitcnt vmcnt(56)
	v_fma_f64 v[15:16], v[9:10], v[73:74], -v[15:16]
	v_add_f64 v[21:22], v[21:22], v[63:64]
	v_fma_f64 v[63:64], v[11:12], v[73:74], v[130:131]
	v_add_f64 v[13:14], v[13:14], v[57:58]
	s_clause 0x4
	buffer_load_dword v58, off, s[0:3], 0 offset:636
	buffer_load_dword v73, off, s[0:3], 0 offset:648
	;; [unrolled: 1-line block ×5, first 2 shown]
	ds_read_b128 v[9:12], v70 offset:1424
	s_waitcnt vmcnt(57) lgkmcnt(1)
	v_mul_f64 v[130:131], v[1:2], v[33:34]
	v_mul_f64 v[33:34], v[3:4], v[33:34]
	s_waitcnt vmcnt(56)
	v_fma_f64 v[81:82], v[5:6], v[126:127], -v[81:82]
	v_add_f64 v[15:16], v[21:22], v[15:16]
	v_fma_f64 v[21:22], v[7:8], v[126:127], v[77:78]
	v_add_f64 v[13:14], v[13:14], v[63:64]
	s_clause 0x2
	buffer_load_dword v74, off, s[0:3], 0 offset:652
	buffer_load_dword v64, off, s[0:3], 0 offset:628
	;; [unrolled: 1-line block ×3, first 2 shown]
	ds_read_b128 v[5:8], v70 offset:1440
	s_waitcnt vmcnt(58) lgkmcnt(1)
	v_mul_f64 v[77:78], v[9:10], v[75:76]
	v_mul_f64 v[75:76], v[11:12], v[75:76]
	s_waitcnt vmcnt(56)
	v_fma_f64 v[33:34], v[1:2], v[27:28], -v[33:34]
	v_fma_f64 v[27:28], v[3:4], v[27:28], v[130:131]
	v_add_f64 v[15:16], v[15:16], v[81:82]
	v_add_f64 v[13:14], v[13:14], v[21:22]
	s_clause 0x4
	buffer_load_dword v22, off, s[0:3], 0 offset:668
	buffer_load_dword v81, off, s[0:3], 0 offset:680
	;; [unrolled: 1-line block ×5, first 2 shown]
	ds_read_b128 v[1:4], v70 offset:1456
	s_waitcnt vmcnt(57) lgkmcnt(1)
	v_mul_f64 v[130:131], v[5:6], v[19:20]
	v_mul_f64 v[19:20], v[7:8], v[19:20]
	s_waitcnt vmcnt(56)
	v_fma_f64 v[75:76], v[9:10], v[128:129], -v[75:76]
	v_add_f64 v[15:16], v[15:16], v[33:34]
	v_fma_f64 v[33:34], v[11:12], v[128:129], v[77:78]
	v_add_f64 v[13:14], v[13:14], v[27:28]
	s_clause 0x2
	buffer_load_dword v82, off, s[0:3], 0 offset:684
	buffer_load_dword v28, off, s[0:3], 0 offset:660
	;; [unrolled: 1-line block ×3, first 2 shown]
	ds_read_b128 v[9:12], v70 offset:1472
	s_waitcnt vmcnt(58) lgkmcnt(1)
	v_mul_f64 v[77:78], v[1:2], v[37:38]
	v_mul_f64 v[37:38], v[3:4], v[37:38]
	s_waitcnt vmcnt(56)
	v_fma_f64 v[19:20], v[5:6], v[25:26], -v[19:20]
	v_fma_f64 v[25:26], v[7:8], v[25:26], v[130:131]
	v_add_f64 v[15:16], v[15:16], v[75:76]
	v_add_f64 v[13:14], v[13:14], v[33:34]
	s_clause 0x4
	buffer_load_dword v34, off, s[0:3], 0 offset:700
	buffer_load_dword v75, off, s[0:3], 0 offset:712
	;; [unrolled: 1-line block ×5, first 2 shown]
	ds_read_b128 v[5:8], v70 offset:1488
	s_waitcnt vmcnt(57) lgkmcnt(1)
	v_mul_f64 v[129:130], v[9:10], v[23:24]
	v_mul_f64 v[23:24], v[11:12], v[23:24]
	s_waitcnt vmcnt(56)
	v_fma_f64 v[37:38], v[1:2], v[85:86], -v[37:38]
	v_add_f64 v[15:16], v[15:16], v[19:20]
	v_fma_f64 v[19:20], v[3:4], v[85:86], v[77:78]
	v_add_f64 v[13:14], v[13:14], v[25:26]
	s_clause 0x2
	buffer_load_dword v76, off, s[0:3], 0 offset:716
	buffer_load_dword v26, off, s[0:3], 0 offset:692
	;; [unrolled: 1-line block ×3, first 2 shown]
	s_waitcnt vmcnt(58) lgkmcnt(0)
	v_mul_f64 v[77:78], v[5:6], v[45:46]
	v_mul_f64 v[45:46], v[7:8], v[45:46]
	ds_read_b128 v[1:4], v70 offset:1504
	s_waitcnt vmcnt(56)
	v_fma_f64 v[23:24], v[9:10], v[31:32], -v[23:24]
	v_fma_f64 v[31:32], v[11:12], v[31:32], v[129:130]
	v_add_f64 v[15:16], v[15:16], v[37:38]
	v_add_f64 v[13:14], v[13:14], v[19:20]
	s_clause 0x4
	buffer_load_dword v20, off, s[0:3], 0 offset:732
	buffer_load_dword v37, off, s[0:3], 0 offset:744
	;; [unrolled: 1-line block ×5, first 2 shown]
	ds_read_b128 v[9:12], v70 offset:1520
	s_waitcnt vmcnt(57) lgkmcnt(1)
	v_mul_f64 v[86:87], v[1:2], v[29:30]
	v_mul_f64 v[29:30], v[3:4], v[29:30]
	s_waitcnt vmcnt(56)
	v_fma_f64 v[45:46], v[5:6], v[71:72], -v[45:46]
	v_add_f64 v[15:16], v[15:16], v[23:24]
	v_fma_f64 v[23:24], v[7:8], v[71:72], v[77:78]
	v_add_f64 v[13:14], v[13:14], v[31:32]
	s_clause 0x2
	buffer_load_dword v38, off, s[0:3], 0 offset:748
	buffer_load_dword v32, off, s[0:3], 0 offset:724
	;; [unrolled: 1-line block ×3, first 2 shown]
	s_waitcnt vmcnt(58) lgkmcnt(0)
	v_mul_f64 v[71:72], v[9:10], v[51:52]
	v_mul_f64 v[51:52], v[11:12], v[51:52]
	ds_read_b128 v[5:8], v70 offset:1536
	s_waitcnt vmcnt(56)
	v_fma_f64 v[29:30], v[1:2], v[41:42], -v[29:30]
	v_fma_f64 v[41:42], v[3:4], v[41:42], v[86:87]
	v_add_f64 v[15:16], v[15:16], v[45:46]
	v_add_f64 v[13:14], v[13:14], v[23:24]
	s_clause 0x4
	buffer_load_dword v24, off, s[0:3], 0 offset:764
	buffer_load_dword v45, off, s[0:3], 0 offset:776
	buffer_load_dword v77, off, s[0:3], 0 offset:768
	buffer_load_dword v23, off, s[0:3], 0 offset:760
	buffer_load_dword v86, off, s[0:3], 0 offset:740
	ds_read_b128 v[1:4], v70 offset:1552
	s_waitcnt vmcnt(57) lgkmcnt(1)
	v_mul_f64 v[130:131], v[5:6], v[35:36]
	v_mul_f64 v[35:36], v[7:8], v[35:36]
	s_waitcnt vmcnt(56)
	v_fma_f64 v[51:52], v[9:10], v[53:54], -v[51:52]
	v_add_f64 v[15:16], v[15:16], v[29:30]
	v_fma_f64 v[29:30], v[11:12], v[53:54], v[71:72]
	v_add_f64 v[13:14], v[13:14], v[41:42]
	s_clause 0x2
	buffer_load_dword v46, off, s[0:3], 0 offset:780
	buffer_load_dword v42, off, s[0:3], 0 offset:756
	buffer_load_dword v41, off, s[0:3], 0 offset:752
	ds_read_b128 v[9:12], v70 offset:1568
	s_waitcnt vmcnt(58) lgkmcnt(1)
	v_mul_f64 v[53:54], v[1:2], v[59:60]
	v_mul_f64 v[59:60], v[3:4], v[59:60]
	s_waitcnt vmcnt(56)
	v_fma_f64 v[35:36], v[5:6], v[39:40], -v[35:36]
	v_fma_f64 v[39:40], v[7:8], v[39:40], v[130:131]
	v_add_f64 v[15:16], v[15:16], v[51:52]
	v_add_f64 v[13:14], v[13:14], v[29:30]
	s_clause 0x4
	buffer_load_dword v30, off, s[0:3], 0 offset:796
	buffer_load_dword v51, off, s[0:3], 0 offset:808
	buffer_load_dword v71, off, s[0:3], 0 offset:800
	buffer_load_dword v29, off, s[0:3], 0 offset:792
	buffer_load_dword v78, off, s[0:3], 0 offset:772
	ds_read_b128 v[5:8], v70 offset:1584
	s_waitcnt vmcnt(57) lgkmcnt(1)
	v_mul_f64 v[130:131], v[9:10], v[43:44]
	v_mul_f64 v[43:44], v[11:12], v[43:44]
	s_waitcnt vmcnt(56)
	v_fma_f64 v[59:60], v[1:2], v[61:62], -v[59:60]
	v_add_f64 v[15:16], v[15:16], v[35:36]
	v_fma_f64 v[35:36], v[3:4], v[61:62], v[53:54]
	v_add_f64 v[13:14], v[13:14], v[39:40]
	s_clause 0x2
	buffer_load_dword v52, off, s[0:3], 0 offset:812
	buffer_load_dword v40, off, s[0:3], 0 offset:788
	buffer_load_dword v39, off, s[0:3], 0 offset:784
	ds_read_b128 v[1:4], v70 offset:1600
	s_waitcnt vmcnt(58) lgkmcnt(1)
	v_mul_f64 v[61:62], v[7:8], v[65:66]
	v_mul_f64 v[53:54], v[5:6], v[65:66]
	;; [unrolled: 28-line block ×4, first 2 shown]
	s_waitcnt vmcnt(56)
	v_fma_f64 v[57:58], v[5:6], v[63:64], -v[57:58]
	v_add_f64 v[15:16], v[15:16], v[55:56]
	v_fma_f64 v[55:56], v[7:8], v[63:64], v[130:131]
	v_add_f64 v[13:14], v[13:14], v[49:50]
	s_clause 0x4
	buffer_load_dword v50, off, s[0:3], 0 offset:892
	buffer_load_dword v63, off, s[0:3], 0 offset:904
	;; [unrolled: 1-line block ×5, first 2 shown]
	ds_read_b128 v[5:8], v70 offset:1680
	s_waitcnt vmcnt(57) lgkmcnt(1)
	v_mul_f64 v[130:131], v[9:10], v[21:22]
	v_mul_f64 v[21:22], v[11:12], v[21:22]
	s_waitcnt vmcnt(56)
	v_fma_f64 v[73:74], v[1:2], v[83:84], -v[73:74]
	v_fma_f64 v[53:54], v[3:4], v[83:84], v[53:54]
	v_add_f64 v[15:16], v[15:16], v[57:58]
	v_add_f64 v[13:14], v[13:14], v[55:56]
	s_clause 0x2
	buffer_load_dword v64, off, s[0:3], 0 offset:908
	buffer_load_dword v56, off, s[0:3], 0 offset:884
	buffer_load_dword v55, off, s[0:3], 0 offset:880
	ds_read_b128 v[1:4], v70 offset:1696
	s_waitcnt vmcnt(58) lgkmcnt(1)
	v_mul_f64 v[57:58], v[5:6], v[81:82]
	v_mul_f64 v[81:82], v[7:8], v[81:82]
	s_waitcnt vmcnt(56)
	v_fma_f64 v[21:22], v[9:10], v[27:28], -v[21:22]
	v_fma_f64 v[27:28], v[11:12], v[27:28], v[130:131]
	v_add_f64 v[15:16], v[15:16], v[73:74]
	v_add_f64 v[13:14], v[13:14], v[53:54]
	s_clause 0x4
	buffer_load_dword v54, off, s[0:3], 0 offset:924
	buffer_load_dword v73, off, s[0:3], 0 offset:936
	buffer_load_dword v83, off, s[0:3], 0 offset:928
	buffer_load_dword v53, off, s[0:3], 0 offset:920
	buffer_load_dword v80, off, s[0:3], 0 offset:900
	ds_read_b128 v[9:12], v70 offset:1712
	s_waitcnt vmcnt(57) lgkmcnt(1)
	v_mul_f64 v[130:131], v[1:2], v[33:34]
	v_mul_f64 v[33:34], v[3:4], v[33:34]
	s_waitcnt vmcnt(56)
	v_fma_f64 v[81:82], v[5:6], v[126:127], -v[81:82]
	v_add_f64 v[15:16], v[15:16], v[21:22]
	v_fma_f64 v[21:22], v[7:8], v[126:127], v[57:58]
	v_add_f64 v[13:14], v[13:14], v[27:28]
	s_clause 0x2
	buffer_load_dword v74, off, s[0:3], 0 offset:940
	buffer_load_dword v28, off, s[0:3], 0 offset:916
	buffer_load_dword v27, off, s[0:3], 0 offset:912
	ds_read_b128 v[5:8], v70 offset:1728
	s_waitcnt vmcnt(58) lgkmcnt(1)
	v_mul_f64 v[57:58], v[9:10], v[75:76]
	v_mul_f64 v[75:76], v[11:12], v[75:76]
	s_waitcnt vmcnt(56)
	v_fma_f64 v[33:34], v[1:2], v[25:26], -v[33:34]
	v_fma_f64 v[25:26], v[3:4], v[25:26], v[130:131]
	v_add_f64 v[15:16], v[15:16], v[81:82]
	v_add_f64 v[13:14], v[13:14], v[21:22]
	s_clause 0x4
	buffer_load_dword v22, off, s[0:3], 0 offset:956
	buffer_load_dword v81, off, s[0:3], 0 offset:968
	buffer_load_dword v126, off, s[0:3], 0 offset:960
	buffer_load_dword v21, off, s[0:3], 0 offset:952
	buffer_load_dword v84, off, s[0:3], 0 offset:932
	ds_read_b128 v[1:4], v70 offset:1744
	s_waitcnt vmcnt(57) lgkmcnt(1)
	v_mul_f64 v[130:131], v[5:6], v[19:20]
	v_mul_f64 v[19:20], v[7:8], v[19:20]
	s_waitcnt vmcnt(56)
	v_fma_f64 v[75:76], v[9:10], v[128:129], -v[75:76]
	v_add_f64 v[15:16], v[15:16], v[33:34]
	v_fma_f64 v[33:34], v[11:12], v[128:129], v[57:58]
	;; [unrolled: 28-line block ×3, first 2 shown]
	v_add_f64 v[13:14], v[13:14], v[31:32]
	s_clause 0x2
	buffer_load_dword v76, off, s[0:3], 0 offset:1004
	buffer_load_dword v32, off, s[0:3], 0 offset:980
	;; [unrolled: 1-line block ×3, first 2 shown]
	ds_read_b128 v[1:4], v70 offset:1792
	s_waitcnt vmcnt(58) lgkmcnt(1)
	v_mul_f64 v[57:58], v[5:6], v[45:46]
	v_mul_f64 v[45:46], v[7:8], v[45:46]
	s_waitcnt vmcnt(56)
	v_fma_f64 v[23:24], v[9:10], v[41:42], -v[23:24]
	v_add_f64 v[15:16], v[15:16], v[37:38]
	v_fma_f64 v[37:38], v[11:12], v[41:42], v[129:130]
	v_add_f64 v[13:14], v[13:14], v[19:20]
	s_clause 0x4
	buffer_load_dword v20, off, s[0:3], 0 offset:1020
	buffer_load_dword v41, off, s[0:3], 0 offset:1032
	;; [unrolled: 1-line block ×5, first 2 shown]
	ds_read_b128 v[9:12], v70 offset:1808
	s_waitcnt vmcnt(57) lgkmcnt(1)
	v_mul_f64 v[86:87], v[1:2], v[29:30]
	v_mul_f64 v[29:30], v[3:4], v[29:30]
	s_waitcnt vmcnt(56)
	v_fma_f64 v[45:46], v[5:6], v[77:78], -v[45:46]
	v_add_f64 v[15:16], v[15:16], v[23:24]
	v_fma_f64 v[23:24], v[7:8], v[77:78], v[57:58]
	v_add_f64 v[13:14], v[13:14], v[37:38]
	s_clause 0x2
	buffer_load_dword v42, off, s[0:3], 0 offset:1036
	buffer_load_dword v38, off, s[0:3], 0 offset:1012
	;; [unrolled: 1-line block ×3, first 2 shown]
	ds_read_b128 v[5:8], v70 offset:1824
	s_waitcnt vmcnt(58) lgkmcnt(1)
	v_mul_f64 v[57:58], v[9:10], v[51:52]
	v_mul_f64 v[51:52], v[11:12], v[51:52]
	s_waitcnt vmcnt(56)
	v_fma_f64 v[29:30], v[1:2], v[39:40], -v[29:30]
	v_fma_f64 v[39:40], v[3:4], v[39:40], v[86:87]
	buffer_load_dword v86, off, s[0:3], 0 offset:1028
	ds_read_b128 v[1:4], v70 offset:1840
	v_add_f64 v[15:16], v[15:16], v[45:46]
	v_add_f64 v[13:14], v[13:14], v[23:24]
	s_waitcnt vmcnt(53) lgkmcnt(1)
	v_mul_f64 v[23:24], v[5:6], v[35:36]
	v_mul_f64 v[35:36], v[7:8], v[35:36]
	s_waitcnt vmcnt(52)
	v_fma_f64 v[45:46], v[9:10], v[71:72], -v[51:52]
	v_add_f64 v[15:16], v[15:16], v[29:30]
	v_fma_f64 v[29:30], v[11:12], v[71:72], v[57:58]
	v_add_f64 v[13:14], v[13:14], v[39:40]
	ds_read_b128 v[9:12], v70 offset:1856
	s_waitcnt vmcnt(51) lgkmcnt(1)
	v_mul_f64 v[51:52], v[3:4], v[59:60]
	v_mul_f64 v[39:40], v[1:2], v[59:60]
	s_waitcnt vmcnt(49)
	v_fma_f64 v[35:36], v[5:6], v[47:48], -v[35:36]
	v_fma_f64 v[23:24], v[7:8], v[47:48], v[23:24]
	v_add_f64 v[15:16], v[15:16], v[45:46]
	v_add_f64 v[13:14], v[13:14], v[29:30]
	s_clause 0x3
	buffer_load_dword v29, off, s[0:3], 0 offset:80
	buffer_load_dword v30, off, s[0:3], 0 offset:84
	;; [unrolled: 1-line block ×4, first 2 shown]
	ds_read_b128 v[5:8], v70 offset:1872
	s_waitcnt vmcnt(49) lgkmcnt(1)
	v_mul_f64 v[47:48], v[9:10], v[43:44]
	v_mul_f64 v[43:44], v[11:12], v[43:44]
	s_waitcnt vmcnt(48)
	v_fma_f64 v[51:52], v[1:2], v[65:66], -v[51:52]
	v_add_f64 v[15:16], v[15:16], v[35:36]
	v_fma_f64 v[35:36], v[3:4], v[65:66], v[39:40]
	v_add_f64 v[13:14], v[13:14], v[23:24]
	ds_read_b128 v[1:4], v70 offset:1888
	s_waitcnt vmcnt(47) lgkmcnt(1)
	v_mul_f64 v[39:40], v[7:8], v[61:62]
	v_mul_f64 v[23:24], v[5:6], v[61:62]
	s_waitcnt vmcnt(45)
	v_fma_f64 v[43:44], v[9:10], v[17:18], -v[43:44]
	v_fma_f64 v[17:18], v[11:12], v[17:18], v[47:48]
	ds_read_b128 v[9:12], v70 offset:1904
	v_add_f64 v[15:16], v[15:16], v[51:52]
	v_add_f64 v[13:14], v[13:14], v[35:36]
	s_waitcnt vmcnt(41) lgkmcnt(1)
	v_mul_f64 v[47:48], v[3:4], v[49:50]
	s_waitcnt vmcnt(40)
	v_fma_f64 v[39:40], v[5:6], v[67:68], -v[39:40]
	v_mul_f64 v[35:36], v[1:2], v[49:50]
	v_fma_f64 v[23:24], v[7:8], v[67:68], v[23:24]
	ds_read_b128 v[5:8], v70 offset:1920
	v_add_f64 v[15:16], v[15:16], v[43:44]
	v_add_f64 v[13:14], v[13:14], v[17:18]
	s_waitcnt vmcnt(39) lgkmcnt(1)
	v_mul_f64 v[43:44], v[11:12], v[63:64]
	v_mul_f64 v[17:18], v[9:10], v[63:64]
	s_waitcnt vmcnt(37)
	v_fma_f64 v[47:48], v[1:2], v[55:56], -v[47:48]
	v_fma_f64 v[35:36], v[3:4], v[55:56], v[35:36]
	ds_read_b128 v[1:4], v70 offset:1936
	v_add_f64 v[15:16], v[15:16], v[39:40]
	v_add_f64 v[13:14], v[13:14], v[23:24]
	s_waitcnt vmcnt(33) lgkmcnt(1)
	v_mul_f64 v[39:40], v[7:8], v[53:54]
	s_waitcnt vmcnt(32)
	v_fma_f64 v[43:44], v[9:10], v[79:80], -v[43:44]
	v_mul_f64 v[23:24], v[5:6], v[53:54]
	v_fma_f64 v[17:18], v[11:12], v[79:80], v[17:18]
	ds_read_b128 v[9:12], v70 offset:1952
	v_add_f64 v[15:16], v[15:16], v[47:48]
	v_add_f64 v[13:14], v[13:14], v[35:36]
	s_waitcnt vmcnt(31) lgkmcnt(1)
	v_mul_f64 v[47:48], v[3:4], v[73:74]
	v_mul_f64 v[35:36], v[1:2], v[73:74]
	s_waitcnt vmcnt(29)
	v_fma_f64 v[39:40], v[5:6], v[27:28], -v[39:40]
	v_fma_f64 v[23:24], v[7:8], v[27:28], v[23:24]
	ds_read_b128 v[5:8], v70 offset:1968
	v_add_f64 v[15:16], v[15:16], v[43:44]
	v_add_f64 v[13:14], v[13:14], v[17:18]
	s_waitcnt vmcnt(25) lgkmcnt(1)
	v_mul_f64 v[17:18], v[9:10], v[21:22]
	v_mul_f64 v[21:22], v[11:12], v[21:22]
	s_waitcnt vmcnt(24)
	v_fma_f64 v[27:28], v[1:2], v[83:84], -v[47:48]
	;; [unrolled: 9-line block ×4, first 2 shown]
	v_add_f64 v[15:16], v[15:16], v[21:22]
	v_fma_f64 v[21:22], v[7:8], v[126:127], v[23:24]
	v_add_f64 v[13:14], v[13:14], v[17:18]
	ds_read_b128 v[5:8], v70 offset:2016
	s_waitcnt vmcnt(15) lgkmcnt(1)
	v_mul_f64 v[23:24], v[11:12], v[75:76]
	v_mul_f64 v[17:18], v[9:10], v[75:76]
	s_waitcnt vmcnt(13)
	v_fma_f64 v[27:28], v[1:2], v[31:32], -v[27:28]
	v_fma_f64 v[25:26], v[3:4], v[31:32], v[25:26]
	ds_read_b128 v[1:4], v70 offset:2032
	v_add_f64 v[15:16], v[15:16], v[33:34]
	v_add_f64 v[13:14], v[13:14], v[21:22]
	s_waitcnt vmcnt(9) lgkmcnt(1)
	v_mul_f64 v[21:22], v[5:6], v[19:20]
	v_mul_f64 v[19:20], v[7:8], v[19:20]
	s_waitcnt vmcnt(8)
	v_fma_f64 v[9:10], v[9:10], v[128:129], -v[23:24]
	v_fma_f64 v[11:12], v[11:12], v[128:129], v[17:18]
	v_add_f64 v[15:16], v[15:16], v[27:28]
	v_add_f64 v[13:14], v[13:14], v[25:26]
	s_waitcnt vmcnt(7) lgkmcnt(0)
	v_mul_f64 v[23:24], v[3:4], v[41:42]
	v_mul_f64 v[17:18], v[1:2], v[41:42]
	s_waitcnt vmcnt(5)
	v_fma_f64 v[5:6], v[5:6], v[37:38], -v[19:20]
	v_fma_f64 v[7:8], v[7:8], v[37:38], v[21:22]
	v_add_f64 v[9:10], v[15:16], v[9:10]
	v_add_f64 v[11:12], v[13:14], v[11:12]
	s_waitcnt vmcnt(4)
	v_fma_f64 v[1:2], v[1:2], v[85:86], -v[23:24]
	v_fma_f64 v[3:4], v[3:4], v[85:86], v[17:18]
	v_add_f64 v[5:6], v[9:10], v[5:6]
	v_add_f64 v[7:8], v[11:12], v[7:8]
	;; [unrolled: 1-line block ×4, first 2 shown]
	s_waitcnt vmcnt(2)
	v_add_f64 v[1:2], v[29:30], -v[1:2]
	s_waitcnt vmcnt(0)
	v_add_f64 v[3:4], v[45:46], -v[3:4]
	buffer_store_dword v2, off, s[0:3], 0 offset:84
	buffer_store_dword v1, off, s[0:3], 0 offset:80
	buffer_store_dword v4, off, s[0:3], 0 offset:92
	buffer_store_dword v3, off, s[0:3], 0 offset:88
	v_cmpx_lt_u32_e32 3, v0
	s_cbranch_execz .LBB63_403
; %bb.402:
	v_mov_b32_e32 v4, s75
	s_clause 0x3
	buffer_load_dword v1, v4, s[0:3], 0 offen
	buffer_load_dword v2, v4, s[0:3], 0 offen offset:4
	buffer_load_dword v3, v4, s[0:3], 0 offen offset:8
	;; [unrolled: 1-line block ×3, first 2 shown]
	buffer_store_dword v70, off, s[0:3], 0 offset:64
	buffer_store_dword v70, off, s[0:3], 0 offset:68
	buffer_store_dword v70, off, s[0:3], 0 offset:72
	buffer_store_dword v70, off, s[0:3], 0 offset:76
	s_waitcnt vmcnt(0)
	ds_write_b128 v69, v[1:4]
.LBB63_403:
	s_or_b32 exec_lo, exec_lo, s4
	s_waitcnt lgkmcnt(0)
	s_waitcnt_vscnt null, 0x0
	s_barrier
	buffer_gl0_inv
	s_clause 0x37
	buffer_load_dword v17, off, s[0:3], 0 offset:88
	buffer_load_dword v18, off, s[0:3], 0 offset:92
	buffer_load_dword v13, off, s[0:3], 0 offset:104
	buffer_load_dword v14, off, s[0:3], 0 offset:108
	buffer_load_dword v15, off, s[0:3], 0 offset:80
	buffer_load_dword v16, off, s[0:3], 0 offset:84
	buffer_load_dword v11, off, s[0:3], 0 offset:120
	buffer_load_dword v12, off, s[0:3], 0 offset:124
	buffer_load_dword v9, off, s[0:3], 0 offset:96
	buffer_load_dword v10, off, s[0:3], 0 offset:100
	buffer_load_dword v22, off, s[0:3], 0 offset:140
	buffer_load_dword v25, off, s[0:3], 0 offset:152
	buffer_load_dword v19, off, s[0:3], 0 offset:144
	buffer_load_dword v21, off, s[0:3], 0 offset:136
	buffer_load_dword v33, off, s[0:3], 0 offset:112
	buffer_load_dword v34, off, s[0:3], 0 offset:116
	buffer_load_dword v26, off, s[0:3], 0 offset:156
	buffer_load_dword v28, off, s[0:3], 0 offset:132
	buffer_load_dword v27, off, s[0:3], 0 offset:128
	buffer_load_dword v30, off, s[0:3], 0 offset:172
	buffer_load_dword v35, off, s[0:3], 0 offset:184
	buffer_load_dword v23, off, s[0:3], 0 offset:176
	buffer_load_dword v29, off, s[0:3], 0 offset:168
	buffer_load_dword v20, off, s[0:3], 0 offset:148
	buffer_load_dword v36, off, s[0:3], 0 offset:188
	buffer_load_dword v38, off, s[0:3], 0 offset:164
	buffer_load_dword v37, off, s[0:3], 0 offset:160
	buffer_load_dword v40, off, s[0:3], 0 offset:204
	buffer_load_dword v43, off, s[0:3], 0 offset:216
	buffer_load_dword v31, off, s[0:3], 0 offset:208
	buffer_load_dword v39, off, s[0:3], 0 offset:200
	buffer_load_dword v24, off, s[0:3], 0 offset:180
	buffer_load_dword v44, off, s[0:3], 0 offset:220
	buffer_load_dword v46, off, s[0:3], 0 offset:196
	buffer_load_dword v45, off, s[0:3], 0 offset:192
	buffer_load_dword v48, off, s[0:3], 0 offset:236
	buffer_load_dword v51, off, s[0:3], 0 offset:248
	buffer_load_dword v41, off, s[0:3], 0 offset:240
	buffer_load_dword v47, off, s[0:3], 0 offset:232
	buffer_load_dword v32, off, s[0:3], 0 offset:212
	buffer_load_dword v52, off, s[0:3], 0 offset:252
	buffer_load_dword v54, off, s[0:3], 0 offset:228
	buffer_load_dword v53, off, s[0:3], 0 offset:224
	buffer_load_dword v56, off, s[0:3], 0 offset:268
	buffer_load_dword v59, off, s[0:3], 0 offset:280
	buffer_load_dword v49, off, s[0:3], 0 offset:272
	buffer_load_dword v55, off, s[0:3], 0 offset:264
	buffer_load_dword v42, off, s[0:3], 0 offset:244
	buffer_load_dword v60, off, s[0:3], 0 offset:284
	buffer_load_dword v62, off, s[0:3], 0 offset:260
	buffer_load_dword v61, off, s[0:3], 0 offset:256
	buffer_load_dword v64, off, s[0:3], 0 offset:300
	buffer_load_dword v65, off, s[0:3], 0 offset:312
	buffer_load_dword v57, off, s[0:3], 0 offset:304
	buffer_load_dword v63, off, s[0:3], 0 offset:296
	buffer_load_dword v50, off, s[0:3], 0 offset:276
	ds_read_b128 v[5:8], v70 offset:1088
	s_clause 0x2
	buffer_load_dword v66, off, s[0:3], 0 offset:316
	buffer_load_dword v68, off, s[0:3], 0 offset:292
	;; [unrolled: 1-line block ×3, first 2 shown]
	ds_read_b128 v[1:4], v70 offset:1104
	s_clause 0x4
	buffer_load_dword v78, off, s[0:3], 0 offset:332
	buffer_load_dword v79, off, s[0:3], 0 offset:344
	buffer_load_dword v81, off, s[0:3], 0 offset:336
	buffer_load_dword v77, off, s[0:3], 0 offset:328
	buffer_load_dword v58, off, s[0:3], 0 offset:308
	ds_read_b128 v[71:74], v70 offset:1120
	s_mov_b32 s4, exec_lo
	s_waitcnt vmcnt(62) lgkmcnt(2)
	v_mul_f64 v[75:76], v[7:8], v[17:18]
	v_mul_f64 v[17:18], v[5:6], v[17:18]
	s_waitcnt vmcnt(60) lgkmcnt(1)
	v_mul_f64 v[82:83], v[3:4], v[13:14]
	v_mul_f64 v[13:14], v[1:2], v[13:14]
	s_waitcnt vmcnt(56) lgkmcnt(0)
	v_mul_f64 v[84:85], v[71:72], v[11:12]
	v_mul_f64 v[11:12], v[73:74], v[11:12]
	v_fma_f64 v[75:76], v[5:6], v[15:16], -v[75:76]
	v_fma_f64 v[15:16], v[7:8], v[15:16], v[17:18]
	s_clause 0x2
	buffer_load_dword v80, off, s[0:3], 0 offset:348
	buffer_load_dword v18, off, s[0:3], 0 offset:324
	;; [unrolled: 1-line block ×3, first 2 shown]
	s_waitcnt vmcnt(57)
	v_fma_f64 v[86:87], v[1:2], v[9:10], -v[82:83]
	ds_read_b128 v[5:8], v70 offset:1136
	v_fma_f64 v[9:10], v[3:4], v[9:10], v[13:14]
	s_waitcnt vmcnt(51)
	v_fma_f64 v[71:72], v[71:72], v[33:34], -v[11:12]
	v_fma_f64 v[33:34], v[73:74], v[33:34], v[84:85]
	v_add_f64 v[75:76], v[75:76], 0
	v_add_f64 v[13:14], v[15:16], 0
	s_clause 0x4
	buffer_load_dword v16, off, s[0:3], 0 offset:364
	buffer_load_dword v83, off, s[0:3], 0 offset:376
	;; [unrolled: 1-line block ×5, first 2 shown]
	s_waitcnt lgkmcnt(0)
	v_mul_f64 v[127:128], v[5:6], v[21:22]
	v_mul_f64 v[21:22], v[7:8], v[21:22]
	ds_read_b128 v[1:4], v70 offset:1152
	s_clause 0x2
	buffer_load_dword v84, off, s[0:3], 0 offset:380
	buffer_load_dword v74, off, s[0:3], 0 offset:356
	;; [unrolled: 1-line block ×3, first 2 shown]
	v_add_f64 v[75:76], v[75:76], v[86:87]
	v_add_f64 v[13:14], v[13:14], v[9:10]
	ds_read_b128 v[9:12], v70 offset:1168
	s_waitcnt vmcnt(58) lgkmcnt(1)
	v_mul_f64 v[85:86], v[1:2], v[25:26]
	v_mul_f64 v[25:26], v[3:4], v[25:26]
	s_waitcnt vmcnt(56)
	v_fma_f64 v[21:22], v[5:6], v[27:28], -v[21:22]
	v_fma_f64 v[27:28], v[7:8], v[27:28], v[127:128]
	s_waitcnt vmcnt(52) lgkmcnt(0)
	v_mul_f64 v[129:130], v[9:10], v[29:30]
	v_add_f64 v[71:72], v[75:76], v[71:72]
	v_add_f64 v[13:14], v[13:14], v[33:34]
	s_clause 0x4
	buffer_load_dword v34, off, s[0:3], 0 offset:396
	buffer_load_dword v75, off, s[0:3], 0 offset:408
	;; [unrolled: 1-line block ×5, first 2 shown]
	v_mul_f64 v[29:30], v[11:12], v[29:30]
	s_waitcnt vmcnt(56)
	v_fma_f64 v[25:26], v[1:2], v[19:20], -v[25:26]
	ds_read_b128 v[5:8], v70 offset:1184
	v_fma_f64 v[19:20], v[3:4], v[19:20], v[85:86]
	v_add_f64 v[21:22], v[71:72], v[21:22]
	v_add_f64 v[13:14], v[13:14], v[27:28]
	s_clause 0x2
	buffer_load_dword v76, off, s[0:3], 0 offset:412
	buffer_load_dword v28, off, s[0:3], 0 offset:388
	;; [unrolled: 1-line block ×3, first 2 shown]
	s_waitcnt vmcnt(58) lgkmcnt(0)
	v_mul_f64 v[71:72], v[5:6], v[35:36]
	v_mul_f64 v[35:36], v[7:8], v[35:36]
	s_waitcnt vmcnt(56)
	v_fma_f64 v[29:30], v[9:10], v[37:38], -v[29:30]
	ds_read_b128 v[1:4], v70 offset:1200
	v_add_f64 v[21:22], v[21:22], v[25:26]
	v_fma_f64 v[25:26], v[11:12], v[37:38], v[129:130]
	v_add_f64 v[13:14], v[13:14], v[19:20]
	s_clause 0x4
	buffer_load_dword v20, off, s[0:3], 0 offset:428
	buffer_load_dword v37, off, s[0:3], 0 offset:440
	;; [unrolled: 1-line block ×5, first 2 shown]
	s_waitcnt vmcnt(57) lgkmcnt(0)
	v_mul_f64 v[86:87], v[1:2], v[39:40]
	v_mul_f64 v[39:40], v[3:4], v[39:40]
	s_waitcnt vmcnt(56)
	v_fma_f64 v[35:36], v[5:6], v[23:24], -v[35:36]
	ds_read_b128 v[9:12], v70 offset:1216
	v_fma_f64 v[23:24], v[7:8], v[23:24], v[71:72]
	v_add_f64 v[21:22], v[21:22], v[29:30]
	v_add_f64 v[13:14], v[13:14], v[25:26]
	s_clause 0x2
	buffer_load_dword v38, off, s[0:3], 0 offset:444
	buffer_load_dword v26, off, s[0:3], 0 offset:420
	;; [unrolled: 1-line block ×3, first 2 shown]
	ds_read_b128 v[5:8], v70 offset:1232
	s_waitcnt vmcnt(58) lgkmcnt(1)
	v_mul_f64 v[29:30], v[9:10], v[43:44]
	v_mul_f64 v[43:44], v[11:12], v[43:44]
	s_waitcnt vmcnt(56)
	v_fma_f64 v[39:40], v[1:2], v[45:46], -v[39:40]
	v_add_f64 v[21:22], v[21:22], v[35:36]
	v_fma_f64 v[35:36], v[3:4], v[45:46], v[86:87]
	v_add_f64 v[13:14], v[13:14], v[23:24]
	s_clause 0x4
	buffer_load_dword v24, off, s[0:3], 0 offset:460
	buffer_load_dword v45, off, s[0:3], 0 offset:472
	;; [unrolled: 1-line block ×5, first 2 shown]
	s_waitcnt vmcnt(57) lgkmcnt(0)
	v_mul_f64 v[130:131], v[5:6], v[47:48]
	v_mul_f64 v[47:48], v[7:8], v[47:48]
	s_waitcnt vmcnt(56)
	v_fma_f64 v[43:44], v[9:10], v[31:32], -v[43:44]
	ds_read_b128 v[1:4], v70 offset:1248
	v_fma_f64 v[29:30], v[11:12], v[31:32], v[29:30]
	s_clause 0x2
	buffer_load_dword v46, off, s[0:3], 0 offset:476
	buffer_load_dword v32, off, s[0:3], 0 offset:452
	;; [unrolled: 1-line block ×3, first 2 shown]
	ds_read_b128 v[9:12], v70 offset:1264
	v_add_f64 v[21:22], v[21:22], v[39:40]
	v_add_f64 v[13:14], v[13:14], v[35:36]
	s_waitcnt vmcnt(58) lgkmcnt(1)
	v_mul_f64 v[39:40], v[3:4], v[51:52]
	s_waitcnt vmcnt(56)
	v_fma_f64 v[47:48], v[5:6], v[53:54], -v[47:48]
	v_mul_f64 v[35:36], v[1:2], v[51:52]
	v_add_f64 v[21:22], v[21:22], v[43:44]
	v_fma_f64 v[43:44], v[7:8], v[53:54], v[130:131]
	v_add_f64 v[13:14], v[13:14], v[29:30]
	s_clause 0x4
	buffer_load_dword v30, off, s[0:3], 0 offset:492
	buffer_load_dword v51, off, s[0:3], 0 offset:504
	;; [unrolled: 1-line block ×5, first 2 shown]
	s_waitcnt vmcnt(57) lgkmcnt(0)
	v_mul_f64 v[130:131], v[9:10], v[55:56]
	v_mul_f64 v[54:55], v[11:12], v[55:56]
	s_waitcnt vmcnt(56)
	v_fma_f64 v[39:40], v[1:2], v[41:42], -v[39:40]
	ds_read_b128 v[5:8], v70 offset:1280
	v_fma_f64 v[35:36], v[3:4], v[41:42], v[35:36]
	s_clause 0x2
	buffer_load_dword v52, off, s[0:3], 0 offset:508
	buffer_load_dword v42, off, s[0:3], 0 offset:484
	;; [unrolled: 1-line block ×3, first 2 shown]
	ds_read_b128 v[1:4], v70 offset:1296
	v_add_f64 v[21:22], v[21:22], v[47:48]
	v_add_f64 v[13:14], v[13:14], v[43:44]
	s_waitcnt vmcnt(58) lgkmcnt(1)
	v_mul_f64 v[47:48], v[7:8], v[59:60]
	s_waitcnt vmcnt(56)
	v_fma_f64 v[55:56], v[9:10], v[61:62], -v[54:55]
	v_mul_f64 v[43:44], v[5:6], v[59:60]
	v_add_f64 v[21:22], v[21:22], v[39:40]
	v_fma_f64 v[39:40], v[11:12], v[61:62], v[130:131]
	v_add_f64 v[13:14], v[13:14], v[35:36]
	s_clause 0x4
	buffer_load_dword v36, off, s[0:3], 0 offset:524
	buffer_load_dword v59, off, s[0:3], 0 offset:536
	;; [unrolled: 1-line block ×5, first 2 shown]
	s_waitcnt vmcnt(57) lgkmcnt(0)
	v_mul_f64 v[130:131], v[1:2], v[63:64]
	v_mul_f64 v[62:63], v[3:4], v[63:64]
	s_waitcnt vmcnt(56)
	v_fma_f64 v[47:48], v[5:6], v[49:50], -v[47:48]
	ds_read_b128 v[9:12], v70 offset:1312
	v_fma_f64 v[43:44], v[7:8], v[49:50], v[43:44]
	v_add_f64 v[21:22], v[21:22], v[55:56]
	v_add_f64 v[13:14], v[13:14], v[39:40]
	s_clause 0x2
	buffer_load_dword v60, off, s[0:3], 0 offset:540
	buffer_load_dword v40, off, s[0:3], 0 offset:516
	;; [unrolled: 1-line block ×3, first 2 shown]
	ds_read_b128 v[5:8], v70 offset:1328
	s_waitcnt vmcnt(58) lgkmcnt(1)
	v_mul_f64 v[55:56], v[11:12], v[65:66]
	s_waitcnt vmcnt(56)
	v_fma_f64 v[63:64], v[1:2], v[67:68], -v[62:63]
	v_mul_f64 v[49:50], v[9:10], v[65:66]
	v_add_f64 v[21:22], v[21:22], v[47:48]
	v_fma_f64 v[47:48], v[3:4], v[67:68], v[130:131]
	v_add_f64 v[13:14], v[13:14], v[43:44]
	s_clause 0x4
	buffer_load_dword v44, off, s[0:3], 0 offset:556
	buffer_load_dword v65, off, s[0:3], 0 offset:568
	;; [unrolled: 1-line block ×5, first 2 shown]
	s_waitcnt vmcnt(57) lgkmcnt(0)
	v_mul_f64 v[130:131], v[5:6], v[77:78]
	v_mul_f64 v[77:78], v[7:8], v[77:78]
	s_waitcnt vmcnt(56)
	v_fma_f64 v[55:56], v[9:10], v[57:58], -v[55:56]
	ds_read_b128 v[1:4], v70 offset:1344
	v_fma_f64 v[49:50], v[11:12], v[57:58], v[49:50]
	v_add_f64 v[21:22], v[21:22], v[63:64]
	v_add_f64 v[13:14], v[13:14], v[47:48]
	s_clause 0x2
	buffer_load_dword v66, off, s[0:3], 0 offset:572
	buffer_load_dword v48, off, s[0:3], 0 offset:548
	;; [unrolled: 1-line block ×3, first 2 shown]
	ds_read_b128 v[9:12], v70 offset:1360
	s_waitcnt vmcnt(58) lgkmcnt(1)
	v_mul_f64 v[63:64], v[3:4], v[79:80]
	v_mul_f64 v[57:58], v[1:2], v[79:80]
	s_waitcnt vmcnt(56)
	v_fma_f64 v[77:78], v[5:6], v[17:18], -v[77:78]
	v_fma_f64 v[17:18], v[7:8], v[17:18], v[130:131]
	v_add_f64 v[21:22], v[21:22], v[55:56]
	v_add_f64 v[13:14], v[13:14], v[49:50]
	s_clause 0x4
	buffer_load_dword v50, off, s[0:3], 0 offset:588
	buffer_load_dword v55, off, s[0:3], 0 offset:600
	;; [unrolled: 1-line block ×5, first 2 shown]
	ds_read_b128 v[5:8], v70 offset:1376
	s_waitcnt vmcnt(57) lgkmcnt(1)
	v_mul_f64 v[130:131], v[9:10], v[15:16]
	v_mul_f64 v[15:16], v[11:12], v[15:16]
	s_waitcnt vmcnt(56)
	v_fma_f64 v[63:64], v[1:2], v[81:82], -v[63:64]
	v_fma_f64 v[57:58], v[3:4], v[81:82], v[57:58]
	v_add_f64 v[21:22], v[21:22], v[77:78]
	v_add_f64 v[13:14], v[13:14], v[17:18]
	s_clause 0x2
	buffer_load_dword v56, off, s[0:3], 0 offset:604
	buffer_load_dword v18, off, s[0:3], 0 offset:580
	;; [unrolled: 1-line block ×3, first 2 shown]
	s_waitcnt vmcnt(58) lgkmcnt(0)
	v_mul_f64 v[81:82], v[7:8], v[83:84]
	ds_read_b128 v[1:4], v70 offset:1392
	v_mul_f64 v[77:78], v[5:6], v[83:84]
	s_waitcnt vmcnt(56)
	v_fma_f64 v[15:16], v[9:10], v[73:74], -v[15:16]
	v_add_f64 v[21:22], v[21:22], v[63:64]
	v_fma_f64 v[63:64], v[11:12], v[73:74], v[130:131]
	v_add_f64 v[13:14], v[13:14], v[57:58]
	s_clause 0x4
	buffer_load_dword v58, off, s[0:3], 0 offset:620
	buffer_load_dword v73, off, s[0:3], 0 offset:632
	;; [unrolled: 1-line block ×5, first 2 shown]
	ds_read_b128 v[9:12], v70 offset:1408
	s_waitcnt vmcnt(57) lgkmcnt(1)
	v_mul_f64 v[130:131], v[1:2], v[33:34]
	v_mul_f64 v[33:34], v[3:4], v[33:34]
	s_waitcnt vmcnt(56)
	v_fma_f64 v[81:82], v[5:6], v[126:127], -v[81:82]
	v_add_f64 v[15:16], v[21:22], v[15:16]
	v_fma_f64 v[21:22], v[7:8], v[126:127], v[77:78]
	v_add_f64 v[13:14], v[13:14], v[63:64]
	s_clause 0x2
	buffer_load_dword v74, off, s[0:3], 0 offset:636
	buffer_load_dword v64, off, s[0:3], 0 offset:612
	;; [unrolled: 1-line block ×3, first 2 shown]
	ds_read_b128 v[5:8], v70 offset:1424
	s_waitcnt vmcnt(58) lgkmcnt(1)
	v_mul_f64 v[77:78], v[9:10], v[75:76]
	v_mul_f64 v[75:76], v[11:12], v[75:76]
	s_waitcnt vmcnt(56)
	v_fma_f64 v[33:34], v[1:2], v[27:28], -v[33:34]
	v_fma_f64 v[27:28], v[3:4], v[27:28], v[130:131]
	v_add_f64 v[15:16], v[15:16], v[81:82]
	v_add_f64 v[13:14], v[13:14], v[21:22]
	s_clause 0x4
	buffer_load_dword v22, off, s[0:3], 0 offset:652
	buffer_load_dword v81, off, s[0:3], 0 offset:664
	buffer_load_dword v126, off, s[0:3], 0 offset:656
	buffer_load_dword v21, off, s[0:3], 0 offset:648
	buffer_load_dword v84, off, s[0:3], 0 offset:628
	ds_read_b128 v[1:4], v70 offset:1440
	s_waitcnt vmcnt(57) lgkmcnt(1)
	v_mul_f64 v[130:131], v[5:6], v[19:20]
	v_mul_f64 v[19:20], v[7:8], v[19:20]
	s_waitcnt vmcnt(56)
	v_fma_f64 v[75:76], v[9:10], v[128:129], -v[75:76]
	v_add_f64 v[15:16], v[15:16], v[33:34]
	v_fma_f64 v[33:34], v[11:12], v[128:129], v[77:78]
	v_add_f64 v[13:14], v[13:14], v[27:28]
	s_clause 0x2
	buffer_load_dword v82, off, s[0:3], 0 offset:668
	buffer_load_dword v28, off, s[0:3], 0 offset:644
	;; [unrolled: 1-line block ×3, first 2 shown]
	ds_read_b128 v[9:12], v70 offset:1456
	s_waitcnt vmcnt(58) lgkmcnt(1)
	v_mul_f64 v[77:78], v[1:2], v[37:38]
	v_mul_f64 v[37:38], v[3:4], v[37:38]
	s_waitcnt vmcnt(56)
	v_fma_f64 v[19:20], v[5:6], v[25:26], -v[19:20]
	v_fma_f64 v[25:26], v[7:8], v[25:26], v[130:131]
	v_add_f64 v[15:16], v[15:16], v[75:76]
	v_add_f64 v[13:14], v[13:14], v[33:34]
	s_clause 0x4
	buffer_load_dword v34, off, s[0:3], 0 offset:684
	buffer_load_dword v75, off, s[0:3], 0 offset:696
	;; [unrolled: 1-line block ×5, first 2 shown]
	ds_read_b128 v[5:8], v70 offset:1472
	s_waitcnt vmcnt(57) lgkmcnt(1)
	v_mul_f64 v[129:130], v[9:10], v[23:24]
	v_mul_f64 v[23:24], v[11:12], v[23:24]
	s_waitcnt vmcnt(56)
	v_fma_f64 v[37:38], v[1:2], v[85:86], -v[37:38]
	v_add_f64 v[15:16], v[15:16], v[19:20]
	v_fma_f64 v[19:20], v[3:4], v[85:86], v[77:78]
	v_add_f64 v[13:14], v[13:14], v[25:26]
	s_clause 0x2
	buffer_load_dword v76, off, s[0:3], 0 offset:700
	buffer_load_dword v26, off, s[0:3], 0 offset:676
	;; [unrolled: 1-line block ×3, first 2 shown]
	s_waitcnt vmcnt(58) lgkmcnt(0)
	v_mul_f64 v[77:78], v[5:6], v[45:46]
	v_mul_f64 v[45:46], v[7:8], v[45:46]
	ds_read_b128 v[1:4], v70 offset:1488
	s_waitcnt vmcnt(56)
	v_fma_f64 v[23:24], v[9:10], v[31:32], -v[23:24]
	v_fma_f64 v[31:32], v[11:12], v[31:32], v[129:130]
	v_add_f64 v[15:16], v[15:16], v[37:38]
	v_add_f64 v[13:14], v[13:14], v[19:20]
	s_clause 0x4
	buffer_load_dword v20, off, s[0:3], 0 offset:716
	buffer_load_dword v37, off, s[0:3], 0 offset:728
	;; [unrolled: 1-line block ×5, first 2 shown]
	ds_read_b128 v[9:12], v70 offset:1504
	s_waitcnt vmcnt(57) lgkmcnt(1)
	v_mul_f64 v[86:87], v[1:2], v[29:30]
	v_mul_f64 v[29:30], v[3:4], v[29:30]
	s_waitcnt vmcnt(56)
	v_fma_f64 v[45:46], v[5:6], v[71:72], -v[45:46]
	v_add_f64 v[15:16], v[15:16], v[23:24]
	v_fma_f64 v[23:24], v[7:8], v[71:72], v[77:78]
	v_add_f64 v[13:14], v[13:14], v[31:32]
	s_clause 0x2
	buffer_load_dword v38, off, s[0:3], 0 offset:732
	buffer_load_dword v32, off, s[0:3], 0 offset:708
	;; [unrolled: 1-line block ×3, first 2 shown]
	s_waitcnt vmcnt(58) lgkmcnt(0)
	v_mul_f64 v[71:72], v[9:10], v[51:52]
	v_mul_f64 v[51:52], v[11:12], v[51:52]
	ds_read_b128 v[5:8], v70 offset:1520
	s_waitcnt vmcnt(56)
	v_fma_f64 v[29:30], v[1:2], v[41:42], -v[29:30]
	v_fma_f64 v[41:42], v[3:4], v[41:42], v[86:87]
	v_add_f64 v[15:16], v[15:16], v[45:46]
	v_add_f64 v[13:14], v[13:14], v[23:24]
	s_clause 0x4
	buffer_load_dword v24, off, s[0:3], 0 offset:748
	buffer_load_dword v45, off, s[0:3], 0 offset:760
	buffer_load_dword v77, off, s[0:3], 0 offset:752
	buffer_load_dword v23, off, s[0:3], 0 offset:744
	buffer_load_dword v86, off, s[0:3], 0 offset:724
	ds_read_b128 v[1:4], v70 offset:1536
	s_waitcnt vmcnt(57) lgkmcnt(1)
	v_mul_f64 v[130:131], v[5:6], v[35:36]
	v_mul_f64 v[35:36], v[7:8], v[35:36]
	s_waitcnt vmcnt(56)
	v_fma_f64 v[51:52], v[9:10], v[53:54], -v[51:52]
	v_add_f64 v[15:16], v[15:16], v[29:30]
	v_fma_f64 v[29:30], v[11:12], v[53:54], v[71:72]
	v_add_f64 v[13:14], v[13:14], v[41:42]
	s_clause 0x2
	buffer_load_dword v46, off, s[0:3], 0 offset:764
	buffer_load_dword v42, off, s[0:3], 0 offset:740
	buffer_load_dword v41, off, s[0:3], 0 offset:736
	ds_read_b128 v[9:12], v70 offset:1552
	s_waitcnt vmcnt(58) lgkmcnt(1)
	v_mul_f64 v[53:54], v[1:2], v[59:60]
	v_mul_f64 v[59:60], v[3:4], v[59:60]
	s_waitcnt vmcnt(56)
	v_fma_f64 v[35:36], v[5:6], v[39:40], -v[35:36]
	v_fma_f64 v[39:40], v[7:8], v[39:40], v[130:131]
	v_add_f64 v[15:16], v[15:16], v[51:52]
	v_add_f64 v[13:14], v[13:14], v[29:30]
	s_clause 0x4
	buffer_load_dword v30, off, s[0:3], 0 offset:780
	buffer_load_dword v51, off, s[0:3], 0 offset:792
	buffer_load_dword v71, off, s[0:3], 0 offset:784
	buffer_load_dword v29, off, s[0:3], 0 offset:776
	buffer_load_dword v78, off, s[0:3], 0 offset:756
	ds_read_b128 v[5:8], v70 offset:1568
	s_waitcnt vmcnt(57) lgkmcnt(1)
	v_mul_f64 v[130:131], v[9:10], v[43:44]
	v_mul_f64 v[43:44], v[11:12], v[43:44]
	s_waitcnt vmcnt(56)
	v_fma_f64 v[59:60], v[1:2], v[61:62], -v[59:60]
	v_add_f64 v[15:16], v[15:16], v[35:36]
	v_fma_f64 v[35:36], v[3:4], v[61:62], v[53:54]
	v_add_f64 v[13:14], v[13:14], v[39:40]
	s_clause 0x2
	buffer_load_dword v52, off, s[0:3], 0 offset:796
	buffer_load_dword v40, off, s[0:3], 0 offset:772
	buffer_load_dword v39, off, s[0:3], 0 offset:768
	ds_read_b128 v[1:4], v70 offset:1584
	s_waitcnt vmcnt(58) lgkmcnt(1)
	v_mul_f64 v[61:62], v[7:8], v[65:66]
	v_mul_f64 v[53:54], v[5:6], v[65:66]
	;; [unrolled: 28-line block ×4, first 2 shown]
	s_waitcnt vmcnt(56)
	v_fma_f64 v[57:58], v[5:6], v[63:64], -v[57:58]
	v_add_f64 v[15:16], v[15:16], v[55:56]
	v_fma_f64 v[55:56], v[7:8], v[63:64], v[130:131]
	v_add_f64 v[13:14], v[13:14], v[49:50]
	s_clause 0x4
	buffer_load_dword v50, off, s[0:3], 0 offset:876
	buffer_load_dword v63, off, s[0:3], 0 offset:888
	;; [unrolled: 1-line block ×5, first 2 shown]
	ds_read_b128 v[5:8], v70 offset:1664
	s_waitcnt vmcnt(57) lgkmcnt(1)
	v_mul_f64 v[130:131], v[9:10], v[21:22]
	v_mul_f64 v[21:22], v[11:12], v[21:22]
	s_waitcnt vmcnt(56)
	v_fma_f64 v[73:74], v[1:2], v[83:84], -v[73:74]
	v_fma_f64 v[53:54], v[3:4], v[83:84], v[53:54]
	v_add_f64 v[15:16], v[15:16], v[57:58]
	v_add_f64 v[13:14], v[13:14], v[55:56]
	s_clause 0x2
	buffer_load_dword v64, off, s[0:3], 0 offset:892
	buffer_load_dword v56, off, s[0:3], 0 offset:868
	buffer_load_dword v55, off, s[0:3], 0 offset:864
	ds_read_b128 v[1:4], v70 offset:1680
	s_waitcnt vmcnt(58) lgkmcnt(1)
	v_mul_f64 v[57:58], v[5:6], v[81:82]
	v_mul_f64 v[81:82], v[7:8], v[81:82]
	s_waitcnt vmcnt(56)
	v_fma_f64 v[21:22], v[9:10], v[27:28], -v[21:22]
	v_fma_f64 v[27:28], v[11:12], v[27:28], v[130:131]
	v_add_f64 v[15:16], v[15:16], v[73:74]
	v_add_f64 v[13:14], v[13:14], v[53:54]
	s_clause 0x4
	buffer_load_dword v54, off, s[0:3], 0 offset:908
	buffer_load_dword v73, off, s[0:3], 0 offset:920
	buffer_load_dword v83, off, s[0:3], 0 offset:912
	buffer_load_dword v53, off, s[0:3], 0 offset:904
	buffer_load_dword v80, off, s[0:3], 0 offset:884
	ds_read_b128 v[9:12], v70 offset:1696
	s_waitcnt vmcnt(57) lgkmcnt(1)
	v_mul_f64 v[130:131], v[1:2], v[33:34]
	v_mul_f64 v[33:34], v[3:4], v[33:34]
	s_waitcnt vmcnt(56)
	v_fma_f64 v[81:82], v[5:6], v[126:127], -v[81:82]
	v_add_f64 v[15:16], v[15:16], v[21:22]
	v_fma_f64 v[21:22], v[7:8], v[126:127], v[57:58]
	v_add_f64 v[13:14], v[13:14], v[27:28]
	s_clause 0x2
	buffer_load_dword v74, off, s[0:3], 0 offset:924
	buffer_load_dword v28, off, s[0:3], 0 offset:900
	buffer_load_dword v27, off, s[0:3], 0 offset:896
	ds_read_b128 v[5:8], v70 offset:1712
	s_waitcnt vmcnt(58) lgkmcnt(1)
	v_mul_f64 v[57:58], v[9:10], v[75:76]
	v_mul_f64 v[75:76], v[11:12], v[75:76]
	s_waitcnt vmcnt(56)
	v_fma_f64 v[33:34], v[1:2], v[25:26], -v[33:34]
	v_fma_f64 v[25:26], v[3:4], v[25:26], v[130:131]
	v_add_f64 v[15:16], v[15:16], v[81:82]
	v_add_f64 v[13:14], v[13:14], v[21:22]
	s_clause 0x4
	buffer_load_dword v22, off, s[0:3], 0 offset:940
	buffer_load_dword v81, off, s[0:3], 0 offset:952
	buffer_load_dword v126, off, s[0:3], 0 offset:944
	buffer_load_dword v21, off, s[0:3], 0 offset:936
	buffer_load_dword v84, off, s[0:3], 0 offset:916
	ds_read_b128 v[1:4], v70 offset:1728
	s_waitcnt vmcnt(57) lgkmcnt(1)
	v_mul_f64 v[130:131], v[5:6], v[19:20]
	v_mul_f64 v[19:20], v[7:8], v[19:20]
	s_waitcnt vmcnt(56)
	v_fma_f64 v[75:76], v[9:10], v[128:129], -v[75:76]
	v_add_f64 v[15:16], v[15:16], v[33:34]
	v_fma_f64 v[33:34], v[11:12], v[128:129], v[57:58]
	;; [unrolled: 28-line block ×3, first 2 shown]
	v_add_f64 v[13:14], v[13:14], v[31:32]
	s_clause 0x2
	buffer_load_dword v76, off, s[0:3], 0 offset:988
	buffer_load_dword v32, off, s[0:3], 0 offset:964
	;; [unrolled: 1-line block ×3, first 2 shown]
	ds_read_b128 v[1:4], v70 offset:1776
	s_waitcnt vmcnt(58) lgkmcnt(1)
	v_mul_f64 v[57:58], v[5:6], v[45:46]
	v_mul_f64 v[45:46], v[7:8], v[45:46]
	s_waitcnt vmcnt(56)
	v_fma_f64 v[23:24], v[9:10], v[41:42], -v[23:24]
	v_add_f64 v[15:16], v[15:16], v[37:38]
	v_fma_f64 v[37:38], v[11:12], v[41:42], v[129:130]
	v_add_f64 v[13:14], v[13:14], v[19:20]
	s_clause 0x4
	buffer_load_dword v20, off, s[0:3], 0 offset:1004
	buffer_load_dword v41, off, s[0:3], 0 offset:1016
	;; [unrolled: 1-line block ×5, first 2 shown]
	ds_read_b128 v[9:12], v70 offset:1792
	s_waitcnt vmcnt(57) lgkmcnt(1)
	v_mul_f64 v[86:87], v[1:2], v[29:30]
	v_mul_f64 v[29:30], v[3:4], v[29:30]
	s_waitcnt vmcnt(56)
	v_fma_f64 v[45:46], v[5:6], v[77:78], -v[45:46]
	v_add_f64 v[15:16], v[15:16], v[23:24]
	v_fma_f64 v[23:24], v[7:8], v[77:78], v[57:58]
	v_add_f64 v[13:14], v[13:14], v[37:38]
	s_clause 0x2
	buffer_load_dword v42, off, s[0:3], 0 offset:1020
	buffer_load_dword v38, off, s[0:3], 0 offset:996
	;; [unrolled: 1-line block ×3, first 2 shown]
	ds_read_b128 v[5:8], v70 offset:1808
	s_waitcnt vmcnt(58) lgkmcnt(1)
	v_mul_f64 v[57:58], v[9:10], v[51:52]
	v_mul_f64 v[51:52], v[11:12], v[51:52]
	s_waitcnt vmcnt(56)
	v_fma_f64 v[29:30], v[1:2], v[39:40], -v[29:30]
	v_fma_f64 v[39:40], v[3:4], v[39:40], v[86:87]
	v_add_f64 v[15:16], v[15:16], v[45:46]
	v_add_f64 v[13:14], v[13:14], v[23:24]
	s_clause 0x2
	buffer_load_dword v24, off, s[0:3], 0 offset:1036
	buffer_load_dword v23, off, s[0:3], 0 offset:1032
	;; [unrolled: 1-line block ×3, first 2 shown]
	ds_read_b128 v[1:4], v70 offset:1824
	s_waitcnt vmcnt(55) lgkmcnt(1)
	v_mul_f64 v[45:46], v[5:6], v[35:36]
	v_mul_f64 v[35:36], v[7:8], v[35:36]
	s_waitcnt vmcnt(54)
	v_fma_f64 v[51:52], v[9:10], v[71:72], -v[51:52]
	v_add_f64 v[15:16], v[15:16], v[29:30]
	v_fma_f64 v[29:30], v[11:12], v[71:72], v[57:58]
	v_add_f64 v[13:14], v[13:14], v[39:40]
	s_clause 0x1
	buffer_load_dword v40, off, s[0:3], 0 offset:1028
	buffer_load_dword v39, off, s[0:3], 0 offset:1024
	ds_read_b128 v[9:12], v70 offset:1840
	s_waitcnt vmcnt(55) lgkmcnt(1)
	v_mul_f64 v[57:58], v[1:2], v[59:60]
	v_mul_f64 v[59:60], v[3:4], v[59:60]
	s_waitcnt vmcnt(53)
	v_fma_f64 v[35:36], v[5:6], v[47:48], -v[35:36]
	v_fma_f64 v[45:46], v[7:8], v[47:48], v[45:46]
	ds_read_b128 v[5:8], v70 offset:1856
	v_add_f64 v[15:16], v[15:16], v[51:52]
	v_add_f64 v[13:14], v[13:14], v[29:30]
	s_waitcnt vmcnt(49) lgkmcnt(1)
	v_mul_f64 v[29:30], v[9:10], v[43:44]
	v_mul_f64 v[43:44], v[11:12], v[43:44]
	s_waitcnt vmcnt(48)
	v_fma_f64 v[47:48], v[1:2], v[65:66], -v[59:60]
	v_add_f64 v[15:16], v[15:16], v[35:36]
	v_fma_f64 v[35:36], v[3:4], v[65:66], v[57:58]
	v_add_f64 v[13:14], v[13:14], v[45:46]
	s_clause 0x3
	buffer_load_dword v45, off, s[0:3], 0 offset:64
	buffer_load_dword v46, off, s[0:3], 0 offset:68
	;; [unrolled: 1-line block ×4, first 2 shown]
	ds_read_b128 v[1:4], v70 offset:1872
	s_waitcnt vmcnt(51) lgkmcnt(1)
	v_mul_f64 v[59:60], v[7:8], v[61:62]
	v_mul_f64 v[57:58], v[5:6], v[61:62]
	s_waitcnt vmcnt(49)
	v_fma_f64 v[43:44], v[9:10], v[17:18], -v[43:44]
	v_fma_f64 v[17:18], v[11:12], v[17:18], v[29:30]
	ds_read_b128 v[9:12], v70 offset:1888
	v_add_f64 v[15:16], v[15:16], v[47:48]
	v_add_f64 v[13:14], v[13:14], v[35:36]
	s_waitcnt vmcnt(45) lgkmcnt(1)
	v_mul_f64 v[35:36], v[3:4], v[49:50]
	s_waitcnt vmcnt(44)
	v_fma_f64 v[47:48], v[5:6], v[67:68], -v[59:60]
	v_mul_f64 v[29:30], v[1:2], v[49:50]
	v_add_f64 v[15:16], v[15:16], v[43:44]
	v_fma_f64 v[43:44], v[7:8], v[67:68], v[57:58]
	v_add_f64 v[13:14], v[13:14], v[17:18]
	ds_read_b128 v[5:8], v70 offset:1904
	s_waitcnt vmcnt(43) lgkmcnt(1)
	v_mul_f64 v[49:50], v[11:12], v[63:64]
	v_mul_f64 v[17:18], v[9:10], v[63:64]
	s_waitcnt vmcnt(41)
	v_fma_f64 v[35:36], v[1:2], v[55:56], -v[35:36]
	v_fma_f64 v[29:30], v[3:4], v[55:56], v[29:30]
	ds_read_b128 v[1:4], v70 offset:1920
	v_add_f64 v[15:16], v[15:16], v[47:48]
	v_add_f64 v[13:14], v[13:14], v[43:44]
	s_waitcnt vmcnt(37) lgkmcnt(1)
	v_mul_f64 v[47:48], v[7:8], v[53:54]
	s_waitcnt vmcnt(36)
	v_fma_f64 v[49:50], v[9:10], v[79:80], -v[49:50]
	v_mul_f64 v[43:44], v[5:6], v[53:54]
	v_fma_f64 v[17:18], v[11:12], v[79:80], v[17:18]
	ds_read_b128 v[9:12], v70 offset:1936
	v_add_f64 v[15:16], v[15:16], v[35:36]
	v_add_f64 v[13:14], v[13:14], v[29:30]
	s_waitcnt vmcnt(35) lgkmcnt(1)
	v_mul_f64 v[35:36], v[3:4], v[73:74]
	v_mul_f64 v[29:30], v[1:2], v[73:74]
	s_waitcnt vmcnt(33)
	v_fma_f64 v[47:48], v[5:6], v[27:28], -v[47:48]
	v_fma_f64 v[27:28], v[7:8], v[27:28], v[43:44]
	ds_read_b128 v[5:8], v70 offset:1952
	v_add_f64 v[15:16], v[15:16], v[49:50]
	v_add_f64 v[13:14], v[13:14], v[17:18]
	s_waitcnt vmcnt(29) lgkmcnt(1)
	v_mul_f64 v[17:18], v[9:10], v[21:22]
	v_mul_f64 v[21:22], v[11:12], v[21:22]
	s_waitcnt vmcnt(28)
	v_fma_f64 v[35:36], v[1:2], v[83:84], -v[35:36]
	;; [unrolled: 9-line block ×4, first 2 shown]
	v_add_f64 v[15:16], v[15:16], v[21:22]
	v_fma_f64 v[21:22], v[7:8], v[126:127], v[27:28]
	v_add_f64 v[13:14], v[13:14], v[17:18]
	ds_read_b128 v[5:8], v70 offset:2000
	s_waitcnt vmcnt(19) lgkmcnt(1)
	v_mul_f64 v[27:28], v[11:12], v[75:76]
	v_mul_f64 v[17:18], v[9:10], v[75:76]
	s_waitcnt vmcnt(17)
	v_fma_f64 v[29:30], v[1:2], v[31:32], -v[29:30]
	v_fma_f64 v[25:26], v[3:4], v[31:32], v[25:26]
	ds_read_b128 v[1:4], v70 offset:2016
	v_add_f64 v[15:16], v[15:16], v[33:34]
	v_add_f64 v[13:14], v[13:14], v[21:22]
	s_waitcnt vmcnt(13) lgkmcnt(1)
	v_mul_f64 v[21:22], v[5:6], v[19:20]
	v_mul_f64 v[19:20], v[7:8], v[19:20]
	s_waitcnt vmcnt(12)
	v_fma_f64 v[27:28], v[9:10], v[128:129], -v[27:28]
	v_fma_f64 v[17:18], v[11:12], v[128:129], v[17:18]
	ds_read_b128 v[9:12], v70 offset:2032
	v_add_f64 v[15:16], v[15:16], v[29:30]
	v_add_f64 v[13:14], v[13:14], v[25:26]
	s_waitcnt vmcnt(11) lgkmcnt(1)
	v_mul_f64 v[29:30], v[3:4], v[41:42]
	v_mul_f64 v[25:26], v[1:2], v[41:42]
	s_waitcnt vmcnt(9)
	v_fma_f64 v[5:6], v[5:6], v[37:38], -v[19:20]
	v_fma_f64 v[7:8], v[7:8], v[37:38], v[21:22]
	v_add_f64 v[15:16], v[15:16], v[27:28]
	v_add_f64 v[13:14], v[13:14], v[17:18]
	s_waitcnt vmcnt(7) lgkmcnt(0)
	v_mul_f64 v[19:20], v[11:12], v[23:24]
	s_waitcnt vmcnt(6)
	v_fma_f64 v[1:2], v[1:2], v[85:86], -v[29:30]
	v_mul_f64 v[17:18], v[9:10], v[23:24]
	v_fma_f64 v[3:4], v[3:4], v[85:86], v[25:26]
	v_add_f64 v[5:6], v[15:16], v[5:6]
	v_add_f64 v[7:8], v[13:14], v[7:8]
	s_waitcnt vmcnt(4)
	v_fma_f64 v[9:10], v[9:10], v[39:40], -v[19:20]
	v_add_f64 v[1:2], v[5:6], v[1:2]
	v_fma_f64 v[5:6], v[11:12], v[39:40], v[17:18]
	v_add_f64 v[3:4], v[7:8], v[3:4]
	v_add_f64 v[1:2], v[1:2], v[9:10]
	;; [unrolled: 1-line block ×3, first 2 shown]
	s_waitcnt vmcnt(2)
	v_add_f64 v[1:2], v[45:46], -v[1:2]
	s_waitcnt vmcnt(0)
	v_add_f64 v[3:4], v[51:52], -v[3:4]
	buffer_store_dword v2, off, s[0:3], 0 offset:68
	buffer_store_dword v1, off, s[0:3], 0 offset:64
	;; [unrolled: 1-line block ×4, first 2 shown]
	v_cmpx_lt_u32_e32 2, v0
	s_cbranch_execz .LBB63_405
; %bb.404:
	v_mov_b32_e32 v4, s76
	v_mov_b32_e32 v5, 0
	s_clause 0x3
	buffer_load_dword v1, v4, s[0:3], 0 offen
	buffer_load_dword v2, v4, s[0:3], 0 offen offset:4
	buffer_load_dword v3, v4, s[0:3], 0 offen offset:8
	;; [unrolled: 1-line block ×3, first 2 shown]
	buffer_store_dword v5, off, s[0:3], 0 offset:48
	buffer_store_dword v5, off, s[0:3], 0 offset:52
	;; [unrolled: 1-line block ×4, first 2 shown]
	s_waitcnt vmcnt(0)
	ds_write_b128 v69, v[1:4]
.LBB63_405:
	s_or_b32 exec_lo, exec_lo, s4
	s_waitcnt lgkmcnt(0)
	s_waitcnt_vscnt null, 0x0
	s_barrier
	buffer_gl0_inv
	s_clause 0x37
	buffer_load_dword v17, off, s[0:3], 0 offset:72
	buffer_load_dword v18, off, s[0:3], 0 offset:76
	buffer_load_dword v13, off, s[0:3], 0 offset:88
	buffer_load_dword v14, off, s[0:3], 0 offset:92
	buffer_load_dword v15, off, s[0:3], 0 offset:64
	buffer_load_dword v16, off, s[0:3], 0 offset:68
	buffer_load_dword v11, off, s[0:3], 0 offset:104
	buffer_load_dword v12, off, s[0:3], 0 offset:108
	buffer_load_dword v9, off, s[0:3], 0 offset:80
	buffer_load_dword v10, off, s[0:3], 0 offset:84
	buffer_load_dword v22, off, s[0:3], 0 offset:124
	buffer_load_dword v25, off, s[0:3], 0 offset:136
	buffer_load_dword v19, off, s[0:3], 0 offset:128
	buffer_load_dword v21, off, s[0:3], 0 offset:120
	buffer_load_dword v33, off, s[0:3], 0 offset:96
	buffer_load_dword v34, off, s[0:3], 0 offset:100
	buffer_load_dword v26, off, s[0:3], 0 offset:140
	buffer_load_dword v28, off, s[0:3], 0 offset:116
	buffer_load_dword v27, off, s[0:3], 0 offset:112
	buffer_load_dword v30, off, s[0:3], 0 offset:156
	buffer_load_dword v35, off, s[0:3], 0 offset:168
	buffer_load_dword v23, off, s[0:3], 0 offset:160
	buffer_load_dword v29, off, s[0:3], 0 offset:152
	buffer_load_dword v20, off, s[0:3], 0 offset:132
	buffer_load_dword v36, off, s[0:3], 0 offset:172
	buffer_load_dword v38, off, s[0:3], 0 offset:148
	buffer_load_dword v37, off, s[0:3], 0 offset:144
	buffer_load_dword v40, off, s[0:3], 0 offset:188
	buffer_load_dword v43, off, s[0:3], 0 offset:200
	buffer_load_dword v31, off, s[0:3], 0 offset:192
	buffer_load_dword v39, off, s[0:3], 0 offset:184
	buffer_load_dword v24, off, s[0:3], 0 offset:164
	buffer_load_dword v44, off, s[0:3], 0 offset:204
	buffer_load_dword v46, off, s[0:3], 0 offset:180
	buffer_load_dword v45, off, s[0:3], 0 offset:176
	buffer_load_dword v48, off, s[0:3], 0 offset:220
	buffer_load_dword v51, off, s[0:3], 0 offset:232
	buffer_load_dword v41, off, s[0:3], 0 offset:224
	buffer_load_dword v47, off, s[0:3], 0 offset:216
	buffer_load_dword v32, off, s[0:3], 0 offset:196
	buffer_load_dword v52, off, s[0:3], 0 offset:236
	buffer_load_dword v54, off, s[0:3], 0 offset:212
	buffer_load_dword v53, off, s[0:3], 0 offset:208
	buffer_load_dword v56, off, s[0:3], 0 offset:252
	buffer_load_dword v59, off, s[0:3], 0 offset:264
	buffer_load_dword v49, off, s[0:3], 0 offset:256
	buffer_load_dword v55, off, s[0:3], 0 offset:248
	buffer_load_dword v42, off, s[0:3], 0 offset:228
	buffer_load_dword v60, off, s[0:3], 0 offset:268
	buffer_load_dword v62, off, s[0:3], 0 offset:244
	buffer_load_dword v61, off, s[0:3], 0 offset:240
	buffer_load_dword v64, off, s[0:3], 0 offset:284
	buffer_load_dword v65, off, s[0:3], 0 offset:296
	buffer_load_dword v57, off, s[0:3], 0 offset:288
	buffer_load_dword v63, off, s[0:3], 0 offset:280
	buffer_load_dword v50, off, s[0:3], 0 offset:260
	v_mov_b32_e32 v70, 0
	s_mov_b32 s4, exec_lo
	ds_read_b128 v[5:8], v70 offset:1072
	s_clause 0x2
	buffer_load_dword v66, off, s[0:3], 0 offset:300
	buffer_load_dword v68, off, s[0:3], 0 offset:276
	;; [unrolled: 1-line block ×3, first 2 shown]
	ds_read_b128 v[1:4], v70 offset:1088
	s_clause 0x4
	buffer_load_dword v78, off, s[0:3], 0 offset:316
	buffer_load_dword v79, off, s[0:3], 0 offset:328
	;; [unrolled: 1-line block ×5, first 2 shown]
	ds_read_b128 v[71:74], v70 offset:1104
	s_waitcnt vmcnt(62) lgkmcnt(2)
	v_mul_f64 v[75:76], v[7:8], v[17:18]
	v_mul_f64 v[17:18], v[5:6], v[17:18]
	s_waitcnt vmcnt(60) lgkmcnt(1)
	v_mul_f64 v[82:83], v[3:4], v[13:14]
	v_mul_f64 v[13:14], v[1:2], v[13:14]
	;; [unrolled: 3-line block ×3, first 2 shown]
	v_fma_f64 v[75:76], v[5:6], v[15:16], -v[75:76]
	v_fma_f64 v[15:16], v[7:8], v[15:16], v[17:18]
	s_clause 0x2
	buffer_load_dword v80, off, s[0:3], 0 offset:332
	buffer_load_dword v18, off, s[0:3], 0 offset:308
	;; [unrolled: 1-line block ×3, first 2 shown]
	s_waitcnt vmcnt(57)
	v_fma_f64 v[86:87], v[1:2], v[9:10], -v[82:83]
	ds_read_b128 v[5:8], v70 offset:1120
	v_fma_f64 v[9:10], v[3:4], v[9:10], v[13:14]
	s_waitcnt vmcnt(51)
	v_fma_f64 v[71:72], v[71:72], v[33:34], -v[11:12]
	v_fma_f64 v[33:34], v[73:74], v[33:34], v[84:85]
	v_add_f64 v[75:76], v[75:76], 0
	v_add_f64 v[13:14], v[15:16], 0
	s_clause 0x4
	buffer_load_dword v16, off, s[0:3], 0 offset:348
	buffer_load_dword v83, off, s[0:3], 0 offset:360
	buffer_load_dword v126, off, s[0:3], 0 offset:352
	buffer_load_dword v15, off, s[0:3], 0 offset:344
	buffer_load_dword v82, off, s[0:3], 0 offset:324
	s_waitcnt lgkmcnt(0)
	v_mul_f64 v[127:128], v[5:6], v[21:22]
	v_mul_f64 v[21:22], v[7:8], v[21:22]
	ds_read_b128 v[1:4], v70 offset:1136
	s_clause 0x2
	buffer_load_dword v84, off, s[0:3], 0 offset:364
	buffer_load_dword v74, off, s[0:3], 0 offset:340
	buffer_load_dword v73, off, s[0:3], 0 offset:336
	v_add_f64 v[75:76], v[75:76], v[86:87]
	v_add_f64 v[13:14], v[13:14], v[9:10]
	ds_read_b128 v[9:12], v70 offset:1152
	s_waitcnt vmcnt(58) lgkmcnt(1)
	v_mul_f64 v[85:86], v[1:2], v[25:26]
	v_mul_f64 v[25:26], v[3:4], v[25:26]
	s_waitcnt vmcnt(56)
	v_fma_f64 v[21:22], v[5:6], v[27:28], -v[21:22]
	v_fma_f64 v[27:28], v[7:8], v[27:28], v[127:128]
	s_waitcnt vmcnt(52) lgkmcnt(0)
	v_mul_f64 v[129:130], v[9:10], v[29:30]
	v_add_f64 v[71:72], v[75:76], v[71:72]
	v_add_f64 v[13:14], v[13:14], v[33:34]
	s_clause 0x4
	buffer_load_dword v34, off, s[0:3], 0 offset:380
	buffer_load_dword v75, off, s[0:3], 0 offset:392
	;; [unrolled: 1-line block ×5, first 2 shown]
	v_mul_f64 v[29:30], v[11:12], v[29:30]
	s_waitcnt vmcnt(56)
	v_fma_f64 v[25:26], v[1:2], v[19:20], -v[25:26]
	ds_read_b128 v[5:8], v70 offset:1168
	v_fma_f64 v[19:20], v[3:4], v[19:20], v[85:86]
	v_add_f64 v[21:22], v[71:72], v[21:22]
	v_add_f64 v[13:14], v[13:14], v[27:28]
	s_clause 0x2
	buffer_load_dword v76, off, s[0:3], 0 offset:396
	buffer_load_dword v28, off, s[0:3], 0 offset:372
	;; [unrolled: 1-line block ×3, first 2 shown]
	s_waitcnt vmcnt(58) lgkmcnt(0)
	v_mul_f64 v[71:72], v[5:6], v[35:36]
	v_mul_f64 v[35:36], v[7:8], v[35:36]
	s_waitcnt vmcnt(56)
	v_fma_f64 v[29:30], v[9:10], v[37:38], -v[29:30]
	ds_read_b128 v[1:4], v70 offset:1184
	v_add_f64 v[21:22], v[21:22], v[25:26]
	v_fma_f64 v[25:26], v[11:12], v[37:38], v[129:130]
	v_add_f64 v[13:14], v[13:14], v[19:20]
	s_clause 0x4
	buffer_load_dword v20, off, s[0:3], 0 offset:412
	buffer_load_dword v37, off, s[0:3], 0 offset:424
	;; [unrolled: 1-line block ×5, first 2 shown]
	s_waitcnt vmcnt(57) lgkmcnt(0)
	v_mul_f64 v[86:87], v[1:2], v[39:40]
	v_mul_f64 v[39:40], v[3:4], v[39:40]
	s_waitcnt vmcnt(56)
	v_fma_f64 v[35:36], v[5:6], v[23:24], -v[35:36]
	ds_read_b128 v[9:12], v70 offset:1200
	v_fma_f64 v[23:24], v[7:8], v[23:24], v[71:72]
	v_add_f64 v[21:22], v[21:22], v[29:30]
	v_add_f64 v[13:14], v[13:14], v[25:26]
	s_clause 0x2
	buffer_load_dword v38, off, s[0:3], 0 offset:428
	buffer_load_dword v26, off, s[0:3], 0 offset:404
	;; [unrolled: 1-line block ×3, first 2 shown]
	ds_read_b128 v[5:8], v70 offset:1216
	s_waitcnt vmcnt(58) lgkmcnt(1)
	v_mul_f64 v[29:30], v[9:10], v[43:44]
	v_mul_f64 v[43:44], v[11:12], v[43:44]
	s_waitcnt vmcnt(56)
	v_fma_f64 v[39:40], v[1:2], v[45:46], -v[39:40]
	v_add_f64 v[21:22], v[21:22], v[35:36]
	v_fma_f64 v[35:36], v[3:4], v[45:46], v[86:87]
	v_add_f64 v[13:14], v[13:14], v[23:24]
	s_clause 0x4
	buffer_load_dword v24, off, s[0:3], 0 offset:444
	buffer_load_dword v45, off, s[0:3], 0 offset:456
	;; [unrolled: 1-line block ×5, first 2 shown]
	s_waitcnt vmcnt(57) lgkmcnt(0)
	v_mul_f64 v[130:131], v[5:6], v[47:48]
	v_mul_f64 v[47:48], v[7:8], v[47:48]
	s_waitcnt vmcnt(56)
	v_fma_f64 v[43:44], v[9:10], v[31:32], -v[43:44]
	ds_read_b128 v[1:4], v70 offset:1232
	v_fma_f64 v[29:30], v[11:12], v[31:32], v[29:30]
	s_clause 0x2
	buffer_load_dword v46, off, s[0:3], 0 offset:460
	buffer_load_dword v32, off, s[0:3], 0 offset:436
	;; [unrolled: 1-line block ×3, first 2 shown]
	ds_read_b128 v[9:12], v70 offset:1248
	v_add_f64 v[21:22], v[21:22], v[39:40]
	v_add_f64 v[13:14], v[13:14], v[35:36]
	s_waitcnt vmcnt(58) lgkmcnt(1)
	v_mul_f64 v[39:40], v[3:4], v[51:52]
	s_waitcnt vmcnt(56)
	v_fma_f64 v[47:48], v[5:6], v[53:54], -v[47:48]
	v_mul_f64 v[35:36], v[1:2], v[51:52]
	v_add_f64 v[21:22], v[21:22], v[43:44]
	v_fma_f64 v[43:44], v[7:8], v[53:54], v[130:131]
	v_add_f64 v[13:14], v[13:14], v[29:30]
	s_clause 0x4
	buffer_load_dword v30, off, s[0:3], 0 offset:476
	buffer_load_dword v51, off, s[0:3], 0 offset:488
	;; [unrolled: 1-line block ×5, first 2 shown]
	s_waitcnt vmcnt(57) lgkmcnt(0)
	v_mul_f64 v[130:131], v[9:10], v[55:56]
	v_mul_f64 v[54:55], v[11:12], v[55:56]
	s_waitcnt vmcnt(56)
	v_fma_f64 v[39:40], v[1:2], v[41:42], -v[39:40]
	ds_read_b128 v[5:8], v70 offset:1264
	v_fma_f64 v[35:36], v[3:4], v[41:42], v[35:36]
	s_clause 0x2
	buffer_load_dword v52, off, s[0:3], 0 offset:492
	buffer_load_dword v42, off, s[0:3], 0 offset:468
	buffer_load_dword v41, off, s[0:3], 0 offset:464
	ds_read_b128 v[1:4], v70 offset:1280
	v_add_f64 v[21:22], v[21:22], v[47:48]
	v_add_f64 v[13:14], v[13:14], v[43:44]
	s_waitcnt vmcnt(58) lgkmcnt(1)
	v_mul_f64 v[47:48], v[7:8], v[59:60]
	s_waitcnt vmcnt(56)
	v_fma_f64 v[55:56], v[9:10], v[61:62], -v[54:55]
	v_mul_f64 v[43:44], v[5:6], v[59:60]
	v_add_f64 v[21:22], v[21:22], v[39:40]
	v_fma_f64 v[39:40], v[11:12], v[61:62], v[130:131]
	v_add_f64 v[13:14], v[13:14], v[35:36]
	s_clause 0x4
	buffer_load_dword v36, off, s[0:3], 0 offset:508
	buffer_load_dword v59, off, s[0:3], 0 offset:520
	;; [unrolled: 1-line block ×5, first 2 shown]
	s_waitcnt vmcnt(57) lgkmcnt(0)
	v_mul_f64 v[130:131], v[1:2], v[63:64]
	v_mul_f64 v[62:63], v[3:4], v[63:64]
	s_waitcnt vmcnt(56)
	v_fma_f64 v[47:48], v[5:6], v[49:50], -v[47:48]
	ds_read_b128 v[9:12], v70 offset:1296
	v_fma_f64 v[43:44], v[7:8], v[49:50], v[43:44]
	v_add_f64 v[21:22], v[21:22], v[55:56]
	v_add_f64 v[13:14], v[13:14], v[39:40]
	s_clause 0x2
	buffer_load_dword v60, off, s[0:3], 0 offset:524
	buffer_load_dword v40, off, s[0:3], 0 offset:500
	;; [unrolled: 1-line block ×3, first 2 shown]
	ds_read_b128 v[5:8], v70 offset:1312
	s_waitcnt vmcnt(58) lgkmcnt(1)
	v_mul_f64 v[55:56], v[11:12], v[65:66]
	s_waitcnt vmcnt(56)
	v_fma_f64 v[63:64], v[1:2], v[67:68], -v[62:63]
	v_mul_f64 v[49:50], v[9:10], v[65:66]
	v_add_f64 v[21:22], v[21:22], v[47:48]
	v_fma_f64 v[47:48], v[3:4], v[67:68], v[130:131]
	v_add_f64 v[13:14], v[13:14], v[43:44]
	s_clause 0x4
	buffer_load_dword v44, off, s[0:3], 0 offset:540
	buffer_load_dword v65, off, s[0:3], 0 offset:552
	;; [unrolled: 1-line block ×5, first 2 shown]
	s_waitcnt vmcnt(57) lgkmcnt(0)
	v_mul_f64 v[130:131], v[5:6], v[77:78]
	v_mul_f64 v[77:78], v[7:8], v[77:78]
	s_waitcnt vmcnt(56)
	v_fma_f64 v[55:56], v[9:10], v[57:58], -v[55:56]
	ds_read_b128 v[1:4], v70 offset:1328
	v_fma_f64 v[49:50], v[11:12], v[57:58], v[49:50]
	v_add_f64 v[21:22], v[21:22], v[63:64]
	v_add_f64 v[13:14], v[13:14], v[47:48]
	s_clause 0x2
	buffer_load_dword v66, off, s[0:3], 0 offset:556
	buffer_load_dword v48, off, s[0:3], 0 offset:532
	;; [unrolled: 1-line block ×3, first 2 shown]
	ds_read_b128 v[9:12], v70 offset:1344
	s_waitcnt vmcnt(58) lgkmcnt(1)
	v_mul_f64 v[63:64], v[3:4], v[79:80]
	v_mul_f64 v[57:58], v[1:2], v[79:80]
	s_waitcnt vmcnt(56)
	v_fma_f64 v[77:78], v[5:6], v[17:18], -v[77:78]
	v_fma_f64 v[17:18], v[7:8], v[17:18], v[130:131]
	v_add_f64 v[21:22], v[21:22], v[55:56]
	v_add_f64 v[13:14], v[13:14], v[49:50]
	s_clause 0x4
	buffer_load_dword v50, off, s[0:3], 0 offset:572
	buffer_load_dword v55, off, s[0:3], 0 offset:584
	;; [unrolled: 1-line block ×5, first 2 shown]
	ds_read_b128 v[5:8], v70 offset:1360
	s_waitcnt vmcnt(57) lgkmcnt(1)
	v_mul_f64 v[130:131], v[9:10], v[15:16]
	v_mul_f64 v[15:16], v[11:12], v[15:16]
	s_waitcnt vmcnt(56)
	v_fma_f64 v[63:64], v[1:2], v[81:82], -v[63:64]
	v_fma_f64 v[57:58], v[3:4], v[81:82], v[57:58]
	v_add_f64 v[21:22], v[21:22], v[77:78]
	v_add_f64 v[13:14], v[13:14], v[17:18]
	s_clause 0x2
	buffer_load_dword v56, off, s[0:3], 0 offset:588
	buffer_load_dword v18, off, s[0:3], 0 offset:564
	;; [unrolled: 1-line block ×3, first 2 shown]
	s_waitcnt vmcnt(58) lgkmcnt(0)
	v_mul_f64 v[81:82], v[7:8], v[83:84]
	ds_read_b128 v[1:4], v70 offset:1376
	v_mul_f64 v[77:78], v[5:6], v[83:84]
	s_waitcnt vmcnt(56)
	v_fma_f64 v[15:16], v[9:10], v[73:74], -v[15:16]
	v_add_f64 v[21:22], v[21:22], v[63:64]
	v_fma_f64 v[63:64], v[11:12], v[73:74], v[130:131]
	v_add_f64 v[13:14], v[13:14], v[57:58]
	s_clause 0x4
	buffer_load_dword v58, off, s[0:3], 0 offset:604
	buffer_load_dword v73, off, s[0:3], 0 offset:616
	;; [unrolled: 1-line block ×5, first 2 shown]
	ds_read_b128 v[9:12], v70 offset:1392
	s_waitcnt vmcnt(57) lgkmcnt(1)
	v_mul_f64 v[130:131], v[1:2], v[33:34]
	v_mul_f64 v[33:34], v[3:4], v[33:34]
	s_waitcnt vmcnt(56)
	v_fma_f64 v[81:82], v[5:6], v[126:127], -v[81:82]
	v_add_f64 v[15:16], v[21:22], v[15:16]
	v_fma_f64 v[21:22], v[7:8], v[126:127], v[77:78]
	v_add_f64 v[13:14], v[13:14], v[63:64]
	s_clause 0x2
	buffer_load_dword v74, off, s[0:3], 0 offset:620
	buffer_load_dword v64, off, s[0:3], 0 offset:596
	buffer_load_dword v63, off, s[0:3], 0 offset:592
	ds_read_b128 v[5:8], v70 offset:1408
	s_waitcnt vmcnt(58) lgkmcnt(1)
	v_mul_f64 v[77:78], v[9:10], v[75:76]
	v_mul_f64 v[75:76], v[11:12], v[75:76]
	s_waitcnt vmcnt(56)
	v_fma_f64 v[33:34], v[1:2], v[27:28], -v[33:34]
	v_fma_f64 v[27:28], v[3:4], v[27:28], v[130:131]
	v_add_f64 v[15:16], v[15:16], v[81:82]
	v_add_f64 v[13:14], v[13:14], v[21:22]
	s_clause 0x4
	buffer_load_dword v22, off, s[0:3], 0 offset:636
	buffer_load_dword v81, off, s[0:3], 0 offset:648
	;; [unrolled: 1-line block ×5, first 2 shown]
	ds_read_b128 v[1:4], v70 offset:1424
	s_waitcnt vmcnt(57) lgkmcnt(1)
	v_mul_f64 v[130:131], v[5:6], v[19:20]
	v_mul_f64 v[19:20], v[7:8], v[19:20]
	s_waitcnt vmcnt(56)
	v_fma_f64 v[75:76], v[9:10], v[128:129], -v[75:76]
	v_add_f64 v[15:16], v[15:16], v[33:34]
	v_fma_f64 v[33:34], v[11:12], v[128:129], v[77:78]
	v_add_f64 v[13:14], v[13:14], v[27:28]
	s_clause 0x2
	buffer_load_dword v82, off, s[0:3], 0 offset:652
	buffer_load_dword v28, off, s[0:3], 0 offset:628
	;; [unrolled: 1-line block ×3, first 2 shown]
	ds_read_b128 v[9:12], v70 offset:1440
	s_waitcnt vmcnt(58) lgkmcnt(1)
	v_mul_f64 v[77:78], v[1:2], v[37:38]
	v_mul_f64 v[37:38], v[3:4], v[37:38]
	s_waitcnt vmcnt(56)
	v_fma_f64 v[19:20], v[5:6], v[25:26], -v[19:20]
	v_fma_f64 v[25:26], v[7:8], v[25:26], v[130:131]
	v_add_f64 v[15:16], v[15:16], v[75:76]
	v_add_f64 v[13:14], v[13:14], v[33:34]
	s_clause 0x4
	buffer_load_dword v34, off, s[0:3], 0 offset:668
	buffer_load_dword v75, off, s[0:3], 0 offset:680
	;; [unrolled: 1-line block ×5, first 2 shown]
	ds_read_b128 v[5:8], v70 offset:1456
	s_waitcnt vmcnt(57) lgkmcnt(1)
	v_mul_f64 v[129:130], v[9:10], v[23:24]
	v_mul_f64 v[23:24], v[11:12], v[23:24]
	s_waitcnt vmcnt(56)
	v_fma_f64 v[37:38], v[1:2], v[85:86], -v[37:38]
	v_add_f64 v[15:16], v[15:16], v[19:20]
	v_fma_f64 v[19:20], v[3:4], v[85:86], v[77:78]
	v_add_f64 v[13:14], v[13:14], v[25:26]
	s_clause 0x2
	buffer_load_dword v76, off, s[0:3], 0 offset:684
	buffer_load_dword v26, off, s[0:3], 0 offset:660
	;; [unrolled: 1-line block ×3, first 2 shown]
	s_waitcnt vmcnt(58) lgkmcnt(0)
	v_mul_f64 v[77:78], v[5:6], v[45:46]
	v_mul_f64 v[45:46], v[7:8], v[45:46]
	ds_read_b128 v[1:4], v70 offset:1472
	s_waitcnt vmcnt(56)
	v_fma_f64 v[23:24], v[9:10], v[31:32], -v[23:24]
	v_fma_f64 v[31:32], v[11:12], v[31:32], v[129:130]
	v_add_f64 v[15:16], v[15:16], v[37:38]
	v_add_f64 v[13:14], v[13:14], v[19:20]
	s_clause 0x4
	buffer_load_dword v20, off, s[0:3], 0 offset:700
	buffer_load_dword v37, off, s[0:3], 0 offset:712
	;; [unrolled: 1-line block ×5, first 2 shown]
	ds_read_b128 v[9:12], v70 offset:1488
	s_waitcnt vmcnt(57) lgkmcnt(1)
	v_mul_f64 v[86:87], v[1:2], v[29:30]
	v_mul_f64 v[29:30], v[3:4], v[29:30]
	s_waitcnt vmcnt(56)
	v_fma_f64 v[45:46], v[5:6], v[71:72], -v[45:46]
	v_add_f64 v[15:16], v[15:16], v[23:24]
	v_fma_f64 v[23:24], v[7:8], v[71:72], v[77:78]
	v_add_f64 v[13:14], v[13:14], v[31:32]
	s_clause 0x2
	buffer_load_dword v38, off, s[0:3], 0 offset:716
	buffer_load_dword v32, off, s[0:3], 0 offset:692
	;; [unrolled: 1-line block ×3, first 2 shown]
	s_waitcnt vmcnt(58) lgkmcnt(0)
	v_mul_f64 v[71:72], v[9:10], v[51:52]
	v_mul_f64 v[51:52], v[11:12], v[51:52]
	ds_read_b128 v[5:8], v70 offset:1504
	s_waitcnt vmcnt(56)
	v_fma_f64 v[29:30], v[1:2], v[41:42], -v[29:30]
	v_fma_f64 v[41:42], v[3:4], v[41:42], v[86:87]
	v_add_f64 v[15:16], v[15:16], v[45:46]
	v_add_f64 v[13:14], v[13:14], v[23:24]
	s_clause 0x4
	buffer_load_dword v24, off, s[0:3], 0 offset:732
	buffer_load_dword v45, off, s[0:3], 0 offset:744
	buffer_load_dword v77, off, s[0:3], 0 offset:736
	buffer_load_dword v23, off, s[0:3], 0 offset:728
	buffer_load_dword v86, off, s[0:3], 0 offset:708
	ds_read_b128 v[1:4], v70 offset:1520
	s_waitcnt vmcnt(57) lgkmcnt(1)
	v_mul_f64 v[130:131], v[5:6], v[35:36]
	v_mul_f64 v[35:36], v[7:8], v[35:36]
	s_waitcnt vmcnt(56)
	v_fma_f64 v[51:52], v[9:10], v[53:54], -v[51:52]
	v_add_f64 v[15:16], v[15:16], v[29:30]
	v_fma_f64 v[29:30], v[11:12], v[53:54], v[71:72]
	v_add_f64 v[13:14], v[13:14], v[41:42]
	s_clause 0x2
	buffer_load_dword v46, off, s[0:3], 0 offset:748
	buffer_load_dword v42, off, s[0:3], 0 offset:724
	buffer_load_dword v41, off, s[0:3], 0 offset:720
	ds_read_b128 v[9:12], v70 offset:1536
	s_waitcnt vmcnt(58) lgkmcnt(1)
	v_mul_f64 v[53:54], v[1:2], v[59:60]
	v_mul_f64 v[59:60], v[3:4], v[59:60]
	s_waitcnt vmcnt(56)
	v_fma_f64 v[35:36], v[5:6], v[39:40], -v[35:36]
	v_fma_f64 v[39:40], v[7:8], v[39:40], v[130:131]
	v_add_f64 v[15:16], v[15:16], v[51:52]
	v_add_f64 v[13:14], v[13:14], v[29:30]
	s_clause 0x4
	buffer_load_dword v30, off, s[0:3], 0 offset:764
	buffer_load_dword v51, off, s[0:3], 0 offset:776
	buffer_load_dword v71, off, s[0:3], 0 offset:768
	buffer_load_dword v29, off, s[0:3], 0 offset:760
	buffer_load_dword v78, off, s[0:3], 0 offset:740
	ds_read_b128 v[5:8], v70 offset:1552
	s_waitcnt vmcnt(57) lgkmcnt(1)
	v_mul_f64 v[130:131], v[9:10], v[43:44]
	v_mul_f64 v[43:44], v[11:12], v[43:44]
	s_waitcnt vmcnt(56)
	v_fma_f64 v[59:60], v[1:2], v[61:62], -v[59:60]
	v_add_f64 v[15:16], v[15:16], v[35:36]
	v_fma_f64 v[35:36], v[3:4], v[61:62], v[53:54]
	v_add_f64 v[13:14], v[13:14], v[39:40]
	s_clause 0x2
	buffer_load_dword v52, off, s[0:3], 0 offset:780
	buffer_load_dword v40, off, s[0:3], 0 offset:756
	buffer_load_dword v39, off, s[0:3], 0 offset:752
	ds_read_b128 v[1:4], v70 offset:1568
	s_waitcnt vmcnt(58) lgkmcnt(1)
	v_mul_f64 v[61:62], v[7:8], v[65:66]
	v_mul_f64 v[53:54], v[5:6], v[65:66]
	;; [unrolled: 28-line block ×4, first 2 shown]
	s_waitcnt vmcnt(56)
	v_fma_f64 v[57:58], v[5:6], v[63:64], -v[57:58]
	v_add_f64 v[15:16], v[15:16], v[55:56]
	v_fma_f64 v[55:56], v[7:8], v[63:64], v[130:131]
	v_add_f64 v[13:14], v[13:14], v[49:50]
	s_clause 0x4
	buffer_load_dword v50, off, s[0:3], 0 offset:860
	buffer_load_dword v63, off, s[0:3], 0 offset:872
	;; [unrolled: 1-line block ×5, first 2 shown]
	ds_read_b128 v[5:8], v70 offset:1648
	s_waitcnt vmcnt(57) lgkmcnt(1)
	v_mul_f64 v[130:131], v[9:10], v[21:22]
	v_mul_f64 v[21:22], v[11:12], v[21:22]
	s_waitcnt vmcnt(56)
	v_fma_f64 v[73:74], v[1:2], v[83:84], -v[73:74]
	v_fma_f64 v[53:54], v[3:4], v[83:84], v[53:54]
	v_add_f64 v[15:16], v[15:16], v[57:58]
	v_add_f64 v[13:14], v[13:14], v[55:56]
	s_clause 0x2
	buffer_load_dword v64, off, s[0:3], 0 offset:876
	buffer_load_dword v56, off, s[0:3], 0 offset:852
	buffer_load_dword v55, off, s[0:3], 0 offset:848
	ds_read_b128 v[1:4], v70 offset:1664
	s_waitcnt vmcnt(58) lgkmcnt(1)
	v_mul_f64 v[57:58], v[5:6], v[81:82]
	v_mul_f64 v[81:82], v[7:8], v[81:82]
	s_waitcnt vmcnt(56)
	v_fma_f64 v[21:22], v[9:10], v[27:28], -v[21:22]
	v_fma_f64 v[27:28], v[11:12], v[27:28], v[130:131]
	v_add_f64 v[15:16], v[15:16], v[73:74]
	v_add_f64 v[13:14], v[13:14], v[53:54]
	s_clause 0x4
	buffer_load_dword v54, off, s[0:3], 0 offset:892
	buffer_load_dword v73, off, s[0:3], 0 offset:904
	buffer_load_dword v83, off, s[0:3], 0 offset:896
	buffer_load_dword v53, off, s[0:3], 0 offset:888
	buffer_load_dword v80, off, s[0:3], 0 offset:868
	ds_read_b128 v[9:12], v70 offset:1680
	s_waitcnt vmcnt(57) lgkmcnt(1)
	v_mul_f64 v[130:131], v[1:2], v[33:34]
	v_mul_f64 v[33:34], v[3:4], v[33:34]
	s_waitcnt vmcnt(56)
	v_fma_f64 v[81:82], v[5:6], v[126:127], -v[81:82]
	v_add_f64 v[15:16], v[15:16], v[21:22]
	v_fma_f64 v[21:22], v[7:8], v[126:127], v[57:58]
	v_add_f64 v[13:14], v[13:14], v[27:28]
	s_clause 0x2
	buffer_load_dword v74, off, s[0:3], 0 offset:908
	buffer_load_dword v28, off, s[0:3], 0 offset:884
	buffer_load_dword v27, off, s[0:3], 0 offset:880
	ds_read_b128 v[5:8], v70 offset:1696
	s_waitcnt vmcnt(58) lgkmcnt(1)
	v_mul_f64 v[57:58], v[9:10], v[75:76]
	v_mul_f64 v[75:76], v[11:12], v[75:76]
	s_waitcnt vmcnt(56)
	v_fma_f64 v[33:34], v[1:2], v[25:26], -v[33:34]
	v_fma_f64 v[25:26], v[3:4], v[25:26], v[130:131]
	v_add_f64 v[15:16], v[15:16], v[81:82]
	v_add_f64 v[13:14], v[13:14], v[21:22]
	s_clause 0x4
	buffer_load_dword v22, off, s[0:3], 0 offset:924
	buffer_load_dword v81, off, s[0:3], 0 offset:936
	buffer_load_dword v126, off, s[0:3], 0 offset:928
	buffer_load_dword v21, off, s[0:3], 0 offset:920
	buffer_load_dword v84, off, s[0:3], 0 offset:900
	ds_read_b128 v[1:4], v70 offset:1712
	s_waitcnt vmcnt(57) lgkmcnt(1)
	v_mul_f64 v[130:131], v[5:6], v[19:20]
	v_mul_f64 v[19:20], v[7:8], v[19:20]
	s_waitcnt vmcnt(56)
	v_fma_f64 v[75:76], v[9:10], v[128:129], -v[75:76]
	v_add_f64 v[15:16], v[15:16], v[33:34]
	v_fma_f64 v[33:34], v[11:12], v[128:129], v[57:58]
	;; [unrolled: 28-line block ×3, first 2 shown]
	v_add_f64 v[13:14], v[13:14], v[31:32]
	s_clause 0x2
	buffer_load_dword v76, off, s[0:3], 0 offset:972
	buffer_load_dword v32, off, s[0:3], 0 offset:948
	;; [unrolled: 1-line block ×3, first 2 shown]
	ds_read_b128 v[1:4], v70 offset:1760
	s_waitcnt vmcnt(58) lgkmcnt(1)
	v_mul_f64 v[57:58], v[5:6], v[45:46]
	v_mul_f64 v[45:46], v[7:8], v[45:46]
	s_waitcnt vmcnt(56)
	v_fma_f64 v[23:24], v[9:10], v[41:42], -v[23:24]
	v_add_f64 v[15:16], v[15:16], v[37:38]
	v_fma_f64 v[37:38], v[11:12], v[41:42], v[129:130]
	v_add_f64 v[13:14], v[13:14], v[19:20]
	s_clause 0x4
	buffer_load_dword v20, off, s[0:3], 0 offset:988
	buffer_load_dword v41, off, s[0:3], 0 offset:1000
	;; [unrolled: 1-line block ×5, first 2 shown]
	ds_read_b128 v[9:12], v70 offset:1776
	s_waitcnt vmcnt(57) lgkmcnt(1)
	v_mul_f64 v[86:87], v[1:2], v[29:30]
	v_mul_f64 v[29:30], v[3:4], v[29:30]
	s_waitcnt vmcnt(56)
	v_fma_f64 v[45:46], v[5:6], v[77:78], -v[45:46]
	v_add_f64 v[15:16], v[15:16], v[23:24]
	v_fma_f64 v[23:24], v[7:8], v[77:78], v[57:58]
	v_add_f64 v[13:14], v[13:14], v[37:38]
	s_clause 0x2
	buffer_load_dword v42, off, s[0:3], 0 offset:1004
	buffer_load_dword v38, off, s[0:3], 0 offset:980
	;; [unrolled: 1-line block ×3, first 2 shown]
	ds_read_b128 v[5:8], v70 offset:1792
	s_waitcnt vmcnt(58) lgkmcnt(1)
	v_mul_f64 v[57:58], v[9:10], v[51:52]
	v_mul_f64 v[51:52], v[11:12], v[51:52]
	s_waitcnt vmcnt(56)
	v_fma_f64 v[29:30], v[1:2], v[39:40], -v[29:30]
	v_fma_f64 v[39:40], v[3:4], v[39:40], v[86:87]
	v_add_f64 v[15:16], v[15:16], v[45:46]
	v_add_f64 v[13:14], v[13:14], v[23:24]
	s_clause 0x4
	buffer_load_dword v24, off, s[0:3], 0 offset:1020
	buffer_load_dword v45, off, s[0:3], 0 offset:1032
	;; [unrolled: 1-line block ×5, first 2 shown]
	ds_read_b128 v[1:4], v70 offset:1808
	s_waitcnt vmcnt(57) lgkmcnt(1)
	v_mul_f64 v[130:131], v[5:6], v[35:36]
	v_mul_f64 v[35:36], v[7:8], v[35:36]
	s_waitcnt vmcnt(56)
	v_fma_f64 v[51:52], v[9:10], v[71:72], -v[51:52]
	v_add_f64 v[15:16], v[15:16], v[29:30]
	v_fma_f64 v[29:30], v[11:12], v[71:72], v[57:58]
	v_add_f64 v[13:14], v[13:14], v[39:40]
	s_clause 0x2
	buffer_load_dword v46, off, s[0:3], 0 offset:1036
	buffer_load_dword v40, off, s[0:3], 0 offset:1012
	;; [unrolled: 1-line block ×3, first 2 shown]
	ds_read_b128 v[9:12], v70 offset:1824
	buffer_load_dword v78, off, s[0:3], 0 offset:1028
	s_waitcnt vmcnt(59) lgkmcnt(1)
	v_mul_f64 v[57:58], v[1:2], v[59:60]
	v_mul_f64 v[59:60], v[3:4], v[59:60]
	s_waitcnt vmcnt(57)
	v_fma_f64 v[35:36], v[5:6], v[47:48], -v[35:36]
	v_fma_f64 v[47:48], v[7:8], v[47:48], v[130:131]
	ds_read_b128 v[5:8], v70 offset:1840
	v_add_f64 v[15:16], v[15:16], v[51:52]
	v_add_f64 v[13:14], v[13:14], v[29:30]
	s_waitcnt vmcnt(53) lgkmcnt(1)
	v_mul_f64 v[29:30], v[9:10], v[43:44]
	v_mul_f64 v[43:44], v[11:12], v[43:44]
	s_waitcnt vmcnt(52)
	v_fma_f64 v[51:52], v[1:2], v[65:66], -v[59:60]
	v_add_f64 v[15:16], v[15:16], v[35:36]
	v_fma_f64 v[35:36], v[3:4], v[65:66], v[57:58]
	v_add_f64 v[13:14], v[13:14], v[47:48]
	ds_read_b128 v[1:4], v70 offset:1856
	s_waitcnt vmcnt(51) lgkmcnt(1)
	v_mul_f64 v[57:58], v[7:8], v[61:62]
	v_mul_f64 v[47:48], v[5:6], v[61:62]
	s_waitcnt vmcnt(49)
	v_fma_f64 v[43:44], v[9:10], v[17:18], -v[43:44]
	v_fma_f64 v[17:18], v[11:12], v[17:18], v[29:30]
	v_add_f64 v[15:16], v[15:16], v[51:52]
	v_add_f64 v[13:14], v[13:14], v[35:36]
	s_clause 0x3
	buffer_load_dword v29, off, s[0:3], 0 offset:48
	buffer_load_dword v30, off, s[0:3], 0 offset:52
	buffer_load_dword v35, off, s[0:3], 0 offset:56
	buffer_load_dword v36, off, s[0:3], 0 offset:60
	ds_read_b128 v[9:12], v70 offset:1872
	s_waitcnt vmcnt(49) lgkmcnt(1)
	v_mul_f64 v[51:52], v[1:2], v[49:50]
	v_mul_f64 v[49:50], v[3:4], v[49:50]
	s_waitcnt vmcnt(48)
	v_fma_f64 v[57:58], v[5:6], v[67:68], -v[57:58]
	v_add_f64 v[15:16], v[15:16], v[43:44]
	v_fma_f64 v[43:44], v[7:8], v[67:68], v[47:48]
	v_add_f64 v[13:14], v[13:14], v[17:18]
	ds_read_b128 v[5:8], v70 offset:1888
	s_waitcnt vmcnt(47) lgkmcnt(1)
	v_mul_f64 v[47:48], v[11:12], v[63:64]
	v_mul_f64 v[17:18], v[9:10], v[63:64]
	s_waitcnt vmcnt(45)
	v_fma_f64 v[49:50], v[1:2], v[55:56], -v[49:50]
	v_fma_f64 v[51:52], v[3:4], v[55:56], v[51:52]
	ds_read_b128 v[1:4], v70 offset:1904
	v_add_f64 v[15:16], v[15:16], v[57:58]
	v_add_f64 v[13:14], v[13:14], v[43:44]
	s_waitcnt vmcnt(41) lgkmcnt(1)
	v_mul_f64 v[43:44], v[5:6], v[53:54]
	v_mul_f64 v[53:54], v[7:8], v[53:54]
	s_waitcnt vmcnt(40)
	v_fma_f64 v[47:48], v[9:10], v[79:80], -v[47:48]
	v_fma_f64 v[17:18], v[11:12], v[79:80], v[17:18]
	ds_read_b128 v[9:12], v70 offset:1920
	v_add_f64 v[15:16], v[15:16], v[49:50]
	v_add_f64 v[13:14], v[13:14], v[51:52]
	;; [unrolled: 9-line block ×5, first 2 shown]
	s_waitcnt vmcnt(25) lgkmcnt(1)
	v_mul_f64 v[25:26], v[1:2], v[33:34]
	v_mul_f64 v[33:34], v[3:4], v[33:34]
	s_waitcnt vmcnt(24)
	v_fma_f64 v[43:44], v[5:6], v[126:127], -v[49:50]
	v_add_f64 v[15:16], v[15:16], v[21:22]
	v_fma_f64 v[21:22], v[7:8], v[126:127], v[27:28]
	v_add_f64 v[13:14], v[13:14], v[17:18]
	ds_read_b128 v[5:8], v70 offset:1984
	s_waitcnt vmcnt(23) lgkmcnt(1)
	v_mul_f64 v[27:28], v[11:12], v[75:76]
	v_mul_f64 v[17:18], v[9:10], v[75:76]
	s_waitcnt vmcnt(21)
	v_fma_f64 v[33:34], v[1:2], v[31:32], -v[33:34]
	v_fma_f64 v[25:26], v[3:4], v[31:32], v[25:26]
	ds_read_b128 v[1:4], v70 offset:2000
	v_add_f64 v[15:16], v[15:16], v[43:44]
	v_add_f64 v[13:14], v[13:14], v[21:22]
	s_waitcnt vmcnt(17) lgkmcnt(1)
	v_mul_f64 v[21:22], v[5:6], v[19:20]
	v_mul_f64 v[19:20], v[7:8], v[19:20]
	s_waitcnt vmcnt(16)
	v_fma_f64 v[27:28], v[9:10], v[128:129], -v[27:28]
	v_fma_f64 v[17:18], v[11:12], v[128:129], v[17:18]
	ds_read_b128 v[9:12], v70 offset:2016
	v_add_f64 v[15:16], v[15:16], v[33:34]
	v_add_f64 v[13:14], v[13:14], v[25:26]
	s_waitcnt vmcnt(15) lgkmcnt(1)
	v_mul_f64 v[31:32], v[3:4], v[41:42]
	v_mul_f64 v[25:26], v[1:2], v[41:42]
	s_waitcnt vmcnt(13)
	v_fma_f64 v[19:20], v[5:6], v[37:38], -v[19:20]
	v_fma_f64 v[21:22], v[7:8], v[37:38], v[21:22]
	ds_read_b128 v[5:8], v70 offset:2032
	v_add_f64 v[15:16], v[15:16], v[27:28]
	v_add_f64 v[13:14], v[13:14], v[17:18]
	s_waitcnt vmcnt(9) lgkmcnt(1)
	v_mul_f64 v[17:18], v[9:10], v[23:24]
	v_mul_f64 v[23:24], v[11:12], v[23:24]
	s_waitcnt vmcnt(8)
	v_fma_f64 v[1:2], v[1:2], v[85:86], -v[31:32]
	v_fma_f64 v[3:4], v[3:4], v[85:86], v[25:26]
	v_add_f64 v[15:16], v[15:16], v[19:20]
	v_add_f64 v[13:14], v[13:14], v[21:22]
	s_waitcnt vmcnt(7) lgkmcnt(0)
	v_mul_f64 v[21:22], v[7:8], v[45:46]
	v_mul_f64 v[19:20], v[5:6], v[45:46]
	s_waitcnt vmcnt(5)
	v_fma_f64 v[9:10], v[9:10], v[39:40], -v[23:24]
	v_fma_f64 v[11:12], v[11:12], v[39:40], v[17:18]
	v_add_f64 v[1:2], v[15:16], v[1:2]
	v_add_f64 v[3:4], v[13:14], v[3:4]
	s_waitcnt vmcnt(4)
	v_fma_f64 v[5:6], v[5:6], v[77:78], -v[21:22]
	v_fma_f64 v[7:8], v[7:8], v[77:78], v[19:20]
	v_add_f64 v[1:2], v[1:2], v[9:10]
	v_add_f64 v[3:4], v[3:4], v[11:12]
	;; [unrolled: 1-line block ×4, first 2 shown]
	s_waitcnt vmcnt(2)
	v_add_f64 v[1:2], v[29:30], -v[1:2]
	s_waitcnt vmcnt(0)
	v_add_f64 v[3:4], v[35:36], -v[3:4]
	buffer_store_dword v2, off, s[0:3], 0 offset:52
	buffer_store_dword v1, off, s[0:3], 0 offset:48
	;; [unrolled: 1-line block ×4, first 2 shown]
	v_cmpx_lt_u32_e32 1, v0
	s_cbranch_execz .LBB63_407
; %bb.406:
	v_mov_b32_e32 v4, s77
	s_clause 0x3
	buffer_load_dword v1, v4, s[0:3], 0 offen
	buffer_load_dword v2, v4, s[0:3], 0 offen offset:4
	buffer_load_dword v3, v4, s[0:3], 0 offen offset:8
	buffer_load_dword v4, v4, s[0:3], 0 offen offset:12
	buffer_store_dword v70, off, s[0:3], 0 offset:32
	buffer_store_dword v70, off, s[0:3], 0 offset:36
	;; [unrolled: 1-line block ×4, first 2 shown]
	s_waitcnt vmcnt(0)
	ds_write_b128 v69, v[1:4]
.LBB63_407:
	s_or_b32 exec_lo, exec_lo, s4
	s_waitcnt lgkmcnt(0)
	s_waitcnt_vscnt null, 0x0
	s_barrier
	buffer_gl0_inv
	s_clause 0x37
	buffer_load_dword v17, off, s[0:3], 0 offset:56
	buffer_load_dword v18, off, s[0:3], 0 offset:60
	;; [unrolled: 1-line block ×56, first 2 shown]
	ds_read_b128 v[5:8], v70 offset:1056
	s_clause 0x2
	buffer_load_dword v66, off, s[0:3], 0 offset:284
	buffer_load_dword v68, off, s[0:3], 0 offset:260
	buffer_load_dword v67, off, s[0:3], 0 offset:256
	ds_read_b128 v[1:4], v70 offset:1072
	s_clause 0x4
	buffer_load_dword v78, off, s[0:3], 0 offset:300
	buffer_load_dword v79, off, s[0:3], 0 offset:312
	;; [unrolled: 1-line block ×5, first 2 shown]
	ds_read_b128 v[71:74], v70 offset:1088
	s_mov_b32 s4, 0
	s_mov_b32 s5, exec_lo
	s_waitcnt vmcnt(62) lgkmcnt(2)
	v_mul_f64 v[75:76], v[7:8], v[17:18]
	v_mul_f64 v[17:18], v[5:6], v[17:18]
	s_waitcnt vmcnt(60) lgkmcnt(1)
	v_mul_f64 v[82:83], v[3:4], v[13:14]
	v_mul_f64 v[13:14], v[1:2], v[13:14]
	;; [unrolled: 3-line block ×3, first 2 shown]
	v_fma_f64 v[75:76], v[5:6], v[15:16], -v[75:76]
	v_fma_f64 v[15:16], v[7:8], v[15:16], v[17:18]
	s_clause 0x2
	buffer_load_dword v80, off, s[0:3], 0 offset:316
	buffer_load_dword v18, off, s[0:3], 0 offset:292
	buffer_load_dword v17, off, s[0:3], 0 offset:288
	s_waitcnt vmcnt(57)
	v_fma_f64 v[86:87], v[1:2], v[9:10], -v[82:83]
	ds_read_b128 v[5:8], v70 offset:1104
	v_fma_f64 v[9:10], v[3:4], v[9:10], v[13:14]
	s_waitcnt vmcnt(51)
	v_fma_f64 v[71:72], v[71:72], v[33:34], -v[11:12]
	v_fma_f64 v[33:34], v[73:74], v[33:34], v[84:85]
	v_add_f64 v[75:76], v[75:76], 0
	v_add_f64 v[13:14], v[15:16], 0
	s_clause 0x4
	buffer_load_dword v16, off, s[0:3], 0 offset:332
	buffer_load_dword v83, off, s[0:3], 0 offset:344
	;; [unrolled: 1-line block ×5, first 2 shown]
	s_waitcnt lgkmcnt(0)
	v_mul_f64 v[127:128], v[5:6], v[21:22]
	v_mul_f64 v[21:22], v[7:8], v[21:22]
	ds_read_b128 v[1:4], v70 offset:1120
	s_clause 0x2
	buffer_load_dword v84, off, s[0:3], 0 offset:348
	buffer_load_dword v74, off, s[0:3], 0 offset:324
	;; [unrolled: 1-line block ×3, first 2 shown]
	v_add_f64 v[75:76], v[75:76], v[86:87]
	v_add_f64 v[13:14], v[13:14], v[9:10]
	ds_read_b128 v[9:12], v70 offset:1136
	s_waitcnt vmcnt(58) lgkmcnt(1)
	v_mul_f64 v[85:86], v[1:2], v[25:26]
	v_mul_f64 v[25:26], v[3:4], v[25:26]
	s_waitcnt vmcnt(56)
	v_fma_f64 v[21:22], v[5:6], v[27:28], -v[21:22]
	v_fma_f64 v[27:28], v[7:8], v[27:28], v[127:128]
	s_waitcnt vmcnt(52) lgkmcnt(0)
	v_mul_f64 v[129:130], v[9:10], v[29:30]
	v_add_f64 v[71:72], v[75:76], v[71:72]
	v_add_f64 v[13:14], v[13:14], v[33:34]
	s_clause 0x4
	buffer_load_dword v34, off, s[0:3], 0 offset:364
	buffer_load_dword v75, off, s[0:3], 0 offset:376
	;; [unrolled: 1-line block ×5, first 2 shown]
	v_mul_f64 v[29:30], v[11:12], v[29:30]
	s_waitcnt vmcnt(56)
	v_fma_f64 v[25:26], v[1:2], v[19:20], -v[25:26]
	ds_read_b128 v[5:8], v70 offset:1152
	v_fma_f64 v[19:20], v[3:4], v[19:20], v[85:86]
	v_add_f64 v[21:22], v[71:72], v[21:22]
	v_add_f64 v[13:14], v[13:14], v[27:28]
	s_clause 0x2
	buffer_load_dword v76, off, s[0:3], 0 offset:380
	buffer_load_dword v28, off, s[0:3], 0 offset:356
	;; [unrolled: 1-line block ×3, first 2 shown]
	s_waitcnt vmcnt(58) lgkmcnt(0)
	v_mul_f64 v[71:72], v[5:6], v[35:36]
	v_mul_f64 v[35:36], v[7:8], v[35:36]
	s_waitcnt vmcnt(56)
	v_fma_f64 v[29:30], v[9:10], v[37:38], -v[29:30]
	ds_read_b128 v[1:4], v70 offset:1168
	v_add_f64 v[21:22], v[21:22], v[25:26]
	v_fma_f64 v[25:26], v[11:12], v[37:38], v[129:130]
	v_add_f64 v[13:14], v[13:14], v[19:20]
	s_clause 0x4
	buffer_load_dword v20, off, s[0:3], 0 offset:396
	buffer_load_dword v37, off, s[0:3], 0 offset:408
	;; [unrolled: 1-line block ×5, first 2 shown]
	s_waitcnt vmcnt(57) lgkmcnt(0)
	v_mul_f64 v[86:87], v[1:2], v[39:40]
	v_mul_f64 v[39:40], v[3:4], v[39:40]
	s_waitcnt vmcnt(56)
	v_fma_f64 v[35:36], v[5:6], v[23:24], -v[35:36]
	ds_read_b128 v[9:12], v70 offset:1184
	v_fma_f64 v[23:24], v[7:8], v[23:24], v[71:72]
	v_add_f64 v[21:22], v[21:22], v[29:30]
	v_add_f64 v[13:14], v[13:14], v[25:26]
	s_clause 0x2
	buffer_load_dword v38, off, s[0:3], 0 offset:412
	buffer_load_dword v26, off, s[0:3], 0 offset:388
	;; [unrolled: 1-line block ×3, first 2 shown]
	ds_read_b128 v[5:8], v70 offset:1200
	s_waitcnt vmcnt(58) lgkmcnt(1)
	v_mul_f64 v[29:30], v[9:10], v[43:44]
	v_mul_f64 v[43:44], v[11:12], v[43:44]
	s_waitcnt vmcnt(56)
	v_fma_f64 v[39:40], v[1:2], v[45:46], -v[39:40]
	v_add_f64 v[21:22], v[21:22], v[35:36]
	v_fma_f64 v[35:36], v[3:4], v[45:46], v[86:87]
	v_add_f64 v[13:14], v[13:14], v[23:24]
	s_clause 0x4
	buffer_load_dword v24, off, s[0:3], 0 offset:428
	buffer_load_dword v45, off, s[0:3], 0 offset:440
	;; [unrolled: 1-line block ×5, first 2 shown]
	s_waitcnt vmcnt(57) lgkmcnt(0)
	v_mul_f64 v[130:131], v[5:6], v[47:48]
	v_mul_f64 v[47:48], v[7:8], v[47:48]
	s_waitcnt vmcnt(56)
	v_fma_f64 v[43:44], v[9:10], v[31:32], -v[43:44]
	ds_read_b128 v[1:4], v70 offset:1216
	v_fma_f64 v[29:30], v[11:12], v[31:32], v[29:30]
	s_clause 0x2
	buffer_load_dword v46, off, s[0:3], 0 offset:444
	buffer_load_dword v32, off, s[0:3], 0 offset:420
	;; [unrolled: 1-line block ×3, first 2 shown]
	ds_read_b128 v[9:12], v70 offset:1232
	v_add_f64 v[21:22], v[21:22], v[39:40]
	v_add_f64 v[13:14], v[13:14], v[35:36]
	s_waitcnt vmcnt(58) lgkmcnt(1)
	v_mul_f64 v[39:40], v[3:4], v[51:52]
	s_waitcnt vmcnt(56)
	v_fma_f64 v[47:48], v[5:6], v[53:54], -v[47:48]
	v_mul_f64 v[35:36], v[1:2], v[51:52]
	v_add_f64 v[21:22], v[21:22], v[43:44]
	v_fma_f64 v[43:44], v[7:8], v[53:54], v[130:131]
	v_add_f64 v[13:14], v[13:14], v[29:30]
	s_clause 0x4
	buffer_load_dword v30, off, s[0:3], 0 offset:460
	buffer_load_dword v51, off, s[0:3], 0 offset:472
	;; [unrolled: 1-line block ×5, first 2 shown]
	s_waitcnt vmcnt(57) lgkmcnt(0)
	v_mul_f64 v[130:131], v[9:10], v[55:56]
	v_mul_f64 v[54:55], v[11:12], v[55:56]
	s_waitcnt vmcnt(56)
	v_fma_f64 v[39:40], v[1:2], v[41:42], -v[39:40]
	ds_read_b128 v[5:8], v70 offset:1248
	v_fma_f64 v[35:36], v[3:4], v[41:42], v[35:36]
	s_clause 0x2
	buffer_load_dword v52, off, s[0:3], 0 offset:476
	buffer_load_dword v42, off, s[0:3], 0 offset:452
	;; [unrolled: 1-line block ×3, first 2 shown]
	ds_read_b128 v[1:4], v70 offset:1264
	v_add_f64 v[21:22], v[21:22], v[47:48]
	v_add_f64 v[13:14], v[13:14], v[43:44]
	s_waitcnt vmcnt(58) lgkmcnt(1)
	v_mul_f64 v[47:48], v[7:8], v[59:60]
	s_waitcnt vmcnt(56)
	v_fma_f64 v[55:56], v[9:10], v[61:62], -v[54:55]
	v_mul_f64 v[43:44], v[5:6], v[59:60]
	v_add_f64 v[21:22], v[21:22], v[39:40]
	v_fma_f64 v[39:40], v[11:12], v[61:62], v[130:131]
	v_add_f64 v[13:14], v[13:14], v[35:36]
	s_clause 0x4
	buffer_load_dword v36, off, s[0:3], 0 offset:492
	buffer_load_dword v59, off, s[0:3], 0 offset:504
	;; [unrolled: 1-line block ×5, first 2 shown]
	s_waitcnt vmcnt(57) lgkmcnt(0)
	v_mul_f64 v[130:131], v[1:2], v[63:64]
	v_mul_f64 v[62:63], v[3:4], v[63:64]
	s_waitcnt vmcnt(56)
	v_fma_f64 v[47:48], v[5:6], v[49:50], -v[47:48]
	ds_read_b128 v[9:12], v70 offset:1280
	v_fma_f64 v[43:44], v[7:8], v[49:50], v[43:44]
	v_add_f64 v[21:22], v[21:22], v[55:56]
	v_add_f64 v[13:14], v[13:14], v[39:40]
	s_clause 0x2
	buffer_load_dword v60, off, s[0:3], 0 offset:508
	buffer_load_dword v40, off, s[0:3], 0 offset:484
	;; [unrolled: 1-line block ×3, first 2 shown]
	ds_read_b128 v[5:8], v70 offset:1296
	s_waitcnt vmcnt(58) lgkmcnt(1)
	v_mul_f64 v[55:56], v[11:12], v[65:66]
	s_waitcnt vmcnt(56)
	v_fma_f64 v[63:64], v[1:2], v[67:68], -v[62:63]
	v_mul_f64 v[49:50], v[9:10], v[65:66]
	v_add_f64 v[21:22], v[21:22], v[47:48]
	v_fma_f64 v[47:48], v[3:4], v[67:68], v[130:131]
	v_add_f64 v[13:14], v[13:14], v[43:44]
	s_clause 0x4
	buffer_load_dword v44, off, s[0:3], 0 offset:524
	buffer_load_dword v65, off, s[0:3], 0 offset:536
	;; [unrolled: 1-line block ×5, first 2 shown]
	s_waitcnt vmcnt(57) lgkmcnt(0)
	v_mul_f64 v[130:131], v[5:6], v[77:78]
	v_mul_f64 v[77:78], v[7:8], v[77:78]
	s_waitcnt vmcnt(56)
	v_fma_f64 v[55:56], v[9:10], v[57:58], -v[55:56]
	ds_read_b128 v[1:4], v70 offset:1312
	v_fma_f64 v[49:50], v[11:12], v[57:58], v[49:50]
	v_add_f64 v[21:22], v[21:22], v[63:64]
	v_add_f64 v[13:14], v[13:14], v[47:48]
	s_clause 0x2
	buffer_load_dword v66, off, s[0:3], 0 offset:540
	buffer_load_dword v48, off, s[0:3], 0 offset:516
	;; [unrolled: 1-line block ×3, first 2 shown]
	ds_read_b128 v[9:12], v70 offset:1328
	s_waitcnt vmcnt(58) lgkmcnt(1)
	v_mul_f64 v[63:64], v[3:4], v[79:80]
	v_mul_f64 v[57:58], v[1:2], v[79:80]
	s_waitcnt vmcnt(56)
	v_fma_f64 v[77:78], v[5:6], v[17:18], -v[77:78]
	v_fma_f64 v[17:18], v[7:8], v[17:18], v[130:131]
	v_add_f64 v[21:22], v[21:22], v[55:56]
	v_add_f64 v[13:14], v[13:14], v[49:50]
	s_clause 0x4
	buffer_load_dword v50, off, s[0:3], 0 offset:556
	buffer_load_dword v55, off, s[0:3], 0 offset:568
	;; [unrolled: 1-line block ×5, first 2 shown]
	ds_read_b128 v[5:8], v70 offset:1344
	s_waitcnt vmcnt(57) lgkmcnt(1)
	v_mul_f64 v[130:131], v[9:10], v[15:16]
	v_mul_f64 v[15:16], v[11:12], v[15:16]
	s_waitcnt vmcnt(56)
	v_fma_f64 v[63:64], v[1:2], v[81:82], -v[63:64]
	v_fma_f64 v[57:58], v[3:4], v[81:82], v[57:58]
	v_add_f64 v[21:22], v[21:22], v[77:78]
	v_add_f64 v[13:14], v[13:14], v[17:18]
	s_clause 0x2
	buffer_load_dword v56, off, s[0:3], 0 offset:572
	buffer_load_dword v18, off, s[0:3], 0 offset:548
	;; [unrolled: 1-line block ×3, first 2 shown]
	s_waitcnt vmcnt(58) lgkmcnt(0)
	v_mul_f64 v[81:82], v[7:8], v[83:84]
	ds_read_b128 v[1:4], v70 offset:1360
	v_mul_f64 v[77:78], v[5:6], v[83:84]
	s_waitcnt vmcnt(56)
	v_fma_f64 v[15:16], v[9:10], v[73:74], -v[15:16]
	v_add_f64 v[21:22], v[21:22], v[63:64]
	v_fma_f64 v[63:64], v[11:12], v[73:74], v[130:131]
	v_add_f64 v[13:14], v[13:14], v[57:58]
	s_clause 0x4
	buffer_load_dword v58, off, s[0:3], 0 offset:588
	buffer_load_dword v73, off, s[0:3], 0 offset:600
	;; [unrolled: 1-line block ×5, first 2 shown]
	ds_read_b128 v[9:12], v70 offset:1376
	s_waitcnt vmcnt(57) lgkmcnt(1)
	v_mul_f64 v[130:131], v[1:2], v[33:34]
	v_mul_f64 v[33:34], v[3:4], v[33:34]
	s_waitcnt vmcnt(56)
	v_fma_f64 v[81:82], v[5:6], v[126:127], -v[81:82]
	v_add_f64 v[15:16], v[21:22], v[15:16]
	v_fma_f64 v[21:22], v[7:8], v[126:127], v[77:78]
	v_add_f64 v[13:14], v[13:14], v[63:64]
	s_clause 0x2
	buffer_load_dword v74, off, s[0:3], 0 offset:604
	buffer_load_dword v64, off, s[0:3], 0 offset:580
	;; [unrolled: 1-line block ×3, first 2 shown]
	ds_read_b128 v[5:8], v70 offset:1392
	s_waitcnt vmcnt(58) lgkmcnt(1)
	v_mul_f64 v[77:78], v[9:10], v[75:76]
	v_mul_f64 v[75:76], v[11:12], v[75:76]
	s_waitcnt vmcnt(56)
	v_fma_f64 v[33:34], v[1:2], v[27:28], -v[33:34]
	v_fma_f64 v[27:28], v[3:4], v[27:28], v[130:131]
	v_add_f64 v[15:16], v[15:16], v[81:82]
	v_add_f64 v[13:14], v[13:14], v[21:22]
	s_clause 0x4
	buffer_load_dword v22, off, s[0:3], 0 offset:620
	buffer_load_dword v81, off, s[0:3], 0 offset:632
	buffer_load_dword v126, off, s[0:3], 0 offset:624
	buffer_load_dword v21, off, s[0:3], 0 offset:616
	buffer_load_dword v84, off, s[0:3], 0 offset:596
	ds_read_b128 v[1:4], v70 offset:1408
	s_waitcnt vmcnt(57) lgkmcnt(1)
	v_mul_f64 v[130:131], v[5:6], v[19:20]
	v_mul_f64 v[19:20], v[7:8], v[19:20]
	s_waitcnt vmcnt(56)
	v_fma_f64 v[75:76], v[9:10], v[128:129], -v[75:76]
	v_add_f64 v[15:16], v[15:16], v[33:34]
	v_fma_f64 v[33:34], v[11:12], v[128:129], v[77:78]
	v_add_f64 v[13:14], v[13:14], v[27:28]
	s_clause 0x2
	buffer_load_dword v82, off, s[0:3], 0 offset:636
	buffer_load_dword v28, off, s[0:3], 0 offset:612
	;; [unrolled: 1-line block ×3, first 2 shown]
	ds_read_b128 v[9:12], v70 offset:1424
	s_waitcnt vmcnt(58) lgkmcnt(1)
	v_mul_f64 v[77:78], v[1:2], v[37:38]
	v_mul_f64 v[37:38], v[3:4], v[37:38]
	s_waitcnt vmcnt(56)
	v_fma_f64 v[19:20], v[5:6], v[25:26], -v[19:20]
	v_fma_f64 v[25:26], v[7:8], v[25:26], v[130:131]
	v_add_f64 v[15:16], v[15:16], v[75:76]
	v_add_f64 v[13:14], v[13:14], v[33:34]
	s_clause 0x4
	buffer_load_dword v34, off, s[0:3], 0 offset:652
	buffer_load_dword v75, off, s[0:3], 0 offset:664
	;; [unrolled: 1-line block ×5, first 2 shown]
	ds_read_b128 v[5:8], v70 offset:1440
	s_waitcnt vmcnt(57) lgkmcnt(1)
	v_mul_f64 v[129:130], v[9:10], v[23:24]
	v_mul_f64 v[23:24], v[11:12], v[23:24]
	s_waitcnt vmcnt(56)
	v_fma_f64 v[37:38], v[1:2], v[85:86], -v[37:38]
	v_add_f64 v[15:16], v[15:16], v[19:20]
	v_fma_f64 v[19:20], v[3:4], v[85:86], v[77:78]
	v_add_f64 v[13:14], v[13:14], v[25:26]
	s_clause 0x2
	buffer_load_dword v76, off, s[0:3], 0 offset:668
	buffer_load_dword v26, off, s[0:3], 0 offset:644
	;; [unrolled: 1-line block ×3, first 2 shown]
	s_waitcnt vmcnt(58) lgkmcnt(0)
	v_mul_f64 v[77:78], v[5:6], v[45:46]
	v_mul_f64 v[45:46], v[7:8], v[45:46]
	ds_read_b128 v[1:4], v70 offset:1456
	s_waitcnt vmcnt(56)
	v_fma_f64 v[23:24], v[9:10], v[31:32], -v[23:24]
	v_fma_f64 v[31:32], v[11:12], v[31:32], v[129:130]
	v_add_f64 v[15:16], v[15:16], v[37:38]
	v_add_f64 v[13:14], v[13:14], v[19:20]
	s_clause 0x4
	buffer_load_dword v20, off, s[0:3], 0 offset:684
	buffer_load_dword v37, off, s[0:3], 0 offset:696
	;; [unrolled: 1-line block ×5, first 2 shown]
	ds_read_b128 v[9:12], v70 offset:1472
	s_waitcnt vmcnt(57) lgkmcnt(1)
	v_mul_f64 v[86:87], v[1:2], v[29:30]
	v_mul_f64 v[29:30], v[3:4], v[29:30]
	s_waitcnt vmcnt(56)
	v_fma_f64 v[45:46], v[5:6], v[71:72], -v[45:46]
	v_add_f64 v[15:16], v[15:16], v[23:24]
	v_fma_f64 v[23:24], v[7:8], v[71:72], v[77:78]
	v_add_f64 v[13:14], v[13:14], v[31:32]
	s_clause 0x2
	buffer_load_dword v38, off, s[0:3], 0 offset:700
	buffer_load_dword v32, off, s[0:3], 0 offset:676
	;; [unrolled: 1-line block ×3, first 2 shown]
	s_waitcnt vmcnt(58) lgkmcnt(0)
	v_mul_f64 v[71:72], v[9:10], v[51:52]
	v_mul_f64 v[51:52], v[11:12], v[51:52]
	ds_read_b128 v[5:8], v70 offset:1488
	s_waitcnt vmcnt(56)
	v_fma_f64 v[29:30], v[1:2], v[41:42], -v[29:30]
	v_fma_f64 v[41:42], v[3:4], v[41:42], v[86:87]
	v_add_f64 v[15:16], v[15:16], v[45:46]
	v_add_f64 v[13:14], v[13:14], v[23:24]
	s_clause 0x4
	buffer_load_dword v24, off, s[0:3], 0 offset:716
	buffer_load_dword v45, off, s[0:3], 0 offset:728
	buffer_load_dword v77, off, s[0:3], 0 offset:720
	buffer_load_dword v23, off, s[0:3], 0 offset:712
	buffer_load_dword v86, off, s[0:3], 0 offset:692
	ds_read_b128 v[1:4], v70 offset:1504
	s_waitcnt vmcnt(57) lgkmcnt(1)
	v_mul_f64 v[130:131], v[5:6], v[35:36]
	v_mul_f64 v[35:36], v[7:8], v[35:36]
	s_waitcnt vmcnt(56)
	v_fma_f64 v[51:52], v[9:10], v[53:54], -v[51:52]
	v_add_f64 v[15:16], v[15:16], v[29:30]
	v_fma_f64 v[29:30], v[11:12], v[53:54], v[71:72]
	v_add_f64 v[13:14], v[13:14], v[41:42]
	s_clause 0x2
	buffer_load_dword v46, off, s[0:3], 0 offset:732
	buffer_load_dword v42, off, s[0:3], 0 offset:708
	buffer_load_dword v41, off, s[0:3], 0 offset:704
	ds_read_b128 v[9:12], v70 offset:1520
	s_waitcnt vmcnt(58) lgkmcnt(1)
	v_mul_f64 v[53:54], v[1:2], v[59:60]
	v_mul_f64 v[59:60], v[3:4], v[59:60]
	s_waitcnt vmcnt(56)
	v_fma_f64 v[35:36], v[5:6], v[39:40], -v[35:36]
	v_fma_f64 v[39:40], v[7:8], v[39:40], v[130:131]
	v_add_f64 v[15:16], v[15:16], v[51:52]
	v_add_f64 v[13:14], v[13:14], v[29:30]
	s_clause 0x4
	buffer_load_dword v30, off, s[0:3], 0 offset:748
	buffer_load_dword v51, off, s[0:3], 0 offset:760
	buffer_load_dword v71, off, s[0:3], 0 offset:752
	buffer_load_dword v29, off, s[0:3], 0 offset:744
	buffer_load_dword v78, off, s[0:3], 0 offset:724
	ds_read_b128 v[5:8], v70 offset:1536
	s_waitcnt vmcnt(57) lgkmcnt(1)
	v_mul_f64 v[130:131], v[9:10], v[43:44]
	v_mul_f64 v[43:44], v[11:12], v[43:44]
	s_waitcnt vmcnt(56)
	v_fma_f64 v[59:60], v[1:2], v[61:62], -v[59:60]
	v_add_f64 v[15:16], v[15:16], v[35:36]
	v_fma_f64 v[35:36], v[3:4], v[61:62], v[53:54]
	v_add_f64 v[13:14], v[13:14], v[39:40]
	s_clause 0x2
	buffer_load_dword v52, off, s[0:3], 0 offset:764
	buffer_load_dword v40, off, s[0:3], 0 offset:740
	buffer_load_dword v39, off, s[0:3], 0 offset:736
	ds_read_b128 v[1:4], v70 offset:1552
	s_waitcnt vmcnt(58) lgkmcnt(1)
	v_mul_f64 v[61:62], v[7:8], v[65:66]
	v_mul_f64 v[53:54], v[5:6], v[65:66]
	;; [unrolled: 28-line block ×4, first 2 shown]
	s_waitcnt vmcnt(56)
	v_fma_f64 v[57:58], v[5:6], v[63:64], -v[57:58]
	v_add_f64 v[15:16], v[15:16], v[55:56]
	v_fma_f64 v[55:56], v[7:8], v[63:64], v[130:131]
	v_add_f64 v[13:14], v[13:14], v[49:50]
	s_clause 0x4
	buffer_load_dword v50, off, s[0:3], 0 offset:844
	buffer_load_dword v63, off, s[0:3], 0 offset:856
	;; [unrolled: 1-line block ×5, first 2 shown]
	ds_read_b128 v[5:8], v70 offset:1632
	s_waitcnt vmcnt(57) lgkmcnt(1)
	v_mul_f64 v[130:131], v[9:10], v[21:22]
	v_mul_f64 v[21:22], v[11:12], v[21:22]
	s_waitcnt vmcnt(56)
	v_fma_f64 v[73:74], v[1:2], v[83:84], -v[73:74]
	v_fma_f64 v[53:54], v[3:4], v[83:84], v[53:54]
	v_add_f64 v[15:16], v[15:16], v[57:58]
	v_add_f64 v[13:14], v[13:14], v[55:56]
	s_clause 0x2
	buffer_load_dword v64, off, s[0:3], 0 offset:860
	buffer_load_dword v56, off, s[0:3], 0 offset:836
	buffer_load_dword v55, off, s[0:3], 0 offset:832
	ds_read_b128 v[1:4], v70 offset:1648
	s_waitcnt vmcnt(58) lgkmcnt(1)
	v_mul_f64 v[57:58], v[5:6], v[81:82]
	v_mul_f64 v[81:82], v[7:8], v[81:82]
	s_waitcnt vmcnt(56)
	v_fma_f64 v[21:22], v[9:10], v[27:28], -v[21:22]
	v_fma_f64 v[27:28], v[11:12], v[27:28], v[130:131]
	v_add_f64 v[15:16], v[15:16], v[73:74]
	v_add_f64 v[13:14], v[13:14], v[53:54]
	s_clause 0x4
	buffer_load_dword v54, off, s[0:3], 0 offset:876
	buffer_load_dword v73, off, s[0:3], 0 offset:888
	buffer_load_dword v83, off, s[0:3], 0 offset:880
	buffer_load_dword v53, off, s[0:3], 0 offset:872
	buffer_load_dword v80, off, s[0:3], 0 offset:852
	ds_read_b128 v[9:12], v70 offset:1664
	s_waitcnt vmcnt(57) lgkmcnt(1)
	v_mul_f64 v[130:131], v[1:2], v[33:34]
	v_mul_f64 v[33:34], v[3:4], v[33:34]
	s_waitcnt vmcnt(56)
	v_fma_f64 v[81:82], v[5:6], v[126:127], -v[81:82]
	v_add_f64 v[15:16], v[15:16], v[21:22]
	v_fma_f64 v[21:22], v[7:8], v[126:127], v[57:58]
	v_add_f64 v[13:14], v[13:14], v[27:28]
	s_clause 0x2
	buffer_load_dword v74, off, s[0:3], 0 offset:892
	buffer_load_dword v28, off, s[0:3], 0 offset:868
	buffer_load_dword v27, off, s[0:3], 0 offset:864
	ds_read_b128 v[5:8], v70 offset:1680
	s_waitcnt vmcnt(58) lgkmcnt(1)
	v_mul_f64 v[57:58], v[9:10], v[75:76]
	v_mul_f64 v[75:76], v[11:12], v[75:76]
	s_waitcnt vmcnt(56)
	v_fma_f64 v[33:34], v[1:2], v[25:26], -v[33:34]
	v_fma_f64 v[25:26], v[3:4], v[25:26], v[130:131]
	v_add_f64 v[15:16], v[15:16], v[81:82]
	v_add_f64 v[13:14], v[13:14], v[21:22]
	s_clause 0x4
	buffer_load_dword v22, off, s[0:3], 0 offset:908
	buffer_load_dword v81, off, s[0:3], 0 offset:920
	buffer_load_dword v126, off, s[0:3], 0 offset:912
	buffer_load_dword v21, off, s[0:3], 0 offset:904
	buffer_load_dword v84, off, s[0:3], 0 offset:884
	ds_read_b128 v[1:4], v70 offset:1696
	s_waitcnt vmcnt(57) lgkmcnt(1)
	v_mul_f64 v[130:131], v[5:6], v[19:20]
	v_mul_f64 v[19:20], v[7:8], v[19:20]
	s_waitcnt vmcnt(56)
	v_fma_f64 v[75:76], v[9:10], v[128:129], -v[75:76]
	v_add_f64 v[15:16], v[15:16], v[33:34]
	v_fma_f64 v[33:34], v[11:12], v[128:129], v[57:58]
	;; [unrolled: 28-line block ×3, first 2 shown]
	v_add_f64 v[13:14], v[13:14], v[31:32]
	s_clause 0x2
	buffer_load_dword v76, off, s[0:3], 0 offset:956
	buffer_load_dword v32, off, s[0:3], 0 offset:932
	;; [unrolled: 1-line block ×3, first 2 shown]
	ds_read_b128 v[1:4], v70 offset:1744
	s_waitcnt vmcnt(58) lgkmcnt(1)
	v_mul_f64 v[57:58], v[5:6], v[45:46]
	v_mul_f64 v[45:46], v[7:8], v[45:46]
	s_waitcnt vmcnt(56)
	v_fma_f64 v[23:24], v[9:10], v[41:42], -v[23:24]
	v_add_f64 v[15:16], v[15:16], v[37:38]
	v_fma_f64 v[37:38], v[11:12], v[41:42], v[129:130]
	v_add_f64 v[13:14], v[13:14], v[19:20]
	s_clause 0x4
	buffer_load_dword v20, off, s[0:3], 0 offset:972
	buffer_load_dword v41, off, s[0:3], 0 offset:984
	;; [unrolled: 1-line block ×5, first 2 shown]
	ds_read_b128 v[9:12], v70 offset:1760
	s_waitcnt vmcnt(57) lgkmcnt(1)
	v_mul_f64 v[86:87], v[1:2], v[29:30]
	v_mul_f64 v[29:30], v[3:4], v[29:30]
	s_waitcnt vmcnt(56)
	v_fma_f64 v[45:46], v[5:6], v[77:78], -v[45:46]
	v_add_f64 v[15:16], v[15:16], v[23:24]
	v_fma_f64 v[23:24], v[7:8], v[77:78], v[57:58]
	v_add_f64 v[13:14], v[13:14], v[37:38]
	s_clause 0x2
	buffer_load_dword v42, off, s[0:3], 0 offset:988
	buffer_load_dword v38, off, s[0:3], 0 offset:964
	;; [unrolled: 1-line block ×3, first 2 shown]
	ds_read_b128 v[5:8], v70 offset:1776
	s_waitcnt vmcnt(58) lgkmcnt(1)
	v_mul_f64 v[57:58], v[9:10], v[51:52]
	v_mul_f64 v[51:52], v[11:12], v[51:52]
	s_waitcnt vmcnt(56)
	v_fma_f64 v[29:30], v[1:2], v[39:40], -v[29:30]
	v_fma_f64 v[39:40], v[3:4], v[39:40], v[86:87]
	v_add_f64 v[15:16], v[15:16], v[45:46]
	v_add_f64 v[13:14], v[13:14], v[23:24]
	s_clause 0x4
	buffer_load_dword v24, off, s[0:3], 0 offset:1004
	buffer_load_dword v45, off, s[0:3], 0 offset:1016
	buffer_load_dword v77, off, s[0:3], 0 offset:1008
	buffer_load_dword v23, off, s[0:3], 0 offset:1000
	buffer_load_dword v86, off, s[0:3], 0 offset:980
	ds_read_b128 v[1:4], v70 offset:1792
	s_waitcnt vmcnt(57) lgkmcnt(1)
	v_mul_f64 v[130:131], v[5:6], v[35:36]
	v_mul_f64 v[35:36], v[7:8], v[35:36]
	s_waitcnt vmcnt(56)
	v_fma_f64 v[51:52], v[9:10], v[71:72], -v[51:52]
	v_add_f64 v[15:16], v[15:16], v[29:30]
	v_fma_f64 v[29:30], v[11:12], v[71:72], v[57:58]
	v_add_f64 v[13:14], v[13:14], v[39:40]
	s_clause 0x2
	buffer_load_dword v46, off, s[0:3], 0 offset:1020
	buffer_load_dword v40, off, s[0:3], 0 offset:996
	buffer_load_dword v39, off, s[0:3], 0 offset:992
	ds_read_b128 v[9:12], v70 offset:1808
	s_waitcnt vmcnt(58) lgkmcnt(1)
	v_mul_f64 v[57:58], v[1:2], v[59:60]
	v_mul_f64 v[59:60], v[3:4], v[59:60]
	s_waitcnt vmcnt(56)
	v_fma_f64 v[35:36], v[5:6], v[47:48], -v[35:36]
	v_fma_f64 v[47:48], v[7:8], v[47:48], v[130:131]
	v_add_f64 v[15:16], v[15:16], v[51:52]
	v_add_f64 v[13:14], v[13:14], v[29:30]
	s_clause 0x2
	buffer_load_dword v30, off, s[0:3], 0 offset:1036
	buffer_load_dword v29, off, s[0:3], 0 offset:1032
	;; [unrolled: 1-line block ×3, first 2 shown]
	ds_read_b128 v[5:8], v70 offset:1824
	s_waitcnt vmcnt(55) lgkmcnt(1)
	v_mul_f64 v[51:52], v[9:10], v[43:44]
	v_mul_f64 v[43:44], v[11:12], v[43:44]
	s_waitcnt vmcnt(54)
	v_fma_f64 v[59:60], v[1:2], v[65:66], -v[59:60]
	v_add_f64 v[15:16], v[15:16], v[35:36]
	v_fma_f64 v[35:36], v[3:4], v[65:66], v[57:58]
	v_add_f64 v[13:14], v[13:14], v[47:48]
	s_clause 0x1
	buffer_load_dword v48, off, s[0:3], 0 offset:1028
	buffer_load_dword v47, off, s[0:3], 0 offset:1024
	ds_read_b128 v[1:4], v70 offset:1840
	s_waitcnt vmcnt(55) lgkmcnt(1)
	v_mul_f64 v[57:58], v[5:6], v[61:62]
	v_mul_f64 v[61:62], v[7:8], v[61:62]
	s_waitcnt vmcnt(53)
	v_fma_f64 v[43:44], v[9:10], v[17:18], -v[43:44]
	v_fma_f64 v[17:18], v[11:12], v[17:18], v[51:52]
	ds_read_b128 v[9:12], v70 offset:1856
	v_add_f64 v[15:16], v[15:16], v[59:60]
	v_add_f64 v[13:14], v[13:14], v[35:36]
	s_waitcnt vmcnt(49) lgkmcnt(1)
	v_mul_f64 v[35:36], v[1:2], v[49:50]
	v_mul_f64 v[49:50], v[3:4], v[49:50]
	s_waitcnt vmcnt(48)
	v_fma_f64 v[51:52], v[5:6], v[67:68], -v[61:62]
	v_add_f64 v[15:16], v[15:16], v[43:44]
	v_fma_f64 v[43:44], v[7:8], v[67:68], v[57:58]
	v_add_f64 v[13:14], v[13:14], v[17:18]
	s_clause 0x3
	buffer_load_dword v17, off, s[0:3], 0 offset:32
	buffer_load_dword v18, off, s[0:3], 0 offset:36
	buffer_load_dword v57, off, s[0:3], 0 offset:40
	buffer_load_dword v58, off, s[0:3], 0 offset:44
	ds_read_b128 v[5:8], v70 offset:1872
	s_waitcnt vmcnt(51) lgkmcnt(1)
	v_mul_f64 v[61:62], v[11:12], v[63:64]
	v_mul_f64 v[59:60], v[9:10], v[63:64]
	s_waitcnt vmcnt(49)
	v_fma_f64 v[49:50], v[1:2], v[55:56], -v[49:50]
	v_fma_f64 v[35:36], v[3:4], v[55:56], v[35:36]
	ds_read_b128 v[1:4], v70 offset:1888
	v_add_f64 v[15:16], v[15:16], v[51:52]
	v_add_f64 v[13:14], v[13:14], v[43:44]
	s_waitcnt vmcnt(45) lgkmcnt(1)
	v_mul_f64 v[43:44], v[5:6], v[53:54]
	v_mul_f64 v[51:52], v[7:8], v[53:54]
	s_waitcnt vmcnt(44)
	v_fma_f64 v[53:54], v[9:10], v[79:80], -v[61:62]
	v_add_f64 v[15:16], v[15:16], v[49:50]
	v_fma_f64 v[49:50], v[11:12], v[79:80], v[59:60]
	v_add_f64 v[13:14], v[13:14], v[35:36]
	ds_read_b128 v[9:12], v70 offset:1904
	s_waitcnt vmcnt(43) lgkmcnt(1)
	v_mul_f64 v[55:56], v[3:4], v[73:74]
	v_mul_f64 v[35:36], v[1:2], v[73:74]
	s_waitcnt vmcnt(41)
	v_fma_f64 v[51:52], v[5:6], v[27:28], -v[51:52]
	v_fma_f64 v[27:28], v[7:8], v[27:28], v[43:44]
	ds_read_b128 v[5:8], v70 offset:1920
	v_add_f64 v[15:16], v[15:16], v[53:54]
	v_add_f64 v[13:14], v[13:14], v[49:50]
	s_waitcnt vmcnt(37) lgkmcnt(1)
	v_mul_f64 v[43:44], v[9:10], v[21:22]
	v_mul_f64 v[21:22], v[11:12], v[21:22]
	s_waitcnt vmcnt(36)
	v_fma_f64 v[49:50], v[1:2], v[83:84], -v[55:56]
	v_fma_f64 v[35:36], v[3:4], v[83:84], v[35:36]
	ds_read_b128 v[1:4], v70 offset:1936
	v_add_f64 v[15:16], v[15:16], v[51:52]
	v_add_f64 v[13:14], v[13:14], v[27:28]
	;; [unrolled: 9-line block ×3, first 2 shown]
	s_waitcnt vmcnt(29) lgkmcnt(1)
	v_mul_f64 v[35:36], v[1:2], v[33:34]
	v_mul_f64 v[33:34], v[3:4], v[33:34]
	s_waitcnt vmcnt(28)
	v_fma_f64 v[43:44], v[5:6], v[126:127], -v[51:52]
	v_add_f64 v[15:16], v[15:16], v[21:22]
	v_fma_f64 v[21:22], v[7:8], v[126:127], v[27:28]
	v_add_f64 v[13:14], v[13:14], v[25:26]
	ds_read_b128 v[5:8], v70 offset:1968
	s_waitcnt vmcnt(27) lgkmcnt(1)
	v_mul_f64 v[27:28], v[11:12], v[75:76]
	v_mul_f64 v[25:26], v[9:10], v[75:76]
	s_waitcnt vmcnt(25)
	v_fma_f64 v[33:34], v[1:2], v[31:32], -v[33:34]
	v_fma_f64 v[31:32], v[3:4], v[31:32], v[35:36]
	ds_read_b128 v[1:4], v70 offset:1984
	v_add_f64 v[15:16], v[15:16], v[43:44]
	v_add_f64 v[13:14], v[13:14], v[21:22]
	s_waitcnt vmcnt(21) lgkmcnt(1)
	v_mul_f64 v[21:22], v[5:6], v[19:20]
	v_mul_f64 v[19:20], v[7:8], v[19:20]
	s_waitcnt vmcnt(20)
	v_fma_f64 v[27:28], v[9:10], v[128:129], -v[27:28]
	v_fma_f64 v[25:26], v[11:12], v[128:129], v[25:26]
	ds_read_b128 v[9:12], v70 offset:2000
	v_add_f64 v[15:16], v[15:16], v[33:34]
	v_add_f64 v[13:14], v[13:14], v[31:32]
	;; [unrolled: 9-line block ×3, first 2 shown]
	s_waitcnt vmcnt(13) lgkmcnt(1)
	v_mul_f64 v[25:26], v[9:10], v[23:24]
	v_mul_f64 v[23:24], v[11:12], v[23:24]
	s_waitcnt vmcnt(12)
	v_fma_f64 v[27:28], v[1:2], v[85:86], -v[33:34]
	v_add_f64 v[15:16], v[15:16], v[19:20]
	v_fma_f64 v[19:20], v[3:4], v[85:86], v[31:32]
	v_add_f64 v[13:14], v[13:14], v[21:22]
	ds_read_b128 v[1:4], v70 offset:2032
	s_waitcnt vmcnt(11) lgkmcnt(1)
	v_mul_f64 v[31:32], v[7:8], v[45:46]
	v_mul_f64 v[21:22], v[5:6], v[45:46]
	s_waitcnt vmcnt(9)
	v_fma_f64 v[9:10], v[9:10], v[39:40], -v[23:24]
	v_fma_f64 v[11:12], v[11:12], v[39:40], v[25:26]
	v_add_f64 v[15:16], v[15:16], v[27:28]
	v_add_f64 v[13:14], v[13:14], v[19:20]
	s_waitcnt vmcnt(7) lgkmcnt(0)
	v_mul_f64 v[23:24], v[3:4], v[29:30]
	s_waitcnt vmcnt(6)
	v_fma_f64 v[5:6], v[5:6], v[77:78], -v[31:32]
	v_mul_f64 v[19:20], v[1:2], v[29:30]
	v_fma_f64 v[7:8], v[7:8], v[77:78], v[21:22]
	v_add_f64 v[9:10], v[15:16], v[9:10]
	v_add_f64 v[11:12], v[13:14], v[11:12]
	s_waitcnt vmcnt(4)
	v_fma_f64 v[1:2], v[1:2], v[47:48], -v[23:24]
	v_fma_f64 v[3:4], v[3:4], v[47:48], v[19:20]
	v_add_f64 v[5:6], v[9:10], v[5:6]
	v_add_f64 v[7:8], v[11:12], v[7:8]
	;; [unrolled: 1-line block ×4, first 2 shown]
	s_waitcnt vmcnt(2)
	v_add_f64 v[1:2], v[17:18], -v[1:2]
	s_waitcnt vmcnt(0)
	v_add_f64 v[3:4], v[57:58], -v[3:4]
	buffer_store_dword v2, off, s[0:3], 0 offset:36
	buffer_store_dword v1, off, s[0:3], 0 offset:32
	;; [unrolled: 1-line block ×4, first 2 shown]
	v_cmpx_ne_u32_e32 0, v0
	s_cbranch_execz .LBB63_409
; %bb.408:
	s_clause 0x3
	buffer_load_dword v0, off, s[0:3], 0 offset:16
	buffer_load_dword v1, off, s[0:3], 0 offset:20
	;; [unrolled: 1-line block ×4, first 2 shown]
	v_mov_b32_e32 v4, 0
	buffer_store_dword v4, off, s[0:3], 0 offset:16
	buffer_store_dword v4, off, s[0:3], 0 offset:20
	;; [unrolled: 1-line block ×4, first 2 shown]
	s_waitcnt vmcnt(0)
	ds_write_b128 v69, v[0:3]
.LBB63_409:
	s_or_b32 exec_lo, exec_lo, s5
	v_mov_b32_e32 v178, v176
	v_mov_b32_e32 v177, v175
	;; [unrolled: 1-line block ×10, first 2 shown]
	s_waitcnt lgkmcnt(0)
	s_waitcnt_vscnt null, 0x0
	s_barrier
	buffer_gl0_inv
.LBB63_410:                             ; =>This Inner Loop Header: Depth=1
	v_add_nc_u32_e64 v4, s4, 16
	v_mov_b32_e32 v56, s4
	s_addk_i32 s4, 0x90
	s_clause 0x23
	buffer_load_dword v12, v4, s[0:3], 0 offen offset:24
	buffer_load_dword v13, v4, s[0:3], 0 offen offset:28
	;; [unrolled: 1-line block ×36, first 2 shown]
	ds_read_b128 v[4:7], v56 offset:1040
	ds_read_b128 v[8:11], v56 offset:1056
	s_cmpk_lg_i32 s4, 0x3f0
	s_waitcnt vmcnt(34) lgkmcnt(1)
	v_mul_f64 v[48:49], v[6:7], v[12:13]
	v_mul_f64 v[12:13], v[4:5], v[12:13]
	s_waitcnt vmcnt(30) lgkmcnt(0)
	v_mul_f64 v[50:51], v[10:11], v[16:17]
	v_mul_f64 v[16:17], v[8:9], v[16:17]
	v_fma_f64 v[48:49], v[4:5], v[14:15], -v[48:49]
	v_fma_f64 v[52:53], v[6:7], v[14:15], v[12:13]
	ds_read_b128 v[4:7], v56 offset:1072
	ds_read_b128 v[12:15], v56 offset:1088
	s_waitcnt vmcnt(28)
	v_fma_f64 v[8:9], v[8:9], v[18:19], -v[50:51]
	v_fma_f64 v[10:11], v[10:11], v[18:19], v[16:17]
	s_waitcnt vmcnt(26) lgkmcnt(1)
	v_mul_f64 v[54:55], v[6:7], v[20:21]
	v_mul_f64 v[20:21], v[4:5], v[20:21]
	v_add_f64 v[2:3], v[2:3], v[48:49]
	v_add_f64 v[0:1], v[0:1], v[52:53]
	s_waitcnt vmcnt(22) lgkmcnt(0)
	v_mul_f64 v[16:17], v[14:15], v[24:25]
	v_mul_f64 v[18:19], v[12:13], v[24:25]
	v_fma_f64 v[24:25], v[4:5], v[22:23], -v[54:55]
	v_fma_f64 v[20:21], v[6:7], v[22:23], v[20:21]
	v_add_f64 v[8:9], v[2:3], v[8:9]
	v_add_f64 v[10:11], v[0:1], v[10:11]
	ds_read_b128 v[0:3], v56 offset:1104
	ds_read_b128 v[4:7], v56 offset:1120
	s_waitcnt vmcnt(20)
	v_fma_f64 v[12:13], v[12:13], v[26:27], -v[16:17]
	v_fma_f64 v[14:15], v[14:15], v[26:27], v[18:19]
	s_waitcnt vmcnt(16) lgkmcnt(1)
	v_mul_f64 v[22:23], v[2:3], v[28:29]
	v_mul_f64 v[28:29], v[0:1], v[28:29]
	v_add_f64 v[8:9], v[8:9], v[24:25]
	v_add_f64 v[10:11], v[10:11], v[20:21]
	s_waitcnt vmcnt(14) lgkmcnt(0)
	v_mul_f64 v[16:17], v[6:7], v[30:31]
	v_mul_f64 v[18:19], v[4:5], v[30:31]
	s_waitcnt vmcnt(12)
	v_fma_f64 v[20:21], v[0:1], v[34:35], -v[22:23]
	v_fma_f64 v[22:23], v[2:3], v[34:35], v[28:29]
	v_add_f64 v[12:13], v[8:9], v[12:13]
	v_add_f64 v[14:15], v[10:11], v[14:15]
	ds_read_b128 v[0:3], v56 offset:1136
	ds_read_b128 v[8:11], v56 offset:1152
	v_fma_f64 v[4:5], v[4:5], v[32:33], -v[16:17]
	v_fma_f64 v[6:7], v[6:7], v[32:33], v[18:19]
	s_waitcnt vmcnt(8) lgkmcnt(1)
	v_mul_f64 v[24:25], v[2:3], v[36:37]
	v_mul_f64 v[26:27], v[0:1], v[36:37]
	v_add_f64 v[12:13], v[12:13], v[20:21]
	v_add_f64 v[14:15], v[14:15], v[22:23]
	s_waitcnt vmcnt(6) lgkmcnt(0)
	v_mul_f64 v[16:17], v[10:11], v[38:39]
	v_mul_f64 v[18:19], v[8:9], v[38:39]
	s_waitcnt vmcnt(4)
	v_fma_f64 v[20:21], v[0:1], v[42:43], -v[24:25]
	v_fma_f64 v[22:23], v[2:3], v[42:43], v[26:27]
	v_add_f64 v[4:5], v[12:13], v[4:5]
	v_add_f64 v[6:7], v[14:15], v[6:7]
	ds_read_b128 v[0:3], v56 offset:1168
	v_fma_f64 v[8:9], v[8:9], v[40:41], -v[16:17]
	v_fma_f64 v[10:11], v[10:11], v[40:41], v[18:19]
	s_waitcnt vmcnt(2) lgkmcnt(0)
	v_mul_f64 v[12:13], v[2:3], v[44:45]
	v_mul_f64 v[14:15], v[0:1], v[44:45]
	v_add_f64 v[4:5], v[4:5], v[20:21]
	v_add_f64 v[6:7], v[6:7], v[22:23]
	s_waitcnt vmcnt(0)
	v_fma_f64 v[0:1], v[0:1], v[46:47], -v[12:13]
	v_fma_f64 v[12:13], v[2:3], v[46:47], v[14:15]
	v_add_f64 v[2:3], v[4:5], v[8:9]
	v_add_f64 v[4:5], v[6:7], v[10:11]
	v_add_f64 v[2:3], v[2:3], v[0:1]
	v_add_f64 v[0:1], v[4:5], v[12:13]
	s_cbranch_scc1 .LBB63_410
; %bb.411:
	s_clause 0x3
	buffer_load_dword v4, off, s[0:3], 0 offset:16
	buffer_load_dword v5, off, s[0:3], 0 offset:20
	;; [unrolled: 1-line block ×4, first 2 shown]
	v_mov_b32_e32 v186, v184
	v_mov_b32_e32 v135, v181
	;; [unrolled: 1-line block ×8, first 2 shown]
	s_and_b32 vcc_lo, exec_lo, s78
	s_waitcnt vmcnt(2)
	v_add_f64 v[2:3], v[4:5], -v[2:3]
	s_waitcnt vmcnt(0)
	v_add_f64 v[0:1], v[6:7], -v[0:1]
	buffer_store_dword v2, off, s[0:3], 0 offset:16
	buffer_store_dword v3, off, s[0:3], 0 offset:20
	;; [unrolled: 1-line block ×4, first 2 shown]
	s_cbranch_vccz .LBB63_538
; %bb.412:
	v_mov_b32_e32 v0, 0
	global_load_dword v1, v0, s[20:21] offset:248
	s_waitcnt vmcnt(0)
	v_add_nc_u32_e32 v1, -1, v1
	v_cmp_ne_u32_e32 vcc_lo, 62, v1
	s_cbranch_vccz .LBB63_414
; %bb.413:
	v_lshlrev_b32_e32 v1, 4, v1
	v_mov_b32_e32 v2, s13
	v_add_nc_u32_e32 v1, 16, v1
	s_clause 0x7
	buffer_load_dword v3, v1, s[0:3], 0 offen
	buffer_load_dword v4, v1, s[0:3], 0 offen offset:4
	buffer_load_dword v5, v1, s[0:3], 0 offen offset:8
	;; [unrolled: 1-line block ×6, first 2 shown]
	buffer_load_dword v10, v2, s[0:3], 0 offen
	s_waitcnt vmcnt(7)
	buffer_store_dword v3, v2, s[0:3], 0 offen
	s_waitcnt vmcnt(6)
	buffer_store_dword v4, v2, s[0:3], 0 offen offset:4
	s_waitcnt vmcnt(5)
	buffer_store_dword v5, v2, s[0:3], 0 offen offset:8
	;; [unrolled: 2-line block ×6, first 2 shown]
	s_waitcnt vmcnt(0)
	buffer_store_dword v10, v1, s[0:3], 0 offen
.LBB63_414:
	global_load_dword v0, v0, s[20:21] offset:244
	s_waitcnt vmcnt(0)
	v_add_nc_u32_e32 v0, -1, v0
	v_cmp_eq_u32_e32 vcc_lo, 61, v0
	s_cbranch_vccnz .LBB63_416
; %bb.415:
	v_lshlrev_b32_e32 v0, 4, v0
	v_mov_b32_e32 v1, s14
	v_add_nc_u32_e32 v0, 16, v0
	s_clause 0x7
	buffer_load_dword v2, v0, s[0:3], 0 offen
	buffer_load_dword v3, v0, s[0:3], 0 offen offset:4
	buffer_load_dword v4, v0, s[0:3], 0 offen offset:8
	;; [unrolled: 1-line block ×6, first 2 shown]
	buffer_load_dword v9, v1, s[0:3], 0 offen
	s_waitcnt vmcnt(7)
	buffer_store_dword v2, v1, s[0:3], 0 offen
	s_waitcnt vmcnt(6)
	buffer_store_dword v3, v1, s[0:3], 0 offen offset:4
	s_waitcnt vmcnt(5)
	buffer_store_dword v4, v1, s[0:3], 0 offen offset:8
	;; [unrolled: 2-line block ×6, first 2 shown]
	s_waitcnt vmcnt(0)
	buffer_store_dword v9, v0, s[0:3], 0 offen
.LBB63_416:
	v_mov_b32_e32 v0, 0
	global_load_dword v1, v0, s[20:21] offset:240
	s_waitcnt vmcnt(0)
	v_add_nc_u32_e32 v1, -1, v1
	v_cmp_eq_u32_e32 vcc_lo, 60, v1
	s_cbranch_vccnz .LBB63_418
; %bb.417:
	v_lshlrev_b32_e32 v1, 4, v1
	v_mov_b32_e32 v2, s15
	v_add_nc_u32_e32 v1, 16, v1
	s_clause 0x7
	buffer_load_dword v3, v1, s[0:3], 0 offen
	buffer_load_dword v4, v1, s[0:3], 0 offen offset:4
	buffer_load_dword v5, v1, s[0:3], 0 offen offset:8
	;; [unrolled: 1-line block ×6, first 2 shown]
	buffer_load_dword v10, v2, s[0:3], 0 offen
	s_waitcnt vmcnt(7)
	buffer_store_dword v3, v2, s[0:3], 0 offen
	s_waitcnt vmcnt(6)
	buffer_store_dword v4, v2, s[0:3], 0 offen offset:4
	s_waitcnt vmcnt(5)
	buffer_store_dword v5, v2, s[0:3], 0 offen offset:8
	;; [unrolled: 2-line block ×6, first 2 shown]
	s_waitcnt vmcnt(0)
	buffer_store_dword v10, v1, s[0:3], 0 offen
.LBB63_418:
	global_load_dword v0, v0, s[20:21] offset:236
	s_waitcnt vmcnt(0)
	v_add_nc_u32_e32 v0, -1, v0
	v_cmp_eq_u32_e32 vcc_lo, 59, v0
	s_cbranch_vccnz .LBB63_420
; %bb.419:
	v_lshlrev_b32_e32 v0, 4, v0
	v_mov_b32_e32 v1, s16
	v_add_nc_u32_e32 v0, 16, v0
	s_clause 0x7
	buffer_load_dword v2, v0, s[0:3], 0 offen
	buffer_load_dword v3, v0, s[0:3], 0 offen offset:4
	buffer_load_dword v4, v0, s[0:3], 0 offen offset:8
	;; [unrolled: 1-line block ×6, first 2 shown]
	buffer_load_dword v9, v1, s[0:3], 0 offen
	s_waitcnt vmcnt(7)
	buffer_store_dword v2, v1, s[0:3], 0 offen
	s_waitcnt vmcnt(6)
	buffer_store_dword v3, v1, s[0:3], 0 offen offset:4
	s_waitcnt vmcnt(5)
	buffer_store_dword v4, v1, s[0:3], 0 offen offset:8
	s_waitcnt vmcnt(4)
	buffer_store_dword v5, v1, s[0:3], 0 offen offset:12
	s_waitcnt vmcnt(3)
	buffer_store_dword v6, v0, s[0:3], 0 offen offset:12
	s_waitcnt vmcnt(2)
	buffer_store_dword v7, v0, s[0:3], 0 offen offset:8
	s_waitcnt vmcnt(1)
	buffer_store_dword v8, v0, s[0:3], 0 offen offset:4
	s_waitcnt vmcnt(0)
	buffer_store_dword v9, v0, s[0:3], 0 offen
.LBB63_420:
	v_mov_b32_e32 v0, 0
	global_load_dword v1, v0, s[20:21] offset:232
	s_waitcnt vmcnt(0)
	v_add_nc_u32_e32 v1, -1, v1
	v_cmp_eq_u32_e32 vcc_lo, 58, v1
	s_cbranch_vccnz .LBB63_422
; %bb.421:
	v_lshlrev_b32_e32 v1, 4, v1
	v_mov_b32_e32 v2, s17
	v_add_nc_u32_e32 v1, 16, v1
	s_clause 0x7
	buffer_load_dword v3, v1, s[0:3], 0 offen
	buffer_load_dword v4, v1, s[0:3], 0 offen offset:4
	buffer_load_dword v5, v1, s[0:3], 0 offen offset:8
	;; [unrolled: 1-line block ×6, first 2 shown]
	buffer_load_dword v10, v2, s[0:3], 0 offen
	s_waitcnt vmcnt(7)
	buffer_store_dword v3, v2, s[0:3], 0 offen
	s_waitcnt vmcnt(6)
	buffer_store_dword v4, v2, s[0:3], 0 offen offset:4
	s_waitcnt vmcnt(5)
	buffer_store_dword v5, v2, s[0:3], 0 offen offset:8
	;; [unrolled: 2-line block ×6, first 2 shown]
	s_waitcnt vmcnt(0)
	buffer_store_dword v10, v1, s[0:3], 0 offen
.LBB63_422:
	global_load_dword v0, v0, s[20:21] offset:228
	s_waitcnt vmcnt(0)
	v_add_nc_u32_e32 v0, -1, v0
	v_cmp_eq_u32_e32 vcc_lo, 57, v0
	s_cbranch_vccnz .LBB63_424
; %bb.423:
	v_lshlrev_b32_e32 v0, 4, v0
	v_mov_b32_e32 v1, s18
	v_add_nc_u32_e32 v0, 16, v0
	s_clause 0x7
	buffer_load_dword v2, v0, s[0:3], 0 offen
	buffer_load_dword v3, v0, s[0:3], 0 offen offset:4
	buffer_load_dword v4, v0, s[0:3], 0 offen offset:8
	;; [unrolled: 1-line block ×6, first 2 shown]
	buffer_load_dword v9, v1, s[0:3], 0 offen
	s_waitcnt vmcnt(7)
	buffer_store_dword v2, v1, s[0:3], 0 offen
	s_waitcnt vmcnt(6)
	buffer_store_dword v3, v1, s[0:3], 0 offen offset:4
	s_waitcnt vmcnt(5)
	buffer_store_dword v4, v1, s[0:3], 0 offen offset:8
	;; [unrolled: 2-line block ×6, first 2 shown]
	s_waitcnt vmcnt(0)
	buffer_store_dword v9, v0, s[0:3], 0 offen
.LBB63_424:
	v_mov_b32_e32 v0, 0
	global_load_dword v1, v0, s[20:21] offset:224
	s_waitcnt vmcnt(0)
	v_add_nc_u32_e32 v1, -1, v1
	v_cmp_eq_u32_e32 vcc_lo, 56, v1
	s_cbranch_vccnz .LBB63_426
; %bb.425:
	v_lshlrev_b32_e32 v1, 4, v1
	v_mov_b32_e32 v2, s19
	v_add_nc_u32_e32 v1, 16, v1
	s_clause 0x7
	buffer_load_dword v3, v1, s[0:3], 0 offen
	buffer_load_dword v4, v1, s[0:3], 0 offen offset:4
	buffer_load_dword v5, v1, s[0:3], 0 offen offset:8
	;; [unrolled: 1-line block ×6, first 2 shown]
	buffer_load_dword v10, v2, s[0:3], 0 offen
	s_waitcnt vmcnt(7)
	buffer_store_dword v3, v2, s[0:3], 0 offen
	s_waitcnt vmcnt(6)
	buffer_store_dword v4, v2, s[0:3], 0 offen offset:4
	s_waitcnt vmcnt(5)
	buffer_store_dword v5, v2, s[0:3], 0 offen offset:8
	;; [unrolled: 2-line block ×6, first 2 shown]
	s_waitcnt vmcnt(0)
	buffer_store_dword v10, v1, s[0:3], 0 offen
.LBB63_426:
	global_load_dword v0, v0, s[20:21] offset:220
	s_waitcnt vmcnt(0)
	v_add_nc_u32_e32 v0, -1, v0
	v_cmp_eq_u32_e32 vcc_lo, 55, v0
	s_cbranch_vccnz .LBB63_428
; %bb.427:
	v_lshlrev_b32_e32 v0, 4, v0
	v_mov_b32_e32 v1, s22
	v_add_nc_u32_e32 v0, 16, v0
	s_clause 0x7
	buffer_load_dword v2, v0, s[0:3], 0 offen
	buffer_load_dword v3, v0, s[0:3], 0 offen offset:4
	buffer_load_dword v4, v0, s[0:3], 0 offen offset:8
	;; [unrolled: 1-line block ×6, first 2 shown]
	buffer_load_dword v9, v1, s[0:3], 0 offen
	s_waitcnt vmcnt(7)
	buffer_store_dword v2, v1, s[0:3], 0 offen
	s_waitcnt vmcnt(6)
	buffer_store_dword v3, v1, s[0:3], 0 offen offset:4
	s_waitcnt vmcnt(5)
	buffer_store_dword v4, v1, s[0:3], 0 offen offset:8
	;; [unrolled: 2-line block ×6, first 2 shown]
	s_waitcnt vmcnt(0)
	buffer_store_dword v9, v0, s[0:3], 0 offen
.LBB63_428:
	v_mov_b32_e32 v0, 0
	global_load_dword v1, v0, s[20:21] offset:216
	s_waitcnt vmcnt(0)
	v_add_nc_u32_e32 v1, -1, v1
	v_cmp_eq_u32_e32 vcc_lo, 54, v1
	s_cbranch_vccnz .LBB63_430
; %bb.429:
	v_lshlrev_b32_e32 v1, 4, v1
	v_mov_b32_e32 v2, s23
	v_add_nc_u32_e32 v1, 16, v1
	s_clause 0x7
	buffer_load_dword v3, v1, s[0:3], 0 offen
	buffer_load_dword v4, v1, s[0:3], 0 offen offset:4
	buffer_load_dword v5, v1, s[0:3], 0 offen offset:8
	;; [unrolled: 1-line block ×6, first 2 shown]
	buffer_load_dword v10, v2, s[0:3], 0 offen
	s_waitcnt vmcnt(7)
	buffer_store_dword v3, v2, s[0:3], 0 offen
	s_waitcnt vmcnt(6)
	buffer_store_dword v4, v2, s[0:3], 0 offen offset:4
	s_waitcnt vmcnt(5)
	buffer_store_dword v5, v2, s[0:3], 0 offen offset:8
	;; [unrolled: 2-line block ×6, first 2 shown]
	s_waitcnt vmcnt(0)
	buffer_store_dword v10, v1, s[0:3], 0 offen
.LBB63_430:
	global_load_dword v0, v0, s[20:21] offset:212
	s_waitcnt vmcnt(0)
	v_add_nc_u32_e32 v0, -1, v0
	v_cmp_eq_u32_e32 vcc_lo, 53, v0
	s_cbranch_vccnz .LBB63_432
; %bb.431:
	v_lshlrev_b32_e32 v0, 4, v0
	v_mov_b32_e32 v1, s24
	v_add_nc_u32_e32 v0, 16, v0
	s_clause 0x7
	buffer_load_dword v2, v0, s[0:3], 0 offen
	buffer_load_dword v3, v0, s[0:3], 0 offen offset:4
	buffer_load_dword v4, v0, s[0:3], 0 offen offset:8
	;; [unrolled: 1-line block ×6, first 2 shown]
	buffer_load_dword v9, v1, s[0:3], 0 offen
	s_waitcnt vmcnt(7)
	buffer_store_dword v2, v1, s[0:3], 0 offen
	s_waitcnt vmcnt(6)
	buffer_store_dword v3, v1, s[0:3], 0 offen offset:4
	s_waitcnt vmcnt(5)
	buffer_store_dword v4, v1, s[0:3], 0 offen offset:8
	;; [unrolled: 2-line block ×6, first 2 shown]
	s_waitcnt vmcnt(0)
	buffer_store_dword v9, v0, s[0:3], 0 offen
.LBB63_432:
	v_mov_b32_e32 v0, 0
	global_load_dword v1, v0, s[20:21] offset:208
	s_waitcnt vmcnt(0)
	v_add_nc_u32_e32 v1, -1, v1
	v_cmp_eq_u32_e32 vcc_lo, 52, v1
	s_cbranch_vccnz .LBB63_434
; %bb.433:
	v_lshlrev_b32_e32 v1, 4, v1
	v_mov_b32_e32 v2, s25
	v_add_nc_u32_e32 v1, 16, v1
	s_clause 0x7
	buffer_load_dword v3, v1, s[0:3], 0 offen
	buffer_load_dword v4, v1, s[0:3], 0 offen offset:4
	buffer_load_dword v5, v1, s[0:3], 0 offen offset:8
	;; [unrolled: 1-line block ×6, first 2 shown]
	buffer_load_dword v10, v2, s[0:3], 0 offen
	s_waitcnt vmcnt(7)
	buffer_store_dword v3, v2, s[0:3], 0 offen
	s_waitcnt vmcnt(6)
	buffer_store_dword v4, v2, s[0:3], 0 offen offset:4
	s_waitcnt vmcnt(5)
	buffer_store_dword v5, v2, s[0:3], 0 offen offset:8
	;; [unrolled: 2-line block ×6, first 2 shown]
	s_waitcnt vmcnt(0)
	buffer_store_dword v10, v1, s[0:3], 0 offen
.LBB63_434:
	global_load_dword v0, v0, s[20:21] offset:204
	s_waitcnt vmcnt(0)
	v_add_nc_u32_e32 v0, -1, v0
	v_cmp_eq_u32_e32 vcc_lo, 51, v0
	s_cbranch_vccnz .LBB63_436
; %bb.435:
	v_lshlrev_b32_e32 v0, 4, v0
	v_mov_b32_e32 v1, s26
	v_add_nc_u32_e32 v0, 16, v0
	s_clause 0x7
	buffer_load_dword v2, v0, s[0:3], 0 offen
	buffer_load_dword v3, v0, s[0:3], 0 offen offset:4
	buffer_load_dword v4, v0, s[0:3], 0 offen offset:8
	;; [unrolled: 1-line block ×6, first 2 shown]
	buffer_load_dword v9, v1, s[0:3], 0 offen
	s_waitcnt vmcnt(7)
	buffer_store_dword v2, v1, s[0:3], 0 offen
	s_waitcnt vmcnt(6)
	buffer_store_dword v3, v1, s[0:3], 0 offen offset:4
	s_waitcnt vmcnt(5)
	buffer_store_dword v4, v1, s[0:3], 0 offen offset:8
	;; [unrolled: 2-line block ×6, first 2 shown]
	s_waitcnt vmcnt(0)
	buffer_store_dword v9, v0, s[0:3], 0 offen
.LBB63_436:
	v_mov_b32_e32 v0, 0
	global_load_dword v1, v0, s[20:21] offset:200
	s_waitcnt vmcnt(0)
	v_add_nc_u32_e32 v1, -1, v1
	v_cmp_eq_u32_e32 vcc_lo, 50, v1
	s_cbranch_vccnz .LBB63_438
; %bb.437:
	v_lshlrev_b32_e32 v1, 4, v1
	v_mov_b32_e32 v2, s27
	v_add_nc_u32_e32 v1, 16, v1
	s_clause 0x7
	buffer_load_dword v3, v1, s[0:3], 0 offen
	buffer_load_dword v4, v1, s[0:3], 0 offen offset:4
	buffer_load_dword v5, v1, s[0:3], 0 offen offset:8
	;; [unrolled: 1-line block ×6, first 2 shown]
	buffer_load_dword v10, v2, s[0:3], 0 offen
	s_waitcnt vmcnt(7)
	buffer_store_dword v3, v2, s[0:3], 0 offen
	s_waitcnt vmcnt(6)
	buffer_store_dword v4, v2, s[0:3], 0 offen offset:4
	s_waitcnt vmcnt(5)
	buffer_store_dword v5, v2, s[0:3], 0 offen offset:8
	;; [unrolled: 2-line block ×6, first 2 shown]
	s_waitcnt vmcnt(0)
	buffer_store_dword v10, v1, s[0:3], 0 offen
.LBB63_438:
	global_load_dword v0, v0, s[20:21] offset:196
	s_waitcnt vmcnt(0)
	v_add_nc_u32_e32 v0, -1, v0
	v_cmp_eq_u32_e32 vcc_lo, 49, v0
	s_cbranch_vccnz .LBB63_440
; %bb.439:
	v_lshlrev_b32_e32 v0, 4, v0
	v_mov_b32_e32 v1, s28
	v_add_nc_u32_e32 v0, 16, v0
	s_clause 0x7
	buffer_load_dword v2, v0, s[0:3], 0 offen
	buffer_load_dword v3, v0, s[0:3], 0 offen offset:4
	buffer_load_dword v4, v0, s[0:3], 0 offen offset:8
	;; [unrolled: 1-line block ×6, first 2 shown]
	buffer_load_dword v9, v1, s[0:3], 0 offen
	s_waitcnt vmcnt(7)
	buffer_store_dword v2, v1, s[0:3], 0 offen
	s_waitcnt vmcnt(6)
	buffer_store_dword v3, v1, s[0:3], 0 offen offset:4
	s_waitcnt vmcnt(5)
	buffer_store_dword v4, v1, s[0:3], 0 offen offset:8
	;; [unrolled: 2-line block ×6, first 2 shown]
	s_waitcnt vmcnt(0)
	buffer_store_dword v9, v0, s[0:3], 0 offen
.LBB63_440:
	v_mov_b32_e32 v0, 0
	global_load_dword v1, v0, s[20:21] offset:192
	s_waitcnt vmcnt(0)
	v_add_nc_u32_e32 v1, -1, v1
	v_cmp_eq_u32_e32 vcc_lo, 48, v1
	s_cbranch_vccnz .LBB63_442
; %bb.441:
	v_lshlrev_b32_e32 v1, 4, v1
	v_mov_b32_e32 v2, s29
	v_add_nc_u32_e32 v1, 16, v1
	s_clause 0x7
	buffer_load_dword v3, v1, s[0:3], 0 offen
	buffer_load_dword v4, v1, s[0:3], 0 offen offset:4
	buffer_load_dword v5, v1, s[0:3], 0 offen offset:8
	;; [unrolled: 1-line block ×6, first 2 shown]
	buffer_load_dword v10, v2, s[0:3], 0 offen
	s_waitcnt vmcnt(7)
	buffer_store_dword v3, v2, s[0:3], 0 offen
	s_waitcnt vmcnt(6)
	buffer_store_dword v4, v2, s[0:3], 0 offen offset:4
	s_waitcnt vmcnt(5)
	buffer_store_dword v5, v2, s[0:3], 0 offen offset:8
	;; [unrolled: 2-line block ×6, first 2 shown]
	s_waitcnt vmcnt(0)
	buffer_store_dword v10, v1, s[0:3], 0 offen
.LBB63_442:
	global_load_dword v0, v0, s[20:21] offset:188
	s_waitcnt vmcnt(0)
	v_add_nc_u32_e32 v0, -1, v0
	v_cmp_eq_u32_e32 vcc_lo, 47, v0
	s_cbranch_vccnz .LBB63_444
; %bb.443:
	v_lshlrev_b32_e32 v0, 4, v0
	v_mov_b32_e32 v1, s30
	v_add_nc_u32_e32 v0, 16, v0
	s_clause 0x7
	buffer_load_dword v2, v0, s[0:3], 0 offen
	buffer_load_dword v3, v0, s[0:3], 0 offen offset:4
	buffer_load_dword v4, v0, s[0:3], 0 offen offset:8
	;; [unrolled: 1-line block ×6, first 2 shown]
	buffer_load_dword v9, v1, s[0:3], 0 offen
	s_waitcnt vmcnt(7)
	buffer_store_dword v2, v1, s[0:3], 0 offen
	s_waitcnt vmcnt(6)
	buffer_store_dword v3, v1, s[0:3], 0 offen offset:4
	s_waitcnt vmcnt(5)
	buffer_store_dword v4, v1, s[0:3], 0 offen offset:8
	s_waitcnt vmcnt(4)
	buffer_store_dword v5, v1, s[0:3], 0 offen offset:12
	s_waitcnt vmcnt(3)
	buffer_store_dword v6, v0, s[0:3], 0 offen offset:12
	s_waitcnt vmcnt(2)
	buffer_store_dword v7, v0, s[0:3], 0 offen offset:8
	s_waitcnt vmcnt(1)
	buffer_store_dword v8, v0, s[0:3], 0 offen offset:4
	s_waitcnt vmcnt(0)
	buffer_store_dword v9, v0, s[0:3], 0 offen
.LBB63_444:
	v_mov_b32_e32 v0, 0
	global_load_dword v1, v0, s[20:21] offset:184
	s_waitcnt vmcnt(0)
	v_add_nc_u32_e32 v1, -1, v1
	v_cmp_eq_u32_e32 vcc_lo, 46, v1
	s_cbranch_vccnz .LBB63_446
; %bb.445:
	v_lshlrev_b32_e32 v1, 4, v1
	v_mov_b32_e32 v2, s31
	v_add_nc_u32_e32 v1, 16, v1
	s_clause 0x7
	buffer_load_dword v3, v1, s[0:3], 0 offen
	buffer_load_dword v4, v1, s[0:3], 0 offen offset:4
	buffer_load_dword v5, v1, s[0:3], 0 offen offset:8
	;; [unrolled: 1-line block ×6, first 2 shown]
	buffer_load_dword v10, v2, s[0:3], 0 offen
	s_waitcnt vmcnt(7)
	buffer_store_dword v3, v2, s[0:3], 0 offen
	s_waitcnt vmcnt(6)
	buffer_store_dword v4, v2, s[0:3], 0 offen offset:4
	s_waitcnt vmcnt(5)
	buffer_store_dword v5, v2, s[0:3], 0 offen offset:8
	;; [unrolled: 2-line block ×6, first 2 shown]
	s_waitcnt vmcnt(0)
	buffer_store_dword v10, v1, s[0:3], 0 offen
.LBB63_446:
	global_load_dword v0, v0, s[20:21] offset:180
	s_waitcnt vmcnt(0)
	v_add_nc_u32_e32 v0, -1, v0
	v_cmp_eq_u32_e32 vcc_lo, 45, v0
	s_cbranch_vccnz .LBB63_448
; %bb.447:
	v_lshlrev_b32_e32 v0, 4, v0
	v_mov_b32_e32 v1, s33
	v_add_nc_u32_e32 v0, 16, v0
	s_clause 0x7
	buffer_load_dword v2, v0, s[0:3], 0 offen
	buffer_load_dword v3, v0, s[0:3], 0 offen offset:4
	buffer_load_dword v4, v0, s[0:3], 0 offen offset:8
	;; [unrolled: 1-line block ×6, first 2 shown]
	buffer_load_dword v9, v1, s[0:3], 0 offen
	s_waitcnt vmcnt(7)
	buffer_store_dword v2, v1, s[0:3], 0 offen
	s_waitcnt vmcnt(6)
	buffer_store_dword v3, v1, s[0:3], 0 offen offset:4
	s_waitcnt vmcnt(5)
	buffer_store_dword v4, v1, s[0:3], 0 offen offset:8
	;; [unrolled: 2-line block ×6, first 2 shown]
	s_waitcnt vmcnt(0)
	buffer_store_dword v9, v0, s[0:3], 0 offen
.LBB63_448:
	v_mov_b32_e32 v0, 0
	global_load_dword v1, v0, s[20:21] offset:176
	s_waitcnt vmcnt(0)
	v_add_nc_u32_e32 v1, -1, v1
	v_cmp_eq_u32_e32 vcc_lo, 44, v1
	s_cbranch_vccnz .LBB63_450
; %bb.449:
	v_lshlrev_b32_e32 v1, 4, v1
	v_mov_b32_e32 v2, s34
	v_add_nc_u32_e32 v1, 16, v1
	s_clause 0x7
	buffer_load_dword v3, v1, s[0:3], 0 offen
	buffer_load_dword v4, v1, s[0:3], 0 offen offset:4
	buffer_load_dword v5, v1, s[0:3], 0 offen offset:8
	;; [unrolled: 1-line block ×6, first 2 shown]
	buffer_load_dword v10, v2, s[0:3], 0 offen
	s_waitcnt vmcnt(7)
	buffer_store_dword v3, v2, s[0:3], 0 offen
	s_waitcnt vmcnt(6)
	buffer_store_dword v4, v2, s[0:3], 0 offen offset:4
	s_waitcnt vmcnt(5)
	buffer_store_dword v5, v2, s[0:3], 0 offen offset:8
	;; [unrolled: 2-line block ×6, first 2 shown]
	s_waitcnt vmcnt(0)
	buffer_store_dword v10, v1, s[0:3], 0 offen
.LBB63_450:
	global_load_dword v0, v0, s[20:21] offset:172
	s_waitcnt vmcnt(0)
	v_add_nc_u32_e32 v0, -1, v0
	v_cmp_eq_u32_e32 vcc_lo, 43, v0
	s_cbranch_vccnz .LBB63_452
; %bb.451:
	v_lshlrev_b32_e32 v0, 4, v0
	v_mov_b32_e32 v1, s35
	v_add_nc_u32_e32 v0, 16, v0
	s_clause 0x7
	buffer_load_dword v2, v0, s[0:3], 0 offen
	buffer_load_dword v3, v0, s[0:3], 0 offen offset:4
	buffer_load_dword v4, v0, s[0:3], 0 offen offset:8
	;; [unrolled: 1-line block ×6, first 2 shown]
	buffer_load_dword v9, v1, s[0:3], 0 offen
	s_waitcnt vmcnt(7)
	buffer_store_dword v2, v1, s[0:3], 0 offen
	s_waitcnt vmcnt(6)
	buffer_store_dword v3, v1, s[0:3], 0 offen offset:4
	s_waitcnt vmcnt(5)
	buffer_store_dword v4, v1, s[0:3], 0 offen offset:8
	;; [unrolled: 2-line block ×6, first 2 shown]
	s_waitcnt vmcnt(0)
	buffer_store_dword v9, v0, s[0:3], 0 offen
.LBB63_452:
	v_mov_b32_e32 v0, 0
	global_load_dword v1, v0, s[20:21] offset:168
	s_waitcnt vmcnt(0)
	v_add_nc_u32_e32 v1, -1, v1
	v_cmp_eq_u32_e32 vcc_lo, 42, v1
	s_cbranch_vccnz .LBB63_454
; %bb.453:
	v_lshlrev_b32_e32 v1, 4, v1
	v_mov_b32_e32 v2, s36
	v_add_nc_u32_e32 v1, 16, v1
	s_clause 0x7
	buffer_load_dword v3, v1, s[0:3], 0 offen
	buffer_load_dword v4, v1, s[0:3], 0 offen offset:4
	buffer_load_dword v5, v1, s[0:3], 0 offen offset:8
	;; [unrolled: 1-line block ×6, first 2 shown]
	buffer_load_dword v10, v2, s[0:3], 0 offen
	s_waitcnt vmcnt(7)
	buffer_store_dword v3, v2, s[0:3], 0 offen
	s_waitcnt vmcnt(6)
	buffer_store_dword v4, v2, s[0:3], 0 offen offset:4
	s_waitcnt vmcnt(5)
	buffer_store_dword v5, v2, s[0:3], 0 offen offset:8
	;; [unrolled: 2-line block ×6, first 2 shown]
	s_waitcnt vmcnt(0)
	buffer_store_dword v10, v1, s[0:3], 0 offen
.LBB63_454:
	global_load_dword v0, v0, s[20:21] offset:164
	s_waitcnt vmcnt(0)
	v_add_nc_u32_e32 v0, -1, v0
	v_cmp_eq_u32_e32 vcc_lo, 41, v0
	s_cbranch_vccnz .LBB63_456
; %bb.455:
	v_lshlrev_b32_e32 v0, 4, v0
	v_mov_b32_e32 v1, s37
	v_add_nc_u32_e32 v0, 16, v0
	s_clause 0x7
	buffer_load_dword v2, v0, s[0:3], 0 offen
	buffer_load_dword v3, v0, s[0:3], 0 offen offset:4
	buffer_load_dword v4, v0, s[0:3], 0 offen offset:8
	;; [unrolled: 1-line block ×6, first 2 shown]
	buffer_load_dword v9, v1, s[0:3], 0 offen
	s_waitcnt vmcnt(7)
	buffer_store_dword v2, v1, s[0:3], 0 offen
	s_waitcnt vmcnt(6)
	buffer_store_dword v3, v1, s[0:3], 0 offen offset:4
	s_waitcnt vmcnt(5)
	buffer_store_dword v4, v1, s[0:3], 0 offen offset:8
	;; [unrolled: 2-line block ×6, first 2 shown]
	s_waitcnt vmcnt(0)
	buffer_store_dword v9, v0, s[0:3], 0 offen
.LBB63_456:
	v_mov_b32_e32 v0, 0
	global_load_dword v1, v0, s[20:21] offset:160
	s_waitcnt vmcnt(0)
	v_add_nc_u32_e32 v1, -1, v1
	v_cmp_eq_u32_e32 vcc_lo, 40, v1
	s_cbranch_vccnz .LBB63_458
; %bb.457:
	v_lshlrev_b32_e32 v1, 4, v1
	v_mov_b32_e32 v2, s38
	v_add_nc_u32_e32 v1, 16, v1
	s_clause 0x7
	buffer_load_dword v3, v1, s[0:3], 0 offen
	buffer_load_dword v4, v1, s[0:3], 0 offen offset:4
	buffer_load_dword v5, v1, s[0:3], 0 offen offset:8
	;; [unrolled: 1-line block ×6, first 2 shown]
	buffer_load_dword v10, v2, s[0:3], 0 offen
	s_waitcnt vmcnt(7)
	buffer_store_dword v3, v2, s[0:3], 0 offen
	s_waitcnt vmcnt(6)
	buffer_store_dword v4, v2, s[0:3], 0 offen offset:4
	s_waitcnt vmcnt(5)
	buffer_store_dword v5, v2, s[0:3], 0 offen offset:8
	;; [unrolled: 2-line block ×6, first 2 shown]
	s_waitcnt vmcnt(0)
	buffer_store_dword v10, v1, s[0:3], 0 offen
.LBB63_458:
	global_load_dword v0, v0, s[20:21] offset:156
	s_waitcnt vmcnt(0)
	v_add_nc_u32_e32 v0, -1, v0
	v_cmp_eq_u32_e32 vcc_lo, 39, v0
	s_cbranch_vccnz .LBB63_460
; %bb.459:
	v_lshlrev_b32_e32 v0, 4, v0
	v_mov_b32_e32 v1, s39
	v_add_nc_u32_e32 v0, 16, v0
	s_clause 0x7
	buffer_load_dword v2, v0, s[0:3], 0 offen
	buffer_load_dword v3, v0, s[0:3], 0 offen offset:4
	buffer_load_dword v4, v0, s[0:3], 0 offen offset:8
	;; [unrolled: 1-line block ×6, first 2 shown]
	buffer_load_dword v9, v1, s[0:3], 0 offen
	s_waitcnt vmcnt(7)
	buffer_store_dword v2, v1, s[0:3], 0 offen
	s_waitcnt vmcnt(6)
	buffer_store_dword v3, v1, s[0:3], 0 offen offset:4
	s_waitcnt vmcnt(5)
	buffer_store_dword v4, v1, s[0:3], 0 offen offset:8
	;; [unrolled: 2-line block ×6, first 2 shown]
	s_waitcnt vmcnt(0)
	buffer_store_dword v9, v0, s[0:3], 0 offen
.LBB63_460:
	v_mov_b32_e32 v0, 0
	global_load_dword v1, v0, s[20:21] offset:152
	s_waitcnt vmcnt(0)
	v_add_nc_u32_e32 v1, -1, v1
	v_cmp_eq_u32_e32 vcc_lo, 38, v1
	s_cbranch_vccnz .LBB63_462
; %bb.461:
	v_lshlrev_b32_e32 v1, 4, v1
	v_mov_b32_e32 v2, s40
	v_add_nc_u32_e32 v1, 16, v1
	s_clause 0x7
	buffer_load_dword v3, v1, s[0:3], 0 offen
	buffer_load_dword v4, v1, s[0:3], 0 offen offset:4
	buffer_load_dword v5, v1, s[0:3], 0 offen offset:8
	;; [unrolled: 1-line block ×6, first 2 shown]
	buffer_load_dword v10, v2, s[0:3], 0 offen
	s_waitcnt vmcnt(7)
	buffer_store_dword v3, v2, s[0:3], 0 offen
	s_waitcnt vmcnt(6)
	buffer_store_dword v4, v2, s[0:3], 0 offen offset:4
	s_waitcnt vmcnt(5)
	buffer_store_dword v5, v2, s[0:3], 0 offen offset:8
	;; [unrolled: 2-line block ×6, first 2 shown]
	s_waitcnt vmcnt(0)
	buffer_store_dword v10, v1, s[0:3], 0 offen
.LBB63_462:
	global_load_dword v0, v0, s[20:21] offset:148
	s_waitcnt vmcnt(0)
	v_add_nc_u32_e32 v0, -1, v0
	v_cmp_eq_u32_e32 vcc_lo, 37, v0
	s_cbranch_vccnz .LBB63_464
; %bb.463:
	v_lshlrev_b32_e32 v0, 4, v0
	v_mov_b32_e32 v1, s41
	v_add_nc_u32_e32 v0, 16, v0
	s_clause 0x7
	buffer_load_dword v2, v0, s[0:3], 0 offen
	buffer_load_dword v3, v0, s[0:3], 0 offen offset:4
	buffer_load_dword v4, v0, s[0:3], 0 offen offset:8
	;; [unrolled: 1-line block ×6, first 2 shown]
	buffer_load_dword v9, v1, s[0:3], 0 offen
	s_waitcnt vmcnt(7)
	buffer_store_dword v2, v1, s[0:3], 0 offen
	s_waitcnt vmcnt(6)
	buffer_store_dword v3, v1, s[0:3], 0 offen offset:4
	s_waitcnt vmcnt(5)
	buffer_store_dword v4, v1, s[0:3], 0 offen offset:8
	;; [unrolled: 2-line block ×6, first 2 shown]
	s_waitcnt vmcnt(0)
	buffer_store_dword v9, v0, s[0:3], 0 offen
.LBB63_464:
	v_mov_b32_e32 v0, 0
	global_load_dword v1, v0, s[20:21] offset:144
	s_waitcnt vmcnt(0)
	v_add_nc_u32_e32 v1, -1, v1
	v_cmp_eq_u32_e32 vcc_lo, 36, v1
	s_cbranch_vccnz .LBB63_466
; %bb.465:
	v_lshlrev_b32_e32 v1, 4, v1
	v_mov_b32_e32 v2, s42
	v_add_nc_u32_e32 v1, 16, v1
	s_clause 0x7
	buffer_load_dword v3, v1, s[0:3], 0 offen
	buffer_load_dword v4, v1, s[0:3], 0 offen offset:4
	buffer_load_dword v5, v1, s[0:3], 0 offen offset:8
	buffer_load_dword v6, v1, s[0:3], 0 offen offset:12
	buffer_load_dword v7, v2, s[0:3], 0 offen offset:12
	buffer_load_dword v8, v2, s[0:3], 0 offen offset:8
	buffer_load_dword v9, v2, s[0:3], 0 offen offset:4
	buffer_load_dword v10, v2, s[0:3], 0 offen
	s_waitcnt vmcnt(7)
	buffer_store_dword v3, v2, s[0:3], 0 offen
	s_waitcnt vmcnt(6)
	buffer_store_dword v4, v2, s[0:3], 0 offen offset:4
	s_waitcnt vmcnt(5)
	buffer_store_dword v5, v2, s[0:3], 0 offen offset:8
	;; [unrolled: 2-line block ×6, first 2 shown]
	s_waitcnt vmcnt(0)
	buffer_store_dword v10, v1, s[0:3], 0 offen
.LBB63_466:
	global_load_dword v0, v0, s[20:21] offset:140
	s_waitcnt vmcnt(0)
	v_add_nc_u32_e32 v0, -1, v0
	v_cmp_eq_u32_e32 vcc_lo, 35, v0
	s_cbranch_vccnz .LBB63_468
; %bb.467:
	v_lshlrev_b32_e32 v0, 4, v0
	v_mov_b32_e32 v1, s43
	v_add_nc_u32_e32 v0, 16, v0
	s_clause 0x7
	buffer_load_dword v2, v0, s[0:3], 0 offen
	buffer_load_dword v3, v0, s[0:3], 0 offen offset:4
	buffer_load_dword v4, v0, s[0:3], 0 offen offset:8
	;; [unrolled: 1-line block ×6, first 2 shown]
	buffer_load_dword v9, v1, s[0:3], 0 offen
	s_waitcnt vmcnt(7)
	buffer_store_dword v2, v1, s[0:3], 0 offen
	s_waitcnt vmcnt(6)
	buffer_store_dword v3, v1, s[0:3], 0 offen offset:4
	s_waitcnt vmcnt(5)
	buffer_store_dword v4, v1, s[0:3], 0 offen offset:8
	;; [unrolled: 2-line block ×6, first 2 shown]
	s_waitcnt vmcnt(0)
	buffer_store_dword v9, v0, s[0:3], 0 offen
.LBB63_468:
	v_mov_b32_e32 v0, 0
	global_load_dword v1, v0, s[20:21] offset:136
	s_waitcnt vmcnt(0)
	v_add_nc_u32_e32 v1, -1, v1
	v_cmp_eq_u32_e32 vcc_lo, 34, v1
	s_cbranch_vccnz .LBB63_470
; %bb.469:
	v_lshlrev_b32_e32 v1, 4, v1
	v_mov_b32_e32 v2, s44
	v_add_nc_u32_e32 v1, 16, v1
	s_clause 0x7
	buffer_load_dword v3, v1, s[0:3], 0 offen
	buffer_load_dword v4, v1, s[0:3], 0 offen offset:4
	buffer_load_dword v5, v1, s[0:3], 0 offen offset:8
	;; [unrolled: 1-line block ×6, first 2 shown]
	buffer_load_dword v10, v2, s[0:3], 0 offen
	s_waitcnt vmcnt(7)
	buffer_store_dword v3, v2, s[0:3], 0 offen
	s_waitcnt vmcnt(6)
	buffer_store_dword v4, v2, s[0:3], 0 offen offset:4
	s_waitcnt vmcnt(5)
	buffer_store_dword v5, v2, s[0:3], 0 offen offset:8
	;; [unrolled: 2-line block ×6, first 2 shown]
	s_waitcnt vmcnt(0)
	buffer_store_dword v10, v1, s[0:3], 0 offen
.LBB63_470:
	global_load_dword v0, v0, s[20:21] offset:132
	s_waitcnt vmcnt(0)
	v_add_nc_u32_e32 v0, -1, v0
	v_cmp_eq_u32_e32 vcc_lo, 33, v0
	s_cbranch_vccnz .LBB63_472
; %bb.471:
	v_lshlrev_b32_e32 v0, 4, v0
	v_mov_b32_e32 v1, s45
	v_add_nc_u32_e32 v0, 16, v0
	s_clause 0x7
	buffer_load_dword v2, v0, s[0:3], 0 offen
	buffer_load_dword v3, v0, s[0:3], 0 offen offset:4
	buffer_load_dword v4, v0, s[0:3], 0 offen offset:8
	;; [unrolled: 1-line block ×6, first 2 shown]
	buffer_load_dword v9, v1, s[0:3], 0 offen
	s_waitcnt vmcnt(7)
	buffer_store_dword v2, v1, s[0:3], 0 offen
	s_waitcnt vmcnt(6)
	buffer_store_dword v3, v1, s[0:3], 0 offen offset:4
	s_waitcnt vmcnt(5)
	buffer_store_dword v4, v1, s[0:3], 0 offen offset:8
	;; [unrolled: 2-line block ×6, first 2 shown]
	s_waitcnt vmcnt(0)
	buffer_store_dword v9, v0, s[0:3], 0 offen
.LBB63_472:
	v_mov_b32_e32 v0, 0
	global_load_dword v1, v0, s[20:21] offset:128
	s_waitcnt vmcnt(0)
	v_add_nc_u32_e32 v1, -1, v1
	v_cmp_eq_u32_e32 vcc_lo, 32, v1
	s_cbranch_vccnz .LBB63_474
; %bb.473:
	v_lshlrev_b32_e32 v1, 4, v1
	v_mov_b32_e32 v2, s46
	v_add_nc_u32_e32 v1, 16, v1
	s_clause 0x7
	buffer_load_dword v3, v1, s[0:3], 0 offen
	buffer_load_dword v4, v1, s[0:3], 0 offen offset:4
	buffer_load_dword v5, v1, s[0:3], 0 offen offset:8
	;; [unrolled: 1-line block ×6, first 2 shown]
	buffer_load_dword v10, v2, s[0:3], 0 offen
	s_waitcnt vmcnt(7)
	buffer_store_dword v3, v2, s[0:3], 0 offen
	s_waitcnt vmcnt(6)
	buffer_store_dword v4, v2, s[0:3], 0 offen offset:4
	s_waitcnt vmcnt(5)
	buffer_store_dword v5, v2, s[0:3], 0 offen offset:8
	;; [unrolled: 2-line block ×6, first 2 shown]
	s_waitcnt vmcnt(0)
	buffer_store_dword v10, v1, s[0:3], 0 offen
.LBB63_474:
	global_load_dword v0, v0, s[20:21] offset:124
	s_waitcnt vmcnt(0)
	v_add_nc_u32_e32 v0, -1, v0
	v_cmp_eq_u32_e32 vcc_lo, 31, v0
	s_cbranch_vccnz .LBB63_476
; %bb.475:
	v_lshlrev_b32_e32 v0, 4, v0
	v_mov_b32_e32 v1, s47
	v_add_nc_u32_e32 v0, 16, v0
	s_clause 0x7
	buffer_load_dword v2, v0, s[0:3], 0 offen
	buffer_load_dword v3, v0, s[0:3], 0 offen offset:4
	buffer_load_dword v4, v0, s[0:3], 0 offen offset:8
	;; [unrolled: 1-line block ×6, first 2 shown]
	buffer_load_dword v9, v1, s[0:3], 0 offen
	s_waitcnt vmcnt(7)
	buffer_store_dword v2, v1, s[0:3], 0 offen
	s_waitcnt vmcnt(6)
	buffer_store_dword v3, v1, s[0:3], 0 offen offset:4
	s_waitcnt vmcnt(5)
	buffer_store_dword v4, v1, s[0:3], 0 offen offset:8
	;; [unrolled: 2-line block ×6, first 2 shown]
	s_waitcnt vmcnt(0)
	buffer_store_dword v9, v0, s[0:3], 0 offen
.LBB63_476:
	v_mov_b32_e32 v0, 0
	global_load_dword v1, v0, s[20:21] offset:120
	s_waitcnt vmcnt(0)
	v_add_nc_u32_e32 v1, -1, v1
	v_cmp_eq_u32_e32 vcc_lo, 30, v1
	s_cbranch_vccnz .LBB63_478
; %bb.477:
	v_lshlrev_b32_e32 v1, 4, v1
	v_mov_b32_e32 v2, s48
	v_add_nc_u32_e32 v1, 16, v1
	s_clause 0x7
	buffer_load_dword v3, v1, s[0:3], 0 offen
	buffer_load_dword v4, v1, s[0:3], 0 offen offset:4
	buffer_load_dword v5, v1, s[0:3], 0 offen offset:8
	;; [unrolled: 1-line block ×6, first 2 shown]
	buffer_load_dword v10, v2, s[0:3], 0 offen
	s_waitcnt vmcnt(7)
	buffer_store_dword v3, v2, s[0:3], 0 offen
	s_waitcnt vmcnt(6)
	buffer_store_dword v4, v2, s[0:3], 0 offen offset:4
	s_waitcnt vmcnt(5)
	buffer_store_dword v5, v2, s[0:3], 0 offen offset:8
	;; [unrolled: 2-line block ×6, first 2 shown]
	s_waitcnt vmcnt(0)
	buffer_store_dword v10, v1, s[0:3], 0 offen
.LBB63_478:
	global_load_dword v0, v0, s[20:21] offset:116
	s_waitcnt vmcnt(0)
	v_add_nc_u32_e32 v0, -1, v0
	v_cmp_eq_u32_e32 vcc_lo, 29, v0
	s_cbranch_vccnz .LBB63_480
; %bb.479:
	v_lshlrev_b32_e32 v0, 4, v0
	v_mov_b32_e32 v1, s49
	v_add_nc_u32_e32 v0, 16, v0
	s_clause 0x7
	buffer_load_dword v2, v0, s[0:3], 0 offen
	buffer_load_dword v3, v0, s[0:3], 0 offen offset:4
	buffer_load_dword v4, v0, s[0:3], 0 offen offset:8
	;; [unrolled: 1-line block ×6, first 2 shown]
	buffer_load_dword v9, v1, s[0:3], 0 offen
	s_waitcnt vmcnt(7)
	buffer_store_dword v2, v1, s[0:3], 0 offen
	s_waitcnt vmcnt(6)
	buffer_store_dword v3, v1, s[0:3], 0 offen offset:4
	s_waitcnt vmcnt(5)
	buffer_store_dword v4, v1, s[0:3], 0 offen offset:8
	;; [unrolled: 2-line block ×6, first 2 shown]
	s_waitcnt vmcnt(0)
	buffer_store_dword v9, v0, s[0:3], 0 offen
.LBB63_480:
	v_mov_b32_e32 v0, 0
	global_load_dword v1, v0, s[20:21] offset:112
	s_waitcnt vmcnt(0)
	v_add_nc_u32_e32 v1, -1, v1
	v_cmp_eq_u32_e32 vcc_lo, 28, v1
	s_cbranch_vccnz .LBB63_482
; %bb.481:
	v_lshlrev_b32_e32 v1, 4, v1
	v_mov_b32_e32 v2, s50
	v_add_nc_u32_e32 v1, 16, v1
	s_clause 0x7
	buffer_load_dword v3, v1, s[0:3], 0 offen
	buffer_load_dword v4, v1, s[0:3], 0 offen offset:4
	buffer_load_dword v5, v1, s[0:3], 0 offen offset:8
	;; [unrolled: 1-line block ×6, first 2 shown]
	buffer_load_dword v10, v2, s[0:3], 0 offen
	s_waitcnt vmcnt(7)
	buffer_store_dword v3, v2, s[0:3], 0 offen
	s_waitcnt vmcnt(6)
	buffer_store_dword v4, v2, s[0:3], 0 offen offset:4
	s_waitcnt vmcnt(5)
	buffer_store_dword v5, v2, s[0:3], 0 offen offset:8
	;; [unrolled: 2-line block ×6, first 2 shown]
	s_waitcnt vmcnt(0)
	buffer_store_dword v10, v1, s[0:3], 0 offen
.LBB63_482:
	global_load_dword v0, v0, s[20:21] offset:108
	s_waitcnt vmcnt(0)
	v_add_nc_u32_e32 v0, -1, v0
	v_cmp_eq_u32_e32 vcc_lo, 27, v0
	s_cbranch_vccnz .LBB63_484
; %bb.483:
	v_lshlrev_b32_e32 v0, 4, v0
	v_mov_b32_e32 v1, s51
	v_add_nc_u32_e32 v0, 16, v0
	s_clause 0x7
	buffer_load_dword v2, v0, s[0:3], 0 offen
	buffer_load_dword v3, v0, s[0:3], 0 offen offset:4
	buffer_load_dword v4, v0, s[0:3], 0 offen offset:8
	;; [unrolled: 1-line block ×6, first 2 shown]
	buffer_load_dword v9, v1, s[0:3], 0 offen
	s_waitcnt vmcnt(7)
	buffer_store_dword v2, v1, s[0:3], 0 offen
	s_waitcnt vmcnt(6)
	buffer_store_dword v3, v1, s[0:3], 0 offen offset:4
	s_waitcnt vmcnt(5)
	buffer_store_dword v4, v1, s[0:3], 0 offen offset:8
	;; [unrolled: 2-line block ×6, first 2 shown]
	s_waitcnt vmcnt(0)
	buffer_store_dword v9, v0, s[0:3], 0 offen
.LBB63_484:
	v_mov_b32_e32 v0, 0
	global_load_dword v1, v0, s[20:21] offset:104
	s_waitcnt vmcnt(0)
	v_add_nc_u32_e32 v1, -1, v1
	v_cmp_eq_u32_e32 vcc_lo, 26, v1
	s_cbranch_vccnz .LBB63_486
; %bb.485:
	v_lshlrev_b32_e32 v1, 4, v1
	v_mov_b32_e32 v2, s52
	v_add_nc_u32_e32 v1, 16, v1
	s_clause 0x7
	buffer_load_dword v3, v1, s[0:3], 0 offen
	buffer_load_dword v4, v1, s[0:3], 0 offen offset:4
	buffer_load_dword v5, v1, s[0:3], 0 offen offset:8
	;; [unrolled: 1-line block ×6, first 2 shown]
	buffer_load_dword v10, v2, s[0:3], 0 offen
	s_waitcnt vmcnt(7)
	buffer_store_dword v3, v2, s[0:3], 0 offen
	s_waitcnt vmcnt(6)
	buffer_store_dword v4, v2, s[0:3], 0 offen offset:4
	s_waitcnt vmcnt(5)
	buffer_store_dword v5, v2, s[0:3], 0 offen offset:8
	;; [unrolled: 2-line block ×6, first 2 shown]
	s_waitcnt vmcnt(0)
	buffer_store_dword v10, v1, s[0:3], 0 offen
.LBB63_486:
	global_load_dword v0, v0, s[20:21] offset:100
	s_waitcnt vmcnt(0)
	v_add_nc_u32_e32 v0, -1, v0
	v_cmp_eq_u32_e32 vcc_lo, 25, v0
	s_cbranch_vccnz .LBB63_488
; %bb.487:
	v_lshlrev_b32_e32 v0, 4, v0
	v_mov_b32_e32 v1, s53
	v_add_nc_u32_e32 v0, 16, v0
	s_clause 0x7
	buffer_load_dword v2, v0, s[0:3], 0 offen
	buffer_load_dword v3, v0, s[0:3], 0 offen offset:4
	buffer_load_dword v4, v0, s[0:3], 0 offen offset:8
	;; [unrolled: 1-line block ×6, first 2 shown]
	buffer_load_dword v9, v1, s[0:3], 0 offen
	s_waitcnt vmcnt(7)
	buffer_store_dword v2, v1, s[0:3], 0 offen
	s_waitcnt vmcnt(6)
	buffer_store_dword v3, v1, s[0:3], 0 offen offset:4
	s_waitcnt vmcnt(5)
	buffer_store_dword v4, v1, s[0:3], 0 offen offset:8
	;; [unrolled: 2-line block ×6, first 2 shown]
	s_waitcnt vmcnt(0)
	buffer_store_dword v9, v0, s[0:3], 0 offen
.LBB63_488:
	v_mov_b32_e32 v0, 0
	global_load_dword v1, v0, s[20:21] offset:96
	s_waitcnt vmcnt(0)
	v_add_nc_u32_e32 v1, -1, v1
	v_cmp_eq_u32_e32 vcc_lo, 24, v1
	s_cbranch_vccnz .LBB63_490
; %bb.489:
	v_lshlrev_b32_e32 v1, 4, v1
	v_mov_b32_e32 v2, s54
	v_add_nc_u32_e32 v1, 16, v1
	s_clause 0x7
	buffer_load_dword v3, v1, s[0:3], 0 offen
	buffer_load_dword v4, v1, s[0:3], 0 offen offset:4
	buffer_load_dword v5, v1, s[0:3], 0 offen offset:8
	;; [unrolled: 1-line block ×6, first 2 shown]
	buffer_load_dword v10, v2, s[0:3], 0 offen
	s_waitcnt vmcnt(7)
	buffer_store_dword v3, v2, s[0:3], 0 offen
	s_waitcnt vmcnt(6)
	buffer_store_dword v4, v2, s[0:3], 0 offen offset:4
	s_waitcnt vmcnt(5)
	buffer_store_dword v5, v2, s[0:3], 0 offen offset:8
	;; [unrolled: 2-line block ×6, first 2 shown]
	s_waitcnt vmcnt(0)
	buffer_store_dword v10, v1, s[0:3], 0 offen
.LBB63_490:
	global_load_dword v0, v0, s[20:21] offset:92
	s_waitcnt vmcnt(0)
	v_add_nc_u32_e32 v0, -1, v0
	v_cmp_eq_u32_e32 vcc_lo, 23, v0
	s_cbranch_vccnz .LBB63_492
; %bb.491:
	v_lshlrev_b32_e32 v0, 4, v0
	v_mov_b32_e32 v1, s55
	v_add_nc_u32_e32 v0, 16, v0
	s_clause 0x7
	buffer_load_dword v2, v0, s[0:3], 0 offen
	buffer_load_dword v3, v0, s[0:3], 0 offen offset:4
	buffer_load_dword v4, v0, s[0:3], 0 offen offset:8
	;; [unrolled: 1-line block ×6, first 2 shown]
	buffer_load_dword v9, v1, s[0:3], 0 offen
	s_waitcnt vmcnt(7)
	buffer_store_dword v2, v1, s[0:3], 0 offen
	s_waitcnt vmcnt(6)
	buffer_store_dword v3, v1, s[0:3], 0 offen offset:4
	s_waitcnt vmcnt(5)
	buffer_store_dword v4, v1, s[0:3], 0 offen offset:8
	;; [unrolled: 2-line block ×6, first 2 shown]
	s_waitcnt vmcnt(0)
	buffer_store_dword v9, v0, s[0:3], 0 offen
.LBB63_492:
	v_mov_b32_e32 v0, 0
	global_load_dword v1, v0, s[20:21] offset:88
	s_waitcnt vmcnt(0)
	v_add_nc_u32_e32 v1, -1, v1
	v_cmp_eq_u32_e32 vcc_lo, 22, v1
	s_cbranch_vccnz .LBB63_494
; %bb.493:
	v_lshlrev_b32_e32 v1, 4, v1
	v_mov_b32_e32 v2, s56
	v_add_nc_u32_e32 v1, 16, v1
	s_clause 0x7
	buffer_load_dword v3, v1, s[0:3], 0 offen
	buffer_load_dword v4, v1, s[0:3], 0 offen offset:4
	buffer_load_dword v5, v1, s[0:3], 0 offen offset:8
	;; [unrolled: 1-line block ×6, first 2 shown]
	buffer_load_dword v10, v2, s[0:3], 0 offen
	s_waitcnt vmcnt(7)
	buffer_store_dword v3, v2, s[0:3], 0 offen
	s_waitcnt vmcnt(6)
	buffer_store_dword v4, v2, s[0:3], 0 offen offset:4
	s_waitcnt vmcnt(5)
	buffer_store_dword v5, v2, s[0:3], 0 offen offset:8
	;; [unrolled: 2-line block ×6, first 2 shown]
	s_waitcnt vmcnt(0)
	buffer_store_dword v10, v1, s[0:3], 0 offen
.LBB63_494:
	global_load_dword v0, v0, s[20:21] offset:84
	s_waitcnt vmcnt(0)
	v_add_nc_u32_e32 v0, -1, v0
	v_cmp_eq_u32_e32 vcc_lo, 21, v0
	s_cbranch_vccnz .LBB63_496
; %bb.495:
	v_lshlrev_b32_e32 v0, 4, v0
	v_mov_b32_e32 v1, s57
	v_add_nc_u32_e32 v0, 16, v0
	s_clause 0x7
	buffer_load_dword v2, v0, s[0:3], 0 offen
	buffer_load_dword v3, v0, s[0:3], 0 offen offset:4
	buffer_load_dword v4, v0, s[0:3], 0 offen offset:8
	;; [unrolled: 1-line block ×6, first 2 shown]
	buffer_load_dword v9, v1, s[0:3], 0 offen
	s_waitcnt vmcnt(7)
	buffer_store_dword v2, v1, s[0:3], 0 offen
	s_waitcnt vmcnt(6)
	buffer_store_dword v3, v1, s[0:3], 0 offen offset:4
	s_waitcnt vmcnt(5)
	buffer_store_dword v4, v1, s[0:3], 0 offen offset:8
	;; [unrolled: 2-line block ×6, first 2 shown]
	s_waitcnt vmcnt(0)
	buffer_store_dword v9, v0, s[0:3], 0 offen
.LBB63_496:
	v_mov_b32_e32 v0, 0
	global_load_dword v1, v0, s[20:21] offset:80
	s_waitcnt vmcnt(0)
	v_add_nc_u32_e32 v1, -1, v1
	v_cmp_eq_u32_e32 vcc_lo, 20, v1
	s_cbranch_vccnz .LBB63_498
; %bb.497:
	v_lshlrev_b32_e32 v1, 4, v1
	v_mov_b32_e32 v2, s58
	v_add_nc_u32_e32 v1, 16, v1
	s_clause 0x7
	buffer_load_dword v3, v1, s[0:3], 0 offen
	buffer_load_dword v4, v1, s[0:3], 0 offen offset:4
	buffer_load_dword v5, v1, s[0:3], 0 offen offset:8
	;; [unrolled: 1-line block ×6, first 2 shown]
	buffer_load_dword v10, v2, s[0:3], 0 offen
	s_waitcnt vmcnt(7)
	buffer_store_dword v3, v2, s[0:3], 0 offen
	s_waitcnt vmcnt(6)
	buffer_store_dword v4, v2, s[0:3], 0 offen offset:4
	s_waitcnt vmcnt(5)
	buffer_store_dword v5, v2, s[0:3], 0 offen offset:8
	;; [unrolled: 2-line block ×6, first 2 shown]
	s_waitcnt vmcnt(0)
	buffer_store_dword v10, v1, s[0:3], 0 offen
.LBB63_498:
	global_load_dword v0, v0, s[20:21] offset:76
	s_waitcnt vmcnt(0)
	v_add_nc_u32_e32 v0, -1, v0
	v_cmp_eq_u32_e32 vcc_lo, 19, v0
	s_cbranch_vccnz .LBB63_500
; %bb.499:
	v_lshlrev_b32_e32 v0, 4, v0
	v_mov_b32_e32 v1, s59
	v_add_nc_u32_e32 v0, 16, v0
	s_clause 0x7
	buffer_load_dword v2, v0, s[0:3], 0 offen
	buffer_load_dword v3, v0, s[0:3], 0 offen offset:4
	buffer_load_dword v4, v0, s[0:3], 0 offen offset:8
	buffer_load_dword v5, v0, s[0:3], 0 offen offset:12
	buffer_load_dword v6, v1, s[0:3], 0 offen offset:12
	buffer_load_dword v7, v1, s[0:3], 0 offen offset:8
	buffer_load_dword v8, v1, s[0:3], 0 offen offset:4
	buffer_load_dword v9, v1, s[0:3], 0 offen
	s_waitcnt vmcnt(7)
	buffer_store_dword v2, v1, s[0:3], 0 offen
	s_waitcnt vmcnt(6)
	buffer_store_dword v3, v1, s[0:3], 0 offen offset:4
	s_waitcnt vmcnt(5)
	buffer_store_dword v4, v1, s[0:3], 0 offen offset:8
	s_waitcnt vmcnt(4)
	buffer_store_dword v5, v1, s[0:3], 0 offen offset:12
	s_waitcnt vmcnt(3)
	buffer_store_dword v6, v0, s[0:3], 0 offen offset:12
	s_waitcnt vmcnt(2)
	buffer_store_dword v7, v0, s[0:3], 0 offen offset:8
	s_waitcnt vmcnt(1)
	buffer_store_dword v8, v0, s[0:3], 0 offen offset:4
	s_waitcnt vmcnt(0)
	buffer_store_dword v9, v0, s[0:3], 0 offen
.LBB63_500:
	v_mov_b32_e32 v0, 0
	global_load_dword v1, v0, s[20:21] offset:72
	s_waitcnt vmcnt(0)
	v_add_nc_u32_e32 v1, -1, v1
	v_cmp_eq_u32_e32 vcc_lo, 18, v1
	s_cbranch_vccnz .LBB63_502
; %bb.501:
	v_lshlrev_b32_e32 v1, 4, v1
	v_mov_b32_e32 v2, s60
	v_add_nc_u32_e32 v1, 16, v1
	s_clause 0x7
	buffer_load_dword v3, v1, s[0:3], 0 offen
	buffer_load_dword v4, v1, s[0:3], 0 offen offset:4
	buffer_load_dword v5, v1, s[0:3], 0 offen offset:8
	;; [unrolled: 1-line block ×6, first 2 shown]
	buffer_load_dword v10, v2, s[0:3], 0 offen
	s_waitcnt vmcnt(7)
	buffer_store_dword v3, v2, s[0:3], 0 offen
	s_waitcnt vmcnt(6)
	buffer_store_dword v4, v2, s[0:3], 0 offen offset:4
	s_waitcnt vmcnt(5)
	buffer_store_dword v5, v2, s[0:3], 0 offen offset:8
	;; [unrolled: 2-line block ×6, first 2 shown]
	s_waitcnt vmcnt(0)
	buffer_store_dword v10, v1, s[0:3], 0 offen
.LBB63_502:
	global_load_dword v0, v0, s[20:21] offset:68
	s_waitcnt vmcnt(0)
	v_add_nc_u32_e32 v0, -1, v0
	v_cmp_eq_u32_e32 vcc_lo, 17, v0
	s_cbranch_vccnz .LBB63_504
; %bb.503:
	v_lshlrev_b32_e32 v0, 4, v0
	v_mov_b32_e32 v1, s61
	v_add_nc_u32_e32 v0, 16, v0
	s_clause 0x7
	buffer_load_dword v2, v0, s[0:3], 0 offen
	buffer_load_dword v3, v0, s[0:3], 0 offen offset:4
	buffer_load_dword v4, v0, s[0:3], 0 offen offset:8
	;; [unrolled: 1-line block ×6, first 2 shown]
	buffer_load_dword v9, v1, s[0:3], 0 offen
	s_waitcnt vmcnt(7)
	buffer_store_dword v2, v1, s[0:3], 0 offen
	s_waitcnt vmcnt(6)
	buffer_store_dword v3, v1, s[0:3], 0 offen offset:4
	s_waitcnt vmcnt(5)
	buffer_store_dword v4, v1, s[0:3], 0 offen offset:8
	;; [unrolled: 2-line block ×6, first 2 shown]
	s_waitcnt vmcnt(0)
	buffer_store_dword v9, v0, s[0:3], 0 offen
.LBB63_504:
	v_mov_b32_e32 v0, 0
	global_load_dword v1, v0, s[20:21] offset:64
	s_waitcnt vmcnt(0)
	v_add_nc_u32_e32 v1, -1, v1
	v_cmp_eq_u32_e32 vcc_lo, 16, v1
	s_cbranch_vccnz .LBB63_506
; %bb.505:
	v_lshlrev_b32_e32 v1, 4, v1
	v_mov_b32_e32 v2, s62
	v_add_nc_u32_e32 v1, 16, v1
	s_clause 0x7
	buffer_load_dword v3, v1, s[0:3], 0 offen
	buffer_load_dword v4, v1, s[0:3], 0 offen offset:4
	buffer_load_dword v5, v1, s[0:3], 0 offen offset:8
	;; [unrolled: 1-line block ×6, first 2 shown]
	buffer_load_dword v10, v2, s[0:3], 0 offen
	s_waitcnt vmcnt(7)
	buffer_store_dword v3, v2, s[0:3], 0 offen
	s_waitcnt vmcnt(6)
	buffer_store_dword v4, v2, s[0:3], 0 offen offset:4
	s_waitcnt vmcnt(5)
	buffer_store_dword v5, v2, s[0:3], 0 offen offset:8
	;; [unrolled: 2-line block ×6, first 2 shown]
	s_waitcnt vmcnt(0)
	buffer_store_dword v10, v1, s[0:3], 0 offen
.LBB63_506:
	global_load_dword v0, v0, s[20:21] offset:60
	s_waitcnt vmcnt(0)
	v_add_nc_u32_e32 v0, -1, v0
	v_cmp_eq_u32_e32 vcc_lo, 15, v0
	s_cbranch_vccnz .LBB63_508
; %bb.507:
	v_lshlrev_b32_e32 v0, 4, v0
	v_mov_b32_e32 v1, s63
	v_add_nc_u32_e32 v0, 16, v0
	s_clause 0x7
	buffer_load_dword v2, v0, s[0:3], 0 offen
	buffer_load_dword v3, v0, s[0:3], 0 offen offset:4
	buffer_load_dword v4, v0, s[0:3], 0 offen offset:8
	;; [unrolled: 1-line block ×6, first 2 shown]
	buffer_load_dword v9, v1, s[0:3], 0 offen
	s_waitcnt vmcnt(7)
	buffer_store_dword v2, v1, s[0:3], 0 offen
	s_waitcnt vmcnt(6)
	buffer_store_dword v3, v1, s[0:3], 0 offen offset:4
	s_waitcnt vmcnt(5)
	buffer_store_dword v4, v1, s[0:3], 0 offen offset:8
	;; [unrolled: 2-line block ×6, first 2 shown]
	s_waitcnt vmcnt(0)
	buffer_store_dword v9, v0, s[0:3], 0 offen
.LBB63_508:
	v_mov_b32_e32 v0, 0
	global_load_dword v1, v0, s[20:21] offset:56
	s_waitcnt vmcnt(0)
	v_add_nc_u32_e32 v1, -1, v1
	v_cmp_eq_u32_e32 vcc_lo, 14, v1
	s_cbranch_vccnz .LBB63_510
; %bb.509:
	v_lshlrev_b32_e32 v1, 4, v1
	v_mov_b32_e32 v2, s64
	v_add_nc_u32_e32 v1, 16, v1
	s_clause 0x7
	buffer_load_dword v3, v1, s[0:3], 0 offen
	buffer_load_dword v4, v1, s[0:3], 0 offen offset:4
	buffer_load_dword v5, v1, s[0:3], 0 offen offset:8
	;; [unrolled: 1-line block ×6, first 2 shown]
	buffer_load_dword v10, v2, s[0:3], 0 offen
	s_waitcnt vmcnt(7)
	buffer_store_dword v3, v2, s[0:3], 0 offen
	s_waitcnt vmcnt(6)
	buffer_store_dword v4, v2, s[0:3], 0 offen offset:4
	s_waitcnt vmcnt(5)
	buffer_store_dword v5, v2, s[0:3], 0 offen offset:8
	;; [unrolled: 2-line block ×6, first 2 shown]
	s_waitcnt vmcnt(0)
	buffer_store_dword v10, v1, s[0:3], 0 offen
.LBB63_510:
	global_load_dword v0, v0, s[20:21] offset:52
	s_waitcnt vmcnt(0)
	v_add_nc_u32_e32 v0, -1, v0
	v_cmp_eq_u32_e32 vcc_lo, 13, v0
	s_cbranch_vccnz .LBB63_512
; %bb.511:
	v_lshlrev_b32_e32 v0, 4, v0
	v_mov_b32_e32 v1, s65
	v_add_nc_u32_e32 v0, 16, v0
	s_clause 0x7
	buffer_load_dword v2, v0, s[0:3], 0 offen
	buffer_load_dword v3, v0, s[0:3], 0 offen offset:4
	buffer_load_dword v4, v0, s[0:3], 0 offen offset:8
	;; [unrolled: 1-line block ×6, first 2 shown]
	buffer_load_dword v9, v1, s[0:3], 0 offen
	s_waitcnt vmcnt(7)
	buffer_store_dword v2, v1, s[0:3], 0 offen
	s_waitcnt vmcnt(6)
	buffer_store_dword v3, v1, s[0:3], 0 offen offset:4
	s_waitcnt vmcnt(5)
	buffer_store_dword v4, v1, s[0:3], 0 offen offset:8
	;; [unrolled: 2-line block ×6, first 2 shown]
	s_waitcnt vmcnt(0)
	buffer_store_dword v9, v0, s[0:3], 0 offen
.LBB63_512:
	v_mov_b32_e32 v0, 0
	global_load_dword v1, v0, s[20:21] offset:48
	s_waitcnt vmcnt(0)
	v_add_nc_u32_e32 v1, -1, v1
	v_cmp_eq_u32_e32 vcc_lo, 12, v1
	s_cbranch_vccnz .LBB63_514
; %bb.513:
	v_lshlrev_b32_e32 v1, 4, v1
	v_mov_b32_e32 v2, s66
	v_add_nc_u32_e32 v1, 16, v1
	s_clause 0x7
	buffer_load_dword v3, v1, s[0:3], 0 offen
	buffer_load_dword v4, v1, s[0:3], 0 offen offset:4
	buffer_load_dword v5, v1, s[0:3], 0 offen offset:8
	;; [unrolled: 1-line block ×6, first 2 shown]
	buffer_load_dword v10, v2, s[0:3], 0 offen
	s_waitcnt vmcnt(7)
	buffer_store_dword v3, v2, s[0:3], 0 offen
	s_waitcnt vmcnt(6)
	buffer_store_dword v4, v2, s[0:3], 0 offen offset:4
	s_waitcnt vmcnt(5)
	buffer_store_dword v5, v2, s[0:3], 0 offen offset:8
	;; [unrolled: 2-line block ×6, first 2 shown]
	s_waitcnt vmcnt(0)
	buffer_store_dword v10, v1, s[0:3], 0 offen
.LBB63_514:
	global_load_dword v0, v0, s[20:21] offset:44
	s_waitcnt vmcnt(0)
	v_add_nc_u32_e32 v0, -1, v0
	v_cmp_eq_u32_e32 vcc_lo, 11, v0
	s_cbranch_vccnz .LBB63_516
; %bb.515:
	v_lshlrev_b32_e32 v0, 4, v0
	v_mov_b32_e32 v1, s67
	v_add_nc_u32_e32 v0, 16, v0
	s_clause 0x7
	buffer_load_dword v2, v0, s[0:3], 0 offen
	buffer_load_dword v3, v0, s[0:3], 0 offen offset:4
	buffer_load_dword v4, v0, s[0:3], 0 offen offset:8
	;; [unrolled: 1-line block ×6, first 2 shown]
	buffer_load_dword v9, v1, s[0:3], 0 offen
	s_waitcnt vmcnt(7)
	buffer_store_dword v2, v1, s[0:3], 0 offen
	s_waitcnt vmcnt(6)
	buffer_store_dword v3, v1, s[0:3], 0 offen offset:4
	s_waitcnt vmcnt(5)
	buffer_store_dword v4, v1, s[0:3], 0 offen offset:8
	;; [unrolled: 2-line block ×6, first 2 shown]
	s_waitcnt vmcnt(0)
	buffer_store_dword v9, v0, s[0:3], 0 offen
.LBB63_516:
	v_mov_b32_e32 v0, 0
	global_load_dword v1, v0, s[20:21] offset:40
	s_waitcnt vmcnt(0)
	v_add_nc_u32_e32 v1, -1, v1
	v_cmp_eq_u32_e32 vcc_lo, 10, v1
	s_cbranch_vccnz .LBB63_518
; %bb.517:
	v_lshlrev_b32_e32 v1, 4, v1
	v_mov_b32_e32 v2, s68
	v_add_nc_u32_e32 v1, 16, v1
	s_clause 0x7
	buffer_load_dword v3, v1, s[0:3], 0 offen
	buffer_load_dword v4, v1, s[0:3], 0 offen offset:4
	buffer_load_dword v5, v1, s[0:3], 0 offen offset:8
	buffer_load_dword v6, v1, s[0:3], 0 offen offset:12
	buffer_load_dword v7, v2, s[0:3], 0 offen offset:12
	buffer_load_dword v8, v2, s[0:3], 0 offen offset:8
	buffer_load_dword v9, v2, s[0:3], 0 offen offset:4
	buffer_load_dword v10, v2, s[0:3], 0 offen
	s_waitcnt vmcnt(7)
	buffer_store_dword v3, v2, s[0:3], 0 offen
	s_waitcnt vmcnt(6)
	buffer_store_dword v4, v2, s[0:3], 0 offen offset:4
	s_waitcnt vmcnt(5)
	buffer_store_dword v5, v2, s[0:3], 0 offen offset:8
	;; [unrolled: 2-line block ×6, first 2 shown]
	s_waitcnt vmcnt(0)
	buffer_store_dword v10, v1, s[0:3], 0 offen
.LBB63_518:
	global_load_dword v0, v0, s[20:21] offset:36
	s_waitcnt vmcnt(0)
	v_add_nc_u32_e32 v0, -1, v0
	v_cmp_eq_u32_e32 vcc_lo, 9, v0
	s_cbranch_vccnz .LBB63_520
; %bb.519:
	v_lshlrev_b32_e32 v0, 4, v0
	v_mov_b32_e32 v1, s69
	v_add_nc_u32_e32 v0, 16, v0
	s_clause 0x7
	buffer_load_dword v2, v0, s[0:3], 0 offen
	buffer_load_dword v3, v0, s[0:3], 0 offen offset:4
	buffer_load_dword v4, v0, s[0:3], 0 offen offset:8
	;; [unrolled: 1-line block ×6, first 2 shown]
	buffer_load_dword v9, v1, s[0:3], 0 offen
	s_waitcnt vmcnt(7)
	buffer_store_dword v2, v1, s[0:3], 0 offen
	s_waitcnt vmcnt(6)
	buffer_store_dword v3, v1, s[0:3], 0 offen offset:4
	s_waitcnt vmcnt(5)
	buffer_store_dword v4, v1, s[0:3], 0 offen offset:8
	;; [unrolled: 2-line block ×6, first 2 shown]
	s_waitcnt vmcnt(0)
	buffer_store_dword v9, v0, s[0:3], 0 offen
.LBB63_520:
	v_mov_b32_e32 v0, 0
	global_load_dword v1, v0, s[20:21] offset:32
	s_waitcnt vmcnt(0)
	v_add_nc_u32_e32 v1, -1, v1
	v_cmp_eq_u32_e32 vcc_lo, 8, v1
	s_cbranch_vccnz .LBB63_522
; %bb.521:
	v_lshlrev_b32_e32 v1, 4, v1
	v_mov_b32_e32 v2, s70
	v_add_nc_u32_e32 v1, 16, v1
	s_clause 0x7
	buffer_load_dword v3, v1, s[0:3], 0 offen
	buffer_load_dword v4, v1, s[0:3], 0 offen offset:4
	buffer_load_dword v5, v1, s[0:3], 0 offen offset:8
	;; [unrolled: 1-line block ×6, first 2 shown]
	buffer_load_dword v10, v2, s[0:3], 0 offen
	s_waitcnt vmcnt(7)
	buffer_store_dword v3, v2, s[0:3], 0 offen
	s_waitcnt vmcnt(6)
	buffer_store_dword v4, v2, s[0:3], 0 offen offset:4
	s_waitcnt vmcnt(5)
	buffer_store_dword v5, v2, s[0:3], 0 offen offset:8
	;; [unrolled: 2-line block ×6, first 2 shown]
	s_waitcnt vmcnt(0)
	buffer_store_dword v10, v1, s[0:3], 0 offen
.LBB63_522:
	global_load_dword v0, v0, s[20:21] offset:28
	s_waitcnt vmcnt(0)
	v_add_nc_u32_e32 v0, -1, v0
	v_cmp_eq_u32_e32 vcc_lo, 7, v0
	s_cbranch_vccnz .LBB63_524
; %bb.523:
	v_lshlrev_b32_e32 v0, 4, v0
	v_mov_b32_e32 v1, s71
	v_add_nc_u32_e32 v0, 16, v0
	s_clause 0x7
	buffer_load_dword v2, v0, s[0:3], 0 offen
	buffer_load_dword v3, v0, s[0:3], 0 offen offset:4
	buffer_load_dword v4, v0, s[0:3], 0 offen offset:8
	buffer_load_dword v5, v0, s[0:3], 0 offen offset:12
	buffer_load_dword v6, v1, s[0:3], 0 offen offset:12
	buffer_load_dword v7, v1, s[0:3], 0 offen offset:8
	buffer_load_dword v8, v1, s[0:3], 0 offen offset:4
	buffer_load_dword v9, v1, s[0:3], 0 offen
	s_waitcnt vmcnt(7)
	buffer_store_dword v2, v1, s[0:3], 0 offen
	s_waitcnt vmcnt(6)
	buffer_store_dword v3, v1, s[0:3], 0 offen offset:4
	s_waitcnt vmcnt(5)
	buffer_store_dword v4, v1, s[0:3], 0 offen offset:8
	;; [unrolled: 2-line block ×6, first 2 shown]
	s_waitcnt vmcnt(0)
	buffer_store_dword v9, v0, s[0:3], 0 offen
.LBB63_524:
	v_mov_b32_e32 v0, 0
	global_load_dword v1, v0, s[20:21] offset:24
	s_waitcnt vmcnt(0)
	v_add_nc_u32_e32 v1, -1, v1
	v_cmp_eq_u32_e32 vcc_lo, 6, v1
	s_cbranch_vccnz .LBB63_526
; %bb.525:
	v_lshlrev_b32_e32 v1, 4, v1
	v_mov_b32_e32 v2, s72
	v_add_nc_u32_e32 v1, 16, v1
	s_clause 0x7
	buffer_load_dword v3, v1, s[0:3], 0 offen
	buffer_load_dword v4, v1, s[0:3], 0 offen offset:4
	buffer_load_dword v5, v1, s[0:3], 0 offen offset:8
	;; [unrolled: 1-line block ×6, first 2 shown]
	buffer_load_dword v10, v2, s[0:3], 0 offen
	s_waitcnt vmcnt(7)
	buffer_store_dword v3, v2, s[0:3], 0 offen
	s_waitcnt vmcnt(6)
	buffer_store_dword v4, v2, s[0:3], 0 offen offset:4
	s_waitcnt vmcnt(5)
	buffer_store_dword v5, v2, s[0:3], 0 offen offset:8
	;; [unrolled: 2-line block ×6, first 2 shown]
	s_waitcnt vmcnt(0)
	buffer_store_dword v10, v1, s[0:3], 0 offen
.LBB63_526:
	global_load_dword v0, v0, s[20:21] offset:20
	s_waitcnt vmcnt(0)
	v_add_nc_u32_e32 v0, -1, v0
	v_cmp_eq_u32_e32 vcc_lo, 5, v0
	s_cbranch_vccnz .LBB63_528
; %bb.527:
	v_lshlrev_b32_e32 v0, 4, v0
	v_mov_b32_e32 v1, s73
	v_add_nc_u32_e32 v0, 16, v0
	s_clause 0x7
	buffer_load_dword v2, v0, s[0:3], 0 offen
	buffer_load_dword v3, v0, s[0:3], 0 offen offset:4
	buffer_load_dword v4, v0, s[0:3], 0 offen offset:8
	;; [unrolled: 1-line block ×6, first 2 shown]
	buffer_load_dword v9, v1, s[0:3], 0 offen
	s_waitcnt vmcnt(7)
	buffer_store_dword v2, v1, s[0:3], 0 offen
	s_waitcnt vmcnt(6)
	buffer_store_dword v3, v1, s[0:3], 0 offen offset:4
	s_waitcnt vmcnt(5)
	buffer_store_dword v4, v1, s[0:3], 0 offen offset:8
	;; [unrolled: 2-line block ×6, first 2 shown]
	s_waitcnt vmcnt(0)
	buffer_store_dword v9, v0, s[0:3], 0 offen
.LBB63_528:
	v_mov_b32_e32 v0, 0
	global_load_dword v1, v0, s[20:21] offset:16
	s_waitcnt vmcnt(0)
	v_add_nc_u32_e32 v1, -1, v1
	v_cmp_eq_u32_e32 vcc_lo, 4, v1
	s_cbranch_vccnz .LBB63_530
; %bb.529:
	v_lshlrev_b32_e32 v1, 4, v1
	v_mov_b32_e32 v2, s74
	v_add_nc_u32_e32 v1, 16, v1
	s_clause 0x7
	buffer_load_dword v3, v1, s[0:3], 0 offen
	buffer_load_dword v4, v1, s[0:3], 0 offen offset:4
	buffer_load_dword v5, v1, s[0:3], 0 offen offset:8
	;; [unrolled: 1-line block ×6, first 2 shown]
	buffer_load_dword v10, v2, s[0:3], 0 offen
	s_waitcnt vmcnt(7)
	buffer_store_dword v3, v2, s[0:3], 0 offen
	s_waitcnt vmcnt(6)
	buffer_store_dword v4, v2, s[0:3], 0 offen offset:4
	s_waitcnt vmcnt(5)
	buffer_store_dword v5, v2, s[0:3], 0 offen offset:8
	;; [unrolled: 2-line block ×6, first 2 shown]
	s_waitcnt vmcnt(0)
	buffer_store_dword v10, v1, s[0:3], 0 offen
.LBB63_530:
	global_load_dword v0, v0, s[20:21] offset:12
	s_waitcnt vmcnt(0)
	v_add_nc_u32_e32 v0, -1, v0
	v_cmp_eq_u32_e32 vcc_lo, 3, v0
	s_cbranch_vccnz .LBB63_532
; %bb.531:
	v_lshlrev_b32_e32 v0, 4, v0
	v_mov_b32_e32 v1, s75
	v_add_nc_u32_e32 v0, 16, v0
	s_clause 0x7
	buffer_load_dword v2, v0, s[0:3], 0 offen
	buffer_load_dword v3, v0, s[0:3], 0 offen offset:4
	buffer_load_dword v4, v0, s[0:3], 0 offen offset:8
	;; [unrolled: 1-line block ×6, first 2 shown]
	buffer_load_dword v9, v1, s[0:3], 0 offen
	s_waitcnt vmcnt(7)
	buffer_store_dword v2, v1, s[0:3], 0 offen
	s_waitcnt vmcnt(6)
	buffer_store_dword v3, v1, s[0:3], 0 offen offset:4
	s_waitcnt vmcnt(5)
	buffer_store_dword v4, v1, s[0:3], 0 offen offset:8
	;; [unrolled: 2-line block ×6, first 2 shown]
	s_waitcnt vmcnt(0)
	buffer_store_dword v9, v0, s[0:3], 0 offen
.LBB63_532:
	v_mov_b32_e32 v0, 0
	global_load_dword v1, v0, s[20:21] offset:8
	s_waitcnt vmcnt(0)
	v_add_nc_u32_e32 v1, -1, v1
	v_cmp_eq_u32_e32 vcc_lo, 2, v1
	s_cbranch_vccnz .LBB63_534
; %bb.533:
	v_lshlrev_b32_e32 v1, 4, v1
	v_mov_b32_e32 v2, s76
	v_add_nc_u32_e32 v1, 16, v1
	s_clause 0x7
	buffer_load_dword v3, v1, s[0:3], 0 offen
	buffer_load_dword v4, v1, s[0:3], 0 offen offset:4
	buffer_load_dword v5, v1, s[0:3], 0 offen offset:8
	;; [unrolled: 1-line block ×6, first 2 shown]
	buffer_load_dword v10, v2, s[0:3], 0 offen
	s_waitcnt vmcnt(7)
	buffer_store_dword v3, v2, s[0:3], 0 offen
	s_waitcnt vmcnt(6)
	buffer_store_dword v4, v2, s[0:3], 0 offen offset:4
	s_waitcnt vmcnt(5)
	buffer_store_dword v5, v2, s[0:3], 0 offen offset:8
	;; [unrolled: 2-line block ×6, first 2 shown]
	s_waitcnt vmcnt(0)
	buffer_store_dword v10, v1, s[0:3], 0 offen
.LBB63_534:
	global_load_dword v0, v0, s[20:21] offset:4
	s_waitcnt vmcnt(0)
	v_add_nc_u32_e32 v0, -1, v0
	v_cmp_eq_u32_e32 vcc_lo, 1, v0
	s_cbranch_vccnz .LBB63_536
; %bb.535:
	v_lshlrev_b32_e32 v0, 4, v0
	v_mov_b32_e32 v1, s77
	v_add_nc_u32_e32 v0, 16, v0
	s_clause 0x7
	buffer_load_dword v2, v0, s[0:3], 0 offen
	buffer_load_dword v3, v0, s[0:3], 0 offen offset:4
	buffer_load_dword v4, v0, s[0:3], 0 offen offset:8
	;; [unrolled: 1-line block ×6, first 2 shown]
	buffer_load_dword v9, v1, s[0:3], 0 offen
	s_waitcnt vmcnt(7)
	buffer_store_dword v2, v1, s[0:3], 0 offen
	s_waitcnt vmcnt(6)
	buffer_store_dword v3, v1, s[0:3], 0 offen offset:4
	s_waitcnt vmcnt(5)
	buffer_store_dword v4, v1, s[0:3], 0 offen offset:8
	;; [unrolled: 2-line block ×6, first 2 shown]
	s_waitcnt vmcnt(0)
	buffer_store_dword v9, v0, s[0:3], 0 offen
.LBB63_536:
	v_mov_b32_e32 v0, 0
	global_load_dword v0, v0, s[20:21]
	s_waitcnt vmcnt(0)
	v_add_nc_u32_e32 v0, -1, v0
	v_cmp_eq_u32_e32 vcc_lo, 0, v0
	s_cbranch_vccnz .LBB63_538
; %bb.537:
	v_lshlrev_b32_e32 v0, 4, v0
	v_add_nc_u32_e32 v0, 16, v0
	s_clause 0x7
	buffer_load_dword v1, v0, s[0:3], 0 offen
	buffer_load_dword v2, v0, s[0:3], 0 offen offset:4
	buffer_load_dword v3, v0, s[0:3], 0 offen offset:8
	;; [unrolled: 1-line block ×3, first 2 shown]
	buffer_load_dword v5, off, s[0:3], 0 offset:28
	buffer_load_dword v6, off, s[0:3], 0 offset:24
	;; [unrolled: 1-line block ×4, first 2 shown]
	s_waitcnt vmcnt(7)
	buffer_store_dword v1, off, s[0:3], 0 offset:16
	s_waitcnt vmcnt(6)
	buffer_store_dword v2, off, s[0:3], 0 offset:20
	s_waitcnt vmcnt(5)
	buffer_store_dword v3, off, s[0:3], 0 offset:24
	s_waitcnt vmcnt(4)
	buffer_store_dword v4, off, s[0:3], 0 offset:28
	s_waitcnt vmcnt(3)
	buffer_store_dword v5, v0, s[0:3], 0 offen offset:12
	s_waitcnt vmcnt(2)
	buffer_store_dword v6, v0, s[0:3], 0 offen offset:8
	;; [unrolled: 2-line block ×3, first 2 shown]
	s_waitcnt vmcnt(0)
	buffer_store_dword v8, v0, s[0:3], 0 offen
.LBB63_538:
	v_mov_b32_e32 v7, s76
	v_mov_b32_e32 v11, s75
	v_mov_b32_e32 v15, s74
	v_mov_b32_e32 v3, s77
	v_mov_b32_e32 v19, s73
	s_clause 0x7
	buffer_load_dword v84, off, s[0:3], 0 offset:16
	buffer_load_dword v85, off, s[0:3], 0 offset:20
	;; [unrolled: 1-line block ×4, first 2 shown]
	buffer_load_dword v0, v3, s[0:3], 0 offen
	buffer_load_dword v1, v3, s[0:3], 0 offen offset:4
	buffer_load_dword v2, v3, s[0:3], 0 offen offset:8
	buffer_load_dword v3, v3, s[0:3], 0 offen offset:12
	v_mov_b32_e32 v23, s72
	s_clause 0x3
	buffer_load_dword v4, v7, s[0:3], 0 offen
	buffer_load_dword v5, v7, s[0:3], 0 offen offset:4
	buffer_load_dword v6, v7, s[0:3], 0 offen offset:8
	buffer_load_dword v7, v7, s[0:3], 0 offen offset:12
	v_mov_b32_e32 v27, s71
	s_clause 0x3
	;; [unrolled: 6-line block ×14, first 2 shown]
	buffer_load_dword v56, v59, s[0:3], 0 offen
	buffer_load_dword v57, v59, s[0:3], 0 offen offset:4
	buffer_load_dword v58, v59, s[0:3], 0 offen offset:8
	buffer_load_dword v59, v59, s[0:3], 0 offen offset:12
	buffer_load_dword v60, v63, s[0:3], 0 offen
	buffer_load_dword v61, v63, s[0:3], 0 offen offset:4
	buffer_load_dword v62, v63, s[0:3], 0 offen offset:8
	buffer_load_dword v63, v63, s[0:3], 0 offen offset:12
	;; [unrolled: 4-line block ×5, first 2 shown]
	v_mov_b32_e32 v79, s58
	v_mov_b32_e32 v126, s56
	;; [unrolled: 1-line block ×6, first 2 shown]
	s_clause 0x7
	buffer_load_dword v76, v79, s[0:3], 0 offen
	buffer_load_dword v77, v79, s[0:3], 0 offen offset:4
	buffer_load_dword v78, v79, s[0:3], 0 offen offset:8
	;; [unrolled: 1-line block ×3, first 2 shown]
	buffer_load_dword v80, v83, s[0:3], 0 offen
	buffer_load_dword v81, v83, s[0:3], 0 offen offset:4
	buffer_load_dword v82, v83, s[0:3], 0 offen offset:8
	;; [unrolled: 1-line block ×3, first 2 shown]
	v_mov_b32_e32 v127, s55
	v_mov_b32_e32 v138, s48
	;; [unrolled: 1-line block ×37, first 2 shown]
	s_waitcnt vmcnt(62)
	global_store_dwordx4 v[149:150], v[84:87], off
	global_store_dwordx4 v[131:132], v[0:3], off
	s_clause 0x7
	buffer_load_dword v0, v126, s[0:3], 0 offen
	buffer_load_dword v1, v126, s[0:3], 0 offen offset:4
	buffer_load_dword v2, v126, s[0:3], 0 offen offset:8
	buffer_load_dword v3, v126, s[0:3], 0 offen offset:12
	buffer_load_dword v84, v127, s[0:3], 0 offen
	buffer_load_dword v85, v127, s[0:3], 0 offen offset:4
	buffer_load_dword v86, v127, s[0:3], 0 offen offset:8
	buffer_load_dword v87, v127, s[0:3], 0 offen offset:12
	global_store_dwordx4 v[135:136], v[4:7], off
	s_clause 0x7
	buffer_load_dword v4, v128, s[0:3], 0 offen
	buffer_load_dword v5, v128, s[0:3], 0 offen offset:4
	buffer_load_dword v6, v128, s[0:3], 0 offen offset:8
	buffer_load_dword v7, v128, s[0:3], 0 offen offset:12
	buffer_load_dword v126, v129, s[0:3], 0 offen
	buffer_load_dword v127, v129, s[0:3], 0 offen offset:4
	buffer_load_dword v128, v129, s[0:3], 0 offen offset:8
	buffer_load_dword v129, v129, s[0:3], 0 offen offset:12
	;; [unrolled: 10-line block ×5, first 2 shown]
	s_waitcnt vmcnt(62)
	global_store_dwordx4 v[156:157], v[20:23], off
	s_clause 0x7
	buffer_load_dword v20, v232, s[0:3], 0 offen
	buffer_load_dword v21, v232, s[0:3], 0 offen offset:4
	buffer_load_dword v22, v232, s[0:3], 0 offen offset:8
	buffer_load_dword v23, v232, s[0:3], 0 offen offset:12
	buffer_load_dword v142, v233, s[0:3], 0 offen
	buffer_load_dword v143, v233, s[0:3], 0 offen offset:4
	buffer_load_dword v144, v233, s[0:3], 0 offen offset:8
	buffer_load_dword v145, v233, s[0:3], 0 offen offset:12
	global_store_dwordx4 v[146:147], v[24:27], off
	s_clause 0x7
	buffer_load_dword v24, v234, s[0:3], 0 offen
	buffer_load_dword v25, v234, s[0:3], 0 offen offset:4
	buffer_load_dword v26, v234, s[0:3], 0 offen offset:8
	buffer_load_dword v27, v234, s[0:3], 0 offen offset:12
	buffer_load_dword v146, v235, s[0:3], 0 offen
	buffer_load_dword v147, v235, s[0:3], 0 offen offset:4
	buffer_load_dword v148, v235, s[0:3], 0 offen offset:8
	buffer_load_dword v149, v235, s[0:3], 0 offen offset:12
	;; [unrolled: 10-line block ×10, first 2 shown]
	s_waitcnt vmcnt(62)
	global_store_dwordx4 v[175:176], v[60:63], off
	s_clause 0x7
	buffer_load_dword v60, v252, s[0:3], 0 offen
	buffer_load_dword v61, v252, s[0:3], 0 offen offset:4
	buffer_load_dword v62, v252, s[0:3], 0 offen offset:8
	buffer_load_dword v63, v252, s[0:3], 0 offen offset:12
	buffer_load_dword v243, v253, s[0:3], 0 offen
	buffer_load_dword v244, v253, s[0:3], 0 offen offset:4
	buffer_load_dword v245, v253, s[0:3], 0 offen offset:8
	buffer_load_dword v246, v253, s[0:3], 0 offen offset:12
	global_store_dwordx4 v[177:178], v[64:67], off
	s_clause 0x7
	buffer_load_dword v64, v254, s[0:3], 0 offen
	buffer_load_dword v65, v254, s[0:3], 0 offen offset:4
	buffer_load_dword v66, v254, s[0:3], 0 offen offset:8
	buffer_load_dword v67, v254, s[0:3], 0 offen offset:12
	buffer_load_dword v173, v255, s[0:3], 0 offen
	buffer_load_dword v174, v255, s[0:3], 0 offen offset:4
	buffer_load_dword v175, v255, s[0:3], 0 offen offset:8
	buffer_load_dword v176, v255, s[0:3], 0 offen offset:12
	;; [unrolled: 10-line block ×4, first 2 shown]
	buffer_load_dword v170, off, s[0:3], 0 offset:1040
	buffer_load_dword v171, off, s[0:3], 0 offset:1044
	s_waitcnt vmcnt(0)
	global_store_dwordx4 v[170:171], v[76:79], off
	s_clause 0x1
	buffer_load_dword v76, off, s[0:3], 0 offset:1056
	buffer_load_dword v77, off, s[0:3], 0 offset:1060
	v_mov_b32_e32 v170, s12
	s_waitcnt vmcnt(0)
	global_store_dwordx4 v[76:77], v[80:83], off
	s_clause 0xf
	buffer_load_dword v76, v181, s[0:3], 0 offen
	buffer_load_dword v77, v181, s[0:3], 0 offen offset:4
	buffer_load_dword v78, v181, s[0:3], 0 offen offset:8
	buffer_load_dword v79, v181, s[0:3], 0 offen offset:12
	buffer_load_dword v80, v182, s[0:3], 0 offen
	buffer_load_dword v81, v182, s[0:3], 0 offen offset:4
	buffer_load_dword v82, v182, s[0:3], 0 offen offset:8
	buffer_load_dword v83, v182, s[0:3], 0 offen offset:12
	buffer_load_dword v181, v184, s[0:3], 0 offen
	buffer_load_dword v182, v184, s[0:3], 0 offen offset:4
	buffer_load_dword v183, v184, s[0:3], 0 offen offset:8
	buffer_load_dword v184, v184, s[0:3], 0 offen offset:12
	buffer_load_dword v251, v170, s[0:3], 0 offen
	buffer_load_dword v252, v170, s[0:3], 0 offen offset:4
	buffer_load_dword v253, v170, s[0:3], 0 offen offset:8
	buffer_load_dword v254, v170, s[0:3], 0 offen offset:12
	global_store_dwordx4 v[185:186], v[0:3], off
	s_clause 0x1
	buffer_load_dword v0, off, s[0:3], 0 offset:1048
	buffer_load_dword v1, off, s[0:3], 0 offset:1052
	s_waitcnt vmcnt(0)
	global_store_dwordx4 v[0:1], v[84:87], off
	s_clause 0x1
	buffer_load_dword v0, off, s[0:3], 0 offset:1064
	buffer_load_dword v1, off, s[0:3], 0 offset:1068
	s_waitcnt vmcnt(0)
	global_store_dwordx4 v[0:1], v[4:7], off
	global_store_dwordx4 v[191:192], v[126:129], off
	;; [unrolled: 1-line block ×40, first 2 shown]
	s_endpgm
	.section	.rodata,"a",@progbits
	.p2align	6, 0x0
	.amdhsa_kernel _ZN9rocsolver6v33100L18getri_kernel_smallILi64E19rocblas_complex_numIdEPS3_EEvT1_iilPiilS6_bb
		.amdhsa_group_segment_fixed_size 2056
		.amdhsa_private_segment_fixed_size 1088
		.amdhsa_kernarg_size 60
		.amdhsa_user_sgpr_count 6
		.amdhsa_user_sgpr_private_segment_buffer 1
		.amdhsa_user_sgpr_dispatch_ptr 0
		.amdhsa_user_sgpr_queue_ptr 0
		.amdhsa_user_sgpr_kernarg_segment_ptr 1
		.amdhsa_user_sgpr_dispatch_id 0
		.amdhsa_user_sgpr_flat_scratch_init 0
		.amdhsa_user_sgpr_private_segment_size 0
		.amdhsa_wavefront_size32 1
		.amdhsa_uses_dynamic_stack 0
		.amdhsa_system_sgpr_private_segment_wavefront_offset 1
		.amdhsa_system_sgpr_workgroup_id_x 1
		.amdhsa_system_sgpr_workgroup_id_y 0
		.amdhsa_system_sgpr_workgroup_id_z 0
		.amdhsa_system_sgpr_workgroup_info 0
		.amdhsa_system_vgpr_workitem_id 0
		.amdhsa_next_free_vgpr 256
		.amdhsa_next_free_sgpr 84
		.amdhsa_reserve_vcc 1
		.amdhsa_reserve_flat_scratch 0
		.amdhsa_float_round_mode_32 0
		.amdhsa_float_round_mode_16_64 0
		.amdhsa_float_denorm_mode_32 3
		.amdhsa_float_denorm_mode_16_64 3
		.amdhsa_dx10_clamp 1
		.amdhsa_ieee_mode 1
		.amdhsa_fp16_overflow 0
		.amdhsa_workgroup_processor_mode 1
		.amdhsa_memory_ordered 1
		.amdhsa_forward_progress 1
		.amdhsa_shared_vgpr_count 0
		.amdhsa_exception_fp_ieee_invalid_op 0
		.amdhsa_exception_fp_denorm_src 0
		.amdhsa_exception_fp_ieee_div_zero 0
		.amdhsa_exception_fp_ieee_overflow 0
		.amdhsa_exception_fp_ieee_underflow 0
		.amdhsa_exception_fp_ieee_inexact 0
		.amdhsa_exception_int_div_zero 0
	.end_amdhsa_kernel
	.section	.text._ZN9rocsolver6v33100L18getri_kernel_smallILi64E19rocblas_complex_numIdEPS3_EEvT1_iilPiilS6_bb,"axG",@progbits,_ZN9rocsolver6v33100L18getri_kernel_smallILi64E19rocblas_complex_numIdEPS3_EEvT1_iilPiilS6_bb,comdat
.Lfunc_end63:
	.size	_ZN9rocsolver6v33100L18getri_kernel_smallILi64E19rocblas_complex_numIdEPS3_EEvT1_iilPiilS6_bb, .Lfunc_end63-_ZN9rocsolver6v33100L18getri_kernel_smallILi64E19rocblas_complex_numIdEPS3_EEvT1_iilPiilS6_bb
                                        ; -- End function
	.set _ZN9rocsolver6v33100L18getri_kernel_smallILi64E19rocblas_complex_numIdEPS3_EEvT1_iilPiilS6_bb.num_vgpr, 256
	.set _ZN9rocsolver6v33100L18getri_kernel_smallILi64E19rocblas_complex_numIdEPS3_EEvT1_iilPiilS6_bb.num_agpr, 0
	.set _ZN9rocsolver6v33100L18getri_kernel_smallILi64E19rocblas_complex_numIdEPS3_EEvT1_iilPiilS6_bb.numbered_sgpr, 84
	.set _ZN9rocsolver6v33100L18getri_kernel_smallILi64E19rocblas_complex_numIdEPS3_EEvT1_iilPiilS6_bb.num_named_barrier, 0
	.set _ZN9rocsolver6v33100L18getri_kernel_smallILi64E19rocblas_complex_numIdEPS3_EEvT1_iilPiilS6_bb.private_seg_size, 1088
	.set _ZN9rocsolver6v33100L18getri_kernel_smallILi64E19rocblas_complex_numIdEPS3_EEvT1_iilPiilS6_bb.uses_vcc, 1
	.set _ZN9rocsolver6v33100L18getri_kernel_smallILi64E19rocblas_complex_numIdEPS3_EEvT1_iilPiilS6_bb.uses_flat_scratch, 0
	.set _ZN9rocsolver6v33100L18getri_kernel_smallILi64E19rocblas_complex_numIdEPS3_EEvT1_iilPiilS6_bb.has_dyn_sized_stack, 0
	.set _ZN9rocsolver6v33100L18getri_kernel_smallILi64E19rocblas_complex_numIdEPS3_EEvT1_iilPiilS6_bb.has_recursion, 0
	.set _ZN9rocsolver6v33100L18getri_kernel_smallILi64E19rocblas_complex_numIdEPS3_EEvT1_iilPiilS6_bb.has_indirect_call, 0
	.section	.AMDGPU.csdata,"",@progbits
; Kernel info:
; codeLenInByte = 254108
; TotalNumSgprs: 86
; NumVgprs: 256
; ScratchSize: 1088
; MemoryBound: 0
; FloatMode: 240
; IeeeMode: 1
; LDSByteSize: 2056 bytes/workgroup (compile time only)
; SGPRBlocks: 0
; VGPRBlocks: 31
; NumSGPRsForWavesPerEU: 86
; NumVGPRsForWavesPerEU: 256
; Occupancy: 4
; WaveLimiterHint : 1
; COMPUTE_PGM_RSRC2:SCRATCH_EN: 1
; COMPUTE_PGM_RSRC2:USER_SGPR: 6
; COMPUTE_PGM_RSRC2:TRAP_HANDLER: 0
; COMPUTE_PGM_RSRC2:TGID_X_EN: 1
; COMPUTE_PGM_RSRC2:TGID_Y_EN: 0
; COMPUTE_PGM_RSRC2:TGID_Z_EN: 0
; COMPUTE_PGM_RSRC2:TIDIG_COMP_CNT: 0
	.section	.text._ZN9rocsolver6v33100L18getri_kernel_smallILi1E19rocblas_complex_numIdEPKPS3_EEvT1_iilPiilS8_bb,"axG",@progbits,_ZN9rocsolver6v33100L18getri_kernel_smallILi1E19rocblas_complex_numIdEPKPS3_EEvT1_iilPiilS8_bb,comdat
	.globl	_ZN9rocsolver6v33100L18getri_kernel_smallILi1E19rocblas_complex_numIdEPKPS3_EEvT1_iilPiilS8_bb ; -- Begin function _ZN9rocsolver6v33100L18getri_kernel_smallILi1E19rocblas_complex_numIdEPKPS3_EEvT1_iilPiilS8_bb
	.p2align	8
	.type	_ZN9rocsolver6v33100L18getri_kernel_smallILi1E19rocblas_complex_numIdEPKPS3_EEvT1_iilPiilS8_bb,@function
_ZN9rocsolver6v33100L18getri_kernel_smallILi1E19rocblas_complex_numIdEPKPS3_EEvT1_iilPiilS8_bb: ; @_ZN9rocsolver6v33100L18getri_kernel_smallILi1E19rocblas_complex_numIdEPKPS3_EEvT1_iilPiilS8_bb
; %bb.0:
	s_mov_b32 s1, 0
	s_mov_b32 s0, exec_lo
	v_cmpx_eq_u32_e32 0, v0
	s_cbranch_execz .LBB64_16
; %bb.1:
	s_clause 0x3
	s_load_dword s2, s[4:5], 0x8
	s_load_dword s0, s[4:5], 0x38
	s_load_dwordx2 s[8:9], s[4:5], 0x0
	s_load_dwordx2 s[4:5], s[4:5], 0x30
	s_waitcnt lgkmcnt(0)
	s_ashr_i32 s3, s2, 31
	s_bitcmp1_b32 s0, 0
	s_cselect_b32 s0, -1, 0
	s_ashr_i32 s7, s6, 31
	s_lshl_b64 s[10:11], s[6:7], 3
	s_add_u32 s8, s8, s10
	s_addc_u32 s9, s9, s11
	s_lshl_b64 s[2:3], s[2:3], 4
	s_load_dwordx2 s[8:9], s[8:9], 0x0
	s_waitcnt lgkmcnt(0)
	s_add_u32 s2, s8, s2
	s_addc_u32 s3, s9, s3
	v_mov_b32_e32 v0, s2
	v_mov_b32_e32 v1, s3
	s_and_b32 vcc_lo, exec_lo, s0
	s_mov_b32 s0, -1
	flat_load_dwordx4 v[0:3], v[0:1]
	s_cbranch_vccnz .LBB64_3
; %bb.2:
	s_lshl_b64 s[0:1], s[6:7], 2
	s_add_u32 s0, s4, s0
	s_addc_u32 s1, s5, s1
	s_load_dword s0, s[0:1], 0x0
	s_waitcnt lgkmcnt(0)
	s_cmp_eq_u32 s0, 0
	s_mov_b32 s0, 0
	s_cselect_b32 s1, -1, 0
.LBB64_3:
	s_andn2_b32 vcc_lo, exec_lo, s0
	s_cbranch_vccnz .LBB64_14
; %bb.4:
	s_waitcnt vmcnt(0) lgkmcnt(0)
	v_cmp_eq_f64_e32 vcc_lo, 0, v[0:1]
	v_cmp_eq_f64_e64 s0, 0, v[2:3]
	v_mov_b32_e32 v4, 0
	ds_write_b32 v4, v4
	s_waitcnt lgkmcnt(0)
	s_barrier
	buffer_gl0_inv
	s_and_b32 s0, vcc_lo, s0
	s_and_saveexec_b32 s8, s0
	s_cbranch_execz .LBB64_8
; %bb.5:
	ds_read_b32 v5, v4
	s_mov_b32 s9, 0
	s_waitcnt lgkmcnt(0)
	v_cmp_ne_u32_e32 vcc_lo, 0, v5
	v_cmp_gt_i32_e64 s0, 2, v5
	s_and_b32 s0, vcc_lo, s0
	s_and_b32 vcc_lo, exec_lo, s0
	s_cbranch_vccnz .LBB64_8
; %bb.6:
	v_mov_b32_e32 v6, 1
	v_mov_b32_e32 v7, 0
.LBB64_7:                               ; =>This Inner Loop Header: Depth=1
	ds_cmpst_rtn_b32 v5, v7, v5, v6
	s_waitcnt lgkmcnt(0)
	v_cmp_ne_u32_e32 vcc_lo, 0, v5
	v_cmp_gt_i32_e64 s0, 2, v5
	s_and_b32 s0, vcc_lo, s0
	s_and_b32 s0, exec_lo, s0
	s_or_b32 s9, s0, s9
	s_andn2_b32 exec_lo, exec_lo, s9
	s_cbranch_execnz .LBB64_7
.LBB64_8:
	s_or_b32 exec_lo, exec_lo, s8
	s_barrier
	buffer_gl0_inv
	ds_read_b32 v5, v4
	s_lshl_b64 s[6:7], s[6:7], 2
	s_add_u32 s4, s4, s6
	s_addc_u32 s5, s5, s7
	s_waitcnt lgkmcnt(0)
	v_cmp_ne_u32_e32 vcc_lo, 0, v5
	global_store_dword v4, v5, s[4:5]
	s_cbranch_vccnz .LBB64_14
; %bb.9:
	v_cmp_ngt_f64_e64 s0, |v[0:1]|, |v[2:3]|
	s_and_saveexec_b32 s1, s0
	s_xor_b32 s0, exec_lo, s1
	s_cbranch_execz .LBB64_11
; %bb.10:
	v_div_scale_f64 v[4:5], null, v[2:3], v[2:3], v[0:1]
	v_div_scale_f64 v[10:11], vcc_lo, v[0:1], v[2:3], v[0:1]
	v_rcp_f64_e32 v[6:7], v[4:5]
	v_fma_f64 v[8:9], -v[4:5], v[6:7], 1.0
	v_fma_f64 v[6:7], v[6:7], v[8:9], v[6:7]
	v_fma_f64 v[8:9], -v[4:5], v[6:7], 1.0
	v_fma_f64 v[6:7], v[6:7], v[8:9], v[6:7]
	v_mul_f64 v[8:9], v[10:11], v[6:7]
	v_fma_f64 v[4:5], -v[4:5], v[8:9], v[10:11]
	v_div_fmas_f64 v[4:5], v[4:5], v[6:7], v[8:9]
	v_div_fixup_f64 v[4:5], v[4:5], v[2:3], v[0:1]
	v_fma_f64 v[0:1], v[0:1], v[4:5], v[2:3]
	v_div_scale_f64 v[2:3], null, v[0:1], v[0:1], 1.0
	v_rcp_f64_e32 v[6:7], v[2:3]
	v_fma_f64 v[8:9], -v[2:3], v[6:7], 1.0
	v_fma_f64 v[6:7], v[6:7], v[8:9], v[6:7]
	v_fma_f64 v[8:9], -v[2:3], v[6:7], 1.0
	v_fma_f64 v[6:7], v[6:7], v[8:9], v[6:7]
	v_div_scale_f64 v[8:9], vcc_lo, 1.0, v[0:1], 1.0
	v_mul_f64 v[10:11], v[8:9], v[6:7]
	v_fma_f64 v[2:3], -v[2:3], v[10:11], v[8:9]
	v_div_fmas_f64 v[2:3], v[2:3], v[6:7], v[10:11]
	v_div_fixup_f64 v[2:3], v[2:3], v[0:1], 1.0
	v_mul_f64 v[0:1], v[4:5], v[2:3]
	v_xor_b32_e32 v3, 0x80000000, v3
.LBB64_11:
	s_andn2_saveexec_b32 s0, s0
	s_cbranch_execz .LBB64_13
; %bb.12:
	v_div_scale_f64 v[4:5], null, v[0:1], v[0:1], v[2:3]
	v_div_scale_f64 v[10:11], vcc_lo, v[2:3], v[0:1], v[2:3]
	v_rcp_f64_e32 v[6:7], v[4:5]
	v_fma_f64 v[8:9], -v[4:5], v[6:7], 1.0
	v_fma_f64 v[6:7], v[6:7], v[8:9], v[6:7]
	v_fma_f64 v[8:9], -v[4:5], v[6:7], 1.0
	v_fma_f64 v[6:7], v[6:7], v[8:9], v[6:7]
	v_mul_f64 v[8:9], v[10:11], v[6:7]
	v_fma_f64 v[4:5], -v[4:5], v[8:9], v[10:11]
	v_div_fmas_f64 v[4:5], v[4:5], v[6:7], v[8:9]
	v_div_fixup_f64 v[4:5], v[4:5], v[0:1], v[2:3]
	v_fma_f64 v[0:1], v[2:3], v[4:5], v[0:1]
	v_div_scale_f64 v[2:3], null, v[0:1], v[0:1], 1.0
	v_rcp_f64_e32 v[6:7], v[2:3]
	v_fma_f64 v[8:9], -v[2:3], v[6:7], 1.0
	v_fma_f64 v[6:7], v[6:7], v[8:9], v[6:7]
	v_fma_f64 v[8:9], -v[2:3], v[6:7], 1.0
	v_fma_f64 v[6:7], v[6:7], v[8:9], v[6:7]
	v_div_scale_f64 v[8:9], vcc_lo, 1.0, v[0:1], 1.0
	v_mul_f64 v[10:11], v[8:9], v[6:7]
	v_fma_f64 v[2:3], -v[2:3], v[10:11], v[8:9]
	v_div_fmas_f64 v[2:3], v[2:3], v[6:7], v[10:11]
	v_div_fixup_f64 v[0:1], v[2:3], v[0:1], 1.0
	v_mul_f64 v[2:3], v[4:5], -v[0:1]
.LBB64_13:
	s_or_b32 exec_lo, exec_lo, s0
	s_mov_b32 s1, -1
.LBB64_14:
	s_and_b32 vcc_lo, exec_lo, s1
	s_cbranch_vccz .LBB64_16
; %bb.15:
	v_mov_b32_e32 v5, s3
	v_mov_b32_e32 v4, s2
	s_waitcnt vmcnt(0) lgkmcnt(0)
	flat_store_dwordx4 v[4:5], v[0:3]
.LBB64_16:
	s_endpgm
	.section	.rodata,"a",@progbits
	.p2align	6, 0x0
	.amdhsa_kernel _ZN9rocsolver6v33100L18getri_kernel_smallILi1E19rocblas_complex_numIdEPKPS3_EEvT1_iilPiilS8_bb
		.amdhsa_group_segment_fixed_size 4
		.amdhsa_private_segment_fixed_size 0
		.amdhsa_kernarg_size 60
		.amdhsa_user_sgpr_count 6
		.amdhsa_user_sgpr_private_segment_buffer 1
		.amdhsa_user_sgpr_dispatch_ptr 0
		.amdhsa_user_sgpr_queue_ptr 0
		.amdhsa_user_sgpr_kernarg_segment_ptr 1
		.amdhsa_user_sgpr_dispatch_id 0
		.amdhsa_user_sgpr_flat_scratch_init 0
		.amdhsa_user_sgpr_private_segment_size 0
		.amdhsa_wavefront_size32 1
		.amdhsa_uses_dynamic_stack 0
		.amdhsa_system_sgpr_private_segment_wavefront_offset 0
		.amdhsa_system_sgpr_workgroup_id_x 1
		.amdhsa_system_sgpr_workgroup_id_y 0
		.amdhsa_system_sgpr_workgroup_id_z 0
		.amdhsa_system_sgpr_workgroup_info 0
		.amdhsa_system_vgpr_workitem_id 0
		.amdhsa_next_free_vgpr 12
		.amdhsa_next_free_sgpr 12
		.amdhsa_reserve_vcc 1
		.amdhsa_reserve_flat_scratch 0
		.amdhsa_float_round_mode_32 0
		.amdhsa_float_round_mode_16_64 0
		.amdhsa_float_denorm_mode_32 3
		.amdhsa_float_denorm_mode_16_64 3
		.amdhsa_dx10_clamp 1
		.amdhsa_ieee_mode 1
		.amdhsa_fp16_overflow 0
		.amdhsa_workgroup_processor_mode 1
		.amdhsa_memory_ordered 1
		.amdhsa_forward_progress 1
		.amdhsa_shared_vgpr_count 0
		.amdhsa_exception_fp_ieee_invalid_op 0
		.amdhsa_exception_fp_denorm_src 0
		.amdhsa_exception_fp_ieee_div_zero 0
		.amdhsa_exception_fp_ieee_overflow 0
		.amdhsa_exception_fp_ieee_underflow 0
		.amdhsa_exception_fp_ieee_inexact 0
		.amdhsa_exception_int_div_zero 0
	.end_amdhsa_kernel
	.section	.text._ZN9rocsolver6v33100L18getri_kernel_smallILi1E19rocblas_complex_numIdEPKPS3_EEvT1_iilPiilS8_bb,"axG",@progbits,_ZN9rocsolver6v33100L18getri_kernel_smallILi1E19rocblas_complex_numIdEPKPS3_EEvT1_iilPiilS8_bb,comdat
.Lfunc_end64:
	.size	_ZN9rocsolver6v33100L18getri_kernel_smallILi1E19rocblas_complex_numIdEPKPS3_EEvT1_iilPiilS8_bb, .Lfunc_end64-_ZN9rocsolver6v33100L18getri_kernel_smallILi1E19rocblas_complex_numIdEPKPS3_EEvT1_iilPiilS8_bb
                                        ; -- End function
	.set _ZN9rocsolver6v33100L18getri_kernel_smallILi1E19rocblas_complex_numIdEPKPS3_EEvT1_iilPiilS8_bb.num_vgpr, 12
	.set _ZN9rocsolver6v33100L18getri_kernel_smallILi1E19rocblas_complex_numIdEPKPS3_EEvT1_iilPiilS8_bb.num_agpr, 0
	.set _ZN9rocsolver6v33100L18getri_kernel_smallILi1E19rocblas_complex_numIdEPKPS3_EEvT1_iilPiilS8_bb.numbered_sgpr, 12
	.set _ZN9rocsolver6v33100L18getri_kernel_smallILi1E19rocblas_complex_numIdEPKPS3_EEvT1_iilPiilS8_bb.num_named_barrier, 0
	.set _ZN9rocsolver6v33100L18getri_kernel_smallILi1E19rocblas_complex_numIdEPKPS3_EEvT1_iilPiilS8_bb.private_seg_size, 0
	.set _ZN9rocsolver6v33100L18getri_kernel_smallILi1E19rocblas_complex_numIdEPKPS3_EEvT1_iilPiilS8_bb.uses_vcc, 1
	.set _ZN9rocsolver6v33100L18getri_kernel_smallILi1E19rocblas_complex_numIdEPKPS3_EEvT1_iilPiilS8_bb.uses_flat_scratch, 0
	.set _ZN9rocsolver6v33100L18getri_kernel_smallILi1E19rocblas_complex_numIdEPKPS3_EEvT1_iilPiilS8_bb.has_dyn_sized_stack, 0
	.set _ZN9rocsolver6v33100L18getri_kernel_smallILi1E19rocblas_complex_numIdEPKPS3_EEvT1_iilPiilS8_bb.has_recursion, 0
	.set _ZN9rocsolver6v33100L18getri_kernel_smallILi1E19rocblas_complex_numIdEPKPS3_EEvT1_iilPiilS8_bb.has_indirect_call, 0
	.section	.AMDGPU.csdata,"",@progbits
; Kernel info:
; codeLenInByte = 828
; TotalNumSgprs: 14
; NumVgprs: 12
; ScratchSize: 0
; MemoryBound: 0
; FloatMode: 240
; IeeeMode: 1
; LDSByteSize: 4 bytes/workgroup (compile time only)
; SGPRBlocks: 0
; VGPRBlocks: 1
; NumSGPRsForWavesPerEU: 14
; NumVGPRsForWavesPerEU: 12
; Occupancy: 16
; WaveLimiterHint : 1
; COMPUTE_PGM_RSRC2:SCRATCH_EN: 0
; COMPUTE_PGM_RSRC2:USER_SGPR: 6
; COMPUTE_PGM_RSRC2:TRAP_HANDLER: 0
; COMPUTE_PGM_RSRC2:TGID_X_EN: 1
; COMPUTE_PGM_RSRC2:TGID_Y_EN: 0
; COMPUTE_PGM_RSRC2:TGID_Z_EN: 0
; COMPUTE_PGM_RSRC2:TIDIG_COMP_CNT: 0
	.section	.text._ZN9rocsolver6v33100L18getri_kernel_smallILi2E19rocblas_complex_numIdEPKPS3_EEvT1_iilPiilS8_bb,"axG",@progbits,_ZN9rocsolver6v33100L18getri_kernel_smallILi2E19rocblas_complex_numIdEPKPS3_EEvT1_iilPiilS8_bb,comdat
	.globl	_ZN9rocsolver6v33100L18getri_kernel_smallILi2E19rocblas_complex_numIdEPKPS3_EEvT1_iilPiilS8_bb ; -- Begin function _ZN9rocsolver6v33100L18getri_kernel_smallILi2E19rocblas_complex_numIdEPKPS3_EEvT1_iilPiilS8_bb
	.p2align	8
	.type	_ZN9rocsolver6v33100L18getri_kernel_smallILi2E19rocblas_complex_numIdEPKPS3_EEvT1_iilPiilS8_bb,@function
_ZN9rocsolver6v33100L18getri_kernel_smallILi2E19rocblas_complex_numIdEPKPS3_EEvT1_iilPiilS8_bb: ; @_ZN9rocsolver6v33100L18getri_kernel_smallILi2E19rocblas_complex_numIdEPKPS3_EEvT1_iilPiilS8_bb
; %bb.0:
	s_add_u32 s0, s0, s9
	s_addc_u32 s1, s1, 0
	s_mov_b32 s9, exec_lo
	v_cmpx_gt_u32_e32 2, v0
	s_cbranch_execz .LBB65_22
; %bb.1:
	s_clause 0x2
	s_load_dword s19, s[6:7], 0x38
	s_load_dwordx2 s[10:11], s[6:7], 0x0
	s_load_dwordx4 s[12:15], s[6:7], 0x28
	s_waitcnt lgkmcnt(0)
	s_bitcmp1_b32 s19, 8
	s_cselect_b32 s18, -1, 0
	s_ashr_i32 s9, s8, 31
	s_lshl_b64 s[16:17], s[8:9], 3
	s_add_u32 s10, s10, s16
	s_addc_u32 s11, s11, s17
	s_load_dwordx2 s[16:17], s[10:11], 0x0
	s_bfe_u32 s10, s19, 0x10008
	s_cmp_eq_u32 s10, 0
                                        ; implicit-def: $sgpr10_sgpr11
	s_cbranch_scc1 .LBB65_3
; %bb.2:
	s_clause 0x1
	s_load_dword s10, s[6:7], 0x20
	s_load_dwordx2 s[20:21], s[6:7], 0x18
	s_mul_i32 s11, s12, s9
	s_mul_hi_u32 s19, s12, s8
	s_mul_i32 s13, s13, s8
	s_add_i32 s11, s19, s11
	s_mul_i32 s12, s12, s8
	s_add_i32 s13, s11, s13
	s_lshl_b64 s[12:13], s[12:13], 2
	s_waitcnt lgkmcnt(0)
	s_ashr_i32 s11, s10, 31
	s_add_u32 s12, s20, s12
	s_addc_u32 s13, s21, s13
	s_lshl_b64 s[10:11], s[10:11], 2
	s_add_u32 s10, s12, s10
	s_addc_u32 s11, s13, s11
.LBB65_3:
	s_clause 0x1
	s_load_dwordx2 s[12:13], s[6:7], 0x8
	s_load_dword s19, s[6:7], 0x38
	v_lshlrev_b32_e32 v17, 4, v0
	s_waitcnt lgkmcnt(0)
	s_ashr_i32 s7, s12, 31
	s_mov_b32 s6, s12
	s_mov_b32 s12, s13
	s_lshl_b64 s[6:7], s[6:7], 4
	s_add_u32 s6, s16, s6
	s_addc_u32 s7, s17, s7
	v_add_co_u32 v9, s6, s6, v17
	s_ashr_i32 s13, s13, 31
	v_add_co_ci_u32_e64 v10, null, s7, 0, s6
	s_lshl_b64 s[6:7], s[12:13], 4
	s_mov_b32 s12, 16
	v_add_co_u32 v7, vcc_lo, v9, s6
	v_add_co_ci_u32_e64 v8, null, s7, v10, vcc_lo
	s_clause 0x1
	flat_load_dwordx4 v[3:6], v[9:10]
	flat_load_dwordx4 v[11:14], v[7:8]
	s_mov_b32 s7, -1
	s_bitcmp0_b32 s19, 0
	s_waitcnt vmcnt(1) lgkmcnt(1)
	buffer_store_dword v6, off, s[0:3], 0 offset:12
	buffer_store_dword v5, off, s[0:3], 0 offset:8
	;; [unrolled: 1-line block ×3, first 2 shown]
	buffer_store_dword v3, off, s[0:3], 0
	s_waitcnt vmcnt(0) lgkmcnt(0)
	buffer_store_dword v14, off, s[0:3], 0 offset:28
	buffer_store_dword v13, off, s[0:3], 0 offset:24
	;; [unrolled: 1-line block ×4, first 2 shown]
	s_cbranch_scc1 .LBB65_20
; %bb.4:
	v_cmp_eq_u32_e64 s6, 0, v0
	s_and_saveexec_b32 s7, s6
; %bb.5:
	v_mov_b32_e32 v3, 0
	ds_write_b32 v3, v3 offset:64
; %bb.6:
	s_or_b32 exec_lo, exec_lo, s7
	v_lshl_add_u32 v18, v0, 4, 0
	s_waitcnt lgkmcnt(0)
	s_waitcnt_vscnt null, 0x0
	s_barrier
	buffer_gl0_inv
	s_clause 0x3
	buffer_load_dword v3, v18, s[0:3], 0 offen
	buffer_load_dword v4, v18, s[0:3], 0 offen offset:4
	buffer_load_dword v5, v18, s[0:3], 0 offen offset:8
	;; [unrolled: 1-line block ×3, first 2 shown]
	s_waitcnt vmcnt(2)
	v_cmp_eq_f64_e32 vcc_lo, 0, v[3:4]
	s_waitcnt vmcnt(0)
	v_cmp_eq_f64_e64 s7, 0, v[5:6]
	s_and_b32 s7, vcc_lo, s7
	s_and_saveexec_b32 s13, s7
	s_cbranch_execz .LBB65_10
; %bb.7:
	v_mov_b32_e32 v3, 0
	s_mov_b32 s16, 0
	ds_read_b32 v4, v3 offset:64
	s_waitcnt lgkmcnt(0)
	v_readfirstlane_b32 s7, v4
	v_add_nc_u32_e32 v4, 1, v0
	s_cmp_eq_u32 s7, 0
	v_cmp_gt_i32_e32 vcc_lo, s7, v4
	s_cselect_b32 s17, -1, 0
	s_or_b32 s17, s17, vcc_lo
	s_and_b32 exec_lo, exec_lo, s17
	s_cbranch_execz .LBB65_10
; %bb.8:
	v_mov_b32_e32 v5, s7
.LBB65_9:                               ; =>This Inner Loop Header: Depth=1
	ds_cmpst_rtn_b32 v5, v3, v5, v4 offset:64
	s_waitcnt lgkmcnt(0)
	v_cmp_ne_u32_e32 vcc_lo, 0, v5
	v_cmp_le_i32_e64 s7, v5, v4
	s_and_b32 s7, vcc_lo, s7
	s_and_b32 s7, exec_lo, s7
	s_or_b32 s16, s7, s16
	s_andn2_b32 exec_lo, exec_lo, s16
	s_cbranch_execnz .LBB65_9
.LBB65_10:
	s_or_b32 exec_lo, exec_lo, s13
	v_mov_b32_e32 v3, 0
	s_barrier
	buffer_gl0_inv
	ds_read_b32 v4, v3 offset:64
	s_and_saveexec_b32 s7, s6
	s_cbranch_execz .LBB65_12
; %bb.11:
	s_lshl_b64 s[16:17], s[8:9], 2
	s_add_u32 s16, s14, s16
	s_addc_u32 s17, s15, s17
	s_waitcnt lgkmcnt(0)
	global_store_dword v3, v4, s[16:17]
.LBB65_12:
	s_or_b32 exec_lo, exec_lo, s7
	s_waitcnt lgkmcnt(0)
	v_cmp_ne_u32_e32 vcc_lo, 0, v4
	s_mov_b32 s7, 0
	s_cbranch_vccnz .LBB65_20
; %bb.13:
	s_clause 0x3
	buffer_load_dword v13, v18, s[0:3], 0 offen
	buffer_load_dword v14, v18, s[0:3], 0 offen offset:4
	buffer_load_dword v15, v18, s[0:3], 0 offen offset:8
	;; [unrolled: 1-line block ×3, first 2 shown]
                                        ; implicit-def: $vgpr11_vgpr12
                                        ; implicit-def: $vgpr5_vgpr6
	s_waitcnt vmcnt(0)
	v_cmp_ngt_f64_e64 s7, |v[13:14]|, |v[15:16]|
	s_and_saveexec_b32 s13, s7
	s_xor_b32 s7, exec_lo, s13
	s_cbranch_execz .LBB65_15
; %bb.14:
	v_div_scale_f64 v[3:4], null, v[15:16], v[15:16], v[13:14]
	v_div_scale_f64 v[19:20], vcc_lo, v[13:14], v[15:16], v[13:14]
	v_rcp_f64_e32 v[5:6], v[3:4]
	v_fma_f64 v[11:12], -v[3:4], v[5:6], 1.0
	v_fma_f64 v[5:6], v[5:6], v[11:12], v[5:6]
	v_fma_f64 v[11:12], -v[3:4], v[5:6], 1.0
	v_fma_f64 v[5:6], v[5:6], v[11:12], v[5:6]
	v_mul_f64 v[11:12], v[19:20], v[5:6]
	v_fma_f64 v[3:4], -v[3:4], v[11:12], v[19:20]
	v_div_fmas_f64 v[3:4], v[3:4], v[5:6], v[11:12]
	v_div_fixup_f64 v[3:4], v[3:4], v[15:16], v[13:14]
	v_fma_f64 v[5:6], v[13:14], v[3:4], v[15:16]
	v_div_scale_f64 v[11:12], null, v[5:6], v[5:6], 1.0
	v_div_scale_f64 v[19:20], vcc_lo, 1.0, v[5:6], 1.0
	v_rcp_f64_e32 v[13:14], v[11:12]
	v_fma_f64 v[15:16], -v[11:12], v[13:14], 1.0
	v_fma_f64 v[13:14], v[13:14], v[15:16], v[13:14]
	v_fma_f64 v[15:16], -v[11:12], v[13:14], 1.0
	v_fma_f64 v[13:14], v[13:14], v[15:16], v[13:14]
	v_mul_f64 v[15:16], v[19:20], v[13:14]
	v_fma_f64 v[11:12], -v[11:12], v[15:16], v[19:20]
	v_div_fmas_f64 v[11:12], v[11:12], v[13:14], v[15:16]
                                        ; implicit-def: $vgpr13_vgpr14
                                        ; implicit-def: $vgpr15_vgpr16
	v_div_fixup_f64 v[5:6], v[11:12], v[5:6], 1.0
	v_mul_f64 v[11:12], v[3:4], v[5:6]
	v_xor_b32_e32 v6, 0x80000000, v6
	v_xor_b32_e32 v4, 0x80000000, v12
	v_mov_b32_e32 v3, v11
.LBB65_15:
	s_andn2_saveexec_b32 s7, s7
	s_cbranch_execz .LBB65_17
; %bb.16:
	v_div_scale_f64 v[3:4], null, v[13:14], v[13:14], v[15:16]
	v_div_scale_f64 v[19:20], vcc_lo, v[15:16], v[13:14], v[15:16]
	v_rcp_f64_e32 v[5:6], v[3:4]
	v_fma_f64 v[11:12], -v[3:4], v[5:6], 1.0
	v_fma_f64 v[5:6], v[5:6], v[11:12], v[5:6]
	v_fma_f64 v[11:12], -v[3:4], v[5:6], 1.0
	v_fma_f64 v[5:6], v[5:6], v[11:12], v[5:6]
	v_mul_f64 v[11:12], v[19:20], v[5:6]
	v_fma_f64 v[3:4], -v[3:4], v[11:12], v[19:20]
	v_div_fmas_f64 v[3:4], v[3:4], v[5:6], v[11:12]
	v_div_fixup_f64 v[3:4], v[3:4], v[13:14], v[15:16]
	v_fma_f64 v[5:6], v[15:16], v[3:4], v[13:14]
	v_div_scale_f64 v[11:12], null, v[5:6], v[5:6], 1.0
	v_rcp_f64_e32 v[13:14], v[11:12]
	v_fma_f64 v[15:16], -v[11:12], v[13:14], 1.0
	v_fma_f64 v[13:14], v[13:14], v[15:16], v[13:14]
	v_fma_f64 v[15:16], -v[11:12], v[13:14], 1.0
	v_fma_f64 v[13:14], v[13:14], v[15:16], v[13:14]
	v_div_scale_f64 v[15:16], vcc_lo, 1.0, v[5:6], 1.0
	v_mul_f64 v[19:20], v[15:16], v[13:14]
	v_fma_f64 v[11:12], -v[11:12], v[19:20], v[15:16]
	v_div_fmas_f64 v[11:12], v[11:12], v[13:14], v[19:20]
	v_div_fixup_f64 v[11:12], v[11:12], v[5:6], 1.0
	v_mul_f64 v[5:6], v[3:4], -v[11:12]
	v_xor_b32_e32 v4, 0x80000000, v12
	v_mov_b32_e32 v3, v11
.LBB65_17:
	s_or_b32 exec_lo, exec_lo, s7
	v_mov_b32_e32 v15, s12
	buffer_store_dword v12, v18, s[0:3], 0 offen offset:4
	buffer_store_dword v11, v18, s[0:3], 0 offen
	buffer_store_dword v6, v18, s[0:3], 0 offen offset:12
	buffer_store_dword v5, v18, s[0:3], 0 offen offset:8
	v_xor_b32_e32 v6, 0x80000000, v6
	s_clause 0x3
	buffer_load_dword v14, v15, s[0:3], 0 offen offset:12
	buffer_load_dword v13, v15, s[0:3], 0 offen offset:8
	;; [unrolled: 1-line block ×3, first 2 shown]
	buffer_load_dword v11, v15, s[0:3], 0 offen
	ds_write_b128 v17, v[3:6]
	s_waitcnt vmcnt(0)
	ds_write_b128 v17, v[11:14] offset:32
	s_waitcnt lgkmcnt(0)
	s_waitcnt_vscnt null, 0x0
	s_barrier
	buffer_gl0_inv
	s_and_saveexec_b32 s7, s6
	s_cbranch_execz .LBB65_19
; %bb.18:
	s_clause 0x3
	buffer_load_dword v11, off, s[0:3], 0 offset:8
	buffer_load_dword v12, off, s[0:3], 0 offset:12
	buffer_load_dword v13, off, s[0:3], 0
	buffer_load_dword v14, off, s[0:3], 0 offset:4
	v_mov_b32_e32 v17, 0
	ds_read_b128 v[3:6], v17 offset:32
	s_waitcnt vmcnt(2) lgkmcnt(0)
	v_mul_f64 v[15:16], v[3:4], v[11:12]
	v_mul_f64 v[11:12], v[5:6], v[11:12]
	s_waitcnt vmcnt(0)
	v_fma_f64 v[5:6], v[5:6], v[13:14], v[15:16]
	v_fma_f64 v[11:12], v[3:4], v[13:14], -v[11:12]
	v_add_f64 v[13:14], v[5:6], 0
	ds_read_b128 v[3:6], v17 offset:16
	v_add_f64 v[11:12], v[11:12], 0
	s_waitcnt lgkmcnt(0)
	v_mul_f64 v[15:16], v[13:14], v[5:6]
	v_mul_f64 v[5:6], v[11:12], v[5:6]
	v_fma_f64 v[11:12], v[11:12], v[3:4], -v[15:16]
	v_fma_f64 v[3:4], v[13:14], v[3:4], v[5:6]
	buffer_store_dword v12, off, s[0:3], 0 offset:20
	buffer_store_dword v11, off, s[0:3], 0 offset:16
	;; [unrolled: 1-line block ×4, first 2 shown]
.LBB65_19:
	s_or_b32 exec_lo, exec_lo, s7
	s_mov_b32 s7, -1
	s_waitcnt_vscnt null, 0x0
	s_barrier
	buffer_gl0_inv
.LBB65_20:
	s_and_b32 vcc_lo, exec_lo, s7
	s_cbranch_vccz .LBB65_22
; %bb.21:
	s_lshl_b64 s[6:7], s[8:9], 2
	v_mov_b32_e32 v3, 0
	s_add_u32 s6, s14, s6
	s_addc_u32 s7, s15, s7
	global_load_dword v3, v3, s[6:7]
	s_waitcnt vmcnt(0)
	v_cmp_ne_u32_e32 vcc_lo, 0, v3
	s_cbranch_vccz .LBB65_23
.LBB65_22:
	s_endpgm
.LBB65_23:
	s_mov_b32 s6, exec_lo
	v_cmpx_eq_u32_e32 1, v0
	s_cbranch_execz .LBB65_25
; %bb.24:
	s_clause 0x3
	buffer_load_dword v3, off, s[0:3], 0
	buffer_load_dword v4, off, s[0:3], 0 offset:4
	buffer_load_dword v5, off, s[0:3], 0 offset:8
	;; [unrolled: 1-line block ×3, first 2 shown]
	v_mov_b32_e32 v11, 0
	buffer_store_dword v11, off, s[0:3], 0
	buffer_store_dword v11, off, s[0:3], 0 offset:4
	buffer_store_dword v11, off, s[0:3], 0 offset:8
	;; [unrolled: 1-line block ×3, first 2 shown]
	s_waitcnt vmcnt(0)
	ds_write_b128 v11, v[3:6] offset:48
.LBB65_25:
	s_or_b32 exec_lo, exec_lo, s6
	s_waitcnt lgkmcnt(0)
	s_waitcnt_vscnt null, 0x0
	s_barrier
	buffer_gl0_inv
	s_clause 0x7
	buffer_load_dword v4, off, s[0:3], 0 offset:24
	buffer_load_dword v5, off, s[0:3], 0 offset:28
	;; [unrolled: 1-line block ×4, first 2 shown]
	buffer_load_dword v17, off, s[0:3], 0
	buffer_load_dword v18, off, s[0:3], 0 offset:4
	buffer_load_dword v19, off, s[0:3], 0 offset:8
	;; [unrolled: 1-line block ×3, first 2 shown]
	v_mov_b32_e32 v3, 0
	s_and_b32 vcc_lo, exec_lo, s18
	ds_read_b128 v[11:14], v3 offset:48
	s_waitcnt vmcnt(6) lgkmcnt(0)
	v_mul_f64 v[21:22], v[13:14], v[4:5]
	v_mul_f64 v[4:5], v[11:12], v[4:5]
	s_waitcnt vmcnt(4)
	v_fma_f64 v[11:12], v[11:12], v[15:16], -v[21:22]
	v_fma_f64 v[4:5], v[13:14], v[15:16], v[4:5]
	v_add_f64 v[11:12], v[11:12], 0
	v_add_f64 v[4:5], v[4:5], 0
	s_waitcnt vmcnt(2)
	v_add_f64 v[11:12], v[17:18], -v[11:12]
	s_waitcnt vmcnt(0)
	v_add_f64 v[4:5], v[19:20], -v[4:5]
	buffer_store_dword v11, off, s[0:3], 0
	buffer_store_dword v12, off, s[0:3], 0 offset:4
	buffer_store_dword v4, off, s[0:3], 0 offset:8
	buffer_store_dword v5, off, s[0:3], 0 offset:12
	s_cbranch_vccz .LBB65_28
; %bb.26:
	global_load_dword v3, v3, s[10:11]
	s_waitcnt vmcnt(0)
	v_add_nc_u32_e32 v3, -1, v3
	v_cmp_ne_u32_e32 vcc_lo, 0, v3
	s_cbranch_vccz .LBB65_28
; %bb.27:
	v_lshlrev_b32_e32 v3, 4, v3
	s_load_dwordx2 s[4:5], s[4:5], 0x4
	v_mov_b32_e32 v11, v3
	s_clause 0x7
	buffer_load_dword v3, off, s[0:3], 0
	buffer_load_dword v4, off, s[0:3], 0 offset:4
	buffer_load_dword v5, off, s[0:3], 0 offset:8
	;; [unrolled: 1-line block ×3, first 2 shown]
	buffer_load_dword v12, v11, s[0:3], 0 offen
	buffer_load_dword v13, v11, s[0:3], 0 offen offset:4
	buffer_load_dword v14, v11, s[0:3], 0 offen offset:8
	;; [unrolled: 1-line block ×3, first 2 shown]
	s_waitcnt lgkmcnt(0)
	v_mul_u32_u24_e32 v1, s5, v1
	s_lshr_b32 s4, s4, 16
	s_mul_i32 s4, s4, s5
	v_mad_u32_u24 v0, s4, v0, v1
	v_add_lshl_u32 v0, v0, v2, 4
	s_waitcnt vmcnt(4)
	ds_write2_b64 v0, v[3:4], v[5:6] offset0:9 offset1:10
	s_waitcnt vmcnt(3)
	buffer_store_dword v12, off, s[0:3], 0
	s_waitcnt vmcnt(2)
	buffer_store_dword v13, off, s[0:3], 0 offset:4
	s_waitcnt vmcnt(1)
	buffer_store_dword v14, off, s[0:3], 0 offset:8
	;; [unrolled: 2-line block ×3, first 2 shown]
	buffer_store_dword v6, v11, s[0:3], 0 offen offset:12
	buffer_store_dword v5, v11, s[0:3], 0 offen offset:8
	;; [unrolled: 1-line block ×3, first 2 shown]
	buffer_store_dword v3, v11, s[0:3], 0 offen
.LBB65_28:
	v_mov_b32_e32 v4, s12
	s_clause 0x7
	buffer_load_dword v0, off, s[0:3], 0
	buffer_load_dword v1, off, s[0:3], 0 offset:4
	buffer_load_dword v2, off, s[0:3], 0 offset:8
	;; [unrolled: 1-line block ×3, first 2 shown]
	buffer_load_dword v11, v4, s[0:3], 0 offen
	buffer_load_dword v12, v4, s[0:3], 0 offen offset:4
	buffer_load_dword v13, v4, s[0:3], 0 offen offset:8
	;; [unrolled: 1-line block ×3, first 2 shown]
	s_waitcnt vmcnt(4)
	flat_store_dwordx4 v[9:10], v[0:3]
	s_waitcnt vmcnt(0)
	flat_store_dwordx4 v[7:8], v[11:14]
	s_endpgm
	.section	.rodata,"a",@progbits
	.p2align	6, 0x0
	.amdhsa_kernel _ZN9rocsolver6v33100L18getri_kernel_smallILi2E19rocblas_complex_numIdEPKPS3_EEvT1_iilPiilS8_bb
		.amdhsa_group_segment_fixed_size 1096
		.amdhsa_private_segment_fixed_size 48
		.amdhsa_kernarg_size 60
		.amdhsa_user_sgpr_count 8
		.amdhsa_user_sgpr_private_segment_buffer 1
		.amdhsa_user_sgpr_dispatch_ptr 1
		.amdhsa_user_sgpr_queue_ptr 0
		.amdhsa_user_sgpr_kernarg_segment_ptr 1
		.amdhsa_user_sgpr_dispatch_id 0
		.amdhsa_user_sgpr_flat_scratch_init 0
		.amdhsa_user_sgpr_private_segment_size 0
		.amdhsa_wavefront_size32 1
		.amdhsa_uses_dynamic_stack 0
		.amdhsa_system_sgpr_private_segment_wavefront_offset 1
		.amdhsa_system_sgpr_workgroup_id_x 1
		.amdhsa_system_sgpr_workgroup_id_y 0
		.amdhsa_system_sgpr_workgroup_id_z 0
		.amdhsa_system_sgpr_workgroup_info 0
		.amdhsa_system_vgpr_workitem_id 2
		.amdhsa_next_free_vgpr 23
		.amdhsa_next_free_sgpr 22
		.amdhsa_reserve_vcc 1
		.amdhsa_reserve_flat_scratch 1
		.amdhsa_float_round_mode_32 0
		.amdhsa_float_round_mode_16_64 0
		.amdhsa_float_denorm_mode_32 3
		.amdhsa_float_denorm_mode_16_64 3
		.amdhsa_dx10_clamp 1
		.amdhsa_ieee_mode 1
		.amdhsa_fp16_overflow 0
		.amdhsa_workgroup_processor_mode 1
		.amdhsa_memory_ordered 1
		.amdhsa_forward_progress 1
		.amdhsa_shared_vgpr_count 0
		.amdhsa_exception_fp_ieee_invalid_op 0
		.amdhsa_exception_fp_denorm_src 0
		.amdhsa_exception_fp_ieee_div_zero 0
		.amdhsa_exception_fp_ieee_overflow 0
		.amdhsa_exception_fp_ieee_underflow 0
		.amdhsa_exception_fp_ieee_inexact 0
		.amdhsa_exception_int_div_zero 0
	.end_amdhsa_kernel
	.section	.text._ZN9rocsolver6v33100L18getri_kernel_smallILi2E19rocblas_complex_numIdEPKPS3_EEvT1_iilPiilS8_bb,"axG",@progbits,_ZN9rocsolver6v33100L18getri_kernel_smallILi2E19rocblas_complex_numIdEPKPS3_EEvT1_iilPiilS8_bb,comdat
.Lfunc_end65:
	.size	_ZN9rocsolver6v33100L18getri_kernel_smallILi2E19rocblas_complex_numIdEPKPS3_EEvT1_iilPiilS8_bb, .Lfunc_end65-_ZN9rocsolver6v33100L18getri_kernel_smallILi2E19rocblas_complex_numIdEPKPS3_EEvT1_iilPiilS8_bb
                                        ; -- End function
	.set _ZN9rocsolver6v33100L18getri_kernel_smallILi2E19rocblas_complex_numIdEPKPS3_EEvT1_iilPiilS8_bb.num_vgpr, 23
	.set _ZN9rocsolver6v33100L18getri_kernel_smallILi2E19rocblas_complex_numIdEPKPS3_EEvT1_iilPiilS8_bb.num_agpr, 0
	.set _ZN9rocsolver6v33100L18getri_kernel_smallILi2E19rocblas_complex_numIdEPKPS3_EEvT1_iilPiilS8_bb.numbered_sgpr, 22
	.set _ZN9rocsolver6v33100L18getri_kernel_smallILi2E19rocblas_complex_numIdEPKPS3_EEvT1_iilPiilS8_bb.num_named_barrier, 0
	.set _ZN9rocsolver6v33100L18getri_kernel_smallILi2E19rocblas_complex_numIdEPKPS3_EEvT1_iilPiilS8_bb.private_seg_size, 48
	.set _ZN9rocsolver6v33100L18getri_kernel_smallILi2E19rocblas_complex_numIdEPKPS3_EEvT1_iilPiilS8_bb.uses_vcc, 1
	.set _ZN9rocsolver6v33100L18getri_kernel_smallILi2E19rocblas_complex_numIdEPKPS3_EEvT1_iilPiilS8_bb.uses_flat_scratch, 1
	.set _ZN9rocsolver6v33100L18getri_kernel_smallILi2E19rocblas_complex_numIdEPKPS3_EEvT1_iilPiilS8_bb.has_dyn_sized_stack, 0
	.set _ZN9rocsolver6v33100L18getri_kernel_smallILi2E19rocblas_complex_numIdEPKPS3_EEvT1_iilPiilS8_bb.has_recursion, 0
	.set _ZN9rocsolver6v33100L18getri_kernel_smallILi2E19rocblas_complex_numIdEPKPS3_EEvT1_iilPiilS8_bb.has_indirect_call, 0
	.section	.AMDGPU.csdata,"",@progbits
; Kernel info:
; codeLenInByte = 2184
; TotalNumSgprs: 24
; NumVgprs: 23
; ScratchSize: 48
; MemoryBound: 0
; FloatMode: 240
; IeeeMode: 1
; LDSByteSize: 1096 bytes/workgroup (compile time only)
; SGPRBlocks: 0
; VGPRBlocks: 2
; NumSGPRsForWavesPerEU: 24
; NumVGPRsForWavesPerEU: 23
; Occupancy: 16
; WaveLimiterHint : 1
; COMPUTE_PGM_RSRC2:SCRATCH_EN: 1
; COMPUTE_PGM_RSRC2:USER_SGPR: 8
; COMPUTE_PGM_RSRC2:TRAP_HANDLER: 0
; COMPUTE_PGM_RSRC2:TGID_X_EN: 1
; COMPUTE_PGM_RSRC2:TGID_Y_EN: 0
; COMPUTE_PGM_RSRC2:TGID_Z_EN: 0
; COMPUTE_PGM_RSRC2:TIDIG_COMP_CNT: 2
	.section	.text._ZN9rocsolver6v33100L18getri_kernel_smallILi3E19rocblas_complex_numIdEPKPS3_EEvT1_iilPiilS8_bb,"axG",@progbits,_ZN9rocsolver6v33100L18getri_kernel_smallILi3E19rocblas_complex_numIdEPKPS3_EEvT1_iilPiilS8_bb,comdat
	.globl	_ZN9rocsolver6v33100L18getri_kernel_smallILi3E19rocblas_complex_numIdEPKPS3_EEvT1_iilPiilS8_bb ; -- Begin function _ZN9rocsolver6v33100L18getri_kernel_smallILi3E19rocblas_complex_numIdEPKPS3_EEvT1_iilPiilS8_bb
	.p2align	8
	.type	_ZN9rocsolver6v33100L18getri_kernel_smallILi3E19rocblas_complex_numIdEPKPS3_EEvT1_iilPiilS8_bb,@function
_ZN9rocsolver6v33100L18getri_kernel_smallILi3E19rocblas_complex_numIdEPKPS3_EEvT1_iilPiilS8_bb: ; @_ZN9rocsolver6v33100L18getri_kernel_smallILi3E19rocblas_complex_numIdEPKPS3_EEvT1_iilPiilS8_bb
; %bb.0:
	s_add_u32 s0, s0, s7
	s_addc_u32 s1, s1, 0
	s_mov_b32 s7, exec_lo
	v_cmpx_gt_u32_e32 3, v0
	s_cbranch_execz .LBB66_26
; %bb.1:
	s_clause 0x2
	s_load_dword s17, s[4:5], 0x38
	s_load_dwordx2 s[12:13], s[4:5], 0x0
	s_load_dwordx4 s[8:11], s[4:5], 0x28
	s_waitcnt lgkmcnt(0)
	s_bitcmp1_b32 s17, 8
	s_cselect_b32 s16, -1, 0
	s_ashr_i32 s7, s6, 31
	s_lshl_b64 s[14:15], s[6:7], 3
	s_add_u32 s12, s12, s14
	s_addc_u32 s13, s13, s15
	s_load_dwordx2 s[14:15], s[12:13], 0x0
	s_bfe_u32 s12, s17, 0x10008
	s_cmp_eq_u32 s12, 0
                                        ; implicit-def: $sgpr12_sgpr13
	s_cbranch_scc1 .LBB66_3
; %bb.2:
	s_clause 0x1
	s_load_dword s12, s[4:5], 0x20
	s_load_dwordx2 s[18:19], s[4:5], 0x18
	s_mul_i32 s13, s8, s7
	s_mul_hi_u32 s17, s8, s6
	s_mul_i32 s9, s9, s6
	s_add_i32 s13, s17, s13
	s_mul_i32 s8, s8, s6
	s_add_i32 s9, s13, s9
	s_lshl_b64 s[8:9], s[8:9], 2
	s_waitcnt lgkmcnt(0)
	s_ashr_i32 s13, s12, 31
	s_add_u32 s17, s18, s8
	s_addc_u32 s18, s19, s9
	s_lshl_b64 s[8:9], s[12:13], 2
	s_add_u32 s12, s17, s8
	s_addc_u32 s13, s18, s9
.LBB66_3:
	s_clause 0x1
	s_load_dwordx2 s[8:9], s[4:5], 0x8
	s_load_dword s17, s[4:5], 0x38
	v_lshlrev_b32_e32 v18, 4, v0
	s_waitcnt lgkmcnt(0)
	v_add3_u32 v1, s9, s9, v0
	s_ashr_i32 s5, s8, 31
	s_mov_b32 s4, s8
	s_mov_b32 s8, s9
	s_lshl_b64 s[4:5], s[4:5], 4
	v_ashrrev_i32_e32 v2, 31, v1
	s_add_u32 s14, s14, s4
	s_addc_u32 s15, s15, s5
	v_add_co_u32 v5, s4, s14, v18
	s_ashr_i32 s9, s9, 31
	v_lshlrev_b64 v[7:8], 4, v[1:2]
	v_add_co_ci_u32_e64 v6, null, s15, 0, s4
	s_lshl_b64 s[4:5], s[8:9], 4
	s_mov_b32 s9, 32
	v_add_co_u32 v9, vcc_lo, v5, s4
	v_add_co_ci_u32_e64 v10, null, s5, v6, vcc_lo
	v_add_co_u32 v7, vcc_lo, s14, v7
	v_add_co_ci_u32_e64 v8, null, s15, v8, vcc_lo
	s_clause 0x2
	flat_load_dwordx4 v[1:4], v[5:6]
	flat_load_dwordx4 v[11:14], v[9:10]
	;; [unrolled: 1-line block ×3, first 2 shown]
	s_mov_b32 s5, -1
	s_mov_b32 s8, 48
	s_bitcmp0_b32 s17, 0
	s_waitcnt vmcnt(2) lgkmcnt(2)
	buffer_store_dword v4, off, s[0:3], 0 offset:28
	buffer_store_dword v3, off, s[0:3], 0 offset:24
	buffer_store_dword v2, off, s[0:3], 0 offset:20
	buffer_store_dword v1, off, s[0:3], 0 offset:16
	s_waitcnt vmcnt(1) lgkmcnt(1)
	buffer_store_dword v14, off, s[0:3], 0 offset:44
	buffer_store_dword v13, off, s[0:3], 0 offset:40
	buffer_store_dword v12, off, s[0:3], 0 offset:36
	buffer_store_dword v11, off, s[0:3], 0 offset:32
	;; [unrolled: 5-line block ×3, first 2 shown]
	s_cbranch_scc1 .LBB66_24
; %bb.4:
	v_cmp_eq_u32_e64 s4, 0, v0
	s_and_saveexec_b32 s5, s4
; %bb.5:
	v_mov_b32_e32 v1, 0
	ds_write_b32 v1, v1 offset:96
; %bb.6:
	s_or_b32 exec_lo, exec_lo, s5
	v_lshl_add_u32 v17, v0, 4, 16
	s_waitcnt lgkmcnt(0)
	s_waitcnt_vscnt null, 0x0
	s_barrier
	buffer_gl0_inv
	s_clause 0x3
	buffer_load_dword v1, v17, s[0:3], 0 offen
	buffer_load_dword v2, v17, s[0:3], 0 offen offset:4
	buffer_load_dword v3, v17, s[0:3], 0 offen offset:8
	;; [unrolled: 1-line block ×3, first 2 shown]
	s_waitcnt vmcnt(2)
	v_cmp_eq_f64_e32 vcc_lo, 0, v[1:2]
	s_waitcnt vmcnt(0)
	v_cmp_eq_f64_e64 s5, 0, v[3:4]
	s_and_b32 s5, vcc_lo, s5
	s_and_saveexec_b32 s14, s5
	s_cbranch_execz .LBB66_10
; %bb.7:
	v_mov_b32_e32 v1, 0
	s_mov_b32 s15, 0
	ds_read_b32 v2, v1 offset:96
	s_waitcnt lgkmcnt(0)
	v_readfirstlane_b32 s5, v2
	v_add_nc_u32_e32 v2, 1, v0
	s_cmp_eq_u32 s5, 0
	v_cmp_gt_i32_e32 vcc_lo, s5, v2
	s_cselect_b32 s17, -1, 0
	s_or_b32 s17, s17, vcc_lo
	s_and_b32 exec_lo, exec_lo, s17
	s_cbranch_execz .LBB66_10
; %bb.8:
	v_mov_b32_e32 v3, s5
.LBB66_9:                               ; =>This Inner Loop Header: Depth=1
	ds_cmpst_rtn_b32 v3, v1, v3, v2 offset:96
	s_waitcnt lgkmcnt(0)
	v_cmp_ne_u32_e32 vcc_lo, 0, v3
	v_cmp_le_i32_e64 s5, v3, v2
	s_and_b32 s5, vcc_lo, s5
	s_and_b32 s5, exec_lo, s5
	s_or_b32 s15, s5, s15
	s_andn2_b32 exec_lo, exec_lo, s15
	s_cbranch_execnz .LBB66_9
.LBB66_10:
	s_or_b32 exec_lo, exec_lo, s14
	v_mov_b32_e32 v1, 0
	s_barrier
	buffer_gl0_inv
	ds_read_b32 v2, v1 offset:96
	s_and_saveexec_b32 s5, s4
	s_cbranch_execz .LBB66_12
; %bb.11:
	s_lshl_b64 s[14:15], s[6:7], 2
	s_add_u32 s14, s10, s14
	s_addc_u32 s15, s11, s15
	s_waitcnt lgkmcnt(0)
	global_store_dword v1, v2, s[14:15]
.LBB66_12:
	s_or_b32 exec_lo, exec_lo, s5
	s_waitcnt lgkmcnt(0)
	v_cmp_ne_u32_e32 vcc_lo, 0, v2
	s_mov_b32 s5, 0
	s_cbranch_vccnz .LBB66_24
; %bb.13:
	s_clause 0x3
	buffer_load_dword v13, v17, s[0:3], 0 offen
	buffer_load_dword v14, v17, s[0:3], 0 offen offset:4
	buffer_load_dword v15, v17, s[0:3], 0 offen offset:8
	;; [unrolled: 1-line block ×3, first 2 shown]
                                        ; implicit-def: $vgpr11_vgpr12
                                        ; implicit-def: $vgpr3_vgpr4
	s_waitcnt vmcnt(0)
	v_cmp_ngt_f64_e64 s5, |v[13:14]|, |v[15:16]|
	s_and_saveexec_b32 s14, s5
	s_xor_b32 s5, exec_lo, s14
	s_cbranch_execz .LBB66_15
; %bb.14:
	v_div_scale_f64 v[1:2], null, v[15:16], v[15:16], v[13:14]
	v_div_scale_f64 v[19:20], vcc_lo, v[13:14], v[15:16], v[13:14]
	v_rcp_f64_e32 v[3:4], v[1:2]
	v_fma_f64 v[11:12], -v[1:2], v[3:4], 1.0
	v_fma_f64 v[3:4], v[3:4], v[11:12], v[3:4]
	v_fma_f64 v[11:12], -v[1:2], v[3:4], 1.0
	v_fma_f64 v[3:4], v[3:4], v[11:12], v[3:4]
	v_mul_f64 v[11:12], v[19:20], v[3:4]
	v_fma_f64 v[1:2], -v[1:2], v[11:12], v[19:20]
	v_div_fmas_f64 v[1:2], v[1:2], v[3:4], v[11:12]
	v_div_fixup_f64 v[1:2], v[1:2], v[15:16], v[13:14]
	v_fma_f64 v[3:4], v[13:14], v[1:2], v[15:16]
	v_div_scale_f64 v[11:12], null, v[3:4], v[3:4], 1.0
	v_div_scale_f64 v[19:20], vcc_lo, 1.0, v[3:4], 1.0
	v_rcp_f64_e32 v[13:14], v[11:12]
	v_fma_f64 v[15:16], -v[11:12], v[13:14], 1.0
	v_fma_f64 v[13:14], v[13:14], v[15:16], v[13:14]
	v_fma_f64 v[15:16], -v[11:12], v[13:14], 1.0
	v_fma_f64 v[13:14], v[13:14], v[15:16], v[13:14]
	v_mul_f64 v[15:16], v[19:20], v[13:14]
	v_fma_f64 v[11:12], -v[11:12], v[15:16], v[19:20]
	v_div_fmas_f64 v[11:12], v[11:12], v[13:14], v[15:16]
                                        ; implicit-def: $vgpr13_vgpr14
                                        ; implicit-def: $vgpr15_vgpr16
	v_div_fixup_f64 v[3:4], v[11:12], v[3:4], 1.0
	v_mul_f64 v[11:12], v[1:2], v[3:4]
	v_xor_b32_e32 v4, 0x80000000, v4
	v_xor_b32_e32 v2, 0x80000000, v12
	v_mov_b32_e32 v1, v11
.LBB66_15:
	s_andn2_saveexec_b32 s5, s5
	s_cbranch_execz .LBB66_17
; %bb.16:
	v_div_scale_f64 v[1:2], null, v[13:14], v[13:14], v[15:16]
	v_div_scale_f64 v[19:20], vcc_lo, v[15:16], v[13:14], v[15:16]
	v_rcp_f64_e32 v[3:4], v[1:2]
	v_fma_f64 v[11:12], -v[1:2], v[3:4], 1.0
	v_fma_f64 v[3:4], v[3:4], v[11:12], v[3:4]
	v_fma_f64 v[11:12], -v[1:2], v[3:4], 1.0
	v_fma_f64 v[3:4], v[3:4], v[11:12], v[3:4]
	v_mul_f64 v[11:12], v[19:20], v[3:4]
	v_fma_f64 v[1:2], -v[1:2], v[11:12], v[19:20]
	v_div_fmas_f64 v[1:2], v[1:2], v[3:4], v[11:12]
	v_div_fixup_f64 v[1:2], v[1:2], v[13:14], v[15:16]
	v_fma_f64 v[3:4], v[15:16], v[1:2], v[13:14]
	v_div_scale_f64 v[11:12], null, v[3:4], v[3:4], 1.0
	v_rcp_f64_e32 v[13:14], v[11:12]
	v_fma_f64 v[15:16], -v[11:12], v[13:14], 1.0
	v_fma_f64 v[13:14], v[13:14], v[15:16], v[13:14]
	v_fma_f64 v[15:16], -v[11:12], v[13:14], 1.0
	v_fma_f64 v[13:14], v[13:14], v[15:16], v[13:14]
	v_div_scale_f64 v[15:16], vcc_lo, 1.0, v[3:4], 1.0
	v_mul_f64 v[19:20], v[15:16], v[13:14]
	v_fma_f64 v[11:12], -v[11:12], v[19:20], v[15:16]
	v_div_fmas_f64 v[11:12], v[11:12], v[13:14], v[19:20]
	v_div_fixup_f64 v[11:12], v[11:12], v[3:4], 1.0
	v_mul_f64 v[3:4], v[1:2], -v[11:12]
	v_xor_b32_e32 v2, 0x80000000, v12
	v_mov_b32_e32 v1, v11
.LBB66_17:
	s_or_b32 exec_lo, exec_lo, s5
	v_mov_b32_e32 v16, s9
	buffer_store_dword v12, v17, s[0:3], 0 offen offset:4
	buffer_store_dword v11, v17, s[0:3], 0 offen
	buffer_store_dword v4, v17, s[0:3], 0 offen offset:12
	buffer_store_dword v3, v17, s[0:3], 0 offen offset:8
	v_xor_b32_e32 v4, 0x80000000, v4
	v_add_nc_u32_e32 v11, 48, v18
	s_clause 0x3
	buffer_load_dword v15, v16, s[0:3], 0 offen offset:12
	buffer_load_dword v14, v16, s[0:3], 0 offen offset:8
	;; [unrolled: 1-line block ×3, first 2 shown]
	buffer_load_dword v12, v16, s[0:3], 0 offen
	ds_write_b128 v18, v[1:4]
	s_waitcnt vmcnt(0)
	ds_write_b128 v18, v[12:15] offset:48
	s_waitcnt lgkmcnt(0)
	s_waitcnt_vscnt null, 0x0
	s_barrier
	buffer_gl0_inv
	s_and_saveexec_b32 s5, s4
	s_cbranch_execz .LBB66_19
; %bb.18:
	s_clause 0x3
	buffer_load_dword v18, v17, s[0:3], 0 offen offset:8
	buffer_load_dword v19, v17, s[0:3], 0 offen offset:12
	buffer_load_dword v20, v17, s[0:3], 0 offen
	buffer_load_dword v21, v17, s[0:3], 0 offen offset:4
	ds_read_b128 v[1:4], v11
	v_mov_b32_e32 v12, 0
	ds_read_b128 v[12:15], v12 offset:16
	s_waitcnt vmcnt(2) lgkmcnt(1)
	v_mul_f64 v[22:23], v[1:2], v[18:19]
	v_mul_f64 v[18:19], v[3:4], v[18:19]
	s_waitcnt vmcnt(0)
	v_fma_f64 v[3:4], v[3:4], v[20:21], v[22:23]
	v_fma_f64 v[1:2], v[1:2], v[20:21], -v[18:19]
	v_add_f64 v[3:4], v[3:4], 0
	v_add_f64 v[1:2], v[1:2], 0
	s_waitcnt lgkmcnt(0)
	v_mul_f64 v[18:19], v[3:4], v[14:15]
	v_mul_f64 v[14:15], v[1:2], v[14:15]
	v_fma_f64 v[1:2], v[1:2], v[12:13], -v[18:19]
	v_fma_f64 v[3:4], v[3:4], v[12:13], v[14:15]
	buffer_store_dword v1, off, s[0:3], 0 offset:32
	buffer_store_dword v2, off, s[0:3], 0 offset:36
	;; [unrolled: 1-line block ×4, first 2 shown]
.LBB66_19:
	s_or_b32 exec_lo, exec_lo, s5
	v_mov_b32_e32 v4, s8
	s_waitcnt_vscnt null, 0x0
	s_barrier
	buffer_gl0_inv
	s_mov_b32 s5, exec_lo
	s_clause 0x3
	buffer_load_dword v1, v4, s[0:3], 0 offen
	buffer_load_dword v2, v4, s[0:3], 0 offen offset:4
	buffer_load_dword v3, v4, s[0:3], 0 offen offset:8
	;; [unrolled: 1-line block ×3, first 2 shown]
	s_waitcnt vmcnt(0)
	ds_write_b128 v11, v[1:4]
	s_waitcnt lgkmcnt(0)
	s_barrier
	buffer_gl0_inv
	v_cmpx_ne_u32_e32 2, v0
	s_cbranch_execz .LBB66_23
; %bb.20:
	s_clause 0x3
	buffer_load_dword v12, v17, s[0:3], 0 offen offset:8
	buffer_load_dword v13, v17, s[0:3], 0 offen offset:12
	buffer_load_dword v14, v17, s[0:3], 0 offen
	buffer_load_dword v15, v17, s[0:3], 0 offen offset:4
	ds_read_b128 v[1:4], v11
	s_waitcnt vmcnt(2) lgkmcnt(0)
	v_mul_f64 v[16:17], v[3:4], v[12:13]
	v_mul_f64 v[11:12], v[1:2], v[12:13]
	s_waitcnt vmcnt(0)
	v_fma_f64 v[1:2], v[1:2], v[14:15], -v[16:17]
	v_fma_f64 v[3:4], v[3:4], v[14:15], v[11:12]
	v_add_f64 v[1:2], v[1:2], 0
	v_add_f64 v[3:4], v[3:4], 0
	s_and_saveexec_b32 s14, s4
	s_cbranch_execz .LBB66_22
; %bb.21:
	s_clause 0x3
	buffer_load_dword v15, off, s[0:3], 0 offset:40
	buffer_load_dword v16, off, s[0:3], 0 offset:44
	;; [unrolled: 1-line block ×4, first 2 shown]
	v_mov_b32_e32 v11, 0
	ds_read_b128 v[11:14], v11 offset:64
	s_waitcnt vmcnt(2) lgkmcnt(0)
	v_mul_f64 v[19:20], v[11:12], v[15:16]
	v_mul_f64 v[15:16], v[13:14], v[15:16]
	s_waitcnt vmcnt(0)
	v_fma_f64 v[13:14], v[13:14], v[17:18], v[19:20]
	v_fma_f64 v[11:12], v[11:12], v[17:18], -v[15:16]
	v_add_f64 v[3:4], v[3:4], v[13:14]
	v_add_f64 v[1:2], v[1:2], v[11:12]
.LBB66_22:
	s_or_b32 exec_lo, exec_lo, s14
	v_mov_b32_e32 v11, 0
	ds_read_b128 v[11:14], v11 offset:32
	s_waitcnt lgkmcnt(0)
	v_mul_f64 v[15:16], v[3:4], v[13:14]
	v_mul_f64 v[13:14], v[1:2], v[13:14]
	v_fma_f64 v[1:2], v[1:2], v[11:12], -v[15:16]
	v_fma_f64 v[3:4], v[3:4], v[11:12], v[13:14]
	buffer_store_dword v2, off, s[0:3], 0 offset:52
	buffer_store_dword v1, off, s[0:3], 0 offset:48
	;; [unrolled: 1-line block ×4, first 2 shown]
.LBB66_23:
	s_or_b32 exec_lo, exec_lo, s5
	s_mov_b32 s5, -1
	s_waitcnt_vscnt null, 0x0
	s_barrier
	buffer_gl0_inv
.LBB66_24:
	s_and_b32 vcc_lo, exec_lo, s5
	s_cbranch_vccz .LBB66_26
; %bb.25:
	s_lshl_b64 s[4:5], s[6:7], 2
	v_mov_b32_e32 v1, 0
	s_add_u32 s4, s10, s4
	s_addc_u32 s5, s11, s5
	global_load_dword v1, v1, s[4:5]
	s_waitcnt vmcnt(0)
	v_cmp_ne_u32_e32 vcc_lo, 0, v1
	s_cbranch_vccz .LBB66_27
.LBB66_26:
	s_endpgm
.LBB66_27:
	v_lshl_add_u32 v1, v0, 4, 48
	s_mov_b32 s4, exec_lo
	v_cmpx_eq_u32_e32 2, v0
	s_cbranch_execz .LBB66_29
; %bb.28:
	v_mov_b32_e32 v2, s9
	s_clause 0x3
	buffer_load_dword v11, v2, s[0:3], 0 offen
	buffer_load_dword v12, v2, s[0:3], 0 offen offset:4
	buffer_load_dword v13, v2, s[0:3], 0 offen offset:8
	;; [unrolled: 1-line block ×3, first 2 shown]
	v_mov_b32_e32 v2, 0
	buffer_store_dword v2, off, s[0:3], 0 offset:32
	buffer_store_dword v2, off, s[0:3], 0 offset:36
	;; [unrolled: 1-line block ×4, first 2 shown]
	s_waitcnt vmcnt(0)
	ds_write_b128 v1, v[11:14]
.LBB66_29:
	s_or_b32 exec_lo, exec_lo, s4
	s_waitcnt lgkmcnt(0)
	s_waitcnt_vscnt null, 0x0
	s_barrier
	buffer_gl0_inv
	s_clause 0x7
	buffer_load_dword v3, off, s[0:3], 0 offset:56
	buffer_load_dword v4, off, s[0:3], 0 offset:60
	;; [unrolled: 1-line block ×8, first 2 shown]
	v_mov_b32_e32 v2, 0
	s_mov_b32 s4, exec_lo
	ds_read_b128 v[11:14], v2 offset:80
	s_waitcnt vmcnt(6) lgkmcnt(0)
	v_mul_f64 v[21:22], v[13:14], v[3:4]
	v_mul_f64 v[3:4], v[11:12], v[3:4]
	s_waitcnt vmcnt(4)
	v_fma_f64 v[11:12], v[11:12], v[15:16], -v[21:22]
	v_fma_f64 v[3:4], v[13:14], v[15:16], v[3:4]
	v_add_f64 v[11:12], v[11:12], 0
	v_add_f64 v[3:4], v[3:4], 0
	s_waitcnt vmcnt(2)
	v_add_f64 v[11:12], v[17:18], -v[11:12]
	s_waitcnt vmcnt(0)
	v_add_f64 v[3:4], v[19:20], -v[3:4]
	buffer_store_dword v11, off, s[0:3], 0 offset:32
	buffer_store_dword v12, off, s[0:3], 0 offset:36
	;; [unrolled: 1-line block ×4, first 2 shown]
	v_cmpx_ne_u32_e32 0, v0
	s_cbranch_execz .LBB66_31
; %bb.30:
	s_clause 0x3
	buffer_load_dword v11, off, s[0:3], 0 offset:16
	buffer_load_dword v12, off, s[0:3], 0 offset:20
	;; [unrolled: 1-line block ×4, first 2 shown]
	buffer_store_dword v2, off, s[0:3], 0 offset:16
	buffer_store_dword v2, off, s[0:3], 0 offset:20
	;; [unrolled: 1-line block ×4, first 2 shown]
	s_waitcnt vmcnt(0)
	ds_write_b128 v1, v[11:14]
.LBB66_31:
	s_or_b32 exec_lo, exec_lo, s4
	s_waitcnt lgkmcnt(0)
	s_waitcnt_vscnt null, 0x0
	s_barrier
	buffer_gl0_inv
	s_clause 0xb
	buffer_load_dword v15, off, s[0:3], 0 offset:40
	buffer_load_dword v16, off, s[0:3], 0 offset:44
	;; [unrolled: 1-line block ×12, first 2 shown]
	ds_read_b128 v[11:14], v2 offset:64
	ds_read_b128 v[0:3], v2 offset:80
	s_and_b32 vcc_lo, exec_lo, s16
	s_waitcnt vmcnt(10) lgkmcnt(1)
	v_mul_f64 v[27:28], v[13:14], v[15:16]
	v_mul_f64 v[15:16], v[11:12], v[15:16]
	s_waitcnt vmcnt(8) lgkmcnt(0)
	v_mul_f64 v[29:30], v[2:3], v[17:18]
	v_mul_f64 v[17:18], v[0:1], v[17:18]
	s_waitcnt vmcnt(6)
	v_fma_f64 v[11:12], v[11:12], v[19:20], -v[27:28]
	v_fma_f64 v[13:14], v[13:14], v[19:20], v[15:16]
	s_waitcnt vmcnt(4)
	v_fma_f64 v[0:1], v[0:1], v[21:22], -v[29:30]
	v_fma_f64 v[2:3], v[2:3], v[21:22], v[17:18]
	v_add_f64 v[11:12], v[11:12], 0
	v_add_f64 v[13:14], v[13:14], 0
	;; [unrolled: 1-line block ×4, first 2 shown]
	s_waitcnt vmcnt(2)
	v_add_f64 v[0:1], v[23:24], -v[0:1]
	s_waitcnt vmcnt(0)
	v_add_f64 v[2:3], v[25:26], -v[2:3]
	buffer_store_dword v0, off, s[0:3], 0 offset:16
	buffer_store_dword v1, off, s[0:3], 0 offset:20
	;; [unrolled: 1-line block ×4, first 2 shown]
	s_cbranch_vccz .LBB66_36
; %bb.32:
	v_mov_b32_e32 v0, 0
	global_load_dword v1, v0, s[12:13] offset:4
	s_waitcnt vmcnt(0)
	v_add_nc_u32_e32 v1, -1, v1
	v_cmp_ne_u32_e32 vcc_lo, 1, v1
	s_cbranch_vccz .LBB66_34
; %bb.33:
	v_lshlrev_b32_e32 v1, 4, v1
	v_mov_b32_e32 v2, s9
	v_add_nc_u32_e32 v1, 16, v1
	s_clause 0x7
	buffer_load_dword v3, v1, s[0:3], 0 offen
	buffer_load_dword v4, v1, s[0:3], 0 offen offset:4
	buffer_load_dword v11, v1, s[0:3], 0 offen offset:8
	;; [unrolled: 1-line block ×6, first 2 shown]
	buffer_load_dword v16, v2, s[0:3], 0 offen
	s_waitcnt vmcnt(7)
	buffer_store_dword v3, v2, s[0:3], 0 offen
	s_waitcnt vmcnt(6)
	buffer_store_dword v4, v2, s[0:3], 0 offen offset:4
	s_waitcnt vmcnt(5)
	buffer_store_dword v11, v2, s[0:3], 0 offen offset:8
	;; [unrolled: 2-line block ×6, first 2 shown]
	s_waitcnt vmcnt(0)
	buffer_store_dword v16, v1, s[0:3], 0 offen
.LBB66_34:
	global_load_dword v0, v0, s[12:13]
	s_waitcnt vmcnt(0)
	v_add_nc_u32_e32 v0, -1, v0
	v_cmp_eq_u32_e32 vcc_lo, 0, v0
	s_cbranch_vccnz .LBB66_36
; %bb.35:
	v_lshlrev_b32_e32 v0, 4, v0
	v_add_nc_u32_e32 v0, 16, v0
	s_clause 0x7
	buffer_load_dword v1, v0, s[0:3], 0 offen
	buffer_load_dword v2, v0, s[0:3], 0 offen offset:4
	buffer_load_dword v3, v0, s[0:3], 0 offen offset:8
	;; [unrolled: 1-line block ×3, first 2 shown]
	buffer_load_dword v11, off, s[0:3], 0 offset:28
	buffer_load_dword v12, off, s[0:3], 0 offset:24
	;; [unrolled: 1-line block ×4, first 2 shown]
	s_waitcnt vmcnt(7)
	buffer_store_dword v1, off, s[0:3], 0 offset:16
	s_waitcnt vmcnt(6)
	buffer_store_dword v2, off, s[0:3], 0 offset:20
	;; [unrolled: 2-line block ×4, first 2 shown]
	s_waitcnt vmcnt(3)
	buffer_store_dword v11, v0, s[0:3], 0 offen offset:12
	s_waitcnt vmcnt(2)
	buffer_store_dword v12, v0, s[0:3], 0 offen offset:8
	;; [unrolled: 2-line block ×3, first 2 shown]
	s_waitcnt vmcnt(0)
	buffer_store_dword v14, v0, s[0:3], 0 offen
.LBB66_36:
	v_mov_b32_e32 v4, s9
	v_mov_b32_e32 v18, s8
	s_clause 0xb
	buffer_load_dword v0, off, s[0:3], 0 offset:16
	buffer_load_dword v1, off, s[0:3], 0 offset:20
	;; [unrolled: 1-line block ×4, first 2 shown]
	buffer_load_dword v11, v4, s[0:3], 0 offen
	buffer_load_dword v12, v4, s[0:3], 0 offen offset:4
	buffer_load_dword v13, v4, s[0:3], 0 offen offset:8
	buffer_load_dword v14, v4, s[0:3], 0 offen offset:12
	buffer_load_dword v15, v18, s[0:3], 0 offen
	buffer_load_dword v16, v18, s[0:3], 0 offen offset:4
	buffer_load_dword v17, v18, s[0:3], 0 offen offset:8
	;; [unrolled: 1-line block ×3, first 2 shown]
	s_waitcnt vmcnt(8)
	flat_store_dwordx4 v[5:6], v[0:3]
	s_waitcnt vmcnt(4)
	flat_store_dwordx4 v[9:10], v[11:14]
	;; [unrolled: 2-line block ×3, first 2 shown]
	s_endpgm
	.section	.rodata,"a",@progbits
	.p2align	6, 0x0
	.amdhsa_kernel _ZN9rocsolver6v33100L18getri_kernel_smallILi3E19rocblas_complex_numIdEPKPS3_EEvT1_iilPiilS8_bb
		.amdhsa_group_segment_fixed_size 104
		.amdhsa_private_segment_fixed_size 80
		.amdhsa_kernarg_size 60
		.amdhsa_user_sgpr_count 6
		.amdhsa_user_sgpr_private_segment_buffer 1
		.amdhsa_user_sgpr_dispatch_ptr 0
		.amdhsa_user_sgpr_queue_ptr 0
		.amdhsa_user_sgpr_kernarg_segment_ptr 1
		.amdhsa_user_sgpr_dispatch_id 0
		.amdhsa_user_sgpr_flat_scratch_init 0
		.amdhsa_user_sgpr_private_segment_size 0
		.amdhsa_wavefront_size32 1
		.amdhsa_uses_dynamic_stack 0
		.amdhsa_system_sgpr_private_segment_wavefront_offset 1
		.amdhsa_system_sgpr_workgroup_id_x 1
		.amdhsa_system_sgpr_workgroup_id_y 0
		.amdhsa_system_sgpr_workgroup_id_z 0
		.amdhsa_system_sgpr_workgroup_info 0
		.amdhsa_system_vgpr_workitem_id 0
		.amdhsa_next_free_vgpr 31
		.amdhsa_next_free_sgpr 20
		.amdhsa_reserve_vcc 1
		.amdhsa_reserve_flat_scratch 1
		.amdhsa_float_round_mode_32 0
		.amdhsa_float_round_mode_16_64 0
		.amdhsa_float_denorm_mode_32 3
		.amdhsa_float_denorm_mode_16_64 3
		.amdhsa_dx10_clamp 1
		.amdhsa_ieee_mode 1
		.amdhsa_fp16_overflow 0
		.amdhsa_workgroup_processor_mode 1
		.amdhsa_memory_ordered 1
		.amdhsa_forward_progress 1
		.amdhsa_shared_vgpr_count 0
		.amdhsa_exception_fp_ieee_invalid_op 0
		.amdhsa_exception_fp_denorm_src 0
		.amdhsa_exception_fp_ieee_div_zero 0
		.amdhsa_exception_fp_ieee_overflow 0
		.amdhsa_exception_fp_ieee_underflow 0
		.amdhsa_exception_fp_ieee_inexact 0
		.amdhsa_exception_int_div_zero 0
	.end_amdhsa_kernel
	.section	.text._ZN9rocsolver6v33100L18getri_kernel_smallILi3E19rocblas_complex_numIdEPKPS3_EEvT1_iilPiilS8_bb,"axG",@progbits,_ZN9rocsolver6v33100L18getri_kernel_smallILi3E19rocblas_complex_numIdEPKPS3_EEvT1_iilPiilS8_bb,comdat
.Lfunc_end66:
	.size	_ZN9rocsolver6v33100L18getri_kernel_smallILi3E19rocblas_complex_numIdEPKPS3_EEvT1_iilPiilS8_bb, .Lfunc_end66-_ZN9rocsolver6v33100L18getri_kernel_smallILi3E19rocblas_complex_numIdEPKPS3_EEvT1_iilPiilS8_bb
                                        ; -- End function
	.set _ZN9rocsolver6v33100L18getri_kernel_smallILi3E19rocblas_complex_numIdEPKPS3_EEvT1_iilPiilS8_bb.num_vgpr, 31
	.set _ZN9rocsolver6v33100L18getri_kernel_smallILi3E19rocblas_complex_numIdEPKPS3_EEvT1_iilPiilS8_bb.num_agpr, 0
	.set _ZN9rocsolver6v33100L18getri_kernel_smallILi3E19rocblas_complex_numIdEPKPS3_EEvT1_iilPiilS8_bb.numbered_sgpr, 20
	.set _ZN9rocsolver6v33100L18getri_kernel_smallILi3E19rocblas_complex_numIdEPKPS3_EEvT1_iilPiilS8_bb.num_named_barrier, 0
	.set _ZN9rocsolver6v33100L18getri_kernel_smallILi3E19rocblas_complex_numIdEPKPS3_EEvT1_iilPiilS8_bb.private_seg_size, 80
	.set _ZN9rocsolver6v33100L18getri_kernel_smallILi3E19rocblas_complex_numIdEPKPS3_EEvT1_iilPiilS8_bb.uses_vcc, 1
	.set _ZN9rocsolver6v33100L18getri_kernel_smallILi3E19rocblas_complex_numIdEPKPS3_EEvT1_iilPiilS8_bb.uses_flat_scratch, 1
	.set _ZN9rocsolver6v33100L18getri_kernel_smallILi3E19rocblas_complex_numIdEPKPS3_EEvT1_iilPiilS8_bb.has_dyn_sized_stack, 0
	.set _ZN9rocsolver6v33100L18getri_kernel_smallILi3E19rocblas_complex_numIdEPKPS3_EEvT1_iilPiilS8_bb.has_recursion, 0
	.set _ZN9rocsolver6v33100L18getri_kernel_smallILi3E19rocblas_complex_numIdEPKPS3_EEvT1_iilPiilS8_bb.has_indirect_call, 0
	.section	.AMDGPU.csdata,"",@progbits
; Kernel info:
; codeLenInByte = 3296
; TotalNumSgprs: 22
; NumVgprs: 31
; ScratchSize: 80
; MemoryBound: 0
; FloatMode: 240
; IeeeMode: 1
; LDSByteSize: 104 bytes/workgroup (compile time only)
; SGPRBlocks: 0
; VGPRBlocks: 3
; NumSGPRsForWavesPerEU: 22
; NumVGPRsForWavesPerEU: 31
; Occupancy: 16
; WaveLimiterHint : 1
; COMPUTE_PGM_RSRC2:SCRATCH_EN: 1
; COMPUTE_PGM_RSRC2:USER_SGPR: 6
; COMPUTE_PGM_RSRC2:TRAP_HANDLER: 0
; COMPUTE_PGM_RSRC2:TGID_X_EN: 1
; COMPUTE_PGM_RSRC2:TGID_Y_EN: 0
; COMPUTE_PGM_RSRC2:TGID_Z_EN: 0
; COMPUTE_PGM_RSRC2:TIDIG_COMP_CNT: 0
	.section	.text._ZN9rocsolver6v33100L18getri_kernel_smallILi4E19rocblas_complex_numIdEPKPS3_EEvT1_iilPiilS8_bb,"axG",@progbits,_ZN9rocsolver6v33100L18getri_kernel_smallILi4E19rocblas_complex_numIdEPKPS3_EEvT1_iilPiilS8_bb,comdat
	.globl	_ZN9rocsolver6v33100L18getri_kernel_smallILi4E19rocblas_complex_numIdEPKPS3_EEvT1_iilPiilS8_bb ; -- Begin function _ZN9rocsolver6v33100L18getri_kernel_smallILi4E19rocblas_complex_numIdEPKPS3_EEvT1_iilPiilS8_bb
	.p2align	8
	.type	_ZN9rocsolver6v33100L18getri_kernel_smallILi4E19rocblas_complex_numIdEPKPS3_EEvT1_iilPiilS8_bb,@function
_ZN9rocsolver6v33100L18getri_kernel_smallILi4E19rocblas_complex_numIdEPKPS3_EEvT1_iilPiilS8_bb: ; @_ZN9rocsolver6v33100L18getri_kernel_smallILi4E19rocblas_complex_numIdEPKPS3_EEvT1_iilPiilS8_bb
; %bb.0:
	s_add_u32 s0, s0, s9
	s_addc_u32 s1, s1, 0
	s_mov_b32 s9, exec_lo
	v_cmpx_gt_u32_e32 4, v0
	s_cbranch_execz .LBB67_30
; %bb.1:
	s_clause 0x2
	s_load_dword s19, s[6:7], 0x38
	s_load_dwordx2 s[10:11], s[6:7], 0x0
	s_load_dwordx4 s[12:15], s[6:7], 0x28
	s_waitcnt lgkmcnt(0)
	s_bitcmp1_b32 s19, 8
	s_cselect_b32 s18, -1, 0
	s_ashr_i32 s9, s8, 31
	s_lshl_b64 s[16:17], s[8:9], 3
	s_add_u32 s10, s10, s16
	s_addc_u32 s11, s11, s17
	s_load_dwordx2 s[16:17], s[10:11], 0x0
	s_bfe_u32 s10, s19, 0x10008
	s_cmp_eq_u32 s10, 0
                                        ; implicit-def: $sgpr10_sgpr11
	s_cbranch_scc1 .LBB67_3
; %bb.2:
	s_clause 0x1
	s_load_dword s10, s[6:7], 0x20
	s_load_dwordx2 s[20:21], s[6:7], 0x18
	s_mul_i32 s11, s12, s9
	s_mul_hi_u32 s19, s12, s8
	s_mul_i32 s13, s13, s8
	s_add_i32 s11, s19, s11
	s_mul_i32 s12, s12, s8
	s_add_i32 s13, s11, s13
	s_lshl_b64 s[12:13], s[12:13], 2
	s_waitcnt lgkmcnt(0)
	s_ashr_i32 s11, s10, 31
	s_add_u32 s12, s20, s12
	s_addc_u32 s13, s21, s13
	s_lshl_b64 s[10:11], s[10:11], 2
	s_add_u32 s10, s12, s10
	s_addc_u32 s11, s13, s11
.LBB67_3:
	s_clause 0x1
	s_load_dwordx2 s[12:13], s[6:7], 0x8
	s_load_dword s19, s[6:7], 0x38
	v_lshlrev_b32_e32 v21, 4, v0
	s_waitcnt lgkmcnt(0)
	s_ashr_i32 s7, s12, 31
	s_mov_b32 s6, s12
	v_add3_u32 v13, s13, s13, v0
	s_lshl_b64 s[6:7], s[6:7], 4
	s_add_u32 s12, s16, s6
	s_addc_u32 s16, s17, s7
	v_add_co_u32 v7, s6, s12, v21
	v_add_co_ci_u32_e64 v8, null, s16, 0, s6
	s_mov_b32 s6, s13
	s_ashr_i32 s7, s13, 31
	v_ashrrev_i32_e32 v14, 31, v13
	flat_load_dwordx4 v[3:6], v[7:8]
	s_lshl_b64 s[6:7], s[6:7], 4
	s_bitcmp0_b32 s19, 0
	v_add_co_u32 v9, vcc_lo, v7, s6
	v_add_co_ci_u32_e64 v10, null, s7, v8, vcc_lo
	v_lshlrev_b64 v[11:12], 4, v[13:14]
	v_add_nc_u32_e32 v13, s13, v13
	s_mov_b32 s7, -1
	s_mov_b32 s13, 32
	s_waitcnt vmcnt(0) lgkmcnt(0)
	buffer_store_dword v6, off, s[0:3], 0 offset:12
	buffer_store_dword v5, off, s[0:3], 0 offset:8
	;; [unrolled: 1-line block ×3, first 2 shown]
	buffer_store_dword v3, off, s[0:3], 0
	flat_load_dwordx4 v[3:6], v[9:10]
	v_add_co_u32 v11, vcc_lo, s12, v11
	v_add_co_ci_u32_e64 v12, null, s16, v12, vcc_lo
	v_ashrrev_i32_e32 v14, 31, v13
	s_waitcnt vmcnt(0) lgkmcnt(0)
	buffer_store_dword v6, off, s[0:3], 0 offset:28
	buffer_store_dword v5, off, s[0:3], 0 offset:24
	;; [unrolled: 1-line block ×4, first 2 shown]
	flat_load_dwordx4 v[3:6], v[11:12]
	v_lshlrev_b64 v[13:14], 4, v[13:14]
	s_waitcnt vmcnt(0) lgkmcnt(0)
	buffer_store_dword v6, off, s[0:3], 0 offset:44
	buffer_store_dword v5, off, s[0:3], 0 offset:40
	;; [unrolled: 1-line block ×4, first 2 shown]
	v_add_co_u32 v13, vcc_lo, s12, v13
	v_add_co_ci_u32_e64 v14, null, s16, v14, vcc_lo
	s_mov_b32 s16, 16
	s_mov_b32 s12, 48
	flat_load_dwordx4 v[3:6], v[13:14]
	s_waitcnt vmcnt(0) lgkmcnt(0)
	buffer_store_dword v6, off, s[0:3], 0 offset:60
	buffer_store_dword v5, off, s[0:3], 0 offset:56
	;; [unrolled: 1-line block ×4, first 2 shown]
	s_cbranch_scc1 .LBB67_28
; %bb.4:
	v_cmp_eq_u32_e64 s6, 0, v0
	s_and_saveexec_b32 s7, s6
; %bb.5:
	v_mov_b32_e32 v3, 0
	ds_write_b32 v3, v3 offset:128
; %bb.6:
	s_or_b32 exec_lo, exec_lo, s7
	v_lshl_add_u32 v22, v0, 4, 0
	s_waitcnt lgkmcnt(0)
	s_waitcnt_vscnt null, 0x0
	s_barrier
	buffer_gl0_inv
	s_clause 0x3
	buffer_load_dword v3, v22, s[0:3], 0 offen
	buffer_load_dword v4, v22, s[0:3], 0 offen offset:4
	buffer_load_dword v5, v22, s[0:3], 0 offen offset:8
	;; [unrolled: 1-line block ×3, first 2 shown]
	s_waitcnt vmcnt(2)
	v_cmp_eq_f64_e32 vcc_lo, 0, v[3:4]
	s_waitcnt vmcnt(0)
	v_cmp_eq_f64_e64 s7, 0, v[5:6]
	s_and_b32 s7, vcc_lo, s7
	s_and_saveexec_b32 s17, s7
	s_cbranch_execz .LBB67_10
; %bb.7:
	v_mov_b32_e32 v3, 0
	s_mov_b32 s19, 0
	ds_read_b32 v4, v3 offset:128
	s_waitcnt lgkmcnt(0)
	v_readfirstlane_b32 s7, v4
	v_add_nc_u32_e32 v4, 1, v0
	s_cmp_eq_u32 s7, 0
	v_cmp_gt_i32_e32 vcc_lo, s7, v4
	s_cselect_b32 s20, -1, 0
	s_or_b32 s20, s20, vcc_lo
	s_and_b32 exec_lo, exec_lo, s20
	s_cbranch_execz .LBB67_10
; %bb.8:
	v_mov_b32_e32 v5, s7
.LBB67_9:                               ; =>This Inner Loop Header: Depth=1
	ds_cmpst_rtn_b32 v5, v3, v5, v4 offset:128
	s_waitcnt lgkmcnt(0)
	v_cmp_ne_u32_e32 vcc_lo, 0, v5
	v_cmp_le_i32_e64 s7, v5, v4
	s_and_b32 s7, vcc_lo, s7
	s_and_b32 s7, exec_lo, s7
	s_or_b32 s19, s7, s19
	s_andn2_b32 exec_lo, exec_lo, s19
	s_cbranch_execnz .LBB67_9
.LBB67_10:
	s_or_b32 exec_lo, exec_lo, s17
	v_mov_b32_e32 v3, 0
	s_barrier
	buffer_gl0_inv
	ds_read_b32 v4, v3 offset:128
	s_and_saveexec_b32 s7, s6
	s_cbranch_execz .LBB67_12
; %bb.11:
	s_lshl_b64 s[20:21], s[8:9], 2
	s_add_u32 s20, s14, s20
	s_addc_u32 s21, s15, s21
	s_waitcnt lgkmcnt(0)
	global_store_dword v3, v4, s[20:21]
.LBB67_12:
	s_or_b32 exec_lo, exec_lo, s7
	s_waitcnt lgkmcnt(0)
	v_cmp_ne_u32_e32 vcc_lo, 0, v4
	s_mov_b32 s7, 0
	s_cbranch_vccnz .LBB67_28
; %bb.13:
	s_clause 0x3
	buffer_load_dword v17, v22, s[0:3], 0 offen
	buffer_load_dword v18, v22, s[0:3], 0 offen offset:4
	buffer_load_dword v19, v22, s[0:3], 0 offen offset:8
	;; [unrolled: 1-line block ×3, first 2 shown]
                                        ; implicit-def: $vgpr15_vgpr16
                                        ; implicit-def: $vgpr5_vgpr6
	s_waitcnt vmcnt(0)
	v_cmp_ngt_f64_e64 s7, |v[17:18]|, |v[19:20]|
	s_and_saveexec_b32 s17, s7
	s_xor_b32 s7, exec_lo, s17
	s_cbranch_execz .LBB67_15
; %bb.14:
	v_div_scale_f64 v[3:4], null, v[19:20], v[19:20], v[17:18]
	v_div_scale_f64 v[23:24], vcc_lo, v[17:18], v[19:20], v[17:18]
	v_rcp_f64_e32 v[5:6], v[3:4]
	v_fma_f64 v[15:16], -v[3:4], v[5:6], 1.0
	v_fma_f64 v[5:6], v[5:6], v[15:16], v[5:6]
	v_fma_f64 v[15:16], -v[3:4], v[5:6], 1.0
	v_fma_f64 v[5:6], v[5:6], v[15:16], v[5:6]
	v_mul_f64 v[15:16], v[23:24], v[5:6]
	v_fma_f64 v[3:4], -v[3:4], v[15:16], v[23:24]
	v_div_fmas_f64 v[3:4], v[3:4], v[5:6], v[15:16]
	v_div_fixup_f64 v[3:4], v[3:4], v[19:20], v[17:18]
	v_fma_f64 v[5:6], v[17:18], v[3:4], v[19:20]
	v_div_scale_f64 v[15:16], null, v[5:6], v[5:6], 1.0
	v_div_scale_f64 v[23:24], vcc_lo, 1.0, v[5:6], 1.0
	v_rcp_f64_e32 v[17:18], v[15:16]
	v_fma_f64 v[19:20], -v[15:16], v[17:18], 1.0
	v_fma_f64 v[17:18], v[17:18], v[19:20], v[17:18]
	v_fma_f64 v[19:20], -v[15:16], v[17:18], 1.0
	v_fma_f64 v[17:18], v[17:18], v[19:20], v[17:18]
	v_mul_f64 v[19:20], v[23:24], v[17:18]
	v_fma_f64 v[15:16], -v[15:16], v[19:20], v[23:24]
	v_div_fmas_f64 v[15:16], v[15:16], v[17:18], v[19:20]
                                        ; implicit-def: $vgpr17_vgpr18
                                        ; implicit-def: $vgpr19_vgpr20
	v_div_fixup_f64 v[5:6], v[15:16], v[5:6], 1.0
	v_mul_f64 v[15:16], v[3:4], v[5:6]
	v_xor_b32_e32 v6, 0x80000000, v6
	v_xor_b32_e32 v4, 0x80000000, v16
	v_mov_b32_e32 v3, v15
.LBB67_15:
	s_andn2_saveexec_b32 s7, s7
	s_cbranch_execz .LBB67_17
; %bb.16:
	v_div_scale_f64 v[3:4], null, v[17:18], v[17:18], v[19:20]
	v_div_scale_f64 v[23:24], vcc_lo, v[19:20], v[17:18], v[19:20]
	v_rcp_f64_e32 v[5:6], v[3:4]
	v_fma_f64 v[15:16], -v[3:4], v[5:6], 1.0
	v_fma_f64 v[5:6], v[5:6], v[15:16], v[5:6]
	v_fma_f64 v[15:16], -v[3:4], v[5:6], 1.0
	v_fma_f64 v[5:6], v[5:6], v[15:16], v[5:6]
	v_mul_f64 v[15:16], v[23:24], v[5:6]
	v_fma_f64 v[3:4], -v[3:4], v[15:16], v[23:24]
	v_div_fmas_f64 v[3:4], v[3:4], v[5:6], v[15:16]
	v_div_fixup_f64 v[3:4], v[3:4], v[17:18], v[19:20]
	v_fma_f64 v[5:6], v[19:20], v[3:4], v[17:18]
	v_div_scale_f64 v[15:16], null, v[5:6], v[5:6], 1.0
	v_rcp_f64_e32 v[17:18], v[15:16]
	v_fma_f64 v[19:20], -v[15:16], v[17:18], 1.0
	v_fma_f64 v[17:18], v[17:18], v[19:20], v[17:18]
	v_fma_f64 v[19:20], -v[15:16], v[17:18], 1.0
	v_fma_f64 v[17:18], v[17:18], v[19:20], v[17:18]
	v_div_scale_f64 v[19:20], vcc_lo, 1.0, v[5:6], 1.0
	v_mul_f64 v[23:24], v[19:20], v[17:18]
	v_fma_f64 v[15:16], -v[15:16], v[23:24], v[19:20]
	v_div_fmas_f64 v[15:16], v[15:16], v[17:18], v[23:24]
	v_div_fixup_f64 v[15:16], v[15:16], v[5:6], 1.0
	v_mul_f64 v[5:6], v[3:4], -v[15:16]
	v_xor_b32_e32 v4, 0x80000000, v16
	v_mov_b32_e32 v3, v15
.LBB67_17:
	s_or_b32 exec_lo, exec_lo, s7
	v_mov_b32_e32 v20, s16
	buffer_store_dword v16, v22, s[0:3], 0 offen offset:4
	buffer_store_dword v15, v22, s[0:3], 0 offen
	buffer_store_dword v6, v22, s[0:3], 0 offen offset:12
	buffer_store_dword v5, v22, s[0:3], 0 offen offset:8
	v_xor_b32_e32 v6, 0x80000000, v6
	v_add_nc_u32_e32 v15, 64, v21
	s_clause 0x3
	buffer_load_dword v19, v20, s[0:3], 0 offen offset:12
	buffer_load_dword v18, v20, s[0:3], 0 offen offset:8
	;; [unrolled: 1-line block ×3, first 2 shown]
	buffer_load_dword v16, v20, s[0:3], 0 offen
	ds_write_b128 v21, v[3:6]
	s_waitcnt vmcnt(0)
	ds_write_b128 v21, v[16:19] offset:64
	s_waitcnt lgkmcnt(0)
	s_waitcnt_vscnt null, 0x0
	s_barrier
	buffer_gl0_inv
	s_and_saveexec_b32 s7, s6
	s_cbranch_execz .LBB67_19
; %bb.18:
	s_clause 0x3
	buffer_load_dword v23, v22, s[0:3], 0 offen offset:8
	buffer_load_dword v24, v22, s[0:3], 0 offen offset:12
	buffer_load_dword v25, v22, s[0:3], 0 offen
	buffer_load_dword v26, v22, s[0:3], 0 offen offset:4
	ds_read_b128 v[3:6], v15
	v_mov_b32_e32 v16, 0
	ds_read_b128 v[16:19], v16 offset:16
	s_waitcnt vmcnt(2) lgkmcnt(1)
	v_mul_f64 v[27:28], v[3:4], v[23:24]
	v_mul_f64 v[23:24], v[5:6], v[23:24]
	s_waitcnt vmcnt(0)
	v_fma_f64 v[5:6], v[5:6], v[25:26], v[27:28]
	v_fma_f64 v[3:4], v[3:4], v[25:26], -v[23:24]
	v_add_f64 v[5:6], v[5:6], 0
	v_add_f64 v[3:4], v[3:4], 0
	s_waitcnt lgkmcnt(0)
	v_mul_f64 v[23:24], v[5:6], v[18:19]
	v_mul_f64 v[18:19], v[3:4], v[18:19]
	v_fma_f64 v[3:4], v[3:4], v[16:17], -v[23:24]
	v_fma_f64 v[5:6], v[5:6], v[16:17], v[18:19]
	buffer_store_dword v3, off, s[0:3], 0 offset:16
	buffer_store_dword v4, off, s[0:3], 0 offset:20
	;; [unrolled: 1-line block ×4, first 2 shown]
.LBB67_19:
	s_or_b32 exec_lo, exec_lo, s7
	v_mov_b32_e32 v6, s13
	s_waitcnt_vscnt null, 0x0
	s_barrier
	buffer_gl0_inv
	s_mov_b32 s7, exec_lo
	s_clause 0x3
	buffer_load_dword v3, v6, s[0:3], 0 offen
	buffer_load_dword v4, v6, s[0:3], 0 offen offset:4
	buffer_load_dword v5, v6, s[0:3], 0 offen offset:8
	;; [unrolled: 1-line block ×3, first 2 shown]
	s_waitcnt vmcnt(0)
	ds_write_b128 v15, v[3:6]
	s_waitcnt lgkmcnt(0)
	s_barrier
	buffer_gl0_inv
	v_cmpx_gt_u32_e32 2, v0
	s_cbranch_execz .LBB67_23
; %bb.20:
	s_clause 0x3
	buffer_load_dword v16, v22, s[0:3], 0 offen offset:8
	buffer_load_dword v17, v22, s[0:3], 0 offen offset:12
	buffer_load_dword v18, v22, s[0:3], 0 offen
	buffer_load_dword v19, v22, s[0:3], 0 offen offset:4
	ds_read_b128 v[3:6], v15
	s_waitcnt vmcnt(2) lgkmcnt(0)
	v_mul_f64 v[22:23], v[5:6], v[16:17]
	v_mul_f64 v[16:17], v[3:4], v[16:17]
	s_waitcnt vmcnt(0)
	v_fma_f64 v[3:4], v[3:4], v[18:19], -v[22:23]
	v_fma_f64 v[5:6], v[5:6], v[18:19], v[16:17]
	v_add_f64 v[3:4], v[3:4], 0
	v_add_f64 v[5:6], v[5:6], 0
	s_and_saveexec_b32 s17, s6
	s_cbranch_execz .LBB67_22
; %bb.21:
	s_clause 0x3
	buffer_load_dword v22, off, s[0:3], 0 offset:24
	buffer_load_dword v23, off, s[0:3], 0 offset:28
	;; [unrolled: 1-line block ×4, first 2 shown]
	v_mov_b32_e32 v16, 0
	ds_read_b128 v[16:19], v16 offset:80
	s_waitcnt vmcnt(2) lgkmcnt(0)
	v_mul_f64 v[26:27], v[16:17], v[22:23]
	v_mul_f64 v[22:23], v[18:19], v[22:23]
	s_waitcnt vmcnt(0)
	v_fma_f64 v[18:19], v[18:19], v[24:25], v[26:27]
	v_fma_f64 v[16:17], v[16:17], v[24:25], -v[22:23]
	v_add_f64 v[5:6], v[5:6], v[18:19]
	v_add_f64 v[3:4], v[3:4], v[16:17]
.LBB67_22:
	s_or_b32 exec_lo, exec_lo, s17
	v_mov_b32_e32 v16, 0
	ds_read_b128 v[16:19], v16 offset:32
	s_waitcnt lgkmcnt(0)
	v_mul_f64 v[22:23], v[5:6], v[18:19]
	v_mul_f64 v[18:19], v[3:4], v[18:19]
	v_fma_f64 v[3:4], v[3:4], v[16:17], -v[22:23]
	v_fma_f64 v[5:6], v[5:6], v[16:17], v[18:19]
	buffer_store_dword v4, off, s[0:3], 0 offset:36
	buffer_store_dword v3, off, s[0:3], 0 offset:32
	;; [unrolled: 1-line block ×4, first 2 shown]
.LBB67_23:
	s_or_b32 exec_lo, exec_lo, s7
	v_mov_b32_e32 v6, s12
	s_waitcnt_vscnt null, 0x0
	s_barrier
	buffer_gl0_inv
	s_mov_b32 s6, exec_lo
	s_clause 0x3
	buffer_load_dword v3, v6, s[0:3], 0 offen
	buffer_load_dword v4, v6, s[0:3], 0 offen offset:4
	buffer_load_dword v5, v6, s[0:3], 0 offen offset:8
	;; [unrolled: 1-line block ×3, first 2 shown]
	s_waitcnt vmcnt(0)
	ds_write_b128 v15, v[3:6]
	s_waitcnt lgkmcnt(0)
	s_barrier
	buffer_gl0_inv
	v_cmpx_ne_u32_e32 3, v0
	s_cbranch_execz .LBB67_27
; %bb.24:
	v_mov_b32_e32 v3, 0
	v_mov_b32_e32 v5, 0
	v_add_nc_u32_e32 v16, -1, v0
	v_mov_b32_e32 v4, 0
	v_mov_b32_e32 v6, 0
	v_mov_b32_e32 v17, v21
	s_mov_b32 s7, 0
	.p2align	6
.LBB67_25:                              ; =>This Inner Loop Header: Depth=1
	s_clause 0x3
	buffer_load_dword v22, v17, s[0:3], 0 offen offset:8
	buffer_load_dword v23, v17, s[0:3], 0 offen offset:12
	buffer_load_dword v24, v17, s[0:3], 0 offen
	buffer_load_dword v25, v17, s[0:3], 0 offen offset:4
	ds_read_b128 v[18:21], v15
	v_add_nc_u32_e32 v16, 1, v16
	v_add_nc_u32_e32 v15, 16, v15
	;; [unrolled: 1-line block ×3, first 2 shown]
	v_cmp_lt_u32_e32 vcc_lo, 1, v16
	s_or_b32 s7, vcc_lo, s7
	s_waitcnt vmcnt(2) lgkmcnt(0)
	v_mul_f64 v[26:27], v[20:21], v[22:23]
	v_mul_f64 v[22:23], v[18:19], v[22:23]
	s_waitcnt vmcnt(0)
	v_fma_f64 v[18:19], v[18:19], v[24:25], -v[26:27]
	v_fma_f64 v[20:21], v[20:21], v[24:25], v[22:23]
	v_add_f64 v[5:6], v[5:6], v[18:19]
	v_add_f64 v[3:4], v[3:4], v[20:21]
	s_andn2_b32 exec_lo, exec_lo, s7
	s_cbranch_execnz .LBB67_25
; %bb.26:
	s_or_b32 exec_lo, exec_lo, s7
	v_mov_b32_e32 v15, 0
	ds_read_b128 v[15:18], v15 offset:48
	s_waitcnt lgkmcnt(0)
	v_mul_f64 v[19:20], v[3:4], v[17:18]
	v_mul_f64 v[17:18], v[5:6], v[17:18]
	v_fma_f64 v[5:6], v[5:6], v[15:16], -v[19:20]
	v_fma_f64 v[3:4], v[3:4], v[15:16], v[17:18]
	buffer_store_dword v6, off, s[0:3], 0 offset:52
	buffer_store_dword v5, off, s[0:3], 0 offset:48
	;; [unrolled: 1-line block ×4, first 2 shown]
.LBB67_27:
	s_or_b32 exec_lo, exec_lo, s6
	s_mov_b32 s7, -1
	s_waitcnt_vscnt null, 0x0
	s_barrier
	buffer_gl0_inv
.LBB67_28:
	s_and_b32 vcc_lo, exec_lo, s7
	s_cbranch_vccz .LBB67_30
; %bb.29:
	s_lshl_b64 s[6:7], s[8:9], 2
	v_mov_b32_e32 v3, 0
	s_add_u32 s6, s14, s6
	s_addc_u32 s7, s15, s7
	global_load_dword v3, v3, s[6:7]
	s_waitcnt vmcnt(0)
	v_cmp_ne_u32_e32 vcc_lo, 0, v3
	s_cbranch_vccz .LBB67_31
.LBB67_30:
	s_endpgm
.LBB67_31:
	v_lshl_add_u32 v3, v0, 4, 64
	s_mov_b32 s6, exec_lo
	v_cmpx_eq_u32_e32 3, v0
	s_cbranch_execz .LBB67_33
; %bb.32:
	v_mov_b32_e32 v4, s13
	s_clause 0x3
	buffer_load_dword v15, v4, s[0:3], 0 offen
	buffer_load_dword v16, v4, s[0:3], 0 offen offset:4
	buffer_load_dword v17, v4, s[0:3], 0 offen offset:8
	;; [unrolled: 1-line block ×3, first 2 shown]
	v_mov_b32_e32 v4, 0
	buffer_store_dword v4, off, s[0:3], 0 offset:32
	buffer_store_dword v4, off, s[0:3], 0 offset:36
	;; [unrolled: 1-line block ×4, first 2 shown]
	s_waitcnt vmcnt(0)
	ds_write_b128 v3, v[15:18]
.LBB67_33:
	s_or_b32 exec_lo, exec_lo, s6
	s_waitcnt lgkmcnt(0)
	s_waitcnt_vscnt null, 0x0
	s_barrier
	buffer_gl0_inv
	s_clause 0x7
	buffer_load_dword v5, off, s[0:3], 0 offset:56
	buffer_load_dword v6, off, s[0:3], 0 offset:60
	;; [unrolled: 1-line block ×8, first 2 shown]
	v_mov_b32_e32 v4, 0
	s_mov_b32 s6, exec_lo
	ds_read_b128 v[15:18], v4 offset:112
	s_waitcnt vmcnt(6) lgkmcnt(0)
	v_mul_f64 v[25:26], v[17:18], v[5:6]
	v_mul_f64 v[5:6], v[15:16], v[5:6]
	s_waitcnt vmcnt(4)
	v_fma_f64 v[15:16], v[15:16], v[19:20], -v[25:26]
	v_fma_f64 v[5:6], v[17:18], v[19:20], v[5:6]
	v_add_f64 v[15:16], v[15:16], 0
	v_add_f64 v[5:6], v[5:6], 0
	s_waitcnt vmcnt(2)
	v_add_f64 v[15:16], v[21:22], -v[15:16]
	s_waitcnt vmcnt(0)
	v_add_f64 v[5:6], v[23:24], -v[5:6]
	buffer_store_dword v15, off, s[0:3], 0 offset:32
	buffer_store_dword v16, off, s[0:3], 0 offset:36
	;; [unrolled: 1-line block ×4, first 2 shown]
	v_cmpx_lt_u32_e32 1, v0
	s_cbranch_execz .LBB67_35
; %bb.34:
	v_mov_b32_e32 v5, s16
	s_clause 0x3
	buffer_load_dword v15, v5, s[0:3], 0 offen
	buffer_load_dword v16, v5, s[0:3], 0 offen offset:4
	buffer_load_dword v17, v5, s[0:3], 0 offen offset:8
	;; [unrolled: 1-line block ×3, first 2 shown]
	buffer_store_dword v4, off, s[0:3], 0 offset:16
	buffer_store_dword v4, off, s[0:3], 0 offset:20
	;; [unrolled: 1-line block ×4, first 2 shown]
	s_waitcnt vmcnt(0)
	ds_write_b128 v3, v[15:18]
.LBB67_35:
	s_or_b32 exec_lo, exec_lo, s6
	s_waitcnt lgkmcnt(0)
	s_waitcnt_vscnt null, 0x0
	s_barrier
	buffer_gl0_inv
	s_clause 0xb
	buffer_load_dword v5, off, s[0:3], 0 offset:40
	buffer_load_dword v6, off, s[0:3], 0 offset:44
	buffer_load_dword v23, off, s[0:3], 0 offset:56
	buffer_load_dword v24, off, s[0:3], 0 offset:60
	buffer_load_dword v25, off, s[0:3], 0 offset:32
	buffer_load_dword v26, off, s[0:3], 0 offset:36
	buffer_load_dword v27, off, s[0:3], 0 offset:48
	buffer_load_dword v28, off, s[0:3], 0 offset:52
	buffer_load_dword v29, off, s[0:3], 0 offset:16
	buffer_load_dword v30, off, s[0:3], 0 offset:20
	buffer_load_dword v31, off, s[0:3], 0 offset:24
	buffer_load_dword v32, off, s[0:3], 0 offset:28
	ds_read_b128 v[15:18], v4 offset:96
	ds_read_b128 v[19:22], v4 offset:112
	s_mov_b32 s6, exec_lo
	s_waitcnt vmcnt(10) lgkmcnt(1)
	v_mul_f64 v[33:34], v[17:18], v[5:6]
	v_mul_f64 v[4:5], v[15:16], v[5:6]
	s_waitcnt vmcnt(8) lgkmcnt(0)
	v_mul_f64 v[35:36], v[21:22], v[23:24]
	v_mul_f64 v[23:24], v[19:20], v[23:24]
	s_waitcnt vmcnt(6)
	v_fma_f64 v[15:16], v[15:16], v[25:26], -v[33:34]
	v_fma_f64 v[4:5], v[17:18], v[25:26], v[4:5]
	s_waitcnt vmcnt(4)
	v_fma_f64 v[17:18], v[19:20], v[27:28], -v[35:36]
	v_fma_f64 v[19:20], v[21:22], v[27:28], v[23:24]
	v_add_f64 v[15:16], v[15:16], 0
	v_add_f64 v[4:5], v[4:5], 0
	v_add_f64 v[15:16], v[15:16], v[17:18]
	v_add_f64 v[4:5], v[4:5], v[19:20]
	s_waitcnt vmcnt(2)
	v_add_f64 v[15:16], v[29:30], -v[15:16]
	s_waitcnt vmcnt(0)
	v_add_f64 v[4:5], v[31:32], -v[4:5]
	buffer_store_dword v15, off, s[0:3], 0 offset:16
	buffer_store_dword v16, off, s[0:3], 0 offset:20
	;; [unrolled: 1-line block ×4, first 2 shown]
	v_cmpx_ne_u32_e32 0, v0
	s_cbranch_execz .LBB67_37
; %bb.36:
	s_clause 0x3
	buffer_load_dword v15, off, s[0:3], 0
	buffer_load_dword v16, off, s[0:3], 0 offset:4
	buffer_load_dword v17, off, s[0:3], 0 offset:8
	;; [unrolled: 1-line block ×3, first 2 shown]
	v_mov_b32_e32 v4, 0
	buffer_store_dword v4, off, s[0:3], 0
	buffer_store_dword v4, off, s[0:3], 0 offset:4
	buffer_store_dword v4, off, s[0:3], 0 offset:8
	;; [unrolled: 1-line block ×3, first 2 shown]
	s_waitcnt vmcnt(0)
	ds_write_b128 v3, v[15:18]
.LBB67_37:
	s_or_b32 exec_lo, exec_lo, s6
	s_waitcnt lgkmcnt(0)
	s_waitcnt_vscnt null, 0x0
	s_barrier
	buffer_gl0_inv
	s_clause 0xf
	buffer_load_dword v4, off, s[0:3], 0 offset:24
	buffer_load_dword v5, off, s[0:3], 0 offset:28
	;; [unrolled: 1-line block ×12, first 2 shown]
	buffer_load_dword v37, off, s[0:3], 0
	buffer_load_dword v38, off, s[0:3], 0 offset:4
	buffer_load_dword v39, off, s[0:3], 0 offset:8
	;; [unrolled: 1-line block ×3, first 2 shown]
	v_mov_b32_e32 v3, 0
	ds_read_b128 v[15:18], v3 offset:80
	ds_read_b128 v[19:22], v3 offset:96
	;; [unrolled: 1-line block ×3, first 2 shown]
	s_and_b32 vcc_lo, exec_lo, s18
	s_waitcnt vmcnt(14) lgkmcnt(2)
	v_mul_f64 v[41:42], v[17:18], v[4:5]
	v_mul_f64 v[4:5], v[15:16], v[4:5]
	s_waitcnt vmcnt(12) lgkmcnt(1)
	v_mul_f64 v[43:44], v[21:22], v[27:28]
	v_mul_f64 v[27:28], v[19:20], v[27:28]
	s_waitcnt vmcnt(10)
	v_fma_f64 v[15:16], v[15:16], v[29:30], -v[41:42]
	v_fma_f64 v[4:5], v[17:18], v[29:30], v[4:5]
	s_waitcnt vmcnt(8) lgkmcnt(0)
	v_mul_f64 v[29:30], v[25:26], v[31:32]
	s_waitcnt vmcnt(6)
	v_fma_f64 v[19:20], v[19:20], v[33:34], -v[43:44]
	v_mul_f64 v[17:18], v[23:24], v[31:32]
	v_fma_f64 v[21:22], v[21:22], v[33:34], v[27:28]
	v_add_f64 v[15:16], v[15:16], 0
	v_add_f64 v[4:5], v[4:5], 0
	s_waitcnt vmcnt(4)
	v_fma_f64 v[23:24], v[23:24], v[35:36], -v[29:30]
	v_fma_f64 v[17:18], v[25:26], v[35:36], v[17:18]
	v_add_f64 v[15:16], v[15:16], v[19:20]
	v_add_f64 v[4:5], v[4:5], v[21:22]
	;; [unrolled: 1-line block ×4, first 2 shown]
	s_waitcnt vmcnt(2)
	v_add_f64 v[15:16], v[37:38], -v[15:16]
	s_waitcnt vmcnt(0)
	v_add_f64 v[4:5], v[39:40], -v[4:5]
	buffer_store_dword v15, off, s[0:3], 0
	buffer_store_dword v16, off, s[0:3], 0 offset:4
	buffer_store_dword v4, off, s[0:3], 0 offset:8
	;; [unrolled: 1-line block ×3, first 2 shown]
	s_cbranch_vccz .LBB67_44
; %bb.38:
	global_load_dword v3, v3, s[10:11] offset:8
	s_load_dwordx2 s[4:5], s[4:5], 0x4
	s_waitcnt lgkmcnt(0)
	s_lshr_b32 s4, s4, 16
	v_mul_u32_u24_e32 v4, s5, v1
	s_mul_i32 s4, s4, s5
	v_mul_u32_u24_e32 v0, s4, v0
	v_add3_u32 v0, v0, v4, v2
	v_lshl_add_u32 v0, v0, 4, 0x88
	s_waitcnt vmcnt(0)
	v_add_nc_u32_e32 v1, -1, v3
	v_cmp_ne_u32_e32 vcc_lo, 2, v1
	s_cbranch_vccz .LBB67_40
; %bb.39:
	v_lshlrev_b32_e32 v1, 4, v1
	v_mov_b32_e32 v5, s13
	v_mov_b32_e32 v6, v1
	s_clause 0x7
	buffer_load_dword v1, v5, s[0:3], 0 offen
	buffer_load_dword v2, v5, s[0:3], 0 offen offset:4
	buffer_load_dword v3, v5, s[0:3], 0 offen offset:8
	;; [unrolled: 1-line block ×3, first 2 shown]
	buffer_load_dword v15, v6, s[0:3], 0 offen
	buffer_load_dword v16, v6, s[0:3], 0 offen offset:4
	buffer_load_dword v17, v6, s[0:3], 0 offen offset:8
	;; [unrolled: 1-line block ×3, first 2 shown]
	s_waitcnt vmcnt(4)
	ds_write2_b64 v0, v[1:2], v[3:4] offset1:1
	s_waitcnt vmcnt(3)
	buffer_store_dword v15, v5, s[0:3], 0 offen
	s_waitcnt vmcnt(2)
	buffer_store_dword v16, v5, s[0:3], 0 offen offset:4
	s_waitcnt vmcnt(1)
	buffer_store_dword v17, v5, s[0:3], 0 offen offset:8
	s_waitcnt vmcnt(0)
	buffer_store_dword v18, v5, s[0:3], 0 offen offset:12
	buffer_store_dword v4, v6, s[0:3], 0 offen offset:12
	buffer_store_dword v3, v6, s[0:3], 0 offen offset:8
	;; [unrolled: 1-line block ×3, first 2 shown]
	buffer_store_dword v1, v6, s[0:3], 0 offen
.LBB67_40:
	v_mov_b32_e32 v1, 0
	global_load_dword v2, v1, s[10:11] offset:4
	s_waitcnt vmcnt(0)
	v_add_nc_u32_e32 v2, -1, v2
	v_cmp_eq_u32_e32 vcc_lo, 1, v2
	s_cbranch_vccnz .LBB67_42
; %bb.41:
	v_lshlrev_b32_e32 v2, 4, v2
	v_mov_b32_e32 v6, s16
	v_mov_b32_e32 v15, v2
	s_clause 0x7
	buffer_load_dword v2, v6, s[0:3], 0 offen
	buffer_load_dword v3, v6, s[0:3], 0 offen offset:4
	buffer_load_dword v4, v6, s[0:3], 0 offen offset:8
	buffer_load_dword v5, v6, s[0:3], 0 offen offset:12
	buffer_load_dword v16, v15, s[0:3], 0 offen
	buffer_load_dword v17, v15, s[0:3], 0 offen offset:4
	buffer_load_dword v18, v15, s[0:3], 0 offen offset:8
	;; [unrolled: 1-line block ×3, first 2 shown]
	s_waitcnt vmcnt(4)
	ds_write2_b64 v0, v[2:3], v[4:5] offset1:1
	s_waitcnt vmcnt(3)
	buffer_store_dword v16, v6, s[0:3], 0 offen
	s_waitcnt vmcnt(2)
	buffer_store_dword v17, v6, s[0:3], 0 offen offset:4
	s_waitcnt vmcnt(1)
	buffer_store_dword v18, v6, s[0:3], 0 offen offset:8
	;; [unrolled: 2-line block ×3, first 2 shown]
	buffer_store_dword v5, v15, s[0:3], 0 offen offset:12
	buffer_store_dword v4, v15, s[0:3], 0 offen offset:8
	;; [unrolled: 1-line block ×3, first 2 shown]
	buffer_store_dword v2, v15, s[0:3], 0 offen
.LBB67_42:
	global_load_dword v1, v1, s[10:11]
	s_waitcnt vmcnt(0)
	v_add_nc_u32_e32 v1, -1, v1
	v_cmp_eq_u32_e32 vcc_lo, 0, v1
	s_cbranch_vccnz .LBB67_44
; %bb.43:
	v_lshlrev_b32_e32 v1, 4, v1
	v_mov_b32_e32 v5, v1
	s_clause 0x7
	buffer_load_dword v1, off, s[0:3], 0
	buffer_load_dword v2, off, s[0:3], 0 offset:4
	buffer_load_dword v3, off, s[0:3], 0 offset:8
	;; [unrolled: 1-line block ×3, first 2 shown]
	buffer_load_dword v6, v5, s[0:3], 0 offen
	buffer_load_dword v15, v5, s[0:3], 0 offen offset:4
	buffer_load_dword v16, v5, s[0:3], 0 offen offset:8
	buffer_load_dword v17, v5, s[0:3], 0 offen offset:12
	s_waitcnt vmcnt(4)
	ds_write2_b64 v0, v[1:2], v[3:4] offset1:1
	s_waitcnt vmcnt(3)
	buffer_store_dword v6, off, s[0:3], 0
	s_waitcnt vmcnt(2)
	buffer_store_dword v15, off, s[0:3], 0 offset:4
	s_waitcnt vmcnt(1)
	buffer_store_dword v16, off, s[0:3], 0 offset:8
	;; [unrolled: 2-line block ×3, first 2 shown]
	buffer_store_dword v4, v5, s[0:3], 0 offen offset:12
	buffer_store_dword v3, v5, s[0:3], 0 offen offset:8
	;; [unrolled: 1-line block ×3, first 2 shown]
	buffer_store_dword v1, v5, s[0:3], 0 offen
.LBB67_44:
	s_clause 0x3
	buffer_load_dword v0, off, s[0:3], 0
	buffer_load_dword v1, off, s[0:3], 0 offset:4
	buffer_load_dword v2, off, s[0:3], 0 offset:8
	;; [unrolled: 1-line block ×3, first 2 shown]
	v_mov_b32_e32 v4, s16
	s_waitcnt vmcnt(0)
	flat_store_dwordx4 v[7:8], v[0:3]
	s_clause 0x3
	buffer_load_dword v0, v4, s[0:3], 0 offen
	buffer_load_dword v1, v4, s[0:3], 0 offen offset:4
	buffer_load_dword v2, v4, s[0:3], 0 offen offset:8
	buffer_load_dword v3, v4, s[0:3], 0 offen offset:12
	v_mov_b32_e32 v4, s13
	s_waitcnt vmcnt(0)
	flat_store_dwordx4 v[9:10], v[0:3]
	s_clause 0x3
	buffer_load_dword v0, v4, s[0:3], 0 offen
	buffer_load_dword v1, v4, s[0:3], 0 offen offset:4
	buffer_load_dword v2, v4, s[0:3], 0 offen offset:8
	buffer_load_dword v3, v4, s[0:3], 0 offen offset:12
	;; [unrolled: 8-line block ×3, first 2 shown]
	s_waitcnt vmcnt(0)
	flat_store_dwordx4 v[13:14], v[0:3]
	s_endpgm
	.section	.rodata,"a",@progbits
	.p2align	6, 0x0
	.amdhsa_kernel _ZN9rocsolver6v33100L18getri_kernel_smallILi4E19rocblas_complex_numIdEPKPS3_EEvT1_iilPiilS8_bb
		.amdhsa_group_segment_fixed_size 1160
		.amdhsa_private_segment_fixed_size 80
		.amdhsa_kernarg_size 60
		.amdhsa_user_sgpr_count 8
		.amdhsa_user_sgpr_private_segment_buffer 1
		.amdhsa_user_sgpr_dispatch_ptr 1
		.amdhsa_user_sgpr_queue_ptr 0
		.amdhsa_user_sgpr_kernarg_segment_ptr 1
		.amdhsa_user_sgpr_dispatch_id 0
		.amdhsa_user_sgpr_flat_scratch_init 0
		.amdhsa_user_sgpr_private_segment_size 0
		.amdhsa_wavefront_size32 1
		.amdhsa_uses_dynamic_stack 0
		.amdhsa_system_sgpr_private_segment_wavefront_offset 1
		.amdhsa_system_sgpr_workgroup_id_x 1
		.amdhsa_system_sgpr_workgroup_id_y 0
		.amdhsa_system_sgpr_workgroup_id_z 0
		.amdhsa_system_sgpr_workgroup_info 0
		.amdhsa_system_vgpr_workitem_id 2
		.amdhsa_next_free_vgpr 45
		.amdhsa_next_free_sgpr 22
		.amdhsa_reserve_vcc 1
		.amdhsa_reserve_flat_scratch 0
		.amdhsa_float_round_mode_32 0
		.amdhsa_float_round_mode_16_64 0
		.amdhsa_float_denorm_mode_32 3
		.amdhsa_float_denorm_mode_16_64 3
		.amdhsa_dx10_clamp 1
		.amdhsa_ieee_mode 1
		.amdhsa_fp16_overflow 0
		.amdhsa_workgroup_processor_mode 1
		.amdhsa_memory_ordered 1
		.amdhsa_forward_progress 1
		.amdhsa_shared_vgpr_count 0
		.amdhsa_exception_fp_ieee_invalid_op 0
		.amdhsa_exception_fp_denorm_src 0
		.amdhsa_exception_fp_ieee_div_zero 0
		.amdhsa_exception_fp_ieee_overflow 0
		.amdhsa_exception_fp_ieee_underflow 0
		.amdhsa_exception_fp_ieee_inexact 0
		.amdhsa_exception_int_div_zero 0
	.end_amdhsa_kernel
	.section	.text._ZN9rocsolver6v33100L18getri_kernel_smallILi4E19rocblas_complex_numIdEPKPS3_EEvT1_iilPiilS8_bb,"axG",@progbits,_ZN9rocsolver6v33100L18getri_kernel_smallILi4E19rocblas_complex_numIdEPKPS3_EEvT1_iilPiilS8_bb,comdat
.Lfunc_end67:
	.size	_ZN9rocsolver6v33100L18getri_kernel_smallILi4E19rocblas_complex_numIdEPKPS3_EEvT1_iilPiilS8_bb, .Lfunc_end67-_ZN9rocsolver6v33100L18getri_kernel_smallILi4E19rocblas_complex_numIdEPKPS3_EEvT1_iilPiilS8_bb
                                        ; -- End function
	.set _ZN9rocsolver6v33100L18getri_kernel_smallILi4E19rocblas_complex_numIdEPKPS3_EEvT1_iilPiilS8_bb.num_vgpr, 45
	.set _ZN9rocsolver6v33100L18getri_kernel_smallILi4E19rocblas_complex_numIdEPKPS3_EEvT1_iilPiilS8_bb.num_agpr, 0
	.set _ZN9rocsolver6v33100L18getri_kernel_smallILi4E19rocblas_complex_numIdEPKPS3_EEvT1_iilPiilS8_bb.numbered_sgpr, 22
	.set _ZN9rocsolver6v33100L18getri_kernel_smallILi4E19rocblas_complex_numIdEPKPS3_EEvT1_iilPiilS8_bb.num_named_barrier, 0
	.set _ZN9rocsolver6v33100L18getri_kernel_smallILi4E19rocblas_complex_numIdEPKPS3_EEvT1_iilPiilS8_bb.private_seg_size, 80
	.set _ZN9rocsolver6v33100L18getri_kernel_smallILi4E19rocblas_complex_numIdEPKPS3_EEvT1_iilPiilS8_bb.uses_vcc, 1
	.set _ZN9rocsolver6v33100L18getri_kernel_smallILi4E19rocblas_complex_numIdEPKPS3_EEvT1_iilPiilS8_bb.uses_flat_scratch, 0
	.set _ZN9rocsolver6v33100L18getri_kernel_smallILi4E19rocblas_complex_numIdEPKPS3_EEvT1_iilPiilS8_bb.has_dyn_sized_stack, 0
	.set _ZN9rocsolver6v33100L18getri_kernel_smallILi4E19rocblas_complex_numIdEPKPS3_EEvT1_iilPiilS8_bb.has_recursion, 0
	.set _ZN9rocsolver6v33100L18getri_kernel_smallILi4E19rocblas_complex_numIdEPKPS3_EEvT1_iilPiilS8_bb.has_indirect_call, 0
	.section	.AMDGPU.csdata,"",@progbits
; Kernel info:
; codeLenInByte = 4544
; TotalNumSgprs: 24
; NumVgprs: 45
; ScratchSize: 80
; MemoryBound: 0
; FloatMode: 240
; IeeeMode: 1
; LDSByteSize: 1160 bytes/workgroup (compile time only)
; SGPRBlocks: 0
; VGPRBlocks: 5
; NumSGPRsForWavesPerEU: 24
; NumVGPRsForWavesPerEU: 45
; Occupancy: 16
; WaveLimiterHint : 1
; COMPUTE_PGM_RSRC2:SCRATCH_EN: 1
; COMPUTE_PGM_RSRC2:USER_SGPR: 8
; COMPUTE_PGM_RSRC2:TRAP_HANDLER: 0
; COMPUTE_PGM_RSRC2:TGID_X_EN: 1
; COMPUTE_PGM_RSRC2:TGID_Y_EN: 0
; COMPUTE_PGM_RSRC2:TGID_Z_EN: 0
; COMPUTE_PGM_RSRC2:TIDIG_COMP_CNT: 2
	.section	.text._ZN9rocsolver6v33100L18getri_kernel_smallILi5E19rocblas_complex_numIdEPKPS3_EEvT1_iilPiilS8_bb,"axG",@progbits,_ZN9rocsolver6v33100L18getri_kernel_smallILi5E19rocblas_complex_numIdEPKPS3_EEvT1_iilPiilS8_bb,comdat
	.globl	_ZN9rocsolver6v33100L18getri_kernel_smallILi5E19rocblas_complex_numIdEPKPS3_EEvT1_iilPiilS8_bb ; -- Begin function _ZN9rocsolver6v33100L18getri_kernel_smallILi5E19rocblas_complex_numIdEPKPS3_EEvT1_iilPiilS8_bb
	.p2align	8
	.type	_ZN9rocsolver6v33100L18getri_kernel_smallILi5E19rocblas_complex_numIdEPKPS3_EEvT1_iilPiilS8_bb,@function
_ZN9rocsolver6v33100L18getri_kernel_smallILi5E19rocblas_complex_numIdEPKPS3_EEvT1_iilPiilS8_bb: ; @_ZN9rocsolver6v33100L18getri_kernel_smallILi5E19rocblas_complex_numIdEPKPS3_EEvT1_iilPiilS8_bb
; %bb.0:
	s_add_u32 s0, s0, s9
	s_addc_u32 s1, s1, 0
	s_mov_b32 s9, exec_lo
	v_cmpx_gt_u32_e32 5, v0
	s_cbranch_execz .LBB68_34
; %bb.1:
	s_clause 0x2
	s_load_dword s19, s[6:7], 0x38
	s_load_dwordx2 s[10:11], s[6:7], 0x0
	s_load_dwordx4 s[12:15], s[6:7], 0x28
	s_waitcnt lgkmcnt(0)
	s_bitcmp1_b32 s19, 8
	s_cselect_b32 s18, -1, 0
	s_ashr_i32 s9, s8, 31
	s_lshl_b64 s[16:17], s[8:9], 3
	s_add_u32 s10, s10, s16
	s_addc_u32 s11, s11, s17
	s_load_dwordx2 s[16:17], s[10:11], 0x0
	s_bfe_u32 s10, s19, 0x10008
	s_cmp_eq_u32 s10, 0
                                        ; implicit-def: $sgpr10_sgpr11
	s_cbranch_scc1 .LBB68_3
; %bb.2:
	s_clause 0x1
	s_load_dword s10, s[6:7], 0x20
	s_load_dwordx2 s[20:21], s[6:7], 0x18
	s_mul_i32 s11, s12, s9
	s_mul_hi_u32 s19, s12, s8
	s_mul_i32 s13, s13, s8
	s_add_i32 s11, s19, s11
	s_mul_i32 s12, s12, s8
	s_add_i32 s13, s11, s13
	s_lshl_b64 s[12:13], s[12:13], 2
	s_waitcnt lgkmcnt(0)
	s_ashr_i32 s11, s10, 31
	s_add_u32 s12, s20, s12
	s_addc_u32 s13, s21, s13
	s_lshl_b64 s[10:11], s[10:11], 2
	s_add_u32 s10, s12, s10
	s_addc_u32 s11, s13, s11
.LBB68_3:
	s_clause 0x1
	s_load_dwordx2 s[12:13], s[6:7], 0x8
	s_load_dword s19, s[6:7], 0x38
	v_lshlrev_b32_e32 v23, 4, v0
	s_waitcnt lgkmcnt(0)
	s_ashr_i32 s7, s12, 31
	s_mov_b32 s6, s12
	v_add3_u32 v13, s13, s13, v0
	s_lshl_b64 s[6:7], s[6:7], 4
	s_add_u32 s12, s16, s6
	s_addc_u32 s16, s17, s7
	v_add_co_u32 v7, s6, s12, v23
	v_add_co_ci_u32_e64 v8, null, s16, 0, s6
	s_mov_b32 s6, s13
	s_ashr_i32 s7, s13, 31
	v_ashrrev_i32_e32 v14, 31, v13
	flat_load_dwordx4 v[3:6], v[7:8]
	s_lshl_b64 s[6:7], s[6:7], 4
	v_add_nc_u32_e32 v15, s13, v13
	v_add_co_u32 v9, vcc_lo, v7, s6
	v_add_co_ci_u32_e64 v10, null, s7, v8, vcc_lo
	v_lshlrev_b64 v[11:12], 4, v[13:14]
	v_ashrrev_i32_e32 v16, 31, v15
	s_mov_b32 s7, -1
	s_mov_b32 s17, 16
	s_bitcmp0_b32 s19, 0
	s_waitcnt vmcnt(0) lgkmcnt(0)
	buffer_store_dword v6, off, s[0:3], 0 offset:12
	buffer_store_dword v5, off, s[0:3], 0 offset:8
	;; [unrolled: 1-line block ×3, first 2 shown]
	buffer_store_dword v3, off, s[0:3], 0
	flat_load_dwordx4 v[3:6], v[9:10]
	v_add_co_u32 v11, vcc_lo, s12, v11
	v_add_co_ci_u32_e64 v12, null, s16, v12, vcc_lo
	v_lshlrev_b64 v[13:14], 4, v[15:16]
	v_add_nc_u32_e32 v15, s13, v15
	s_mov_b32 s13, 48
	s_waitcnt vmcnt(0) lgkmcnt(0)
	buffer_store_dword v6, off, s[0:3], 0 offset:28
	buffer_store_dword v5, off, s[0:3], 0 offset:24
	;; [unrolled: 1-line block ×4, first 2 shown]
	flat_load_dwordx4 v[3:6], v[11:12]
	v_add_co_u32 v13, vcc_lo, s12, v13
	v_add_co_ci_u32_e64 v14, null, s16, v14, vcc_lo
	v_ashrrev_i32_e32 v16, 31, v15
	s_waitcnt vmcnt(0) lgkmcnt(0)
	buffer_store_dword v6, off, s[0:3], 0 offset:44
	buffer_store_dword v5, off, s[0:3], 0 offset:40
	;; [unrolled: 1-line block ×4, first 2 shown]
	flat_load_dwordx4 v[3:6], v[13:14]
	v_lshlrev_b64 v[15:16], 4, v[15:16]
	s_waitcnt vmcnt(0) lgkmcnt(0)
	buffer_store_dword v6, off, s[0:3], 0 offset:60
	buffer_store_dword v5, off, s[0:3], 0 offset:56
	;; [unrolled: 1-line block ×4, first 2 shown]
	v_add_co_u32 v15, vcc_lo, s12, v15
	v_add_co_ci_u32_e64 v16, null, s16, v16, vcc_lo
	s_mov_b32 s16, 32
	s_mov_b32 s12, 64
	flat_load_dwordx4 v[3:6], v[15:16]
	s_waitcnt vmcnt(0) lgkmcnt(0)
	buffer_store_dword v6, off, s[0:3], 0 offset:76
	buffer_store_dword v5, off, s[0:3], 0 offset:72
	;; [unrolled: 1-line block ×4, first 2 shown]
	s_cbranch_scc1 .LBB68_32
; %bb.4:
	v_cmp_eq_u32_e64 s6, 0, v0
	s_and_saveexec_b32 s7, s6
; %bb.5:
	v_mov_b32_e32 v3, 0
	ds_write_b32 v3, v3 offset:160
; %bb.6:
	s_or_b32 exec_lo, exec_lo, s7
	v_lshl_add_u32 v24, v0, 4, 0
	s_waitcnt lgkmcnt(0)
	s_waitcnt_vscnt null, 0x0
	s_barrier
	buffer_gl0_inv
	s_clause 0x3
	buffer_load_dword v3, v24, s[0:3], 0 offen
	buffer_load_dword v4, v24, s[0:3], 0 offen offset:4
	buffer_load_dword v5, v24, s[0:3], 0 offen offset:8
	;; [unrolled: 1-line block ×3, first 2 shown]
	s_waitcnt vmcnt(2)
	v_cmp_eq_f64_e32 vcc_lo, 0, v[3:4]
	s_waitcnt vmcnt(0)
	v_cmp_eq_f64_e64 s7, 0, v[5:6]
	s_and_b32 s7, vcc_lo, s7
	s_and_saveexec_b32 s19, s7
	s_cbranch_execz .LBB68_10
; %bb.7:
	v_mov_b32_e32 v3, 0
	s_mov_b32 s20, 0
	ds_read_b32 v4, v3 offset:160
	s_waitcnt lgkmcnt(0)
	v_readfirstlane_b32 s7, v4
	v_add_nc_u32_e32 v4, 1, v0
	s_cmp_eq_u32 s7, 0
	v_cmp_gt_i32_e32 vcc_lo, s7, v4
	s_cselect_b32 s21, -1, 0
	s_or_b32 s21, s21, vcc_lo
	s_and_b32 exec_lo, exec_lo, s21
	s_cbranch_execz .LBB68_10
; %bb.8:
	v_mov_b32_e32 v5, s7
.LBB68_9:                               ; =>This Inner Loop Header: Depth=1
	ds_cmpst_rtn_b32 v5, v3, v5, v4 offset:160
	s_waitcnt lgkmcnt(0)
	v_cmp_ne_u32_e32 vcc_lo, 0, v5
	v_cmp_le_i32_e64 s7, v5, v4
	s_and_b32 s7, vcc_lo, s7
	s_and_b32 s7, exec_lo, s7
	s_or_b32 s20, s7, s20
	s_andn2_b32 exec_lo, exec_lo, s20
	s_cbranch_execnz .LBB68_9
.LBB68_10:
	s_or_b32 exec_lo, exec_lo, s19
	v_mov_b32_e32 v3, 0
	s_barrier
	buffer_gl0_inv
	ds_read_b32 v4, v3 offset:160
	s_and_saveexec_b32 s7, s6
	s_cbranch_execz .LBB68_12
; %bb.11:
	s_lshl_b64 s[20:21], s[8:9], 2
	s_add_u32 s20, s14, s20
	s_addc_u32 s21, s15, s21
	s_waitcnt lgkmcnt(0)
	global_store_dword v3, v4, s[20:21]
.LBB68_12:
	s_or_b32 exec_lo, exec_lo, s7
	s_waitcnt lgkmcnt(0)
	v_cmp_ne_u32_e32 vcc_lo, 0, v4
	s_mov_b32 s7, 0
	s_cbranch_vccnz .LBB68_32
; %bb.13:
	s_clause 0x3
	buffer_load_dword v19, v24, s[0:3], 0 offen
	buffer_load_dword v20, v24, s[0:3], 0 offen offset:4
	buffer_load_dword v21, v24, s[0:3], 0 offen offset:8
	;; [unrolled: 1-line block ×3, first 2 shown]
                                        ; implicit-def: $vgpr17_vgpr18
                                        ; implicit-def: $vgpr5_vgpr6
	s_waitcnt vmcnt(0)
	v_cmp_ngt_f64_e64 s7, |v[19:20]|, |v[21:22]|
	s_and_saveexec_b32 s19, s7
	s_xor_b32 s7, exec_lo, s19
	s_cbranch_execz .LBB68_15
; %bb.14:
	v_div_scale_f64 v[3:4], null, v[21:22], v[21:22], v[19:20]
	v_div_scale_f64 v[25:26], vcc_lo, v[19:20], v[21:22], v[19:20]
	v_rcp_f64_e32 v[5:6], v[3:4]
	v_fma_f64 v[17:18], -v[3:4], v[5:6], 1.0
	v_fma_f64 v[5:6], v[5:6], v[17:18], v[5:6]
	v_fma_f64 v[17:18], -v[3:4], v[5:6], 1.0
	v_fma_f64 v[5:6], v[5:6], v[17:18], v[5:6]
	v_mul_f64 v[17:18], v[25:26], v[5:6]
	v_fma_f64 v[3:4], -v[3:4], v[17:18], v[25:26]
	v_div_fmas_f64 v[3:4], v[3:4], v[5:6], v[17:18]
	v_div_fixup_f64 v[3:4], v[3:4], v[21:22], v[19:20]
	v_fma_f64 v[5:6], v[19:20], v[3:4], v[21:22]
	v_div_scale_f64 v[17:18], null, v[5:6], v[5:6], 1.0
	v_div_scale_f64 v[25:26], vcc_lo, 1.0, v[5:6], 1.0
	v_rcp_f64_e32 v[19:20], v[17:18]
	v_fma_f64 v[21:22], -v[17:18], v[19:20], 1.0
	v_fma_f64 v[19:20], v[19:20], v[21:22], v[19:20]
	v_fma_f64 v[21:22], -v[17:18], v[19:20], 1.0
	v_fma_f64 v[19:20], v[19:20], v[21:22], v[19:20]
	v_mul_f64 v[21:22], v[25:26], v[19:20]
	v_fma_f64 v[17:18], -v[17:18], v[21:22], v[25:26]
	v_div_fmas_f64 v[17:18], v[17:18], v[19:20], v[21:22]
                                        ; implicit-def: $vgpr19_vgpr20
                                        ; implicit-def: $vgpr21_vgpr22
	v_div_fixup_f64 v[5:6], v[17:18], v[5:6], 1.0
	v_mul_f64 v[17:18], v[3:4], v[5:6]
	v_xor_b32_e32 v6, 0x80000000, v6
	v_xor_b32_e32 v4, 0x80000000, v18
	v_mov_b32_e32 v3, v17
.LBB68_15:
	s_andn2_saveexec_b32 s7, s7
	s_cbranch_execz .LBB68_17
; %bb.16:
	v_div_scale_f64 v[3:4], null, v[19:20], v[19:20], v[21:22]
	v_div_scale_f64 v[25:26], vcc_lo, v[21:22], v[19:20], v[21:22]
	v_rcp_f64_e32 v[5:6], v[3:4]
	v_fma_f64 v[17:18], -v[3:4], v[5:6], 1.0
	v_fma_f64 v[5:6], v[5:6], v[17:18], v[5:6]
	v_fma_f64 v[17:18], -v[3:4], v[5:6], 1.0
	v_fma_f64 v[5:6], v[5:6], v[17:18], v[5:6]
	v_mul_f64 v[17:18], v[25:26], v[5:6]
	v_fma_f64 v[3:4], -v[3:4], v[17:18], v[25:26]
	v_div_fmas_f64 v[3:4], v[3:4], v[5:6], v[17:18]
	v_div_fixup_f64 v[3:4], v[3:4], v[19:20], v[21:22]
	v_fma_f64 v[5:6], v[21:22], v[3:4], v[19:20]
	v_div_scale_f64 v[17:18], null, v[5:6], v[5:6], 1.0
	v_rcp_f64_e32 v[19:20], v[17:18]
	v_fma_f64 v[21:22], -v[17:18], v[19:20], 1.0
	v_fma_f64 v[19:20], v[19:20], v[21:22], v[19:20]
	v_fma_f64 v[21:22], -v[17:18], v[19:20], 1.0
	v_fma_f64 v[19:20], v[19:20], v[21:22], v[19:20]
	v_div_scale_f64 v[21:22], vcc_lo, 1.0, v[5:6], 1.0
	v_mul_f64 v[25:26], v[21:22], v[19:20]
	v_fma_f64 v[17:18], -v[17:18], v[25:26], v[21:22]
	v_div_fmas_f64 v[17:18], v[17:18], v[19:20], v[25:26]
	v_div_fixup_f64 v[17:18], v[17:18], v[5:6], 1.0
	v_mul_f64 v[5:6], v[3:4], -v[17:18]
	v_xor_b32_e32 v4, 0x80000000, v18
	v_mov_b32_e32 v3, v17
.LBB68_17:
	s_or_b32 exec_lo, exec_lo, s7
	v_mov_b32_e32 v22, s17
	buffer_store_dword v18, v24, s[0:3], 0 offen offset:4
	buffer_store_dword v17, v24, s[0:3], 0 offen
	buffer_store_dword v6, v24, s[0:3], 0 offen offset:12
	buffer_store_dword v5, v24, s[0:3], 0 offen offset:8
	v_xor_b32_e32 v6, 0x80000000, v6
	v_add_nc_u32_e32 v17, 0x50, v23
	s_clause 0x3
	buffer_load_dword v21, v22, s[0:3], 0 offen offset:12
	buffer_load_dword v20, v22, s[0:3], 0 offen offset:8
	;; [unrolled: 1-line block ×3, first 2 shown]
	buffer_load_dword v18, v22, s[0:3], 0 offen
	ds_write_b128 v23, v[3:6]
	s_waitcnt vmcnt(0)
	ds_write_b128 v23, v[18:21] offset:80
	s_waitcnt lgkmcnt(0)
	s_waitcnt_vscnt null, 0x0
	s_barrier
	buffer_gl0_inv
	s_and_saveexec_b32 s7, s6
	s_cbranch_execz .LBB68_19
; %bb.18:
	s_clause 0x3
	buffer_load_dword v25, v24, s[0:3], 0 offen offset:8
	buffer_load_dword v26, v24, s[0:3], 0 offen offset:12
	buffer_load_dword v27, v24, s[0:3], 0 offen
	buffer_load_dword v28, v24, s[0:3], 0 offen offset:4
	ds_read_b128 v[3:6], v17
	v_mov_b32_e32 v18, 0
	ds_read_b128 v[18:21], v18 offset:16
	s_waitcnt vmcnt(2) lgkmcnt(1)
	v_mul_f64 v[29:30], v[3:4], v[25:26]
	v_mul_f64 v[25:26], v[5:6], v[25:26]
	s_waitcnt vmcnt(0)
	v_fma_f64 v[5:6], v[5:6], v[27:28], v[29:30]
	v_fma_f64 v[3:4], v[3:4], v[27:28], -v[25:26]
	v_add_f64 v[5:6], v[5:6], 0
	v_add_f64 v[3:4], v[3:4], 0
	s_waitcnt lgkmcnt(0)
	v_mul_f64 v[25:26], v[5:6], v[20:21]
	v_mul_f64 v[20:21], v[3:4], v[20:21]
	v_fma_f64 v[3:4], v[3:4], v[18:19], -v[25:26]
	v_fma_f64 v[5:6], v[5:6], v[18:19], v[20:21]
	buffer_store_dword v3, off, s[0:3], 0 offset:16
	buffer_store_dword v4, off, s[0:3], 0 offset:20
	;; [unrolled: 1-line block ×4, first 2 shown]
.LBB68_19:
	s_or_b32 exec_lo, exec_lo, s7
	v_mov_b32_e32 v6, s16
	s_waitcnt_vscnt null, 0x0
	s_barrier
	buffer_gl0_inv
	s_mov_b32 s7, exec_lo
	s_clause 0x3
	buffer_load_dword v3, v6, s[0:3], 0 offen
	buffer_load_dword v4, v6, s[0:3], 0 offen offset:4
	buffer_load_dword v5, v6, s[0:3], 0 offen offset:8
	;; [unrolled: 1-line block ×3, first 2 shown]
	s_waitcnt vmcnt(0)
	ds_write_b128 v17, v[3:6]
	s_waitcnt lgkmcnt(0)
	s_barrier
	buffer_gl0_inv
	v_cmpx_gt_u32_e32 2, v0
	s_cbranch_execz .LBB68_23
; %bb.20:
	s_clause 0x3
	buffer_load_dword v18, v24, s[0:3], 0 offen offset:8
	buffer_load_dword v19, v24, s[0:3], 0 offen offset:12
	buffer_load_dword v20, v24, s[0:3], 0 offen
	buffer_load_dword v21, v24, s[0:3], 0 offen offset:4
	ds_read_b128 v[3:6], v17
	s_waitcnt vmcnt(2) lgkmcnt(0)
	v_mul_f64 v[24:25], v[5:6], v[18:19]
	v_mul_f64 v[18:19], v[3:4], v[18:19]
	s_waitcnt vmcnt(0)
	v_fma_f64 v[3:4], v[3:4], v[20:21], -v[24:25]
	v_fma_f64 v[5:6], v[5:6], v[20:21], v[18:19]
	v_add_f64 v[3:4], v[3:4], 0
	v_add_f64 v[5:6], v[5:6], 0
	s_and_saveexec_b32 s19, s6
	s_cbranch_execz .LBB68_22
; %bb.21:
	s_clause 0x3
	buffer_load_dword v24, off, s[0:3], 0 offset:24
	buffer_load_dword v25, off, s[0:3], 0 offset:28
	buffer_load_dword v26, off, s[0:3], 0 offset:16
	buffer_load_dword v27, off, s[0:3], 0 offset:20
	v_mov_b32_e32 v18, 0
	ds_read_b128 v[18:21], v18 offset:96
	s_waitcnt vmcnt(2) lgkmcnt(0)
	v_mul_f64 v[28:29], v[18:19], v[24:25]
	v_mul_f64 v[24:25], v[20:21], v[24:25]
	s_waitcnt vmcnt(0)
	v_fma_f64 v[20:21], v[20:21], v[26:27], v[28:29]
	v_fma_f64 v[18:19], v[18:19], v[26:27], -v[24:25]
	v_add_f64 v[5:6], v[5:6], v[20:21]
	v_add_f64 v[3:4], v[3:4], v[18:19]
.LBB68_22:
	s_or_b32 exec_lo, exec_lo, s19
	v_mov_b32_e32 v18, 0
	ds_read_b128 v[18:21], v18 offset:32
	s_waitcnt lgkmcnt(0)
	v_mul_f64 v[24:25], v[5:6], v[20:21]
	v_mul_f64 v[20:21], v[3:4], v[20:21]
	v_fma_f64 v[3:4], v[3:4], v[18:19], -v[24:25]
	v_fma_f64 v[5:6], v[5:6], v[18:19], v[20:21]
	buffer_store_dword v4, off, s[0:3], 0 offset:36
	buffer_store_dword v3, off, s[0:3], 0 offset:32
	;; [unrolled: 1-line block ×4, first 2 shown]
.LBB68_23:
	s_or_b32 exec_lo, exec_lo, s7
	v_mov_b32_e32 v6, s13
	s_waitcnt_vscnt null, 0x0
	s_barrier
	buffer_gl0_inv
	v_add_nc_u32_e32 v18, -1, v0
	s_clause 0x3
	buffer_load_dword v3, v6, s[0:3], 0 offen
	buffer_load_dword v4, v6, s[0:3], 0 offen offset:4
	buffer_load_dword v5, v6, s[0:3], 0 offen offset:8
	;; [unrolled: 1-line block ×3, first 2 shown]
	s_mov_b32 s6, exec_lo
	s_waitcnt vmcnt(0)
	ds_write_b128 v17, v[3:6]
	s_waitcnt lgkmcnt(0)
	s_barrier
	buffer_gl0_inv
	v_cmpx_gt_u32_e32 3, v0
	s_cbranch_execz .LBB68_27
; %bb.24:
	v_mov_b32_e32 v3, 0
	v_mov_b32_e32 v5, 0
	v_add_nc_u32_e32 v19, -1, v0
	v_add_nc_u32_e32 v20, 0x50, v23
	v_mov_b32_e32 v4, 0
	v_mov_b32_e32 v6, 0
	;; [unrolled: 1-line block ×3, first 2 shown]
	s_mov_b32 s7, 0
	.p2align	6
.LBB68_25:                              ; =>This Inner Loop Header: Depth=1
	s_clause 0x3
	buffer_load_dword v28, v21, s[0:3], 0 offen offset:8
	buffer_load_dword v29, v21, s[0:3], 0 offen offset:12
	buffer_load_dword v30, v21, s[0:3], 0 offen
	buffer_load_dword v31, v21, s[0:3], 0 offen offset:4
	ds_read_b128 v[24:27], v20
	v_add_nc_u32_e32 v19, 1, v19
	v_add_nc_u32_e32 v20, 16, v20
	;; [unrolled: 1-line block ×3, first 2 shown]
	v_cmp_lt_u32_e32 vcc_lo, 1, v19
	s_or_b32 s7, vcc_lo, s7
	s_waitcnt vmcnt(2) lgkmcnt(0)
	v_mul_f64 v[32:33], v[26:27], v[28:29]
	v_mul_f64 v[28:29], v[24:25], v[28:29]
	s_waitcnt vmcnt(0)
	v_fma_f64 v[24:25], v[24:25], v[30:31], -v[32:33]
	v_fma_f64 v[26:27], v[26:27], v[30:31], v[28:29]
	v_add_f64 v[5:6], v[5:6], v[24:25]
	v_add_f64 v[3:4], v[3:4], v[26:27]
	s_andn2_b32 exec_lo, exec_lo, s7
	s_cbranch_execnz .LBB68_25
; %bb.26:
	s_or_b32 exec_lo, exec_lo, s7
	v_mov_b32_e32 v19, 0
	ds_read_b128 v[19:22], v19 offset:48
	s_waitcnt lgkmcnt(0)
	v_mul_f64 v[24:25], v[3:4], v[21:22]
	v_mul_f64 v[21:22], v[5:6], v[21:22]
	v_fma_f64 v[5:6], v[5:6], v[19:20], -v[24:25]
	v_fma_f64 v[3:4], v[3:4], v[19:20], v[21:22]
	buffer_store_dword v6, off, s[0:3], 0 offset:52
	buffer_store_dword v5, off, s[0:3], 0 offset:48
	;; [unrolled: 1-line block ×4, first 2 shown]
.LBB68_27:
	s_or_b32 exec_lo, exec_lo, s6
	v_mov_b32_e32 v6, s12
	s_waitcnt_vscnt null, 0x0
	s_barrier
	buffer_gl0_inv
	s_mov_b32 s6, exec_lo
	s_clause 0x3
	buffer_load_dword v3, v6, s[0:3], 0 offen
	buffer_load_dword v4, v6, s[0:3], 0 offen offset:4
	buffer_load_dword v5, v6, s[0:3], 0 offen offset:8
	;; [unrolled: 1-line block ×3, first 2 shown]
	s_waitcnt vmcnt(0)
	ds_write_b128 v17, v[3:6]
	s_waitcnt lgkmcnt(0)
	s_barrier
	buffer_gl0_inv
	v_cmpx_ne_u32_e32 4, v0
	s_cbranch_execz .LBB68_31
; %bb.28:
	v_mov_b32_e32 v3, 0
	v_mov_b32_e32 v5, 0
	;; [unrolled: 1-line block ×5, first 2 shown]
	s_mov_b32 s7, 0
	.p2align	6
.LBB68_29:                              ; =>This Inner Loop Header: Depth=1
	s_clause 0x3
	buffer_load_dword v24, v19, s[0:3], 0 offen offset:8
	buffer_load_dword v25, v19, s[0:3], 0 offen offset:12
	buffer_load_dword v26, v19, s[0:3], 0 offen
	buffer_load_dword v27, v19, s[0:3], 0 offen offset:4
	ds_read_b128 v[20:23], v17
	v_add_nc_u32_e32 v18, 1, v18
	v_add_nc_u32_e32 v17, 16, v17
	;; [unrolled: 1-line block ×3, first 2 shown]
	v_cmp_lt_u32_e32 vcc_lo, 2, v18
	s_or_b32 s7, vcc_lo, s7
	s_waitcnt vmcnt(2) lgkmcnt(0)
	v_mul_f64 v[28:29], v[22:23], v[24:25]
	v_mul_f64 v[24:25], v[20:21], v[24:25]
	s_waitcnt vmcnt(0)
	v_fma_f64 v[20:21], v[20:21], v[26:27], -v[28:29]
	v_fma_f64 v[22:23], v[22:23], v[26:27], v[24:25]
	v_add_f64 v[5:6], v[5:6], v[20:21]
	v_add_f64 v[3:4], v[3:4], v[22:23]
	s_andn2_b32 exec_lo, exec_lo, s7
	s_cbranch_execnz .LBB68_29
; %bb.30:
	s_or_b32 exec_lo, exec_lo, s7
	v_mov_b32_e32 v17, 0
	ds_read_b128 v[17:20], v17 offset:64
	s_waitcnt lgkmcnt(0)
	v_mul_f64 v[21:22], v[3:4], v[19:20]
	v_mul_f64 v[19:20], v[5:6], v[19:20]
	v_fma_f64 v[5:6], v[5:6], v[17:18], -v[21:22]
	v_fma_f64 v[3:4], v[3:4], v[17:18], v[19:20]
	buffer_store_dword v6, off, s[0:3], 0 offset:68
	buffer_store_dword v5, off, s[0:3], 0 offset:64
	buffer_store_dword v4, off, s[0:3], 0 offset:76
	buffer_store_dword v3, off, s[0:3], 0 offset:72
.LBB68_31:
	s_or_b32 exec_lo, exec_lo, s6
	s_mov_b32 s7, -1
	s_waitcnt_vscnt null, 0x0
	s_barrier
	buffer_gl0_inv
.LBB68_32:
	s_and_b32 vcc_lo, exec_lo, s7
	s_cbranch_vccz .LBB68_34
; %bb.33:
	s_lshl_b64 s[6:7], s[8:9], 2
	v_mov_b32_e32 v3, 0
	s_add_u32 s6, s14, s6
	s_addc_u32 s7, s15, s7
	global_load_dword v3, v3, s[6:7]
	s_waitcnt vmcnt(0)
	v_cmp_ne_u32_e32 vcc_lo, 0, v3
	s_cbranch_vccz .LBB68_35
.LBB68_34:
	s_endpgm
.LBB68_35:
	v_lshl_add_u32 v3, v0, 4, 0x50
	s_mov_b32 s6, exec_lo
	v_cmpx_eq_u32_e32 4, v0
	s_cbranch_execz .LBB68_37
; %bb.36:
	v_mov_b32_e32 v4, s13
	s_clause 0x3
	buffer_load_dword v17, v4, s[0:3], 0 offen
	buffer_load_dword v18, v4, s[0:3], 0 offen offset:4
	buffer_load_dword v19, v4, s[0:3], 0 offen offset:8
	;; [unrolled: 1-line block ×3, first 2 shown]
	v_mov_b32_e32 v4, 0
	buffer_store_dword v4, off, s[0:3], 0 offset:48
	buffer_store_dword v4, off, s[0:3], 0 offset:52
	;; [unrolled: 1-line block ×4, first 2 shown]
	s_waitcnt vmcnt(0)
	ds_write_b128 v3, v[17:20]
.LBB68_37:
	s_or_b32 exec_lo, exec_lo, s6
	s_waitcnt lgkmcnt(0)
	s_waitcnt_vscnt null, 0x0
	s_barrier
	buffer_gl0_inv
	s_clause 0x7
	buffer_load_dword v5, off, s[0:3], 0 offset:72
	buffer_load_dword v6, off, s[0:3], 0 offset:76
	;; [unrolled: 1-line block ×8, first 2 shown]
	v_mov_b32_e32 v4, 0
	s_mov_b32 s6, exec_lo
	ds_read_b128 v[17:20], v4 offset:144
	s_waitcnt vmcnt(6) lgkmcnt(0)
	v_mul_f64 v[27:28], v[19:20], v[5:6]
	v_mul_f64 v[5:6], v[17:18], v[5:6]
	s_waitcnt vmcnt(4)
	v_fma_f64 v[17:18], v[17:18], v[21:22], -v[27:28]
	v_fma_f64 v[5:6], v[19:20], v[21:22], v[5:6]
	v_add_f64 v[17:18], v[17:18], 0
	v_add_f64 v[5:6], v[5:6], 0
	s_waitcnt vmcnt(2)
	v_add_f64 v[17:18], v[23:24], -v[17:18]
	s_waitcnt vmcnt(0)
	v_add_f64 v[5:6], v[25:26], -v[5:6]
	buffer_store_dword v17, off, s[0:3], 0 offset:48
	buffer_store_dword v18, off, s[0:3], 0 offset:52
	;; [unrolled: 1-line block ×4, first 2 shown]
	v_cmpx_lt_u32_e32 2, v0
	s_cbranch_execz .LBB68_39
; %bb.38:
	v_mov_b32_e32 v5, s16
	s_clause 0x3
	buffer_load_dword v17, v5, s[0:3], 0 offen
	buffer_load_dword v18, v5, s[0:3], 0 offen offset:4
	buffer_load_dword v19, v5, s[0:3], 0 offen offset:8
	;; [unrolled: 1-line block ×3, first 2 shown]
	buffer_store_dword v4, off, s[0:3], 0 offset:32
	buffer_store_dword v4, off, s[0:3], 0 offset:36
	;; [unrolled: 1-line block ×4, first 2 shown]
	s_waitcnt vmcnt(0)
	ds_write_b128 v3, v[17:20]
.LBB68_39:
	s_or_b32 exec_lo, exec_lo, s6
	s_waitcnt lgkmcnt(0)
	s_waitcnt_vscnt null, 0x0
	s_barrier
	buffer_gl0_inv
	s_clause 0xb
	buffer_load_dword v5, off, s[0:3], 0 offset:56
	buffer_load_dword v6, off, s[0:3], 0 offset:60
	;; [unrolled: 1-line block ×12, first 2 shown]
	ds_read_b128 v[17:20], v4 offset:128
	ds_read_b128 v[21:24], v4 offset:144
	s_mov_b32 s6, exec_lo
	s_waitcnt vmcnt(10) lgkmcnt(1)
	v_mul_f64 v[35:36], v[19:20], v[5:6]
	v_mul_f64 v[4:5], v[17:18], v[5:6]
	s_waitcnt vmcnt(8) lgkmcnt(0)
	v_mul_f64 v[37:38], v[23:24], v[25:26]
	v_mul_f64 v[25:26], v[21:22], v[25:26]
	s_waitcnt vmcnt(6)
	v_fma_f64 v[17:18], v[17:18], v[27:28], -v[35:36]
	v_fma_f64 v[4:5], v[19:20], v[27:28], v[4:5]
	s_waitcnt vmcnt(4)
	v_fma_f64 v[19:20], v[21:22], v[29:30], -v[37:38]
	v_fma_f64 v[21:22], v[23:24], v[29:30], v[25:26]
	v_add_f64 v[17:18], v[17:18], 0
	v_add_f64 v[4:5], v[4:5], 0
	;; [unrolled: 1-line block ×4, first 2 shown]
	s_waitcnt vmcnt(2)
	v_add_f64 v[17:18], v[31:32], -v[17:18]
	s_waitcnt vmcnt(0)
	v_add_f64 v[4:5], v[33:34], -v[4:5]
	buffer_store_dword v17, off, s[0:3], 0 offset:32
	buffer_store_dword v18, off, s[0:3], 0 offset:36
	;; [unrolled: 1-line block ×4, first 2 shown]
	v_cmpx_lt_u32_e32 1, v0
	s_cbranch_execz .LBB68_41
; %bb.40:
	v_mov_b32_e32 v4, s17
	s_clause 0x3
	buffer_load_dword v17, v4, s[0:3], 0 offen
	buffer_load_dword v18, v4, s[0:3], 0 offen offset:4
	buffer_load_dword v19, v4, s[0:3], 0 offen offset:8
	;; [unrolled: 1-line block ×3, first 2 shown]
	v_mov_b32_e32 v4, 0
	buffer_store_dword v4, off, s[0:3], 0 offset:16
	buffer_store_dword v4, off, s[0:3], 0 offset:20
	;; [unrolled: 1-line block ×4, first 2 shown]
	s_waitcnt vmcnt(0)
	ds_write_b128 v3, v[17:20]
.LBB68_41:
	s_or_b32 exec_lo, exec_lo, s6
	s_waitcnt lgkmcnt(0)
	s_waitcnt_vscnt null, 0x0
	s_barrier
	buffer_gl0_inv
	s_clause 0xf
	buffer_load_dword v5, off, s[0:3], 0 offset:40
	buffer_load_dword v6, off, s[0:3], 0 offset:44
	buffer_load_dword v29, off, s[0:3], 0 offset:56
	buffer_load_dword v30, off, s[0:3], 0 offset:60
	buffer_load_dword v31, off, s[0:3], 0 offset:32
	buffer_load_dword v32, off, s[0:3], 0 offset:36
	buffer_load_dword v33, off, s[0:3], 0 offset:72
	buffer_load_dword v34, off, s[0:3], 0 offset:76
	buffer_load_dword v35, off, s[0:3], 0 offset:48
	buffer_load_dword v36, off, s[0:3], 0 offset:52
	buffer_load_dword v37, off, s[0:3], 0 offset:64
	buffer_load_dword v38, off, s[0:3], 0 offset:68
	buffer_load_dword v39, off, s[0:3], 0 offset:16
	buffer_load_dword v40, off, s[0:3], 0 offset:20
	buffer_load_dword v41, off, s[0:3], 0 offset:24
	buffer_load_dword v42, off, s[0:3], 0 offset:28
	v_mov_b32_e32 v4, 0
	ds_read_b128 v[17:20], v4 offset:112
	ds_read_b128 v[21:24], v4 offset:128
	;; [unrolled: 1-line block ×3, first 2 shown]
	s_mov_b32 s6, exec_lo
	s_waitcnt vmcnt(14) lgkmcnt(2)
	v_mul_f64 v[43:44], v[19:20], v[5:6]
	v_mul_f64 v[5:6], v[17:18], v[5:6]
	s_waitcnt vmcnt(12) lgkmcnt(1)
	v_mul_f64 v[45:46], v[23:24], v[29:30]
	v_mul_f64 v[29:30], v[21:22], v[29:30]
	s_waitcnt vmcnt(10)
	v_fma_f64 v[17:18], v[17:18], v[31:32], -v[43:44]
	v_fma_f64 v[5:6], v[19:20], v[31:32], v[5:6]
	s_waitcnt vmcnt(8) lgkmcnt(0)
	v_mul_f64 v[31:32], v[27:28], v[33:34]
	s_waitcnt vmcnt(6)
	v_fma_f64 v[21:22], v[21:22], v[35:36], -v[45:46]
	v_mul_f64 v[19:20], v[25:26], v[33:34]
	v_fma_f64 v[23:24], v[23:24], v[35:36], v[29:30]
	v_add_f64 v[17:18], v[17:18], 0
	v_add_f64 v[5:6], v[5:6], 0
	s_waitcnt vmcnt(4)
	v_fma_f64 v[25:26], v[25:26], v[37:38], -v[31:32]
	v_fma_f64 v[19:20], v[27:28], v[37:38], v[19:20]
	v_add_f64 v[17:18], v[17:18], v[21:22]
	v_add_f64 v[5:6], v[5:6], v[23:24]
	;; [unrolled: 1-line block ×4, first 2 shown]
	s_waitcnt vmcnt(2)
	v_add_f64 v[17:18], v[39:40], -v[17:18]
	s_waitcnt vmcnt(0)
	v_add_f64 v[5:6], v[41:42], -v[5:6]
	buffer_store_dword v17, off, s[0:3], 0 offset:16
	buffer_store_dword v18, off, s[0:3], 0 offset:20
	;; [unrolled: 1-line block ×4, first 2 shown]
	v_cmpx_ne_u32_e32 0, v0
	s_cbranch_execz .LBB68_43
; %bb.42:
	s_clause 0x3
	buffer_load_dword v17, off, s[0:3], 0
	buffer_load_dword v18, off, s[0:3], 0 offset:4
	buffer_load_dword v19, off, s[0:3], 0 offset:8
	;; [unrolled: 1-line block ×3, first 2 shown]
	buffer_store_dword v4, off, s[0:3], 0
	buffer_store_dword v4, off, s[0:3], 0 offset:4
	buffer_store_dword v4, off, s[0:3], 0 offset:8
	;; [unrolled: 1-line block ×3, first 2 shown]
	s_waitcnt vmcnt(0)
	ds_write_b128 v3, v[17:20]
.LBB68_43:
	s_or_b32 exec_lo, exec_lo, s6
	s_waitcnt lgkmcnt(0)
	s_waitcnt_vscnt null, 0x0
	s_barrier
	buffer_gl0_inv
	s_clause 0x13
	buffer_load_dword v5, off, s[0:3], 0 offset:24
	buffer_load_dword v6, off, s[0:3], 0 offset:28
	buffer_load_dword v29, off, s[0:3], 0 offset:40
	buffer_load_dword v30, off, s[0:3], 0 offset:44
	buffer_load_dword v31, off, s[0:3], 0 offset:16
	buffer_load_dword v32, off, s[0:3], 0 offset:20
	buffer_load_dword v33, off, s[0:3], 0 offset:56
	buffer_load_dword v34, off, s[0:3], 0 offset:60
	buffer_load_dword v35, off, s[0:3], 0 offset:32
	buffer_load_dword v36, off, s[0:3], 0 offset:36
	buffer_load_dword v38, off, s[0:3], 0 offset:76
	buffer_load_dword v37, off, s[0:3], 0 offset:72
	buffer_load_dword v39, off, s[0:3], 0 offset:48
	buffer_load_dword v40, off, s[0:3], 0 offset:52
	buffer_load_dword v42, off, s[0:3], 0 offset:68
	buffer_load_dword v41, off, s[0:3], 0 offset:64
	buffer_load_dword v43, off, s[0:3], 0
	buffer_load_dword v44, off, s[0:3], 0 offset:4
	buffer_load_dword v45, off, s[0:3], 0 offset:8
	;; [unrolled: 1-line block ×3, first 2 shown]
	ds_read_b128 v[17:20], v4 offset:96
	ds_read_b128 v[21:24], v4 offset:112
	;; [unrolled: 1-line block ×3, first 2 shown]
	s_and_b32 vcc_lo, exec_lo, s18
	s_waitcnt vmcnt(18) lgkmcnt(2)
	v_mul_f64 v[47:48], v[19:20], v[5:6]
	v_mul_f64 v[5:6], v[17:18], v[5:6]
	s_waitcnt vmcnt(16) lgkmcnt(1)
	v_mul_f64 v[49:50], v[23:24], v[29:30]
	v_mul_f64 v[29:30], v[21:22], v[29:30]
	s_waitcnt vmcnt(14)
	v_fma_f64 v[17:18], v[17:18], v[31:32], -v[47:48]
	v_fma_f64 v[19:20], v[19:20], v[31:32], v[5:6]
	s_waitcnt vmcnt(12) lgkmcnt(0)
	v_mul_f64 v[31:32], v[25:26], v[33:34]
	v_mul_f64 v[33:34], v[27:28], v[33:34]
	s_waitcnt vmcnt(10)
	v_fma_f64 v[21:22], v[21:22], v[35:36], -v[49:50]
	ds_read_b128 v[3:6], v4 offset:144
	v_fma_f64 v[23:24], v[23:24], v[35:36], v[29:30]
	v_add_f64 v[17:18], v[17:18], 0
	v_add_f64 v[19:20], v[19:20], 0
	s_waitcnt vmcnt(8) lgkmcnt(0)
	v_mul_f64 v[35:36], v[5:6], v[37:38]
	s_waitcnt vmcnt(6)
	v_fma_f64 v[25:26], v[25:26], v[39:40], -v[33:34]
	v_mul_f64 v[29:30], v[3:4], v[37:38]
	v_add_f64 v[17:18], v[17:18], v[21:22]
	v_fma_f64 v[21:22], v[27:28], v[39:40], v[31:32]
	v_add_f64 v[19:20], v[19:20], v[23:24]
	s_waitcnt vmcnt(4)
	v_fma_f64 v[3:4], v[3:4], v[41:42], -v[35:36]
	v_fma_f64 v[5:6], v[5:6], v[41:42], v[29:30]
	v_add_f64 v[17:18], v[17:18], v[25:26]
	v_add_f64 v[19:20], v[19:20], v[21:22]
	v_add_f64 v[3:4], v[17:18], v[3:4]
	v_add_f64 v[5:6], v[19:20], v[5:6]
	s_waitcnt vmcnt(2)
	v_add_f64 v[3:4], v[43:44], -v[3:4]
	s_waitcnt vmcnt(0)
	v_add_f64 v[5:6], v[45:46], -v[5:6]
	buffer_store_dword v3, off, s[0:3], 0
	buffer_store_dword v4, off, s[0:3], 0 offset:4
	buffer_store_dword v5, off, s[0:3], 0 offset:8
	;; [unrolled: 1-line block ×3, first 2 shown]
	s_cbranch_vccz .LBB68_52
; %bb.44:
	v_mov_b32_e32 v3, 0
	s_load_dwordx2 s[4:5], s[4:5], 0x4
	global_load_dword v4, v3, s[10:11] offset:12
	s_waitcnt lgkmcnt(0)
	s_lshr_b32 s4, s4, 16
	v_mul_u32_u24_e32 v5, s5, v1
	s_mul_i32 s4, s4, s5
	v_mul_u32_u24_e32 v0, s4, v0
	v_add3_u32 v0, v0, v5, v2
	v_lshl_add_u32 v0, v0, 4, 0xa8
	s_waitcnt vmcnt(0)
	v_add_nc_u32_e32 v1, -1, v4
	v_cmp_ne_u32_e32 vcc_lo, 3, v1
	s_cbranch_vccz .LBB68_46
; %bb.45:
	v_lshlrev_b32_e32 v1, 4, v1
	v_mov_b32_e32 v6, s13
	v_mov_b32_e32 v17, v1
	s_clause 0x7
	buffer_load_dword v1, v6, s[0:3], 0 offen
	buffer_load_dword v2, v6, s[0:3], 0 offen offset:4
	buffer_load_dword v4, v6, s[0:3], 0 offen offset:8
	buffer_load_dword v5, v6, s[0:3], 0 offen offset:12
	buffer_load_dword v18, v17, s[0:3], 0 offen
	buffer_load_dword v19, v17, s[0:3], 0 offen offset:4
	buffer_load_dword v20, v17, s[0:3], 0 offen offset:8
	;; [unrolled: 1-line block ×3, first 2 shown]
	s_waitcnt vmcnt(4)
	ds_write2_b64 v0, v[1:2], v[4:5] offset1:1
	s_waitcnt vmcnt(3)
	buffer_store_dword v18, v6, s[0:3], 0 offen
	s_waitcnt vmcnt(2)
	buffer_store_dword v19, v6, s[0:3], 0 offen offset:4
	s_waitcnt vmcnt(1)
	buffer_store_dword v20, v6, s[0:3], 0 offen offset:8
	;; [unrolled: 2-line block ×3, first 2 shown]
	buffer_store_dword v5, v17, s[0:3], 0 offen offset:12
	buffer_store_dword v4, v17, s[0:3], 0 offen offset:8
	;; [unrolled: 1-line block ×3, first 2 shown]
	buffer_store_dword v1, v17, s[0:3], 0 offen
.LBB68_46:
	global_load_dword v1, v3, s[10:11] offset:8
	s_waitcnt vmcnt(0)
	v_add_nc_u32_e32 v1, -1, v1
	v_cmp_eq_u32_e32 vcc_lo, 2, v1
	s_cbranch_vccnz .LBB68_48
; %bb.47:
	v_lshlrev_b32_e32 v1, 4, v1
	v_mov_b32_e32 v5, s16
	v_mov_b32_e32 v6, v1
	s_clause 0x7
	buffer_load_dword v1, v5, s[0:3], 0 offen
	buffer_load_dword v2, v5, s[0:3], 0 offen offset:4
	buffer_load_dword v3, v5, s[0:3], 0 offen offset:8
	buffer_load_dword v4, v5, s[0:3], 0 offen offset:12
	buffer_load_dword v17, v6, s[0:3], 0 offen
	buffer_load_dword v18, v6, s[0:3], 0 offen offset:4
	buffer_load_dword v19, v6, s[0:3], 0 offen offset:8
	buffer_load_dword v20, v6, s[0:3], 0 offen offset:12
	s_waitcnt vmcnt(4)
	ds_write2_b64 v0, v[1:2], v[3:4] offset1:1
	s_waitcnt vmcnt(3)
	buffer_store_dword v17, v5, s[0:3], 0 offen
	s_waitcnt vmcnt(2)
	buffer_store_dword v18, v5, s[0:3], 0 offen offset:4
	s_waitcnt vmcnt(1)
	buffer_store_dword v19, v5, s[0:3], 0 offen offset:8
	;; [unrolled: 2-line block ×3, first 2 shown]
	buffer_store_dword v4, v6, s[0:3], 0 offen offset:12
	buffer_store_dword v3, v6, s[0:3], 0 offen offset:8
	;; [unrolled: 1-line block ×3, first 2 shown]
	buffer_store_dword v1, v6, s[0:3], 0 offen
.LBB68_48:
	v_mov_b32_e32 v1, 0
	global_load_dword v2, v1, s[10:11] offset:4
	s_waitcnt vmcnt(0)
	v_add_nc_u32_e32 v2, -1, v2
	v_cmp_eq_u32_e32 vcc_lo, 1, v2
	s_cbranch_vccnz .LBB68_50
; %bb.49:
	v_lshlrev_b32_e32 v2, 4, v2
	v_mov_b32_e32 v6, s17
	v_mov_b32_e32 v17, v2
	s_clause 0x7
	buffer_load_dword v2, v6, s[0:3], 0 offen
	buffer_load_dword v3, v6, s[0:3], 0 offen offset:4
	buffer_load_dword v4, v6, s[0:3], 0 offen offset:8
	;; [unrolled: 1-line block ×3, first 2 shown]
	buffer_load_dword v18, v17, s[0:3], 0 offen
	buffer_load_dword v19, v17, s[0:3], 0 offen offset:4
	buffer_load_dword v20, v17, s[0:3], 0 offen offset:8
	;; [unrolled: 1-line block ×3, first 2 shown]
	s_waitcnt vmcnt(4)
	ds_write2_b64 v0, v[2:3], v[4:5] offset1:1
	s_waitcnt vmcnt(3)
	buffer_store_dword v18, v6, s[0:3], 0 offen
	s_waitcnt vmcnt(2)
	buffer_store_dword v19, v6, s[0:3], 0 offen offset:4
	s_waitcnt vmcnt(1)
	buffer_store_dword v20, v6, s[0:3], 0 offen offset:8
	;; [unrolled: 2-line block ×3, first 2 shown]
	buffer_store_dword v5, v17, s[0:3], 0 offen offset:12
	buffer_store_dword v4, v17, s[0:3], 0 offen offset:8
	;; [unrolled: 1-line block ×3, first 2 shown]
	buffer_store_dword v2, v17, s[0:3], 0 offen
.LBB68_50:
	global_load_dword v1, v1, s[10:11]
	s_waitcnt vmcnt(0)
	v_add_nc_u32_e32 v1, -1, v1
	v_cmp_eq_u32_e32 vcc_lo, 0, v1
	s_cbranch_vccnz .LBB68_52
; %bb.51:
	v_lshlrev_b32_e32 v1, 4, v1
	v_mov_b32_e32 v5, v1
	s_clause 0x7
	buffer_load_dword v1, off, s[0:3], 0
	buffer_load_dword v2, off, s[0:3], 0 offset:4
	buffer_load_dword v3, off, s[0:3], 0 offset:8
	;; [unrolled: 1-line block ×3, first 2 shown]
	buffer_load_dword v6, v5, s[0:3], 0 offen
	buffer_load_dword v17, v5, s[0:3], 0 offen offset:4
	buffer_load_dword v18, v5, s[0:3], 0 offen offset:8
	;; [unrolled: 1-line block ×3, first 2 shown]
	s_waitcnt vmcnt(4)
	ds_write2_b64 v0, v[1:2], v[3:4] offset1:1
	s_waitcnt vmcnt(3)
	buffer_store_dword v6, off, s[0:3], 0
	s_waitcnt vmcnt(2)
	buffer_store_dword v17, off, s[0:3], 0 offset:4
	s_waitcnt vmcnt(1)
	buffer_store_dword v18, off, s[0:3], 0 offset:8
	;; [unrolled: 2-line block ×3, first 2 shown]
	buffer_store_dword v4, v5, s[0:3], 0 offen offset:12
	buffer_store_dword v3, v5, s[0:3], 0 offen offset:8
	;; [unrolled: 1-line block ×3, first 2 shown]
	buffer_store_dword v1, v5, s[0:3], 0 offen
.LBB68_52:
	s_clause 0x3
	buffer_load_dword v0, off, s[0:3], 0
	buffer_load_dword v1, off, s[0:3], 0 offset:4
	buffer_load_dword v2, off, s[0:3], 0 offset:8
	;; [unrolled: 1-line block ×3, first 2 shown]
	v_mov_b32_e32 v4, s17
	s_waitcnt vmcnt(0)
	flat_store_dwordx4 v[7:8], v[0:3]
	s_clause 0x3
	buffer_load_dword v0, v4, s[0:3], 0 offen
	buffer_load_dword v1, v4, s[0:3], 0 offen offset:4
	buffer_load_dword v2, v4, s[0:3], 0 offen offset:8
	buffer_load_dword v3, v4, s[0:3], 0 offen offset:12
	v_mov_b32_e32 v4, s16
	s_waitcnt vmcnt(0)
	flat_store_dwordx4 v[9:10], v[0:3]
	s_clause 0x3
	buffer_load_dword v0, v4, s[0:3], 0 offen
	buffer_load_dword v1, v4, s[0:3], 0 offen offset:4
	buffer_load_dword v2, v4, s[0:3], 0 offen offset:8
	buffer_load_dword v3, v4, s[0:3], 0 offen offset:12
	;; [unrolled: 8-line block ×4, first 2 shown]
	s_waitcnt vmcnt(0)
	flat_store_dwordx4 v[15:16], v[0:3]
	s_endpgm
	.section	.rodata,"a",@progbits
	.p2align	6, 0x0
	.amdhsa_kernel _ZN9rocsolver6v33100L18getri_kernel_smallILi5E19rocblas_complex_numIdEPKPS3_EEvT1_iilPiilS8_bb
		.amdhsa_group_segment_fixed_size 1192
		.amdhsa_private_segment_fixed_size 96
		.amdhsa_kernarg_size 60
		.amdhsa_user_sgpr_count 8
		.amdhsa_user_sgpr_private_segment_buffer 1
		.amdhsa_user_sgpr_dispatch_ptr 1
		.amdhsa_user_sgpr_queue_ptr 0
		.amdhsa_user_sgpr_kernarg_segment_ptr 1
		.amdhsa_user_sgpr_dispatch_id 0
		.amdhsa_user_sgpr_flat_scratch_init 0
		.amdhsa_user_sgpr_private_segment_size 0
		.amdhsa_wavefront_size32 1
		.amdhsa_uses_dynamic_stack 0
		.amdhsa_system_sgpr_private_segment_wavefront_offset 1
		.amdhsa_system_sgpr_workgroup_id_x 1
		.amdhsa_system_sgpr_workgroup_id_y 0
		.amdhsa_system_sgpr_workgroup_id_z 0
		.amdhsa_system_sgpr_workgroup_info 0
		.amdhsa_system_vgpr_workitem_id 2
		.amdhsa_next_free_vgpr 51
		.amdhsa_next_free_sgpr 22
		.amdhsa_reserve_vcc 1
		.amdhsa_reserve_flat_scratch 0
		.amdhsa_float_round_mode_32 0
		.amdhsa_float_round_mode_16_64 0
		.amdhsa_float_denorm_mode_32 3
		.amdhsa_float_denorm_mode_16_64 3
		.amdhsa_dx10_clamp 1
		.amdhsa_ieee_mode 1
		.amdhsa_fp16_overflow 0
		.amdhsa_workgroup_processor_mode 1
		.amdhsa_memory_ordered 1
		.amdhsa_forward_progress 1
		.amdhsa_shared_vgpr_count 0
		.amdhsa_exception_fp_ieee_invalid_op 0
		.amdhsa_exception_fp_denorm_src 0
		.amdhsa_exception_fp_ieee_div_zero 0
		.amdhsa_exception_fp_ieee_overflow 0
		.amdhsa_exception_fp_ieee_underflow 0
		.amdhsa_exception_fp_ieee_inexact 0
		.amdhsa_exception_int_div_zero 0
	.end_amdhsa_kernel
	.section	.text._ZN9rocsolver6v33100L18getri_kernel_smallILi5E19rocblas_complex_numIdEPKPS3_EEvT1_iilPiilS8_bb,"axG",@progbits,_ZN9rocsolver6v33100L18getri_kernel_smallILi5E19rocblas_complex_numIdEPKPS3_EEvT1_iilPiilS8_bb,comdat
.Lfunc_end68:
	.size	_ZN9rocsolver6v33100L18getri_kernel_smallILi5E19rocblas_complex_numIdEPKPS3_EEvT1_iilPiilS8_bb, .Lfunc_end68-_ZN9rocsolver6v33100L18getri_kernel_smallILi5E19rocblas_complex_numIdEPKPS3_EEvT1_iilPiilS8_bb
                                        ; -- End function
	.set _ZN9rocsolver6v33100L18getri_kernel_smallILi5E19rocblas_complex_numIdEPKPS3_EEvT1_iilPiilS8_bb.num_vgpr, 51
	.set _ZN9rocsolver6v33100L18getri_kernel_smallILi5E19rocblas_complex_numIdEPKPS3_EEvT1_iilPiilS8_bb.num_agpr, 0
	.set _ZN9rocsolver6v33100L18getri_kernel_smallILi5E19rocblas_complex_numIdEPKPS3_EEvT1_iilPiilS8_bb.numbered_sgpr, 22
	.set _ZN9rocsolver6v33100L18getri_kernel_smallILi5E19rocblas_complex_numIdEPKPS3_EEvT1_iilPiilS8_bb.num_named_barrier, 0
	.set _ZN9rocsolver6v33100L18getri_kernel_smallILi5E19rocblas_complex_numIdEPKPS3_EEvT1_iilPiilS8_bb.private_seg_size, 96
	.set _ZN9rocsolver6v33100L18getri_kernel_smallILi5E19rocblas_complex_numIdEPKPS3_EEvT1_iilPiilS8_bb.uses_vcc, 1
	.set _ZN9rocsolver6v33100L18getri_kernel_smallILi5E19rocblas_complex_numIdEPKPS3_EEvT1_iilPiilS8_bb.uses_flat_scratch, 0
	.set _ZN9rocsolver6v33100L18getri_kernel_smallILi5E19rocblas_complex_numIdEPKPS3_EEvT1_iilPiilS8_bb.has_dyn_sized_stack, 0
	.set _ZN9rocsolver6v33100L18getri_kernel_smallILi5E19rocblas_complex_numIdEPKPS3_EEvT1_iilPiilS8_bb.has_recursion, 0
	.set _ZN9rocsolver6v33100L18getri_kernel_smallILi5E19rocblas_complex_numIdEPKPS3_EEvT1_iilPiilS8_bb.has_indirect_call, 0
	.section	.AMDGPU.csdata,"",@progbits
; Kernel info:
; codeLenInByte = 5908
; TotalNumSgprs: 24
; NumVgprs: 51
; ScratchSize: 96
; MemoryBound: 0
; FloatMode: 240
; IeeeMode: 1
; LDSByteSize: 1192 bytes/workgroup (compile time only)
; SGPRBlocks: 0
; VGPRBlocks: 6
; NumSGPRsForWavesPerEU: 24
; NumVGPRsForWavesPerEU: 51
; Occupancy: 16
; WaveLimiterHint : 1
; COMPUTE_PGM_RSRC2:SCRATCH_EN: 1
; COMPUTE_PGM_RSRC2:USER_SGPR: 8
; COMPUTE_PGM_RSRC2:TRAP_HANDLER: 0
; COMPUTE_PGM_RSRC2:TGID_X_EN: 1
; COMPUTE_PGM_RSRC2:TGID_Y_EN: 0
; COMPUTE_PGM_RSRC2:TGID_Z_EN: 0
; COMPUTE_PGM_RSRC2:TIDIG_COMP_CNT: 2
	.section	.text._ZN9rocsolver6v33100L18getri_kernel_smallILi6E19rocblas_complex_numIdEPKPS3_EEvT1_iilPiilS8_bb,"axG",@progbits,_ZN9rocsolver6v33100L18getri_kernel_smallILi6E19rocblas_complex_numIdEPKPS3_EEvT1_iilPiilS8_bb,comdat
	.globl	_ZN9rocsolver6v33100L18getri_kernel_smallILi6E19rocblas_complex_numIdEPKPS3_EEvT1_iilPiilS8_bb ; -- Begin function _ZN9rocsolver6v33100L18getri_kernel_smallILi6E19rocblas_complex_numIdEPKPS3_EEvT1_iilPiilS8_bb
	.p2align	8
	.type	_ZN9rocsolver6v33100L18getri_kernel_smallILi6E19rocblas_complex_numIdEPKPS3_EEvT1_iilPiilS8_bb,@function
_ZN9rocsolver6v33100L18getri_kernel_smallILi6E19rocblas_complex_numIdEPKPS3_EEvT1_iilPiilS8_bb: ; @_ZN9rocsolver6v33100L18getri_kernel_smallILi6E19rocblas_complex_numIdEPKPS3_EEvT1_iilPiilS8_bb
; %bb.0:
	s_add_u32 s0, s0, s9
	s_addc_u32 s1, s1, 0
	s_mov_b32 s9, exec_lo
	v_cmpx_gt_u32_e32 6, v0
	s_cbranch_execz .LBB69_38
; %bb.1:
	s_clause 0x2
	s_load_dword s18, s[6:7], 0x38
	s_load_dwordx2 s[10:11], s[6:7], 0x0
	s_load_dwordx4 s[12:15], s[6:7], 0x28
	s_waitcnt lgkmcnt(0)
	s_bitcmp1_b32 s18, 8
	s_cselect_b32 s19, -1, 0
	s_ashr_i32 s9, s8, 31
	s_lshl_b64 s[16:17], s[8:9], 3
	s_add_u32 s10, s10, s16
	s_addc_u32 s11, s11, s17
	s_load_dwordx2 s[16:17], s[10:11], 0x0
	s_bfe_u32 s10, s18, 0x10008
	s_cmp_eq_u32 s10, 0
                                        ; implicit-def: $sgpr10_sgpr11
	s_cbranch_scc1 .LBB69_3
; %bb.2:
	s_clause 0x1
	s_load_dword s10, s[6:7], 0x20
	s_load_dwordx2 s[20:21], s[6:7], 0x18
	s_mul_i32 s11, s12, s9
	s_mul_hi_u32 s18, s12, s8
	s_mul_i32 s13, s13, s8
	s_add_i32 s11, s18, s11
	s_mul_i32 s12, s12, s8
	s_add_i32 s13, s11, s13
	s_lshl_b64 s[12:13], s[12:13], 2
	s_waitcnt lgkmcnt(0)
	s_ashr_i32 s11, s10, 31
	s_add_u32 s12, s20, s12
	s_addc_u32 s13, s21, s13
	s_lshl_b64 s[10:11], s[10:11], 2
	s_add_u32 s10, s12, s10
	s_addc_u32 s11, s13, s11
.LBB69_3:
	s_clause 0x1
	s_load_dwordx2 s[12:13], s[6:7], 0x8
	s_load_dword s20, s[6:7], 0x38
	v_lshlrev_b32_e32 v25, 4, v0
	s_mov_b32 s18, 16
	s_waitcnt lgkmcnt(0)
	s_ashr_i32 s7, s12, 31
	s_mov_b32 s6, s12
	v_add3_u32 v13, s13, s13, v0
	s_lshl_b64 s[6:7], s[6:7], 4
	s_add_u32 s12, s16, s6
	s_addc_u32 s16, s17, s7
	v_add_co_u32 v7, s6, s12, v25
	v_add_co_ci_u32_e64 v8, null, s16, 0, s6
	s_mov_b32 s6, s13
	s_ashr_i32 s7, s13, 31
	v_ashrrev_i32_e32 v14, 31, v13
	flat_load_dwordx4 v[3:6], v[7:8]
	s_lshl_b64 s[6:7], s[6:7], 4
	v_add_nc_u32_e32 v15, s13, v13
	v_add_co_u32 v9, vcc_lo, v7, s6
	v_add_co_ci_u32_e64 v10, null, s7, v8, vcc_lo
	v_lshlrev_b64 v[11:12], 4, v[13:14]
	v_ashrrev_i32_e32 v16, 31, v15
	v_add_nc_u32_e32 v17, s13, v15
	s_mov_b32 s7, -1
	s_mov_b32 s17, 32
	s_bitcmp0_b32 s20, 0
	v_add_co_u32 v11, vcc_lo, s12, v11
	v_add_co_ci_u32_e64 v12, null, s16, v12, vcc_lo
	v_lshlrev_b64 v[13:14], 4, v[15:16]
	v_ashrrev_i32_e32 v18, 31, v17
	s_waitcnt vmcnt(0) lgkmcnt(0)
	buffer_store_dword v6, off, s[0:3], 0 offset:12
	buffer_store_dword v5, off, s[0:3], 0 offset:8
	;; [unrolled: 1-line block ×3, first 2 shown]
	buffer_store_dword v3, off, s[0:3], 0
	flat_load_dwordx4 v[3:6], v[9:10]
	v_add_co_u32 v13, vcc_lo, s12, v13
	v_add_co_ci_u32_e64 v14, null, s16, v14, vcc_lo
	v_lshlrev_b64 v[15:16], 4, v[17:18]
	v_add_nc_u32_e32 v17, s13, v17
	s_mov_b32 s13, 64
	s_waitcnt vmcnt(0) lgkmcnt(0)
	buffer_store_dword v6, off, s[0:3], 0 offset:28
	buffer_store_dword v5, off, s[0:3], 0 offset:24
	;; [unrolled: 1-line block ×4, first 2 shown]
	flat_load_dwordx4 v[3:6], v[11:12]
	v_add_co_u32 v15, vcc_lo, s12, v15
	v_add_co_ci_u32_e64 v16, null, s16, v16, vcc_lo
	v_ashrrev_i32_e32 v18, 31, v17
	s_waitcnt vmcnt(0) lgkmcnt(0)
	buffer_store_dword v6, off, s[0:3], 0 offset:44
	buffer_store_dword v5, off, s[0:3], 0 offset:40
	;; [unrolled: 1-line block ×4, first 2 shown]
	flat_load_dwordx4 v[3:6], v[13:14]
	v_lshlrev_b64 v[17:18], 4, v[17:18]
	s_waitcnt vmcnt(0) lgkmcnt(0)
	buffer_store_dword v6, off, s[0:3], 0 offset:60
	buffer_store_dword v5, off, s[0:3], 0 offset:56
	;; [unrolled: 1-line block ×4, first 2 shown]
	flat_load_dwordx4 v[3:6], v[15:16]
	v_add_co_u32 v17, vcc_lo, s12, v17
	v_add_co_ci_u32_e64 v18, null, s16, v18, vcc_lo
	s_movk_i32 s12, 0x50
	s_mov_b32 s16, 48
	s_waitcnt vmcnt(0) lgkmcnt(0)
	buffer_store_dword v6, off, s[0:3], 0 offset:76
	buffer_store_dword v5, off, s[0:3], 0 offset:72
	;; [unrolled: 1-line block ×4, first 2 shown]
	flat_load_dwordx4 v[3:6], v[17:18]
	s_waitcnt vmcnt(0) lgkmcnt(0)
	buffer_store_dword v6, off, s[0:3], 0 offset:92
	buffer_store_dword v5, off, s[0:3], 0 offset:88
	;; [unrolled: 1-line block ×4, first 2 shown]
	s_cbranch_scc1 .LBB69_36
; %bb.4:
	v_cmp_eq_u32_e64 s6, 0, v0
	s_and_saveexec_b32 s7, s6
; %bb.5:
	v_mov_b32_e32 v3, 0
	ds_write_b32 v3, v3 offset:192
; %bb.6:
	s_or_b32 exec_lo, exec_lo, s7
	v_lshl_add_u32 v26, v0, 4, 0
	s_waitcnt lgkmcnt(0)
	s_waitcnt_vscnt null, 0x0
	s_barrier
	buffer_gl0_inv
	s_clause 0x3
	buffer_load_dword v3, v26, s[0:3], 0 offen
	buffer_load_dword v4, v26, s[0:3], 0 offen offset:4
	buffer_load_dword v5, v26, s[0:3], 0 offen offset:8
	;; [unrolled: 1-line block ×3, first 2 shown]
	s_waitcnt vmcnt(2)
	v_cmp_eq_f64_e32 vcc_lo, 0, v[3:4]
	s_waitcnt vmcnt(0)
	v_cmp_eq_f64_e64 s7, 0, v[5:6]
	s_and_b32 s7, vcc_lo, s7
	s_and_saveexec_b32 s20, s7
	s_cbranch_execz .LBB69_10
; %bb.7:
	v_mov_b32_e32 v3, 0
	s_mov_b32 s21, 0
	ds_read_b32 v4, v3 offset:192
	s_waitcnt lgkmcnt(0)
	v_readfirstlane_b32 s7, v4
	v_add_nc_u32_e32 v4, 1, v0
	s_cmp_eq_u32 s7, 0
	v_cmp_gt_i32_e32 vcc_lo, s7, v4
	s_cselect_b32 s22, -1, 0
	s_or_b32 s22, s22, vcc_lo
	s_and_b32 exec_lo, exec_lo, s22
	s_cbranch_execz .LBB69_10
; %bb.8:
	v_mov_b32_e32 v5, s7
.LBB69_9:                               ; =>This Inner Loop Header: Depth=1
	ds_cmpst_rtn_b32 v5, v3, v5, v4 offset:192
	s_waitcnt lgkmcnt(0)
	v_cmp_ne_u32_e32 vcc_lo, 0, v5
	v_cmp_le_i32_e64 s7, v5, v4
	s_and_b32 s7, vcc_lo, s7
	s_and_b32 s7, exec_lo, s7
	s_or_b32 s21, s7, s21
	s_andn2_b32 exec_lo, exec_lo, s21
	s_cbranch_execnz .LBB69_9
.LBB69_10:
	s_or_b32 exec_lo, exec_lo, s20
	v_mov_b32_e32 v3, 0
	s_barrier
	buffer_gl0_inv
	ds_read_b32 v4, v3 offset:192
	s_and_saveexec_b32 s7, s6
	s_cbranch_execz .LBB69_12
; %bb.11:
	s_lshl_b64 s[20:21], s[8:9], 2
	s_add_u32 s20, s14, s20
	s_addc_u32 s21, s15, s21
	s_waitcnt lgkmcnt(0)
	global_store_dword v3, v4, s[20:21]
.LBB69_12:
	s_or_b32 exec_lo, exec_lo, s7
	s_waitcnt lgkmcnt(0)
	v_cmp_ne_u32_e32 vcc_lo, 0, v4
	s_mov_b32 s7, 0
	s_cbranch_vccnz .LBB69_36
; %bb.13:
	s_clause 0x3
	buffer_load_dword v21, v26, s[0:3], 0 offen
	buffer_load_dword v22, v26, s[0:3], 0 offen offset:4
	buffer_load_dword v23, v26, s[0:3], 0 offen offset:8
	;; [unrolled: 1-line block ×3, first 2 shown]
                                        ; implicit-def: $vgpr19_vgpr20
                                        ; implicit-def: $vgpr5_vgpr6
	s_waitcnt vmcnt(0)
	v_cmp_ngt_f64_e64 s7, |v[21:22]|, |v[23:24]|
	s_and_saveexec_b32 s20, s7
	s_xor_b32 s7, exec_lo, s20
	s_cbranch_execz .LBB69_15
; %bb.14:
	v_div_scale_f64 v[3:4], null, v[23:24], v[23:24], v[21:22]
	v_div_scale_f64 v[27:28], vcc_lo, v[21:22], v[23:24], v[21:22]
	v_rcp_f64_e32 v[5:6], v[3:4]
	v_fma_f64 v[19:20], -v[3:4], v[5:6], 1.0
	v_fma_f64 v[5:6], v[5:6], v[19:20], v[5:6]
	v_fma_f64 v[19:20], -v[3:4], v[5:6], 1.0
	v_fma_f64 v[5:6], v[5:6], v[19:20], v[5:6]
	v_mul_f64 v[19:20], v[27:28], v[5:6]
	v_fma_f64 v[3:4], -v[3:4], v[19:20], v[27:28]
	v_div_fmas_f64 v[3:4], v[3:4], v[5:6], v[19:20]
	v_div_fixup_f64 v[3:4], v[3:4], v[23:24], v[21:22]
	v_fma_f64 v[5:6], v[21:22], v[3:4], v[23:24]
	v_div_scale_f64 v[19:20], null, v[5:6], v[5:6], 1.0
	v_div_scale_f64 v[27:28], vcc_lo, 1.0, v[5:6], 1.0
	v_rcp_f64_e32 v[21:22], v[19:20]
	v_fma_f64 v[23:24], -v[19:20], v[21:22], 1.0
	v_fma_f64 v[21:22], v[21:22], v[23:24], v[21:22]
	v_fma_f64 v[23:24], -v[19:20], v[21:22], 1.0
	v_fma_f64 v[21:22], v[21:22], v[23:24], v[21:22]
	v_mul_f64 v[23:24], v[27:28], v[21:22]
	v_fma_f64 v[19:20], -v[19:20], v[23:24], v[27:28]
	v_div_fmas_f64 v[19:20], v[19:20], v[21:22], v[23:24]
                                        ; implicit-def: $vgpr21_vgpr22
                                        ; implicit-def: $vgpr23_vgpr24
	v_div_fixup_f64 v[5:6], v[19:20], v[5:6], 1.0
	v_mul_f64 v[19:20], v[3:4], v[5:6]
	v_xor_b32_e32 v6, 0x80000000, v6
	v_xor_b32_e32 v4, 0x80000000, v20
	v_mov_b32_e32 v3, v19
.LBB69_15:
	s_andn2_saveexec_b32 s7, s7
	s_cbranch_execz .LBB69_17
; %bb.16:
	v_div_scale_f64 v[3:4], null, v[21:22], v[21:22], v[23:24]
	v_div_scale_f64 v[27:28], vcc_lo, v[23:24], v[21:22], v[23:24]
	v_rcp_f64_e32 v[5:6], v[3:4]
	v_fma_f64 v[19:20], -v[3:4], v[5:6], 1.0
	v_fma_f64 v[5:6], v[5:6], v[19:20], v[5:6]
	v_fma_f64 v[19:20], -v[3:4], v[5:6], 1.0
	v_fma_f64 v[5:6], v[5:6], v[19:20], v[5:6]
	v_mul_f64 v[19:20], v[27:28], v[5:6]
	v_fma_f64 v[3:4], -v[3:4], v[19:20], v[27:28]
	v_div_fmas_f64 v[3:4], v[3:4], v[5:6], v[19:20]
	v_div_fixup_f64 v[3:4], v[3:4], v[21:22], v[23:24]
	v_fma_f64 v[5:6], v[23:24], v[3:4], v[21:22]
	v_div_scale_f64 v[19:20], null, v[5:6], v[5:6], 1.0
	v_rcp_f64_e32 v[21:22], v[19:20]
	v_fma_f64 v[23:24], -v[19:20], v[21:22], 1.0
	v_fma_f64 v[21:22], v[21:22], v[23:24], v[21:22]
	v_fma_f64 v[23:24], -v[19:20], v[21:22], 1.0
	v_fma_f64 v[21:22], v[21:22], v[23:24], v[21:22]
	v_div_scale_f64 v[23:24], vcc_lo, 1.0, v[5:6], 1.0
	v_mul_f64 v[27:28], v[23:24], v[21:22]
	v_fma_f64 v[19:20], -v[19:20], v[27:28], v[23:24]
	v_div_fmas_f64 v[19:20], v[19:20], v[21:22], v[27:28]
	v_div_fixup_f64 v[19:20], v[19:20], v[5:6], 1.0
	v_mul_f64 v[5:6], v[3:4], -v[19:20]
	v_xor_b32_e32 v4, 0x80000000, v20
	v_mov_b32_e32 v3, v19
.LBB69_17:
	s_or_b32 exec_lo, exec_lo, s7
	v_mov_b32_e32 v24, s18
	buffer_store_dword v20, v26, s[0:3], 0 offen offset:4
	buffer_store_dword v19, v26, s[0:3], 0 offen
	buffer_store_dword v6, v26, s[0:3], 0 offen offset:12
	buffer_store_dword v5, v26, s[0:3], 0 offen offset:8
	v_xor_b32_e32 v6, 0x80000000, v6
	v_add_nc_u32_e32 v19, 0x60, v25
	s_clause 0x3
	buffer_load_dword v23, v24, s[0:3], 0 offen offset:12
	buffer_load_dword v22, v24, s[0:3], 0 offen offset:8
	;; [unrolled: 1-line block ×3, first 2 shown]
	buffer_load_dword v20, v24, s[0:3], 0 offen
	ds_write_b128 v25, v[3:6]
	s_waitcnt vmcnt(0)
	ds_write_b128 v25, v[20:23] offset:96
	s_waitcnt lgkmcnt(0)
	s_waitcnt_vscnt null, 0x0
	s_barrier
	buffer_gl0_inv
	s_and_saveexec_b32 s7, s6
	s_cbranch_execz .LBB69_19
; %bb.18:
	s_clause 0x3
	buffer_load_dword v27, v26, s[0:3], 0 offen offset:8
	buffer_load_dword v28, v26, s[0:3], 0 offen offset:12
	buffer_load_dword v29, v26, s[0:3], 0 offen
	buffer_load_dword v30, v26, s[0:3], 0 offen offset:4
	ds_read_b128 v[3:6], v19
	v_mov_b32_e32 v20, 0
	ds_read_b128 v[20:23], v20 offset:16
	s_waitcnt vmcnt(2) lgkmcnt(1)
	v_mul_f64 v[31:32], v[3:4], v[27:28]
	v_mul_f64 v[27:28], v[5:6], v[27:28]
	s_waitcnt vmcnt(0)
	v_fma_f64 v[5:6], v[5:6], v[29:30], v[31:32]
	v_fma_f64 v[3:4], v[3:4], v[29:30], -v[27:28]
	v_add_f64 v[5:6], v[5:6], 0
	v_add_f64 v[3:4], v[3:4], 0
	s_waitcnt lgkmcnt(0)
	v_mul_f64 v[27:28], v[5:6], v[22:23]
	v_mul_f64 v[22:23], v[3:4], v[22:23]
	v_fma_f64 v[3:4], v[3:4], v[20:21], -v[27:28]
	v_fma_f64 v[5:6], v[5:6], v[20:21], v[22:23]
	buffer_store_dword v3, off, s[0:3], 0 offset:16
	buffer_store_dword v4, off, s[0:3], 0 offset:20
	;; [unrolled: 1-line block ×4, first 2 shown]
.LBB69_19:
	s_or_b32 exec_lo, exec_lo, s7
	v_mov_b32_e32 v6, s17
	s_waitcnt_vscnt null, 0x0
	s_barrier
	buffer_gl0_inv
	s_mov_b32 s7, exec_lo
	s_clause 0x3
	buffer_load_dword v3, v6, s[0:3], 0 offen
	buffer_load_dword v4, v6, s[0:3], 0 offen offset:4
	buffer_load_dword v5, v6, s[0:3], 0 offen offset:8
	;; [unrolled: 1-line block ×3, first 2 shown]
	s_waitcnt vmcnt(0)
	ds_write_b128 v19, v[3:6]
	s_waitcnt lgkmcnt(0)
	s_barrier
	buffer_gl0_inv
	v_cmpx_gt_u32_e32 2, v0
	s_cbranch_execz .LBB69_23
; %bb.20:
	s_clause 0x3
	buffer_load_dword v20, v26, s[0:3], 0 offen offset:8
	buffer_load_dword v21, v26, s[0:3], 0 offen offset:12
	buffer_load_dword v22, v26, s[0:3], 0 offen
	buffer_load_dword v23, v26, s[0:3], 0 offen offset:4
	ds_read_b128 v[3:6], v19
	s_waitcnt vmcnt(2) lgkmcnt(0)
	v_mul_f64 v[26:27], v[5:6], v[20:21]
	v_mul_f64 v[20:21], v[3:4], v[20:21]
	s_waitcnt vmcnt(0)
	v_fma_f64 v[3:4], v[3:4], v[22:23], -v[26:27]
	v_fma_f64 v[5:6], v[5:6], v[22:23], v[20:21]
	v_add_f64 v[3:4], v[3:4], 0
	v_add_f64 v[5:6], v[5:6], 0
	s_and_saveexec_b32 s20, s6
	s_cbranch_execz .LBB69_22
; %bb.21:
	s_clause 0x3
	buffer_load_dword v26, off, s[0:3], 0 offset:24
	buffer_load_dword v27, off, s[0:3], 0 offset:28
	;; [unrolled: 1-line block ×4, first 2 shown]
	v_mov_b32_e32 v20, 0
	ds_read_b128 v[20:23], v20 offset:112
	s_waitcnt vmcnt(2) lgkmcnt(0)
	v_mul_f64 v[30:31], v[20:21], v[26:27]
	v_mul_f64 v[26:27], v[22:23], v[26:27]
	s_waitcnt vmcnt(0)
	v_fma_f64 v[22:23], v[22:23], v[28:29], v[30:31]
	v_fma_f64 v[20:21], v[20:21], v[28:29], -v[26:27]
	v_add_f64 v[5:6], v[5:6], v[22:23]
	v_add_f64 v[3:4], v[3:4], v[20:21]
.LBB69_22:
	s_or_b32 exec_lo, exec_lo, s20
	v_mov_b32_e32 v20, 0
	ds_read_b128 v[20:23], v20 offset:32
	s_waitcnt lgkmcnt(0)
	v_mul_f64 v[26:27], v[5:6], v[22:23]
	v_mul_f64 v[22:23], v[3:4], v[22:23]
	v_fma_f64 v[3:4], v[3:4], v[20:21], -v[26:27]
	v_fma_f64 v[5:6], v[5:6], v[20:21], v[22:23]
	buffer_store_dword v4, off, s[0:3], 0 offset:36
	buffer_store_dword v3, off, s[0:3], 0 offset:32
	;; [unrolled: 1-line block ×4, first 2 shown]
.LBB69_23:
	s_or_b32 exec_lo, exec_lo, s7
	v_mov_b32_e32 v6, s16
	s_waitcnt_vscnt null, 0x0
	s_barrier
	buffer_gl0_inv
	v_add_nc_u32_e32 v20, -1, v0
	s_clause 0x3
	buffer_load_dword v3, v6, s[0:3], 0 offen
	buffer_load_dword v4, v6, s[0:3], 0 offen offset:4
	buffer_load_dword v5, v6, s[0:3], 0 offen offset:8
	;; [unrolled: 1-line block ×3, first 2 shown]
	s_mov_b32 s6, exec_lo
	s_waitcnt vmcnt(0)
	ds_write_b128 v19, v[3:6]
	s_waitcnt lgkmcnt(0)
	s_barrier
	buffer_gl0_inv
	v_cmpx_gt_u32_e32 3, v0
	s_cbranch_execz .LBB69_27
; %bb.24:
	v_mov_b32_e32 v3, 0
	v_mov_b32_e32 v5, 0
	v_add_nc_u32_e32 v21, -1, v0
	v_add_nc_u32_e32 v22, 0x60, v25
	v_mov_b32_e32 v4, 0
	v_mov_b32_e32 v6, 0
	v_mov_b32_e32 v23, v25
	s_mov_b32 s7, 0
	.p2align	6
.LBB69_25:                              ; =>This Inner Loop Header: Depth=1
	s_clause 0x3
	buffer_load_dword v30, v23, s[0:3], 0 offen offset:8
	buffer_load_dword v31, v23, s[0:3], 0 offen offset:12
	buffer_load_dword v32, v23, s[0:3], 0 offen
	buffer_load_dword v33, v23, s[0:3], 0 offen offset:4
	ds_read_b128 v[26:29], v22
	v_add_nc_u32_e32 v21, 1, v21
	v_add_nc_u32_e32 v22, 16, v22
	;; [unrolled: 1-line block ×3, first 2 shown]
	v_cmp_lt_u32_e32 vcc_lo, 1, v21
	s_or_b32 s7, vcc_lo, s7
	s_waitcnt vmcnt(2) lgkmcnt(0)
	v_mul_f64 v[34:35], v[28:29], v[30:31]
	v_mul_f64 v[30:31], v[26:27], v[30:31]
	s_waitcnt vmcnt(0)
	v_fma_f64 v[26:27], v[26:27], v[32:33], -v[34:35]
	v_fma_f64 v[28:29], v[28:29], v[32:33], v[30:31]
	v_add_f64 v[5:6], v[5:6], v[26:27]
	v_add_f64 v[3:4], v[3:4], v[28:29]
	s_andn2_b32 exec_lo, exec_lo, s7
	s_cbranch_execnz .LBB69_25
; %bb.26:
	s_or_b32 exec_lo, exec_lo, s7
	v_mov_b32_e32 v21, 0
	ds_read_b128 v[21:24], v21 offset:48
	s_waitcnt lgkmcnt(0)
	v_mul_f64 v[26:27], v[3:4], v[23:24]
	v_mul_f64 v[23:24], v[5:6], v[23:24]
	v_fma_f64 v[5:6], v[5:6], v[21:22], -v[26:27]
	v_fma_f64 v[3:4], v[3:4], v[21:22], v[23:24]
	buffer_store_dword v6, off, s[0:3], 0 offset:52
	buffer_store_dword v5, off, s[0:3], 0 offset:48
	;; [unrolled: 1-line block ×4, first 2 shown]
.LBB69_27:
	s_or_b32 exec_lo, exec_lo, s6
	v_mov_b32_e32 v6, s13
	s_waitcnt_vscnt null, 0x0
	s_barrier
	buffer_gl0_inv
	s_mov_b32 s6, exec_lo
	s_clause 0x3
	buffer_load_dword v3, v6, s[0:3], 0 offen
	buffer_load_dword v4, v6, s[0:3], 0 offen offset:4
	buffer_load_dword v5, v6, s[0:3], 0 offen offset:8
	;; [unrolled: 1-line block ×3, first 2 shown]
	s_waitcnt vmcnt(0)
	ds_write_b128 v19, v[3:6]
	s_waitcnt lgkmcnt(0)
	s_barrier
	buffer_gl0_inv
	v_cmpx_gt_u32_e32 4, v0
	s_cbranch_execz .LBB69_31
; %bb.28:
	v_mov_b32_e32 v3, 0
	v_mov_b32_e32 v5, 0
	v_add_nc_u32_e32 v21, -1, v0
	v_add_nc_u32_e32 v22, 0x60, v25
	v_mov_b32_e32 v4, 0
	v_mov_b32_e32 v6, 0
	;; [unrolled: 1-line block ×3, first 2 shown]
	s_mov_b32 s7, 0
	.p2align	6
.LBB69_29:                              ; =>This Inner Loop Header: Depth=1
	s_clause 0x3
	buffer_load_dword v30, v23, s[0:3], 0 offen offset:8
	buffer_load_dword v31, v23, s[0:3], 0 offen offset:12
	buffer_load_dword v32, v23, s[0:3], 0 offen
	buffer_load_dword v33, v23, s[0:3], 0 offen offset:4
	ds_read_b128 v[26:29], v22
	v_add_nc_u32_e32 v21, 1, v21
	v_add_nc_u32_e32 v22, 16, v22
	v_add_nc_u32_e32 v23, 16, v23
	v_cmp_lt_u32_e32 vcc_lo, 2, v21
	s_or_b32 s7, vcc_lo, s7
	s_waitcnt vmcnt(2) lgkmcnt(0)
	v_mul_f64 v[34:35], v[28:29], v[30:31]
	v_mul_f64 v[30:31], v[26:27], v[30:31]
	s_waitcnt vmcnt(0)
	v_fma_f64 v[26:27], v[26:27], v[32:33], -v[34:35]
	v_fma_f64 v[28:29], v[28:29], v[32:33], v[30:31]
	v_add_f64 v[5:6], v[5:6], v[26:27]
	v_add_f64 v[3:4], v[3:4], v[28:29]
	s_andn2_b32 exec_lo, exec_lo, s7
	s_cbranch_execnz .LBB69_29
; %bb.30:
	s_or_b32 exec_lo, exec_lo, s7
	v_mov_b32_e32 v21, 0
	ds_read_b128 v[21:24], v21 offset:64
	s_waitcnt lgkmcnt(0)
	v_mul_f64 v[26:27], v[3:4], v[23:24]
	v_mul_f64 v[23:24], v[5:6], v[23:24]
	v_fma_f64 v[5:6], v[5:6], v[21:22], -v[26:27]
	v_fma_f64 v[3:4], v[3:4], v[21:22], v[23:24]
	buffer_store_dword v6, off, s[0:3], 0 offset:68
	buffer_store_dword v5, off, s[0:3], 0 offset:64
	buffer_store_dword v4, off, s[0:3], 0 offset:76
	buffer_store_dword v3, off, s[0:3], 0 offset:72
.LBB69_31:
	s_or_b32 exec_lo, exec_lo, s6
	v_mov_b32_e32 v6, s12
	s_waitcnt_vscnt null, 0x0
	s_barrier
	buffer_gl0_inv
	s_mov_b32 s6, exec_lo
	s_clause 0x3
	buffer_load_dword v3, v6, s[0:3], 0 offen
	buffer_load_dword v4, v6, s[0:3], 0 offen offset:4
	buffer_load_dword v5, v6, s[0:3], 0 offen offset:8
	;; [unrolled: 1-line block ×3, first 2 shown]
	s_waitcnt vmcnt(0)
	ds_write_b128 v19, v[3:6]
	s_waitcnt lgkmcnt(0)
	s_barrier
	buffer_gl0_inv
	v_cmpx_ne_u32_e32 5, v0
	s_cbranch_execz .LBB69_35
; %bb.32:
	v_mov_b32_e32 v3, 0
	v_mov_b32_e32 v5, 0
	;; [unrolled: 1-line block ×5, first 2 shown]
	s_mov_b32 s7, 0
	.p2align	6
.LBB69_33:                              ; =>This Inner Loop Header: Depth=1
	s_clause 0x3
	buffer_load_dword v26, v21, s[0:3], 0 offen offset:8
	buffer_load_dword v27, v21, s[0:3], 0 offen offset:12
	buffer_load_dword v28, v21, s[0:3], 0 offen
	buffer_load_dword v29, v21, s[0:3], 0 offen offset:4
	ds_read_b128 v[22:25], v19
	v_add_nc_u32_e32 v20, 1, v20
	v_add_nc_u32_e32 v19, 16, v19
	;; [unrolled: 1-line block ×3, first 2 shown]
	v_cmp_lt_u32_e32 vcc_lo, 3, v20
	s_or_b32 s7, vcc_lo, s7
	s_waitcnt vmcnt(2) lgkmcnt(0)
	v_mul_f64 v[30:31], v[24:25], v[26:27]
	v_mul_f64 v[26:27], v[22:23], v[26:27]
	s_waitcnt vmcnt(0)
	v_fma_f64 v[22:23], v[22:23], v[28:29], -v[30:31]
	v_fma_f64 v[24:25], v[24:25], v[28:29], v[26:27]
	v_add_f64 v[5:6], v[5:6], v[22:23]
	v_add_f64 v[3:4], v[3:4], v[24:25]
	s_andn2_b32 exec_lo, exec_lo, s7
	s_cbranch_execnz .LBB69_33
; %bb.34:
	s_or_b32 exec_lo, exec_lo, s7
	v_mov_b32_e32 v19, 0
	ds_read_b128 v[19:22], v19 offset:80
	s_waitcnt lgkmcnt(0)
	v_mul_f64 v[23:24], v[3:4], v[21:22]
	v_mul_f64 v[21:22], v[5:6], v[21:22]
	v_fma_f64 v[5:6], v[5:6], v[19:20], -v[23:24]
	v_fma_f64 v[3:4], v[3:4], v[19:20], v[21:22]
	buffer_store_dword v6, off, s[0:3], 0 offset:84
	buffer_store_dword v5, off, s[0:3], 0 offset:80
	;; [unrolled: 1-line block ×4, first 2 shown]
.LBB69_35:
	s_or_b32 exec_lo, exec_lo, s6
	s_mov_b32 s7, -1
	s_waitcnt_vscnt null, 0x0
	s_barrier
	buffer_gl0_inv
.LBB69_36:
	s_and_b32 vcc_lo, exec_lo, s7
	s_cbranch_vccz .LBB69_38
; %bb.37:
	s_lshl_b64 s[6:7], s[8:9], 2
	v_mov_b32_e32 v3, 0
	s_add_u32 s6, s14, s6
	s_addc_u32 s7, s15, s7
	global_load_dword v3, v3, s[6:7]
	s_waitcnt vmcnt(0)
	v_cmp_ne_u32_e32 vcc_lo, 0, v3
	s_cbranch_vccz .LBB69_39
.LBB69_38:
	s_endpgm
.LBB69_39:
	v_lshl_add_u32 v3, v0, 4, 0x60
	s_mov_b32 s6, exec_lo
	v_cmpx_eq_u32_e32 5, v0
	s_cbranch_execz .LBB69_41
; %bb.40:
	v_mov_b32_e32 v4, s13
	s_clause 0x3
	buffer_load_dword v19, v4, s[0:3], 0 offen
	buffer_load_dword v20, v4, s[0:3], 0 offen offset:4
	buffer_load_dword v21, v4, s[0:3], 0 offen offset:8
	;; [unrolled: 1-line block ×3, first 2 shown]
	v_mov_b32_e32 v4, 0
	buffer_store_dword v4, off, s[0:3], 0 offset:64
	buffer_store_dword v4, off, s[0:3], 0 offset:68
	buffer_store_dword v4, off, s[0:3], 0 offset:72
	buffer_store_dword v4, off, s[0:3], 0 offset:76
	s_waitcnt vmcnt(0)
	ds_write_b128 v3, v[19:22]
.LBB69_41:
	s_or_b32 exec_lo, exec_lo, s6
	s_waitcnt lgkmcnt(0)
	s_waitcnt_vscnt null, 0x0
	s_barrier
	buffer_gl0_inv
	s_clause 0x7
	buffer_load_dword v5, off, s[0:3], 0 offset:88
	buffer_load_dword v6, off, s[0:3], 0 offset:92
	;; [unrolled: 1-line block ×8, first 2 shown]
	v_mov_b32_e32 v4, 0
	s_mov_b32 s6, exec_lo
	ds_read_b128 v[19:22], v4 offset:176
	s_waitcnt vmcnt(6) lgkmcnt(0)
	v_mul_f64 v[29:30], v[21:22], v[5:6]
	v_mul_f64 v[5:6], v[19:20], v[5:6]
	s_waitcnt vmcnt(4)
	v_fma_f64 v[19:20], v[19:20], v[23:24], -v[29:30]
	v_fma_f64 v[5:6], v[21:22], v[23:24], v[5:6]
	v_add_f64 v[19:20], v[19:20], 0
	v_add_f64 v[5:6], v[5:6], 0
	s_waitcnt vmcnt(2)
	v_add_f64 v[19:20], v[25:26], -v[19:20]
	s_waitcnt vmcnt(0)
	v_add_f64 v[5:6], v[27:28], -v[5:6]
	buffer_store_dword v19, off, s[0:3], 0 offset:64
	buffer_store_dword v20, off, s[0:3], 0 offset:68
	;; [unrolled: 1-line block ×4, first 2 shown]
	v_cmpx_lt_u32_e32 3, v0
	s_cbranch_execz .LBB69_43
; %bb.42:
	v_mov_b32_e32 v5, s16
	s_clause 0x3
	buffer_load_dword v19, v5, s[0:3], 0 offen
	buffer_load_dword v20, v5, s[0:3], 0 offen offset:4
	buffer_load_dword v21, v5, s[0:3], 0 offen offset:8
	;; [unrolled: 1-line block ×3, first 2 shown]
	buffer_store_dword v4, off, s[0:3], 0 offset:48
	buffer_store_dword v4, off, s[0:3], 0 offset:52
	;; [unrolled: 1-line block ×4, first 2 shown]
	s_waitcnt vmcnt(0)
	ds_write_b128 v3, v[19:22]
.LBB69_43:
	s_or_b32 exec_lo, exec_lo, s6
	s_waitcnt lgkmcnt(0)
	s_waitcnt_vscnt null, 0x0
	s_barrier
	buffer_gl0_inv
	s_clause 0xb
	buffer_load_dword v5, off, s[0:3], 0 offset:72
	buffer_load_dword v6, off, s[0:3], 0 offset:76
	;; [unrolled: 1-line block ×12, first 2 shown]
	ds_read_b128 v[19:22], v4 offset:160
	ds_read_b128 v[23:26], v4 offset:176
	s_mov_b32 s6, exec_lo
	s_waitcnt vmcnt(10) lgkmcnt(1)
	v_mul_f64 v[37:38], v[21:22], v[5:6]
	v_mul_f64 v[4:5], v[19:20], v[5:6]
	s_waitcnt vmcnt(8) lgkmcnt(0)
	v_mul_f64 v[39:40], v[25:26], v[27:28]
	v_mul_f64 v[27:28], v[23:24], v[27:28]
	s_waitcnt vmcnt(6)
	v_fma_f64 v[19:20], v[19:20], v[29:30], -v[37:38]
	v_fma_f64 v[4:5], v[21:22], v[29:30], v[4:5]
	s_waitcnt vmcnt(4)
	v_fma_f64 v[21:22], v[23:24], v[31:32], -v[39:40]
	v_fma_f64 v[23:24], v[25:26], v[31:32], v[27:28]
	v_add_f64 v[19:20], v[19:20], 0
	v_add_f64 v[4:5], v[4:5], 0
	v_add_f64 v[19:20], v[19:20], v[21:22]
	v_add_f64 v[4:5], v[4:5], v[23:24]
	s_waitcnt vmcnt(2)
	v_add_f64 v[19:20], v[33:34], -v[19:20]
	s_waitcnt vmcnt(0)
	v_add_f64 v[4:5], v[35:36], -v[4:5]
	buffer_store_dword v19, off, s[0:3], 0 offset:48
	buffer_store_dword v20, off, s[0:3], 0 offset:52
	;; [unrolled: 1-line block ×4, first 2 shown]
	v_cmpx_lt_u32_e32 2, v0
	s_cbranch_execz .LBB69_45
; %bb.44:
	v_mov_b32_e32 v4, s17
	s_clause 0x3
	buffer_load_dword v19, v4, s[0:3], 0 offen
	buffer_load_dword v20, v4, s[0:3], 0 offen offset:4
	buffer_load_dword v21, v4, s[0:3], 0 offen offset:8
	;; [unrolled: 1-line block ×3, first 2 shown]
	v_mov_b32_e32 v4, 0
	buffer_store_dword v4, off, s[0:3], 0 offset:32
	buffer_store_dword v4, off, s[0:3], 0 offset:36
	;; [unrolled: 1-line block ×4, first 2 shown]
	s_waitcnt vmcnt(0)
	ds_write_b128 v3, v[19:22]
.LBB69_45:
	s_or_b32 exec_lo, exec_lo, s6
	s_waitcnt lgkmcnt(0)
	s_waitcnt_vscnt null, 0x0
	s_barrier
	buffer_gl0_inv
	s_clause 0xf
	buffer_load_dword v5, off, s[0:3], 0 offset:56
	buffer_load_dword v6, off, s[0:3], 0 offset:60
	;; [unrolled: 1-line block ×16, first 2 shown]
	v_mov_b32_e32 v4, 0
	ds_read_b128 v[19:22], v4 offset:144
	ds_read_b128 v[23:26], v4 offset:160
	;; [unrolled: 1-line block ×3, first 2 shown]
	s_mov_b32 s6, exec_lo
	s_waitcnt vmcnt(14) lgkmcnt(2)
	v_mul_f64 v[45:46], v[21:22], v[5:6]
	v_mul_f64 v[5:6], v[19:20], v[5:6]
	s_waitcnt vmcnt(12) lgkmcnt(1)
	v_mul_f64 v[47:48], v[25:26], v[31:32]
	v_mul_f64 v[31:32], v[23:24], v[31:32]
	s_waitcnt vmcnt(10)
	v_fma_f64 v[19:20], v[19:20], v[33:34], -v[45:46]
	v_fma_f64 v[5:6], v[21:22], v[33:34], v[5:6]
	s_waitcnt vmcnt(8) lgkmcnt(0)
	v_mul_f64 v[33:34], v[29:30], v[35:36]
	s_waitcnt vmcnt(6)
	v_fma_f64 v[23:24], v[23:24], v[37:38], -v[47:48]
	v_mul_f64 v[21:22], v[27:28], v[35:36]
	v_fma_f64 v[25:26], v[25:26], v[37:38], v[31:32]
	v_add_f64 v[19:20], v[19:20], 0
	v_add_f64 v[5:6], v[5:6], 0
	s_waitcnt vmcnt(4)
	v_fma_f64 v[27:28], v[27:28], v[39:40], -v[33:34]
	v_fma_f64 v[21:22], v[29:30], v[39:40], v[21:22]
	v_add_f64 v[19:20], v[19:20], v[23:24]
	v_add_f64 v[5:6], v[5:6], v[25:26]
	;; [unrolled: 1-line block ×4, first 2 shown]
	s_waitcnt vmcnt(2)
	v_add_f64 v[19:20], v[41:42], -v[19:20]
	s_waitcnt vmcnt(0)
	v_add_f64 v[5:6], v[43:44], -v[5:6]
	buffer_store_dword v19, off, s[0:3], 0 offset:32
	buffer_store_dword v20, off, s[0:3], 0 offset:36
	;; [unrolled: 1-line block ×4, first 2 shown]
	v_cmpx_lt_u32_e32 1, v0
	s_cbranch_execz .LBB69_47
; %bb.46:
	v_mov_b32_e32 v5, s18
	s_clause 0x3
	buffer_load_dword v19, v5, s[0:3], 0 offen
	buffer_load_dword v20, v5, s[0:3], 0 offen offset:4
	buffer_load_dword v21, v5, s[0:3], 0 offen offset:8
	buffer_load_dword v22, v5, s[0:3], 0 offen offset:12
	buffer_store_dword v4, off, s[0:3], 0 offset:16
	buffer_store_dword v4, off, s[0:3], 0 offset:20
	;; [unrolled: 1-line block ×4, first 2 shown]
	s_waitcnt vmcnt(0)
	ds_write_b128 v3, v[19:22]
.LBB69_47:
	s_or_b32 exec_lo, exec_lo, s6
	s_waitcnt lgkmcnt(0)
	s_waitcnt_vscnt null, 0x0
	s_barrier
	buffer_gl0_inv
	s_clause 0x13
	buffer_load_dword v5, off, s[0:3], 0 offset:40
	buffer_load_dword v6, off, s[0:3], 0 offset:44
	;; [unrolled: 1-line block ×20, first 2 shown]
	ds_read_b128 v[19:22], v4 offset:128
	ds_read_b128 v[23:26], v4 offset:144
	ds_read_b128 v[27:30], v4 offset:160
	s_mov_b32 s6, exec_lo
	s_waitcnt vmcnt(18) lgkmcnt(2)
	v_mul_f64 v[49:50], v[21:22], v[5:6]
	v_mul_f64 v[5:6], v[19:20], v[5:6]
	s_waitcnt vmcnt(16) lgkmcnt(1)
	v_mul_f64 v[51:52], v[25:26], v[31:32]
	v_mul_f64 v[31:32], v[23:24], v[31:32]
	s_waitcnt vmcnt(14)
	v_fma_f64 v[49:50], v[19:20], v[33:34], -v[49:50]
	v_fma_f64 v[5:6], v[21:22], v[33:34], v[5:6]
	ds_read_b128 v[19:22], v4 offset:176
	s_waitcnt vmcnt(12) lgkmcnt(1)
	v_mul_f64 v[33:34], v[27:28], v[35:36]
	v_mul_f64 v[35:36], v[29:30], v[35:36]
	s_waitcnt vmcnt(10)
	v_fma_f64 v[23:24], v[23:24], v[37:38], -v[51:52]
	v_fma_f64 v[25:26], v[25:26], v[37:38], v[31:32]
	s_waitcnt vmcnt(8) lgkmcnt(0)
	v_mul_f64 v[37:38], v[21:22], v[39:40]
	v_add_f64 v[49:50], v[49:50], 0
	v_add_f64 v[4:5], v[5:6], 0
	v_mul_f64 v[31:32], v[19:20], v[39:40]
	s_waitcnt vmcnt(6)
	v_fma_f64 v[27:28], v[27:28], v[41:42], -v[35:36]
	v_fma_f64 v[29:30], v[29:30], v[41:42], v[33:34]
	s_waitcnt vmcnt(4)
	v_fma_f64 v[19:20], v[19:20], v[43:44], -v[37:38]
	v_add_f64 v[23:24], v[49:50], v[23:24]
	v_add_f64 v[4:5], v[4:5], v[25:26]
	v_fma_f64 v[21:22], v[21:22], v[43:44], v[31:32]
	v_add_f64 v[23:24], v[23:24], v[27:28]
	v_add_f64 v[4:5], v[4:5], v[29:30]
	;; [unrolled: 1-line block ×4, first 2 shown]
	s_waitcnt vmcnt(2)
	v_add_f64 v[19:20], v[45:46], -v[19:20]
	s_waitcnt vmcnt(0)
	v_add_f64 v[4:5], v[47:48], -v[4:5]
	buffer_store_dword v19, off, s[0:3], 0 offset:16
	buffer_store_dword v20, off, s[0:3], 0 offset:20
	;; [unrolled: 1-line block ×4, first 2 shown]
	v_cmpx_ne_u32_e32 0, v0
	s_cbranch_execz .LBB69_49
; %bb.48:
	s_clause 0x3
	buffer_load_dword v19, off, s[0:3], 0
	buffer_load_dword v20, off, s[0:3], 0 offset:4
	buffer_load_dword v21, off, s[0:3], 0 offset:8
	;; [unrolled: 1-line block ×3, first 2 shown]
	v_mov_b32_e32 v4, 0
	buffer_store_dword v4, off, s[0:3], 0
	buffer_store_dword v4, off, s[0:3], 0 offset:4
	buffer_store_dword v4, off, s[0:3], 0 offset:8
	;; [unrolled: 1-line block ×3, first 2 shown]
	s_waitcnt vmcnt(0)
	ds_write_b128 v3, v[19:22]
.LBB69_49:
	s_or_b32 exec_lo, exec_lo, s6
	s_waitcnt lgkmcnt(0)
	s_waitcnt_vscnt null, 0x0
	s_barrier
	buffer_gl0_inv
	s_clause 0x17
	buffer_load_dword v4, off, s[0:3], 0 offset:24
	buffer_load_dword v5, off, s[0:3], 0 offset:28
	;; [unrolled: 1-line block ×20, first 2 shown]
	buffer_load_dword v49, off, s[0:3], 0
	buffer_load_dword v50, off, s[0:3], 0 offset:4
	buffer_load_dword v51, off, s[0:3], 0 offset:8
	;; [unrolled: 1-line block ×3, first 2 shown]
	v_mov_b32_e32 v3, 0
	ds_read_b128 v[19:22], v3 offset:112
	ds_read_b128 v[23:26], v3 offset:128
	;; [unrolled: 1-line block ×3, first 2 shown]
	s_and_b32 vcc_lo, exec_lo, s19
	s_waitcnt vmcnt(22) lgkmcnt(2)
	v_mul_f64 v[53:54], v[21:22], v[4:5]
	v_mul_f64 v[4:5], v[19:20], v[4:5]
	s_waitcnt vmcnt(20) lgkmcnt(1)
	v_mul_f64 v[55:56], v[25:26], v[31:32]
	v_mul_f64 v[31:32], v[23:24], v[31:32]
	s_waitcnt vmcnt(18)
	v_fma_f64 v[53:54], v[19:20], v[33:34], -v[53:54]
	v_fma_f64 v[4:5], v[21:22], v[33:34], v[4:5]
	ds_read_b128 v[19:22], v3 offset:160
	s_waitcnt vmcnt(16) lgkmcnt(1)
	v_mul_f64 v[33:34], v[27:28], v[35:36]
	v_mul_f64 v[35:36], v[29:30], v[35:36]
	s_waitcnt vmcnt(14)
	v_fma_f64 v[55:56], v[23:24], v[37:38], -v[55:56]
	v_fma_f64 v[31:32], v[25:26], v[37:38], v[31:32]
	ds_read_b128 v[23:26], v3 offset:176
	s_waitcnt vmcnt(10) lgkmcnt(1)
	v_mul_f64 v[37:38], v[19:20], v[39:40]
	v_add_f64 v[53:54], v[53:54], 0
	v_add_f64 v[4:5], v[4:5], 0
	v_mul_f64 v[39:40], v[21:22], v[39:40]
	s_waitcnt vmcnt(8)
	v_fma_f64 v[27:28], v[27:28], v[45:46], -v[35:36]
	v_fma_f64 v[29:30], v[29:30], v[45:46], v[33:34]
	s_waitcnt vmcnt(7) lgkmcnt(0)
	v_mul_f64 v[33:34], v[25:26], v[41:42]
	s_waitcnt vmcnt(5)
	v_fma_f64 v[21:22], v[21:22], v[47:48], v[37:38]
	v_add_f64 v[35:36], v[53:54], v[55:56]
	v_add_f64 v[4:5], v[4:5], v[31:32]
	v_fma_f64 v[19:20], v[19:20], v[47:48], -v[39:40]
	v_mul_f64 v[31:32], v[23:24], v[41:42]
	s_waitcnt vmcnt(4)
	v_fma_f64 v[23:24], v[23:24], v[43:44], -v[33:34]
	v_add_f64 v[27:28], v[35:36], v[27:28]
	v_add_f64 v[4:5], v[4:5], v[29:30]
	v_fma_f64 v[25:26], v[25:26], v[43:44], v[31:32]
	v_add_f64 v[19:20], v[27:28], v[19:20]
	v_add_f64 v[4:5], v[4:5], v[21:22]
	v_add_f64 v[19:20], v[19:20], v[23:24]
	v_add_f64 v[4:5], v[4:5], v[25:26]
	s_waitcnt vmcnt(2)
	v_add_f64 v[19:20], v[49:50], -v[19:20]
	s_waitcnt vmcnt(0)
	v_add_f64 v[4:5], v[51:52], -v[4:5]
	buffer_store_dword v20, off, s[0:3], 0 offset:4
	buffer_store_dword v19, off, s[0:3], 0
	buffer_store_dword v5, off, s[0:3], 0 offset:12
	buffer_store_dword v4, off, s[0:3], 0 offset:8
	s_cbranch_vccz .LBB69_60
; %bb.50:
	global_load_dword v3, v3, s[10:11] offset:16
	s_load_dwordx2 s[4:5], s[4:5], 0x4
	s_waitcnt lgkmcnt(0)
	s_lshr_b32 s4, s4, 16
	v_mul_u32_u24_e32 v4, s5, v1
	s_mul_i32 s4, s4, s5
	v_mul_u32_u24_e32 v0, s4, v0
	v_add3_u32 v0, v0, v4, v2
	v_lshl_add_u32 v0, v0, 4, 0xc8
	s_waitcnt vmcnt(0)
	v_add_nc_u32_e32 v1, -1, v3
	v_cmp_ne_u32_e32 vcc_lo, 4, v1
	s_cbranch_vccz .LBB69_52
; %bb.51:
	v_lshlrev_b32_e32 v1, 4, v1
	v_mov_b32_e32 v5, s13
	v_mov_b32_e32 v6, v1
	s_clause 0x7
	buffer_load_dword v1, v5, s[0:3], 0 offen
	buffer_load_dword v2, v5, s[0:3], 0 offen offset:4
	buffer_load_dword v3, v5, s[0:3], 0 offen offset:8
	;; [unrolled: 1-line block ×3, first 2 shown]
	buffer_load_dword v19, v6, s[0:3], 0 offen
	buffer_load_dword v20, v6, s[0:3], 0 offen offset:4
	buffer_load_dword v21, v6, s[0:3], 0 offen offset:8
	;; [unrolled: 1-line block ×3, first 2 shown]
	s_waitcnt vmcnt(4)
	ds_write2_b64 v0, v[1:2], v[3:4] offset1:1
	s_waitcnt vmcnt(3)
	buffer_store_dword v19, v5, s[0:3], 0 offen
	s_waitcnt vmcnt(2)
	buffer_store_dword v20, v5, s[0:3], 0 offen offset:4
	s_waitcnt vmcnt(1)
	buffer_store_dword v21, v5, s[0:3], 0 offen offset:8
	;; [unrolled: 2-line block ×3, first 2 shown]
	buffer_store_dword v4, v6, s[0:3], 0 offen offset:12
	buffer_store_dword v3, v6, s[0:3], 0 offen offset:8
	;; [unrolled: 1-line block ×3, first 2 shown]
	buffer_store_dword v1, v6, s[0:3], 0 offen
.LBB69_52:
	v_mov_b32_e32 v1, 0
	global_load_dword v2, v1, s[10:11] offset:12
	s_waitcnt vmcnt(0)
	v_add_nc_u32_e32 v2, -1, v2
	v_cmp_eq_u32_e32 vcc_lo, 3, v2
	s_cbranch_vccnz .LBB69_54
; %bb.53:
	v_lshlrev_b32_e32 v2, 4, v2
	v_mov_b32_e32 v6, s16
	v_mov_b32_e32 v19, v2
	s_clause 0x7
	buffer_load_dword v2, v6, s[0:3], 0 offen
	buffer_load_dword v3, v6, s[0:3], 0 offen offset:4
	buffer_load_dword v4, v6, s[0:3], 0 offen offset:8
	;; [unrolled: 1-line block ×3, first 2 shown]
	buffer_load_dword v20, v19, s[0:3], 0 offen
	buffer_load_dword v21, v19, s[0:3], 0 offen offset:4
	buffer_load_dword v22, v19, s[0:3], 0 offen offset:8
	;; [unrolled: 1-line block ×3, first 2 shown]
	s_waitcnt vmcnt(4)
	ds_write2_b64 v0, v[2:3], v[4:5] offset1:1
	s_waitcnt vmcnt(3)
	buffer_store_dword v20, v6, s[0:3], 0 offen
	s_waitcnt vmcnt(2)
	buffer_store_dword v21, v6, s[0:3], 0 offen offset:4
	s_waitcnt vmcnt(1)
	buffer_store_dword v22, v6, s[0:3], 0 offen offset:8
	;; [unrolled: 2-line block ×3, first 2 shown]
	buffer_store_dword v5, v19, s[0:3], 0 offen offset:12
	buffer_store_dword v4, v19, s[0:3], 0 offen offset:8
	;; [unrolled: 1-line block ×3, first 2 shown]
	buffer_store_dword v2, v19, s[0:3], 0 offen
.LBB69_54:
	global_load_dword v1, v1, s[10:11] offset:8
	s_waitcnt vmcnt(0)
	v_add_nc_u32_e32 v1, -1, v1
	v_cmp_eq_u32_e32 vcc_lo, 2, v1
	s_cbranch_vccnz .LBB69_56
; %bb.55:
	v_lshlrev_b32_e32 v1, 4, v1
	v_mov_b32_e32 v5, s17
	v_mov_b32_e32 v6, v1
	s_clause 0x7
	buffer_load_dword v1, v5, s[0:3], 0 offen
	buffer_load_dword v2, v5, s[0:3], 0 offen offset:4
	buffer_load_dword v3, v5, s[0:3], 0 offen offset:8
	;; [unrolled: 1-line block ×3, first 2 shown]
	buffer_load_dword v19, v6, s[0:3], 0 offen
	buffer_load_dword v20, v6, s[0:3], 0 offen offset:4
	buffer_load_dword v21, v6, s[0:3], 0 offen offset:8
	;; [unrolled: 1-line block ×3, first 2 shown]
	s_waitcnt vmcnt(4)
	ds_write2_b64 v0, v[1:2], v[3:4] offset1:1
	s_waitcnt vmcnt(3)
	buffer_store_dword v19, v5, s[0:3], 0 offen
	s_waitcnt vmcnt(2)
	buffer_store_dword v20, v5, s[0:3], 0 offen offset:4
	s_waitcnt vmcnt(1)
	buffer_store_dword v21, v5, s[0:3], 0 offen offset:8
	s_waitcnt vmcnt(0)
	buffer_store_dword v22, v5, s[0:3], 0 offen offset:12
	buffer_store_dword v4, v6, s[0:3], 0 offen offset:12
	buffer_store_dword v3, v6, s[0:3], 0 offen offset:8
	;; [unrolled: 1-line block ×3, first 2 shown]
	buffer_store_dword v1, v6, s[0:3], 0 offen
.LBB69_56:
	v_mov_b32_e32 v1, 0
	global_load_dword v2, v1, s[10:11] offset:4
	s_waitcnt vmcnt(0)
	v_add_nc_u32_e32 v2, -1, v2
	v_cmp_eq_u32_e32 vcc_lo, 1, v2
	s_cbranch_vccnz .LBB69_58
; %bb.57:
	v_lshlrev_b32_e32 v2, 4, v2
	v_mov_b32_e32 v6, s18
	v_mov_b32_e32 v19, v2
	s_clause 0x7
	buffer_load_dword v2, v6, s[0:3], 0 offen
	buffer_load_dword v3, v6, s[0:3], 0 offen offset:4
	buffer_load_dword v4, v6, s[0:3], 0 offen offset:8
	;; [unrolled: 1-line block ×3, first 2 shown]
	buffer_load_dword v20, v19, s[0:3], 0 offen
	buffer_load_dword v21, v19, s[0:3], 0 offen offset:4
	buffer_load_dword v22, v19, s[0:3], 0 offen offset:8
	;; [unrolled: 1-line block ×3, first 2 shown]
	s_waitcnt vmcnt(4)
	ds_write2_b64 v0, v[2:3], v[4:5] offset1:1
	s_waitcnt vmcnt(3)
	buffer_store_dword v20, v6, s[0:3], 0 offen
	s_waitcnt vmcnt(2)
	buffer_store_dword v21, v6, s[0:3], 0 offen offset:4
	s_waitcnt vmcnt(1)
	buffer_store_dword v22, v6, s[0:3], 0 offen offset:8
	;; [unrolled: 2-line block ×3, first 2 shown]
	buffer_store_dword v5, v19, s[0:3], 0 offen offset:12
	buffer_store_dword v4, v19, s[0:3], 0 offen offset:8
	;; [unrolled: 1-line block ×3, first 2 shown]
	buffer_store_dword v2, v19, s[0:3], 0 offen
.LBB69_58:
	global_load_dword v1, v1, s[10:11]
	s_waitcnt vmcnt(0)
	v_add_nc_u32_e32 v1, -1, v1
	v_cmp_eq_u32_e32 vcc_lo, 0, v1
	s_cbranch_vccnz .LBB69_60
; %bb.59:
	v_lshlrev_b32_e32 v1, 4, v1
	v_mov_b32_e32 v5, v1
	s_clause 0x7
	buffer_load_dword v1, off, s[0:3], 0
	buffer_load_dword v2, off, s[0:3], 0 offset:4
	buffer_load_dword v3, off, s[0:3], 0 offset:8
	;; [unrolled: 1-line block ×3, first 2 shown]
	buffer_load_dword v6, v5, s[0:3], 0 offen
	buffer_load_dword v19, v5, s[0:3], 0 offen offset:4
	buffer_load_dword v20, v5, s[0:3], 0 offen offset:8
	;; [unrolled: 1-line block ×3, first 2 shown]
	s_waitcnt vmcnt(4)
	ds_write2_b64 v0, v[1:2], v[3:4] offset1:1
	s_waitcnt vmcnt(3)
	buffer_store_dword v6, off, s[0:3], 0
	s_waitcnt vmcnt(2)
	buffer_store_dword v19, off, s[0:3], 0 offset:4
	s_waitcnt vmcnt(1)
	buffer_store_dword v20, off, s[0:3], 0 offset:8
	;; [unrolled: 2-line block ×3, first 2 shown]
	buffer_store_dword v4, v5, s[0:3], 0 offen offset:12
	buffer_store_dword v3, v5, s[0:3], 0 offen offset:8
	;; [unrolled: 1-line block ×3, first 2 shown]
	buffer_store_dword v1, v5, s[0:3], 0 offen
.LBB69_60:
	s_clause 0x3
	buffer_load_dword v0, off, s[0:3], 0
	buffer_load_dword v1, off, s[0:3], 0 offset:4
	buffer_load_dword v2, off, s[0:3], 0 offset:8
	;; [unrolled: 1-line block ×3, first 2 shown]
	v_mov_b32_e32 v4, s18
	s_waitcnt vmcnt(0)
	flat_store_dwordx4 v[7:8], v[0:3]
	s_clause 0x3
	buffer_load_dword v0, v4, s[0:3], 0 offen
	buffer_load_dword v1, v4, s[0:3], 0 offen offset:4
	buffer_load_dword v2, v4, s[0:3], 0 offen offset:8
	buffer_load_dword v3, v4, s[0:3], 0 offen offset:12
	v_mov_b32_e32 v4, s17
	s_waitcnt vmcnt(0)
	flat_store_dwordx4 v[9:10], v[0:3]
	s_clause 0x3
	buffer_load_dword v0, v4, s[0:3], 0 offen
	buffer_load_dword v1, v4, s[0:3], 0 offen offset:4
	buffer_load_dword v2, v4, s[0:3], 0 offen offset:8
	buffer_load_dword v3, v4, s[0:3], 0 offen offset:12
	;; [unrolled: 8-line block ×5, first 2 shown]
	s_waitcnt vmcnt(0)
	flat_store_dwordx4 v[17:18], v[0:3]
	s_endpgm
	.section	.rodata,"a",@progbits
	.p2align	6, 0x0
	.amdhsa_kernel _ZN9rocsolver6v33100L18getri_kernel_smallILi6E19rocblas_complex_numIdEPKPS3_EEvT1_iilPiilS8_bb
		.amdhsa_group_segment_fixed_size 1224
		.amdhsa_private_segment_fixed_size 112
		.amdhsa_kernarg_size 60
		.amdhsa_user_sgpr_count 8
		.amdhsa_user_sgpr_private_segment_buffer 1
		.amdhsa_user_sgpr_dispatch_ptr 1
		.amdhsa_user_sgpr_queue_ptr 0
		.amdhsa_user_sgpr_kernarg_segment_ptr 1
		.amdhsa_user_sgpr_dispatch_id 0
		.amdhsa_user_sgpr_flat_scratch_init 0
		.amdhsa_user_sgpr_private_segment_size 0
		.amdhsa_wavefront_size32 1
		.amdhsa_uses_dynamic_stack 0
		.amdhsa_system_sgpr_private_segment_wavefront_offset 1
		.amdhsa_system_sgpr_workgroup_id_x 1
		.amdhsa_system_sgpr_workgroup_id_y 0
		.amdhsa_system_sgpr_workgroup_id_z 0
		.amdhsa_system_sgpr_workgroup_info 0
		.amdhsa_system_vgpr_workitem_id 2
		.amdhsa_next_free_vgpr 57
		.amdhsa_next_free_sgpr 23
		.amdhsa_reserve_vcc 1
		.amdhsa_reserve_flat_scratch 0
		.amdhsa_float_round_mode_32 0
		.amdhsa_float_round_mode_16_64 0
		.amdhsa_float_denorm_mode_32 3
		.amdhsa_float_denorm_mode_16_64 3
		.amdhsa_dx10_clamp 1
		.amdhsa_ieee_mode 1
		.amdhsa_fp16_overflow 0
		.amdhsa_workgroup_processor_mode 1
		.amdhsa_memory_ordered 1
		.amdhsa_forward_progress 1
		.amdhsa_shared_vgpr_count 0
		.amdhsa_exception_fp_ieee_invalid_op 0
		.amdhsa_exception_fp_denorm_src 0
		.amdhsa_exception_fp_ieee_div_zero 0
		.amdhsa_exception_fp_ieee_overflow 0
		.amdhsa_exception_fp_ieee_underflow 0
		.amdhsa_exception_fp_ieee_inexact 0
		.amdhsa_exception_int_div_zero 0
	.end_amdhsa_kernel
	.section	.text._ZN9rocsolver6v33100L18getri_kernel_smallILi6E19rocblas_complex_numIdEPKPS3_EEvT1_iilPiilS8_bb,"axG",@progbits,_ZN9rocsolver6v33100L18getri_kernel_smallILi6E19rocblas_complex_numIdEPKPS3_EEvT1_iilPiilS8_bb,comdat
.Lfunc_end69:
	.size	_ZN9rocsolver6v33100L18getri_kernel_smallILi6E19rocblas_complex_numIdEPKPS3_EEvT1_iilPiilS8_bb, .Lfunc_end69-_ZN9rocsolver6v33100L18getri_kernel_smallILi6E19rocblas_complex_numIdEPKPS3_EEvT1_iilPiilS8_bb
                                        ; -- End function
	.set _ZN9rocsolver6v33100L18getri_kernel_smallILi6E19rocblas_complex_numIdEPKPS3_EEvT1_iilPiilS8_bb.num_vgpr, 57
	.set _ZN9rocsolver6v33100L18getri_kernel_smallILi6E19rocblas_complex_numIdEPKPS3_EEvT1_iilPiilS8_bb.num_agpr, 0
	.set _ZN9rocsolver6v33100L18getri_kernel_smallILi6E19rocblas_complex_numIdEPKPS3_EEvT1_iilPiilS8_bb.numbered_sgpr, 23
	.set _ZN9rocsolver6v33100L18getri_kernel_smallILi6E19rocblas_complex_numIdEPKPS3_EEvT1_iilPiilS8_bb.num_named_barrier, 0
	.set _ZN9rocsolver6v33100L18getri_kernel_smallILi6E19rocblas_complex_numIdEPKPS3_EEvT1_iilPiilS8_bb.private_seg_size, 112
	.set _ZN9rocsolver6v33100L18getri_kernel_smallILi6E19rocblas_complex_numIdEPKPS3_EEvT1_iilPiilS8_bb.uses_vcc, 1
	.set _ZN9rocsolver6v33100L18getri_kernel_smallILi6E19rocblas_complex_numIdEPKPS3_EEvT1_iilPiilS8_bb.uses_flat_scratch, 0
	.set _ZN9rocsolver6v33100L18getri_kernel_smallILi6E19rocblas_complex_numIdEPKPS3_EEvT1_iilPiilS8_bb.has_dyn_sized_stack, 0
	.set _ZN9rocsolver6v33100L18getri_kernel_smallILi6E19rocblas_complex_numIdEPKPS3_EEvT1_iilPiilS8_bb.has_recursion, 0
	.set _ZN9rocsolver6v33100L18getri_kernel_smallILi6E19rocblas_complex_numIdEPKPS3_EEvT1_iilPiilS8_bb.has_indirect_call, 0
	.section	.AMDGPU.csdata,"",@progbits
; Kernel info:
; codeLenInByte = 7304
; TotalNumSgprs: 25
; NumVgprs: 57
; ScratchSize: 112
; MemoryBound: 0
; FloatMode: 240
; IeeeMode: 1
; LDSByteSize: 1224 bytes/workgroup (compile time only)
; SGPRBlocks: 0
; VGPRBlocks: 7
; NumSGPRsForWavesPerEU: 25
; NumVGPRsForWavesPerEU: 57
; Occupancy: 16
; WaveLimiterHint : 1
; COMPUTE_PGM_RSRC2:SCRATCH_EN: 1
; COMPUTE_PGM_RSRC2:USER_SGPR: 8
; COMPUTE_PGM_RSRC2:TRAP_HANDLER: 0
; COMPUTE_PGM_RSRC2:TGID_X_EN: 1
; COMPUTE_PGM_RSRC2:TGID_Y_EN: 0
; COMPUTE_PGM_RSRC2:TGID_Z_EN: 0
; COMPUTE_PGM_RSRC2:TIDIG_COMP_CNT: 2
	.section	.text._ZN9rocsolver6v33100L18getri_kernel_smallILi7E19rocblas_complex_numIdEPKPS3_EEvT1_iilPiilS8_bb,"axG",@progbits,_ZN9rocsolver6v33100L18getri_kernel_smallILi7E19rocblas_complex_numIdEPKPS3_EEvT1_iilPiilS8_bb,comdat
	.globl	_ZN9rocsolver6v33100L18getri_kernel_smallILi7E19rocblas_complex_numIdEPKPS3_EEvT1_iilPiilS8_bb ; -- Begin function _ZN9rocsolver6v33100L18getri_kernel_smallILi7E19rocblas_complex_numIdEPKPS3_EEvT1_iilPiilS8_bb
	.p2align	8
	.type	_ZN9rocsolver6v33100L18getri_kernel_smallILi7E19rocblas_complex_numIdEPKPS3_EEvT1_iilPiilS8_bb,@function
_ZN9rocsolver6v33100L18getri_kernel_smallILi7E19rocblas_complex_numIdEPKPS3_EEvT1_iilPiilS8_bb: ; @_ZN9rocsolver6v33100L18getri_kernel_smallILi7E19rocblas_complex_numIdEPKPS3_EEvT1_iilPiilS8_bb
; %bb.0:
	s_add_u32 s0, s0, s9
	s_addc_u32 s1, s1, 0
	s_mov_b32 s9, exec_lo
	v_cmpx_gt_u32_e32 7, v0
	s_cbranch_execz .LBB70_42
; %bb.1:
	s_clause 0x2
	s_load_dword s18, s[6:7], 0x38
	s_load_dwordx2 s[10:11], s[6:7], 0x0
	s_load_dwordx4 s[12:15], s[6:7], 0x28
	s_waitcnt lgkmcnt(0)
	s_bitcmp1_b32 s18, 8
	s_cselect_b32 s20, -1, 0
	s_ashr_i32 s9, s8, 31
	s_lshl_b64 s[16:17], s[8:9], 3
	s_add_u32 s10, s10, s16
	s_addc_u32 s11, s11, s17
	s_load_dwordx2 s[16:17], s[10:11], 0x0
	s_bfe_u32 s10, s18, 0x10008
	s_cmp_eq_u32 s10, 0
                                        ; implicit-def: $sgpr10_sgpr11
	s_cbranch_scc1 .LBB70_3
; %bb.2:
	s_clause 0x1
	s_load_dword s10, s[6:7], 0x20
	s_load_dwordx2 s[18:19], s[6:7], 0x18
	s_mul_i32 s11, s12, s9
	s_mul_hi_u32 s21, s12, s8
	s_mul_i32 s13, s13, s8
	s_add_i32 s11, s21, s11
	s_mul_i32 s12, s12, s8
	s_add_i32 s13, s11, s13
	s_lshl_b64 s[12:13], s[12:13], 2
	s_waitcnt lgkmcnt(0)
	s_ashr_i32 s11, s10, 31
	s_add_u32 s12, s18, s12
	s_addc_u32 s13, s19, s13
	s_lshl_b64 s[10:11], s[10:11], 2
	s_add_u32 s10, s12, s10
	s_addc_u32 s11, s13, s11
.LBB70_3:
	s_clause 0x1
	s_load_dwordx2 s[12:13], s[6:7], 0x8
	s_load_dword s21, s[6:7], 0x38
	v_lshlrev_b32_e32 v27, 4, v0
	s_mov_b32 s19, 16
	s_mov_b32 s18, 32
	s_waitcnt lgkmcnt(0)
	s_ashr_i32 s7, s12, 31
	s_mov_b32 s6, s12
	v_add3_u32 v13, s13, s13, v0
	s_lshl_b64 s[6:7], s[6:7], 4
	s_add_u32 s12, s16, s6
	s_addc_u32 s16, s17, s7
	v_add_co_u32 v7, s6, s12, v27
	v_add_co_ci_u32_e64 v8, null, s16, 0, s6
	s_mov_b32 s6, s13
	s_ashr_i32 s7, s13, 31
	v_ashrrev_i32_e32 v14, 31, v13
	flat_load_dwordx4 v[3:6], v[7:8]
	s_lshl_b64 s[6:7], s[6:7], 4
	v_add_nc_u32_e32 v15, s13, v13
	v_add_co_u32 v9, vcc_lo, v7, s6
	v_add_co_ci_u32_e64 v10, null, s7, v8, vcc_lo
	v_lshlrev_b64 v[11:12], 4, v[13:14]
	v_ashrrev_i32_e32 v16, 31, v15
	v_add_nc_u32_e32 v17, s13, v15
	s_mov_b32 s7, -1
	s_mov_b32 s17, 48
	s_bitcmp0_b32 s21, 0
	v_add_co_u32 v11, vcc_lo, s12, v11
	v_add_co_ci_u32_e64 v12, null, s16, v12, vcc_lo
	v_lshlrev_b64 v[13:14], 4, v[15:16]
	v_ashrrev_i32_e32 v18, 31, v17
	v_add_nc_u32_e32 v19, s13, v17
	s_waitcnt vmcnt(0) lgkmcnt(0)
	buffer_store_dword v6, off, s[0:3], 0 offset:12
	buffer_store_dword v5, off, s[0:3], 0 offset:8
	;; [unrolled: 1-line block ×3, first 2 shown]
	buffer_store_dword v3, off, s[0:3], 0
	flat_load_dwordx4 v[3:6], v[9:10]
	v_add_co_u32 v13, vcc_lo, s12, v13
	v_add_co_ci_u32_e64 v14, null, s16, v14, vcc_lo
	v_lshlrev_b64 v[15:16], 4, v[17:18]
	v_ashrrev_i32_e32 v20, 31, v19
	s_waitcnt vmcnt(0) lgkmcnt(0)
	buffer_store_dword v6, off, s[0:3], 0 offset:28
	buffer_store_dword v5, off, s[0:3], 0 offset:24
	;; [unrolled: 1-line block ×4, first 2 shown]
	flat_load_dwordx4 v[3:6], v[11:12]
	v_add_co_u32 v15, vcc_lo, s12, v15
	v_add_co_ci_u32_e64 v16, null, s16, v16, vcc_lo
	v_lshlrev_b64 v[17:18], 4, v[19:20]
	v_add_nc_u32_e32 v19, s13, v19
	s_movk_i32 s13, 0x50
	s_waitcnt vmcnt(0) lgkmcnt(0)
	buffer_store_dword v6, off, s[0:3], 0 offset:44
	buffer_store_dword v5, off, s[0:3], 0 offset:40
	;; [unrolled: 1-line block ×4, first 2 shown]
	flat_load_dwordx4 v[3:6], v[13:14]
	v_add_co_u32 v17, vcc_lo, s12, v17
	v_add_co_ci_u32_e64 v18, null, s16, v18, vcc_lo
	v_ashrrev_i32_e32 v20, 31, v19
	s_waitcnt vmcnt(0) lgkmcnt(0)
	buffer_store_dword v6, off, s[0:3], 0 offset:60
	buffer_store_dword v5, off, s[0:3], 0 offset:56
	;; [unrolled: 1-line block ×4, first 2 shown]
	flat_load_dwordx4 v[3:6], v[15:16]
	v_lshlrev_b64 v[19:20], 4, v[19:20]
	s_waitcnt vmcnt(0) lgkmcnt(0)
	buffer_store_dword v6, off, s[0:3], 0 offset:76
	buffer_store_dword v5, off, s[0:3], 0 offset:72
	;; [unrolled: 1-line block ×4, first 2 shown]
	flat_load_dwordx4 v[3:6], v[17:18]
	v_add_co_u32 v19, vcc_lo, s12, v19
	v_add_co_ci_u32_e64 v20, null, s16, v20, vcc_lo
	s_movk_i32 s12, 0x60
	s_mov_b32 s16, 64
	s_waitcnt vmcnt(0) lgkmcnt(0)
	buffer_store_dword v6, off, s[0:3], 0 offset:92
	buffer_store_dword v5, off, s[0:3], 0 offset:88
	;; [unrolled: 1-line block ×4, first 2 shown]
	flat_load_dwordx4 v[3:6], v[19:20]
	s_waitcnt vmcnt(0) lgkmcnt(0)
	buffer_store_dword v6, off, s[0:3], 0 offset:108
	buffer_store_dword v5, off, s[0:3], 0 offset:104
	;; [unrolled: 1-line block ×4, first 2 shown]
	s_cbranch_scc1 .LBB70_40
; %bb.4:
	v_cmp_eq_u32_e64 s6, 0, v0
	s_and_saveexec_b32 s7, s6
; %bb.5:
	v_mov_b32_e32 v3, 0
	ds_write_b32 v3, v3 offset:224
; %bb.6:
	s_or_b32 exec_lo, exec_lo, s7
	v_lshl_add_u32 v28, v0, 4, 0
	s_waitcnt lgkmcnt(0)
	s_waitcnt_vscnt null, 0x0
	s_barrier
	buffer_gl0_inv
	s_clause 0x3
	buffer_load_dword v3, v28, s[0:3], 0 offen
	buffer_load_dword v4, v28, s[0:3], 0 offen offset:4
	buffer_load_dword v5, v28, s[0:3], 0 offen offset:8
	;; [unrolled: 1-line block ×3, first 2 shown]
	s_waitcnt vmcnt(2)
	v_cmp_eq_f64_e32 vcc_lo, 0, v[3:4]
	s_waitcnt vmcnt(0)
	v_cmp_eq_f64_e64 s7, 0, v[5:6]
	s_and_b32 s7, vcc_lo, s7
	s_and_saveexec_b32 s21, s7
	s_cbranch_execz .LBB70_10
; %bb.7:
	v_mov_b32_e32 v3, 0
	s_mov_b32 s22, 0
	ds_read_b32 v4, v3 offset:224
	s_waitcnt lgkmcnt(0)
	v_readfirstlane_b32 s7, v4
	v_add_nc_u32_e32 v4, 1, v0
	s_cmp_eq_u32 s7, 0
	v_cmp_gt_i32_e32 vcc_lo, s7, v4
	s_cselect_b32 s23, -1, 0
	s_or_b32 s23, s23, vcc_lo
	s_and_b32 exec_lo, exec_lo, s23
	s_cbranch_execz .LBB70_10
; %bb.8:
	v_mov_b32_e32 v5, s7
.LBB70_9:                               ; =>This Inner Loop Header: Depth=1
	ds_cmpst_rtn_b32 v5, v3, v5, v4 offset:224
	s_waitcnt lgkmcnt(0)
	v_cmp_ne_u32_e32 vcc_lo, 0, v5
	v_cmp_le_i32_e64 s7, v5, v4
	s_and_b32 s7, vcc_lo, s7
	s_and_b32 s7, exec_lo, s7
	s_or_b32 s22, s7, s22
	s_andn2_b32 exec_lo, exec_lo, s22
	s_cbranch_execnz .LBB70_9
.LBB70_10:
	s_or_b32 exec_lo, exec_lo, s21
	v_mov_b32_e32 v3, 0
	s_barrier
	buffer_gl0_inv
	ds_read_b32 v4, v3 offset:224
	s_and_saveexec_b32 s7, s6
	s_cbranch_execz .LBB70_12
; %bb.11:
	s_lshl_b64 s[22:23], s[8:9], 2
	s_add_u32 s22, s14, s22
	s_addc_u32 s23, s15, s23
	s_waitcnt lgkmcnt(0)
	global_store_dword v3, v4, s[22:23]
.LBB70_12:
	s_or_b32 exec_lo, exec_lo, s7
	s_waitcnt lgkmcnt(0)
	v_cmp_ne_u32_e32 vcc_lo, 0, v4
	s_mov_b32 s7, 0
	s_cbranch_vccnz .LBB70_40
; %bb.13:
	s_clause 0x3
	buffer_load_dword v23, v28, s[0:3], 0 offen
	buffer_load_dword v24, v28, s[0:3], 0 offen offset:4
	buffer_load_dword v25, v28, s[0:3], 0 offen offset:8
	;; [unrolled: 1-line block ×3, first 2 shown]
                                        ; implicit-def: $vgpr21_vgpr22
                                        ; implicit-def: $vgpr5_vgpr6
	s_waitcnt vmcnt(0)
	v_cmp_ngt_f64_e64 s7, |v[23:24]|, |v[25:26]|
	s_and_saveexec_b32 s21, s7
	s_xor_b32 s7, exec_lo, s21
	s_cbranch_execz .LBB70_15
; %bb.14:
	v_div_scale_f64 v[3:4], null, v[25:26], v[25:26], v[23:24]
	v_div_scale_f64 v[29:30], vcc_lo, v[23:24], v[25:26], v[23:24]
	v_rcp_f64_e32 v[5:6], v[3:4]
	v_fma_f64 v[21:22], -v[3:4], v[5:6], 1.0
	v_fma_f64 v[5:6], v[5:6], v[21:22], v[5:6]
	v_fma_f64 v[21:22], -v[3:4], v[5:6], 1.0
	v_fma_f64 v[5:6], v[5:6], v[21:22], v[5:6]
	v_mul_f64 v[21:22], v[29:30], v[5:6]
	v_fma_f64 v[3:4], -v[3:4], v[21:22], v[29:30]
	v_div_fmas_f64 v[3:4], v[3:4], v[5:6], v[21:22]
	v_div_fixup_f64 v[3:4], v[3:4], v[25:26], v[23:24]
	v_fma_f64 v[5:6], v[23:24], v[3:4], v[25:26]
	v_div_scale_f64 v[21:22], null, v[5:6], v[5:6], 1.0
	v_div_scale_f64 v[29:30], vcc_lo, 1.0, v[5:6], 1.0
	v_rcp_f64_e32 v[23:24], v[21:22]
	v_fma_f64 v[25:26], -v[21:22], v[23:24], 1.0
	v_fma_f64 v[23:24], v[23:24], v[25:26], v[23:24]
	v_fma_f64 v[25:26], -v[21:22], v[23:24], 1.0
	v_fma_f64 v[23:24], v[23:24], v[25:26], v[23:24]
	v_mul_f64 v[25:26], v[29:30], v[23:24]
	v_fma_f64 v[21:22], -v[21:22], v[25:26], v[29:30]
	v_div_fmas_f64 v[21:22], v[21:22], v[23:24], v[25:26]
                                        ; implicit-def: $vgpr23_vgpr24
                                        ; implicit-def: $vgpr25_vgpr26
	v_div_fixup_f64 v[5:6], v[21:22], v[5:6], 1.0
	v_mul_f64 v[21:22], v[3:4], v[5:6]
	v_xor_b32_e32 v6, 0x80000000, v6
	v_xor_b32_e32 v4, 0x80000000, v22
	v_mov_b32_e32 v3, v21
.LBB70_15:
	s_andn2_saveexec_b32 s7, s7
	s_cbranch_execz .LBB70_17
; %bb.16:
	v_div_scale_f64 v[3:4], null, v[23:24], v[23:24], v[25:26]
	v_div_scale_f64 v[29:30], vcc_lo, v[25:26], v[23:24], v[25:26]
	v_rcp_f64_e32 v[5:6], v[3:4]
	v_fma_f64 v[21:22], -v[3:4], v[5:6], 1.0
	v_fma_f64 v[5:6], v[5:6], v[21:22], v[5:6]
	v_fma_f64 v[21:22], -v[3:4], v[5:6], 1.0
	v_fma_f64 v[5:6], v[5:6], v[21:22], v[5:6]
	v_mul_f64 v[21:22], v[29:30], v[5:6]
	v_fma_f64 v[3:4], -v[3:4], v[21:22], v[29:30]
	v_div_fmas_f64 v[3:4], v[3:4], v[5:6], v[21:22]
	v_div_fixup_f64 v[3:4], v[3:4], v[23:24], v[25:26]
	v_fma_f64 v[5:6], v[25:26], v[3:4], v[23:24]
	v_div_scale_f64 v[21:22], null, v[5:6], v[5:6], 1.0
	v_rcp_f64_e32 v[23:24], v[21:22]
	v_fma_f64 v[25:26], -v[21:22], v[23:24], 1.0
	v_fma_f64 v[23:24], v[23:24], v[25:26], v[23:24]
	v_fma_f64 v[25:26], -v[21:22], v[23:24], 1.0
	v_fma_f64 v[23:24], v[23:24], v[25:26], v[23:24]
	v_div_scale_f64 v[25:26], vcc_lo, 1.0, v[5:6], 1.0
	v_mul_f64 v[29:30], v[25:26], v[23:24]
	v_fma_f64 v[21:22], -v[21:22], v[29:30], v[25:26]
	v_div_fmas_f64 v[21:22], v[21:22], v[23:24], v[29:30]
	v_div_fixup_f64 v[21:22], v[21:22], v[5:6], 1.0
	v_mul_f64 v[5:6], v[3:4], -v[21:22]
	v_xor_b32_e32 v4, 0x80000000, v22
	v_mov_b32_e32 v3, v21
.LBB70_17:
	s_or_b32 exec_lo, exec_lo, s7
	v_mov_b32_e32 v26, s19
	buffer_store_dword v22, v28, s[0:3], 0 offen offset:4
	buffer_store_dword v21, v28, s[0:3], 0 offen
	buffer_store_dword v6, v28, s[0:3], 0 offen offset:12
	buffer_store_dword v5, v28, s[0:3], 0 offen offset:8
	v_xor_b32_e32 v6, 0x80000000, v6
	v_add_nc_u32_e32 v21, 0x70, v27
	s_clause 0x3
	buffer_load_dword v25, v26, s[0:3], 0 offen offset:12
	buffer_load_dword v24, v26, s[0:3], 0 offen offset:8
	;; [unrolled: 1-line block ×3, first 2 shown]
	buffer_load_dword v22, v26, s[0:3], 0 offen
	ds_write_b128 v27, v[3:6]
	s_waitcnt vmcnt(0)
	ds_write_b128 v27, v[22:25] offset:112
	s_waitcnt lgkmcnt(0)
	s_waitcnt_vscnt null, 0x0
	s_barrier
	buffer_gl0_inv
	s_and_saveexec_b32 s7, s6
	s_cbranch_execz .LBB70_19
; %bb.18:
	s_clause 0x3
	buffer_load_dword v29, v28, s[0:3], 0 offen offset:8
	buffer_load_dword v30, v28, s[0:3], 0 offen offset:12
	buffer_load_dword v31, v28, s[0:3], 0 offen
	buffer_load_dword v32, v28, s[0:3], 0 offen offset:4
	ds_read_b128 v[3:6], v21
	v_mov_b32_e32 v22, 0
	ds_read_b128 v[22:25], v22 offset:16
	s_waitcnt vmcnt(2) lgkmcnt(1)
	v_mul_f64 v[33:34], v[3:4], v[29:30]
	v_mul_f64 v[29:30], v[5:6], v[29:30]
	s_waitcnt vmcnt(0)
	v_fma_f64 v[5:6], v[5:6], v[31:32], v[33:34]
	v_fma_f64 v[3:4], v[3:4], v[31:32], -v[29:30]
	v_add_f64 v[5:6], v[5:6], 0
	v_add_f64 v[3:4], v[3:4], 0
	s_waitcnt lgkmcnt(0)
	v_mul_f64 v[29:30], v[5:6], v[24:25]
	v_mul_f64 v[24:25], v[3:4], v[24:25]
	v_fma_f64 v[3:4], v[3:4], v[22:23], -v[29:30]
	v_fma_f64 v[5:6], v[5:6], v[22:23], v[24:25]
	buffer_store_dword v3, off, s[0:3], 0 offset:16
	buffer_store_dword v4, off, s[0:3], 0 offset:20
	;; [unrolled: 1-line block ×4, first 2 shown]
.LBB70_19:
	s_or_b32 exec_lo, exec_lo, s7
	v_mov_b32_e32 v6, s18
	s_waitcnt_vscnt null, 0x0
	s_barrier
	buffer_gl0_inv
	s_mov_b32 s7, exec_lo
	s_clause 0x3
	buffer_load_dword v3, v6, s[0:3], 0 offen
	buffer_load_dword v4, v6, s[0:3], 0 offen offset:4
	buffer_load_dword v5, v6, s[0:3], 0 offen offset:8
	;; [unrolled: 1-line block ×3, first 2 shown]
	s_waitcnt vmcnt(0)
	ds_write_b128 v21, v[3:6]
	s_waitcnt lgkmcnt(0)
	s_barrier
	buffer_gl0_inv
	v_cmpx_gt_u32_e32 2, v0
	s_cbranch_execz .LBB70_23
; %bb.20:
	s_clause 0x3
	buffer_load_dword v22, v28, s[0:3], 0 offen offset:8
	buffer_load_dword v23, v28, s[0:3], 0 offen offset:12
	buffer_load_dword v24, v28, s[0:3], 0 offen
	buffer_load_dword v25, v28, s[0:3], 0 offen offset:4
	ds_read_b128 v[3:6], v21
	s_waitcnt vmcnt(2) lgkmcnt(0)
	v_mul_f64 v[28:29], v[5:6], v[22:23]
	v_mul_f64 v[22:23], v[3:4], v[22:23]
	s_waitcnt vmcnt(0)
	v_fma_f64 v[3:4], v[3:4], v[24:25], -v[28:29]
	v_fma_f64 v[5:6], v[5:6], v[24:25], v[22:23]
	v_add_f64 v[3:4], v[3:4], 0
	v_add_f64 v[5:6], v[5:6], 0
	s_and_saveexec_b32 s21, s6
	s_cbranch_execz .LBB70_22
; %bb.21:
	s_clause 0x3
	buffer_load_dword v28, off, s[0:3], 0 offset:24
	buffer_load_dword v29, off, s[0:3], 0 offset:28
	buffer_load_dword v30, off, s[0:3], 0 offset:16
	buffer_load_dword v31, off, s[0:3], 0 offset:20
	v_mov_b32_e32 v22, 0
	ds_read_b128 v[22:25], v22 offset:128
	s_waitcnt vmcnt(2) lgkmcnt(0)
	v_mul_f64 v[32:33], v[22:23], v[28:29]
	v_mul_f64 v[28:29], v[24:25], v[28:29]
	s_waitcnt vmcnt(0)
	v_fma_f64 v[24:25], v[24:25], v[30:31], v[32:33]
	v_fma_f64 v[22:23], v[22:23], v[30:31], -v[28:29]
	v_add_f64 v[5:6], v[5:6], v[24:25]
	v_add_f64 v[3:4], v[3:4], v[22:23]
.LBB70_22:
	s_or_b32 exec_lo, exec_lo, s21
	v_mov_b32_e32 v22, 0
	ds_read_b128 v[22:25], v22 offset:32
	s_waitcnt lgkmcnt(0)
	v_mul_f64 v[28:29], v[5:6], v[24:25]
	v_mul_f64 v[24:25], v[3:4], v[24:25]
	v_fma_f64 v[3:4], v[3:4], v[22:23], -v[28:29]
	v_fma_f64 v[5:6], v[5:6], v[22:23], v[24:25]
	buffer_store_dword v4, off, s[0:3], 0 offset:36
	buffer_store_dword v3, off, s[0:3], 0 offset:32
	;; [unrolled: 1-line block ×4, first 2 shown]
.LBB70_23:
	s_or_b32 exec_lo, exec_lo, s7
	v_mov_b32_e32 v6, s17
	s_waitcnt_vscnt null, 0x0
	s_barrier
	buffer_gl0_inv
	v_add_nc_u32_e32 v22, -1, v0
	s_clause 0x3
	buffer_load_dword v3, v6, s[0:3], 0 offen
	buffer_load_dword v4, v6, s[0:3], 0 offen offset:4
	buffer_load_dword v5, v6, s[0:3], 0 offen offset:8
	;; [unrolled: 1-line block ×3, first 2 shown]
	s_mov_b32 s6, exec_lo
	s_waitcnt vmcnt(0)
	ds_write_b128 v21, v[3:6]
	s_waitcnt lgkmcnt(0)
	s_barrier
	buffer_gl0_inv
	v_cmpx_gt_u32_e32 3, v0
	s_cbranch_execz .LBB70_27
; %bb.24:
	v_mov_b32_e32 v3, 0
	v_mov_b32_e32 v5, 0
	v_add_nc_u32_e32 v23, -1, v0
	v_add_nc_u32_e32 v24, 0x70, v27
	v_mov_b32_e32 v4, 0
	v_mov_b32_e32 v6, 0
	;; [unrolled: 1-line block ×3, first 2 shown]
	s_mov_b32 s7, 0
	.p2align	6
.LBB70_25:                              ; =>This Inner Loop Header: Depth=1
	s_clause 0x3
	buffer_load_dword v32, v25, s[0:3], 0 offen offset:8
	buffer_load_dword v33, v25, s[0:3], 0 offen offset:12
	buffer_load_dword v34, v25, s[0:3], 0 offen
	buffer_load_dword v35, v25, s[0:3], 0 offen offset:4
	ds_read_b128 v[28:31], v24
	v_add_nc_u32_e32 v23, 1, v23
	v_add_nc_u32_e32 v24, 16, v24
	;; [unrolled: 1-line block ×3, first 2 shown]
	v_cmp_lt_u32_e32 vcc_lo, 1, v23
	s_or_b32 s7, vcc_lo, s7
	s_waitcnt vmcnt(2) lgkmcnt(0)
	v_mul_f64 v[36:37], v[30:31], v[32:33]
	v_mul_f64 v[32:33], v[28:29], v[32:33]
	s_waitcnt vmcnt(0)
	v_fma_f64 v[28:29], v[28:29], v[34:35], -v[36:37]
	v_fma_f64 v[30:31], v[30:31], v[34:35], v[32:33]
	v_add_f64 v[5:6], v[5:6], v[28:29]
	v_add_f64 v[3:4], v[3:4], v[30:31]
	s_andn2_b32 exec_lo, exec_lo, s7
	s_cbranch_execnz .LBB70_25
; %bb.26:
	s_or_b32 exec_lo, exec_lo, s7
	v_mov_b32_e32 v23, 0
	ds_read_b128 v[23:26], v23 offset:48
	s_waitcnt lgkmcnt(0)
	v_mul_f64 v[28:29], v[3:4], v[25:26]
	v_mul_f64 v[25:26], v[5:6], v[25:26]
	v_fma_f64 v[5:6], v[5:6], v[23:24], -v[28:29]
	v_fma_f64 v[3:4], v[3:4], v[23:24], v[25:26]
	buffer_store_dword v6, off, s[0:3], 0 offset:52
	buffer_store_dword v5, off, s[0:3], 0 offset:48
	;; [unrolled: 1-line block ×4, first 2 shown]
.LBB70_27:
	s_or_b32 exec_lo, exec_lo, s6
	v_mov_b32_e32 v6, s16
	s_waitcnt_vscnt null, 0x0
	s_barrier
	buffer_gl0_inv
	s_mov_b32 s6, exec_lo
	s_clause 0x3
	buffer_load_dword v3, v6, s[0:3], 0 offen
	buffer_load_dword v4, v6, s[0:3], 0 offen offset:4
	buffer_load_dword v5, v6, s[0:3], 0 offen offset:8
	;; [unrolled: 1-line block ×3, first 2 shown]
	s_waitcnt vmcnt(0)
	ds_write_b128 v21, v[3:6]
	s_waitcnt lgkmcnt(0)
	s_barrier
	buffer_gl0_inv
	v_cmpx_gt_u32_e32 4, v0
	s_cbranch_execz .LBB70_31
; %bb.28:
	v_mov_b32_e32 v3, 0
	v_mov_b32_e32 v5, 0
	v_add_nc_u32_e32 v23, -1, v0
	v_add_nc_u32_e32 v24, 0x70, v27
	v_mov_b32_e32 v4, 0
	v_mov_b32_e32 v6, 0
	;; [unrolled: 1-line block ×3, first 2 shown]
	s_mov_b32 s7, 0
	.p2align	6
.LBB70_29:                              ; =>This Inner Loop Header: Depth=1
	s_clause 0x3
	buffer_load_dword v32, v25, s[0:3], 0 offen offset:8
	buffer_load_dword v33, v25, s[0:3], 0 offen offset:12
	buffer_load_dword v34, v25, s[0:3], 0 offen
	buffer_load_dword v35, v25, s[0:3], 0 offen offset:4
	ds_read_b128 v[28:31], v24
	v_add_nc_u32_e32 v23, 1, v23
	v_add_nc_u32_e32 v24, 16, v24
	;; [unrolled: 1-line block ×3, first 2 shown]
	v_cmp_lt_u32_e32 vcc_lo, 2, v23
	s_or_b32 s7, vcc_lo, s7
	s_waitcnt vmcnt(2) lgkmcnt(0)
	v_mul_f64 v[36:37], v[30:31], v[32:33]
	v_mul_f64 v[32:33], v[28:29], v[32:33]
	s_waitcnt vmcnt(0)
	v_fma_f64 v[28:29], v[28:29], v[34:35], -v[36:37]
	v_fma_f64 v[30:31], v[30:31], v[34:35], v[32:33]
	v_add_f64 v[5:6], v[5:6], v[28:29]
	v_add_f64 v[3:4], v[3:4], v[30:31]
	s_andn2_b32 exec_lo, exec_lo, s7
	s_cbranch_execnz .LBB70_29
; %bb.30:
	s_or_b32 exec_lo, exec_lo, s7
	v_mov_b32_e32 v23, 0
	ds_read_b128 v[23:26], v23 offset:64
	s_waitcnt lgkmcnt(0)
	v_mul_f64 v[28:29], v[3:4], v[25:26]
	v_mul_f64 v[25:26], v[5:6], v[25:26]
	v_fma_f64 v[5:6], v[5:6], v[23:24], -v[28:29]
	v_fma_f64 v[3:4], v[3:4], v[23:24], v[25:26]
	buffer_store_dword v6, off, s[0:3], 0 offset:68
	buffer_store_dword v5, off, s[0:3], 0 offset:64
	;; [unrolled: 1-line block ×4, first 2 shown]
.LBB70_31:
	s_or_b32 exec_lo, exec_lo, s6
	v_mov_b32_e32 v6, s13
	s_waitcnt_vscnt null, 0x0
	s_barrier
	buffer_gl0_inv
	s_mov_b32 s6, exec_lo
	s_clause 0x3
	buffer_load_dword v3, v6, s[0:3], 0 offen
	buffer_load_dword v4, v6, s[0:3], 0 offen offset:4
	buffer_load_dword v5, v6, s[0:3], 0 offen offset:8
	;; [unrolled: 1-line block ×3, first 2 shown]
	s_waitcnt vmcnt(0)
	ds_write_b128 v21, v[3:6]
	s_waitcnt lgkmcnt(0)
	s_barrier
	buffer_gl0_inv
	v_cmpx_gt_u32_e32 5, v0
	s_cbranch_execz .LBB70_35
; %bb.32:
	v_mov_b32_e32 v3, 0
	v_mov_b32_e32 v5, 0
	v_add_nc_u32_e32 v23, -1, v0
	v_add_nc_u32_e32 v24, 0x70, v27
	v_mov_b32_e32 v4, 0
	v_mov_b32_e32 v6, 0
	;; [unrolled: 1-line block ×3, first 2 shown]
	s_mov_b32 s7, 0
	.p2align	6
.LBB70_33:                              ; =>This Inner Loop Header: Depth=1
	s_clause 0x3
	buffer_load_dword v32, v25, s[0:3], 0 offen offset:8
	buffer_load_dword v33, v25, s[0:3], 0 offen offset:12
	buffer_load_dword v34, v25, s[0:3], 0 offen
	buffer_load_dword v35, v25, s[0:3], 0 offen offset:4
	ds_read_b128 v[28:31], v24
	v_add_nc_u32_e32 v23, 1, v23
	v_add_nc_u32_e32 v24, 16, v24
	;; [unrolled: 1-line block ×3, first 2 shown]
	v_cmp_lt_u32_e32 vcc_lo, 3, v23
	s_or_b32 s7, vcc_lo, s7
	s_waitcnt vmcnt(2) lgkmcnt(0)
	v_mul_f64 v[36:37], v[30:31], v[32:33]
	v_mul_f64 v[32:33], v[28:29], v[32:33]
	s_waitcnt vmcnt(0)
	v_fma_f64 v[28:29], v[28:29], v[34:35], -v[36:37]
	v_fma_f64 v[30:31], v[30:31], v[34:35], v[32:33]
	v_add_f64 v[5:6], v[5:6], v[28:29]
	v_add_f64 v[3:4], v[3:4], v[30:31]
	s_andn2_b32 exec_lo, exec_lo, s7
	s_cbranch_execnz .LBB70_33
; %bb.34:
	s_or_b32 exec_lo, exec_lo, s7
	v_mov_b32_e32 v23, 0
	ds_read_b128 v[23:26], v23 offset:80
	s_waitcnt lgkmcnt(0)
	v_mul_f64 v[28:29], v[3:4], v[25:26]
	v_mul_f64 v[25:26], v[5:6], v[25:26]
	v_fma_f64 v[5:6], v[5:6], v[23:24], -v[28:29]
	v_fma_f64 v[3:4], v[3:4], v[23:24], v[25:26]
	buffer_store_dword v6, off, s[0:3], 0 offset:84
	buffer_store_dword v5, off, s[0:3], 0 offset:80
	;; [unrolled: 1-line block ×4, first 2 shown]
.LBB70_35:
	s_or_b32 exec_lo, exec_lo, s6
	v_mov_b32_e32 v6, s12
	s_waitcnt_vscnt null, 0x0
	s_barrier
	buffer_gl0_inv
	s_mov_b32 s6, exec_lo
	s_clause 0x3
	buffer_load_dword v3, v6, s[0:3], 0 offen
	buffer_load_dword v4, v6, s[0:3], 0 offen offset:4
	buffer_load_dword v5, v6, s[0:3], 0 offen offset:8
	;; [unrolled: 1-line block ×3, first 2 shown]
	s_waitcnt vmcnt(0)
	ds_write_b128 v21, v[3:6]
	s_waitcnt lgkmcnt(0)
	s_barrier
	buffer_gl0_inv
	v_cmpx_ne_u32_e32 6, v0
	s_cbranch_execz .LBB70_39
; %bb.36:
	v_mov_b32_e32 v3, 0
	v_mov_b32_e32 v5, 0
	;; [unrolled: 1-line block ×5, first 2 shown]
	s_mov_b32 s7, 0
	.p2align	6
.LBB70_37:                              ; =>This Inner Loop Header: Depth=1
	s_clause 0x3
	buffer_load_dword v28, v23, s[0:3], 0 offen offset:8
	buffer_load_dword v29, v23, s[0:3], 0 offen offset:12
	buffer_load_dword v30, v23, s[0:3], 0 offen
	buffer_load_dword v31, v23, s[0:3], 0 offen offset:4
	ds_read_b128 v[24:27], v21
	v_add_nc_u32_e32 v22, 1, v22
	v_add_nc_u32_e32 v21, 16, v21
	v_add_nc_u32_e32 v23, 16, v23
	v_cmp_lt_u32_e32 vcc_lo, 4, v22
	s_or_b32 s7, vcc_lo, s7
	s_waitcnt vmcnt(2) lgkmcnt(0)
	v_mul_f64 v[32:33], v[26:27], v[28:29]
	v_mul_f64 v[28:29], v[24:25], v[28:29]
	s_waitcnt vmcnt(0)
	v_fma_f64 v[24:25], v[24:25], v[30:31], -v[32:33]
	v_fma_f64 v[26:27], v[26:27], v[30:31], v[28:29]
	v_add_f64 v[5:6], v[5:6], v[24:25]
	v_add_f64 v[3:4], v[3:4], v[26:27]
	s_andn2_b32 exec_lo, exec_lo, s7
	s_cbranch_execnz .LBB70_37
; %bb.38:
	s_or_b32 exec_lo, exec_lo, s7
	v_mov_b32_e32 v21, 0
	ds_read_b128 v[21:24], v21 offset:96
	s_waitcnt lgkmcnt(0)
	v_mul_f64 v[25:26], v[3:4], v[23:24]
	v_mul_f64 v[23:24], v[5:6], v[23:24]
	v_fma_f64 v[5:6], v[5:6], v[21:22], -v[25:26]
	v_fma_f64 v[3:4], v[3:4], v[21:22], v[23:24]
	buffer_store_dword v6, off, s[0:3], 0 offset:100
	buffer_store_dword v5, off, s[0:3], 0 offset:96
	;; [unrolled: 1-line block ×4, first 2 shown]
.LBB70_39:
	s_or_b32 exec_lo, exec_lo, s6
	s_mov_b32 s7, -1
	s_waitcnt_vscnt null, 0x0
	s_barrier
	buffer_gl0_inv
.LBB70_40:
	s_and_b32 vcc_lo, exec_lo, s7
	s_cbranch_vccz .LBB70_42
; %bb.41:
	s_lshl_b64 s[6:7], s[8:9], 2
	v_mov_b32_e32 v3, 0
	s_add_u32 s6, s14, s6
	s_addc_u32 s7, s15, s7
	global_load_dword v3, v3, s[6:7]
	s_waitcnt vmcnt(0)
	v_cmp_ne_u32_e32 vcc_lo, 0, v3
	s_cbranch_vccz .LBB70_43
.LBB70_42:
	s_endpgm
.LBB70_43:
	v_lshl_add_u32 v3, v0, 4, 0x70
	s_mov_b32 s6, exec_lo
	v_cmpx_eq_u32_e32 6, v0
	s_cbranch_execz .LBB70_45
; %bb.44:
	v_mov_b32_e32 v4, s13
	s_clause 0x3
	buffer_load_dword v21, v4, s[0:3], 0 offen
	buffer_load_dword v22, v4, s[0:3], 0 offen offset:4
	buffer_load_dword v23, v4, s[0:3], 0 offen offset:8
	;; [unrolled: 1-line block ×3, first 2 shown]
	v_mov_b32_e32 v4, 0
	buffer_store_dword v4, off, s[0:3], 0 offset:80
	buffer_store_dword v4, off, s[0:3], 0 offset:84
	;; [unrolled: 1-line block ×4, first 2 shown]
	s_waitcnt vmcnt(0)
	ds_write_b128 v3, v[21:24]
.LBB70_45:
	s_or_b32 exec_lo, exec_lo, s6
	s_waitcnt lgkmcnt(0)
	s_waitcnt_vscnt null, 0x0
	s_barrier
	buffer_gl0_inv
	s_clause 0x7
	buffer_load_dword v5, off, s[0:3], 0 offset:104
	buffer_load_dword v6, off, s[0:3], 0 offset:108
	;; [unrolled: 1-line block ×8, first 2 shown]
	v_mov_b32_e32 v4, 0
	s_mov_b32 s6, exec_lo
	ds_read_b128 v[21:24], v4 offset:208
	s_waitcnt vmcnt(6) lgkmcnt(0)
	v_mul_f64 v[31:32], v[23:24], v[5:6]
	v_mul_f64 v[5:6], v[21:22], v[5:6]
	s_waitcnt vmcnt(4)
	v_fma_f64 v[21:22], v[21:22], v[25:26], -v[31:32]
	v_fma_f64 v[5:6], v[23:24], v[25:26], v[5:6]
	v_add_f64 v[21:22], v[21:22], 0
	v_add_f64 v[5:6], v[5:6], 0
	s_waitcnt vmcnt(2)
	v_add_f64 v[21:22], v[27:28], -v[21:22]
	s_waitcnt vmcnt(0)
	v_add_f64 v[5:6], v[29:30], -v[5:6]
	buffer_store_dword v21, off, s[0:3], 0 offset:80
	buffer_store_dword v22, off, s[0:3], 0 offset:84
	;; [unrolled: 1-line block ×4, first 2 shown]
	v_cmpx_lt_u32_e32 4, v0
	s_cbranch_execz .LBB70_47
; %bb.46:
	v_mov_b32_e32 v5, s16
	s_clause 0x3
	buffer_load_dword v21, v5, s[0:3], 0 offen
	buffer_load_dword v22, v5, s[0:3], 0 offen offset:4
	buffer_load_dword v23, v5, s[0:3], 0 offen offset:8
	;; [unrolled: 1-line block ×3, first 2 shown]
	buffer_store_dword v4, off, s[0:3], 0 offset:64
	buffer_store_dword v4, off, s[0:3], 0 offset:68
	;; [unrolled: 1-line block ×4, first 2 shown]
	s_waitcnt vmcnt(0)
	ds_write_b128 v3, v[21:24]
.LBB70_47:
	s_or_b32 exec_lo, exec_lo, s6
	s_waitcnt lgkmcnt(0)
	s_waitcnt_vscnt null, 0x0
	s_barrier
	buffer_gl0_inv
	s_clause 0xb
	buffer_load_dword v5, off, s[0:3], 0 offset:88
	buffer_load_dword v6, off, s[0:3], 0 offset:92
	buffer_load_dword v29, off, s[0:3], 0 offset:104
	buffer_load_dword v30, off, s[0:3], 0 offset:108
	buffer_load_dword v31, off, s[0:3], 0 offset:80
	buffer_load_dword v32, off, s[0:3], 0 offset:84
	buffer_load_dword v33, off, s[0:3], 0 offset:96
	buffer_load_dword v34, off, s[0:3], 0 offset:100
	buffer_load_dword v35, off, s[0:3], 0 offset:64
	buffer_load_dword v36, off, s[0:3], 0 offset:68
	buffer_load_dword v37, off, s[0:3], 0 offset:72
	buffer_load_dword v38, off, s[0:3], 0 offset:76
	ds_read_b128 v[21:24], v4 offset:192
	ds_read_b128 v[25:28], v4 offset:208
	s_mov_b32 s6, exec_lo
	s_waitcnt vmcnt(10) lgkmcnt(1)
	v_mul_f64 v[39:40], v[23:24], v[5:6]
	v_mul_f64 v[4:5], v[21:22], v[5:6]
	s_waitcnt vmcnt(8) lgkmcnt(0)
	v_mul_f64 v[41:42], v[27:28], v[29:30]
	v_mul_f64 v[29:30], v[25:26], v[29:30]
	s_waitcnt vmcnt(6)
	v_fma_f64 v[21:22], v[21:22], v[31:32], -v[39:40]
	v_fma_f64 v[4:5], v[23:24], v[31:32], v[4:5]
	s_waitcnt vmcnt(4)
	v_fma_f64 v[23:24], v[25:26], v[33:34], -v[41:42]
	v_fma_f64 v[25:26], v[27:28], v[33:34], v[29:30]
	v_add_f64 v[21:22], v[21:22], 0
	v_add_f64 v[4:5], v[4:5], 0
	;; [unrolled: 1-line block ×4, first 2 shown]
	s_waitcnt vmcnt(2)
	v_add_f64 v[21:22], v[35:36], -v[21:22]
	s_waitcnt vmcnt(0)
	v_add_f64 v[4:5], v[37:38], -v[4:5]
	buffer_store_dword v21, off, s[0:3], 0 offset:64
	buffer_store_dword v22, off, s[0:3], 0 offset:68
	;; [unrolled: 1-line block ×4, first 2 shown]
	v_cmpx_lt_u32_e32 3, v0
	s_cbranch_execz .LBB70_49
; %bb.48:
	v_mov_b32_e32 v4, s17
	s_clause 0x3
	buffer_load_dword v21, v4, s[0:3], 0 offen
	buffer_load_dword v22, v4, s[0:3], 0 offen offset:4
	buffer_load_dword v23, v4, s[0:3], 0 offen offset:8
	;; [unrolled: 1-line block ×3, first 2 shown]
	v_mov_b32_e32 v4, 0
	buffer_store_dword v4, off, s[0:3], 0 offset:48
	buffer_store_dword v4, off, s[0:3], 0 offset:52
	buffer_store_dword v4, off, s[0:3], 0 offset:56
	buffer_store_dword v4, off, s[0:3], 0 offset:60
	s_waitcnt vmcnt(0)
	ds_write_b128 v3, v[21:24]
.LBB70_49:
	s_or_b32 exec_lo, exec_lo, s6
	s_waitcnt lgkmcnt(0)
	s_waitcnt_vscnt null, 0x0
	s_barrier
	buffer_gl0_inv
	s_clause 0xf
	buffer_load_dword v5, off, s[0:3], 0 offset:72
	buffer_load_dword v6, off, s[0:3], 0 offset:76
	;; [unrolled: 1-line block ×16, first 2 shown]
	v_mov_b32_e32 v4, 0
	ds_read_b128 v[21:24], v4 offset:176
	ds_read_b128 v[25:28], v4 offset:192
	;; [unrolled: 1-line block ×3, first 2 shown]
	s_mov_b32 s6, exec_lo
	s_waitcnt vmcnt(14) lgkmcnt(2)
	v_mul_f64 v[47:48], v[23:24], v[5:6]
	v_mul_f64 v[5:6], v[21:22], v[5:6]
	s_waitcnt vmcnt(12) lgkmcnt(1)
	v_mul_f64 v[49:50], v[27:28], v[33:34]
	v_mul_f64 v[33:34], v[25:26], v[33:34]
	s_waitcnt vmcnt(10)
	v_fma_f64 v[21:22], v[21:22], v[35:36], -v[47:48]
	v_fma_f64 v[5:6], v[23:24], v[35:36], v[5:6]
	s_waitcnt vmcnt(8) lgkmcnt(0)
	v_mul_f64 v[35:36], v[31:32], v[37:38]
	s_waitcnt vmcnt(6)
	v_fma_f64 v[25:26], v[25:26], v[39:40], -v[49:50]
	v_mul_f64 v[23:24], v[29:30], v[37:38]
	v_fma_f64 v[27:28], v[27:28], v[39:40], v[33:34]
	v_add_f64 v[21:22], v[21:22], 0
	v_add_f64 v[5:6], v[5:6], 0
	s_waitcnt vmcnt(4)
	v_fma_f64 v[29:30], v[29:30], v[41:42], -v[35:36]
	v_fma_f64 v[23:24], v[31:32], v[41:42], v[23:24]
	v_add_f64 v[21:22], v[21:22], v[25:26]
	v_add_f64 v[5:6], v[5:6], v[27:28]
	;; [unrolled: 1-line block ×4, first 2 shown]
	s_waitcnt vmcnt(2)
	v_add_f64 v[21:22], v[43:44], -v[21:22]
	s_waitcnt vmcnt(0)
	v_add_f64 v[5:6], v[45:46], -v[5:6]
	buffer_store_dword v21, off, s[0:3], 0 offset:48
	buffer_store_dword v22, off, s[0:3], 0 offset:52
	;; [unrolled: 1-line block ×4, first 2 shown]
	v_cmpx_lt_u32_e32 2, v0
	s_cbranch_execz .LBB70_51
; %bb.50:
	v_mov_b32_e32 v5, s18
	s_clause 0x3
	buffer_load_dword v21, v5, s[0:3], 0 offen
	buffer_load_dword v22, v5, s[0:3], 0 offen offset:4
	buffer_load_dword v23, v5, s[0:3], 0 offen offset:8
	;; [unrolled: 1-line block ×3, first 2 shown]
	buffer_store_dword v4, off, s[0:3], 0 offset:32
	buffer_store_dword v4, off, s[0:3], 0 offset:36
	;; [unrolled: 1-line block ×4, first 2 shown]
	s_waitcnt vmcnt(0)
	ds_write_b128 v3, v[21:24]
.LBB70_51:
	s_or_b32 exec_lo, exec_lo, s6
	s_waitcnt lgkmcnt(0)
	s_waitcnt_vscnt null, 0x0
	s_barrier
	buffer_gl0_inv
	s_clause 0x13
	buffer_load_dword v5, off, s[0:3], 0 offset:56
	buffer_load_dword v6, off, s[0:3], 0 offset:60
	;; [unrolled: 1-line block ×20, first 2 shown]
	ds_read_b128 v[21:24], v4 offset:160
	ds_read_b128 v[25:28], v4 offset:176
	;; [unrolled: 1-line block ×3, first 2 shown]
	s_mov_b32 s6, exec_lo
	s_waitcnt vmcnt(18) lgkmcnt(2)
	v_mul_f64 v[51:52], v[23:24], v[5:6]
	v_mul_f64 v[5:6], v[21:22], v[5:6]
	s_waitcnt vmcnt(16) lgkmcnt(1)
	v_mul_f64 v[53:54], v[27:28], v[33:34]
	v_mul_f64 v[33:34], v[25:26], v[33:34]
	s_waitcnt vmcnt(14)
	v_fma_f64 v[51:52], v[21:22], v[35:36], -v[51:52]
	v_fma_f64 v[5:6], v[23:24], v[35:36], v[5:6]
	ds_read_b128 v[21:24], v4 offset:208
	s_waitcnt vmcnt(12) lgkmcnt(1)
	v_mul_f64 v[35:36], v[29:30], v[37:38]
	v_mul_f64 v[37:38], v[31:32], v[37:38]
	s_waitcnt vmcnt(10)
	v_fma_f64 v[25:26], v[25:26], v[39:40], -v[53:54]
	v_fma_f64 v[27:28], v[27:28], v[39:40], v[33:34]
	s_waitcnt vmcnt(8) lgkmcnt(0)
	v_mul_f64 v[39:40], v[23:24], v[41:42]
	v_add_f64 v[51:52], v[51:52], 0
	v_add_f64 v[4:5], v[5:6], 0
	v_mul_f64 v[33:34], v[21:22], v[41:42]
	s_waitcnt vmcnt(6)
	v_fma_f64 v[29:30], v[29:30], v[43:44], -v[37:38]
	v_fma_f64 v[31:32], v[31:32], v[43:44], v[35:36]
	s_waitcnt vmcnt(4)
	v_fma_f64 v[21:22], v[21:22], v[45:46], -v[39:40]
	v_add_f64 v[25:26], v[51:52], v[25:26]
	v_add_f64 v[4:5], v[4:5], v[27:28]
	v_fma_f64 v[23:24], v[23:24], v[45:46], v[33:34]
	v_add_f64 v[25:26], v[25:26], v[29:30]
	v_add_f64 v[4:5], v[4:5], v[31:32]
	;; [unrolled: 1-line block ×4, first 2 shown]
	s_waitcnt vmcnt(2)
	v_add_f64 v[21:22], v[47:48], -v[21:22]
	s_waitcnt vmcnt(0)
	v_add_f64 v[4:5], v[49:50], -v[4:5]
	buffer_store_dword v21, off, s[0:3], 0 offset:32
	buffer_store_dword v22, off, s[0:3], 0 offset:36
	;; [unrolled: 1-line block ×4, first 2 shown]
	v_cmpx_lt_u32_e32 1, v0
	s_cbranch_execz .LBB70_53
; %bb.52:
	v_mov_b32_e32 v4, s19
	s_clause 0x3
	buffer_load_dword v21, v4, s[0:3], 0 offen
	buffer_load_dword v22, v4, s[0:3], 0 offen offset:4
	buffer_load_dword v23, v4, s[0:3], 0 offen offset:8
	;; [unrolled: 1-line block ×3, first 2 shown]
	v_mov_b32_e32 v4, 0
	buffer_store_dword v4, off, s[0:3], 0 offset:16
	buffer_store_dword v4, off, s[0:3], 0 offset:20
	;; [unrolled: 1-line block ×4, first 2 shown]
	s_waitcnt vmcnt(0)
	ds_write_b128 v3, v[21:24]
.LBB70_53:
	s_or_b32 exec_lo, exec_lo, s6
	s_waitcnt lgkmcnt(0)
	s_waitcnt_vscnt null, 0x0
	s_barrier
	buffer_gl0_inv
	s_clause 0x17
	buffer_load_dword v5, off, s[0:3], 0 offset:40
	buffer_load_dword v6, off, s[0:3], 0 offset:44
	;; [unrolled: 1-line block ×24, first 2 shown]
	v_mov_b32_e32 v4, 0
	ds_read_b128 v[21:24], v4 offset:144
	ds_read_b128 v[25:28], v4 offset:160
	;; [unrolled: 1-line block ×3, first 2 shown]
	s_mov_b32 s6, exec_lo
	s_waitcnt vmcnt(22) lgkmcnt(2)
	v_mul_f64 v[55:56], v[23:24], v[5:6]
	v_mul_f64 v[5:6], v[21:22], v[5:6]
	s_waitcnt vmcnt(20) lgkmcnt(1)
	v_mul_f64 v[57:58], v[27:28], v[33:34]
	v_mul_f64 v[33:34], v[25:26], v[33:34]
	s_waitcnt vmcnt(18)
	v_fma_f64 v[55:56], v[21:22], v[35:36], -v[55:56]
	v_fma_f64 v[5:6], v[23:24], v[35:36], v[5:6]
	ds_read_b128 v[21:24], v4 offset:192
	s_waitcnt vmcnt(16) lgkmcnt(1)
	v_mul_f64 v[35:36], v[29:30], v[37:38]
	v_mul_f64 v[37:38], v[31:32], v[37:38]
	s_waitcnt vmcnt(14)
	v_fma_f64 v[57:58], v[25:26], v[39:40], -v[57:58]
	v_fma_f64 v[33:34], v[27:28], v[39:40], v[33:34]
	ds_read_b128 v[25:28], v4 offset:208
	s_waitcnt vmcnt(10) lgkmcnt(1)
	v_mul_f64 v[39:40], v[21:22], v[41:42]
	v_add_f64 v[55:56], v[55:56], 0
	v_add_f64 v[5:6], v[5:6], 0
	v_mul_f64 v[41:42], v[23:24], v[41:42]
	s_waitcnt vmcnt(8)
	v_fma_f64 v[29:30], v[29:30], v[47:48], -v[37:38]
	v_fma_f64 v[31:32], v[31:32], v[47:48], v[35:36]
	s_waitcnt vmcnt(7) lgkmcnt(0)
	v_mul_f64 v[35:36], v[27:28], v[43:44]
	s_waitcnt vmcnt(5)
	v_fma_f64 v[23:24], v[23:24], v[49:50], v[39:40]
	v_add_f64 v[37:38], v[55:56], v[57:58]
	v_add_f64 v[5:6], v[5:6], v[33:34]
	v_fma_f64 v[21:22], v[21:22], v[49:50], -v[41:42]
	v_mul_f64 v[33:34], v[25:26], v[43:44]
	s_waitcnt vmcnt(4)
	v_fma_f64 v[25:26], v[25:26], v[45:46], -v[35:36]
	v_add_f64 v[29:30], v[37:38], v[29:30]
	v_add_f64 v[5:6], v[5:6], v[31:32]
	v_fma_f64 v[27:28], v[27:28], v[45:46], v[33:34]
	v_add_f64 v[21:22], v[29:30], v[21:22]
	v_add_f64 v[5:6], v[5:6], v[23:24]
	;; [unrolled: 1-line block ×4, first 2 shown]
	s_waitcnt vmcnt(2)
	v_add_f64 v[21:22], v[51:52], -v[21:22]
	s_waitcnt vmcnt(0)
	v_add_f64 v[5:6], v[53:54], -v[5:6]
	buffer_store_dword v22, off, s[0:3], 0 offset:20
	buffer_store_dword v21, off, s[0:3], 0 offset:16
	;; [unrolled: 1-line block ×4, first 2 shown]
	v_cmpx_ne_u32_e32 0, v0
	s_cbranch_execz .LBB70_55
; %bb.54:
	s_clause 0x3
	buffer_load_dword v21, off, s[0:3], 0
	buffer_load_dword v22, off, s[0:3], 0 offset:4
	buffer_load_dword v23, off, s[0:3], 0 offset:8
	;; [unrolled: 1-line block ×3, first 2 shown]
	buffer_store_dword v4, off, s[0:3], 0
	buffer_store_dword v4, off, s[0:3], 0 offset:4
	buffer_store_dword v4, off, s[0:3], 0 offset:8
	;; [unrolled: 1-line block ×3, first 2 shown]
	s_waitcnt vmcnt(0)
	ds_write_b128 v3, v[21:24]
.LBB70_55:
	s_or_b32 exec_lo, exec_lo, s6
	s_waitcnt lgkmcnt(0)
	s_waitcnt_vscnt null, 0x0
	s_barrier
	buffer_gl0_inv
	s_clause 0x1b
	buffer_load_dword v5, off, s[0:3], 0 offset:24
	buffer_load_dword v6, off, s[0:3], 0 offset:28
	;; [unrolled: 1-line block ×24, first 2 shown]
	buffer_load_dword v55, off, s[0:3], 0
	buffer_load_dword v56, off, s[0:3], 0 offset:4
	buffer_load_dword v57, off, s[0:3], 0 offset:8
	;; [unrolled: 1-line block ×3, first 2 shown]
	ds_read_b128 v[21:24], v4 offset:128
	ds_read_b128 v[25:28], v4 offset:144
	;; [unrolled: 1-line block ×3, first 2 shown]
	s_and_b32 vcc_lo, exec_lo, s20
	s_waitcnt vmcnt(26) lgkmcnt(2)
	v_mul_f64 v[59:60], v[23:24], v[5:6]
	v_mul_f64 v[5:6], v[21:22], v[5:6]
	s_waitcnt vmcnt(24) lgkmcnt(1)
	v_mul_f64 v[61:62], v[27:28], v[33:34]
	v_mul_f64 v[33:34], v[25:26], v[33:34]
	s_waitcnt vmcnt(22)
	v_fma_f64 v[59:60], v[21:22], v[35:36], -v[59:60]
	v_fma_f64 v[5:6], v[23:24], v[35:36], v[5:6]
	ds_read_b128 v[21:24], v4 offset:176
	s_waitcnt vmcnt(20) lgkmcnt(1)
	v_mul_f64 v[35:36], v[29:30], v[37:38]
	v_mul_f64 v[37:38], v[31:32], v[37:38]
	s_waitcnt vmcnt(18)
	v_fma_f64 v[61:62], v[25:26], v[39:40], -v[61:62]
	v_fma_f64 v[33:34], v[27:28], v[39:40], v[33:34]
	ds_read_b128 v[25:28], v4 offset:192
	s_waitcnt vmcnt(14) lgkmcnt(1)
	v_mul_f64 v[39:40], v[21:22], v[41:42]
	v_add_f64 v[59:60], v[59:60], 0
	v_add_f64 v[5:6], v[5:6], 0
	v_mul_f64 v[41:42], v[23:24], v[41:42]
	s_waitcnt vmcnt(12)
	v_fma_f64 v[29:30], v[29:30], v[47:48], -v[37:38]
	v_fma_f64 v[31:32], v[31:32], v[47:48], v[35:36]
	s_waitcnt vmcnt(11) lgkmcnt(0)
	v_mul_f64 v[35:36], v[25:26], v[43:44]
	v_mul_f64 v[43:44], v[27:28], v[43:44]
	s_waitcnt vmcnt(9)
	v_fma_f64 v[23:24], v[23:24], v[49:50], v[39:40]
	v_add_f64 v[37:38], v[59:60], v[61:62]
	v_add_f64 v[33:34], v[5:6], v[33:34]
	v_fma_f64 v[21:22], v[21:22], v[49:50], -v[41:42]
	ds_read_b128 v[3:6], v4 offset:208
	s_waitcnt vmcnt(6)
	v_fma_f64 v[27:28], v[27:28], v[45:46], v[35:36]
	v_fma_f64 v[25:26], v[25:26], v[45:46], -v[43:44]
	v_add_f64 v[29:30], v[37:38], v[29:30]
	v_add_f64 v[31:32], v[33:34], v[31:32]
	s_waitcnt lgkmcnt(0)
	v_mul_f64 v[37:38], v[5:6], v[51:52]
	v_mul_f64 v[33:34], v[3:4], v[51:52]
	v_add_f64 v[21:22], v[29:30], v[21:22]
	v_add_f64 v[23:24], v[31:32], v[23:24]
	s_waitcnt vmcnt(4)
	v_fma_f64 v[3:4], v[3:4], v[53:54], -v[37:38]
	v_fma_f64 v[5:6], v[5:6], v[53:54], v[33:34]
	v_add_f64 v[21:22], v[21:22], v[25:26]
	v_add_f64 v[23:24], v[23:24], v[27:28]
	;; [unrolled: 1-line block ×4, first 2 shown]
	s_waitcnt vmcnt(2)
	v_add_f64 v[3:4], v[55:56], -v[3:4]
	s_waitcnt vmcnt(0)
	v_add_f64 v[5:6], v[57:58], -v[5:6]
	buffer_store_dword v4, off, s[0:3], 0 offset:4
	buffer_store_dword v3, off, s[0:3], 0
	buffer_store_dword v6, off, s[0:3], 0 offset:12
	buffer_store_dword v5, off, s[0:3], 0 offset:8
	s_cbranch_vccz .LBB70_68
; %bb.56:
	v_mov_b32_e32 v3, 0
	s_load_dwordx2 s[4:5], s[4:5], 0x4
	global_load_dword v4, v3, s[10:11] offset:20
	s_waitcnt lgkmcnt(0)
	s_lshr_b32 s4, s4, 16
	v_mul_u32_u24_e32 v5, s5, v1
	s_mul_i32 s4, s4, s5
	v_mul_u32_u24_e32 v0, s4, v0
	v_add3_u32 v0, v0, v5, v2
	v_lshl_add_u32 v0, v0, 4, 0xe8
	s_waitcnt vmcnt(0)
	v_add_nc_u32_e32 v1, -1, v4
	v_cmp_ne_u32_e32 vcc_lo, 5, v1
	s_cbranch_vccz .LBB70_58
; %bb.57:
	v_lshlrev_b32_e32 v1, 4, v1
	v_mov_b32_e32 v6, s13
	v_mov_b32_e32 v21, v1
	s_clause 0x7
	buffer_load_dword v1, v6, s[0:3], 0 offen
	buffer_load_dword v2, v6, s[0:3], 0 offen offset:4
	buffer_load_dword v4, v6, s[0:3], 0 offen offset:8
	;; [unrolled: 1-line block ×3, first 2 shown]
	buffer_load_dword v22, v21, s[0:3], 0 offen
	buffer_load_dword v23, v21, s[0:3], 0 offen offset:4
	buffer_load_dword v24, v21, s[0:3], 0 offen offset:8
	;; [unrolled: 1-line block ×3, first 2 shown]
	s_waitcnt vmcnt(4)
	ds_write2_b64 v0, v[1:2], v[4:5] offset1:1
	s_waitcnt vmcnt(3)
	buffer_store_dword v22, v6, s[0:3], 0 offen
	s_waitcnt vmcnt(2)
	buffer_store_dword v23, v6, s[0:3], 0 offen offset:4
	s_waitcnt vmcnt(1)
	buffer_store_dword v24, v6, s[0:3], 0 offen offset:8
	;; [unrolled: 2-line block ×3, first 2 shown]
	buffer_store_dword v5, v21, s[0:3], 0 offen offset:12
	buffer_store_dword v4, v21, s[0:3], 0 offen offset:8
	;; [unrolled: 1-line block ×3, first 2 shown]
	buffer_store_dword v1, v21, s[0:3], 0 offen
.LBB70_58:
	global_load_dword v1, v3, s[10:11] offset:16
	s_waitcnt vmcnt(0)
	v_add_nc_u32_e32 v1, -1, v1
	v_cmp_eq_u32_e32 vcc_lo, 4, v1
	s_cbranch_vccnz .LBB70_60
; %bb.59:
	v_lshlrev_b32_e32 v1, 4, v1
	v_mov_b32_e32 v5, s16
	v_mov_b32_e32 v6, v1
	s_clause 0x7
	buffer_load_dword v1, v5, s[0:3], 0 offen
	buffer_load_dword v2, v5, s[0:3], 0 offen offset:4
	buffer_load_dword v3, v5, s[0:3], 0 offen offset:8
	;; [unrolled: 1-line block ×3, first 2 shown]
	buffer_load_dword v21, v6, s[0:3], 0 offen
	buffer_load_dword v22, v6, s[0:3], 0 offen offset:4
	buffer_load_dword v23, v6, s[0:3], 0 offen offset:8
	;; [unrolled: 1-line block ×3, first 2 shown]
	s_waitcnt vmcnt(4)
	ds_write2_b64 v0, v[1:2], v[3:4] offset1:1
	s_waitcnt vmcnt(3)
	buffer_store_dword v21, v5, s[0:3], 0 offen
	s_waitcnt vmcnt(2)
	buffer_store_dword v22, v5, s[0:3], 0 offen offset:4
	s_waitcnt vmcnt(1)
	buffer_store_dword v23, v5, s[0:3], 0 offen offset:8
	;; [unrolled: 2-line block ×3, first 2 shown]
	buffer_store_dword v4, v6, s[0:3], 0 offen offset:12
	buffer_store_dword v3, v6, s[0:3], 0 offen offset:8
	;; [unrolled: 1-line block ×3, first 2 shown]
	buffer_store_dword v1, v6, s[0:3], 0 offen
.LBB70_60:
	v_mov_b32_e32 v1, 0
	global_load_dword v2, v1, s[10:11] offset:12
	s_waitcnt vmcnt(0)
	v_add_nc_u32_e32 v2, -1, v2
	v_cmp_eq_u32_e32 vcc_lo, 3, v2
	s_cbranch_vccnz .LBB70_62
; %bb.61:
	v_lshlrev_b32_e32 v2, 4, v2
	v_mov_b32_e32 v6, s17
	v_mov_b32_e32 v21, v2
	s_clause 0x7
	buffer_load_dword v2, v6, s[0:3], 0 offen
	buffer_load_dword v3, v6, s[0:3], 0 offen offset:4
	buffer_load_dword v4, v6, s[0:3], 0 offen offset:8
	;; [unrolled: 1-line block ×3, first 2 shown]
	buffer_load_dword v22, v21, s[0:3], 0 offen
	buffer_load_dword v23, v21, s[0:3], 0 offen offset:4
	buffer_load_dword v24, v21, s[0:3], 0 offen offset:8
	;; [unrolled: 1-line block ×3, first 2 shown]
	s_waitcnt vmcnt(4)
	ds_write2_b64 v0, v[2:3], v[4:5] offset1:1
	s_waitcnt vmcnt(3)
	buffer_store_dword v22, v6, s[0:3], 0 offen
	s_waitcnt vmcnt(2)
	buffer_store_dword v23, v6, s[0:3], 0 offen offset:4
	s_waitcnt vmcnt(1)
	buffer_store_dword v24, v6, s[0:3], 0 offen offset:8
	;; [unrolled: 2-line block ×3, first 2 shown]
	buffer_store_dword v5, v21, s[0:3], 0 offen offset:12
	buffer_store_dword v4, v21, s[0:3], 0 offen offset:8
	;; [unrolled: 1-line block ×3, first 2 shown]
	buffer_store_dword v2, v21, s[0:3], 0 offen
.LBB70_62:
	global_load_dword v1, v1, s[10:11] offset:8
	s_waitcnt vmcnt(0)
	v_add_nc_u32_e32 v1, -1, v1
	v_cmp_eq_u32_e32 vcc_lo, 2, v1
	s_cbranch_vccnz .LBB70_64
; %bb.63:
	v_lshlrev_b32_e32 v1, 4, v1
	v_mov_b32_e32 v5, s18
	v_mov_b32_e32 v6, v1
	s_clause 0x7
	buffer_load_dword v1, v5, s[0:3], 0 offen
	buffer_load_dword v2, v5, s[0:3], 0 offen offset:4
	buffer_load_dword v3, v5, s[0:3], 0 offen offset:8
	;; [unrolled: 1-line block ×3, first 2 shown]
	buffer_load_dword v21, v6, s[0:3], 0 offen
	buffer_load_dword v22, v6, s[0:3], 0 offen offset:4
	buffer_load_dword v23, v6, s[0:3], 0 offen offset:8
	;; [unrolled: 1-line block ×3, first 2 shown]
	s_waitcnt vmcnt(4)
	ds_write2_b64 v0, v[1:2], v[3:4] offset1:1
	s_waitcnt vmcnt(3)
	buffer_store_dword v21, v5, s[0:3], 0 offen
	s_waitcnt vmcnt(2)
	buffer_store_dword v22, v5, s[0:3], 0 offen offset:4
	s_waitcnt vmcnt(1)
	buffer_store_dword v23, v5, s[0:3], 0 offen offset:8
	;; [unrolled: 2-line block ×3, first 2 shown]
	buffer_store_dword v4, v6, s[0:3], 0 offen offset:12
	buffer_store_dword v3, v6, s[0:3], 0 offen offset:8
	;; [unrolled: 1-line block ×3, first 2 shown]
	buffer_store_dword v1, v6, s[0:3], 0 offen
.LBB70_64:
	v_mov_b32_e32 v1, 0
	global_load_dword v2, v1, s[10:11] offset:4
	s_waitcnt vmcnt(0)
	v_add_nc_u32_e32 v2, -1, v2
	v_cmp_eq_u32_e32 vcc_lo, 1, v2
	s_cbranch_vccnz .LBB70_66
; %bb.65:
	v_lshlrev_b32_e32 v2, 4, v2
	v_mov_b32_e32 v6, s19
	v_mov_b32_e32 v21, v2
	s_clause 0x7
	buffer_load_dword v2, v6, s[0:3], 0 offen
	buffer_load_dword v3, v6, s[0:3], 0 offen offset:4
	buffer_load_dword v4, v6, s[0:3], 0 offen offset:8
	;; [unrolled: 1-line block ×3, first 2 shown]
	buffer_load_dword v22, v21, s[0:3], 0 offen
	buffer_load_dword v23, v21, s[0:3], 0 offen offset:4
	buffer_load_dword v24, v21, s[0:3], 0 offen offset:8
	;; [unrolled: 1-line block ×3, first 2 shown]
	s_waitcnt vmcnt(4)
	ds_write2_b64 v0, v[2:3], v[4:5] offset1:1
	s_waitcnt vmcnt(3)
	buffer_store_dword v22, v6, s[0:3], 0 offen
	s_waitcnt vmcnt(2)
	buffer_store_dword v23, v6, s[0:3], 0 offen offset:4
	s_waitcnt vmcnt(1)
	buffer_store_dword v24, v6, s[0:3], 0 offen offset:8
	s_waitcnt vmcnt(0)
	buffer_store_dword v25, v6, s[0:3], 0 offen offset:12
	buffer_store_dword v5, v21, s[0:3], 0 offen offset:12
	buffer_store_dword v4, v21, s[0:3], 0 offen offset:8
	;; [unrolled: 1-line block ×3, first 2 shown]
	buffer_store_dword v2, v21, s[0:3], 0 offen
.LBB70_66:
	global_load_dword v1, v1, s[10:11]
	s_waitcnt vmcnt(0)
	v_add_nc_u32_e32 v1, -1, v1
	v_cmp_eq_u32_e32 vcc_lo, 0, v1
	s_cbranch_vccnz .LBB70_68
; %bb.67:
	v_lshlrev_b32_e32 v1, 4, v1
	v_mov_b32_e32 v5, v1
	s_clause 0x7
	buffer_load_dword v1, off, s[0:3], 0
	buffer_load_dword v2, off, s[0:3], 0 offset:4
	buffer_load_dword v3, off, s[0:3], 0 offset:8
	;; [unrolled: 1-line block ×3, first 2 shown]
	buffer_load_dword v6, v5, s[0:3], 0 offen
	buffer_load_dword v21, v5, s[0:3], 0 offen offset:4
	buffer_load_dword v22, v5, s[0:3], 0 offen offset:8
	buffer_load_dword v23, v5, s[0:3], 0 offen offset:12
	s_waitcnt vmcnt(4)
	ds_write2_b64 v0, v[1:2], v[3:4] offset1:1
	s_waitcnt vmcnt(3)
	buffer_store_dword v6, off, s[0:3], 0
	s_waitcnt vmcnt(2)
	buffer_store_dword v21, off, s[0:3], 0 offset:4
	s_waitcnt vmcnt(1)
	buffer_store_dword v22, off, s[0:3], 0 offset:8
	;; [unrolled: 2-line block ×3, first 2 shown]
	buffer_store_dword v4, v5, s[0:3], 0 offen offset:12
	buffer_store_dword v3, v5, s[0:3], 0 offen offset:8
	;; [unrolled: 1-line block ×3, first 2 shown]
	buffer_store_dword v1, v5, s[0:3], 0 offen
.LBB70_68:
	s_clause 0x3
	buffer_load_dword v0, off, s[0:3], 0
	buffer_load_dword v1, off, s[0:3], 0 offset:4
	buffer_load_dword v2, off, s[0:3], 0 offset:8
	;; [unrolled: 1-line block ×3, first 2 shown]
	v_mov_b32_e32 v4, s19
	s_waitcnt vmcnt(0)
	flat_store_dwordx4 v[7:8], v[0:3]
	s_clause 0x3
	buffer_load_dword v0, v4, s[0:3], 0 offen
	buffer_load_dword v1, v4, s[0:3], 0 offen offset:4
	buffer_load_dword v2, v4, s[0:3], 0 offen offset:8
	buffer_load_dword v3, v4, s[0:3], 0 offen offset:12
	v_mov_b32_e32 v4, s18
	s_waitcnt vmcnt(0)
	flat_store_dwordx4 v[9:10], v[0:3]
	s_clause 0x3
	buffer_load_dword v0, v4, s[0:3], 0 offen
	buffer_load_dword v1, v4, s[0:3], 0 offen offset:4
	buffer_load_dword v2, v4, s[0:3], 0 offen offset:8
	buffer_load_dword v3, v4, s[0:3], 0 offen offset:12
	;; [unrolled: 8-line block ×6, first 2 shown]
	s_waitcnt vmcnt(0)
	flat_store_dwordx4 v[19:20], v[0:3]
	s_endpgm
	.section	.rodata,"a",@progbits
	.p2align	6, 0x0
	.amdhsa_kernel _ZN9rocsolver6v33100L18getri_kernel_smallILi7E19rocblas_complex_numIdEPKPS3_EEvT1_iilPiilS8_bb
		.amdhsa_group_segment_fixed_size 1256
		.amdhsa_private_segment_fixed_size 128
		.amdhsa_kernarg_size 60
		.amdhsa_user_sgpr_count 8
		.amdhsa_user_sgpr_private_segment_buffer 1
		.amdhsa_user_sgpr_dispatch_ptr 1
		.amdhsa_user_sgpr_queue_ptr 0
		.amdhsa_user_sgpr_kernarg_segment_ptr 1
		.amdhsa_user_sgpr_dispatch_id 0
		.amdhsa_user_sgpr_flat_scratch_init 0
		.amdhsa_user_sgpr_private_segment_size 0
		.amdhsa_wavefront_size32 1
		.amdhsa_uses_dynamic_stack 0
		.amdhsa_system_sgpr_private_segment_wavefront_offset 1
		.amdhsa_system_sgpr_workgroup_id_x 1
		.amdhsa_system_sgpr_workgroup_id_y 0
		.amdhsa_system_sgpr_workgroup_id_z 0
		.amdhsa_system_sgpr_workgroup_info 0
		.amdhsa_system_vgpr_workitem_id 2
		.amdhsa_next_free_vgpr 63
		.amdhsa_next_free_sgpr 24
		.amdhsa_reserve_vcc 1
		.amdhsa_reserve_flat_scratch 0
		.amdhsa_float_round_mode_32 0
		.amdhsa_float_round_mode_16_64 0
		.amdhsa_float_denorm_mode_32 3
		.amdhsa_float_denorm_mode_16_64 3
		.amdhsa_dx10_clamp 1
		.amdhsa_ieee_mode 1
		.amdhsa_fp16_overflow 0
		.amdhsa_workgroup_processor_mode 1
		.amdhsa_memory_ordered 1
		.amdhsa_forward_progress 1
		.amdhsa_shared_vgpr_count 0
		.amdhsa_exception_fp_ieee_invalid_op 0
		.amdhsa_exception_fp_denorm_src 0
		.amdhsa_exception_fp_ieee_div_zero 0
		.amdhsa_exception_fp_ieee_overflow 0
		.amdhsa_exception_fp_ieee_underflow 0
		.amdhsa_exception_fp_ieee_inexact 0
		.amdhsa_exception_int_div_zero 0
	.end_amdhsa_kernel
	.section	.text._ZN9rocsolver6v33100L18getri_kernel_smallILi7E19rocblas_complex_numIdEPKPS3_EEvT1_iilPiilS8_bb,"axG",@progbits,_ZN9rocsolver6v33100L18getri_kernel_smallILi7E19rocblas_complex_numIdEPKPS3_EEvT1_iilPiilS8_bb,comdat
.Lfunc_end70:
	.size	_ZN9rocsolver6v33100L18getri_kernel_smallILi7E19rocblas_complex_numIdEPKPS3_EEvT1_iilPiilS8_bb, .Lfunc_end70-_ZN9rocsolver6v33100L18getri_kernel_smallILi7E19rocblas_complex_numIdEPKPS3_EEvT1_iilPiilS8_bb
                                        ; -- End function
	.set _ZN9rocsolver6v33100L18getri_kernel_smallILi7E19rocblas_complex_numIdEPKPS3_EEvT1_iilPiilS8_bb.num_vgpr, 63
	.set _ZN9rocsolver6v33100L18getri_kernel_smallILi7E19rocblas_complex_numIdEPKPS3_EEvT1_iilPiilS8_bb.num_agpr, 0
	.set _ZN9rocsolver6v33100L18getri_kernel_smallILi7E19rocblas_complex_numIdEPKPS3_EEvT1_iilPiilS8_bb.numbered_sgpr, 24
	.set _ZN9rocsolver6v33100L18getri_kernel_smallILi7E19rocblas_complex_numIdEPKPS3_EEvT1_iilPiilS8_bb.num_named_barrier, 0
	.set _ZN9rocsolver6v33100L18getri_kernel_smallILi7E19rocblas_complex_numIdEPKPS3_EEvT1_iilPiilS8_bb.private_seg_size, 128
	.set _ZN9rocsolver6v33100L18getri_kernel_smallILi7E19rocblas_complex_numIdEPKPS3_EEvT1_iilPiilS8_bb.uses_vcc, 1
	.set _ZN9rocsolver6v33100L18getri_kernel_smallILi7E19rocblas_complex_numIdEPKPS3_EEvT1_iilPiilS8_bb.uses_flat_scratch, 0
	.set _ZN9rocsolver6v33100L18getri_kernel_smallILi7E19rocblas_complex_numIdEPKPS3_EEvT1_iilPiilS8_bb.has_dyn_sized_stack, 0
	.set _ZN9rocsolver6v33100L18getri_kernel_smallILi7E19rocblas_complex_numIdEPKPS3_EEvT1_iilPiilS8_bb.has_recursion, 0
	.set _ZN9rocsolver6v33100L18getri_kernel_smallILi7E19rocblas_complex_numIdEPKPS3_EEvT1_iilPiilS8_bb.has_indirect_call, 0
	.section	.AMDGPU.csdata,"",@progbits
; Kernel info:
; codeLenInByte = 8792
; TotalNumSgprs: 26
; NumVgprs: 63
; ScratchSize: 128
; MemoryBound: 0
; FloatMode: 240
; IeeeMode: 1
; LDSByteSize: 1256 bytes/workgroup (compile time only)
; SGPRBlocks: 0
; VGPRBlocks: 7
; NumSGPRsForWavesPerEU: 26
; NumVGPRsForWavesPerEU: 63
; Occupancy: 16
; WaveLimiterHint : 1
; COMPUTE_PGM_RSRC2:SCRATCH_EN: 1
; COMPUTE_PGM_RSRC2:USER_SGPR: 8
; COMPUTE_PGM_RSRC2:TRAP_HANDLER: 0
; COMPUTE_PGM_RSRC2:TGID_X_EN: 1
; COMPUTE_PGM_RSRC2:TGID_Y_EN: 0
; COMPUTE_PGM_RSRC2:TGID_Z_EN: 0
; COMPUTE_PGM_RSRC2:TIDIG_COMP_CNT: 2
	.section	.text._ZN9rocsolver6v33100L18getri_kernel_smallILi8E19rocblas_complex_numIdEPKPS3_EEvT1_iilPiilS8_bb,"axG",@progbits,_ZN9rocsolver6v33100L18getri_kernel_smallILi8E19rocblas_complex_numIdEPKPS3_EEvT1_iilPiilS8_bb,comdat
	.globl	_ZN9rocsolver6v33100L18getri_kernel_smallILi8E19rocblas_complex_numIdEPKPS3_EEvT1_iilPiilS8_bb ; -- Begin function _ZN9rocsolver6v33100L18getri_kernel_smallILi8E19rocblas_complex_numIdEPKPS3_EEvT1_iilPiilS8_bb
	.p2align	8
	.type	_ZN9rocsolver6v33100L18getri_kernel_smallILi8E19rocblas_complex_numIdEPKPS3_EEvT1_iilPiilS8_bb,@function
_ZN9rocsolver6v33100L18getri_kernel_smallILi8E19rocblas_complex_numIdEPKPS3_EEvT1_iilPiilS8_bb: ; @_ZN9rocsolver6v33100L18getri_kernel_smallILi8E19rocblas_complex_numIdEPKPS3_EEvT1_iilPiilS8_bb
; %bb.0:
	s_add_u32 s0, s0, s9
	s_addc_u32 s1, s1, 0
	s_mov_b32 s9, exec_lo
	v_cmpx_gt_u32_e32 8, v0
	s_cbranch_execz .LBB71_46
; %bb.1:
	s_clause 0x2
	s_load_dword s18, s[6:7], 0x38
	s_load_dwordx2 s[10:11], s[6:7], 0x0
	s_load_dwordx4 s[12:15], s[6:7], 0x28
	s_waitcnt lgkmcnt(0)
	s_bitcmp1_b32 s18, 8
	s_cselect_b32 s21, -1, 0
	s_ashr_i32 s9, s8, 31
	s_lshl_b64 s[16:17], s[8:9], 3
	s_add_u32 s10, s10, s16
	s_addc_u32 s11, s11, s17
	s_load_dwordx2 s[16:17], s[10:11], 0x0
	s_bfe_u32 s10, s18, 0x10008
	s_cmp_eq_u32 s10, 0
                                        ; implicit-def: $sgpr10_sgpr11
	s_cbranch_scc1 .LBB71_3
; %bb.2:
	s_clause 0x1
	s_load_dword s10, s[6:7], 0x20
	s_load_dwordx2 s[18:19], s[6:7], 0x18
	s_mul_i32 s11, s12, s9
	s_mul_hi_u32 s20, s12, s8
	s_mul_i32 s13, s13, s8
	s_add_i32 s11, s20, s11
	s_mul_i32 s12, s12, s8
	s_add_i32 s13, s11, s13
	s_lshl_b64 s[12:13], s[12:13], 2
	s_waitcnt lgkmcnt(0)
	s_ashr_i32 s11, s10, 31
	s_add_u32 s12, s18, s12
	s_addc_u32 s13, s19, s13
	s_lshl_b64 s[10:11], s[10:11], 2
	s_add_u32 s10, s12, s10
	s_addc_u32 s11, s13, s11
.LBB71_3:
	s_clause 0x1
	s_load_dwordx2 s[12:13], s[6:7], 0x8
	s_load_dword s22, s[6:7], 0x38
	v_lshlrev_b32_e32 v29, 4, v0
	s_movk_i32 s23, 0x70
	s_mov_b32 s20, 16
	s_mov_b32 s19, 32
	;; [unrolled: 1-line block ×3, first 2 shown]
	s_waitcnt lgkmcnt(0)
	s_ashr_i32 s7, s12, 31
	s_mov_b32 s6, s12
	v_add3_u32 v13, s13, s13, v0
	s_lshl_b64 s[6:7], s[6:7], 4
	s_add_u32 s12, s16, s6
	s_addc_u32 s16, s17, s7
	v_add_co_u32 v7, s6, s12, v29
	v_add_co_ci_u32_e64 v8, null, s16, 0, s6
	s_mov_b32 s6, s13
	s_ashr_i32 s7, s13, 31
	v_ashrrev_i32_e32 v14, 31, v13
	flat_load_dwordx4 v[3:6], v[7:8]
	s_lshl_b64 s[6:7], s[6:7], 4
	v_add_nc_u32_e32 v15, s13, v13
	v_add_co_u32 v9, vcc_lo, v7, s6
	v_add_co_ci_u32_e64 v10, null, s7, v8, vcc_lo
	v_lshlrev_b64 v[11:12], 4, v[13:14]
	v_ashrrev_i32_e32 v16, 31, v15
	v_add_nc_u32_e32 v17, s13, v15
	s_mov_b32 s7, -1
	s_mov_b32 s17, 64
	s_bitcmp0_b32 s22, 0
	v_add_co_u32 v11, vcc_lo, s12, v11
	v_add_co_ci_u32_e64 v12, null, s16, v12, vcc_lo
	v_lshlrev_b64 v[13:14], 4, v[15:16]
	v_ashrrev_i32_e32 v18, 31, v17
	v_add_nc_u32_e32 v19, s13, v17
	s_waitcnt vmcnt(0) lgkmcnt(0)
	buffer_store_dword v6, off, s[0:3], 0 offset:12
	buffer_store_dword v5, off, s[0:3], 0 offset:8
	;; [unrolled: 1-line block ×3, first 2 shown]
	buffer_store_dword v3, off, s[0:3], 0
	flat_load_dwordx4 v[3:6], v[9:10]
	v_add_co_u32 v13, vcc_lo, s12, v13
	v_add_co_ci_u32_e64 v14, null, s16, v14, vcc_lo
	v_lshlrev_b64 v[15:16], 4, v[17:18]
	v_ashrrev_i32_e32 v20, 31, v19
	v_add_nc_u32_e32 v21, s13, v19
	s_waitcnt vmcnt(0) lgkmcnt(0)
	buffer_store_dword v6, off, s[0:3], 0 offset:28
	buffer_store_dword v5, off, s[0:3], 0 offset:24
	;; [unrolled: 1-line block ×4, first 2 shown]
	flat_load_dwordx4 v[3:6], v[11:12]
	v_add_co_u32 v15, vcc_lo, s12, v15
	v_add_co_ci_u32_e64 v16, null, s16, v16, vcc_lo
	v_lshlrev_b64 v[17:18], 4, v[19:20]
	v_ashrrev_i32_e32 v22, 31, v21
	s_waitcnt vmcnt(0) lgkmcnt(0)
	buffer_store_dword v6, off, s[0:3], 0 offset:44
	buffer_store_dword v5, off, s[0:3], 0 offset:40
	;; [unrolled: 1-line block ×4, first 2 shown]
	flat_load_dwordx4 v[3:6], v[13:14]
	v_add_co_u32 v17, vcc_lo, s12, v17
	v_add_co_ci_u32_e64 v18, null, s16, v18, vcc_lo
	v_lshlrev_b64 v[19:20], 4, v[21:22]
	v_add_nc_u32_e32 v21, s13, v21
	s_movk_i32 s13, 0x60
	s_waitcnt vmcnt(0) lgkmcnt(0)
	buffer_store_dword v6, off, s[0:3], 0 offset:60
	buffer_store_dword v5, off, s[0:3], 0 offset:56
	;; [unrolled: 1-line block ×4, first 2 shown]
	flat_load_dwordx4 v[3:6], v[15:16]
	v_add_co_u32 v19, vcc_lo, s12, v19
	v_add_co_ci_u32_e64 v20, null, s16, v20, vcc_lo
	v_ashrrev_i32_e32 v22, 31, v21
	s_waitcnt vmcnt(0) lgkmcnt(0)
	buffer_store_dword v6, off, s[0:3], 0 offset:76
	buffer_store_dword v5, off, s[0:3], 0 offset:72
	;; [unrolled: 1-line block ×4, first 2 shown]
	flat_load_dwordx4 v[3:6], v[17:18]
	v_lshlrev_b64 v[21:22], 4, v[21:22]
	s_waitcnt vmcnt(0) lgkmcnt(0)
	buffer_store_dword v6, off, s[0:3], 0 offset:92
	buffer_store_dword v5, off, s[0:3], 0 offset:88
	;; [unrolled: 1-line block ×4, first 2 shown]
	flat_load_dwordx4 v[3:6], v[19:20]
	v_add_co_u32 v21, vcc_lo, s12, v21
	v_add_co_ci_u32_e64 v22, null, s16, v22, vcc_lo
	s_movk_i32 s16, 0x50
	s_mov_b32 s12, s23
	s_waitcnt vmcnt(0) lgkmcnt(0)
	buffer_store_dword v6, off, s[0:3], 0 offset:108
	buffer_store_dword v5, off, s[0:3], 0 offset:104
	buffer_store_dword v4, off, s[0:3], 0 offset:100
	buffer_store_dword v3, off, s[0:3], 0 offset:96
	flat_load_dwordx4 v[3:6], v[21:22]
	s_waitcnt vmcnt(0) lgkmcnt(0)
	buffer_store_dword v6, off, s[0:3], 0 offset:124
	buffer_store_dword v5, off, s[0:3], 0 offset:120
	;; [unrolled: 1-line block ×4, first 2 shown]
	s_cbranch_scc1 .LBB71_44
; %bb.4:
	v_cmp_eq_u32_e64 s6, 0, v0
	s_and_saveexec_b32 s7, s6
; %bb.5:
	v_mov_b32_e32 v3, 0
	ds_write_b32 v3, v3 offset:256
; %bb.6:
	s_or_b32 exec_lo, exec_lo, s7
	v_lshl_add_u32 v30, v0, 4, 0
	s_waitcnt lgkmcnt(0)
	s_waitcnt_vscnt null, 0x0
	s_barrier
	buffer_gl0_inv
	s_clause 0x3
	buffer_load_dword v3, v30, s[0:3], 0 offen
	buffer_load_dword v4, v30, s[0:3], 0 offen offset:4
	buffer_load_dword v5, v30, s[0:3], 0 offen offset:8
	;; [unrolled: 1-line block ×3, first 2 shown]
	s_waitcnt vmcnt(2)
	v_cmp_eq_f64_e32 vcc_lo, 0, v[3:4]
	s_waitcnt vmcnt(0)
	v_cmp_eq_f64_e64 s7, 0, v[5:6]
	s_and_b32 s7, vcc_lo, s7
	s_and_saveexec_b32 s22, s7
	s_cbranch_execz .LBB71_10
; %bb.7:
	v_mov_b32_e32 v3, 0
	s_mov_b32 s23, 0
	ds_read_b32 v4, v3 offset:256
	s_waitcnt lgkmcnt(0)
	v_readfirstlane_b32 s7, v4
	v_add_nc_u32_e32 v4, 1, v0
	s_cmp_eq_u32 s7, 0
	v_cmp_gt_i32_e32 vcc_lo, s7, v4
	s_cselect_b32 s24, -1, 0
	s_or_b32 s24, s24, vcc_lo
	s_and_b32 exec_lo, exec_lo, s24
	s_cbranch_execz .LBB71_10
; %bb.8:
	v_mov_b32_e32 v5, s7
.LBB71_9:                               ; =>This Inner Loop Header: Depth=1
	ds_cmpst_rtn_b32 v5, v3, v5, v4 offset:256
	s_waitcnt lgkmcnt(0)
	v_cmp_ne_u32_e32 vcc_lo, 0, v5
	v_cmp_le_i32_e64 s7, v5, v4
	s_and_b32 s7, vcc_lo, s7
	s_and_b32 s7, exec_lo, s7
	s_or_b32 s23, s7, s23
	s_andn2_b32 exec_lo, exec_lo, s23
	s_cbranch_execnz .LBB71_9
.LBB71_10:
	s_or_b32 exec_lo, exec_lo, s22
	v_mov_b32_e32 v3, 0
	s_barrier
	buffer_gl0_inv
	ds_read_b32 v4, v3 offset:256
	s_and_saveexec_b32 s7, s6
	s_cbranch_execz .LBB71_12
; %bb.11:
	s_lshl_b64 s[22:23], s[8:9], 2
	s_add_u32 s22, s14, s22
	s_addc_u32 s23, s15, s23
	s_waitcnt lgkmcnt(0)
	global_store_dword v3, v4, s[22:23]
.LBB71_12:
	s_or_b32 exec_lo, exec_lo, s7
	s_waitcnt lgkmcnt(0)
	v_cmp_ne_u32_e32 vcc_lo, 0, v4
	s_mov_b32 s7, 0
	s_cbranch_vccnz .LBB71_44
; %bb.13:
	s_clause 0x3
	buffer_load_dword v25, v30, s[0:3], 0 offen
	buffer_load_dword v26, v30, s[0:3], 0 offen offset:4
	buffer_load_dword v27, v30, s[0:3], 0 offen offset:8
	;; [unrolled: 1-line block ×3, first 2 shown]
                                        ; implicit-def: $vgpr23_vgpr24
                                        ; implicit-def: $vgpr5_vgpr6
	s_waitcnt vmcnt(0)
	v_cmp_ngt_f64_e64 s7, |v[25:26]|, |v[27:28]|
	s_and_saveexec_b32 s22, s7
	s_xor_b32 s7, exec_lo, s22
	s_cbranch_execz .LBB71_15
; %bb.14:
	v_div_scale_f64 v[3:4], null, v[27:28], v[27:28], v[25:26]
	v_div_scale_f64 v[31:32], vcc_lo, v[25:26], v[27:28], v[25:26]
	v_rcp_f64_e32 v[5:6], v[3:4]
	v_fma_f64 v[23:24], -v[3:4], v[5:6], 1.0
	v_fma_f64 v[5:6], v[5:6], v[23:24], v[5:6]
	v_fma_f64 v[23:24], -v[3:4], v[5:6], 1.0
	v_fma_f64 v[5:6], v[5:6], v[23:24], v[5:6]
	v_mul_f64 v[23:24], v[31:32], v[5:6]
	v_fma_f64 v[3:4], -v[3:4], v[23:24], v[31:32]
	v_div_fmas_f64 v[3:4], v[3:4], v[5:6], v[23:24]
	v_div_fixup_f64 v[3:4], v[3:4], v[27:28], v[25:26]
	v_fma_f64 v[5:6], v[25:26], v[3:4], v[27:28]
	v_div_scale_f64 v[23:24], null, v[5:6], v[5:6], 1.0
	v_div_scale_f64 v[31:32], vcc_lo, 1.0, v[5:6], 1.0
	v_rcp_f64_e32 v[25:26], v[23:24]
	v_fma_f64 v[27:28], -v[23:24], v[25:26], 1.0
	v_fma_f64 v[25:26], v[25:26], v[27:28], v[25:26]
	v_fma_f64 v[27:28], -v[23:24], v[25:26], 1.0
	v_fma_f64 v[25:26], v[25:26], v[27:28], v[25:26]
	v_mul_f64 v[27:28], v[31:32], v[25:26]
	v_fma_f64 v[23:24], -v[23:24], v[27:28], v[31:32]
	v_div_fmas_f64 v[23:24], v[23:24], v[25:26], v[27:28]
                                        ; implicit-def: $vgpr25_vgpr26
                                        ; implicit-def: $vgpr27_vgpr28
	v_div_fixup_f64 v[5:6], v[23:24], v[5:6], 1.0
	v_mul_f64 v[23:24], v[3:4], v[5:6]
	v_xor_b32_e32 v6, 0x80000000, v6
	v_xor_b32_e32 v4, 0x80000000, v24
	v_mov_b32_e32 v3, v23
.LBB71_15:
	s_andn2_saveexec_b32 s7, s7
	s_cbranch_execz .LBB71_17
; %bb.16:
	v_div_scale_f64 v[3:4], null, v[25:26], v[25:26], v[27:28]
	v_div_scale_f64 v[31:32], vcc_lo, v[27:28], v[25:26], v[27:28]
	v_rcp_f64_e32 v[5:6], v[3:4]
	v_fma_f64 v[23:24], -v[3:4], v[5:6], 1.0
	v_fma_f64 v[5:6], v[5:6], v[23:24], v[5:6]
	v_fma_f64 v[23:24], -v[3:4], v[5:6], 1.0
	v_fma_f64 v[5:6], v[5:6], v[23:24], v[5:6]
	v_mul_f64 v[23:24], v[31:32], v[5:6]
	v_fma_f64 v[3:4], -v[3:4], v[23:24], v[31:32]
	v_div_fmas_f64 v[3:4], v[3:4], v[5:6], v[23:24]
	v_div_fixup_f64 v[3:4], v[3:4], v[25:26], v[27:28]
	v_fma_f64 v[5:6], v[27:28], v[3:4], v[25:26]
	v_div_scale_f64 v[23:24], null, v[5:6], v[5:6], 1.0
	v_rcp_f64_e32 v[25:26], v[23:24]
	v_fma_f64 v[27:28], -v[23:24], v[25:26], 1.0
	v_fma_f64 v[25:26], v[25:26], v[27:28], v[25:26]
	v_fma_f64 v[27:28], -v[23:24], v[25:26], 1.0
	v_fma_f64 v[25:26], v[25:26], v[27:28], v[25:26]
	v_div_scale_f64 v[27:28], vcc_lo, 1.0, v[5:6], 1.0
	v_mul_f64 v[31:32], v[27:28], v[25:26]
	v_fma_f64 v[23:24], -v[23:24], v[31:32], v[27:28]
	v_div_fmas_f64 v[23:24], v[23:24], v[25:26], v[31:32]
	v_div_fixup_f64 v[23:24], v[23:24], v[5:6], 1.0
	v_mul_f64 v[5:6], v[3:4], -v[23:24]
	v_xor_b32_e32 v4, 0x80000000, v24
	v_mov_b32_e32 v3, v23
.LBB71_17:
	s_or_b32 exec_lo, exec_lo, s7
	v_mov_b32_e32 v28, s20
	buffer_store_dword v24, v30, s[0:3], 0 offen offset:4
	buffer_store_dword v23, v30, s[0:3], 0 offen
	buffer_store_dword v6, v30, s[0:3], 0 offen offset:12
	buffer_store_dword v5, v30, s[0:3], 0 offen offset:8
	v_xor_b32_e32 v6, 0x80000000, v6
	v_add_nc_u32_e32 v23, 0x80, v29
	s_clause 0x3
	buffer_load_dword v27, v28, s[0:3], 0 offen offset:12
	buffer_load_dword v26, v28, s[0:3], 0 offen offset:8
	;; [unrolled: 1-line block ×3, first 2 shown]
	buffer_load_dword v24, v28, s[0:3], 0 offen
	ds_write_b128 v29, v[3:6]
	s_waitcnt vmcnt(0)
	ds_write_b128 v29, v[24:27] offset:128
	s_waitcnt lgkmcnt(0)
	s_waitcnt_vscnt null, 0x0
	s_barrier
	buffer_gl0_inv
	s_and_saveexec_b32 s7, s6
	s_cbranch_execz .LBB71_19
; %bb.18:
	s_clause 0x3
	buffer_load_dword v31, v30, s[0:3], 0 offen offset:8
	buffer_load_dword v32, v30, s[0:3], 0 offen offset:12
	buffer_load_dword v33, v30, s[0:3], 0 offen
	buffer_load_dword v34, v30, s[0:3], 0 offen offset:4
	ds_read_b128 v[3:6], v23
	v_mov_b32_e32 v24, 0
	ds_read_b128 v[24:27], v24 offset:16
	s_waitcnt vmcnt(2) lgkmcnt(1)
	v_mul_f64 v[35:36], v[3:4], v[31:32]
	v_mul_f64 v[31:32], v[5:6], v[31:32]
	s_waitcnt vmcnt(0)
	v_fma_f64 v[5:6], v[5:6], v[33:34], v[35:36]
	v_fma_f64 v[3:4], v[3:4], v[33:34], -v[31:32]
	v_add_f64 v[5:6], v[5:6], 0
	v_add_f64 v[3:4], v[3:4], 0
	s_waitcnt lgkmcnt(0)
	v_mul_f64 v[31:32], v[5:6], v[26:27]
	v_mul_f64 v[26:27], v[3:4], v[26:27]
	v_fma_f64 v[3:4], v[3:4], v[24:25], -v[31:32]
	v_fma_f64 v[5:6], v[5:6], v[24:25], v[26:27]
	buffer_store_dword v3, off, s[0:3], 0 offset:16
	buffer_store_dword v4, off, s[0:3], 0 offset:20
	;; [unrolled: 1-line block ×4, first 2 shown]
.LBB71_19:
	s_or_b32 exec_lo, exec_lo, s7
	v_mov_b32_e32 v6, s19
	s_waitcnt_vscnt null, 0x0
	s_barrier
	buffer_gl0_inv
	s_mov_b32 s7, exec_lo
	s_clause 0x3
	buffer_load_dword v3, v6, s[0:3], 0 offen
	buffer_load_dword v4, v6, s[0:3], 0 offen offset:4
	buffer_load_dword v5, v6, s[0:3], 0 offen offset:8
	;; [unrolled: 1-line block ×3, first 2 shown]
	s_waitcnt vmcnt(0)
	ds_write_b128 v23, v[3:6]
	s_waitcnt lgkmcnt(0)
	s_barrier
	buffer_gl0_inv
	v_cmpx_gt_u32_e32 2, v0
	s_cbranch_execz .LBB71_23
; %bb.20:
	s_clause 0x3
	buffer_load_dword v24, v30, s[0:3], 0 offen offset:8
	buffer_load_dword v25, v30, s[0:3], 0 offen offset:12
	buffer_load_dword v26, v30, s[0:3], 0 offen
	buffer_load_dword v27, v30, s[0:3], 0 offen offset:4
	ds_read_b128 v[3:6], v23
	s_waitcnt vmcnt(2) lgkmcnt(0)
	v_mul_f64 v[30:31], v[5:6], v[24:25]
	v_mul_f64 v[24:25], v[3:4], v[24:25]
	s_waitcnt vmcnt(0)
	v_fma_f64 v[3:4], v[3:4], v[26:27], -v[30:31]
	v_fma_f64 v[5:6], v[5:6], v[26:27], v[24:25]
	v_add_f64 v[3:4], v[3:4], 0
	v_add_f64 v[5:6], v[5:6], 0
	s_and_saveexec_b32 s22, s6
	s_cbranch_execz .LBB71_22
; %bb.21:
	s_clause 0x3
	buffer_load_dword v30, off, s[0:3], 0 offset:24
	buffer_load_dword v31, off, s[0:3], 0 offset:28
	;; [unrolled: 1-line block ×4, first 2 shown]
	v_mov_b32_e32 v24, 0
	ds_read_b128 v[24:27], v24 offset:144
	s_waitcnt vmcnt(2) lgkmcnt(0)
	v_mul_f64 v[34:35], v[24:25], v[30:31]
	v_mul_f64 v[30:31], v[26:27], v[30:31]
	s_waitcnt vmcnt(0)
	v_fma_f64 v[26:27], v[26:27], v[32:33], v[34:35]
	v_fma_f64 v[24:25], v[24:25], v[32:33], -v[30:31]
	v_add_f64 v[5:6], v[5:6], v[26:27]
	v_add_f64 v[3:4], v[3:4], v[24:25]
.LBB71_22:
	s_or_b32 exec_lo, exec_lo, s22
	v_mov_b32_e32 v24, 0
	ds_read_b128 v[24:27], v24 offset:32
	s_waitcnt lgkmcnt(0)
	v_mul_f64 v[30:31], v[5:6], v[26:27]
	v_mul_f64 v[26:27], v[3:4], v[26:27]
	v_fma_f64 v[3:4], v[3:4], v[24:25], -v[30:31]
	v_fma_f64 v[5:6], v[5:6], v[24:25], v[26:27]
	buffer_store_dword v4, off, s[0:3], 0 offset:36
	buffer_store_dword v3, off, s[0:3], 0 offset:32
	;; [unrolled: 1-line block ×4, first 2 shown]
.LBB71_23:
	s_or_b32 exec_lo, exec_lo, s7
	v_mov_b32_e32 v6, s18
	s_waitcnt_vscnt null, 0x0
	s_barrier
	buffer_gl0_inv
	v_add_nc_u32_e32 v24, -1, v0
	s_clause 0x3
	buffer_load_dword v3, v6, s[0:3], 0 offen
	buffer_load_dword v4, v6, s[0:3], 0 offen offset:4
	buffer_load_dword v5, v6, s[0:3], 0 offen offset:8
	;; [unrolled: 1-line block ×3, first 2 shown]
	s_mov_b32 s6, exec_lo
	s_waitcnt vmcnt(0)
	ds_write_b128 v23, v[3:6]
	s_waitcnt lgkmcnt(0)
	s_barrier
	buffer_gl0_inv
	v_cmpx_gt_u32_e32 3, v0
	s_cbranch_execz .LBB71_27
; %bb.24:
	v_mov_b32_e32 v3, 0
	v_mov_b32_e32 v5, 0
	v_add_nc_u32_e32 v25, -1, v0
	v_add_nc_u32_e32 v26, 0x80, v29
	v_mov_b32_e32 v4, 0
	v_mov_b32_e32 v6, 0
	;; [unrolled: 1-line block ×3, first 2 shown]
	s_mov_b32 s7, 0
	.p2align	6
.LBB71_25:                              ; =>This Inner Loop Header: Depth=1
	s_clause 0x3
	buffer_load_dword v34, v27, s[0:3], 0 offen offset:8
	buffer_load_dword v35, v27, s[0:3], 0 offen offset:12
	buffer_load_dword v36, v27, s[0:3], 0 offen
	buffer_load_dword v37, v27, s[0:3], 0 offen offset:4
	ds_read_b128 v[30:33], v26
	v_add_nc_u32_e32 v25, 1, v25
	v_add_nc_u32_e32 v26, 16, v26
	;; [unrolled: 1-line block ×3, first 2 shown]
	v_cmp_lt_u32_e32 vcc_lo, 1, v25
	s_or_b32 s7, vcc_lo, s7
	s_waitcnt vmcnt(2) lgkmcnt(0)
	v_mul_f64 v[38:39], v[32:33], v[34:35]
	v_mul_f64 v[34:35], v[30:31], v[34:35]
	s_waitcnt vmcnt(0)
	v_fma_f64 v[30:31], v[30:31], v[36:37], -v[38:39]
	v_fma_f64 v[32:33], v[32:33], v[36:37], v[34:35]
	v_add_f64 v[5:6], v[5:6], v[30:31]
	v_add_f64 v[3:4], v[3:4], v[32:33]
	s_andn2_b32 exec_lo, exec_lo, s7
	s_cbranch_execnz .LBB71_25
; %bb.26:
	s_or_b32 exec_lo, exec_lo, s7
	v_mov_b32_e32 v25, 0
	ds_read_b128 v[25:28], v25 offset:48
	s_waitcnt lgkmcnt(0)
	v_mul_f64 v[30:31], v[3:4], v[27:28]
	v_mul_f64 v[27:28], v[5:6], v[27:28]
	v_fma_f64 v[5:6], v[5:6], v[25:26], -v[30:31]
	v_fma_f64 v[3:4], v[3:4], v[25:26], v[27:28]
	buffer_store_dword v6, off, s[0:3], 0 offset:52
	buffer_store_dword v5, off, s[0:3], 0 offset:48
	buffer_store_dword v4, off, s[0:3], 0 offset:60
	buffer_store_dword v3, off, s[0:3], 0 offset:56
.LBB71_27:
	s_or_b32 exec_lo, exec_lo, s6
	v_mov_b32_e32 v6, s17
	s_waitcnt_vscnt null, 0x0
	s_barrier
	buffer_gl0_inv
	s_mov_b32 s6, exec_lo
	s_clause 0x3
	buffer_load_dword v3, v6, s[0:3], 0 offen
	buffer_load_dword v4, v6, s[0:3], 0 offen offset:4
	buffer_load_dword v5, v6, s[0:3], 0 offen offset:8
	;; [unrolled: 1-line block ×3, first 2 shown]
	s_waitcnt vmcnt(0)
	ds_write_b128 v23, v[3:6]
	s_waitcnt lgkmcnt(0)
	s_barrier
	buffer_gl0_inv
	v_cmpx_gt_u32_e32 4, v0
	s_cbranch_execz .LBB71_31
; %bb.28:
	v_mov_b32_e32 v3, 0
	v_mov_b32_e32 v5, 0
	v_add_nc_u32_e32 v25, -1, v0
	v_add_nc_u32_e32 v26, 0x80, v29
	v_mov_b32_e32 v4, 0
	v_mov_b32_e32 v6, 0
	;; [unrolled: 1-line block ×3, first 2 shown]
	s_mov_b32 s7, 0
	.p2align	6
.LBB71_29:                              ; =>This Inner Loop Header: Depth=1
	s_clause 0x3
	buffer_load_dword v34, v27, s[0:3], 0 offen offset:8
	buffer_load_dword v35, v27, s[0:3], 0 offen offset:12
	buffer_load_dword v36, v27, s[0:3], 0 offen
	buffer_load_dword v37, v27, s[0:3], 0 offen offset:4
	ds_read_b128 v[30:33], v26
	v_add_nc_u32_e32 v25, 1, v25
	v_add_nc_u32_e32 v26, 16, v26
	;; [unrolled: 1-line block ×3, first 2 shown]
	v_cmp_lt_u32_e32 vcc_lo, 2, v25
	s_or_b32 s7, vcc_lo, s7
	s_waitcnt vmcnt(2) lgkmcnt(0)
	v_mul_f64 v[38:39], v[32:33], v[34:35]
	v_mul_f64 v[34:35], v[30:31], v[34:35]
	s_waitcnt vmcnt(0)
	v_fma_f64 v[30:31], v[30:31], v[36:37], -v[38:39]
	v_fma_f64 v[32:33], v[32:33], v[36:37], v[34:35]
	v_add_f64 v[5:6], v[5:6], v[30:31]
	v_add_f64 v[3:4], v[3:4], v[32:33]
	s_andn2_b32 exec_lo, exec_lo, s7
	s_cbranch_execnz .LBB71_29
; %bb.30:
	s_or_b32 exec_lo, exec_lo, s7
	v_mov_b32_e32 v25, 0
	ds_read_b128 v[25:28], v25 offset:64
	s_waitcnt lgkmcnt(0)
	v_mul_f64 v[30:31], v[3:4], v[27:28]
	v_mul_f64 v[27:28], v[5:6], v[27:28]
	v_fma_f64 v[5:6], v[5:6], v[25:26], -v[30:31]
	v_fma_f64 v[3:4], v[3:4], v[25:26], v[27:28]
	buffer_store_dword v6, off, s[0:3], 0 offset:68
	buffer_store_dword v5, off, s[0:3], 0 offset:64
	buffer_store_dword v4, off, s[0:3], 0 offset:76
	buffer_store_dword v3, off, s[0:3], 0 offset:72
.LBB71_31:
	s_or_b32 exec_lo, exec_lo, s6
	v_mov_b32_e32 v6, s16
	s_waitcnt_vscnt null, 0x0
	s_barrier
	buffer_gl0_inv
	s_mov_b32 s6, exec_lo
	s_clause 0x3
	buffer_load_dword v3, v6, s[0:3], 0 offen
	buffer_load_dword v4, v6, s[0:3], 0 offen offset:4
	buffer_load_dword v5, v6, s[0:3], 0 offen offset:8
	;; [unrolled: 1-line block ×3, first 2 shown]
	s_waitcnt vmcnt(0)
	ds_write_b128 v23, v[3:6]
	s_waitcnt lgkmcnt(0)
	s_barrier
	buffer_gl0_inv
	v_cmpx_gt_u32_e32 5, v0
	s_cbranch_execz .LBB71_35
; %bb.32:
	v_mov_b32_e32 v3, 0
	v_mov_b32_e32 v5, 0
	v_add_nc_u32_e32 v25, -1, v0
	v_add_nc_u32_e32 v26, 0x80, v29
	v_mov_b32_e32 v4, 0
	v_mov_b32_e32 v6, 0
	;; [unrolled: 1-line block ×3, first 2 shown]
	s_mov_b32 s7, 0
	.p2align	6
.LBB71_33:                              ; =>This Inner Loop Header: Depth=1
	s_clause 0x3
	buffer_load_dword v34, v27, s[0:3], 0 offen offset:8
	buffer_load_dword v35, v27, s[0:3], 0 offen offset:12
	buffer_load_dword v36, v27, s[0:3], 0 offen
	buffer_load_dword v37, v27, s[0:3], 0 offen offset:4
	ds_read_b128 v[30:33], v26
	v_add_nc_u32_e32 v25, 1, v25
	v_add_nc_u32_e32 v26, 16, v26
	;; [unrolled: 1-line block ×3, first 2 shown]
	v_cmp_lt_u32_e32 vcc_lo, 3, v25
	s_or_b32 s7, vcc_lo, s7
	s_waitcnt vmcnt(2) lgkmcnt(0)
	v_mul_f64 v[38:39], v[32:33], v[34:35]
	v_mul_f64 v[34:35], v[30:31], v[34:35]
	s_waitcnt vmcnt(0)
	v_fma_f64 v[30:31], v[30:31], v[36:37], -v[38:39]
	v_fma_f64 v[32:33], v[32:33], v[36:37], v[34:35]
	v_add_f64 v[5:6], v[5:6], v[30:31]
	v_add_f64 v[3:4], v[3:4], v[32:33]
	s_andn2_b32 exec_lo, exec_lo, s7
	s_cbranch_execnz .LBB71_33
; %bb.34:
	s_or_b32 exec_lo, exec_lo, s7
	v_mov_b32_e32 v25, 0
	ds_read_b128 v[25:28], v25 offset:80
	s_waitcnt lgkmcnt(0)
	v_mul_f64 v[30:31], v[3:4], v[27:28]
	v_mul_f64 v[27:28], v[5:6], v[27:28]
	v_fma_f64 v[5:6], v[5:6], v[25:26], -v[30:31]
	v_fma_f64 v[3:4], v[3:4], v[25:26], v[27:28]
	buffer_store_dword v6, off, s[0:3], 0 offset:84
	buffer_store_dword v5, off, s[0:3], 0 offset:80
	;; [unrolled: 1-line block ×4, first 2 shown]
.LBB71_35:
	s_or_b32 exec_lo, exec_lo, s6
	v_mov_b32_e32 v6, s13
	s_waitcnt_vscnt null, 0x0
	s_barrier
	buffer_gl0_inv
	s_mov_b32 s6, exec_lo
	s_clause 0x3
	buffer_load_dword v3, v6, s[0:3], 0 offen
	buffer_load_dword v4, v6, s[0:3], 0 offen offset:4
	buffer_load_dword v5, v6, s[0:3], 0 offen offset:8
	;; [unrolled: 1-line block ×3, first 2 shown]
	s_waitcnt vmcnt(0)
	ds_write_b128 v23, v[3:6]
	s_waitcnt lgkmcnt(0)
	s_barrier
	buffer_gl0_inv
	v_cmpx_gt_u32_e32 6, v0
	s_cbranch_execz .LBB71_39
; %bb.36:
	v_mov_b32_e32 v3, 0
	v_mov_b32_e32 v5, 0
	v_add_nc_u32_e32 v25, -1, v0
	v_add_nc_u32_e32 v26, 0x80, v29
	v_mov_b32_e32 v4, 0
	v_mov_b32_e32 v6, 0
	;; [unrolled: 1-line block ×3, first 2 shown]
	s_mov_b32 s7, 0
	.p2align	6
.LBB71_37:                              ; =>This Inner Loop Header: Depth=1
	s_clause 0x3
	buffer_load_dword v34, v27, s[0:3], 0 offen offset:8
	buffer_load_dword v35, v27, s[0:3], 0 offen offset:12
	buffer_load_dword v36, v27, s[0:3], 0 offen
	buffer_load_dword v37, v27, s[0:3], 0 offen offset:4
	ds_read_b128 v[30:33], v26
	v_add_nc_u32_e32 v25, 1, v25
	v_add_nc_u32_e32 v26, 16, v26
	v_add_nc_u32_e32 v27, 16, v27
	v_cmp_lt_u32_e32 vcc_lo, 4, v25
	s_or_b32 s7, vcc_lo, s7
	s_waitcnt vmcnt(2) lgkmcnt(0)
	v_mul_f64 v[38:39], v[32:33], v[34:35]
	v_mul_f64 v[34:35], v[30:31], v[34:35]
	s_waitcnt vmcnt(0)
	v_fma_f64 v[30:31], v[30:31], v[36:37], -v[38:39]
	v_fma_f64 v[32:33], v[32:33], v[36:37], v[34:35]
	v_add_f64 v[5:6], v[5:6], v[30:31]
	v_add_f64 v[3:4], v[3:4], v[32:33]
	s_andn2_b32 exec_lo, exec_lo, s7
	s_cbranch_execnz .LBB71_37
; %bb.38:
	s_or_b32 exec_lo, exec_lo, s7
	v_mov_b32_e32 v25, 0
	ds_read_b128 v[25:28], v25 offset:96
	s_waitcnt lgkmcnt(0)
	v_mul_f64 v[30:31], v[3:4], v[27:28]
	v_mul_f64 v[27:28], v[5:6], v[27:28]
	v_fma_f64 v[5:6], v[5:6], v[25:26], -v[30:31]
	v_fma_f64 v[3:4], v[3:4], v[25:26], v[27:28]
	buffer_store_dword v6, off, s[0:3], 0 offset:100
	buffer_store_dword v5, off, s[0:3], 0 offset:96
	;; [unrolled: 1-line block ×4, first 2 shown]
.LBB71_39:
	s_or_b32 exec_lo, exec_lo, s6
	v_mov_b32_e32 v6, s12
	s_waitcnt_vscnt null, 0x0
	s_barrier
	buffer_gl0_inv
	s_mov_b32 s6, exec_lo
	s_clause 0x3
	buffer_load_dword v3, v6, s[0:3], 0 offen
	buffer_load_dword v4, v6, s[0:3], 0 offen offset:4
	buffer_load_dword v5, v6, s[0:3], 0 offen offset:8
	;; [unrolled: 1-line block ×3, first 2 shown]
	s_waitcnt vmcnt(0)
	ds_write_b128 v23, v[3:6]
	s_waitcnt lgkmcnt(0)
	s_barrier
	buffer_gl0_inv
	v_cmpx_ne_u32_e32 7, v0
	s_cbranch_execz .LBB71_43
; %bb.40:
	v_mov_b32_e32 v3, 0
	v_mov_b32_e32 v5, 0
	;; [unrolled: 1-line block ×5, first 2 shown]
	s_mov_b32 s7, 0
	.p2align	6
.LBB71_41:                              ; =>This Inner Loop Header: Depth=1
	s_clause 0x3
	buffer_load_dword v30, v25, s[0:3], 0 offen offset:8
	buffer_load_dword v31, v25, s[0:3], 0 offen offset:12
	buffer_load_dword v32, v25, s[0:3], 0 offen
	buffer_load_dword v33, v25, s[0:3], 0 offen offset:4
	ds_read_b128 v[26:29], v23
	v_add_nc_u32_e32 v24, 1, v24
	v_add_nc_u32_e32 v23, 16, v23
	;; [unrolled: 1-line block ×3, first 2 shown]
	v_cmp_lt_u32_e32 vcc_lo, 5, v24
	s_or_b32 s7, vcc_lo, s7
	s_waitcnt vmcnt(2) lgkmcnt(0)
	v_mul_f64 v[34:35], v[28:29], v[30:31]
	v_mul_f64 v[30:31], v[26:27], v[30:31]
	s_waitcnt vmcnt(0)
	v_fma_f64 v[26:27], v[26:27], v[32:33], -v[34:35]
	v_fma_f64 v[28:29], v[28:29], v[32:33], v[30:31]
	v_add_f64 v[5:6], v[5:6], v[26:27]
	v_add_f64 v[3:4], v[3:4], v[28:29]
	s_andn2_b32 exec_lo, exec_lo, s7
	s_cbranch_execnz .LBB71_41
; %bb.42:
	s_or_b32 exec_lo, exec_lo, s7
	v_mov_b32_e32 v23, 0
	ds_read_b128 v[23:26], v23 offset:112
	s_waitcnt lgkmcnt(0)
	v_mul_f64 v[27:28], v[3:4], v[25:26]
	v_mul_f64 v[25:26], v[5:6], v[25:26]
	v_fma_f64 v[5:6], v[5:6], v[23:24], -v[27:28]
	v_fma_f64 v[3:4], v[3:4], v[23:24], v[25:26]
	buffer_store_dword v6, off, s[0:3], 0 offset:116
	buffer_store_dword v5, off, s[0:3], 0 offset:112
	;; [unrolled: 1-line block ×4, first 2 shown]
.LBB71_43:
	s_or_b32 exec_lo, exec_lo, s6
	s_mov_b32 s7, -1
	s_waitcnt_vscnt null, 0x0
	s_barrier
	buffer_gl0_inv
.LBB71_44:
	s_and_b32 vcc_lo, exec_lo, s7
	s_cbranch_vccz .LBB71_46
; %bb.45:
	s_lshl_b64 s[6:7], s[8:9], 2
	v_mov_b32_e32 v3, 0
	s_add_u32 s6, s14, s6
	s_addc_u32 s7, s15, s7
	global_load_dword v3, v3, s[6:7]
	s_waitcnt vmcnt(0)
	v_cmp_ne_u32_e32 vcc_lo, 0, v3
	s_cbranch_vccz .LBB71_47
.LBB71_46:
	s_endpgm
.LBB71_47:
	v_lshl_add_u32 v3, v0, 4, 0x80
	s_mov_b32 s6, exec_lo
	v_cmpx_eq_u32_e32 7, v0
	s_cbranch_execz .LBB71_49
; %bb.48:
	v_mov_b32_e32 v4, s13
	s_clause 0x3
	buffer_load_dword v23, v4, s[0:3], 0 offen
	buffer_load_dword v24, v4, s[0:3], 0 offen offset:4
	buffer_load_dword v25, v4, s[0:3], 0 offen offset:8
	;; [unrolled: 1-line block ×3, first 2 shown]
	v_mov_b32_e32 v4, 0
	buffer_store_dword v4, off, s[0:3], 0 offset:96
	buffer_store_dword v4, off, s[0:3], 0 offset:100
	;; [unrolled: 1-line block ×4, first 2 shown]
	s_waitcnt vmcnt(0)
	ds_write_b128 v3, v[23:26]
.LBB71_49:
	s_or_b32 exec_lo, exec_lo, s6
	s_waitcnt lgkmcnt(0)
	s_waitcnt_vscnt null, 0x0
	s_barrier
	buffer_gl0_inv
	s_clause 0x7
	buffer_load_dword v5, off, s[0:3], 0 offset:120
	buffer_load_dword v6, off, s[0:3], 0 offset:124
	;; [unrolled: 1-line block ×8, first 2 shown]
	v_mov_b32_e32 v4, 0
	s_mov_b32 s6, exec_lo
	ds_read_b128 v[23:26], v4 offset:240
	s_waitcnt vmcnt(6) lgkmcnt(0)
	v_mul_f64 v[33:34], v[25:26], v[5:6]
	v_mul_f64 v[5:6], v[23:24], v[5:6]
	s_waitcnt vmcnt(4)
	v_fma_f64 v[23:24], v[23:24], v[27:28], -v[33:34]
	v_fma_f64 v[5:6], v[25:26], v[27:28], v[5:6]
	v_add_f64 v[23:24], v[23:24], 0
	v_add_f64 v[5:6], v[5:6], 0
	s_waitcnt vmcnt(2)
	v_add_f64 v[23:24], v[29:30], -v[23:24]
	s_waitcnt vmcnt(0)
	v_add_f64 v[5:6], v[31:32], -v[5:6]
	buffer_store_dword v23, off, s[0:3], 0 offset:96
	buffer_store_dword v24, off, s[0:3], 0 offset:100
	;; [unrolled: 1-line block ×4, first 2 shown]
	v_cmpx_lt_u32_e32 5, v0
	s_cbranch_execz .LBB71_51
; %bb.50:
	v_mov_b32_e32 v5, s16
	s_clause 0x3
	buffer_load_dword v23, v5, s[0:3], 0 offen
	buffer_load_dword v24, v5, s[0:3], 0 offen offset:4
	buffer_load_dword v25, v5, s[0:3], 0 offen offset:8
	;; [unrolled: 1-line block ×3, first 2 shown]
	buffer_store_dword v4, off, s[0:3], 0 offset:80
	buffer_store_dword v4, off, s[0:3], 0 offset:84
	;; [unrolled: 1-line block ×4, first 2 shown]
	s_waitcnt vmcnt(0)
	ds_write_b128 v3, v[23:26]
.LBB71_51:
	s_or_b32 exec_lo, exec_lo, s6
	s_waitcnt lgkmcnt(0)
	s_waitcnt_vscnt null, 0x0
	s_barrier
	buffer_gl0_inv
	s_clause 0xb
	buffer_load_dword v5, off, s[0:3], 0 offset:104
	buffer_load_dword v6, off, s[0:3], 0 offset:108
	;; [unrolled: 1-line block ×12, first 2 shown]
	ds_read_b128 v[23:26], v4 offset:224
	ds_read_b128 v[27:30], v4 offset:240
	s_mov_b32 s6, exec_lo
	s_waitcnt vmcnt(10) lgkmcnt(1)
	v_mul_f64 v[41:42], v[25:26], v[5:6]
	v_mul_f64 v[4:5], v[23:24], v[5:6]
	s_waitcnt vmcnt(8) lgkmcnt(0)
	v_mul_f64 v[43:44], v[29:30], v[31:32]
	v_mul_f64 v[31:32], v[27:28], v[31:32]
	s_waitcnt vmcnt(6)
	v_fma_f64 v[23:24], v[23:24], v[33:34], -v[41:42]
	v_fma_f64 v[4:5], v[25:26], v[33:34], v[4:5]
	s_waitcnt vmcnt(4)
	v_fma_f64 v[25:26], v[27:28], v[35:36], -v[43:44]
	v_fma_f64 v[27:28], v[29:30], v[35:36], v[31:32]
	v_add_f64 v[23:24], v[23:24], 0
	v_add_f64 v[4:5], v[4:5], 0
	;; [unrolled: 1-line block ×4, first 2 shown]
	s_waitcnt vmcnt(2)
	v_add_f64 v[23:24], v[37:38], -v[23:24]
	s_waitcnt vmcnt(0)
	v_add_f64 v[4:5], v[39:40], -v[4:5]
	buffer_store_dword v23, off, s[0:3], 0 offset:80
	buffer_store_dword v24, off, s[0:3], 0 offset:84
	;; [unrolled: 1-line block ×4, first 2 shown]
	v_cmpx_lt_u32_e32 4, v0
	s_cbranch_execz .LBB71_53
; %bb.52:
	v_mov_b32_e32 v4, s17
	s_clause 0x3
	buffer_load_dword v23, v4, s[0:3], 0 offen
	buffer_load_dword v24, v4, s[0:3], 0 offen offset:4
	buffer_load_dword v25, v4, s[0:3], 0 offen offset:8
	;; [unrolled: 1-line block ×3, first 2 shown]
	v_mov_b32_e32 v4, 0
	buffer_store_dword v4, off, s[0:3], 0 offset:64
	buffer_store_dword v4, off, s[0:3], 0 offset:68
	;; [unrolled: 1-line block ×4, first 2 shown]
	s_waitcnt vmcnt(0)
	ds_write_b128 v3, v[23:26]
.LBB71_53:
	s_or_b32 exec_lo, exec_lo, s6
	s_waitcnt lgkmcnt(0)
	s_waitcnt_vscnt null, 0x0
	s_barrier
	buffer_gl0_inv
	s_clause 0xf
	buffer_load_dword v5, off, s[0:3], 0 offset:88
	buffer_load_dword v6, off, s[0:3], 0 offset:92
	;; [unrolled: 1-line block ×16, first 2 shown]
	v_mov_b32_e32 v4, 0
	ds_read_b128 v[23:26], v4 offset:208
	ds_read_b128 v[27:30], v4 offset:224
	;; [unrolled: 1-line block ×3, first 2 shown]
	s_mov_b32 s6, exec_lo
	s_waitcnt vmcnt(14) lgkmcnt(2)
	v_mul_f64 v[49:50], v[25:26], v[5:6]
	v_mul_f64 v[5:6], v[23:24], v[5:6]
	s_waitcnt vmcnt(12) lgkmcnt(1)
	v_mul_f64 v[51:52], v[29:30], v[35:36]
	v_mul_f64 v[35:36], v[27:28], v[35:36]
	s_waitcnt vmcnt(10)
	v_fma_f64 v[23:24], v[23:24], v[37:38], -v[49:50]
	v_fma_f64 v[5:6], v[25:26], v[37:38], v[5:6]
	s_waitcnt vmcnt(8) lgkmcnt(0)
	v_mul_f64 v[37:38], v[33:34], v[39:40]
	s_waitcnt vmcnt(6)
	v_fma_f64 v[27:28], v[27:28], v[41:42], -v[51:52]
	v_mul_f64 v[25:26], v[31:32], v[39:40]
	v_fma_f64 v[29:30], v[29:30], v[41:42], v[35:36]
	v_add_f64 v[23:24], v[23:24], 0
	v_add_f64 v[5:6], v[5:6], 0
	s_waitcnt vmcnt(4)
	v_fma_f64 v[31:32], v[31:32], v[43:44], -v[37:38]
	v_fma_f64 v[25:26], v[33:34], v[43:44], v[25:26]
	v_add_f64 v[23:24], v[23:24], v[27:28]
	v_add_f64 v[5:6], v[5:6], v[29:30]
	;; [unrolled: 1-line block ×4, first 2 shown]
	s_waitcnt vmcnt(2)
	v_add_f64 v[23:24], v[45:46], -v[23:24]
	s_waitcnt vmcnt(0)
	v_add_f64 v[5:6], v[47:48], -v[5:6]
	buffer_store_dword v23, off, s[0:3], 0 offset:64
	buffer_store_dword v24, off, s[0:3], 0 offset:68
	;; [unrolled: 1-line block ×4, first 2 shown]
	v_cmpx_lt_u32_e32 3, v0
	s_cbranch_execz .LBB71_55
; %bb.54:
	v_mov_b32_e32 v5, s18
	s_clause 0x3
	buffer_load_dword v23, v5, s[0:3], 0 offen
	buffer_load_dword v24, v5, s[0:3], 0 offen offset:4
	buffer_load_dword v25, v5, s[0:3], 0 offen offset:8
	;; [unrolled: 1-line block ×3, first 2 shown]
	buffer_store_dword v4, off, s[0:3], 0 offset:48
	buffer_store_dword v4, off, s[0:3], 0 offset:52
	;; [unrolled: 1-line block ×4, first 2 shown]
	s_waitcnt vmcnt(0)
	ds_write_b128 v3, v[23:26]
.LBB71_55:
	s_or_b32 exec_lo, exec_lo, s6
	s_waitcnt lgkmcnt(0)
	s_waitcnt_vscnt null, 0x0
	s_barrier
	buffer_gl0_inv
	s_clause 0x13
	buffer_load_dword v5, off, s[0:3], 0 offset:72
	buffer_load_dword v6, off, s[0:3], 0 offset:76
	;; [unrolled: 1-line block ×20, first 2 shown]
	ds_read_b128 v[23:26], v4 offset:192
	ds_read_b128 v[27:30], v4 offset:208
	;; [unrolled: 1-line block ×3, first 2 shown]
	s_mov_b32 s6, exec_lo
	s_waitcnt vmcnt(18) lgkmcnt(2)
	v_mul_f64 v[53:54], v[25:26], v[5:6]
	v_mul_f64 v[5:6], v[23:24], v[5:6]
	s_waitcnt vmcnt(16) lgkmcnt(1)
	v_mul_f64 v[55:56], v[29:30], v[35:36]
	v_mul_f64 v[35:36], v[27:28], v[35:36]
	s_waitcnt vmcnt(14)
	v_fma_f64 v[53:54], v[23:24], v[37:38], -v[53:54]
	v_fma_f64 v[5:6], v[25:26], v[37:38], v[5:6]
	ds_read_b128 v[23:26], v4 offset:240
	s_waitcnt vmcnt(12) lgkmcnt(1)
	v_mul_f64 v[37:38], v[31:32], v[39:40]
	v_mul_f64 v[39:40], v[33:34], v[39:40]
	s_waitcnt vmcnt(10)
	v_fma_f64 v[27:28], v[27:28], v[41:42], -v[55:56]
	v_fma_f64 v[29:30], v[29:30], v[41:42], v[35:36]
	s_waitcnt vmcnt(8) lgkmcnt(0)
	v_mul_f64 v[41:42], v[25:26], v[43:44]
	v_add_f64 v[53:54], v[53:54], 0
	v_add_f64 v[4:5], v[5:6], 0
	v_mul_f64 v[35:36], v[23:24], v[43:44]
	s_waitcnt vmcnt(6)
	v_fma_f64 v[31:32], v[31:32], v[45:46], -v[39:40]
	v_fma_f64 v[33:34], v[33:34], v[45:46], v[37:38]
	s_waitcnt vmcnt(4)
	v_fma_f64 v[23:24], v[23:24], v[47:48], -v[41:42]
	v_add_f64 v[27:28], v[53:54], v[27:28]
	v_add_f64 v[4:5], v[4:5], v[29:30]
	v_fma_f64 v[25:26], v[25:26], v[47:48], v[35:36]
	v_add_f64 v[27:28], v[27:28], v[31:32]
	v_add_f64 v[4:5], v[4:5], v[33:34]
	;; [unrolled: 1-line block ×4, first 2 shown]
	s_waitcnt vmcnt(2)
	v_add_f64 v[23:24], v[49:50], -v[23:24]
	s_waitcnt vmcnt(0)
	v_add_f64 v[4:5], v[51:52], -v[4:5]
	buffer_store_dword v23, off, s[0:3], 0 offset:48
	buffer_store_dword v24, off, s[0:3], 0 offset:52
	;; [unrolled: 1-line block ×4, first 2 shown]
	v_cmpx_lt_u32_e32 2, v0
	s_cbranch_execz .LBB71_57
; %bb.56:
	v_mov_b32_e32 v4, s19
	s_clause 0x3
	buffer_load_dword v23, v4, s[0:3], 0 offen
	buffer_load_dword v24, v4, s[0:3], 0 offen offset:4
	buffer_load_dword v25, v4, s[0:3], 0 offen offset:8
	;; [unrolled: 1-line block ×3, first 2 shown]
	v_mov_b32_e32 v4, 0
	buffer_store_dword v4, off, s[0:3], 0 offset:32
	buffer_store_dword v4, off, s[0:3], 0 offset:36
	;; [unrolled: 1-line block ×4, first 2 shown]
	s_waitcnt vmcnt(0)
	ds_write_b128 v3, v[23:26]
.LBB71_57:
	s_or_b32 exec_lo, exec_lo, s6
	s_waitcnt lgkmcnt(0)
	s_waitcnt_vscnt null, 0x0
	s_barrier
	buffer_gl0_inv
	s_clause 0x17
	buffer_load_dword v5, off, s[0:3], 0 offset:56
	buffer_load_dword v6, off, s[0:3], 0 offset:60
	;; [unrolled: 1-line block ×24, first 2 shown]
	v_mov_b32_e32 v4, 0
	ds_read_b128 v[23:26], v4 offset:176
	ds_read_b128 v[27:30], v4 offset:192
	ds_read_b128 v[31:34], v4 offset:208
	s_mov_b32 s6, exec_lo
	s_waitcnt vmcnt(22) lgkmcnt(2)
	v_mul_f64 v[57:58], v[25:26], v[5:6]
	v_mul_f64 v[5:6], v[23:24], v[5:6]
	s_waitcnt vmcnt(20) lgkmcnt(1)
	v_mul_f64 v[59:60], v[29:30], v[35:36]
	v_mul_f64 v[35:36], v[27:28], v[35:36]
	s_waitcnt vmcnt(18)
	v_fma_f64 v[57:58], v[23:24], v[37:38], -v[57:58]
	v_fma_f64 v[5:6], v[25:26], v[37:38], v[5:6]
	ds_read_b128 v[23:26], v4 offset:224
	s_waitcnt vmcnt(16) lgkmcnt(1)
	v_mul_f64 v[37:38], v[31:32], v[39:40]
	v_mul_f64 v[39:40], v[33:34], v[39:40]
	s_waitcnt vmcnt(14)
	v_fma_f64 v[59:60], v[27:28], v[41:42], -v[59:60]
	v_fma_f64 v[35:36], v[29:30], v[41:42], v[35:36]
	ds_read_b128 v[27:30], v4 offset:240
	s_waitcnt vmcnt(10) lgkmcnt(1)
	v_mul_f64 v[41:42], v[23:24], v[43:44]
	v_add_f64 v[57:58], v[57:58], 0
	v_add_f64 v[5:6], v[5:6], 0
	v_mul_f64 v[43:44], v[25:26], v[43:44]
	s_waitcnt vmcnt(8)
	v_fma_f64 v[31:32], v[31:32], v[49:50], -v[39:40]
	v_fma_f64 v[33:34], v[33:34], v[49:50], v[37:38]
	s_waitcnt vmcnt(7) lgkmcnt(0)
	v_mul_f64 v[37:38], v[29:30], v[45:46]
	s_waitcnt vmcnt(5)
	v_fma_f64 v[25:26], v[25:26], v[51:52], v[41:42]
	v_add_f64 v[39:40], v[57:58], v[59:60]
	v_add_f64 v[5:6], v[5:6], v[35:36]
	v_fma_f64 v[23:24], v[23:24], v[51:52], -v[43:44]
	v_mul_f64 v[35:36], v[27:28], v[45:46]
	s_waitcnt vmcnt(4)
	v_fma_f64 v[27:28], v[27:28], v[47:48], -v[37:38]
	v_add_f64 v[31:32], v[39:40], v[31:32]
	v_add_f64 v[5:6], v[5:6], v[33:34]
	v_fma_f64 v[29:30], v[29:30], v[47:48], v[35:36]
	v_add_f64 v[23:24], v[31:32], v[23:24]
	v_add_f64 v[5:6], v[5:6], v[25:26]
	;; [unrolled: 1-line block ×4, first 2 shown]
	s_waitcnt vmcnt(2)
	v_add_f64 v[23:24], v[53:54], -v[23:24]
	s_waitcnt vmcnt(0)
	v_add_f64 v[5:6], v[55:56], -v[5:6]
	buffer_store_dword v24, off, s[0:3], 0 offset:36
	buffer_store_dword v23, off, s[0:3], 0 offset:32
	;; [unrolled: 1-line block ×4, first 2 shown]
	v_cmpx_lt_u32_e32 1, v0
	s_cbranch_execz .LBB71_59
; %bb.58:
	v_mov_b32_e32 v5, s20
	s_clause 0x3
	buffer_load_dword v23, v5, s[0:3], 0 offen
	buffer_load_dword v24, v5, s[0:3], 0 offen offset:4
	buffer_load_dword v25, v5, s[0:3], 0 offen offset:8
	;; [unrolled: 1-line block ×3, first 2 shown]
	buffer_store_dword v4, off, s[0:3], 0 offset:16
	buffer_store_dword v4, off, s[0:3], 0 offset:20
	;; [unrolled: 1-line block ×4, first 2 shown]
	s_waitcnt vmcnt(0)
	ds_write_b128 v3, v[23:26]
.LBB71_59:
	s_or_b32 exec_lo, exec_lo, s6
	s_waitcnt lgkmcnt(0)
	s_waitcnt_vscnt null, 0x0
	s_barrier
	buffer_gl0_inv
	s_clause 0x1b
	buffer_load_dword v5, off, s[0:3], 0 offset:40
	buffer_load_dword v6, off, s[0:3], 0 offset:44
	;; [unrolled: 1-line block ×28, first 2 shown]
	ds_read_b128 v[23:26], v4 offset:160
	ds_read_b128 v[27:30], v4 offset:176
	;; [unrolled: 1-line block ×3, first 2 shown]
	s_mov_b32 s6, exec_lo
	s_waitcnt vmcnt(26) lgkmcnt(2)
	v_mul_f64 v[61:62], v[25:26], v[5:6]
	v_mul_f64 v[5:6], v[23:24], v[5:6]
	s_waitcnt vmcnt(24) lgkmcnt(1)
	v_mul_f64 v[63:64], v[29:30], v[35:36]
	v_mul_f64 v[35:36], v[27:28], v[35:36]
	s_waitcnt vmcnt(22)
	v_fma_f64 v[61:62], v[23:24], v[37:38], -v[61:62]
	v_fma_f64 v[5:6], v[25:26], v[37:38], v[5:6]
	ds_read_b128 v[23:26], v4 offset:208
	s_waitcnt vmcnt(20) lgkmcnt(1)
	v_mul_f64 v[37:38], v[31:32], v[39:40]
	v_mul_f64 v[39:40], v[33:34], v[39:40]
	s_waitcnt vmcnt(18)
	v_fma_f64 v[63:64], v[27:28], v[41:42], -v[63:64]
	v_fma_f64 v[35:36], v[29:30], v[41:42], v[35:36]
	ds_read_b128 v[27:30], v4 offset:224
	s_waitcnt vmcnt(14) lgkmcnt(1)
	v_mul_f64 v[41:42], v[23:24], v[43:44]
	v_add_f64 v[61:62], v[61:62], 0
	v_add_f64 v[5:6], v[5:6], 0
	v_mul_f64 v[43:44], v[25:26], v[43:44]
	s_waitcnt vmcnt(12)
	v_fma_f64 v[39:40], v[31:32], v[49:50], -v[39:40]
	v_fma_f64 v[37:38], v[33:34], v[49:50], v[37:38]
	ds_read_b128 v[31:34], v4 offset:240
	s_waitcnt vmcnt(9)
	v_fma_f64 v[25:26], v[25:26], v[51:52], v[41:42]
	v_add_f64 v[61:62], v[61:62], v[63:64]
	v_add_f64 v[5:6], v[5:6], v[35:36]
	s_waitcnt lgkmcnt(1)
	v_mul_f64 v[35:36], v[27:28], v[45:46]
	v_mul_f64 v[45:46], v[29:30], v[45:46]
	v_fma_f64 v[23:24], v[23:24], v[51:52], -v[43:44]
	s_waitcnt vmcnt(7) lgkmcnt(0)
	v_mul_f64 v[41:42], v[33:34], v[53:54]
	v_add_f64 v[39:40], v[61:62], v[39:40]
	v_add_f64 v[4:5], v[5:6], v[37:38]
	v_mul_f64 v[37:38], v[31:32], v[53:54]
	s_waitcnt vmcnt(6)
	v_fma_f64 v[27:28], v[27:28], v[47:48], -v[45:46]
	v_fma_f64 v[29:30], v[29:30], v[47:48], v[35:36]
	v_add_f64 v[23:24], v[39:40], v[23:24]
	v_add_f64 v[4:5], v[4:5], v[25:26]
	s_waitcnt vmcnt(4)
	v_fma_f64 v[25:26], v[31:32], v[55:56], -v[41:42]
	v_add_f64 v[23:24], v[23:24], v[27:28]
	v_fma_f64 v[27:28], v[33:34], v[55:56], v[37:38]
	v_add_f64 v[4:5], v[4:5], v[29:30]
	v_add_f64 v[23:24], v[23:24], v[25:26]
	;; [unrolled: 1-line block ×3, first 2 shown]
	s_waitcnt vmcnt(2)
	v_add_f64 v[23:24], v[57:58], -v[23:24]
	s_waitcnt vmcnt(0)
	v_add_f64 v[4:5], v[59:60], -v[4:5]
	buffer_store_dword v24, off, s[0:3], 0 offset:20
	buffer_store_dword v23, off, s[0:3], 0 offset:16
	;; [unrolled: 1-line block ×4, first 2 shown]
	v_cmpx_ne_u32_e32 0, v0
	s_cbranch_execz .LBB71_61
; %bb.60:
	s_clause 0x3
	buffer_load_dword v23, off, s[0:3], 0
	buffer_load_dword v24, off, s[0:3], 0 offset:4
	buffer_load_dword v25, off, s[0:3], 0 offset:8
	;; [unrolled: 1-line block ×3, first 2 shown]
	v_mov_b32_e32 v4, 0
	buffer_store_dword v4, off, s[0:3], 0
	buffer_store_dword v4, off, s[0:3], 0 offset:4
	buffer_store_dword v4, off, s[0:3], 0 offset:8
	;; [unrolled: 1-line block ×3, first 2 shown]
	s_waitcnt vmcnt(0)
	ds_write_b128 v3, v[23:26]
.LBB71_61:
	s_or_b32 exec_lo, exec_lo, s6
	s_waitcnt lgkmcnt(0)
	s_waitcnt_vscnt null, 0x0
	s_barrier
	buffer_gl0_inv
	s_clause 0x1f
	buffer_load_dword v4, off, s[0:3], 0 offset:24
	buffer_load_dword v5, off, s[0:3], 0 offset:28
	;; [unrolled: 1-line block ×28, first 2 shown]
	buffer_load_dword v61, off, s[0:3], 0
	buffer_load_dword v62, off, s[0:3], 0 offset:4
	buffer_load_dword v63, off, s[0:3], 0 offset:8
	buffer_load_dword v64, off, s[0:3], 0 offset:12
	v_mov_b32_e32 v3, 0
	ds_read_b128 v[23:26], v3 offset:144
	ds_read_b128 v[27:30], v3 offset:160
	;; [unrolled: 1-line block ×3, first 2 shown]
	s_and_b32 vcc_lo, exec_lo, s21
	s_waitcnt vmcnt(30) lgkmcnt(2)
	v_mul_f64 v[65:66], v[25:26], v[4:5]
	v_mul_f64 v[4:5], v[23:24], v[4:5]
	s_waitcnt vmcnt(28) lgkmcnt(1)
	v_mul_f64 v[67:68], v[29:30], v[35:36]
	v_mul_f64 v[35:36], v[27:28], v[35:36]
	s_waitcnt vmcnt(26)
	v_fma_f64 v[65:66], v[23:24], v[37:38], -v[65:66]
	v_fma_f64 v[4:5], v[25:26], v[37:38], v[4:5]
	ds_read_b128 v[23:26], v3 offset:192
	s_waitcnt vmcnt(24) lgkmcnt(1)
	v_mul_f64 v[37:38], v[31:32], v[39:40]
	v_mul_f64 v[39:40], v[33:34], v[39:40]
	s_waitcnt vmcnt(22)
	v_fma_f64 v[67:68], v[27:28], v[41:42], -v[67:68]
	v_fma_f64 v[35:36], v[29:30], v[41:42], v[35:36]
	ds_read_b128 v[27:30], v3 offset:208
	s_waitcnt vmcnt(18) lgkmcnt(1)
	v_mul_f64 v[41:42], v[23:24], v[43:44]
	v_add_f64 v[65:66], v[65:66], 0
	v_add_f64 v[4:5], v[4:5], 0
	v_mul_f64 v[43:44], v[25:26], v[43:44]
	s_waitcnt vmcnt(16)
	v_fma_f64 v[39:40], v[31:32], v[49:50], -v[39:40]
	v_fma_f64 v[37:38], v[33:34], v[49:50], v[37:38]
	ds_read_b128 v[31:34], v3 offset:224
	s_waitcnt vmcnt(13)
	v_fma_f64 v[41:42], v[25:26], v[51:52], v[41:42]
	v_add_f64 v[65:66], v[65:66], v[67:68]
	v_add_f64 v[4:5], v[4:5], v[35:36]
	s_waitcnt lgkmcnt(1)
	v_mul_f64 v[35:36], v[27:28], v[45:46]
	v_mul_f64 v[45:46], v[29:30], v[45:46]
	v_fma_f64 v[43:44], v[23:24], v[51:52], -v[43:44]
	s_waitcnt vmcnt(9) lgkmcnt(0)
	v_mul_f64 v[49:50], v[33:34], v[53:54]
	ds_read_b128 v[23:26], v3 offset:240
	v_add_f64 v[39:40], v[65:66], v[39:40]
	v_add_f64 v[4:5], v[4:5], v[37:38]
	v_mul_f64 v[37:38], v[31:32], v[53:54]
	s_waitcnt vmcnt(8)
	v_fma_f64 v[27:28], v[27:28], v[47:48], -v[45:46]
	v_fma_f64 v[29:30], v[29:30], v[47:48], v[35:36]
	s_waitcnt vmcnt(5)
	v_fma_f64 v[31:32], v[31:32], v[59:60], -v[49:50]
	s_waitcnt lgkmcnt(0)
	v_mul_f64 v[35:36], v[23:24], v[55:56]
	v_add_f64 v[39:40], v[39:40], v[43:44]
	v_add_f64 v[4:5], v[4:5], v[41:42]
	v_mul_f64 v[41:42], v[25:26], v[55:56]
	v_fma_f64 v[33:34], v[33:34], v[59:60], v[37:38]
	s_waitcnt vmcnt(4)
	v_fma_f64 v[25:26], v[25:26], v[57:58], v[35:36]
	v_add_f64 v[27:28], v[39:40], v[27:28]
	v_add_f64 v[4:5], v[4:5], v[29:30]
	v_fma_f64 v[23:24], v[23:24], v[57:58], -v[41:42]
	v_add_f64 v[27:28], v[27:28], v[31:32]
	v_add_f64 v[4:5], v[4:5], v[33:34]
	;; [unrolled: 1-line block ×4, first 2 shown]
	s_waitcnt vmcnt(2)
	v_add_f64 v[23:24], v[61:62], -v[23:24]
	s_waitcnt vmcnt(0)
	v_add_f64 v[4:5], v[63:64], -v[4:5]
	buffer_store_dword v24, off, s[0:3], 0 offset:4
	buffer_store_dword v23, off, s[0:3], 0
	buffer_store_dword v5, off, s[0:3], 0 offset:12
	buffer_store_dword v4, off, s[0:3], 0 offset:8
	s_cbranch_vccz .LBB71_76
; %bb.62:
	global_load_dword v3, v3, s[10:11] offset:24
	s_load_dwordx2 s[4:5], s[4:5], 0x4
	s_waitcnt lgkmcnt(0)
	s_lshr_b32 s4, s4, 16
	v_mul_u32_u24_e32 v4, s5, v1
	s_mul_i32 s4, s4, s5
	v_mul_u32_u24_e32 v0, s4, v0
	v_add3_u32 v0, v0, v4, v2
	v_lshl_add_u32 v0, v0, 4, 0x108
	s_waitcnt vmcnt(0)
	v_add_nc_u32_e32 v1, -1, v3
	v_cmp_ne_u32_e32 vcc_lo, 6, v1
	s_cbranch_vccz .LBB71_64
; %bb.63:
	v_lshlrev_b32_e32 v1, 4, v1
	v_mov_b32_e32 v5, s13
	v_mov_b32_e32 v6, v1
	s_clause 0x7
	buffer_load_dword v1, v5, s[0:3], 0 offen
	buffer_load_dword v2, v5, s[0:3], 0 offen offset:4
	buffer_load_dword v3, v5, s[0:3], 0 offen offset:8
	;; [unrolled: 1-line block ×3, first 2 shown]
	buffer_load_dword v23, v6, s[0:3], 0 offen
	buffer_load_dword v24, v6, s[0:3], 0 offen offset:4
	buffer_load_dword v25, v6, s[0:3], 0 offen offset:8
	;; [unrolled: 1-line block ×3, first 2 shown]
	s_waitcnt vmcnt(4)
	ds_write2_b64 v0, v[1:2], v[3:4] offset1:1
	s_waitcnt vmcnt(3)
	buffer_store_dword v23, v5, s[0:3], 0 offen
	s_waitcnt vmcnt(2)
	buffer_store_dword v24, v5, s[0:3], 0 offen offset:4
	s_waitcnt vmcnt(1)
	buffer_store_dword v25, v5, s[0:3], 0 offen offset:8
	;; [unrolled: 2-line block ×3, first 2 shown]
	buffer_store_dword v4, v6, s[0:3], 0 offen offset:12
	buffer_store_dword v3, v6, s[0:3], 0 offen offset:8
	;; [unrolled: 1-line block ×3, first 2 shown]
	buffer_store_dword v1, v6, s[0:3], 0 offen
.LBB71_64:
	v_mov_b32_e32 v1, 0
	global_load_dword v2, v1, s[10:11] offset:20
	s_waitcnt vmcnt(0)
	v_add_nc_u32_e32 v2, -1, v2
	v_cmp_eq_u32_e32 vcc_lo, 5, v2
	s_cbranch_vccnz .LBB71_66
; %bb.65:
	v_lshlrev_b32_e32 v2, 4, v2
	v_mov_b32_e32 v6, s16
	v_mov_b32_e32 v23, v2
	s_clause 0x7
	buffer_load_dword v2, v6, s[0:3], 0 offen
	buffer_load_dword v3, v6, s[0:3], 0 offen offset:4
	buffer_load_dword v4, v6, s[0:3], 0 offen offset:8
	;; [unrolled: 1-line block ×3, first 2 shown]
	buffer_load_dword v24, v23, s[0:3], 0 offen
	buffer_load_dword v25, v23, s[0:3], 0 offen offset:4
	buffer_load_dword v26, v23, s[0:3], 0 offen offset:8
	;; [unrolled: 1-line block ×3, first 2 shown]
	s_waitcnt vmcnt(4)
	ds_write2_b64 v0, v[2:3], v[4:5] offset1:1
	s_waitcnt vmcnt(3)
	buffer_store_dword v24, v6, s[0:3], 0 offen
	s_waitcnt vmcnt(2)
	buffer_store_dword v25, v6, s[0:3], 0 offen offset:4
	s_waitcnt vmcnt(1)
	buffer_store_dword v26, v6, s[0:3], 0 offen offset:8
	;; [unrolled: 2-line block ×3, first 2 shown]
	buffer_store_dword v5, v23, s[0:3], 0 offen offset:12
	buffer_store_dword v4, v23, s[0:3], 0 offen offset:8
	;; [unrolled: 1-line block ×3, first 2 shown]
	buffer_store_dword v2, v23, s[0:3], 0 offen
.LBB71_66:
	global_load_dword v1, v1, s[10:11] offset:16
	s_waitcnt vmcnt(0)
	v_add_nc_u32_e32 v1, -1, v1
	v_cmp_eq_u32_e32 vcc_lo, 4, v1
	s_cbranch_vccnz .LBB71_68
; %bb.67:
	v_lshlrev_b32_e32 v1, 4, v1
	v_mov_b32_e32 v5, s17
	v_mov_b32_e32 v6, v1
	s_clause 0x7
	buffer_load_dword v1, v5, s[0:3], 0 offen
	buffer_load_dword v2, v5, s[0:3], 0 offen offset:4
	buffer_load_dword v3, v5, s[0:3], 0 offen offset:8
	;; [unrolled: 1-line block ×3, first 2 shown]
	buffer_load_dword v23, v6, s[0:3], 0 offen
	buffer_load_dword v24, v6, s[0:3], 0 offen offset:4
	buffer_load_dword v25, v6, s[0:3], 0 offen offset:8
	;; [unrolled: 1-line block ×3, first 2 shown]
	s_waitcnt vmcnt(4)
	ds_write2_b64 v0, v[1:2], v[3:4] offset1:1
	s_waitcnt vmcnt(3)
	buffer_store_dword v23, v5, s[0:3], 0 offen
	s_waitcnt vmcnt(2)
	buffer_store_dword v24, v5, s[0:3], 0 offen offset:4
	s_waitcnt vmcnt(1)
	buffer_store_dword v25, v5, s[0:3], 0 offen offset:8
	;; [unrolled: 2-line block ×3, first 2 shown]
	buffer_store_dword v4, v6, s[0:3], 0 offen offset:12
	buffer_store_dword v3, v6, s[0:3], 0 offen offset:8
	;; [unrolled: 1-line block ×3, first 2 shown]
	buffer_store_dword v1, v6, s[0:3], 0 offen
.LBB71_68:
	v_mov_b32_e32 v1, 0
	global_load_dword v2, v1, s[10:11] offset:12
	s_waitcnt vmcnt(0)
	v_add_nc_u32_e32 v2, -1, v2
	v_cmp_eq_u32_e32 vcc_lo, 3, v2
	s_cbranch_vccnz .LBB71_70
; %bb.69:
	v_lshlrev_b32_e32 v2, 4, v2
	v_mov_b32_e32 v6, s18
	v_mov_b32_e32 v23, v2
	s_clause 0x7
	buffer_load_dword v2, v6, s[0:3], 0 offen
	buffer_load_dword v3, v6, s[0:3], 0 offen offset:4
	buffer_load_dword v4, v6, s[0:3], 0 offen offset:8
	buffer_load_dword v5, v6, s[0:3], 0 offen offset:12
	buffer_load_dword v24, v23, s[0:3], 0 offen
	buffer_load_dword v25, v23, s[0:3], 0 offen offset:4
	buffer_load_dword v26, v23, s[0:3], 0 offen offset:8
	;; [unrolled: 1-line block ×3, first 2 shown]
	s_waitcnt vmcnt(4)
	ds_write2_b64 v0, v[2:3], v[4:5] offset1:1
	s_waitcnt vmcnt(3)
	buffer_store_dword v24, v6, s[0:3], 0 offen
	s_waitcnt vmcnt(2)
	buffer_store_dword v25, v6, s[0:3], 0 offen offset:4
	s_waitcnt vmcnt(1)
	buffer_store_dword v26, v6, s[0:3], 0 offen offset:8
	;; [unrolled: 2-line block ×3, first 2 shown]
	buffer_store_dword v5, v23, s[0:3], 0 offen offset:12
	buffer_store_dword v4, v23, s[0:3], 0 offen offset:8
	;; [unrolled: 1-line block ×3, first 2 shown]
	buffer_store_dword v2, v23, s[0:3], 0 offen
.LBB71_70:
	global_load_dword v1, v1, s[10:11] offset:8
	s_waitcnt vmcnt(0)
	v_add_nc_u32_e32 v1, -1, v1
	v_cmp_eq_u32_e32 vcc_lo, 2, v1
	s_cbranch_vccnz .LBB71_72
; %bb.71:
	v_lshlrev_b32_e32 v1, 4, v1
	v_mov_b32_e32 v5, s19
	v_mov_b32_e32 v6, v1
	s_clause 0x7
	buffer_load_dword v1, v5, s[0:3], 0 offen
	buffer_load_dword v2, v5, s[0:3], 0 offen offset:4
	buffer_load_dword v3, v5, s[0:3], 0 offen offset:8
	buffer_load_dword v4, v5, s[0:3], 0 offen offset:12
	buffer_load_dword v23, v6, s[0:3], 0 offen
	buffer_load_dword v24, v6, s[0:3], 0 offen offset:4
	buffer_load_dword v25, v6, s[0:3], 0 offen offset:8
	;; [unrolled: 1-line block ×3, first 2 shown]
	s_waitcnt vmcnt(4)
	ds_write2_b64 v0, v[1:2], v[3:4] offset1:1
	s_waitcnt vmcnt(3)
	buffer_store_dword v23, v5, s[0:3], 0 offen
	s_waitcnt vmcnt(2)
	buffer_store_dword v24, v5, s[0:3], 0 offen offset:4
	s_waitcnt vmcnt(1)
	buffer_store_dword v25, v5, s[0:3], 0 offen offset:8
	;; [unrolled: 2-line block ×3, first 2 shown]
	buffer_store_dword v4, v6, s[0:3], 0 offen offset:12
	buffer_store_dword v3, v6, s[0:3], 0 offen offset:8
	;; [unrolled: 1-line block ×3, first 2 shown]
	buffer_store_dword v1, v6, s[0:3], 0 offen
.LBB71_72:
	v_mov_b32_e32 v1, 0
	global_load_dword v2, v1, s[10:11] offset:4
	s_waitcnt vmcnt(0)
	v_add_nc_u32_e32 v2, -1, v2
	v_cmp_eq_u32_e32 vcc_lo, 1, v2
	s_cbranch_vccnz .LBB71_74
; %bb.73:
	v_lshlrev_b32_e32 v2, 4, v2
	v_mov_b32_e32 v6, s20
	v_mov_b32_e32 v23, v2
	s_clause 0x7
	buffer_load_dword v2, v6, s[0:3], 0 offen
	buffer_load_dword v3, v6, s[0:3], 0 offen offset:4
	buffer_load_dword v4, v6, s[0:3], 0 offen offset:8
	;; [unrolled: 1-line block ×3, first 2 shown]
	buffer_load_dword v24, v23, s[0:3], 0 offen
	buffer_load_dword v25, v23, s[0:3], 0 offen offset:4
	buffer_load_dword v26, v23, s[0:3], 0 offen offset:8
	;; [unrolled: 1-line block ×3, first 2 shown]
	s_waitcnt vmcnt(4)
	ds_write2_b64 v0, v[2:3], v[4:5] offset1:1
	s_waitcnt vmcnt(3)
	buffer_store_dword v24, v6, s[0:3], 0 offen
	s_waitcnt vmcnt(2)
	buffer_store_dword v25, v6, s[0:3], 0 offen offset:4
	s_waitcnt vmcnt(1)
	buffer_store_dword v26, v6, s[0:3], 0 offen offset:8
	;; [unrolled: 2-line block ×3, first 2 shown]
	buffer_store_dword v5, v23, s[0:3], 0 offen offset:12
	buffer_store_dword v4, v23, s[0:3], 0 offen offset:8
	;; [unrolled: 1-line block ×3, first 2 shown]
	buffer_store_dword v2, v23, s[0:3], 0 offen
.LBB71_74:
	global_load_dword v1, v1, s[10:11]
	s_waitcnt vmcnt(0)
	v_add_nc_u32_e32 v1, -1, v1
	v_cmp_eq_u32_e32 vcc_lo, 0, v1
	s_cbranch_vccnz .LBB71_76
; %bb.75:
	v_lshlrev_b32_e32 v1, 4, v1
	v_mov_b32_e32 v5, v1
	s_clause 0x7
	buffer_load_dword v1, off, s[0:3], 0
	buffer_load_dword v2, off, s[0:3], 0 offset:4
	buffer_load_dword v3, off, s[0:3], 0 offset:8
	;; [unrolled: 1-line block ×3, first 2 shown]
	buffer_load_dword v6, v5, s[0:3], 0 offen
	buffer_load_dword v23, v5, s[0:3], 0 offen offset:4
	buffer_load_dword v24, v5, s[0:3], 0 offen offset:8
	;; [unrolled: 1-line block ×3, first 2 shown]
	s_waitcnt vmcnt(4)
	ds_write2_b64 v0, v[1:2], v[3:4] offset1:1
	s_waitcnt vmcnt(3)
	buffer_store_dword v6, off, s[0:3], 0
	s_waitcnt vmcnt(2)
	buffer_store_dword v23, off, s[0:3], 0 offset:4
	s_waitcnt vmcnt(1)
	buffer_store_dword v24, off, s[0:3], 0 offset:8
	;; [unrolled: 2-line block ×3, first 2 shown]
	buffer_store_dword v4, v5, s[0:3], 0 offen offset:12
	buffer_store_dword v3, v5, s[0:3], 0 offen offset:8
	;; [unrolled: 1-line block ×3, first 2 shown]
	buffer_store_dword v1, v5, s[0:3], 0 offen
.LBB71_76:
	s_clause 0x3
	buffer_load_dword v0, off, s[0:3], 0
	buffer_load_dword v1, off, s[0:3], 0 offset:4
	buffer_load_dword v2, off, s[0:3], 0 offset:8
	;; [unrolled: 1-line block ×3, first 2 shown]
	v_mov_b32_e32 v4, s20
	s_waitcnt vmcnt(0)
	flat_store_dwordx4 v[7:8], v[0:3]
	s_clause 0x3
	buffer_load_dword v0, v4, s[0:3], 0 offen
	buffer_load_dword v1, v4, s[0:3], 0 offen offset:4
	buffer_load_dword v2, v4, s[0:3], 0 offen offset:8
	buffer_load_dword v3, v4, s[0:3], 0 offen offset:12
	v_mov_b32_e32 v4, s19
	s_waitcnt vmcnt(0)
	flat_store_dwordx4 v[9:10], v[0:3]
	s_clause 0x3
	buffer_load_dword v0, v4, s[0:3], 0 offen
	buffer_load_dword v1, v4, s[0:3], 0 offen offset:4
	buffer_load_dword v2, v4, s[0:3], 0 offen offset:8
	buffer_load_dword v3, v4, s[0:3], 0 offen offset:12
	v_mov_b32_e32 v4, s18
	s_waitcnt vmcnt(0)
	flat_store_dwordx4 v[11:12], v[0:3]
	s_clause 0x3
	buffer_load_dword v0, v4, s[0:3], 0 offen
	buffer_load_dword v1, v4, s[0:3], 0 offen offset:4
	buffer_load_dword v2, v4, s[0:3], 0 offen offset:8
	buffer_load_dword v3, v4, s[0:3], 0 offen offset:12
	v_mov_b32_e32 v4, s17
	s_waitcnt vmcnt(0)
	flat_store_dwordx4 v[13:14], v[0:3]
	s_clause 0x3
	buffer_load_dword v0, v4, s[0:3], 0 offen
	buffer_load_dword v1, v4, s[0:3], 0 offen offset:4
	buffer_load_dword v2, v4, s[0:3], 0 offen offset:8
	buffer_load_dword v3, v4, s[0:3], 0 offen offset:12
	v_mov_b32_e32 v4, s16
	s_waitcnt vmcnt(0)
	flat_store_dwordx4 v[15:16], v[0:3]
	s_clause 0x3
	buffer_load_dword v0, v4, s[0:3], 0 offen
	buffer_load_dword v1, v4, s[0:3], 0 offen offset:4
	buffer_load_dword v2, v4, s[0:3], 0 offen offset:8
	buffer_load_dword v3, v4, s[0:3], 0 offen offset:12
	v_mov_b32_e32 v4, s13
	s_waitcnt vmcnt(0)
	flat_store_dwordx4 v[17:18], v[0:3]
	s_clause 0x3
	buffer_load_dword v0, v4, s[0:3], 0 offen
	buffer_load_dword v1, v4, s[0:3], 0 offen offset:4
	buffer_load_dword v2, v4, s[0:3], 0 offen offset:8
	buffer_load_dword v3, v4, s[0:3], 0 offen offset:12
	v_mov_b32_e32 v4, s12
	s_waitcnt vmcnt(0)
	flat_store_dwordx4 v[19:20], v[0:3]
	s_clause 0x3
	buffer_load_dword v0, v4, s[0:3], 0 offen
	buffer_load_dword v1, v4, s[0:3], 0 offen offset:4
	buffer_load_dword v2, v4, s[0:3], 0 offen offset:8
	buffer_load_dword v3, v4, s[0:3], 0 offen offset:12
	s_waitcnt vmcnt(0)
	flat_store_dwordx4 v[21:22], v[0:3]
	s_endpgm
	.section	.rodata,"a",@progbits
	.p2align	6, 0x0
	.amdhsa_kernel _ZN9rocsolver6v33100L18getri_kernel_smallILi8E19rocblas_complex_numIdEPKPS3_EEvT1_iilPiilS8_bb
		.amdhsa_group_segment_fixed_size 1288
		.amdhsa_private_segment_fixed_size 144
		.amdhsa_kernarg_size 60
		.amdhsa_user_sgpr_count 8
		.amdhsa_user_sgpr_private_segment_buffer 1
		.amdhsa_user_sgpr_dispatch_ptr 1
		.amdhsa_user_sgpr_queue_ptr 0
		.amdhsa_user_sgpr_kernarg_segment_ptr 1
		.amdhsa_user_sgpr_dispatch_id 0
		.amdhsa_user_sgpr_flat_scratch_init 0
		.amdhsa_user_sgpr_private_segment_size 0
		.amdhsa_wavefront_size32 1
		.amdhsa_uses_dynamic_stack 0
		.amdhsa_system_sgpr_private_segment_wavefront_offset 1
		.amdhsa_system_sgpr_workgroup_id_x 1
		.amdhsa_system_sgpr_workgroup_id_y 0
		.amdhsa_system_sgpr_workgroup_id_z 0
		.amdhsa_system_sgpr_workgroup_info 0
		.amdhsa_system_vgpr_workitem_id 2
		.amdhsa_next_free_vgpr 69
		.amdhsa_next_free_sgpr 25
		.amdhsa_reserve_vcc 1
		.amdhsa_reserve_flat_scratch 0
		.amdhsa_float_round_mode_32 0
		.amdhsa_float_round_mode_16_64 0
		.amdhsa_float_denorm_mode_32 3
		.amdhsa_float_denorm_mode_16_64 3
		.amdhsa_dx10_clamp 1
		.amdhsa_ieee_mode 1
		.amdhsa_fp16_overflow 0
		.amdhsa_workgroup_processor_mode 1
		.amdhsa_memory_ordered 1
		.amdhsa_forward_progress 1
		.amdhsa_shared_vgpr_count 0
		.amdhsa_exception_fp_ieee_invalid_op 0
		.amdhsa_exception_fp_denorm_src 0
		.amdhsa_exception_fp_ieee_div_zero 0
		.amdhsa_exception_fp_ieee_overflow 0
		.amdhsa_exception_fp_ieee_underflow 0
		.amdhsa_exception_fp_ieee_inexact 0
		.amdhsa_exception_int_div_zero 0
	.end_amdhsa_kernel
	.section	.text._ZN9rocsolver6v33100L18getri_kernel_smallILi8E19rocblas_complex_numIdEPKPS3_EEvT1_iilPiilS8_bb,"axG",@progbits,_ZN9rocsolver6v33100L18getri_kernel_smallILi8E19rocblas_complex_numIdEPKPS3_EEvT1_iilPiilS8_bb,comdat
.Lfunc_end71:
	.size	_ZN9rocsolver6v33100L18getri_kernel_smallILi8E19rocblas_complex_numIdEPKPS3_EEvT1_iilPiilS8_bb, .Lfunc_end71-_ZN9rocsolver6v33100L18getri_kernel_smallILi8E19rocblas_complex_numIdEPKPS3_EEvT1_iilPiilS8_bb
                                        ; -- End function
	.set _ZN9rocsolver6v33100L18getri_kernel_smallILi8E19rocblas_complex_numIdEPKPS3_EEvT1_iilPiilS8_bb.num_vgpr, 69
	.set _ZN9rocsolver6v33100L18getri_kernel_smallILi8E19rocblas_complex_numIdEPKPS3_EEvT1_iilPiilS8_bb.num_agpr, 0
	.set _ZN9rocsolver6v33100L18getri_kernel_smallILi8E19rocblas_complex_numIdEPKPS3_EEvT1_iilPiilS8_bb.numbered_sgpr, 25
	.set _ZN9rocsolver6v33100L18getri_kernel_smallILi8E19rocblas_complex_numIdEPKPS3_EEvT1_iilPiilS8_bb.num_named_barrier, 0
	.set _ZN9rocsolver6v33100L18getri_kernel_smallILi8E19rocblas_complex_numIdEPKPS3_EEvT1_iilPiilS8_bb.private_seg_size, 144
	.set _ZN9rocsolver6v33100L18getri_kernel_smallILi8E19rocblas_complex_numIdEPKPS3_EEvT1_iilPiilS8_bb.uses_vcc, 1
	.set _ZN9rocsolver6v33100L18getri_kernel_smallILi8E19rocblas_complex_numIdEPKPS3_EEvT1_iilPiilS8_bb.uses_flat_scratch, 0
	.set _ZN9rocsolver6v33100L18getri_kernel_smallILi8E19rocblas_complex_numIdEPKPS3_EEvT1_iilPiilS8_bb.has_dyn_sized_stack, 0
	.set _ZN9rocsolver6v33100L18getri_kernel_smallILi8E19rocblas_complex_numIdEPKPS3_EEvT1_iilPiilS8_bb.has_recursion, 0
	.set _ZN9rocsolver6v33100L18getri_kernel_smallILi8E19rocblas_complex_numIdEPKPS3_EEvT1_iilPiilS8_bb.has_indirect_call, 0
	.section	.AMDGPU.csdata,"",@progbits
; Kernel info:
; codeLenInByte = 10380
; TotalNumSgprs: 27
; NumVgprs: 69
; ScratchSize: 144
; MemoryBound: 0
; FloatMode: 240
; IeeeMode: 1
; LDSByteSize: 1288 bytes/workgroup (compile time only)
; SGPRBlocks: 0
; VGPRBlocks: 8
; NumSGPRsForWavesPerEU: 27
; NumVGPRsForWavesPerEU: 69
; Occupancy: 12
; WaveLimiterHint : 1
; COMPUTE_PGM_RSRC2:SCRATCH_EN: 1
; COMPUTE_PGM_RSRC2:USER_SGPR: 8
; COMPUTE_PGM_RSRC2:TRAP_HANDLER: 0
; COMPUTE_PGM_RSRC2:TGID_X_EN: 1
; COMPUTE_PGM_RSRC2:TGID_Y_EN: 0
; COMPUTE_PGM_RSRC2:TGID_Z_EN: 0
; COMPUTE_PGM_RSRC2:TIDIG_COMP_CNT: 2
	.section	.text._ZN9rocsolver6v33100L18getri_kernel_smallILi9E19rocblas_complex_numIdEPKPS3_EEvT1_iilPiilS8_bb,"axG",@progbits,_ZN9rocsolver6v33100L18getri_kernel_smallILi9E19rocblas_complex_numIdEPKPS3_EEvT1_iilPiilS8_bb,comdat
	.globl	_ZN9rocsolver6v33100L18getri_kernel_smallILi9E19rocblas_complex_numIdEPKPS3_EEvT1_iilPiilS8_bb ; -- Begin function _ZN9rocsolver6v33100L18getri_kernel_smallILi9E19rocblas_complex_numIdEPKPS3_EEvT1_iilPiilS8_bb
	.p2align	8
	.type	_ZN9rocsolver6v33100L18getri_kernel_smallILi9E19rocblas_complex_numIdEPKPS3_EEvT1_iilPiilS8_bb,@function
_ZN9rocsolver6v33100L18getri_kernel_smallILi9E19rocblas_complex_numIdEPKPS3_EEvT1_iilPiilS8_bb: ; @_ZN9rocsolver6v33100L18getri_kernel_smallILi9E19rocblas_complex_numIdEPKPS3_EEvT1_iilPiilS8_bb
; %bb.0:
	s_add_u32 s0, s0, s9
	s_addc_u32 s1, s1, 0
	s_mov_b32 s9, exec_lo
	v_cmpx_gt_u32_e32 9, v0
	s_cbranch_execz .LBB72_50
; %bb.1:
	s_clause 0x2
	s_load_dword s18, s[6:7], 0x38
	s_load_dwordx2 s[10:11], s[6:7], 0x0
	s_load_dwordx4 s[12:15], s[6:7], 0x28
	s_waitcnt lgkmcnt(0)
	s_bitcmp1_b32 s18, 8
	s_cselect_b32 s22, -1, 0
	s_ashr_i32 s9, s8, 31
	s_lshl_b64 s[16:17], s[8:9], 3
	s_add_u32 s10, s10, s16
	s_addc_u32 s11, s11, s17
	s_load_dwordx2 s[16:17], s[10:11], 0x0
	s_bfe_u32 s10, s18, 0x10008
	s_cmp_eq_u32 s10, 0
                                        ; implicit-def: $sgpr10_sgpr11
	s_cbranch_scc1 .LBB72_3
; %bb.2:
	s_clause 0x1
	s_load_dword s10, s[6:7], 0x20
	s_load_dwordx2 s[18:19], s[6:7], 0x18
	s_mul_i32 s11, s12, s9
	s_mul_hi_u32 s20, s12, s8
	s_mul_i32 s13, s13, s8
	s_add_i32 s11, s20, s11
	s_mul_i32 s12, s12, s8
	s_add_i32 s13, s11, s13
	s_lshl_b64 s[12:13], s[12:13], 2
	s_waitcnt lgkmcnt(0)
	s_ashr_i32 s11, s10, 31
	s_add_u32 s12, s18, s12
	s_addc_u32 s13, s19, s13
	s_lshl_b64 s[10:11], s[10:11], 2
	s_add_u32 s10, s12, s10
	s_addc_u32 s11, s13, s11
.LBB72_3:
	s_clause 0x1
	s_load_dwordx2 s[12:13], s[6:7], 0x8
	s_load_dword s23, s[6:7], 0x38
	v_lshlrev_b32_e32 v31, 4, v0
	s_movk_i32 s24, 0x80
	s_mov_b32 s21, 16
	s_mov_b32 s20, 32
	;; [unrolled: 1-line block ×4, first 2 shown]
	s_waitcnt lgkmcnt(0)
	s_ashr_i32 s7, s12, 31
	s_mov_b32 s6, s12
	v_add3_u32 v13, s13, s13, v0
	s_lshl_b64 s[6:7], s[6:7], 4
	s_add_u32 s12, s16, s6
	s_addc_u32 s16, s17, s7
	v_add_co_u32 v7, s6, s12, v31
	v_add_co_ci_u32_e64 v8, null, s16, 0, s6
	s_mov_b32 s6, s13
	s_ashr_i32 s7, s13, 31
	v_ashrrev_i32_e32 v14, 31, v13
	flat_load_dwordx4 v[3:6], v[7:8]
	s_lshl_b64 s[6:7], s[6:7], 4
	v_add_nc_u32_e32 v15, s13, v13
	v_add_co_u32 v9, vcc_lo, v7, s6
	v_add_co_ci_u32_e64 v10, null, s7, v8, vcc_lo
	v_lshlrev_b64 v[11:12], 4, v[13:14]
	v_ashrrev_i32_e32 v16, 31, v15
	v_add_nc_u32_e32 v17, s13, v15
	s_movk_i32 s17, 0x50
	s_mov_b32 s7, -1
	s_bitcmp0_b32 s23, 0
	v_add_co_u32 v11, vcc_lo, s12, v11
	v_add_co_ci_u32_e64 v12, null, s16, v12, vcc_lo
	v_lshlrev_b64 v[13:14], 4, v[15:16]
	v_ashrrev_i32_e32 v18, 31, v17
	v_add_nc_u32_e32 v19, s13, v17
	s_waitcnt vmcnt(0) lgkmcnt(0)
	buffer_store_dword v6, off, s[0:3], 0 offset:12
	buffer_store_dword v5, off, s[0:3], 0 offset:8
	;; [unrolled: 1-line block ×3, first 2 shown]
	buffer_store_dword v3, off, s[0:3], 0
	flat_load_dwordx4 v[3:6], v[9:10]
	v_add_co_u32 v13, vcc_lo, s12, v13
	v_add_co_ci_u32_e64 v14, null, s16, v14, vcc_lo
	v_lshlrev_b64 v[15:16], 4, v[17:18]
	v_ashrrev_i32_e32 v20, 31, v19
	v_add_nc_u32_e32 v21, s13, v19
	s_waitcnt vmcnt(0) lgkmcnt(0)
	buffer_store_dword v6, off, s[0:3], 0 offset:28
	buffer_store_dword v5, off, s[0:3], 0 offset:24
	;; [unrolled: 1-line block ×4, first 2 shown]
	flat_load_dwordx4 v[3:6], v[11:12]
	v_add_co_u32 v15, vcc_lo, s12, v15
	v_add_co_ci_u32_e64 v16, null, s16, v16, vcc_lo
	v_lshlrev_b64 v[17:18], 4, v[19:20]
	v_ashrrev_i32_e32 v22, 31, v21
	v_add_nc_u32_e32 v23, s13, v21
	s_waitcnt vmcnt(0) lgkmcnt(0)
	buffer_store_dword v6, off, s[0:3], 0 offset:44
	buffer_store_dword v5, off, s[0:3], 0 offset:40
	;; [unrolled: 1-line block ×4, first 2 shown]
	flat_load_dwordx4 v[3:6], v[13:14]
	v_add_co_u32 v17, vcc_lo, s12, v17
	v_add_co_ci_u32_e64 v18, null, s16, v18, vcc_lo
	v_lshlrev_b64 v[19:20], 4, v[21:22]
	v_ashrrev_i32_e32 v24, 31, v23
	s_waitcnt vmcnt(0) lgkmcnt(0)
	buffer_store_dword v6, off, s[0:3], 0 offset:60
	buffer_store_dword v5, off, s[0:3], 0 offset:56
	buffer_store_dword v4, off, s[0:3], 0 offset:52
	buffer_store_dword v3, off, s[0:3], 0 offset:48
	flat_load_dwordx4 v[3:6], v[15:16]
	v_add_co_u32 v19, vcc_lo, s12, v19
	v_add_co_ci_u32_e64 v20, null, s16, v20, vcc_lo
	v_lshlrev_b64 v[21:22], 4, v[23:24]
	v_add_nc_u32_e32 v23, s13, v23
	s_movk_i32 s13, 0x70
	s_waitcnt vmcnt(0) lgkmcnt(0)
	buffer_store_dword v6, off, s[0:3], 0 offset:76
	buffer_store_dword v5, off, s[0:3], 0 offset:72
	;; [unrolled: 1-line block ×4, first 2 shown]
	flat_load_dwordx4 v[3:6], v[17:18]
	v_add_co_u32 v21, vcc_lo, s12, v21
	v_add_co_ci_u32_e64 v22, null, s16, v22, vcc_lo
	v_ashrrev_i32_e32 v24, 31, v23
	s_waitcnt vmcnt(0) lgkmcnt(0)
	buffer_store_dword v6, off, s[0:3], 0 offset:92
	buffer_store_dword v5, off, s[0:3], 0 offset:88
	buffer_store_dword v4, off, s[0:3], 0 offset:84
	buffer_store_dword v3, off, s[0:3], 0 offset:80
	flat_load_dwordx4 v[3:6], v[19:20]
	v_lshlrev_b64 v[23:24], 4, v[23:24]
	s_waitcnt vmcnt(0) lgkmcnt(0)
	buffer_store_dword v6, off, s[0:3], 0 offset:108
	buffer_store_dword v5, off, s[0:3], 0 offset:104
	;; [unrolled: 1-line block ×4, first 2 shown]
	flat_load_dwordx4 v[3:6], v[21:22]
	v_add_co_u32 v23, vcc_lo, s12, v23
	v_add_co_ci_u32_e64 v24, null, s16, v24, vcc_lo
	s_movk_i32 s16, 0x60
	s_mov_b32 s12, s24
	s_waitcnt vmcnt(0) lgkmcnt(0)
	buffer_store_dword v6, off, s[0:3], 0 offset:124
	buffer_store_dword v5, off, s[0:3], 0 offset:120
	;; [unrolled: 1-line block ×4, first 2 shown]
	flat_load_dwordx4 v[3:6], v[23:24]
	s_waitcnt vmcnt(0) lgkmcnt(0)
	buffer_store_dword v6, off, s[0:3], 0 offset:140
	buffer_store_dword v5, off, s[0:3], 0 offset:136
	;; [unrolled: 1-line block ×4, first 2 shown]
	s_cbranch_scc1 .LBB72_48
; %bb.4:
	v_cmp_eq_u32_e64 s6, 0, v0
	s_and_saveexec_b32 s7, s6
; %bb.5:
	v_mov_b32_e32 v3, 0
	ds_write_b32 v3, v3 offset:288
; %bb.6:
	s_or_b32 exec_lo, exec_lo, s7
	v_lshl_add_u32 v32, v0, 4, 0
	s_waitcnt lgkmcnt(0)
	s_waitcnt_vscnt null, 0x0
	s_barrier
	buffer_gl0_inv
	s_clause 0x3
	buffer_load_dword v3, v32, s[0:3], 0 offen
	buffer_load_dword v4, v32, s[0:3], 0 offen offset:4
	buffer_load_dword v5, v32, s[0:3], 0 offen offset:8
	;; [unrolled: 1-line block ×3, first 2 shown]
	s_waitcnt vmcnt(2)
	v_cmp_eq_f64_e32 vcc_lo, 0, v[3:4]
	s_waitcnt vmcnt(0)
	v_cmp_eq_f64_e64 s7, 0, v[5:6]
	s_and_b32 s7, vcc_lo, s7
	s_and_saveexec_b32 s23, s7
	s_cbranch_execz .LBB72_10
; %bb.7:
	v_mov_b32_e32 v3, 0
	s_mov_b32 s24, 0
	ds_read_b32 v4, v3 offset:288
	s_waitcnt lgkmcnt(0)
	v_readfirstlane_b32 s7, v4
	v_add_nc_u32_e32 v4, 1, v0
	s_cmp_eq_u32 s7, 0
	v_cmp_gt_i32_e32 vcc_lo, s7, v4
	s_cselect_b32 s25, -1, 0
	s_or_b32 s25, s25, vcc_lo
	s_and_b32 exec_lo, exec_lo, s25
	s_cbranch_execz .LBB72_10
; %bb.8:
	v_mov_b32_e32 v5, s7
.LBB72_9:                               ; =>This Inner Loop Header: Depth=1
	ds_cmpst_rtn_b32 v5, v3, v5, v4 offset:288
	s_waitcnt lgkmcnt(0)
	v_cmp_ne_u32_e32 vcc_lo, 0, v5
	v_cmp_le_i32_e64 s7, v5, v4
	s_and_b32 s7, vcc_lo, s7
	s_and_b32 s7, exec_lo, s7
	s_or_b32 s24, s7, s24
	s_andn2_b32 exec_lo, exec_lo, s24
	s_cbranch_execnz .LBB72_9
.LBB72_10:
	s_or_b32 exec_lo, exec_lo, s23
	v_mov_b32_e32 v3, 0
	s_barrier
	buffer_gl0_inv
	ds_read_b32 v4, v3 offset:288
	s_and_saveexec_b32 s7, s6
	s_cbranch_execz .LBB72_12
; %bb.11:
	s_lshl_b64 s[24:25], s[8:9], 2
	s_add_u32 s24, s14, s24
	s_addc_u32 s25, s15, s25
	s_waitcnt lgkmcnt(0)
	global_store_dword v3, v4, s[24:25]
.LBB72_12:
	s_or_b32 exec_lo, exec_lo, s7
	s_waitcnt lgkmcnt(0)
	v_cmp_ne_u32_e32 vcc_lo, 0, v4
	s_mov_b32 s7, 0
	s_cbranch_vccnz .LBB72_48
; %bb.13:
	s_clause 0x3
	buffer_load_dword v27, v32, s[0:3], 0 offen
	buffer_load_dword v28, v32, s[0:3], 0 offen offset:4
	buffer_load_dword v29, v32, s[0:3], 0 offen offset:8
	;; [unrolled: 1-line block ×3, first 2 shown]
                                        ; implicit-def: $vgpr25_vgpr26
                                        ; implicit-def: $vgpr5_vgpr6
	s_waitcnt vmcnt(0)
	v_cmp_ngt_f64_e64 s7, |v[27:28]|, |v[29:30]|
	s_and_saveexec_b32 s23, s7
	s_xor_b32 s7, exec_lo, s23
	s_cbranch_execz .LBB72_15
; %bb.14:
	v_div_scale_f64 v[3:4], null, v[29:30], v[29:30], v[27:28]
	v_div_scale_f64 v[33:34], vcc_lo, v[27:28], v[29:30], v[27:28]
	v_rcp_f64_e32 v[5:6], v[3:4]
	v_fma_f64 v[25:26], -v[3:4], v[5:6], 1.0
	v_fma_f64 v[5:6], v[5:6], v[25:26], v[5:6]
	v_fma_f64 v[25:26], -v[3:4], v[5:6], 1.0
	v_fma_f64 v[5:6], v[5:6], v[25:26], v[5:6]
	v_mul_f64 v[25:26], v[33:34], v[5:6]
	v_fma_f64 v[3:4], -v[3:4], v[25:26], v[33:34]
	v_div_fmas_f64 v[3:4], v[3:4], v[5:6], v[25:26]
	v_div_fixup_f64 v[3:4], v[3:4], v[29:30], v[27:28]
	v_fma_f64 v[5:6], v[27:28], v[3:4], v[29:30]
	v_div_scale_f64 v[25:26], null, v[5:6], v[5:6], 1.0
	v_div_scale_f64 v[33:34], vcc_lo, 1.0, v[5:6], 1.0
	v_rcp_f64_e32 v[27:28], v[25:26]
	v_fma_f64 v[29:30], -v[25:26], v[27:28], 1.0
	v_fma_f64 v[27:28], v[27:28], v[29:30], v[27:28]
	v_fma_f64 v[29:30], -v[25:26], v[27:28], 1.0
	v_fma_f64 v[27:28], v[27:28], v[29:30], v[27:28]
	v_mul_f64 v[29:30], v[33:34], v[27:28]
	v_fma_f64 v[25:26], -v[25:26], v[29:30], v[33:34]
	v_div_fmas_f64 v[25:26], v[25:26], v[27:28], v[29:30]
                                        ; implicit-def: $vgpr27_vgpr28
                                        ; implicit-def: $vgpr29_vgpr30
	v_div_fixup_f64 v[5:6], v[25:26], v[5:6], 1.0
	v_mul_f64 v[25:26], v[3:4], v[5:6]
	v_xor_b32_e32 v6, 0x80000000, v6
	v_xor_b32_e32 v4, 0x80000000, v26
	v_mov_b32_e32 v3, v25
.LBB72_15:
	s_andn2_saveexec_b32 s7, s7
	s_cbranch_execz .LBB72_17
; %bb.16:
	v_div_scale_f64 v[3:4], null, v[27:28], v[27:28], v[29:30]
	v_div_scale_f64 v[33:34], vcc_lo, v[29:30], v[27:28], v[29:30]
	v_rcp_f64_e32 v[5:6], v[3:4]
	v_fma_f64 v[25:26], -v[3:4], v[5:6], 1.0
	v_fma_f64 v[5:6], v[5:6], v[25:26], v[5:6]
	v_fma_f64 v[25:26], -v[3:4], v[5:6], 1.0
	v_fma_f64 v[5:6], v[5:6], v[25:26], v[5:6]
	v_mul_f64 v[25:26], v[33:34], v[5:6]
	v_fma_f64 v[3:4], -v[3:4], v[25:26], v[33:34]
	v_div_fmas_f64 v[3:4], v[3:4], v[5:6], v[25:26]
	v_div_fixup_f64 v[3:4], v[3:4], v[27:28], v[29:30]
	v_fma_f64 v[5:6], v[29:30], v[3:4], v[27:28]
	v_div_scale_f64 v[25:26], null, v[5:6], v[5:6], 1.0
	v_rcp_f64_e32 v[27:28], v[25:26]
	v_fma_f64 v[29:30], -v[25:26], v[27:28], 1.0
	v_fma_f64 v[27:28], v[27:28], v[29:30], v[27:28]
	v_fma_f64 v[29:30], -v[25:26], v[27:28], 1.0
	v_fma_f64 v[27:28], v[27:28], v[29:30], v[27:28]
	v_div_scale_f64 v[29:30], vcc_lo, 1.0, v[5:6], 1.0
	v_mul_f64 v[33:34], v[29:30], v[27:28]
	v_fma_f64 v[25:26], -v[25:26], v[33:34], v[29:30]
	v_div_fmas_f64 v[25:26], v[25:26], v[27:28], v[33:34]
	v_div_fixup_f64 v[25:26], v[25:26], v[5:6], 1.0
	v_mul_f64 v[5:6], v[3:4], -v[25:26]
	v_xor_b32_e32 v4, 0x80000000, v26
	v_mov_b32_e32 v3, v25
.LBB72_17:
	s_or_b32 exec_lo, exec_lo, s7
	v_mov_b32_e32 v30, s21
	buffer_store_dword v26, v32, s[0:3], 0 offen offset:4
	buffer_store_dword v25, v32, s[0:3], 0 offen
	buffer_store_dword v6, v32, s[0:3], 0 offen offset:12
	buffer_store_dword v5, v32, s[0:3], 0 offen offset:8
	v_xor_b32_e32 v6, 0x80000000, v6
	v_add_nc_u32_e32 v25, 0x90, v31
	s_clause 0x3
	buffer_load_dword v29, v30, s[0:3], 0 offen offset:12
	buffer_load_dword v28, v30, s[0:3], 0 offen offset:8
	;; [unrolled: 1-line block ×3, first 2 shown]
	buffer_load_dword v26, v30, s[0:3], 0 offen
	ds_write_b128 v31, v[3:6]
	s_waitcnt vmcnt(0)
	ds_write_b128 v31, v[26:29] offset:144
	s_waitcnt lgkmcnt(0)
	s_waitcnt_vscnt null, 0x0
	s_barrier
	buffer_gl0_inv
	s_and_saveexec_b32 s7, s6
	s_cbranch_execz .LBB72_19
; %bb.18:
	s_clause 0x3
	buffer_load_dword v33, v32, s[0:3], 0 offen offset:8
	buffer_load_dword v34, v32, s[0:3], 0 offen offset:12
	buffer_load_dword v35, v32, s[0:3], 0 offen
	buffer_load_dword v36, v32, s[0:3], 0 offen offset:4
	ds_read_b128 v[3:6], v25
	v_mov_b32_e32 v26, 0
	ds_read_b128 v[26:29], v26 offset:16
	s_waitcnt vmcnt(2) lgkmcnt(1)
	v_mul_f64 v[37:38], v[3:4], v[33:34]
	v_mul_f64 v[33:34], v[5:6], v[33:34]
	s_waitcnt vmcnt(0)
	v_fma_f64 v[5:6], v[5:6], v[35:36], v[37:38]
	v_fma_f64 v[3:4], v[3:4], v[35:36], -v[33:34]
	v_add_f64 v[5:6], v[5:6], 0
	v_add_f64 v[3:4], v[3:4], 0
	s_waitcnt lgkmcnt(0)
	v_mul_f64 v[33:34], v[5:6], v[28:29]
	v_mul_f64 v[28:29], v[3:4], v[28:29]
	v_fma_f64 v[3:4], v[3:4], v[26:27], -v[33:34]
	v_fma_f64 v[5:6], v[5:6], v[26:27], v[28:29]
	buffer_store_dword v3, off, s[0:3], 0 offset:16
	buffer_store_dword v4, off, s[0:3], 0 offset:20
	buffer_store_dword v5, off, s[0:3], 0 offset:24
	buffer_store_dword v6, off, s[0:3], 0 offset:28
.LBB72_19:
	s_or_b32 exec_lo, exec_lo, s7
	v_mov_b32_e32 v6, s20
	s_waitcnt_vscnt null, 0x0
	s_barrier
	buffer_gl0_inv
	s_mov_b32 s7, exec_lo
	s_clause 0x3
	buffer_load_dword v3, v6, s[0:3], 0 offen
	buffer_load_dword v4, v6, s[0:3], 0 offen offset:4
	buffer_load_dword v5, v6, s[0:3], 0 offen offset:8
	;; [unrolled: 1-line block ×3, first 2 shown]
	s_waitcnt vmcnt(0)
	ds_write_b128 v25, v[3:6]
	s_waitcnt lgkmcnt(0)
	s_barrier
	buffer_gl0_inv
	v_cmpx_gt_u32_e32 2, v0
	s_cbranch_execz .LBB72_23
; %bb.20:
	s_clause 0x3
	buffer_load_dword v26, v32, s[0:3], 0 offen offset:8
	buffer_load_dword v27, v32, s[0:3], 0 offen offset:12
	buffer_load_dword v28, v32, s[0:3], 0 offen
	buffer_load_dword v29, v32, s[0:3], 0 offen offset:4
	ds_read_b128 v[3:6], v25
	s_waitcnt vmcnt(2) lgkmcnt(0)
	v_mul_f64 v[32:33], v[5:6], v[26:27]
	v_mul_f64 v[26:27], v[3:4], v[26:27]
	s_waitcnt vmcnt(0)
	v_fma_f64 v[3:4], v[3:4], v[28:29], -v[32:33]
	v_fma_f64 v[5:6], v[5:6], v[28:29], v[26:27]
	v_add_f64 v[3:4], v[3:4], 0
	v_add_f64 v[5:6], v[5:6], 0
	s_and_saveexec_b32 s23, s6
	s_cbranch_execz .LBB72_22
; %bb.21:
	s_clause 0x3
	buffer_load_dword v32, off, s[0:3], 0 offset:24
	buffer_load_dword v33, off, s[0:3], 0 offset:28
	buffer_load_dword v34, off, s[0:3], 0 offset:16
	buffer_load_dword v35, off, s[0:3], 0 offset:20
	v_mov_b32_e32 v26, 0
	ds_read_b128 v[26:29], v26 offset:160
	s_waitcnt vmcnt(2) lgkmcnt(0)
	v_mul_f64 v[36:37], v[26:27], v[32:33]
	v_mul_f64 v[32:33], v[28:29], v[32:33]
	s_waitcnt vmcnt(0)
	v_fma_f64 v[28:29], v[28:29], v[34:35], v[36:37]
	v_fma_f64 v[26:27], v[26:27], v[34:35], -v[32:33]
	v_add_f64 v[5:6], v[5:6], v[28:29]
	v_add_f64 v[3:4], v[3:4], v[26:27]
.LBB72_22:
	s_or_b32 exec_lo, exec_lo, s23
	v_mov_b32_e32 v26, 0
	ds_read_b128 v[26:29], v26 offset:32
	s_waitcnt lgkmcnt(0)
	v_mul_f64 v[32:33], v[5:6], v[28:29]
	v_mul_f64 v[28:29], v[3:4], v[28:29]
	v_fma_f64 v[3:4], v[3:4], v[26:27], -v[32:33]
	v_fma_f64 v[5:6], v[5:6], v[26:27], v[28:29]
	buffer_store_dword v4, off, s[0:3], 0 offset:36
	buffer_store_dword v3, off, s[0:3], 0 offset:32
	;; [unrolled: 1-line block ×4, first 2 shown]
.LBB72_23:
	s_or_b32 exec_lo, exec_lo, s7
	v_mov_b32_e32 v6, s19
	s_waitcnt_vscnt null, 0x0
	s_barrier
	buffer_gl0_inv
	v_add_nc_u32_e32 v26, -1, v0
	s_clause 0x3
	buffer_load_dword v3, v6, s[0:3], 0 offen
	buffer_load_dword v4, v6, s[0:3], 0 offen offset:4
	buffer_load_dword v5, v6, s[0:3], 0 offen offset:8
	;; [unrolled: 1-line block ×3, first 2 shown]
	s_mov_b32 s6, exec_lo
	s_waitcnt vmcnt(0)
	ds_write_b128 v25, v[3:6]
	s_waitcnt lgkmcnt(0)
	s_barrier
	buffer_gl0_inv
	v_cmpx_gt_u32_e32 3, v0
	s_cbranch_execz .LBB72_27
; %bb.24:
	v_mov_b32_e32 v3, 0
	v_mov_b32_e32 v5, 0
	v_add_nc_u32_e32 v27, -1, v0
	v_add_nc_u32_e32 v28, 0x90, v31
	v_mov_b32_e32 v4, 0
	v_mov_b32_e32 v6, 0
	;; [unrolled: 1-line block ×3, first 2 shown]
	s_mov_b32 s7, 0
	.p2align	6
.LBB72_25:                              ; =>This Inner Loop Header: Depth=1
	s_clause 0x3
	buffer_load_dword v36, v29, s[0:3], 0 offen offset:8
	buffer_load_dword v37, v29, s[0:3], 0 offen offset:12
	buffer_load_dword v38, v29, s[0:3], 0 offen
	buffer_load_dword v39, v29, s[0:3], 0 offen offset:4
	ds_read_b128 v[32:35], v28
	v_add_nc_u32_e32 v27, 1, v27
	v_add_nc_u32_e32 v28, 16, v28
	;; [unrolled: 1-line block ×3, first 2 shown]
	v_cmp_lt_u32_e32 vcc_lo, 1, v27
	s_or_b32 s7, vcc_lo, s7
	s_waitcnt vmcnt(2) lgkmcnt(0)
	v_mul_f64 v[40:41], v[34:35], v[36:37]
	v_mul_f64 v[36:37], v[32:33], v[36:37]
	s_waitcnt vmcnt(0)
	v_fma_f64 v[32:33], v[32:33], v[38:39], -v[40:41]
	v_fma_f64 v[34:35], v[34:35], v[38:39], v[36:37]
	v_add_f64 v[5:6], v[5:6], v[32:33]
	v_add_f64 v[3:4], v[3:4], v[34:35]
	s_andn2_b32 exec_lo, exec_lo, s7
	s_cbranch_execnz .LBB72_25
; %bb.26:
	s_or_b32 exec_lo, exec_lo, s7
	v_mov_b32_e32 v27, 0
	ds_read_b128 v[27:30], v27 offset:48
	s_waitcnt lgkmcnt(0)
	v_mul_f64 v[32:33], v[3:4], v[29:30]
	v_mul_f64 v[29:30], v[5:6], v[29:30]
	v_fma_f64 v[5:6], v[5:6], v[27:28], -v[32:33]
	v_fma_f64 v[3:4], v[3:4], v[27:28], v[29:30]
	buffer_store_dword v6, off, s[0:3], 0 offset:52
	buffer_store_dword v5, off, s[0:3], 0 offset:48
	;; [unrolled: 1-line block ×4, first 2 shown]
.LBB72_27:
	s_or_b32 exec_lo, exec_lo, s6
	v_mov_b32_e32 v6, s18
	s_waitcnt_vscnt null, 0x0
	s_barrier
	buffer_gl0_inv
	s_mov_b32 s6, exec_lo
	s_clause 0x3
	buffer_load_dword v3, v6, s[0:3], 0 offen
	buffer_load_dword v4, v6, s[0:3], 0 offen offset:4
	buffer_load_dword v5, v6, s[0:3], 0 offen offset:8
	;; [unrolled: 1-line block ×3, first 2 shown]
	s_waitcnt vmcnt(0)
	ds_write_b128 v25, v[3:6]
	s_waitcnt lgkmcnt(0)
	s_barrier
	buffer_gl0_inv
	v_cmpx_gt_u32_e32 4, v0
	s_cbranch_execz .LBB72_31
; %bb.28:
	v_mov_b32_e32 v3, 0
	v_mov_b32_e32 v5, 0
	v_add_nc_u32_e32 v27, -1, v0
	v_add_nc_u32_e32 v28, 0x90, v31
	v_mov_b32_e32 v4, 0
	v_mov_b32_e32 v6, 0
	;; [unrolled: 1-line block ×3, first 2 shown]
	s_mov_b32 s7, 0
	.p2align	6
.LBB72_29:                              ; =>This Inner Loop Header: Depth=1
	s_clause 0x3
	buffer_load_dword v36, v29, s[0:3], 0 offen offset:8
	buffer_load_dword v37, v29, s[0:3], 0 offen offset:12
	buffer_load_dword v38, v29, s[0:3], 0 offen
	buffer_load_dword v39, v29, s[0:3], 0 offen offset:4
	ds_read_b128 v[32:35], v28
	v_add_nc_u32_e32 v27, 1, v27
	v_add_nc_u32_e32 v28, 16, v28
	;; [unrolled: 1-line block ×3, first 2 shown]
	v_cmp_lt_u32_e32 vcc_lo, 2, v27
	s_or_b32 s7, vcc_lo, s7
	s_waitcnt vmcnt(2) lgkmcnt(0)
	v_mul_f64 v[40:41], v[34:35], v[36:37]
	v_mul_f64 v[36:37], v[32:33], v[36:37]
	s_waitcnt vmcnt(0)
	v_fma_f64 v[32:33], v[32:33], v[38:39], -v[40:41]
	v_fma_f64 v[34:35], v[34:35], v[38:39], v[36:37]
	v_add_f64 v[5:6], v[5:6], v[32:33]
	v_add_f64 v[3:4], v[3:4], v[34:35]
	s_andn2_b32 exec_lo, exec_lo, s7
	s_cbranch_execnz .LBB72_29
; %bb.30:
	s_or_b32 exec_lo, exec_lo, s7
	v_mov_b32_e32 v27, 0
	ds_read_b128 v[27:30], v27 offset:64
	s_waitcnt lgkmcnt(0)
	v_mul_f64 v[32:33], v[3:4], v[29:30]
	v_mul_f64 v[29:30], v[5:6], v[29:30]
	v_fma_f64 v[5:6], v[5:6], v[27:28], -v[32:33]
	v_fma_f64 v[3:4], v[3:4], v[27:28], v[29:30]
	buffer_store_dword v6, off, s[0:3], 0 offset:68
	buffer_store_dword v5, off, s[0:3], 0 offset:64
	;; [unrolled: 1-line block ×4, first 2 shown]
.LBB72_31:
	s_or_b32 exec_lo, exec_lo, s6
	v_mov_b32_e32 v6, s17
	s_waitcnt_vscnt null, 0x0
	s_barrier
	buffer_gl0_inv
	s_mov_b32 s6, exec_lo
	s_clause 0x3
	buffer_load_dword v3, v6, s[0:3], 0 offen
	buffer_load_dword v4, v6, s[0:3], 0 offen offset:4
	buffer_load_dword v5, v6, s[0:3], 0 offen offset:8
	;; [unrolled: 1-line block ×3, first 2 shown]
	s_waitcnt vmcnt(0)
	ds_write_b128 v25, v[3:6]
	s_waitcnt lgkmcnt(0)
	s_barrier
	buffer_gl0_inv
	v_cmpx_gt_u32_e32 5, v0
	s_cbranch_execz .LBB72_35
; %bb.32:
	v_mov_b32_e32 v3, 0
	v_mov_b32_e32 v5, 0
	v_add_nc_u32_e32 v27, -1, v0
	v_add_nc_u32_e32 v28, 0x90, v31
	v_mov_b32_e32 v4, 0
	v_mov_b32_e32 v6, 0
	;; [unrolled: 1-line block ×3, first 2 shown]
	s_mov_b32 s7, 0
	.p2align	6
.LBB72_33:                              ; =>This Inner Loop Header: Depth=1
	s_clause 0x3
	buffer_load_dword v36, v29, s[0:3], 0 offen offset:8
	buffer_load_dword v37, v29, s[0:3], 0 offen offset:12
	buffer_load_dword v38, v29, s[0:3], 0 offen
	buffer_load_dword v39, v29, s[0:3], 0 offen offset:4
	ds_read_b128 v[32:35], v28
	v_add_nc_u32_e32 v27, 1, v27
	v_add_nc_u32_e32 v28, 16, v28
	;; [unrolled: 1-line block ×3, first 2 shown]
	v_cmp_lt_u32_e32 vcc_lo, 3, v27
	s_or_b32 s7, vcc_lo, s7
	s_waitcnt vmcnt(2) lgkmcnt(0)
	v_mul_f64 v[40:41], v[34:35], v[36:37]
	v_mul_f64 v[36:37], v[32:33], v[36:37]
	s_waitcnt vmcnt(0)
	v_fma_f64 v[32:33], v[32:33], v[38:39], -v[40:41]
	v_fma_f64 v[34:35], v[34:35], v[38:39], v[36:37]
	v_add_f64 v[5:6], v[5:6], v[32:33]
	v_add_f64 v[3:4], v[3:4], v[34:35]
	s_andn2_b32 exec_lo, exec_lo, s7
	s_cbranch_execnz .LBB72_33
; %bb.34:
	s_or_b32 exec_lo, exec_lo, s7
	v_mov_b32_e32 v27, 0
	ds_read_b128 v[27:30], v27 offset:80
	s_waitcnt lgkmcnt(0)
	v_mul_f64 v[32:33], v[3:4], v[29:30]
	v_mul_f64 v[29:30], v[5:6], v[29:30]
	v_fma_f64 v[5:6], v[5:6], v[27:28], -v[32:33]
	v_fma_f64 v[3:4], v[3:4], v[27:28], v[29:30]
	buffer_store_dword v6, off, s[0:3], 0 offset:84
	buffer_store_dword v5, off, s[0:3], 0 offset:80
	;; [unrolled: 1-line block ×4, first 2 shown]
.LBB72_35:
	s_or_b32 exec_lo, exec_lo, s6
	v_mov_b32_e32 v6, s16
	s_waitcnt_vscnt null, 0x0
	s_barrier
	buffer_gl0_inv
	s_mov_b32 s6, exec_lo
	s_clause 0x3
	buffer_load_dword v3, v6, s[0:3], 0 offen
	buffer_load_dword v4, v6, s[0:3], 0 offen offset:4
	buffer_load_dword v5, v6, s[0:3], 0 offen offset:8
	;; [unrolled: 1-line block ×3, first 2 shown]
	s_waitcnt vmcnt(0)
	ds_write_b128 v25, v[3:6]
	s_waitcnt lgkmcnt(0)
	s_barrier
	buffer_gl0_inv
	v_cmpx_gt_u32_e32 6, v0
	s_cbranch_execz .LBB72_39
; %bb.36:
	v_mov_b32_e32 v3, 0
	v_mov_b32_e32 v5, 0
	v_add_nc_u32_e32 v27, -1, v0
	v_add_nc_u32_e32 v28, 0x90, v31
	v_mov_b32_e32 v4, 0
	v_mov_b32_e32 v6, 0
	;; [unrolled: 1-line block ×3, first 2 shown]
	s_mov_b32 s7, 0
	.p2align	6
.LBB72_37:                              ; =>This Inner Loop Header: Depth=1
	s_clause 0x3
	buffer_load_dword v36, v29, s[0:3], 0 offen offset:8
	buffer_load_dword v37, v29, s[0:3], 0 offen offset:12
	buffer_load_dword v38, v29, s[0:3], 0 offen
	buffer_load_dword v39, v29, s[0:3], 0 offen offset:4
	ds_read_b128 v[32:35], v28
	v_add_nc_u32_e32 v27, 1, v27
	v_add_nc_u32_e32 v28, 16, v28
	;; [unrolled: 1-line block ×3, first 2 shown]
	v_cmp_lt_u32_e32 vcc_lo, 4, v27
	s_or_b32 s7, vcc_lo, s7
	s_waitcnt vmcnt(2) lgkmcnt(0)
	v_mul_f64 v[40:41], v[34:35], v[36:37]
	v_mul_f64 v[36:37], v[32:33], v[36:37]
	s_waitcnt vmcnt(0)
	v_fma_f64 v[32:33], v[32:33], v[38:39], -v[40:41]
	v_fma_f64 v[34:35], v[34:35], v[38:39], v[36:37]
	v_add_f64 v[5:6], v[5:6], v[32:33]
	v_add_f64 v[3:4], v[3:4], v[34:35]
	s_andn2_b32 exec_lo, exec_lo, s7
	s_cbranch_execnz .LBB72_37
; %bb.38:
	s_or_b32 exec_lo, exec_lo, s7
	v_mov_b32_e32 v27, 0
	ds_read_b128 v[27:30], v27 offset:96
	s_waitcnt lgkmcnt(0)
	v_mul_f64 v[32:33], v[3:4], v[29:30]
	v_mul_f64 v[29:30], v[5:6], v[29:30]
	v_fma_f64 v[5:6], v[5:6], v[27:28], -v[32:33]
	v_fma_f64 v[3:4], v[3:4], v[27:28], v[29:30]
	buffer_store_dword v6, off, s[0:3], 0 offset:100
	buffer_store_dword v5, off, s[0:3], 0 offset:96
	;; [unrolled: 1-line block ×4, first 2 shown]
.LBB72_39:
	s_or_b32 exec_lo, exec_lo, s6
	v_mov_b32_e32 v6, s13
	s_waitcnt_vscnt null, 0x0
	s_barrier
	buffer_gl0_inv
	s_mov_b32 s6, exec_lo
	s_clause 0x3
	buffer_load_dword v3, v6, s[0:3], 0 offen
	buffer_load_dword v4, v6, s[0:3], 0 offen offset:4
	buffer_load_dword v5, v6, s[0:3], 0 offen offset:8
	;; [unrolled: 1-line block ×3, first 2 shown]
	s_waitcnt vmcnt(0)
	ds_write_b128 v25, v[3:6]
	s_waitcnt lgkmcnt(0)
	s_barrier
	buffer_gl0_inv
	v_cmpx_gt_u32_e32 7, v0
	s_cbranch_execz .LBB72_43
; %bb.40:
	v_mov_b32_e32 v3, 0
	v_mov_b32_e32 v5, 0
	v_add_nc_u32_e32 v27, -1, v0
	v_add_nc_u32_e32 v28, 0x90, v31
	v_mov_b32_e32 v4, 0
	v_mov_b32_e32 v6, 0
	;; [unrolled: 1-line block ×3, first 2 shown]
	s_mov_b32 s7, 0
	.p2align	6
.LBB72_41:                              ; =>This Inner Loop Header: Depth=1
	s_clause 0x3
	buffer_load_dword v36, v29, s[0:3], 0 offen offset:8
	buffer_load_dword v37, v29, s[0:3], 0 offen offset:12
	buffer_load_dword v38, v29, s[0:3], 0 offen
	buffer_load_dword v39, v29, s[0:3], 0 offen offset:4
	ds_read_b128 v[32:35], v28
	v_add_nc_u32_e32 v27, 1, v27
	v_add_nc_u32_e32 v28, 16, v28
	;; [unrolled: 1-line block ×3, first 2 shown]
	v_cmp_lt_u32_e32 vcc_lo, 5, v27
	s_or_b32 s7, vcc_lo, s7
	s_waitcnt vmcnt(2) lgkmcnt(0)
	v_mul_f64 v[40:41], v[34:35], v[36:37]
	v_mul_f64 v[36:37], v[32:33], v[36:37]
	s_waitcnt vmcnt(0)
	v_fma_f64 v[32:33], v[32:33], v[38:39], -v[40:41]
	v_fma_f64 v[34:35], v[34:35], v[38:39], v[36:37]
	v_add_f64 v[5:6], v[5:6], v[32:33]
	v_add_f64 v[3:4], v[3:4], v[34:35]
	s_andn2_b32 exec_lo, exec_lo, s7
	s_cbranch_execnz .LBB72_41
; %bb.42:
	s_or_b32 exec_lo, exec_lo, s7
	v_mov_b32_e32 v27, 0
	ds_read_b128 v[27:30], v27 offset:112
	s_waitcnt lgkmcnt(0)
	v_mul_f64 v[32:33], v[3:4], v[29:30]
	v_mul_f64 v[29:30], v[5:6], v[29:30]
	v_fma_f64 v[5:6], v[5:6], v[27:28], -v[32:33]
	v_fma_f64 v[3:4], v[3:4], v[27:28], v[29:30]
	buffer_store_dword v6, off, s[0:3], 0 offset:116
	buffer_store_dword v5, off, s[0:3], 0 offset:112
	;; [unrolled: 1-line block ×4, first 2 shown]
.LBB72_43:
	s_or_b32 exec_lo, exec_lo, s6
	v_mov_b32_e32 v6, s12
	s_waitcnt_vscnt null, 0x0
	s_barrier
	buffer_gl0_inv
	s_mov_b32 s6, exec_lo
	s_clause 0x3
	buffer_load_dword v3, v6, s[0:3], 0 offen
	buffer_load_dword v4, v6, s[0:3], 0 offen offset:4
	buffer_load_dword v5, v6, s[0:3], 0 offen offset:8
	buffer_load_dword v6, v6, s[0:3], 0 offen offset:12
	s_waitcnt vmcnt(0)
	ds_write_b128 v25, v[3:6]
	s_waitcnt lgkmcnt(0)
	s_barrier
	buffer_gl0_inv
	v_cmpx_ne_u32_e32 8, v0
	s_cbranch_execz .LBB72_47
; %bb.44:
	v_mov_b32_e32 v3, 0
	v_mov_b32_e32 v5, 0
	;; [unrolled: 1-line block ×5, first 2 shown]
	s_mov_b32 s7, 0
	.p2align	6
.LBB72_45:                              ; =>This Inner Loop Header: Depth=1
	s_clause 0x3
	buffer_load_dword v32, v27, s[0:3], 0 offen offset:8
	buffer_load_dword v33, v27, s[0:3], 0 offen offset:12
	buffer_load_dword v34, v27, s[0:3], 0 offen
	buffer_load_dword v35, v27, s[0:3], 0 offen offset:4
	ds_read_b128 v[28:31], v25
	v_add_nc_u32_e32 v26, 1, v26
	v_add_nc_u32_e32 v25, 16, v25
	;; [unrolled: 1-line block ×3, first 2 shown]
	v_cmp_lt_u32_e32 vcc_lo, 6, v26
	s_or_b32 s7, vcc_lo, s7
	s_waitcnt vmcnt(2) lgkmcnt(0)
	v_mul_f64 v[36:37], v[30:31], v[32:33]
	v_mul_f64 v[32:33], v[28:29], v[32:33]
	s_waitcnt vmcnt(0)
	v_fma_f64 v[28:29], v[28:29], v[34:35], -v[36:37]
	v_fma_f64 v[30:31], v[30:31], v[34:35], v[32:33]
	v_add_f64 v[5:6], v[5:6], v[28:29]
	v_add_f64 v[3:4], v[3:4], v[30:31]
	s_andn2_b32 exec_lo, exec_lo, s7
	s_cbranch_execnz .LBB72_45
; %bb.46:
	s_or_b32 exec_lo, exec_lo, s7
	v_mov_b32_e32 v25, 0
	ds_read_b128 v[25:28], v25 offset:128
	s_waitcnt lgkmcnt(0)
	v_mul_f64 v[29:30], v[3:4], v[27:28]
	v_mul_f64 v[27:28], v[5:6], v[27:28]
	v_fma_f64 v[5:6], v[5:6], v[25:26], -v[29:30]
	v_fma_f64 v[3:4], v[3:4], v[25:26], v[27:28]
	buffer_store_dword v6, off, s[0:3], 0 offset:132
	buffer_store_dword v5, off, s[0:3], 0 offset:128
	;; [unrolled: 1-line block ×4, first 2 shown]
.LBB72_47:
	s_or_b32 exec_lo, exec_lo, s6
	s_mov_b32 s7, -1
	s_waitcnt_vscnt null, 0x0
	s_barrier
	buffer_gl0_inv
.LBB72_48:
	s_and_b32 vcc_lo, exec_lo, s7
	s_cbranch_vccz .LBB72_50
; %bb.49:
	s_lshl_b64 s[6:7], s[8:9], 2
	v_mov_b32_e32 v3, 0
	s_add_u32 s6, s14, s6
	s_addc_u32 s7, s15, s7
	global_load_dword v3, v3, s[6:7]
	s_waitcnt vmcnt(0)
	v_cmp_ne_u32_e32 vcc_lo, 0, v3
	s_cbranch_vccz .LBB72_51
.LBB72_50:
	s_endpgm
.LBB72_51:
	v_lshl_add_u32 v3, v0, 4, 0x90
	s_mov_b32 s6, exec_lo
	v_cmpx_eq_u32_e32 8, v0
	s_cbranch_execz .LBB72_53
; %bb.52:
	v_mov_b32_e32 v4, s13
	s_clause 0x3
	buffer_load_dword v25, v4, s[0:3], 0 offen
	buffer_load_dword v26, v4, s[0:3], 0 offen offset:4
	buffer_load_dword v27, v4, s[0:3], 0 offen offset:8
	;; [unrolled: 1-line block ×3, first 2 shown]
	v_mov_b32_e32 v4, 0
	buffer_store_dword v4, off, s[0:3], 0 offset:112
	buffer_store_dword v4, off, s[0:3], 0 offset:116
	;; [unrolled: 1-line block ×4, first 2 shown]
	s_waitcnt vmcnt(0)
	ds_write_b128 v3, v[25:28]
.LBB72_53:
	s_or_b32 exec_lo, exec_lo, s6
	s_waitcnt lgkmcnt(0)
	s_waitcnt_vscnt null, 0x0
	s_barrier
	buffer_gl0_inv
	s_clause 0x7
	buffer_load_dword v5, off, s[0:3], 0 offset:136
	buffer_load_dword v6, off, s[0:3], 0 offset:140
	;; [unrolled: 1-line block ×8, first 2 shown]
	v_mov_b32_e32 v4, 0
	s_mov_b32 s6, exec_lo
	ds_read_b128 v[25:28], v4 offset:272
	s_waitcnt vmcnt(6) lgkmcnt(0)
	v_mul_f64 v[35:36], v[27:28], v[5:6]
	v_mul_f64 v[5:6], v[25:26], v[5:6]
	s_waitcnt vmcnt(4)
	v_fma_f64 v[25:26], v[25:26], v[29:30], -v[35:36]
	v_fma_f64 v[5:6], v[27:28], v[29:30], v[5:6]
	v_add_f64 v[25:26], v[25:26], 0
	v_add_f64 v[5:6], v[5:6], 0
	s_waitcnt vmcnt(2)
	v_add_f64 v[25:26], v[31:32], -v[25:26]
	s_waitcnt vmcnt(0)
	v_add_f64 v[5:6], v[33:34], -v[5:6]
	buffer_store_dword v25, off, s[0:3], 0 offset:112
	buffer_store_dword v26, off, s[0:3], 0 offset:116
	;; [unrolled: 1-line block ×4, first 2 shown]
	v_cmpx_lt_u32_e32 6, v0
	s_cbranch_execz .LBB72_55
; %bb.54:
	v_mov_b32_e32 v5, s16
	s_clause 0x3
	buffer_load_dword v25, v5, s[0:3], 0 offen
	buffer_load_dword v26, v5, s[0:3], 0 offen offset:4
	buffer_load_dword v27, v5, s[0:3], 0 offen offset:8
	;; [unrolled: 1-line block ×3, first 2 shown]
	buffer_store_dword v4, off, s[0:3], 0 offset:96
	buffer_store_dword v4, off, s[0:3], 0 offset:100
	;; [unrolled: 1-line block ×4, first 2 shown]
	s_waitcnt vmcnt(0)
	ds_write_b128 v3, v[25:28]
.LBB72_55:
	s_or_b32 exec_lo, exec_lo, s6
	s_waitcnt lgkmcnt(0)
	s_waitcnt_vscnt null, 0x0
	s_barrier
	buffer_gl0_inv
	s_clause 0xb
	buffer_load_dword v5, off, s[0:3], 0 offset:120
	buffer_load_dword v6, off, s[0:3], 0 offset:124
	;; [unrolled: 1-line block ×12, first 2 shown]
	ds_read_b128 v[25:28], v4 offset:256
	ds_read_b128 v[29:32], v4 offset:272
	s_mov_b32 s6, exec_lo
	s_waitcnt vmcnt(10) lgkmcnt(1)
	v_mul_f64 v[43:44], v[27:28], v[5:6]
	v_mul_f64 v[4:5], v[25:26], v[5:6]
	s_waitcnt vmcnt(8) lgkmcnt(0)
	v_mul_f64 v[45:46], v[31:32], v[33:34]
	v_mul_f64 v[33:34], v[29:30], v[33:34]
	s_waitcnt vmcnt(6)
	v_fma_f64 v[25:26], v[25:26], v[35:36], -v[43:44]
	v_fma_f64 v[4:5], v[27:28], v[35:36], v[4:5]
	s_waitcnt vmcnt(4)
	v_fma_f64 v[27:28], v[29:30], v[37:38], -v[45:46]
	v_fma_f64 v[29:30], v[31:32], v[37:38], v[33:34]
	v_add_f64 v[25:26], v[25:26], 0
	v_add_f64 v[4:5], v[4:5], 0
	;; [unrolled: 1-line block ×4, first 2 shown]
	s_waitcnt vmcnt(2)
	v_add_f64 v[25:26], v[39:40], -v[25:26]
	s_waitcnt vmcnt(0)
	v_add_f64 v[4:5], v[41:42], -v[4:5]
	buffer_store_dword v25, off, s[0:3], 0 offset:96
	buffer_store_dword v26, off, s[0:3], 0 offset:100
	;; [unrolled: 1-line block ×4, first 2 shown]
	v_cmpx_lt_u32_e32 5, v0
	s_cbranch_execz .LBB72_57
; %bb.56:
	v_mov_b32_e32 v4, s17
	s_clause 0x3
	buffer_load_dword v25, v4, s[0:3], 0 offen
	buffer_load_dword v26, v4, s[0:3], 0 offen offset:4
	buffer_load_dword v27, v4, s[0:3], 0 offen offset:8
	buffer_load_dword v28, v4, s[0:3], 0 offen offset:12
	v_mov_b32_e32 v4, 0
	buffer_store_dword v4, off, s[0:3], 0 offset:80
	buffer_store_dword v4, off, s[0:3], 0 offset:84
	;; [unrolled: 1-line block ×4, first 2 shown]
	s_waitcnt vmcnt(0)
	ds_write_b128 v3, v[25:28]
.LBB72_57:
	s_or_b32 exec_lo, exec_lo, s6
	s_waitcnt lgkmcnt(0)
	s_waitcnt_vscnt null, 0x0
	s_barrier
	buffer_gl0_inv
	s_clause 0xf
	buffer_load_dword v5, off, s[0:3], 0 offset:104
	buffer_load_dword v6, off, s[0:3], 0 offset:108
	;; [unrolled: 1-line block ×16, first 2 shown]
	v_mov_b32_e32 v4, 0
	ds_read_b128 v[25:28], v4 offset:240
	ds_read_b128 v[29:32], v4 offset:256
	;; [unrolled: 1-line block ×3, first 2 shown]
	s_mov_b32 s6, exec_lo
	s_waitcnt vmcnt(14) lgkmcnt(2)
	v_mul_f64 v[51:52], v[27:28], v[5:6]
	v_mul_f64 v[5:6], v[25:26], v[5:6]
	s_waitcnt vmcnt(12) lgkmcnt(1)
	v_mul_f64 v[53:54], v[31:32], v[37:38]
	v_mul_f64 v[37:38], v[29:30], v[37:38]
	s_waitcnt vmcnt(10)
	v_fma_f64 v[25:26], v[25:26], v[39:40], -v[51:52]
	v_fma_f64 v[5:6], v[27:28], v[39:40], v[5:6]
	s_waitcnt vmcnt(8) lgkmcnt(0)
	v_mul_f64 v[39:40], v[35:36], v[41:42]
	s_waitcnt vmcnt(6)
	v_fma_f64 v[29:30], v[29:30], v[43:44], -v[53:54]
	v_mul_f64 v[27:28], v[33:34], v[41:42]
	v_fma_f64 v[31:32], v[31:32], v[43:44], v[37:38]
	v_add_f64 v[25:26], v[25:26], 0
	v_add_f64 v[5:6], v[5:6], 0
	s_waitcnt vmcnt(4)
	v_fma_f64 v[33:34], v[33:34], v[45:46], -v[39:40]
	v_fma_f64 v[27:28], v[35:36], v[45:46], v[27:28]
	v_add_f64 v[25:26], v[25:26], v[29:30]
	v_add_f64 v[5:6], v[5:6], v[31:32]
	;; [unrolled: 1-line block ×4, first 2 shown]
	s_waitcnt vmcnt(2)
	v_add_f64 v[25:26], v[47:48], -v[25:26]
	s_waitcnt vmcnt(0)
	v_add_f64 v[5:6], v[49:50], -v[5:6]
	buffer_store_dword v25, off, s[0:3], 0 offset:80
	buffer_store_dword v26, off, s[0:3], 0 offset:84
	;; [unrolled: 1-line block ×4, first 2 shown]
	v_cmpx_lt_u32_e32 4, v0
	s_cbranch_execz .LBB72_59
; %bb.58:
	v_mov_b32_e32 v5, s18
	s_clause 0x3
	buffer_load_dword v25, v5, s[0:3], 0 offen
	buffer_load_dword v26, v5, s[0:3], 0 offen offset:4
	buffer_load_dword v27, v5, s[0:3], 0 offen offset:8
	;; [unrolled: 1-line block ×3, first 2 shown]
	buffer_store_dword v4, off, s[0:3], 0 offset:64
	buffer_store_dword v4, off, s[0:3], 0 offset:68
	;; [unrolled: 1-line block ×4, first 2 shown]
	s_waitcnt vmcnt(0)
	ds_write_b128 v3, v[25:28]
.LBB72_59:
	s_or_b32 exec_lo, exec_lo, s6
	s_waitcnt lgkmcnt(0)
	s_waitcnt_vscnt null, 0x0
	s_barrier
	buffer_gl0_inv
	s_clause 0x13
	buffer_load_dword v5, off, s[0:3], 0 offset:88
	buffer_load_dword v6, off, s[0:3], 0 offset:92
	;; [unrolled: 1-line block ×20, first 2 shown]
	ds_read_b128 v[25:28], v4 offset:224
	ds_read_b128 v[29:32], v4 offset:240
	;; [unrolled: 1-line block ×3, first 2 shown]
	s_mov_b32 s6, exec_lo
	s_waitcnt vmcnt(18) lgkmcnt(2)
	v_mul_f64 v[55:56], v[27:28], v[5:6]
	v_mul_f64 v[5:6], v[25:26], v[5:6]
	s_waitcnt vmcnt(16) lgkmcnt(1)
	v_mul_f64 v[57:58], v[31:32], v[37:38]
	v_mul_f64 v[37:38], v[29:30], v[37:38]
	s_waitcnt vmcnt(14)
	v_fma_f64 v[55:56], v[25:26], v[39:40], -v[55:56]
	v_fma_f64 v[5:6], v[27:28], v[39:40], v[5:6]
	ds_read_b128 v[25:28], v4 offset:272
	s_waitcnt vmcnt(12) lgkmcnt(1)
	v_mul_f64 v[39:40], v[33:34], v[41:42]
	v_mul_f64 v[41:42], v[35:36], v[41:42]
	s_waitcnt vmcnt(10)
	v_fma_f64 v[29:30], v[29:30], v[43:44], -v[57:58]
	v_fma_f64 v[31:32], v[31:32], v[43:44], v[37:38]
	s_waitcnt vmcnt(8) lgkmcnt(0)
	v_mul_f64 v[43:44], v[27:28], v[45:46]
	v_add_f64 v[55:56], v[55:56], 0
	v_add_f64 v[4:5], v[5:6], 0
	v_mul_f64 v[37:38], v[25:26], v[45:46]
	s_waitcnt vmcnt(6)
	v_fma_f64 v[33:34], v[33:34], v[47:48], -v[41:42]
	v_fma_f64 v[35:36], v[35:36], v[47:48], v[39:40]
	s_waitcnt vmcnt(4)
	v_fma_f64 v[25:26], v[25:26], v[49:50], -v[43:44]
	v_add_f64 v[29:30], v[55:56], v[29:30]
	v_add_f64 v[4:5], v[4:5], v[31:32]
	v_fma_f64 v[27:28], v[27:28], v[49:50], v[37:38]
	v_add_f64 v[29:30], v[29:30], v[33:34]
	v_add_f64 v[4:5], v[4:5], v[35:36]
	v_add_f64 v[25:26], v[29:30], v[25:26]
	v_add_f64 v[4:5], v[4:5], v[27:28]
	s_waitcnt vmcnt(2)
	v_add_f64 v[25:26], v[51:52], -v[25:26]
	s_waitcnt vmcnt(0)
	v_add_f64 v[4:5], v[53:54], -v[4:5]
	buffer_store_dword v25, off, s[0:3], 0 offset:64
	buffer_store_dword v26, off, s[0:3], 0 offset:68
	;; [unrolled: 1-line block ×4, first 2 shown]
	v_cmpx_lt_u32_e32 3, v0
	s_cbranch_execz .LBB72_61
; %bb.60:
	v_mov_b32_e32 v4, s19
	s_clause 0x3
	buffer_load_dword v25, v4, s[0:3], 0 offen
	buffer_load_dword v26, v4, s[0:3], 0 offen offset:4
	buffer_load_dword v27, v4, s[0:3], 0 offen offset:8
	;; [unrolled: 1-line block ×3, first 2 shown]
	v_mov_b32_e32 v4, 0
	buffer_store_dword v4, off, s[0:3], 0 offset:48
	buffer_store_dword v4, off, s[0:3], 0 offset:52
	;; [unrolled: 1-line block ×4, first 2 shown]
	s_waitcnt vmcnt(0)
	ds_write_b128 v3, v[25:28]
.LBB72_61:
	s_or_b32 exec_lo, exec_lo, s6
	s_waitcnt lgkmcnt(0)
	s_waitcnt_vscnt null, 0x0
	s_barrier
	buffer_gl0_inv
	s_clause 0x17
	buffer_load_dword v5, off, s[0:3], 0 offset:72
	buffer_load_dword v6, off, s[0:3], 0 offset:76
	;; [unrolled: 1-line block ×24, first 2 shown]
	v_mov_b32_e32 v4, 0
	ds_read_b128 v[25:28], v4 offset:208
	ds_read_b128 v[29:32], v4 offset:224
	;; [unrolled: 1-line block ×3, first 2 shown]
	s_mov_b32 s6, exec_lo
	s_waitcnt vmcnt(22) lgkmcnt(2)
	v_mul_f64 v[59:60], v[27:28], v[5:6]
	v_mul_f64 v[5:6], v[25:26], v[5:6]
	s_waitcnt vmcnt(20) lgkmcnt(1)
	v_mul_f64 v[61:62], v[31:32], v[37:38]
	v_mul_f64 v[37:38], v[29:30], v[37:38]
	s_waitcnt vmcnt(18)
	v_fma_f64 v[59:60], v[25:26], v[39:40], -v[59:60]
	v_fma_f64 v[5:6], v[27:28], v[39:40], v[5:6]
	ds_read_b128 v[25:28], v4 offset:256
	s_waitcnt vmcnt(16) lgkmcnt(1)
	v_mul_f64 v[39:40], v[33:34], v[41:42]
	v_mul_f64 v[41:42], v[35:36], v[41:42]
	s_waitcnt vmcnt(14)
	v_fma_f64 v[61:62], v[29:30], v[43:44], -v[61:62]
	v_fma_f64 v[37:38], v[31:32], v[43:44], v[37:38]
	ds_read_b128 v[29:32], v4 offset:272
	s_waitcnt vmcnt(10) lgkmcnt(1)
	v_mul_f64 v[43:44], v[25:26], v[45:46]
	v_add_f64 v[59:60], v[59:60], 0
	v_add_f64 v[5:6], v[5:6], 0
	v_mul_f64 v[45:46], v[27:28], v[45:46]
	s_waitcnt vmcnt(8)
	v_fma_f64 v[33:34], v[33:34], v[51:52], -v[41:42]
	v_fma_f64 v[35:36], v[35:36], v[51:52], v[39:40]
	s_waitcnt vmcnt(7) lgkmcnt(0)
	v_mul_f64 v[39:40], v[31:32], v[47:48]
	s_waitcnt vmcnt(5)
	v_fma_f64 v[27:28], v[27:28], v[53:54], v[43:44]
	v_add_f64 v[41:42], v[59:60], v[61:62]
	v_add_f64 v[5:6], v[5:6], v[37:38]
	v_fma_f64 v[25:26], v[25:26], v[53:54], -v[45:46]
	v_mul_f64 v[37:38], v[29:30], v[47:48]
	s_waitcnt vmcnt(4)
	v_fma_f64 v[29:30], v[29:30], v[49:50], -v[39:40]
	v_add_f64 v[33:34], v[41:42], v[33:34]
	v_add_f64 v[5:6], v[5:6], v[35:36]
	v_fma_f64 v[31:32], v[31:32], v[49:50], v[37:38]
	v_add_f64 v[25:26], v[33:34], v[25:26]
	v_add_f64 v[5:6], v[5:6], v[27:28]
	v_add_f64 v[25:26], v[25:26], v[29:30]
	v_add_f64 v[5:6], v[5:6], v[31:32]
	s_waitcnt vmcnt(2)
	v_add_f64 v[25:26], v[55:56], -v[25:26]
	s_waitcnt vmcnt(0)
	v_add_f64 v[5:6], v[57:58], -v[5:6]
	buffer_store_dword v26, off, s[0:3], 0 offset:52
	buffer_store_dword v25, off, s[0:3], 0 offset:48
	;; [unrolled: 1-line block ×4, first 2 shown]
	v_cmpx_lt_u32_e32 2, v0
	s_cbranch_execz .LBB72_63
; %bb.62:
	v_mov_b32_e32 v5, s20
	s_clause 0x3
	buffer_load_dword v25, v5, s[0:3], 0 offen
	buffer_load_dword v26, v5, s[0:3], 0 offen offset:4
	buffer_load_dword v27, v5, s[0:3], 0 offen offset:8
	;; [unrolled: 1-line block ×3, first 2 shown]
	buffer_store_dword v4, off, s[0:3], 0 offset:32
	buffer_store_dword v4, off, s[0:3], 0 offset:36
	;; [unrolled: 1-line block ×4, first 2 shown]
	s_waitcnt vmcnt(0)
	ds_write_b128 v3, v[25:28]
.LBB72_63:
	s_or_b32 exec_lo, exec_lo, s6
	s_waitcnt lgkmcnt(0)
	s_waitcnt_vscnt null, 0x0
	s_barrier
	buffer_gl0_inv
	s_clause 0x1b
	buffer_load_dword v5, off, s[0:3], 0 offset:56
	buffer_load_dword v6, off, s[0:3], 0 offset:60
	;; [unrolled: 1-line block ×28, first 2 shown]
	ds_read_b128 v[25:28], v4 offset:192
	ds_read_b128 v[29:32], v4 offset:208
	;; [unrolled: 1-line block ×3, first 2 shown]
	s_mov_b32 s6, exec_lo
	s_waitcnt vmcnt(26) lgkmcnt(2)
	v_mul_f64 v[63:64], v[27:28], v[5:6]
	v_mul_f64 v[5:6], v[25:26], v[5:6]
	s_waitcnt vmcnt(24) lgkmcnt(1)
	v_mul_f64 v[65:66], v[31:32], v[37:38]
	v_mul_f64 v[37:38], v[29:30], v[37:38]
	s_waitcnt vmcnt(22)
	v_fma_f64 v[63:64], v[25:26], v[39:40], -v[63:64]
	v_fma_f64 v[5:6], v[27:28], v[39:40], v[5:6]
	ds_read_b128 v[25:28], v4 offset:240
	s_waitcnt vmcnt(20) lgkmcnt(1)
	v_mul_f64 v[39:40], v[33:34], v[41:42]
	v_mul_f64 v[41:42], v[35:36], v[41:42]
	s_waitcnt vmcnt(18)
	v_fma_f64 v[65:66], v[29:30], v[43:44], -v[65:66]
	v_fma_f64 v[37:38], v[31:32], v[43:44], v[37:38]
	ds_read_b128 v[29:32], v4 offset:256
	s_waitcnt vmcnt(14) lgkmcnt(1)
	v_mul_f64 v[43:44], v[25:26], v[45:46]
	v_add_f64 v[63:64], v[63:64], 0
	v_add_f64 v[5:6], v[5:6], 0
	v_mul_f64 v[45:46], v[27:28], v[45:46]
	s_waitcnt vmcnt(12)
	v_fma_f64 v[41:42], v[33:34], v[51:52], -v[41:42]
	v_fma_f64 v[39:40], v[35:36], v[51:52], v[39:40]
	ds_read_b128 v[33:36], v4 offset:272
	s_waitcnt vmcnt(9)
	v_fma_f64 v[27:28], v[27:28], v[53:54], v[43:44]
	v_add_f64 v[63:64], v[63:64], v[65:66]
	v_add_f64 v[5:6], v[5:6], v[37:38]
	s_waitcnt lgkmcnt(1)
	v_mul_f64 v[37:38], v[29:30], v[47:48]
	v_mul_f64 v[47:48], v[31:32], v[47:48]
	v_fma_f64 v[25:26], v[25:26], v[53:54], -v[45:46]
	s_waitcnt vmcnt(7) lgkmcnt(0)
	v_mul_f64 v[43:44], v[35:36], v[55:56]
	v_add_f64 v[41:42], v[63:64], v[41:42]
	v_add_f64 v[4:5], v[5:6], v[39:40]
	v_mul_f64 v[39:40], v[33:34], v[55:56]
	s_waitcnt vmcnt(6)
	v_fma_f64 v[29:30], v[29:30], v[49:50], -v[47:48]
	v_fma_f64 v[31:32], v[31:32], v[49:50], v[37:38]
	v_add_f64 v[25:26], v[41:42], v[25:26]
	v_add_f64 v[4:5], v[4:5], v[27:28]
	s_waitcnt vmcnt(4)
	v_fma_f64 v[27:28], v[33:34], v[57:58], -v[43:44]
	v_add_f64 v[25:26], v[25:26], v[29:30]
	v_fma_f64 v[29:30], v[35:36], v[57:58], v[39:40]
	v_add_f64 v[4:5], v[4:5], v[31:32]
	v_add_f64 v[25:26], v[25:26], v[27:28]
	;; [unrolled: 1-line block ×3, first 2 shown]
	s_waitcnt vmcnt(2)
	v_add_f64 v[25:26], v[59:60], -v[25:26]
	s_waitcnt vmcnt(0)
	v_add_f64 v[4:5], v[61:62], -v[4:5]
	buffer_store_dword v26, off, s[0:3], 0 offset:36
	buffer_store_dword v25, off, s[0:3], 0 offset:32
	;; [unrolled: 1-line block ×4, first 2 shown]
	v_cmpx_lt_u32_e32 1, v0
	s_cbranch_execz .LBB72_65
; %bb.64:
	v_mov_b32_e32 v4, s21
	s_clause 0x3
	buffer_load_dword v25, v4, s[0:3], 0 offen
	buffer_load_dword v26, v4, s[0:3], 0 offen offset:4
	buffer_load_dword v27, v4, s[0:3], 0 offen offset:8
	;; [unrolled: 1-line block ×3, first 2 shown]
	v_mov_b32_e32 v4, 0
	buffer_store_dword v4, off, s[0:3], 0 offset:16
	buffer_store_dword v4, off, s[0:3], 0 offset:20
	;; [unrolled: 1-line block ×4, first 2 shown]
	s_waitcnt vmcnt(0)
	ds_write_b128 v3, v[25:28]
.LBB72_65:
	s_or_b32 exec_lo, exec_lo, s6
	s_waitcnt lgkmcnt(0)
	s_waitcnt_vscnt null, 0x0
	s_barrier
	buffer_gl0_inv
	s_clause 0x1f
	buffer_load_dword v5, off, s[0:3], 0 offset:40
	buffer_load_dword v6, off, s[0:3], 0 offset:44
	;; [unrolled: 1-line block ×32, first 2 shown]
	v_mov_b32_e32 v4, 0
	ds_read_b128 v[25:28], v4 offset:176
	ds_read_b128 v[29:32], v4 offset:192
	;; [unrolled: 1-line block ×3, first 2 shown]
	s_mov_b32 s6, exec_lo
	s_waitcnt vmcnt(30) lgkmcnt(2)
	v_mul_f64 v[67:68], v[27:28], v[5:6]
	v_mul_f64 v[5:6], v[25:26], v[5:6]
	s_waitcnt vmcnt(28) lgkmcnt(1)
	v_mul_f64 v[69:70], v[31:32], v[37:38]
	v_mul_f64 v[37:38], v[29:30], v[37:38]
	s_waitcnt vmcnt(26)
	v_fma_f64 v[67:68], v[25:26], v[39:40], -v[67:68]
	v_fma_f64 v[5:6], v[27:28], v[39:40], v[5:6]
	ds_read_b128 v[25:28], v4 offset:224
	s_waitcnt vmcnt(24) lgkmcnt(1)
	v_mul_f64 v[39:40], v[33:34], v[41:42]
	v_mul_f64 v[41:42], v[35:36], v[41:42]
	s_waitcnt vmcnt(22)
	v_fma_f64 v[69:70], v[29:30], v[43:44], -v[69:70]
	v_fma_f64 v[37:38], v[31:32], v[43:44], v[37:38]
	ds_read_b128 v[29:32], v4 offset:240
	s_waitcnt vmcnt(18) lgkmcnt(1)
	v_mul_f64 v[43:44], v[25:26], v[45:46]
	v_add_f64 v[67:68], v[67:68], 0
	v_add_f64 v[5:6], v[5:6], 0
	v_mul_f64 v[45:46], v[27:28], v[45:46]
	s_waitcnt vmcnt(16)
	v_fma_f64 v[41:42], v[33:34], v[51:52], -v[41:42]
	v_fma_f64 v[39:40], v[35:36], v[51:52], v[39:40]
	ds_read_b128 v[33:36], v4 offset:256
	s_waitcnt vmcnt(13)
	v_fma_f64 v[43:44], v[27:28], v[53:54], v[43:44]
	v_add_f64 v[67:68], v[67:68], v[69:70]
	v_add_f64 v[5:6], v[5:6], v[37:38]
	s_waitcnt lgkmcnt(1)
	v_mul_f64 v[37:38], v[29:30], v[47:48]
	v_mul_f64 v[47:48], v[31:32], v[47:48]
	v_fma_f64 v[45:46], v[25:26], v[53:54], -v[45:46]
	s_waitcnt vmcnt(9) lgkmcnt(0)
	v_mul_f64 v[51:52], v[35:36], v[55:56]
	ds_read_b128 v[25:28], v4 offset:272
	v_add_f64 v[41:42], v[67:68], v[41:42]
	v_add_f64 v[5:6], v[5:6], v[39:40]
	v_mul_f64 v[39:40], v[33:34], v[55:56]
	s_waitcnt vmcnt(8)
	v_fma_f64 v[29:30], v[29:30], v[49:50], -v[47:48]
	v_fma_f64 v[31:32], v[31:32], v[49:50], v[37:38]
	s_waitcnt vmcnt(5)
	v_fma_f64 v[33:34], v[33:34], v[61:62], -v[51:52]
	s_waitcnt lgkmcnt(0)
	v_mul_f64 v[37:38], v[25:26], v[57:58]
	v_add_f64 v[41:42], v[41:42], v[45:46]
	v_add_f64 v[5:6], v[5:6], v[43:44]
	v_mul_f64 v[43:44], v[27:28], v[57:58]
	v_fma_f64 v[35:36], v[35:36], v[61:62], v[39:40]
	s_waitcnt vmcnt(4)
	v_fma_f64 v[27:28], v[27:28], v[59:60], v[37:38]
	v_add_f64 v[29:30], v[41:42], v[29:30]
	v_add_f64 v[5:6], v[5:6], v[31:32]
	v_fma_f64 v[25:26], v[25:26], v[59:60], -v[43:44]
	v_add_f64 v[29:30], v[29:30], v[33:34]
	v_add_f64 v[5:6], v[5:6], v[35:36]
	v_add_f64 v[25:26], v[29:30], v[25:26]
	v_add_f64 v[5:6], v[5:6], v[27:28]
	s_waitcnt vmcnt(2)
	v_add_f64 v[25:26], v[63:64], -v[25:26]
	s_waitcnt vmcnt(0)
	v_add_f64 v[5:6], v[65:66], -v[5:6]
	buffer_store_dword v26, off, s[0:3], 0 offset:20
	buffer_store_dword v25, off, s[0:3], 0 offset:16
	;; [unrolled: 1-line block ×4, first 2 shown]
	v_cmpx_ne_u32_e32 0, v0
	s_cbranch_execz .LBB72_67
; %bb.66:
	s_clause 0x3
	buffer_load_dword v25, off, s[0:3], 0
	buffer_load_dword v26, off, s[0:3], 0 offset:4
	buffer_load_dword v27, off, s[0:3], 0 offset:8
	;; [unrolled: 1-line block ×3, first 2 shown]
	buffer_store_dword v4, off, s[0:3], 0
	buffer_store_dword v4, off, s[0:3], 0 offset:4
	buffer_store_dword v4, off, s[0:3], 0 offset:8
	;; [unrolled: 1-line block ×3, first 2 shown]
	s_waitcnt vmcnt(0)
	ds_write_b128 v3, v[25:28]
.LBB72_67:
	s_or_b32 exec_lo, exec_lo, s6
	s_waitcnt lgkmcnt(0)
	s_waitcnt_vscnt null, 0x0
	s_barrier
	buffer_gl0_inv
	s_clause 0x23
	buffer_load_dword v5, off, s[0:3], 0 offset:24
	buffer_load_dword v6, off, s[0:3], 0 offset:28
	;; [unrolled: 1-line block ×32, first 2 shown]
	buffer_load_dword v67, off, s[0:3], 0
	buffer_load_dword v68, off, s[0:3], 0 offset:4
	buffer_load_dword v69, off, s[0:3], 0 offset:8
	;; [unrolled: 1-line block ×3, first 2 shown]
	ds_read_b128 v[25:28], v4 offset:160
	ds_read_b128 v[29:32], v4 offset:176
	;; [unrolled: 1-line block ×3, first 2 shown]
	s_and_b32 vcc_lo, exec_lo, s22
	s_waitcnt vmcnt(34) lgkmcnt(2)
	v_mul_f64 v[71:72], v[27:28], v[5:6]
	v_mul_f64 v[5:6], v[25:26], v[5:6]
	s_waitcnt vmcnt(32) lgkmcnt(1)
	v_mul_f64 v[73:74], v[31:32], v[37:38]
	v_mul_f64 v[37:38], v[29:30], v[37:38]
	s_waitcnt vmcnt(30)
	v_fma_f64 v[71:72], v[25:26], v[39:40], -v[71:72]
	v_fma_f64 v[5:6], v[27:28], v[39:40], v[5:6]
	ds_read_b128 v[25:28], v4 offset:208
	s_waitcnt vmcnt(28) lgkmcnt(1)
	v_mul_f64 v[39:40], v[33:34], v[41:42]
	v_mul_f64 v[41:42], v[35:36], v[41:42]
	s_waitcnt vmcnt(26)
	v_fma_f64 v[73:74], v[29:30], v[43:44], -v[73:74]
	v_fma_f64 v[37:38], v[31:32], v[43:44], v[37:38]
	ds_read_b128 v[29:32], v4 offset:224
	s_waitcnt vmcnt(22) lgkmcnt(1)
	v_mul_f64 v[43:44], v[25:26], v[45:46]
	v_add_f64 v[71:72], v[71:72], 0
	v_add_f64 v[5:6], v[5:6], 0
	v_mul_f64 v[45:46], v[27:28], v[45:46]
	s_waitcnt vmcnt(20)
	v_fma_f64 v[41:42], v[33:34], v[51:52], -v[41:42]
	v_fma_f64 v[39:40], v[35:36], v[51:52], v[39:40]
	ds_read_b128 v[33:36], v4 offset:240
	s_waitcnt vmcnt(17)
	v_fma_f64 v[43:44], v[27:28], v[53:54], v[43:44]
	v_add_f64 v[71:72], v[71:72], v[73:74]
	v_add_f64 v[5:6], v[5:6], v[37:38]
	s_waitcnt lgkmcnt(1)
	v_mul_f64 v[37:38], v[29:30], v[47:48]
	v_mul_f64 v[47:48], v[31:32], v[47:48]
	v_fma_f64 v[45:46], v[25:26], v[53:54], -v[45:46]
	s_waitcnt vmcnt(13) lgkmcnt(0)
	v_mul_f64 v[51:52], v[35:36], v[55:56]
	ds_read_b128 v[25:28], v4 offset:256
	v_add_f64 v[41:42], v[71:72], v[41:42]
	v_add_f64 v[5:6], v[5:6], v[39:40]
	v_mul_f64 v[39:40], v[33:34], v[55:56]
	s_waitcnt vmcnt(12)
	v_fma_f64 v[29:30], v[29:30], v[49:50], -v[47:48]
	v_fma_f64 v[31:32], v[31:32], v[49:50], v[37:38]
	s_waitcnt vmcnt(9)
	v_fma_f64 v[33:34], v[33:34], v[61:62], -v[51:52]
	v_add_f64 v[41:42], v[41:42], v[45:46]
	v_add_f64 v[37:38], v[5:6], v[43:44]
	s_waitcnt lgkmcnt(0)
	v_mul_f64 v[45:46], v[27:28], v[57:58]
	ds_read_b128 v[3:6], v4 offset:272
	v_mul_f64 v[43:44], v[25:26], v[57:58]
	v_fma_f64 v[35:36], v[35:36], v[61:62], v[39:40]
	v_add_f64 v[29:30], v[41:42], v[29:30]
	v_add_f64 v[31:32], v[37:38], v[31:32]
	s_waitcnt vmcnt(7) lgkmcnt(0)
	v_mul_f64 v[39:40], v[5:6], v[63:64]
	s_waitcnt vmcnt(6)
	v_fma_f64 v[25:26], v[25:26], v[59:60], -v[45:46]
	v_mul_f64 v[37:38], v[3:4], v[63:64]
	v_fma_f64 v[27:28], v[27:28], v[59:60], v[43:44]
	v_add_f64 v[29:30], v[29:30], v[33:34]
	v_add_f64 v[31:32], v[31:32], v[35:36]
	s_waitcnt vmcnt(4)
	v_fma_f64 v[3:4], v[3:4], v[65:66], -v[39:40]
	v_fma_f64 v[5:6], v[5:6], v[65:66], v[37:38]
	v_add_f64 v[25:26], v[29:30], v[25:26]
	v_add_f64 v[27:28], v[31:32], v[27:28]
	;; [unrolled: 1-line block ×4, first 2 shown]
	s_waitcnt vmcnt(2)
	v_add_f64 v[3:4], v[67:68], -v[3:4]
	s_waitcnt vmcnt(0)
	v_add_f64 v[5:6], v[69:70], -v[5:6]
	buffer_store_dword v4, off, s[0:3], 0 offset:4
	buffer_store_dword v3, off, s[0:3], 0
	buffer_store_dword v6, off, s[0:3], 0 offset:12
	buffer_store_dword v5, off, s[0:3], 0 offset:8
	s_cbranch_vccz .LBB72_84
; %bb.68:
	v_mov_b32_e32 v3, 0
	s_load_dwordx2 s[4:5], s[4:5], 0x4
	global_load_dword v4, v3, s[10:11] offset:28
	s_waitcnt lgkmcnt(0)
	s_lshr_b32 s4, s4, 16
	v_mul_u32_u24_e32 v5, s5, v1
	s_mul_i32 s4, s4, s5
	v_mul_u32_u24_e32 v0, s4, v0
	v_add3_u32 v0, v0, v5, v2
	v_lshl_add_u32 v0, v0, 4, 0x128
	s_waitcnt vmcnt(0)
	v_add_nc_u32_e32 v1, -1, v4
	v_cmp_ne_u32_e32 vcc_lo, 7, v1
	s_cbranch_vccz .LBB72_70
; %bb.69:
	v_lshlrev_b32_e32 v1, 4, v1
	v_mov_b32_e32 v6, s13
	v_mov_b32_e32 v25, v1
	s_clause 0x7
	buffer_load_dword v1, v6, s[0:3], 0 offen
	buffer_load_dword v2, v6, s[0:3], 0 offen offset:4
	buffer_load_dword v4, v6, s[0:3], 0 offen offset:8
	buffer_load_dword v5, v6, s[0:3], 0 offen offset:12
	buffer_load_dword v26, v25, s[0:3], 0 offen
	buffer_load_dword v27, v25, s[0:3], 0 offen offset:4
	buffer_load_dword v28, v25, s[0:3], 0 offen offset:8
	buffer_load_dword v29, v25, s[0:3], 0 offen offset:12
	s_waitcnt vmcnt(4)
	ds_write2_b64 v0, v[1:2], v[4:5] offset1:1
	s_waitcnt vmcnt(3)
	buffer_store_dword v26, v6, s[0:3], 0 offen
	s_waitcnt vmcnt(2)
	buffer_store_dword v27, v6, s[0:3], 0 offen offset:4
	s_waitcnt vmcnt(1)
	buffer_store_dword v28, v6, s[0:3], 0 offen offset:8
	;; [unrolled: 2-line block ×3, first 2 shown]
	buffer_store_dword v5, v25, s[0:3], 0 offen offset:12
	buffer_store_dword v4, v25, s[0:3], 0 offen offset:8
	;; [unrolled: 1-line block ×3, first 2 shown]
	buffer_store_dword v1, v25, s[0:3], 0 offen
.LBB72_70:
	global_load_dword v1, v3, s[10:11] offset:24
	s_waitcnt vmcnt(0)
	v_add_nc_u32_e32 v1, -1, v1
	v_cmp_eq_u32_e32 vcc_lo, 6, v1
	s_cbranch_vccnz .LBB72_72
; %bb.71:
	v_lshlrev_b32_e32 v1, 4, v1
	v_mov_b32_e32 v5, s16
	v_mov_b32_e32 v6, v1
	s_clause 0x7
	buffer_load_dword v1, v5, s[0:3], 0 offen
	buffer_load_dword v2, v5, s[0:3], 0 offen offset:4
	buffer_load_dword v3, v5, s[0:3], 0 offen offset:8
	;; [unrolled: 1-line block ×3, first 2 shown]
	buffer_load_dword v25, v6, s[0:3], 0 offen
	buffer_load_dword v26, v6, s[0:3], 0 offen offset:4
	buffer_load_dword v27, v6, s[0:3], 0 offen offset:8
	;; [unrolled: 1-line block ×3, first 2 shown]
	s_waitcnt vmcnt(4)
	ds_write2_b64 v0, v[1:2], v[3:4] offset1:1
	s_waitcnt vmcnt(3)
	buffer_store_dword v25, v5, s[0:3], 0 offen
	s_waitcnt vmcnt(2)
	buffer_store_dword v26, v5, s[0:3], 0 offen offset:4
	s_waitcnt vmcnt(1)
	buffer_store_dword v27, v5, s[0:3], 0 offen offset:8
	;; [unrolled: 2-line block ×3, first 2 shown]
	buffer_store_dword v4, v6, s[0:3], 0 offen offset:12
	buffer_store_dword v3, v6, s[0:3], 0 offen offset:8
	;; [unrolled: 1-line block ×3, first 2 shown]
	buffer_store_dword v1, v6, s[0:3], 0 offen
.LBB72_72:
	v_mov_b32_e32 v1, 0
	global_load_dword v2, v1, s[10:11] offset:20
	s_waitcnt vmcnt(0)
	v_add_nc_u32_e32 v2, -1, v2
	v_cmp_eq_u32_e32 vcc_lo, 5, v2
	s_cbranch_vccnz .LBB72_74
; %bb.73:
	v_lshlrev_b32_e32 v2, 4, v2
	v_mov_b32_e32 v6, s17
	v_mov_b32_e32 v25, v2
	s_clause 0x7
	buffer_load_dword v2, v6, s[0:3], 0 offen
	buffer_load_dword v3, v6, s[0:3], 0 offen offset:4
	buffer_load_dword v4, v6, s[0:3], 0 offen offset:8
	;; [unrolled: 1-line block ×3, first 2 shown]
	buffer_load_dword v26, v25, s[0:3], 0 offen
	buffer_load_dword v27, v25, s[0:3], 0 offen offset:4
	buffer_load_dword v28, v25, s[0:3], 0 offen offset:8
	;; [unrolled: 1-line block ×3, first 2 shown]
	s_waitcnt vmcnt(4)
	ds_write2_b64 v0, v[2:3], v[4:5] offset1:1
	s_waitcnt vmcnt(3)
	buffer_store_dword v26, v6, s[0:3], 0 offen
	s_waitcnt vmcnt(2)
	buffer_store_dword v27, v6, s[0:3], 0 offen offset:4
	s_waitcnt vmcnt(1)
	buffer_store_dword v28, v6, s[0:3], 0 offen offset:8
	;; [unrolled: 2-line block ×3, first 2 shown]
	buffer_store_dword v5, v25, s[0:3], 0 offen offset:12
	buffer_store_dword v4, v25, s[0:3], 0 offen offset:8
	;; [unrolled: 1-line block ×3, first 2 shown]
	buffer_store_dword v2, v25, s[0:3], 0 offen
.LBB72_74:
	global_load_dword v1, v1, s[10:11] offset:16
	s_waitcnt vmcnt(0)
	v_add_nc_u32_e32 v1, -1, v1
	v_cmp_eq_u32_e32 vcc_lo, 4, v1
	s_cbranch_vccnz .LBB72_76
; %bb.75:
	v_lshlrev_b32_e32 v1, 4, v1
	v_mov_b32_e32 v5, s18
	v_mov_b32_e32 v6, v1
	s_clause 0x7
	buffer_load_dword v1, v5, s[0:3], 0 offen
	buffer_load_dword v2, v5, s[0:3], 0 offen offset:4
	buffer_load_dword v3, v5, s[0:3], 0 offen offset:8
	;; [unrolled: 1-line block ×3, first 2 shown]
	buffer_load_dword v25, v6, s[0:3], 0 offen
	buffer_load_dword v26, v6, s[0:3], 0 offen offset:4
	buffer_load_dword v27, v6, s[0:3], 0 offen offset:8
	;; [unrolled: 1-line block ×3, first 2 shown]
	s_waitcnt vmcnt(4)
	ds_write2_b64 v0, v[1:2], v[3:4] offset1:1
	s_waitcnt vmcnt(3)
	buffer_store_dword v25, v5, s[0:3], 0 offen
	s_waitcnt vmcnt(2)
	buffer_store_dword v26, v5, s[0:3], 0 offen offset:4
	s_waitcnt vmcnt(1)
	buffer_store_dword v27, v5, s[0:3], 0 offen offset:8
	;; [unrolled: 2-line block ×3, first 2 shown]
	buffer_store_dword v4, v6, s[0:3], 0 offen offset:12
	buffer_store_dword v3, v6, s[0:3], 0 offen offset:8
	;; [unrolled: 1-line block ×3, first 2 shown]
	buffer_store_dword v1, v6, s[0:3], 0 offen
.LBB72_76:
	v_mov_b32_e32 v1, 0
	global_load_dword v2, v1, s[10:11] offset:12
	s_waitcnt vmcnt(0)
	v_add_nc_u32_e32 v2, -1, v2
	v_cmp_eq_u32_e32 vcc_lo, 3, v2
	s_cbranch_vccnz .LBB72_78
; %bb.77:
	v_lshlrev_b32_e32 v2, 4, v2
	v_mov_b32_e32 v6, s19
	v_mov_b32_e32 v25, v2
	s_clause 0x7
	buffer_load_dword v2, v6, s[0:3], 0 offen
	buffer_load_dword v3, v6, s[0:3], 0 offen offset:4
	buffer_load_dword v4, v6, s[0:3], 0 offen offset:8
	;; [unrolled: 1-line block ×3, first 2 shown]
	buffer_load_dword v26, v25, s[0:3], 0 offen
	buffer_load_dword v27, v25, s[0:3], 0 offen offset:4
	buffer_load_dword v28, v25, s[0:3], 0 offen offset:8
	;; [unrolled: 1-line block ×3, first 2 shown]
	s_waitcnt vmcnt(4)
	ds_write2_b64 v0, v[2:3], v[4:5] offset1:1
	s_waitcnt vmcnt(3)
	buffer_store_dword v26, v6, s[0:3], 0 offen
	s_waitcnt vmcnt(2)
	buffer_store_dword v27, v6, s[0:3], 0 offen offset:4
	s_waitcnt vmcnt(1)
	buffer_store_dword v28, v6, s[0:3], 0 offen offset:8
	;; [unrolled: 2-line block ×3, first 2 shown]
	buffer_store_dword v5, v25, s[0:3], 0 offen offset:12
	buffer_store_dword v4, v25, s[0:3], 0 offen offset:8
	;; [unrolled: 1-line block ×3, first 2 shown]
	buffer_store_dword v2, v25, s[0:3], 0 offen
.LBB72_78:
	global_load_dword v1, v1, s[10:11] offset:8
	s_waitcnt vmcnt(0)
	v_add_nc_u32_e32 v1, -1, v1
	v_cmp_eq_u32_e32 vcc_lo, 2, v1
	s_cbranch_vccnz .LBB72_80
; %bb.79:
	v_lshlrev_b32_e32 v1, 4, v1
	v_mov_b32_e32 v5, s20
	v_mov_b32_e32 v6, v1
	s_clause 0x7
	buffer_load_dword v1, v5, s[0:3], 0 offen
	buffer_load_dword v2, v5, s[0:3], 0 offen offset:4
	buffer_load_dword v3, v5, s[0:3], 0 offen offset:8
	;; [unrolled: 1-line block ×3, first 2 shown]
	buffer_load_dword v25, v6, s[0:3], 0 offen
	buffer_load_dword v26, v6, s[0:3], 0 offen offset:4
	buffer_load_dword v27, v6, s[0:3], 0 offen offset:8
	buffer_load_dword v28, v6, s[0:3], 0 offen offset:12
	s_waitcnt vmcnt(4)
	ds_write2_b64 v0, v[1:2], v[3:4] offset1:1
	s_waitcnt vmcnt(3)
	buffer_store_dword v25, v5, s[0:3], 0 offen
	s_waitcnt vmcnt(2)
	buffer_store_dword v26, v5, s[0:3], 0 offen offset:4
	s_waitcnt vmcnt(1)
	buffer_store_dword v27, v5, s[0:3], 0 offen offset:8
	s_waitcnt vmcnt(0)
	buffer_store_dword v28, v5, s[0:3], 0 offen offset:12
	buffer_store_dword v4, v6, s[0:3], 0 offen offset:12
	buffer_store_dword v3, v6, s[0:3], 0 offen offset:8
	;; [unrolled: 1-line block ×3, first 2 shown]
	buffer_store_dword v1, v6, s[0:3], 0 offen
.LBB72_80:
	v_mov_b32_e32 v1, 0
	global_load_dword v2, v1, s[10:11] offset:4
	s_waitcnt vmcnt(0)
	v_add_nc_u32_e32 v2, -1, v2
	v_cmp_eq_u32_e32 vcc_lo, 1, v2
	s_cbranch_vccnz .LBB72_82
; %bb.81:
	v_lshlrev_b32_e32 v2, 4, v2
	v_mov_b32_e32 v6, s21
	v_mov_b32_e32 v25, v2
	s_clause 0x7
	buffer_load_dword v2, v6, s[0:3], 0 offen
	buffer_load_dword v3, v6, s[0:3], 0 offen offset:4
	buffer_load_dword v4, v6, s[0:3], 0 offen offset:8
	;; [unrolled: 1-line block ×3, first 2 shown]
	buffer_load_dword v26, v25, s[0:3], 0 offen
	buffer_load_dword v27, v25, s[0:3], 0 offen offset:4
	buffer_load_dword v28, v25, s[0:3], 0 offen offset:8
	;; [unrolled: 1-line block ×3, first 2 shown]
	s_waitcnt vmcnt(4)
	ds_write2_b64 v0, v[2:3], v[4:5] offset1:1
	s_waitcnt vmcnt(3)
	buffer_store_dword v26, v6, s[0:3], 0 offen
	s_waitcnt vmcnt(2)
	buffer_store_dword v27, v6, s[0:3], 0 offen offset:4
	s_waitcnt vmcnt(1)
	buffer_store_dword v28, v6, s[0:3], 0 offen offset:8
	;; [unrolled: 2-line block ×3, first 2 shown]
	buffer_store_dword v5, v25, s[0:3], 0 offen offset:12
	buffer_store_dword v4, v25, s[0:3], 0 offen offset:8
	;; [unrolled: 1-line block ×3, first 2 shown]
	buffer_store_dword v2, v25, s[0:3], 0 offen
.LBB72_82:
	global_load_dword v1, v1, s[10:11]
	s_waitcnt vmcnt(0)
	v_add_nc_u32_e32 v1, -1, v1
	v_cmp_eq_u32_e32 vcc_lo, 0, v1
	s_cbranch_vccnz .LBB72_84
; %bb.83:
	v_lshlrev_b32_e32 v1, 4, v1
	v_mov_b32_e32 v5, v1
	s_clause 0x7
	buffer_load_dword v1, off, s[0:3], 0
	buffer_load_dword v2, off, s[0:3], 0 offset:4
	buffer_load_dword v3, off, s[0:3], 0 offset:8
	;; [unrolled: 1-line block ×3, first 2 shown]
	buffer_load_dword v6, v5, s[0:3], 0 offen
	buffer_load_dword v25, v5, s[0:3], 0 offen offset:4
	buffer_load_dword v26, v5, s[0:3], 0 offen offset:8
	;; [unrolled: 1-line block ×3, first 2 shown]
	s_waitcnt vmcnt(4)
	ds_write2_b64 v0, v[1:2], v[3:4] offset1:1
	s_waitcnt vmcnt(3)
	buffer_store_dword v6, off, s[0:3], 0
	s_waitcnt vmcnt(2)
	buffer_store_dword v25, off, s[0:3], 0 offset:4
	s_waitcnt vmcnt(1)
	buffer_store_dword v26, off, s[0:3], 0 offset:8
	;; [unrolled: 2-line block ×3, first 2 shown]
	buffer_store_dword v4, v5, s[0:3], 0 offen offset:12
	buffer_store_dword v3, v5, s[0:3], 0 offen offset:8
	;; [unrolled: 1-line block ×3, first 2 shown]
	buffer_store_dword v1, v5, s[0:3], 0 offen
.LBB72_84:
	s_clause 0x3
	buffer_load_dword v0, off, s[0:3], 0
	buffer_load_dword v1, off, s[0:3], 0 offset:4
	buffer_load_dword v2, off, s[0:3], 0 offset:8
	buffer_load_dword v3, off, s[0:3], 0 offset:12
	v_mov_b32_e32 v4, s21
	s_waitcnt vmcnt(0)
	flat_store_dwordx4 v[7:8], v[0:3]
	s_clause 0x3
	buffer_load_dword v0, v4, s[0:3], 0 offen
	buffer_load_dword v1, v4, s[0:3], 0 offen offset:4
	buffer_load_dword v2, v4, s[0:3], 0 offen offset:8
	buffer_load_dword v3, v4, s[0:3], 0 offen offset:12
	v_mov_b32_e32 v4, s20
	s_waitcnt vmcnt(0)
	flat_store_dwordx4 v[9:10], v[0:3]
	s_clause 0x3
	buffer_load_dword v0, v4, s[0:3], 0 offen
	buffer_load_dword v1, v4, s[0:3], 0 offen offset:4
	buffer_load_dword v2, v4, s[0:3], 0 offen offset:8
	buffer_load_dword v3, v4, s[0:3], 0 offen offset:12
	v_mov_b32_e32 v4, s19
	s_waitcnt vmcnt(0)
	flat_store_dwordx4 v[11:12], v[0:3]
	s_clause 0x3
	buffer_load_dword v0, v4, s[0:3], 0 offen
	buffer_load_dword v1, v4, s[0:3], 0 offen offset:4
	buffer_load_dword v2, v4, s[0:3], 0 offen offset:8
	buffer_load_dword v3, v4, s[0:3], 0 offen offset:12
	v_mov_b32_e32 v4, s18
	s_waitcnt vmcnt(0)
	flat_store_dwordx4 v[13:14], v[0:3]
	s_clause 0x3
	buffer_load_dword v0, v4, s[0:3], 0 offen
	buffer_load_dword v1, v4, s[0:3], 0 offen offset:4
	buffer_load_dword v2, v4, s[0:3], 0 offen offset:8
	buffer_load_dword v3, v4, s[0:3], 0 offen offset:12
	v_mov_b32_e32 v4, s17
	s_waitcnt vmcnt(0)
	flat_store_dwordx4 v[15:16], v[0:3]
	s_clause 0x3
	buffer_load_dword v0, v4, s[0:3], 0 offen
	buffer_load_dword v1, v4, s[0:3], 0 offen offset:4
	buffer_load_dword v2, v4, s[0:3], 0 offen offset:8
	buffer_load_dword v3, v4, s[0:3], 0 offen offset:12
	v_mov_b32_e32 v4, s16
	s_waitcnt vmcnt(0)
	flat_store_dwordx4 v[17:18], v[0:3]
	s_clause 0x3
	buffer_load_dword v0, v4, s[0:3], 0 offen
	buffer_load_dword v1, v4, s[0:3], 0 offen offset:4
	buffer_load_dword v2, v4, s[0:3], 0 offen offset:8
	buffer_load_dword v3, v4, s[0:3], 0 offen offset:12
	v_mov_b32_e32 v4, s13
	s_waitcnt vmcnt(0)
	flat_store_dwordx4 v[19:20], v[0:3]
	s_clause 0x3
	buffer_load_dword v0, v4, s[0:3], 0 offen
	buffer_load_dword v1, v4, s[0:3], 0 offen offset:4
	buffer_load_dword v2, v4, s[0:3], 0 offen offset:8
	buffer_load_dword v3, v4, s[0:3], 0 offen offset:12
	v_mov_b32_e32 v4, s12
	s_waitcnt vmcnt(0)
	flat_store_dwordx4 v[21:22], v[0:3]
	s_clause 0x3
	buffer_load_dword v0, v4, s[0:3], 0 offen
	buffer_load_dword v1, v4, s[0:3], 0 offen offset:4
	buffer_load_dword v2, v4, s[0:3], 0 offen offset:8
	buffer_load_dword v3, v4, s[0:3], 0 offen offset:12
	s_waitcnt vmcnt(0)
	flat_store_dwordx4 v[23:24], v[0:3]
	s_endpgm
	.section	.rodata,"a",@progbits
	.p2align	6, 0x0
	.amdhsa_kernel _ZN9rocsolver6v33100L18getri_kernel_smallILi9E19rocblas_complex_numIdEPKPS3_EEvT1_iilPiilS8_bb
		.amdhsa_group_segment_fixed_size 1320
		.amdhsa_private_segment_fixed_size 160
		.amdhsa_kernarg_size 60
		.amdhsa_user_sgpr_count 8
		.amdhsa_user_sgpr_private_segment_buffer 1
		.amdhsa_user_sgpr_dispatch_ptr 1
		.amdhsa_user_sgpr_queue_ptr 0
		.amdhsa_user_sgpr_kernarg_segment_ptr 1
		.amdhsa_user_sgpr_dispatch_id 0
		.amdhsa_user_sgpr_flat_scratch_init 0
		.amdhsa_user_sgpr_private_segment_size 0
		.amdhsa_wavefront_size32 1
		.amdhsa_uses_dynamic_stack 0
		.amdhsa_system_sgpr_private_segment_wavefront_offset 1
		.amdhsa_system_sgpr_workgroup_id_x 1
		.amdhsa_system_sgpr_workgroup_id_y 0
		.amdhsa_system_sgpr_workgroup_id_z 0
		.amdhsa_system_sgpr_workgroup_info 0
		.amdhsa_system_vgpr_workitem_id 2
		.amdhsa_next_free_vgpr 75
		.amdhsa_next_free_sgpr 26
		.amdhsa_reserve_vcc 1
		.amdhsa_reserve_flat_scratch 0
		.amdhsa_float_round_mode_32 0
		.amdhsa_float_round_mode_16_64 0
		.amdhsa_float_denorm_mode_32 3
		.amdhsa_float_denorm_mode_16_64 3
		.amdhsa_dx10_clamp 1
		.amdhsa_ieee_mode 1
		.amdhsa_fp16_overflow 0
		.amdhsa_workgroup_processor_mode 1
		.amdhsa_memory_ordered 1
		.amdhsa_forward_progress 1
		.amdhsa_shared_vgpr_count 0
		.amdhsa_exception_fp_ieee_invalid_op 0
		.amdhsa_exception_fp_denorm_src 0
		.amdhsa_exception_fp_ieee_div_zero 0
		.amdhsa_exception_fp_ieee_overflow 0
		.amdhsa_exception_fp_ieee_underflow 0
		.amdhsa_exception_fp_ieee_inexact 0
		.amdhsa_exception_int_div_zero 0
	.end_amdhsa_kernel
	.section	.text._ZN9rocsolver6v33100L18getri_kernel_smallILi9E19rocblas_complex_numIdEPKPS3_EEvT1_iilPiilS8_bb,"axG",@progbits,_ZN9rocsolver6v33100L18getri_kernel_smallILi9E19rocblas_complex_numIdEPKPS3_EEvT1_iilPiilS8_bb,comdat
.Lfunc_end72:
	.size	_ZN9rocsolver6v33100L18getri_kernel_smallILi9E19rocblas_complex_numIdEPKPS3_EEvT1_iilPiilS8_bb, .Lfunc_end72-_ZN9rocsolver6v33100L18getri_kernel_smallILi9E19rocblas_complex_numIdEPKPS3_EEvT1_iilPiilS8_bb
                                        ; -- End function
	.set _ZN9rocsolver6v33100L18getri_kernel_smallILi9E19rocblas_complex_numIdEPKPS3_EEvT1_iilPiilS8_bb.num_vgpr, 75
	.set _ZN9rocsolver6v33100L18getri_kernel_smallILi9E19rocblas_complex_numIdEPKPS3_EEvT1_iilPiilS8_bb.num_agpr, 0
	.set _ZN9rocsolver6v33100L18getri_kernel_smallILi9E19rocblas_complex_numIdEPKPS3_EEvT1_iilPiilS8_bb.numbered_sgpr, 26
	.set _ZN9rocsolver6v33100L18getri_kernel_smallILi9E19rocblas_complex_numIdEPKPS3_EEvT1_iilPiilS8_bb.num_named_barrier, 0
	.set _ZN9rocsolver6v33100L18getri_kernel_smallILi9E19rocblas_complex_numIdEPKPS3_EEvT1_iilPiilS8_bb.private_seg_size, 160
	.set _ZN9rocsolver6v33100L18getri_kernel_smallILi9E19rocblas_complex_numIdEPKPS3_EEvT1_iilPiilS8_bb.uses_vcc, 1
	.set _ZN9rocsolver6v33100L18getri_kernel_smallILi9E19rocblas_complex_numIdEPKPS3_EEvT1_iilPiilS8_bb.uses_flat_scratch, 0
	.set _ZN9rocsolver6v33100L18getri_kernel_smallILi9E19rocblas_complex_numIdEPKPS3_EEvT1_iilPiilS8_bb.has_dyn_sized_stack, 0
	.set _ZN9rocsolver6v33100L18getri_kernel_smallILi9E19rocblas_complex_numIdEPKPS3_EEvT1_iilPiilS8_bb.has_recursion, 0
	.set _ZN9rocsolver6v33100L18getri_kernel_smallILi9E19rocblas_complex_numIdEPKPS3_EEvT1_iilPiilS8_bb.has_indirect_call, 0
	.section	.AMDGPU.csdata,"",@progbits
; Kernel info:
; codeLenInByte = 12124
; TotalNumSgprs: 28
; NumVgprs: 75
; ScratchSize: 160
; MemoryBound: 0
; FloatMode: 240
; IeeeMode: 1
; LDSByteSize: 1320 bytes/workgroup (compile time only)
; SGPRBlocks: 0
; VGPRBlocks: 9
; NumSGPRsForWavesPerEU: 28
; NumVGPRsForWavesPerEU: 75
; Occupancy: 12
; WaveLimiterHint : 1
; COMPUTE_PGM_RSRC2:SCRATCH_EN: 1
; COMPUTE_PGM_RSRC2:USER_SGPR: 8
; COMPUTE_PGM_RSRC2:TRAP_HANDLER: 0
; COMPUTE_PGM_RSRC2:TGID_X_EN: 1
; COMPUTE_PGM_RSRC2:TGID_Y_EN: 0
; COMPUTE_PGM_RSRC2:TGID_Z_EN: 0
; COMPUTE_PGM_RSRC2:TIDIG_COMP_CNT: 2
	.section	.text._ZN9rocsolver6v33100L18getri_kernel_smallILi10E19rocblas_complex_numIdEPKPS3_EEvT1_iilPiilS8_bb,"axG",@progbits,_ZN9rocsolver6v33100L18getri_kernel_smallILi10E19rocblas_complex_numIdEPKPS3_EEvT1_iilPiilS8_bb,comdat
	.globl	_ZN9rocsolver6v33100L18getri_kernel_smallILi10E19rocblas_complex_numIdEPKPS3_EEvT1_iilPiilS8_bb ; -- Begin function _ZN9rocsolver6v33100L18getri_kernel_smallILi10E19rocblas_complex_numIdEPKPS3_EEvT1_iilPiilS8_bb
	.p2align	8
	.type	_ZN9rocsolver6v33100L18getri_kernel_smallILi10E19rocblas_complex_numIdEPKPS3_EEvT1_iilPiilS8_bb,@function
_ZN9rocsolver6v33100L18getri_kernel_smallILi10E19rocblas_complex_numIdEPKPS3_EEvT1_iilPiilS8_bb: ; @_ZN9rocsolver6v33100L18getri_kernel_smallILi10E19rocblas_complex_numIdEPKPS3_EEvT1_iilPiilS8_bb
; %bb.0:
	s_add_u32 s0, s0, s9
	s_addc_u32 s1, s1, 0
	s_mov_b32 s9, exec_lo
	v_cmpx_gt_u32_e32 10, v0
	s_cbranch_execz .LBB73_54
; %bb.1:
	s_clause 0x2
	s_load_dword s18, s[6:7], 0x38
	s_load_dwordx2 s[10:11], s[6:7], 0x0
	s_load_dwordx4 s[12:15], s[6:7], 0x28
	s_waitcnt lgkmcnt(0)
	s_bitcmp1_b32 s18, 8
	s_cselect_b32 s23, -1, 0
	s_ashr_i32 s9, s8, 31
	s_lshl_b64 s[16:17], s[8:9], 3
	s_add_u32 s10, s10, s16
	s_addc_u32 s11, s11, s17
	s_load_dwordx2 s[16:17], s[10:11], 0x0
	s_bfe_u32 s10, s18, 0x10008
	s_cmp_eq_u32 s10, 0
                                        ; implicit-def: $sgpr10_sgpr11
	s_cbranch_scc1 .LBB73_3
; %bb.2:
	s_clause 0x1
	s_load_dword s10, s[6:7], 0x20
	s_load_dwordx2 s[18:19], s[6:7], 0x18
	s_mul_i32 s11, s12, s9
	s_mul_hi_u32 s20, s12, s8
	s_mul_i32 s13, s13, s8
	s_add_i32 s11, s20, s11
	s_mul_i32 s12, s12, s8
	s_add_i32 s13, s11, s13
	s_lshl_b64 s[12:13], s[12:13], 2
	s_waitcnt lgkmcnt(0)
	s_ashr_i32 s11, s10, 31
	s_add_u32 s12, s18, s12
	s_addc_u32 s13, s19, s13
	s_lshl_b64 s[10:11], s[10:11], 2
	s_add_u32 s10, s12, s10
	s_addc_u32 s11, s13, s11
.LBB73_3:
	s_clause 0x1
	s_load_dwordx2 s[12:13], s[6:7], 0x8
	s_load_dword s6, s[6:7], 0x38
	v_lshlrev_b32_e32 v33, 4, v0
	s_movk_i32 s24, 0x80
	s_movk_i32 s25, 0x90
	s_mov_b32 s22, 16
	s_mov_b32 s21, 32
	;; [unrolled: 1-line block ×3, first 2 shown]
	s_waitcnt lgkmcnt(0)
	s_ashr_i32 s19, s12, 31
	s_mov_b32 s18, s12
	v_add3_u32 v13, s13, s13, v0
	s_lshl_b64 s[18:19], s[18:19], 4
	s_add_u32 s7, s16, s18
	s_addc_u32 s12, s17, s19
	v_add_co_u32 v7, s16, s7, v33
	v_add_co_ci_u32_e64 v8, null, s12, 0, s16
	s_mov_b32 s16, s13
	s_ashr_i32 s17, s13, 31
	v_ashrrev_i32_e32 v14, 31, v13
	flat_load_dwordx4 v[3:6], v[7:8]
	s_lshl_b64 s[16:17], s[16:17], 4
	v_add_nc_u32_e32 v15, s13, v13
	v_add_co_u32 v9, vcc_lo, v7, s16
	v_add_co_ci_u32_e64 v10, null, s17, v8, vcc_lo
	v_lshlrev_b64 v[11:12], 4, v[13:14]
	v_ashrrev_i32_e32 v16, 31, v15
	v_add_nc_u32_e32 v17, s13, v15
	s_movk_i32 s18, 0x50
	s_movk_i32 s17, 0x60
	;; [unrolled: 1-line block ×3, first 2 shown]
	v_add_co_u32 v11, vcc_lo, s7, v11
	v_add_co_ci_u32_e64 v12, null, s12, v12, vcc_lo
	v_lshlrev_b64 v[13:14], 4, v[15:16]
	v_ashrrev_i32_e32 v18, 31, v17
	v_add_nc_u32_e32 v19, s13, v17
	s_mov_b32 s19, 64
	s_bitcmp0_b32 s6, 0
	s_waitcnt vmcnt(0) lgkmcnt(0)
	buffer_store_dword v6, off, s[0:3], 0 offset:12
	buffer_store_dword v5, off, s[0:3], 0 offset:8
	;; [unrolled: 1-line block ×3, first 2 shown]
	buffer_store_dword v3, off, s[0:3], 0
	flat_load_dwordx4 v[3:6], v[9:10]
	v_add_co_u32 v13, vcc_lo, s7, v13
	v_add_co_ci_u32_e64 v14, null, s12, v14, vcc_lo
	v_lshlrev_b64 v[15:16], 4, v[17:18]
	v_ashrrev_i32_e32 v20, 31, v19
	v_add_nc_u32_e32 v21, s13, v19
	s_waitcnt vmcnt(0) lgkmcnt(0)
	buffer_store_dword v6, off, s[0:3], 0 offset:28
	buffer_store_dword v5, off, s[0:3], 0 offset:24
	buffer_store_dword v4, off, s[0:3], 0 offset:20
	buffer_store_dword v3, off, s[0:3], 0 offset:16
	flat_load_dwordx4 v[3:6], v[11:12]
	v_add_co_u32 v15, vcc_lo, s7, v15
	v_add_co_ci_u32_e64 v16, null, s12, v16, vcc_lo
	v_lshlrev_b64 v[17:18], 4, v[19:20]
	v_ashrrev_i32_e32 v22, 31, v21
	v_add_nc_u32_e32 v23, s13, v21
	s_waitcnt vmcnt(0) lgkmcnt(0)
	buffer_store_dword v6, off, s[0:3], 0 offset:44
	buffer_store_dword v5, off, s[0:3], 0 offset:40
	buffer_store_dword v4, off, s[0:3], 0 offset:36
	buffer_store_dword v3, off, s[0:3], 0 offset:32
	;; [unrolled: 11-line block ×3, first 2 shown]
	flat_load_dwordx4 v[3:6], v[15:16]
	v_add_co_u32 v19, vcc_lo, s7, v19
	v_add_co_ci_u32_e64 v20, null, s12, v20, vcc_lo
	v_lshlrev_b64 v[21:22], 4, v[23:24]
	v_ashrrev_i32_e32 v26, 31, v25
	s_waitcnt vmcnt(0) lgkmcnt(0)
	buffer_store_dword v6, off, s[0:3], 0 offset:76
	buffer_store_dword v5, off, s[0:3], 0 offset:72
	;; [unrolled: 1-line block ×4, first 2 shown]
	flat_load_dwordx4 v[3:6], v[17:18]
	v_add_co_u32 v21, vcc_lo, s7, v21
	v_add_co_ci_u32_e64 v22, null, s12, v22, vcc_lo
	v_lshlrev_b64 v[23:24], 4, v[25:26]
	v_add_nc_u32_e32 v25, s13, v25
	s_mov_b32 s13, s24
	s_waitcnt vmcnt(0) lgkmcnt(0)
	buffer_store_dword v6, off, s[0:3], 0 offset:92
	buffer_store_dword v5, off, s[0:3], 0 offset:88
	;; [unrolled: 1-line block ×4, first 2 shown]
	flat_load_dwordx4 v[3:6], v[19:20]
	v_add_co_u32 v23, vcc_lo, s7, v23
	v_add_co_ci_u32_e64 v24, null, s12, v24, vcc_lo
	v_ashrrev_i32_e32 v26, 31, v25
	s_waitcnt vmcnt(0) lgkmcnt(0)
	buffer_store_dword v6, off, s[0:3], 0 offset:108
	buffer_store_dword v5, off, s[0:3], 0 offset:104
	;; [unrolled: 1-line block ×4, first 2 shown]
	flat_load_dwordx4 v[3:6], v[21:22]
	v_lshlrev_b64 v[25:26], 4, v[25:26]
	s_waitcnt vmcnt(0) lgkmcnt(0)
	buffer_store_dword v6, off, s[0:3], 0 offset:124
	buffer_store_dword v5, off, s[0:3], 0 offset:120
	;; [unrolled: 1-line block ×4, first 2 shown]
	flat_load_dwordx4 v[3:6], v[23:24]
	v_add_co_u32 v25, vcc_lo, s7, v25
	v_add_co_ci_u32_e64 v26, null, s12, v26, vcc_lo
	s_mov_b32 s7, -1
	s_mov_b32 s12, s25
	s_waitcnt vmcnt(0) lgkmcnt(0)
	buffer_store_dword v6, off, s[0:3], 0 offset:140
	buffer_store_dword v5, off, s[0:3], 0 offset:136
	buffer_store_dword v4, off, s[0:3], 0 offset:132
	buffer_store_dword v3, off, s[0:3], 0 offset:128
	flat_load_dwordx4 v[3:6], v[25:26]
	s_waitcnt vmcnt(0) lgkmcnt(0)
	buffer_store_dword v6, off, s[0:3], 0 offset:156
	buffer_store_dword v5, off, s[0:3], 0 offset:152
	;; [unrolled: 1-line block ×4, first 2 shown]
	s_cbranch_scc1 .LBB73_52
; %bb.4:
	v_cmp_eq_u32_e64 s6, 0, v0
	s_and_saveexec_b32 s7, s6
; %bb.5:
	v_mov_b32_e32 v3, 0
	ds_write_b32 v3, v3 offset:320
; %bb.6:
	s_or_b32 exec_lo, exec_lo, s7
	v_lshl_add_u32 v34, v0, 4, 0
	s_waitcnt lgkmcnt(0)
	s_waitcnt_vscnt null, 0x0
	s_barrier
	buffer_gl0_inv
	s_clause 0x3
	buffer_load_dword v3, v34, s[0:3], 0 offen
	buffer_load_dword v4, v34, s[0:3], 0 offen offset:4
	buffer_load_dword v5, v34, s[0:3], 0 offen offset:8
	;; [unrolled: 1-line block ×3, first 2 shown]
	s_waitcnt vmcnt(2)
	v_cmp_eq_f64_e32 vcc_lo, 0, v[3:4]
	s_waitcnt vmcnt(0)
	v_cmp_eq_f64_e64 s7, 0, v[5:6]
	s_and_b32 s7, vcc_lo, s7
	s_and_saveexec_b32 s24, s7
	s_cbranch_execz .LBB73_10
; %bb.7:
	v_mov_b32_e32 v3, 0
	s_mov_b32 s25, 0
	ds_read_b32 v4, v3 offset:320
	s_waitcnt lgkmcnt(0)
	v_readfirstlane_b32 s7, v4
	v_add_nc_u32_e32 v4, 1, v0
	s_cmp_eq_u32 s7, 0
	v_cmp_gt_i32_e32 vcc_lo, s7, v4
	s_cselect_b32 s26, -1, 0
	s_or_b32 s26, s26, vcc_lo
	s_and_b32 exec_lo, exec_lo, s26
	s_cbranch_execz .LBB73_10
; %bb.8:
	v_mov_b32_e32 v5, s7
.LBB73_9:                               ; =>This Inner Loop Header: Depth=1
	ds_cmpst_rtn_b32 v5, v3, v5, v4 offset:320
	s_waitcnt lgkmcnt(0)
	v_cmp_ne_u32_e32 vcc_lo, 0, v5
	v_cmp_le_i32_e64 s7, v5, v4
	s_and_b32 s7, vcc_lo, s7
	s_and_b32 s7, exec_lo, s7
	s_or_b32 s25, s7, s25
	s_andn2_b32 exec_lo, exec_lo, s25
	s_cbranch_execnz .LBB73_9
.LBB73_10:
	s_or_b32 exec_lo, exec_lo, s24
	v_mov_b32_e32 v3, 0
	s_barrier
	buffer_gl0_inv
	ds_read_b32 v4, v3 offset:320
	s_and_saveexec_b32 s7, s6
	s_cbranch_execz .LBB73_12
; %bb.11:
	s_lshl_b64 s[24:25], s[8:9], 2
	s_add_u32 s24, s14, s24
	s_addc_u32 s25, s15, s25
	s_waitcnt lgkmcnt(0)
	global_store_dword v3, v4, s[24:25]
.LBB73_12:
	s_or_b32 exec_lo, exec_lo, s7
	s_waitcnt lgkmcnt(0)
	v_cmp_ne_u32_e32 vcc_lo, 0, v4
	s_mov_b32 s7, 0
	s_cbranch_vccnz .LBB73_52
; %bb.13:
	s_clause 0x3
	buffer_load_dword v29, v34, s[0:3], 0 offen
	buffer_load_dword v30, v34, s[0:3], 0 offen offset:4
	buffer_load_dword v31, v34, s[0:3], 0 offen offset:8
	buffer_load_dword v32, v34, s[0:3], 0 offen offset:12
                                        ; implicit-def: $vgpr27_vgpr28
                                        ; implicit-def: $vgpr5_vgpr6
	s_waitcnt vmcnt(0)
	v_cmp_ngt_f64_e64 s7, |v[29:30]|, |v[31:32]|
	s_and_saveexec_b32 s24, s7
	s_xor_b32 s7, exec_lo, s24
	s_cbranch_execz .LBB73_15
; %bb.14:
	v_div_scale_f64 v[3:4], null, v[31:32], v[31:32], v[29:30]
	v_div_scale_f64 v[35:36], vcc_lo, v[29:30], v[31:32], v[29:30]
	v_rcp_f64_e32 v[5:6], v[3:4]
	v_fma_f64 v[27:28], -v[3:4], v[5:6], 1.0
	v_fma_f64 v[5:6], v[5:6], v[27:28], v[5:6]
	v_fma_f64 v[27:28], -v[3:4], v[5:6], 1.0
	v_fma_f64 v[5:6], v[5:6], v[27:28], v[5:6]
	v_mul_f64 v[27:28], v[35:36], v[5:6]
	v_fma_f64 v[3:4], -v[3:4], v[27:28], v[35:36]
	v_div_fmas_f64 v[3:4], v[3:4], v[5:6], v[27:28]
	v_div_fixup_f64 v[3:4], v[3:4], v[31:32], v[29:30]
	v_fma_f64 v[5:6], v[29:30], v[3:4], v[31:32]
	v_div_scale_f64 v[27:28], null, v[5:6], v[5:6], 1.0
	v_div_scale_f64 v[35:36], vcc_lo, 1.0, v[5:6], 1.0
	v_rcp_f64_e32 v[29:30], v[27:28]
	v_fma_f64 v[31:32], -v[27:28], v[29:30], 1.0
	v_fma_f64 v[29:30], v[29:30], v[31:32], v[29:30]
	v_fma_f64 v[31:32], -v[27:28], v[29:30], 1.0
	v_fma_f64 v[29:30], v[29:30], v[31:32], v[29:30]
	v_mul_f64 v[31:32], v[35:36], v[29:30]
	v_fma_f64 v[27:28], -v[27:28], v[31:32], v[35:36]
	v_div_fmas_f64 v[27:28], v[27:28], v[29:30], v[31:32]
                                        ; implicit-def: $vgpr29_vgpr30
                                        ; implicit-def: $vgpr31_vgpr32
	v_div_fixup_f64 v[5:6], v[27:28], v[5:6], 1.0
	v_mul_f64 v[27:28], v[3:4], v[5:6]
	v_xor_b32_e32 v6, 0x80000000, v6
	v_xor_b32_e32 v4, 0x80000000, v28
	v_mov_b32_e32 v3, v27
.LBB73_15:
	s_andn2_saveexec_b32 s7, s7
	s_cbranch_execz .LBB73_17
; %bb.16:
	v_div_scale_f64 v[3:4], null, v[29:30], v[29:30], v[31:32]
	v_div_scale_f64 v[35:36], vcc_lo, v[31:32], v[29:30], v[31:32]
	v_rcp_f64_e32 v[5:6], v[3:4]
	v_fma_f64 v[27:28], -v[3:4], v[5:6], 1.0
	v_fma_f64 v[5:6], v[5:6], v[27:28], v[5:6]
	v_fma_f64 v[27:28], -v[3:4], v[5:6], 1.0
	v_fma_f64 v[5:6], v[5:6], v[27:28], v[5:6]
	v_mul_f64 v[27:28], v[35:36], v[5:6]
	v_fma_f64 v[3:4], -v[3:4], v[27:28], v[35:36]
	v_div_fmas_f64 v[3:4], v[3:4], v[5:6], v[27:28]
	v_div_fixup_f64 v[3:4], v[3:4], v[29:30], v[31:32]
	v_fma_f64 v[5:6], v[31:32], v[3:4], v[29:30]
	v_div_scale_f64 v[27:28], null, v[5:6], v[5:6], 1.0
	v_rcp_f64_e32 v[29:30], v[27:28]
	v_fma_f64 v[31:32], -v[27:28], v[29:30], 1.0
	v_fma_f64 v[29:30], v[29:30], v[31:32], v[29:30]
	v_fma_f64 v[31:32], -v[27:28], v[29:30], 1.0
	v_fma_f64 v[29:30], v[29:30], v[31:32], v[29:30]
	v_div_scale_f64 v[31:32], vcc_lo, 1.0, v[5:6], 1.0
	v_mul_f64 v[35:36], v[31:32], v[29:30]
	v_fma_f64 v[27:28], -v[27:28], v[35:36], v[31:32]
	v_div_fmas_f64 v[27:28], v[27:28], v[29:30], v[35:36]
	v_div_fixup_f64 v[27:28], v[27:28], v[5:6], 1.0
	v_mul_f64 v[5:6], v[3:4], -v[27:28]
	v_xor_b32_e32 v4, 0x80000000, v28
	v_mov_b32_e32 v3, v27
.LBB73_17:
	s_or_b32 exec_lo, exec_lo, s7
	v_mov_b32_e32 v32, s22
	buffer_store_dword v28, v34, s[0:3], 0 offen offset:4
	buffer_store_dword v27, v34, s[0:3], 0 offen
	buffer_store_dword v6, v34, s[0:3], 0 offen offset:12
	buffer_store_dword v5, v34, s[0:3], 0 offen offset:8
	v_xor_b32_e32 v6, 0x80000000, v6
	v_add_nc_u32_e32 v27, 0xa0, v33
	s_clause 0x3
	buffer_load_dword v31, v32, s[0:3], 0 offen offset:12
	buffer_load_dword v30, v32, s[0:3], 0 offen offset:8
	;; [unrolled: 1-line block ×3, first 2 shown]
	buffer_load_dword v28, v32, s[0:3], 0 offen
	ds_write_b128 v33, v[3:6]
	s_waitcnt vmcnt(0)
	ds_write_b128 v33, v[28:31] offset:160
	s_waitcnt lgkmcnt(0)
	s_waitcnt_vscnt null, 0x0
	s_barrier
	buffer_gl0_inv
	s_and_saveexec_b32 s7, s6
	s_cbranch_execz .LBB73_19
; %bb.18:
	s_clause 0x3
	buffer_load_dword v35, v34, s[0:3], 0 offen offset:8
	buffer_load_dword v36, v34, s[0:3], 0 offen offset:12
	buffer_load_dword v37, v34, s[0:3], 0 offen
	buffer_load_dword v38, v34, s[0:3], 0 offen offset:4
	ds_read_b128 v[3:6], v27
	v_mov_b32_e32 v28, 0
	ds_read_b128 v[28:31], v28 offset:16
	s_waitcnt vmcnt(2) lgkmcnt(1)
	v_mul_f64 v[39:40], v[3:4], v[35:36]
	v_mul_f64 v[35:36], v[5:6], v[35:36]
	s_waitcnt vmcnt(0)
	v_fma_f64 v[5:6], v[5:6], v[37:38], v[39:40]
	v_fma_f64 v[3:4], v[3:4], v[37:38], -v[35:36]
	v_add_f64 v[5:6], v[5:6], 0
	v_add_f64 v[3:4], v[3:4], 0
	s_waitcnt lgkmcnt(0)
	v_mul_f64 v[35:36], v[5:6], v[30:31]
	v_mul_f64 v[30:31], v[3:4], v[30:31]
	v_fma_f64 v[3:4], v[3:4], v[28:29], -v[35:36]
	v_fma_f64 v[5:6], v[5:6], v[28:29], v[30:31]
	buffer_store_dword v3, off, s[0:3], 0 offset:16
	buffer_store_dword v4, off, s[0:3], 0 offset:20
	;; [unrolled: 1-line block ×4, first 2 shown]
.LBB73_19:
	s_or_b32 exec_lo, exec_lo, s7
	v_mov_b32_e32 v6, s21
	s_waitcnt_vscnt null, 0x0
	s_barrier
	buffer_gl0_inv
	s_mov_b32 s7, exec_lo
	s_clause 0x3
	buffer_load_dword v3, v6, s[0:3], 0 offen
	buffer_load_dword v4, v6, s[0:3], 0 offen offset:4
	buffer_load_dword v5, v6, s[0:3], 0 offen offset:8
	buffer_load_dword v6, v6, s[0:3], 0 offen offset:12
	s_waitcnt vmcnt(0)
	ds_write_b128 v27, v[3:6]
	s_waitcnt lgkmcnt(0)
	s_barrier
	buffer_gl0_inv
	v_cmpx_gt_u32_e32 2, v0
	s_cbranch_execz .LBB73_23
; %bb.20:
	s_clause 0x3
	buffer_load_dword v28, v34, s[0:3], 0 offen offset:8
	buffer_load_dword v29, v34, s[0:3], 0 offen offset:12
	buffer_load_dword v30, v34, s[0:3], 0 offen
	buffer_load_dword v31, v34, s[0:3], 0 offen offset:4
	ds_read_b128 v[3:6], v27
	s_waitcnt vmcnt(2) lgkmcnt(0)
	v_mul_f64 v[34:35], v[5:6], v[28:29]
	v_mul_f64 v[28:29], v[3:4], v[28:29]
	s_waitcnt vmcnt(0)
	v_fma_f64 v[3:4], v[3:4], v[30:31], -v[34:35]
	v_fma_f64 v[5:6], v[5:6], v[30:31], v[28:29]
	v_add_f64 v[3:4], v[3:4], 0
	v_add_f64 v[5:6], v[5:6], 0
	s_and_saveexec_b32 s24, s6
	s_cbranch_execz .LBB73_22
; %bb.21:
	s_clause 0x3
	buffer_load_dword v34, off, s[0:3], 0 offset:24
	buffer_load_dword v35, off, s[0:3], 0 offset:28
	;; [unrolled: 1-line block ×4, first 2 shown]
	v_mov_b32_e32 v28, 0
	ds_read_b128 v[28:31], v28 offset:176
	s_waitcnt vmcnt(2) lgkmcnt(0)
	v_mul_f64 v[38:39], v[28:29], v[34:35]
	v_mul_f64 v[34:35], v[30:31], v[34:35]
	s_waitcnt vmcnt(0)
	v_fma_f64 v[30:31], v[30:31], v[36:37], v[38:39]
	v_fma_f64 v[28:29], v[28:29], v[36:37], -v[34:35]
	v_add_f64 v[5:6], v[5:6], v[30:31]
	v_add_f64 v[3:4], v[3:4], v[28:29]
.LBB73_22:
	s_or_b32 exec_lo, exec_lo, s24
	v_mov_b32_e32 v28, 0
	ds_read_b128 v[28:31], v28 offset:32
	s_waitcnt lgkmcnt(0)
	v_mul_f64 v[34:35], v[5:6], v[30:31]
	v_mul_f64 v[30:31], v[3:4], v[30:31]
	v_fma_f64 v[3:4], v[3:4], v[28:29], -v[34:35]
	v_fma_f64 v[5:6], v[5:6], v[28:29], v[30:31]
	buffer_store_dword v4, off, s[0:3], 0 offset:36
	buffer_store_dword v3, off, s[0:3], 0 offset:32
	;; [unrolled: 1-line block ×4, first 2 shown]
.LBB73_23:
	s_or_b32 exec_lo, exec_lo, s7
	v_mov_b32_e32 v6, s20
	s_waitcnt_vscnt null, 0x0
	s_barrier
	buffer_gl0_inv
	v_add_nc_u32_e32 v28, -1, v0
	s_clause 0x3
	buffer_load_dword v3, v6, s[0:3], 0 offen
	buffer_load_dword v4, v6, s[0:3], 0 offen offset:4
	buffer_load_dword v5, v6, s[0:3], 0 offen offset:8
	;; [unrolled: 1-line block ×3, first 2 shown]
	s_mov_b32 s6, exec_lo
	s_waitcnt vmcnt(0)
	ds_write_b128 v27, v[3:6]
	s_waitcnt lgkmcnt(0)
	s_barrier
	buffer_gl0_inv
	v_cmpx_gt_u32_e32 3, v0
	s_cbranch_execz .LBB73_27
; %bb.24:
	v_mov_b32_e32 v3, 0
	v_mov_b32_e32 v5, 0
	v_add_nc_u32_e32 v29, -1, v0
	v_add_nc_u32_e32 v30, 0xa0, v33
	v_mov_b32_e32 v4, 0
	v_mov_b32_e32 v6, 0
	;; [unrolled: 1-line block ×3, first 2 shown]
	s_mov_b32 s7, 0
	.p2align	6
.LBB73_25:                              ; =>This Inner Loop Header: Depth=1
	s_clause 0x3
	buffer_load_dword v38, v31, s[0:3], 0 offen offset:8
	buffer_load_dword v39, v31, s[0:3], 0 offen offset:12
	buffer_load_dword v40, v31, s[0:3], 0 offen
	buffer_load_dword v41, v31, s[0:3], 0 offen offset:4
	ds_read_b128 v[34:37], v30
	v_add_nc_u32_e32 v29, 1, v29
	v_add_nc_u32_e32 v30, 16, v30
	;; [unrolled: 1-line block ×3, first 2 shown]
	v_cmp_lt_u32_e32 vcc_lo, 1, v29
	s_or_b32 s7, vcc_lo, s7
	s_waitcnt vmcnt(2) lgkmcnt(0)
	v_mul_f64 v[42:43], v[36:37], v[38:39]
	v_mul_f64 v[38:39], v[34:35], v[38:39]
	s_waitcnt vmcnt(0)
	v_fma_f64 v[34:35], v[34:35], v[40:41], -v[42:43]
	v_fma_f64 v[36:37], v[36:37], v[40:41], v[38:39]
	v_add_f64 v[5:6], v[5:6], v[34:35]
	v_add_f64 v[3:4], v[3:4], v[36:37]
	s_andn2_b32 exec_lo, exec_lo, s7
	s_cbranch_execnz .LBB73_25
; %bb.26:
	s_or_b32 exec_lo, exec_lo, s7
	v_mov_b32_e32 v29, 0
	ds_read_b128 v[29:32], v29 offset:48
	s_waitcnt lgkmcnt(0)
	v_mul_f64 v[34:35], v[3:4], v[31:32]
	v_mul_f64 v[31:32], v[5:6], v[31:32]
	v_fma_f64 v[5:6], v[5:6], v[29:30], -v[34:35]
	v_fma_f64 v[3:4], v[3:4], v[29:30], v[31:32]
	buffer_store_dword v6, off, s[0:3], 0 offset:52
	buffer_store_dword v5, off, s[0:3], 0 offset:48
	;; [unrolled: 1-line block ×4, first 2 shown]
.LBB73_27:
	s_or_b32 exec_lo, exec_lo, s6
	v_mov_b32_e32 v6, s19
	s_waitcnt_vscnt null, 0x0
	s_barrier
	buffer_gl0_inv
	s_mov_b32 s6, exec_lo
	s_clause 0x3
	buffer_load_dword v3, v6, s[0:3], 0 offen
	buffer_load_dword v4, v6, s[0:3], 0 offen offset:4
	buffer_load_dword v5, v6, s[0:3], 0 offen offset:8
	;; [unrolled: 1-line block ×3, first 2 shown]
	s_waitcnt vmcnt(0)
	ds_write_b128 v27, v[3:6]
	s_waitcnt lgkmcnt(0)
	s_barrier
	buffer_gl0_inv
	v_cmpx_gt_u32_e32 4, v0
	s_cbranch_execz .LBB73_31
; %bb.28:
	v_mov_b32_e32 v3, 0
	v_mov_b32_e32 v5, 0
	v_add_nc_u32_e32 v29, -1, v0
	v_add_nc_u32_e32 v30, 0xa0, v33
	v_mov_b32_e32 v4, 0
	v_mov_b32_e32 v6, 0
	;; [unrolled: 1-line block ×3, first 2 shown]
	s_mov_b32 s7, 0
	.p2align	6
.LBB73_29:                              ; =>This Inner Loop Header: Depth=1
	s_clause 0x3
	buffer_load_dword v38, v31, s[0:3], 0 offen offset:8
	buffer_load_dword v39, v31, s[0:3], 0 offen offset:12
	buffer_load_dword v40, v31, s[0:3], 0 offen
	buffer_load_dword v41, v31, s[0:3], 0 offen offset:4
	ds_read_b128 v[34:37], v30
	v_add_nc_u32_e32 v29, 1, v29
	v_add_nc_u32_e32 v30, 16, v30
	v_add_nc_u32_e32 v31, 16, v31
	v_cmp_lt_u32_e32 vcc_lo, 2, v29
	s_or_b32 s7, vcc_lo, s7
	s_waitcnt vmcnt(2) lgkmcnt(0)
	v_mul_f64 v[42:43], v[36:37], v[38:39]
	v_mul_f64 v[38:39], v[34:35], v[38:39]
	s_waitcnt vmcnt(0)
	v_fma_f64 v[34:35], v[34:35], v[40:41], -v[42:43]
	v_fma_f64 v[36:37], v[36:37], v[40:41], v[38:39]
	v_add_f64 v[5:6], v[5:6], v[34:35]
	v_add_f64 v[3:4], v[3:4], v[36:37]
	s_andn2_b32 exec_lo, exec_lo, s7
	s_cbranch_execnz .LBB73_29
; %bb.30:
	s_or_b32 exec_lo, exec_lo, s7
	v_mov_b32_e32 v29, 0
	ds_read_b128 v[29:32], v29 offset:64
	s_waitcnt lgkmcnt(0)
	v_mul_f64 v[34:35], v[3:4], v[31:32]
	v_mul_f64 v[31:32], v[5:6], v[31:32]
	v_fma_f64 v[5:6], v[5:6], v[29:30], -v[34:35]
	v_fma_f64 v[3:4], v[3:4], v[29:30], v[31:32]
	buffer_store_dword v6, off, s[0:3], 0 offset:68
	buffer_store_dword v5, off, s[0:3], 0 offset:64
	buffer_store_dword v4, off, s[0:3], 0 offset:76
	buffer_store_dword v3, off, s[0:3], 0 offset:72
.LBB73_31:
	s_or_b32 exec_lo, exec_lo, s6
	v_mov_b32_e32 v6, s18
	s_waitcnt_vscnt null, 0x0
	s_barrier
	buffer_gl0_inv
	s_mov_b32 s6, exec_lo
	s_clause 0x3
	buffer_load_dword v3, v6, s[0:3], 0 offen
	buffer_load_dword v4, v6, s[0:3], 0 offen offset:4
	buffer_load_dword v5, v6, s[0:3], 0 offen offset:8
	;; [unrolled: 1-line block ×3, first 2 shown]
	s_waitcnt vmcnt(0)
	ds_write_b128 v27, v[3:6]
	s_waitcnt lgkmcnt(0)
	s_barrier
	buffer_gl0_inv
	v_cmpx_gt_u32_e32 5, v0
	s_cbranch_execz .LBB73_35
; %bb.32:
	v_mov_b32_e32 v3, 0
	v_mov_b32_e32 v5, 0
	v_add_nc_u32_e32 v29, -1, v0
	v_add_nc_u32_e32 v30, 0xa0, v33
	v_mov_b32_e32 v4, 0
	v_mov_b32_e32 v6, 0
	;; [unrolled: 1-line block ×3, first 2 shown]
	s_mov_b32 s7, 0
	.p2align	6
.LBB73_33:                              ; =>This Inner Loop Header: Depth=1
	s_clause 0x3
	buffer_load_dword v38, v31, s[0:3], 0 offen offset:8
	buffer_load_dword v39, v31, s[0:3], 0 offen offset:12
	buffer_load_dword v40, v31, s[0:3], 0 offen
	buffer_load_dword v41, v31, s[0:3], 0 offen offset:4
	ds_read_b128 v[34:37], v30
	v_add_nc_u32_e32 v29, 1, v29
	v_add_nc_u32_e32 v30, 16, v30
	;; [unrolled: 1-line block ×3, first 2 shown]
	v_cmp_lt_u32_e32 vcc_lo, 3, v29
	s_or_b32 s7, vcc_lo, s7
	s_waitcnt vmcnt(2) lgkmcnt(0)
	v_mul_f64 v[42:43], v[36:37], v[38:39]
	v_mul_f64 v[38:39], v[34:35], v[38:39]
	s_waitcnt vmcnt(0)
	v_fma_f64 v[34:35], v[34:35], v[40:41], -v[42:43]
	v_fma_f64 v[36:37], v[36:37], v[40:41], v[38:39]
	v_add_f64 v[5:6], v[5:6], v[34:35]
	v_add_f64 v[3:4], v[3:4], v[36:37]
	s_andn2_b32 exec_lo, exec_lo, s7
	s_cbranch_execnz .LBB73_33
; %bb.34:
	s_or_b32 exec_lo, exec_lo, s7
	v_mov_b32_e32 v29, 0
	ds_read_b128 v[29:32], v29 offset:80
	s_waitcnt lgkmcnt(0)
	v_mul_f64 v[34:35], v[3:4], v[31:32]
	v_mul_f64 v[31:32], v[5:6], v[31:32]
	v_fma_f64 v[5:6], v[5:6], v[29:30], -v[34:35]
	v_fma_f64 v[3:4], v[3:4], v[29:30], v[31:32]
	buffer_store_dword v6, off, s[0:3], 0 offset:84
	buffer_store_dword v5, off, s[0:3], 0 offset:80
	;; [unrolled: 1-line block ×4, first 2 shown]
.LBB73_35:
	s_or_b32 exec_lo, exec_lo, s6
	v_mov_b32_e32 v6, s17
	s_waitcnt_vscnt null, 0x0
	s_barrier
	buffer_gl0_inv
	s_mov_b32 s6, exec_lo
	s_clause 0x3
	buffer_load_dword v3, v6, s[0:3], 0 offen
	buffer_load_dword v4, v6, s[0:3], 0 offen offset:4
	buffer_load_dword v5, v6, s[0:3], 0 offen offset:8
	buffer_load_dword v6, v6, s[0:3], 0 offen offset:12
	s_waitcnt vmcnt(0)
	ds_write_b128 v27, v[3:6]
	s_waitcnt lgkmcnt(0)
	s_barrier
	buffer_gl0_inv
	v_cmpx_gt_u32_e32 6, v0
	s_cbranch_execz .LBB73_39
; %bb.36:
	v_mov_b32_e32 v3, 0
	v_mov_b32_e32 v5, 0
	v_add_nc_u32_e32 v29, -1, v0
	v_add_nc_u32_e32 v30, 0xa0, v33
	v_mov_b32_e32 v4, 0
	v_mov_b32_e32 v6, 0
	;; [unrolled: 1-line block ×3, first 2 shown]
	s_mov_b32 s7, 0
	.p2align	6
.LBB73_37:                              ; =>This Inner Loop Header: Depth=1
	s_clause 0x3
	buffer_load_dword v38, v31, s[0:3], 0 offen offset:8
	buffer_load_dword v39, v31, s[0:3], 0 offen offset:12
	buffer_load_dword v40, v31, s[0:3], 0 offen
	buffer_load_dword v41, v31, s[0:3], 0 offen offset:4
	ds_read_b128 v[34:37], v30
	v_add_nc_u32_e32 v29, 1, v29
	v_add_nc_u32_e32 v30, 16, v30
	;; [unrolled: 1-line block ×3, first 2 shown]
	v_cmp_lt_u32_e32 vcc_lo, 4, v29
	s_or_b32 s7, vcc_lo, s7
	s_waitcnt vmcnt(2) lgkmcnt(0)
	v_mul_f64 v[42:43], v[36:37], v[38:39]
	v_mul_f64 v[38:39], v[34:35], v[38:39]
	s_waitcnt vmcnt(0)
	v_fma_f64 v[34:35], v[34:35], v[40:41], -v[42:43]
	v_fma_f64 v[36:37], v[36:37], v[40:41], v[38:39]
	v_add_f64 v[5:6], v[5:6], v[34:35]
	v_add_f64 v[3:4], v[3:4], v[36:37]
	s_andn2_b32 exec_lo, exec_lo, s7
	s_cbranch_execnz .LBB73_37
; %bb.38:
	s_or_b32 exec_lo, exec_lo, s7
	v_mov_b32_e32 v29, 0
	ds_read_b128 v[29:32], v29 offset:96
	s_waitcnt lgkmcnt(0)
	v_mul_f64 v[34:35], v[3:4], v[31:32]
	v_mul_f64 v[31:32], v[5:6], v[31:32]
	v_fma_f64 v[5:6], v[5:6], v[29:30], -v[34:35]
	v_fma_f64 v[3:4], v[3:4], v[29:30], v[31:32]
	buffer_store_dword v6, off, s[0:3], 0 offset:100
	buffer_store_dword v5, off, s[0:3], 0 offset:96
	;; [unrolled: 1-line block ×4, first 2 shown]
.LBB73_39:
	s_or_b32 exec_lo, exec_lo, s6
	v_mov_b32_e32 v6, s16
	s_waitcnt_vscnt null, 0x0
	s_barrier
	buffer_gl0_inv
	s_mov_b32 s6, exec_lo
	s_clause 0x3
	buffer_load_dword v3, v6, s[0:3], 0 offen
	buffer_load_dword v4, v6, s[0:3], 0 offen offset:4
	buffer_load_dword v5, v6, s[0:3], 0 offen offset:8
	;; [unrolled: 1-line block ×3, first 2 shown]
	s_waitcnt vmcnt(0)
	ds_write_b128 v27, v[3:6]
	s_waitcnt lgkmcnt(0)
	s_barrier
	buffer_gl0_inv
	v_cmpx_gt_u32_e32 7, v0
	s_cbranch_execz .LBB73_43
; %bb.40:
	v_mov_b32_e32 v3, 0
	v_mov_b32_e32 v5, 0
	v_add_nc_u32_e32 v29, -1, v0
	v_add_nc_u32_e32 v30, 0xa0, v33
	v_mov_b32_e32 v4, 0
	v_mov_b32_e32 v6, 0
	;; [unrolled: 1-line block ×3, first 2 shown]
	s_mov_b32 s7, 0
	.p2align	6
.LBB73_41:                              ; =>This Inner Loop Header: Depth=1
	s_clause 0x3
	buffer_load_dword v38, v31, s[0:3], 0 offen offset:8
	buffer_load_dword v39, v31, s[0:3], 0 offen offset:12
	buffer_load_dword v40, v31, s[0:3], 0 offen
	buffer_load_dword v41, v31, s[0:3], 0 offen offset:4
	ds_read_b128 v[34:37], v30
	v_add_nc_u32_e32 v29, 1, v29
	v_add_nc_u32_e32 v30, 16, v30
	;; [unrolled: 1-line block ×3, first 2 shown]
	v_cmp_lt_u32_e32 vcc_lo, 5, v29
	s_or_b32 s7, vcc_lo, s7
	s_waitcnt vmcnt(2) lgkmcnt(0)
	v_mul_f64 v[42:43], v[36:37], v[38:39]
	v_mul_f64 v[38:39], v[34:35], v[38:39]
	s_waitcnt vmcnt(0)
	v_fma_f64 v[34:35], v[34:35], v[40:41], -v[42:43]
	v_fma_f64 v[36:37], v[36:37], v[40:41], v[38:39]
	v_add_f64 v[5:6], v[5:6], v[34:35]
	v_add_f64 v[3:4], v[3:4], v[36:37]
	s_andn2_b32 exec_lo, exec_lo, s7
	s_cbranch_execnz .LBB73_41
; %bb.42:
	s_or_b32 exec_lo, exec_lo, s7
	v_mov_b32_e32 v29, 0
	ds_read_b128 v[29:32], v29 offset:112
	s_waitcnt lgkmcnt(0)
	v_mul_f64 v[34:35], v[3:4], v[31:32]
	v_mul_f64 v[31:32], v[5:6], v[31:32]
	v_fma_f64 v[5:6], v[5:6], v[29:30], -v[34:35]
	v_fma_f64 v[3:4], v[3:4], v[29:30], v[31:32]
	buffer_store_dword v6, off, s[0:3], 0 offset:116
	buffer_store_dword v5, off, s[0:3], 0 offset:112
	buffer_store_dword v4, off, s[0:3], 0 offset:124
	buffer_store_dword v3, off, s[0:3], 0 offset:120
.LBB73_43:
	s_or_b32 exec_lo, exec_lo, s6
	v_mov_b32_e32 v6, s13
	s_waitcnt_vscnt null, 0x0
	s_barrier
	buffer_gl0_inv
	s_mov_b32 s6, exec_lo
	s_clause 0x3
	buffer_load_dword v3, v6, s[0:3], 0 offen
	buffer_load_dword v4, v6, s[0:3], 0 offen offset:4
	buffer_load_dword v5, v6, s[0:3], 0 offen offset:8
	;; [unrolled: 1-line block ×3, first 2 shown]
	s_waitcnt vmcnt(0)
	ds_write_b128 v27, v[3:6]
	s_waitcnt lgkmcnt(0)
	s_barrier
	buffer_gl0_inv
	v_cmpx_gt_u32_e32 8, v0
	s_cbranch_execz .LBB73_47
; %bb.44:
	v_mov_b32_e32 v3, 0
	v_mov_b32_e32 v5, 0
	v_add_nc_u32_e32 v29, -1, v0
	v_add_nc_u32_e32 v30, 0xa0, v33
	v_mov_b32_e32 v4, 0
	v_mov_b32_e32 v6, 0
	;; [unrolled: 1-line block ×3, first 2 shown]
	s_mov_b32 s7, 0
	.p2align	6
.LBB73_45:                              ; =>This Inner Loop Header: Depth=1
	s_clause 0x3
	buffer_load_dword v38, v31, s[0:3], 0 offen offset:8
	buffer_load_dword v39, v31, s[0:3], 0 offen offset:12
	buffer_load_dword v40, v31, s[0:3], 0 offen
	buffer_load_dword v41, v31, s[0:3], 0 offen offset:4
	ds_read_b128 v[34:37], v30
	v_add_nc_u32_e32 v29, 1, v29
	v_add_nc_u32_e32 v30, 16, v30
	;; [unrolled: 1-line block ×3, first 2 shown]
	v_cmp_lt_u32_e32 vcc_lo, 6, v29
	s_or_b32 s7, vcc_lo, s7
	s_waitcnt vmcnt(2) lgkmcnt(0)
	v_mul_f64 v[42:43], v[36:37], v[38:39]
	v_mul_f64 v[38:39], v[34:35], v[38:39]
	s_waitcnt vmcnt(0)
	v_fma_f64 v[34:35], v[34:35], v[40:41], -v[42:43]
	v_fma_f64 v[36:37], v[36:37], v[40:41], v[38:39]
	v_add_f64 v[5:6], v[5:6], v[34:35]
	v_add_f64 v[3:4], v[3:4], v[36:37]
	s_andn2_b32 exec_lo, exec_lo, s7
	s_cbranch_execnz .LBB73_45
; %bb.46:
	s_or_b32 exec_lo, exec_lo, s7
	v_mov_b32_e32 v29, 0
	ds_read_b128 v[29:32], v29 offset:128
	s_waitcnt lgkmcnt(0)
	v_mul_f64 v[34:35], v[3:4], v[31:32]
	v_mul_f64 v[31:32], v[5:6], v[31:32]
	v_fma_f64 v[5:6], v[5:6], v[29:30], -v[34:35]
	v_fma_f64 v[3:4], v[3:4], v[29:30], v[31:32]
	buffer_store_dword v6, off, s[0:3], 0 offset:132
	buffer_store_dword v5, off, s[0:3], 0 offset:128
	;; [unrolled: 1-line block ×4, first 2 shown]
.LBB73_47:
	s_or_b32 exec_lo, exec_lo, s6
	v_mov_b32_e32 v6, s12
	s_waitcnt_vscnt null, 0x0
	s_barrier
	buffer_gl0_inv
	s_mov_b32 s6, exec_lo
	s_clause 0x3
	buffer_load_dword v3, v6, s[0:3], 0 offen
	buffer_load_dword v4, v6, s[0:3], 0 offen offset:4
	buffer_load_dword v5, v6, s[0:3], 0 offen offset:8
	;; [unrolled: 1-line block ×3, first 2 shown]
	s_waitcnt vmcnt(0)
	ds_write_b128 v27, v[3:6]
	s_waitcnt lgkmcnt(0)
	s_barrier
	buffer_gl0_inv
	v_cmpx_ne_u32_e32 9, v0
	s_cbranch_execz .LBB73_51
; %bb.48:
	v_mov_b32_e32 v3, 0
	v_mov_b32_e32 v5, 0
	;; [unrolled: 1-line block ×5, first 2 shown]
	s_mov_b32 s7, 0
	.p2align	6
.LBB73_49:                              ; =>This Inner Loop Header: Depth=1
	s_clause 0x3
	buffer_load_dword v34, v29, s[0:3], 0 offen offset:8
	buffer_load_dword v35, v29, s[0:3], 0 offen offset:12
	buffer_load_dword v36, v29, s[0:3], 0 offen
	buffer_load_dword v37, v29, s[0:3], 0 offen offset:4
	ds_read_b128 v[30:33], v27
	v_add_nc_u32_e32 v28, 1, v28
	v_add_nc_u32_e32 v27, 16, v27
	v_add_nc_u32_e32 v29, 16, v29
	v_cmp_lt_u32_e32 vcc_lo, 7, v28
	s_or_b32 s7, vcc_lo, s7
	s_waitcnt vmcnt(2) lgkmcnt(0)
	v_mul_f64 v[38:39], v[32:33], v[34:35]
	v_mul_f64 v[34:35], v[30:31], v[34:35]
	s_waitcnt vmcnt(0)
	v_fma_f64 v[30:31], v[30:31], v[36:37], -v[38:39]
	v_fma_f64 v[32:33], v[32:33], v[36:37], v[34:35]
	v_add_f64 v[5:6], v[5:6], v[30:31]
	v_add_f64 v[3:4], v[3:4], v[32:33]
	s_andn2_b32 exec_lo, exec_lo, s7
	s_cbranch_execnz .LBB73_49
; %bb.50:
	s_or_b32 exec_lo, exec_lo, s7
	v_mov_b32_e32 v27, 0
	ds_read_b128 v[27:30], v27 offset:144
	s_waitcnt lgkmcnt(0)
	v_mul_f64 v[31:32], v[3:4], v[29:30]
	v_mul_f64 v[29:30], v[5:6], v[29:30]
	v_fma_f64 v[5:6], v[5:6], v[27:28], -v[31:32]
	v_fma_f64 v[3:4], v[3:4], v[27:28], v[29:30]
	buffer_store_dword v6, off, s[0:3], 0 offset:148
	buffer_store_dword v5, off, s[0:3], 0 offset:144
	;; [unrolled: 1-line block ×4, first 2 shown]
.LBB73_51:
	s_or_b32 exec_lo, exec_lo, s6
	s_mov_b32 s7, -1
	s_waitcnt_vscnt null, 0x0
	s_barrier
	buffer_gl0_inv
.LBB73_52:
	s_and_b32 vcc_lo, exec_lo, s7
	s_cbranch_vccz .LBB73_54
; %bb.53:
	s_lshl_b64 s[6:7], s[8:9], 2
	v_mov_b32_e32 v3, 0
	s_add_u32 s6, s14, s6
	s_addc_u32 s7, s15, s7
	global_load_dword v3, v3, s[6:7]
	s_waitcnt vmcnt(0)
	v_cmp_ne_u32_e32 vcc_lo, 0, v3
	s_cbranch_vccz .LBB73_55
.LBB73_54:
	s_endpgm
.LBB73_55:
	v_lshl_add_u32 v3, v0, 4, 0xa0
	s_mov_b32 s6, exec_lo
	v_cmpx_eq_u32_e32 9, v0
	s_cbranch_execz .LBB73_57
; %bb.56:
	v_mov_b32_e32 v4, s13
	s_clause 0x3
	buffer_load_dword v27, v4, s[0:3], 0 offen
	buffer_load_dword v28, v4, s[0:3], 0 offen offset:4
	buffer_load_dword v29, v4, s[0:3], 0 offen offset:8
	;; [unrolled: 1-line block ×3, first 2 shown]
	v_mov_b32_e32 v4, 0
	buffer_store_dword v4, off, s[0:3], 0 offset:128
	buffer_store_dword v4, off, s[0:3], 0 offset:132
	;; [unrolled: 1-line block ×4, first 2 shown]
	s_waitcnt vmcnt(0)
	ds_write_b128 v3, v[27:30]
.LBB73_57:
	s_or_b32 exec_lo, exec_lo, s6
	s_waitcnt lgkmcnt(0)
	s_waitcnt_vscnt null, 0x0
	s_barrier
	buffer_gl0_inv
	s_clause 0x7
	buffer_load_dword v5, off, s[0:3], 0 offset:152
	buffer_load_dword v6, off, s[0:3], 0 offset:156
	;; [unrolled: 1-line block ×8, first 2 shown]
	v_mov_b32_e32 v4, 0
	s_mov_b32 s6, exec_lo
	ds_read_b128 v[27:30], v4 offset:304
	s_waitcnt vmcnt(6) lgkmcnt(0)
	v_mul_f64 v[37:38], v[29:30], v[5:6]
	v_mul_f64 v[5:6], v[27:28], v[5:6]
	s_waitcnt vmcnt(4)
	v_fma_f64 v[27:28], v[27:28], v[31:32], -v[37:38]
	v_fma_f64 v[5:6], v[29:30], v[31:32], v[5:6]
	v_add_f64 v[27:28], v[27:28], 0
	v_add_f64 v[5:6], v[5:6], 0
	s_waitcnt vmcnt(2)
	v_add_f64 v[27:28], v[33:34], -v[27:28]
	s_waitcnt vmcnt(0)
	v_add_f64 v[5:6], v[35:36], -v[5:6]
	buffer_store_dword v27, off, s[0:3], 0 offset:128
	buffer_store_dword v28, off, s[0:3], 0 offset:132
	;; [unrolled: 1-line block ×4, first 2 shown]
	v_cmpx_lt_u32_e32 7, v0
	s_cbranch_execz .LBB73_59
; %bb.58:
	v_mov_b32_e32 v5, s16
	s_clause 0x3
	buffer_load_dword v27, v5, s[0:3], 0 offen
	buffer_load_dword v28, v5, s[0:3], 0 offen offset:4
	buffer_load_dword v29, v5, s[0:3], 0 offen offset:8
	;; [unrolled: 1-line block ×3, first 2 shown]
	buffer_store_dword v4, off, s[0:3], 0 offset:112
	buffer_store_dword v4, off, s[0:3], 0 offset:116
	;; [unrolled: 1-line block ×4, first 2 shown]
	s_waitcnt vmcnt(0)
	ds_write_b128 v3, v[27:30]
.LBB73_59:
	s_or_b32 exec_lo, exec_lo, s6
	s_waitcnt lgkmcnt(0)
	s_waitcnt_vscnt null, 0x0
	s_barrier
	buffer_gl0_inv
	s_clause 0xb
	buffer_load_dword v5, off, s[0:3], 0 offset:136
	buffer_load_dword v6, off, s[0:3], 0 offset:140
	;; [unrolled: 1-line block ×12, first 2 shown]
	ds_read_b128 v[27:30], v4 offset:288
	ds_read_b128 v[31:34], v4 offset:304
	s_mov_b32 s6, exec_lo
	s_waitcnt vmcnt(10) lgkmcnt(1)
	v_mul_f64 v[45:46], v[29:30], v[5:6]
	v_mul_f64 v[4:5], v[27:28], v[5:6]
	s_waitcnt vmcnt(8) lgkmcnt(0)
	v_mul_f64 v[47:48], v[33:34], v[35:36]
	v_mul_f64 v[35:36], v[31:32], v[35:36]
	s_waitcnt vmcnt(6)
	v_fma_f64 v[27:28], v[27:28], v[37:38], -v[45:46]
	v_fma_f64 v[4:5], v[29:30], v[37:38], v[4:5]
	s_waitcnt vmcnt(4)
	v_fma_f64 v[29:30], v[31:32], v[39:40], -v[47:48]
	v_fma_f64 v[31:32], v[33:34], v[39:40], v[35:36]
	v_add_f64 v[27:28], v[27:28], 0
	v_add_f64 v[4:5], v[4:5], 0
	;; [unrolled: 1-line block ×4, first 2 shown]
	s_waitcnt vmcnt(2)
	v_add_f64 v[27:28], v[41:42], -v[27:28]
	s_waitcnt vmcnt(0)
	v_add_f64 v[4:5], v[43:44], -v[4:5]
	buffer_store_dword v27, off, s[0:3], 0 offset:112
	buffer_store_dword v28, off, s[0:3], 0 offset:116
	;; [unrolled: 1-line block ×4, first 2 shown]
	v_cmpx_lt_u32_e32 6, v0
	s_cbranch_execz .LBB73_61
; %bb.60:
	v_mov_b32_e32 v4, s17
	s_clause 0x3
	buffer_load_dword v27, v4, s[0:3], 0 offen
	buffer_load_dword v28, v4, s[0:3], 0 offen offset:4
	buffer_load_dword v29, v4, s[0:3], 0 offen offset:8
	;; [unrolled: 1-line block ×3, first 2 shown]
	v_mov_b32_e32 v4, 0
	buffer_store_dword v4, off, s[0:3], 0 offset:96
	buffer_store_dword v4, off, s[0:3], 0 offset:100
	buffer_store_dword v4, off, s[0:3], 0 offset:104
	buffer_store_dword v4, off, s[0:3], 0 offset:108
	s_waitcnt vmcnt(0)
	ds_write_b128 v3, v[27:30]
.LBB73_61:
	s_or_b32 exec_lo, exec_lo, s6
	s_waitcnt lgkmcnt(0)
	s_waitcnt_vscnt null, 0x0
	s_barrier
	buffer_gl0_inv
	s_clause 0xf
	buffer_load_dword v5, off, s[0:3], 0 offset:120
	buffer_load_dword v6, off, s[0:3], 0 offset:124
	;; [unrolled: 1-line block ×16, first 2 shown]
	v_mov_b32_e32 v4, 0
	ds_read_b128 v[27:30], v4 offset:272
	ds_read_b128 v[31:34], v4 offset:288
	;; [unrolled: 1-line block ×3, first 2 shown]
	s_mov_b32 s6, exec_lo
	s_waitcnt vmcnt(14) lgkmcnt(2)
	v_mul_f64 v[53:54], v[29:30], v[5:6]
	v_mul_f64 v[5:6], v[27:28], v[5:6]
	s_waitcnt vmcnt(12) lgkmcnt(1)
	v_mul_f64 v[55:56], v[33:34], v[39:40]
	v_mul_f64 v[39:40], v[31:32], v[39:40]
	s_waitcnt vmcnt(10)
	v_fma_f64 v[27:28], v[27:28], v[41:42], -v[53:54]
	v_fma_f64 v[5:6], v[29:30], v[41:42], v[5:6]
	s_waitcnt vmcnt(8) lgkmcnt(0)
	v_mul_f64 v[41:42], v[37:38], v[43:44]
	s_waitcnt vmcnt(6)
	v_fma_f64 v[31:32], v[31:32], v[45:46], -v[55:56]
	v_mul_f64 v[29:30], v[35:36], v[43:44]
	v_fma_f64 v[33:34], v[33:34], v[45:46], v[39:40]
	v_add_f64 v[27:28], v[27:28], 0
	v_add_f64 v[5:6], v[5:6], 0
	s_waitcnt vmcnt(4)
	v_fma_f64 v[35:36], v[35:36], v[47:48], -v[41:42]
	v_fma_f64 v[29:30], v[37:38], v[47:48], v[29:30]
	v_add_f64 v[27:28], v[27:28], v[31:32]
	v_add_f64 v[5:6], v[5:6], v[33:34]
	v_add_f64 v[27:28], v[27:28], v[35:36]
	v_add_f64 v[5:6], v[5:6], v[29:30]
	s_waitcnt vmcnt(2)
	v_add_f64 v[27:28], v[49:50], -v[27:28]
	s_waitcnt vmcnt(0)
	v_add_f64 v[5:6], v[51:52], -v[5:6]
	buffer_store_dword v27, off, s[0:3], 0 offset:96
	buffer_store_dword v28, off, s[0:3], 0 offset:100
	;; [unrolled: 1-line block ×4, first 2 shown]
	v_cmpx_lt_u32_e32 5, v0
	s_cbranch_execz .LBB73_63
; %bb.62:
	v_mov_b32_e32 v5, s18
	s_clause 0x3
	buffer_load_dword v27, v5, s[0:3], 0 offen
	buffer_load_dword v28, v5, s[0:3], 0 offen offset:4
	buffer_load_dword v29, v5, s[0:3], 0 offen offset:8
	;; [unrolled: 1-line block ×3, first 2 shown]
	buffer_store_dword v4, off, s[0:3], 0 offset:80
	buffer_store_dword v4, off, s[0:3], 0 offset:84
	;; [unrolled: 1-line block ×4, first 2 shown]
	s_waitcnt vmcnt(0)
	ds_write_b128 v3, v[27:30]
.LBB73_63:
	s_or_b32 exec_lo, exec_lo, s6
	s_waitcnt lgkmcnt(0)
	s_waitcnt_vscnt null, 0x0
	s_barrier
	buffer_gl0_inv
	s_clause 0x13
	buffer_load_dword v5, off, s[0:3], 0 offset:104
	buffer_load_dword v6, off, s[0:3], 0 offset:108
	;; [unrolled: 1-line block ×20, first 2 shown]
	ds_read_b128 v[27:30], v4 offset:256
	ds_read_b128 v[31:34], v4 offset:272
	ds_read_b128 v[35:38], v4 offset:288
	s_mov_b32 s6, exec_lo
	s_waitcnt vmcnt(18) lgkmcnt(2)
	v_mul_f64 v[57:58], v[29:30], v[5:6]
	v_mul_f64 v[5:6], v[27:28], v[5:6]
	s_waitcnt vmcnt(16) lgkmcnt(1)
	v_mul_f64 v[59:60], v[33:34], v[39:40]
	v_mul_f64 v[39:40], v[31:32], v[39:40]
	s_waitcnt vmcnt(14)
	v_fma_f64 v[57:58], v[27:28], v[41:42], -v[57:58]
	v_fma_f64 v[5:6], v[29:30], v[41:42], v[5:6]
	ds_read_b128 v[27:30], v4 offset:304
	s_waitcnt vmcnt(12) lgkmcnt(1)
	v_mul_f64 v[41:42], v[35:36], v[43:44]
	v_mul_f64 v[43:44], v[37:38], v[43:44]
	s_waitcnt vmcnt(10)
	v_fma_f64 v[31:32], v[31:32], v[45:46], -v[59:60]
	v_fma_f64 v[33:34], v[33:34], v[45:46], v[39:40]
	s_waitcnt vmcnt(8) lgkmcnt(0)
	v_mul_f64 v[45:46], v[29:30], v[47:48]
	v_add_f64 v[57:58], v[57:58], 0
	v_add_f64 v[4:5], v[5:6], 0
	v_mul_f64 v[39:40], v[27:28], v[47:48]
	s_waitcnt vmcnt(6)
	v_fma_f64 v[35:36], v[35:36], v[49:50], -v[43:44]
	v_fma_f64 v[37:38], v[37:38], v[49:50], v[41:42]
	s_waitcnt vmcnt(4)
	v_fma_f64 v[27:28], v[27:28], v[51:52], -v[45:46]
	v_add_f64 v[31:32], v[57:58], v[31:32]
	v_add_f64 v[4:5], v[4:5], v[33:34]
	v_fma_f64 v[29:30], v[29:30], v[51:52], v[39:40]
	v_add_f64 v[31:32], v[31:32], v[35:36]
	v_add_f64 v[4:5], v[4:5], v[37:38]
	;; [unrolled: 1-line block ×4, first 2 shown]
	s_waitcnt vmcnt(2)
	v_add_f64 v[27:28], v[53:54], -v[27:28]
	s_waitcnt vmcnt(0)
	v_add_f64 v[4:5], v[55:56], -v[4:5]
	buffer_store_dword v27, off, s[0:3], 0 offset:80
	buffer_store_dword v28, off, s[0:3], 0 offset:84
	;; [unrolled: 1-line block ×4, first 2 shown]
	v_cmpx_lt_u32_e32 4, v0
	s_cbranch_execz .LBB73_65
; %bb.64:
	v_mov_b32_e32 v4, s19
	s_clause 0x3
	buffer_load_dword v27, v4, s[0:3], 0 offen
	buffer_load_dword v28, v4, s[0:3], 0 offen offset:4
	buffer_load_dword v29, v4, s[0:3], 0 offen offset:8
	buffer_load_dword v30, v4, s[0:3], 0 offen offset:12
	v_mov_b32_e32 v4, 0
	buffer_store_dword v4, off, s[0:3], 0 offset:64
	buffer_store_dword v4, off, s[0:3], 0 offset:68
	;; [unrolled: 1-line block ×4, first 2 shown]
	s_waitcnt vmcnt(0)
	ds_write_b128 v3, v[27:30]
.LBB73_65:
	s_or_b32 exec_lo, exec_lo, s6
	s_waitcnt lgkmcnt(0)
	s_waitcnt_vscnt null, 0x0
	s_barrier
	buffer_gl0_inv
	s_clause 0x17
	buffer_load_dword v5, off, s[0:3], 0 offset:88
	buffer_load_dword v6, off, s[0:3], 0 offset:92
	;; [unrolled: 1-line block ×24, first 2 shown]
	v_mov_b32_e32 v4, 0
	ds_read_b128 v[27:30], v4 offset:240
	ds_read_b128 v[31:34], v4 offset:256
	;; [unrolled: 1-line block ×3, first 2 shown]
	s_mov_b32 s6, exec_lo
	s_waitcnt vmcnt(22) lgkmcnt(2)
	v_mul_f64 v[61:62], v[29:30], v[5:6]
	v_mul_f64 v[5:6], v[27:28], v[5:6]
	s_waitcnt vmcnt(20) lgkmcnt(1)
	v_mul_f64 v[63:64], v[33:34], v[39:40]
	v_mul_f64 v[39:40], v[31:32], v[39:40]
	s_waitcnt vmcnt(18)
	v_fma_f64 v[61:62], v[27:28], v[41:42], -v[61:62]
	v_fma_f64 v[5:6], v[29:30], v[41:42], v[5:6]
	ds_read_b128 v[27:30], v4 offset:288
	s_waitcnt vmcnt(16) lgkmcnt(1)
	v_mul_f64 v[41:42], v[35:36], v[43:44]
	v_mul_f64 v[43:44], v[37:38], v[43:44]
	s_waitcnt vmcnt(14)
	v_fma_f64 v[63:64], v[31:32], v[45:46], -v[63:64]
	v_fma_f64 v[39:40], v[33:34], v[45:46], v[39:40]
	ds_read_b128 v[31:34], v4 offset:304
	s_waitcnt vmcnt(10) lgkmcnt(1)
	v_mul_f64 v[45:46], v[27:28], v[47:48]
	v_add_f64 v[61:62], v[61:62], 0
	v_add_f64 v[5:6], v[5:6], 0
	v_mul_f64 v[47:48], v[29:30], v[47:48]
	s_waitcnt vmcnt(8)
	v_fma_f64 v[35:36], v[35:36], v[53:54], -v[43:44]
	v_fma_f64 v[37:38], v[37:38], v[53:54], v[41:42]
	s_waitcnt vmcnt(7) lgkmcnt(0)
	v_mul_f64 v[41:42], v[33:34], v[49:50]
	s_waitcnt vmcnt(5)
	v_fma_f64 v[29:30], v[29:30], v[55:56], v[45:46]
	v_add_f64 v[43:44], v[61:62], v[63:64]
	v_add_f64 v[5:6], v[5:6], v[39:40]
	v_fma_f64 v[27:28], v[27:28], v[55:56], -v[47:48]
	v_mul_f64 v[39:40], v[31:32], v[49:50]
	s_waitcnt vmcnt(4)
	v_fma_f64 v[31:32], v[31:32], v[51:52], -v[41:42]
	v_add_f64 v[35:36], v[43:44], v[35:36]
	v_add_f64 v[5:6], v[5:6], v[37:38]
	v_fma_f64 v[33:34], v[33:34], v[51:52], v[39:40]
	v_add_f64 v[27:28], v[35:36], v[27:28]
	v_add_f64 v[5:6], v[5:6], v[29:30]
	;; [unrolled: 1-line block ×4, first 2 shown]
	s_waitcnt vmcnt(2)
	v_add_f64 v[27:28], v[57:58], -v[27:28]
	s_waitcnt vmcnt(0)
	v_add_f64 v[5:6], v[59:60], -v[5:6]
	buffer_store_dword v28, off, s[0:3], 0 offset:68
	buffer_store_dword v27, off, s[0:3], 0 offset:64
	;; [unrolled: 1-line block ×4, first 2 shown]
	v_cmpx_lt_u32_e32 3, v0
	s_cbranch_execz .LBB73_67
; %bb.66:
	v_mov_b32_e32 v5, s20
	s_clause 0x3
	buffer_load_dword v27, v5, s[0:3], 0 offen
	buffer_load_dword v28, v5, s[0:3], 0 offen offset:4
	buffer_load_dword v29, v5, s[0:3], 0 offen offset:8
	;; [unrolled: 1-line block ×3, first 2 shown]
	buffer_store_dword v4, off, s[0:3], 0 offset:48
	buffer_store_dword v4, off, s[0:3], 0 offset:52
	;; [unrolled: 1-line block ×4, first 2 shown]
	s_waitcnt vmcnt(0)
	ds_write_b128 v3, v[27:30]
.LBB73_67:
	s_or_b32 exec_lo, exec_lo, s6
	s_waitcnt lgkmcnt(0)
	s_waitcnt_vscnt null, 0x0
	s_barrier
	buffer_gl0_inv
	s_clause 0x1b
	buffer_load_dword v5, off, s[0:3], 0 offset:72
	buffer_load_dword v6, off, s[0:3], 0 offset:76
	;; [unrolled: 1-line block ×28, first 2 shown]
	ds_read_b128 v[27:30], v4 offset:224
	ds_read_b128 v[31:34], v4 offset:240
	;; [unrolled: 1-line block ×3, first 2 shown]
	s_mov_b32 s6, exec_lo
	s_waitcnt vmcnt(26) lgkmcnt(2)
	v_mul_f64 v[65:66], v[29:30], v[5:6]
	v_mul_f64 v[5:6], v[27:28], v[5:6]
	s_waitcnt vmcnt(24) lgkmcnt(1)
	v_mul_f64 v[67:68], v[33:34], v[39:40]
	v_mul_f64 v[39:40], v[31:32], v[39:40]
	s_waitcnt vmcnt(22)
	v_fma_f64 v[65:66], v[27:28], v[41:42], -v[65:66]
	v_fma_f64 v[5:6], v[29:30], v[41:42], v[5:6]
	ds_read_b128 v[27:30], v4 offset:272
	s_waitcnt vmcnt(20) lgkmcnt(1)
	v_mul_f64 v[41:42], v[35:36], v[43:44]
	v_mul_f64 v[43:44], v[37:38], v[43:44]
	s_waitcnt vmcnt(18)
	v_fma_f64 v[67:68], v[31:32], v[45:46], -v[67:68]
	v_fma_f64 v[39:40], v[33:34], v[45:46], v[39:40]
	ds_read_b128 v[31:34], v4 offset:288
	s_waitcnt vmcnt(14) lgkmcnt(1)
	v_mul_f64 v[45:46], v[27:28], v[47:48]
	v_add_f64 v[65:66], v[65:66], 0
	v_add_f64 v[5:6], v[5:6], 0
	v_mul_f64 v[47:48], v[29:30], v[47:48]
	s_waitcnt vmcnt(12)
	v_fma_f64 v[43:44], v[35:36], v[53:54], -v[43:44]
	v_fma_f64 v[41:42], v[37:38], v[53:54], v[41:42]
	ds_read_b128 v[35:38], v4 offset:304
	s_waitcnt vmcnt(9)
	v_fma_f64 v[29:30], v[29:30], v[55:56], v[45:46]
	v_add_f64 v[65:66], v[65:66], v[67:68]
	v_add_f64 v[5:6], v[5:6], v[39:40]
	s_waitcnt lgkmcnt(1)
	v_mul_f64 v[39:40], v[31:32], v[49:50]
	v_mul_f64 v[49:50], v[33:34], v[49:50]
	v_fma_f64 v[27:28], v[27:28], v[55:56], -v[47:48]
	s_waitcnt vmcnt(7) lgkmcnt(0)
	v_mul_f64 v[45:46], v[37:38], v[57:58]
	v_add_f64 v[43:44], v[65:66], v[43:44]
	v_add_f64 v[4:5], v[5:6], v[41:42]
	v_mul_f64 v[41:42], v[35:36], v[57:58]
	s_waitcnt vmcnt(6)
	v_fma_f64 v[31:32], v[31:32], v[51:52], -v[49:50]
	v_fma_f64 v[33:34], v[33:34], v[51:52], v[39:40]
	v_add_f64 v[27:28], v[43:44], v[27:28]
	v_add_f64 v[4:5], v[4:5], v[29:30]
	s_waitcnt vmcnt(4)
	v_fma_f64 v[29:30], v[35:36], v[59:60], -v[45:46]
	v_add_f64 v[27:28], v[27:28], v[31:32]
	v_fma_f64 v[31:32], v[37:38], v[59:60], v[41:42]
	v_add_f64 v[4:5], v[4:5], v[33:34]
	v_add_f64 v[27:28], v[27:28], v[29:30]
	;; [unrolled: 1-line block ×3, first 2 shown]
	s_waitcnt vmcnt(2)
	v_add_f64 v[27:28], v[61:62], -v[27:28]
	s_waitcnt vmcnt(0)
	v_add_f64 v[4:5], v[63:64], -v[4:5]
	buffer_store_dword v28, off, s[0:3], 0 offset:52
	buffer_store_dword v27, off, s[0:3], 0 offset:48
	;; [unrolled: 1-line block ×4, first 2 shown]
	v_cmpx_lt_u32_e32 2, v0
	s_cbranch_execz .LBB73_69
; %bb.68:
	v_mov_b32_e32 v4, s21
	s_clause 0x3
	buffer_load_dword v27, v4, s[0:3], 0 offen
	buffer_load_dword v28, v4, s[0:3], 0 offen offset:4
	buffer_load_dword v29, v4, s[0:3], 0 offen offset:8
	;; [unrolled: 1-line block ×3, first 2 shown]
	v_mov_b32_e32 v4, 0
	buffer_store_dword v4, off, s[0:3], 0 offset:32
	buffer_store_dword v4, off, s[0:3], 0 offset:36
	;; [unrolled: 1-line block ×4, first 2 shown]
	s_waitcnt vmcnt(0)
	ds_write_b128 v3, v[27:30]
.LBB73_69:
	s_or_b32 exec_lo, exec_lo, s6
	s_waitcnt lgkmcnt(0)
	s_waitcnt_vscnt null, 0x0
	s_barrier
	buffer_gl0_inv
	s_clause 0x1f
	buffer_load_dword v5, off, s[0:3], 0 offset:56
	buffer_load_dword v6, off, s[0:3], 0 offset:60
	;; [unrolled: 1-line block ×32, first 2 shown]
	v_mov_b32_e32 v4, 0
	ds_read_b128 v[27:30], v4 offset:208
	ds_read_b128 v[31:34], v4 offset:224
	;; [unrolled: 1-line block ×3, first 2 shown]
	s_mov_b32 s6, exec_lo
	s_waitcnt vmcnt(30) lgkmcnt(2)
	v_mul_f64 v[69:70], v[29:30], v[5:6]
	v_mul_f64 v[5:6], v[27:28], v[5:6]
	s_waitcnt vmcnt(28) lgkmcnt(1)
	v_mul_f64 v[71:72], v[33:34], v[39:40]
	v_mul_f64 v[39:40], v[31:32], v[39:40]
	s_waitcnt vmcnt(26)
	v_fma_f64 v[69:70], v[27:28], v[41:42], -v[69:70]
	v_fma_f64 v[5:6], v[29:30], v[41:42], v[5:6]
	ds_read_b128 v[27:30], v4 offset:256
	s_waitcnt vmcnt(24) lgkmcnt(1)
	v_mul_f64 v[41:42], v[35:36], v[43:44]
	v_mul_f64 v[43:44], v[37:38], v[43:44]
	s_waitcnt vmcnt(22)
	v_fma_f64 v[71:72], v[31:32], v[45:46], -v[71:72]
	v_fma_f64 v[39:40], v[33:34], v[45:46], v[39:40]
	ds_read_b128 v[31:34], v4 offset:272
	s_waitcnt vmcnt(18) lgkmcnt(1)
	v_mul_f64 v[45:46], v[27:28], v[47:48]
	v_add_f64 v[69:70], v[69:70], 0
	v_add_f64 v[5:6], v[5:6], 0
	v_mul_f64 v[47:48], v[29:30], v[47:48]
	s_waitcnt vmcnt(16)
	v_fma_f64 v[43:44], v[35:36], v[53:54], -v[43:44]
	v_fma_f64 v[41:42], v[37:38], v[53:54], v[41:42]
	ds_read_b128 v[35:38], v4 offset:288
	s_waitcnt vmcnt(13)
	v_fma_f64 v[45:46], v[29:30], v[55:56], v[45:46]
	v_add_f64 v[69:70], v[69:70], v[71:72]
	v_add_f64 v[5:6], v[5:6], v[39:40]
	s_waitcnt lgkmcnt(1)
	v_mul_f64 v[39:40], v[31:32], v[49:50]
	v_mul_f64 v[49:50], v[33:34], v[49:50]
	v_fma_f64 v[47:48], v[27:28], v[55:56], -v[47:48]
	s_waitcnt vmcnt(9) lgkmcnt(0)
	v_mul_f64 v[53:54], v[37:38], v[57:58]
	ds_read_b128 v[27:30], v4 offset:304
	v_add_f64 v[43:44], v[69:70], v[43:44]
	v_add_f64 v[5:6], v[5:6], v[41:42]
	v_mul_f64 v[41:42], v[35:36], v[57:58]
	s_waitcnt vmcnt(8)
	v_fma_f64 v[31:32], v[31:32], v[51:52], -v[49:50]
	v_fma_f64 v[33:34], v[33:34], v[51:52], v[39:40]
	s_waitcnt vmcnt(5)
	v_fma_f64 v[35:36], v[35:36], v[63:64], -v[53:54]
	s_waitcnt lgkmcnt(0)
	v_mul_f64 v[39:40], v[27:28], v[59:60]
	v_add_f64 v[43:44], v[43:44], v[47:48]
	v_add_f64 v[5:6], v[5:6], v[45:46]
	v_mul_f64 v[45:46], v[29:30], v[59:60]
	v_fma_f64 v[37:38], v[37:38], v[63:64], v[41:42]
	s_waitcnt vmcnt(4)
	v_fma_f64 v[29:30], v[29:30], v[61:62], v[39:40]
	v_add_f64 v[31:32], v[43:44], v[31:32]
	v_add_f64 v[5:6], v[5:6], v[33:34]
	v_fma_f64 v[27:28], v[27:28], v[61:62], -v[45:46]
	v_add_f64 v[31:32], v[31:32], v[35:36]
	v_add_f64 v[5:6], v[5:6], v[37:38]
	;; [unrolled: 1-line block ×4, first 2 shown]
	s_waitcnt vmcnt(2)
	v_add_f64 v[27:28], v[65:66], -v[27:28]
	s_waitcnt vmcnt(0)
	v_add_f64 v[5:6], v[67:68], -v[5:6]
	buffer_store_dword v28, off, s[0:3], 0 offset:36
	buffer_store_dword v27, off, s[0:3], 0 offset:32
	;; [unrolled: 1-line block ×4, first 2 shown]
	v_cmpx_lt_u32_e32 1, v0
	s_cbranch_execz .LBB73_71
; %bb.70:
	v_mov_b32_e32 v5, s22
	s_clause 0x3
	buffer_load_dword v27, v5, s[0:3], 0 offen
	buffer_load_dword v28, v5, s[0:3], 0 offen offset:4
	buffer_load_dword v29, v5, s[0:3], 0 offen offset:8
	;; [unrolled: 1-line block ×3, first 2 shown]
	buffer_store_dword v4, off, s[0:3], 0 offset:16
	buffer_store_dword v4, off, s[0:3], 0 offset:20
	;; [unrolled: 1-line block ×4, first 2 shown]
	s_waitcnt vmcnt(0)
	ds_write_b128 v3, v[27:30]
.LBB73_71:
	s_or_b32 exec_lo, exec_lo, s6
	s_waitcnt lgkmcnt(0)
	s_waitcnt_vscnt null, 0x0
	s_barrier
	buffer_gl0_inv
	s_clause 0x23
	buffer_load_dword v5, off, s[0:3], 0 offset:40
	buffer_load_dword v6, off, s[0:3], 0 offset:44
	;; [unrolled: 1-line block ×36, first 2 shown]
	ds_read_b128 v[27:30], v4 offset:192
	ds_read_b128 v[31:34], v4 offset:208
	;; [unrolled: 1-line block ×3, first 2 shown]
	s_mov_b32 s6, exec_lo
	s_waitcnt vmcnt(34) lgkmcnt(2)
	v_mul_f64 v[73:74], v[29:30], v[5:6]
	v_mul_f64 v[5:6], v[27:28], v[5:6]
	s_waitcnt vmcnt(32) lgkmcnt(1)
	v_mul_f64 v[75:76], v[33:34], v[39:40]
	v_mul_f64 v[39:40], v[31:32], v[39:40]
	s_waitcnt vmcnt(30)
	v_fma_f64 v[73:74], v[27:28], v[41:42], -v[73:74]
	v_fma_f64 v[5:6], v[29:30], v[41:42], v[5:6]
	ds_read_b128 v[27:30], v4 offset:240
	s_waitcnt vmcnt(28) lgkmcnt(1)
	v_mul_f64 v[41:42], v[35:36], v[43:44]
	v_mul_f64 v[43:44], v[37:38], v[43:44]
	s_waitcnt vmcnt(26)
	v_fma_f64 v[75:76], v[31:32], v[45:46], -v[75:76]
	v_fma_f64 v[39:40], v[33:34], v[45:46], v[39:40]
	ds_read_b128 v[31:34], v4 offset:256
	s_waitcnt vmcnt(22) lgkmcnt(1)
	v_mul_f64 v[45:46], v[27:28], v[47:48]
	v_add_f64 v[73:74], v[73:74], 0
	v_add_f64 v[5:6], v[5:6], 0
	v_mul_f64 v[47:48], v[29:30], v[47:48]
	s_waitcnt vmcnt(20)
	v_fma_f64 v[43:44], v[35:36], v[53:54], -v[43:44]
	v_fma_f64 v[41:42], v[37:38], v[53:54], v[41:42]
	ds_read_b128 v[35:38], v4 offset:272
	s_waitcnt vmcnt(17)
	v_fma_f64 v[45:46], v[29:30], v[55:56], v[45:46]
	v_add_f64 v[73:74], v[73:74], v[75:76]
	v_add_f64 v[5:6], v[5:6], v[39:40]
	s_waitcnt lgkmcnt(1)
	v_mul_f64 v[39:40], v[31:32], v[49:50]
	v_mul_f64 v[49:50], v[33:34], v[49:50]
	v_fma_f64 v[47:48], v[27:28], v[55:56], -v[47:48]
	s_waitcnt vmcnt(13) lgkmcnt(0)
	v_mul_f64 v[53:54], v[37:38], v[57:58]
	ds_read_b128 v[27:30], v4 offset:288
	v_add_f64 v[43:44], v[73:74], v[43:44]
	v_add_f64 v[5:6], v[5:6], v[41:42]
	v_mul_f64 v[41:42], v[35:36], v[57:58]
	s_waitcnt vmcnt(12)
	v_fma_f64 v[49:50], v[31:32], v[51:52], -v[49:50]
	v_fma_f64 v[39:40], v[33:34], v[51:52], v[39:40]
	ds_read_b128 v[31:34], v4 offset:304
	s_waitcnt vmcnt(9)
	v_fma_f64 v[35:36], v[35:36], v[63:64], -v[53:54]
	v_add_f64 v[43:44], v[43:44], v[47:48]
	v_add_f64 v[5:6], v[5:6], v[45:46]
	s_waitcnt lgkmcnt(1)
	v_mul_f64 v[47:48], v[29:30], v[59:60]
	v_mul_f64 v[45:46], v[27:28], v[59:60]
	v_fma_f64 v[37:38], v[37:38], v[63:64], v[41:42]
	s_waitcnt vmcnt(7) lgkmcnt(0)
	v_mul_f64 v[41:42], v[33:34], v[65:66]
	v_add_f64 v[43:44], v[43:44], v[49:50]
	v_add_f64 v[4:5], v[5:6], v[39:40]
	s_waitcnt vmcnt(6)
	v_fma_f64 v[27:28], v[27:28], v[61:62], -v[47:48]
	v_mul_f64 v[39:40], v[31:32], v[65:66]
	v_fma_f64 v[29:30], v[29:30], v[61:62], v[45:46]
	s_waitcnt vmcnt(4)
	v_fma_f64 v[31:32], v[31:32], v[67:68], -v[41:42]
	v_add_f64 v[35:36], v[43:44], v[35:36]
	v_add_f64 v[4:5], v[4:5], v[37:38]
	v_fma_f64 v[33:34], v[33:34], v[67:68], v[39:40]
	v_add_f64 v[27:28], v[35:36], v[27:28]
	v_add_f64 v[4:5], v[4:5], v[29:30]
	;; [unrolled: 1-line block ×4, first 2 shown]
	s_waitcnt vmcnt(2)
	v_add_f64 v[27:28], v[69:70], -v[27:28]
	s_waitcnt vmcnt(0)
	v_add_f64 v[4:5], v[71:72], -v[4:5]
	buffer_store_dword v28, off, s[0:3], 0 offset:20
	buffer_store_dword v27, off, s[0:3], 0 offset:16
	;; [unrolled: 1-line block ×4, first 2 shown]
	v_cmpx_ne_u32_e32 0, v0
	s_cbranch_execz .LBB73_73
; %bb.72:
	s_clause 0x3
	buffer_load_dword v27, off, s[0:3], 0
	buffer_load_dword v28, off, s[0:3], 0 offset:4
	buffer_load_dword v29, off, s[0:3], 0 offset:8
	;; [unrolled: 1-line block ×3, first 2 shown]
	v_mov_b32_e32 v4, 0
	buffer_store_dword v4, off, s[0:3], 0
	buffer_store_dword v4, off, s[0:3], 0 offset:4
	buffer_store_dword v4, off, s[0:3], 0 offset:8
	;; [unrolled: 1-line block ×3, first 2 shown]
	s_waitcnt vmcnt(0)
	ds_write_b128 v3, v[27:30]
.LBB73_73:
	s_or_b32 exec_lo, exec_lo, s6
	s_waitcnt lgkmcnt(0)
	s_waitcnt_vscnt null, 0x0
	s_barrier
	buffer_gl0_inv
	s_clause 0x27
	buffer_load_dword v4, off, s[0:3], 0 offset:24
	buffer_load_dword v5, off, s[0:3], 0 offset:28
	;; [unrolled: 1-line block ×36, first 2 shown]
	buffer_load_dword v73, off, s[0:3], 0
	buffer_load_dword v74, off, s[0:3], 0 offset:4
	buffer_load_dword v75, off, s[0:3], 0 offset:8
	;; [unrolled: 1-line block ×3, first 2 shown]
	v_mov_b32_e32 v3, 0
	ds_read_b128 v[27:30], v3 offset:176
	ds_read_b128 v[31:34], v3 offset:192
	;; [unrolled: 1-line block ×3, first 2 shown]
	s_and_b32 vcc_lo, exec_lo, s23
	s_waitcnt vmcnt(38) lgkmcnt(2)
	v_mul_f64 v[77:78], v[29:30], v[4:5]
	v_mul_f64 v[4:5], v[27:28], v[4:5]
	s_waitcnt vmcnt(36) lgkmcnt(1)
	v_mul_f64 v[79:80], v[33:34], v[39:40]
	v_mul_f64 v[39:40], v[31:32], v[39:40]
	s_waitcnt vmcnt(34)
	v_fma_f64 v[77:78], v[27:28], v[41:42], -v[77:78]
	v_fma_f64 v[4:5], v[29:30], v[41:42], v[4:5]
	ds_read_b128 v[27:30], v3 offset:224
	s_waitcnt vmcnt(32) lgkmcnt(1)
	v_mul_f64 v[41:42], v[35:36], v[43:44]
	v_mul_f64 v[43:44], v[37:38], v[43:44]
	s_waitcnt vmcnt(30)
	v_fma_f64 v[79:80], v[31:32], v[45:46], -v[79:80]
	v_fma_f64 v[39:40], v[33:34], v[45:46], v[39:40]
	ds_read_b128 v[31:34], v3 offset:240
	s_waitcnt vmcnt(26) lgkmcnt(1)
	v_mul_f64 v[45:46], v[27:28], v[47:48]
	v_add_f64 v[77:78], v[77:78], 0
	v_add_f64 v[4:5], v[4:5], 0
	v_mul_f64 v[47:48], v[29:30], v[47:48]
	s_waitcnt vmcnt(24)
	v_fma_f64 v[43:44], v[35:36], v[53:54], -v[43:44]
	v_fma_f64 v[41:42], v[37:38], v[53:54], v[41:42]
	ds_read_b128 v[35:38], v3 offset:256
	s_waitcnt vmcnt(21)
	v_fma_f64 v[45:46], v[29:30], v[55:56], v[45:46]
	v_add_f64 v[77:78], v[77:78], v[79:80]
	v_add_f64 v[4:5], v[4:5], v[39:40]
	s_waitcnt lgkmcnt(1)
	v_mul_f64 v[39:40], v[31:32], v[49:50]
	v_mul_f64 v[49:50], v[33:34], v[49:50]
	v_fma_f64 v[47:48], v[27:28], v[55:56], -v[47:48]
	s_waitcnt vmcnt(17) lgkmcnt(0)
	v_mul_f64 v[53:54], v[37:38], v[57:58]
	ds_read_b128 v[27:30], v3 offset:272
	v_add_f64 v[43:44], v[77:78], v[43:44]
	v_add_f64 v[4:5], v[4:5], v[41:42]
	v_mul_f64 v[41:42], v[35:36], v[57:58]
	s_waitcnt vmcnt(16)
	v_fma_f64 v[49:50], v[31:32], v[51:52], -v[49:50]
	v_fma_f64 v[39:40], v[33:34], v[51:52], v[39:40]
	ds_read_b128 v[31:34], v3 offset:288
	s_waitcnt vmcnt(13)
	v_fma_f64 v[51:52], v[35:36], v[63:64], -v[53:54]
	v_add_f64 v[43:44], v[43:44], v[47:48]
	v_add_f64 v[4:5], v[4:5], v[45:46]
	s_waitcnt lgkmcnt(1)
	v_mul_f64 v[47:48], v[29:30], v[59:60]
	v_mul_f64 v[45:46], v[27:28], v[59:60]
	v_fma_f64 v[41:42], v[37:38], v[63:64], v[41:42]
	ds_read_b128 v[35:38], v3 offset:304
	v_add_f64 v[43:44], v[43:44], v[49:50]
	v_add_f64 v[4:5], v[4:5], v[39:40]
	s_waitcnt vmcnt(9) lgkmcnt(1)
	v_mul_f64 v[49:50], v[33:34], v[65:66]
	s_waitcnt vmcnt(8)
	v_fma_f64 v[27:28], v[27:28], v[61:62], -v[47:48]
	v_mul_f64 v[39:40], v[31:32], v[65:66]
	v_fma_f64 v[29:30], v[29:30], v[61:62], v[45:46]
	s_waitcnt vmcnt(7) lgkmcnt(0)
	v_mul_f64 v[45:46], v[37:38], v[67:68]
	v_add_f64 v[43:44], v[43:44], v[51:52]
	v_add_f64 v[4:5], v[4:5], v[41:42]
	s_waitcnt vmcnt(5)
	v_fma_f64 v[31:32], v[31:32], v[71:72], -v[49:50]
	v_mul_f64 v[41:42], v[35:36], v[67:68]
	v_fma_f64 v[33:34], v[33:34], v[71:72], v[39:40]
	v_add_f64 v[27:28], v[43:44], v[27:28]
	v_add_f64 v[4:5], v[4:5], v[29:30]
	s_waitcnt vmcnt(4)
	v_fma_f64 v[29:30], v[35:36], v[69:70], -v[45:46]
	v_add_f64 v[27:28], v[27:28], v[31:32]
	v_fma_f64 v[31:32], v[37:38], v[69:70], v[41:42]
	v_add_f64 v[4:5], v[4:5], v[33:34]
	v_add_f64 v[27:28], v[27:28], v[29:30]
	;; [unrolled: 1-line block ×3, first 2 shown]
	s_waitcnt vmcnt(2)
	v_add_f64 v[27:28], v[73:74], -v[27:28]
	s_waitcnt vmcnt(0)
	v_add_f64 v[4:5], v[75:76], -v[4:5]
	buffer_store_dword v28, off, s[0:3], 0 offset:4
	buffer_store_dword v27, off, s[0:3], 0
	buffer_store_dword v5, off, s[0:3], 0 offset:12
	buffer_store_dword v4, off, s[0:3], 0 offset:8
	s_cbranch_vccz .LBB73_92
; %bb.74:
	global_load_dword v3, v3, s[10:11] offset:32
	s_load_dwordx2 s[4:5], s[4:5], 0x4
	s_waitcnt lgkmcnt(0)
	s_lshr_b32 s4, s4, 16
	v_mul_u32_u24_e32 v4, s5, v1
	s_mul_i32 s4, s4, s5
	v_mul_u32_u24_e32 v0, s4, v0
	v_add3_u32 v0, v0, v4, v2
	v_lshl_add_u32 v0, v0, 4, 0x148
	s_waitcnt vmcnt(0)
	v_add_nc_u32_e32 v1, -1, v3
	v_cmp_ne_u32_e32 vcc_lo, 8, v1
	s_cbranch_vccz .LBB73_76
; %bb.75:
	v_lshlrev_b32_e32 v1, 4, v1
	v_mov_b32_e32 v5, s13
	v_mov_b32_e32 v6, v1
	s_clause 0x7
	buffer_load_dword v1, v5, s[0:3], 0 offen
	buffer_load_dword v2, v5, s[0:3], 0 offen offset:4
	buffer_load_dword v3, v5, s[0:3], 0 offen offset:8
	;; [unrolled: 1-line block ×3, first 2 shown]
	buffer_load_dword v27, v6, s[0:3], 0 offen
	buffer_load_dword v28, v6, s[0:3], 0 offen offset:4
	buffer_load_dword v29, v6, s[0:3], 0 offen offset:8
	buffer_load_dword v30, v6, s[0:3], 0 offen offset:12
	s_waitcnt vmcnt(4)
	ds_write2_b64 v0, v[1:2], v[3:4] offset1:1
	s_waitcnt vmcnt(3)
	buffer_store_dword v27, v5, s[0:3], 0 offen
	s_waitcnt vmcnt(2)
	buffer_store_dword v28, v5, s[0:3], 0 offen offset:4
	s_waitcnt vmcnt(1)
	buffer_store_dword v29, v5, s[0:3], 0 offen offset:8
	;; [unrolled: 2-line block ×3, first 2 shown]
	buffer_store_dword v4, v6, s[0:3], 0 offen offset:12
	buffer_store_dword v3, v6, s[0:3], 0 offen offset:8
	;; [unrolled: 1-line block ×3, first 2 shown]
	buffer_store_dword v1, v6, s[0:3], 0 offen
.LBB73_76:
	v_mov_b32_e32 v1, 0
	global_load_dword v2, v1, s[10:11] offset:28
	s_waitcnt vmcnt(0)
	v_add_nc_u32_e32 v2, -1, v2
	v_cmp_eq_u32_e32 vcc_lo, 7, v2
	s_cbranch_vccnz .LBB73_78
; %bb.77:
	v_lshlrev_b32_e32 v2, 4, v2
	v_mov_b32_e32 v6, s16
	v_mov_b32_e32 v27, v2
	s_clause 0x7
	buffer_load_dword v2, v6, s[0:3], 0 offen
	buffer_load_dword v3, v6, s[0:3], 0 offen offset:4
	buffer_load_dword v4, v6, s[0:3], 0 offen offset:8
	;; [unrolled: 1-line block ×3, first 2 shown]
	buffer_load_dword v28, v27, s[0:3], 0 offen
	buffer_load_dword v29, v27, s[0:3], 0 offen offset:4
	buffer_load_dword v30, v27, s[0:3], 0 offen offset:8
	;; [unrolled: 1-line block ×3, first 2 shown]
	s_waitcnt vmcnt(4)
	ds_write2_b64 v0, v[2:3], v[4:5] offset1:1
	s_waitcnt vmcnt(3)
	buffer_store_dword v28, v6, s[0:3], 0 offen
	s_waitcnt vmcnt(2)
	buffer_store_dword v29, v6, s[0:3], 0 offen offset:4
	s_waitcnt vmcnt(1)
	buffer_store_dword v30, v6, s[0:3], 0 offen offset:8
	;; [unrolled: 2-line block ×3, first 2 shown]
	buffer_store_dword v5, v27, s[0:3], 0 offen offset:12
	buffer_store_dword v4, v27, s[0:3], 0 offen offset:8
	;; [unrolled: 1-line block ×3, first 2 shown]
	buffer_store_dword v2, v27, s[0:3], 0 offen
.LBB73_78:
	global_load_dword v1, v1, s[10:11] offset:24
	s_waitcnt vmcnt(0)
	v_add_nc_u32_e32 v1, -1, v1
	v_cmp_eq_u32_e32 vcc_lo, 6, v1
	s_cbranch_vccnz .LBB73_80
; %bb.79:
	v_lshlrev_b32_e32 v1, 4, v1
	v_mov_b32_e32 v5, s17
	v_mov_b32_e32 v6, v1
	s_clause 0x7
	buffer_load_dword v1, v5, s[0:3], 0 offen
	buffer_load_dword v2, v5, s[0:3], 0 offen offset:4
	buffer_load_dword v3, v5, s[0:3], 0 offen offset:8
	;; [unrolled: 1-line block ×3, first 2 shown]
	buffer_load_dword v27, v6, s[0:3], 0 offen
	buffer_load_dword v28, v6, s[0:3], 0 offen offset:4
	buffer_load_dword v29, v6, s[0:3], 0 offen offset:8
	;; [unrolled: 1-line block ×3, first 2 shown]
	s_waitcnt vmcnt(4)
	ds_write2_b64 v0, v[1:2], v[3:4] offset1:1
	s_waitcnt vmcnt(3)
	buffer_store_dword v27, v5, s[0:3], 0 offen
	s_waitcnt vmcnt(2)
	buffer_store_dword v28, v5, s[0:3], 0 offen offset:4
	s_waitcnt vmcnt(1)
	buffer_store_dword v29, v5, s[0:3], 0 offen offset:8
	;; [unrolled: 2-line block ×3, first 2 shown]
	buffer_store_dword v4, v6, s[0:3], 0 offen offset:12
	buffer_store_dword v3, v6, s[0:3], 0 offen offset:8
	;; [unrolled: 1-line block ×3, first 2 shown]
	buffer_store_dword v1, v6, s[0:3], 0 offen
.LBB73_80:
	v_mov_b32_e32 v1, 0
	global_load_dword v2, v1, s[10:11] offset:20
	s_waitcnt vmcnt(0)
	v_add_nc_u32_e32 v2, -1, v2
	v_cmp_eq_u32_e32 vcc_lo, 5, v2
	s_cbranch_vccnz .LBB73_82
; %bb.81:
	v_lshlrev_b32_e32 v2, 4, v2
	v_mov_b32_e32 v6, s18
	v_mov_b32_e32 v27, v2
	s_clause 0x7
	buffer_load_dword v2, v6, s[0:3], 0 offen
	buffer_load_dword v3, v6, s[0:3], 0 offen offset:4
	buffer_load_dword v4, v6, s[0:3], 0 offen offset:8
	;; [unrolled: 1-line block ×3, first 2 shown]
	buffer_load_dword v28, v27, s[0:3], 0 offen
	buffer_load_dword v29, v27, s[0:3], 0 offen offset:4
	buffer_load_dword v30, v27, s[0:3], 0 offen offset:8
	;; [unrolled: 1-line block ×3, first 2 shown]
	s_waitcnt vmcnt(4)
	ds_write2_b64 v0, v[2:3], v[4:5] offset1:1
	s_waitcnt vmcnt(3)
	buffer_store_dword v28, v6, s[0:3], 0 offen
	s_waitcnt vmcnt(2)
	buffer_store_dword v29, v6, s[0:3], 0 offen offset:4
	s_waitcnt vmcnt(1)
	buffer_store_dword v30, v6, s[0:3], 0 offen offset:8
	;; [unrolled: 2-line block ×3, first 2 shown]
	buffer_store_dword v5, v27, s[0:3], 0 offen offset:12
	buffer_store_dword v4, v27, s[0:3], 0 offen offset:8
	;; [unrolled: 1-line block ×3, first 2 shown]
	buffer_store_dword v2, v27, s[0:3], 0 offen
.LBB73_82:
	global_load_dword v1, v1, s[10:11] offset:16
	s_waitcnt vmcnt(0)
	v_add_nc_u32_e32 v1, -1, v1
	v_cmp_eq_u32_e32 vcc_lo, 4, v1
	s_cbranch_vccnz .LBB73_84
; %bb.83:
	v_lshlrev_b32_e32 v1, 4, v1
	v_mov_b32_e32 v5, s19
	v_mov_b32_e32 v6, v1
	s_clause 0x7
	buffer_load_dword v1, v5, s[0:3], 0 offen
	buffer_load_dword v2, v5, s[0:3], 0 offen offset:4
	buffer_load_dword v3, v5, s[0:3], 0 offen offset:8
	;; [unrolled: 1-line block ×3, first 2 shown]
	buffer_load_dword v27, v6, s[0:3], 0 offen
	buffer_load_dword v28, v6, s[0:3], 0 offen offset:4
	buffer_load_dword v29, v6, s[0:3], 0 offen offset:8
	buffer_load_dword v30, v6, s[0:3], 0 offen offset:12
	s_waitcnt vmcnt(4)
	ds_write2_b64 v0, v[1:2], v[3:4] offset1:1
	s_waitcnt vmcnt(3)
	buffer_store_dword v27, v5, s[0:3], 0 offen
	s_waitcnt vmcnt(2)
	buffer_store_dword v28, v5, s[0:3], 0 offen offset:4
	s_waitcnt vmcnt(1)
	buffer_store_dword v29, v5, s[0:3], 0 offen offset:8
	;; [unrolled: 2-line block ×3, first 2 shown]
	buffer_store_dword v4, v6, s[0:3], 0 offen offset:12
	buffer_store_dword v3, v6, s[0:3], 0 offen offset:8
	;; [unrolled: 1-line block ×3, first 2 shown]
	buffer_store_dword v1, v6, s[0:3], 0 offen
.LBB73_84:
	v_mov_b32_e32 v1, 0
	global_load_dword v2, v1, s[10:11] offset:12
	s_waitcnt vmcnt(0)
	v_add_nc_u32_e32 v2, -1, v2
	v_cmp_eq_u32_e32 vcc_lo, 3, v2
	s_cbranch_vccnz .LBB73_86
; %bb.85:
	v_lshlrev_b32_e32 v2, 4, v2
	v_mov_b32_e32 v6, s20
	v_mov_b32_e32 v27, v2
	s_clause 0x7
	buffer_load_dword v2, v6, s[0:3], 0 offen
	buffer_load_dword v3, v6, s[0:3], 0 offen offset:4
	buffer_load_dword v4, v6, s[0:3], 0 offen offset:8
	;; [unrolled: 1-line block ×3, first 2 shown]
	buffer_load_dword v28, v27, s[0:3], 0 offen
	buffer_load_dword v29, v27, s[0:3], 0 offen offset:4
	buffer_load_dword v30, v27, s[0:3], 0 offen offset:8
	;; [unrolled: 1-line block ×3, first 2 shown]
	s_waitcnt vmcnt(4)
	ds_write2_b64 v0, v[2:3], v[4:5] offset1:1
	s_waitcnt vmcnt(3)
	buffer_store_dword v28, v6, s[0:3], 0 offen
	s_waitcnt vmcnt(2)
	buffer_store_dword v29, v6, s[0:3], 0 offen offset:4
	s_waitcnt vmcnt(1)
	buffer_store_dword v30, v6, s[0:3], 0 offen offset:8
	;; [unrolled: 2-line block ×3, first 2 shown]
	buffer_store_dword v5, v27, s[0:3], 0 offen offset:12
	buffer_store_dword v4, v27, s[0:3], 0 offen offset:8
	;; [unrolled: 1-line block ×3, first 2 shown]
	buffer_store_dword v2, v27, s[0:3], 0 offen
.LBB73_86:
	global_load_dword v1, v1, s[10:11] offset:8
	s_waitcnt vmcnt(0)
	v_add_nc_u32_e32 v1, -1, v1
	v_cmp_eq_u32_e32 vcc_lo, 2, v1
	s_cbranch_vccnz .LBB73_88
; %bb.87:
	v_lshlrev_b32_e32 v1, 4, v1
	v_mov_b32_e32 v5, s21
	v_mov_b32_e32 v6, v1
	s_clause 0x7
	buffer_load_dword v1, v5, s[0:3], 0 offen
	buffer_load_dword v2, v5, s[0:3], 0 offen offset:4
	buffer_load_dword v3, v5, s[0:3], 0 offen offset:8
	;; [unrolled: 1-line block ×3, first 2 shown]
	buffer_load_dword v27, v6, s[0:3], 0 offen
	buffer_load_dword v28, v6, s[0:3], 0 offen offset:4
	buffer_load_dword v29, v6, s[0:3], 0 offen offset:8
	;; [unrolled: 1-line block ×3, first 2 shown]
	s_waitcnt vmcnt(4)
	ds_write2_b64 v0, v[1:2], v[3:4] offset1:1
	s_waitcnt vmcnt(3)
	buffer_store_dword v27, v5, s[0:3], 0 offen
	s_waitcnt vmcnt(2)
	buffer_store_dword v28, v5, s[0:3], 0 offen offset:4
	s_waitcnt vmcnt(1)
	buffer_store_dword v29, v5, s[0:3], 0 offen offset:8
	;; [unrolled: 2-line block ×3, first 2 shown]
	buffer_store_dword v4, v6, s[0:3], 0 offen offset:12
	buffer_store_dword v3, v6, s[0:3], 0 offen offset:8
	;; [unrolled: 1-line block ×3, first 2 shown]
	buffer_store_dword v1, v6, s[0:3], 0 offen
.LBB73_88:
	v_mov_b32_e32 v1, 0
	global_load_dword v2, v1, s[10:11] offset:4
	s_waitcnt vmcnt(0)
	v_add_nc_u32_e32 v2, -1, v2
	v_cmp_eq_u32_e32 vcc_lo, 1, v2
	s_cbranch_vccnz .LBB73_90
; %bb.89:
	v_lshlrev_b32_e32 v2, 4, v2
	v_mov_b32_e32 v6, s22
	v_mov_b32_e32 v27, v2
	s_clause 0x7
	buffer_load_dword v2, v6, s[0:3], 0 offen
	buffer_load_dword v3, v6, s[0:3], 0 offen offset:4
	buffer_load_dword v4, v6, s[0:3], 0 offen offset:8
	;; [unrolled: 1-line block ×3, first 2 shown]
	buffer_load_dword v28, v27, s[0:3], 0 offen
	buffer_load_dword v29, v27, s[0:3], 0 offen offset:4
	buffer_load_dword v30, v27, s[0:3], 0 offen offset:8
	;; [unrolled: 1-line block ×3, first 2 shown]
	s_waitcnt vmcnt(4)
	ds_write2_b64 v0, v[2:3], v[4:5] offset1:1
	s_waitcnt vmcnt(3)
	buffer_store_dword v28, v6, s[0:3], 0 offen
	s_waitcnt vmcnt(2)
	buffer_store_dword v29, v6, s[0:3], 0 offen offset:4
	s_waitcnt vmcnt(1)
	buffer_store_dword v30, v6, s[0:3], 0 offen offset:8
	;; [unrolled: 2-line block ×3, first 2 shown]
	buffer_store_dword v5, v27, s[0:3], 0 offen offset:12
	buffer_store_dword v4, v27, s[0:3], 0 offen offset:8
	;; [unrolled: 1-line block ×3, first 2 shown]
	buffer_store_dword v2, v27, s[0:3], 0 offen
.LBB73_90:
	global_load_dword v1, v1, s[10:11]
	s_waitcnt vmcnt(0)
	v_add_nc_u32_e32 v1, -1, v1
	v_cmp_eq_u32_e32 vcc_lo, 0, v1
	s_cbranch_vccnz .LBB73_92
; %bb.91:
	v_lshlrev_b32_e32 v1, 4, v1
	v_mov_b32_e32 v5, v1
	s_clause 0x7
	buffer_load_dword v1, off, s[0:3], 0
	buffer_load_dword v2, off, s[0:3], 0 offset:4
	buffer_load_dword v3, off, s[0:3], 0 offset:8
	buffer_load_dword v4, off, s[0:3], 0 offset:12
	buffer_load_dword v6, v5, s[0:3], 0 offen
	buffer_load_dword v27, v5, s[0:3], 0 offen offset:4
	buffer_load_dword v28, v5, s[0:3], 0 offen offset:8
	;; [unrolled: 1-line block ×3, first 2 shown]
	s_waitcnt vmcnt(4)
	ds_write2_b64 v0, v[1:2], v[3:4] offset1:1
	s_waitcnt vmcnt(3)
	buffer_store_dword v6, off, s[0:3], 0
	s_waitcnt vmcnt(2)
	buffer_store_dword v27, off, s[0:3], 0 offset:4
	s_waitcnt vmcnt(1)
	buffer_store_dword v28, off, s[0:3], 0 offset:8
	;; [unrolled: 2-line block ×3, first 2 shown]
	buffer_store_dword v4, v5, s[0:3], 0 offen offset:12
	buffer_store_dword v3, v5, s[0:3], 0 offen offset:8
	;; [unrolled: 1-line block ×3, first 2 shown]
	buffer_store_dword v1, v5, s[0:3], 0 offen
.LBB73_92:
	s_clause 0x3
	buffer_load_dword v0, off, s[0:3], 0
	buffer_load_dword v1, off, s[0:3], 0 offset:4
	buffer_load_dword v2, off, s[0:3], 0 offset:8
	;; [unrolled: 1-line block ×3, first 2 shown]
	v_mov_b32_e32 v4, s22
	s_waitcnt vmcnt(0)
	flat_store_dwordx4 v[7:8], v[0:3]
	s_clause 0x3
	buffer_load_dword v0, v4, s[0:3], 0 offen
	buffer_load_dword v1, v4, s[0:3], 0 offen offset:4
	buffer_load_dword v2, v4, s[0:3], 0 offen offset:8
	buffer_load_dword v3, v4, s[0:3], 0 offen offset:12
	v_mov_b32_e32 v4, s21
	s_waitcnt vmcnt(0)
	flat_store_dwordx4 v[9:10], v[0:3]
	s_clause 0x3
	buffer_load_dword v0, v4, s[0:3], 0 offen
	buffer_load_dword v1, v4, s[0:3], 0 offen offset:4
	buffer_load_dword v2, v4, s[0:3], 0 offen offset:8
	buffer_load_dword v3, v4, s[0:3], 0 offen offset:12
	;; [unrolled: 8-line block ×9, first 2 shown]
	s_waitcnt vmcnt(0)
	flat_store_dwordx4 v[25:26], v[0:3]
	s_endpgm
	.section	.rodata,"a",@progbits
	.p2align	6, 0x0
	.amdhsa_kernel _ZN9rocsolver6v33100L18getri_kernel_smallILi10E19rocblas_complex_numIdEPKPS3_EEvT1_iilPiilS8_bb
		.amdhsa_group_segment_fixed_size 1352
		.amdhsa_private_segment_fixed_size 176
		.amdhsa_kernarg_size 60
		.amdhsa_user_sgpr_count 8
		.amdhsa_user_sgpr_private_segment_buffer 1
		.amdhsa_user_sgpr_dispatch_ptr 1
		.amdhsa_user_sgpr_queue_ptr 0
		.amdhsa_user_sgpr_kernarg_segment_ptr 1
		.amdhsa_user_sgpr_dispatch_id 0
		.amdhsa_user_sgpr_flat_scratch_init 0
		.amdhsa_user_sgpr_private_segment_size 0
		.amdhsa_wavefront_size32 1
		.amdhsa_uses_dynamic_stack 0
		.amdhsa_system_sgpr_private_segment_wavefront_offset 1
		.amdhsa_system_sgpr_workgroup_id_x 1
		.amdhsa_system_sgpr_workgroup_id_y 0
		.amdhsa_system_sgpr_workgroup_id_z 0
		.amdhsa_system_sgpr_workgroup_info 0
		.amdhsa_system_vgpr_workitem_id 2
		.amdhsa_next_free_vgpr 81
		.amdhsa_next_free_sgpr 27
		.amdhsa_reserve_vcc 1
		.amdhsa_reserve_flat_scratch 0
		.amdhsa_float_round_mode_32 0
		.amdhsa_float_round_mode_16_64 0
		.amdhsa_float_denorm_mode_32 3
		.amdhsa_float_denorm_mode_16_64 3
		.amdhsa_dx10_clamp 1
		.amdhsa_ieee_mode 1
		.amdhsa_fp16_overflow 0
		.amdhsa_workgroup_processor_mode 1
		.amdhsa_memory_ordered 1
		.amdhsa_forward_progress 1
		.amdhsa_shared_vgpr_count 0
		.amdhsa_exception_fp_ieee_invalid_op 0
		.amdhsa_exception_fp_denorm_src 0
		.amdhsa_exception_fp_ieee_div_zero 0
		.amdhsa_exception_fp_ieee_overflow 0
		.amdhsa_exception_fp_ieee_underflow 0
		.amdhsa_exception_fp_ieee_inexact 0
		.amdhsa_exception_int_div_zero 0
	.end_amdhsa_kernel
	.section	.text._ZN9rocsolver6v33100L18getri_kernel_smallILi10E19rocblas_complex_numIdEPKPS3_EEvT1_iilPiilS8_bb,"axG",@progbits,_ZN9rocsolver6v33100L18getri_kernel_smallILi10E19rocblas_complex_numIdEPKPS3_EEvT1_iilPiilS8_bb,comdat
.Lfunc_end73:
	.size	_ZN9rocsolver6v33100L18getri_kernel_smallILi10E19rocblas_complex_numIdEPKPS3_EEvT1_iilPiilS8_bb, .Lfunc_end73-_ZN9rocsolver6v33100L18getri_kernel_smallILi10E19rocblas_complex_numIdEPKPS3_EEvT1_iilPiilS8_bb
                                        ; -- End function
	.set _ZN9rocsolver6v33100L18getri_kernel_smallILi10E19rocblas_complex_numIdEPKPS3_EEvT1_iilPiilS8_bb.num_vgpr, 81
	.set _ZN9rocsolver6v33100L18getri_kernel_smallILi10E19rocblas_complex_numIdEPKPS3_EEvT1_iilPiilS8_bb.num_agpr, 0
	.set _ZN9rocsolver6v33100L18getri_kernel_smallILi10E19rocblas_complex_numIdEPKPS3_EEvT1_iilPiilS8_bb.numbered_sgpr, 27
	.set _ZN9rocsolver6v33100L18getri_kernel_smallILi10E19rocblas_complex_numIdEPKPS3_EEvT1_iilPiilS8_bb.num_named_barrier, 0
	.set _ZN9rocsolver6v33100L18getri_kernel_smallILi10E19rocblas_complex_numIdEPKPS3_EEvT1_iilPiilS8_bb.private_seg_size, 176
	.set _ZN9rocsolver6v33100L18getri_kernel_smallILi10E19rocblas_complex_numIdEPKPS3_EEvT1_iilPiilS8_bb.uses_vcc, 1
	.set _ZN9rocsolver6v33100L18getri_kernel_smallILi10E19rocblas_complex_numIdEPKPS3_EEvT1_iilPiilS8_bb.uses_flat_scratch, 0
	.set _ZN9rocsolver6v33100L18getri_kernel_smallILi10E19rocblas_complex_numIdEPKPS3_EEvT1_iilPiilS8_bb.has_dyn_sized_stack, 0
	.set _ZN9rocsolver6v33100L18getri_kernel_smallILi10E19rocblas_complex_numIdEPKPS3_EEvT1_iilPiilS8_bb.has_recursion, 0
	.set _ZN9rocsolver6v33100L18getri_kernel_smallILi10E19rocblas_complex_numIdEPKPS3_EEvT1_iilPiilS8_bb.has_indirect_call, 0
	.section	.AMDGPU.csdata,"",@progbits
; Kernel info:
; codeLenInByte = 13904
; TotalNumSgprs: 29
; NumVgprs: 81
; ScratchSize: 176
; MemoryBound: 0
; FloatMode: 240
; IeeeMode: 1
; LDSByteSize: 1352 bytes/workgroup (compile time only)
; SGPRBlocks: 0
; VGPRBlocks: 10
; NumSGPRsForWavesPerEU: 29
; NumVGPRsForWavesPerEU: 81
; Occupancy: 10
; WaveLimiterHint : 1
; COMPUTE_PGM_RSRC2:SCRATCH_EN: 1
; COMPUTE_PGM_RSRC2:USER_SGPR: 8
; COMPUTE_PGM_RSRC2:TRAP_HANDLER: 0
; COMPUTE_PGM_RSRC2:TGID_X_EN: 1
; COMPUTE_PGM_RSRC2:TGID_Y_EN: 0
; COMPUTE_PGM_RSRC2:TGID_Z_EN: 0
; COMPUTE_PGM_RSRC2:TIDIG_COMP_CNT: 2
	.section	.text._ZN9rocsolver6v33100L18getri_kernel_smallILi11E19rocblas_complex_numIdEPKPS3_EEvT1_iilPiilS8_bb,"axG",@progbits,_ZN9rocsolver6v33100L18getri_kernel_smallILi11E19rocblas_complex_numIdEPKPS3_EEvT1_iilPiilS8_bb,comdat
	.globl	_ZN9rocsolver6v33100L18getri_kernel_smallILi11E19rocblas_complex_numIdEPKPS3_EEvT1_iilPiilS8_bb ; -- Begin function _ZN9rocsolver6v33100L18getri_kernel_smallILi11E19rocblas_complex_numIdEPKPS3_EEvT1_iilPiilS8_bb
	.p2align	8
	.type	_ZN9rocsolver6v33100L18getri_kernel_smallILi11E19rocblas_complex_numIdEPKPS3_EEvT1_iilPiilS8_bb,@function
_ZN9rocsolver6v33100L18getri_kernel_smallILi11E19rocblas_complex_numIdEPKPS3_EEvT1_iilPiilS8_bb: ; @_ZN9rocsolver6v33100L18getri_kernel_smallILi11E19rocblas_complex_numIdEPKPS3_EEvT1_iilPiilS8_bb
; %bb.0:
	s_add_u32 s0, s0, s9
	s_addc_u32 s1, s1, 0
	s_mov_b32 s9, exec_lo
	v_cmpx_gt_u32_e32 11, v0
	s_cbranch_execz .LBB74_58
; %bb.1:
	s_clause 0x2
	s_load_dword s18, s[6:7], 0x38
	s_load_dwordx2 s[10:11], s[6:7], 0x0
	s_load_dwordx4 s[12:15], s[6:7], 0x28
	s_waitcnt lgkmcnt(0)
	s_bitcmp1_b32 s18, 8
	s_cselect_b32 s24, -1, 0
	s_ashr_i32 s9, s8, 31
	s_lshl_b64 s[16:17], s[8:9], 3
	s_add_u32 s10, s10, s16
	s_addc_u32 s11, s11, s17
	s_load_dwordx2 s[16:17], s[10:11], 0x0
	s_bfe_u32 s10, s18, 0x10008
	s_cmp_eq_u32 s10, 0
                                        ; implicit-def: $sgpr10_sgpr11
	s_cbranch_scc1 .LBB74_3
; %bb.2:
	s_clause 0x1
	s_load_dword s10, s[6:7], 0x20
	s_load_dwordx2 s[18:19], s[6:7], 0x18
	s_mul_i32 s11, s12, s9
	s_mul_hi_u32 s20, s12, s8
	s_mul_i32 s13, s13, s8
	s_add_i32 s11, s20, s11
	s_mul_i32 s12, s12, s8
	s_add_i32 s13, s11, s13
	s_lshl_b64 s[12:13], s[12:13], 2
	s_waitcnt lgkmcnt(0)
	s_ashr_i32 s11, s10, 31
	s_add_u32 s12, s18, s12
	s_addc_u32 s13, s19, s13
	s_lshl_b64 s[10:11], s[10:11], 2
	s_add_u32 s10, s12, s10
	s_addc_u32 s11, s13, s11
.LBB74_3:
	s_clause 0x1
	s_load_dwordx2 s[12:13], s[6:7], 0x8
	s_load_dword s6, s[6:7], 0x38
	v_lshlrev_b32_e32 v35, 4, v0
	s_movk_i32 s25, 0x80
	s_movk_i32 s26, 0x90
	;; [unrolled: 1-line block ×3, first 2 shown]
	s_mov_b32 s23, 16
	s_mov_b32 s22, 32
	;; [unrolled: 1-line block ×4, first 2 shown]
	s_waitcnt lgkmcnt(0)
	s_ashr_i32 s19, s12, 31
	s_mov_b32 s18, s12
	v_add3_u32 v13, s13, s13, v0
	s_lshl_b64 s[18:19], s[18:19], 4
	s_add_u32 s7, s16, s18
	s_addc_u32 s12, s17, s19
	v_add_co_u32 v7, s16, s7, v35
	v_add_co_ci_u32_e64 v8, null, s12, 0, s16
	s_mov_b32 s16, s13
	s_ashr_i32 s17, s13, 31
	v_ashrrev_i32_e32 v14, 31, v13
	flat_load_dwordx4 v[3:6], v[7:8]
	s_lshl_b64 s[16:17], s[16:17], 4
	v_add_nc_u32_e32 v15, s13, v13
	v_add_co_u32 v9, vcc_lo, v7, s16
	v_add_co_ci_u32_e64 v10, null, s17, v8, vcc_lo
	v_lshlrev_b64 v[11:12], 4, v[13:14]
	v_ashrrev_i32_e32 v16, 31, v15
	v_add_nc_u32_e32 v17, s13, v15
	s_movk_i32 s19, 0x50
	s_movk_i32 s18, 0x60
	;; [unrolled: 1-line block ×3, first 2 shown]
	v_add_co_u32 v11, vcc_lo, s7, v11
	v_add_co_ci_u32_e64 v12, null, s12, v12, vcc_lo
	v_lshlrev_b64 v[13:14], 4, v[15:16]
	v_ashrrev_i32_e32 v18, 31, v17
	v_add_nc_u32_e32 v19, s13, v17
	s_mov_b32 s16, s25
	s_bitcmp0_b32 s6, 0
	s_waitcnt vmcnt(0) lgkmcnt(0)
	buffer_store_dword v6, off, s[0:3], 0 offset:12
	buffer_store_dword v5, off, s[0:3], 0 offset:8
	;; [unrolled: 1-line block ×3, first 2 shown]
	buffer_store_dword v3, off, s[0:3], 0
	flat_load_dwordx4 v[3:6], v[9:10]
	v_add_co_u32 v13, vcc_lo, s7, v13
	v_add_co_ci_u32_e64 v14, null, s12, v14, vcc_lo
	v_lshlrev_b64 v[15:16], 4, v[17:18]
	v_ashrrev_i32_e32 v20, 31, v19
	v_add_nc_u32_e32 v21, s13, v19
	s_waitcnt vmcnt(0) lgkmcnt(0)
	buffer_store_dword v6, off, s[0:3], 0 offset:28
	buffer_store_dword v5, off, s[0:3], 0 offset:24
	buffer_store_dword v4, off, s[0:3], 0 offset:20
	buffer_store_dword v3, off, s[0:3], 0 offset:16
	flat_load_dwordx4 v[3:6], v[11:12]
	v_add_co_u32 v15, vcc_lo, s7, v15
	v_add_co_ci_u32_e64 v16, null, s12, v16, vcc_lo
	v_lshlrev_b64 v[17:18], 4, v[19:20]
	v_ashrrev_i32_e32 v22, 31, v21
	v_add_nc_u32_e32 v23, s13, v21
	s_waitcnt vmcnt(0) lgkmcnt(0)
	buffer_store_dword v6, off, s[0:3], 0 offset:44
	buffer_store_dword v5, off, s[0:3], 0 offset:40
	buffer_store_dword v4, off, s[0:3], 0 offset:36
	buffer_store_dword v3, off, s[0:3], 0 offset:32
	;; [unrolled: 11-line block ×4, first 2 shown]
	flat_load_dwordx4 v[3:6], v[17:18]
	v_add_co_u32 v21, vcc_lo, s7, v21
	v_add_co_ci_u32_e64 v22, null, s12, v22, vcc_lo
	v_lshlrev_b64 v[23:24], 4, v[25:26]
	v_ashrrev_i32_e32 v28, 31, v27
	s_waitcnt vmcnt(0) lgkmcnt(0)
	buffer_store_dword v6, off, s[0:3], 0 offset:92
	buffer_store_dword v5, off, s[0:3], 0 offset:88
	;; [unrolled: 1-line block ×4, first 2 shown]
	flat_load_dwordx4 v[3:6], v[19:20]
	v_add_co_u32 v23, vcc_lo, s7, v23
	v_add_co_ci_u32_e64 v24, null, s12, v24, vcc_lo
	v_lshlrev_b64 v[25:26], 4, v[27:28]
	v_add_nc_u32_e32 v27, s13, v27
	s_mov_b32 s13, s26
	s_waitcnt vmcnt(0) lgkmcnt(0)
	buffer_store_dword v6, off, s[0:3], 0 offset:108
	buffer_store_dword v5, off, s[0:3], 0 offset:104
	buffer_store_dword v4, off, s[0:3], 0 offset:100
	buffer_store_dword v3, off, s[0:3], 0 offset:96
	flat_load_dwordx4 v[3:6], v[21:22]
	v_add_co_u32 v25, vcc_lo, s7, v25
	v_add_co_ci_u32_e64 v26, null, s12, v26, vcc_lo
	v_ashrrev_i32_e32 v28, 31, v27
	s_waitcnt vmcnt(0) lgkmcnt(0)
	buffer_store_dword v6, off, s[0:3], 0 offset:124
	buffer_store_dword v5, off, s[0:3], 0 offset:120
	;; [unrolled: 1-line block ×4, first 2 shown]
	flat_load_dwordx4 v[3:6], v[23:24]
	v_lshlrev_b64 v[27:28], 4, v[27:28]
	s_waitcnt vmcnt(0) lgkmcnt(0)
	buffer_store_dword v6, off, s[0:3], 0 offset:140
	buffer_store_dword v5, off, s[0:3], 0 offset:136
	;; [unrolled: 1-line block ×4, first 2 shown]
	flat_load_dwordx4 v[3:6], v[25:26]
	v_add_co_u32 v27, vcc_lo, s7, v27
	v_add_co_ci_u32_e64 v28, null, s12, v28, vcc_lo
	s_mov_b32 s7, -1
	s_mov_b32 s12, s27
	s_waitcnt vmcnt(0) lgkmcnt(0)
	buffer_store_dword v6, off, s[0:3], 0 offset:156
	buffer_store_dword v5, off, s[0:3], 0 offset:152
	;; [unrolled: 1-line block ×4, first 2 shown]
	flat_load_dwordx4 v[3:6], v[27:28]
	s_waitcnt vmcnt(0) lgkmcnt(0)
	buffer_store_dword v6, off, s[0:3], 0 offset:172
	buffer_store_dword v5, off, s[0:3], 0 offset:168
	;; [unrolled: 1-line block ×4, first 2 shown]
	s_cbranch_scc1 .LBB74_56
; %bb.4:
	v_cmp_eq_u32_e64 s6, 0, v0
	s_and_saveexec_b32 s7, s6
; %bb.5:
	v_mov_b32_e32 v3, 0
	ds_write_b32 v3, v3 offset:352
; %bb.6:
	s_or_b32 exec_lo, exec_lo, s7
	v_lshl_add_u32 v36, v0, 4, 0
	s_waitcnt lgkmcnt(0)
	s_waitcnt_vscnt null, 0x0
	s_barrier
	buffer_gl0_inv
	s_clause 0x3
	buffer_load_dword v3, v36, s[0:3], 0 offen
	buffer_load_dword v4, v36, s[0:3], 0 offen offset:4
	buffer_load_dword v5, v36, s[0:3], 0 offen offset:8
	;; [unrolled: 1-line block ×3, first 2 shown]
	s_waitcnt vmcnt(2)
	v_cmp_eq_f64_e32 vcc_lo, 0, v[3:4]
	s_waitcnt vmcnt(0)
	v_cmp_eq_f64_e64 s7, 0, v[5:6]
	s_and_b32 s7, vcc_lo, s7
	s_and_saveexec_b32 s25, s7
	s_cbranch_execz .LBB74_10
; %bb.7:
	v_mov_b32_e32 v3, 0
	s_mov_b32 s26, 0
	ds_read_b32 v4, v3 offset:352
	s_waitcnt lgkmcnt(0)
	v_readfirstlane_b32 s7, v4
	v_add_nc_u32_e32 v4, 1, v0
	s_cmp_eq_u32 s7, 0
	v_cmp_gt_i32_e32 vcc_lo, s7, v4
	s_cselect_b32 s27, -1, 0
	s_or_b32 s27, s27, vcc_lo
	s_and_b32 exec_lo, exec_lo, s27
	s_cbranch_execz .LBB74_10
; %bb.8:
	v_mov_b32_e32 v5, s7
.LBB74_9:                               ; =>This Inner Loop Header: Depth=1
	ds_cmpst_rtn_b32 v5, v3, v5, v4 offset:352
	s_waitcnt lgkmcnt(0)
	v_cmp_ne_u32_e32 vcc_lo, 0, v5
	v_cmp_le_i32_e64 s7, v5, v4
	s_and_b32 s7, vcc_lo, s7
	s_and_b32 s7, exec_lo, s7
	s_or_b32 s26, s7, s26
	s_andn2_b32 exec_lo, exec_lo, s26
	s_cbranch_execnz .LBB74_9
.LBB74_10:
	s_or_b32 exec_lo, exec_lo, s25
	v_mov_b32_e32 v3, 0
	s_barrier
	buffer_gl0_inv
	ds_read_b32 v4, v3 offset:352
	s_and_saveexec_b32 s7, s6
	s_cbranch_execz .LBB74_12
; %bb.11:
	s_lshl_b64 s[26:27], s[8:9], 2
	s_add_u32 s26, s14, s26
	s_addc_u32 s27, s15, s27
	s_waitcnt lgkmcnt(0)
	global_store_dword v3, v4, s[26:27]
.LBB74_12:
	s_or_b32 exec_lo, exec_lo, s7
	s_waitcnt lgkmcnt(0)
	v_cmp_ne_u32_e32 vcc_lo, 0, v4
	s_mov_b32 s7, 0
	s_cbranch_vccnz .LBB74_56
; %bb.13:
	s_clause 0x3
	buffer_load_dword v31, v36, s[0:3], 0 offen
	buffer_load_dword v32, v36, s[0:3], 0 offen offset:4
	buffer_load_dword v33, v36, s[0:3], 0 offen offset:8
	;; [unrolled: 1-line block ×3, first 2 shown]
                                        ; implicit-def: $vgpr29_vgpr30
                                        ; implicit-def: $vgpr5_vgpr6
	s_waitcnt vmcnt(0)
	v_cmp_ngt_f64_e64 s7, |v[31:32]|, |v[33:34]|
	s_and_saveexec_b32 s25, s7
	s_xor_b32 s7, exec_lo, s25
	s_cbranch_execz .LBB74_15
; %bb.14:
	v_div_scale_f64 v[3:4], null, v[33:34], v[33:34], v[31:32]
	v_div_scale_f64 v[37:38], vcc_lo, v[31:32], v[33:34], v[31:32]
	v_rcp_f64_e32 v[5:6], v[3:4]
	v_fma_f64 v[29:30], -v[3:4], v[5:6], 1.0
	v_fma_f64 v[5:6], v[5:6], v[29:30], v[5:6]
	v_fma_f64 v[29:30], -v[3:4], v[5:6], 1.0
	v_fma_f64 v[5:6], v[5:6], v[29:30], v[5:6]
	v_mul_f64 v[29:30], v[37:38], v[5:6]
	v_fma_f64 v[3:4], -v[3:4], v[29:30], v[37:38]
	v_div_fmas_f64 v[3:4], v[3:4], v[5:6], v[29:30]
	v_div_fixup_f64 v[3:4], v[3:4], v[33:34], v[31:32]
	v_fma_f64 v[5:6], v[31:32], v[3:4], v[33:34]
	v_div_scale_f64 v[29:30], null, v[5:6], v[5:6], 1.0
	v_div_scale_f64 v[37:38], vcc_lo, 1.0, v[5:6], 1.0
	v_rcp_f64_e32 v[31:32], v[29:30]
	v_fma_f64 v[33:34], -v[29:30], v[31:32], 1.0
	v_fma_f64 v[31:32], v[31:32], v[33:34], v[31:32]
	v_fma_f64 v[33:34], -v[29:30], v[31:32], 1.0
	v_fma_f64 v[31:32], v[31:32], v[33:34], v[31:32]
	v_mul_f64 v[33:34], v[37:38], v[31:32]
	v_fma_f64 v[29:30], -v[29:30], v[33:34], v[37:38]
	v_div_fmas_f64 v[29:30], v[29:30], v[31:32], v[33:34]
                                        ; implicit-def: $vgpr31_vgpr32
                                        ; implicit-def: $vgpr33_vgpr34
	v_div_fixup_f64 v[5:6], v[29:30], v[5:6], 1.0
	v_mul_f64 v[29:30], v[3:4], v[5:6]
	v_xor_b32_e32 v6, 0x80000000, v6
	v_xor_b32_e32 v4, 0x80000000, v30
	v_mov_b32_e32 v3, v29
.LBB74_15:
	s_andn2_saveexec_b32 s7, s7
	s_cbranch_execz .LBB74_17
; %bb.16:
	v_div_scale_f64 v[3:4], null, v[31:32], v[31:32], v[33:34]
	v_div_scale_f64 v[37:38], vcc_lo, v[33:34], v[31:32], v[33:34]
	v_rcp_f64_e32 v[5:6], v[3:4]
	v_fma_f64 v[29:30], -v[3:4], v[5:6], 1.0
	v_fma_f64 v[5:6], v[5:6], v[29:30], v[5:6]
	v_fma_f64 v[29:30], -v[3:4], v[5:6], 1.0
	v_fma_f64 v[5:6], v[5:6], v[29:30], v[5:6]
	v_mul_f64 v[29:30], v[37:38], v[5:6]
	v_fma_f64 v[3:4], -v[3:4], v[29:30], v[37:38]
	v_div_fmas_f64 v[3:4], v[3:4], v[5:6], v[29:30]
	v_div_fixup_f64 v[3:4], v[3:4], v[31:32], v[33:34]
	v_fma_f64 v[5:6], v[33:34], v[3:4], v[31:32]
	v_div_scale_f64 v[29:30], null, v[5:6], v[5:6], 1.0
	v_rcp_f64_e32 v[31:32], v[29:30]
	v_fma_f64 v[33:34], -v[29:30], v[31:32], 1.0
	v_fma_f64 v[31:32], v[31:32], v[33:34], v[31:32]
	v_fma_f64 v[33:34], -v[29:30], v[31:32], 1.0
	v_fma_f64 v[31:32], v[31:32], v[33:34], v[31:32]
	v_div_scale_f64 v[33:34], vcc_lo, 1.0, v[5:6], 1.0
	v_mul_f64 v[37:38], v[33:34], v[31:32]
	v_fma_f64 v[29:30], -v[29:30], v[37:38], v[33:34]
	v_div_fmas_f64 v[29:30], v[29:30], v[31:32], v[37:38]
	v_div_fixup_f64 v[29:30], v[29:30], v[5:6], 1.0
	v_mul_f64 v[5:6], v[3:4], -v[29:30]
	v_xor_b32_e32 v4, 0x80000000, v30
	v_mov_b32_e32 v3, v29
.LBB74_17:
	s_or_b32 exec_lo, exec_lo, s7
	v_mov_b32_e32 v34, s23
	buffer_store_dword v30, v36, s[0:3], 0 offen offset:4
	buffer_store_dword v29, v36, s[0:3], 0 offen
	buffer_store_dword v6, v36, s[0:3], 0 offen offset:12
	buffer_store_dword v5, v36, s[0:3], 0 offen offset:8
	v_xor_b32_e32 v6, 0x80000000, v6
	v_add_nc_u32_e32 v29, 0xb0, v35
	s_clause 0x3
	buffer_load_dword v33, v34, s[0:3], 0 offen offset:12
	buffer_load_dword v32, v34, s[0:3], 0 offen offset:8
	;; [unrolled: 1-line block ×3, first 2 shown]
	buffer_load_dword v30, v34, s[0:3], 0 offen
	ds_write_b128 v35, v[3:6]
	s_waitcnt vmcnt(0)
	ds_write_b128 v35, v[30:33] offset:176
	s_waitcnt lgkmcnt(0)
	s_waitcnt_vscnt null, 0x0
	s_barrier
	buffer_gl0_inv
	s_and_saveexec_b32 s7, s6
	s_cbranch_execz .LBB74_19
; %bb.18:
	s_clause 0x3
	buffer_load_dword v37, v36, s[0:3], 0 offen offset:8
	buffer_load_dword v38, v36, s[0:3], 0 offen offset:12
	buffer_load_dword v39, v36, s[0:3], 0 offen
	buffer_load_dword v40, v36, s[0:3], 0 offen offset:4
	ds_read_b128 v[3:6], v29
	v_mov_b32_e32 v30, 0
	ds_read_b128 v[30:33], v30 offset:16
	s_waitcnt vmcnt(2) lgkmcnt(1)
	v_mul_f64 v[41:42], v[3:4], v[37:38]
	v_mul_f64 v[37:38], v[5:6], v[37:38]
	s_waitcnt vmcnt(0)
	v_fma_f64 v[5:6], v[5:6], v[39:40], v[41:42]
	v_fma_f64 v[3:4], v[3:4], v[39:40], -v[37:38]
	v_add_f64 v[5:6], v[5:6], 0
	v_add_f64 v[3:4], v[3:4], 0
	s_waitcnt lgkmcnt(0)
	v_mul_f64 v[37:38], v[5:6], v[32:33]
	v_mul_f64 v[32:33], v[3:4], v[32:33]
	v_fma_f64 v[3:4], v[3:4], v[30:31], -v[37:38]
	v_fma_f64 v[5:6], v[5:6], v[30:31], v[32:33]
	buffer_store_dword v3, off, s[0:3], 0 offset:16
	buffer_store_dword v4, off, s[0:3], 0 offset:20
	;; [unrolled: 1-line block ×4, first 2 shown]
.LBB74_19:
	s_or_b32 exec_lo, exec_lo, s7
	v_mov_b32_e32 v6, s22
	s_waitcnt_vscnt null, 0x0
	s_barrier
	buffer_gl0_inv
	s_mov_b32 s7, exec_lo
	s_clause 0x3
	buffer_load_dword v3, v6, s[0:3], 0 offen
	buffer_load_dword v4, v6, s[0:3], 0 offen offset:4
	buffer_load_dword v5, v6, s[0:3], 0 offen offset:8
	;; [unrolled: 1-line block ×3, first 2 shown]
	s_waitcnt vmcnt(0)
	ds_write_b128 v29, v[3:6]
	s_waitcnt lgkmcnt(0)
	s_barrier
	buffer_gl0_inv
	v_cmpx_gt_u32_e32 2, v0
	s_cbranch_execz .LBB74_23
; %bb.20:
	s_clause 0x3
	buffer_load_dword v30, v36, s[0:3], 0 offen offset:8
	buffer_load_dword v31, v36, s[0:3], 0 offen offset:12
	buffer_load_dword v32, v36, s[0:3], 0 offen
	buffer_load_dword v33, v36, s[0:3], 0 offen offset:4
	ds_read_b128 v[3:6], v29
	s_waitcnt vmcnt(2) lgkmcnt(0)
	v_mul_f64 v[36:37], v[5:6], v[30:31]
	v_mul_f64 v[30:31], v[3:4], v[30:31]
	s_waitcnt vmcnt(0)
	v_fma_f64 v[3:4], v[3:4], v[32:33], -v[36:37]
	v_fma_f64 v[5:6], v[5:6], v[32:33], v[30:31]
	v_add_f64 v[3:4], v[3:4], 0
	v_add_f64 v[5:6], v[5:6], 0
	s_and_saveexec_b32 s25, s6
	s_cbranch_execz .LBB74_22
; %bb.21:
	s_clause 0x3
	buffer_load_dword v36, off, s[0:3], 0 offset:24
	buffer_load_dword v37, off, s[0:3], 0 offset:28
	;; [unrolled: 1-line block ×4, first 2 shown]
	v_mov_b32_e32 v30, 0
	ds_read_b128 v[30:33], v30 offset:192
	s_waitcnt vmcnt(2) lgkmcnt(0)
	v_mul_f64 v[40:41], v[30:31], v[36:37]
	v_mul_f64 v[36:37], v[32:33], v[36:37]
	s_waitcnt vmcnt(0)
	v_fma_f64 v[32:33], v[32:33], v[38:39], v[40:41]
	v_fma_f64 v[30:31], v[30:31], v[38:39], -v[36:37]
	v_add_f64 v[5:6], v[5:6], v[32:33]
	v_add_f64 v[3:4], v[3:4], v[30:31]
.LBB74_22:
	s_or_b32 exec_lo, exec_lo, s25
	v_mov_b32_e32 v30, 0
	ds_read_b128 v[30:33], v30 offset:32
	s_waitcnt lgkmcnt(0)
	v_mul_f64 v[36:37], v[5:6], v[32:33]
	v_mul_f64 v[32:33], v[3:4], v[32:33]
	v_fma_f64 v[3:4], v[3:4], v[30:31], -v[36:37]
	v_fma_f64 v[5:6], v[5:6], v[30:31], v[32:33]
	buffer_store_dword v4, off, s[0:3], 0 offset:36
	buffer_store_dword v3, off, s[0:3], 0 offset:32
	;; [unrolled: 1-line block ×4, first 2 shown]
.LBB74_23:
	s_or_b32 exec_lo, exec_lo, s7
	v_mov_b32_e32 v6, s21
	s_waitcnt_vscnt null, 0x0
	s_barrier
	buffer_gl0_inv
	v_add_nc_u32_e32 v30, -1, v0
	s_clause 0x3
	buffer_load_dword v3, v6, s[0:3], 0 offen
	buffer_load_dword v4, v6, s[0:3], 0 offen offset:4
	buffer_load_dword v5, v6, s[0:3], 0 offen offset:8
	;; [unrolled: 1-line block ×3, first 2 shown]
	s_mov_b32 s6, exec_lo
	s_waitcnt vmcnt(0)
	ds_write_b128 v29, v[3:6]
	s_waitcnt lgkmcnt(0)
	s_barrier
	buffer_gl0_inv
	v_cmpx_gt_u32_e32 3, v0
	s_cbranch_execz .LBB74_27
; %bb.24:
	v_mov_b32_e32 v3, 0
	v_mov_b32_e32 v5, 0
	v_add_nc_u32_e32 v31, -1, v0
	v_add_nc_u32_e32 v32, 0xb0, v35
	v_mov_b32_e32 v4, 0
	v_mov_b32_e32 v6, 0
	;; [unrolled: 1-line block ×3, first 2 shown]
	s_mov_b32 s7, 0
	.p2align	6
.LBB74_25:                              ; =>This Inner Loop Header: Depth=1
	s_clause 0x3
	buffer_load_dword v40, v33, s[0:3], 0 offen offset:8
	buffer_load_dword v41, v33, s[0:3], 0 offen offset:12
	buffer_load_dword v42, v33, s[0:3], 0 offen
	buffer_load_dword v43, v33, s[0:3], 0 offen offset:4
	ds_read_b128 v[36:39], v32
	v_add_nc_u32_e32 v31, 1, v31
	v_add_nc_u32_e32 v32, 16, v32
	;; [unrolled: 1-line block ×3, first 2 shown]
	v_cmp_lt_u32_e32 vcc_lo, 1, v31
	s_or_b32 s7, vcc_lo, s7
	s_waitcnt vmcnt(2) lgkmcnt(0)
	v_mul_f64 v[44:45], v[38:39], v[40:41]
	v_mul_f64 v[40:41], v[36:37], v[40:41]
	s_waitcnt vmcnt(0)
	v_fma_f64 v[36:37], v[36:37], v[42:43], -v[44:45]
	v_fma_f64 v[38:39], v[38:39], v[42:43], v[40:41]
	v_add_f64 v[5:6], v[5:6], v[36:37]
	v_add_f64 v[3:4], v[3:4], v[38:39]
	s_andn2_b32 exec_lo, exec_lo, s7
	s_cbranch_execnz .LBB74_25
; %bb.26:
	s_or_b32 exec_lo, exec_lo, s7
	v_mov_b32_e32 v31, 0
	ds_read_b128 v[31:34], v31 offset:48
	s_waitcnt lgkmcnt(0)
	v_mul_f64 v[36:37], v[3:4], v[33:34]
	v_mul_f64 v[33:34], v[5:6], v[33:34]
	v_fma_f64 v[5:6], v[5:6], v[31:32], -v[36:37]
	v_fma_f64 v[3:4], v[3:4], v[31:32], v[33:34]
	buffer_store_dword v6, off, s[0:3], 0 offset:52
	buffer_store_dword v5, off, s[0:3], 0 offset:48
	;; [unrolled: 1-line block ×4, first 2 shown]
.LBB74_27:
	s_or_b32 exec_lo, exec_lo, s6
	v_mov_b32_e32 v6, s20
	s_waitcnt_vscnt null, 0x0
	s_barrier
	buffer_gl0_inv
	s_mov_b32 s6, exec_lo
	s_clause 0x3
	buffer_load_dword v3, v6, s[0:3], 0 offen
	buffer_load_dword v4, v6, s[0:3], 0 offen offset:4
	buffer_load_dword v5, v6, s[0:3], 0 offen offset:8
	;; [unrolled: 1-line block ×3, first 2 shown]
	s_waitcnt vmcnt(0)
	ds_write_b128 v29, v[3:6]
	s_waitcnt lgkmcnt(0)
	s_barrier
	buffer_gl0_inv
	v_cmpx_gt_u32_e32 4, v0
	s_cbranch_execz .LBB74_31
; %bb.28:
	v_mov_b32_e32 v3, 0
	v_mov_b32_e32 v5, 0
	v_add_nc_u32_e32 v31, -1, v0
	v_add_nc_u32_e32 v32, 0xb0, v35
	v_mov_b32_e32 v4, 0
	v_mov_b32_e32 v6, 0
	;; [unrolled: 1-line block ×3, first 2 shown]
	s_mov_b32 s7, 0
	.p2align	6
.LBB74_29:                              ; =>This Inner Loop Header: Depth=1
	s_clause 0x3
	buffer_load_dword v40, v33, s[0:3], 0 offen offset:8
	buffer_load_dword v41, v33, s[0:3], 0 offen offset:12
	buffer_load_dword v42, v33, s[0:3], 0 offen
	buffer_load_dword v43, v33, s[0:3], 0 offen offset:4
	ds_read_b128 v[36:39], v32
	v_add_nc_u32_e32 v31, 1, v31
	v_add_nc_u32_e32 v32, 16, v32
	;; [unrolled: 1-line block ×3, first 2 shown]
	v_cmp_lt_u32_e32 vcc_lo, 2, v31
	s_or_b32 s7, vcc_lo, s7
	s_waitcnt vmcnt(2) lgkmcnt(0)
	v_mul_f64 v[44:45], v[38:39], v[40:41]
	v_mul_f64 v[40:41], v[36:37], v[40:41]
	s_waitcnt vmcnt(0)
	v_fma_f64 v[36:37], v[36:37], v[42:43], -v[44:45]
	v_fma_f64 v[38:39], v[38:39], v[42:43], v[40:41]
	v_add_f64 v[5:6], v[5:6], v[36:37]
	v_add_f64 v[3:4], v[3:4], v[38:39]
	s_andn2_b32 exec_lo, exec_lo, s7
	s_cbranch_execnz .LBB74_29
; %bb.30:
	s_or_b32 exec_lo, exec_lo, s7
	v_mov_b32_e32 v31, 0
	ds_read_b128 v[31:34], v31 offset:64
	s_waitcnt lgkmcnt(0)
	v_mul_f64 v[36:37], v[3:4], v[33:34]
	v_mul_f64 v[33:34], v[5:6], v[33:34]
	v_fma_f64 v[5:6], v[5:6], v[31:32], -v[36:37]
	v_fma_f64 v[3:4], v[3:4], v[31:32], v[33:34]
	buffer_store_dword v6, off, s[0:3], 0 offset:68
	buffer_store_dword v5, off, s[0:3], 0 offset:64
	;; [unrolled: 1-line block ×4, first 2 shown]
.LBB74_31:
	s_or_b32 exec_lo, exec_lo, s6
	v_mov_b32_e32 v6, s19
	s_waitcnt_vscnt null, 0x0
	s_barrier
	buffer_gl0_inv
	s_mov_b32 s6, exec_lo
	s_clause 0x3
	buffer_load_dword v3, v6, s[0:3], 0 offen
	buffer_load_dword v4, v6, s[0:3], 0 offen offset:4
	buffer_load_dword v5, v6, s[0:3], 0 offen offset:8
	buffer_load_dword v6, v6, s[0:3], 0 offen offset:12
	s_waitcnt vmcnt(0)
	ds_write_b128 v29, v[3:6]
	s_waitcnt lgkmcnt(0)
	s_barrier
	buffer_gl0_inv
	v_cmpx_gt_u32_e32 5, v0
	s_cbranch_execz .LBB74_35
; %bb.32:
	v_mov_b32_e32 v3, 0
	v_mov_b32_e32 v5, 0
	v_add_nc_u32_e32 v31, -1, v0
	v_add_nc_u32_e32 v32, 0xb0, v35
	v_mov_b32_e32 v4, 0
	v_mov_b32_e32 v6, 0
	;; [unrolled: 1-line block ×3, first 2 shown]
	s_mov_b32 s7, 0
	.p2align	6
.LBB74_33:                              ; =>This Inner Loop Header: Depth=1
	s_clause 0x3
	buffer_load_dword v40, v33, s[0:3], 0 offen offset:8
	buffer_load_dword v41, v33, s[0:3], 0 offen offset:12
	buffer_load_dword v42, v33, s[0:3], 0 offen
	buffer_load_dword v43, v33, s[0:3], 0 offen offset:4
	ds_read_b128 v[36:39], v32
	v_add_nc_u32_e32 v31, 1, v31
	v_add_nc_u32_e32 v32, 16, v32
	;; [unrolled: 1-line block ×3, first 2 shown]
	v_cmp_lt_u32_e32 vcc_lo, 3, v31
	s_or_b32 s7, vcc_lo, s7
	s_waitcnt vmcnt(2) lgkmcnt(0)
	v_mul_f64 v[44:45], v[38:39], v[40:41]
	v_mul_f64 v[40:41], v[36:37], v[40:41]
	s_waitcnt vmcnt(0)
	v_fma_f64 v[36:37], v[36:37], v[42:43], -v[44:45]
	v_fma_f64 v[38:39], v[38:39], v[42:43], v[40:41]
	v_add_f64 v[5:6], v[5:6], v[36:37]
	v_add_f64 v[3:4], v[3:4], v[38:39]
	s_andn2_b32 exec_lo, exec_lo, s7
	s_cbranch_execnz .LBB74_33
; %bb.34:
	s_or_b32 exec_lo, exec_lo, s7
	v_mov_b32_e32 v31, 0
	ds_read_b128 v[31:34], v31 offset:80
	s_waitcnt lgkmcnt(0)
	v_mul_f64 v[36:37], v[3:4], v[33:34]
	v_mul_f64 v[33:34], v[5:6], v[33:34]
	v_fma_f64 v[5:6], v[5:6], v[31:32], -v[36:37]
	v_fma_f64 v[3:4], v[3:4], v[31:32], v[33:34]
	buffer_store_dword v6, off, s[0:3], 0 offset:84
	buffer_store_dword v5, off, s[0:3], 0 offset:80
	buffer_store_dword v4, off, s[0:3], 0 offset:92
	buffer_store_dword v3, off, s[0:3], 0 offset:88
.LBB74_35:
	s_or_b32 exec_lo, exec_lo, s6
	v_mov_b32_e32 v6, s18
	s_waitcnt_vscnt null, 0x0
	s_barrier
	buffer_gl0_inv
	s_mov_b32 s6, exec_lo
	s_clause 0x3
	buffer_load_dword v3, v6, s[0:3], 0 offen
	buffer_load_dword v4, v6, s[0:3], 0 offen offset:4
	buffer_load_dword v5, v6, s[0:3], 0 offen offset:8
	;; [unrolled: 1-line block ×3, first 2 shown]
	s_waitcnt vmcnt(0)
	ds_write_b128 v29, v[3:6]
	s_waitcnt lgkmcnt(0)
	s_barrier
	buffer_gl0_inv
	v_cmpx_gt_u32_e32 6, v0
	s_cbranch_execz .LBB74_39
; %bb.36:
	v_mov_b32_e32 v3, 0
	v_mov_b32_e32 v5, 0
	v_add_nc_u32_e32 v31, -1, v0
	v_add_nc_u32_e32 v32, 0xb0, v35
	v_mov_b32_e32 v4, 0
	v_mov_b32_e32 v6, 0
	;; [unrolled: 1-line block ×3, first 2 shown]
	s_mov_b32 s7, 0
	.p2align	6
.LBB74_37:                              ; =>This Inner Loop Header: Depth=1
	s_clause 0x3
	buffer_load_dword v40, v33, s[0:3], 0 offen offset:8
	buffer_load_dword v41, v33, s[0:3], 0 offen offset:12
	buffer_load_dword v42, v33, s[0:3], 0 offen
	buffer_load_dword v43, v33, s[0:3], 0 offen offset:4
	ds_read_b128 v[36:39], v32
	v_add_nc_u32_e32 v31, 1, v31
	v_add_nc_u32_e32 v32, 16, v32
	;; [unrolled: 1-line block ×3, first 2 shown]
	v_cmp_lt_u32_e32 vcc_lo, 4, v31
	s_or_b32 s7, vcc_lo, s7
	s_waitcnt vmcnt(2) lgkmcnt(0)
	v_mul_f64 v[44:45], v[38:39], v[40:41]
	v_mul_f64 v[40:41], v[36:37], v[40:41]
	s_waitcnt vmcnt(0)
	v_fma_f64 v[36:37], v[36:37], v[42:43], -v[44:45]
	v_fma_f64 v[38:39], v[38:39], v[42:43], v[40:41]
	v_add_f64 v[5:6], v[5:6], v[36:37]
	v_add_f64 v[3:4], v[3:4], v[38:39]
	s_andn2_b32 exec_lo, exec_lo, s7
	s_cbranch_execnz .LBB74_37
; %bb.38:
	s_or_b32 exec_lo, exec_lo, s7
	v_mov_b32_e32 v31, 0
	ds_read_b128 v[31:34], v31 offset:96
	s_waitcnt lgkmcnt(0)
	v_mul_f64 v[36:37], v[3:4], v[33:34]
	v_mul_f64 v[33:34], v[5:6], v[33:34]
	v_fma_f64 v[5:6], v[5:6], v[31:32], -v[36:37]
	v_fma_f64 v[3:4], v[3:4], v[31:32], v[33:34]
	buffer_store_dword v6, off, s[0:3], 0 offset:100
	buffer_store_dword v5, off, s[0:3], 0 offset:96
	;; [unrolled: 1-line block ×4, first 2 shown]
.LBB74_39:
	s_or_b32 exec_lo, exec_lo, s6
	v_mov_b32_e32 v6, s17
	s_waitcnt_vscnt null, 0x0
	s_barrier
	buffer_gl0_inv
	s_mov_b32 s6, exec_lo
	s_clause 0x3
	buffer_load_dword v3, v6, s[0:3], 0 offen
	buffer_load_dword v4, v6, s[0:3], 0 offen offset:4
	buffer_load_dword v5, v6, s[0:3], 0 offen offset:8
	buffer_load_dword v6, v6, s[0:3], 0 offen offset:12
	s_waitcnt vmcnt(0)
	ds_write_b128 v29, v[3:6]
	s_waitcnt lgkmcnt(0)
	s_barrier
	buffer_gl0_inv
	v_cmpx_gt_u32_e32 7, v0
	s_cbranch_execz .LBB74_43
; %bb.40:
	v_mov_b32_e32 v3, 0
	v_mov_b32_e32 v5, 0
	v_add_nc_u32_e32 v31, -1, v0
	v_add_nc_u32_e32 v32, 0xb0, v35
	v_mov_b32_e32 v4, 0
	v_mov_b32_e32 v6, 0
	;; [unrolled: 1-line block ×3, first 2 shown]
	s_mov_b32 s7, 0
	.p2align	6
.LBB74_41:                              ; =>This Inner Loop Header: Depth=1
	s_clause 0x3
	buffer_load_dword v40, v33, s[0:3], 0 offen offset:8
	buffer_load_dword v41, v33, s[0:3], 0 offen offset:12
	buffer_load_dword v42, v33, s[0:3], 0 offen
	buffer_load_dword v43, v33, s[0:3], 0 offen offset:4
	ds_read_b128 v[36:39], v32
	v_add_nc_u32_e32 v31, 1, v31
	v_add_nc_u32_e32 v32, 16, v32
	;; [unrolled: 1-line block ×3, first 2 shown]
	v_cmp_lt_u32_e32 vcc_lo, 5, v31
	s_or_b32 s7, vcc_lo, s7
	s_waitcnt vmcnt(2) lgkmcnt(0)
	v_mul_f64 v[44:45], v[38:39], v[40:41]
	v_mul_f64 v[40:41], v[36:37], v[40:41]
	s_waitcnt vmcnt(0)
	v_fma_f64 v[36:37], v[36:37], v[42:43], -v[44:45]
	v_fma_f64 v[38:39], v[38:39], v[42:43], v[40:41]
	v_add_f64 v[5:6], v[5:6], v[36:37]
	v_add_f64 v[3:4], v[3:4], v[38:39]
	s_andn2_b32 exec_lo, exec_lo, s7
	s_cbranch_execnz .LBB74_41
; %bb.42:
	s_or_b32 exec_lo, exec_lo, s7
	v_mov_b32_e32 v31, 0
	ds_read_b128 v[31:34], v31 offset:112
	s_waitcnt lgkmcnt(0)
	v_mul_f64 v[36:37], v[3:4], v[33:34]
	v_mul_f64 v[33:34], v[5:6], v[33:34]
	v_fma_f64 v[5:6], v[5:6], v[31:32], -v[36:37]
	v_fma_f64 v[3:4], v[3:4], v[31:32], v[33:34]
	buffer_store_dword v6, off, s[0:3], 0 offset:116
	buffer_store_dword v5, off, s[0:3], 0 offset:112
	;; [unrolled: 1-line block ×4, first 2 shown]
.LBB74_43:
	s_or_b32 exec_lo, exec_lo, s6
	v_mov_b32_e32 v6, s16
	s_waitcnt_vscnt null, 0x0
	s_barrier
	buffer_gl0_inv
	s_mov_b32 s6, exec_lo
	s_clause 0x3
	buffer_load_dword v3, v6, s[0:3], 0 offen
	buffer_load_dword v4, v6, s[0:3], 0 offen offset:4
	buffer_load_dword v5, v6, s[0:3], 0 offen offset:8
	;; [unrolled: 1-line block ×3, first 2 shown]
	s_waitcnt vmcnt(0)
	ds_write_b128 v29, v[3:6]
	s_waitcnt lgkmcnt(0)
	s_barrier
	buffer_gl0_inv
	v_cmpx_gt_u32_e32 8, v0
	s_cbranch_execz .LBB74_47
; %bb.44:
	v_mov_b32_e32 v3, 0
	v_mov_b32_e32 v5, 0
	v_add_nc_u32_e32 v31, -1, v0
	v_add_nc_u32_e32 v32, 0xb0, v35
	v_mov_b32_e32 v4, 0
	v_mov_b32_e32 v6, 0
	;; [unrolled: 1-line block ×3, first 2 shown]
	s_mov_b32 s7, 0
	.p2align	6
.LBB74_45:                              ; =>This Inner Loop Header: Depth=1
	s_clause 0x3
	buffer_load_dword v40, v33, s[0:3], 0 offen offset:8
	buffer_load_dword v41, v33, s[0:3], 0 offen offset:12
	buffer_load_dword v42, v33, s[0:3], 0 offen
	buffer_load_dword v43, v33, s[0:3], 0 offen offset:4
	ds_read_b128 v[36:39], v32
	v_add_nc_u32_e32 v31, 1, v31
	v_add_nc_u32_e32 v32, 16, v32
	;; [unrolled: 1-line block ×3, first 2 shown]
	v_cmp_lt_u32_e32 vcc_lo, 6, v31
	s_or_b32 s7, vcc_lo, s7
	s_waitcnt vmcnt(2) lgkmcnt(0)
	v_mul_f64 v[44:45], v[38:39], v[40:41]
	v_mul_f64 v[40:41], v[36:37], v[40:41]
	s_waitcnt vmcnt(0)
	v_fma_f64 v[36:37], v[36:37], v[42:43], -v[44:45]
	v_fma_f64 v[38:39], v[38:39], v[42:43], v[40:41]
	v_add_f64 v[5:6], v[5:6], v[36:37]
	v_add_f64 v[3:4], v[3:4], v[38:39]
	s_andn2_b32 exec_lo, exec_lo, s7
	s_cbranch_execnz .LBB74_45
; %bb.46:
	s_or_b32 exec_lo, exec_lo, s7
	v_mov_b32_e32 v31, 0
	ds_read_b128 v[31:34], v31 offset:128
	s_waitcnt lgkmcnt(0)
	v_mul_f64 v[36:37], v[3:4], v[33:34]
	v_mul_f64 v[33:34], v[5:6], v[33:34]
	v_fma_f64 v[5:6], v[5:6], v[31:32], -v[36:37]
	v_fma_f64 v[3:4], v[3:4], v[31:32], v[33:34]
	buffer_store_dword v6, off, s[0:3], 0 offset:132
	buffer_store_dword v5, off, s[0:3], 0 offset:128
	;; [unrolled: 1-line block ×4, first 2 shown]
.LBB74_47:
	s_or_b32 exec_lo, exec_lo, s6
	v_mov_b32_e32 v6, s13
	s_waitcnt_vscnt null, 0x0
	s_barrier
	buffer_gl0_inv
	s_mov_b32 s6, exec_lo
	s_clause 0x3
	buffer_load_dword v3, v6, s[0:3], 0 offen
	buffer_load_dword v4, v6, s[0:3], 0 offen offset:4
	buffer_load_dword v5, v6, s[0:3], 0 offen offset:8
	;; [unrolled: 1-line block ×3, first 2 shown]
	s_waitcnt vmcnt(0)
	ds_write_b128 v29, v[3:6]
	s_waitcnt lgkmcnt(0)
	s_barrier
	buffer_gl0_inv
	v_cmpx_gt_u32_e32 9, v0
	s_cbranch_execz .LBB74_51
; %bb.48:
	v_mov_b32_e32 v3, 0
	v_mov_b32_e32 v5, 0
	v_add_nc_u32_e32 v31, -1, v0
	v_add_nc_u32_e32 v32, 0xb0, v35
	v_mov_b32_e32 v4, 0
	v_mov_b32_e32 v6, 0
	v_mov_b32_e32 v33, v35
	s_mov_b32 s7, 0
	.p2align	6
.LBB74_49:                              ; =>This Inner Loop Header: Depth=1
	s_clause 0x3
	buffer_load_dword v40, v33, s[0:3], 0 offen offset:8
	buffer_load_dword v41, v33, s[0:3], 0 offen offset:12
	buffer_load_dword v42, v33, s[0:3], 0 offen
	buffer_load_dword v43, v33, s[0:3], 0 offen offset:4
	ds_read_b128 v[36:39], v32
	v_add_nc_u32_e32 v31, 1, v31
	v_add_nc_u32_e32 v32, 16, v32
	;; [unrolled: 1-line block ×3, first 2 shown]
	v_cmp_lt_u32_e32 vcc_lo, 7, v31
	s_or_b32 s7, vcc_lo, s7
	s_waitcnt vmcnt(2) lgkmcnt(0)
	v_mul_f64 v[44:45], v[38:39], v[40:41]
	v_mul_f64 v[40:41], v[36:37], v[40:41]
	s_waitcnt vmcnt(0)
	v_fma_f64 v[36:37], v[36:37], v[42:43], -v[44:45]
	v_fma_f64 v[38:39], v[38:39], v[42:43], v[40:41]
	v_add_f64 v[5:6], v[5:6], v[36:37]
	v_add_f64 v[3:4], v[3:4], v[38:39]
	s_andn2_b32 exec_lo, exec_lo, s7
	s_cbranch_execnz .LBB74_49
; %bb.50:
	s_or_b32 exec_lo, exec_lo, s7
	v_mov_b32_e32 v31, 0
	ds_read_b128 v[31:34], v31 offset:144
	s_waitcnt lgkmcnt(0)
	v_mul_f64 v[36:37], v[3:4], v[33:34]
	v_mul_f64 v[33:34], v[5:6], v[33:34]
	v_fma_f64 v[5:6], v[5:6], v[31:32], -v[36:37]
	v_fma_f64 v[3:4], v[3:4], v[31:32], v[33:34]
	buffer_store_dword v6, off, s[0:3], 0 offset:148
	buffer_store_dword v5, off, s[0:3], 0 offset:144
	buffer_store_dword v4, off, s[0:3], 0 offset:156
	buffer_store_dword v3, off, s[0:3], 0 offset:152
.LBB74_51:
	s_or_b32 exec_lo, exec_lo, s6
	v_mov_b32_e32 v6, s12
	s_waitcnt_vscnt null, 0x0
	s_barrier
	buffer_gl0_inv
	s_mov_b32 s6, exec_lo
	s_clause 0x3
	buffer_load_dword v3, v6, s[0:3], 0 offen
	buffer_load_dword v4, v6, s[0:3], 0 offen offset:4
	buffer_load_dword v5, v6, s[0:3], 0 offen offset:8
	buffer_load_dword v6, v6, s[0:3], 0 offen offset:12
	s_waitcnt vmcnt(0)
	ds_write_b128 v29, v[3:6]
	s_waitcnt lgkmcnt(0)
	s_barrier
	buffer_gl0_inv
	v_cmpx_ne_u32_e32 10, v0
	s_cbranch_execz .LBB74_55
; %bb.52:
	v_mov_b32_e32 v3, 0
	v_mov_b32_e32 v5, 0
	;; [unrolled: 1-line block ×5, first 2 shown]
	s_mov_b32 s7, 0
	.p2align	6
.LBB74_53:                              ; =>This Inner Loop Header: Depth=1
	s_clause 0x3
	buffer_load_dword v36, v31, s[0:3], 0 offen offset:8
	buffer_load_dword v37, v31, s[0:3], 0 offen offset:12
	buffer_load_dword v38, v31, s[0:3], 0 offen
	buffer_load_dword v39, v31, s[0:3], 0 offen offset:4
	ds_read_b128 v[32:35], v29
	v_add_nc_u32_e32 v30, 1, v30
	v_add_nc_u32_e32 v29, 16, v29
	;; [unrolled: 1-line block ×3, first 2 shown]
	v_cmp_lt_u32_e32 vcc_lo, 8, v30
	s_or_b32 s7, vcc_lo, s7
	s_waitcnt vmcnt(2) lgkmcnt(0)
	v_mul_f64 v[40:41], v[34:35], v[36:37]
	v_mul_f64 v[36:37], v[32:33], v[36:37]
	s_waitcnt vmcnt(0)
	v_fma_f64 v[32:33], v[32:33], v[38:39], -v[40:41]
	v_fma_f64 v[34:35], v[34:35], v[38:39], v[36:37]
	v_add_f64 v[5:6], v[5:6], v[32:33]
	v_add_f64 v[3:4], v[3:4], v[34:35]
	s_andn2_b32 exec_lo, exec_lo, s7
	s_cbranch_execnz .LBB74_53
; %bb.54:
	s_or_b32 exec_lo, exec_lo, s7
	v_mov_b32_e32 v29, 0
	ds_read_b128 v[29:32], v29 offset:160
	s_waitcnt lgkmcnt(0)
	v_mul_f64 v[33:34], v[3:4], v[31:32]
	v_mul_f64 v[31:32], v[5:6], v[31:32]
	v_fma_f64 v[5:6], v[5:6], v[29:30], -v[33:34]
	v_fma_f64 v[3:4], v[3:4], v[29:30], v[31:32]
	buffer_store_dword v6, off, s[0:3], 0 offset:164
	buffer_store_dword v5, off, s[0:3], 0 offset:160
	buffer_store_dword v4, off, s[0:3], 0 offset:172
	buffer_store_dword v3, off, s[0:3], 0 offset:168
.LBB74_55:
	s_or_b32 exec_lo, exec_lo, s6
	s_mov_b32 s7, -1
	s_waitcnt_vscnt null, 0x0
	s_barrier
	buffer_gl0_inv
.LBB74_56:
	s_and_b32 vcc_lo, exec_lo, s7
	s_cbranch_vccz .LBB74_58
; %bb.57:
	s_lshl_b64 s[6:7], s[8:9], 2
	v_mov_b32_e32 v3, 0
	s_add_u32 s6, s14, s6
	s_addc_u32 s7, s15, s7
	global_load_dword v3, v3, s[6:7]
	s_waitcnt vmcnt(0)
	v_cmp_ne_u32_e32 vcc_lo, 0, v3
	s_cbranch_vccz .LBB74_59
.LBB74_58:
	s_endpgm
.LBB74_59:
	v_lshl_add_u32 v3, v0, 4, 0xb0
	s_mov_b32 s6, exec_lo
	v_cmpx_eq_u32_e32 10, v0
	s_cbranch_execz .LBB74_61
; %bb.60:
	v_mov_b32_e32 v4, s13
	s_clause 0x3
	buffer_load_dword v29, v4, s[0:3], 0 offen
	buffer_load_dword v30, v4, s[0:3], 0 offen offset:4
	buffer_load_dword v31, v4, s[0:3], 0 offen offset:8
	;; [unrolled: 1-line block ×3, first 2 shown]
	v_mov_b32_e32 v4, 0
	buffer_store_dword v4, off, s[0:3], 0 offset:144
	buffer_store_dword v4, off, s[0:3], 0 offset:148
	;; [unrolled: 1-line block ×4, first 2 shown]
	s_waitcnt vmcnt(0)
	ds_write_b128 v3, v[29:32]
.LBB74_61:
	s_or_b32 exec_lo, exec_lo, s6
	s_waitcnt lgkmcnt(0)
	s_waitcnt_vscnt null, 0x0
	s_barrier
	buffer_gl0_inv
	s_clause 0x7
	buffer_load_dword v5, off, s[0:3], 0 offset:168
	buffer_load_dword v6, off, s[0:3], 0 offset:172
	;; [unrolled: 1-line block ×8, first 2 shown]
	v_mov_b32_e32 v4, 0
	s_mov_b32 s6, exec_lo
	ds_read_b128 v[29:32], v4 offset:336
	s_waitcnt vmcnt(6) lgkmcnt(0)
	v_mul_f64 v[39:40], v[31:32], v[5:6]
	v_mul_f64 v[5:6], v[29:30], v[5:6]
	s_waitcnt vmcnt(4)
	v_fma_f64 v[29:30], v[29:30], v[33:34], -v[39:40]
	v_fma_f64 v[5:6], v[31:32], v[33:34], v[5:6]
	v_add_f64 v[29:30], v[29:30], 0
	v_add_f64 v[5:6], v[5:6], 0
	s_waitcnt vmcnt(2)
	v_add_f64 v[29:30], v[35:36], -v[29:30]
	s_waitcnt vmcnt(0)
	v_add_f64 v[5:6], v[37:38], -v[5:6]
	buffer_store_dword v29, off, s[0:3], 0 offset:144
	buffer_store_dword v30, off, s[0:3], 0 offset:148
	buffer_store_dword v5, off, s[0:3], 0 offset:152
	buffer_store_dword v6, off, s[0:3], 0 offset:156
	v_cmpx_lt_u32_e32 8, v0
	s_cbranch_execz .LBB74_63
; %bb.62:
	v_mov_b32_e32 v5, s16
	s_clause 0x3
	buffer_load_dword v29, v5, s[0:3], 0 offen
	buffer_load_dword v30, v5, s[0:3], 0 offen offset:4
	buffer_load_dword v31, v5, s[0:3], 0 offen offset:8
	;; [unrolled: 1-line block ×3, first 2 shown]
	buffer_store_dword v4, off, s[0:3], 0 offset:128
	buffer_store_dword v4, off, s[0:3], 0 offset:132
	;; [unrolled: 1-line block ×4, first 2 shown]
	s_waitcnt vmcnt(0)
	ds_write_b128 v3, v[29:32]
.LBB74_63:
	s_or_b32 exec_lo, exec_lo, s6
	s_waitcnt lgkmcnt(0)
	s_waitcnt_vscnt null, 0x0
	s_barrier
	buffer_gl0_inv
	s_clause 0xb
	buffer_load_dword v5, off, s[0:3], 0 offset:152
	buffer_load_dword v6, off, s[0:3], 0 offset:156
	;; [unrolled: 1-line block ×12, first 2 shown]
	ds_read_b128 v[29:32], v4 offset:320
	ds_read_b128 v[33:36], v4 offset:336
	s_mov_b32 s6, exec_lo
	s_waitcnt vmcnt(10) lgkmcnt(1)
	v_mul_f64 v[47:48], v[31:32], v[5:6]
	v_mul_f64 v[4:5], v[29:30], v[5:6]
	s_waitcnt vmcnt(8) lgkmcnt(0)
	v_mul_f64 v[49:50], v[35:36], v[37:38]
	v_mul_f64 v[37:38], v[33:34], v[37:38]
	s_waitcnt vmcnt(6)
	v_fma_f64 v[29:30], v[29:30], v[39:40], -v[47:48]
	v_fma_f64 v[4:5], v[31:32], v[39:40], v[4:5]
	s_waitcnt vmcnt(4)
	v_fma_f64 v[31:32], v[33:34], v[41:42], -v[49:50]
	v_fma_f64 v[33:34], v[35:36], v[41:42], v[37:38]
	v_add_f64 v[29:30], v[29:30], 0
	v_add_f64 v[4:5], v[4:5], 0
	;; [unrolled: 1-line block ×4, first 2 shown]
	s_waitcnt vmcnt(2)
	v_add_f64 v[29:30], v[43:44], -v[29:30]
	s_waitcnt vmcnt(0)
	v_add_f64 v[4:5], v[45:46], -v[4:5]
	buffer_store_dword v29, off, s[0:3], 0 offset:128
	buffer_store_dword v30, off, s[0:3], 0 offset:132
	;; [unrolled: 1-line block ×4, first 2 shown]
	v_cmpx_lt_u32_e32 7, v0
	s_cbranch_execz .LBB74_65
; %bb.64:
	v_mov_b32_e32 v4, s17
	s_clause 0x3
	buffer_load_dword v29, v4, s[0:3], 0 offen
	buffer_load_dword v30, v4, s[0:3], 0 offen offset:4
	buffer_load_dword v31, v4, s[0:3], 0 offen offset:8
	;; [unrolled: 1-line block ×3, first 2 shown]
	v_mov_b32_e32 v4, 0
	buffer_store_dword v4, off, s[0:3], 0 offset:112
	buffer_store_dword v4, off, s[0:3], 0 offset:116
	;; [unrolled: 1-line block ×4, first 2 shown]
	s_waitcnt vmcnt(0)
	ds_write_b128 v3, v[29:32]
.LBB74_65:
	s_or_b32 exec_lo, exec_lo, s6
	s_waitcnt lgkmcnt(0)
	s_waitcnt_vscnt null, 0x0
	s_barrier
	buffer_gl0_inv
	s_clause 0xf
	buffer_load_dword v5, off, s[0:3], 0 offset:136
	buffer_load_dword v6, off, s[0:3], 0 offset:140
	;; [unrolled: 1-line block ×16, first 2 shown]
	v_mov_b32_e32 v4, 0
	ds_read_b128 v[29:32], v4 offset:304
	ds_read_b128 v[33:36], v4 offset:320
	;; [unrolled: 1-line block ×3, first 2 shown]
	s_mov_b32 s6, exec_lo
	s_waitcnt vmcnt(14) lgkmcnt(2)
	v_mul_f64 v[55:56], v[31:32], v[5:6]
	v_mul_f64 v[5:6], v[29:30], v[5:6]
	s_waitcnt vmcnt(12) lgkmcnt(1)
	v_mul_f64 v[57:58], v[35:36], v[41:42]
	v_mul_f64 v[41:42], v[33:34], v[41:42]
	s_waitcnt vmcnt(10)
	v_fma_f64 v[29:30], v[29:30], v[43:44], -v[55:56]
	v_fma_f64 v[5:6], v[31:32], v[43:44], v[5:6]
	s_waitcnt vmcnt(8) lgkmcnt(0)
	v_mul_f64 v[43:44], v[39:40], v[45:46]
	s_waitcnt vmcnt(6)
	v_fma_f64 v[33:34], v[33:34], v[47:48], -v[57:58]
	v_mul_f64 v[31:32], v[37:38], v[45:46]
	v_fma_f64 v[35:36], v[35:36], v[47:48], v[41:42]
	v_add_f64 v[29:30], v[29:30], 0
	v_add_f64 v[5:6], v[5:6], 0
	s_waitcnt vmcnt(4)
	v_fma_f64 v[37:38], v[37:38], v[49:50], -v[43:44]
	v_fma_f64 v[31:32], v[39:40], v[49:50], v[31:32]
	v_add_f64 v[29:30], v[29:30], v[33:34]
	v_add_f64 v[5:6], v[5:6], v[35:36]
	;; [unrolled: 1-line block ×4, first 2 shown]
	s_waitcnt vmcnt(2)
	v_add_f64 v[29:30], v[51:52], -v[29:30]
	s_waitcnt vmcnt(0)
	v_add_f64 v[5:6], v[53:54], -v[5:6]
	buffer_store_dword v29, off, s[0:3], 0 offset:112
	buffer_store_dword v30, off, s[0:3], 0 offset:116
	;; [unrolled: 1-line block ×4, first 2 shown]
	v_cmpx_lt_u32_e32 6, v0
	s_cbranch_execz .LBB74_67
; %bb.66:
	v_mov_b32_e32 v5, s18
	s_clause 0x3
	buffer_load_dword v29, v5, s[0:3], 0 offen
	buffer_load_dword v30, v5, s[0:3], 0 offen offset:4
	buffer_load_dword v31, v5, s[0:3], 0 offen offset:8
	;; [unrolled: 1-line block ×3, first 2 shown]
	buffer_store_dword v4, off, s[0:3], 0 offset:96
	buffer_store_dword v4, off, s[0:3], 0 offset:100
	;; [unrolled: 1-line block ×4, first 2 shown]
	s_waitcnt vmcnt(0)
	ds_write_b128 v3, v[29:32]
.LBB74_67:
	s_or_b32 exec_lo, exec_lo, s6
	s_waitcnt lgkmcnt(0)
	s_waitcnt_vscnt null, 0x0
	s_barrier
	buffer_gl0_inv
	s_clause 0x13
	buffer_load_dword v5, off, s[0:3], 0 offset:120
	buffer_load_dword v6, off, s[0:3], 0 offset:124
	;; [unrolled: 1-line block ×20, first 2 shown]
	ds_read_b128 v[29:32], v4 offset:288
	ds_read_b128 v[33:36], v4 offset:304
	;; [unrolled: 1-line block ×3, first 2 shown]
	s_mov_b32 s6, exec_lo
	s_waitcnt vmcnt(18) lgkmcnt(2)
	v_mul_f64 v[59:60], v[31:32], v[5:6]
	v_mul_f64 v[5:6], v[29:30], v[5:6]
	s_waitcnt vmcnt(16) lgkmcnt(1)
	v_mul_f64 v[61:62], v[35:36], v[41:42]
	v_mul_f64 v[41:42], v[33:34], v[41:42]
	s_waitcnt vmcnt(14)
	v_fma_f64 v[59:60], v[29:30], v[43:44], -v[59:60]
	v_fma_f64 v[5:6], v[31:32], v[43:44], v[5:6]
	ds_read_b128 v[29:32], v4 offset:336
	s_waitcnt vmcnt(12) lgkmcnt(1)
	v_mul_f64 v[43:44], v[37:38], v[45:46]
	v_mul_f64 v[45:46], v[39:40], v[45:46]
	s_waitcnt vmcnt(10)
	v_fma_f64 v[33:34], v[33:34], v[47:48], -v[61:62]
	v_fma_f64 v[35:36], v[35:36], v[47:48], v[41:42]
	s_waitcnt vmcnt(8) lgkmcnt(0)
	v_mul_f64 v[47:48], v[31:32], v[49:50]
	v_add_f64 v[59:60], v[59:60], 0
	v_add_f64 v[4:5], v[5:6], 0
	v_mul_f64 v[41:42], v[29:30], v[49:50]
	s_waitcnt vmcnt(6)
	v_fma_f64 v[37:38], v[37:38], v[51:52], -v[45:46]
	v_fma_f64 v[39:40], v[39:40], v[51:52], v[43:44]
	s_waitcnt vmcnt(4)
	v_fma_f64 v[29:30], v[29:30], v[53:54], -v[47:48]
	v_add_f64 v[33:34], v[59:60], v[33:34]
	v_add_f64 v[4:5], v[4:5], v[35:36]
	v_fma_f64 v[31:32], v[31:32], v[53:54], v[41:42]
	v_add_f64 v[33:34], v[33:34], v[37:38]
	v_add_f64 v[4:5], v[4:5], v[39:40]
	;; [unrolled: 1-line block ×4, first 2 shown]
	s_waitcnt vmcnt(2)
	v_add_f64 v[29:30], v[55:56], -v[29:30]
	s_waitcnt vmcnt(0)
	v_add_f64 v[4:5], v[57:58], -v[4:5]
	buffer_store_dword v29, off, s[0:3], 0 offset:96
	buffer_store_dword v30, off, s[0:3], 0 offset:100
	;; [unrolled: 1-line block ×4, first 2 shown]
	v_cmpx_lt_u32_e32 5, v0
	s_cbranch_execz .LBB74_69
; %bb.68:
	v_mov_b32_e32 v4, s19
	s_clause 0x3
	buffer_load_dword v29, v4, s[0:3], 0 offen
	buffer_load_dword v30, v4, s[0:3], 0 offen offset:4
	buffer_load_dword v31, v4, s[0:3], 0 offen offset:8
	;; [unrolled: 1-line block ×3, first 2 shown]
	v_mov_b32_e32 v4, 0
	buffer_store_dword v4, off, s[0:3], 0 offset:80
	buffer_store_dword v4, off, s[0:3], 0 offset:84
	;; [unrolled: 1-line block ×4, first 2 shown]
	s_waitcnt vmcnt(0)
	ds_write_b128 v3, v[29:32]
.LBB74_69:
	s_or_b32 exec_lo, exec_lo, s6
	s_waitcnt lgkmcnt(0)
	s_waitcnt_vscnt null, 0x0
	s_barrier
	buffer_gl0_inv
	s_clause 0x17
	buffer_load_dword v5, off, s[0:3], 0 offset:104
	buffer_load_dword v6, off, s[0:3], 0 offset:108
	;; [unrolled: 1-line block ×24, first 2 shown]
	v_mov_b32_e32 v4, 0
	ds_read_b128 v[29:32], v4 offset:272
	ds_read_b128 v[33:36], v4 offset:288
	;; [unrolled: 1-line block ×3, first 2 shown]
	s_mov_b32 s6, exec_lo
	s_waitcnt vmcnt(22) lgkmcnt(2)
	v_mul_f64 v[63:64], v[31:32], v[5:6]
	v_mul_f64 v[5:6], v[29:30], v[5:6]
	s_waitcnt vmcnt(20) lgkmcnt(1)
	v_mul_f64 v[65:66], v[35:36], v[41:42]
	v_mul_f64 v[41:42], v[33:34], v[41:42]
	s_waitcnt vmcnt(18)
	v_fma_f64 v[63:64], v[29:30], v[43:44], -v[63:64]
	v_fma_f64 v[5:6], v[31:32], v[43:44], v[5:6]
	ds_read_b128 v[29:32], v4 offset:320
	s_waitcnt vmcnt(16) lgkmcnt(1)
	v_mul_f64 v[43:44], v[37:38], v[45:46]
	v_mul_f64 v[45:46], v[39:40], v[45:46]
	s_waitcnt vmcnt(14)
	v_fma_f64 v[65:66], v[33:34], v[47:48], -v[65:66]
	v_fma_f64 v[41:42], v[35:36], v[47:48], v[41:42]
	ds_read_b128 v[33:36], v4 offset:336
	s_waitcnt vmcnt(10) lgkmcnt(1)
	v_mul_f64 v[47:48], v[29:30], v[49:50]
	v_add_f64 v[63:64], v[63:64], 0
	v_add_f64 v[5:6], v[5:6], 0
	v_mul_f64 v[49:50], v[31:32], v[49:50]
	s_waitcnt vmcnt(8)
	v_fma_f64 v[37:38], v[37:38], v[55:56], -v[45:46]
	v_fma_f64 v[39:40], v[39:40], v[55:56], v[43:44]
	s_waitcnt vmcnt(7) lgkmcnt(0)
	v_mul_f64 v[43:44], v[35:36], v[51:52]
	s_waitcnt vmcnt(5)
	v_fma_f64 v[31:32], v[31:32], v[57:58], v[47:48]
	v_add_f64 v[45:46], v[63:64], v[65:66]
	v_add_f64 v[5:6], v[5:6], v[41:42]
	v_fma_f64 v[29:30], v[29:30], v[57:58], -v[49:50]
	v_mul_f64 v[41:42], v[33:34], v[51:52]
	s_waitcnt vmcnt(4)
	v_fma_f64 v[33:34], v[33:34], v[53:54], -v[43:44]
	v_add_f64 v[37:38], v[45:46], v[37:38]
	v_add_f64 v[5:6], v[5:6], v[39:40]
	v_fma_f64 v[35:36], v[35:36], v[53:54], v[41:42]
	v_add_f64 v[29:30], v[37:38], v[29:30]
	v_add_f64 v[5:6], v[5:6], v[31:32]
	;; [unrolled: 1-line block ×4, first 2 shown]
	s_waitcnt vmcnt(2)
	v_add_f64 v[29:30], v[59:60], -v[29:30]
	s_waitcnt vmcnt(0)
	v_add_f64 v[5:6], v[61:62], -v[5:6]
	buffer_store_dword v30, off, s[0:3], 0 offset:84
	buffer_store_dword v29, off, s[0:3], 0 offset:80
	buffer_store_dword v6, off, s[0:3], 0 offset:92
	buffer_store_dword v5, off, s[0:3], 0 offset:88
	v_cmpx_lt_u32_e32 4, v0
	s_cbranch_execz .LBB74_71
; %bb.70:
	v_mov_b32_e32 v5, s20
	s_clause 0x3
	buffer_load_dword v29, v5, s[0:3], 0 offen
	buffer_load_dword v30, v5, s[0:3], 0 offen offset:4
	buffer_load_dword v31, v5, s[0:3], 0 offen offset:8
	;; [unrolled: 1-line block ×3, first 2 shown]
	buffer_store_dword v4, off, s[0:3], 0 offset:64
	buffer_store_dword v4, off, s[0:3], 0 offset:68
	;; [unrolled: 1-line block ×4, first 2 shown]
	s_waitcnt vmcnt(0)
	ds_write_b128 v3, v[29:32]
.LBB74_71:
	s_or_b32 exec_lo, exec_lo, s6
	s_waitcnt lgkmcnt(0)
	s_waitcnt_vscnt null, 0x0
	s_barrier
	buffer_gl0_inv
	s_clause 0x1b
	buffer_load_dword v5, off, s[0:3], 0 offset:88
	buffer_load_dword v6, off, s[0:3], 0 offset:92
	;; [unrolled: 1-line block ×28, first 2 shown]
	ds_read_b128 v[29:32], v4 offset:256
	ds_read_b128 v[33:36], v4 offset:272
	ds_read_b128 v[37:40], v4 offset:288
	s_mov_b32 s6, exec_lo
	s_waitcnt vmcnt(26) lgkmcnt(2)
	v_mul_f64 v[67:68], v[31:32], v[5:6]
	v_mul_f64 v[5:6], v[29:30], v[5:6]
	s_waitcnt vmcnt(24) lgkmcnt(1)
	v_mul_f64 v[69:70], v[35:36], v[41:42]
	v_mul_f64 v[41:42], v[33:34], v[41:42]
	s_waitcnt vmcnt(22)
	v_fma_f64 v[67:68], v[29:30], v[43:44], -v[67:68]
	v_fma_f64 v[5:6], v[31:32], v[43:44], v[5:6]
	ds_read_b128 v[29:32], v4 offset:304
	s_waitcnt vmcnt(20) lgkmcnt(1)
	v_mul_f64 v[43:44], v[37:38], v[45:46]
	v_mul_f64 v[45:46], v[39:40], v[45:46]
	s_waitcnt vmcnt(18)
	v_fma_f64 v[69:70], v[33:34], v[47:48], -v[69:70]
	v_fma_f64 v[41:42], v[35:36], v[47:48], v[41:42]
	ds_read_b128 v[33:36], v4 offset:320
	s_waitcnt vmcnt(14) lgkmcnt(1)
	v_mul_f64 v[47:48], v[29:30], v[49:50]
	v_add_f64 v[67:68], v[67:68], 0
	v_add_f64 v[5:6], v[5:6], 0
	v_mul_f64 v[49:50], v[31:32], v[49:50]
	s_waitcnt vmcnt(12)
	v_fma_f64 v[45:46], v[37:38], v[55:56], -v[45:46]
	v_fma_f64 v[43:44], v[39:40], v[55:56], v[43:44]
	ds_read_b128 v[37:40], v4 offset:336
	s_waitcnt vmcnt(9)
	v_fma_f64 v[31:32], v[31:32], v[57:58], v[47:48]
	v_add_f64 v[67:68], v[67:68], v[69:70]
	v_add_f64 v[5:6], v[5:6], v[41:42]
	s_waitcnt lgkmcnt(1)
	v_mul_f64 v[41:42], v[33:34], v[51:52]
	v_mul_f64 v[51:52], v[35:36], v[51:52]
	v_fma_f64 v[29:30], v[29:30], v[57:58], -v[49:50]
	s_waitcnt vmcnt(7) lgkmcnt(0)
	v_mul_f64 v[47:48], v[39:40], v[59:60]
	v_add_f64 v[45:46], v[67:68], v[45:46]
	v_add_f64 v[4:5], v[5:6], v[43:44]
	v_mul_f64 v[43:44], v[37:38], v[59:60]
	s_waitcnt vmcnt(6)
	v_fma_f64 v[33:34], v[33:34], v[53:54], -v[51:52]
	v_fma_f64 v[35:36], v[35:36], v[53:54], v[41:42]
	v_add_f64 v[29:30], v[45:46], v[29:30]
	v_add_f64 v[4:5], v[4:5], v[31:32]
	s_waitcnt vmcnt(4)
	v_fma_f64 v[31:32], v[37:38], v[61:62], -v[47:48]
	v_add_f64 v[29:30], v[29:30], v[33:34]
	v_fma_f64 v[33:34], v[39:40], v[61:62], v[43:44]
	v_add_f64 v[4:5], v[4:5], v[35:36]
	v_add_f64 v[29:30], v[29:30], v[31:32]
	;; [unrolled: 1-line block ×3, first 2 shown]
	s_waitcnt vmcnt(2)
	v_add_f64 v[29:30], v[63:64], -v[29:30]
	s_waitcnt vmcnt(0)
	v_add_f64 v[4:5], v[65:66], -v[4:5]
	buffer_store_dword v30, off, s[0:3], 0 offset:68
	buffer_store_dword v29, off, s[0:3], 0 offset:64
	;; [unrolled: 1-line block ×4, first 2 shown]
	v_cmpx_lt_u32_e32 3, v0
	s_cbranch_execz .LBB74_73
; %bb.72:
	v_mov_b32_e32 v4, s21
	s_clause 0x3
	buffer_load_dword v29, v4, s[0:3], 0 offen
	buffer_load_dword v30, v4, s[0:3], 0 offen offset:4
	buffer_load_dword v31, v4, s[0:3], 0 offen offset:8
	;; [unrolled: 1-line block ×3, first 2 shown]
	v_mov_b32_e32 v4, 0
	buffer_store_dword v4, off, s[0:3], 0 offset:48
	buffer_store_dword v4, off, s[0:3], 0 offset:52
	buffer_store_dword v4, off, s[0:3], 0 offset:56
	buffer_store_dword v4, off, s[0:3], 0 offset:60
	s_waitcnt vmcnt(0)
	ds_write_b128 v3, v[29:32]
.LBB74_73:
	s_or_b32 exec_lo, exec_lo, s6
	s_waitcnt lgkmcnt(0)
	s_waitcnt_vscnt null, 0x0
	s_barrier
	buffer_gl0_inv
	s_clause 0x1f
	buffer_load_dword v5, off, s[0:3], 0 offset:72
	buffer_load_dword v6, off, s[0:3], 0 offset:76
	;; [unrolled: 1-line block ×32, first 2 shown]
	v_mov_b32_e32 v4, 0
	ds_read_b128 v[29:32], v4 offset:240
	ds_read_b128 v[33:36], v4 offset:256
	;; [unrolled: 1-line block ×3, first 2 shown]
	s_mov_b32 s6, exec_lo
	s_waitcnt vmcnt(30) lgkmcnt(2)
	v_mul_f64 v[71:72], v[31:32], v[5:6]
	v_mul_f64 v[5:6], v[29:30], v[5:6]
	s_waitcnt vmcnt(28) lgkmcnt(1)
	v_mul_f64 v[73:74], v[35:36], v[41:42]
	v_mul_f64 v[41:42], v[33:34], v[41:42]
	s_waitcnt vmcnt(26)
	v_fma_f64 v[71:72], v[29:30], v[43:44], -v[71:72]
	v_fma_f64 v[5:6], v[31:32], v[43:44], v[5:6]
	ds_read_b128 v[29:32], v4 offset:288
	s_waitcnt vmcnt(24) lgkmcnt(1)
	v_mul_f64 v[43:44], v[37:38], v[45:46]
	v_mul_f64 v[45:46], v[39:40], v[45:46]
	s_waitcnt vmcnt(22)
	v_fma_f64 v[73:74], v[33:34], v[47:48], -v[73:74]
	v_fma_f64 v[41:42], v[35:36], v[47:48], v[41:42]
	ds_read_b128 v[33:36], v4 offset:304
	s_waitcnt vmcnt(18) lgkmcnt(1)
	v_mul_f64 v[47:48], v[29:30], v[49:50]
	v_add_f64 v[71:72], v[71:72], 0
	v_add_f64 v[5:6], v[5:6], 0
	v_mul_f64 v[49:50], v[31:32], v[49:50]
	s_waitcnt vmcnt(16)
	v_fma_f64 v[45:46], v[37:38], v[55:56], -v[45:46]
	v_fma_f64 v[43:44], v[39:40], v[55:56], v[43:44]
	ds_read_b128 v[37:40], v4 offset:320
	s_waitcnt vmcnt(13)
	v_fma_f64 v[47:48], v[31:32], v[57:58], v[47:48]
	v_add_f64 v[71:72], v[71:72], v[73:74]
	v_add_f64 v[5:6], v[5:6], v[41:42]
	s_waitcnt lgkmcnt(1)
	v_mul_f64 v[41:42], v[33:34], v[51:52]
	v_mul_f64 v[51:52], v[35:36], v[51:52]
	v_fma_f64 v[49:50], v[29:30], v[57:58], -v[49:50]
	s_waitcnt vmcnt(9) lgkmcnt(0)
	v_mul_f64 v[55:56], v[39:40], v[59:60]
	ds_read_b128 v[29:32], v4 offset:336
	v_add_f64 v[45:46], v[71:72], v[45:46]
	v_add_f64 v[5:6], v[5:6], v[43:44]
	v_mul_f64 v[43:44], v[37:38], v[59:60]
	s_waitcnt vmcnt(8)
	v_fma_f64 v[33:34], v[33:34], v[53:54], -v[51:52]
	v_fma_f64 v[35:36], v[35:36], v[53:54], v[41:42]
	s_waitcnt vmcnt(5)
	v_fma_f64 v[37:38], v[37:38], v[65:66], -v[55:56]
	s_waitcnt lgkmcnt(0)
	v_mul_f64 v[41:42], v[29:30], v[61:62]
	v_add_f64 v[45:46], v[45:46], v[49:50]
	v_add_f64 v[5:6], v[5:6], v[47:48]
	v_mul_f64 v[47:48], v[31:32], v[61:62]
	v_fma_f64 v[39:40], v[39:40], v[65:66], v[43:44]
	s_waitcnt vmcnt(4)
	v_fma_f64 v[31:32], v[31:32], v[63:64], v[41:42]
	v_add_f64 v[33:34], v[45:46], v[33:34]
	v_add_f64 v[5:6], v[5:6], v[35:36]
	v_fma_f64 v[29:30], v[29:30], v[63:64], -v[47:48]
	v_add_f64 v[33:34], v[33:34], v[37:38]
	v_add_f64 v[5:6], v[5:6], v[39:40]
	;; [unrolled: 1-line block ×4, first 2 shown]
	s_waitcnt vmcnt(2)
	v_add_f64 v[29:30], v[67:68], -v[29:30]
	s_waitcnt vmcnt(0)
	v_add_f64 v[5:6], v[69:70], -v[5:6]
	buffer_store_dword v30, off, s[0:3], 0 offset:52
	buffer_store_dword v29, off, s[0:3], 0 offset:48
	;; [unrolled: 1-line block ×4, first 2 shown]
	v_cmpx_lt_u32_e32 2, v0
	s_cbranch_execz .LBB74_75
; %bb.74:
	v_mov_b32_e32 v5, s22
	s_clause 0x3
	buffer_load_dword v29, v5, s[0:3], 0 offen
	buffer_load_dword v30, v5, s[0:3], 0 offen offset:4
	buffer_load_dword v31, v5, s[0:3], 0 offen offset:8
	;; [unrolled: 1-line block ×3, first 2 shown]
	buffer_store_dword v4, off, s[0:3], 0 offset:32
	buffer_store_dword v4, off, s[0:3], 0 offset:36
	;; [unrolled: 1-line block ×4, first 2 shown]
	s_waitcnt vmcnt(0)
	ds_write_b128 v3, v[29:32]
.LBB74_75:
	s_or_b32 exec_lo, exec_lo, s6
	s_waitcnt lgkmcnt(0)
	s_waitcnt_vscnt null, 0x0
	s_barrier
	buffer_gl0_inv
	s_clause 0x23
	buffer_load_dword v5, off, s[0:3], 0 offset:56
	buffer_load_dword v6, off, s[0:3], 0 offset:60
	;; [unrolled: 1-line block ×36, first 2 shown]
	ds_read_b128 v[29:32], v4 offset:224
	ds_read_b128 v[33:36], v4 offset:240
	;; [unrolled: 1-line block ×3, first 2 shown]
	s_mov_b32 s6, exec_lo
	s_waitcnt vmcnt(34) lgkmcnt(2)
	v_mul_f64 v[75:76], v[31:32], v[5:6]
	v_mul_f64 v[5:6], v[29:30], v[5:6]
	s_waitcnt vmcnt(32) lgkmcnt(1)
	v_mul_f64 v[77:78], v[35:36], v[41:42]
	v_mul_f64 v[41:42], v[33:34], v[41:42]
	s_waitcnt vmcnt(30)
	v_fma_f64 v[75:76], v[29:30], v[43:44], -v[75:76]
	v_fma_f64 v[5:6], v[31:32], v[43:44], v[5:6]
	ds_read_b128 v[29:32], v4 offset:272
	s_waitcnt vmcnt(28) lgkmcnt(1)
	v_mul_f64 v[43:44], v[37:38], v[45:46]
	v_mul_f64 v[45:46], v[39:40], v[45:46]
	s_waitcnt vmcnt(26)
	v_fma_f64 v[77:78], v[33:34], v[47:48], -v[77:78]
	v_fma_f64 v[41:42], v[35:36], v[47:48], v[41:42]
	ds_read_b128 v[33:36], v4 offset:288
	s_waitcnt vmcnt(22) lgkmcnt(1)
	v_mul_f64 v[47:48], v[29:30], v[49:50]
	v_add_f64 v[75:76], v[75:76], 0
	v_add_f64 v[5:6], v[5:6], 0
	v_mul_f64 v[49:50], v[31:32], v[49:50]
	s_waitcnt vmcnt(20)
	v_fma_f64 v[45:46], v[37:38], v[55:56], -v[45:46]
	v_fma_f64 v[43:44], v[39:40], v[55:56], v[43:44]
	ds_read_b128 v[37:40], v4 offset:304
	s_waitcnt vmcnt(17)
	v_fma_f64 v[47:48], v[31:32], v[57:58], v[47:48]
	v_add_f64 v[75:76], v[75:76], v[77:78]
	v_add_f64 v[5:6], v[5:6], v[41:42]
	s_waitcnt lgkmcnt(1)
	v_mul_f64 v[41:42], v[33:34], v[51:52]
	v_mul_f64 v[51:52], v[35:36], v[51:52]
	v_fma_f64 v[49:50], v[29:30], v[57:58], -v[49:50]
	s_waitcnt vmcnt(13) lgkmcnt(0)
	v_mul_f64 v[55:56], v[39:40], v[59:60]
	ds_read_b128 v[29:32], v4 offset:320
	v_add_f64 v[45:46], v[75:76], v[45:46]
	v_add_f64 v[5:6], v[5:6], v[43:44]
	v_mul_f64 v[43:44], v[37:38], v[59:60]
	s_waitcnt vmcnt(12)
	v_fma_f64 v[51:52], v[33:34], v[53:54], -v[51:52]
	v_fma_f64 v[41:42], v[35:36], v[53:54], v[41:42]
	ds_read_b128 v[33:36], v4 offset:336
	s_waitcnt vmcnt(9)
	v_fma_f64 v[37:38], v[37:38], v[65:66], -v[55:56]
	v_add_f64 v[45:46], v[45:46], v[49:50]
	v_add_f64 v[5:6], v[5:6], v[47:48]
	s_waitcnt lgkmcnt(1)
	v_mul_f64 v[49:50], v[31:32], v[61:62]
	v_mul_f64 v[47:48], v[29:30], v[61:62]
	v_fma_f64 v[39:40], v[39:40], v[65:66], v[43:44]
	s_waitcnt vmcnt(7) lgkmcnt(0)
	v_mul_f64 v[43:44], v[35:36], v[67:68]
	v_add_f64 v[45:46], v[45:46], v[51:52]
	v_add_f64 v[4:5], v[5:6], v[41:42]
	s_waitcnt vmcnt(6)
	v_fma_f64 v[29:30], v[29:30], v[63:64], -v[49:50]
	v_mul_f64 v[41:42], v[33:34], v[67:68]
	v_fma_f64 v[31:32], v[31:32], v[63:64], v[47:48]
	s_waitcnt vmcnt(4)
	v_fma_f64 v[33:34], v[33:34], v[69:70], -v[43:44]
	v_add_f64 v[37:38], v[45:46], v[37:38]
	v_add_f64 v[4:5], v[4:5], v[39:40]
	v_fma_f64 v[35:36], v[35:36], v[69:70], v[41:42]
	v_add_f64 v[29:30], v[37:38], v[29:30]
	v_add_f64 v[4:5], v[4:5], v[31:32]
	;; [unrolled: 1-line block ×4, first 2 shown]
	s_waitcnt vmcnt(2)
	v_add_f64 v[29:30], v[71:72], -v[29:30]
	s_waitcnt vmcnt(0)
	v_add_f64 v[4:5], v[73:74], -v[4:5]
	buffer_store_dword v30, off, s[0:3], 0 offset:36
	buffer_store_dword v29, off, s[0:3], 0 offset:32
	buffer_store_dword v5, off, s[0:3], 0 offset:44
	buffer_store_dword v4, off, s[0:3], 0 offset:40
	v_cmpx_lt_u32_e32 1, v0
	s_cbranch_execz .LBB74_77
; %bb.76:
	v_mov_b32_e32 v4, s23
	s_clause 0x3
	buffer_load_dword v29, v4, s[0:3], 0 offen
	buffer_load_dword v30, v4, s[0:3], 0 offen offset:4
	buffer_load_dword v31, v4, s[0:3], 0 offen offset:8
	;; [unrolled: 1-line block ×3, first 2 shown]
	v_mov_b32_e32 v4, 0
	buffer_store_dword v4, off, s[0:3], 0 offset:16
	buffer_store_dword v4, off, s[0:3], 0 offset:20
	;; [unrolled: 1-line block ×4, first 2 shown]
	s_waitcnt vmcnt(0)
	ds_write_b128 v3, v[29:32]
.LBB74_77:
	s_or_b32 exec_lo, exec_lo, s6
	s_waitcnt lgkmcnt(0)
	s_waitcnt_vscnt null, 0x0
	s_barrier
	buffer_gl0_inv
	s_clause 0x27
	buffer_load_dword v5, off, s[0:3], 0 offset:40
	buffer_load_dword v6, off, s[0:3], 0 offset:44
	;; [unrolled: 1-line block ×40, first 2 shown]
	v_mov_b32_e32 v4, 0
	ds_read_b128 v[29:32], v4 offset:208
	ds_read_b128 v[33:36], v4 offset:224
	;; [unrolled: 1-line block ×3, first 2 shown]
	s_mov_b32 s6, exec_lo
	s_waitcnt vmcnt(38) lgkmcnt(2)
	v_mul_f64 v[79:80], v[31:32], v[5:6]
	v_mul_f64 v[5:6], v[29:30], v[5:6]
	s_waitcnt vmcnt(36) lgkmcnt(1)
	v_mul_f64 v[81:82], v[35:36], v[41:42]
	v_mul_f64 v[41:42], v[33:34], v[41:42]
	s_waitcnt vmcnt(34)
	v_fma_f64 v[79:80], v[29:30], v[43:44], -v[79:80]
	v_fma_f64 v[5:6], v[31:32], v[43:44], v[5:6]
	ds_read_b128 v[29:32], v4 offset:256
	s_waitcnt vmcnt(32) lgkmcnt(1)
	v_mul_f64 v[43:44], v[37:38], v[45:46]
	v_mul_f64 v[45:46], v[39:40], v[45:46]
	s_waitcnt vmcnt(30)
	v_fma_f64 v[81:82], v[33:34], v[47:48], -v[81:82]
	v_fma_f64 v[41:42], v[35:36], v[47:48], v[41:42]
	ds_read_b128 v[33:36], v4 offset:272
	s_waitcnt vmcnt(26) lgkmcnt(1)
	v_mul_f64 v[47:48], v[29:30], v[49:50]
	v_add_f64 v[79:80], v[79:80], 0
	v_add_f64 v[5:6], v[5:6], 0
	v_mul_f64 v[49:50], v[31:32], v[49:50]
	s_waitcnt vmcnt(24)
	v_fma_f64 v[45:46], v[37:38], v[55:56], -v[45:46]
	v_fma_f64 v[43:44], v[39:40], v[55:56], v[43:44]
	ds_read_b128 v[37:40], v4 offset:288
	s_waitcnt vmcnt(21)
	v_fma_f64 v[47:48], v[31:32], v[57:58], v[47:48]
	v_add_f64 v[79:80], v[79:80], v[81:82]
	v_add_f64 v[5:6], v[5:6], v[41:42]
	s_waitcnt lgkmcnt(1)
	v_mul_f64 v[41:42], v[33:34], v[51:52]
	v_mul_f64 v[51:52], v[35:36], v[51:52]
	v_fma_f64 v[49:50], v[29:30], v[57:58], -v[49:50]
	s_waitcnt vmcnt(17) lgkmcnt(0)
	v_mul_f64 v[55:56], v[39:40], v[59:60]
	ds_read_b128 v[29:32], v4 offset:304
	v_add_f64 v[45:46], v[79:80], v[45:46]
	v_add_f64 v[5:6], v[5:6], v[43:44]
	v_mul_f64 v[43:44], v[37:38], v[59:60]
	s_waitcnt vmcnt(16)
	v_fma_f64 v[51:52], v[33:34], v[53:54], -v[51:52]
	v_fma_f64 v[41:42], v[35:36], v[53:54], v[41:42]
	ds_read_b128 v[33:36], v4 offset:320
	s_waitcnt vmcnt(13)
	v_fma_f64 v[53:54], v[37:38], v[65:66], -v[55:56]
	v_add_f64 v[45:46], v[45:46], v[49:50]
	v_add_f64 v[5:6], v[5:6], v[47:48]
	s_waitcnt lgkmcnt(1)
	v_mul_f64 v[49:50], v[31:32], v[61:62]
	v_mul_f64 v[47:48], v[29:30], v[61:62]
	v_fma_f64 v[43:44], v[39:40], v[65:66], v[43:44]
	ds_read_b128 v[37:40], v4 offset:336
	v_add_f64 v[45:46], v[45:46], v[51:52]
	v_add_f64 v[5:6], v[5:6], v[41:42]
	s_waitcnt vmcnt(9) lgkmcnt(1)
	v_mul_f64 v[51:52], v[35:36], v[67:68]
	s_waitcnt vmcnt(8)
	v_fma_f64 v[29:30], v[29:30], v[63:64], -v[49:50]
	v_mul_f64 v[41:42], v[33:34], v[67:68]
	v_fma_f64 v[31:32], v[31:32], v[63:64], v[47:48]
	s_waitcnt vmcnt(7) lgkmcnt(0)
	v_mul_f64 v[47:48], v[39:40], v[69:70]
	v_add_f64 v[45:46], v[45:46], v[53:54]
	v_add_f64 v[5:6], v[5:6], v[43:44]
	s_waitcnt vmcnt(5)
	v_fma_f64 v[33:34], v[33:34], v[73:74], -v[51:52]
	v_mul_f64 v[43:44], v[37:38], v[69:70]
	v_fma_f64 v[35:36], v[35:36], v[73:74], v[41:42]
	v_add_f64 v[29:30], v[45:46], v[29:30]
	v_add_f64 v[5:6], v[5:6], v[31:32]
	s_waitcnt vmcnt(4)
	v_fma_f64 v[31:32], v[37:38], v[71:72], -v[47:48]
	v_add_f64 v[29:30], v[29:30], v[33:34]
	v_fma_f64 v[33:34], v[39:40], v[71:72], v[43:44]
	v_add_f64 v[5:6], v[5:6], v[35:36]
	v_add_f64 v[29:30], v[29:30], v[31:32]
	;; [unrolled: 1-line block ×3, first 2 shown]
	s_waitcnt vmcnt(2)
	v_add_f64 v[29:30], v[75:76], -v[29:30]
	s_waitcnt vmcnt(0)
	v_add_f64 v[5:6], v[77:78], -v[5:6]
	buffer_store_dword v30, off, s[0:3], 0 offset:20
	buffer_store_dword v29, off, s[0:3], 0 offset:16
	;; [unrolled: 1-line block ×4, first 2 shown]
	v_cmpx_ne_u32_e32 0, v0
	s_cbranch_execz .LBB74_79
; %bb.78:
	s_clause 0x3
	buffer_load_dword v29, off, s[0:3], 0
	buffer_load_dword v30, off, s[0:3], 0 offset:4
	buffer_load_dword v31, off, s[0:3], 0 offset:8
	;; [unrolled: 1-line block ×3, first 2 shown]
	buffer_store_dword v4, off, s[0:3], 0
	buffer_store_dword v4, off, s[0:3], 0 offset:4
	buffer_store_dword v4, off, s[0:3], 0 offset:8
	;; [unrolled: 1-line block ×3, first 2 shown]
	s_waitcnt vmcnt(0)
	ds_write_b128 v3, v[29:32]
.LBB74_79:
	s_or_b32 exec_lo, exec_lo, s6
	s_waitcnt lgkmcnt(0)
	s_waitcnt_vscnt null, 0x0
	s_barrier
	buffer_gl0_inv
	s_clause 0x2b
	buffer_load_dword v5, off, s[0:3], 0 offset:24
	buffer_load_dword v6, off, s[0:3], 0 offset:28
	;; [unrolled: 1-line block ×40, first 2 shown]
	buffer_load_dword v79, off, s[0:3], 0
	buffer_load_dword v80, off, s[0:3], 0 offset:4
	buffer_load_dword v81, off, s[0:3], 0 offset:8
	;; [unrolled: 1-line block ×3, first 2 shown]
	ds_read_b128 v[29:32], v4 offset:192
	ds_read_b128 v[33:36], v4 offset:208
	;; [unrolled: 1-line block ×3, first 2 shown]
	s_and_b32 vcc_lo, exec_lo, s24
	s_waitcnt vmcnt(42) lgkmcnt(2)
	v_mul_f64 v[83:84], v[31:32], v[5:6]
	v_mul_f64 v[5:6], v[29:30], v[5:6]
	s_waitcnt vmcnt(40) lgkmcnt(1)
	v_mul_f64 v[85:86], v[35:36], v[41:42]
	v_mul_f64 v[41:42], v[33:34], v[41:42]
	s_waitcnt vmcnt(38)
	v_fma_f64 v[83:84], v[29:30], v[43:44], -v[83:84]
	v_fma_f64 v[5:6], v[31:32], v[43:44], v[5:6]
	ds_read_b128 v[29:32], v4 offset:240
	s_waitcnt vmcnt(36) lgkmcnt(1)
	v_mul_f64 v[43:44], v[37:38], v[45:46]
	v_mul_f64 v[45:46], v[39:40], v[45:46]
	s_waitcnt vmcnt(34)
	v_fma_f64 v[85:86], v[33:34], v[47:48], -v[85:86]
	v_fma_f64 v[41:42], v[35:36], v[47:48], v[41:42]
	ds_read_b128 v[33:36], v4 offset:256
	s_waitcnt vmcnt(30) lgkmcnt(1)
	v_mul_f64 v[47:48], v[29:30], v[49:50]
	v_add_f64 v[83:84], v[83:84], 0
	v_add_f64 v[5:6], v[5:6], 0
	v_mul_f64 v[49:50], v[31:32], v[49:50]
	s_waitcnt vmcnt(28)
	v_fma_f64 v[45:46], v[37:38], v[55:56], -v[45:46]
	v_fma_f64 v[43:44], v[39:40], v[55:56], v[43:44]
	ds_read_b128 v[37:40], v4 offset:272
	s_waitcnt vmcnt(25)
	v_fma_f64 v[47:48], v[31:32], v[57:58], v[47:48]
	v_add_f64 v[83:84], v[83:84], v[85:86]
	v_add_f64 v[5:6], v[5:6], v[41:42]
	s_waitcnt lgkmcnt(1)
	v_mul_f64 v[41:42], v[33:34], v[51:52]
	v_mul_f64 v[51:52], v[35:36], v[51:52]
	v_fma_f64 v[49:50], v[29:30], v[57:58], -v[49:50]
	s_waitcnt vmcnt(21) lgkmcnt(0)
	v_mul_f64 v[55:56], v[39:40], v[59:60]
	ds_read_b128 v[29:32], v4 offset:288
	v_add_f64 v[45:46], v[83:84], v[45:46]
	v_add_f64 v[5:6], v[5:6], v[43:44]
	v_mul_f64 v[43:44], v[37:38], v[59:60]
	s_waitcnt vmcnt(20)
	v_fma_f64 v[51:52], v[33:34], v[53:54], -v[51:52]
	v_fma_f64 v[41:42], v[35:36], v[53:54], v[41:42]
	ds_read_b128 v[33:36], v4 offset:304
	s_waitcnt vmcnt(17)
	v_fma_f64 v[53:54], v[37:38], v[65:66], -v[55:56]
	v_add_f64 v[45:46], v[45:46], v[49:50]
	v_add_f64 v[5:6], v[5:6], v[47:48]
	s_waitcnt lgkmcnt(1)
	v_mul_f64 v[49:50], v[31:32], v[61:62]
	v_mul_f64 v[47:48], v[29:30], v[61:62]
	v_fma_f64 v[43:44], v[39:40], v[65:66], v[43:44]
	ds_read_b128 v[37:40], v4 offset:320
	v_add_f64 v[45:46], v[45:46], v[51:52]
	v_add_f64 v[5:6], v[5:6], v[41:42]
	s_waitcnt vmcnt(13) lgkmcnt(1)
	v_mul_f64 v[51:52], v[35:36], v[67:68]
	s_waitcnt vmcnt(12)
	v_fma_f64 v[29:30], v[29:30], v[63:64], -v[49:50]
	v_mul_f64 v[41:42], v[33:34], v[67:68]
	v_fma_f64 v[31:32], v[31:32], v[63:64], v[47:48]
	s_waitcnt vmcnt(11) lgkmcnt(0)
	v_mul_f64 v[49:50], v[39:40], v[69:70]
	v_mul_f64 v[47:48], v[37:38], v[69:70]
	v_add_f64 v[45:46], v[45:46], v[53:54]
	v_add_f64 v[43:44], v[5:6], v[43:44]
	s_waitcnt vmcnt(9)
	v_fma_f64 v[33:34], v[33:34], v[73:74], -v[51:52]
	ds_read_b128 v[3:6], v4 offset:336
	v_fma_f64 v[35:36], v[35:36], v[73:74], v[41:42]
	s_waitcnt vmcnt(6)
	v_fma_f64 v[37:38], v[37:38], v[71:72], -v[49:50]
	v_add_f64 v[29:30], v[45:46], v[29:30]
	v_add_f64 v[31:32], v[43:44], v[31:32]
	s_waitcnt lgkmcnt(0)
	v_mul_f64 v[43:44], v[5:6], v[75:76]
	v_mul_f64 v[41:42], v[3:4], v[75:76]
	v_add_f64 v[29:30], v[29:30], v[33:34]
	v_fma_f64 v[33:34], v[39:40], v[71:72], v[47:48]
	v_add_f64 v[31:32], v[31:32], v[35:36]
	s_waitcnt vmcnt(4)
	v_fma_f64 v[3:4], v[3:4], v[77:78], -v[43:44]
	v_fma_f64 v[5:6], v[5:6], v[77:78], v[41:42]
	v_add_f64 v[29:30], v[29:30], v[37:38]
	v_add_f64 v[31:32], v[31:32], v[33:34]
	;; [unrolled: 1-line block ×4, first 2 shown]
	s_waitcnt vmcnt(2)
	v_add_f64 v[3:4], v[79:80], -v[3:4]
	s_waitcnt vmcnt(0)
	v_add_f64 v[5:6], v[81:82], -v[5:6]
	buffer_store_dword v4, off, s[0:3], 0 offset:4
	buffer_store_dword v3, off, s[0:3], 0
	buffer_store_dword v6, off, s[0:3], 0 offset:12
	buffer_store_dword v5, off, s[0:3], 0 offset:8
	s_cbranch_vccz .LBB74_100
; %bb.80:
	v_mov_b32_e32 v3, 0
	s_load_dwordx2 s[4:5], s[4:5], 0x4
	global_load_dword v4, v3, s[10:11] offset:36
	s_waitcnt lgkmcnt(0)
	s_lshr_b32 s4, s4, 16
	v_mul_u32_u24_e32 v5, s5, v1
	s_mul_i32 s4, s4, s5
	v_mul_u32_u24_e32 v0, s4, v0
	v_add3_u32 v0, v0, v5, v2
	v_lshl_add_u32 v0, v0, 4, 0x168
	s_waitcnt vmcnt(0)
	v_add_nc_u32_e32 v1, -1, v4
	v_cmp_ne_u32_e32 vcc_lo, 9, v1
	s_cbranch_vccz .LBB74_82
; %bb.81:
	v_lshlrev_b32_e32 v1, 4, v1
	v_mov_b32_e32 v6, s13
	v_mov_b32_e32 v29, v1
	s_clause 0x7
	buffer_load_dword v1, v6, s[0:3], 0 offen
	buffer_load_dword v2, v6, s[0:3], 0 offen offset:4
	buffer_load_dword v4, v6, s[0:3], 0 offen offset:8
	;; [unrolled: 1-line block ×3, first 2 shown]
	buffer_load_dword v30, v29, s[0:3], 0 offen
	buffer_load_dword v31, v29, s[0:3], 0 offen offset:4
	buffer_load_dword v32, v29, s[0:3], 0 offen offset:8
	;; [unrolled: 1-line block ×3, first 2 shown]
	s_waitcnt vmcnt(4)
	ds_write2_b64 v0, v[1:2], v[4:5] offset1:1
	s_waitcnt vmcnt(3)
	buffer_store_dword v30, v6, s[0:3], 0 offen
	s_waitcnt vmcnt(2)
	buffer_store_dword v31, v6, s[0:3], 0 offen offset:4
	s_waitcnt vmcnt(1)
	buffer_store_dword v32, v6, s[0:3], 0 offen offset:8
	;; [unrolled: 2-line block ×3, first 2 shown]
	buffer_store_dword v5, v29, s[0:3], 0 offen offset:12
	buffer_store_dword v4, v29, s[0:3], 0 offen offset:8
	;; [unrolled: 1-line block ×3, first 2 shown]
	buffer_store_dword v1, v29, s[0:3], 0 offen
.LBB74_82:
	global_load_dword v1, v3, s[10:11] offset:32
	s_waitcnt vmcnt(0)
	v_add_nc_u32_e32 v1, -1, v1
	v_cmp_eq_u32_e32 vcc_lo, 8, v1
	s_cbranch_vccnz .LBB74_84
; %bb.83:
	v_lshlrev_b32_e32 v1, 4, v1
	v_mov_b32_e32 v5, s16
	v_mov_b32_e32 v6, v1
	s_clause 0x7
	buffer_load_dword v1, v5, s[0:3], 0 offen
	buffer_load_dword v2, v5, s[0:3], 0 offen offset:4
	buffer_load_dword v3, v5, s[0:3], 0 offen offset:8
	;; [unrolled: 1-line block ×3, first 2 shown]
	buffer_load_dword v29, v6, s[0:3], 0 offen
	buffer_load_dword v30, v6, s[0:3], 0 offen offset:4
	buffer_load_dword v31, v6, s[0:3], 0 offen offset:8
	;; [unrolled: 1-line block ×3, first 2 shown]
	s_waitcnt vmcnt(4)
	ds_write2_b64 v0, v[1:2], v[3:4] offset1:1
	s_waitcnt vmcnt(3)
	buffer_store_dword v29, v5, s[0:3], 0 offen
	s_waitcnt vmcnt(2)
	buffer_store_dword v30, v5, s[0:3], 0 offen offset:4
	s_waitcnt vmcnt(1)
	buffer_store_dword v31, v5, s[0:3], 0 offen offset:8
	;; [unrolled: 2-line block ×3, first 2 shown]
	buffer_store_dword v4, v6, s[0:3], 0 offen offset:12
	buffer_store_dword v3, v6, s[0:3], 0 offen offset:8
	;; [unrolled: 1-line block ×3, first 2 shown]
	buffer_store_dword v1, v6, s[0:3], 0 offen
.LBB74_84:
	v_mov_b32_e32 v1, 0
	global_load_dword v2, v1, s[10:11] offset:28
	s_waitcnt vmcnt(0)
	v_add_nc_u32_e32 v2, -1, v2
	v_cmp_eq_u32_e32 vcc_lo, 7, v2
	s_cbranch_vccnz .LBB74_86
; %bb.85:
	v_lshlrev_b32_e32 v2, 4, v2
	v_mov_b32_e32 v6, s17
	v_mov_b32_e32 v29, v2
	s_clause 0x7
	buffer_load_dword v2, v6, s[0:3], 0 offen
	buffer_load_dword v3, v6, s[0:3], 0 offen offset:4
	buffer_load_dword v4, v6, s[0:3], 0 offen offset:8
	buffer_load_dword v5, v6, s[0:3], 0 offen offset:12
	buffer_load_dword v30, v29, s[0:3], 0 offen
	buffer_load_dword v31, v29, s[0:3], 0 offen offset:4
	buffer_load_dword v32, v29, s[0:3], 0 offen offset:8
	;; [unrolled: 1-line block ×3, first 2 shown]
	s_waitcnt vmcnt(4)
	ds_write2_b64 v0, v[2:3], v[4:5] offset1:1
	s_waitcnt vmcnt(3)
	buffer_store_dword v30, v6, s[0:3], 0 offen
	s_waitcnt vmcnt(2)
	buffer_store_dword v31, v6, s[0:3], 0 offen offset:4
	s_waitcnt vmcnt(1)
	buffer_store_dword v32, v6, s[0:3], 0 offen offset:8
	;; [unrolled: 2-line block ×3, first 2 shown]
	buffer_store_dword v5, v29, s[0:3], 0 offen offset:12
	buffer_store_dword v4, v29, s[0:3], 0 offen offset:8
	;; [unrolled: 1-line block ×3, first 2 shown]
	buffer_store_dword v2, v29, s[0:3], 0 offen
.LBB74_86:
	global_load_dword v1, v1, s[10:11] offset:24
	s_waitcnt vmcnt(0)
	v_add_nc_u32_e32 v1, -1, v1
	v_cmp_eq_u32_e32 vcc_lo, 6, v1
	s_cbranch_vccnz .LBB74_88
; %bb.87:
	v_lshlrev_b32_e32 v1, 4, v1
	v_mov_b32_e32 v5, s18
	v_mov_b32_e32 v6, v1
	s_clause 0x7
	buffer_load_dword v1, v5, s[0:3], 0 offen
	buffer_load_dword v2, v5, s[0:3], 0 offen offset:4
	buffer_load_dword v3, v5, s[0:3], 0 offen offset:8
	;; [unrolled: 1-line block ×3, first 2 shown]
	buffer_load_dword v29, v6, s[0:3], 0 offen
	buffer_load_dword v30, v6, s[0:3], 0 offen offset:4
	buffer_load_dword v31, v6, s[0:3], 0 offen offset:8
	;; [unrolled: 1-line block ×3, first 2 shown]
	s_waitcnt vmcnt(4)
	ds_write2_b64 v0, v[1:2], v[3:4] offset1:1
	s_waitcnt vmcnt(3)
	buffer_store_dword v29, v5, s[0:3], 0 offen
	s_waitcnt vmcnt(2)
	buffer_store_dword v30, v5, s[0:3], 0 offen offset:4
	s_waitcnt vmcnt(1)
	buffer_store_dword v31, v5, s[0:3], 0 offen offset:8
	;; [unrolled: 2-line block ×3, first 2 shown]
	buffer_store_dword v4, v6, s[0:3], 0 offen offset:12
	buffer_store_dword v3, v6, s[0:3], 0 offen offset:8
	;; [unrolled: 1-line block ×3, first 2 shown]
	buffer_store_dword v1, v6, s[0:3], 0 offen
.LBB74_88:
	v_mov_b32_e32 v1, 0
	global_load_dword v2, v1, s[10:11] offset:20
	s_waitcnt vmcnt(0)
	v_add_nc_u32_e32 v2, -1, v2
	v_cmp_eq_u32_e32 vcc_lo, 5, v2
	s_cbranch_vccnz .LBB74_90
; %bb.89:
	v_lshlrev_b32_e32 v2, 4, v2
	v_mov_b32_e32 v6, s19
	v_mov_b32_e32 v29, v2
	s_clause 0x7
	buffer_load_dword v2, v6, s[0:3], 0 offen
	buffer_load_dword v3, v6, s[0:3], 0 offen offset:4
	buffer_load_dword v4, v6, s[0:3], 0 offen offset:8
	;; [unrolled: 1-line block ×3, first 2 shown]
	buffer_load_dword v30, v29, s[0:3], 0 offen
	buffer_load_dword v31, v29, s[0:3], 0 offen offset:4
	buffer_load_dword v32, v29, s[0:3], 0 offen offset:8
	;; [unrolled: 1-line block ×3, first 2 shown]
	s_waitcnt vmcnt(4)
	ds_write2_b64 v0, v[2:3], v[4:5] offset1:1
	s_waitcnt vmcnt(3)
	buffer_store_dword v30, v6, s[0:3], 0 offen
	s_waitcnt vmcnt(2)
	buffer_store_dword v31, v6, s[0:3], 0 offen offset:4
	s_waitcnt vmcnt(1)
	buffer_store_dword v32, v6, s[0:3], 0 offen offset:8
	;; [unrolled: 2-line block ×3, first 2 shown]
	buffer_store_dword v5, v29, s[0:3], 0 offen offset:12
	buffer_store_dword v4, v29, s[0:3], 0 offen offset:8
	;; [unrolled: 1-line block ×3, first 2 shown]
	buffer_store_dword v2, v29, s[0:3], 0 offen
.LBB74_90:
	global_load_dword v1, v1, s[10:11] offset:16
	s_waitcnt vmcnt(0)
	v_add_nc_u32_e32 v1, -1, v1
	v_cmp_eq_u32_e32 vcc_lo, 4, v1
	s_cbranch_vccnz .LBB74_92
; %bb.91:
	v_lshlrev_b32_e32 v1, 4, v1
	v_mov_b32_e32 v5, s20
	v_mov_b32_e32 v6, v1
	s_clause 0x7
	buffer_load_dword v1, v5, s[0:3], 0 offen
	buffer_load_dword v2, v5, s[0:3], 0 offen offset:4
	buffer_load_dword v3, v5, s[0:3], 0 offen offset:8
	;; [unrolled: 1-line block ×3, first 2 shown]
	buffer_load_dword v29, v6, s[0:3], 0 offen
	buffer_load_dword v30, v6, s[0:3], 0 offen offset:4
	buffer_load_dword v31, v6, s[0:3], 0 offen offset:8
	buffer_load_dword v32, v6, s[0:3], 0 offen offset:12
	s_waitcnt vmcnt(4)
	ds_write2_b64 v0, v[1:2], v[3:4] offset1:1
	s_waitcnt vmcnt(3)
	buffer_store_dword v29, v5, s[0:3], 0 offen
	s_waitcnt vmcnt(2)
	buffer_store_dword v30, v5, s[0:3], 0 offen offset:4
	s_waitcnt vmcnt(1)
	buffer_store_dword v31, v5, s[0:3], 0 offen offset:8
	;; [unrolled: 2-line block ×3, first 2 shown]
	buffer_store_dword v4, v6, s[0:3], 0 offen offset:12
	buffer_store_dword v3, v6, s[0:3], 0 offen offset:8
	;; [unrolled: 1-line block ×3, first 2 shown]
	buffer_store_dword v1, v6, s[0:3], 0 offen
.LBB74_92:
	v_mov_b32_e32 v1, 0
	global_load_dword v2, v1, s[10:11] offset:12
	s_waitcnt vmcnt(0)
	v_add_nc_u32_e32 v2, -1, v2
	v_cmp_eq_u32_e32 vcc_lo, 3, v2
	s_cbranch_vccnz .LBB74_94
; %bb.93:
	v_lshlrev_b32_e32 v2, 4, v2
	v_mov_b32_e32 v6, s21
	v_mov_b32_e32 v29, v2
	s_clause 0x7
	buffer_load_dword v2, v6, s[0:3], 0 offen
	buffer_load_dword v3, v6, s[0:3], 0 offen offset:4
	buffer_load_dword v4, v6, s[0:3], 0 offen offset:8
	;; [unrolled: 1-line block ×3, first 2 shown]
	buffer_load_dword v30, v29, s[0:3], 0 offen
	buffer_load_dword v31, v29, s[0:3], 0 offen offset:4
	buffer_load_dword v32, v29, s[0:3], 0 offen offset:8
	;; [unrolled: 1-line block ×3, first 2 shown]
	s_waitcnt vmcnt(4)
	ds_write2_b64 v0, v[2:3], v[4:5] offset1:1
	s_waitcnt vmcnt(3)
	buffer_store_dword v30, v6, s[0:3], 0 offen
	s_waitcnt vmcnt(2)
	buffer_store_dword v31, v6, s[0:3], 0 offen offset:4
	s_waitcnt vmcnt(1)
	buffer_store_dword v32, v6, s[0:3], 0 offen offset:8
	;; [unrolled: 2-line block ×3, first 2 shown]
	buffer_store_dword v5, v29, s[0:3], 0 offen offset:12
	buffer_store_dword v4, v29, s[0:3], 0 offen offset:8
	buffer_store_dword v3, v29, s[0:3], 0 offen offset:4
	buffer_store_dword v2, v29, s[0:3], 0 offen
.LBB74_94:
	global_load_dword v1, v1, s[10:11] offset:8
	s_waitcnt vmcnt(0)
	v_add_nc_u32_e32 v1, -1, v1
	v_cmp_eq_u32_e32 vcc_lo, 2, v1
	s_cbranch_vccnz .LBB74_96
; %bb.95:
	v_lshlrev_b32_e32 v1, 4, v1
	v_mov_b32_e32 v5, s22
	v_mov_b32_e32 v6, v1
	s_clause 0x7
	buffer_load_dword v1, v5, s[0:3], 0 offen
	buffer_load_dword v2, v5, s[0:3], 0 offen offset:4
	buffer_load_dword v3, v5, s[0:3], 0 offen offset:8
	;; [unrolled: 1-line block ×3, first 2 shown]
	buffer_load_dword v29, v6, s[0:3], 0 offen
	buffer_load_dword v30, v6, s[0:3], 0 offen offset:4
	buffer_load_dword v31, v6, s[0:3], 0 offen offset:8
	;; [unrolled: 1-line block ×3, first 2 shown]
	s_waitcnt vmcnt(4)
	ds_write2_b64 v0, v[1:2], v[3:4] offset1:1
	s_waitcnt vmcnt(3)
	buffer_store_dword v29, v5, s[0:3], 0 offen
	s_waitcnt vmcnt(2)
	buffer_store_dword v30, v5, s[0:3], 0 offen offset:4
	s_waitcnt vmcnt(1)
	buffer_store_dword v31, v5, s[0:3], 0 offen offset:8
	;; [unrolled: 2-line block ×3, first 2 shown]
	buffer_store_dword v4, v6, s[0:3], 0 offen offset:12
	buffer_store_dword v3, v6, s[0:3], 0 offen offset:8
	;; [unrolled: 1-line block ×3, first 2 shown]
	buffer_store_dword v1, v6, s[0:3], 0 offen
.LBB74_96:
	v_mov_b32_e32 v1, 0
	global_load_dword v2, v1, s[10:11] offset:4
	s_waitcnt vmcnt(0)
	v_add_nc_u32_e32 v2, -1, v2
	v_cmp_eq_u32_e32 vcc_lo, 1, v2
	s_cbranch_vccnz .LBB74_98
; %bb.97:
	v_lshlrev_b32_e32 v2, 4, v2
	v_mov_b32_e32 v6, s23
	v_mov_b32_e32 v29, v2
	s_clause 0x7
	buffer_load_dword v2, v6, s[0:3], 0 offen
	buffer_load_dword v3, v6, s[0:3], 0 offen offset:4
	buffer_load_dword v4, v6, s[0:3], 0 offen offset:8
	buffer_load_dword v5, v6, s[0:3], 0 offen offset:12
	buffer_load_dword v30, v29, s[0:3], 0 offen
	buffer_load_dword v31, v29, s[0:3], 0 offen offset:4
	buffer_load_dword v32, v29, s[0:3], 0 offen offset:8
	;; [unrolled: 1-line block ×3, first 2 shown]
	s_waitcnt vmcnt(4)
	ds_write2_b64 v0, v[2:3], v[4:5] offset1:1
	s_waitcnt vmcnt(3)
	buffer_store_dword v30, v6, s[0:3], 0 offen
	s_waitcnt vmcnt(2)
	buffer_store_dword v31, v6, s[0:3], 0 offen offset:4
	s_waitcnt vmcnt(1)
	buffer_store_dword v32, v6, s[0:3], 0 offen offset:8
	s_waitcnt vmcnt(0)
	buffer_store_dword v33, v6, s[0:3], 0 offen offset:12
	buffer_store_dword v5, v29, s[0:3], 0 offen offset:12
	buffer_store_dword v4, v29, s[0:3], 0 offen offset:8
	;; [unrolled: 1-line block ×3, first 2 shown]
	buffer_store_dword v2, v29, s[0:3], 0 offen
.LBB74_98:
	global_load_dword v1, v1, s[10:11]
	s_waitcnt vmcnt(0)
	v_add_nc_u32_e32 v1, -1, v1
	v_cmp_eq_u32_e32 vcc_lo, 0, v1
	s_cbranch_vccnz .LBB74_100
; %bb.99:
	v_lshlrev_b32_e32 v1, 4, v1
	v_mov_b32_e32 v5, v1
	s_clause 0x7
	buffer_load_dword v1, off, s[0:3], 0
	buffer_load_dword v2, off, s[0:3], 0 offset:4
	buffer_load_dword v3, off, s[0:3], 0 offset:8
	;; [unrolled: 1-line block ×3, first 2 shown]
	buffer_load_dword v6, v5, s[0:3], 0 offen
	buffer_load_dword v29, v5, s[0:3], 0 offen offset:4
	buffer_load_dword v30, v5, s[0:3], 0 offen offset:8
	buffer_load_dword v31, v5, s[0:3], 0 offen offset:12
	s_waitcnt vmcnt(4)
	ds_write2_b64 v0, v[1:2], v[3:4] offset1:1
	s_waitcnt vmcnt(3)
	buffer_store_dword v6, off, s[0:3], 0
	s_waitcnt vmcnt(2)
	buffer_store_dword v29, off, s[0:3], 0 offset:4
	s_waitcnt vmcnt(1)
	buffer_store_dword v30, off, s[0:3], 0 offset:8
	;; [unrolled: 2-line block ×3, first 2 shown]
	buffer_store_dword v4, v5, s[0:3], 0 offen offset:12
	buffer_store_dword v3, v5, s[0:3], 0 offen offset:8
	;; [unrolled: 1-line block ×3, first 2 shown]
	buffer_store_dword v1, v5, s[0:3], 0 offen
.LBB74_100:
	s_clause 0x3
	buffer_load_dword v0, off, s[0:3], 0
	buffer_load_dword v1, off, s[0:3], 0 offset:4
	buffer_load_dword v2, off, s[0:3], 0 offset:8
	;; [unrolled: 1-line block ×3, first 2 shown]
	v_mov_b32_e32 v4, s23
	s_waitcnt vmcnt(0)
	flat_store_dwordx4 v[7:8], v[0:3]
	s_clause 0x3
	buffer_load_dword v0, v4, s[0:3], 0 offen
	buffer_load_dword v1, v4, s[0:3], 0 offen offset:4
	buffer_load_dword v2, v4, s[0:3], 0 offen offset:8
	buffer_load_dword v3, v4, s[0:3], 0 offen offset:12
	v_mov_b32_e32 v4, s22
	s_waitcnt vmcnt(0)
	flat_store_dwordx4 v[9:10], v[0:3]
	s_clause 0x3
	buffer_load_dword v0, v4, s[0:3], 0 offen
	buffer_load_dword v1, v4, s[0:3], 0 offen offset:4
	buffer_load_dword v2, v4, s[0:3], 0 offen offset:8
	buffer_load_dword v3, v4, s[0:3], 0 offen offset:12
	;; [unrolled: 8-line block ×10, first 2 shown]
	s_waitcnt vmcnt(0)
	flat_store_dwordx4 v[27:28], v[0:3]
	s_endpgm
	.section	.rodata,"a",@progbits
	.p2align	6, 0x0
	.amdhsa_kernel _ZN9rocsolver6v33100L18getri_kernel_smallILi11E19rocblas_complex_numIdEPKPS3_EEvT1_iilPiilS8_bb
		.amdhsa_group_segment_fixed_size 1384
		.amdhsa_private_segment_fixed_size 192
		.amdhsa_kernarg_size 60
		.amdhsa_user_sgpr_count 8
		.amdhsa_user_sgpr_private_segment_buffer 1
		.amdhsa_user_sgpr_dispatch_ptr 1
		.amdhsa_user_sgpr_queue_ptr 0
		.amdhsa_user_sgpr_kernarg_segment_ptr 1
		.amdhsa_user_sgpr_dispatch_id 0
		.amdhsa_user_sgpr_flat_scratch_init 0
		.amdhsa_user_sgpr_private_segment_size 0
		.amdhsa_wavefront_size32 1
		.amdhsa_uses_dynamic_stack 0
		.amdhsa_system_sgpr_private_segment_wavefront_offset 1
		.amdhsa_system_sgpr_workgroup_id_x 1
		.amdhsa_system_sgpr_workgroup_id_y 0
		.amdhsa_system_sgpr_workgroup_id_z 0
		.amdhsa_system_sgpr_workgroup_info 0
		.amdhsa_system_vgpr_workitem_id 2
		.amdhsa_next_free_vgpr 87
		.amdhsa_next_free_sgpr 28
		.amdhsa_reserve_vcc 1
		.amdhsa_reserve_flat_scratch 0
		.amdhsa_float_round_mode_32 0
		.amdhsa_float_round_mode_16_64 0
		.amdhsa_float_denorm_mode_32 3
		.amdhsa_float_denorm_mode_16_64 3
		.amdhsa_dx10_clamp 1
		.amdhsa_ieee_mode 1
		.amdhsa_fp16_overflow 0
		.amdhsa_workgroup_processor_mode 1
		.amdhsa_memory_ordered 1
		.amdhsa_forward_progress 1
		.amdhsa_shared_vgpr_count 0
		.amdhsa_exception_fp_ieee_invalid_op 0
		.amdhsa_exception_fp_denorm_src 0
		.amdhsa_exception_fp_ieee_div_zero 0
		.amdhsa_exception_fp_ieee_overflow 0
		.amdhsa_exception_fp_ieee_underflow 0
		.amdhsa_exception_fp_ieee_inexact 0
		.amdhsa_exception_int_div_zero 0
	.end_amdhsa_kernel
	.section	.text._ZN9rocsolver6v33100L18getri_kernel_smallILi11E19rocblas_complex_numIdEPKPS3_EEvT1_iilPiilS8_bb,"axG",@progbits,_ZN9rocsolver6v33100L18getri_kernel_smallILi11E19rocblas_complex_numIdEPKPS3_EEvT1_iilPiilS8_bb,comdat
.Lfunc_end74:
	.size	_ZN9rocsolver6v33100L18getri_kernel_smallILi11E19rocblas_complex_numIdEPKPS3_EEvT1_iilPiilS8_bb, .Lfunc_end74-_ZN9rocsolver6v33100L18getri_kernel_smallILi11E19rocblas_complex_numIdEPKPS3_EEvT1_iilPiilS8_bb
                                        ; -- End function
	.set _ZN9rocsolver6v33100L18getri_kernel_smallILi11E19rocblas_complex_numIdEPKPS3_EEvT1_iilPiilS8_bb.num_vgpr, 87
	.set _ZN9rocsolver6v33100L18getri_kernel_smallILi11E19rocblas_complex_numIdEPKPS3_EEvT1_iilPiilS8_bb.num_agpr, 0
	.set _ZN9rocsolver6v33100L18getri_kernel_smallILi11E19rocblas_complex_numIdEPKPS3_EEvT1_iilPiilS8_bb.numbered_sgpr, 28
	.set _ZN9rocsolver6v33100L18getri_kernel_smallILi11E19rocblas_complex_numIdEPKPS3_EEvT1_iilPiilS8_bb.num_named_barrier, 0
	.set _ZN9rocsolver6v33100L18getri_kernel_smallILi11E19rocblas_complex_numIdEPKPS3_EEvT1_iilPiilS8_bb.private_seg_size, 192
	.set _ZN9rocsolver6v33100L18getri_kernel_smallILi11E19rocblas_complex_numIdEPKPS3_EEvT1_iilPiilS8_bb.uses_vcc, 1
	.set _ZN9rocsolver6v33100L18getri_kernel_smallILi11E19rocblas_complex_numIdEPKPS3_EEvT1_iilPiilS8_bb.uses_flat_scratch, 0
	.set _ZN9rocsolver6v33100L18getri_kernel_smallILi11E19rocblas_complex_numIdEPKPS3_EEvT1_iilPiilS8_bb.has_dyn_sized_stack, 0
	.set _ZN9rocsolver6v33100L18getri_kernel_smallILi11E19rocblas_complex_numIdEPKPS3_EEvT1_iilPiilS8_bb.has_recursion, 0
	.set _ZN9rocsolver6v33100L18getri_kernel_smallILi11E19rocblas_complex_numIdEPKPS3_EEvT1_iilPiilS8_bb.has_indirect_call, 0
	.section	.AMDGPU.csdata,"",@progbits
; Kernel info:
; codeLenInByte = 15776
; TotalNumSgprs: 30
; NumVgprs: 87
; ScratchSize: 192
; MemoryBound: 0
; FloatMode: 240
; IeeeMode: 1
; LDSByteSize: 1384 bytes/workgroup (compile time only)
; SGPRBlocks: 0
; VGPRBlocks: 10
; NumSGPRsForWavesPerEU: 30
; NumVGPRsForWavesPerEU: 87
; Occupancy: 10
; WaveLimiterHint : 1
; COMPUTE_PGM_RSRC2:SCRATCH_EN: 1
; COMPUTE_PGM_RSRC2:USER_SGPR: 8
; COMPUTE_PGM_RSRC2:TRAP_HANDLER: 0
; COMPUTE_PGM_RSRC2:TGID_X_EN: 1
; COMPUTE_PGM_RSRC2:TGID_Y_EN: 0
; COMPUTE_PGM_RSRC2:TGID_Z_EN: 0
; COMPUTE_PGM_RSRC2:TIDIG_COMP_CNT: 2
	.section	.text._ZN9rocsolver6v33100L18getri_kernel_smallILi12E19rocblas_complex_numIdEPKPS3_EEvT1_iilPiilS8_bb,"axG",@progbits,_ZN9rocsolver6v33100L18getri_kernel_smallILi12E19rocblas_complex_numIdEPKPS3_EEvT1_iilPiilS8_bb,comdat
	.globl	_ZN9rocsolver6v33100L18getri_kernel_smallILi12E19rocblas_complex_numIdEPKPS3_EEvT1_iilPiilS8_bb ; -- Begin function _ZN9rocsolver6v33100L18getri_kernel_smallILi12E19rocblas_complex_numIdEPKPS3_EEvT1_iilPiilS8_bb
	.p2align	8
	.type	_ZN9rocsolver6v33100L18getri_kernel_smallILi12E19rocblas_complex_numIdEPKPS3_EEvT1_iilPiilS8_bb,@function
_ZN9rocsolver6v33100L18getri_kernel_smallILi12E19rocblas_complex_numIdEPKPS3_EEvT1_iilPiilS8_bb: ; @_ZN9rocsolver6v33100L18getri_kernel_smallILi12E19rocblas_complex_numIdEPKPS3_EEvT1_iilPiilS8_bb
; %bb.0:
	s_add_u32 s0, s0, s9
	s_addc_u32 s1, s1, 0
	s_mov_b32 s9, exec_lo
	v_cmpx_gt_u32_e32 12, v0
	s_cbranch_execz .LBB75_62
; %bb.1:
	s_clause 0x2
	s_load_dword s18, s[6:7], 0x38
	s_load_dwordx2 s[10:11], s[6:7], 0x0
	s_load_dwordx4 s[12:15], s[6:7], 0x28
	s_waitcnt lgkmcnt(0)
	s_bitcmp1_b32 s18, 8
	s_cselect_b32 s25, -1, 0
	s_ashr_i32 s9, s8, 31
	s_lshl_b64 s[16:17], s[8:9], 3
	s_add_u32 s10, s10, s16
	s_addc_u32 s11, s11, s17
	s_load_dwordx2 s[16:17], s[10:11], 0x0
	s_bfe_u32 s10, s18, 0x10008
	s_cmp_eq_u32 s10, 0
                                        ; implicit-def: $sgpr10_sgpr11
	s_cbranch_scc1 .LBB75_3
; %bb.2:
	s_clause 0x1
	s_load_dword s10, s[6:7], 0x20
	s_load_dwordx2 s[18:19], s[6:7], 0x18
	s_mul_i32 s11, s12, s9
	s_mul_hi_u32 s20, s12, s8
	s_mul_i32 s13, s13, s8
	s_add_i32 s11, s20, s11
	s_mul_i32 s12, s12, s8
	s_add_i32 s13, s11, s13
	s_lshl_b64 s[12:13], s[12:13], 2
	s_waitcnt lgkmcnt(0)
	s_ashr_i32 s11, s10, 31
	s_add_u32 s12, s18, s12
	s_addc_u32 s13, s19, s13
	s_lshl_b64 s[10:11], s[10:11], 2
	s_add_u32 s10, s12, s10
	s_addc_u32 s11, s13, s11
.LBB75_3:
	s_clause 0x1
	s_load_dwordx2 s[12:13], s[6:7], 0x8
	s_load_dword s6, s[6:7], 0x38
	v_lshlrev_b32_e32 v37, 4, v0
	s_movk_i32 s26, 0x90
	s_movk_i32 s27, 0xa0
	s_movk_i32 s28, 0xb0
	s_movk_i32 s20, 0x50
	s_mov_b32 s24, 16
	s_mov_b32 s23, 32
	;; [unrolled: 1-line block ×4, first 2 shown]
	s_waitcnt lgkmcnt(0)
	s_ashr_i32 s19, s12, 31
	s_mov_b32 s18, s12
	v_add3_u32 v13, s13, s13, v0
	s_lshl_b64 s[18:19], s[18:19], 4
	s_add_u32 s7, s16, s18
	s_addc_u32 s12, s17, s19
	v_add_co_u32 v7, s16, s7, v37
	v_add_co_ci_u32_e64 v8, null, s12, 0, s16
	s_mov_b32 s16, s13
	s_ashr_i32 s17, s13, 31
	v_ashrrev_i32_e32 v14, 31, v13
	flat_load_dwordx4 v[3:6], v[7:8]
	s_lshl_b64 s[16:17], s[16:17], 4
	v_add_nc_u32_e32 v15, s13, v13
	v_add_co_u32 v9, vcc_lo, v7, s16
	v_add_co_ci_u32_e64 v10, null, s17, v8, vcc_lo
	v_lshlrev_b64 v[11:12], 4, v[13:14]
	v_ashrrev_i32_e32 v16, 31, v15
	v_add_nc_u32_e32 v17, s13, v15
	s_movk_i32 s19, 0x60
	s_movk_i32 s18, 0x70
	s_movk_i32 s17, 0x80
	v_add_co_u32 v11, vcc_lo, s7, v11
	v_add_co_ci_u32_e64 v12, null, s12, v12, vcc_lo
	v_lshlrev_b64 v[13:14], 4, v[15:16]
	v_ashrrev_i32_e32 v18, 31, v17
	v_add_nc_u32_e32 v19, s13, v17
	s_mov_b32 s16, s26
	s_bitcmp0_b32 s6, 0
	s_waitcnt vmcnt(0) lgkmcnt(0)
	buffer_store_dword v6, off, s[0:3], 0 offset:12
	buffer_store_dword v5, off, s[0:3], 0 offset:8
	;; [unrolled: 1-line block ×3, first 2 shown]
	buffer_store_dword v3, off, s[0:3], 0
	flat_load_dwordx4 v[3:6], v[9:10]
	v_add_co_u32 v13, vcc_lo, s7, v13
	v_add_co_ci_u32_e64 v14, null, s12, v14, vcc_lo
	v_lshlrev_b64 v[15:16], 4, v[17:18]
	v_ashrrev_i32_e32 v20, 31, v19
	v_add_nc_u32_e32 v21, s13, v19
	s_waitcnt vmcnt(0) lgkmcnt(0)
	buffer_store_dword v6, off, s[0:3], 0 offset:28
	buffer_store_dword v5, off, s[0:3], 0 offset:24
	buffer_store_dword v4, off, s[0:3], 0 offset:20
	buffer_store_dword v3, off, s[0:3], 0 offset:16
	flat_load_dwordx4 v[3:6], v[11:12]
	v_add_co_u32 v15, vcc_lo, s7, v15
	v_add_co_ci_u32_e64 v16, null, s12, v16, vcc_lo
	v_lshlrev_b64 v[17:18], 4, v[19:20]
	v_ashrrev_i32_e32 v22, 31, v21
	v_add_nc_u32_e32 v23, s13, v21
	s_waitcnt vmcnt(0) lgkmcnt(0)
	buffer_store_dword v6, off, s[0:3], 0 offset:44
	buffer_store_dword v5, off, s[0:3], 0 offset:40
	buffer_store_dword v4, off, s[0:3], 0 offset:36
	buffer_store_dword v3, off, s[0:3], 0 offset:32
	;; [unrolled: 11-line block ×5, first 2 shown]
	flat_load_dwordx4 v[3:6], v[19:20]
	v_add_co_u32 v23, vcc_lo, s7, v23
	v_add_co_ci_u32_e64 v24, null, s12, v24, vcc_lo
	v_lshlrev_b64 v[25:26], 4, v[27:28]
	v_ashrrev_i32_e32 v30, 31, v29
	s_waitcnt vmcnt(0) lgkmcnt(0)
	buffer_store_dword v6, off, s[0:3], 0 offset:108
	buffer_store_dword v5, off, s[0:3], 0 offset:104
	;; [unrolled: 1-line block ×4, first 2 shown]
	flat_load_dwordx4 v[3:6], v[21:22]
	v_add_co_u32 v25, vcc_lo, s7, v25
	v_add_co_ci_u32_e64 v26, null, s12, v26, vcc_lo
	v_lshlrev_b64 v[27:28], 4, v[29:30]
	v_add_nc_u32_e32 v29, s13, v29
	s_mov_b32 s13, s27
	s_waitcnt vmcnt(0) lgkmcnt(0)
	buffer_store_dword v6, off, s[0:3], 0 offset:124
	buffer_store_dword v5, off, s[0:3], 0 offset:120
	buffer_store_dword v4, off, s[0:3], 0 offset:116
	buffer_store_dword v3, off, s[0:3], 0 offset:112
	flat_load_dwordx4 v[3:6], v[23:24]
	v_add_co_u32 v27, vcc_lo, s7, v27
	v_add_co_ci_u32_e64 v28, null, s12, v28, vcc_lo
	v_ashrrev_i32_e32 v30, 31, v29
	s_waitcnt vmcnt(0) lgkmcnt(0)
	buffer_store_dword v6, off, s[0:3], 0 offset:140
	buffer_store_dword v5, off, s[0:3], 0 offset:136
	;; [unrolled: 1-line block ×4, first 2 shown]
	flat_load_dwordx4 v[3:6], v[25:26]
	v_lshlrev_b64 v[29:30], 4, v[29:30]
	s_waitcnt vmcnt(0) lgkmcnt(0)
	buffer_store_dword v6, off, s[0:3], 0 offset:156
	buffer_store_dword v5, off, s[0:3], 0 offset:152
	;; [unrolled: 1-line block ×4, first 2 shown]
	flat_load_dwordx4 v[3:6], v[27:28]
	v_add_co_u32 v29, vcc_lo, s7, v29
	v_add_co_ci_u32_e64 v30, null, s12, v30, vcc_lo
	s_mov_b32 s7, -1
	s_mov_b32 s12, s28
	s_waitcnt vmcnt(0) lgkmcnt(0)
	buffer_store_dword v6, off, s[0:3], 0 offset:172
	buffer_store_dword v5, off, s[0:3], 0 offset:168
	;; [unrolled: 1-line block ×4, first 2 shown]
	flat_load_dwordx4 v[3:6], v[29:30]
	s_waitcnt vmcnt(0) lgkmcnt(0)
	buffer_store_dword v6, off, s[0:3], 0 offset:188
	buffer_store_dword v5, off, s[0:3], 0 offset:184
	;; [unrolled: 1-line block ×4, first 2 shown]
	s_cbranch_scc1 .LBB75_60
; %bb.4:
	v_cmp_eq_u32_e64 s6, 0, v0
	s_and_saveexec_b32 s7, s6
; %bb.5:
	v_mov_b32_e32 v3, 0
	ds_write_b32 v3, v3 offset:384
; %bb.6:
	s_or_b32 exec_lo, exec_lo, s7
	v_lshl_add_u32 v38, v0, 4, 0
	s_waitcnt lgkmcnt(0)
	s_waitcnt_vscnt null, 0x0
	s_barrier
	buffer_gl0_inv
	s_clause 0x3
	buffer_load_dword v3, v38, s[0:3], 0 offen
	buffer_load_dword v4, v38, s[0:3], 0 offen offset:4
	buffer_load_dword v5, v38, s[0:3], 0 offen offset:8
	;; [unrolled: 1-line block ×3, first 2 shown]
	s_waitcnt vmcnt(2)
	v_cmp_eq_f64_e32 vcc_lo, 0, v[3:4]
	s_waitcnt vmcnt(0)
	v_cmp_eq_f64_e64 s7, 0, v[5:6]
	s_and_b32 s7, vcc_lo, s7
	s_and_saveexec_b32 s26, s7
	s_cbranch_execz .LBB75_10
; %bb.7:
	v_mov_b32_e32 v3, 0
	s_mov_b32 s27, 0
	ds_read_b32 v4, v3 offset:384
	s_waitcnt lgkmcnt(0)
	v_readfirstlane_b32 s7, v4
	v_add_nc_u32_e32 v4, 1, v0
	s_cmp_eq_u32 s7, 0
	v_cmp_gt_i32_e32 vcc_lo, s7, v4
	s_cselect_b32 s28, -1, 0
	s_or_b32 s28, s28, vcc_lo
	s_and_b32 exec_lo, exec_lo, s28
	s_cbranch_execz .LBB75_10
; %bb.8:
	v_mov_b32_e32 v5, s7
.LBB75_9:                               ; =>This Inner Loop Header: Depth=1
	ds_cmpst_rtn_b32 v5, v3, v5, v4 offset:384
	s_waitcnt lgkmcnt(0)
	v_cmp_ne_u32_e32 vcc_lo, 0, v5
	v_cmp_le_i32_e64 s7, v5, v4
	s_and_b32 s7, vcc_lo, s7
	s_and_b32 s7, exec_lo, s7
	s_or_b32 s27, s7, s27
	s_andn2_b32 exec_lo, exec_lo, s27
	s_cbranch_execnz .LBB75_9
.LBB75_10:
	s_or_b32 exec_lo, exec_lo, s26
	v_mov_b32_e32 v3, 0
	s_barrier
	buffer_gl0_inv
	ds_read_b32 v4, v3 offset:384
	s_and_saveexec_b32 s7, s6
	s_cbranch_execz .LBB75_12
; %bb.11:
	s_lshl_b64 s[26:27], s[8:9], 2
	s_add_u32 s26, s14, s26
	s_addc_u32 s27, s15, s27
	s_waitcnt lgkmcnt(0)
	global_store_dword v3, v4, s[26:27]
.LBB75_12:
	s_or_b32 exec_lo, exec_lo, s7
	s_waitcnt lgkmcnt(0)
	v_cmp_ne_u32_e32 vcc_lo, 0, v4
	s_mov_b32 s7, 0
	s_cbranch_vccnz .LBB75_60
; %bb.13:
	s_clause 0x3
	buffer_load_dword v33, v38, s[0:3], 0 offen
	buffer_load_dword v34, v38, s[0:3], 0 offen offset:4
	buffer_load_dword v35, v38, s[0:3], 0 offen offset:8
	;; [unrolled: 1-line block ×3, first 2 shown]
                                        ; implicit-def: $vgpr31_vgpr32
                                        ; implicit-def: $vgpr5_vgpr6
	s_waitcnt vmcnt(0)
	v_cmp_ngt_f64_e64 s7, |v[33:34]|, |v[35:36]|
	s_and_saveexec_b32 s26, s7
	s_xor_b32 s7, exec_lo, s26
	s_cbranch_execz .LBB75_15
; %bb.14:
	v_div_scale_f64 v[3:4], null, v[35:36], v[35:36], v[33:34]
	v_div_scale_f64 v[39:40], vcc_lo, v[33:34], v[35:36], v[33:34]
	v_rcp_f64_e32 v[5:6], v[3:4]
	v_fma_f64 v[31:32], -v[3:4], v[5:6], 1.0
	v_fma_f64 v[5:6], v[5:6], v[31:32], v[5:6]
	v_fma_f64 v[31:32], -v[3:4], v[5:6], 1.0
	v_fma_f64 v[5:6], v[5:6], v[31:32], v[5:6]
	v_mul_f64 v[31:32], v[39:40], v[5:6]
	v_fma_f64 v[3:4], -v[3:4], v[31:32], v[39:40]
	v_div_fmas_f64 v[3:4], v[3:4], v[5:6], v[31:32]
	v_div_fixup_f64 v[3:4], v[3:4], v[35:36], v[33:34]
	v_fma_f64 v[5:6], v[33:34], v[3:4], v[35:36]
	v_div_scale_f64 v[31:32], null, v[5:6], v[5:6], 1.0
	v_div_scale_f64 v[39:40], vcc_lo, 1.0, v[5:6], 1.0
	v_rcp_f64_e32 v[33:34], v[31:32]
	v_fma_f64 v[35:36], -v[31:32], v[33:34], 1.0
	v_fma_f64 v[33:34], v[33:34], v[35:36], v[33:34]
	v_fma_f64 v[35:36], -v[31:32], v[33:34], 1.0
	v_fma_f64 v[33:34], v[33:34], v[35:36], v[33:34]
	v_mul_f64 v[35:36], v[39:40], v[33:34]
	v_fma_f64 v[31:32], -v[31:32], v[35:36], v[39:40]
	v_div_fmas_f64 v[31:32], v[31:32], v[33:34], v[35:36]
                                        ; implicit-def: $vgpr33_vgpr34
                                        ; implicit-def: $vgpr35_vgpr36
	v_div_fixup_f64 v[5:6], v[31:32], v[5:6], 1.0
	v_mul_f64 v[31:32], v[3:4], v[5:6]
	v_xor_b32_e32 v6, 0x80000000, v6
	v_xor_b32_e32 v4, 0x80000000, v32
	v_mov_b32_e32 v3, v31
.LBB75_15:
	s_andn2_saveexec_b32 s7, s7
	s_cbranch_execz .LBB75_17
; %bb.16:
	v_div_scale_f64 v[3:4], null, v[33:34], v[33:34], v[35:36]
	v_div_scale_f64 v[39:40], vcc_lo, v[35:36], v[33:34], v[35:36]
	v_rcp_f64_e32 v[5:6], v[3:4]
	v_fma_f64 v[31:32], -v[3:4], v[5:6], 1.0
	v_fma_f64 v[5:6], v[5:6], v[31:32], v[5:6]
	v_fma_f64 v[31:32], -v[3:4], v[5:6], 1.0
	v_fma_f64 v[5:6], v[5:6], v[31:32], v[5:6]
	v_mul_f64 v[31:32], v[39:40], v[5:6]
	v_fma_f64 v[3:4], -v[3:4], v[31:32], v[39:40]
	v_div_fmas_f64 v[3:4], v[3:4], v[5:6], v[31:32]
	v_div_fixup_f64 v[3:4], v[3:4], v[33:34], v[35:36]
	v_fma_f64 v[5:6], v[35:36], v[3:4], v[33:34]
	v_div_scale_f64 v[31:32], null, v[5:6], v[5:6], 1.0
	v_rcp_f64_e32 v[33:34], v[31:32]
	v_fma_f64 v[35:36], -v[31:32], v[33:34], 1.0
	v_fma_f64 v[33:34], v[33:34], v[35:36], v[33:34]
	v_fma_f64 v[35:36], -v[31:32], v[33:34], 1.0
	v_fma_f64 v[33:34], v[33:34], v[35:36], v[33:34]
	v_div_scale_f64 v[35:36], vcc_lo, 1.0, v[5:6], 1.0
	v_mul_f64 v[39:40], v[35:36], v[33:34]
	v_fma_f64 v[31:32], -v[31:32], v[39:40], v[35:36]
	v_div_fmas_f64 v[31:32], v[31:32], v[33:34], v[39:40]
	v_div_fixup_f64 v[31:32], v[31:32], v[5:6], 1.0
	v_mul_f64 v[5:6], v[3:4], -v[31:32]
	v_xor_b32_e32 v4, 0x80000000, v32
	v_mov_b32_e32 v3, v31
.LBB75_17:
	s_or_b32 exec_lo, exec_lo, s7
	v_mov_b32_e32 v36, s24
	buffer_store_dword v32, v38, s[0:3], 0 offen offset:4
	buffer_store_dword v31, v38, s[0:3], 0 offen
	buffer_store_dword v6, v38, s[0:3], 0 offen offset:12
	buffer_store_dword v5, v38, s[0:3], 0 offen offset:8
	v_xor_b32_e32 v6, 0x80000000, v6
	v_add_nc_u32_e32 v31, 0xc0, v37
	s_clause 0x3
	buffer_load_dword v35, v36, s[0:3], 0 offen offset:12
	buffer_load_dword v34, v36, s[0:3], 0 offen offset:8
	;; [unrolled: 1-line block ×3, first 2 shown]
	buffer_load_dword v32, v36, s[0:3], 0 offen
	ds_write_b128 v37, v[3:6]
	s_waitcnt vmcnt(0)
	ds_write_b128 v37, v[32:35] offset:192
	s_waitcnt lgkmcnt(0)
	s_waitcnt_vscnt null, 0x0
	s_barrier
	buffer_gl0_inv
	s_and_saveexec_b32 s7, s6
	s_cbranch_execz .LBB75_19
; %bb.18:
	s_clause 0x3
	buffer_load_dword v39, v38, s[0:3], 0 offen offset:8
	buffer_load_dword v40, v38, s[0:3], 0 offen offset:12
	buffer_load_dword v41, v38, s[0:3], 0 offen
	buffer_load_dword v42, v38, s[0:3], 0 offen offset:4
	ds_read_b128 v[3:6], v31
	v_mov_b32_e32 v32, 0
	ds_read_b128 v[32:35], v32 offset:16
	s_waitcnt vmcnt(2) lgkmcnt(1)
	v_mul_f64 v[43:44], v[3:4], v[39:40]
	v_mul_f64 v[39:40], v[5:6], v[39:40]
	s_waitcnt vmcnt(0)
	v_fma_f64 v[5:6], v[5:6], v[41:42], v[43:44]
	v_fma_f64 v[3:4], v[3:4], v[41:42], -v[39:40]
	v_add_f64 v[5:6], v[5:6], 0
	v_add_f64 v[3:4], v[3:4], 0
	s_waitcnt lgkmcnt(0)
	v_mul_f64 v[39:40], v[5:6], v[34:35]
	v_mul_f64 v[34:35], v[3:4], v[34:35]
	v_fma_f64 v[3:4], v[3:4], v[32:33], -v[39:40]
	v_fma_f64 v[5:6], v[5:6], v[32:33], v[34:35]
	buffer_store_dword v3, off, s[0:3], 0 offset:16
	buffer_store_dword v4, off, s[0:3], 0 offset:20
	;; [unrolled: 1-line block ×4, first 2 shown]
.LBB75_19:
	s_or_b32 exec_lo, exec_lo, s7
	v_mov_b32_e32 v6, s23
	s_waitcnt_vscnt null, 0x0
	s_barrier
	buffer_gl0_inv
	s_mov_b32 s7, exec_lo
	s_clause 0x3
	buffer_load_dword v3, v6, s[0:3], 0 offen
	buffer_load_dword v4, v6, s[0:3], 0 offen offset:4
	buffer_load_dword v5, v6, s[0:3], 0 offen offset:8
	;; [unrolled: 1-line block ×3, first 2 shown]
	s_waitcnt vmcnt(0)
	ds_write_b128 v31, v[3:6]
	s_waitcnt lgkmcnt(0)
	s_barrier
	buffer_gl0_inv
	v_cmpx_gt_u32_e32 2, v0
	s_cbranch_execz .LBB75_23
; %bb.20:
	s_clause 0x3
	buffer_load_dword v32, v38, s[0:3], 0 offen offset:8
	buffer_load_dword v33, v38, s[0:3], 0 offen offset:12
	buffer_load_dword v34, v38, s[0:3], 0 offen
	buffer_load_dword v35, v38, s[0:3], 0 offen offset:4
	ds_read_b128 v[3:6], v31
	s_waitcnt vmcnt(2) lgkmcnt(0)
	v_mul_f64 v[38:39], v[5:6], v[32:33]
	v_mul_f64 v[32:33], v[3:4], v[32:33]
	s_waitcnt vmcnt(0)
	v_fma_f64 v[3:4], v[3:4], v[34:35], -v[38:39]
	v_fma_f64 v[5:6], v[5:6], v[34:35], v[32:33]
	v_add_f64 v[3:4], v[3:4], 0
	v_add_f64 v[5:6], v[5:6], 0
	s_and_saveexec_b32 s26, s6
	s_cbranch_execz .LBB75_22
; %bb.21:
	s_clause 0x3
	buffer_load_dword v38, off, s[0:3], 0 offset:24
	buffer_load_dword v39, off, s[0:3], 0 offset:28
	;; [unrolled: 1-line block ×4, first 2 shown]
	v_mov_b32_e32 v32, 0
	ds_read_b128 v[32:35], v32 offset:208
	s_waitcnt vmcnt(2) lgkmcnt(0)
	v_mul_f64 v[42:43], v[32:33], v[38:39]
	v_mul_f64 v[38:39], v[34:35], v[38:39]
	s_waitcnt vmcnt(0)
	v_fma_f64 v[34:35], v[34:35], v[40:41], v[42:43]
	v_fma_f64 v[32:33], v[32:33], v[40:41], -v[38:39]
	v_add_f64 v[5:6], v[5:6], v[34:35]
	v_add_f64 v[3:4], v[3:4], v[32:33]
.LBB75_22:
	s_or_b32 exec_lo, exec_lo, s26
	v_mov_b32_e32 v32, 0
	ds_read_b128 v[32:35], v32 offset:32
	s_waitcnt lgkmcnt(0)
	v_mul_f64 v[38:39], v[5:6], v[34:35]
	v_mul_f64 v[34:35], v[3:4], v[34:35]
	v_fma_f64 v[3:4], v[3:4], v[32:33], -v[38:39]
	v_fma_f64 v[5:6], v[5:6], v[32:33], v[34:35]
	buffer_store_dword v4, off, s[0:3], 0 offset:36
	buffer_store_dword v3, off, s[0:3], 0 offset:32
	;; [unrolled: 1-line block ×4, first 2 shown]
.LBB75_23:
	s_or_b32 exec_lo, exec_lo, s7
	v_mov_b32_e32 v6, s22
	s_waitcnt_vscnt null, 0x0
	s_barrier
	buffer_gl0_inv
	v_add_nc_u32_e32 v32, -1, v0
	s_clause 0x3
	buffer_load_dword v3, v6, s[0:3], 0 offen
	buffer_load_dword v4, v6, s[0:3], 0 offen offset:4
	buffer_load_dword v5, v6, s[0:3], 0 offen offset:8
	;; [unrolled: 1-line block ×3, first 2 shown]
	s_mov_b32 s6, exec_lo
	s_waitcnt vmcnt(0)
	ds_write_b128 v31, v[3:6]
	s_waitcnt lgkmcnt(0)
	s_barrier
	buffer_gl0_inv
	v_cmpx_gt_u32_e32 3, v0
	s_cbranch_execz .LBB75_27
; %bb.24:
	v_mov_b32_e32 v3, 0
	v_mov_b32_e32 v5, 0
	v_add_nc_u32_e32 v33, -1, v0
	v_add_nc_u32_e32 v34, 0xc0, v37
	v_mov_b32_e32 v4, 0
	v_mov_b32_e32 v6, 0
	v_mov_b32_e32 v35, v37
	s_mov_b32 s7, 0
	.p2align	6
.LBB75_25:                              ; =>This Inner Loop Header: Depth=1
	s_clause 0x3
	buffer_load_dword v42, v35, s[0:3], 0 offen offset:8
	buffer_load_dword v43, v35, s[0:3], 0 offen offset:12
	buffer_load_dword v44, v35, s[0:3], 0 offen
	buffer_load_dword v45, v35, s[0:3], 0 offen offset:4
	ds_read_b128 v[38:41], v34
	v_add_nc_u32_e32 v33, 1, v33
	v_add_nc_u32_e32 v34, 16, v34
	;; [unrolled: 1-line block ×3, first 2 shown]
	v_cmp_lt_u32_e32 vcc_lo, 1, v33
	s_or_b32 s7, vcc_lo, s7
	s_waitcnt vmcnt(2) lgkmcnt(0)
	v_mul_f64 v[46:47], v[40:41], v[42:43]
	v_mul_f64 v[42:43], v[38:39], v[42:43]
	s_waitcnt vmcnt(0)
	v_fma_f64 v[38:39], v[38:39], v[44:45], -v[46:47]
	v_fma_f64 v[40:41], v[40:41], v[44:45], v[42:43]
	v_add_f64 v[5:6], v[5:6], v[38:39]
	v_add_f64 v[3:4], v[3:4], v[40:41]
	s_andn2_b32 exec_lo, exec_lo, s7
	s_cbranch_execnz .LBB75_25
; %bb.26:
	s_or_b32 exec_lo, exec_lo, s7
	v_mov_b32_e32 v33, 0
	ds_read_b128 v[33:36], v33 offset:48
	s_waitcnt lgkmcnt(0)
	v_mul_f64 v[38:39], v[3:4], v[35:36]
	v_mul_f64 v[35:36], v[5:6], v[35:36]
	v_fma_f64 v[5:6], v[5:6], v[33:34], -v[38:39]
	v_fma_f64 v[3:4], v[3:4], v[33:34], v[35:36]
	buffer_store_dword v6, off, s[0:3], 0 offset:52
	buffer_store_dword v5, off, s[0:3], 0 offset:48
	;; [unrolled: 1-line block ×4, first 2 shown]
.LBB75_27:
	s_or_b32 exec_lo, exec_lo, s6
	v_mov_b32_e32 v6, s21
	s_waitcnt_vscnt null, 0x0
	s_barrier
	buffer_gl0_inv
	s_mov_b32 s6, exec_lo
	s_clause 0x3
	buffer_load_dword v3, v6, s[0:3], 0 offen
	buffer_load_dword v4, v6, s[0:3], 0 offen offset:4
	buffer_load_dword v5, v6, s[0:3], 0 offen offset:8
	;; [unrolled: 1-line block ×3, first 2 shown]
	s_waitcnt vmcnt(0)
	ds_write_b128 v31, v[3:6]
	s_waitcnt lgkmcnt(0)
	s_barrier
	buffer_gl0_inv
	v_cmpx_gt_u32_e32 4, v0
	s_cbranch_execz .LBB75_31
; %bb.28:
	v_mov_b32_e32 v3, 0
	v_mov_b32_e32 v5, 0
	v_add_nc_u32_e32 v33, -1, v0
	v_add_nc_u32_e32 v34, 0xc0, v37
	v_mov_b32_e32 v4, 0
	v_mov_b32_e32 v6, 0
	;; [unrolled: 1-line block ×3, first 2 shown]
	s_mov_b32 s7, 0
	.p2align	6
.LBB75_29:                              ; =>This Inner Loop Header: Depth=1
	s_clause 0x3
	buffer_load_dword v42, v35, s[0:3], 0 offen offset:8
	buffer_load_dword v43, v35, s[0:3], 0 offen offset:12
	buffer_load_dword v44, v35, s[0:3], 0 offen
	buffer_load_dword v45, v35, s[0:3], 0 offen offset:4
	ds_read_b128 v[38:41], v34
	v_add_nc_u32_e32 v33, 1, v33
	v_add_nc_u32_e32 v34, 16, v34
	;; [unrolled: 1-line block ×3, first 2 shown]
	v_cmp_lt_u32_e32 vcc_lo, 2, v33
	s_or_b32 s7, vcc_lo, s7
	s_waitcnt vmcnt(2) lgkmcnt(0)
	v_mul_f64 v[46:47], v[40:41], v[42:43]
	v_mul_f64 v[42:43], v[38:39], v[42:43]
	s_waitcnt vmcnt(0)
	v_fma_f64 v[38:39], v[38:39], v[44:45], -v[46:47]
	v_fma_f64 v[40:41], v[40:41], v[44:45], v[42:43]
	v_add_f64 v[5:6], v[5:6], v[38:39]
	v_add_f64 v[3:4], v[3:4], v[40:41]
	s_andn2_b32 exec_lo, exec_lo, s7
	s_cbranch_execnz .LBB75_29
; %bb.30:
	s_or_b32 exec_lo, exec_lo, s7
	v_mov_b32_e32 v33, 0
	ds_read_b128 v[33:36], v33 offset:64
	s_waitcnt lgkmcnt(0)
	v_mul_f64 v[38:39], v[3:4], v[35:36]
	v_mul_f64 v[35:36], v[5:6], v[35:36]
	v_fma_f64 v[5:6], v[5:6], v[33:34], -v[38:39]
	v_fma_f64 v[3:4], v[3:4], v[33:34], v[35:36]
	buffer_store_dword v6, off, s[0:3], 0 offset:68
	buffer_store_dword v5, off, s[0:3], 0 offset:64
	;; [unrolled: 1-line block ×4, first 2 shown]
.LBB75_31:
	s_or_b32 exec_lo, exec_lo, s6
	v_mov_b32_e32 v6, s20
	s_waitcnt_vscnt null, 0x0
	s_barrier
	buffer_gl0_inv
	s_mov_b32 s6, exec_lo
	s_clause 0x3
	buffer_load_dword v3, v6, s[0:3], 0 offen
	buffer_load_dword v4, v6, s[0:3], 0 offen offset:4
	buffer_load_dword v5, v6, s[0:3], 0 offen offset:8
	;; [unrolled: 1-line block ×3, first 2 shown]
	s_waitcnt vmcnt(0)
	ds_write_b128 v31, v[3:6]
	s_waitcnt lgkmcnt(0)
	s_barrier
	buffer_gl0_inv
	v_cmpx_gt_u32_e32 5, v0
	s_cbranch_execz .LBB75_35
; %bb.32:
	v_mov_b32_e32 v3, 0
	v_mov_b32_e32 v5, 0
	v_add_nc_u32_e32 v33, -1, v0
	v_add_nc_u32_e32 v34, 0xc0, v37
	v_mov_b32_e32 v4, 0
	v_mov_b32_e32 v6, 0
	;; [unrolled: 1-line block ×3, first 2 shown]
	s_mov_b32 s7, 0
	.p2align	6
.LBB75_33:                              ; =>This Inner Loop Header: Depth=1
	s_clause 0x3
	buffer_load_dword v42, v35, s[0:3], 0 offen offset:8
	buffer_load_dword v43, v35, s[0:3], 0 offen offset:12
	buffer_load_dword v44, v35, s[0:3], 0 offen
	buffer_load_dword v45, v35, s[0:3], 0 offen offset:4
	ds_read_b128 v[38:41], v34
	v_add_nc_u32_e32 v33, 1, v33
	v_add_nc_u32_e32 v34, 16, v34
	;; [unrolled: 1-line block ×3, first 2 shown]
	v_cmp_lt_u32_e32 vcc_lo, 3, v33
	s_or_b32 s7, vcc_lo, s7
	s_waitcnt vmcnt(2) lgkmcnt(0)
	v_mul_f64 v[46:47], v[40:41], v[42:43]
	v_mul_f64 v[42:43], v[38:39], v[42:43]
	s_waitcnt vmcnt(0)
	v_fma_f64 v[38:39], v[38:39], v[44:45], -v[46:47]
	v_fma_f64 v[40:41], v[40:41], v[44:45], v[42:43]
	v_add_f64 v[5:6], v[5:6], v[38:39]
	v_add_f64 v[3:4], v[3:4], v[40:41]
	s_andn2_b32 exec_lo, exec_lo, s7
	s_cbranch_execnz .LBB75_33
; %bb.34:
	s_or_b32 exec_lo, exec_lo, s7
	v_mov_b32_e32 v33, 0
	ds_read_b128 v[33:36], v33 offset:80
	s_waitcnt lgkmcnt(0)
	v_mul_f64 v[38:39], v[3:4], v[35:36]
	v_mul_f64 v[35:36], v[5:6], v[35:36]
	v_fma_f64 v[5:6], v[5:6], v[33:34], -v[38:39]
	v_fma_f64 v[3:4], v[3:4], v[33:34], v[35:36]
	buffer_store_dword v6, off, s[0:3], 0 offset:84
	buffer_store_dword v5, off, s[0:3], 0 offset:80
	;; [unrolled: 1-line block ×4, first 2 shown]
.LBB75_35:
	s_or_b32 exec_lo, exec_lo, s6
	v_mov_b32_e32 v6, s19
	s_waitcnt_vscnt null, 0x0
	s_barrier
	buffer_gl0_inv
	s_mov_b32 s6, exec_lo
	s_clause 0x3
	buffer_load_dword v3, v6, s[0:3], 0 offen
	buffer_load_dword v4, v6, s[0:3], 0 offen offset:4
	buffer_load_dword v5, v6, s[0:3], 0 offen offset:8
	;; [unrolled: 1-line block ×3, first 2 shown]
	s_waitcnt vmcnt(0)
	ds_write_b128 v31, v[3:6]
	s_waitcnt lgkmcnt(0)
	s_barrier
	buffer_gl0_inv
	v_cmpx_gt_u32_e32 6, v0
	s_cbranch_execz .LBB75_39
; %bb.36:
	v_mov_b32_e32 v3, 0
	v_mov_b32_e32 v5, 0
	v_add_nc_u32_e32 v33, -1, v0
	v_add_nc_u32_e32 v34, 0xc0, v37
	v_mov_b32_e32 v4, 0
	v_mov_b32_e32 v6, 0
	;; [unrolled: 1-line block ×3, first 2 shown]
	s_mov_b32 s7, 0
	.p2align	6
.LBB75_37:                              ; =>This Inner Loop Header: Depth=1
	s_clause 0x3
	buffer_load_dword v42, v35, s[0:3], 0 offen offset:8
	buffer_load_dword v43, v35, s[0:3], 0 offen offset:12
	buffer_load_dword v44, v35, s[0:3], 0 offen
	buffer_load_dword v45, v35, s[0:3], 0 offen offset:4
	ds_read_b128 v[38:41], v34
	v_add_nc_u32_e32 v33, 1, v33
	v_add_nc_u32_e32 v34, 16, v34
	;; [unrolled: 1-line block ×3, first 2 shown]
	v_cmp_lt_u32_e32 vcc_lo, 4, v33
	s_or_b32 s7, vcc_lo, s7
	s_waitcnt vmcnt(2) lgkmcnt(0)
	v_mul_f64 v[46:47], v[40:41], v[42:43]
	v_mul_f64 v[42:43], v[38:39], v[42:43]
	s_waitcnt vmcnt(0)
	v_fma_f64 v[38:39], v[38:39], v[44:45], -v[46:47]
	v_fma_f64 v[40:41], v[40:41], v[44:45], v[42:43]
	v_add_f64 v[5:6], v[5:6], v[38:39]
	v_add_f64 v[3:4], v[3:4], v[40:41]
	s_andn2_b32 exec_lo, exec_lo, s7
	s_cbranch_execnz .LBB75_37
; %bb.38:
	s_or_b32 exec_lo, exec_lo, s7
	v_mov_b32_e32 v33, 0
	ds_read_b128 v[33:36], v33 offset:96
	s_waitcnt lgkmcnt(0)
	v_mul_f64 v[38:39], v[3:4], v[35:36]
	v_mul_f64 v[35:36], v[5:6], v[35:36]
	v_fma_f64 v[5:6], v[5:6], v[33:34], -v[38:39]
	v_fma_f64 v[3:4], v[3:4], v[33:34], v[35:36]
	buffer_store_dword v6, off, s[0:3], 0 offset:100
	buffer_store_dword v5, off, s[0:3], 0 offset:96
	;; [unrolled: 1-line block ×4, first 2 shown]
.LBB75_39:
	s_or_b32 exec_lo, exec_lo, s6
	v_mov_b32_e32 v6, s18
	s_waitcnt_vscnt null, 0x0
	s_barrier
	buffer_gl0_inv
	s_mov_b32 s6, exec_lo
	s_clause 0x3
	buffer_load_dword v3, v6, s[0:3], 0 offen
	buffer_load_dword v4, v6, s[0:3], 0 offen offset:4
	buffer_load_dword v5, v6, s[0:3], 0 offen offset:8
	;; [unrolled: 1-line block ×3, first 2 shown]
	s_waitcnt vmcnt(0)
	ds_write_b128 v31, v[3:6]
	s_waitcnt lgkmcnt(0)
	s_barrier
	buffer_gl0_inv
	v_cmpx_gt_u32_e32 7, v0
	s_cbranch_execz .LBB75_43
; %bb.40:
	v_mov_b32_e32 v3, 0
	v_mov_b32_e32 v5, 0
	v_add_nc_u32_e32 v33, -1, v0
	v_add_nc_u32_e32 v34, 0xc0, v37
	v_mov_b32_e32 v4, 0
	v_mov_b32_e32 v6, 0
	;; [unrolled: 1-line block ×3, first 2 shown]
	s_mov_b32 s7, 0
	.p2align	6
.LBB75_41:                              ; =>This Inner Loop Header: Depth=1
	s_clause 0x3
	buffer_load_dword v42, v35, s[0:3], 0 offen offset:8
	buffer_load_dword v43, v35, s[0:3], 0 offen offset:12
	buffer_load_dword v44, v35, s[0:3], 0 offen
	buffer_load_dword v45, v35, s[0:3], 0 offen offset:4
	ds_read_b128 v[38:41], v34
	v_add_nc_u32_e32 v33, 1, v33
	v_add_nc_u32_e32 v34, 16, v34
	;; [unrolled: 1-line block ×3, first 2 shown]
	v_cmp_lt_u32_e32 vcc_lo, 5, v33
	s_or_b32 s7, vcc_lo, s7
	s_waitcnt vmcnt(2) lgkmcnt(0)
	v_mul_f64 v[46:47], v[40:41], v[42:43]
	v_mul_f64 v[42:43], v[38:39], v[42:43]
	s_waitcnt vmcnt(0)
	v_fma_f64 v[38:39], v[38:39], v[44:45], -v[46:47]
	v_fma_f64 v[40:41], v[40:41], v[44:45], v[42:43]
	v_add_f64 v[5:6], v[5:6], v[38:39]
	v_add_f64 v[3:4], v[3:4], v[40:41]
	s_andn2_b32 exec_lo, exec_lo, s7
	s_cbranch_execnz .LBB75_41
; %bb.42:
	s_or_b32 exec_lo, exec_lo, s7
	v_mov_b32_e32 v33, 0
	ds_read_b128 v[33:36], v33 offset:112
	s_waitcnt lgkmcnt(0)
	v_mul_f64 v[38:39], v[3:4], v[35:36]
	v_mul_f64 v[35:36], v[5:6], v[35:36]
	v_fma_f64 v[5:6], v[5:6], v[33:34], -v[38:39]
	v_fma_f64 v[3:4], v[3:4], v[33:34], v[35:36]
	buffer_store_dword v6, off, s[0:3], 0 offset:116
	buffer_store_dword v5, off, s[0:3], 0 offset:112
	;; [unrolled: 1-line block ×4, first 2 shown]
.LBB75_43:
	s_or_b32 exec_lo, exec_lo, s6
	v_mov_b32_e32 v6, s17
	s_waitcnt_vscnt null, 0x0
	s_barrier
	buffer_gl0_inv
	s_mov_b32 s6, exec_lo
	s_clause 0x3
	buffer_load_dword v3, v6, s[0:3], 0 offen
	buffer_load_dword v4, v6, s[0:3], 0 offen offset:4
	buffer_load_dword v5, v6, s[0:3], 0 offen offset:8
	buffer_load_dword v6, v6, s[0:3], 0 offen offset:12
	s_waitcnt vmcnt(0)
	ds_write_b128 v31, v[3:6]
	s_waitcnt lgkmcnt(0)
	s_barrier
	buffer_gl0_inv
	v_cmpx_gt_u32_e32 8, v0
	s_cbranch_execz .LBB75_47
; %bb.44:
	v_mov_b32_e32 v3, 0
	v_mov_b32_e32 v5, 0
	v_add_nc_u32_e32 v33, -1, v0
	v_add_nc_u32_e32 v34, 0xc0, v37
	v_mov_b32_e32 v4, 0
	v_mov_b32_e32 v6, 0
	;; [unrolled: 1-line block ×3, first 2 shown]
	s_mov_b32 s7, 0
	.p2align	6
.LBB75_45:                              ; =>This Inner Loop Header: Depth=1
	s_clause 0x3
	buffer_load_dword v42, v35, s[0:3], 0 offen offset:8
	buffer_load_dword v43, v35, s[0:3], 0 offen offset:12
	buffer_load_dword v44, v35, s[0:3], 0 offen
	buffer_load_dword v45, v35, s[0:3], 0 offen offset:4
	ds_read_b128 v[38:41], v34
	v_add_nc_u32_e32 v33, 1, v33
	v_add_nc_u32_e32 v34, 16, v34
	;; [unrolled: 1-line block ×3, first 2 shown]
	v_cmp_lt_u32_e32 vcc_lo, 6, v33
	s_or_b32 s7, vcc_lo, s7
	s_waitcnt vmcnt(2) lgkmcnt(0)
	v_mul_f64 v[46:47], v[40:41], v[42:43]
	v_mul_f64 v[42:43], v[38:39], v[42:43]
	s_waitcnt vmcnt(0)
	v_fma_f64 v[38:39], v[38:39], v[44:45], -v[46:47]
	v_fma_f64 v[40:41], v[40:41], v[44:45], v[42:43]
	v_add_f64 v[5:6], v[5:6], v[38:39]
	v_add_f64 v[3:4], v[3:4], v[40:41]
	s_andn2_b32 exec_lo, exec_lo, s7
	s_cbranch_execnz .LBB75_45
; %bb.46:
	s_or_b32 exec_lo, exec_lo, s7
	v_mov_b32_e32 v33, 0
	ds_read_b128 v[33:36], v33 offset:128
	s_waitcnt lgkmcnt(0)
	v_mul_f64 v[38:39], v[3:4], v[35:36]
	v_mul_f64 v[35:36], v[5:6], v[35:36]
	v_fma_f64 v[5:6], v[5:6], v[33:34], -v[38:39]
	v_fma_f64 v[3:4], v[3:4], v[33:34], v[35:36]
	buffer_store_dword v6, off, s[0:3], 0 offset:132
	buffer_store_dword v5, off, s[0:3], 0 offset:128
	;; [unrolled: 1-line block ×4, first 2 shown]
.LBB75_47:
	s_or_b32 exec_lo, exec_lo, s6
	v_mov_b32_e32 v6, s16
	s_waitcnt_vscnt null, 0x0
	s_barrier
	buffer_gl0_inv
	s_mov_b32 s6, exec_lo
	s_clause 0x3
	buffer_load_dword v3, v6, s[0:3], 0 offen
	buffer_load_dword v4, v6, s[0:3], 0 offen offset:4
	buffer_load_dword v5, v6, s[0:3], 0 offen offset:8
	;; [unrolled: 1-line block ×3, first 2 shown]
	s_waitcnt vmcnt(0)
	ds_write_b128 v31, v[3:6]
	s_waitcnt lgkmcnt(0)
	s_barrier
	buffer_gl0_inv
	v_cmpx_gt_u32_e32 9, v0
	s_cbranch_execz .LBB75_51
; %bb.48:
	v_mov_b32_e32 v3, 0
	v_mov_b32_e32 v5, 0
	v_add_nc_u32_e32 v33, -1, v0
	v_add_nc_u32_e32 v34, 0xc0, v37
	v_mov_b32_e32 v4, 0
	v_mov_b32_e32 v6, 0
	v_mov_b32_e32 v35, v37
	s_mov_b32 s7, 0
	.p2align	6
.LBB75_49:                              ; =>This Inner Loop Header: Depth=1
	s_clause 0x3
	buffer_load_dword v42, v35, s[0:3], 0 offen offset:8
	buffer_load_dword v43, v35, s[0:3], 0 offen offset:12
	buffer_load_dword v44, v35, s[0:3], 0 offen
	buffer_load_dword v45, v35, s[0:3], 0 offen offset:4
	ds_read_b128 v[38:41], v34
	v_add_nc_u32_e32 v33, 1, v33
	v_add_nc_u32_e32 v34, 16, v34
	;; [unrolled: 1-line block ×3, first 2 shown]
	v_cmp_lt_u32_e32 vcc_lo, 7, v33
	s_or_b32 s7, vcc_lo, s7
	s_waitcnt vmcnt(2) lgkmcnt(0)
	v_mul_f64 v[46:47], v[40:41], v[42:43]
	v_mul_f64 v[42:43], v[38:39], v[42:43]
	s_waitcnt vmcnt(0)
	v_fma_f64 v[38:39], v[38:39], v[44:45], -v[46:47]
	v_fma_f64 v[40:41], v[40:41], v[44:45], v[42:43]
	v_add_f64 v[5:6], v[5:6], v[38:39]
	v_add_f64 v[3:4], v[3:4], v[40:41]
	s_andn2_b32 exec_lo, exec_lo, s7
	s_cbranch_execnz .LBB75_49
; %bb.50:
	s_or_b32 exec_lo, exec_lo, s7
	v_mov_b32_e32 v33, 0
	ds_read_b128 v[33:36], v33 offset:144
	s_waitcnt lgkmcnt(0)
	v_mul_f64 v[38:39], v[3:4], v[35:36]
	v_mul_f64 v[35:36], v[5:6], v[35:36]
	v_fma_f64 v[5:6], v[5:6], v[33:34], -v[38:39]
	v_fma_f64 v[3:4], v[3:4], v[33:34], v[35:36]
	buffer_store_dword v6, off, s[0:3], 0 offset:148
	buffer_store_dword v5, off, s[0:3], 0 offset:144
	;; [unrolled: 1-line block ×4, first 2 shown]
.LBB75_51:
	s_or_b32 exec_lo, exec_lo, s6
	v_mov_b32_e32 v6, s13
	s_waitcnt_vscnt null, 0x0
	s_barrier
	buffer_gl0_inv
	s_mov_b32 s6, exec_lo
	s_clause 0x3
	buffer_load_dword v3, v6, s[0:3], 0 offen
	buffer_load_dword v4, v6, s[0:3], 0 offen offset:4
	buffer_load_dword v5, v6, s[0:3], 0 offen offset:8
	;; [unrolled: 1-line block ×3, first 2 shown]
	s_waitcnt vmcnt(0)
	ds_write_b128 v31, v[3:6]
	s_waitcnt lgkmcnt(0)
	s_barrier
	buffer_gl0_inv
	v_cmpx_gt_u32_e32 10, v0
	s_cbranch_execz .LBB75_55
; %bb.52:
	v_mov_b32_e32 v3, 0
	v_mov_b32_e32 v5, 0
	v_add_nc_u32_e32 v33, -1, v0
	v_add_nc_u32_e32 v34, 0xc0, v37
	v_mov_b32_e32 v4, 0
	v_mov_b32_e32 v6, 0
	;; [unrolled: 1-line block ×3, first 2 shown]
	s_mov_b32 s7, 0
	.p2align	6
.LBB75_53:                              ; =>This Inner Loop Header: Depth=1
	s_clause 0x3
	buffer_load_dword v42, v35, s[0:3], 0 offen offset:8
	buffer_load_dword v43, v35, s[0:3], 0 offen offset:12
	buffer_load_dword v44, v35, s[0:3], 0 offen
	buffer_load_dword v45, v35, s[0:3], 0 offen offset:4
	ds_read_b128 v[38:41], v34
	v_add_nc_u32_e32 v33, 1, v33
	v_add_nc_u32_e32 v34, 16, v34
	;; [unrolled: 1-line block ×3, first 2 shown]
	v_cmp_lt_u32_e32 vcc_lo, 8, v33
	s_or_b32 s7, vcc_lo, s7
	s_waitcnt vmcnt(2) lgkmcnt(0)
	v_mul_f64 v[46:47], v[40:41], v[42:43]
	v_mul_f64 v[42:43], v[38:39], v[42:43]
	s_waitcnt vmcnt(0)
	v_fma_f64 v[38:39], v[38:39], v[44:45], -v[46:47]
	v_fma_f64 v[40:41], v[40:41], v[44:45], v[42:43]
	v_add_f64 v[5:6], v[5:6], v[38:39]
	v_add_f64 v[3:4], v[3:4], v[40:41]
	s_andn2_b32 exec_lo, exec_lo, s7
	s_cbranch_execnz .LBB75_53
; %bb.54:
	s_or_b32 exec_lo, exec_lo, s7
	v_mov_b32_e32 v33, 0
	ds_read_b128 v[33:36], v33 offset:160
	s_waitcnt lgkmcnt(0)
	v_mul_f64 v[38:39], v[3:4], v[35:36]
	v_mul_f64 v[35:36], v[5:6], v[35:36]
	v_fma_f64 v[5:6], v[5:6], v[33:34], -v[38:39]
	v_fma_f64 v[3:4], v[3:4], v[33:34], v[35:36]
	buffer_store_dword v6, off, s[0:3], 0 offset:164
	buffer_store_dword v5, off, s[0:3], 0 offset:160
	;; [unrolled: 1-line block ×4, first 2 shown]
.LBB75_55:
	s_or_b32 exec_lo, exec_lo, s6
	v_mov_b32_e32 v6, s12
	s_waitcnt_vscnt null, 0x0
	s_barrier
	buffer_gl0_inv
	s_mov_b32 s6, exec_lo
	s_clause 0x3
	buffer_load_dword v3, v6, s[0:3], 0 offen
	buffer_load_dword v4, v6, s[0:3], 0 offen offset:4
	buffer_load_dword v5, v6, s[0:3], 0 offen offset:8
	;; [unrolled: 1-line block ×3, first 2 shown]
	s_waitcnt vmcnt(0)
	ds_write_b128 v31, v[3:6]
	s_waitcnt lgkmcnt(0)
	s_barrier
	buffer_gl0_inv
	v_cmpx_ne_u32_e32 11, v0
	s_cbranch_execz .LBB75_59
; %bb.56:
	v_mov_b32_e32 v3, 0
	v_mov_b32_e32 v5, 0
	;; [unrolled: 1-line block ×5, first 2 shown]
	s_mov_b32 s7, 0
	.p2align	6
.LBB75_57:                              ; =>This Inner Loop Header: Depth=1
	s_clause 0x3
	buffer_load_dword v38, v33, s[0:3], 0 offen offset:8
	buffer_load_dword v39, v33, s[0:3], 0 offen offset:12
	buffer_load_dword v40, v33, s[0:3], 0 offen
	buffer_load_dword v41, v33, s[0:3], 0 offen offset:4
	ds_read_b128 v[34:37], v31
	v_add_nc_u32_e32 v32, 1, v32
	v_add_nc_u32_e32 v31, 16, v31
	;; [unrolled: 1-line block ×3, first 2 shown]
	v_cmp_lt_u32_e32 vcc_lo, 9, v32
	s_or_b32 s7, vcc_lo, s7
	s_waitcnt vmcnt(2) lgkmcnt(0)
	v_mul_f64 v[42:43], v[36:37], v[38:39]
	v_mul_f64 v[38:39], v[34:35], v[38:39]
	s_waitcnt vmcnt(0)
	v_fma_f64 v[34:35], v[34:35], v[40:41], -v[42:43]
	v_fma_f64 v[36:37], v[36:37], v[40:41], v[38:39]
	v_add_f64 v[5:6], v[5:6], v[34:35]
	v_add_f64 v[3:4], v[3:4], v[36:37]
	s_andn2_b32 exec_lo, exec_lo, s7
	s_cbranch_execnz .LBB75_57
; %bb.58:
	s_or_b32 exec_lo, exec_lo, s7
	v_mov_b32_e32 v31, 0
	ds_read_b128 v[31:34], v31 offset:176
	s_waitcnt lgkmcnt(0)
	v_mul_f64 v[35:36], v[3:4], v[33:34]
	v_mul_f64 v[33:34], v[5:6], v[33:34]
	v_fma_f64 v[5:6], v[5:6], v[31:32], -v[35:36]
	v_fma_f64 v[3:4], v[3:4], v[31:32], v[33:34]
	buffer_store_dword v6, off, s[0:3], 0 offset:180
	buffer_store_dword v5, off, s[0:3], 0 offset:176
	;; [unrolled: 1-line block ×4, first 2 shown]
.LBB75_59:
	s_or_b32 exec_lo, exec_lo, s6
	s_mov_b32 s7, -1
	s_waitcnt_vscnt null, 0x0
	s_barrier
	buffer_gl0_inv
.LBB75_60:
	s_and_b32 vcc_lo, exec_lo, s7
	s_cbranch_vccz .LBB75_62
; %bb.61:
	s_lshl_b64 s[6:7], s[8:9], 2
	v_mov_b32_e32 v3, 0
	s_add_u32 s6, s14, s6
	s_addc_u32 s7, s15, s7
	global_load_dword v3, v3, s[6:7]
	s_waitcnt vmcnt(0)
	v_cmp_ne_u32_e32 vcc_lo, 0, v3
	s_cbranch_vccz .LBB75_63
.LBB75_62:
	s_endpgm
.LBB75_63:
	v_lshl_add_u32 v3, v0, 4, 0xc0
	s_mov_b32 s6, exec_lo
	v_cmpx_eq_u32_e32 11, v0
	s_cbranch_execz .LBB75_65
; %bb.64:
	v_mov_b32_e32 v4, s13
	s_clause 0x3
	buffer_load_dword v31, v4, s[0:3], 0 offen
	buffer_load_dword v32, v4, s[0:3], 0 offen offset:4
	buffer_load_dword v33, v4, s[0:3], 0 offen offset:8
	;; [unrolled: 1-line block ×3, first 2 shown]
	v_mov_b32_e32 v4, 0
	buffer_store_dword v4, off, s[0:3], 0 offset:160
	buffer_store_dword v4, off, s[0:3], 0 offset:164
	;; [unrolled: 1-line block ×4, first 2 shown]
	s_waitcnt vmcnt(0)
	ds_write_b128 v3, v[31:34]
.LBB75_65:
	s_or_b32 exec_lo, exec_lo, s6
	s_waitcnt lgkmcnt(0)
	s_waitcnt_vscnt null, 0x0
	s_barrier
	buffer_gl0_inv
	s_clause 0x7
	buffer_load_dword v5, off, s[0:3], 0 offset:184
	buffer_load_dword v6, off, s[0:3], 0 offset:188
	;; [unrolled: 1-line block ×8, first 2 shown]
	v_mov_b32_e32 v4, 0
	s_mov_b32 s6, exec_lo
	ds_read_b128 v[31:34], v4 offset:368
	s_waitcnt vmcnt(6) lgkmcnt(0)
	v_mul_f64 v[41:42], v[33:34], v[5:6]
	v_mul_f64 v[5:6], v[31:32], v[5:6]
	s_waitcnt vmcnt(4)
	v_fma_f64 v[31:32], v[31:32], v[35:36], -v[41:42]
	v_fma_f64 v[5:6], v[33:34], v[35:36], v[5:6]
	v_add_f64 v[31:32], v[31:32], 0
	v_add_f64 v[5:6], v[5:6], 0
	s_waitcnt vmcnt(2)
	v_add_f64 v[31:32], v[37:38], -v[31:32]
	s_waitcnt vmcnt(0)
	v_add_f64 v[5:6], v[39:40], -v[5:6]
	buffer_store_dword v31, off, s[0:3], 0 offset:160
	buffer_store_dword v32, off, s[0:3], 0 offset:164
	;; [unrolled: 1-line block ×4, first 2 shown]
	v_cmpx_lt_u32_e32 9, v0
	s_cbranch_execz .LBB75_67
; %bb.66:
	v_mov_b32_e32 v5, s16
	s_clause 0x3
	buffer_load_dword v31, v5, s[0:3], 0 offen
	buffer_load_dword v32, v5, s[0:3], 0 offen offset:4
	buffer_load_dword v33, v5, s[0:3], 0 offen offset:8
	;; [unrolled: 1-line block ×3, first 2 shown]
	buffer_store_dword v4, off, s[0:3], 0 offset:144
	buffer_store_dword v4, off, s[0:3], 0 offset:148
	;; [unrolled: 1-line block ×4, first 2 shown]
	s_waitcnt vmcnt(0)
	ds_write_b128 v3, v[31:34]
.LBB75_67:
	s_or_b32 exec_lo, exec_lo, s6
	s_waitcnt lgkmcnt(0)
	s_waitcnt_vscnt null, 0x0
	s_barrier
	buffer_gl0_inv
	s_clause 0xb
	buffer_load_dword v5, off, s[0:3], 0 offset:168
	buffer_load_dword v6, off, s[0:3], 0 offset:172
	;; [unrolled: 1-line block ×12, first 2 shown]
	ds_read_b128 v[31:34], v4 offset:352
	ds_read_b128 v[35:38], v4 offset:368
	s_mov_b32 s6, exec_lo
	s_waitcnt vmcnt(10) lgkmcnt(1)
	v_mul_f64 v[49:50], v[33:34], v[5:6]
	v_mul_f64 v[4:5], v[31:32], v[5:6]
	s_waitcnt vmcnt(8) lgkmcnt(0)
	v_mul_f64 v[51:52], v[37:38], v[39:40]
	v_mul_f64 v[39:40], v[35:36], v[39:40]
	s_waitcnt vmcnt(6)
	v_fma_f64 v[31:32], v[31:32], v[41:42], -v[49:50]
	v_fma_f64 v[4:5], v[33:34], v[41:42], v[4:5]
	s_waitcnt vmcnt(4)
	v_fma_f64 v[33:34], v[35:36], v[43:44], -v[51:52]
	v_fma_f64 v[35:36], v[37:38], v[43:44], v[39:40]
	v_add_f64 v[31:32], v[31:32], 0
	v_add_f64 v[4:5], v[4:5], 0
	;; [unrolled: 1-line block ×4, first 2 shown]
	s_waitcnt vmcnt(2)
	v_add_f64 v[31:32], v[45:46], -v[31:32]
	s_waitcnt vmcnt(0)
	v_add_f64 v[4:5], v[47:48], -v[4:5]
	buffer_store_dword v31, off, s[0:3], 0 offset:144
	buffer_store_dword v32, off, s[0:3], 0 offset:148
	;; [unrolled: 1-line block ×4, first 2 shown]
	v_cmpx_lt_u32_e32 8, v0
	s_cbranch_execz .LBB75_69
; %bb.68:
	v_mov_b32_e32 v4, s17
	s_clause 0x3
	buffer_load_dword v31, v4, s[0:3], 0 offen
	buffer_load_dword v32, v4, s[0:3], 0 offen offset:4
	buffer_load_dword v33, v4, s[0:3], 0 offen offset:8
	;; [unrolled: 1-line block ×3, first 2 shown]
	v_mov_b32_e32 v4, 0
	buffer_store_dword v4, off, s[0:3], 0 offset:128
	buffer_store_dword v4, off, s[0:3], 0 offset:132
	;; [unrolled: 1-line block ×4, first 2 shown]
	s_waitcnt vmcnt(0)
	ds_write_b128 v3, v[31:34]
.LBB75_69:
	s_or_b32 exec_lo, exec_lo, s6
	s_waitcnt lgkmcnt(0)
	s_waitcnt_vscnt null, 0x0
	s_barrier
	buffer_gl0_inv
	s_clause 0xf
	buffer_load_dword v5, off, s[0:3], 0 offset:152
	buffer_load_dword v6, off, s[0:3], 0 offset:156
	buffer_load_dword v43, off, s[0:3], 0 offset:168
	buffer_load_dword v44, off, s[0:3], 0 offset:172
	buffer_load_dword v45, off, s[0:3], 0 offset:144
	buffer_load_dword v46, off, s[0:3], 0 offset:148
	buffer_load_dword v47, off, s[0:3], 0 offset:184
	buffer_load_dword v48, off, s[0:3], 0 offset:188
	buffer_load_dword v49, off, s[0:3], 0 offset:160
	buffer_load_dword v50, off, s[0:3], 0 offset:164
	buffer_load_dword v51, off, s[0:3], 0 offset:176
	buffer_load_dword v52, off, s[0:3], 0 offset:180
	buffer_load_dword v53, off, s[0:3], 0 offset:128
	buffer_load_dword v54, off, s[0:3], 0 offset:132
	buffer_load_dword v55, off, s[0:3], 0 offset:136
	buffer_load_dword v56, off, s[0:3], 0 offset:140
	v_mov_b32_e32 v4, 0
	ds_read_b128 v[31:34], v4 offset:336
	ds_read_b128 v[35:38], v4 offset:352
	;; [unrolled: 1-line block ×3, first 2 shown]
	s_mov_b32 s6, exec_lo
	s_waitcnt vmcnt(14) lgkmcnt(2)
	v_mul_f64 v[57:58], v[33:34], v[5:6]
	v_mul_f64 v[5:6], v[31:32], v[5:6]
	s_waitcnt vmcnt(12) lgkmcnt(1)
	v_mul_f64 v[59:60], v[37:38], v[43:44]
	v_mul_f64 v[43:44], v[35:36], v[43:44]
	s_waitcnt vmcnt(10)
	v_fma_f64 v[31:32], v[31:32], v[45:46], -v[57:58]
	v_fma_f64 v[5:6], v[33:34], v[45:46], v[5:6]
	s_waitcnt vmcnt(8) lgkmcnt(0)
	v_mul_f64 v[45:46], v[41:42], v[47:48]
	s_waitcnt vmcnt(6)
	v_fma_f64 v[35:36], v[35:36], v[49:50], -v[59:60]
	v_mul_f64 v[33:34], v[39:40], v[47:48]
	v_fma_f64 v[37:38], v[37:38], v[49:50], v[43:44]
	v_add_f64 v[31:32], v[31:32], 0
	v_add_f64 v[5:6], v[5:6], 0
	s_waitcnt vmcnt(4)
	v_fma_f64 v[39:40], v[39:40], v[51:52], -v[45:46]
	v_fma_f64 v[33:34], v[41:42], v[51:52], v[33:34]
	v_add_f64 v[31:32], v[31:32], v[35:36]
	v_add_f64 v[5:6], v[5:6], v[37:38]
	;; [unrolled: 1-line block ×4, first 2 shown]
	s_waitcnt vmcnt(2)
	v_add_f64 v[31:32], v[53:54], -v[31:32]
	s_waitcnt vmcnt(0)
	v_add_f64 v[5:6], v[55:56], -v[5:6]
	buffer_store_dword v31, off, s[0:3], 0 offset:128
	buffer_store_dword v32, off, s[0:3], 0 offset:132
	;; [unrolled: 1-line block ×4, first 2 shown]
	v_cmpx_lt_u32_e32 7, v0
	s_cbranch_execz .LBB75_71
; %bb.70:
	v_mov_b32_e32 v5, s18
	s_clause 0x3
	buffer_load_dword v31, v5, s[0:3], 0 offen
	buffer_load_dword v32, v5, s[0:3], 0 offen offset:4
	buffer_load_dword v33, v5, s[0:3], 0 offen offset:8
	;; [unrolled: 1-line block ×3, first 2 shown]
	buffer_store_dword v4, off, s[0:3], 0 offset:112
	buffer_store_dword v4, off, s[0:3], 0 offset:116
	;; [unrolled: 1-line block ×4, first 2 shown]
	s_waitcnt vmcnt(0)
	ds_write_b128 v3, v[31:34]
.LBB75_71:
	s_or_b32 exec_lo, exec_lo, s6
	s_waitcnt lgkmcnt(0)
	s_waitcnt_vscnt null, 0x0
	s_barrier
	buffer_gl0_inv
	s_clause 0x13
	buffer_load_dword v5, off, s[0:3], 0 offset:136
	buffer_load_dword v6, off, s[0:3], 0 offset:140
	;; [unrolled: 1-line block ×20, first 2 shown]
	ds_read_b128 v[31:34], v4 offset:320
	ds_read_b128 v[35:38], v4 offset:336
	;; [unrolled: 1-line block ×3, first 2 shown]
	s_mov_b32 s6, exec_lo
	s_waitcnt vmcnt(18) lgkmcnt(2)
	v_mul_f64 v[61:62], v[33:34], v[5:6]
	v_mul_f64 v[5:6], v[31:32], v[5:6]
	s_waitcnt vmcnt(16) lgkmcnt(1)
	v_mul_f64 v[63:64], v[37:38], v[43:44]
	v_mul_f64 v[43:44], v[35:36], v[43:44]
	s_waitcnt vmcnt(14)
	v_fma_f64 v[61:62], v[31:32], v[45:46], -v[61:62]
	v_fma_f64 v[5:6], v[33:34], v[45:46], v[5:6]
	ds_read_b128 v[31:34], v4 offset:368
	s_waitcnt vmcnt(12) lgkmcnt(1)
	v_mul_f64 v[45:46], v[39:40], v[47:48]
	v_mul_f64 v[47:48], v[41:42], v[47:48]
	s_waitcnt vmcnt(10)
	v_fma_f64 v[35:36], v[35:36], v[49:50], -v[63:64]
	v_fma_f64 v[37:38], v[37:38], v[49:50], v[43:44]
	s_waitcnt vmcnt(8) lgkmcnt(0)
	v_mul_f64 v[49:50], v[33:34], v[51:52]
	v_add_f64 v[61:62], v[61:62], 0
	v_add_f64 v[4:5], v[5:6], 0
	v_mul_f64 v[43:44], v[31:32], v[51:52]
	s_waitcnt vmcnt(6)
	v_fma_f64 v[39:40], v[39:40], v[53:54], -v[47:48]
	v_fma_f64 v[41:42], v[41:42], v[53:54], v[45:46]
	s_waitcnt vmcnt(4)
	v_fma_f64 v[31:32], v[31:32], v[55:56], -v[49:50]
	v_add_f64 v[35:36], v[61:62], v[35:36]
	v_add_f64 v[4:5], v[4:5], v[37:38]
	v_fma_f64 v[33:34], v[33:34], v[55:56], v[43:44]
	v_add_f64 v[35:36], v[35:36], v[39:40]
	v_add_f64 v[4:5], v[4:5], v[41:42]
	;; [unrolled: 1-line block ×4, first 2 shown]
	s_waitcnt vmcnt(2)
	v_add_f64 v[31:32], v[57:58], -v[31:32]
	s_waitcnt vmcnt(0)
	v_add_f64 v[4:5], v[59:60], -v[4:5]
	buffer_store_dword v31, off, s[0:3], 0 offset:112
	buffer_store_dword v32, off, s[0:3], 0 offset:116
	;; [unrolled: 1-line block ×4, first 2 shown]
	v_cmpx_lt_u32_e32 6, v0
	s_cbranch_execz .LBB75_73
; %bb.72:
	v_mov_b32_e32 v4, s19
	s_clause 0x3
	buffer_load_dword v31, v4, s[0:3], 0 offen
	buffer_load_dword v32, v4, s[0:3], 0 offen offset:4
	buffer_load_dword v33, v4, s[0:3], 0 offen offset:8
	;; [unrolled: 1-line block ×3, first 2 shown]
	v_mov_b32_e32 v4, 0
	buffer_store_dword v4, off, s[0:3], 0 offset:96
	buffer_store_dword v4, off, s[0:3], 0 offset:100
	;; [unrolled: 1-line block ×4, first 2 shown]
	s_waitcnt vmcnt(0)
	ds_write_b128 v3, v[31:34]
.LBB75_73:
	s_or_b32 exec_lo, exec_lo, s6
	s_waitcnt lgkmcnt(0)
	s_waitcnt_vscnt null, 0x0
	s_barrier
	buffer_gl0_inv
	s_clause 0x17
	buffer_load_dword v5, off, s[0:3], 0 offset:120
	buffer_load_dword v6, off, s[0:3], 0 offset:124
	;; [unrolled: 1-line block ×24, first 2 shown]
	v_mov_b32_e32 v4, 0
	ds_read_b128 v[31:34], v4 offset:304
	ds_read_b128 v[35:38], v4 offset:320
	ds_read_b128 v[39:42], v4 offset:336
	s_mov_b32 s6, exec_lo
	s_waitcnt vmcnt(22) lgkmcnt(2)
	v_mul_f64 v[65:66], v[33:34], v[5:6]
	v_mul_f64 v[5:6], v[31:32], v[5:6]
	s_waitcnt vmcnt(20) lgkmcnt(1)
	v_mul_f64 v[67:68], v[37:38], v[43:44]
	v_mul_f64 v[43:44], v[35:36], v[43:44]
	s_waitcnt vmcnt(18)
	v_fma_f64 v[65:66], v[31:32], v[45:46], -v[65:66]
	v_fma_f64 v[5:6], v[33:34], v[45:46], v[5:6]
	ds_read_b128 v[31:34], v4 offset:352
	s_waitcnt vmcnt(16) lgkmcnt(1)
	v_mul_f64 v[45:46], v[39:40], v[47:48]
	v_mul_f64 v[47:48], v[41:42], v[47:48]
	s_waitcnt vmcnt(14)
	v_fma_f64 v[67:68], v[35:36], v[49:50], -v[67:68]
	v_fma_f64 v[43:44], v[37:38], v[49:50], v[43:44]
	ds_read_b128 v[35:38], v4 offset:368
	s_waitcnt vmcnt(10) lgkmcnt(1)
	v_mul_f64 v[49:50], v[31:32], v[51:52]
	v_add_f64 v[65:66], v[65:66], 0
	v_add_f64 v[5:6], v[5:6], 0
	v_mul_f64 v[51:52], v[33:34], v[51:52]
	s_waitcnt vmcnt(8)
	v_fma_f64 v[39:40], v[39:40], v[57:58], -v[47:48]
	v_fma_f64 v[41:42], v[41:42], v[57:58], v[45:46]
	s_waitcnt vmcnt(7) lgkmcnt(0)
	v_mul_f64 v[45:46], v[37:38], v[53:54]
	s_waitcnt vmcnt(5)
	v_fma_f64 v[33:34], v[33:34], v[59:60], v[49:50]
	v_add_f64 v[47:48], v[65:66], v[67:68]
	v_add_f64 v[5:6], v[5:6], v[43:44]
	v_fma_f64 v[31:32], v[31:32], v[59:60], -v[51:52]
	v_mul_f64 v[43:44], v[35:36], v[53:54]
	s_waitcnt vmcnt(4)
	v_fma_f64 v[35:36], v[35:36], v[55:56], -v[45:46]
	v_add_f64 v[39:40], v[47:48], v[39:40]
	v_add_f64 v[5:6], v[5:6], v[41:42]
	v_fma_f64 v[37:38], v[37:38], v[55:56], v[43:44]
	v_add_f64 v[31:32], v[39:40], v[31:32]
	v_add_f64 v[5:6], v[5:6], v[33:34]
	;; [unrolled: 1-line block ×4, first 2 shown]
	s_waitcnt vmcnt(2)
	v_add_f64 v[31:32], v[61:62], -v[31:32]
	s_waitcnt vmcnt(0)
	v_add_f64 v[5:6], v[63:64], -v[5:6]
	buffer_store_dword v32, off, s[0:3], 0 offset:100
	buffer_store_dword v31, off, s[0:3], 0 offset:96
	;; [unrolled: 1-line block ×4, first 2 shown]
	v_cmpx_lt_u32_e32 5, v0
	s_cbranch_execz .LBB75_75
; %bb.74:
	v_mov_b32_e32 v5, s20
	s_clause 0x3
	buffer_load_dword v31, v5, s[0:3], 0 offen
	buffer_load_dword v32, v5, s[0:3], 0 offen offset:4
	buffer_load_dword v33, v5, s[0:3], 0 offen offset:8
	;; [unrolled: 1-line block ×3, first 2 shown]
	buffer_store_dword v4, off, s[0:3], 0 offset:80
	buffer_store_dword v4, off, s[0:3], 0 offset:84
	;; [unrolled: 1-line block ×4, first 2 shown]
	s_waitcnt vmcnt(0)
	ds_write_b128 v3, v[31:34]
.LBB75_75:
	s_or_b32 exec_lo, exec_lo, s6
	s_waitcnt lgkmcnt(0)
	s_waitcnt_vscnt null, 0x0
	s_barrier
	buffer_gl0_inv
	s_clause 0x1b
	buffer_load_dword v5, off, s[0:3], 0 offset:104
	buffer_load_dword v6, off, s[0:3], 0 offset:108
	;; [unrolled: 1-line block ×28, first 2 shown]
	ds_read_b128 v[31:34], v4 offset:288
	ds_read_b128 v[35:38], v4 offset:304
	;; [unrolled: 1-line block ×3, first 2 shown]
	s_mov_b32 s6, exec_lo
	s_waitcnt vmcnt(26) lgkmcnt(2)
	v_mul_f64 v[69:70], v[33:34], v[5:6]
	v_mul_f64 v[5:6], v[31:32], v[5:6]
	s_waitcnt vmcnt(24) lgkmcnt(1)
	v_mul_f64 v[71:72], v[37:38], v[43:44]
	v_mul_f64 v[43:44], v[35:36], v[43:44]
	s_waitcnt vmcnt(22)
	v_fma_f64 v[69:70], v[31:32], v[45:46], -v[69:70]
	v_fma_f64 v[5:6], v[33:34], v[45:46], v[5:6]
	ds_read_b128 v[31:34], v4 offset:336
	s_waitcnt vmcnt(20) lgkmcnt(1)
	v_mul_f64 v[45:46], v[39:40], v[47:48]
	v_mul_f64 v[47:48], v[41:42], v[47:48]
	s_waitcnt vmcnt(18)
	v_fma_f64 v[71:72], v[35:36], v[49:50], -v[71:72]
	v_fma_f64 v[43:44], v[37:38], v[49:50], v[43:44]
	ds_read_b128 v[35:38], v4 offset:352
	s_waitcnt vmcnt(14) lgkmcnt(1)
	v_mul_f64 v[49:50], v[31:32], v[51:52]
	v_add_f64 v[69:70], v[69:70], 0
	v_add_f64 v[5:6], v[5:6], 0
	v_mul_f64 v[51:52], v[33:34], v[51:52]
	s_waitcnt vmcnt(12)
	v_fma_f64 v[47:48], v[39:40], v[57:58], -v[47:48]
	v_fma_f64 v[45:46], v[41:42], v[57:58], v[45:46]
	ds_read_b128 v[39:42], v4 offset:368
	s_waitcnt vmcnt(9)
	v_fma_f64 v[33:34], v[33:34], v[59:60], v[49:50]
	v_add_f64 v[69:70], v[69:70], v[71:72]
	v_add_f64 v[5:6], v[5:6], v[43:44]
	s_waitcnt lgkmcnt(1)
	v_mul_f64 v[43:44], v[35:36], v[53:54]
	v_mul_f64 v[53:54], v[37:38], v[53:54]
	v_fma_f64 v[31:32], v[31:32], v[59:60], -v[51:52]
	s_waitcnt vmcnt(7) lgkmcnt(0)
	v_mul_f64 v[49:50], v[41:42], v[61:62]
	v_add_f64 v[47:48], v[69:70], v[47:48]
	v_add_f64 v[4:5], v[5:6], v[45:46]
	v_mul_f64 v[45:46], v[39:40], v[61:62]
	s_waitcnt vmcnt(6)
	v_fma_f64 v[35:36], v[35:36], v[55:56], -v[53:54]
	v_fma_f64 v[37:38], v[37:38], v[55:56], v[43:44]
	v_add_f64 v[31:32], v[47:48], v[31:32]
	v_add_f64 v[4:5], v[4:5], v[33:34]
	s_waitcnt vmcnt(4)
	v_fma_f64 v[33:34], v[39:40], v[63:64], -v[49:50]
	v_add_f64 v[31:32], v[31:32], v[35:36]
	v_fma_f64 v[35:36], v[41:42], v[63:64], v[45:46]
	v_add_f64 v[4:5], v[4:5], v[37:38]
	v_add_f64 v[31:32], v[31:32], v[33:34]
	;; [unrolled: 1-line block ×3, first 2 shown]
	s_waitcnt vmcnt(2)
	v_add_f64 v[31:32], v[65:66], -v[31:32]
	s_waitcnt vmcnt(0)
	v_add_f64 v[4:5], v[67:68], -v[4:5]
	buffer_store_dword v32, off, s[0:3], 0 offset:84
	buffer_store_dword v31, off, s[0:3], 0 offset:80
	;; [unrolled: 1-line block ×4, first 2 shown]
	v_cmpx_lt_u32_e32 4, v0
	s_cbranch_execz .LBB75_77
; %bb.76:
	v_mov_b32_e32 v4, s21
	s_clause 0x3
	buffer_load_dword v31, v4, s[0:3], 0 offen
	buffer_load_dword v32, v4, s[0:3], 0 offen offset:4
	buffer_load_dword v33, v4, s[0:3], 0 offen offset:8
	;; [unrolled: 1-line block ×3, first 2 shown]
	v_mov_b32_e32 v4, 0
	buffer_store_dword v4, off, s[0:3], 0 offset:64
	buffer_store_dword v4, off, s[0:3], 0 offset:68
	;; [unrolled: 1-line block ×4, first 2 shown]
	s_waitcnt vmcnt(0)
	ds_write_b128 v3, v[31:34]
.LBB75_77:
	s_or_b32 exec_lo, exec_lo, s6
	s_waitcnt lgkmcnt(0)
	s_waitcnt_vscnt null, 0x0
	s_barrier
	buffer_gl0_inv
	s_clause 0x1f
	buffer_load_dword v5, off, s[0:3], 0 offset:88
	buffer_load_dword v6, off, s[0:3], 0 offset:92
	;; [unrolled: 1-line block ×32, first 2 shown]
	v_mov_b32_e32 v4, 0
	ds_read_b128 v[31:34], v4 offset:272
	ds_read_b128 v[35:38], v4 offset:288
	;; [unrolled: 1-line block ×3, first 2 shown]
	s_mov_b32 s6, exec_lo
	s_waitcnt vmcnt(30) lgkmcnt(2)
	v_mul_f64 v[73:74], v[33:34], v[5:6]
	v_mul_f64 v[5:6], v[31:32], v[5:6]
	s_waitcnt vmcnt(28) lgkmcnt(1)
	v_mul_f64 v[75:76], v[37:38], v[43:44]
	v_mul_f64 v[43:44], v[35:36], v[43:44]
	s_waitcnt vmcnt(26)
	v_fma_f64 v[73:74], v[31:32], v[45:46], -v[73:74]
	v_fma_f64 v[5:6], v[33:34], v[45:46], v[5:6]
	ds_read_b128 v[31:34], v4 offset:320
	s_waitcnt vmcnt(24) lgkmcnt(1)
	v_mul_f64 v[45:46], v[39:40], v[47:48]
	v_mul_f64 v[47:48], v[41:42], v[47:48]
	s_waitcnt vmcnt(22)
	v_fma_f64 v[75:76], v[35:36], v[49:50], -v[75:76]
	v_fma_f64 v[43:44], v[37:38], v[49:50], v[43:44]
	ds_read_b128 v[35:38], v4 offset:336
	s_waitcnt vmcnt(18) lgkmcnt(1)
	v_mul_f64 v[49:50], v[31:32], v[51:52]
	v_add_f64 v[73:74], v[73:74], 0
	v_add_f64 v[5:6], v[5:6], 0
	v_mul_f64 v[51:52], v[33:34], v[51:52]
	s_waitcnt vmcnt(16)
	v_fma_f64 v[47:48], v[39:40], v[57:58], -v[47:48]
	v_fma_f64 v[45:46], v[41:42], v[57:58], v[45:46]
	ds_read_b128 v[39:42], v4 offset:352
	s_waitcnt vmcnt(13)
	v_fma_f64 v[49:50], v[33:34], v[59:60], v[49:50]
	v_add_f64 v[73:74], v[73:74], v[75:76]
	v_add_f64 v[5:6], v[5:6], v[43:44]
	s_waitcnt lgkmcnt(1)
	v_mul_f64 v[43:44], v[35:36], v[53:54]
	v_mul_f64 v[53:54], v[37:38], v[53:54]
	v_fma_f64 v[51:52], v[31:32], v[59:60], -v[51:52]
	s_waitcnt vmcnt(9) lgkmcnt(0)
	v_mul_f64 v[57:58], v[41:42], v[61:62]
	ds_read_b128 v[31:34], v4 offset:368
	v_add_f64 v[47:48], v[73:74], v[47:48]
	v_add_f64 v[5:6], v[5:6], v[45:46]
	v_mul_f64 v[45:46], v[39:40], v[61:62]
	s_waitcnt vmcnt(8)
	v_fma_f64 v[35:36], v[35:36], v[55:56], -v[53:54]
	v_fma_f64 v[37:38], v[37:38], v[55:56], v[43:44]
	s_waitcnt vmcnt(5)
	v_fma_f64 v[39:40], v[39:40], v[67:68], -v[57:58]
	s_waitcnt lgkmcnt(0)
	v_mul_f64 v[43:44], v[31:32], v[63:64]
	v_add_f64 v[47:48], v[47:48], v[51:52]
	v_add_f64 v[5:6], v[5:6], v[49:50]
	v_mul_f64 v[49:50], v[33:34], v[63:64]
	v_fma_f64 v[41:42], v[41:42], v[67:68], v[45:46]
	s_waitcnt vmcnt(4)
	v_fma_f64 v[33:34], v[33:34], v[65:66], v[43:44]
	v_add_f64 v[35:36], v[47:48], v[35:36]
	v_add_f64 v[5:6], v[5:6], v[37:38]
	v_fma_f64 v[31:32], v[31:32], v[65:66], -v[49:50]
	v_add_f64 v[35:36], v[35:36], v[39:40]
	v_add_f64 v[5:6], v[5:6], v[41:42]
	;; [unrolled: 1-line block ×4, first 2 shown]
	s_waitcnt vmcnt(2)
	v_add_f64 v[31:32], v[69:70], -v[31:32]
	s_waitcnt vmcnt(0)
	v_add_f64 v[5:6], v[71:72], -v[5:6]
	buffer_store_dword v32, off, s[0:3], 0 offset:68
	buffer_store_dword v31, off, s[0:3], 0 offset:64
	;; [unrolled: 1-line block ×4, first 2 shown]
	v_cmpx_lt_u32_e32 3, v0
	s_cbranch_execz .LBB75_79
; %bb.78:
	v_mov_b32_e32 v5, s22
	s_clause 0x3
	buffer_load_dword v31, v5, s[0:3], 0 offen
	buffer_load_dword v32, v5, s[0:3], 0 offen offset:4
	buffer_load_dword v33, v5, s[0:3], 0 offen offset:8
	;; [unrolled: 1-line block ×3, first 2 shown]
	buffer_store_dword v4, off, s[0:3], 0 offset:48
	buffer_store_dword v4, off, s[0:3], 0 offset:52
	;; [unrolled: 1-line block ×4, first 2 shown]
	s_waitcnt vmcnt(0)
	ds_write_b128 v3, v[31:34]
.LBB75_79:
	s_or_b32 exec_lo, exec_lo, s6
	s_waitcnt lgkmcnt(0)
	s_waitcnt_vscnt null, 0x0
	s_barrier
	buffer_gl0_inv
	s_clause 0x23
	buffer_load_dword v5, off, s[0:3], 0 offset:72
	buffer_load_dword v6, off, s[0:3], 0 offset:76
	;; [unrolled: 1-line block ×36, first 2 shown]
	ds_read_b128 v[31:34], v4 offset:256
	ds_read_b128 v[35:38], v4 offset:272
	ds_read_b128 v[39:42], v4 offset:288
	s_mov_b32 s6, exec_lo
	s_waitcnt vmcnt(34) lgkmcnt(2)
	v_mul_f64 v[77:78], v[33:34], v[5:6]
	v_mul_f64 v[5:6], v[31:32], v[5:6]
	s_waitcnt vmcnt(32) lgkmcnt(1)
	v_mul_f64 v[79:80], v[37:38], v[43:44]
	v_mul_f64 v[43:44], v[35:36], v[43:44]
	s_waitcnt vmcnt(30)
	v_fma_f64 v[77:78], v[31:32], v[45:46], -v[77:78]
	v_fma_f64 v[5:6], v[33:34], v[45:46], v[5:6]
	ds_read_b128 v[31:34], v4 offset:304
	s_waitcnt vmcnt(28) lgkmcnt(1)
	v_mul_f64 v[45:46], v[39:40], v[47:48]
	v_mul_f64 v[47:48], v[41:42], v[47:48]
	s_waitcnt vmcnt(26)
	v_fma_f64 v[79:80], v[35:36], v[49:50], -v[79:80]
	v_fma_f64 v[43:44], v[37:38], v[49:50], v[43:44]
	ds_read_b128 v[35:38], v4 offset:320
	s_waitcnt vmcnt(22) lgkmcnt(1)
	v_mul_f64 v[49:50], v[31:32], v[51:52]
	v_add_f64 v[77:78], v[77:78], 0
	v_add_f64 v[5:6], v[5:6], 0
	v_mul_f64 v[51:52], v[33:34], v[51:52]
	s_waitcnt vmcnt(20)
	v_fma_f64 v[47:48], v[39:40], v[57:58], -v[47:48]
	v_fma_f64 v[45:46], v[41:42], v[57:58], v[45:46]
	ds_read_b128 v[39:42], v4 offset:336
	s_waitcnt vmcnt(17)
	v_fma_f64 v[49:50], v[33:34], v[59:60], v[49:50]
	v_add_f64 v[77:78], v[77:78], v[79:80]
	v_add_f64 v[5:6], v[5:6], v[43:44]
	s_waitcnt lgkmcnt(1)
	v_mul_f64 v[43:44], v[35:36], v[53:54]
	v_mul_f64 v[53:54], v[37:38], v[53:54]
	v_fma_f64 v[51:52], v[31:32], v[59:60], -v[51:52]
	s_waitcnt vmcnt(13) lgkmcnt(0)
	v_mul_f64 v[57:58], v[41:42], v[61:62]
	ds_read_b128 v[31:34], v4 offset:352
	v_add_f64 v[47:48], v[77:78], v[47:48]
	v_add_f64 v[5:6], v[5:6], v[45:46]
	v_mul_f64 v[45:46], v[39:40], v[61:62]
	s_waitcnt vmcnt(12)
	v_fma_f64 v[53:54], v[35:36], v[55:56], -v[53:54]
	v_fma_f64 v[43:44], v[37:38], v[55:56], v[43:44]
	ds_read_b128 v[35:38], v4 offset:368
	s_waitcnt vmcnt(9)
	v_fma_f64 v[39:40], v[39:40], v[67:68], -v[57:58]
	v_add_f64 v[47:48], v[47:48], v[51:52]
	v_add_f64 v[5:6], v[5:6], v[49:50]
	s_waitcnt lgkmcnt(1)
	v_mul_f64 v[51:52], v[33:34], v[63:64]
	v_mul_f64 v[49:50], v[31:32], v[63:64]
	v_fma_f64 v[41:42], v[41:42], v[67:68], v[45:46]
	s_waitcnt vmcnt(7) lgkmcnt(0)
	v_mul_f64 v[45:46], v[37:38], v[69:70]
	v_add_f64 v[47:48], v[47:48], v[53:54]
	v_add_f64 v[4:5], v[5:6], v[43:44]
	s_waitcnt vmcnt(6)
	v_fma_f64 v[31:32], v[31:32], v[65:66], -v[51:52]
	v_mul_f64 v[43:44], v[35:36], v[69:70]
	v_fma_f64 v[33:34], v[33:34], v[65:66], v[49:50]
	s_waitcnt vmcnt(4)
	v_fma_f64 v[35:36], v[35:36], v[71:72], -v[45:46]
	v_add_f64 v[39:40], v[47:48], v[39:40]
	v_add_f64 v[4:5], v[4:5], v[41:42]
	v_fma_f64 v[37:38], v[37:38], v[71:72], v[43:44]
	v_add_f64 v[31:32], v[39:40], v[31:32]
	v_add_f64 v[4:5], v[4:5], v[33:34]
	v_add_f64 v[31:32], v[31:32], v[35:36]
	v_add_f64 v[4:5], v[4:5], v[37:38]
	s_waitcnt vmcnt(2)
	v_add_f64 v[31:32], v[73:74], -v[31:32]
	s_waitcnt vmcnt(0)
	v_add_f64 v[4:5], v[75:76], -v[4:5]
	buffer_store_dword v32, off, s[0:3], 0 offset:52
	buffer_store_dword v31, off, s[0:3], 0 offset:48
	;; [unrolled: 1-line block ×4, first 2 shown]
	v_cmpx_lt_u32_e32 2, v0
	s_cbranch_execz .LBB75_81
; %bb.80:
	v_mov_b32_e32 v4, s23
	s_clause 0x3
	buffer_load_dword v31, v4, s[0:3], 0 offen
	buffer_load_dword v32, v4, s[0:3], 0 offen offset:4
	buffer_load_dword v33, v4, s[0:3], 0 offen offset:8
	;; [unrolled: 1-line block ×3, first 2 shown]
	v_mov_b32_e32 v4, 0
	buffer_store_dword v4, off, s[0:3], 0 offset:32
	buffer_store_dword v4, off, s[0:3], 0 offset:36
	;; [unrolled: 1-line block ×4, first 2 shown]
	s_waitcnt vmcnt(0)
	ds_write_b128 v3, v[31:34]
.LBB75_81:
	s_or_b32 exec_lo, exec_lo, s6
	s_waitcnt lgkmcnt(0)
	s_waitcnt_vscnt null, 0x0
	s_barrier
	buffer_gl0_inv
	s_clause 0x27
	buffer_load_dword v5, off, s[0:3], 0 offset:56
	buffer_load_dword v6, off, s[0:3], 0 offset:60
	;; [unrolled: 1-line block ×40, first 2 shown]
	v_mov_b32_e32 v4, 0
	ds_read_b128 v[31:34], v4 offset:240
	ds_read_b128 v[35:38], v4 offset:256
	ds_read_b128 v[39:42], v4 offset:272
	s_mov_b32 s6, exec_lo
	s_waitcnt vmcnt(38) lgkmcnt(2)
	v_mul_f64 v[81:82], v[33:34], v[5:6]
	v_mul_f64 v[5:6], v[31:32], v[5:6]
	s_waitcnt vmcnt(36) lgkmcnt(1)
	v_mul_f64 v[83:84], v[37:38], v[43:44]
	v_mul_f64 v[43:44], v[35:36], v[43:44]
	s_waitcnt vmcnt(34)
	v_fma_f64 v[81:82], v[31:32], v[45:46], -v[81:82]
	v_fma_f64 v[5:6], v[33:34], v[45:46], v[5:6]
	ds_read_b128 v[31:34], v4 offset:288
	s_waitcnt vmcnt(32) lgkmcnt(1)
	v_mul_f64 v[45:46], v[39:40], v[47:48]
	v_mul_f64 v[47:48], v[41:42], v[47:48]
	s_waitcnt vmcnt(30)
	v_fma_f64 v[83:84], v[35:36], v[49:50], -v[83:84]
	v_fma_f64 v[43:44], v[37:38], v[49:50], v[43:44]
	ds_read_b128 v[35:38], v4 offset:304
	s_waitcnt vmcnt(26) lgkmcnt(1)
	v_mul_f64 v[49:50], v[31:32], v[51:52]
	v_add_f64 v[81:82], v[81:82], 0
	v_add_f64 v[5:6], v[5:6], 0
	v_mul_f64 v[51:52], v[33:34], v[51:52]
	s_waitcnt vmcnt(24)
	v_fma_f64 v[47:48], v[39:40], v[57:58], -v[47:48]
	v_fma_f64 v[45:46], v[41:42], v[57:58], v[45:46]
	ds_read_b128 v[39:42], v4 offset:320
	s_waitcnt vmcnt(21)
	v_fma_f64 v[49:50], v[33:34], v[59:60], v[49:50]
	v_add_f64 v[81:82], v[81:82], v[83:84]
	v_add_f64 v[5:6], v[5:6], v[43:44]
	s_waitcnt lgkmcnt(1)
	v_mul_f64 v[43:44], v[35:36], v[53:54]
	v_mul_f64 v[53:54], v[37:38], v[53:54]
	v_fma_f64 v[51:52], v[31:32], v[59:60], -v[51:52]
	s_waitcnt vmcnt(17) lgkmcnt(0)
	v_mul_f64 v[57:58], v[41:42], v[61:62]
	ds_read_b128 v[31:34], v4 offset:336
	v_add_f64 v[47:48], v[81:82], v[47:48]
	v_add_f64 v[5:6], v[5:6], v[45:46]
	v_mul_f64 v[45:46], v[39:40], v[61:62]
	s_waitcnt vmcnt(16)
	v_fma_f64 v[53:54], v[35:36], v[55:56], -v[53:54]
	v_fma_f64 v[43:44], v[37:38], v[55:56], v[43:44]
	ds_read_b128 v[35:38], v4 offset:352
	s_waitcnt vmcnt(13)
	v_fma_f64 v[55:56], v[39:40], v[67:68], -v[57:58]
	v_add_f64 v[47:48], v[47:48], v[51:52]
	v_add_f64 v[5:6], v[5:6], v[49:50]
	s_waitcnt lgkmcnt(1)
	v_mul_f64 v[51:52], v[33:34], v[63:64]
	v_mul_f64 v[49:50], v[31:32], v[63:64]
	v_fma_f64 v[45:46], v[41:42], v[67:68], v[45:46]
	ds_read_b128 v[39:42], v4 offset:368
	v_add_f64 v[47:48], v[47:48], v[53:54]
	v_add_f64 v[5:6], v[5:6], v[43:44]
	s_waitcnt vmcnt(9) lgkmcnt(1)
	v_mul_f64 v[53:54], v[37:38], v[69:70]
	s_waitcnt vmcnt(8)
	v_fma_f64 v[31:32], v[31:32], v[65:66], -v[51:52]
	v_mul_f64 v[43:44], v[35:36], v[69:70]
	v_fma_f64 v[33:34], v[33:34], v[65:66], v[49:50]
	s_waitcnt vmcnt(7) lgkmcnt(0)
	v_mul_f64 v[49:50], v[41:42], v[71:72]
	v_add_f64 v[47:48], v[47:48], v[55:56]
	v_add_f64 v[5:6], v[5:6], v[45:46]
	s_waitcnt vmcnt(5)
	v_fma_f64 v[35:36], v[35:36], v[75:76], -v[53:54]
	v_mul_f64 v[45:46], v[39:40], v[71:72]
	v_fma_f64 v[37:38], v[37:38], v[75:76], v[43:44]
	v_add_f64 v[31:32], v[47:48], v[31:32]
	v_add_f64 v[5:6], v[5:6], v[33:34]
	s_waitcnt vmcnt(4)
	v_fma_f64 v[33:34], v[39:40], v[73:74], -v[49:50]
	v_add_f64 v[31:32], v[31:32], v[35:36]
	v_fma_f64 v[35:36], v[41:42], v[73:74], v[45:46]
	v_add_f64 v[5:6], v[5:6], v[37:38]
	v_add_f64 v[31:32], v[31:32], v[33:34]
	;; [unrolled: 1-line block ×3, first 2 shown]
	s_waitcnt vmcnt(2)
	v_add_f64 v[31:32], v[77:78], -v[31:32]
	s_waitcnt vmcnt(0)
	v_add_f64 v[5:6], v[79:80], -v[5:6]
	buffer_store_dword v32, off, s[0:3], 0 offset:36
	buffer_store_dword v31, off, s[0:3], 0 offset:32
	;; [unrolled: 1-line block ×4, first 2 shown]
	v_cmpx_lt_u32_e32 1, v0
	s_cbranch_execz .LBB75_83
; %bb.82:
	v_mov_b32_e32 v5, s24
	s_clause 0x3
	buffer_load_dword v31, v5, s[0:3], 0 offen
	buffer_load_dword v32, v5, s[0:3], 0 offen offset:4
	buffer_load_dword v33, v5, s[0:3], 0 offen offset:8
	;; [unrolled: 1-line block ×3, first 2 shown]
	buffer_store_dword v4, off, s[0:3], 0 offset:16
	buffer_store_dword v4, off, s[0:3], 0 offset:20
	;; [unrolled: 1-line block ×4, first 2 shown]
	s_waitcnt vmcnt(0)
	ds_write_b128 v3, v[31:34]
.LBB75_83:
	s_or_b32 exec_lo, exec_lo, s6
	s_waitcnt lgkmcnt(0)
	s_waitcnt_vscnt null, 0x0
	s_barrier
	buffer_gl0_inv
	s_clause 0x2b
	buffer_load_dword v5, off, s[0:3], 0 offset:40
	buffer_load_dword v6, off, s[0:3], 0 offset:44
	;; [unrolled: 1-line block ×44, first 2 shown]
	ds_read_b128 v[31:34], v4 offset:224
	ds_read_b128 v[35:38], v4 offset:240
	;; [unrolled: 1-line block ×3, first 2 shown]
	s_mov_b32 s6, exec_lo
	s_waitcnt vmcnt(42) lgkmcnt(2)
	v_mul_f64 v[85:86], v[33:34], v[5:6]
	v_mul_f64 v[5:6], v[31:32], v[5:6]
	s_waitcnt vmcnt(40) lgkmcnt(1)
	v_mul_f64 v[87:88], v[37:38], v[43:44]
	v_mul_f64 v[43:44], v[35:36], v[43:44]
	s_waitcnt vmcnt(38)
	v_fma_f64 v[85:86], v[31:32], v[45:46], -v[85:86]
	v_fma_f64 v[5:6], v[33:34], v[45:46], v[5:6]
	ds_read_b128 v[31:34], v4 offset:272
	s_waitcnt vmcnt(36) lgkmcnt(1)
	v_mul_f64 v[45:46], v[39:40], v[47:48]
	v_mul_f64 v[47:48], v[41:42], v[47:48]
	s_waitcnt vmcnt(34)
	v_fma_f64 v[87:88], v[35:36], v[49:50], -v[87:88]
	v_fma_f64 v[43:44], v[37:38], v[49:50], v[43:44]
	ds_read_b128 v[35:38], v4 offset:288
	s_waitcnt vmcnt(30) lgkmcnt(1)
	v_mul_f64 v[49:50], v[31:32], v[51:52]
	v_add_f64 v[85:86], v[85:86], 0
	v_add_f64 v[5:6], v[5:6], 0
	v_mul_f64 v[51:52], v[33:34], v[51:52]
	s_waitcnt vmcnt(28)
	v_fma_f64 v[47:48], v[39:40], v[57:58], -v[47:48]
	v_fma_f64 v[45:46], v[41:42], v[57:58], v[45:46]
	ds_read_b128 v[39:42], v4 offset:304
	s_waitcnt vmcnt(25)
	v_fma_f64 v[49:50], v[33:34], v[59:60], v[49:50]
	v_add_f64 v[85:86], v[85:86], v[87:88]
	v_add_f64 v[5:6], v[5:6], v[43:44]
	s_waitcnt lgkmcnt(1)
	v_mul_f64 v[43:44], v[35:36], v[53:54]
	v_mul_f64 v[53:54], v[37:38], v[53:54]
	v_fma_f64 v[51:52], v[31:32], v[59:60], -v[51:52]
	s_waitcnt vmcnt(21) lgkmcnt(0)
	v_mul_f64 v[57:58], v[41:42], v[61:62]
	ds_read_b128 v[31:34], v4 offset:320
	v_add_f64 v[47:48], v[85:86], v[47:48]
	v_add_f64 v[5:6], v[5:6], v[45:46]
	v_mul_f64 v[45:46], v[39:40], v[61:62]
	s_waitcnt vmcnt(20)
	v_fma_f64 v[53:54], v[35:36], v[55:56], -v[53:54]
	v_fma_f64 v[43:44], v[37:38], v[55:56], v[43:44]
	ds_read_b128 v[35:38], v4 offset:336
	s_waitcnt vmcnt(17)
	v_fma_f64 v[55:56], v[39:40], v[67:68], -v[57:58]
	v_add_f64 v[47:48], v[47:48], v[51:52]
	v_add_f64 v[5:6], v[5:6], v[49:50]
	s_waitcnt lgkmcnt(1)
	v_mul_f64 v[51:52], v[33:34], v[63:64]
	v_mul_f64 v[49:50], v[31:32], v[63:64]
	v_fma_f64 v[45:46], v[41:42], v[67:68], v[45:46]
	ds_read_b128 v[39:42], v4 offset:352
	v_add_f64 v[47:48], v[47:48], v[53:54]
	v_add_f64 v[5:6], v[5:6], v[43:44]
	s_waitcnt vmcnt(13) lgkmcnt(1)
	v_mul_f64 v[53:54], v[37:38], v[69:70]
	s_waitcnt vmcnt(12)
	v_fma_f64 v[51:52], v[31:32], v[65:66], -v[51:52]
	v_mul_f64 v[43:44], v[35:36], v[69:70]
	v_fma_f64 v[49:50], v[33:34], v[65:66], v[49:50]
	ds_read_b128 v[31:34], v4 offset:368
	v_add_f64 v[47:48], v[47:48], v[55:56]
	v_add_f64 v[5:6], v[5:6], v[45:46]
	s_waitcnt vmcnt(11) lgkmcnt(1)
	v_mul_f64 v[55:56], v[41:42], v[71:72]
	s_waitcnt vmcnt(9)
	v_fma_f64 v[35:36], v[35:36], v[75:76], -v[53:54]
	v_mul_f64 v[45:46], v[39:40], v[71:72]
	v_fma_f64 v[37:38], v[37:38], v[75:76], v[43:44]
	s_waitcnt vmcnt(7) lgkmcnt(0)
	v_mul_f64 v[43:44], v[31:32], v[77:78]
	v_add_f64 v[47:48], v[47:48], v[51:52]
	v_add_f64 v[4:5], v[5:6], v[49:50]
	v_mul_f64 v[49:50], v[33:34], v[77:78]
	s_waitcnt vmcnt(6)
	v_fma_f64 v[39:40], v[39:40], v[73:74], -v[55:56]
	v_fma_f64 v[41:42], v[41:42], v[73:74], v[45:46]
	s_waitcnt vmcnt(4)
	v_fma_f64 v[33:34], v[33:34], v[79:80], v[43:44]
	v_add_f64 v[35:36], v[47:48], v[35:36]
	v_add_f64 v[4:5], v[4:5], v[37:38]
	v_fma_f64 v[31:32], v[31:32], v[79:80], -v[49:50]
	v_add_f64 v[35:36], v[35:36], v[39:40]
	v_add_f64 v[4:5], v[4:5], v[41:42]
	v_add_f64 v[31:32], v[35:36], v[31:32]
	v_add_f64 v[4:5], v[4:5], v[33:34]
	s_waitcnt vmcnt(2)
	v_add_f64 v[31:32], v[81:82], -v[31:32]
	s_waitcnt vmcnt(0)
	v_add_f64 v[4:5], v[83:84], -v[4:5]
	buffer_store_dword v32, off, s[0:3], 0 offset:20
	buffer_store_dword v31, off, s[0:3], 0 offset:16
	;; [unrolled: 1-line block ×4, first 2 shown]
	v_cmpx_ne_u32_e32 0, v0
	s_cbranch_execz .LBB75_85
; %bb.84:
	s_clause 0x3
	buffer_load_dword v31, off, s[0:3], 0
	buffer_load_dword v32, off, s[0:3], 0 offset:4
	buffer_load_dword v33, off, s[0:3], 0 offset:8
	;; [unrolled: 1-line block ×3, first 2 shown]
	v_mov_b32_e32 v4, 0
	buffer_store_dword v4, off, s[0:3], 0
	buffer_store_dword v4, off, s[0:3], 0 offset:4
	buffer_store_dword v4, off, s[0:3], 0 offset:8
	;; [unrolled: 1-line block ×3, first 2 shown]
	s_waitcnt vmcnt(0)
	ds_write_b128 v3, v[31:34]
.LBB75_85:
	s_or_b32 exec_lo, exec_lo, s6
	s_waitcnt lgkmcnt(0)
	s_waitcnt_vscnt null, 0x0
	s_barrier
	buffer_gl0_inv
	s_clause 0x2f
	buffer_load_dword v4, off, s[0:3], 0 offset:24
	buffer_load_dword v5, off, s[0:3], 0 offset:28
	;; [unrolled: 1-line block ×44, first 2 shown]
	buffer_load_dword v85, off, s[0:3], 0
	buffer_load_dword v86, off, s[0:3], 0 offset:4
	buffer_load_dword v87, off, s[0:3], 0 offset:8
	;; [unrolled: 1-line block ×3, first 2 shown]
	v_mov_b32_e32 v3, 0
	ds_read_b128 v[31:34], v3 offset:208
	ds_read_b128 v[35:38], v3 offset:224
	;; [unrolled: 1-line block ×3, first 2 shown]
	s_and_b32 vcc_lo, exec_lo, s25
	s_waitcnt vmcnt(46) lgkmcnt(2)
	v_mul_f64 v[89:90], v[33:34], v[4:5]
	v_mul_f64 v[4:5], v[31:32], v[4:5]
	s_waitcnt vmcnt(44) lgkmcnt(1)
	v_mul_f64 v[91:92], v[37:38], v[43:44]
	v_mul_f64 v[43:44], v[35:36], v[43:44]
	s_waitcnt vmcnt(42)
	v_fma_f64 v[89:90], v[31:32], v[45:46], -v[89:90]
	v_fma_f64 v[4:5], v[33:34], v[45:46], v[4:5]
	ds_read_b128 v[31:34], v3 offset:256
	s_waitcnt vmcnt(40) lgkmcnt(1)
	v_mul_f64 v[45:46], v[39:40], v[47:48]
	v_mul_f64 v[47:48], v[41:42], v[47:48]
	s_waitcnt vmcnt(38)
	v_fma_f64 v[91:92], v[35:36], v[49:50], -v[91:92]
	v_fma_f64 v[43:44], v[37:38], v[49:50], v[43:44]
	ds_read_b128 v[35:38], v3 offset:272
	s_waitcnt vmcnt(34) lgkmcnt(1)
	v_mul_f64 v[49:50], v[31:32], v[51:52]
	v_add_f64 v[89:90], v[89:90], 0
	v_add_f64 v[4:5], v[4:5], 0
	v_mul_f64 v[51:52], v[33:34], v[51:52]
	s_waitcnt vmcnt(32)
	v_fma_f64 v[47:48], v[39:40], v[57:58], -v[47:48]
	v_fma_f64 v[45:46], v[41:42], v[57:58], v[45:46]
	ds_read_b128 v[39:42], v3 offset:288
	s_waitcnt vmcnt(29)
	v_fma_f64 v[49:50], v[33:34], v[59:60], v[49:50]
	v_add_f64 v[89:90], v[89:90], v[91:92]
	v_add_f64 v[4:5], v[4:5], v[43:44]
	s_waitcnt lgkmcnt(1)
	v_mul_f64 v[43:44], v[35:36], v[53:54]
	v_mul_f64 v[53:54], v[37:38], v[53:54]
	v_fma_f64 v[51:52], v[31:32], v[59:60], -v[51:52]
	s_waitcnt vmcnt(25) lgkmcnt(0)
	v_mul_f64 v[57:58], v[41:42], v[61:62]
	ds_read_b128 v[31:34], v3 offset:304
	v_add_f64 v[47:48], v[89:90], v[47:48]
	v_add_f64 v[4:5], v[4:5], v[45:46]
	v_mul_f64 v[45:46], v[39:40], v[61:62]
	s_waitcnt vmcnt(24)
	v_fma_f64 v[53:54], v[35:36], v[55:56], -v[53:54]
	v_fma_f64 v[43:44], v[37:38], v[55:56], v[43:44]
	ds_read_b128 v[35:38], v3 offset:320
	s_waitcnt vmcnt(21)
	v_fma_f64 v[55:56], v[39:40], v[67:68], -v[57:58]
	v_add_f64 v[47:48], v[47:48], v[51:52]
	v_add_f64 v[4:5], v[4:5], v[49:50]
	s_waitcnt lgkmcnt(1)
	v_mul_f64 v[51:52], v[33:34], v[63:64]
	v_mul_f64 v[49:50], v[31:32], v[63:64]
	v_fma_f64 v[45:46], v[41:42], v[67:68], v[45:46]
	ds_read_b128 v[39:42], v3 offset:336
	v_add_f64 v[47:48], v[47:48], v[53:54]
	v_add_f64 v[4:5], v[4:5], v[43:44]
	s_waitcnt vmcnt(17) lgkmcnt(1)
	v_mul_f64 v[53:54], v[37:38], v[69:70]
	s_waitcnt vmcnt(16)
	v_fma_f64 v[51:52], v[31:32], v[65:66], -v[51:52]
	v_mul_f64 v[43:44], v[35:36], v[69:70]
	v_fma_f64 v[49:50], v[33:34], v[65:66], v[49:50]
	ds_read_b128 v[31:34], v3 offset:352
	v_add_f64 v[47:48], v[47:48], v[55:56]
	v_add_f64 v[4:5], v[4:5], v[45:46]
	s_waitcnt vmcnt(15) lgkmcnt(1)
	v_mul_f64 v[55:56], v[41:42], v[71:72]
	s_waitcnt vmcnt(13)
	v_fma_f64 v[53:54], v[35:36], v[75:76], -v[53:54]
	;; [unrolled: 9-line block ×3, first 2 shown]
	v_mul_f64 v[49:50], v[31:32], v[77:78]
	v_fma_f64 v[41:42], v[41:42], v[73:74], v[45:46]
	s_waitcnt vmcnt(7) lgkmcnt(0)
	v_mul_f64 v[45:46], v[37:38], v[79:80]
	v_add_f64 v[47:48], v[47:48], v[53:54]
	v_add_f64 v[4:5], v[4:5], v[43:44]
	s_waitcnt vmcnt(5)
	v_fma_f64 v[31:32], v[31:32], v[83:84], -v[51:52]
	v_mul_f64 v[43:44], v[35:36], v[79:80]
	v_fma_f64 v[33:34], v[33:34], v[83:84], v[49:50]
	s_waitcnt vmcnt(4)
	v_fma_f64 v[35:36], v[35:36], v[81:82], -v[45:46]
	v_add_f64 v[39:40], v[47:48], v[39:40]
	v_add_f64 v[4:5], v[4:5], v[41:42]
	v_fma_f64 v[37:38], v[37:38], v[81:82], v[43:44]
	v_add_f64 v[31:32], v[39:40], v[31:32]
	v_add_f64 v[4:5], v[4:5], v[33:34]
	;; [unrolled: 1-line block ×4, first 2 shown]
	s_waitcnt vmcnt(2)
	v_add_f64 v[31:32], v[85:86], -v[31:32]
	s_waitcnt vmcnt(0)
	v_add_f64 v[4:5], v[87:88], -v[4:5]
	buffer_store_dword v32, off, s[0:3], 0 offset:4
	buffer_store_dword v31, off, s[0:3], 0
	buffer_store_dword v5, off, s[0:3], 0 offset:12
	buffer_store_dword v4, off, s[0:3], 0 offset:8
	s_cbranch_vccz .LBB75_108
; %bb.86:
	global_load_dword v3, v3, s[10:11] offset:40
	s_load_dwordx2 s[4:5], s[4:5], 0x4
	s_waitcnt lgkmcnt(0)
	s_lshr_b32 s4, s4, 16
	v_mul_u32_u24_e32 v4, s5, v1
	s_mul_i32 s4, s4, s5
	v_mul_u32_u24_e32 v0, s4, v0
	v_add3_u32 v0, v0, v4, v2
	v_lshl_add_u32 v0, v0, 4, 0x188
	s_waitcnt vmcnt(0)
	v_add_nc_u32_e32 v1, -1, v3
	v_cmp_ne_u32_e32 vcc_lo, 10, v1
	s_cbranch_vccz .LBB75_88
; %bb.87:
	v_lshlrev_b32_e32 v1, 4, v1
	v_mov_b32_e32 v5, s13
	v_mov_b32_e32 v6, v1
	s_clause 0x7
	buffer_load_dword v1, v5, s[0:3], 0 offen
	buffer_load_dword v2, v5, s[0:3], 0 offen offset:4
	buffer_load_dword v3, v5, s[0:3], 0 offen offset:8
	buffer_load_dword v4, v5, s[0:3], 0 offen offset:12
	buffer_load_dword v31, v6, s[0:3], 0 offen
	buffer_load_dword v32, v6, s[0:3], 0 offen offset:4
	buffer_load_dword v33, v6, s[0:3], 0 offen offset:8
	;; [unrolled: 1-line block ×3, first 2 shown]
	s_waitcnt vmcnt(4)
	ds_write2_b64 v0, v[1:2], v[3:4] offset1:1
	s_waitcnt vmcnt(3)
	buffer_store_dword v31, v5, s[0:3], 0 offen
	s_waitcnt vmcnt(2)
	buffer_store_dword v32, v5, s[0:3], 0 offen offset:4
	s_waitcnt vmcnt(1)
	buffer_store_dword v33, v5, s[0:3], 0 offen offset:8
	;; [unrolled: 2-line block ×3, first 2 shown]
	buffer_store_dword v4, v6, s[0:3], 0 offen offset:12
	buffer_store_dword v3, v6, s[0:3], 0 offen offset:8
	;; [unrolled: 1-line block ×3, first 2 shown]
	buffer_store_dword v1, v6, s[0:3], 0 offen
.LBB75_88:
	v_mov_b32_e32 v1, 0
	global_load_dword v2, v1, s[10:11] offset:36
	s_waitcnt vmcnt(0)
	v_add_nc_u32_e32 v2, -1, v2
	v_cmp_eq_u32_e32 vcc_lo, 9, v2
	s_cbranch_vccnz .LBB75_90
; %bb.89:
	v_lshlrev_b32_e32 v2, 4, v2
	v_mov_b32_e32 v6, s16
	v_mov_b32_e32 v31, v2
	s_clause 0x7
	buffer_load_dword v2, v6, s[0:3], 0 offen
	buffer_load_dword v3, v6, s[0:3], 0 offen offset:4
	buffer_load_dword v4, v6, s[0:3], 0 offen offset:8
	;; [unrolled: 1-line block ×3, first 2 shown]
	buffer_load_dword v32, v31, s[0:3], 0 offen
	buffer_load_dword v33, v31, s[0:3], 0 offen offset:4
	buffer_load_dword v34, v31, s[0:3], 0 offen offset:8
	;; [unrolled: 1-line block ×3, first 2 shown]
	s_waitcnt vmcnt(4)
	ds_write2_b64 v0, v[2:3], v[4:5] offset1:1
	s_waitcnt vmcnt(3)
	buffer_store_dword v32, v6, s[0:3], 0 offen
	s_waitcnt vmcnt(2)
	buffer_store_dword v33, v6, s[0:3], 0 offen offset:4
	s_waitcnt vmcnt(1)
	buffer_store_dword v34, v6, s[0:3], 0 offen offset:8
	;; [unrolled: 2-line block ×3, first 2 shown]
	buffer_store_dword v5, v31, s[0:3], 0 offen offset:12
	buffer_store_dword v4, v31, s[0:3], 0 offen offset:8
	;; [unrolled: 1-line block ×3, first 2 shown]
	buffer_store_dword v2, v31, s[0:3], 0 offen
.LBB75_90:
	global_load_dword v1, v1, s[10:11] offset:32
	s_waitcnt vmcnt(0)
	v_add_nc_u32_e32 v1, -1, v1
	v_cmp_eq_u32_e32 vcc_lo, 8, v1
	s_cbranch_vccnz .LBB75_92
; %bb.91:
	v_lshlrev_b32_e32 v1, 4, v1
	v_mov_b32_e32 v5, s17
	v_mov_b32_e32 v6, v1
	s_clause 0x7
	buffer_load_dword v1, v5, s[0:3], 0 offen
	buffer_load_dword v2, v5, s[0:3], 0 offen offset:4
	buffer_load_dword v3, v5, s[0:3], 0 offen offset:8
	;; [unrolled: 1-line block ×3, first 2 shown]
	buffer_load_dword v31, v6, s[0:3], 0 offen
	buffer_load_dword v32, v6, s[0:3], 0 offen offset:4
	buffer_load_dword v33, v6, s[0:3], 0 offen offset:8
	;; [unrolled: 1-line block ×3, first 2 shown]
	s_waitcnt vmcnt(4)
	ds_write2_b64 v0, v[1:2], v[3:4] offset1:1
	s_waitcnt vmcnt(3)
	buffer_store_dword v31, v5, s[0:3], 0 offen
	s_waitcnt vmcnt(2)
	buffer_store_dword v32, v5, s[0:3], 0 offen offset:4
	s_waitcnt vmcnt(1)
	buffer_store_dword v33, v5, s[0:3], 0 offen offset:8
	;; [unrolled: 2-line block ×3, first 2 shown]
	buffer_store_dword v4, v6, s[0:3], 0 offen offset:12
	buffer_store_dword v3, v6, s[0:3], 0 offen offset:8
	;; [unrolled: 1-line block ×3, first 2 shown]
	buffer_store_dword v1, v6, s[0:3], 0 offen
.LBB75_92:
	v_mov_b32_e32 v1, 0
	global_load_dword v2, v1, s[10:11] offset:28
	s_waitcnt vmcnt(0)
	v_add_nc_u32_e32 v2, -1, v2
	v_cmp_eq_u32_e32 vcc_lo, 7, v2
	s_cbranch_vccnz .LBB75_94
; %bb.93:
	v_lshlrev_b32_e32 v2, 4, v2
	v_mov_b32_e32 v6, s18
	v_mov_b32_e32 v31, v2
	s_clause 0x7
	buffer_load_dword v2, v6, s[0:3], 0 offen
	buffer_load_dword v3, v6, s[0:3], 0 offen offset:4
	buffer_load_dword v4, v6, s[0:3], 0 offen offset:8
	buffer_load_dword v5, v6, s[0:3], 0 offen offset:12
	buffer_load_dword v32, v31, s[0:3], 0 offen
	buffer_load_dword v33, v31, s[0:3], 0 offen offset:4
	buffer_load_dword v34, v31, s[0:3], 0 offen offset:8
	;; [unrolled: 1-line block ×3, first 2 shown]
	s_waitcnt vmcnt(4)
	ds_write2_b64 v0, v[2:3], v[4:5] offset1:1
	s_waitcnt vmcnt(3)
	buffer_store_dword v32, v6, s[0:3], 0 offen
	s_waitcnt vmcnt(2)
	buffer_store_dword v33, v6, s[0:3], 0 offen offset:4
	s_waitcnt vmcnt(1)
	buffer_store_dword v34, v6, s[0:3], 0 offen offset:8
	;; [unrolled: 2-line block ×3, first 2 shown]
	buffer_store_dword v5, v31, s[0:3], 0 offen offset:12
	buffer_store_dword v4, v31, s[0:3], 0 offen offset:8
	;; [unrolled: 1-line block ×3, first 2 shown]
	buffer_store_dword v2, v31, s[0:3], 0 offen
.LBB75_94:
	global_load_dword v1, v1, s[10:11] offset:24
	s_waitcnt vmcnt(0)
	v_add_nc_u32_e32 v1, -1, v1
	v_cmp_eq_u32_e32 vcc_lo, 6, v1
	s_cbranch_vccnz .LBB75_96
; %bb.95:
	v_lshlrev_b32_e32 v1, 4, v1
	v_mov_b32_e32 v5, s19
	v_mov_b32_e32 v6, v1
	s_clause 0x7
	buffer_load_dword v1, v5, s[0:3], 0 offen
	buffer_load_dword v2, v5, s[0:3], 0 offen offset:4
	buffer_load_dword v3, v5, s[0:3], 0 offen offset:8
	;; [unrolled: 1-line block ×3, first 2 shown]
	buffer_load_dword v31, v6, s[0:3], 0 offen
	buffer_load_dword v32, v6, s[0:3], 0 offen offset:4
	buffer_load_dword v33, v6, s[0:3], 0 offen offset:8
	;; [unrolled: 1-line block ×3, first 2 shown]
	s_waitcnt vmcnt(4)
	ds_write2_b64 v0, v[1:2], v[3:4] offset1:1
	s_waitcnt vmcnt(3)
	buffer_store_dword v31, v5, s[0:3], 0 offen
	s_waitcnt vmcnt(2)
	buffer_store_dword v32, v5, s[0:3], 0 offen offset:4
	s_waitcnt vmcnt(1)
	buffer_store_dword v33, v5, s[0:3], 0 offen offset:8
	;; [unrolled: 2-line block ×3, first 2 shown]
	buffer_store_dword v4, v6, s[0:3], 0 offen offset:12
	buffer_store_dword v3, v6, s[0:3], 0 offen offset:8
	;; [unrolled: 1-line block ×3, first 2 shown]
	buffer_store_dword v1, v6, s[0:3], 0 offen
.LBB75_96:
	v_mov_b32_e32 v1, 0
	global_load_dword v2, v1, s[10:11] offset:20
	s_waitcnt vmcnt(0)
	v_add_nc_u32_e32 v2, -1, v2
	v_cmp_eq_u32_e32 vcc_lo, 5, v2
	s_cbranch_vccnz .LBB75_98
; %bb.97:
	v_lshlrev_b32_e32 v2, 4, v2
	v_mov_b32_e32 v6, s20
	v_mov_b32_e32 v31, v2
	s_clause 0x7
	buffer_load_dword v2, v6, s[0:3], 0 offen
	buffer_load_dword v3, v6, s[0:3], 0 offen offset:4
	buffer_load_dword v4, v6, s[0:3], 0 offen offset:8
	;; [unrolled: 1-line block ×3, first 2 shown]
	buffer_load_dword v32, v31, s[0:3], 0 offen
	buffer_load_dword v33, v31, s[0:3], 0 offen offset:4
	buffer_load_dword v34, v31, s[0:3], 0 offen offset:8
	;; [unrolled: 1-line block ×3, first 2 shown]
	s_waitcnt vmcnt(4)
	ds_write2_b64 v0, v[2:3], v[4:5] offset1:1
	s_waitcnt vmcnt(3)
	buffer_store_dword v32, v6, s[0:3], 0 offen
	s_waitcnt vmcnt(2)
	buffer_store_dword v33, v6, s[0:3], 0 offen offset:4
	s_waitcnt vmcnt(1)
	buffer_store_dword v34, v6, s[0:3], 0 offen offset:8
	;; [unrolled: 2-line block ×3, first 2 shown]
	buffer_store_dword v5, v31, s[0:3], 0 offen offset:12
	buffer_store_dword v4, v31, s[0:3], 0 offen offset:8
	;; [unrolled: 1-line block ×3, first 2 shown]
	buffer_store_dword v2, v31, s[0:3], 0 offen
.LBB75_98:
	global_load_dword v1, v1, s[10:11] offset:16
	s_waitcnt vmcnt(0)
	v_add_nc_u32_e32 v1, -1, v1
	v_cmp_eq_u32_e32 vcc_lo, 4, v1
	s_cbranch_vccnz .LBB75_100
; %bb.99:
	v_lshlrev_b32_e32 v1, 4, v1
	v_mov_b32_e32 v5, s21
	v_mov_b32_e32 v6, v1
	s_clause 0x7
	buffer_load_dword v1, v5, s[0:3], 0 offen
	buffer_load_dword v2, v5, s[0:3], 0 offen offset:4
	buffer_load_dword v3, v5, s[0:3], 0 offen offset:8
	;; [unrolled: 1-line block ×3, first 2 shown]
	buffer_load_dword v31, v6, s[0:3], 0 offen
	buffer_load_dword v32, v6, s[0:3], 0 offen offset:4
	buffer_load_dword v33, v6, s[0:3], 0 offen offset:8
	;; [unrolled: 1-line block ×3, first 2 shown]
	s_waitcnt vmcnt(4)
	ds_write2_b64 v0, v[1:2], v[3:4] offset1:1
	s_waitcnt vmcnt(3)
	buffer_store_dword v31, v5, s[0:3], 0 offen
	s_waitcnt vmcnt(2)
	buffer_store_dword v32, v5, s[0:3], 0 offen offset:4
	s_waitcnt vmcnt(1)
	buffer_store_dword v33, v5, s[0:3], 0 offen offset:8
	;; [unrolled: 2-line block ×3, first 2 shown]
	buffer_store_dword v4, v6, s[0:3], 0 offen offset:12
	buffer_store_dword v3, v6, s[0:3], 0 offen offset:8
	buffer_store_dword v2, v6, s[0:3], 0 offen offset:4
	buffer_store_dword v1, v6, s[0:3], 0 offen
.LBB75_100:
	v_mov_b32_e32 v1, 0
	global_load_dword v2, v1, s[10:11] offset:12
	s_waitcnt vmcnt(0)
	v_add_nc_u32_e32 v2, -1, v2
	v_cmp_eq_u32_e32 vcc_lo, 3, v2
	s_cbranch_vccnz .LBB75_102
; %bb.101:
	v_lshlrev_b32_e32 v2, 4, v2
	v_mov_b32_e32 v6, s22
	v_mov_b32_e32 v31, v2
	s_clause 0x7
	buffer_load_dword v2, v6, s[0:3], 0 offen
	buffer_load_dword v3, v6, s[0:3], 0 offen offset:4
	buffer_load_dword v4, v6, s[0:3], 0 offen offset:8
	;; [unrolled: 1-line block ×3, first 2 shown]
	buffer_load_dword v32, v31, s[0:3], 0 offen
	buffer_load_dword v33, v31, s[0:3], 0 offen offset:4
	buffer_load_dword v34, v31, s[0:3], 0 offen offset:8
	;; [unrolled: 1-line block ×3, first 2 shown]
	s_waitcnt vmcnt(4)
	ds_write2_b64 v0, v[2:3], v[4:5] offset1:1
	s_waitcnt vmcnt(3)
	buffer_store_dword v32, v6, s[0:3], 0 offen
	s_waitcnt vmcnt(2)
	buffer_store_dword v33, v6, s[0:3], 0 offen offset:4
	s_waitcnt vmcnt(1)
	buffer_store_dword v34, v6, s[0:3], 0 offen offset:8
	;; [unrolled: 2-line block ×3, first 2 shown]
	buffer_store_dword v5, v31, s[0:3], 0 offen offset:12
	buffer_store_dword v4, v31, s[0:3], 0 offen offset:8
	;; [unrolled: 1-line block ×3, first 2 shown]
	buffer_store_dword v2, v31, s[0:3], 0 offen
.LBB75_102:
	global_load_dword v1, v1, s[10:11] offset:8
	s_waitcnt vmcnt(0)
	v_add_nc_u32_e32 v1, -1, v1
	v_cmp_eq_u32_e32 vcc_lo, 2, v1
	s_cbranch_vccnz .LBB75_104
; %bb.103:
	v_lshlrev_b32_e32 v1, 4, v1
	v_mov_b32_e32 v5, s23
	v_mov_b32_e32 v6, v1
	s_clause 0x7
	buffer_load_dword v1, v5, s[0:3], 0 offen
	buffer_load_dword v2, v5, s[0:3], 0 offen offset:4
	buffer_load_dword v3, v5, s[0:3], 0 offen offset:8
	;; [unrolled: 1-line block ×3, first 2 shown]
	buffer_load_dword v31, v6, s[0:3], 0 offen
	buffer_load_dword v32, v6, s[0:3], 0 offen offset:4
	buffer_load_dword v33, v6, s[0:3], 0 offen offset:8
	buffer_load_dword v34, v6, s[0:3], 0 offen offset:12
	s_waitcnt vmcnt(4)
	ds_write2_b64 v0, v[1:2], v[3:4] offset1:1
	s_waitcnt vmcnt(3)
	buffer_store_dword v31, v5, s[0:3], 0 offen
	s_waitcnt vmcnt(2)
	buffer_store_dword v32, v5, s[0:3], 0 offen offset:4
	s_waitcnt vmcnt(1)
	buffer_store_dword v33, v5, s[0:3], 0 offen offset:8
	;; [unrolled: 2-line block ×3, first 2 shown]
	buffer_store_dword v4, v6, s[0:3], 0 offen offset:12
	buffer_store_dword v3, v6, s[0:3], 0 offen offset:8
	;; [unrolled: 1-line block ×3, first 2 shown]
	buffer_store_dword v1, v6, s[0:3], 0 offen
.LBB75_104:
	v_mov_b32_e32 v1, 0
	global_load_dword v2, v1, s[10:11] offset:4
	s_waitcnt vmcnt(0)
	v_add_nc_u32_e32 v2, -1, v2
	v_cmp_eq_u32_e32 vcc_lo, 1, v2
	s_cbranch_vccnz .LBB75_106
; %bb.105:
	v_lshlrev_b32_e32 v2, 4, v2
	v_mov_b32_e32 v6, s24
	v_mov_b32_e32 v31, v2
	s_clause 0x7
	buffer_load_dword v2, v6, s[0:3], 0 offen
	buffer_load_dword v3, v6, s[0:3], 0 offen offset:4
	buffer_load_dword v4, v6, s[0:3], 0 offen offset:8
	buffer_load_dword v5, v6, s[0:3], 0 offen offset:12
	buffer_load_dword v32, v31, s[0:3], 0 offen
	buffer_load_dword v33, v31, s[0:3], 0 offen offset:4
	buffer_load_dword v34, v31, s[0:3], 0 offen offset:8
	;; [unrolled: 1-line block ×3, first 2 shown]
	s_waitcnt vmcnt(4)
	ds_write2_b64 v0, v[2:3], v[4:5] offset1:1
	s_waitcnt vmcnt(3)
	buffer_store_dword v32, v6, s[0:3], 0 offen
	s_waitcnt vmcnt(2)
	buffer_store_dword v33, v6, s[0:3], 0 offen offset:4
	s_waitcnt vmcnt(1)
	buffer_store_dword v34, v6, s[0:3], 0 offen offset:8
	;; [unrolled: 2-line block ×3, first 2 shown]
	buffer_store_dword v5, v31, s[0:3], 0 offen offset:12
	buffer_store_dword v4, v31, s[0:3], 0 offen offset:8
	;; [unrolled: 1-line block ×3, first 2 shown]
	buffer_store_dword v2, v31, s[0:3], 0 offen
.LBB75_106:
	global_load_dword v1, v1, s[10:11]
	s_waitcnt vmcnt(0)
	v_add_nc_u32_e32 v1, -1, v1
	v_cmp_eq_u32_e32 vcc_lo, 0, v1
	s_cbranch_vccnz .LBB75_108
; %bb.107:
	v_lshlrev_b32_e32 v1, 4, v1
	v_mov_b32_e32 v5, v1
	s_clause 0x7
	buffer_load_dword v1, off, s[0:3], 0
	buffer_load_dword v2, off, s[0:3], 0 offset:4
	buffer_load_dword v3, off, s[0:3], 0 offset:8
	;; [unrolled: 1-line block ×3, first 2 shown]
	buffer_load_dword v6, v5, s[0:3], 0 offen
	buffer_load_dword v31, v5, s[0:3], 0 offen offset:4
	buffer_load_dword v32, v5, s[0:3], 0 offen offset:8
	;; [unrolled: 1-line block ×3, first 2 shown]
	s_waitcnt vmcnt(4)
	ds_write2_b64 v0, v[1:2], v[3:4] offset1:1
	s_waitcnt vmcnt(3)
	buffer_store_dword v6, off, s[0:3], 0
	s_waitcnt vmcnt(2)
	buffer_store_dword v31, off, s[0:3], 0 offset:4
	s_waitcnt vmcnt(1)
	buffer_store_dword v32, off, s[0:3], 0 offset:8
	;; [unrolled: 2-line block ×3, first 2 shown]
	buffer_store_dword v4, v5, s[0:3], 0 offen offset:12
	buffer_store_dword v3, v5, s[0:3], 0 offen offset:8
	;; [unrolled: 1-line block ×3, first 2 shown]
	buffer_store_dword v1, v5, s[0:3], 0 offen
.LBB75_108:
	s_clause 0x3
	buffer_load_dword v0, off, s[0:3], 0
	buffer_load_dword v1, off, s[0:3], 0 offset:4
	buffer_load_dword v2, off, s[0:3], 0 offset:8
	;; [unrolled: 1-line block ×3, first 2 shown]
	v_mov_b32_e32 v4, s24
	s_waitcnt vmcnt(0)
	flat_store_dwordx4 v[7:8], v[0:3]
	s_clause 0x3
	buffer_load_dword v0, v4, s[0:3], 0 offen
	buffer_load_dword v1, v4, s[0:3], 0 offen offset:4
	buffer_load_dword v2, v4, s[0:3], 0 offen offset:8
	buffer_load_dword v3, v4, s[0:3], 0 offen offset:12
	v_mov_b32_e32 v4, s23
	s_waitcnt vmcnt(0)
	flat_store_dwordx4 v[9:10], v[0:3]
	s_clause 0x3
	buffer_load_dword v0, v4, s[0:3], 0 offen
	buffer_load_dword v1, v4, s[0:3], 0 offen offset:4
	buffer_load_dword v2, v4, s[0:3], 0 offen offset:8
	buffer_load_dword v3, v4, s[0:3], 0 offen offset:12
	;; [unrolled: 8-line block ×11, first 2 shown]
	s_waitcnt vmcnt(0)
	flat_store_dwordx4 v[29:30], v[0:3]
	s_endpgm
	.section	.rodata,"a",@progbits
	.p2align	6, 0x0
	.amdhsa_kernel _ZN9rocsolver6v33100L18getri_kernel_smallILi12E19rocblas_complex_numIdEPKPS3_EEvT1_iilPiilS8_bb
		.amdhsa_group_segment_fixed_size 1416
		.amdhsa_private_segment_fixed_size 208
		.amdhsa_kernarg_size 60
		.amdhsa_user_sgpr_count 8
		.amdhsa_user_sgpr_private_segment_buffer 1
		.amdhsa_user_sgpr_dispatch_ptr 1
		.amdhsa_user_sgpr_queue_ptr 0
		.amdhsa_user_sgpr_kernarg_segment_ptr 1
		.amdhsa_user_sgpr_dispatch_id 0
		.amdhsa_user_sgpr_flat_scratch_init 0
		.amdhsa_user_sgpr_private_segment_size 0
		.amdhsa_wavefront_size32 1
		.amdhsa_uses_dynamic_stack 0
		.amdhsa_system_sgpr_private_segment_wavefront_offset 1
		.amdhsa_system_sgpr_workgroup_id_x 1
		.amdhsa_system_sgpr_workgroup_id_y 0
		.amdhsa_system_sgpr_workgroup_id_z 0
		.amdhsa_system_sgpr_workgroup_info 0
		.amdhsa_system_vgpr_workitem_id 2
		.amdhsa_next_free_vgpr 93
		.amdhsa_next_free_sgpr 29
		.amdhsa_reserve_vcc 1
		.amdhsa_reserve_flat_scratch 0
		.amdhsa_float_round_mode_32 0
		.amdhsa_float_round_mode_16_64 0
		.amdhsa_float_denorm_mode_32 3
		.amdhsa_float_denorm_mode_16_64 3
		.amdhsa_dx10_clamp 1
		.amdhsa_ieee_mode 1
		.amdhsa_fp16_overflow 0
		.amdhsa_workgroup_processor_mode 1
		.amdhsa_memory_ordered 1
		.amdhsa_forward_progress 1
		.amdhsa_shared_vgpr_count 0
		.amdhsa_exception_fp_ieee_invalid_op 0
		.amdhsa_exception_fp_denorm_src 0
		.amdhsa_exception_fp_ieee_div_zero 0
		.amdhsa_exception_fp_ieee_overflow 0
		.amdhsa_exception_fp_ieee_underflow 0
		.amdhsa_exception_fp_ieee_inexact 0
		.amdhsa_exception_int_div_zero 0
	.end_amdhsa_kernel
	.section	.text._ZN9rocsolver6v33100L18getri_kernel_smallILi12E19rocblas_complex_numIdEPKPS3_EEvT1_iilPiilS8_bb,"axG",@progbits,_ZN9rocsolver6v33100L18getri_kernel_smallILi12E19rocblas_complex_numIdEPKPS3_EEvT1_iilPiilS8_bb,comdat
.Lfunc_end75:
	.size	_ZN9rocsolver6v33100L18getri_kernel_smallILi12E19rocblas_complex_numIdEPKPS3_EEvT1_iilPiilS8_bb, .Lfunc_end75-_ZN9rocsolver6v33100L18getri_kernel_smallILi12E19rocblas_complex_numIdEPKPS3_EEvT1_iilPiilS8_bb
                                        ; -- End function
	.set _ZN9rocsolver6v33100L18getri_kernel_smallILi12E19rocblas_complex_numIdEPKPS3_EEvT1_iilPiilS8_bb.num_vgpr, 93
	.set _ZN9rocsolver6v33100L18getri_kernel_smallILi12E19rocblas_complex_numIdEPKPS3_EEvT1_iilPiilS8_bb.num_agpr, 0
	.set _ZN9rocsolver6v33100L18getri_kernel_smallILi12E19rocblas_complex_numIdEPKPS3_EEvT1_iilPiilS8_bb.numbered_sgpr, 29
	.set _ZN9rocsolver6v33100L18getri_kernel_smallILi12E19rocblas_complex_numIdEPKPS3_EEvT1_iilPiilS8_bb.num_named_barrier, 0
	.set _ZN9rocsolver6v33100L18getri_kernel_smallILi12E19rocblas_complex_numIdEPKPS3_EEvT1_iilPiilS8_bb.private_seg_size, 208
	.set _ZN9rocsolver6v33100L18getri_kernel_smallILi12E19rocblas_complex_numIdEPKPS3_EEvT1_iilPiilS8_bb.uses_vcc, 1
	.set _ZN9rocsolver6v33100L18getri_kernel_smallILi12E19rocblas_complex_numIdEPKPS3_EEvT1_iilPiilS8_bb.uses_flat_scratch, 0
	.set _ZN9rocsolver6v33100L18getri_kernel_smallILi12E19rocblas_complex_numIdEPKPS3_EEvT1_iilPiilS8_bb.has_dyn_sized_stack, 0
	.set _ZN9rocsolver6v33100L18getri_kernel_smallILi12E19rocblas_complex_numIdEPKPS3_EEvT1_iilPiilS8_bb.has_recursion, 0
	.set _ZN9rocsolver6v33100L18getri_kernel_smallILi12E19rocblas_complex_numIdEPKPS3_EEvT1_iilPiilS8_bb.has_indirect_call, 0
	.section	.AMDGPU.csdata,"",@progbits
; Kernel info:
; codeLenInByte = 17748
; TotalNumSgprs: 31
; NumVgprs: 93
; ScratchSize: 208
; MemoryBound: 0
; FloatMode: 240
; IeeeMode: 1
; LDSByteSize: 1416 bytes/workgroup (compile time only)
; SGPRBlocks: 0
; VGPRBlocks: 11
; NumSGPRsForWavesPerEU: 31
; NumVGPRsForWavesPerEU: 93
; Occupancy: 10
; WaveLimiterHint : 1
; COMPUTE_PGM_RSRC2:SCRATCH_EN: 1
; COMPUTE_PGM_RSRC2:USER_SGPR: 8
; COMPUTE_PGM_RSRC2:TRAP_HANDLER: 0
; COMPUTE_PGM_RSRC2:TGID_X_EN: 1
; COMPUTE_PGM_RSRC2:TGID_Y_EN: 0
; COMPUTE_PGM_RSRC2:TGID_Z_EN: 0
; COMPUTE_PGM_RSRC2:TIDIG_COMP_CNT: 2
	.section	.text._ZN9rocsolver6v33100L18getri_kernel_smallILi13E19rocblas_complex_numIdEPKPS3_EEvT1_iilPiilS8_bb,"axG",@progbits,_ZN9rocsolver6v33100L18getri_kernel_smallILi13E19rocblas_complex_numIdEPKPS3_EEvT1_iilPiilS8_bb,comdat
	.globl	_ZN9rocsolver6v33100L18getri_kernel_smallILi13E19rocblas_complex_numIdEPKPS3_EEvT1_iilPiilS8_bb ; -- Begin function _ZN9rocsolver6v33100L18getri_kernel_smallILi13E19rocblas_complex_numIdEPKPS3_EEvT1_iilPiilS8_bb
	.p2align	8
	.type	_ZN9rocsolver6v33100L18getri_kernel_smallILi13E19rocblas_complex_numIdEPKPS3_EEvT1_iilPiilS8_bb,@function
_ZN9rocsolver6v33100L18getri_kernel_smallILi13E19rocblas_complex_numIdEPKPS3_EEvT1_iilPiilS8_bb: ; @_ZN9rocsolver6v33100L18getri_kernel_smallILi13E19rocblas_complex_numIdEPKPS3_EEvT1_iilPiilS8_bb
; %bb.0:
	s_add_u32 s0, s0, s9
	s_addc_u32 s1, s1, 0
	s_mov_b32 s9, exec_lo
	v_cmpx_gt_u32_e32 13, v0
	s_cbranch_execz .LBB76_66
; %bb.1:
	s_clause 0x2
	s_load_dword s18, s[6:7], 0x38
	s_load_dwordx2 s[10:11], s[6:7], 0x0
	s_load_dwordx4 s[12:15], s[6:7], 0x28
	s_waitcnt lgkmcnt(0)
	s_bitcmp1_b32 s18, 8
	s_cselect_b32 s26, -1, 0
	s_ashr_i32 s9, s8, 31
	s_lshl_b64 s[16:17], s[8:9], 3
	s_add_u32 s10, s10, s16
	s_addc_u32 s11, s11, s17
	s_load_dwordx2 s[16:17], s[10:11], 0x0
	s_bfe_u32 s10, s18, 0x10008
	s_cmp_eq_u32 s10, 0
                                        ; implicit-def: $sgpr10_sgpr11
	s_cbranch_scc1 .LBB76_3
; %bb.2:
	s_clause 0x1
	s_load_dword s10, s[6:7], 0x20
	s_load_dwordx2 s[18:19], s[6:7], 0x18
	s_mul_i32 s11, s12, s9
	s_mul_hi_u32 s20, s12, s8
	s_mul_i32 s13, s13, s8
	s_add_i32 s11, s20, s11
	s_mul_i32 s12, s12, s8
	s_add_i32 s13, s11, s13
	s_lshl_b64 s[12:13], s[12:13], 2
	s_waitcnt lgkmcnt(0)
	s_ashr_i32 s11, s10, 31
	s_add_u32 s12, s18, s12
	s_addc_u32 s13, s19, s13
	s_lshl_b64 s[10:11], s[10:11], 2
	s_add_u32 s10, s12, s10
	s_addc_u32 s11, s13, s11
.LBB76_3:
	s_clause 0x1
	s_load_dwordx2 s[12:13], s[6:7], 0x8
	s_load_dword s6, s[6:7], 0x38
	v_lshlrev_b32_e32 v39, 4, v0
	s_movk_i32 s27, 0x90
	s_movk_i32 s28, 0xa0
	;; [unrolled: 1-line block ×6, first 2 shown]
	s_mov_b32 s25, 16
	s_mov_b32 s24, 32
	;; [unrolled: 1-line block ×4, first 2 shown]
	s_waitcnt lgkmcnt(0)
	s_ashr_i32 s19, s12, 31
	s_mov_b32 s18, s12
	v_add3_u32 v13, s13, s13, v0
	s_lshl_b64 s[18:19], s[18:19], 4
	s_add_u32 s7, s16, s18
	s_addc_u32 s12, s17, s19
	v_add_co_u32 v7, s16, s7, v39
	v_add_co_ci_u32_e64 v8, null, s12, 0, s16
	s_mov_b32 s16, s13
	s_ashr_i32 s17, s13, 31
	v_ashrrev_i32_e32 v14, 31, v13
	flat_load_dwordx4 v[3:6], v[7:8]
	s_lshl_b64 s[16:17], s[16:17], 4
	v_add_nc_u32_e32 v15, s13, v13
	v_add_co_u32 v9, vcc_lo, v7, s16
	v_add_co_ci_u32_e64 v10, null, s17, v8, vcc_lo
	v_lshlrev_b64 v[11:12], 4, v[13:14]
	v_ashrrev_i32_e32 v16, 31, v15
	v_add_nc_u32_e32 v17, s13, v15
	s_movk_i32 s19, 0x70
	s_movk_i32 s18, 0x80
	s_mov_b32 s17, s27
	v_add_co_u32 v11, vcc_lo, s7, v11
	v_add_co_ci_u32_e64 v12, null, s12, v12, vcc_lo
	v_lshlrev_b64 v[13:14], 4, v[15:16]
	v_ashrrev_i32_e32 v18, 31, v17
	v_add_nc_u32_e32 v19, s13, v17
	s_mov_b32 s16, s28
	s_bitcmp0_b32 s6, 0
	s_waitcnt vmcnt(0) lgkmcnt(0)
	buffer_store_dword v6, off, s[0:3], 0 offset:12
	buffer_store_dword v5, off, s[0:3], 0 offset:8
	;; [unrolled: 1-line block ×3, first 2 shown]
	buffer_store_dword v3, off, s[0:3], 0
	flat_load_dwordx4 v[3:6], v[9:10]
	v_add_co_u32 v13, vcc_lo, s7, v13
	v_add_co_ci_u32_e64 v14, null, s12, v14, vcc_lo
	v_lshlrev_b64 v[15:16], 4, v[17:18]
	v_ashrrev_i32_e32 v20, 31, v19
	v_add_nc_u32_e32 v21, s13, v19
	s_waitcnt vmcnt(0) lgkmcnt(0)
	buffer_store_dword v6, off, s[0:3], 0 offset:28
	buffer_store_dword v5, off, s[0:3], 0 offset:24
	buffer_store_dword v4, off, s[0:3], 0 offset:20
	buffer_store_dword v3, off, s[0:3], 0 offset:16
	flat_load_dwordx4 v[3:6], v[11:12]
	v_add_co_u32 v15, vcc_lo, s7, v15
	v_add_co_ci_u32_e64 v16, null, s12, v16, vcc_lo
	v_lshlrev_b64 v[17:18], 4, v[19:20]
	v_ashrrev_i32_e32 v22, 31, v21
	v_add_nc_u32_e32 v23, s13, v21
	s_waitcnt vmcnt(0) lgkmcnt(0)
	buffer_store_dword v6, off, s[0:3], 0 offset:44
	buffer_store_dword v5, off, s[0:3], 0 offset:40
	buffer_store_dword v4, off, s[0:3], 0 offset:36
	buffer_store_dword v3, off, s[0:3], 0 offset:32
	;; [unrolled: 11-line block ×6, first 2 shown]
	flat_load_dwordx4 v[3:6], v[21:22]
	v_add_co_u32 v25, vcc_lo, s7, v25
	v_add_co_ci_u32_e64 v26, null, s12, v26, vcc_lo
	v_lshlrev_b64 v[27:28], 4, v[29:30]
	v_ashrrev_i32_e32 v32, 31, v31
	s_waitcnt vmcnt(0) lgkmcnt(0)
	buffer_store_dword v6, off, s[0:3], 0 offset:124
	buffer_store_dword v5, off, s[0:3], 0 offset:120
	buffer_store_dword v4, off, s[0:3], 0 offset:116
	buffer_store_dword v3, off, s[0:3], 0 offset:112
	flat_load_dwordx4 v[3:6], v[23:24]
	v_add_co_u32 v27, vcc_lo, s7, v27
	v_add_co_ci_u32_e64 v28, null, s12, v28, vcc_lo
	v_lshlrev_b64 v[29:30], 4, v[31:32]
	v_add_nc_u32_e32 v31, s13, v31
	s_mov_b32 s13, s29
	s_waitcnt vmcnt(0) lgkmcnt(0)
	buffer_store_dword v6, off, s[0:3], 0 offset:140
	buffer_store_dword v5, off, s[0:3], 0 offset:136
	;; [unrolled: 1-line block ×4, first 2 shown]
	flat_load_dwordx4 v[3:6], v[25:26]
	v_add_co_u32 v29, vcc_lo, s7, v29
	v_add_co_ci_u32_e64 v30, null, s12, v30, vcc_lo
	v_ashrrev_i32_e32 v32, 31, v31
	s_waitcnt vmcnt(0) lgkmcnt(0)
	buffer_store_dword v6, off, s[0:3], 0 offset:156
	buffer_store_dword v5, off, s[0:3], 0 offset:152
	;; [unrolled: 1-line block ×4, first 2 shown]
	flat_load_dwordx4 v[3:6], v[27:28]
	v_lshlrev_b64 v[31:32], 4, v[31:32]
	s_waitcnt vmcnt(0) lgkmcnt(0)
	buffer_store_dword v6, off, s[0:3], 0 offset:172
	buffer_store_dword v5, off, s[0:3], 0 offset:168
	;; [unrolled: 1-line block ×4, first 2 shown]
	flat_load_dwordx4 v[3:6], v[29:30]
	v_add_co_u32 v31, vcc_lo, s7, v31
	v_add_co_ci_u32_e64 v32, null, s12, v32, vcc_lo
	s_mov_b32 s7, -1
	s_mov_b32 s12, s30
	s_waitcnt vmcnt(0) lgkmcnt(0)
	buffer_store_dword v6, off, s[0:3], 0 offset:188
	buffer_store_dword v5, off, s[0:3], 0 offset:184
	;; [unrolled: 1-line block ×4, first 2 shown]
	flat_load_dwordx4 v[3:6], v[31:32]
	s_waitcnt vmcnt(0) lgkmcnt(0)
	buffer_store_dword v6, off, s[0:3], 0 offset:204
	buffer_store_dword v5, off, s[0:3], 0 offset:200
	;; [unrolled: 1-line block ×4, first 2 shown]
	s_cbranch_scc1 .LBB76_64
; %bb.4:
	v_cmp_eq_u32_e64 s6, 0, v0
	s_and_saveexec_b32 s7, s6
; %bb.5:
	v_mov_b32_e32 v3, 0
	ds_write_b32 v3, v3 offset:416
; %bb.6:
	s_or_b32 exec_lo, exec_lo, s7
	v_lshl_add_u32 v40, v0, 4, 0
	s_waitcnt lgkmcnt(0)
	s_waitcnt_vscnt null, 0x0
	s_barrier
	buffer_gl0_inv
	s_clause 0x3
	buffer_load_dword v3, v40, s[0:3], 0 offen
	buffer_load_dword v4, v40, s[0:3], 0 offen offset:4
	buffer_load_dword v5, v40, s[0:3], 0 offen offset:8
	;; [unrolled: 1-line block ×3, first 2 shown]
	s_waitcnt vmcnt(2)
	v_cmp_eq_f64_e32 vcc_lo, 0, v[3:4]
	s_waitcnt vmcnt(0)
	v_cmp_eq_f64_e64 s7, 0, v[5:6]
	s_and_b32 s7, vcc_lo, s7
	s_and_saveexec_b32 s27, s7
	s_cbranch_execz .LBB76_10
; %bb.7:
	v_mov_b32_e32 v3, 0
	s_mov_b32 s28, 0
	ds_read_b32 v4, v3 offset:416
	s_waitcnt lgkmcnt(0)
	v_readfirstlane_b32 s7, v4
	v_add_nc_u32_e32 v4, 1, v0
	s_cmp_eq_u32 s7, 0
	v_cmp_gt_i32_e32 vcc_lo, s7, v4
	s_cselect_b32 s29, -1, 0
	s_or_b32 s29, s29, vcc_lo
	s_and_b32 exec_lo, exec_lo, s29
	s_cbranch_execz .LBB76_10
; %bb.8:
	v_mov_b32_e32 v5, s7
.LBB76_9:                               ; =>This Inner Loop Header: Depth=1
	ds_cmpst_rtn_b32 v5, v3, v5, v4 offset:416
	s_waitcnt lgkmcnt(0)
	v_cmp_ne_u32_e32 vcc_lo, 0, v5
	v_cmp_le_i32_e64 s7, v5, v4
	s_and_b32 s7, vcc_lo, s7
	s_and_b32 s7, exec_lo, s7
	s_or_b32 s28, s7, s28
	s_andn2_b32 exec_lo, exec_lo, s28
	s_cbranch_execnz .LBB76_9
.LBB76_10:
	s_or_b32 exec_lo, exec_lo, s27
	v_mov_b32_e32 v3, 0
	s_barrier
	buffer_gl0_inv
	ds_read_b32 v4, v3 offset:416
	s_and_saveexec_b32 s7, s6
	s_cbranch_execz .LBB76_12
; %bb.11:
	s_lshl_b64 s[28:29], s[8:9], 2
	s_add_u32 s28, s14, s28
	s_addc_u32 s29, s15, s29
	s_waitcnt lgkmcnt(0)
	global_store_dword v3, v4, s[28:29]
.LBB76_12:
	s_or_b32 exec_lo, exec_lo, s7
	s_waitcnt lgkmcnt(0)
	v_cmp_ne_u32_e32 vcc_lo, 0, v4
	s_mov_b32 s7, 0
	s_cbranch_vccnz .LBB76_64
; %bb.13:
	s_clause 0x3
	buffer_load_dword v35, v40, s[0:3], 0 offen
	buffer_load_dword v36, v40, s[0:3], 0 offen offset:4
	buffer_load_dword v37, v40, s[0:3], 0 offen offset:8
	;; [unrolled: 1-line block ×3, first 2 shown]
                                        ; implicit-def: $vgpr33_vgpr34
                                        ; implicit-def: $vgpr5_vgpr6
	s_waitcnt vmcnt(0)
	v_cmp_ngt_f64_e64 s7, |v[35:36]|, |v[37:38]|
	s_and_saveexec_b32 s27, s7
	s_xor_b32 s7, exec_lo, s27
	s_cbranch_execz .LBB76_15
; %bb.14:
	v_div_scale_f64 v[3:4], null, v[37:38], v[37:38], v[35:36]
	v_div_scale_f64 v[41:42], vcc_lo, v[35:36], v[37:38], v[35:36]
	v_rcp_f64_e32 v[5:6], v[3:4]
	v_fma_f64 v[33:34], -v[3:4], v[5:6], 1.0
	v_fma_f64 v[5:6], v[5:6], v[33:34], v[5:6]
	v_fma_f64 v[33:34], -v[3:4], v[5:6], 1.0
	v_fma_f64 v[5:6], v[5:6], v[33:34], v[5:6]
	v_mul_f64 v[33:34], v[41:42], v[5:6]
	v_fma_f64 v[3:4], -v[3:4], v[33:34], v[41:42]
	v_div_fmas_f64 v[3:4], v[3:4], v[5:6], v[33:34]
	v_div_fixup_f64 v[3:4], v[3:4], v[37:38], v[35:36]
	v_fma_f64 v[5:6], v[35:36], v[3:4], v[37:38]
	v_div_scale_f64 v[33:34], null, v[5:6], v[5:6], 1.0
	v_div_scale_f64 v[41:42], vcc_lo, 1.0, v[5:6], 1.0
	v_rcp_f64_e32 v[35:36], v[33:34]
	v_fma_f64 v[37:38], -v[33:34], v[35:36], 1.0
	v_fma_f64 v[35:36], v[35:36], v[37:38], v[35:36]
	v_fma_f64 v[37:38], -v[33:34], v[35:36], 1.0
	v_fma_f64 v[35:36], v[35:36], v[37:38], v[35:36]
	v_mul_f64 v[37:38], v[41:42], v[35:36]
	v_fma_f64 v[33:34], -v[33:34], v[37:38], v[41:42]
	v_div_fmas_f64 v[33:34], v[33:34], v[35:36], v[37:38]
                                        ; implicit-def: $vgpr35_vgpr36
                                        ; implicit-def: $vgpr37_vgpr38
	v_div_fixup_f64 v[5:6], v[33:34], v[5:6], 1.0
	v_mul_f64 v[33:34], v[3:4], v[5:6]
	v_xor_b32_e32 v6, 0x80000000, v6
	v_xor_b32_e32 v4, 0x80000000, v34
	v_mov_b32_e32 v3, v33
.LBB76_15:
	s_andn2_saveexec_b32 s7, s7
	s_cbranch_execz .LBB76_17
; %bb.16:
	v_div_scale_f64 v[3:4], null, v[35:36], v[35:36], v[37:38]
	v_div_scale_f64 v[41:42], vcc_lo, v[37:38], v[35:36], v[37:38]
	v_rcp_f64_e32 v[5:6], v[3:4]
	v_fma_f64 v[33:34], -v[3:4], v[5:6], 1.0
	v_fma_f64 v[5:6], v[5:6], v[33:34], v[5:6]
	v_fma_f64 v[33:34], -v[3:4], v[5:6], 1.0
	v_fma_f64 v[5:6], v[5:6], v[33:34], v[5:6]
	v_mul_f64 v[33:34], v[41:42], v[5:6]
	v_fma_f64 v[3:4], -v[3:4], v[33:34], v[41:42]
	v_div_fmas_f64 v[3:4], v[3:4], v[5:6], v[33:34]
	v_div_fixup_f64 v[3:4], v[3:4], v[35:36], v[37:38]
	v_fma_f64 v[5:6], v[37:38], v[3:4], v[35:36]
	v_div_scale_f64 v[33:34], null, v[5:6], v[5:6], 1.0
	v_rcp_f64_e32 v[35:36], v[33:34]
	v_fma_f64 v[37:38], -v[33:34], v[35:36], 1.0
	v_fma_f64 v[35:36], v[35:36], v[37:38], v[35:36]
	v_fma_f64 v[37:38], -v[33:34], v[35:36], 1.0
	v_fma_f64 v[35:36], v[35:36], v[37:38], v[35:36]
	v_div_scale_f64 v[37:38], vcc_lo, 1.0, v[5:6], 1.0
	v_mul_f64 v[41:42], v[37:38], v[35:36]
	v_fma_f64 v[33:34], -v[33:34], v[41:42], v[37:38]
	v_div_fmas_f64 v[33:34], v[33:34], v[35:36], v[41:42]
	v_div_fixup_f64 v[33:34], v[33:34], v[5:6], 1.0
	v_mul_f64 v[5:6], v[3:4], -v[33:34]
	v_xor_b32_e32 v4, 0x80000000, v34
	v_mov_b32_e32 v3, v33
.LBB76_17:
	s_or_b32 exec_lo, exec_lo, s7
	v_mov_b32_e32 v38, s25
	buffer_store_dword v34, v40, s[0:3], 0 offen offset:4
	buffer_store_dword v33, v40, s[0:3], 0 offen
	buffer_store_dword v6, v40, s[0:3], 0 offen offset:12
	buffer_store_dword v5, v40, s[0:3], 0 offen offset:8
	v_xor_b32_e32 v6, 0x80000000, v6
	v_add_nc_u32_e32 v33, 0xd0, v39
	s_clause 0x3
	buffer_load_dword v37, v38, s[0:3], 0 offen offset:12
	buffer_load_dword v36, v38, s[0:3], 0 offen offset:8
	;; [unrolled: 1-line block ×3, first 2 shown]
	buffer_load_dword v34, v38, s[0:3], 0 offen
	ds_write_b128 v39, v[3:6]
	s_waitcnt vmcnt(0)
	ds_write_b128 v39, v[34:37] offset:208
	s_waitcnt lgkmcnt(0)
	s_waitcnt_vscnt null, 0x0
	s_barrier
	buffer_gl0_inv
	s_and_saveexec_b32 s7, s6
	s_cbranch_execz .LBB76_19
; %bb.18:
	s_clause 0x3
	buffer_load_dword v41, v40, s[0:3], 0 offen offset:8
	buffer_load_dword v42, v40, s[0:3], 0 offen offset:12
	buffer_load_dword v43, v40, s[0:3], 0 offen
	buffer_load_dword v44, v40, s[0:3], 0 offen offset:4
	ds_read_b128 v[3:6], v33
	v_mov_b32_e32 v34, 0
	ds_read_b128 v[34:37], v34 offset:16
	s_waitcnt vmcnt(2) lgkmcnt(1)
	v_mul_f64 v[45:46], v[3:4], v[41:42]
	v_mul_f64 v[41:42], v[5:6], v[41:42]
	s_waitcnt vmcnt(0)
	v_fma_f64 v[5:6], v[5:6], v[43:44], v[45:46]
	v_fma_f64 v[3:4], v[3:4], v[43:44], -v[41:42]
	v_add_f64 v[5:6], v[5:6], 0
	v_add_f64 v[3:4], v[3:4], 0
	s_waitcnt lgkmcnt(0)
	v_mul_f64 v[41:42], v[5:6], v[36:37]
	v_mul_f64 v[36:37], v[3:4], v[36:37]
	v_fma_f64 v[3:4], v[3:4], v[34:35], -v[41:42]
	v_fma_f64 v[5:6], v[5:6], v[34:35], v[36:37]
	buffer_store_dword v3, off, s[0:3], 0 offset:16
	buffer_store_dword v4, off, s[0:3], 0 offset:20
	;; [unrolled: 1-line block ×4, first 2 shown]
.LBB76_19:
	s_or_b32 exec_lo, exec_lo, s7
	v_mov_b32_e32 v6, s24
	s_waitcnt_vscnt null, 0x0
	s_barrier
	buffer_gl0_inv
	s_mov_b32 s7, exec_lo
	s_clause 0x3
	buffer_load_dword v3, v6, s[0:3], 0 offen
	buffer_load_dword v4, v6, s[0:3], 0 offen offset:4
	buffer_load_dword v5, v6, s[0:3], 0 offen offset:8
	buffer_load_dword v6, v6, s[0:3], 0 offen offset:12
	s_waitcnt vmcnt(0)
	ds_write_b128 v33, v[3:6]
	s_waitcnt lgkmcnt(0)
	s_barrier
	buffer_gl0_inv
	v_cmpx_gt_u32_e32 2, v0
	s_cbranch_execz .LBB76_23
; %bb.20:
	s_clause 0x3
	buffer_load_dword v34, v40, s[0:3], 0 offen offset:8
	buffer_load_dword v35, v40, s[0:3], 0 offen offset:12
	buffer_load_dword v36, v40, s[0:3], 0 offen
	buffer_load_dword v37, v40, s[0:3], 0 offen offset:4
	ds_read_b128 v[3:6], v33
	s_waitcnt vmcnt(2) lgkmcnt(0)
	v_mul_f64 v[40:41], v[5:6], v[34:35]
	v_mul_f64 v[34:35], v[3:4], v[34:35]
	s_waitcnt vmcnt(0)
	v_fma_f64 v[3:4], v[3:4], v[36:37], -v[40:41]
	v_fma_f64 v[5:6], v[5:6], v[36:37], v[34:35]
	v_add_f64 v[3:4], v[3:4], 0
	v_add_f64 v[5:6], v[5:6], 0
	s_and_saveexec_b32 s27, s6
	s_cbranch_execz .LBB76_22
; %bb.21:
	s_clause 0x3
	buffer_load_dword v40, off, s[0:3], 0 offset:24
	buffer_load_dword v41, off, s[0:3], 0 offset:28
	;; [unrolled: 1-line block ×4, first 2 shown]
	v_mov_b32_e32 v34, 0
	ds_read_b128 v[34:37], v34 offset:224
	s_waitcnt vmcnt(2) lgkmcnt(0)
	v_mul_f64 v[44:45], v[34:35], v[40:41]
	v_mul_f64 v[40:41], v[36:37], v[40:41]
	s_waitcnt vmcnt(0)
	v_fma_f64 v[36:37], v[36:37], v[42:43], v[44:45]
	v_fma_f64 v[34:35], v[34:35], v[42:43], -v[40:41]
	v_add_f64 v[5:6], v[5:6], v[36:37]
	v_add_f64 v[3:4], v[3:4], v[34:35]
.LBB76_22:
	s_or_b32 exec_lo, exec_lo, s27
	v_mov_b32_e32 v34, 0
	ds_read_b128 v[34:37], v34 offset:32
	s_waitcnt lgkmcnt(0)
	v_mul_f64 v[40:41], v[5:6], v[36:37]
	v_mul_f64 v[36:37], v[3:4], v[36:37]
	v_fma_f64 v[3:4], v[3:4], v[34:35], -v[40:41]
	v_fma_f64 v[5:6], v[5:6], v[34:35], v[36:37]
	buffer_store_dword v4, off, s[0:3], 0 offset:36
	buffer_store_dword v3, off, s[0:3], 0 offset:32
	;; [unrolled: 1-line block ×4, first 2 shown]
.LBB76_23:
	s_or_b32 exec_lo, exec_lo, s7
	v_mov_b32_e32 v6, s23
	s_waitcnt_vscnt null, 0x0
	s_barrier
	buffer_gl0_inv
	v_add_nc_u32_e32 v34, -1, v0
	s_clause 0x3
	buffer_load_dword v3, v6, s[0:3], 0 offen
	buffer_load_dword v4, v6, s[0:3], 0 offen offset:4
	buffer_load_dword v5, v6, s[0:3], 0 offen offset:8
	;; [unrolled: 1-line block ×3, first 2 shown]
	s_mov_b32 s6, exec_lo
	s_waitcnt vmcnt(0)
	ds_write_b128 v33, v[3:6]
	s_waitcnt lgkmcnt(0)
	s_barrier
	buffer_gl0_inv
	v_cmpx_gt_u32_e32 3, v0
	s_cbranch_execz .LBB76_27
; %bb.24:
	v_mov_b32_e32 v3, 0
	v_mov_b32_e32 v5, 0
	v_add_nc_u32_e32 v35, -1, v0
	v_add_nc_u32_e32 v36, 0xd0, v39
	v_mov_b32_e32 v4, 0
	v_mov_b32_e32 v6, 0
	v_mov_b32_e32 v37, v39
	s_mov_b32 s7, 0
	.p2align	6
.LBB76_25:                              ; =>This Inner Loop Header: Depth=1
	s_clause 0x3
	buffer_load_dword v44, v37, s[0:3], 0 offen offset:8
	buffer_load_dword v45, v37, s[0:3], 0 offen offset:12
	buffer_load_dword v46, v37, s[0:3], 0 offen
	buffer_load_dword v47, v37, s[0:3], 0 offen offset:4
	ds_read_b128 v[40:43], v36
	v_add_nc_u32_e32 v35, 1, v35
	v_add_nc_u32_e32 v36, 16, v36
	;; [unrolled: 1-line block ×3, first 2 shown]
	v_cmp_lt_u32_e32 vcc_lo, 1, v35
	s_or_b32 s7, vcc_lo, s7
	s_waitcnt vmcnt(2) lgkmcnt(0)
	v_mul_f64 v[48:49], v[42:43], v[44:45]
	v_mul_f64 v[44:45], v[40:41], v[44:45]
	s_waitcnt vmcnt(0)
	v_fma_f64 v[40:41], v[40:41], v[46:47], -v[48:49]
	v_fma_f64 v[42:43], v[42:43], v[46:47], v[44:45]
	v_add_f64 v[5:6], v[5:6], v[40:41]
	v_add_f64 v[3:4], v[3:4], v[42:43]
	s_andn2_b32 exec_lo, exec_lo, s7
	s_cbranch_execnz .LBB76_25
; %bb.26:
	s_or_b32 exec_lo, exec_lo, s7
	v_mov_b32_e32 v35, 0
	ds_read_b128 v[35:38], v35 offset:48
	s_waitcnt lgkmcnt(0)
	v_mul_f64 v[40:41], v[3:4], v[37:38]
	v_mul_f64 v[37:38], v[5:6], v[37:38]
	v_fma_f64 v[5:6], v[5:6], v[35:36], -v[40:41]
	v_fma_f64 v[3:4], v[3:4], v[35:36], v[37:38]
	buffer_store_dword v6, off, s[0:3], 0 offset:52
	buffer_store_dword v5, off, s[0:3], 0 offset:48
	;; [unrolled: 1-line block ×4, first 2 shown]
.LBB76_27:
	s_or_b32 exec_lo, exec_lo, s6
	v_mov_b32_e32 v6, s22
	s_waitcnt_vscnt null, 0x0
	s_barrier
	buffer_gl0_inv
	s_mov_b32 s6, exec_lo
	s_clause 0x3
	buffer_load_dword v3, v6, s[0:3], 0 offen
	buffer_load_dword v4, v6, s[0:3], 0 offen offset:4
	buffer_load_dword v5, v6, s[0:3], 0 offen offset:8
	buffer_load_dword v6, v6, s[0:3], 0 offen offset:12
	s_waitcnt vmcnt(0)
	ds_write_b128 v33, v[3:6]
	s_waitcnt lgkmcnt(0)
	s_barrier
	buffer_gl0_inv
	v_cmpx_gt_u32_e32 4, v0
	s_cbranch_execz .LBB76_31
; %bb.28:
	v_mov_b32_e32 v3, 0
	v_mov_b32_e32 v5, 0
	v_add_nc_u32_e32 v35, -1, v0
	v_add_nc_u32_e32 v36, 0xd0, v39
	v_mov_b32_e32 v4, 0
	v_mov_b32_e32 v6, 0
	;; [unrolled: 1-line block ×3, first 2 shown]
	s_mov_b32 s7, 0
	.p2align	6
.LBB76_29:                              ; =>This Inner Loop Header: Depth=1
	s_clause 0x3
	buffer_load_dword v44, v37, s[0:3], 0 offen offset:8
	buffer_load_dword v45, v37, s[0:3], 0 offen offset:12
	buffer_load_dword v46, v37, s[0:3], 0 offen
	buffer_load_dword v47, v37, s[0:3], 0 offen offset:4
	ds_read_b128 v[40:43], v36
	v_add_nc_u32_e32 v35, 1, v35
	v_add_nc_u32_e32 v36, 16, v36
	;; [unrolled: 1-line block ×3, first 2 shown]
	v_cmp_lt_u32_e32 vcc_lo, 2, v35
	s_or_b32 s7, vcc_lo, s7
	s_waitcnt vmcnt(2) lgkmcnt(0)
	v_mul_f64 v[48:49], v[42:43], v[44:45]
	v_mul_f64 v[44:45], v[40:41], v[44:45]
	s_waitcnt vmcnt(0)
	v_fma_f64 v[40:41], v[40:41], v[46:47], -v[48:49]
	v_fma_f64 v[42:43], v[42:43], v[46:47], v[44:45]
	v_add_f64 v[5:6], v[5:6], v[40:41]
	v_add_f64 v[3:4], v[3:4], v[42:43]
	s_andn2_b32 exec_lo, exec_lo, s7
	s_cbranch_execnz .LBB76_29
; %bb.30:
	s_or_b32 exec_lo, exec_lo, s7
	v_mov_b32_e32 v35, 0
	ds_read_b128 v[35:38], v35 offset:64
	s_waitcnt lgkmcnt(0)
	v_mul_f64 v[40:41], v[3:4], v[37:38]
	v_mul_f64 v[37:38], v[5:6], v[37:38]
	v_fma_f64 v[5:6], v[5:6], v[35:36], -v[40:41]
	v_fma_f64 v[3:4], v[3:4], v[35:36], v[37:38]
	buffer_store_dword v6, off, s[0:3], 0 offset:68
	buffer_store_dword v5, off, s[0:3], 0 offset:64
	;; [unrolled: 1-line block ×4, first 2 shown]
.LBB76_31:
	s_or_b32 exec_lo, exec_lo, s6
	v_mov_b32_e32 v6, s21
	s_waitcnt_vscnt null, 0x0
	s_barrier
	buffer_gl0_inv
	s_mov_b32 s6, exec_lo
	s_clause 0x3
	buffer_load_dword v3, v6, s[0:3], 0 offen
	buffer_load_dword v4, v6, s[0:3], 0 offen offset:4
	buffer_load_dword v5, v6, s[0:3], 0 offen offset:8
	buffer_load_dword v6, v6, s[0:3], 0 offen offset:12
	s_waitcnt vmcnt(0)
	ds_write_b128 v33, v[3:6]
	s_waitcnt lgkmcnt(0)
	s_barrier
	buffer_gl0_inv
	v_cmpx_gt_u32_e32 5, v0
	s_cbranch_execz .LBB76_35
; %bb.32:
	v_mov_b32_e32 v3, 0
	v_mov_b32_e32 v5, 0
	v_add_nc_u32_e32 v35, -1, v0
	v_add_nc_u32_e32 v36, 0xd0, v39
	v_mov_b32_e32 v4, 0
	v_mov_b32_e32 v6, 0
	;; [unrolled: 1-line block ×3, first 2 shown]
	s_mov_b32 s7, 0
	.p2align	6
.LBB76_33:                              ; =>This Inner Loop Header: Depth=1
	s_clause 0x3
	buffer_load_dword v44, v37, s[0:3], 0 offen offset:8
	buffer_load_dword v45, v37, s[0:3], 0 offen offset:12
	buffer_load_dword v46, v37, s[0:3], 0 offen
	buffer_load_dword v47, v37, s[0:3], 0 offen offset:4
	ds_read_b128 v[40:43], v36
	v_add_nc_u32_e32 v35, 1, v35
	v_add_nc_u32_e32 v36, 16, v36
	;; [unrolled: 1-line block ×3, first 2 shown]
	v_cmp_lt_u32_e32 vcc_lo, 3, v35
	s_or_b32 s7, vcc_lo, s7
	s_waitcnt vmcnt(2) lgkmcnt(0)
	v_mul_f64 v[48:49], v[42:43], v[44:45]
	v_mul_f64 v[44:45], v[40:41], v[44:45]
	s_waitcnt vmcnt(0)
	v_fma_f64 v[40:41], v[40:41], v[46:47], -v[48:49]
	v_fma_f64 v[42:43], v[42:43], v[46:47], v[44:45]
	v_add_f64 v[5:6], v[5:6], v[40:41]
	v_add_f64 v[3:4], v[3:4], v[42:43]
	s_andn2_b32 exec_lo, exec_lo, s7
	s_cbranch_execnz .LBB76_33
; %bb.34:
	s_or_b32 exec_lo, exec_lo, s7
	v_mov_b32_e32 v35, 0
	ds_read_b128 v[35:38], v35 offset:80
	s_waitcnt lgkmcnt(0)
	v_mul_f64 v[40:41], v[3:4], v[37:38]
	v_mul_f64 v[37:38], v[5:6], v[37:38]
	v_fma_f64 v[5:6], v[5:6], v[35:36], -v[40:41]
	v_fma_f64 v[3:4], v[3:4], v[35:36], v[37:38]
	buffer_store_dword v6, off, s[0:3], 0 offset:84
	buffer_store_dword v5, off, s[0:3], 0 offset:80
	;; [unrolled: 1-line block ×4, first 2 shown]
.LBB76_35:
	s_or_b32 exec_lo, exec_lo, s6
	v_mov_b32_e32 v6, s20
	s_waitcnt_vscnt null, 0x0
	s_barrier
	buffer_gl0_inv
	s_mov_b32 s6, exec_lo
	s_clause 0x3
	buffer_load_dword v3, v6, s[0:3], 0 offen
	buffer_load_dword v4, v6, s[0:3], 0 offen offset:4
	buffer_load_dword v5, v6, s[0:3], 0 offen offset:8
	;; [unrolled: 1-line block ×3, first 2 shown]
	s_waitcnt vmcnt(0)
	ds_write_b128 v33, v[3:6]
	s_waitcnt lgkmcnt(0)
	s_barrier
	buffer_gl0_inv
	v_cmpx_gt_u32_e32 6, v0
	s_cbranch_execz .LBB76_39
; %bb.36:
	v_mov_b32_e32 v3, 0
	v_mov_b32_e32 v5, 0
	v_add_nc_u32_e32 v35, -1, v0
	v_add_nc_u32_e32 v36, 0xd0, v39
	v_mov_b32_e32 v4, 0
	v_mov_b32_e32 v6, 0
	;; [unrolled: 1-line block ×3, first 2 shown]
	s_mov_b32 s7, 0
	.p2align	6
.LBB76_37:                              ; =>This Inner Loop Header: Depth=1
	s_clause 0x3
	buffer_load_dword v44, v37, s[0:3], 0 offen offset:8
	buffer_load_dword v45, v37, s[0:3], 0 offen offset:12
	buffer_load_dword v46, v37, s[0:3], 0 offen
	buffer_load_dword v47, v37, s[0:3], 0 offen offset:4
	ds_read_b128 v[40:43], v36
	v_add_nc_u32_e32 v35, 1, v35
	v_add_nc_u32_e32 v36, 16, v36
	;; [unrolled: 1-line block ×3, first 2 shown]
	v_cmp_lt_u32_e32 vcc_lo, 4, v35
	s_or_b32 s7, vcc_lo, s7
	s_waitcnt vmcnt(2) lgkmcnt(0)
	v_mul_f64 v[48:49], v[42:43], v[44:45]
	v_mul_f64 v[44:45], v[40:41], v[44:45]
	s_waitcnt vmcnt(0)
	v_fma_f64 v[40:41], v[40:41], v[46:47], -v[48:49]
	v_fma_f64 v[42:43], v[42:43], v[46:47], v[44:45]
	v_add_f64 v[5:6], v[5:6], v[40:41]
	v_add_f64 v[3:4], v[3:4], v[42:43]
	s_andn2_b32 exec_lo, exec_lo, s7
	s_cbranch_execnz .LBB76_37
; %bb.38:
	s_or_b32 exec_lo, exec_lo, s7
	v_mov_b32_e32 v35, 0
	ds_read_b128 v[35:38], v35 offset:96
	s_waitcnt lgkmcnt(0)
	v_mul_f64 v[40:41], v[3:4], v[37:38]
	v_mul_f64 v[37:38], v[5:6], v[37:38]
	v_fma_f64 v[5:6], v[5:6], v[35:36], -v[40:41]
	v_fma_f64 v[3:4], v[3:4], v[35:36], v[37:38]
	buffer_store_dword v6, off, s[0:3], 0 offset:100
	buffer_store_dword v5, off, s[0:3], 0 offset:96
	;; [unrolled: 1-line block ×4, first 2 shown]
.LBB76_39:
	s_or_b32 exec_lo, exec_lo, s6
	v_mov_b32_e32 v6, s19
	s_waitcnt_vscnt null, 0x0
	s_barrier
	buffer_gl0_inv
	s_mov_b32 s6, exec_lo
	s_clause 0x3
	buffer_load_dword v3, v6, s[0:3], 0 offen
	buffer_load_dword v4, v6, s[0:3], 0 offen offset:4
	buffer_load_dword v5, v6, s[0:3], 0 offen offset:8
	;; [unrolled: 1-line block ×3, first 2 shown]
	s_waitcnt vmcnt(0)
	ds_write_b128 v33, v[3:6]
	s_waitcnt lgkmcnt(0)
	s_barrier
	buffer_gl0_inv
	v_cmpx_gt_u32_e32 7, v0
	s_cbranch_execz .LBB76_43
; %bb.40:
	v_mov_b32_e32 v3, 0
	v_mov_b32_e32 v5, 0
	v_add_nc_u32_e32 v35, -1, v0
	v_add_nc_u32_e32 v36, 0xd0, v39
	v_mov_b32_e32 v4, 0
	v_mov_b32_e32 v6, 0
	;; [unrolled: 1-line block ×3, first 2 shown]
	s_mov_b32 s7, 0
	.p2align	6
.LBB76_41:                              ; =>This Inner Loop Header: Depth=1
	s_clause 0x3
	buffer_load_dword v44, v37, s[0:3], 0 offen offset:8
	buffer_load_dword v45, v37, s[0:3], 0 offen offset:12
	buffer_load_dword v46, v37, s[0:3], 0 offen
	buffer_load_dword v47, v37, s[0:3], 0 offen offset:4
	ds_read_b128 v[40:43], v36
	v_add_nc_u32_e32 v35, 1, v35
	v_add_nc_u32_e32 v36, 16, v36
	;; [unrolled: 1-line block ×3, first 2 shown]
	v_cmp_lt_u32_e32 vcc_lo, 5, v35
	s_or_b32 s7, vcc_lo, s7
	s_waitcnt vmcnt(2) lgkmcnt(0)
	v_mul_f64 v[48:49], v[42:43], v[44:45]
	v_mul_f64 v[44:45], v[40:41], v[44:45]
	s_waitcnt vmcnt(0)
	v_fma_f64 v[40:41], v[40:41], v[46:47], -v[48:49]
	v_fma_f64 v[42:43], v[42:43], v[46:47], v[44:45]
	v_add_f64 v[5:6], v[5:6], v[40:41]
	v_add_f64 v[3:4], v[3:4], v[42:43]
	s_andn2_b32 exec_lo, exec_lo, s7
	s_cbranch_execnz .LBB76_41
; %bb.42:
	s_or_b32 exec_lo, exec_lo, s7
	v_mov_b32_e32 v35, 0
	ds_read_b128 v[35:38], v35 offset:112
	s_waitcnt lgkmcnt(0)
	v_mul_f64 v[40:41], v[3:4], v[37:38]
	v_mul_f64 v[37:38], v[5:6], v[37:38]
	v_fma_f64 v[5:6], v[5:6], v[35:36], -v[40:41]
	v_fma_f64 v[3:4], v[3:4], v[35:36], v[37:38]
	buffer_store_dword v6, off, s[0:3], 0 offset:116
	buffer_store_dword v5, off, s[0:3], 0 offset:112
	;; [unrolled: 1-line block ×4, first 2 shown]
.LBB76_43:
	s_or_b32 exec_lo, exec_lo, s6
	v_mov_b32_e32 v6, s18
	s_waitcnt_vscnt null, 0x0
	s_barrier
	buffer_gl0_inv
	s_mov_b32 s6, exec_lo
	s_clause 0x3
	buffer_load_dword v3, v6, s[0:3], 0 offen
	buffer_load_dword v4, v6, s[0:3], 0 offen offset:4
	buffer_load_dword v5, v6, s[0:3], 0 offen offset:8
	;; [unrolled: 1-line block ×3, first 2 shown]
	s_waitcnt vmcnt(0)
	ds_write_b128 v33, v[3:6]
	s_waitcnt lgkmcnt(0)
	s_barrier
	buffer_gl0_inv
	v_cmpx_gt_u32_e32 8, v0
	s_cbranch_execz .LBB76_47
; %bb.44:
	v_mov_b32_e32 v3, 0
	v_mov_b32_e32 v5, 0
	v_add_nc_u32_e32 v35, -1, v0
	v_add_nc_u32_e32 v36, 0xd0, v39
	v_mov_b32_e32 v4, 0
	v_mov_b32_e32 v6, 0
	;; [unrolled: 1-line block ×3, first 2 shown]
	s_mov_b32 s7, 0
	.p2align	6
.LBB76_45:                              ; =>This Inner Loop Header: Depth=1
	s_clause 0x3
	buffer_load_dword v44, v37, s[0:3], 0 offen offset:8
	buffer_load_dword v45, v37, s[0:3], 0 offen offset:12
	buffer_load_dword v46, v37, s[0:3], 0 offen
	buffer_load_dword v47, v37, s[0:3], 0 offen offset:4
	ds_read_b128 v[40:43], v36
	v_add_nc_u32_e32 v35, 1, v35
	v_add_nc_u32_e32 v36, 16, v36
	;; [unrolled: 1-line block ×3, first 2 shown]
	v_cmp_lt_u32_e32 vcc_lo, 6, v35
	s_or_b32 s7, vcc_lo, s7
	s_waitcnt vmcnt(2) lgkmcnt(0)
	v_mul_f64 v[48:49], v[42:43], v[44:45]
	v_mul_f64 v[44:45], v[40:41], v[44:45]
	s_waitcnt vmcnt(0)
	v_fma_f64 v[40:41], v[40:41], v[46:47], -v[48:49]
	v_fma_f64 v[42:43], v[42:43], v[46:47], v[44:45]
	v_add_f64 v[5:6], v[5:6], v[40:41]
	v_add_f64 v[3:4], v[3:4], v[42:43]
	s_andn2_b32 exec_lo, exec_lo, s7
	s_cbranch_execnz .LBB76_45
; %bb.46:
	s_or_b32 exec_lo, exec_lo, s7
	v_mov_b32_e32 v35, 0
	ds_read_b128 v[35:38], v35 offset:128
	s_waitcnt lgkmcnt(0)
	v_mul_f64 v[40:41], v[3:4], v[37:38]
	v_mul_f64 v[37:38], v[5:6], v[37:38]
	v_fma_f64 v[5:6], v[5:6], v[35:36], -v[40:41]
	v_fma_f64 v[3:4], v[3:4], v[35:36], v[37:38]
	buffer_store_dword v6, off, s[0:3], 0 offset:132
	buffer_store_dword v5, off, s[0:3], 0 offset:128
	;; [unrolled: 1-line block ×4, first 2 shown]
.LBB76_47:
	s_or_b32 exec_lo, exec_lo, s6
	v_mov_b32_e32 v6, s17
	s_waitcnt_vscnt null, 0x0
	s_barrier
	buffer_gl0_inv
	s_mov_b32 s6, exec_lo
	s_clause 0x3
	buffer_load_dword v3, v6, s[0:3], 0 offen
	buffer_load_dword v4, v6, s[0:3], 0 offen offset:4
	buffer_load_dword v5, v6, s[0:3], 0 offen offset:8
	;; [unrolled: 1-line block ×3, first 2 shown]
	s_waitcnt vmcnt(0)
	ds_write_b128 v33, v[3:6]
	s_waitcnt lgkmcnt(0)
	s_barrier
	buffer_gl0_inv
	v_cmpx_gt_u32_e32 9, v0
	s_cbranch_execz .LBB76_51
; %bb.48:
	v_mov_b32_e32 v3, 0
	v_mov_b32_e32 v5, 0
	v_add_nc_u32_e32 v35, -1, v0
	v_add_nc_u32_e32 v36, 0xd0, v39
	v_mov_b32_e32 v4, 0
	v_mov_b32_e32 v6, 0
	;; [unrolled: 1-line block ×3, first 2 shown]
	s_mov_b32 s7, 0
	.p2align	6
.LBB76_49:                              ; =>This Inner Loop Header: Depth=1
	s_clause 0x3
	buffer_load_dword v44, v37, s[0:3], 0 offen offset:8
	buffer_load_dword v45, v37, s[0:3], 0 offen offset:12
	buffer_load_dword v46, v37, s[0:3], 0 offen
	buffer_load_dword v47, v37, s[0:3], 0 offen offset:4
	ds_read_b128 v[40:43], v36
	v_add_nc_u32_e32 v35, 1, v35
	v_add_nc_u32_e32 v36, 16, v36
	;; [unrolled: 1-line block ×3, first 2 shown]
	v_cmp_lt_u32_e32 vcc_lo, 7, v35
	s_or_b32 s7, vcc_lo, s7
	s_waitcnt vmcnt(2) lgkmcnt(0)
	v_mul_f64 v[48:49], v[42:43], v[44:45]
	v_mul_f64 v[44:45], v[40:41], v[44:45]
	s_waitcnt vmcnt(0)
	v_fma_f64 v[40:41], v[40:41], v[46:47], -v[48:49]
	v_fma_f64 v[42:43], v[42:43], v[46:47], v[44:45]
	v_add_f64 v[5:6], v[5:6], v[40:41]
	v_add_f64 v[3:4], v[3:4], v[42:43]
	s_andn2_b32 exec_lo, exec_lo, s7
	s_cbranch_execnz .LBB76_49
; %bb.50:
	s_or_b32 exec_lo, exec_lo, s7
	v_mov_b32_e32 v35, 0
	ds_read_b128 v[35:38], v35 offset:144
	s_waitcnt lgkmcnt(0)
	v_mul_f64 v[40:41], v[3:4], v[37:38]
	v_mul_f64 v[37:38], v[5:6], v[37:38]
	v_fma_f64 v[5:6], v[5:6], v[35:36], -v[40:41]
	v_fma_f64 v[3:4], v[3:4], v[35:36], v[37:38]
	buffer_store_dword v6, off, s[0:3], 0 offset:148
	buffer_store_dword v5, off, s[0:3], 0 offset:144
	;; [unrolled: 1-line block ×4, first 2 shown]
.LBB76_51:
	s_or_b32 exec_lo, exec_lo, s6
	v_mov_b32_e32 v6, s16
	s_waitcnt_vscnt null, 0x0
	s_barrier
	buffer_gl0_inv
	s_mov_b32 s6, exec_lo
	s_clause 0x3
	buffer_load_dword v3, v6, s[0:3], 0 offen
	buffer_load_dword v4, v6, s[0:3], 0 offen offset:4
	buffer_load_dword v5, v6, s[0:3], 0 offen offset:8
	;; [unrolled: 1-line block ×3, first 2 shown]
	s_waitcnt vmcnt(0)
	ds_write_b128 v33, v[3:6]
	s_waitcnt lgkmcnt(0)
	s_barrier
	buffer_gl0_inv
	v_cmpx_gt_u32_e32 10, v0
	s_cbranch_execz .LBB76_55
; %bb.52:
	v_mov_b32_e32 v3, 0
	v_mov_b32_e32 v5, 0
	v_add_nc_u32_e32 v35, -1, v0
	v_add_nc_u32_e32 v36, 0xd0, v39
	v_mov_b32_e32 v4, 0
	v_mov_b32_e32 v6, 0
	;; [unrolled: 1-line block ×3, first 2 shown]
	s_mov_b32 s7, 0
	.p2align	6
.LBB76_53:                              ; =>This Inner Loop Header: Depth=1
	s_clause 0x3
	buffer_load_dword v44, v37, s[0:3], 0 offen offset:8
	buffer_load_dword v45, v37, s[0:3], 0 offen offset:12
	buffer_load_dword v46, v37, s[0:3], 0 offen
	buffer_load_dword v47, v37, s[0:3], 0 offen offset:4
	ds_read_b128 v[40:43], v36
	v_add_nc_u32_e32 v35, 1, v35
	v_add_nc_u32_e32 v36, 16, v36
	;; [unrolled: 1-line block ×3, first 2 shown]
	v_cmp_lt_u32_e32 vcc_lo, 8, v35
	s_or_b32 s7, vcc_lo, s7
	s_waitcnt vmcnt(2) lgkmcnt(0)
	v_mul_f64 v[48:49], v[42:43], v[44:45]
	v_mul_f64 v[44:45], v[40:41], v[44:45]
	s_waitcnt vmcnt(0)
	v_fma_f64 v[40:41], v[40:41], v[46:47], -v[48:49]
	v_fma_f64 v[42:43], v[42:43], v[46:47], v[44:45]
	v_add_f64 v[5:6], v[5:6], v[40:41]
	v_add_f64 v[3:4], v[3:4], v[42:43]
	s_andn2_b32 exec_lo, exec_lo, s7
	s_cbranch_execnz .LBB76_53
; %bb.54:
	s_or_b32 exec_lo, exec_lo, s7
	v_mov_b32_e32 v35, 0
	ds_read_b128 v[35:38], v35 offset:160
	s_waitcnt lgkmcnt(0)
	v_mul_f64 v[40:41], v[3:4], v[37:38]
	v_mul_f64 v[37:38], v[5:6], v[37:38]
	v_fma_f64 v[5:6], v[5:6], v[35:36], -v[40:41]
	v_fma_f64 v[3:4], v[3:4], v[35:36], v[37:38]
	buffer_store_dword v6, off, s[0:3], 0 offset:164
	buffer_store_dword v5, off, s[0:3], 0 offset:160
	;; [unrolled: 1-line block ×4, first 2 shown]
.LBB76_55:
	s_or_b32 exec_lo, exec_lo, s6
	v_mov_b32_e32 v6, s13
	s_waitcnt_vscnt null, 0x0
	s_barrier
	buffer_gl0_inv
	s_mov_b32 s6, exec_lo
	s_clause 0x3
	buffer_load_dword v3, v6, s[0:3], 0 offen
	buffer_load_dword v4, v6, s[0:3], 0 offen offset:4
	buffer_load_dword v5, v6, s[0:3], 0 offen offset:8
	;; [unrolled: 1-line block ×3, first 2 shown]
	s_waitcnt vmcnt(0)
	ds_write_b128 v33, v[3:6]
	s_waitcnt lgkmcnt(0)
	s_barrier
	buffer_gl0_inv
	v_cmpx_gt_u32_e32 11, v0
	s_cbranch_execz .LBB76_59
; %bb.56:
	v_mov_b32_e32 v3, 0
	v_mov_b32_e32 v5, 0
	v_add_nc_u32_e32 v35, -1, v0
	v_add_nc_u32_e32 v36, 0xd0, v39
	v_mov_b32_e32 v4, 0
	v_mov_b32_e32 v6, 0
	;; [unrolled: 1-line block ×3, first 2 shown]
	s_mov_b32 s7, 0
	.p2align	6
.LBB76_57:                              ; =>This Inner Loop Header: Depth=1
	s_clause 0x3
	buffer_load_dword v44, v37, s[0:3], 0 offen offset:8
	buffer_load_dword v45, v37, s[0:3], 0 offen offset:12
	buffer_load_dword v46, v37, s[0:3], 0 offen
	buffer_load_dword v47, v37, s[0:3], 0 offen offset:4
	ds_read_b128 v[40:43], v36
	v_add_nc_u32_e32 v35, 1, v35
	v_add_nc_u32_e32 v36, 16, v36
	;; [unrolled: 1-line block ×3, first 2 shown]
	v_cmp_lt_u32_e32 vcc_lo, 9, v35
	s_or_b32 s7, vcc_lo, s7
	s_waitcnt vmcnt(2) lgkmcnt(0)
	v_mul_f64 v[48:49], v[42:43], v[44:45]
	v_mul_f64 v[44:45], v[40:41], v[44:45]
	s_waitcnt vmcnt(0)
	v_fma_f64 v[40:41], v[40:41], v[46:47], -v[48:49]
	v_fma_f64 v[42:43], v[42:43], v[46:47], v[44:45]
	v_add_f64 v[5:6], v[5:6], v[40:41]
	v_add_f64 v[3:4], v[3:4], v[42:43]
	s_andn2_b32 exec_lo, exec_lo, s7
	s_cbranch_execnz .LBB76_57
; %bb.58:
	s_or_b32 exec_lo, exec_lo, s7
	v_mov_b32_e32 v35, 0
	ds_read_b128 v[35:38], v35 offset:176
	s_waitcnt lgkmcnt(0)
	v_mul_f64 v[40:41], v[3:4], v[37:38]
	v_mul_f64 v[37:38], v[5:6], v[37:38]
	v_fma_f64 v[5:6], v[5:6], v[35:36], -v[40:41]
	v_fma_f64 v[3:4], v[3:4], v[35:36], v[37:38]
	buffer_store_dword v6, off, s[0:3], 0 offset:180
	buffer_store_dword v5, off, s[0:3], 0 offset:176
	buffer_store_dword v4, off, s[0:3], 0 offset:188
	buffer_store_dword v3, off, s[0:3], 0 offset:184
.LBB76_59:
	s_or_b32 exec_lo, exec_lo, s6
	v_mov_b32_e32 v6, s12
	s_waitcnt_vscnt null, 0x0
	s_barrier
	buffer_gl0_inv
	s_mov_b32 s6, exec_lo
	s_clause 0x3
	buffer_load_dword v3, v6, s[0:3], 0 offen
	buffer_load_dword v4, v6, s[0:3], 0 offen offset:4
	buffer_load_dword v5, v6, s[0:3], 0 offen offset:8
	;; [unrolled: 1-line block ×3, first 2 shown]
	s_waitcnt vmcnt(0)
	ds_write_b128 v33, v[3:6]
	s_waitcnt lgkmcnt(0)
	s_barrier
	buffer_gl0_inv
	v_cmpx_ne_u32_e32 12, v0
	s_cbranch_execz .LBB76_63
; %bb.60:
	v_mov_b32_e32 v3, 0
	v_mov_b32_e32 v5, 0
	;; [unrolled: 1-line block ×5, first 2 shown]
	s_mov_b32 s7, 0
	.p2align	6
.LBB76_61:                              ; =>This Inner Loop Header: Depth=1
	s_clause 0x3
	buffer_load_dword v40, v35, s[0:3], 0 offen offset:8
	buffer_load_dword v41, v35, s[0:3], 0 offen offset:12
	buffer_load_dword v42, v35, s[0:3], 0 offen
	buffer_load_dword v43, v35, s[0:3], 0 offen offset:4
	ds_read_b128 v[36:39], v33
	v_add_nc_u32_e32 v34, 1, v34
	v_add_nc_u32_e32 v33, 16, v33
	;; [unrolled: 1-line block ×3, first 2 shown]
	v_cmp_lt_u32_e32 vcc_lo, 10, v34
	s_or_b32 s7, vcc_lo, s7
	s_waitcnt vmcnt(2) lgkmcnt(0)
	v_mul_f64 v[44:45], v[38:39], v[40:41]
	v_mul_f64 v[40:41], v[36:37], v[40:41]
	s_waitcnt vmcnt(0)
	v_fma_f64 v[36:37], v[36:37], v[42:43], -v[44:45]
	v_fma_f64 v[38:39], v[38:39], v[42:43], v[40:41]
	v_add_f64 v[5:6], v[5:6], v[36:37]
	v_add_f64 v[3:4], v[3:4], v[38:39]
	s_andn2_b32 exec_lo, exec_lo, s7
	s_cbranch_execnz .LBB76_61
; %bb.62:
	s_or_b32 exec_lo, exec_lo, s7
	v_mov_b32_e32 v33, 0
	ds_read_b128 v[33:36], v33 offset:192
	s_waitcnt lgkmcnt(0)
	v_mul_f64 v[37:38], v[3:4], v[35:36]
	v_mul_f64 v[35:36], v[5:6], v[35:36]
	v_fma_f64 v[5:6], v[5:6], v[33:34], -v[37:38]
	v_fma_f64 v[3:4], v[3:4], v[33:34], v[35:36]
	buffer_store_dword v6, off, s[0:3], 0 offset:196
	buffer_store_dword v5, off, s[0:3], 0 offset:192
	buffer_store_dword v4, off, s[0:3], 0 offset:204
	buffer_store_dword v3, off, s[0:3], 0 offset:200
.LBB76_63:
	s_or_b32 exec_lo, exec_lo, s6
	s_mov_b32 s7, -1
	s_waitcnt_vscnt null, 0x0
	s_barrier
	buffer_gl0_inv
.LBB76_64:
	s_and_b32 vcc_lo, exec_lo, s7
	s_cbranch_vccz .LBB76_66
; %bb.65:
	s_lshl_b64 s[6:7], s[8:9], 2
	v_mov_b32_e32 v3, 0
	s_add_u32 s6, s14, s6
	s_addc_u32 s7, s15, s7
	global_load_dword v3, v3, s[6:7]
	s_waitcnt vmcnt(0)
	v_cmp_ne_u32_e32 vcc_lo, 0, v3
	s_cbranch_vccz .LBB76_67
.LBB76_66:
	s_endpgm
.LBB76_67:
	v_lshl_add_u32 v3, v0, 4, 0xd0
	s_mov_b32 s6, exec_lo
	v_cmpx_eq_u32_e32 12, v0
	s_cbranch_execz .LBB76_69
; %bb.68:
	v_mov_b32_e32 v4, s13
	s_clause 0x3
	buffer_load_dword v33, v4, s[0:3], 0 offen
	buffer_load_dword v34, v4, s[0:3], 0 offen offset:4
	buffer_load_dword v35, v4, s[0:3], 0 offen offset:8
	;; [unrolled: 1-line block ×3, first 2 shown]
	v_mov_b32_e32 v4, 0
	buffer_store_dword v4, off, s[0:3], 0 offset:176
	buffer_store_dword v4, off, s[0:3], 0 offset:180
	;; [unrolled: 1-line block ×4, first 2 shown]
	s_waitcnt vmcnt(0)
	ds_write_b128 v3, v[33:36]
.LBB76_69:
	s_or_b32 exec_lo, exec_lo, s6
	s_waitcnt lgkmcnt(0)
	s_waitcnt_vscnt null, 0x0
	s_barrier
	buffer_gl0_inv
	s_clause 0x7
	buffer_load_dword v5, off, s[0:3], 0 offset:200
	buffer_load_dword v6, off, s[0:3], 0 offset:204
	;; [unrolled: 1-line block ×8, first 2 shown]
	v_mov_b32_e32 v4, 0
	s_mov_b32 s6, exec_lo
	ds_read_b128 v[33:36], v4 offset:400
	s_waitcnt vmcnt(6) lgkmcnt(0)
	v_mul_f64 v[43:44], v[35:36], v[5:6]
	v_mul_f64 v[5:6], v[33:34], v[5:6]
	s_waitcnt vmcnt(4)
	v_fma_f64 v[33:34], v[33:34], v[37:38], -v[43:44]
	v_fma_f64 v[5:6], v[35:36], v[37:38], v[5:6]
	v_add_f64 v[33:34], v[33:34], 0
	v_add_f64 v[5:6], v[5:6], 0
	s_waitcnt vmcnt(2)
	v_add_f64 v[33:34], v[39:40], -v[33:34]
	s_waitcnt vmcnt(0)
	v_add_f64 v[5:6], v[41:42], -v[5:6]
	buffer_store_dword v33, off, s[0:3], 0 offset:176
	buffer_store_dword v34, off, s[0:3], 0 offset:180
	;; [unrolled: 1-line block ×4, first 2 shown]
	v_cmpx_lt_u32_e32 10, v0
	s_cbranch_execz .LBB76_71
; %bb.70:
	v_mov_b32_e32 v5, s16
	s_clause 0x3
	buffer_load_dword v33, v5, s[0:3], 0 offen
	buffer_load_dword v34, v5, s[0:3], 0 offen offset:4
	buffer_load_dword v35, v5, s[0:3], 0 offen offset:8
	;; [unrolled: 1-line block ×3, first 2 shown]
	buffer_store_dword v4, off, s[0:3], 0 offset:160
	buffer_store_dword v4, off, s[0:3], 0 offset:164
	;; [unrolled: 1-line block ×4, first 2 shown]
	s_waitcnt vmcnt(0)
	ds_write_b128 v3, v[33:36]
.LBB76_71:
	s_or_b32 exec_lo, exec_lo, s6
	s_waitcnt lgkmcnt(0)
	s_waitcnt_vscnt null, 0x0
	s_barrier
	buffer_gl0_inv
	s_clause 0xb
	buffer_load_dword v5, off, s[0:3], 0 offset:184
	buffer_load_dword v6, off, s[0:3], 0 offset:188
	buffer_load_dword v41, off, s[0:3], 0 offset:200
	buffer_load_dword v42, off, s[0:3], 0 offset:204
	buffer_load_dword v43, off, s[0:3], 0 offset:176
	buffer_load_dword v44, off, s[0:3], 0 offset:180
	buffer_load_dword v45, off, s[0:3], 0 offset:192
	buffer_load_dword v46, off, s[0:3], 0 offset:196
	buffer_load_dword v47, off, s[0:3], 0 offset:160
	buffer_load_dword v48, off, s[0:3], 0 offset:164
	buffer_load_dword v49, off, s[0:3], 0 offset:168
	buffer_load_dword v50, off, s[0:3], 0 offset:172
	ds_read_b128 v[33:36], v4 offset:384
	ds_read_b128 v[37:40], v4 offset:400
	s_mov_b32 s6, exec_lo
	s_waitcnt vmcnt(10) lgkmcnt(1)
	v_mul_f64 v[51:52], v[35:36], v[5:6]
	v_mul_f64 v[4:5], v[33:34], v[5:6]
	s_waitcnt vmcnt(8) lgkmcnt(0)
	v_mul_f64 v[53:54], v[39:40], v[41:42]
	v_mul_f64 v[41:42], v[37:38], v[41:42]
	s_waitcnt vmcnt(6)
	v_fma_f64 v[33:34], v[33:34], v[43:44], -v[51:52]
	v_fma_f64 v[4:5], v[35:36], v[43:44], v[4:5]
	s_waitcnt vmcnt(4)
	v_fma_f64 v[35:36], v[37:38], v[45:46], -v[53:54]
	v_fma_f64 v[37:38], v[39:40], v[45:46], v[41:42]
	v_add_f64 v[33:34], v[33:34], 0
	v_add_f64 v[4:5], v[4:5], 0
	v_add_f64 v[33:34], v[33:34], v[35:36]
	v_add_f64 v[4:5], v[4:5], v[37:38]
	s_waitcnt vmcnt(2)
	v_add_f64 v[33:34], v[47:48], -v[33:34]
	s_waitcnt vmcnt(0)
	v_add_f64 v[4:5], v[49:50], -v[4:5]
	buffer_store_dword v33, off, s[0:3], 0 offset:160
	buffer_store_dword v34, off, s[0:3], 0 offset:164
	;; [unrolled: 1-line block ×4, first 2 shown]
	v_cmpx_lt_u32_e32 9, v0
	s_cbranch_execz .LBB76_73
; %bb.72:
	v_mov_b32_e32 v4, s17
	s_clause 0x3
	buffer_load_dword v33, v4, s[0:3], 0 offen
	buffer_load_dword v34, v4, s[0:3], 0 offen offset:4
	buffer_load_dword v35, v4, s[0:3], 0 offen offset:8
	;; [unrolled: 1-line block ×3, first 2 shown]
	v_mov_b32_e32 v4, 0
	buffer_store_dword v4, off, s[0:3], 0 offset:144
	buffer_store_dword v4, off, s[0:3], 0 offset:148
	;; [unrolled: 1-line block ×4, first 2 shown]
	s_waitcnt vmcnt(0)
	ds_write_b128 v3, v[33:36]
.LBB76_73:
	s_or_b32 exec_lo, exec_lo, s6
	s_waitcnt lgkmcnt(0)
	s_waitcnt_vscnt null, 0x0
	s_barrier
	buffer_gl0_inv
	s_clause 0xf
	buffer_load_dword v5, off, s[0:3], 0 offset:168
	buffer_load_dword v6, off, s[0:3], 0 offset:172
	;; [unrolled: 1-line block ×16, first 2 shown]
	v_mov_b32_e32 v4, 0
	ds_read_b128 v[33:36], v4 offset:368
	ds_read_b128 v[37:40], v4 offset:384
	ds_read_b128 v[41:44], v4 offset:400
	s_mov_b32 s6, exec_lo
	s_waitcnt vmcnt(14) lgkmcnt(2)
	v_mul_f64 v[59:60], v[35:36], v[5:6]
	v_mul_f64 v[5:6], v[33:34], v[5:6]
	s_waitcnt vmcnt(12) lgkmcnt(1)
	v_mul_f64 v[61:62], v[39:40], v[45:46]
	v_mul_f64 v[45:46], v[37:38], v[45:46]
	s_waitcnt vmcnt(10)
	v_fma_f64 v[33:34], v[33:34], v[47:48], -v[59:60]
	v_fma_f64 v[5:6], v[35:36], v[47:48], v[5:6]
	s_waitcnt vmcnt(8) lgkmcnt(0)
	v_mul_f64 v[47:48], v[43:44], v[49:50]
	s_waitcnt vmcnt(6)
	v_fma_f64 v[37:38], v[37:38], v[51:52], -v[61:62]
	v_mul_f64 v[35:36], v[41:42], v[49:50]
	v_fma_f64 v[39:40], v[39:40], v[51:52], v[45:46]
	v_add_f64 v[33:34], v[33:34], 0
	v_add_f64 v[5:6], v[5:6], 0
	s_waitcnt vmcnt(4)
	v_fma_f64 v[41:42], v[41:42], v[53:54], -v[47:48]
	v_fma_f64 v[35:36], v[43:44], v[53:54], v[35:36]
	v_add_f64 v[33:34], v[33:34], v[37:38]
	v_add_f64 v[5:6], v[5:6], v[39:40]
	;; [unrolled: 1-line block ×4, first 2 shown]
	s_waitcnt vmcnt(2)
	v_add_f64 v[33:34], v[55:56], -v[33:34]
	s_waitcnt vmcnt(0)
	v_add_f64 v[5:6], v[57:58], -v[5:6]
	buffer_store_dword v33, off, s[0:3], 0 offset:144
	buffer_store_dword v34, off, s[0:3], 0 offset:148
	;; [unrolled: 1-line block ×4, first 2 shown]
	v_cmpx_lt_u32_e32 8, v0
	s_cbranch_execz .LBB76_75
; %bb.74:
	v_mov_b32_e32 v5, s18
	s_clause 0x3
	buffer_load_dword v33, v5, s[0:3], 0 offen
	buffer_load_dword v34, v5, s[0:3], 0 offen offset:4
	buffer_load_dword v35, v5, s[0:3], 0 offen offset:8
	;; [unrolled: 1-line block ×3, first 2 shown]
	buffer_store_dword v4, off, s[0:3], 0 offset:128
	buffer_store_dword v4, off, s[0:3], 0 offset:132
	;; [unrolled: 1-line block ×4, first 2 shown]
	s_waitcnt vmcnt(0)
	ds_write_b128 v3, v[33:36]
.LBB76_75:
	s_or_b32 exec_lo, exec_lo, s6
	s_waitcnt lgkmcnt(0)
	s_waitcnt_vscnt null, 0x0
	s_barrier
	buffer_gl0_inv
	s_clause 0x13
	buffer_load_dword v5, off, s[0:3], 0 offset:152
	buffer_load_dword v6, off, s[0:3], 0 offset:156
	;; [unrolled: 1-line block ×20, first 2 shown]
	ds_read_b128 v[33:36], v4 offset:352
	ds_read_b128 v[37:40], v4 offset:368
	;; [unrolled: 1-line block ×3, first 2 shown]
	s_mov_b32 s6, exec_lo
	s_waitcnt vmcnt(18) lgkmcnt(2)
	v_mul_f64 v[63:64], v[35:36], v[5:6]
	v_mul_f64 v[5:6], v[33:34], v[5:6]
	s_waitcnt vmcnt(16) lgkmcnt(1)
	v_mul_f64 v[65:66], v[39:40], v[45:46]
	v_mul_f64 v[45:46], v[37:38], v[45:46]
	s_waitcnt vmcnt(14)
	v_fma_f64 v[63:64], v[33:34], v[47:48], -v[63:64]
	v_fma_f64 v[5:6], v[35:36], v[47:48], v[5:6]
	ds_read_b128 v[33:36], v4 offset:400
	s_waitcnt vmcnt(12) lgkmcnt(1)
	v_mul_f64 v[47:48], v[41:42], v[49:50]
	v_mul_f64 v[49:50], v[43:44], v[49:50]
	s_waitcnt vmcnt(10)
	v_fma_f64 v[37:38], v[37:38], v[51:52], -v[65:66]
	v_fma_f64 v[39:40], v[39:40], v[51:52], v[45:46]
	s_waitcnt vmcnt(8) lgkmcnt(0)
	v_mul_f64 v[51:52], v[35:36], v[53:54]
	v_add_f64 v[63:64], v[63:64], 0
	v_add_f64 v[4:5], v[5:6], 0
	v_mul_f64 v[45:46], v[33:34], v[53:54]
	s_waitcnt vmcnt(6)
	v_fma_f64 v[41:42], v[41:42], v[55:56], -v[49:50]
	v_fma_f64 v[43:44], v[43:44], v[55:56], v[47:48]
	s_waitcnt vmcnt(4)
	v_fma_f64 v[33:34], v[33:34], v[57:58], -v[51:52]
	v_add_f64 v[37:38], v[63:64], v[37:38]
	v_add_f64 v[4:5], v[4:5], v[39:40]
	v_fma_f64 v[35:36], v[35:36], v[57:58], v[45:46]
	v_add_f64 v[37:38], v[37:38], v[41:42]
	v_add_f64 v[4:5], v[4:5], v[43:44]
	;; [unrolled: 1-line block ×4, first 2 shown]
	s_waitcnt vmcnt(2)
	v_add_f64 v[33:34], v[59:60], -v[33:34]
	s_waitcnt vmcnt(0)
	v_add_f64 v[4:5], v[61:62], -v[4:5]
	buffer_store_dword v33, off, s[0:3], 0 offset:128
	buffer_store_dword v34, off, s[0:3], 0 offset:132
	;; [unrolled: 1-line block ×4, first 2 shown]
	v_cmpx_lt_u32_e32 7, v0
	s_cbranch_execz .LBB76_77
; %bb.76:
	v_mov_b32_e32 v4, s19
	s_clause 0x3
	buffer_load_dword v33, v4, s[0:3], 0 offen
	buffer_load_dword v34, v4, s[0:3], 0 offen offset:4
	buffer_load_dword v35, v4, s[0:3], 0 offen offset:8
	;; [unrolled: 1-line block ×3, first 2 shown]
	v_mov_b32_e32 v4, 0
	buffer_store_dword v4, off, s[0:3], 0 offset:112
	buffer_store_dword v4, off, s[0:3], 0 offset:116
	;; [unrolled: 1-line block ×4, first 2 shown]
	s_waitcnt vmcnt(0)
	ds_write_b128 v3, v[33:36]
.LBB76_77:
	s_or_b32 exec_lo, exec_lo, s6
	s_waitcnt lgkmcnt(0)
	s_waitcnt_vscnt null, 0x0
	s_barrier
	buffer_gl0_inv
	s_clause 0x17
	buffer_load_dword v5, off, s[0:3], 0 offset:136
	buffer_load_dword v6, off, s[0:3], 0 offset:140
	;; [unrolled: 1-line block ×24, first 2 shown]
	v_mov_b32_e32 v4, 0
	ds_read_b128 v[33:36], v4 offset:336
	ds_read_b128 v[37:40], v4 offset:352
	;; [unrolled: 1-line block ×3, first 2 shown]
	s_mov_b32 s6, exec_lo
	s_waitcnt vmcnt(22) lgkmcnt(2)
	v_mul_f64 v[67:68], v[35:36], v[5:6]
	v_mul_f64 v[5:6], v[33:34], v[5:6]
	s_waitcnt vmcnt(20) lgkmcnt(1)
	v_mul_f64 v[69:70], v[39:40], v[45:46]
	v_mul_f64 v[45:46], v[37:38], v[45:46]
	s_waitcnt vmcnt(18)
	v_fma_f64 v[67:68], v[33:34], v[47:48], -v[67:68]
	v_fma_f64 v[5:6], v[35:36], v[47:48], v[5:6]
	ds_read_b128 v[33:36], v4 offset:384
	s_waitcnt vmcnt(16) lgkmcnt(1)
	v_mul_f64 v[47:48], v[41:42], v[49:50]
	v_mul_f64 v[49:50], v[43:44], v[49:50]
	s_waitcnt vmcnt(14)
	v_fma_f64 v[69:70], v[37:38], v[51:52], -v[69:70]
	v_fma_f64 v[45:46], v[39:40], v[51:52], v[45:46]
	ds_read_b128 v[37:40], v4 offset:400
	s_waitcnt vmcnt(10) lgkmcnt(1)
	v_mul_f64 v[51:52], v[33:34], v[53:54]
	v_add_f64 v[67:68], v[67:68], 0
	v_add_f64 v[5:6], v[5:6], 0
	v_mul_f64 v[53:54], v[35:36], v[53:54]
	s_waitcnt vmcnt(8)
	v_fma_f64 v[41:42], v[41:42], v[59:60], -v[49:50]
	v_fma_f64 v[43:44], v[43:44], v[59:60], v[47:48]
	s_waitcnt vmcnt(7) lgkmcnt(0)
	v_mul_f64 v[47:48], v[39:40], v[55:56]
	s_waitcnt vmcnt(5)
	v_fma_f64 v[35:36], v[35:36], v[61:62], v[51:52]
	v_add_f64 v[49:50], v[67:68], v[69:70]
	v_add_f64 v[5:6], v[5:6], v[45:46]
	v_fma_f64 v[33:34], v[33:34], v[61:62], -v[53:54]
	v_mul_f64 v[45:46], v[37:38], v[55:56]
	s_waitcnt vmcnt(4)
	v_fma_f64 v[37:38], v[37:38], v[57:58], -v[47:48]
	v_add_f64 v[41:42], v[49:50], v[41:42]
	v_add_f64 v[5:6], v[5:6], v[43:44]
	v_fma_f64 v[39:40], v[39:40], v[57:58], v[45:46]
	v_add_f64 v[33:34], v[41:42], v[33:34]
	v_add_f64 v[5:6], v[5:6], v[35:36]
	;; [unrolled: 1-line block ×4, first 2 shown]
	s_waitcnt vmcnt(2)
	v_add_f64 v[33:34], v[63:64], -v[33:34]
	s_waitcnt vmcnt(0)
	v_add_f64 v[5:6], v[65:66], -v[5:6]
	buffer_store_dword v34, off, s[0:3], 0 offset:116
	buffer_store_dword v33, off, s[0:3], 0 offset:112
	;; [unrolled: 1-line block ×4, first 2 shown]
	v_cmpx_lt_u32_e32 6, v0
	s_cbranch_execz .LBB76_79
; %bb.78:
	v_mov_b32_e32 v5, s20
	s_clause 0x3
	buffer_load_dword v33, v5, s[0:3], 0 offen
	buffer_load_dword v34, v5, s[0:3], 0 offen offset:4
	buffer_load_dword v35, v5, s[0:3], 0 offen offset:8
	;; [unrolled: 1-line block ×3, first 2 shown]
	buffer_store_dword v4, off, s[0:3], 0 offset:96
	buffer_store_dword v4, off, s[0:3], 0 offset:100
	;; [unrolled: 1-line block ×4, first 2 shown]
	s_waitcnt vmcnt(0)
	ds_write_b128 v3, v[33:36]
.LBB76_79:
	s_or_b32 exec_lo, exec_lo, s6
	s_waitcnt lgkmcnt(0)
	s_waitcnt_vscnt null, 0x0
	s_barrier
	buffer_gl0_inv
	s_clause 0x1b
	buffer_load_dword v5, off, s[0:3], 0 offset:120
	buffer_load_dword v6, off, s[0:3], 0 offset:124
	;; [unrolled: 1-line block ×28, first 2 shown]
	ds_read_b128 v[33:36], v4 offset:320
	ds_read_b128 v[37:40], v4 offset:336
	;; [unrolled: 1-line block ×3, first 2 shown]
	s_mov_b32 s6, exec_lo
	s_waitcnt vmcnt(26) lgkmcnt(2)
	v_mul_f64 v[71:72], v[35:36], v[5:6]
	v_mul_f64 v[5:6], v[33:34], v[5:6]
	s_waitcnt vmcnt(24) lgkmcnt(1)
	v_mul_f64 v[73:74], v[39:40], v[45:46]
	v_mul_f64 v[45:46], v[37:38], v[45:46]
	s_waitcnt vmcnt(22)
	v_fma_f64 v[71:72], v[33:34], v[47:48], -v[71:72]
	v_fma_f64 v[5:6], v[35:36], v[47:48], v[5:6]
	ds_read_b128 v[33:36], v4 offset:368
	s_waitcnt vmcnt(20) lgkmcnt(1)
	v_mul_f64 v[47:48], v[41:42], v[49:50]
	v_mul_f64 v[49:50], v[43:44], v[49:50]
	s_waitcnt vmcnt(18)
	v_fma_f64 v[73:74], v[37:38], v[51:52], -v[73:74]
	v_fma_f64 v[45:46], v[39:40], v[51:52], v[45:46]
	ds_read_b128 v[37:40], v4 offset:384
	s_waitcnt vmcnt(14) lgkmcnt(1)
	v_mul_f64 v[51:52], v[33:34], v[53:54]
	v_add_f64 v[71:72], v[71:72], 0
	v_add_f64 v[5:6], v[5:6], 0
	v_mul_f64 v[53:54], v[35:36], v[53:54]
	s_waitcnt vmcnt(12)
	v_fma_f64 v[49:50], v[41:42], v[59:60], -v[49:50]
	v_fma_f64 v[47:48], v[43:44], v[59:60], v[47:48]
	ds_read_b128 v[41:44], v4 offset:400
	s_waitcnt vmcnt(9)
	v_fma_f64 v[35:36], v[35:36], v[61:62], v[51:52]
	v_add_f64 v[71:72], v[71:72], v[73:74]
	v_add_f64 v[5:6], v[5:6], v[45:46]
	s_waitcnt lgkmcnt(1)
	v_mul_f64 v[45:46], v[37:38], v[55:56]
	v_mul_f64 v[55:56], v[39:40], v[55:56]
	v_fma_f64 v[33:34], v[33:34], v[61:62], -v[53:54]
	s_waitcnt vmcnt(7) lgkmcnt(0)
	v_mul_f64 v[51:52], v[43:44], v[63:64]
	v_add_f64 v[49:50], v[71:72], v[49:50]
	v_add_f64 v[4:5], v[5:6], v[47:48]
	v_mul_f64 v[47:48], v[41:42], v[63:64]
	s_waitcnt vmcnt(6)
	v_fma_f64 v[37:38], v[37:38], v[57:58], -v[55:56]
	v_fma_f64 v[39:40], v[39:40], v[57:58], v[45:46]
	v_add_f64 v[33:34], v[49:50], v[33:34]
	v_add_f64 v[4:5], v[4:5], v[35:36]
	s_waitcnt vmcnt(4)
	v_fma_f64 v[35:36], v[41:42], v[65:66], -v[51:52]
	v_add_f64 v[33:34], v[33:34], v[37:38]
	v_fma_f64 v[37:38], v[43:44], v[65:66], v[47:48]
	v_add_f64 v[4:5], v[4:5], v[39:40]
	v_add_f64 v[33:34], v[33:34], v[35:36]
	;; [unrolled: 1-line block ×3, first 2 shown]
	s_waitcnt vmcnt(2)
	v_add_f64 v[33:34], v[67:68], -v[33:34]
	s_waitcnt vmcnt(0)
	v_add_f64 v[4:5], v[69:70], -v[4:5]
	buffer_store_dword v34, off, s[0:3], 0 offset:100
	buffer_store_dword v33, off, s[0:3], 0 offset:96
	;; [unrolled: 1-line block ×4, first 2 shown]
	v_cmpx_lt_u32_e32 5, v0
	s_cbranch_execz .LBB76_81
; %bb.80:
	v_mov_b32_e32 v4, s21
	s_clause 0x3
	buffer_load_dword v33, v4, s[0:3], 0 offen
	buffer_load_dword v34, v4, s[0:3], 0 offen offset:4
	buffer_load_dword v35, v4, s[0:3], 0 offen offset:8
	;; [unrolled: 1-line block ×3, first 2 shown]
	v_mov_b32_e32 v4, 0
	buffer_store_dword v4, off, s[0:3], 0 offset:80
	buffer_store_dword v4, off, s[0:3], 0 offset:84
	buffer_store_dword v4, off, s[0:3], 0 offset:88
	buffer_store_dword v4, off, s[0:3], 0 offset:92
	s_waitcnt vmcnt(0)
	ds_write_b128 v3, v[33:36]
.LBB76_81:
	s_or_b32 exec_lo, exec_lo, s6
	s_waitcnt lgkmcnt(0)
	s_waitcnt_vscnt null, 0x0
	s_barrier
	buffer_gl0_inv
	s_clause 0x1f
	buffer_load_dword v5, off, s[0:3], 0 offset:104
	buffer_load_dword v6, off, s[0:3], 0 offset:108
	;; [unrolled: 1-line block ×32, first 2 shown]
	v_mov_b32_e32 v4, 0
	ds_read_b128 v[33:36], v4 offset:304
	ds_read_b128 v[37:40], v4 offset:320
	ds_read_b128 v[41:44], v4 offset:336
	s_mov_b32 s6, exec_lo
	s_waitcnt vmcnt(30) lgkmcnt(2)
	v_mul_f64 v[75:76], v[35:36], v[5:6]
	v_mul_f64 v[5:6], v[33:34], v[5:6]
	s_waitcnt vmcnt(28) lgkmcnt(1)
	v_mul_f64 v[77:78], v[39:40], v[45:46]
	v_mul_f64 v[45:46], v[37:38], v[45:46]
	s_waitcnt vmcnt(26)
	v_fma_f64 v[75:76], v[33:34], v[47:48], -v[75:76]
	v_fma_f64 v[5:6], v[35:36], v[47:48], v[5:6]
	ds_read_b128 v[33:36], v4 offset:352
	s_waitcnt vmcnt(24) lgkmcnt(1)
	v_mul_f64 v[47:48], v[41:42], v[49:50]
	v_mul_f64 v[49:50], v[43:44], v[49:50]
	s_waitcnt vmcnt(22)
	v_fma_f64 v[77:78], v[37:38], v[51:52], -v[77:78]
	v_fma_f64 v[45:46], v[39:40], v[51:52], v[45:46]
	ds_read_b128 v[37:40], v4 offset:368
	s_waitcnt vmcnt(18) lgkmcnt(1)
	v_mul_f64 v[51:52], v[33:34], v[53:54]
	v_add_f64 v[75:76], v[75:76], 0
	v_add_f64 v[5:6], v[5:6], 0
	v_mul_f64 v[53:54], v[35:36], v[53:54]
	s_waitcnt vmcnt(16)
	v_fma_f64 v[49:50], v[41:42], v[59:60], -v[49:50]
	v_fma_f64 v[47:48], v[43:44], v[59:60], v[47:48]
	ds_read_b128 v[41:44], v4 offset:384
	s_waitcnt vmcnt(13)
	v_fma_f64 v[51:52], v[35:36], v[61:62], v[51:52]
	v_add_f64 v[75:76], v[75:76], v[77:78]
	v_add_f64 v[5:6], v[5:6], v[45:46]
	s_waitcnt lgkmcnt(1)
	v_mul_f64 v[45:46], v[37:38], v[55:56]
	v_mul_f64 v[55:56], v[39:40], v[55:56]
	v_fma_f64 v[53:54], v[33:34], v[61:62], -v[53:54]
	s_waitcnt vmcnt(9) lgkmcnt(0)
	v_mul_f64 v[59:60], v[43:44], v[63:64]
	ds_read_b128 v[33:36], v4 offset:400
	v_add_f64 v[49:50], v[75:76], v[49:50]
	v_add_f64 v[5:6], v[5:6], v[47:48]
	v_mul_f64 v[47:48], v[41:42], v[63:64]
	s_waitcnt vmcnt(8)
	v_fma_f64 v[37:38], v[37:38], v[57:58], -v[55:56]
	v_fma_f64 v[39:40], v[39:40], v[57:58], v[45:46]
	s_waitcnt vmcnt(5)
	v_fma_f64 v[41:42], v[41:42], v[69:70], -v[59:60]
	s_waitcnt lgkmcnt(0)
	v_mul_f64 v[45:46], v[33:34], v[65:66]
	v_add_f64 v[49:50], v[49:50], v[53:54]
	v_add_f64 v[5:6], v[5:6], v[51:52]
	v_mul_f64 v[51:52], v[35:36], v[65:66]
	v_fma_f64 v[43:44], v[43:44], v[69:70], v[47:48]
	s_waitcnt vmcnt(4)
	v_fma_f64 v[35:36], v[35:36], v[67:68], v[45:46]
	v_add_f64 v[37:38], v[49:50], v[37:38]
	v_add_f64 v[5:6], v[5:6], v[39:40]
	v_fma_f64 v[33:34], v[33:34], v[67:68], -v[51:52]
	v_add_f64 v[37:38], v[37:38], v[41:42]
	v_add_f64 v[5:6], v[5:6], v[43:44]
	;; [unrolled: 1-line block ×4, first 2 shown]
	s_waitcnt vmcnt(2)
	v_add_f64 v[33:34], v[71:72], -v[33:34]
	s_waitcnt vmcnt(0)
	v_add_f64 v[5:6], v[73:74], -v[5:6]
	buffer_store_dword v34, off, s[0:3], 0 offset:84
	buffer_store_dword v33, off, s[0:3], 0 offset:80
	;; [unrolled: 1-line block ×4, first 2 shown]
	v_cmpx_lt_u32_e32 4, v0
	s_cbranch_execz .LBB76_83
; %bb.82:
	v_mov_b32_e32 v5, s22
	s_clause 0x3
	buffer_load_dword v33, v5, s[0:3], 0 offen
	buffer_load_dword v34, v5, s[0:3], 0 offen offset:4
	buffer_load_dword v35, v5, s[0:3], 0 offen offset:8
	buffer_load_dword v36, v5, s[0:3], 0 offen offset:12
	buffer_store_dword v4, off, s[0:3], 0 offset:64
	buffer_store_dword v4, off, s[0:3], 0 offset:68
	;; [unrolled: 1-line block ×4, first 2 shown]
	s_waitcnt vmcnt(0)
	ds_write_b128 v3, v[33:36]
.LBB76_83:
	s_or_b32 exec_lo, exec_lo, s6
	s_waitcnt lgkmcnt(0)
	s_waitcnt_vscnt null, 0x0
	s_barrier
	buffer_gl0_inv
	s_clause 0x23
	buffer_load_dword v5, off, s[0:3], 0 offset:88
	buffer_load_dword v6, off, s[0:3], 0 offset:92
	buffer_load_dword v45, off, s[0:3], 0 offset:104
	buffer_load_dword v46, off, s[0:3], 0 offset:108
	buffer_load_dword v47, off, s[0:3], 0 offset:80
	buffer_load_dword v48, off, s[0:3], 0 offset:84
	buffer_load_dword v49, off, s[0:3], 0 offset:120
	buffer_load_dword v50, off, s[0:3], 0 offset:124
	buffer_load_dword v51, off, s[0:3], 0 offset:96
	buffer_load_dword v52, off, s[0:3], 0 offset:100
	buffer_load_dword v54, off, s[0:3], 0 offset:140
	buffer_load_dword v55, off, s[0:3], 0 offset:152
	buffer_load_dword v57, off, s[0:3], 0 offset:144
	buffer_load_dword v53, off, s[0:3], 0 offset:136
	buffer_load_dword v59, off, s[0:3], 0 offset:112
	buffer_load_dword v60, off, s[0:3], 0 offset:116
	buffer_load_dword v56, off, s[0:3], 0 offset:156
	buffer_load_dword v62, off, s[0:3], 0 offset:132
	buffer_load_dword v61, off, s[0:3], 0 offset:128
	buffer_load_dword v64, off, s[0:3], 0 offset:172
	buffer_load_dword v65, off, s[0:3], 0 offset:184
	buffer_load_dword v67, off, s[0:3], 0 offset:176
	buffer_load_dword v63, off, s[0:3], 0 offset:168
	buffer_load_dword v58, off, s[0:3], 0 offset:148
	buffer_load_dword v66, off, s[0:3], 0 offset:188
	buffer_load_dword v70, off, s[0:3], 0 offset:164
	buffer_load_dword v69, off, s[0:3], 0 offset:160
	buffer_load_dword v72, off, s[0:3], 0 offset:204
	buffer_load_dword v71, off, s[0:3], 0 offset:200
	buffer_load_dword v68, off, s[0:3], 0 offset:180
	buffer_load_dword v74, off, s[0:3], 0 offset:196
	buffer_load_dword v73, off, s[0:3], 0 offset:192
	buffer_load_dword v75, off, s[0:3], 0 offset:64
	buffer_load_dword v76, off, s[0:3], 0 offset:68
	buffer_load_dword v77, off, s[0:3], 0 offset:72
	buffer_load_dword v78, off, s[0:3], 0 offset:76
	ds_read_b128 v[33:36], v4 offset:288
	ds_read_b128 v[37:40], v4 offset:304
	;; [unrolled: 1-line block ×3, first 2 shown]
	s_mov_b32 s6, exec_lo
	s_waitcnt vmcnt(34) lgkmcnt(2)
	v_mul_f64 v[79:80], v[35:36], v[5:6]
	v_mul_f64 v[5:6], v[33:34], v[5:6]
	s_waitcnt vmcnt(32) lgkmcnt(1)
	v_mul_f64 v[81:82], v[39:40], v[45:46]
	v_mul_f64 v[45:46], v[37:38], v[45:46]
	s_waitcnt vmcnt(30)
	v_fma_f64 v[79:80], v[33:34], v[47:48], -v[79:80]
	v_fma_f64 v[5:6], v[35:36], v[47:48], v[5:6]
	ds_read_b128 v[33:36], v4 offset:336
	s_waitcnt vmcnt(28) lgkmcnt(1)
	v_mul_f64 v[47:48], v[41:42], v[49:50]
	v_mul_f64 v[49:50], v[43:44], v[49:50]
	s_waitcnt vmcnt(26)
	v_fma_f64 v[81:82], v[37:38], v[51:52], -v[81:82]
	v_fma_f64 v[45:46], v[39:40], v[51:52], v[45:46]
	ds_read_b128 v[37:40], v4 offset:352
	s_waitcnt vmcnt(22) lgkmcnt(1)
	v_mul_f64 v[51:52], v[33:34], v[53:54]
	v_add_f64 v[79:80], v[79:80], 0
	v_add_f64 v[5:6], v[5:6], 0
	v_mul_f64 v[53:54], v[35:36], v[53:54]
	s_waitcnt vmcnt(20)
	v_fma_f64 v[49:50], v[41:42], v[59:60], -v[49:50]
	v_fma_f64 v[47:48], v[43:44], v[59:60], v[47:48]
	ds_read_b128 v[41:44], v4 offset:368
	s_waitcnt vmcnt(17)
	v_fma_f64 v[51:52], v[35:36], v[61:62], v[51:52]
	v_add_f64 v[79:80], v[79:80], v[81:82]
	v_add_f64 v[5:6], v[5:6], v[45:46]
	s_waitcnt lgkmcnt(1)
	v_mul_f64 v[45:46], v[37:38], v[55:56]
	v_mul_f64 v[55:56], v[39:40], v[55:56]
	v_fma_f64 v[53:54], v[33:34], v[61:62], -v[53:54]
	s_waitcnt vmcnt(13) lgkmcnt(0)
	v_mul_f64 v[59:60], v[43:44], v[63:64]
	ds_read_b128 v[33:36], v4 offset:384
	v_add_f64 v[49:50], v[79:80], v[49:50]
	v_add_f64 v[5:6], v[5:6], v[47:48]
	v_mul_f64 v[47:48], v[41:42], v[63:64]
	s_waitcnt vmcnt(12)
	v_fma_f64 v[55:56], v[37:38], v[57:58], -v[55:56]
	v_fma_f64 v[45:46], v[39:40], v[57:58], v[45:46]
	ds_read_b128 v[37:40], v4 offset:400
	s_waitcnt vmcnt(9)
	v_fma_f64 v[41:42], v[41:42], v[69:70], -v[59:60]
	v_add_f64 v[49:50], v[49:50], v[53:54]
	v_add_f64 v[5:6], v[5:6], v[51:52]
	s_waitcnt lgkmcnt(1)
	v_mul_f64 v[53:54], v[35:36], v[65:66]
	v_mul_f64 v[51:52], v[33:34], v[65:66]
	v_fma_f64 v[43:44], v[43:44], v[69:70], v[47:48]
	s_waitcnt vmcnt(7) lgkmcnt(0)
	v_mul_f64 v[47:48], v[39:40], v[71:72]
	v_add_f64 v[49:50], v[49:50], v[55:56]
	v_add_f64 v[4:5], v[5:6], v[45:46]
	s_waitcnt vmcnt(6)
	v_fma_f64 v[33:34], v[33:34], v[67:68], -v[53:54]
	v_mul_f64 v[45:46], v[37:38], v[71:72]
	v_fma_f64 v[35:36], v[35:36], v[67:68], v[51:52]
	s_waitcnt vmcnt(4)
	v_fma_f64 v[37:38], v[37:38], v[73:74], -v[47:48]
	v_add_f64 v[41:42], v[49:50], v[41:42]
	v_add_f64 v[4:5], v[4:5], v[43:44]
	v_fma_f64 v[39:40], v[39:40], v[73:74], v[45:46]
	v_add_f64 v[33:34], v[41:42], v[33:34]
	v_add_f64 v[4:5], v[4:5], v[35:36]
	;; [unrolled: 1-line block ×4, first 2 shown]
	s_waitcnt vmcnt(2)
	v_add_f64 v[33:34], v[75:76], -v[33:34]
	s_waitcnt vmcnt(0)
	v_add_f64 v[4:5], v[77:78], -v[4:5]
	buffer_store_dword v34, off, s[0:3], 0 offset:68
	buffer_store_dword v33, off, s[0:3], 0 offset:64
	;; [unrolled: 1-line block ×4, first 2 shown]
	v_cmpx_lt_u32_e32 3, v0
	s_cbranch_execz .LBB76_85
; %bb.84:
	v_mov_b32_e32 v4, s23
	s_clause 0x3
	buffer_load_dword v33, v4, s[0:3], 0 offen
	buffer_load_dword v34, v4, s[0:3], 0 offen offset:4
	buffer_load_dword v35, v4, s[0:3], 0 offen offset:8
	;; [unrolled: 1-line block ×3, first 2 shown]
	v_mov_b32_e32 v4, 0
	buffer_store_dword v4, off, s[0:3], 0 offset:48
	buffer_store_dword v4, off, s[0:3], 0 offset:52
	;; [unrolled: 1-line block ×4, first 2 shown]
	s_waitcnt vmcnt(0)
	ds_write_b128 v3, v[33:36]
.LBB76_85:
	s_or_b32 exec_lo, exec_lo, s6
	s_waitcnt lgkmcnt(0)
	s_waitcnt_vscnt null, 0x0
	s_barrier
	buffer_gl0_inv
	s_clause 0x27
	buffer_load_dword v5, off, s[0:3], 0 offset:72
	buffer_load_dword v6, off, s[0:3], 0 offset:76
	;; [unrolled: 1-line block ×40, first 2 shown]
	v_mov_b32_e32 v4, 0
	ds_read_b128 v[33:36], v4 offset:272
	ds_read_b128 v[37:40], v4 offset:288
	;; [unrolled: 1-line block ×3, first 2 shown]
	s_mov_b32 s6, exec_lo
	s_waitcnt vmcnt(38) lgkmcnt(2)
	v_mul_f64 v[83:84], v[35:36], v[5:6]
	v_mul_f64 v[5:6], v[33:34], v[5:6]
	s_waitcnt vmcnt(36) lgkmcnt(1)
	v_mul_f64 v[85:86], v[39:40], v[45:46]
	v_mul_f64 v[45:46], v[37:38], v[45:46]
	s_waitcnt vmcnt(34)
	v_fma_f64 v[83:84], v[33:34], v[47:48], -v[83:84]
	v_fma_f64 v[5:6], v[35:36], v[47:48], v[5:6]
	ds_read_b128 v[33:36], v4 offset:320
	s_waitcnt vmcnt(32) lgkmcnt(1)
	v_mul_f64 v[47:48], v[41:42], v[49:50]
	v_mul_f64 v[49:50], v[43:44], v[49:50]
	s_waitcnt vmcnt(30)
	v_fma_f64 v[85:86], v[37:38], v[51:52], -v[85:86]
	v_fma_f64 v[45:46], v[39:40], v[51:52], v[45:46]
	ds_read_b128 v[37:40], v4 offset:336
	s_waitcnt vmcnt(26) lgkmcnt(1)
	v_mul_f64 v[51:52], v[33:34], v[53:54]
	v_add_f64 v[83:84], v[83:84], 0
	v_add_f64 v[5:6], v[5:6], 0
	v_mul_f64 v[53:54], v[35:36], v[53:54]
	s_waitcnt vmcnt(24)
	v_fma_f64 v[49:50], v[41:42], v[59:60], -v[49:50]
	v_fma_f64 v[47:48], v[43:44], v[59:60], v[47:48]
	ds_read_b128 v[41:44], v4 offset:352
	s_waitcnt vmcnt(21)
	v_fma_f64 v[51:52], v[35:36], v[61:62], v[51:52]
	v_add_f64 v[83:84], v[83:84], v[85:86]
	v_add_f64 v[5:6], v[5:6], v[45:46]
	s_waitcnt lgkmcnt(1)
	v_mul_f64 v[45:46], v[37:38], v[55:56]
	v_mul_f64 v[55:56], v[39:40], v[55:56]
	v_fma_f64 v[53:54], v[33:34], v[61:62], -v[53:54]
	s_waitcnt vmcnt(17) lgkmcnt(0)
	v_mul_f64 v[59:60], v[43:44], v[63:64]
	ds_read_b128 v[33:36], v4 offset:368
	v_add_f64 v[49:50], v[83:84], v[49:50]
	v_add_f64 v[5:6], v[5:6], v[47:48]
	v_mul_f64 v[47:48], v[41:42], v[63:64]
	s_waitcnt vmcnt(16)
	v_fma_f64 v[55:56], v[37:38], v[57:58], -v[55:56]
	v_fma_f64 v[45:46], v[39:40], v[57:58], v[45:46]
	ds_read_b128 v[37:40], v4 offset:384
	s_waitcnt vmcnt(13)
	v_fma_f64 v[57:58], v[41:42], v[69:70], -v[59:60]
	v_add_f64 v[49:50], v[49:50], v[53:54]
	v_add_f64 v[5:6], v[5:6], v[51:52]
	s_waitcnt lgkmcnt(1)
	v_mul_f64 v[53:54], v[35:36], v[65:66]
	v_mul_f64 v[51:52], v[33:34], v[65:66]
	v_fma_f64 v[47:48], v[43:44], v[69:70], v[47:48]
	ds_read_b128 v[41:44], v4 offset:400
	v_add_f64 v[49:50], v[49:50], v[55:56]
	v_add_f64 v[5:6], v[5:6], v[45:46]
	s_waitcnt vmcnt(9) lgkmcnt(1)
	v_mul_f64 v[55:56], v[39:40], v[71:72]
	s_waitcnt vmcnt(8)
	v_fma_f64 v[33:34], v[33:34], v[67:68], -v[53:54]
	v_mul_f64 v[45:46], v[37:38], v[71:72]
	v_fma_f64 v[35:36], v[35:36], v[67:68], v[51:52]
	s_waitcnt vmcnt(7) lgkmcnt(0)
	v_mul_f64 v[51:52], v[43:44], v[73:74]
	v_add_f64 v[49:50], v[49:50], v[57:58]
	v_add_f64 v[5:6], v[5:6], v[47:48]
	s_waitcnt vmcnt(5)
	v_fma_f64 v[37:38], v[37:38], v[77:78], -v[55:56]
	v_mul_f64 v[47:48], v[41:42], v[73:74]
	v_fma_f64 v[39:40], v[39:40], v[77:78], v[45:46]
	v_add_f64 v[33:34], v[49:50], v[33:34]
	v_add_f64 v[5:6], v[5:6], v[35:36]
	s_waitcnt vmcnt(4)
	v_fma_f64 v[35:36], v[41:42], v[75:76], -v[51:52]
	v_add_f64 v[33:34], v[33:34], v[37:38]
	v_fma_f64 v[37:38], v[43:44], v[75:76], v[47:48]
	v_add_f64 v[5:6], v[5:6], v[39:40]
	v_add_f64 v[33:34], v[33:34], v[35:36]
	;; [unrolled: 1-line block ×3, first 2 shown]
	s_waitcnt vmcnt(2)
	v_add_f64 v[33:34], v[79:80], -v[33:34]
	s_waitcnt vmcnt(0)
	v_add_f64 v[5:6], v[81:82], -v[5:6]
	buffer_store_dword v34, off, s[0:3], 0 offset:52
	buffer_store_dword v33, off, s[0:3], 0 offset:48
	;; [unrolled: 1-line block ×4, first 2 shown]
	v_cmpx_lt_u32_e32 2, v0
	s_cbranch_execz .LBB76_87
; %bb.86:
	v_mov_b32_e32 v5, s24
	s_clause 0x3
	buffer_load_dword v33, v5, s[0:3], 0 offen
	buffer_load_dword v34, v5, s[0:3], 0 offen offset:4
	buffer_load_dword v35, v5, s[0:3], 0 offen offset:8
	;; [unrolled: 1-line block ×3, first 2 shown]
	buffer_store_dword v4, off, s[0:3], 0 offset:32
	buffer_store_dword v4, off, s[0:3], 0 offset:36
	;; [unrolled: 1-line block ×4, first 2 shown]
	s_waitcnt vmcnt(0)
	ds_write_b128 v3, v[33:36]
.LBB76_87:
	s_or_b32 exec_lo, exec_lo, s6
	s_waitcnt lgkmcnt(0)
	s_waitcnt_vscnt null, 0x0
	s_barrier
	buffer_gl0_inv
	s_clause 0x2b
	buffer_load_dword v5, off, s[0:3], 0 offset:56
	buffer_load_dword v6, off, s[0:3], 0 offset:60
	;; [unrolled: 1-line block ×44, first 2 shown]
	ds_read_b128 v[33:36], v4 offset:256
	ds_read_b128 v[37:40], v4 offset:272
	;; [unrolled: 1-line block ×3, first 2 shown]
	s_mov_b32 s6, exec_lo
	s_waitcnt vmcnt(42) lgkmcnt(2)
	v_mul_f64 v[87:88], v[35:36], v[5:6]
	v_mul_f64 v[5:6], v[33:34], v[5:6]
	s_waitcnt vmcnt(40) lgkmcnt(1)
	v_mul_f64 v[89:90], v[39:40], v[45:46]
	v_mul_f64 v[45:46], v[37:38], v[45:46]
	s_waitcnt vmcnt(38)
	v_fma_f64 v[87:88], v[33:34], v[47:48], -v[87:88]
	v_fma_f64 v[5:6], v[35:36], v[47:48], v[5:6]
	ds_read_b128 v[33:36], v4 offset:304
	s_waitcnt vmcnt(36) lgkmcnt(1)
	v_mul_f64 v[47:48], v[41:42], v[49:50]
	v_mul_f64 v[49:50], v[43:44], v[49:50]
	s_waitcnt vmcnt(34)
	v_fma_f64 v[89:90], v[37:38], v[51:52], -v[89:90]
	v_fma_f64 v[45:46], v[39:40], v[51:52], v[45:46]
	ds_read_b128 v[37:40], v4 offset:320
	s_waitcnt vmcnt(30) lgkmcnt(1)
	v_mul_f64 v[51:52], v[33:34], v[53:54]
	v_add_f64 v[87:88], v[87:88], 0
	v_add_f64 v[5:6], v[5:6], 0
	v_mul_f64 v[53:54], v[35:36], v[53:54]
	s_waitcnt vmcnt(28)
	v_fma_f64 v[49:50], v[41:42], v[59:60], -v[49:50]
	v_fma_f64 v[47:48], v[43:44], v[59:60], v[47:48]
	ds_read_b128 v[41:44], v4 offset:336
	s_waitcnt vmcnt(25)
	v_fma_f64 v[51:52], v[35:36], v[61:62], v[51:52]
	v_add_f64 v[87:88], v[87:88], v[89:90]
	v_add_f64 v[5:6], v[5:6], v[45:46]
	s_waitcnt lgkmcnt(1)
	v_mul_f64 v[45:46], v[37:38], v[55:56]
	v_mul_f64 v[55:56], v[39:40], v[55:56]
	v_fma_f64 v[53:54], v[33:34], v[61:62], -v[53:54]
	s_waitcnt vmcnt(21) lgkmcnt(0)
	v_mul_f64 v[59:60], v[43:44], v[63:64]
	ds_read_b128 v[33:36], v4 offset:352
	v_add_f64 v[49:50], v[87:88], v[49:50]
	v_add_f64 v[5:6], v[5:6], v[47:48]
	v_mul_f64 v[47:48], v[41:42], v[63:64]
	s_waitcnt vmcnt(20)
	v_fma_f64 v[55:56], v[37:38], v[57:58], -v[55:56]
	v_fma_f64 v[45:46], v[39:40], v[57:58], v[45:46]
	ds_read_b128 v[37:40], v4 offset:368
	s_waitcnt vmcnt(17)
	v_fma_f64 v[57:58], v[41:42], v[69:70], -v[59:60]
	v_add_f64 v[49:50], v[49:50], v[53:54]
	v_add_f64 v[5:6], v[5:6], v[51:52]
	s_waitcnt lgkmcnt(1)
	v_mul_f64 v[53:54], v[35:36], v[65:66]
	v_mul_f64 v[51:52], v[33:34], v[65:66]
	v_fma_f64 v[47:48], v[43:44], v[69:70], v[47:48]
	ds_read_b128 v[41:44], v4 offset:384
	v_add_f64 v[49:50], v[49:50], v[55:56]
	v_add_f64 v[5:6], v[5:6], v[45:46]
	s_waitcnt vmcnt(13) lgkmcnt(1)
	v_mul_f64 v[55:56], v[39:40], v[71:72]
	s_waitcnt vmcnt(12)
	v_fma_f64 v[53:54], v[33:34], v[67:68], -v[53:54]
	v_mul_f64 v[45:46], v[37:38], v[71:72]
	v_fma_f64 v[51:52], v[35:36], v[67:68], v[51:52]
	ds_read_b128 v[33:36], v4 offset:400
	v_add_f64 v[49:50], v[49:50], v[57:58]
	v_add_f64 v[5:6], v[5:6], v[47:48]
	s_waitcnt vmcnt(11) lgkmcnt(1)
	v_mul_f64 v[57:58], v[43:44], v[73:74]
	s_waitcnt vmcnt(9)
	v_fma_f64 v[37:38], v[37:38], v[77:78], -v[55:56]
	v_mul_f64 v[47:48], v[41:42], v[73:74]
	v_fma_f64 v[39:40], v[39:40], v[77:78], v[45:46]
	s_waitcnt vmcnt(7) lgkmcnt(0)
	v_mul_f64 v[45:46], v[33:34], v[79:80]
	v_add_f64 v[49:50], v[49:50], v[53:54]
	v_add_f64 v[4:5], v[5:6], v[51:52]
	v_mul_f64 v[51:52], v[35:36], v[79:80]
	s_waitcnt vmcnt(6)
	v_fma_f64 v[41:42], v[41:42], v[75:76], -v[57:58]
	v_fma_f64 v[43:44], v[43:44], v[75:76], v[47:48]
	s_waitcnt vmcnt(4)
	v_fma_f64 v[35:36], v[35:36], v[81:82], v[45:46]
	v_add_f64 v[37:38], v[49:50], v[37:38]
	v_add_f64 v[4:5], v[4:5], v[39:40]
	v_fma_f64 v[33:34], v[33:34], v[81:82], -v[51:52]
	v_add_f64 v[37:38], v[37:38], v[41:42]
	v_add_f64 v[4:5], v[4:5], v[43:44]
	;; [unrolled: 1-line block ×4, first 2 shown]
	s_waitcnt vmcnt(2)
	v_add_f64 v[33:34], v[83:84], -v[33:34]
	s_waitcnt vmcnt(0)
	v_add_f64 v[4:5], v[85:86], -v[4:5]
	buffer_store_dword v34, off, s[0:3], 0 offset:36
	buffer_store_dword v33, off, s[0:3], 0 offset:32
	;; [unrolled: 1-line block ×4, first 2 shown]
	v_cmpx_lt_u32_e32 1, v0
	s_cbranch_execz .LBB76_89
; %bb.88:
	v_mov_b32_e32 v4, s25
	s_clause 0x3
	buffer_load_dword v33, v4, s[0:3], 0 offen
	buffer_load_dword v34, v4, s[0:3], 0 offen offset:4
	buffer_load_dword v35, v4, s[0:3], 0 offen offset:8
	;; [unrolled: 1-line block ×3, first 2 shown]
	v_mov_b32_e32 v4, 0
	buffer_store_dword v4, off, s[0:3], 0 offset:16
	buffer_store_dword v4, off, s[0:3], 0 offset:20
	;; [unrolled: 1-line block ×4, first 2 shown]
	s_waitcnt vmcnt(0)
	ds_write_b128 v3, v[33:36]
.LBB76_89:
	s_or_b32 exec_lo, exec_lo, s6
	s_waitcnt lgkmcnt(0)
	s_waitcnt_vscnt null, 0x0
	s_barrier
	buffer_gl0_inv
	s_clause 0x2f
	buffer_load_dword v5, off, s[0:3], 0 offset:40
	buffer_load_dword v6, off, s[0:3], 0 offset:44
	;; [unrolled: 1-line block ×48, first 2 shown]
	v_mov_b32_e32 v4, 0
	ds_read_b128 v[33:36], v4 offset:240
	ds_read_b128 v[37:40], v4 offset:256
	;; [unrolled: 1-line block ×3, first 2 shown]
	s_mov_b32 s6, exec_lo
	s_waitcnt vmcnt(46) lgkmcnt(2)
	v_mul_f64 v[91:92], v[35:36], v[5:6]
	v_mul_f64 v[5:6], v[33:34], v[5:6]
	s_waitcnt vmcnt(44) lgkmcnt(1)
	v_mul_f64 v[93:94], v[39:40], v[45:46]
	v_mul_f64 v[45:46], v[37:38], v[45:46]
	s_waitcnt vmcnt(42)
	v_fma_f64 v[91:92], v[33:34], v[47:48], -v[91:92]
	v_fma_f64 v[5:6], v[35:36], v[47:48], v[5:6]
	ds_read_b128 v[33:36], v4 offset:288
	s_waitcnt vmcnt(40) lgkmcnt(1)
	v_mul_f64 v[47:48], v[41:42], v[49:50]
	v_mul_f64 v[49:50], v[43:44], v[49:50]
	s_waitcnt vmcnt(38)
	v_fma_f64 v[93:94], v[37:38], v[51:52], -v[93:94]
	v_fma_f64 v[45:46], v[39:40], v[51:52], v[45:46]
	ds_read_b128 v[37:40], v4 offset:304
	s_waitcnt vmcnt(34) lgkmcnt(1)
	v_mul_f64 v[51:52], v[33:34], v[53:54]
	v_add_f64 v[91:92], v[91:92], 0
	v_add_f64 v[5:6], v[5:6], 0
	v_mul_f64 v[53:54], v[35:36], v[53:54]
	s_waitcnt vmcnt(32)
	v_fma_f64 v[49:50], v[41:42], v[59:60], -v[49:50]
	v_fma_f64 v[47:48], v[43:44], v[59:60], v[47:48]
	ds_read_b128 v[41:44], v4 offset:320
	s_waitcnt vmcnt(29)
	v_fma_f64 v[51:52], v[35:36], v[61:62], v[51:52]
	v_add_f64 v[91:92], v[91:92], v[93:94]
	v_add_f64 v[5:6], v[5:6], v[45:46]
	s_waitcnt lgkmcnt(1)
	v_mul_f64 v[45:46], v[37:38], v[55:56]
	v_mul_f64 v[55:56], v[39:40], v[55:56]
	v_fma_f64 v[53:54], v[33:34], v[61:62], -v[53:54]
	s_waitcnt vmcnt(25) lgkmcnt(0)
	v_mul_f64 v[59:60], v[43:44], v[63:64]
	ds_read_b128 v[33:36], v4 offset:336
	v_add_f64 v[49:50], v[91:92], v[49:50]
	v_add_f64 v[5:6], v[5:6], v[47:48]
	v_mul_f64 v[47:48], v[41:42], v[63:64]
	s_waitcnt vmcnt(24)
	v_fma_f64 v[55:56], v[37:38], v[57:58], -v[55:56]
	v_fma_f64 v[45:46], v[39:40], v[57:58], v[45:46]
	ds_read_b128 v[37:40], v4 offset:352
	s_waitcnt vmcnt(21)
	v_fma_f64 v[57:58], v[41:42], v[69:70], -v[59:60]
	v_add_f64 v[49:50], v[49:50], v[53:54]
	v_add_f64 v[5:6], v[5:6], v[51:52]
	s_waitcnt lgkmcnt(1)
	v_mul_f64 v[53:54], v[35:36], v[65:66]
	v_mul_f64 v[51:52], v[33:34], v[65:66]
	v_fma_f64 v[47:48], v[43:44], v[69:70], v[47:48]
	ds_read_b128 v[41:44], v4 offset:368
	v_add_f64 v[49:50], v[49:50], v[55:56]
	v_add_f64 v[5:6], v[5:6], v[45:46]
	s_waitcnt vmcnt(17) lgkmcnt(1)
	v_mul_f64 v[55:56], v[39:40], v[71:72]
	s_waitcnt vmcnt(16)
	v_fma_f64 v[53:54], v[33:34], v[67:68], -v[53:54]
	v_mul_f64 v[45:46], v[37:38], v[71:72]
	v_fma_f64 v[51:52], v[35:36], v[67:68], v[51:52]
	ds_read_b128 v[33:36], v4 offset:384
	v_add_f64 v[49:50], v[49:50], v[57:58]
	v_add_f64 v[5:6], v[5:6], v[47:48]
	s_waitcnt vmcnt(15) lgkmcnt(1)
	v_mul_f64 v[57:58], v[43:44], v[73:74]
	s_waitcnt vmcnt(13)
	v_fma_f64 v[55:56], v[37:38], v[77:78], -v[55:56]
	;; [unrolled: 9-line block ×3, first 2 shown]
	v_mul_f64 v[51:52], v[33:34], v[79:80]
	v_fma_f64 v[43:44], v[43:44], v[75:76], v[47:48]
	s_waitcnt vmcnt(7) lgkmcnt(0)
	v_mul_f64 v[47:48], v[39:40], v[81:82]
	v_add_f64 v[49:50], v[49:50], v[55:56]
	v_add_f64 v[5:6], v[5:6], v[45:46]
	s_waitcnt vmcnt(5)
	v_fma_f64 v[33:34], v[33:34], v[85:86], -v[53:54]
	v_mul_f64 v[45:46], v[37:38], v[81:82]
	v_fma_f64 v[35:36], v[35:36], v[85:86], v[51:52]
	s_waitcnt vmcnt(4)
	v_fma_f64 v[37:38], v[37:38], v[83:84], -v[47:48]
	v_add_f64 v[41:42], v[49:50], v[41:42]
	v_add_f64 v[5:6], v[5:6], v[43:44]
	v_fma_f64 v[39:40], v[39:40], v[83:84], v[45:46]
	v_add_f64 v[33:34], v[41:42], v[33:34]
	v_add_f64 v[5:6], v[5:6], v[35:36]
	;; [unrolled: 1-line block ×4, first 2 shown]
	s_waitcnt vmcnt(2)
	v_add_f64 v[33:34], v[87:88], -v[33:34]
	s_waitcnt vmcnt(0)
	v_add_f64 v[5:6], v[89:90], -v[5:6]
	buffer_store_dword v34, off, s[0:3], 0 offset:20
	buffer_store_dword v33, off, s[0:3], 0 offset:16
	;; [unrolled: 1-line block ×4, first 2 shown]
	v_cmpx_ne_u32_e32 0, v0
	s_cbranch_execz .LBB76_91
; %bb.90:
	s_clause 0x3
	buffer_load_dword v33, off, s[0:3], 0
	buffer_load_dword v34, off, s[0:3], 0 offset:4
	buffer_load_dword v35, off, s[0:3], 0 offset:8
	;; [unrolled: 1-line block ×3, first 2 shown]
	buffer_store_dword v4, off, s[0:3], 0
	buffer_store_dword v4, off, s[0:3], 0 offset:4
	buffer_store_dword v4, off, s[0:3], 0 offset:8
	;; [unrolled: 1-line block ×3, first 2 shown]
	s_waitcnt vmcnt(0)
	ds_write_b128 v3, v[33:36]
.LBB76_91:
	s_or_b32 exec_lo, exec_lo, s6
	s_waitcnt lgkmcnt(0)
	s_waitcnt_vscnt null, 0x0
	s_barrier
	buffer_gl0_inv
	s_clause 0x2f
	buffer_load_dword v5, off, s[0:3], 0 offset:24
	buffer_load_dword v6, off, s[0:3], 0 offset:28
	;; [unrolled: 1-line block ×48, first 2 shown]
	ds_read_b128 v[33:36], v4 offset:224
	s_clause 0x3
	buffer_load_dword v91, off, s[0:3], 0
	buffer_load_dword v92, off, s[0:3], 0 offset:4
	buffer_load_dword v93, off, s[0:3], 0 offset:8
	;; [unrolled: 1-line block ×3, first 2 shown]
	ds_read_b128 v[37:40], v4 offset:240
	ds_read_b128 v[41:44], v4 offset:256
	s_and_b32 vcc_lo, exec_lo, s26
	s_waitcnt vmcnt(50) lgkmcnt(2)
	v_mul_f64 v[95:96], v[35:36], v[5:6]
	v_mul_f64 v[5:6], v[33:34], v[5:6]
	s_waitcnt vmcnt(48) lgkmcnt(1)
	v_mul_f64 v[97:98], v[39:40], v[45:46]
	v_mul_f64 v[45:46], v[37:38], v[45:46]
	s_waitcnt vmcnt(46)
	v_fma_f64 v[95:96], v[33:34], v[47:48], -v[95:96]
	v_fma_f64 v[5:6], v[35:36], v[47:48], v[5:6]
	s_waitcnt vmcnt(44) lgkmcnt(0)
	v_mul_f64 v[47:48], v[41:42], v[49:50]
	v_mul_f64 v[49:50], v[43:44], v[49:50]
	s_waitcnt vmcnt(42)
	v_fma_f64 v[97:98], v[37:38], v[51:52], -v[97:98]
	ds_read_b128 v[33:36], v4 offset:272
	v_fma_f64 v[45:46], v[39:40], v[51:52], v[45:46]
	ds_read_b128 v[37:40], v4 offset:288
	v_add_f64 v[95:96], v[95:96], 0
	v_add_f64 v[5:6], v[5:6], 0
	s_waitcnt vmcnt(36)
	v_fma_f64 v[47:48], v[43:44], v[59:60], v[47:48]
	s_waitcnt lgkmcnt(1)
	v_mul_f64 v[51:52], v[33:34], v[53:54]
	v_mul_f64 v[53:54], v[35:36], v[53:54]
	v_fma_f64 v[49:50], v[41:42], v[59:60], -v[49:50]
	ds_read_b128 v[41:44], v4 offset:304
	v_add_f64 v[95:96], v[95:96], v[97:98]
	v_add_f64 v[5:6], v[5:6], v[45:46]
	s_waitcnt vmcnt(35) lgkmcnt(1)
	v_mul_f64 v[45:46], v[37:38], v[55:56]
	v_mul_f64 v[55:56], v[39:40], v[55:56]
	s_waitcnt vmcnt(33)
	v_fma_f64 v[53:54], v[33:34], v[61:62], -v[53:54]
	v_fma_f64 v[51:52], v[35:36], v[61:62], v[51:52]
	ds_read_b128 v[33:36], v4 offset:320
	s_waitcnt vmcnt(29) lgkmcnt(1)
	v_mul_f64 v[59:60], v[43:44], v[63:64]
	v_add_f64 v[49:50], v[95:96], v[49:50]
	v_add_f64 v[5:6], v[5:6], v[47:48]
	v_mul_f64 v[47:48], v[41:42], v[63:64]
	s_waitcnt vmcnt(28)
	v_fma_f64 v[55:56], v[37:38], v[57:58], -v[55:56]
	v_fma_f64 v[45:46], v[39:40], v[57:58], v[45:46]
	ds_read_b128 v[37:40], v4 offset:336
	s_waitcnt vmcnt(25)
	v_fma_f64 v[57:58], v[41:42], v[69:70], -v[59:60]
	v_add_f64 v[49:50], v[49:50], v[53:54]
	v_add_f64 v[5:6], v[5:6], v[51:52]
	s_waitcnt lgkmcnt(1)
	v_mul_f64 v[53:54], v[35:36], v[65:66]
	v_mul_f64 v[51:52], v[33:34], v[65:66]
	v_fma_f64 v[47:48], v[43:44], v[69:70], v[47:48]
	ds_read_b128 v[41:44], v4 offset:352
	v_add_f64 v[49:50], v[49:50], v[55:56]
	v_add_f64 v[5:6], v[5:6], v[45:46]
	s_waitcnt vmcnt(21) lgkmcnt(1)
	v_mul_f64 v[55:56], v[39:40], v[71:72]
	s_waitcnt vmcnt(20)
	v_fma_f64 v[53:54], v[33:34], v[67:68], -v[53:54]
	v_mul_f64 v[45:46], v[37:38], v[71:72]
	v_fma_f64 v[51:52], v[35:36], v[67:68], v[51:52]
	ds_read_b128 v[33:36], v4 offset:368
	v_add_f64 v[49:50], v[49:50], v[57:58]
	v_add_f64 v[5:6], v[5:6], v[47:48]
	s_waitcnt vmcnt(19) lgkmcnt(1)
	v_mul_f64 v[57:58], v[43:44], v[73:74]
	s_waitcnt vmcnt(17)
	v_fma_f64 v[55:56], v[37:38], v[77:78], -v[55:56]
	;; [unrolled: 9-line block ×3, first 2 shown]
	v_mul_f64 v[51:52], v[33:34], v[79:80]
	v_fma_f64 v[43:44], v[43:44], v[75:76], v[47:48]
	s_waitcnt vmcnt(11) lgkmcnt(0)
	v_mul_f64 v[47:48], v[37:38], v[81:82]
	v_add_f64 v[49:50], v[49:50], v[55:56]
	v_add_f64 v[45:46], v[5:6], v[45:46]
	v_mul_f64 v[55:56], v[39:40], v[81:82]
	s_waitcnt vmcnt(9)
	v_fma_f64 v[33:34], v[33:34], v[85:86], -v[53:54]
	ds_read_b128 v[3:6], v4 offset:400
	v_fma_f64 v[35:36], v[35:36], v[85:86], v[51:52]
	s_waitcnt vmcnt(6)
	v_fma_f64 v[39:40], v[39:40], v[83:84], v[47:48]
	v_add_f64 v[41:42], v[49:50], v[41:42]
	v_add_f64 v[43:44], v[45:46], v[43:44]
	s_waitcnt lgkmcnt(0)
	v_mul_f64 v[49:50], v[5:6], v[87:88]
	v_fma_f64 v[37:38], v[37:38], v[83:84], -v[55:56]
	v_mul_f64 v[45:46], v[3:4], v[87:88]
	v_add_f64 v[33:34], v[41:42], v[33:34]
	v_add_f64 v[35:36], v[43:44], v[35:36]
	s_waitcnt vmcnt(4)
	v_fma_f64 v[3:4], v[3:4], v[89:90], -v[49:50]
	v_fma_f64 v[5:6], v[5:6], v[89:90], v[45:46]
	v_add_f64 v[33:34], v[33:34], v[37:38]
	v_add_f64 v[35:36], v[35:36], v[39:40]
	v_add_f64 v[3:4], v[33:34], v[3:4]
	v_add_f64 v[5:6], v[35:36], v[5:6]
	s_waitcnt vmcnt(2)
	v_add_f64 v[3:4], v[91:92], -v[3:4]
	s_waitcnt vmcnt(0)
	v_add_f64 v[5:6], v[93:94], -v[5:6]
	buffer_store_dword v4, off, s[0:3], 0 offset:4
	buffer_store_dword v3, off, s[0:3], 0
	buffer_store_dword v6, off, s[0:3], 0 offset:12
	buffer_store_dword v5, off, s[0:3], 0 offset:8
	s_cbranch_vccz .LBB76_116
; %bb.92:
	v_mov_b32_e32 v3, 0
	s_load_dwordx2 s[4:5], s[4:5], 0x4
	global_load_dword v4, v3, s[10:11] offset:44
	s_waitcnt lgkmcnt(0)
	s_lshr_b32 s4, s4, 16
	v_mul_u32_u24_e32 v5, s5, v1
	s_mul_i32 s4, s4, s5
	v_mul_u32_u24_e32 v0, s4, v0
	v_add3_u32 v0, v0, v5, v2
	v_lshl_add_u32 v0, v0, 4, 0x1a8
	s_waitcnt vmcnt(0)
	v_add_nc_u32_e32 v1, -1, v4
	v_cmp_ne_u32_e32 vcc_lo, 11, v1
	s_cbranch_vccz .LBB76_94
; %bb.93:
	v_lshlrev_b32_e32 v1, 4, v1
	v_mov_b32_e32 v6, s13
	v_mov_b32_e32 v33, v1
	s_clause 0x7
	buffer_load_dword v1, v6, s[0:3], 0 offen
	buffer_load_dword v2, v6, s[0:3], 0 offen offset:4
	buffer_load_dword v4, v6, s[0:3], 0 offen offset:8
	buffer_load_dword v5, v6, s[0:3], 0 offen offset:12
	buffer_load_dword v34, v33, s[0:3], 0 offen
	buffer_load_dword v35, v33, s[0:3], 0 offen offset:4
	buffer_load_dword v36, v33, s[0:3], 0 offen offset:8
	;; [unrolled: 1-line block ×3, first 2 shown]
	s_waitcnt vmcnt(4)
	ds_write2_b64 v0, v[1:2], v[4:5] offset1:1
	s_waitcnt vmcnt(3)
	buffer_store_dword v34, v6, s[0:3], 0 offen
	s_waitcnt vmcnt(2)
	buffer_store_dword v35, v6, s[0:3], 0 offen offset:4
	s_waitcnt vmcnt(1)
	buffer_store_dword v36, v6, s[0:3], 0 offen offset:8
	;; [unrolled: 2-line block ×3, first 2 shown]
	buffer_store_dword v5, v33, s[0:3], 0 offen offset:12
	buffer_store_dword v4, v33, s[0:3], 0 offen offset:8
	;; [unrolled: 1-line block ×3, first 2 shown]
	buffer_store_dword v1, v33, s[0:3], 0 offen
.LBB76_94:
	global_load_dword v1, v3, s[10:11] offset:40
	s_waitcnt vmcnt(0)
	v_add_nc_u32_e32 v1, -1, v1
	v_cmp_eq_u32_e32 vcc_lo, 10, v1
	s_cbranch_vccnz .LBB76_96
; %bb.95:
	v_lshlrev_b32_e32 v1, 4, v1
	v_mov_b32_e32 v5, s16
	v_mov_b32_e32 v6, v1
	s_clause 0x7
	buffer_load_dword v1, v5, s[0:3], 0 offen
	buffer_load_dword v2, v5, s[0:3], 0 offen offset:4
	buffer_load_dword v3, v5, s[0:3], 0 offen offset:8
	;; [unrolled: 1-line block ×3, first 2 shown]
	buffer_load_dword v33, v6, s[0:3], 0 offen
	buffer_load_dword v34, v6, s[0:3], 0 offen offset:4
	buffer_load_dword v35, v6, s[0:3], 0 offen offset:8
	;; [unrolled: 1-line block ×3, first 2 shown]
	s_waitcnt vmcnt(4)
	ds_write2_b64 v0, v[1:2], v[3:4] offset1:1
	s_waitcnt vmcnt(3)
	buffer_store_dword v33, v5, s[0:3], 0 offen
	s_waitcnt vmcnt(2)
	buffer_store_dword v34, v5, s[0:3], 0 offen offset:4
	s_waitcnt vmcnt(1)
	buffer_store_dword v35, v5, s[0:3], 0 offen offset:8
	;; [unrolled: 2-line block ×3, first 2 shown]
	buffer_store_dword v4, v6, s[0:3], 0 offen offset:12
	buffer_store_dword v3, v6, s[0:3], 0 offen offset:8
	;; [unrolled: 1-line block ×3, first 2 shown]
	buffer_store_dword v1, v6, s[0:3], 0 offen
.LBB76_96:
	v_mov_b32_e32 v1, 0
	global_load_dword v2, v1, s[10:11] offset:36
	s_waitcnt vmcnt(0)
	v_add_nc_u32_e32 v2, -1, v2
	v_cmp_eq_u32_e32 vcc_lo, 9, v2
	s_cbranch_vccnz .LBB76_98
; %bb.97:
	v_lshlrev_b32_e32 v2, 4, v2
	v_mov_b32_e32 v6, s17
	v_mov_b32_e32 v33, v2
	s_clause 0x7
	buffer_load_dword v2, v6, s[0:3], 0 offen
	buffer_load_dword v3, v6, s[0:3], 0 offen offset:4
	buffer_load_dword v4, v6, s[0:3], 0 offen offset:8
	buffer_load_dword v5, v6, s[0:3], 0 offen offset:12
	buffer_load_dword v34, v33, s[0:3], 0 offen
	buffer_load_dword v35, v33, s[0:3], 0 offen offset:4
	buffer_load_dword v36, v33, s[0:3], 0 offen offset:8
	;; [unrolled: 1-line block ×3, first 2 shown]
	s_waitcnt vmcnt(4)
	ds_write2_b64 v0, v[2:3], v[4:5] offset1:1
	s_waitcnt vmcnt(3)
	buffer_store_dword v34, v6, s[0:3], 0 offen
	s_waitcnt vmcnt(2)
	buffer_store_dword v35, v6, s[0:3], 0 offen offset:4
	s_waitcnt vmcnt(1)
	buffer_store_dword v36, v6, s[0:3], 0 offen offset:8
	;; [unrolled: 2-line block ×3, first 2 shown]
	buffer_store_dword v5, v33, s[0:3], 0 offen offset:12
	buffer_store_dword v4, v33, s[0:3], 0 offen offset:8
	;; [unrolled: 1-line block ×3, first 2 shown]
	buffer_store_dword v2, v33, s[0:3], 0 offen
.LBB76_98:
	global_load_dword v1, v1, s[10:11] offset:32
	s_waitcnt vmcnt(0)
	v_add_nc_u32_e32 v1, -1, v1
	v_cmp_eq_u32_e32 vcc_lo, 8, v1
	s_cbranch_vccnz .LBB76_100
; %bb.99:
	v_lshlrev_b32_e32 v1, 4, v1
	v_mov_b32_e32 v5, s18
	v_mov_b32_e32 v6, v1
	s_clause 0x7
	buffer_load_dword v1, v5, s[0:3], 0 offen
	buffer_load_dword v2, v5, s[0:3], 0 offen offset:4
	buffer_load_dword v3, v5, s[0:3], 0 offen offset:8
	;; [unrolled: 1-line block ×3, first 2 shown]
	buffer_load_dword v33, v6, s[0:3], 0 offen
	buffer_load_dword v34, v6, s[0:3], 0 offen offset:4
	buffer_load_dword v35, v6, s[0:3], 0 offen offset:8
	;; [unrolled: 1-line block ×3, first 2 shown]
	s_waitcnt vmcnt(4)
	ds_write2_b64 v0, v[1:2], v[3:4] offset1:1
	s_waitcnt vmcnt(3)
	buffer_store_dword v33, v5, s[0:3], 0 offen
	s_waitcnt vmcnt(2)
	buffer_store_dword v34, v5, s[0:3], 0 offen offset:4
	s_waitcnt vmcnt(1)
	buffer_store_dword v35, v5, s[0:3], 0 offen offset:8
	;; [unrolled: 2-line block ×3, first 2 shown]
	buffer_store_dword v4, v6, s[0:3], 0 offen offset:12
	buffer_store_dword v3, v6, s[0:3], 0 offen offset:8
	buffer_store_dword v2, v6, s[0:3], 0 offen offset:4
	buffer_store_dword v1, v6, s[0:3], 0 offen
.LBB76_100:
	v_mov_b32_e32 v1, 0
	global_load_dword v2, v1, s[10:11] offset:28
	s_waitcnt vmcnt(0)
	v_add_nc_u32_e32 v2, -1, v2
	v_cmp_eq_u32_e32 vcc_lo, 7, v2
	s_cbranch_vccnz .LBB76_102
; %bb.101:
	v_lshlrev_b32_e32 v2, 4, v2
	v_mov_b32_e32 v6, s19
	v_mov_b32_e32 v33, v2
	s_clause 0x7
	buffer_load_dword v2, v6, s[0:3], 0 offen
	buffer_load_dword v3, v6, s[0:3], 0 offen offset:4
	buffer_load_dword v4, v6, s[0:3], 0 offen offset:8
	;; [unrolled: 1-line block ×3, first 2 shown]
	buffer_load_dword v34, v33, s[0:3], 0 offen
	buffer_load_dword v35, v33, s[0:3], 0 offen offset:4
	buffer_load_dword v36, v33, s[0:3], 0 offen offset:8
	;; [unrolled: 1-line block ×3, first 2 shown]
	s_waitcnt vmcnt(4)
	ds_write2_b64 v0, v[2:3], v[4:5] offset1:1
	s_waitcnt vmcnt(3)
	buffer_store_dword v34, v6, s[0:3], 0 offen
	s_waitcnt vmcnt(2)
	buffer_store_dword v35, v6, s[0:3], 0 offen offset:4
	s_waitcnt vmcnt(1)
	buffer_store_dword v36, v6, s[0:3], 0 offen offset:8
	;; [unrolled: 2-line block ×3, first 2 shown]
	buffer_store_dword v5, v33, s[0:3], 0 offen offset:12
	buffer_store_dword v4, v33, s[0:3], 0 offen offset:8
	buffer_store_dword v3, v33, s[0:3], 0 offen offset:4
	buffer_store_dword v2, v33, s[0:3], 0 offen
.LBB76_102:
	global_load_dword v1, v1, s[10:11] offset:24
	s_waitcnt vmcnt(0)
	v_add_nc_u32_e32 v1, -1, v1
	v_cmp_eq_u32_e32 vcc_lo, 6, v1
	s_cbranch_vccnz .LBB76_104
; %bb.103:
	v_lshlrev_b32_e32 v1, 4, v1
	v_mov_b32_e32 v5, s20
	v_mov_b32_e32 v6, v1
	s_clause 0x7
	buffer_load_dword v1, v5, s[0:3], 0 offen
	buffer_load_dword v2, v5, s[0:3], 0 offen offset:4
	buffer_load_dword v3, v5, s[0:3], 0 offen offset:8
	;; [unrolled: 1-line block ×3, first 2 shown]
	buffer_load_dword v33, v6, s[0:3], 0 offen
	buffer_load_dword v34, v6, s[0:3], 0 offen offset:4
	buffer_load_dword v35, v6, s[0:3], 0 offen offset:8
	;; [unrolled: 1-line block ×3, first 2 shown]
	s_waitcnt vmcnt(4)
	ds_write2_b64 v0, v[1:2], v[3:4] offset1:1
	s_waitcnt vmcnt(3)
	buffer_store_dword v33, v5, s[0:3], 0 offen
	s_waitcnt vmcnt(2)
	buffer_store_dword v34, v5, s[0:3], 0 offen offset:4
	s_waitcnt vmcnt(1)
	buffer_store_dword v35, v5, s[0:3], 0 offen offset:8
	;; [unrolled: 2-line block ×3, first 2 shown]
	buffer_store_dword v4, v6, s[0:3], 0 offen offset:12
	buffer_store_dword v3, v6, s[0:3], 0 offen offset:8
	;; [unrolled: 1-line block ×3, first 2 shown]
	buffer_store_dword v1, v6, s[0:3], 0 offen
.LBB76_104:
	v_mov_b32_e32 v1, 0
	global_load_dword v2, v1, s[10:11] offset:20
	s_waitcnt vmcnt(0)
	v_add_nc_u32_e32 v2, -1, v2
	v_cmp_eq_u32_e32 vcc_lo, 5, v2
	s_cbranch_vccnz .LBB76_106
; %bb.105:
	v_lshlrev_b32_e32 v2, 4, v2
	v_mov_b32_e32 v6, s21
	v_mov_b32_e32 v33, v2
	s_clause 0x7
	buffer_load_dword v2, v6, s[0:3], 0 offen
	buffer_load_dword v3, v6, s[0:3], 0 offen offset:4
	buffer_load_dword v4, v6, s[0:3], 0 offen offset:8
	;; [unrolled: 1-line block ×3, first 2 shown]
	buffer_load_dword v34, v33, s[0:3], 0 offen
	buffer_load_dword v35, v33, s[0:3], 0 offen offset:4
	buffer_load_dword v36, v33, s[0:3], 0 offen offset:8
	;; [unrolled: 1-line block ×3, first 2 shown]
	s_waitcnt vmcnt(4)
	ds_write2_b64 v0, v[2:3], v[4:5] offset1:1
	s_waitcnt vmcnt(3)
	buffer_store_dword v34, v6, s[0:3], 0 offen
	s_waitcnt vmcnt(2)
	buffer_store_dword v35, v6, s[0:3], 0 offen offset:4
	s_waitcnt vmcnt(1)
	buffer_store_dword v36, v6, s[0:3], 0 offen offset:8
	;; [unrolled: 2-line block ×3, first 2 shown]
	buffer_store_dword v5, v33, s[0:3], 0 offen offset:12
	buffer_store_dword v4, v33, s[0:3], 0 offen offset:8
	;; [unrolled: 1-line block ×3, first 2 shown]
	buffer_store_dword v2, v33, s[0:3], 0 offen
.LBB76_106:
	global_load_dword v1, v1, s[10:11] offset:16
	s_waitcnt vmcnt(0)
	v_add_nc_u32_e32 v1, -1, v1
	v_cmp_eq_u32_e32 vcc_lo, 4, v1
	s_cbranch_vccnz .LBB76_108
; %bb.107:
	v_lshlrev_b32_e32 v1, 4, v1
	v_mov_b32_e32 v5, s22
	v_mov_b32_e32 v6, v1
	s_clause 0x7
	buffer_load_dword v1, v5, s[0:3], 0 offen
	buffer_load_dword v2, v5, s[0:3], 0 offen offset:4
	buffer_load_dword v3, v5, s[0:3], 0 offen offset:8
	;; [unrolled: 1-line block ×3, first 2 shown]
	buffer_load_dword v33, v6, s[0:3], 0 offen
	buffer_load_dword v34, v6, s[0:3], 0 offen offset:4
	buffer_load_dword v35, v6, s[0:3], 0 offen offset:8
	;; [unrolled: 1-line block ×3, first 2 shown]
	s_waitcnt vmcnt(4)
	ds_write2_b64 v0, v[1:2], v[3:4] offset1:1
	s_waitcnt vmcnt(3)
	buffer_store_dword v33, v5, s[0:3], 0 offen
	s_waitcnt vmcnt(2)
	buffer_store_dword v34, v5, s[0:3], 0 offen offset:4
	s_waitcnt vmcnt(1)
	buffer_store_dword v35, v5, s[0:3], 0 offen offset:8
	;; [unrolled: 2-line block ×3, first 2 shown]
	buffer_store_dword v4, v6, s[0:3], 0 offen offset:12
	buffer_store_dword v3, v6, s[0:3], 0 offen offset:8
	;; [unrolled: 1-line block ×3, first 2 shown]
	buffer_store_dword v1, v6, s[0:3], 0 offen
.LBB76_108:
	v_mov_b32_e32 v1, 0
	global_load_dword v2, v1, s[10:11] offset:12
	s_waitcnt vmcnt(0)
	v_add_nc_u32_e32 v2, -1, v2
	v_cmp_eq_u32_e32 vcc_lo, 3, v2
	s_cbranch_vccnz .LBB76_110
; %bb.109:
	v_lshlrev_b32_e32 v2, 4, v2
	v_mov_b32_e32 v6, s23
	v_mov_b32_e32 v33, v2
	s_clause 0x7
	buffer_load_dword v2, v6, s[0:3], 0 offen
	buffer_load_dword v3, v6, s[0:3], 0 offen offset:4
	buffer_load_dword v4, v6, s[0:3], 0 offen offset:8
	;; [unrolled: 1-line block ×3, first 2 shown]
	buffer_load_dword v34, v33, s[0:3], 0 offen
	buffer_load_dword v35, v33, s[0:3], 0 offen offset:4
	buffer_load_dword v36, v33, s[0:3], 0 offen offset:8
	;; [unrolled: 1-line block ×3, first 2 shown]
	s_waitcnt vmcnt(4)
	ds_write2_b64 v0, v[2:3], v[4:5] offset1:1
	s_waitcnt vmcnt(3)
	buffer_store_dword v34, v6, s[0:3], 0 offen
	s_waitcnt vmcnt(2)
	buffer_store_dword v35, v6, s[0:3], 0 offen offset:4
	s_waitcnt vmcnt(1)
	buffer_store_dword v36, v6, s[0:3], 0 offen offset:8
	;; [unrolled: 2-line block ×3, first 2 shown]
	buffer_store_dword v5, v33, s[0:3], 0 offen offset:12
	buffer_store_dword v4, v33, s[0:3], 0 offen offset:8
	;; [unrolled: 1-line block ×3, first 2 shown]
	buffer_store_dword v2, v33, s[0:3], 0 offen
.LBB76_110:
	global_load_dword v1, v1, s[10:11] offset:8
	s_waitcnt vmcnt(0)
	v_add_nc_u32_e32 v1, -1, v1
	v_cmp_eq_u32_e32 vcc_lo, 2, v1
	s_cbranch_vccnz .LBB76_112
; %bb.111:
	v_lshlrev_b32_e32 v1, 4, v1
	v_mov_b32_e32 v5, s24
	v_mov_b32_e32 v6, v1
	s_clause 0x7
	buffer_load_dword v1, v5, s[0:3], 0 offen
	buffer_load_dword v2, v5, s[0:3], 0 offen offset:4
	buffer_load_dword v3, v5, s[0:3], 0 offen offset:8
	;; [unrolled: 1-line block ×3, first 2 shown]
	buffer_load_dword v33, v6, s[0:3], 0 offen
	buffer_load_dword v34, v6, s[0:3], 0 offen offset:4
	buffer_load_dword v35, v6, s[0:3], 0 offen offset:8
	;; [unrolled: 1-line block ×3, first 2 shown]
	s_waitcnt vmcnt(4)
	ds_write2_b64 v0, v[1:2], v[3:4] offset1:1
	s_waitcnt vmcnt(3)
	buffer_store_dword v33, v5, s[0:3], 0 offen
	s_waitcnt vmcnt(2)
	buffer_store_dword v34, v5, s[0:3], 0 offen offset:4
	s_waitcnt vmcnt(1)
	buffer_store_dword v35, v5, s[0:3], 0 offen offset:8
	s_waitcnt vmcnt(0)
	buffer_store_dword v36, v5, s[0:3], 0 offen offset:12
	buffer_store_dword v4, v6, s[0:3], 0 offen offset:12
	buffer_store_dword v3, v6, s[0:3], 0 offen offset:8
	;; [unrolled: 1-line block ×3, first 2 shown]
	buffer_store_dword v1, v6, s[0:3], 0 offen
.LBB76_112:
	v_mov_b32_e32 v1, 0
	global_load_dword v2, v1, s[10:11] offset:4
	s_waitcnt vmcnt(0)
	v_add_nc_u32_e32 v2, -1, v2
	v_cmp_eq_u32_e32 vcc_lo, 1, v2
	s_cbranch_vccnz .LBB76_114
; %bb.113:
	v_lshlrev_b32_e32 v2, 4, v2
	v_mov_b32_e32 v6, s25
	v_mov_b32_e32 v33, v2
	s_clause 0x7
	buffer_load_dword v2, v6, s[0:3], 0 offen
	buffer_load_dword v3, v6, s[0:3], 0 offen offset:4
	buffer_load_dword v4, v6, s[0:3], 0 offen offset:8
	;; [unrolled: 1-line block ×3, first 2 shown]
	buffer_load_dword v34, v33, s[0:3], 0 offen
	buffer_load_dword v35, v33, s[0:3], 0 offen offset:4
	buffer_load_dword v36, v33, s[0:3], 0 offen offset:8
	;; [unrolled: 1-line block ×3, first 2 shown]
	s_waitcnt vmcnt(4)
	ds_write2_b64 v0, v[2:3], v[4:5] offset1:1
	s_waitcnt vmcnt(3)
	buffer_store_dword v34, v6, s[0:3], 0 offen
	s_waitcnt vmcnt(2)
	buffer_store_dword v35, v6, s[0:3], 0 offen offset:4
	s_waitcnt vmcnt(1)
	buffer_store_dword v36, v6, s[0:3], 0 offen offset:8
	;; [unrolled: 2-line block ×3, first 2 shown]
	buffer_store_dword v5, v33, s[0:3], 0 offen offset:12
	buffer_store_dword v4, v33, s[0:3], 0 offen offset:8
	;; [unrolled: 1-line block ×3, first 2 shown]
	buffer_store_dword v2, v33, s[0:3], 0 offen
.LBB76_114:
	global_load_dword v1, v1, s[10:11]
	s_waitcnt vmcnt(0)
	v_add_nc_u32_e32 v1, -1, v1
	v_cmp_eq_u32_e32 vcc_lo, 0, v1
	s_cbranch_vccnz .LBB76_116
; %bb.115:
	v_lshlrev_b32_e32 v1, 4, v1
	v_mov_b32_e32 v5, v1
	s_clause 0x7
	buffer_load_dword v1, off, s[0:3], 0
	buffer_load_dword v2, off, s[0:3], 0 offset:4
	buffer_load_dword v3, off, s[0:3], 0 offset:8
	;; [unrolled: 1-line block ×3, first 2 shown]
	buffer_load_dword v6, v5, s[0:3], 0 offen
	buffer_load_dword v33, v5, s[0:3], 0 offen offset:4
	buffer_load_dword v34, v5, s[0:3], 0 offen offset:8
	;; [unrolled: 1-line block ×3, first 2 shown]
	s_waitcnt vmcnt(4)
	ds_write2_b64 v0, v[1:2], v[3:4] offset1:1
	s_waitcnt vmcnt(3)
	buffer_store_dword v6, off, s[0:3], 0
	s_waitcnt vmcnt(2)
	buffer_store_dword v33, off, s[0:3], 0 offset:4
	s_waitcnt vmcnt(1)
	buffer_store_dword v34, off, s[0:3], 0 offset:8
	s_waitcnt vmcnt(0)
	buffer_store_dword v35, off, s[0:3], 0 offset:12
	buffer_store_dword v4, v5, s[0:3], 0 offen offset:12
	buffer_store_dword v3, v5, s[0:3], 0 offen offset:8
	buffer_store_dword v2, v5, s[0:3], 0 offen offset:4
	buffer_store_dword v1, v5, s[0:3], 0 offen
.LBB76_116:
	s_clause 0x3
	buffer_load_dword v0, off, s[0:3], 0
	buffer_load_dword v1, off, s[0:3], 0 offset:4
	buffer_load_dword v2, off, s[0:3], 0 offset:8
	buffer_load_dword v3, off, s[0:3], 0 offset:12
	v_mov_b32_e32 v4, s25
	s_waitcnt vmcnt(0)
	flat_store_dwordx4 v[7:8], v[0:3]
	s_clause 0x3
	buffer_load_dword v0, v4, s[0:3], 0 offen
	buffer_load_dword v1, v4, s[0:3], 0 offen offset:4
	buffer_load_dword v2, v4, s[0:3], 0 offen offset:8
	buffer_load_dword v3, v4, s[0:3], 0 offen offset:12
	v_mov_b32_e32 v4, s24
	s_waitcnt vmcnt(0)
	flat_store_dwordx4 v[9:10], v[0:3]
	s_clause 0x3
	buffer_load_dword v0, v4, s[0:3], 0 offen
	buffer_load_dword v1, v4, s[0:3], 0 offen offset:4
	buffer_load_dword v2, v4, s[0:3], 0 offen offset:8
	buffer_load_dword v3, v4, s[0:3], 0 offen offset:12
	;; [unrolled: 8-line block ×12, first 2 shown]
	s_waitcnt vmcnt(0)
	flat_store_dwordx4 v[31:32], v[0:3]
	s_endpgm
	.section	.rodata,"a",@progbits
	.p2align	6, 0x0
	.amdhsa_kernel _ZN9rocsolver6v33100L18getri_kernel_smallILi13E19rocblas_complex_numIdEPKPS3_EEvT1_iilPiilS8_bb
		.amdhsa_group_segment_fixed_size 1448
		.amdhsa_private_segment_fixed_size 224
		.amdhsa_kernarg_size 60
		.amdhsa_user_sgpr_count 8
		.amdhsa_user_sgpr_private_segment_buffer 1
		.amdhsa_user_sgpr_dispatch_ptr 1
		.amdhsa_user_sgpr_queue_ptr 0
		.amdhsa_user_sgpr_kernarg_segment_ptr 1
		.amdhsa_user_sgpr_dispatch_id 0
		.amdhsa_user_sgpr_flat_scratch_init 0
		.amdhsa_user_sgpr_private_segment_size 0
		.amdhsa_wavefront_size32 1
		.amdhsa_uses_dynamic_stack 0
		.amdhsa_system_sgpr_private_segment_wavefront_offset 1
		.amdhsa_system_sgpr_workgroup_id_x 1
		.amdhsa_system_sgpr_workgroup_id_y 0
		.amdhsa_system_sgpr_workgroup_id_z 0
		.amdhsa_system_sgpr_workgroup_info 0
		.amdhsa_system_vgpr_workitem_id 2
		.amdhsa_next_free_vgpr 99
		.amdhsa_next_free_sgpr 31
		.amdhsa_reserve_vcc 1
		.amdhsa_reserve_flat_scratch 0
		.amdhsa_float_round_mode_32 0
		.amdhsa_float_round_mode_16_64 0
		.amdhsa_float_denorm_mode_32 3
		.amdhsa_float_denorm_mode_16_64 3
		.amdhsa_dx10_clamp 1
		.amdhsa_ieee_mode 1
		.amdhsa_fp16_overflow 0
		.amdhsa_workgroup_processor_mode 1
		.amdhsa_memory_ordered 1
		.amdhsa_forward_progress 1
		.amdhsa_shared_vgpr_count 0
		.amdhsa_exception_fp_ieee_invalid_op 0
		.amdhsa_exception_fp_denorm_src 0
		.amdhsa_exception_fp_ieee_div_zero 0
		.amdhsa_exception_fp_ieee_overflow 0
		.amdhsa_exception_fp_ieee_underflow 0
		.amdhsa_exception_fp_ieee_inexact 0
		.amdhsa_exception_int_div_zero 0
	.end_amdhsa_kernel
	.section	.text._ZN9rocsolver6v33100L18getri_kernel_smallILi13E19rocblas_complex_numIdEPKPS3_EEvT1_iilPiilS8_bb,"axG",@progbits,_ZN9rocsolver6v33100L18getri_kernel_smallILi13E19rocblas_complex_numIdEPKPS3_EEvT1_iilPiilS8_bb,comdat
.Lfunc_end76:
	.size	_ZN9rocsolver6v33100L18getri_kernel_smallILi13E19rocblas_complex_numIdEPKPS3_EEvT1_iilPiilS8_bb, .Lfunc_end76-_ZN9rocsolver6v33100L18getri_kernel_smallILi13E19rocblas_complex_numIdEPKPS3_EEvT1_iilPiilS8_bb
                                        ; -- End function
	.set _ZN9rocsolver6v33100L18getri_kernel_smallILi13E19rocblas_complex_numIdEPKPS3_EEvT1_iilPiilS8_bb.num_vgpr, 99
	.set _ZN9rocsolver6v33100L18getri_kernel_smallILi13E19rocblas_complex_numIdEPKPS3_EEvT1_iilPiilS8_bb.num_agpr, 0
	.set _ZN9rocsolver6v33100L18getri_kernel_smallILi13E19rocblas_complex_numIdEPKPS3_EEvT1_iilPiilS8_bb.numbered_sgpr, 31
	.set _ZN9rocsolver6v33100L18getri_kernel_smallILi13E19rocblas_complex_numIdEPKPS3_EEvT1_iilPiilS8_bb.num_named_barrier, 0
	.set _ZN9rocsolver6v33100L18getri_kernel_smallILi13E19rocblas_complex_numIdEPKPS3_EEvT1_iilPiilS8_bb.private_seg_size, 224
	.set _ZN9rocsolver6v33100L18getri_kernel_smallILi13E19rocblas_complex_numIdEPKPS3_EEvT1_iilPiilS8_bb.uses_vcc, 1
	.set _ZN9rocsolver6v33100L18getri_kernel_smallILi13E19rocblas_complex_numIdEPKPS3_EEvT1_iilPiilS8_bb.uses_flat_scratch, 0
	.set _ZN9rocsolver6v33100L18getri_kernel_smallILi13E19rocblas_complex_numIdEPKPS3_EEvT1_iilPiilS8_bb.has_dyn_sized_stack, 0
	.set _ZN9rocsolver6v33100L18getri_kernel_smallILi13E19rocblas_complex_numIdEPKPS3_EEvT1_iilPiilS8_bb.has_recursion, 0
	.set _ZN9rocsolver6v33100L18getri_kernel_smallILi13E19rocblas_complex_numIdEPKPS3_EEvT1_iilPiilS8_bb.has_indirect_call, 0
	.section	.AMDGPU.csdata,"",@progbits
; Kernel info:
; codeLenInByte = 19880
; TotalNumSgprs: 33
; NumVgprs: 99
; ScratchSize: 224
; MemoryBound: 0
; FloatMode: 240
; IeeeMode: 1
; LDSByteSize: 1448 bytes/workgroup (compile time only)
; SGPRBlocks: 0
; VGPRBlocks: 12
; NumSGPRsForWavesPerEU: 33
; NumVGPRsForWavesPerEU: 99
; Occupancy: 9
; WaveLimiterHint : 1
; COMPUTE_PGM_RSRC2:SCRATCH_EN: 1
; COMPUTE_PGM_RSRC2:USER_SGPR: 8
; COMPUTE_PGM_RSRC2:TRAP_HANDLER: 0
; COMPUTE_PGM_RSRC2:TGID_X_EN: 1
; COMPUTE_PGM_RSRC2:TGID_Y_EN: 0
; COMPUTE_PGM_RSRC2:TGID_Z_EN: 0
; COMPUTE_PGM_RSRC2:TIDIG_COMP_CNT: 2
	.section	.text._ZN9rocsolver6v33100L18getri_kernel_smallILi14E19rocblas_complex_numIdEPKPS3_EEvT1_iilPiilS8_bb,"axG",@progbits,_ZN9rocsolver6v33100L18getri_kernel_smallILi14E19rocblas_complex_numIdEPKPS3_EEvT1_iilPiilS8_bb,comdat
	.globl	_ZN9rocsolver6v33100L18getri_kernel_smallILi14E19rocblas_complex_numIdEPKPS3_EEvT1_iilPiilS8_bb ; -- Begin function _ZN9rocsolver6v33100L18getri_kernel_smallILi14E19rocblas_complex_numIdEPKPS3_EEvT1_iilPiilS8_bb
	.p2align	8
	.type	_ZN9rocsolver6v33100L18getri_kernel_smallILi14E19rocblas_complex_numIdEPKPS3_EEvT1_iilPiilS8_bb,@function
_ZN9rocsolver6v33100L18getri_kernel_smallILi14E19rocblas_complex_numIdEPKPS3_EEvT1_iilPiilS8_bb: ; @_ZN9rocsolver6v33100L18getri_kernel_smallILi14E19rocblas_complex_numIdEPKPS3_EEvT1_iilPiilS8_bb
; %bb.0:
	s_add_u32 s0, s0, s9
	s_addc_u32 s1, s1, 0
	s_mov_b32 s9, exec_lo
	v_cmpx_gt_u32_e32 14, v0
	s_cbranch_execz .LBB77_70
; %bb.1:
	s_clause 0x2
	s_load_dword s18, s[6:7], 0x38
	s_load_dwordx2 s[10:11], s[6:7], 0x0
	s_load_dwordx4 s[12:15], s[6:7], 0x28
	s_waitcnt lgkmcnt(0)
	s_bitcmp1_b32 s18, 8
	s_cselect_b32 s27, -1, 0
	s_ashr_i32 s9, s8, 31
	s_lshl_b64 s[16:17], s[8:9], 3
	s_add_u32 s10, s10, s16
	s_addc_u32 s11, s11, s17
	s_load_dwordx2 s[16:17], s[10:11], 0x0
	s_bfe_u32 s10, s18, 0x10008
	s_cmp_eq_u32 s10, 0
                                        ; implicit-def: $sgpr10_sgpr11
	s_cbranch_scc1 .LBB77_3
; %bb.2:
	s_clause 0x1
	s_load_dword s10, s[6:7], 0x20
	s_load_dwordx2 s[18:19], s[6:7], 0x18
	s_mul_i32 s11, s12, s9
	s_mul_hi_u32 s20, s12, s8
	s_mul_i32 s13, s13, s8
	s_add_i32 s11, s20, s11
	s_mul_i32 s12, s12, s8
	s_add_i32 s13, s11, s13
	s_lshl_b64 s[12:13], s[12:13], 2
	s_waitcnt lgkmcnt(0)
	s_ashr_i32 s11, s10, 31
	s_add_u32 s12, s18, s12
	s_addc_u32 s13, s19, s13
	s_lshl_b64 s[10:11], s[10:11], 2
	s_add_u32 s10, s12, s10
	s_addc_u32 s11, s13, s11
.LBB77_3:
	s_clause 0x1
	s_load_dwordx2 s[12:13], s[6:7], 0x8
	s_load_dword s6, s[6:7], 0x38
	v_lshlrev_b32_e32 v41, 4, v0
	s_movk_i32 s28, 0xa0
	s_movk_i32 s29, 0xb0
	;; [unrolled: 1-line block ×7, first 2 shown]
	s_mov_b32 s26, 16
	s_mov_b32 s25, 32
	s_mov_b32 s24, 48
	s_mov_b32 s23, 64
	s_waitcnt lgkmcnt(0)
	s_ashr_i32 s19, s12, 31
	s_mov_b32 s18, s12
	v_add3_u32 v13, s13, s13, v0
	s_lshl_b64 s[18:19], s[18:19], 4
	s_add_u32 s7, s16, s18
	s_addc_u32 s12, s17, s19
	v_add_co_u32 v7, s16, s7, v41
	v_add_co_ci_u32_e64 v8, null, s12, 0, s16
	s_mov_b32 s16, s13
	s_ashr_i32 s17, s13, 31
	v_ashrrev_i32_e32 v14, 31, v13
	flat_load_dwordx4 v[3:6], v[7:8]
	s_lshl_b64 s[16:17], s[16:17], 4
	v_add_nc_u32_e32 v15, s13, v13
	v_add_co_u32 v9, vcc_lo, v7, s16
	v_add_co_ci_u32_e64 v10, null, s17, v8, vcc_lo
	v_lshlrev_b64 v[11:12], 4, v[13:14]
	v_ashrrev_i32_e32 v16, 31, v15
	v_add_nc_u32_e32 v17, s13, v15
	s_movk_i32 s19, 0x80
	s_movk_i32 s18, 0x90
	s_mov_b32 s17, s28
	v_add_co_u32 v11, vcc_lo, s7, v11
	v_add_co_ci_u32_e64 v12, null, s12, v12, vcc_lo
	v_lshlrev_b64 v[13:14], 4, v[15:16]
	v_ashrrev_i32_e32 v18, 31, v17
	v_add_nc_u32_e32 v19, s13, v17
	s_mov_b32 s16, s29
	s_bitcmp0_b32 s6, 0
	s_waitcnt vmcnt(0) lgkmcnt(0)
	buffer_store_dword v6, off, s[0:3], 0 offset:12
	buffer_store_dword v5, off, s[0:3], 0 offset:8
	;; [unrolled: 1-line block ×3, first 2 shown]
	buffer_store_dword v3, off, s[0:3], 0
	flat_load_dwordx4 v[3:6], v[9:10]
	v_add_co_u32 v13, vcc_lo, s7, v13
	v_add_co_ci_u32_e64 v14, null, s12, v14, vcc_lo
	v_lshlrev_b64 v[15:16], 4, v[17:18]
	v_ashrrev_i32_e32 v20, 31, v19
	v_add_nc_u32_e32 v21, s13, v19
	s_waitcnt vmcnt(0) lgkmcnt(0)
	buffer_store_dword v6, off, s[0:3], 0 offset:28
	buffer_store_dword v5, off, s[0:3], 0 offset:24
	buffer_store_dword v4, off, s[0:3], 0 offset:20
	buffer_store_dword v3, off, s[0:3], 0 offset:16
	flat_load_dwordx4 v[3:6], v[11:12]
	v_add_co_u32 v15, vcc_lo, s7, v15
	v_add_co_ci_u32_e64 v16, null, s12, v16, vcc_lo
	v_lshlrev_b64 v[17:18], 4, v[19:20]
	v_ashrrev_i32_e32 v22, 31, v21
	v_add_nc_u32_e32 v23, s13, v21
	s_waitcnt vmcnt(0) lgkmcnt(0)
	buffer_store_dword v6, off, s[0:3], 0 offset:44
	buffer_store_dword v5, off, s[0:3], 0 offset:40
	buffer_store_dword v4, off, s[0:3], 0 offset:36
	buffer_store_dword v3, off, s[0:3], 0 offset:32
	;; [unrolled: 11-line block ×7, first 2 shown]
	flat_load_dwordx4 v[3:6], v[23:24]
	v_add_co_u32 v27, vcc_lo, s7, v27
	v_add_co_ci_u32_e64 v28, null, s12, v28, vcc_lo
	v_lshlrev_b64 v[29:30], 4, v[31:32]
	v_ashrrev_i32_e32 v34, 31, v33
	s_waitcnt vmcnt(0) lgkmcnt(0)
	buffer_store_dword v6, off, s[0:3], 0 offset:140
	buffer_store_dword v5, off, s[0:3], 0 offset:136
	;; [unrolled: 1-line block ×4, first 2 shown]
	flat_load_dwordx4 v[3:6], v[25:26]
	v_add_co_u32 v29, vcc_lo, s7, v29
	v_add_co_ci_u32_e64 v30, null, s12, v30, vcc_lo
	v_lshlrev_b64 v[31:32], 4, v[33:34]
	v_add_nc_u32_e32 v33, s13, v33
	s_mov_b32 s13, s30
	s_waitcnt vmcnt(0) lgkmcnt(0)
	buffer_store_dword v6, off, s[0:3], 0 offset:156
	buffer_store_dword v5, off, s[0:3], 0 offset:152
	;; [unrolled: 1-line block ×4, first 2 shown]
	flat_load_dwordx4 v[3:6], v[27:28]
	v_add_co_u32 v31, vcc_lo, s7, v31
	v_add_co_ci_u32_e64 v32, null, s12, v32, vcc_lo
	v_ashrrev_i32_e32 v34, 31, v33
	s_waitcnt vmcnt(0) lgkmcnt(0)
	buffer_store_dword v6, off, s[0:3], 0 offset:172
	buffer_store_dword v5, off, s[0:3], 0 offset:168
	;; [unrolled: 1-line block ×4, first 2 shown]
	flat_load_dwordx4 v[3:6], v[29:30]
	v_lshlrev_b64 v[33:34], 4, v[33:34]
	s_waitcnt vmcnt(0) lgkmcnt(0)
	buffer_store_dword v6, off, s[0:3], 0 offset:188
	buffer_store_dword v5, off, s[0:3], 0 offset:184
	;; [unrolled: 1-line block ×4, first 2 shown]
	flat_load_dwordx4 v[3:6], v[31:32]
	v_add_co_u32 v33, vcc_lo, s7, v33
	v_add_co_ci_u32_e64 v34, null, s12, v34, vcc_lo
	s_mov_b32 s7, -1
	s_mov_b32 s12, s31
	s_waitcnt vmcnt(0) lgkmcnt(0)
	buffer_store_dword v6, off, s[0:3], 0 offset:204
	buffer_store_dword v5, off, s[0:3], 0 offset:200
	;; [unrolled: 1-line block ×4, first 2 shown]
	flat_load_dwordx4 v[3:6], v[33:34]
	s_waitcnt vmcnt(0) lgkmcnt(0)
	buffer_store_dword v6, off, s[0:3], 0 offset:220
	buffer_store_dword v5, off, s[0:3], 0 offset:216
	;; [unrolled: 1-line block ×4, first 2 shown]
	s_cbranch_scc1 .LBB77_68
; %bb.4:
	v_cmp_eq_u32_e64 s6, 0, v0
	s_and_saveexec_b32 s7, s6
; %bb.5:
	v_mov_b32_e32 v3, 0
	ds_write_b32 v3, v3 offset:448
; %bb.6:
	s_or_b32 exec_lo, exec_lo, s7
	v_lshl_add_u32 v42, v0, 4, 0
	s_waitcnt lgkmcnt(0)
	s_waitcnt_vscnt null, 0x0
	s_barrier
	buffer_gl0_inv
	s_clause 0x3
	buffer_load_dword v3, v42, s[0:3], 0 offen
	buffer_load_dword v4, v42, s[0:3], 0 offen offset:4
	buffer_load_dword v5, v42, s[0:3], 0 offen offset:8
	;; [unrolled: 1-line block ×3, first 2 shown]
	s_waitcnt vmcnt(2)
	v_cmp_eq_f64_e32 vcc_lo, 0, v[3:4]
	s_waitcnt vmcnt(0)
	v_cmp_eq_f64_e64 s7, 0, v[5:6]
	s_and_b32 s7, vcc_lo, s7
	s_and_saveexec_b32 s28, s7
	s_cbranch_execz .LBB77_10
; %bb.7:
	v_mov_b32_e32 v3, 0
	s_mov_b32 s29, 0
	ds_read_b32 v4, v3 offset:448
	s_waitcnt lgkmcnt(0)
	v_readfirstlane_b32 s7, v4
	v_add_nc_u32_e32 v4, 1, v0
	s_cmp_eq_u32 s7, 0
	v_cmp_gt_i32_e32 vcc_lo, s7, v4
	s_cselect_b32 s30, -1, 0
	s_or_b32 s30, s30, vcc_lo
	s_and_b32 exec_lo, exec_lo, s30
	s_cbranch_execz .LBB77_10
; %bb.8:
	v_mov_b32_e32 v5, s7
.LBB77_9:                               ; =>This Inner Loop Header: Depth=1
	ds_cmpst_rtn_b32 v5, v3, v5, v4 offset:448
	s_waitcnt lgkmcnt(0)
	v_cmp_ne_u32_e32 vcc_lo, 0, v5
	v_cmp_le_i32_e64 s7, v5, v4
	s_and_b32 s7, vcc_lo, s7
	s_and_b32 s7, exec_lo, s7
	s_or_b32 s29, s7, s29
	s_andn2_b32 exec_lo, exec_lo, s29
	s_cbranch_execnz .LBB77_9
.LBB77_10:
	s_or_b32 exec_lo, exec_lo, s28
	v_mov_b32_e32 v3, 0
	s_barrier
	buffer_gl0_inv
	ds_read_b32 v4, v3 offset:448
	s_and_saveexec_b32 s7, s6
	s_cbranch_execz .LBB77_12
; %bb.11:
	s_lshl_b64 s[28:29], s[8:9], 2
	s_add_u32 s28, s14, s28
	s_addc_u32 s29, s15, s29
	s_waitcnt lgkmcnt(0)
	global_store_dword v3, v4, s[28:29]
.LBB77_12:
	s_or_b32 exec_lo, exec_lo, s7
	s_waitcnt lgkmcnt(0)
	v_cmp_ne_u32_e32 vcc_lo, 0, v4
	s_mov_b32 s7, 0
	s_cbranch_vccnz .LBB77_68
; %bb.13:
	s_clause 0x3
	buffer_load_dword v37, v42, s[0:3], 0 offen
	buffer_load_dword v38, v42, s[0:3], 0 offen offset:4
	buffer_load_dword v39, v42, s[0:3], 0 offen offset:8
	;; [unrolled: 1-line block ×3, first 2 shown]
                                        ; implicit-def: $vgpr35_vgpr36
                                        ; implicit-def: $vgpr5_vgpr6
	s_waitcnt vmcnt(0)
	v_cmp_ngt_f64_e64 s7, |v[37:38]|, |v[39:40]|
	s_and_saveexec_b32 s28, s7
	s_xor_b32 s7, exec_lo, s28
	s_cbranch_execz .LBB77_15
; %bb.14:
	v_div_scale_f64 v[3:4], null, v[39:40], v[39:40], v[37:38]
	v_div_scale_f64 v[43:44], vcc_lo, v[37:38], v[39:40], v[37:38]
	v_rcp_f64_e32 v[5:6], v[3:4]
	v_fma_f64 v[35:36], -v[3:4], v[5:6], 1.0
	v_fma_f64 v[5:6], v[5:6], v[35:36], v[5:6]
	v_fma_f64 v[35:36], -v[3:4], v[5:6], 1.0
	v_fma_f64 v[5:6], v[5:6], v[35:36], v[5:6]
	v_mul_f64 v[35:36], v[43:44], v[5:6]
	v_fma_f64 v[3:4], -v[3:4], v[35:36], v[43:44]
	v_div_fmas_f64 v[3:4], v[3:4], v[5:6], v[35:36]
	v_div_fixup_f64 v[3:4], v[3:4], v[39:40], v[37:38]
	v_fma_f64 v[5:6], v[37:38], v[3:4], v[39:40]
	v_div_scale_f64 v[35:36], null, v[5:6], v[5:6], 1.0
	v_div_scale_f64 v[43:44], vcc_lo, 1.0, v[5:6], 1.0
	v_rcp_f64_e32 v[37:38], v[35:36]
	v_fma_f64 v[39:40], -v[35:36], v[37:38], 1.0
	v_fma_f64 v[37:38], v[37:38], v[39:40], v[37:38]
	v_fma_f64 v[39:40], -v[35:36], v[37:38], 1.0
	v_fma_f64 v[37:38], v[37:38], v[39:40], v[37:38]
	v_mul_f64 v[39:40], v[43:44], v[37:38]
	v_fma_f64 v[35:36], -v[35:36], v[39:40], v[43:44]
	v_div_fmas_f64 v[35:36], v[35:36], v[37:38], v[39:40]
                                        ; implicit-def: $vgpr37_vgpr38
                                        ; implicit-def: $vgpr39_vgpr40
	v_div_fixup_f64 v[5:6], v[35:36], v[5:6], 1.0
	v_mul_f64 v[35:36], v[3:4], v[5:6]
	v_xor_b32_e32 v6, 0x80000000, v6
	v_xor_b32_e32 v4, 0x80000000, v36
	v_mov_b32_e32 v3, v35
.LBB77_15:
	s_andn2_saveexec_b32 s7, s7
	s_cbranch_execz .LBB77_17
; %bb.16:
	v_div_scale_f64 v[3:4], null, v[37:38], v[37:38], v[39:40]
	v_div_scale_f64 v[43:44], vcc_lo, v[39:40], v[37:38], v[39:40]
	v_rcp_f64_e32 v[5:6], v[3:4]
	v_fma_f64 v[35:36], -v[3:4], v[5:6], 1.0
	v_fma_f64 v[5:6], v[5:6], v[35:36], v[5:6]
	v_fma_f64 v[35:36], -v[3:4], v[5:6], 1.0
	v_fma_f64 v[5:6], v[5:6], v[35:36], v[5:6]
	v_mul_f64 v[35:36], v[43:44], v[5:6]
	v_fma_f64 v[3:4], -v[3:4], v[35:36], v[43:44]
	v_div_fmas_f64 v[3:4], v[3:4], v[5:6], v[35:36]
	v_div_fixup_f64 v[3:4], v[3:4], v[37:38], v[39:40]
	v_fma_f64 v[5:6], v[39:40], v[3:4], v[37:38]
	v_div_scale_f64 v[35:36], null, v[5:6], v[5:6], 1.0
	v_rcp_f64_e32 v[37:38], v[35:36]
	v_fma_f64 v[39:40], -v[35:36], v[37:38], 1.0
	v_fma_f64 v[37:38], v[37:38], v[39:40], v[37:38]
	v_fma_f64 v[39:40], -v[35:36], v[37:38], 1.0
	v_fma_f64 v[37:38], v[37:38], v[39:40], v[37:38]
	v_div_scale_f64 v[39:40], vcc_lo, 1.0, v[5:6], 1.0
	v_mul_f64 v[43:44], v[39:40], v[37:38]
	v_fma_f64 v[35:36], -v[35:36], v[43:44], v[39:40]
	v_div_fmas_f64 v[35:36], v[35:36], v[37:38], v[43:44]
	v_div_fixup_f64 v[35:36], v[35:36], v[5:6], 1.0
	v_mul_f64 v[5:6], v[3:4], -v[35:36]
	v_xor_b32_e32 v4, 0x80000000, v36
	v_mov_b32_e32 v3, v35
.LBB77_17:
	s_or_b32 exec_lo, exec_lo, s7
	v_mov_b32_e32 v40, s26
	buffer_store_dword v36, v42, s[0:3], 0 offen offset:4
	buffer_store_dword v35, v42, s[0:3], 0 offen
	buffer_store_dword v6, v42, s[0:3], 0 offen offset:12
	buffer_store_dword v5, v42, s[0:3], 0 offen offset:8
	v_xor_b32_e32 v6, 0x80000000, v6
	v_add_nc_u32_e32 v35, 0xe0, v41
	s_clause 0x3
	buffer_load_dword v39, v40, s[0:3], 0 offen offset:12
	buffer_load_dword v38, v40, s[0:3], 0 offen offset:8
	;; [unrolled: 1-line block ×3, first 2 shown]
	buffer_load_dword v36, v40, s[0:3], 0 offen
	ds_write_b128 v41, v[3:6]
	s_waitcnt vmcnt(0)
	ds_write_b128 v41, v[36:39] offset:224
	s_waitcnt lgkmcnt(0)
	s_waitcnt_vscnt null, 0x0
	s_barrier
	buffer_gl0_inv
	s_and_saveexec_b32 s7, s6
	s_cbranch_execz .LBB77_19
; %bb.18:
	s_clause 0x3
	buffer_load_dword v43, v42, s[0:3], 0 offen offset:8
	buffer_load_dword v44, v42, s[0:3], 0 offen offset:12
	buffer_load_dword v45, v42, s[0:3], 0 offen
	buffer_load_dword v46, v42, s[0:3], 0 offen offset:4
	ds_read_b128 v[3:6], v35
	v_mov_b32_e32 v36, 0
	ds_read_b128 v[36:39], v36 offset:16
	s_waitcnt vmcnt(2) lgkmcnt(1)
	v_mul_f64 v[47:48], v[3:4], v[43:44]
	v_mul_f64 v[43:44], v[5:6], v[43:44]
	s_waitcnt vmcnt(0)
	v_fma_f64 v[5:6], v[5:6], v[45:46], v[47:48]
	v_fma_f64 v[3:4], v[3:4], v[45:46], -v[43:44]
	v_add_f64 v[5:6], v[5:6], 0
	v_add_f64 v[3:4], v[3:4], 0
	s_waitcnt lgkmcnt(0)
	v_mul_f64 v[43:44], v[5:6], v[38:39]
	v_mul_f64 v[38:39], v[3:4], v[38:39]
	v_fma_f64 v[3:4], v[3:4], v[36:37], -v[43:44]
	v_fma_f64 v[5:6], v[5:6], v[36:37], v[38:39]
	buffer_store_dword v3, off, s[0:3], 0 offset:16
	buffer_store_dword v4, off, s[0:3], 0 offset:20
	;; [unrolled: 1-line block ×4, first 2 shown]
.LBB77_19:
	s_or_b32 exec_lo, exec_lo, s7
	v_mov_b32_e32 v6, s25
	s_waitcnt_vscnt null, 0x0
	s_barrier
	buffer_gl0_inv
	s_mov_b32 s7, exec_lo
	s_clause 0x3
	buffer_load_dword v3, v6, s[0:3], 0 offen
	buffer_load_dword v4, v6, s[0:3], 0 offen offset:4
	buffer_load_dword v5, v6, s[0:3], 0 offen offset:8
	;; [unrolled: 1-line block ×3, first 2 shown]
	s_waitcnt vmcnt(0)
	ds_write_b128 v35, v[3:6]
	s_waitcnt lgkmcnt(0)
	s_barrier
	buffer_gl0_inv
	v_cmpx_gt_u32_e32 2, v0
	s_cbranch_execz .LBB77_23
; %bb.20:
	s_clause 0x3
	buffer_load_dword v36, v42, s[0:3], 0 offen offset:8
	buffer_load_dword v37, v42, s[0:3], 0 offen offset:12
	buffer_load_dword v38, v42, s[0:3], 0 offen
	buffer_load_dword v39, v42, s[0:3], 0 offen offset:4
	ds_read_b128 v[3:6], v35
	s_waitcnt vmcnt(2) lgkmcnt(0)
	v_mul_f64 v[42:43], v[5:6], v[36:37]
	v_mul_f64 v[36:37], v[3:4], v[36:37]
	s_waitcnt vmcnt(0)
	v_fma_f64 v[3:4], v[3:4], v[38:39], -v[42:43]
	v_fma_f64 v[5:6], v[5:6], v[38:39], v[36:37]
	v_add_f64 v[3:4], v[3:4], 0
	v_add_f64 v[5:6], v[5:6], 0
	s_and_saveexec_b32 s28, s6
	s_cbranch_execz .LBB77_22
; %bb.21:
	s_clause 0x3
	buffer_load_dword v42, off, s[0:3], 0 offset:24
	buffer_load_dword v43, off, s[0:3], 0 offset:28
	;; [unrolled: 1-line block ×4, first 2 shown]
	v_mov_b32_e32 v36, 0
	ds_read_b128 v[36:39], v36 offset:240
	s_waitcnt vmcnt(2) lgkmcnt(0)
	v_mul_f64 v[46:47], v[36:37], v[42:43]
	v_mul_f64 v[42:43], v[38:39], v[42:43]
	s_waitcnt vmcnt(0)
	v_fma_f64 v[38:39], v[38:39], v[44:45], v[46:47]
	v_fma_f64 v[36:37], v[36:37], v[44:45], -v[42:43]
	v_add_f64 v[5:6], v[5:6], v[38:39]
	v_add_f64 v[3:4], v[3:4], v[36:37]
.LBB77_22:
	s_or_b32 exec_lo, exec_lo, s28
	v_mov_b32_e32 v36, 0
	ds_read_b128 v[36:39], v36 offset:32
	s_waitcnt lgkmcnt(0)
	v_mul_f64 v[42:43], v[5:6], v[38:39]
	v_mul_f64 v[38:39], v[3:4], v[38:39]
	v_fma_f64 v[3:4], v[3:4], v[36:37], -v[42:43]
	v_fma_f64 v[5:6], v[5:6], v[36:37], v[38:39]
	buffer_store_dword v4, off, s[0:3], 0 offset:36
	buffer_store_dword v3, off, s[0:3], 0 offset:32
	;; [unrolled: 1-line block ×4, first 2 shown]
.LBB77_23:
	s_or_b32 exec_lo, exec_lo, s7
	v_mov_b32_e32 v6, s24
	s_waitcnt_vscnt null, 0x0
	s_barrier
	buffer_gl0_inv
	v_add_nc_u32_e32 v36, -1, v0
	s_clause 0x3
	buffer_load_dword v3, v6, s[0:3], 0 offen
	buffer_load_dword v4, v6, s[0:3], 0 offen offset:4
	buffer_load_dword v5, v6, s[0:3], 0 offen offset:8
	;; [unrolled: 1-line block ×3, first 2 shown]
	s_mov_b32 s6, exec_lo
	s_waitcnt vmcnt(0)
	ds_write_b128 v35, v[3:6]
	s_waitcnt lgkmcnt(0)
	s_barrier
	buffer_gl0_inv
	v_cmpx_gt_u32_e32 3, v0
	s_cbranch_execz .LBB77_27
; %bb.24:
	v_mov_b32_e32 v3, 0
	v_mov_b32_e32 v5, 0
	v_add_nc_u32_e32 v37, -1, v0
	v_add_nc_u32_e32 v38, 0xe0, v41
	v_mov_b32_e32 v4, 0
	v_mov_b32_e32 v6, 0
	;; [unrolled: 1-line block ×3, first 2 shown]
	s_mov_b32 s7, 0
	.p2align	6
.LBB77_25:                              ; =>This Inner Loop Header: Depth=1
	s_clause 0x3
	buffer_load_dword v46, v39, s[0:3], 0 offen offset:8
	buffer_load_dword v47, v39, s[0:3], 0 offen offset:12
	buffer_load_dword v48, v39, s[0:3], 0 offen
	buffer_load_dword v49, v39, s[0:3], 0 offen offset:4
	ds_read_b128 v[42:45], v38
	v_add_nc_u32_e32 v37, 1, v37
	v_add_nc_u32_e32 v38, 16, v38
	;; [unrolled: 1-line block ×3, first 2 shown]
	v_cmp_lt_u32_e32 vcc_lo, 1, v37
	s_or_b32 s7, vcc_lo, s7
	s_waitcnt vmcnt(2) lgkmcnt(0)
	v_mul_f64 v[50:51], v[44:45], v[46:47]
	v_mul_f64 v[46:47], v[42:43], v[46:47]
	s_waitcnt vmcnt(0)
	v_fma_f64 v[42:43], v[42:43], v[48:49], -v[50:51]
	v_fma_f64 v[44:45], v[44:45], v[48:49], v[46:47]
	v_add_f64 v[5:6], v[5:6], v[42:43]
	v_add_f64 v[3:4], v[3:4], v[44:45]
	s_andn2_b32 exec_lo, exec_lo, s7
	s_cbranch_execnz .LBB77_25
; %bb.26:
	s_or_b32 exec_lo, exec_lo, s7
	v_mov_b32_e32 v37, 0
	ds_read_b128 v[37:40], v37 offset:48
	s_waitcnt lgkmcnt(0)
	v_mul_f64 v[42:43], v[3:4], v[39:40]
	v_mul_f64 v[39:40], v[5:6], v[39:40]
	v_fma_f64 v[5:6], v[5:6], v[37:38], -v[42:43]
	v_fma_f64 v[3:4], v[3:4], v[37:38], v[39:40]
	buffer_store_dword v6, off, s[0:3], 0 offset:52
	buffer_store_dword v5, off, s[0:3], 0 offset:48
	;; [unrolled: 1-line block ×4, first 2 shown]
.LBB77_27:
	s_or_b32 exec_lo, exec_lo, s6
	v_mov_b32_e32 v6, s23
	s_waitcnt_vscnt null, 0x0
	s_barrier
	buffer_gl0_inv
	s_mov_b32 s6, exec_lo
	s_clause 0x3
	buffer_load_dword v3, v6, s[0:3], 0 offen
	buffer_load_dword v4, v6, s[0:3], 0 offen offset:4
	buffer_load_dword v5, v6, s[0:3], 0 offen offset:8
	;; [unrolled: 1-line block ×3, first 2 shown]
	s_waitcnt vmcnt(0)
	ds_write_b128 v35, v[3:6]
	s_waitcnt lgkmcnt(0)
	s_barrier
	buffer_gl0_inv
	v_cmpx_gt_u32_e32 4, v0
	s_cbranch_execz .LBB77_31
; %bb.28:
	v_mov_b32_e32 v3, 0
	v_mov_b32_e32 v5, 0
	v_add_nc_u32_e32 v37, -1, v0
	v_add_nc_u32_e32 v38, 0xe0, v41
	v_mov_b32_e32 v4, 0
	v_mov_b32_e32 v6, 0
	;; [unrolled: 1-line block ×3, first 2 shown]
	s_mov_b32 s7, 0
	.p2align	6
.LBB77_29:                              ; =>This Inner Loop Header: Depth=1
	s_clause 0x3
	buffer_load_dword v46, v39, s[0:3], 0 offen offset:8
	buffer_load_dword v47, v39, s[0:3], 0 offen offset:12
	buffer_load_dword v48, v39, s[0:3], 0 offen
	buffer_load_dword v49, v39, s[0:3], 0 offen offset:4
	ds_read_b128 v[42:45], v38
	v_add_nc_u32_e32 v37, 1, v37
	v_add_nc_u32_e32 v38, 16, v38
	;; [unrolled: 1-line block ×3, first 2 shown]
	v_cmp_lt_u32_e32 vcc_lo, 2, v37
	s_or_b32 s7, vcc_lo, s7
	s_waitcnt vmcnt(2) lgkmcnt(0)
	v_mul_f64 v[50:51], v[44:45], v[46:47]
	v_mul_f64 v[46:47], v[42:43], v[46:47]
	s_waitcnt vmcnt(0)
	v_fma_f64 v[42:43], v[42:43], v[48:49], -v[50:51]
	v_fma_f64 v[44:45], v[44:45], v[48:49], v[46:47]
	v_add_f64 v[5:6], v[5:6], v[42:43]
	v_add_f64 v[3:4], v[3:4], v[44:45]
	s_andn2_b32 exec_lo, exec_lo, s7
	s_cbranch_execnz .LBB77_29
; %bb.30:
	s_or_b32 exec_lo, exec_lo, s7
	v_mov_b32_e32 v37, 0
	ds_read_b128 v[37:40], v37 offset:64
	s_waitcnt lgkmcnt(0)
	v_mul_f64 v[42:43], v[3:4], v[39:40]
	v_mul_f64 v[39:40], v[5:6], v[39:40]
	v_fma_f64 v[5:6], v[5:6], v[37:38], -v[42:43]
	v_fma_f64 v[3:4], v[3:4], v[37:38], v[39:40]
	buffer_store_dword v6, off, s[0:3], 0 offset:68
	buffer_store_dword v5, off, s[0:3], 0 offset:64
	;; [unrolled: 1-line block ×4, first 2 shown]
.LBB77_31:
	s_or_b32 exec_lo, exec_lo, s6
	v_mov_b32_e32 v6, s22
	s_waitcnt_vscnt null, 0x0
	s_barrier
	buffer_gl0_inv
	s_mov_b32 s6, exec_lo
	s_clause 0x3
	buffer_load_dword v3, v6, s[0:3], 0 offen
	buffer_load_dword v4, v6, s[0:3], 0 offen offset:4
	buffer_load_dword v5, v6, s[0:3], 0 offen offset:8
	buffer_load_dword v6, v6, s[0:3], 0 offen offset:12
	s_waitcnt vmcnt(0)
	ds_write_b128 v35, v[3:6]
	s_waitcnt lgkmcnt(0)
	s_barrier
	buffer_gl0_inv
	v_cmpx_gt_u32_e32 5, v0
	s_cbranch_execz .LBB77_35
; %bb.32:
	v_mov_b32_e32 v3, 0
	v_mov_b32_e32 v5, 0
	v_add_nc_u32_e32 v37, -1, v0
	v_add_nc_u32_e32 v38, 0xe0, v41
	v_mov_b32_e32 v4, 0
	v_mov_b32_e32 v6, 0
	;; [unrolled: 1-line block ×3, first 2 shown]
	s_mov_b32 s7, 0
	.p2align	6
.LBB77_33:                              ; =>This Inner Loop Header: Depth=1
	s_clause 0x3
	buffer_load_dword v46, v39, s[0:3], 0 offen offset:8
	buffer_load_dword v47, v39, s[0:3], 0 offen offset:12
	buffer_load_dword v48, v39, s[0:3], 0 offen
	buffer_load_dword v49, v39, s[0:3], 0 offen offset:4
	ds_read_b128 v[42:45], v38
	v_add_nc_u32_e32 v37, 1, v37
	v_add_nc_u32_e32 v38, 16, v38
	;; [unrolled: 1-line block ×3, first 2 shown]
	v_cmp_lt_u32_e32 vcc_lo, 3, v37
	s_or_b32 s7, vcc_lo, s7
	s_waitcnt vmcnt(2) lgkmcnt(0)
	v_mul_f64 v[50:51], v[44:45], v[46:47]
	v_mul_f64 v[46:47], v[42:43], v[46:47]
	s_waitcnt vmcnt(0)
	v_fma_f64 v[42:43], v[42:43], v[48:49], -v[50:51]
	v_fma_f64 v[44:45], v[44:45], v[48:49], v[46:47]
	v_add_f64 v[5:6], v[5:6], v[42:43]
	v_add_f64 v[3:4], v[3:4], v[44:45]
	s_andn2_b32 exec_lo, exec_lo, s7
	s_cbranch_execnz .LBB77_33
; %bb.34:
	s_or_b32 exec_lo, exec_lo, s7
	v_mov_b32_e32 v37, 0
	ds_read_b128 v[37:40], v37 offset:80
	s_waitcnt lgkmcnt(0)
	v_mul_f64 v[42:43], v[3:4], v[39:40]
	v_mul_f64 v[39:40], v[5:6], v[39:40]
	v_fma_f64 v[5:6], v[5:6], v[37:38], -v[42:43]
	v_fma_f64 v[3:4], v[3:4], v[37:38], v[39:40]
	buffer_store_dword v6, off, s[0:3], 0 offset:84
	buffer_store_dword v5, off, s[0:3], 0 offset:80
	;; [unrolled: 1-line block ×4, first 2 shown]
.LBB77_35:
	s_or_b32 exec_lo, exec_lo, s6
	v_mov_b32_e32 v6, s21
	s_waitcnt_vscnt null, 0x0
	s_barrier
	buffer_gl0_inv
	s_mov_b32 s6, exec_lo
	s_clause 0x3
	buffer_load_dword v3, v6, s[0:3], 0 offen
	buffer_load_dword v4, v6, s[0:3], 0 offen offset:4
	buffer_load_dword v5, v6, s[0:3], 0 offen offset:8
	;; [unrolled: 1-line block ×3, first 2 shown]
	s_waitcnt vmcnt(0)
	ds_write_b128 v35, v[3:6]
	s_waitcnt lgkmcnt(0)
	s_barrier
	buffer_gl0_inv
	v_cmpx_gt_u32_e32 6, v0
	s_cbranch_execz .LBB77_39
; %bb.36:
	v_mov_b32_e32 v3, 0
	v_mov_b32_e32 v5, 0
	v_add_nc_u32_e32 v37, -1, v0
	v_add_nc_u32_e32 v38, 0xe0, v41
	v_mov_b32_e32 v4, 0
	v_mov_b32_e32 v6, 0
	;; [unrolled: 1-line block ×3, first 2 shown]
	s_mov_b32 s7, 0
	.p2align	6
.LBB77_37:                              ; =>This Inner Loop Header: Depth=1
	s_clause 0x3
	buffer_load_dword v46, v39, s[0:3], 0 offen offset:8
	buffer_load_dword v47, v39, s[0:3], 0 offen offset:12
	buffer_load_dword v48, v39, s[0:3], 0 offen
	buffer_load_dword v49, v39, s[0:3], 0 offen offset:4
	ds_read_b128 v[42:45], v38
	v_add_nc_u32_e32 v37, 1, v37
	v_add_nc_u32_e32 v38, 16, v38
	;; [unrolled: 1-line block ×3, first 2 shown]
	v_cmp_lt_u32_e32 vcc_lo, 4, v37
	s_or_b32 s7, vcc_lo, s7
	s_waitcnt vmcnt(2) lgkmcnt(0)
	v_mul_f64 v[50:51], v[44:45], v[46:47]
	v_mul_f64 v[46:47], v[42:43], v[46:47]
	s_waitcnt vmcnt(0)
	v_fma_f64 v[42:43], v[42:43], v[48:49], -v[50:51]
	v_fma_f64 v[44:45], v[44:45], v[48:49], v[46:47]
	v_add_f64 v[5:6], v[5:6], v[42:43]
	v_add_f64 v[3:4], v[3:4], v[44:45]
	s_andn2_b32 exec_lo, exec_lo, s7
	s_cbranch_execnz .LBB77_37
; %bb.38:
	s_or_b32 exec_lo, exec_lo, s7
	v_mov_b32_e32 v37, 0
	ds_read_b128 v[37:40], v37 offset:96
	s_waitcnt lgkmcnt(0)
	v_mul_f64 v[42:43], v[3:4], v[39:40]
	v_mul_f64 v[39:40], v[5:6], v[39:40]
	v_fma_f64 v[5:6], v[5:6], v[37:38], -v[42:43]
	v_fma_f64 v[3:4], v[3:4], v[37:38], v[39:40]
	buffer_store_dword v6, off, s[0:3], 0 offset:100
	buffer_store_dword v5, off, s[0:3], 0 offset:96
	;; [unrolled: 1-line block ×4, first 2 shown]
.LBB77_39:
	s_or_b32 exec_lo, exec_lo, s6
	v_mov_b32_e32 v6, s20
	s_waitcnt_vscnt null, 0x0
	s_barrier
	buffer_gl0_inv
	s_mov_b32 s6, exec_lo
	s_clause 0x3
	buffer_load_dword v3, v6, s[0:3], 0 offen
	buffer_load_dword v4, v6, s[0:3], 0 offen offset:4
	buffer_load_dword v5, v6, s[0:3], 0 offen offset:8
	;; [unrolled: 1-line block ×3, first 2 shown]
	s_waitcnt vmcnt(0)
	ds_write_b128 v35, v[3:6]
	s_waitcnt lgkmcnt(0)
	s_barrier
	buffer_gl0_inv
	v_cmpx_gt_u32_e32 7, v0
	s_cbranch_execz .LBB77_43
; %bb.40:
	v_mov_b32_e32 v3, 0
	v_mov_b32_e32 v5, 0
	v_add_nc_u32_e32 v37, -1, v0
	v_add_nc_u32_e32 v38, 0xe0, v41
	v_mov_b32_e32 v4, 0
	v_mov_b32_e32 v6, 0
	;; [unrolled: 1-line block ×3, first 2 shown]
	s_mov_b32 s7, 0
	.p2align	6
.LBB77_41:                              ; =>This Inner Loop Header: Depth=1
	s_clause 0x3
	buffer_load_dword v46, v39, s[0:3], 0 offen offset:8
	buffer_load_dword v47, v39, s[0:3], 0 offen offset:12
	buffer_load_dword v48, v39, s[0:3], 0 offen
	buffer_load_dword v49, v39, s[0:3], 0 offen offset:4
	ds_read_b128 v[42:45], v38
	v_add_nc_u32_e32 v37, 1, v37
	v_add_nc_u32_e32 v38, 16, v38
	;; [unrolled: 1-line block ×3, first 2 shown]
	v_cmp_lt_u32_e32 vcc_lo, 5, v37
	s_or_b32 s7, vcc_lo, s7
	s_waitcnt vmcnt(2) lgkmcnt(0)
	v_mul_f64 v[50:51], v[44:45], v[46:47]
	v_mul_f64 v[46:47], v[42:43], v[46:47]
	s_waitcnt vmcnt(0)
	v_fma_f64 v[42:43], v[42:43], v[48:49], -v[50:51]
	v_fma_f64 v[44:45], v[44:45], v[48:49], v[46:47]
	v_add_f64 v[5:6], v[5:6], v[42:43]
	v_add_f64 v[3:4], v[3:4], v[44:45]
	s_andn2_b32 exec_lo, exec_lo, s7
	s_cbranch_execnz .LBB77_41
; %bb.42:
	s_or_b32 exec_lo, exec_lo, s7
	v_mov_b32_e32 v37, 0
	ds_read_b128 v[37:40], v37 offset:112
	s_waitcnt lgkmcnt(0)
	v_mul_f64 v[42:43], v[3:4], v[39:40]
	v_mul_f64 v[39:40], v[5:6], v[39:40]
	v_fma_f64 v[5:6], v[5:6], v[37:38], -v[42:43]
	v_fma_f64 v[3:4], v[3:4], v[37:38], v[39:40]
	buffer_store_dword v6, off, s[0:3], 0 offset:116
	buffer_store_dword v5, off, s[0:3], 0 offset:112
	;; [unrolled: 1-line block ×4, first 2 shown]
.LBB77_43:
	s_or_b32 exec_lo, exec_lo, s6
	v_mov_b32_e32 v6, s19
	s_waitcnt_vscnt null, 0x0
	s_barrier
	buffer_gl0_inv
	s_mov_b32 s6, exec_lo
	s_clause 0x3
	buffer_load_dword v3, v6, s[0:3], 0 offen
	buffer_load_dword v4, v6, s[0:3], 0 offen offset:4
	buffer_load_dword v5, v6, s[0:3], 0 offen offset:8
	;; [unrolled: 1-line block ×3, first 2 shown]
	s_waitcnt vmcnt(0)
	ds_write_b128 v35, v[3:6]
	s_waitcnt lgkmcnt(0)
	s_barrier
	buffer_gl0_inv
	v_cmpx_gt_u32_e32 8, v0
	s_cbranch_execz .LBB77_47
; %bb.44:
	v_mov_b32_e32 v3, 0
	v_mov_b32_e32 v5, 0
	v_add_nc_u32_e32 v37, -1, v0
	v_add_nc_u32_e32 v38, 0xe0, v41
	v_mov_b32_e32 v4, 0
	v_mov_b32_e32 v6, 0
	;; [unrolled: 1-line block ×3, first 2 shown]
	s_mov_b32 s7, 0
	.p2align	6
.LBB77_45:                              ; =>This Inner Loop Header: Depth=1
	s_clause 0x3
	buffer_load_dword v46, v39, s[0:3], 0 offen offset:8
	buffer_load_dword v47, v39, s[0:3], 0 offen offset:12
	buffer_load_dword v48, v39, s[0:3], 0 offen
	buffer_load_dword v49, v39, s[0:3], 0 offen offset:4
	ds_read_b128 v[42:45], v38
	v_add_nc_u32_e32 v37, 1, v37
	v_add_nc_u32_e32 v38, 16, v38
	;; [unrolled: 1-line block ×3, first 2 shown]
	v_cmp_lt_u32_e32 vcc_lo, 6, v37
	s_or_b32 s7, vcc_lo, s7
	s_waitcnt vmcnt(2) lgkmcnt(0)
	v_mul_f64 v[50:51], v[44:45], v[46:47]
	v_mul_f64 v[46:47], v[42:43], v[46:47]
	s_waitcnt vmcnt(0)
	v_fma_f64 v[42:43], v[42:43], v[48:49], -v[50:51]
	v_fma_f64 v[44:45], v[44:45], v[48:49], v[46:47]
	v_add_f64 v[5:6], v[5:6], v[42:43]
	v_add_f64 v[3:4], v[3:4], v[44:45]
	s_andn2_b32 exec_lo, exec_lo, s7
	s_cbranch_execnz .LBB77_45
; %bb.46:
	s_or_b32 exec_lo, exec_lo, s7
	v_mov_b32_e32 v37, 0
	ds_read_b128 v[37:40], v37 offset:128
	s_waitcnt lgkmcnt(0)
	v_mul_f64 v[42:43], v[3:4], v[39:40]
	v_mul_f64 v[39:40], v[5:6], v[39:40]
	v_fma_f64 v[5:6], v[5:6], v[37:38], -v[42:43]
	v_fma_f64 v[3:4], v[3:4], v[37:38], v[39:40]
	buffer_store_dword v6, off, s[0:3], 0 offset:132
	buffer_store_dword v5, off, s[0:3], 0 offset:128
	;; [unrolled: 1-line block ×4, first 2 shown]
.LBB77_47:
	s_or_b32 exec_lo, exec_lo, s6
	v_mov_b32_e32 v6, s18
	s_waitcnt_vscnt null, 0x0
	s_barrier
	buffer_gl0_inv
	s_mov_b32 s6, exec_lo
	s_clause 0x3
	buffer_load_dword v3, v6, s[0:3], 0 offen
	buffer_load_dword v4, v6, s[0:3], 0 offen offset:4
	buffer_load_dword v5, v6, s[0:3], 0 offen offset:8
	;; [unrolled: 1-line block ×3, first 2 shown]
	s_waitcnt vmcnt(0)
	ds_write_b128 v35, v[3:6]
	s_waitcnt lgkmcnt(0)
	s_barrier
	buffer_gl0_inv
	v_cmpx_gt_u32_e32 9, v0
	s_cbranch_execz .LBB77_51
; %bb.48:
	v_mov_b32_e32 v3, 0
	v_mov_b32_e32 v5, 0
	v_add_nc_u32_e32 v37, -1, v0
	v_add_nc_u32_e32 v38, 0xe0, v41
	v_mov_b32_e32 v4, 0
	v_mov_b32_e32 v6, 0
	;; [unrolled: 1-line block ×3, first 2 shown]
	s_mov_b32 s7, 0
	.p2align	6
.LBB77_49:                              ; =>This Inner Loop Header: Depth=1
	s_clause 0x3
	buffer_load_dword v46, v39, s[0:3], 0 offen offset:8
	buffer_load_dword v47, v39, s[0:3], 0 offen offset:12
	buffer_load_dword v48, v39, s[0:3], 0 offen
	buffer_load_dword v49, v39, s[0:3], 0 offen offset:4
	ds_read_b128 v[42:45], v38
	v_add_nc_u32_e32 v37, 1, v37
	v_add_nc_u32_e32 v38, 16, v38
	;; [unrolled: 1-line block ×3, first 2 shown]
	v_cmp_lt_u32_e32 vcc_lo, 7, v37
	s_or_b32 s7, vcc_lo, s7
	s_waitcnt vmcnt(2) lgkmcnt(0)
	v_mul_f64 v[50:51], v[44:45], v[46:47]
	v_mul_f64 v[46:47], v[42:43], v[46:47]
	s_waitcnt vmcnt(0)
	v_fma_f64 v[42:43], v[42:43], v[48:49], -v[50:51]
	v_fma_f64 v[44:45], v[44:45], v[48:49], v[46:47]
	v_add_f64 v[5:6], v[5:6], v[42:43]
	v_add_f64 v[3:4], v[3:4], v[44:45]
	s_andn2_b32 exec_lo, exec_lo, s7
	s_cbranch_execnz .LBB77_49
; %bb.50:
	s_or_b32 exec_lo, exec_lo, s7
	v_mov_b32_e32 v37, 0
	ds_read_b128 v[37:40], v37 offset:144
	s_waitcnt lgkmcnt(0)
	v_mul_f64 v[42:43], v[3:4], v[39:40]
	v_mul_f64 v[39:40], v[5:6], v[39:40]
	v_fma_f64 v[5:6], v[5:6], v[37:38], -v[42:43]
	v_fma_f64 v[3:4], v[3:4], v[37:38], v[39:40]
	buffer_store_dword v6, off, s[0:3], 0 offset:148
	buffer_store_dword v5, off, s[0:3], 0 offset:144
	buffer_store_dword v4, off, s[0:3], 0 offset:156
	buffer_store_dword v3, off, s[0:3], 0 offset:152
.LBB77_51:
	s_or_b32 exec_lo, exec_lo, s6
	v_mov_b32_e32 v6, s17
	s_waitcnt_vscnt null, 0x0
	s_barrier
	buffer_gl0_inv
	s_mov_b32 s6, exec_lo
	s_clause 0x3
	buffer_load_dword v3, v6, s[0:3], 0 offen
	buffer_load_dword v4, v6, s[0:3], 0 offen offset:4
	buffer_load_dword v5, v6, s[0:3], 0 offen offset:8
	;; [unrolled: 1-line block ×3, first 2 shown]
	s_waitcnt vmcnt(0)
	ds_write_b128 v35, v[3:6]
	s_waitcnt lgkmcnt(0)
	s_barrier
	buffer_gl0_inv
	v_cmpx_gt_u32_e32 10, v0
	s_cbranch_execz .LBB77_55
; %bb.52:
	v_mov_b32_e32 v3, 0
	v_mov_b32_e32 v5, 0
	v_add_nc_u32_e32 v37, -1, v0
	v_add_nc_u32_e32 v38, 0xe0, v41
	v_mov_b32_e32 v4, 0
	v_mov_b32_e32 v6, 0
	;; [unrolled: 1-line block ×3, first 2 shown]
	s_mov_b32 s7, 0
	.p2align	6
.LBB77_53:                              ; =>This Inner Loop Header: Depth=1
	s_clause 0x3
	buffer_load_dword v46, v39, s[0:3], 0 offen offset:8
	buffer_load_dword v47, v39, s[0:3], 0 offen offset:12
	buffer_load_dword v48, v39, s[0:3], 0 offen
	buffer_load_dword v49, v39, s[0:3], 0 offen offset:4
	ds_read_b128 v[42:45], v38
	v_add_nc_u32_e32 v37, 1, v37
	v_add_nc_u32_e32 v38, 16, v38
	;; [unrolled: 1-line block ×3, first 2 shown]
	v_cmp_lt_u32_e32 vcc_lo, 8, v37
	s_or_b32 s7, vcc_lo, s7
	s_waitcnt vmcnt(2) lgkmcnt(0)
	v_mul_f64 v[50:51], v[44:45], v[46:47]
	v_mul_f64 v[46:47], v[42:43], v[46:47]
	s_waitcnt vmcnt(0)
	v_fma_f64 v[42:43], v[42:43], v[48:49], -v[50:51]
	v_fma_f64 v[44:45], v[44:45], v[48:49], v[46:47]
	v_add_f64 v[5:6], v[5:6], v[42:43]
	v_add_f64 v[3:4], v[3:4], v[44:45]
	s_andn2_b32 exec_lo, exec_lo, s7
	s_cbranch_execnz .LBB77_53
; %bb.54:
	s_or_b32 exec_lo, exec_lo, s7
	v_mov_b32_e32 v37, 0
	ds_read_b128 v[37:40], v37 offset:160
	s_waitcnt lgkmcnt(0)
	v_mul_f64 v[42:43], v[3:4], v[39:40]
	v_mul_f64 v[39:40], v[5:6], v[39:40]
	v_fma_f64 v[5:6], v[5:6], v[37:38], -v[42:43]
	v_fma_f64 v[3:4], v[3:4], v[37:38], v[39:40]
	buffer_store_dword v6, off, s[0:3], 0 offset:164
	buffer_store_dword v5, off, s[0:3], 0 offset:160
	;; [unrolled: 1-line block ×4, first 2 shown]
.LBB77_55:
	s_or_b32 exec_lo, exec_lo, s6
	v_mov_b32_e32 v6, s16
	s_waitcnt_vscnt null, 0x0
	s_barrier
	buffer_gl0_inv
	s_mov_b32 s6, exec_lo
	s_clause 0x3
	buffer_load_dword v3, v6, s[0:3], 0 offen
	buffer_load_dword v4, v6, s[0:3], 0 offen offset:4
	buffer_load_dword v5, v6, s[0:3], 0 offen offset:8
	;; [unrolled: 1-line block ×3, first 2 shown]
	s_waitcnt vmcnt(0)
	ds_write_b128 v35, v[3:6]
	s_waitcnt lgkmcnt(0)
	s_barrier
	buffer_gl0_inv
	v_cmpx_gt_u32_e32 11, v0
	s_cbranch_execz .LBB77_59
; %bb.56:
	v_mov_b32_e32 v3, 0
	v_mov_b32_e32 v5, 0
	v_add_nc_u32_e32 v37, -1, v0
	v_add_nc_u32_e32 v38, 0xe0, v41
	v_mov_b32_e32 v4, 0
	v_mov_b32_e32 v6, 0
	;; [unrolled: 1-line block ×3, first 2 shown]
	s_mov_b32 s7, 0
	.p2align	6
.LBB77_57:                              ; =>This Inner Loop Header: Depth=1
	s_clause 0x3
	buffer_load_dword v46, v39, s[0:3], 0 offen offset:8
	buffer_load_dword v47, v39, s[0:3], 0 offen offset:12
	buffer_load_dword v48, v39, s[0:3], 0 offen
	buffer_load_dword v49, v39, s[0:3], 0 offen offset:4
	ds_read_b128 v[42:45], v38
	v_add_nc_u32_e32 v37, 1, v37
	v_add_nc_u32_e32 v38, 16, v38
	;; [unrolled: 1-line block ×3, first 2 shown]
	v_cmp_lt_u32_e32 vcc_lo, 9, v37
	s_or_b32 s7, vcc_lo, s7
	s_waitcnt vmcnt(2) lgkmcnt(0)
	v_mul_f64 v[50:51], v[44:45], v[46:47]
	v_mul_f64 v[46:47], v[42:43], v[46:47]
	s_waitcnt vmcnt(0)
	v_fma_f64 v[42:43], v[42:43], v[48:49], -v[50:51]
	v_fma_f64 v[44:45], v[44:45], v[48:49], v[46:47]
	v_add_f64 v[5:6], v[5:6], v[42:43]
	v_add_f64 v[3:4], v[3:4], v[44:45]
	s_andn2_b32 exec_lo, exec_lo, s7
	s_cbranch_execnz .LBB77_57
; %bb.58:
	s_or_b32 exec_lo, exec_lo, s7
	v_mov_b32_e32 v37, 0
	ds_read_b128 v[37:40], v37 offset:176
	s_waitcnt lgkmcnt(0)
	v_mul_f64 v[42:43], v[3:4], v[39:40]
	v_mul_f64 v[39:40], v[5:6], v[39:40]
	v_fma_f64 v[5:6], v[5:6], v[37:38], -v[42:43]
	v_fma_f64 v[3:4], v[3:4], v[37:38], v[39:40]
	buffer_store_dword v6, off, s[0:3], 0 offset:180
	buffer_store_dword v5, off, s[0:3], 0 offset:176
	;; [unrolled: 1-line block ×4, first 2 shown]
.LBB77_59:
	s_or_b32 exec_lo, exec_lo, s6
	v_mov_b32_e32 v6, s13
	s_waitcnt_vscnt null, 0x0
	s_barrier
	buffer_gl0_inv
	s_mov_b32 s6, exec_lo
	s_clause 0x3
	buffer_load_dword v3, v6, s[0:3], 0 offen
	buffer_load_dword v4, v6, s[0:3], 0 offen offset:4
	buffer_load_dword v5, v6, s[0:3], 0 offen offset:8
	;; [unrolled: 1-line block ×3, first 2 shown]
	s_waitcnt vmcnt(0)
	ds_write_b128 v35, v[3:6]
	s_waitcnt lgkmcnt(0)
	s_barrier
	buffer_gl0_inv
	v_cmpx_gt_u32_e32 12, v0
	s_cbranch_execz .LBB77_63
; %bb.60:
	v_mov_b32_e32 v3, 0
	v_mov_b32_e32 v5, 0
	v_add_nc_u32_e32 v37, -1, v0
	v_add_nc_u32_e32 v38, 0xe0, v41
	v_mov_b32_e32 v4, 0
	v_mov_b32_e32 v6, 0
	;; [unrolled: 1-line block ×3, first 2 shown]
	s_mov_b32 s7, 0
	.p2align	6
.LBB77_61:                              ; =>This Inner Loop Header: Depth=1
	s_clause 0x3
	buffer_load_dword v46, v39, s[0:3], 0 offen offset:8
	buffer_load_dword v47, v39, s[0:3], 0 offen offset:12
	buffer_load_dword v48, v39, s[0:3], 0 offen
	buffer_load_dword v49, v39, s[0:3], 0 offen offset:4
	ds_read_b128 v[42:45], v38
	v_add_nc_u32_e32 v37, 1, v37
	v_add_nc_u32_e32 v38, 16, v38
	;; [unrolled: 1-line block ×3, first 2 shown]
	v_cmp_lt_u32_e32 vcc_lo, 10, v37
	s_or_b32 s7, vcc_lo, s7
	s_waitcnt vmcnt(2) lgkmcnt(0)
	v_mul_f64 v[50:51], v[44:45], v[46:47]
	v_mul_f64 v[46:47], v[42:43], v[46:47]
	s_waitcnt vmcnt(0)
	v_fma_f64 v[42:43], v[42:43], v[48:49], -v[50:51]
	v_fma_f64 v[44:45], v[44:45], v[48:49], v[46:47]
	v_add_f64 v[5:6], v[5:6], v[42:43]
	v_add_f64 v[3:4], v[3:4], v[44:45]
	s_andn2_b32 exec_lo, exec_lo, s7
	s_cbranch_execnz .LBB77_61
; %bb.62:
	s_or_b32 exec_lo, exec_lo, s7
	v_mov_b32_e32 v37, 0
	ds_read_b128 v[37:40], v37 offset:192
	s_waitcnt lgkmcnt(0)
	v_mul_f64 v[42:43], v[3:4], v[39:40]
	v_mul_f64 v[39:40], v[5:6], v[39:40]
	v_fma_f64 v[5:6], v[5:6], v[37:38], -v[42:43]
	v_fma_f64 v[3:4], v[3:4], v[37:38], v[39:40]
	buffer_store_dword v6, off, s[0:3], 0 offset:196
	buffer_store_dword v5, off, s[0:3], 0 offset:192
	buffer_store_dword v4, off, s[0:3], 0 offset:204
	buffer_store_dword v3, off, s[0:3], 0 offset:200
.LBB77_63:
	s_or_b32 exec_lo, exec_lo, s6
	v_mov_b32_e32 v6, s12
	s_waitcnt_vscnt null, 0x0
	s_barrier
	buffer_gl0_inv
	s_mov_b32 s6, exec_lo
	s_clause 0x3
	buffer_load_dword v3, v6, s[0:3], 0 offen
	buffer_load_dword v4, v6, s[0:3], 0 offen offset:4
	buffer_load_dword v5, v6, s[0:3], 0 offen offset:8
	;; [unrolled: 1-line block ×3, first 2 shown]
	s_waitcnt vmcnt(0)
	ds_write_b128 v35, v[3:6]
	s_waitcnt lgkmcnt(0)
	s_barrier
	buffer_gl0_inv
	v_cmpx_ne_u32_e32 13, v0
	s_cbranch_execz .LBB77_67
; %bb.64:
	v_mov_b32_e32 v3, 0
	v_mov_b32_e32 v5, 0
	;; [unrolled: 1-line block ×5, first 2 shown]
	s_mov_b32 s7, 0
	.p2align	6
.LBB77_65:                              ; =>This Inner Loop Header: Depth=1
	s_clause 0x3
	buffer_load_dword v42, v37, s[0:3], 0 offen offset:8
	buffer_load_dword v43, v37, s[0:3], 0 offen offset:12
	buffer_load_dword v44, v37, s[0:3], 0 offen
	buffer_load_dword v45, v37, s[0:3], 0 offen offset:4
	ds_read_b128 v[38:41], v35
	v_add_nc_u32_e32 v36, 1, v36
	v_add_nc_u32_e32 v35, 16, v35
	;; [unrolled: 1-line block ×3, first 2 shown]
	v_cmp_lt_u32_e32 vcc_lo, 11, v36
	s_or_b32 s7, vcc_lo, s7
	s_waitcnt vmcnt(2) lgkmcnt(0)
	v_mul_f64 v[46:47], v[40:41], v[42:43]
	v_mul_f64 v[42:43], v[38:39], v[42:43]
	s_waitcnt vmcnt(0)
	v_fma_f64 v[38:39], v[38:39], v[44:45], -v[46:47]
	v_fma_f64 v[40:41], v[40:41], v[44:45], v[42:43]
	v_add_f64 v[5:6], v[5:6], v[38:39]
	v_add_f64 v[3:4], v[3:4], v[40:41]
	s_andn2_b32 exec_lo, exec_lo, s7
	s_cbranch_execnz .LBB77_65
; %bb.66:
	s_or_b32 exec_lo, exec_lo, s7
	v_mov_b32_e32 v35, 0
	ds_read_b128 v[35:38], v35 offset:208
	s_waitcnt lgkmcnt(0)
	v_mul_f64 v[39:40], v[3:4], v[37:38]
	v_mul_f64 v[37:38], v[5:6], v[37:38]
	v_fma_f64 v[5:6], v[5:6], v[35:36], -v[39:40]
	v_fma_f64 v[3:4], v[3:4], v[35:36], v[37:38]
	buffer_store_dword v6, off, s[0:3], 0 offset:212
	buffer_store_dword v5, off, s[0:3], 0 offset:208
	;; [unrolled: 1-line block ×4, first 2 shown]
.LBB77_67:
	s_or_b32 exec_lo, exec_lo, s6
	s_mov_b32 s7, -1
	s_waitcnt_vscnt null, 0x0
	s_barrier
	buffer_gl0_inv
.LBB77_68:
	s_and_b32 vcc_lo, exec_lo, s7
	s_cbranch_vccz .LBB77_70
; %bb.69:
	s_lshl_b64 s[6:7], s[8:9], 2
	v_mov_b32_e32 v3, 0
	s_add_u32 s6, s14, s6
	s_addc_u32 s7, s15, s7
	global_load_dword v3, v3, s[6:7]
	s_waitcnt vmcnt(0)
	v_cmp_ne_u32_e32 vcc_lo, 0, v3
	s_cbranch_vccz .LBB77_71
.LBB77_70:
	s_endpgm
.LBB77_71:
	v_lshl_add_u32 v3, v0, 4, 0xe0
	s_mov_b32 s6, exec_lo
	v_cmpx_eq_u32_e32 13, v0
	s_cbranch_execz .LBB77_73
; %bb.72:
	v_mov_b32_e32 v4, s13
	s_clause 0x3
	buffer_load_dword v35, v4, s[0:3], 0 offen
	buffer_load_dword v36, v4, s[0:3], 0 offen offset:4
	buffer_load_dword v37, v4, s[0:3], 0 offen offset:8
	buffer_load_dword v38, v4, s[0:3], 0 offen offset:12
	v_mov_b32_e32 v4, 0
	buffer_store_dword v4, off, s[0:3], 0 offset:192
	buffer_store_dword v4, off, s[0:3], 0 offset:196
	;; [unrolled: 1-line block ×4, first 2 shown]
	s_waitcnt vmcnt(0)
	ds_write_b128 v3, v[35:38]
.LBB77_73:
	s_or_b32 exec_lo, exec_lo, s6
	s_waitcnt lgkmcnt(0)
	s_waitcnt_vscnt null, 0x0
	s_barrier
	buffer_gl0_inv
	s_clause 0x7
	buffer_load_dword v5, off, s[0:3], 0 offset:216
	buffer_load_dword v6, off, s[0:3], 0 offset:220
	;; [unrolled: 1-line block ×8, first 2 shown]
	v_mov_b32_e32 v4, 0
	s_mov_b32 s6, exec_lo
	ds_read_b128 v[35:38], v4 offset:432
	s_waitcnt vmcnt(6) lgkmcnt(0)
	v_mul_f64 v[45:46], v[37:38], v[5:6]
	v_mul_f64 v[5:6], v[35:36], v[5:6]
	s_waitcnt vmcnt(4)
	v_fma_f64 v[35:36], v[35:36], v[39:40], -v[45:46]
	v_fma_f64 v[5:6], v[37:38], v[39:40], v[5:6]
	v_add_f64 v[35:36], v[35:36], 0
	v_add_f64 v[5:6], v[5:6], 0
	s_waitcnt vmcnt(2)
	v_add_f64 v[35:36], v[41:42], -v[35:36]
	s_waitcnt vmcnt(0)
	v_add_f64 v[5:6], v[43:44], -v[5:6]
	buffer_store_dword v35, off, s[0:3], 0 offset:192
	buffer_store_dword v36, off, s[0:3], 0 offset:196
	;; [unrolled: 1-line block ×4, first 2 shown]
	v_cmpx_lt_u32_e32 11, v0
	s_cbranch_execz .LBB77_75
; %bb.74:
	v_mov_b32_e32 v5, s16
	s_clause 0x3
	buffer_load_dword v35, v5, s[0:3], 0 offen
	buffer_load_dword v36, v5, s[0:3], 0 offen offset:4
	buffer_load_dword v37, v5, s[0:3], 0 offen offset:8
	;; [unrolled: 1-line block ×3, first 2 shown]
	buffer_store_dword v4, off, s[0:3], 0 offset:176
	buffer_store_dword v4, off, s[0:3], 0 offset:180
	;; [unrolled: 1-line block ×4, first 2 shown]
	s_waitcnt vmcnt(0)
	ds_write_b128 v3, v[35:38]
.LBB77_75:
	s_or_b32 exec_lo, exec_lo, s6
	s_waitcnt lgkmcnt(0)
	s_waitcnt_vscnt null, 0x0
	s_barrier
	buffer_gl0_inv
	s_clause 0xb
	buffer_load_dword v5, off, s[0:3], 0 offset:200
	buffer_load_dword v6, off, s[0:3], 0 offset:204
	;; [unrolled: 1-line block ×12, first 2 shown]
	ds_read_b128 v[35:38], v4 offset:416
	ds_read_b128 v[39:42], v4 offset:432
	s_mov_b32 s6, exec_lo
	s_waitcnt vmcnt(10) lgkmcnt(1)
	v_mul_f64 v[53:54], v[37:38], v[5:6]
	v_mul_f64 v[4:5], v[35:36], v[5:6]
	s_waitcnt vmcnt(8) lgkmcnt(0)
	v_mul_f64 v[55:56], v[41:42], v[43:44]
	v_mul_f64 v[43:44], v[39:40], v[43:44]
	s_waitcnt vmcnt(6)
	v_fma_f64 v[35:36], v[35:36], v[45:46], -v[53:54]
	v_fma_f64 v[4:5], v[37:38], v[45:46], v[4:5]
	s_waitcnt vmcnt(4)
	v_fma_f64 v[37:38], v[39:40], v[47:48], -v[55:56]
	v_fma_f64 v[39:40], v[41:42], v[47:48], v[43:44]
	v_add_f64 v[35:36], v[35:36], 0
	v_add_f64 v[4:5], v[4:5], 0
	;; [unrolled: 1-line block ×4, first 2 shown]
	s_waitcnt vmcnt(2)
	v_add_f64 v[35:36], v[49:50], -v[35:36]
	s_waitcnt vmcnt(0)
	v_add_f64 v[4:5], v[51:52], -v[4:5]
	buffer_store_dword v35, off, s[0:3], 0 offset:176
	buffer_store_dword v36, off, s[0:3], 0 offset:180
	;; [unrolled: 1-line block ×4, first 2 shown]
	v_cmpx_lt_u32_e32 10, v0
	s_cbranch_execz .LBB77_77
; %bb.76:
	v_mov_b32_e32 v4, s17
	s_clause 0x3
	buffer_load_dword v35, v4, s[0:3], 0 offen
	buffer_load_dword v36, v4, s[0:3], 0 offen offset:4
	buffer_load_dword v37, v4, s[0:3], 0 offen offset:8
	;; [unrolled: 1-line block ×3, first 2 shown]
	v_mov_b32_e32 v4, 0
	buffer_store_dword v4, off, s[0:3], 0 offset:160
	buffer_store_dword v4, off, s[0:3], 0 offset:164
	;; [unrolled: 1-line block ×4, first 2 shown]
	s_waitcnt vmcnt(0)
	ds_write_b128 v3, v[35:38]
.LBB77_77:
	s_or_b32 exec_lo, exec_lo, s6
	s_waitcnt lgkmcnt(0)
	s_waitcnt_vscnt null, 0x0
	s_barrier
	buffer_gl0_inv
	s_clause 0xf
	buffer_load_dword v5, off, s[0:3], 0 offset:184
	buffer_load_dword v6, off, s[0:3], 0 offset:188
	;; [unrolled: 1-line block ×16, first 2 shown]
	v_mov_b32_e32 v4, 0
	ds_read_b128 v[35:38], v4 offset:400
	ds_read_b128 v[39:42], v4 offset:416
	;; [unrolled: 1-line block ×3, first 2 shown]
	s_mov_b32 s6, exec_lo
	s_waitcnt vmcnt(14) lgkmcnt(2)
	v_mul_f64 v[61:62], v[37:38], v[5:6]
	v_mul_f64 v[5:6], v[35:36], v[5:6]
	s_waitcnt vmcnt(12) lgkmcnt(1)
	v_mul_f64 v[63:64], v[41:42], v[47:48]
	v_mul_f64 v[47:48], v[39:40], v[47:48]
	s_waitcnt vmcnt(10)
	v_fma_f64 v[35:36], v[35:36], v[49:50], -v[61:62]
	v_fma_f64 v[5:6], v[37:38], v[49:50], v[5:6]
	s_waitcnt vmcnt(8) lgkmcnt(0)
	v_mul_f64 v[49:50], v[45:46], v[51:52]
	s_waitcnt vmcnt(6)
	v_fma_f64 v[39:40], v[39:40], v[53:54], -v[63:64]
	v_mul_f64 v[37:38], v[43:44], v[51:52]
	v_fma_f64 v[41:42], v[41:42], v[53:54], v[47:48]
	v_add_f64 v[35:36], v[35:36], 0
	v_add_f64 v[5:6], v[5:6], 0
	s_waitcnt vmcnt(4)
	v_fma_f64 v[43:44], v[43:44], v[55:56], -v[49:50]
	v_fma_f64 v[37:38], v[45:46], v[55:56], v[37:38]
	v_add_f64 v[35:36], v[35:36], v[39:40]
	v_add_f64 v[5:6], v[5:6], v[41:42]
	;; [unrolled: 1-line block ×4, first 2 shown]
	s_waitcnt vmcnt(2)
	v_add_f64 v[35:36], v[57:58], -v[35:36]
	s_waitcnt vmcnt(0)
	v_add_f64 v[5:6], v[59:60], -v[5:6]
	buffer_store_dword v35, off, s[0:3], 0 offset:160
	buffer_store_dword v36, off, s[0:3], 0 offset:164
	;; [unrolled: 1-line block ×4, first 2 shown]
	v_cmpx_lt_u32_e32 9, v0
	s_cbranch_execz .LBB77_79
; %bb.78:
	v_mov_b32_e32 v5, s18
	s_clause 0x3
	buffer_load_dword v35, v5, s[0:3], 0 offen
	buffer_load_dword v36, v5, s[0:3], 0 offen offset:4
	buffer_load_dword v37, v5, s[0:3], 0 offen offset:8
	;; [unrolled: 1-line block ×3, first 2 shown]
	buffer_store_dword v4, off, s[0:3], 0 offset:144
	buffer_store_dword v4, off, s[0:3], 0 offset:148
	;; [unrolled: 1-line block ×4, first 2 shown]
	s_waitcnt vmcnt(0)
	ds_write_b128 v3, v[35:38]
.LBB77_79:
	s_or_b32 exec_lo, exec_lo, s6
	s_waitcnt lgkmcnt(0)
	s_waitcnt_vscnt null, 0x0
	s_barrier
	buffer_gl0_inv
	s_clause 0x13
	buffer_load_dword v5, off, s[0:3], 0 offset:168
	buffer_load_dword v6, off, s[0:3], 0 offset:172
	;; [unrolled: 1-line block ×20, first 2 shown]
	ds_read_b128 v[35:38], v4 offset:384
	ds_read_b128 v[39:42], v4 offset:400
	;; [unrolled: 1-line block ×3, first 2 shown]
	s_mov_b32 s6, exec_lo
	s_waitcnt vmcnt(18) lgkmcnt(2)
	v_mul_f64 v[65:66], v[37:38], v[5:6]
	v_mul_f64 v[5:6], v[35:36], v[5:6]
	s_waitcnt vmcnt(16) lgkmcnt(1)
	v_mul_f64 v[67:68], v[41:42], v[47:48]
	v_mul_f64 v[47:48], v[39:40], v[47:48]
	s_waitcnt vmcnt(14)
	v_fma_f64 v[65:66], v[35:36], v[49:50], -v[65:66]
	v_fma_f64 v[5:6], v[37:38], v[49:50], v[5:6]
	ds_read_b128 v[35:38], v4 offset:432
	s_waitcnt vmcnt(12) lgkmcnt(1)
	v_mul_f64 v[49:50], v[43:44], v[51:52]
	v_mul_f64 v[51:52], v[45:46], v[51:52]
	s_waitcnt vmcnt(10)
	v_fma_f64 v[39:40], v[39:40], v[53:54], -v[67:68]
	v_fma_f64 v[41:42], v[41:42], v[53:54], v[47:48]
	s_waitcnt vmcnt(8) lgkmcnt(0)
	v_mul_f64 v[53:54], v[37:38], v[55:56]
	v_add_f64 v[65:66], v[65:66], 0
	v_add_f64 v[4:5], v[5:6], 0
	v_mul_f64 v[47:48], v[35:36], v[55:56]
	s_waitcnt vmcnt(6)
	v_fma_f64 v[43:44], v[43:44], v[57:58], -v[51:52]
	v_fma_f64 v[45:46], v[45:46], v[57:58], v[49:50]
	s_waitcnt vmcnt(4)
	v_fma_f64 v[35:36], v[35:36], v[59:60], -v[53:54]
	v_add_f64 v[39:40], v[65:66], v[39:40]
	v_add_f64 v[4:5], v[4:5], v[41:42]
	v_fma_f64 v[37:38], v[37:38], v[59:60], v[47:48]
	v_add_f64 v[39:40], v[39:40], v[43:44]
	v_add_f64 v[4:5], v[4:5], v[45:46]
	v_add_f64 v[35:36], v[39:40], v[35:36]
	v_add_f64 v[4:5], v[4:5], v[37:38]
	s_waitcnt vmcnt(2)
	v_add_f64 v[35:36], v[61:62], -v[35:36]
	s_waitcnt vmcnt(0)
	v_add_f64 v[4:5], v[63:64], -v[4:5]
	buffer_store_dword v35, off, s[0:3], 0 offset:144
	buffer_store_dword v36, off, s[0:3], 0 offset:148
	;; [unrolled: 1-line block ×4, first 2 shown]
	v_cmpx_lt_u32_e32 8, v0
	s_cbranch_execz .LBB77_81
; %bb.80:
	v_mov_b32_e32 v4, s19
	s_clause 0x3
	buffer_load_dword v35, v4, s[0:3], 0 offen
	buffer_load_dword v36, v4, s[0:3], 0 offen offset:4
	buffer_load_dword v37, v4, s[0:3], 0 offen offset:8
	;; [unrolled: 1-line block ×3, first 2 shown]
	v_mov_b32_e32 v4, 0
	buffer_store_dword v4, off, s[0:3], 0 offset:128
	buffer_store_dword v4, off, s[0:3], 0 offset:132
	;; [unrolled: 1-line block ×4, first 2 shown]
	s_waitcnt vmcnt(0)
	ds_write_b128 v3, v[35:38]
.LBB77_81:
	s_or_b32 exec_lo, exec_lo, s6
	s_waitcnt lgkmcnt(0)
	s_waitcnt_vscnt null, 0x0
	s_barrier
	buffer_gl0_inv
	s_clause 0x17
	buffer_load_dword v5, off, s[0:3], 0 offset:152
	buffer_load_dword v6, off, s[0:3], 0 offset:156
	;; [unrolled: 1-line block ×24, first 2 shown]
	v_mov_b32_e32 v4, 0
	ds_read_b128 v[35:38], v4 offset:368
	ds_read_b128 v[39:42], v4 offset:384
	;; [unrolled: 1-line block ×3, first 2 shown]
	s_mov_b32 s6, exec_lo
	s_waitcnt vmcnt(22) lgkmcnt(2)
	v_mul_f64 v[69:70], v[37:38], v[5:6]
	v_mul_f64 v[5:6], v[35:36], v[5:6]
	s_waitcnt vmcnt(20) lgkmcnt(1)
	v_mul_f64 v[71:72], v[41:42], v[47:48]
	v_mul_f64 v[47:48], v[39:40], v[47:48]
	s_waitcnt vmcnt(18)
	v_fma_f64 v[69:70], v[35:36], v[49:50], -v[69:70]
	v_fma_f64 v[5:6], v[37:38], v[49:50], v[5:6]
	ds_read_b128 v[35:38], v4 offset:416
	s_waitcnt vmcnt(16) lgkmcnt(1)
	v_mul_f64 v[49:50], v[43:44], v[51:52]
	v_mul_f64 v[51:52], v[45:46], v[51:52]
	s_waitcnt vmcnt(14)
	v_fma_f64 v[71:72], v[39:40], v[53:54], -v[71:72]
	v_fma_f64 v[47:48], v[41:42], v[53:54], v[47:48]
	ds_read_b128 v[39:42], v4 offset:432
	s_waitcnt vmcnt(10) lgkmcnt(1)
	v_mul_f64 v[53:54], v[35:36], v[55:56]
	v_add_f64 v[69:70], v[69:70], 0
	v_add_f64 v[5:6], v[5:6], 0
	v_mul_f64 v[55:56], v[37:38], v[55:56]
	s_waitcnt vmcnt(8)
	v_fma_f64 v[43:44], v[43:44], v[61:62], -v[51:52]
	v_fma_f64 v[45:46], v[45:46], v[61:62], v[49:50]
	s_waitcnt vmcnt(7) lgkmcnt(0)
	v_mul_f64 v[49:50], v[41:42], v[57:58]
	s_waitcnt vmcnt(5)
	v_fma_f64 v[37:38], v[37:38], v[63:64], v[53:54]
	v_add_f64 v[51:52], v[69:70], v[71:72]
	v_add_f64 v[5:6], v[5:6], v[47:48]
	v_fma_f64 v[35:36], v[35:36], v[63:64], -v[55:56]
	v_mul_f64 v[47:48], v[39:40], v[57:58]
	s_waitcnt vmcnt(4)
	v_fma_f64 v[39:40], v[39:40], v[59:60], -v[49:50]
	v_add_f64 v[43:44], v[51:52], v[43:44]
	v_add_f64 v[5:6], v[5:6], v[45:46]
	v_fma_f64 v[41:42], v[41:42], v[59:60], v[47:48]
	v_add_f64 v[35:36], v[43:44], v[35:36]
	v_add_f64 v[5:6], v[5:6], v[37:38]
	;; [unrolled: 1-line block ×4, first 2 shown]
	s_waitcnt vmcnt(2)
	v_add_f64 v[35:36], v[65:66], -v[35:36]
	s_waitcnt vmcnt(0)
	v_add_f64 v[5:6], v[67:68], -v[5:6]
	buffer_store_dword v36, off, s[0:3], 0 offset:132
	buffer_store_dword v35, off, s[0:3], 0 offset:128
	;; [unrolled: 1-line block ×4, first 2 shown]
	v_cmpx_lt_u32_e32 7, v0
	s_cbranch_execz .LBB77_83
; %bb.82:
	v_mov_b32_e32 v5, s20
	s_clause 0x3
	buffer_load_dword v35, v5, s[0:3], 0 offen
	buffer_load_dword v36, v5, s[0:3], 0 offen offset:4
	buffer_load_dword v37, v5, s[0:3], 0 offen offset:8
	;; [unrolled: 1-line block ×3, first 2 shown]
	buffer_store_dword v4, off, s[0:3], 0 offset:112
	buffer_store_dword v4, off, s[0:3], 0 offset:116
	;; [unrolled: 1-line block ×4, first 2 shown]
	s_waitcnt vmcnt(0)
	ds_write_b128 v3, v[35:38]
.LBB77_83:
	s_or_b32 exec_lo, exec_lo, s6
	s_waitcnt lgkmcnt(0)
	s_waitcnt_vscnt null, 0x0
	s_barrier
	buffer_gl0_inv
	s_clause 0x1b
	buffer_load_dword v5, off, s[0:3], 0 offset:136
	buffer_load_dword v6, off, s[0:3], 0 offset:140
	buffer_load_dword v47, off, s[0:3], 0 offset:152
	buffer_load_dword v48, off, s[0:3], 0 offset:156
	buffer_load_dword v49, off, s[0:3], 0 offset:128
	buffer_load_dword v50, off, s[0:3], 0 offset:132
	buffer_load_dword v51, off, s[0:3], 0 offset:168
	buffer_load_dword v52, off, s[0:3], 0 offset:172
	buffer_load_dword v53, off, s[0:3], 0 offset:144
	buffer_load_dword v54, off, s[0:3], 0 offset:148
	buffer_load_dword v56, off, s[0:3], 0 offset:188
	buffer_load_dword v57, off, s[0:3], 0 offset:200
	buffer_load_dword v59, off, s[0:3], 0 offset:192
	buffer_load_dword v55, off, s[0:3], 0 offset:184
	buffer_load_dword v61, off, s[0:3], 0 offset:160
	buffer_load_dword v62, off, s[0:3], 0 offset:164
	buffer_load_dword v58, off, s[0:3], 0 offset:204
	buffer_load_dword v64, off, s[0:3], 0 offset:180
	buffer_load_dword v63, off, s[0:3], 0 offset:176
	buffer_load_dword v66, off, s[0:3], 0 offset:220
	buffer_load_dword v65, off, s[0:3], 0 offset:216
	buffer_load_dword v60, off, s[0:3], 0 offset:196
	buffer_load_dword v68, off, s[0:3], 0 offset:212
	buffer_load_dword v67, off, s[0:3], 0 offset:208
	buffer_load_dword v69, off, s[0:3], 0 offset:112
	buffer_load_dword v70, off, s[0:3], 0 offset:116
	buffer_load_dword v71, off, s[0:3], 0 offset:120
	buffer_load_dword v72, off, s[0:3], 0 offset:124
	ds_read_b128 v[35:38], v4 offset:352
	ds_read_b128 v[39:42], v4 offset:368
	;; [unrolled: 1-line block ×3, first 2 shown]
	s_mov_b32 s6, exec_lo
	s_waitcnt vmcnt(26) lgkmcnt(2)
	v_mul_f64 v[73:74], v[37:38], v[5:6]
	v_mul_f64 v[5:6], v[35:36], v[5:6]
	s_waitcnt vmcnt(24) lgkmcnt(1)
	v_mul_f64 v[75:76], v[41:42], v[47:48]
	v_mul_f64 v[47:48], v[39:40], v[47:48]
	s_waitcnt vmcnt(22)
	v_fma_f64 v[73:74], v[35:36], v[49:50], -v[73:74]
	v_fma_f64 v[5:6], v[37:38], v[49:50], v[5:6]
	ds_read_b128 v[35:38], v4 offset:400
	s_waitcnt vmcnt(20) lgkmcnt(1)
	v_mul_f64 v[49:50], v[43:44], v[51:52]
	v_mul_f64 v[51:52], v[45:46], v[51:52]
	s_waitcnt vmcnt(18)
	v_fma_f64 v[75:76], v[39:40], v[53:54], -v[75:76]
	v_fma_f64 v[47:48], v[41:42], v[53:54], v[47:48]
	ds_read_b128 v[39:42], v4 offset:416
	s_waitcnt vmcnt(14) lgkmcnt(1)
	v_mul_f64 v[53:54], v[35:36], v[55:56]
	v_add_f64 v[73:74], v[73:74], 0
	v_add_f64 v[5:6], v[5:6], 0
	v_mul_f64 v[55:56], v[37:38], v[55:56]
	s_waitcnt vmcnt(12)
	v_fma_f64 v[51:52], v[43:44], v[61:62], -v[51:52]
	v_fma_f64 v[49:50], v[45:46], v[61:62], v[49:50]
	ds_read_b128 v[43:46], v4 offset:432
	s_waitcnt vmcnt(9)
	v_fma_f64 v[37:38], v[37:38], v[63:64], v[53:54]
	v_add_f64 v[73:74], v[73:74], v[75:76]
	v_add_f64 v[5:6], v[5:6], v[47:48]
	s_waitcnt lgkmcnt(1)
	v_mul_f64 v[47:48], v[39:40], v[57:58]
	v_mul_f64 v[57:58], v[41:42], v[57:58]
	v_fma_f64 v[35:36], v[35:36], v[63:64], -v[55:56]
	s_waitcnt vmcnt(7) lgkmcnt(0)
	v_mul_f64 v[53:54], v[45:46], v[65:66]
	v_add_f64 v[51:52], v[73:74], v[51:52]
	v_add_f64 v[4:5], v[5:6], v[49:50]
	v_mul_f64 v[49:50], v[43:44], v[65:66]
	s_waitcnt vmcnt(6)
	v_fma_f64 v[39:40], v[39:40], v[59:60], -v[57:58]
	v_fma_f64 v[41:42], v[41:42], v[59:60], v[47:48]
	v_add_f64 v[35:36], v[51:52], v[35:36]
	v_add_f64 v[4:5], v[4:5], v[37:38]
	s_waitcnt vmcnt(4)
	v_fma_f64 v[37:38], v[43:44], v[67:68], -v[53:54]
	v_add_f64 v[35:36], v[35:36], v[39:40]
	v_fma_f64 v[39:40], v[45:46], v[67:68], v[49:50]
	v_add_f64 v[4:5], v[4:5], v[41:42]
	v_add_f64 v[35:36], v[35:36], v[37:38]
	;; [unrolled: 1-line block ×3, first 2 shown]
	s_waitcnt vmcnt(2)
	v_add_f64 v[35:36], v[69:70], -v[35:36]
	s_waitcnt vmcnt(0)
	v_add_f64 v[4:5], v[71:72], -v[4:5]
	buffer_store_dword v36, off, s[0:3], 0 offset:116
	buffer_store_dword v35, off, s[0:3], 0 offset:112
	;; [unrolled: 1-line block ×4, first 2 shown]
	v_cmpx_lt_u32_e32 6, v0
	s_cbranch_execz .LBB77_85
; %bb.84:
	v_mov_b32_e32 v4, s21
	s_clause 0x3
	buffer_load_dword v35, v4, s[0:3], 0 offen
	buffer_load_dword v36, v4, s[0:3], 0 offen offset:4
	buffer_load_dword v37, v4, s[0:3], 0 offen offset:8
	;; [unrolled: 1-line block ×3, first 2 shown]
	v_mov_b32_e32 v4, 0
	buffer_store_dword v4, off, s[0:3], 0 offset:96
	buffer_store_dword v4, off, s[0:3], 0 offset:100
	;; [unrolled: 1-line block ×4, first 2 shown]
	s_waitcnt vmcnt(0)
	ds_write_b128 v3, v[35:38]
.LBB77_85:
	s_or_b32 exec_lo, exec_lo, s6
	s_waitcnt lgkmcnt(0)
	s_waitcnt_vscnt null, 0x0
	s_barrier
	buffer_gl0_inv
	s_clause 0x1f
	buffer_load_dword v5, off, s[0:3], 0 offset:120
	buffer_load_dword v6, off, s[0:3], 0 offset:124
	;; [unrolled: 1-line block ×32, first 2 shown]
	v_mov_b32_e32 v4, 0
	ds_read_b128 v[35:38], v4 offset:336
	ds_read_b128 v[39:42], v4 offset:352
	;; [unrolled: 1-line block ×3, first 2 shown]
	s_mov_b32 s6, exec_lo
	s_waitcnt vmcnt(30) lgkmcnt(2)
	v_mul_f64 v[77:78], v[37:38], v[5:6]
	v_mul_f64 v[5:6], v[35:36], v[5:6]
	s_waitcnt vmcnt(28) lgkmcnt(1)
	v_mul_f64 v[79:80], v[41:42], v[47:48]
	v_mul_f64 v[47:48], v[39:40], v[47:48]
	s_waitcnt vmcnt(26)
	v_fma_f64 v[77:78], v[35:36], v[49:50], -v[77:78]
	v_fma_f64 v[5:6], v[37:38], v[49:50], v[5:6]
	ds_read_b128 v[35:38], v4 offset:384
	s_waitcnt vmcnt(24) lgkmcnt(1)
	v_mul_f64 v[49:50], v[43:44], v[51:52]
	v_mul_f64 v[51:52], v[45:46], v[51:52]
	s_waitcnt vmcnt(22)
	v_fma_f64 v[79:80], v[39:40], v[53:54], -v[79:80]
	v_fma_f64 v[47:48], v[41:42], v[53:54], v[47:48]
	ds_read_b128 v[39:42], v4 offset:400
	s_waitcnt vmcnt(18) lgkmcnt(1)
	v_mul_f64 v[53:54], v[35:36], v[55:56]
	v_add_f64 v[77:78], v[77:78], 0
	v_add_f64 v[5:6], v[5:6], 0
	v_mul_f64 v[55:56], v[37:38], v[55:56]
	s_waitcnt vmcnt(16)
	v_fma_f64 v[51:52], v[43:44], v[61:62], -v[51:52]
	v_fma_f64 v[49:50], v[45:46], v[61:62], v[49:50]
	ds_read_b128 v[43:46], v4 offset:416
	s_waitcnt vmcnt(13)
	v_fma_f64 v[53:54], v[37:38], v[63:64], v[53:54]
	v_add_f64 v[77:78], v[77:78], v[79:80]
	v_add_f64 v[5:6], v[5:6], v[47:48]
	s_waitcnt lgkmcnt(1)
	v_mul_f64 v[47:48], v[39:40], v[57:58]
	v_mul_f64 v[57:58], v[41:42], v[57:58]
	v_fma_f64 v[55:56], v[35:36], v[63:64], -v[55:56]
	s_waitcnt vmcnt(9) lgkmcnt(0)
	v_mul_f64 v[61:62], v[45:46], v[65:66]
	ds_read_b128 v[35:38], v4 offset:432
	v_add_f64 v[51:52], v[77:78], v[51:52]
	v_add_f64 v[5:6], v[5:6], v[49:50]
	v_mul_f64 v[49:50], v[43:44], v[65:66]
	s_waitcnt vmcnt(8)
	v_fma_f64 v[39:40], v[39:40], v[59:60], -v[57:58]
	v_fma_f64 v[41:42], v[41:42], v[59:60], v[47:48]
	s_waitcnt vmcnt(5)
	v_fma_f64 v[43:44], v[43:44], v[71:72], -v[61:62]
	s_waitcnt lgkmcnt(0)
	v_mul_f64 v[47:48], v[35:36], v[67:68]
	v_add_f64 v[51:52], v[51:52], v[55:56]
	v_add_f64 v[5:6], v[5:6], v[53:54]
	v_mul_f64 v[53:54], v[37:38], v[67:68]
	v_fma_f64 v[45:46], v[45:46], v[71:72], v[49:50]
	s_waitcnt vmcnt(4)
	v_fma_f64 v[37:38], v[37:38], v[69:70], v[47:48]
	v_add_f64 v[39:40], v[51:52], v[39:40]
	v_add_f64 v[5:6], v[5:6], v[41:42]
	v_fma_f64 v[35:36], v[35:36], v[69:70], -v[53:54]
	v_add_f64 v[39:40], v[39:40], v[43:44]
	v_add_f64 v[5:6], v[5:6], v[45:46]
	;; [unrolled: 1-line block ×4, first 2 shown]
	s_waitcnt vmcnt(2)
	v_add_f64 v[35:36], v[73:74], -v[35:36]
	s_waitcnt vmcnt(0)
	v_add_f64 v[5:6], v[75:76], -v[5:6]
	buffer_store_dword v36, off, s[0:3], 0 offset:100
	buffer_store_dword v35, off, s[0:3], 0 offset:96
	buffer_store_dword v6, off, s[0:3], 0 offset:108
	buffer_store_dword v5, off, s[0:3], 0 offset:104
	v_cmpx_lt_u32_e32 5, v0
	s_cbranch_execz .LBB77_87
; %bb.86:
	v_mov_b32_e32 v5, s22
	s_clause 0x3
	buffer_load_dword v35, v5, s[0:3], 0 offen
	buffer_load_dword v36, v5, s[0:3], 0 offen offset:4
	buffer_load_dword v37, v5, s[0:3], 0 offen offset:8
	;; [unrolled: 1-line block ×3, first 2 shown]
	buffer_store_dword v4, off, s[0:3], 0 offset:80
	buffer_store_dword v4, off, s[0:3], 0 offset:84
	;; [unrolled: 1-line block ×4, first 2 shown]
	s_waitcnt vmcnt(0)
	ds_write_b128 v3, v[35:38]
.LBB77_87:
	s_or_b32 exec_lo, exec_lo, s6
	s_waitcnt lgkmcnt(0)
	s_waitcnt_vscnt null, 0x0
	s_barrier
	buffer_gl0_inv
	s_clause 0x23
	buffer_load_dword v5, off, s[0:3], 0 offset:104
	buffer_load_dword v6, off, s[0:3], 0 offset:108
	;; [unrolled: 1-line block ×36, first 2 shown]
	ds_read_b128 v[35:38], v4 offset:320
	ds_read_b128 v[39:42], v4 offset:336
	;; [unrolled: 1-line block ×3, first 2 shown]
	s_mov_b32 s6, exec_lo
	s_waitcnt vmcnt(34) lgkmcnt(2)
	v_mul_f64 v[81:82], v[37:38], v[5:6]
	v_mul_f64 v[5:6], v[35:36], v[5:6]
	s_waitcnt vmcnt(32) lgkmcnt(1)
	v_mul_f64 v[83:84], v[41:42], v[47:48]
	v_mul_f64 v[47:48], v[39:40], v[47:48]
	s_waitcnt vmcnt(30)
	v_fma_f64 v[81:82], v[35:36], v[49:50], -v[81:82]
	v_fma_f64 v[5:6], v[37:38], v[49:50], v[5:6]
	ds_read_b128 v[35:38], v4 offset:368
	s_waitcnt vmcnt(28) lgkmcnt(1)
	v_mul_f64 v[49:50], v[43:44], v[51:52]
	v_mul_f64 v[51:52], v[45:46], v[51:52]
	s_waitcnt vmcnt(26)
	v_fma_f64 v[83:84], v[39:40], v[53:54], -v[83:84]
	v_fma_f64 v[47:48], v[41:42], v[53:54], v[47:48]
	ds_read_b128 v[39:42], v4 offset:384
	s_waitcnt vmcnt(22) lgkmcnt(1)
	v_mul_f64 v[53:54], v[35:36], v[55:56]
	v_add_f64 v[81:82], v[81:82], 0
	v_add_f64 v[5:6], v[5:6], 0
	v_mul_f64 v[55:56], v[37:38], v[55:56]
	s_waitcnt vmcnt(20)
	v_fma_f64 v[51:52], v[43:44], v[61:62], -v[51:52]
	v_fma_f64 v[49:50], v[45:46], v[61:62], v[49:50]
	ds_read_b128 v[43:46], v4 offset:400
	s_waitcnt vmcnt(17)
	v_fma_f64 v[53:54], v[37:38], v[63:64], v[53:54]
	v_add_f64 v[81:82], v[81:82], v[83:84]
	v_add_f64 v[5:6], v[5:6], v[47:48]
	s_waitcnt lgkmcnt(1)
	v_mul_f64 v[47:48], v[39:40], v[57:58]
	v_mul_f64 v[57:58], v[41:42], v[57:58]
	v_fma_f64 v[55:56], v[35:36], v[63:64], -v[55:56]
	s_waitcnt vmcnt(13) lgkmcnt(0)
	v_mul_f64 v[61:62], v[45:46], v[65:66]
	ds_read_b128 v[35:38], v4 offset:416
	v_add_f64 v[51:52], v[81:82], v[51:52]
	v_add_f64 v[5:6], v[5:6], v[49:50]
	v_mul_f64 v[49:50], v[43:44], v[65:66]
	s_waitcnt vmcnt(12)
	v_fma_f64 v[57:58], v[39:40], v[59:60], -v[57:58]
	v_fma_f64 v[47:48], v[41:42], v[59:60], v[47:48]
	ds_read_b128 v[39:42], v4 offset:432
	s_waitcnt vmcnt(9)
	v_fma_f64 v[43:44], v[43:44], v[71:72], -v[61:62]
	v_add_f64 v[51:52], v[51:52], v[55:56]
	v_add_f64 v[5:6], v[5:6], v[53:54]
	s_waitcnt lgkmcnt(1)
	v_mul_f64 v[55:56], v[37:38], v[67:68]
	v_mul_f64 v[53:54], v[35:36], v[67:68]
	v_fma_f64 v[45:46], v[45:46], v[71:72], v[49:50]
	s_waitcnt vmcnt(7) lgkmcnt(0)
	v_mul_f64 v[49:50], v[41:42], v[73:74]
	v_add_f64 v[51:52], v[51:52], v[57:58]
	v_add_f64 v[4:5], v[5:6], v[47:48]
	s_waitcnt vmcnt(6)
	v_fma_f64 v[35:36], v[35:36], v[69:70], -v[55:56]
	v_mul_f64 v[47:48], v[39:40], v[73:74]
	v_fma_f64 v[37:38], v[37:38], v[69:70], v[53:54]
	s_waitcnt vmcnt(4)
	v_fma_f64 v[39:40], v[39:40], v[75:76], -v[49:50]
	v_add_f64 v[43:44], v[51:52], v[43:44]
	v_add_f64 v[4:5], v[4:5], v[45:46]
	v_fma_f64 v[41:42], v[41:42], v[75:76], v[47:48]
	v_add_f64 v[35:36], v[43:44], v[35:36]
	v_add_f64 v[4:5], v[4:5], v[37:38]
	;; [unrolled: 1-line block ×4, first 2 shown]
	s_waitcnt vmcnt(2)
	v_add_f64 v[35:36], v[77:78], -v[35:36]
	s_waitcnt vmcnt(0)
	v_add_f64 v[4:5], v[79:80], -v[4:5]
	buffer_store_dword v36, off, s[0:3], 0 offset:84
	buffer_store_dword v35, off, s[0:3], 0 offset:80
	;; [unrolled: 1-line block ×4, first 2 shown]
	v_cmpx_lt_u32_e32 4, v0
	s_cbranch_execz .LBB77_89
; %bb.88:
	v_mov_b32_e32 v4, s23
	s_clause 0x3
	buffer_load_dword v35, v4, s[0:3], 0 offen
	buffer_load_dword v36, v4, s[0:3], 0 offen offset:4
	buffer_load_dword v37, v4, s[0:3], 0 offen offset:8
	;; [unrolled: 1-line block ×3, first 2 shown]
	v_mov_b32_e32 v4, 0
	buffer_store_dword v4, off, s[0:3], 0 offset:64
	buffer_store_dword v4, off, s[0:3], 0 offset:68
	;; [unrolled: 1-line block ×4, first 2 shown]
	s_waitcnt vmcnt(0)
	ds_write_b128 v3, v[35:38]
.LBB77_89:
	s_or_b32 exec_lo, exec_lo, s6
	s_waitcnt lgkmcnt(0)
	s_waitcnt_vscnt null, 0x0
	s_barrier
	buffer_gl0_inv
	s_clause 0x27
	buffer_load_dword v5, off, s[0:3], 0 offset:88
	buffer_load_dword v6, off, s[0:3], 0 offset:92
	;; [unrolled: 1-line block ×40, first 2 shown]
	v_mov_b32_e32 v4, 0
	ds_read_b128 v[35:38], v4 offset:304
	ds_read_b128 v[39:42], v4 offset:320
	;; [unrolled: 1-line block ×3, first 2 shown]
	s_mov_b32 s6, exec_lo
	s_waitcnt vmcnt(38) lgkmcnt(2)
	v_mul_f64 v[85:86], v[37:38], v[5:6]
	v_mul_f64 v[5:6], v[35:36], v[5:6]
	s_waitcnt vmcnt(36) lgkmcnt(1)
	v_mul_f64 v[87:88], v[41:42], v[47:48]
	v_mul_f64 v[47:48], v[39:40], v[47:48]
	s_waitcnt vmcnt(34)
	v_fma_f64 v[85:86], v[35:36], v[49:50], -v[85:86]
	v_fma_f64 v[5:6], v[37:38], v[49:50], v[5:6]
	ds_read_b128 v[35:38], v4 offset:352
	s_waitcnt vmcnt(32) lgkmcnt(1)
	v_mul_f64 v[49:50], v[43:44], v[51:52]
	v_mul_f64 v[51:52], v[45:46], v[51:52]
	s_waitcnt vmcnt(30)
	v_fma_f64 v[87:88], v[39:40], v[53:54], -v[87:88]
	v_fma_f64 v[47:48], v[41:42], v[53:54], v[47:48]
	ds_read_b128 v[39:42], v4 offset:368
	s_waitcnt vmcnt(26) lgkmcnt(1)
	v_mul_f64 v[53:54], v[35:36], v[55:56]
	v_add_f64 v[85:86], v[85:86], 0
	v_add_f64 v[5:6], v[5:6], 0
	v_mul_f64 v[55:56], v[37:38], v[55:56]
	s_waitcnt vmcnt(24)
	v_fma_f64 v[51:52], v[43:44], v[61:62], -v[51:52]
	v_fma_f64 v[49:50], v[45:46], v[61:62], v[49:50]
	ds_read_b128 v[43:46], v4 offset:384
	s_waitcnt vmcnt(21)
	v_fma_f64 v[53:54], v[37:38], v[63:64], v[53:54]
	v_add_f64 v[85:86], v[85:86], v[87:88]
	v_add_f64 v[5:6], v[5:6], v[47:48]
	s_waitcnt lgkmcnt(1)
	v_mul_f64 v[47:48], v[39:40], v[57:58]
	v_mul_f64 v[57:58], v[41:42], v[57:58]
	v_fma_f64 v[55:56], v[35:36], v[63:64], -v[55:56]
	s_waitcnt vmcnt(17) lgkmcnt(0)
	v_mul_f64 v[61:62], v[45:46], v[65:66]
	ds_read_b128 v[35:38], v4 offset:400
	v_add_f64 v[51:52], v[85:86], v[51:52]
	v_add_f64 v[5:6], v[5:6], v[49:50]
	v_mul_f64 v[49:50], v[43:44], v[65:66]
	s_waitcnt vmcnt(16)
	v_fma_f64 v[57:58], v[39:40], v[59:60], -v[57:58]
	v_fma_f64 v[47:48], v[41:42], v[59:60], v[47:48]
	ds_read_b128 v[39:42], v4 offset:416
	s_waitcnt vmcnt(13)
	v_fma_f64 v[59:60], v[43:44], v[71:72], -v[61:62]
	v_add_f64 v[51:52], v[51:52], v[55:56]
	v_add_f64 v[5:6], v[5:6], v[53:54]
	s_waitcnt lgkmcnt(1)
	v_mul_f64 v[55:56], v[37:38], v[67:68]
	v_mul_f64 v[53:54], v[35:36], v[67:68]
	v_fma_f64 v[49:50], v[45:46], v[71:72], v[49:50]
	ds_read_b128 v[43:46], v4 offset:432
	v_add_f64 v[51:52], v[51:52], v[57:58]
	v_add_f64 v[5:6], v[5:6], v[47:48]
	s_waitcnt vmcnt(9) lgkmcnt(1)
	v_mul_f64 v[57:58], v[41:42], v[73:74]
	s_waitcnt vmcnt(8)
	v_fma_f64 v[35:36], v[35:36], v[69:70], -v[55:56]
	v_mul_f64 v[47:48], v[39:40], v[73:74]
	v_fma_f64 v[37:38], v[37:38], v[69:70], v[53:54]
	s_waitcnt vmcnt(7) lgkmcnt(0)
	v_mul_f64 v[53:54], v[45:46], v[75:76]
	v_add_f64 v[51:52], v[51:52], v[59:60]
	v_add_f64 v[5:6], v[5:6], v[49:50]
	s_waitcnt vmcnt(5)
	v_fma_f64 v[39:40], v[39:40], v[79:80], -v[57:58]
	v_mul_f64 v[49:50], v[43:44], v[75:76]
	v_fma_f64 v[41:42], v[41:42], v[79:80], v[47:48]
	v_add_f64 v[35:36], v[51:52], v[35:36]
	v_add_f64 v[5:6], v[5:6], v[37:38]
	s_waitcnt vmcnt(4)
	v_fma_f64 v[37:38], v[43:44], v[77:78], -v[53:54]
	v_add_f64 v[35:36], v[35:36], v[39:40]
	v_fma_f64 v[39:40], v[45:46], v[77:78], v[49:50]
	v_add_f64 v[5:6], v[5:6], v[41:42]
	v_add_f64 v[35:36], v[35:36], v[37:38]
	;; [unrolled: 1-line block ×3, first 2 shown]
	s_waitcnt vmcnt(2)
	v_add_f64 v[35:36], v[81:82], -v[35:36]
	s_waitcnt vmcnt(0)
	v_add_f64 v[5:6], v[83:84], -v[5:6]
	buffer_store_dword v36, off, s[0:3], 0 offset:68
	buffer_store_dword v35, off, s[0:3], 0 offset:64
	;; [unrolled: 1-line block ×4, first 2 shown]
	v_cmpx_lt_u32_e32 3, v0
	s_cbranch_execz .LBB77_91
; %bb.90:
	v_mov_b32_e32 v5, s24
	s_clause 0x3
	buffer_load_dword v35, v5, s[0:3], 0 offen
	buffer_load_dword v36, v5, s[0:3], 0 offen offset:4
	buffer_load_dword v37, v5, s[0:3], 0 offen offset:8
	;; [unrolled: 1-line block ×3, first 2 shown]
	buffer_store_dword v4, off, s[0:3], 0 offset:48
	buffer_store_dword v4, off, s[0:3], 0 offset:52
	;; [unrolled: 1-line block ×4, first 2 shown]
	s_waitcnt vmcnt(0)
	ds_write_b128 v3, v[35:38]
.LBB77_91:
	s_or_b32 exec_lo, exec_lo, s6
	s_waitcnt lgkmcnt(0)
	s_waitcnt_vscnt null, 0x0
	s_barrier
	buffer_gl0_inv
	s_clause 0x2b
	buffer_load_dword v5, off, s[0:3], 0 offset:72
	buffer_load_dword v6, off, s[0:3], 0 offset:76
	;; [unrolled: 1-line block ×44, first 2 shown]
	ds_read_b128 v[35:38], v4 offset:288
	ds_read_b128 v[39:42], v4 offset:304
	;; [unrolled: 1-line block ×3, first 2 shown]
	s_mov_b32 s6, exec_lo
	s_waitcnt vmcnt(42) lgkmcnt(2)
	v_mul_f64 v[89:90], v[37:38], v[5:6]
	v_mul_f64 v[5:6], v[35:36], v[5:6]
	s_waitcnt vmcnt(40) lgkmcnt(1)
	v_mul_f64 v[91:92], v[41:42], v[47:48]
	v_mul_f64 v[47:48], v[39:40], v[47:48]
	s_waitcnt vmcnt(38)
	v_fma_f64 v[89:90], v[35:36], v[49:50], -v[89:90]
	v_fma_f64 v[5:6], v[37:38], v[49:50], v[5:6]
	ds_read_b128 v[35:38], v4 offset:336
	s_waitcnt vmcnt(36) lgkmcnt(1)
	v_mul_f64 v[49:50], v[43:44], v[51:52]
	v_mul_f64 v[51:52], v[45:46], v[51:52]
	s_waitcnt vmcnt(34)
	v_fma_f64 v[91:92], v[39:40], v[53:54], -v[91:92]
	v_fma_f64 v[47:48], v[41:42], v[53:54], v[47:48]
	ds_read_b128 v[39:42], v4 offset:352
	s_waitcnt vmcnt(30) lgkmcnt(1)
	v_mul_f64 v[53:54], v[35:36], v[55:56]
	v_add_f64 v[89:90], v[89:90], 0
	v_add_f64 v[5:6], v[5:6], 0
	v_mul_f64 v[55:56], v[37:38], v[55:56]
	s_waitcnt vmcnt(28)
	v_fma_f64 v[51:52], v[43:44], v[61:62], -v[51:52]
	v_fma_f64 v[49:50], v[45:46], v[61:62], v[49:50]
	ds_read_b128 v[43:46], v4 offset:368
	s_waitcnt vmcnt(25)
	v_fma_f64 v[53:54], v[37:38], v[63:64], v[53:54]
	v_add_f64 v[89:90], v[89:90], v[91:92]
	v_add_f64 v[5:6], v[5:6], v[47:48]
	s_waitcnt lgkmcnt(1)
	v_mul_f64 v[47:48], v[39:40], v[57:58]
	v_mul_f64 v[57:58], v[41:42], v[57:58]
	v_fma_f64 v[55:56], v[35:36], v[63:64], -v[55:56]
	s_waitcnt vmcnt(21) lgkmcnt(0)
	v_mul_f64 v[61:62], v[45:46], v[65:66]
	ds_read_b128 v[35:38], v4 offset:384
	v_add_f64 v[51:52], v[89:90], v[51:52]
	v_add_f64 v[5:6], v[5:6], v[49:50]
	v_mul_f64 v[49:50], v[43:44], v[65:66]
	s_waitcnt vmcnt(20)
	v_fma_f64 v[57:58], v[39:40], v[59:60], -v[57:58]
	v_fma_f64 v[47:48], v[41:42], v[59:60], v[47:48]
	ds_read_b128 v[39:42], v4 offset:400
	s_waitcnt vmcnt(17)
	v_fma_f64 v[59:60], v[43:44], v[71:72], -v[61:62]
	v_add_f64 v[51:52], v[51:52], v[55:56]
	v_add_f64 v[5:6], v[5:6], v[53:54]
	s_waitcnt lgkmcnt(1)
	v_mul_f64 v[55:56], v[37:38], v[67:68]
	v_mul_f64 v[53:54], v[35:36], v[67:68]
	v_fma_f64 v[49:50], v[45:46], v[71:72], v[49:50]
	ds_read_b128 v[43:46], v4 offset:416
	v_add_f64 v[51:52], v[51:52], v[57:58]
	v_add_f64 v[5:6], v[5:6], v[47:48]
	s_waitcnt vmcnt(13) lgkmcnt(1)
	v_mul_f64 v[57:58], v[41:42], v[73:74]
	s_waitcnt vmcnt(12)
	v_fma_f64 v[55:56], v[35:36], v[69:70], -v[55:56]
	v_mul_f64 v[47:48], v[39:40], v[73:74]
	v_fma_f64 v[53:54], v[37:38], v[69:70], v[53:54]
	ds_read_b128 v[35:38], v4 offset:432
	v_add_f64 v[51:52], v[51:52], v[59:60]
	v_add_f64 v[5:6], v[5:6], v[49:50]
	s_waitcnt vmcnt(11) lgkmcnt(1)
	v_mul_f64 v[59:60], v[45:46], v[75:76]
	s_waitcnt vmcnt(9)
	v_fma_f64 v[39:40], v[39:40], v[79:80], -v[57:58]
	v_mul_f64 v[49:50], v[43:44], v[75:76]
	v_fma_f64 v[41:42], v[41:42], v[79:80], v[47:48]
	s_waitcnt vmcnt(7) lgkmcnt(0)
	v_mul_f64 v[47:48], v[35:36], v[81:82]
	v_add_f64 v[51:52], v[51:52], v[55:56]
	v_add_f64 v[4:5], v[5:6], v[53:54]
	v_mul_f64 v[53:54], v[37:38], v[81:82]
	s_waitcnt vmcnt(6)
	v_fma_f64 v[43:44], v[43:44], v[77:78], -v[59:60]
	v_fma_f64 v[45:46], v[45:46], v[77:78], v[49:50]
	s_waitcnt vmcnt(4)
	v_fma_f64 v[37:38], v[37:38], v[83:84], v[47:48]
	v_add_f64 v[39:40], v[51:52], v[39:40]
	v_add_f64 v[4:5], v[4:5], v[41:42]
	v_fma_f64 v[35:36], v[35:36], v[83:84], -v[53:54]
	v_add_f64 v[39:40], v[39:40], v[43:44]
	v_add_f64 v[4:5], v[4:5], v[45:46]
	v_add_f64 v[35:36], v[39:40], v[35:36]
	v_add_f64 v[4:5], v[4:5], v[37:38]
	s_waitcnt vmcnt(2)
	v_add_f64 v[35:36], v[85:86], -v[35:36]
	s_waitcnt vmcnt(0)
	v_add_f64 v[4:5], v[87:88], -v[4:5]
	buffer_store_dword v36, off, s[0:3], 0 offset:52
	buffer_store_dword v35, off, s[0:3], 0 offset:48
	;; [unrolled: 1-line block ×4, first 2 shown]
	v_cmpx_lt_u32_e32 2, v0
	s_cbranch_execz .LBB77_93
; %bb.92:
	v_mov_b32_e32 v4, s25
	s_clause 0x3
	buffer_load_dword v35, v4, s[0:3], 0 offen
	buffer_load_dword v36, v4, s[0:3], 0 offen offset:4
	buffer_load_dword v37, v4, s[0:3], 0 offen offset:8
	buffer_load_dword v38, v4, s[0:3], 0 offen offset:12
	v_mov_b32_e32 v4, 0
	buffer_store_dword v4, off, s[0:3], 0 offset:32
	buffer_store_dword v4, off, s[0:3], 0 offset:36
	;; [unrolled: 1-line block ×4, first 2 shown]
	s_waitcnt vmcnt(0)
	ds_write_b128 v3, v[35:38]
.LBB77_93:
	s_or_b32 exec_lo, exec_lo, s6
	s_waitcnt lgkmcnt(0)
	s_waitcnt_vscnt null, 0x0
	s_barrier
	buffer_gl0_inv
	s_clause 0x2f
	buffer_load_dword v5, off, s[0:3], 0 offset:56
	buffer_load_dword v6, off, s[0:3], 0 offset:60
	;; [unrolled: 1-line block ×48, first 2 shown]
	v_mov_b32_e32 v4, 0
	ds_read_b128 v[35:38], v4 offset:272
	ds_read_b128 v[39:42], v4 offset:288
	;; [unrolled: 1-line block ×3, first 2 shown]
	s_mov_b32 s6, exec_lo
	s_waitcnt vmcnt(46) lgkmcnt(2)
	v_mul_f64 v[93:94], v[37:38], v[5:6]
	v_mul_f64 v[5:6], v[35:36], v[5:6]
	s_waitcnt vmcnt(44) lgkmcnt(1)
	v_mul_f64 v[95:96], v[41:42], v[47:48]
	v_mul_f64 v[47:48], v[39:40], v[47:48]
	s_waitcnt vmcnt(42)
	v_fma_f64 v[93:94], v[35:36], v[49:50], -v[93:94]
	v_fma_f64 v[5:6], v[37:38], v[49:50], v[5:6]
	ds_read_b128 v[35:38], v4 offset:320
	s_waitcnt vmcnt(40) lgkmcnt(1)
	v_mul_f64 v[49:50], v[43:44], v[51:52]
	v_mul_f64 v[51:52], v[45:46], v[51:52]
	s_waitcnt vmcnt(38)
	v_fma_f64 v[95:96], v[39:40], v[53:54], -v[95:96]
	v_fma_f64 v[47:48], v[41:42], v[53:54], v[47:48]
	ds_read_b128 v[39:42], v4 offset:336
	s_waitcnt vmcnt(34) lgkmcnt(1)
	v_mul_f64 v[53:54], v[35:36], v[55:56]
	v_add_f64 v[93:94], v[93:94], 0
	v_add_f64 v[5:6], v[5:6], 0
	v_mul_f64 v[55:56], v[37:38], v[55:56]
	s_waitcnt vmcnt(32)
	v_fma_f64 v[51:52], v[43:44], v[61:62], -v[51:52]
	v_fma_f64 v[49:50], v[45:46], v[61:62], v[49:50]
	ds_read_b128 v[43:46], v4 offset:352
	s_waitcnt vmcnt(29)
	v_fma_f64 v[53:54], v[37:38], v[63:64], v[53:54]
	v_add_f64 v[93:94], v[93:94], v[95:96]
	v_add_f64 v[5:6], v[5:6], v[47:48]
	s_waitcnt lgkmcnt(1)
	v_mul_f64 v[47:48], v[39:40], v[57:58]
	v_mul_f64 v[57:58], v[41:42], v[57:58]
	v_fma_f64 v[55:56], v[35:36], v[63:64], -v[55:56]
	s_waitcnt vmcnt(25) lgkmcnt(0)
	v_mul_f64 v[61:62], v[45:46], v[65:66]
	ds_read_b128 v[35:38], v4 offset:368
	v_add_f64 v[51:52], v[93:94], v[51:52]
	v_add_f64 v[5:6], v[5:6], v[49:50]
	v_mul_f64 v[49:50], v[43:44], v[65:66]
	s_waitcnt vmcnt(24)
	v_fma_f64 v[57:58], v[39:40], v[59:60], -v[57:58]
	v_fma_f64 v[47:48], v[41:42], v[59:60], v[47:48]
	ds_read_b128 v[39:42], v4 offset:384
	s_waitcnt vmcnt(21)
	v_fma_f64 v[59:60], v[43:44], v[71:72], -v[61:62]
	v_add_f64 v[51:52], v[51:52], v[55:56]
	v_add_f64 v[5:6], v[5:6], v[53:54]
	s_waitcnt lgkmcnt(1)
	v_mul_f64 v[55:56], v[37:38], v[67:68]
	v_mul_f64 v[53:54], v[35:36], v[67:68]
	v_fma_f64 v[49:50], v[45:46], v[71:72], v[49:50]
	ds_read_b128 v[43:46], v4 offset:400
	v_add_f64 v[51:52], v[51:52], v[57:58]
	v_add_f64 v[5:6], v[5:6], v[47:48]
	s_waitcnt vmcnt(17) lgkmcnt(1)
	v_mul_f64 v[57:58], v[41:42], v[73:74]
	s_waitcnt vmcnt(16)
	v_fma_f64 v[55:56], v[35:36], v[69:70], -v[55:56]
	v_mul_f64 v[47:48], v[39:40], v[73:74]
	v_fma_f64 v[53:54], v[37:38], v[69:70], v[53:54]
	ds_read_b128 v[35:38], v4 offset:416
	v_add_f64 v[51:52], v[51:52], v[59:60]
	v_add_f64 v[5:6], v[5:6], v[49:50]
	s_waitcnt vmcnt(15) lgkmcnt(1)
	v_mul_f64 v[59:60], v[45:46], v[75:76]
	s_waitcnt vmcnt(13)
	v_fma_f64 v[57:58], v[39:40], v[79:80], -v[57:58]
	;; [unrolled: 9-line block ×3, first 2 shown]
	v_mul_f64 v[53:54], v[35:36], v[81:82]
	v_fma_f64 v[45:46], v[45:46], v[77:78], v[49:50]
	s_waitcnt vmcnt(7) lgkmcnt(0)
	v_mul_f64 v[49:50], v[41:42], v[83:84]
	v_add_f64 v[51:52], v[51:52], v[57:58]
	v_add_f64 v[5:6], v[5:6], v[47:48]
	s_waitcnt vmcnt(5)
	v_fma_f64 v[35:36], v[35:36], v[87:88], -v[55:56]
	v_mul_f64 v[47:48], v[39:40], v[83:84]
	v_fma_f64 v[37:38], v[37:38], v[87:88], v[53:54]
	s_waitcnt vmcnt(4)
	v_fma_f64 v[39:40], v[39:40], v[85:86], -v[49:50]
	v_add_f64 v[43:44], v[51:52], v[43:44]
	v_add_f64 v[5:6], v[5:6], v[45:46]
	v_fma_f64 v[41:42], v[41:42], v[85:86], v[47:48]
	v_add_f64 v[35:36], v[43:44], v[35:36]
	v_add_f64 v[5:6], v[5:6], v[37:38]
	;; [unrolled: 1-line block ×4, first 2 shown]
	s_waitcnt vmcnt(2)
	v_add_f64 v[35:36], v[89:90], -v[35:36]
	s_waitcnt vmcnt(0)
	v_add_f64 v[5:6], v[91:92], -v[5:6]
	buffer_store_dword v36, off, s[0:3], 0 offset:36
	buffer_store_dword v35, off, s[0:3], 0 offset:32
	;; [unrolled: 1-line block ×4, first 2 shown]
	v_cmpx_lt_u32_e32 1, v0
	s_cbranch_execz .LBB77_95
; %bb.94:
	v_mov_b32_e32 v5, s26
	s_clause 0x3
	buffer_load_dword v35, v5, s[0:3], 0 offen
	buffer_load_dword v36, v5, s[0:3], 0 offen offset:4
	buffer_load_dword v37, v5, s[0:3], 0 offen offset:8
	;; [unrolled: 1-line block ×3, first 2 shown]
	buffer_store_dword v4, off, s[0:3], 0 offset:16
	buffer_store_dword v4, off, s[0:3], 0 offset:20
	;; [unrolled: 1-line block ×4, first 2 shown]
	s_waitcnt vmcnt(0)
	ds_write_b128 v3, v[35:38]
.LBB77_95:
	s_or_b32 exec_lo, exec_lo, s6
	s_waitcnt lgkmcnt(0)
	s_waitcnt_vscnt null, 0x0
	s_barrier
	buffer_gl0_inv
	s_clause 0x2f
	buffer_load_dword v5, off, s[0:3], 0 offset:40
	buffer_load_dword v6, off, s[0:3], 0 offset:44
	;; [unrolled: 1-line block ×48, first 2 shown]
	ds_read_b128 v[35:38], v4 offset:256
	s_clause 0x3
	buffer_load_dword v93, off, s[0:3], 0 offset:16
	buffer_load_dword v94, off, s[0:3], 0 offset:20
	;; [unrolled: 1-line block ×4, first 2 shown]
	ds_read_b128 v[39:42], v4 offset:272
	ds_read_b128 v[43:46], v4 offset:288
	s_mov_b32 s6, exec_lo
	s_waitcnt vmcnt(50) lgkmcnt(2)
	v_mul_f64 v[97:98], v[37:38], v[5:6]
	v_mul_f64 v[5:6], v[35:36], v[5:6]
	s_waitcnt vmcnt(48) lgkmcnt(1)
	v_mul_f64 v[99:100], v[41:42], v[47:48]
	v_mul_f64 v[47:48], v[39:40], v[47:48]
	s_waitcnt vmcnt(46)
	v_fma_f64 v[97:98], v[35:36], v[49:50], -v[97:98]
	v_fma_f64 v[5:6], v[37:38], v[49:50], v[5:6]
	s_waitcnt vmcnt(44) lgkmcnt(0)
	v_mul_f64 v[49:50], v[43:44], v[51:52]
	v_mul_f64 v[51:52], v[45:46], v[51:52]
	s_waitcnt vmcnt(42)
	v_fma_f64 v[99:100], v[39:40], v[53:54], -v[99:100]
	ds_read_b128 v[35:38], v4 offset:304
	v_fma_f64 v[47:48], v[41:42], v[53:54], v[47:48]
	ds_read_b128 v[39:42], v4 offset:320
	v_add_f64 v[97:98], v[97:98], 0
	v_add_f64 v[5:6], v[5:6], 0
	s_waitcnt vmcnt(36)
	v_fma_f64 v[49:50], v[45:46], v[61:62], v[49:50]
	s_waitcnt lgkmcnt(1)
	v_mul_f64 v[53:54], v[35:36], v[55:56]
	v_mul_f64 v[55:56], v[37:38], v[55:56]
	v_fma_f64 v[51:52], v[43:44], v[61:62], -v[51:52]
	ds_read_b128 v[43:46], v4 offset:336
	v_add_f64 v[97:98], v[97:98], v[99:100]
	v_add_f64 v[5:6], v[5:6], v[47:48]
	s_waitcnt vmcnt(35) lgkmcnt(1)
	v_mul_f64 v[47:48], v[39:40], v[57:58]
	v_mul_f64 v[57:58], v[41:42], v[57:58]
	s_waitcnt vmcnt(33)
	v_fma_f64 v[55:56], v[35:36], v[63:64], -v[55:56]
	v_fma_f64 v[53:54], v[37:38], v[63:64], v[53:54]
	ds_read_b128 v[35:38], v4 offset:352
	s_waitcnt vmcnt(29) lgkmcnt(1)
	v_mul_f64 v[61:62], v[45:46], v[65:66]
	v_add_f64 v[51:52], v[97:98], v[51:52]
	v_add_f64 v[5:6], v[5:6], v[49:50]
	v_mul_f64 v[49:50], v[43:44], v[65:66]
	s_waitcnt vmcnt(28)
	v_fma_f64 v[57:58], v[39:40], v[59:60], -v[57:58]
	v_fma_f64 v[47:48], v[41:42], v[59:60], v[47:48]
	ds_read_b128 v[39:42], v4 offset:368
	s_waitcnt vmcnt(25)
	v_fma_f64 v[59:60], v[43:44], v[71:72], -v[61:62]
	v_add_f64 v[51:52], v[51:52], v[55:56]
	v_add_f64 v[5:6], v[5:6], v[53:54]
	s_waitcnt lgkmcnt(1)
	v_mul_f64 v[55:56], v[37:38], v[67:68]
	v_mul_f64 v[53:54], v[35:36], v[67:68]
	v_fma_f64 v[49:50], v[45:46], v[71:72], v[49:50]
	ds_read_b128 v[43:46], v4 offset:384
	v_add_f64 v[51:52], v[51:52], v[57:58]
	v_add_f64 v[5:6], v[5:6], v[47:48]
	s_waitcnt vmcnt(21) lgkmcnt(1)
	v_mul_f64 v[57:58], v[41:42], v[73:74]
	s_waitcnt vmcnt(20)
	v_fma_f64 v[55:56], v[35:36], v[69:70], -v[55:56]
	v_mul_f64 v[47:48], v[39:40], v[73:74]
	v_fma_f64 v[53:54], v[37:38], v[69:70], v[53:54]
	ds_read_b128 v[35:38], v4 offset:400
	v_add_f64 v[51:52], v[51:52], v[59:60]
	v_add_f64 v[5:6], v[5:6], v[49:50]
	s_waitcnt vmcnt(19) lgkmcnt(1)
	v_mul_f64 v[59:60], v[45:46], v[75:76]
	s_waitcnt vmcnt(17)
	v_fma_f64 v[57:58], v[39:40], v[79:80], -v[57:58]
	v_mul_f64 v[49:50], v[43:44], v[75:76]
	v_fma_f64 v[47:48], v[41:42], v[79:80], v[47:48]
	ds_read_b128 v[39:42], v4 offset:416
	v_add_f64 v[51:52], v[51:52], v[55:56]
	v_add_f64 v[5:6], v[5:6], v[53:54]
	s_waitcnt vmcnt(13) lgkmcnt(1)
	v_mul_f64 v[55:56], v[37:38], v[81:82]
	s_waitcnt vmcnt(12)
	v_fma_f64 v[59:60], v[43:44], v[77:78], -v[59:60]
	v_mul_f64 v[53:54], v[35:36], v[81:82]
	v_fma_f64 v[49:50], v[45:46], v[77:78], v[49:50]
	ds_read_b128 v[43:46], v4 offset:432
	v_add_f64 v[51:52], v[51:52], v[57:58]
	v_add_f64 v[5:6], v[5:6], v[47:48]
	s_waitcnt vmcnt(11) lgkmcnt(1)
	v_mul_f64 v[57:58], v[41:42], v[83:84]
	s_waitcnt vmcnt(9)
	v_fma_f64 v[35:36], v[35:36], v[87:88], -v[55:56]
	v_mul_f64 v[47:48], v[39:40], v[83:84]
	v_fma_f64 v[37:38], v[37:38], v[87:88], v[53:54]
	s_waitcnt vmcnt(7) lgkmcnt(0)
	v_mul_f64 v[53:54], v[45:46], v[89:90]
	v_add_f64 v[51:52], v[51:52], v[59:60]
	v_add_f64 v[4:5], v[5:6], v[49:50]
	s_waitcnt vmcnt(6)
	v_fma_f64 v[39:40], v[39:40], v[85:86], -v[57:58]
	v_mul_f64 v[49:50], v[43:44], v[89:90]
	v_fma_f64 v[41:42], v[41:42], v[85:86], v[47:48]
	v_add_f64 v[35:36], v[51:52], v[35:36]
	v_add_f64 v[4:5], v[4:5], v[37:38]
	s_waitcnt vmcnt(4)
	v_fma_f64 v[37:38], v[43:44], v[91:92], -v[53:54]
	v_add_f64 v[35:36], v[35:36], v[39:40]
	v_fma_f64 v[39:40], v[45:46], v[91:92], v[49:50]
	v_add_f64 v[4:5], v[4:5], v[41:42]
	v_add_f64 v[35:36], v[35:36], v[37:38]
	;; [unrolled: 1-line block ×3, first 2 shown]
	s_waitcnt vmcnt(2)
	v_add_f64 v[35:36], v[93:94], -v[35:36]
	s_waitcnt vmcnt(0)
	v_add_f64 v[4:5], v[95:96], -v[4:5]
	buffer_store_dword v36, off, s[0:3], 0 offset:20
	buffer_store_dword v35, off, s[0:3], 0 offset:16
	;; [unrolled: 1-line block ×4, first 2 shown]
	v_cmpx_ne_u32_e32 0, v0
	s_cbranch_execz .LBB77_97
; %bb.96:
	s_clause 0x3
	buffer_load_dword v35, off, s[0:3], 0
	buffer_load_dword v36, off, s[0:3], 0 offset:4
	buffer_load_dword v37, off, s[0:3], 0 offset:8
	;; [unrolled: 1-line block ×3, first 2 shown]
	v_mov_b32_e32 v4, 0
	buffer_store_dword v4, off, s[0:3], 0
	buffer_store_dword v4, off, s[0:3], 0 offset:4
	buffer_store_dword v4, off, s[0:3], 0 offset:8
	;; [unrolled: 1-line block ×3, first 2 shown]
	s_waitcnt vmcnt(0)
	ds_write_b128 v3, v[35:38]
.LBB77_97:
	s_or_b32 exec_lo, exec_lo, s6
	s_waitcnt lgkmcnt(0)
	s_waitcnt_vscnt null, 0x0
	s_barrier
	buffer_gl0_inv
	s_clause 0x33
	buffer_load_dword v4, off, s[0:3], 0 offset:24
	buffer_load_dword v5, off, s[0:3], 0 offset:28
	;; [unrolled: 1-line block ×52, first 2 shown]
	v_mov_b32_e32 v3, 0
	ds_read_b128 v[35:38], v3 offset:240
	ds_read_b128 v[39:42], v3 offset:256
	s_clause 0x3
	buffer_load_dword v99, off, s[0:3], 0
	buffer_load_dword v100, off, s[0:3], 0 offset:4
	buffer_load_dword v101, off, s[0:3], 0 offset:8
	;; [unrolled: 1-line block ×3, first 2 shown]
	ds_read_b128 v[43:46], v3 offset:272
	s_and_b32 vcc_lo, exec_lo, s27
	s_waitcnt vmcnt(54) lgkmcnt(2)
	v_mul_f64 v[97:98], v[37:38], v[4:5]
	v_mul_f64 v[4:5], v[35:36], v[4:5]
	s_waitcnt vmcnt(52) lgkmcnt(1)
	v_mul_f64 v[103:104], v[41:42], v[47:48]
	v_mul_f64 v[47:48], v[39:40], v[47:48]
	s_waitcnt vmcnt(50)
	v_fma_f64 v[97:98], v[35:36], v[49:50], -v[97:98]
	v_fma_f64 v[4:5], v[37:38], v[49:50], v[4:5]
	ds_read_b128 v[35:38], v3 offset:288
	s_waitcnt vmcnt(48) lgkmcnt(1)
	v_mul_f64 v[49:50], v[43:44], v[51:52]
	v_mul_f64 v[51:52], v[45:46], v[51:52]
	s_waitcnt vmcnt(46)
	v_fma_f64 v[103:104], v[39:40], v[53:54], -v[103:104]
	v_fma_f64 v[47:48], v[41:42], v[53:54], v[47:48]
	ds_read_b128 v[39:42], v3 offset:304
	s_waitcnt vmcnt(42) lgkmcnt(1)
	v_mul_f64 v[53:54], v[35:36], v[55:56]
	v_add_f64 v[97:98], v[97:98], 0
	v_add_f64 v[4:5], v[4:5], 0
	v_mul_f64 v[55:56], v[37:38], v[55:56]
	s_waitcnt vmcnt(40)
	v_fma_f64 v[51:52], v[43:44], v[61:62], -v[51:52]
	v_fma_f64 v[49:50], v[45:46], v[61:62], v[49:50]
	ds_read_b128 v[43:46], v3 offset:320
	s_waitcnt vmcnt(37)
	v_fma_f64 v[53:54], v[37:38], v[63:64], v[53:54]
	v_add_f64 v[97:98], v[97:98], v[103:104]
	v_add_f64 v[4:5], v[4:5], v[47:48]
	s_waitcnt lgkmcnt(1)
	v_mul_f64 v[47:48], v[39:40], v[57:58]
	v_mul_f64 v[57:58], v[41:42], v[57:58]
	v_fma_f64 v[55:56], v[35:36], v[63:64], -v[55:56]
	s_waitcnt vmcnt(33) lgkmcnt(0)
	v_mul_f64 v[61:62], v[45:46], v[65:66]
	ds_read_b128 v[35:38], v3 offset:336
	v_add_f64 v[51:52], v[97:98], v[51:52]
	v_add_f64 v[4:5], v[4:5], v[49:50]
	v_mul_f64 v[49:50], v[43:44], v[65:66]
	s_waitcnt vmcnt(32)
	v_fma_f64 v[57:58], v[39:40], v[59:60], -v[57:58]
	v_fma_f64 v[47:48], v[41:42], v[59:60], v[47:48]
	ds_read_b128 v[39:42], v3 offset:352
	s_waitcnt vmcnt(29)
	v_fma_f64 v[59:60], v[43:44], v[71:72], -v[61:62]
	v_add_f64 v[51:52], v[51:52], v[55:56]
	v_add_f64 v[4:5], v[4:5], v[53:54]
	s_waitcnt lgkmcnt(1)
	v_mul_f64 v[55:56], v[37:38], v[67:68]
	v_mul_f64 v[53:54], v[35:36], v[67:68]
	v_fma_f64 v[49:50], v[45:46], v[71:72], v[49:50]
	ds_read_b128 v[43:46], v3 offset:368
	v_add_f64 v[51:52], v[51:52], v[57:58]
	v_add_f64 v[4:5], v[4:5], v[47:48]
	s_waitcnt vmcnt(25) lgkmcnt(1)
	v_mul_f64 v[57:58], v[41:42], v[73:74]
	s_waitcnt vmcnt(24)
	v_fma_f64 v[55:56], v[35:36], v[69:70], -v[55:56]
	v_mul_f64 v[47:48], v[39:40], v[73:74]
	v_fma_f64 v[53:54], v[37:38], v[69:70], v[53:54]
	ds_read_b128 v[35:38], v3 offset:384
	v_add_f64 v[51:52], v[51:52], v[59:60]
	v_add_f64 v[4:5], v[4:5], v[49:50]
	s_waitcnt vmcnt(23) lgkmcnt(1)
	v_mul_f64 v[59:60], v[45:46], v[75:76]
	s_waitcnt vmcnt(21)
	v_fma_f64 v[57:58], v[39:40], v[79:80], -v[57:58]
	;; [unrolled: 9-line block ×5, first 2 shown]
	v_mul_f64 v[49:50], v[43:44], v[89:90]
	v_fma_f64 v[41:42], v[41:42], v[85:86], v[47:48]
	s_waitcnt vmcnt(7) lgkmcnt(0)
	v_mul_f64 v[47:48], v[35:36], v[91:92]
	v_add_f64 v[51:52], v[51:52], v[55:56]
	v_add_f64 v[4:5], v[4:5], v[53:54]
	v_mul_f64 v[53:54], v[37:38], v[91:92]
	s_waitcnt vmcnt(5)
	v_fma_f64 v[43:44], v[43:44], v[95:96], -v[59:60]
	v_fma_f64 v[45:46], v[45:46], v[95:96], v[49:50]
	s_waitcnt vmcnt(4)
	v_fma_f64 v[37:38], v[37:38], v[93:94], v[47:48]
	v_add_f64 v[39:40], v[51:52], v[39:40]
	v_add_f64 v[4:5], v[4:5], v[41:42]
	v_fma_f64 v[35:36], v[35:36], v[93:94], -v[53:54]
	v_add_f64 v[39:40], v[39:40], v[43:44]
	v_add_f64 v[4:5], v[4:5], v[45:46]
	;; [unrolled: 1-line block ×4, first 2 shown]
	s_waitcnt vmcnt(2)
	v_add_f64 v[35:36], v[99:100], -v[35:36]
	s_waitcnt vmcnt(0)
	v_add_f64 v[4:5], v[101:102], -v[4:5]
	buffer_store_dword v36, off, s[0:3], 0 offset:4
	buffer_store_dword v35, off, s[0:3], 0
	buffer_store_dword v5, off, s[0:3], 0 offset:12
	buffer_store_dword v4, off, s[0:3], 0 offset:8
	s_cbranch_vccz .LBB77_124
; %bb.98:
	global_load_dword v3, v3, s[10:11] offset:48
	s_load_dwordx2 s[4:5], s[4:5], 0x4
	s_waitcnt lgkmcnt(0)
	s_lshr_b32 s4, s4, 16
	v_mul_u32_u24_e32 v4, s5, v1
	s_mul_i32 s4, s4, s5
	v_mul_u32_u24_e32 v0, s4, v0
	v_add3_u32 v0, v0, v4, v2
	v_lshl_add_u32 v0, v0, 4, 0x1c8
	s_waitcnt vmcnt(0)
	v_add_nc_u32_e32 v1, -1, v3
	v_cmp_ne_u32_e32 vcc_lo, 12, v1
	s_cbranch_vccz .LBB77_100
; %bb.99:
	v_lshlrev_b32_e32 v1, 4, v1
	v_mov_b32_e32 v5, s13
	v_mov_b32_e32 v6, v1
	s_clause 0x7
	buffer_load_dword v1, v5, s[0:3], 0 offen
	buffer_load_dword v2, v5, s[0:3], 0 offen offset:4
	buffer_load_dword v3, v5, s[0:3], 0 offen offset:8
	;; [unrolled: 1-line block ×3, first 2 shown]
	buffer_load_dword v35, v6, s[0:3], 0 offen
	buffer_load_dword v36, v6, s[0:3], 0 offen offset:4
	buffer_load_dword v37, v6, s[0:3], 0 offen offset:8
	;; [unrolled: 1-line block ×3, first 2 shown]
	s_waitcnt vmcnt(4)
	ds_write2_b64 v0, v[1:2], v[3:4] offset1:1
	s_waitcnt vmcnt(3)
	buffer_store_dword v35, v5, s[0:3], 0 offen
	s_waitcnt vmcnt(2)
	buffer_store_dword v36, v5, s[0:3], 0 offen offset:4
	s_waitcnt vmcnt(1)
	buffer_store_dword v37, v5, s[0:3], 0 offen offset:8
	;; [unrolled: 2-line block ×3, first 2 shown]
	buffer_store_dword v4, v6, s[0:3], 0 offen offset:12
	buffer_store_dword v3, v6, s[0:3], 0 offen offset:8
	;; [unrolled: 1-line block ×3, first 2 shown]
	buffer_store_dword v1, v6, s[0:3], 0 offen
.LBB77_100:
	v_mov_b32_e32 v1, 0
	global_load_dword v2, v1, s[10:11] offset:44
	s_waitcnt vmcnt(0)
	v_add_nc_u32_e32 v2, -1, v2
	v_cmp_eq_u32_e32 vcc_lo, 11, v2
	s_cbranch_vccnz .LBB77_102
; %bb.101:
	v_lshlrev_b32_e32 v2, 4, v2
	v_mov_b32_e32 v6, s16
	v_mov_b32_e32 v35, v2
	s_clause 0x7
	buffer_load_dword v2, v6, s[0:3], 0 offen
	buffer_load_dword v3, v6, s[0:3], 0 offen offset:4
	buffer_load_dword v4, v6, s[0:3], 0 offen offset:8
	;; [unrolled: 1-line block ×3, first 2 shown]
	buffer_load_dword v36, v35, s[0:3], 0 offen
	buffer_load_dword v37, v35, s[0:3], 0 offen offset:4
	buffer_load_dword v38, v35, s[0:3], 0 offen offset:8
	buffer_load_dword v39, v35, s[0:3], 0 offen offset:12
	s_waitcnt vmcnt(4)
	ds_write2_b64 v0, v[2:3], v[4:5] offset1:1
	s_waitcnt vmcnt(3)
	buffer_store_dword v36, v6, s[0:3], 0 offen
	s_waitcnt vmcnt(2)
	buffer_store_dword v37, v6, s[0:3], 0 offen offset:4
	s_waitcnt vmcnt(1)
	buffer_store_dword v38, v6, s[0:3], 0 offen offset:8
	;; [unrolled: 2-line block ×3, first 2 shown]
	buffer_store_dword v5, v35, s[0:3], 0 offen offset:12
	buffer_store_dword v4, v35, s[0:3], 0 offen offset:8
	;; [unrolled: 1-line block ×3, first 2 shown]
	buffer_store_dword v2, v35, s[0:3], 0 offen
.LBB77_102:
	global_load_dword v1, v1, s[10:11] offset:40
	s_waitcnt vmcnt(0)
	v_add_nc_u32_e32 v1, -1, v1
	v_cmp_eq_u32_e32 vcc_lo, 10, v1
	s_cbranch_vccnz .LBB77_104
; %bb.103:
	v_lshlrev_b32_e32 v1, 4, v1
	v_mov_b32_e32 v5, s17
	v_mov_b32_e32 v6, v1
	s_clause 0x7
	buffer_load_dword v1, v5, s[0:3], 0 offen
	buffer_load_dword v2, v5, s[0:3], 0 offen offset:4
	buffer_load_dword v3, v5, s[0:3], 0 offen offset:8
	;; [unrolled: 1-line block ×3, first 2 shown]
	buffer_load_dword v35, v6, s[0:3], 0 offen
	buffer_load_dword v36, v6, s[0:3], 0 offen offset:4
	buffer_load_dword v37, v6, s[0:3], 0 offen offset:8
	buffer_load_dword v38, v6, s[0:3], 0 offen offset:12
	s_waitcnt vmcnt(4)
	ds_write2_b64 v0, v[1:2], v[3:4] offset1:1
	s_waitcnt vmcnt(3)
	buffer_store_dword v35, v5, s[0:3], 0 offen
	s_waitcnt vmcnt(2)
	buffer_store_dword v36, v5, s[0:3], 0 offen offset:4
	s_waitcnt vmcnt(1)
	buffer_store_dword v37, v5, s[0:3], 0 offen offset:8
	;; [unrolled: 2-line block ×3, first 2 shown]
	buffer_store_dword v4, v6, s[0:3], 0 offen offset:12
	buffer_store_dword v3, v6, s[0:3], 0 offen offset:8
	;; [unrolled: 1-line block ×3, first 2 shown]
	buffer_store_dword v1, v6, s[0:3], 0 offen
.LBB77_104:
	v_mov_b32_e32 v1, 0
	global_load_dword v2, v1, s[10:11] offset:36
	s_waitcnt vmcnt(0)
	v_add_nc_u32_e32 v2, -1, v2
	v_cmp_eq_u32_e32 vcc_lo, 9, v2
	s_cbranch_vccnz .LBB77_106
; %bb.105:
	v_lshlrev_b32_e32 v2, 4, v2
	v_mov_b32_e32 v6, s18
	v_mov_b32_e32 v35, v2
	s_clause 0x7
	buffer_load_dword v2, v6, s[0:3], 0 offen
	buffer_load_dword v3, v6, s[0:3], 0 offen offset:4
	buffer_load_dword v4, v6, s[0:3], 0 offen offset:8
	;; [unrolled: 1-line block ×3, first 2 shown]
	buffer_load_dword v36, v35, s[0:3], 0 offen
	buffer_load_dword v37, v35, s[0:3], 0 offen offset:4
	buffer_load_dword v38, v35, s[0:3], 0 offen offset:8
	;; [unrolled: 1-line block ×3, first 2 shown]
	s_waitcnt vmcnt(4)
	ds_write2_b64 v0, v[2:3], v[4:5] offset1:1
	s_waitcnt vmcnt(3)
	buffer_store_dword v36, v6, s[0:3], 0 offen
	s_waitcnt vmcnt(2)
	buffer_store_dword v37, v6, s[0:3], 0 offen offset:4
	s_waitcnt vmcnt(1)
	buffer_store_dword v38, v6, s[0:3], 0 offen offset:8
	;; [unrolled: 2-line block ×3, first 2 shown]
	buffer_store_dword v5, v35, s[0:3], 0 offen offset:12
	buffer_store_dword v4, v35, s[0:3], 0 offen offset:8
	;; [unrolled: 1-line block ×3, first 2 shown]
	buffer_store_dword v2, v35, s[0:3], 0 offen
.LBB77_106:
	global_load_dword v1, v1, s[10:11] offset:32
	s_waitcnt vmcnt(0)
	v_add_nc_u32_e32 v1, -1, v1
	v_cmp_eq_u32_e32 vcc_lo, 8, v1
	s_cbranch_vccnz .LBB77_108
; %bb.107:
	v_lshlrev_b32_e32 v1, 4, v1
	v_mov_b32_e32 v5, s19
	v_mov_b32_e32 v6, v1
	s_clause 0x7
	buffer_load_dword v1, v5, s[0:3], 0 offen
	buffer_load_dword v2, v5, s[0:3], 0 offen offset:4
	buffer_load_dword v3, v5, s[0:3], 0 offen offset:8
	;; [unrolled: 1-line block ×3, first 2 shown]
	buffer_load_dword v35, v6, s[0:3], 0 offen
	buffer_load_dword v36, v6, s[0:3], 0 offen offset:4
	buffer_load_dword v37, v6, s[0:3], 0 offen offset:8
	;; [unrolled: 1-line block ×3, first 2 shown]
	s_waitcnt vmcnt(4)
	ds_write2_b64 v0, v[1:2], v[3:4] offset1:1
	s_waitcnt vmcnt(3)
	buffer_store_dword v35, v5, s[0:3], 0 offen
	s_waitcnt vmcnt(2)
	buffer_store_dword v36, v5, s[0:3], 0 offen offset:4
	s_waitcnt vmcnt(1)
	buffer_store_dword v37, v5, s[0:3], 0 offen offset:8
	;; [unrolled: 2-line block ×3, first 2 shown]
	buffer_store_dword v4, v6, s[0:3], 0 offen offset:12
	buffer_store_dword v3, v6, s[0:3], 0 offen offset:8
	;; [unrolled: 1-line block ×3, first 2 shown]
	buffer_store_dword v1, v6, s[0:3], 0 offen
.LBB77_108:
	v_mov_b32_e32 v1, 0
	global_load_dword v2, v1, s[10:11] offset:28
	s_waitcnt vmcnt(0)
	v_add_nc_u32_e32 v2, -1, v2
	v_cmp_eq_u32_e32 vcc_lo, 7, v2
	s_cbranch_vccnz .LBB77_110
; %bb.109:
	v_lshlrev_b32_e32 v2, 4, v2
	v_mov_b32_e32 v6, s20
	v_mov_b32_e32 v35, v2
	s_clause 0x7
	buffer_load_dword v2, v6, s[0:3], 0 offen
	buffer_load_dword v3, v6, s[0:3], 0 offen offset:4
	buffer_load_dword v4, v6, s[0:3], 0 offen offset:8
	;; [unrolled: 1-line block ×3, first 2 shown]
	buffer_load_dword v36, v35, s[0:3], 0 offen
	buffer_load_dword v37, v35, s[0:3], 0 offen offset:4
	buffer_load_dword v38, v35, s[0:3], 0 offen offset:8
	;; [unrolled: 1-line block ×3, first 2 shown]
	s_waitcnt vmcnt(4)
	ds_write2_b64 v0, v[2:3], v[4:5] offset1:1
	s_waitcnt vmcnt(3)
	buffer_store_dword v36, v6, s[0:3], 0 offen
	s_waitcnt vmcnt(2)
	buffer_store_dword v37, v6, s[0:3], 0 offen offset:4
	s_waitcnt vmcnt(1)
	buffer_store_dword v38, v6, s[0:3], 0 offen offset:8
	;; [unrolled: 2-line block ×3, first 2 shown]
	buffer_store_dword v5, v35, s[0:3], 0 offen offset:12
	buffer_store_dword v4, v35, s[0:3], 0 offen offset:8
	;; [unrolled: 1-line block ×3, first 2 shown]
	buffer_store_dword v2, v35, s[0:3], 0 offen
.LBB77_110:
	global_load_dword v1, v1, s[10:11] offset:24
	s_waitcnt vmcnt(0)
	v_add_nc_u32_e32 v1, -1, v1
	v_cmp_eq_u32_e32 vcc_lo, 6, v1
	s_cbranch_vccnz .LBB77_112
; %bb.111:
	v_lshlrev_b32_e32 v1, 4, v1
	v_mov_b32_e32 v5, s21
	v_mov_b32_e32 v6, v1
	s_clause 0x7
	buffer_load_dword v1, v5, s[0:3], 0 offen
	buffer_load_dword v2, v5, s[0:3], 0 offen offset:4
	buffer_load_dword v3, v5, s[0:3], 0 offen offset:8
	;; [unrolled: 1-line block ×3, first 2 shown]
	buffer_load_dword v35, v6, s[0:3], 0 offen
	buffer_load_dword v36, v6, s[0:3], 0 offen offset:4
	buffer_load_dword v37, v6, s[0:3], 0 offen offset:8
	;; [unrolled: 1-line block ×3, first 2 shown]
	s_waitcnt vmcnt(4)
	ds_write2_b64 v0, v[1:2], v[3:4] offset1:1
	s_waitcnt vmcnt(3)
	buffer_store_dword v35, v5, s[0:3], 0 offen
	s_waitcnt vmcnt(2)
	buffer_store_dword v36, v5, s[0:3], 0 offen offset:4
	s_waitcnt vmcnt(1)
	buffer_store_dword v37, v5, s[0:3], 0 offen offset:8
	;; [unrolled: 2-line block ×3, first 2 shown]
	buffer_store_dword v4, v6, s[0:3], 0 offen offset:12
	buffer_store_dword v3, v6, s[0:3], 0 offen offset:8
	;; [unrolled: 1-line block ×3, first 2 shown]
	buffer_store_dword v1, v6, s[0:3], 0 offen
.LBB77_112:
	v_mov_b32_e32 v1, 0
	global_load_dword v2, v1, s[10:11] offset:20
	s_waitcnt vmcnt(0)
	v_add_nc_u32_e32 v2, -1, v2
	v_cmp_eq_u32_e32 vcc_lo, 5, v2
	s_cbranch_vccnz .LBB77_114
; %bb.113:
	v_lshlrev_b32_e32 v2, 4, v2
	v_mov_b32_e32 v6, s22
	v_mov_b32_e32 v35, v2
	s_clause 0x7
	buffer_load_dword v2, v6, s[0:3], 0 offen
	buffer_load_dword v3, v6, s[0:3], 0 offen offset:4
	buffer_load_dword v4, v6, s[0:3], 0 offen offset:8
	buffer_load_dword v5, v6, s[0:3], 0 offen offset:12
	buffer_load_dword v36, v35, s[0:3], 0 offen
	buffer_load_dword v37, v35, s[0:3], 0 offen offset:4
	buffer_load_dword v38, v35, s[0:3], 0 offen offset:8
	buffer_load_dword v39, v35, s[0:3], 0 offen offset:12
	s_waitcnt vmcnt(4)
	ds_write2_b64 v0, v[2:3], v[4:5] offset1:1
	s_waitcnt vmcnt(3)
	buffer_store_dword v36, v6, s[0:3], 0 offen
	s_waitcnt vmcnt(2)
	buffer_store_dword v37, v6, s[0:3], 0 offen offset:4
	s_waitcnt vmcnt(1)
	buffer_store_dword v38, v6, s[0:3], 0 offen offset:8
	;; [unrolled: 2-line block ×3, first 2 shown]
	buffer_store_dword v5, v35, s[0:3], 0 offen offset:12
	buffer_store_dword v4, v35, s[0:3], 0 offen offset:8
	;; [unrolled: 1-line block ×3, first 2 shown]
	buffer_store_dword v2, v35, s[0:3], 0 offen
.LBB77_114:
	global_load_dword v1, v1, s[10:11] offset:16
	s_waitcnt vmcnt(0)
	v_add_nc_u32_e32 v1, -1, v1
	v_cmp_eq_u32_e32 vcc_lo, 4, v1
	s_cbranch_vccnz .LBB77_116
; %bb.115:
	v_lshlrev_b32_e32 v1, 4, v1
	v_mov_b32_e32 v5, s23
	v_mov_b32_e32 v6, v1
	s_clause 0x7
	buffer_load_dword v1, v5, s[0:3], 0 offen
	buffer_load_dword v2, v5, s[0:3], 0 offen offset:4
	buffer_load_dword v3, v5, s[0:3], 0 offen offset:8
	;; [unrolled: 1-line block ×3, first 2 shown]
	buffer_load_dword v35, v6, s[0:3], 0 offen
	buffer_load_dword v36, v6, s[0:3], 0 offen offset:4
	buffer_load_dword v37, v6, s[0:3], 0 offen offset:8
	;; [unrolled: 1-line block ×3, first 2 shown]
	s_waitcnt vmcnt(4)
	ds_write2_b64 v0, v[1:2], v[3:4] offset1:1
	s_waitcnt vmcnt(3)
	buffer_store_dword v35, v5, s[0:3], 0 offen
	s_waitcnt vmcnt(2)
	buffer_store_dword v36, v5, s[0:3], 0 offen offset:4
	s_waitcnt vmcnt(1)
	buffer_store_dword v37, v5, s[0:3], 0 offen offset:8
	;; [unrolled: 2-line block ×3, first 2 shown]
	buffer_store_dword v4, v6, s[0:3], 0 offen offset:12
	buffer_store_dword v3, v6, s[0:3], 0 offen offset:8
	;; [unrolled: 1-line block ×3, first 2 shown]
	buffer_store_dword v1, v6, s[0:3], 0 offen
.LBB77_116:
	v_mov_b32_e32 v1, 0
	global_load_dword v2, v1, s[10:11] offset:12
	s_waitcnt vmcnt(0)
	v_add_nc_u32_e32 v2, -1, v2
	v_cmp_eq_u32_e32 vcc_lo, 3, v2
	s_cbranch_vccnz .LBB77_118
; %bb.117:
	v_lshlrev_b32_e32 v2, 4, v2
	v_mov_b32_e32 v6, s24
	v_mov_b32_e32 v35, v2
	s_clause 0x7
	buffer_load_dword v2, v6, s[0:3], 0 offen
	buffer_load_dword v3, v6, s[0:3], 0 offen offset:4
	buffer_load_dword v4, v6, s[0:3], 0 offen offset:8
	;; [unrolled: 1-line block ×3, first 2 shown]
	buffer_load_dword v36, v35, s[0:3], 0 offen
	buffer_load_dword v37, v35, s[0:3], 0 offen offset:4
	buffer_load_dword v38, v35, s[0:3], 0 offen offset:8
	;; [unrolled: 1-line block ×3, first 2 shown]
	s_waitcnt vmcnt(4)
	ds_write2_b64 v0, v[2:3], v[4:5] offset1:1
	s_waitcnt vmcnt(3)
	buffer_store_dword v36, v6, s[0:3], 0 offen
	s_waitcnt vmcnt(2)
	buffer_store_dword v37, v6, s[0:3], 0 offen offset:4
	s_waitcnt vmcnt(1)
	buffer_store_dword v38, v6, s[0:3], 0 offen offset:8
	;; [unrolled: 2-line block ×3, first 2 shown]
	buffer_store_dword v5, v35, s[0:3], 0 offen offset:12
	buffer_store_dword v4, v35, s[0:3], 0 offen offset:8
	;; [unrolled: 1-line block ×3, first 2 shown]
	buffer_store_dword v2, v35, s[0:3], 0 offen
.LBB77_118:
	global_load_dword v1, v1, s[10:11] offset:8
	s_waitcnt vmcnt(0)
	v_add_nc_u32_e32 v1, -1, v1
	v_cmp_eq_u32_e32 vcc_lo, 2, v1
	s_cbranch_vccnz .LBB77_120
; %bb.119:
	v_lshlrev_b32_e32 v1, 4, v1
	v_mov_b32_e32 v5, s25
	v_mov_b32_e32 v6, v1
	s_clause 0x7
	buffer_load_dword v1, v5, s[0:3], 0 offen
	buffer_load_dword v2, v5, s[0:3], 0 offen offset:4
	buffer_load_dword v3, v5, s[0:3], 0 offen offset:8
	;; [unrolled: 1-line block ×3, first 2 shown]
	buffer_load_dword v35, v6, s[0:3], 0 offen
	buffer_load_dword v36, v6, s[0:3], 0 offen offset:4
	buffer_load_dword v37, v6, s[0:3], 0 offen offset:8
	;; [unrolled: 1-line block ×3, first 2 shown]
	s_waitcnt vmcnt(4)
	ds_write2_b64 v0, v[1:2], v[3:4] offset1:1
	s_waitcnt vmcnt(3)
	buffer_store_dword v35, v5, s[0:3], 0 offen
	s_waitcnt vmcnt(2)
	buffer_store_dword v36, v5, s[0:3], 0 offen offset:4
	s_waitcnt vmcnt(1)
	buffer_store_dword v37, v5, s[0:3], 0 offen offset:8
	;; [unrolled: 2-line block ×3, first 2 shown]
	buffer_store_dword v4, v6, s[0:3], 0 offen offset:12
	buffer_store_dword v3, v6, s[0:3], 0 offen offset:8
	;; [unrolled: 1-line block ×3, first 2 shown]
	buffer_store_dword v1, v6, s[0:3], 0 offen
.LBB77_120:
	v_mov_b32_e32 v1, 0
	global_load_dword v2, v1, s[10:11] offset:4
	s_waitcnt vmcnt(0)
	v_add_nc_u32_e32 v2, -1, v2
	v_cmp_eq_u32_e32 vcc_lo, 1, v2
	s_cbranch_vccnz .LBB77_122
; %bb.121:
	v_lshlrev_b32_e32 v2, 4, v2
	v_mov_b32_e32 v6, s26
	v_mov_b32_e32 v35, v2
	s_clause 0x7
	buffer_load_dword v2, v6, s[0:3], 0 offen
	buffer_load_dword v3, v6, s[0:3], 0 offen offset:4
	buffer_load_dword v4, v6, s[0:3], 0 offen offset:8
	;; [unrolled: 1-line block ×3, first 2 shown]
	buffer_load_dword v36, v35, s[0:3], 0 offen
	buffer_load_dword v37, v35, s[0:3], 0 offen offset:4
	buffer_load_dword v38, v35, s[0:3], 0 offen offset:8
	buffer_load_dword v39, v35, s[0:3], 0 offen offset:12
	s_waitcnt vmcnt(4)
	ds_write2_b64 v0, v[2:3], v[4:5] offset1:1
	s_waitcnt vmcnt(3)
	buffer_store_dword v36, v6, s[0:3], 0 offen
	s_waitcnt vmcnt(2)
	buffer_store_dword v37, v6, s[0:3], 0 offen offset:4
	s_waitcnt vmcnt(1)
	buffer_store_dword v38, v6, s[0:3], 0 offen offset:8
	;; [unrolled: 2-line block ×3, first 2 shown]
	buffer_store_dword v5, v35, s[0:3], 0 offen offset:12
	buffer_store_dword v4, v35, s[0:3], 0 offen offset:8
	;; [unrolled: 1-line block ×3, first 2 shown]
	buffer_store_dword v2, v35, s[0:3], 0 offen
.LBB77_122:
	global_load_dword v1, v1, s[10:11]
	s_waitcnt vmcnt(0)
	v_add_nc_u32_e32 v1, -1, v1
	v_cmp_eq_u32_e32 vcc_lo, 0, v1
	s_cbranch_vccnz .LBB77_124
; %bb.123:
	v_lshlrev_b32_e32 v1, 4, v1
	v_mov_b32_e32 v5, v1
	s_clause 0x7
	buffer_load_dword v1, off, s[0:3], 0
	buffer_load_dword v2, off, s[0:3], 0 offset:4
	buffer_load_dword v3, off, s[0:3], 0 offset:8
	;; [unrolled: 1-line block ×3, first 2 shown]
	buffer_load_dword v6, v5, s[0:3], 0 offen
	buffer_load_dword v35, v5, s[0:3], 0 offen offset:4
	buffer_load_dword v36, v5, s[0:3], 0 offen offset:8
	;; [unrolled: 1-line block ×3, first 2 shown]
	s_waitcnt vmcnt(4)
	ds_write2_b64 v0, v[1:2], v[3:4] offset1:1
	s_waitcnt vmcnt(3)
	buffer_store_dword v6, off, s[0:3], 0
	s_waitcnt vmcnt(2)
	buffer_store_dword v35, off, s[0:3], 0 offset:4
	s_waitcnt vmcnt(1)
	buffer_store_dword v36, off, s[0:3], 0 offset:8
	;; [unrolled: 2-line block ×3, first 2 shown]
	buffer_store_dword v4, v5, s[0:3], 0 offen offset:12
	buffer_store_dword v3, v5, s[0:3], 0 offen offset:8
	;; [unrolled: 1-line block ×3, first 2 shown]
	buffer_store_dword v1, v5, s[0:3], 0 offen
.LBB77_124:
	s_clause 0x3
	buffer_load_dword v0, off, s[0:3], 0
	buffer_load_dword v1, off, s[0:3], 0 offset:4
	buffer_load_dword v2, off, s[0:3], 0 offset:8
	;; [unrolled: 1-line block ×3, first 2 shown]
	v_mov_b32_e32 v4, s26
	s_waitcnt vmcnt(0)
	flat_store_dwordx4 v[7:8], v[0:3]
	s_clause 0x3
	buffer_load_dword v0, v4, s[0:3], 0 offen
	buffer_load_dword v1, v4, s[0:3], 0 offen offset:4
	buffer_load_dword v2, v4, s[0:3], 0 offen offset:8
	buffer_load_dword v3, v4, s[0:3], 0 offen offset:12
	v_mov_b32_e32 v4, s25
	s_waitcnt vmcnt(0)
	flat_store_dwordx4 v[9:10], v[0:3]
	s_clause 0x3
	buffer_load_dword v0, v4, s[0:3], 0 offen
	buffer_load_dword v1, v4, s[0:3], 0 offen offset:4
	buffer_load_dword v2, v4, s[0:3], 0 offen offset:8
	buffer_load_dword v3, v4, s[0:3], 0 offen offset:12
	;; [unrolled: 8-line block ×13, first 2 shown]
	s_waitcnt vmcnt(0)
	flat_store_dwordx4 v[33:34], v[0:3]
	s_endpgm
	.section	.rodata,"a",@progbits
	.p2align	6, 0x0
	.amdhsa_kernel _ZN9rocsolver6v33100L18getri_kernel_smallILi14E19rocblas_complex_numIdEPKPS3_EEvT1_iilPiilS8_bb
		.amdhsa_group_segment_fixed_size 1480
		.amdhsa_private_segment_fixed_size 240
		.amdhsa_kernarg_size 60
		.amdhsa_user_sgpr_count 8
		.amdhsa_user_sgpr_private_segment_buffer 1
		.amdhsa_user_sgpr_dispatch_ptr 1
		.amdhsa_user_sgpr_queue_ptr 0
		.amdhsa_user_sgpr_kernarg_segment_ptr 1
		.amdhsa_user_sgpr_dispatch_id 0
		.amdhsa_user_sgpr_flat_scratch_init 0
		.amdhsa_user_sgpr_private_segment_size 0
		.amdhsa_wavefront_size32 1
		.amdhsa_uses_dynamic_stack 0
		.amdhsa_system_sgpr_private_segment_wavefront_offset 1
		.amdhsa_system_sgpr_workgroup_id_x 1
		.amdhsa_system_sgpr_workgroup_id_y 0
		.amdhsa_system_sgpr_workgroup_id_z 0
		.amdhsa_system_sgpr_workgroup_info 0
		.amdhsa_system_vgpr_workitem_id 2
		.amdhsa_next_free_vgpr 105
		.amdhsa_next_free_sgpr 32
		.amdhsa_reserve_vcc 1
		.amdhsa_reserve_flat_scratch 0
		.amdhsa_float_round_mode_32 0
		.amdhsa_float_round_mode_16_64 0
		.amdhsa_float_denorm_mode_32 3
		.amdhsa_float_denorm_mode_16_64 3
		.amdhsa_dx10_clamp 1
		.amdhsa_ieee_mode 1
		.amdhsa_fp16_overflow 0
		.amdhsa_workgroup_processor_mode 1
		.amdhsa_memory_ordered 1
		.amdhsa_forward_progress 1
		.amdhsa_shared_vgpr_count 0
		.amdhsa_exception_fp_ieee_invalid_op 0
		.amdhsa_exception_fp_denorm_src 0
		.amdhsa_exception_fp_ieee_div_zero 0
		.amdhsa_exception_fp_ieee_overflow 0
		.amdhsa_exception_fp_ieee_underflow 0
		.amdhsa_exception_fp_ieee_inexact 0
		.amdhsa_exception_int_div_zero 0
	.end_amdhsa_kernel
	.section	.text._ZN9rocsolver6v33100L18getri_kernel_smallILi14E19rocblas_complex_numIdEPKPS3_EEvT1_iilPiilS8_bb,"axG",@progbits,_ZN9rocsolver6v33100L18getri_kernel_smallILi14E19rocblas_complex_numIdEPKPS3_EEvT1_iilPiilS8_bb,comdat
.Lfunc_end77:
	.size	_ZN9rocsolver6v33100L18getri_kernel_smallILi14E19rocblas_complex_numIdEPKPS3_EEvT1_iilPiilS8_bb, .Lfunc_end77-_ZN9rocsolver6v33100L18getri_kernel_smallILi14E19rocblas_complex_numIdEPKPS3_EEvT1_iilPiilS8_bb
                                        ; -- End function
	.set _ZN9rocsolver6v33100L18getri_kernel_smallILi14E19rocblas_complex_numIdEPKPS3_EEvT1_iilPiilS8_bb.num_vgpr, 105
	.set _ZN9rocsolver6v33100L18getri_kernel_smallILi14E19rocblas_complex_numIdEPKPS3_EEvT1_iilPiilS8_bb.num_agpr, 0
	.set _ZN9rocsolver6v33100L18getri_kernel_smallILi14E19rocblas_complex_numIdEPKPS3_EEvT1_iilPiilS8_bb.numbered_sgpr, 32
	.set _ZN9rocsolver6v33100L18getri_kernel_smallILi14E19rocblas_complex_numIdEPKPS3_EEvT1_iilPiilS8_bb.num_named_barrier, 0
	.set _ZN9rocsolver6v33100L18getri_kernel_smallILi14E19rocblas_complex_numIdEPKPS3_EEvT1_iilPiilS8_bb.private_seg_size, 240
	.set _ZN9rocsolver6v33100L18getri_kernel_smallILi14E19rocblas_complex_numIdEPKPS3_EEvT1_iilPiilS8_bb.uses_vcc, 1
	.set _ZN9rocsolver6v33100L18getri_kernel_smallILi14E19rocblas_complex_numIdEPKPS3_EEvT1_iilPiilS8_bb.uses_flat_scratch, 0
	.set _ZN9rocsolver6v33100L18getri_kernel_smallILi14E19rocblas_complex_numIdEPKPS3_EEvT1_iilPiilS8_bb.has_dyn_sized_stack, 0
	.set _ZN9rocsolver6v33100L18getri_kernel_smallILi14E19rocblas_complex_numIdEPKPS3_EEvT1_iilPiilS8_bb.has_recursion, 0
	.set _ZN9rocsolver6v33100L18getri_kernel_smallILi14E19rocblas_complex_numIdEPKPS3_EEvT1_iilPiilS8_bb.has_indirect_call, 0
	.section	.AMDGPU.csdata,"",@progbits
; Kernel info:
; codeLenInByte = 22048
; TotalNumSgprs: 34
; NumVgprs: 105
; ScratchSize: 240
; MemoryBound: 0
; FloatMode: 240
; IeeeMode: 1
; LDSByteSize: 1480 bytes/workgroup (compile time only)
; SGPRBlocks: 0
; VGPRBlocks: 13
; NumSGPRsForWavesPerEU: 34
; NumVGPRsForWavesPerEU: 105
; Occupancy: 9
; WaveLimiterHint : 1
; COMPUTE_PGM_RSRC2:SCRATCH_EN: 1
; COMPUTE_PGM_RSRC2:USER_SGPR: 8
; COMPUTE_PGM_RSRC2:TRAP_HANDLER: 0
; COMPUTE_PGM_RSRC2:TGID_X_EN: 1
; COMPUTE_PGM_RSRC2:TGID_Y_EN: 0
; COMPUTE_PGM_RSRC2:TGID_Z_EN: 0
; COMPUTE_PGM_RSRC2:TIDIG_COMP_CNT: 2
	.section	.text._ZN9rocsolver6v33100L18getri_kernel_smallILi15E19rocblas_complex_numIdEPKPS3_EEvT1_iilPiilS8_bb,"axG",@progbits,_ZN9rocsolver6v33100L18getri_kernel_smallILi15E19rocblas_complex_numIdEPKPS3_EEvT1_iilPiilS8_bb,comdat
	.globl	_ZN9rocsolver6v33100L18getri_kernel_smallILi15E19rocblas_complex_numIdEPKPS3_EEvT1_iilPiilS8_bb ; -- Begin function _ZN9rocsolver6v33100L18getri_kernel_smallILi15E19rocblas_complex_numIdEPKPS3_EEvT1_iilPiilS8_bb
	.p2align	8
	.type	_ZN9rocsolver6v33100L18getri_kernel_smallILi15E19rocblas_complex_numIdEPKPS3_EEvT1_iilPiilS8_bb,@function
_ZN9rocsolver6v33100L18getri_kernel_smallILi15E19rocblas_complex_numIdEPKPS3_EEvT1_iilPiilS8_bb: ; @_ZN9rocsolver6v33100L18getri_kernel_smallILi15E19rocblas_complex_numIdEPKPS3_EEvT1_iilPiilS8_bb
; %bb.0:
	s_add_u32 s0, s0, s9
	s_addc_u32 s1, s1, 0
	s_mov_b32 s9, exec_lo
	v_cmpx_gt_u32_e32 15, v0
	s_cbranch_execz .LBB78_74
; %bb.1:
	s_clause 0x2
	s_load_dword s18, s[6:7], 0x38
	s_load_dwordx2 s[10:11], s[6:7], 0x0
	s_load_dwordx4 s[12:15], s[6:7], 0x28
	s_waitcnt lgkmcnt(0)
	s_bitcmp1_b32 s18, 8
	s_cselect_b32 s28, -1, 0
	s_ashr_i32 s9, s8, 31
	s_lshl_b64 s[16:17], s[8:9], 3
	s_add_u32 s10, s10, s16
	s_addc_u32 s11, s11, s17
	s_load_dwordx2 s[16:17], s[10:11], 0x0
	s_bfe_u32 s10, s18, 0x10008
	s_cmp_eq_u32 s10, 0
                                        ; implicit-def: $sgpr10_sgpr11
	s_cbranch_scc1 .LBB78_3
; %bb.2:
	s_clause 0x1
	s_load_dword s10, s[6:7], 0x20
	s_load_dwordx2 s[18:19], s[6:7], 0x18
	s_mul_i32 s11, s12, s9
	s_mul_hi_u32 s20, s12, s8
	s_mul_i32 s13, s13, s8
	s_add_i32 s11, s20, s11
	s_mul_i32 s12, s12, s8
	s_add_i32 s13, s11, s13
	s_lshl_b64 s[12:13], s[12:13], 2
	s_waitcnt lgkmcnt(0)
	s_ashr_i32 s11, s10, 31
	s_add_u32 s12, s18, s12
	s_addc_u32 s13, s19, s13
	s_lshl_b64 s[10:11], s[10:11], 2
	s_add_u32 s10, s12, s10
	s_addc_u32 s11, s13, s11
.LBB78_3:
	s_clause 0x1
	s_load_dwordx2 s[12:13], s[6:7], 0x8
	s_load_dword s6, s[6:7], 0x38
	v_lshlrev_b32_e32 v43, 4, v0
	s_movk_i32 s29, 0xa0
	s_movk_i32 s30, 0xb0
	;; [unrolled: 1-line block ×9, first 2 shown]
	s_mov_b32 s27, 16
	s_mov_b32 s26, 32
	;; [unrolled: 1-line block ×4, first 2 shown]
	s_waitcnt lgkmcnt(0)
	s_ashr_i32 s19, s12, 31
	s_mov_b32 s18, s12
	v_add3_u32 v13, s13, s13, v0
	s_lshl_b64 s[18:19], s[18:19], 4
	s_add_u32 s7, s16, s18
	s_addc_u32 s12, s17, s19
	v_add_co_u32 v7, s16, s7, v43
	v_add_co_ci_u32_e64 v8, null, s12, 0, s16
	s_mov_b32 s16, s13
	s_ashr_i32 s17, s13, 31
	v_ashrrev_i32_e32 v14, 31, v13
	flat_load_dwordx4 v[3:6], v[7:8]
	s_lshl_b64 s[16:17], s[16:17], 4
	v_add_nc_u32_e32 v15, s13, v13
	v_add_co_u32 v9, vcc_lo, v7, s16
	v_add_co_ci_u32_e64 v10, null, s17, v8, vcc_lo
	v_lshlrev_b64 v[11:12], 4, v[13:14]
	v_ashrrev_i32_e32 v16, 31, v15
	v_add_nc_u32_e32 v17, s13, v15
	s_movk_i32 s19, 0x90
	s_mov_b32 s18, s29
	s_mov_b32 s17, s30
	v_add_co_u32 v11, vcc_lo, s7, v11
	v_add_co_ci_u32_e64 v12, null, s12, v12, vcc_lo
	v_lshlrev_b64 v[13:14], 4, v[15:16]
	v_ashrrev_i32_e32 v18, 31, v17
	v_add_nc_u32_e32 v19, s13, v17
	s_mov_b32 s16, s31
	s_bitcmp0_b32 s6, 0
	s_waitcnt vmcnt(0) lgkmcnt(0)
	buffer_store_dword v6, off, s[0:3], 0 offset:12
	buffer_store_dword v5, off, s[0:3], 0 offset:8
	;; [unrolled: 1-line block ×3, first 2 shown]
	buffer_store_dword v3, off, s[0:3], 0
	flat_load_dwordx4 v[3:6], v[9:10]
	v_add_co_u32 v13, vcc_lo, s7, v13
	v_add_co_ci_u32_e64 v14, null, s12, v14, vcc_lo
	v_lshlrev_b64 v[15:16], 4, v[17:18]
	v_ashrrev_i32_e32 v20, 31, v19
	v_add_nc_u32_e32 v21, s13, v19
	s_waitcnt vmcnt(0) lgkmcnt(0)
	buffer_store_dword v6, off, s[0:3], 0 offset:28
	buffer_store_dword v5, off, s[0:3], 0 offset:24
	buffer_store_dword v4, off, s[0:3], 0 offset:20
	buffer_store_dword v3, off, s[0:3], 0 offset:16
	flat_load_dwordx4 v[3:6], v[11:12]
	v_add_co_u32 v15, vcc_lo, s7, v15
	v_add_co_ci_u32_e64 v16, null, s12, v16, vcc_lo
	v_lshlrev_b64 v[17:18], 4, v[19:20]
	v_ashrrev_i32_e32 v22, 31, v21
	v_add_nc_u32_e32 v23, s13, v21
	s_waitcnt vmcnt(0) lgkmcnt(0)
	buffer_store_dword v6, off, s[0:3], 0 offset:44
	buffer_store_dword v5, off, s[0:3], 0 offset:40
	buffer_store_dword v4, off, s[0:3], 0 offset:36
	buffer_store_dword v3, off, s[0:3], 0 offset:32
	;; [unrolled: 11-line block ×8, first 2 shown]
	flat_load_dwordx4 v[3:6], v[25:26]
	v_add_co_u32 v29, vcc_lo, s7, v29
	v_add_co_ci_u32_e64 v30, null, s12, v30, vcc_lo
	v_lshlrev_b64 v[31:32], 4, v[33:34]
	v_ashrrev_i32_e32 v36, 31, v35
	s_waitcnt vmcnt(0) lgkmcnt(0)
	buffer_store_dword v6, off, s[0:3], 0 offset:156
	buffer_store_dword v5, off, s[0:3], 0 offset:152
	;; [unrolled: 1-line block ×4, first 2 shown]
	flat_load_dwordx4 v[3:6], v[27:28]
	v_add_co_u32 v31, vcc_lo, s7, v31
	v_add_co_ci_u32_e64 v32, null, s12, v32, vcc_lo
	v_lshlrev_b64 v[33:34], 4, v[35:36]
	v_add_nc_u32_e32 v35, s13, v35
	s_mov_b32 s13, s33
	s_waitcnt vmcnt(0) lgkmcnt(0)
	buffer_store_dword v6, off, s[0:3], 0 offset:172
	buffer_store_dword v5, off, s[0:3], 0 offset:168
	;; [unrolled: 1-line block ×4, first 2 shown]
	flat_load_dwordx4 v[3:6], v[29:30]
	v_add_co_u32 v33, vcc_lo, s7, v33
	v_add_co_ci_u32_e64 v34, null, s12, v34, vcc_lo
	v_ashrrev_i32_e32 v36, 31, v35
	s_waitcnt vmcnt(0) lgkmcnt(0)
	buffer_store_dword v6, off, s[0:3], 0 offset:188
	buffer_store_dword v5, off, s[0:3], 0 offset:184
	;; [unrolled: 1-line block ×4, first 2 shown]
	flat_load_dwordx4 v[3:6], v[31:32]
	v_lshlrev_b64 v[35:36], 4, v[35:36]
	s_waitcnt vmcnt(0) lgkmcnt(0)
	buffer_store_dword v6, off, s[0:3], 0 offset:204
	buffer_store_dword v5, off, s[0:3], 0 offset:200
	;; [unrolled: 1-line block ×4, first 2 shown]
	flat_load_dwordx4 v[3:6], v[33:34]
	v_add_co_u32 v35, vcc_lo, s7, v35
	v_add_co_ci_u32_e64 v36, null, s12, v36, vcc_lo
	s_mov_b32 s7, -1
	s_mov_b32 s12, s34
	s_waitcnt vmcnt(0) lgkmcnt(0)
	buffer_store_dword v6, off, s[0:3], 0 offset:220
	buffer_store_dword v5, off, s[0:3], 0 offset:216
	;; [unrolled: 1-line block ×4, first 2 shown]
	flat_load_dwordx4 v[3:6], v[35:36]
	s_waitcnt vmcnt(0) lgkmcnt(0)
	buffer_store_dword v6, off, s[0:3], 0 offset:236
	buffer_store_dword v5, off, s[0:3], 0 offset:232
	;; [unrolled: 1-line block ×4, first 2 shown]
	s_cbranch_scc1 .LBB78_72
; %bb.4:
	v_cmp_eq_u32_e64 s6, 0, v0
	s_and_saveexec_b32 s7, s6
; %bb.5:
	v_mov_b32_e32 v3, 0
	ds_write_b32 v3, v3 offset:480
; %bb.6:
	s_or_b32 exec_lo, exec_lo, s7
	v_lshl_add_u32 v44, v0, 4, 0
	s_waitcnt lgkmcnt(0)
	s_waitcnt_vscnt null, 0x0
	s_barrier
	buffer_gl0_inv
	s_clause 0x3
	buffer_load_dword v3, v44, s[0:3], 0 offen
	buffer_load_dword v4, v44, s[0:3], 0 offen offset:4
	buffer_load_dword v5, v44, s[0:3], 0 offen offset:8
	;; [unrolled: 1-line block ×3, first 2 shown]
	s_waitcnt vmcnt(2)
	v_cmp_eq_f64_e32 vcc_lo, 0, v[3:4]
	s_waitcnt vmcnt(0)
	v_cmp_eq_f64_e64 s7, 0, v[5:6]
	s_and_b32 s7, vcc_lo, s7
	s_and_saveexec_b32 s29, s7
	s_cbranch_execz .LBB78_10
; %bb.7:
	v_mov_b32_e32 v3, 0
	s_mov_b32 s30, 0
	ds_read_b32 v4, v3 offset:480
	s_waitcnt lgkmcnt(0)
	v_readfirstlane_b32 s7, v4
	v_add_nc_u32_e32 v4, 1, v0
	s_cmp_eq_u32 s7, 0
	v_cmp_gt_i32_e32 vcc_lo, s7, v4
	s_cselect_b32 s31, -1, 0
	s_or_b32 s31, s31, vcc_lo
	s_and_b32 exec_lo, exec_lo, s31
	s_cbranch_execz .LBB78_10
; %bb.8:
	v_mov_b32_e32 v5, s7
.LBB78_9:                               ; =>This Inner Loop Header: Depth=1
	ds_cmpst_rtn_b32 v5, v3, v5, v4 offset:480
	s_waitcnt lgkmcnt(0)
	v_cmp_ne_u32_e32 vcc_lo, 0, v5
	v_cmp_le_i32_e64 s7, v5, v4
	s_and_b32 s7, vcc_lo, s7
	s_and_b32 s7, exec_lo, s7
	s_or_b32 s30, s7, s30
	s_andn2_b32 exec_lo, exec_lo, s30
	s_cbranch_execnz .LBB78_9
.LBB78_10:
	s_or_b32 exec_lo, exec_lo, s29
	v_mov_b32_e32 v3, 0
	s_barrier
	buffer_gl0_inv
	ds_read_b32 v4, v3 offset:480
	s_and_saveexec_b32 s7, s6
	s_cbranch_execz .LBB78_12
; %bb.11:
	s_lshl_b64 s[30:31], s[8:9], 2
	s_add_u32 s30, s14, s30
	s_addc_u32 s31, s15, s31
	s_waitcnt lgkmcnt(0)
	global_store_dword v3, v4, s[30:31]
.LBB78_12:
	s_or_b32 exec_lo, exec_lo, s7
	s_waitcnt lgkmcnt(0)
	v_cmp_ne_u32_e32 vcc_lo, 0, v4
	s_mov_b32 s7, 0
	s_cbranch_vccnz .LBB78_72
; %bb.13:
	s_clause 0x3
	buffer_load_dword v39, v44, s[0:3], 0 offen
	buffer_load_dword v40, v44, s[0:3], 0 offen offset:4
	buffer_load_dword v41, v44, s[0:3], 0 offen offset:8
	buffer_load_dword v42, v44, s[0:3], 0 offen offset:12
                                        ; implicit-def: $vgpr37_vgpr38
                                        ; implicit-def: $vgpr5_vgpr6
	s_waitcnt vmcnt(0)
	v_cmp_ngt_f64_e64 s7, |v[39:40]|, |v[41:42]|
	s_and_saveexec_b32 s29, s7
	s_xor_b32 s7, exec_lo, s29
	s_cbranch_execz .LBB78_15
; %bb.14:
	v_div_scale_f64 v[3:4], null, v[41:42], v[41:42], v[39:40]
	v_div_scale_f64 v[45:46], vcc_lo, v[39:40], v[41:42], v[39:40]
	v_rcp_f64_e32 v[5:6], v[3:4]
	v_fma_f64 v[37:38], -v[3:4], v[5:6], 1.0
	v_fma_f64 v[5:6], v[5:6], v[37:38], v[5:6]
	v_fma_f64 v[37:38], -v[3:4], v[5:6], 1.0
	v_fma_f64 v[5:6], v[5:6], v[37:38], v[5:6]
	v_mul_f64 v[37:38], v[45:46], v[5:6]
	v_fma_f64 v[3:4], -v[3:4], v[37:38], v[45:46]
	v_div_fmas_f64 v[3:4], v[3:4], v[5:6], v[37:38]
	v_div_fixup_f64 v[3:4], v[3:4], v[41:42], v[39:40]
	v_fma_f64 v[5:6], v[39:40], v[3:4], v[41:42]
	v_div_scale_f64 v[37:38], null, v[5:6], v[5:6], 1.0
	v_div_scale_f64 v[45:46], vcc_lo, 1.0, v[5:6], 1.0
	v_rcp_f64_e32 v[39:40], v[37:38]
	v_fma_f64 v[41:42], -v[37:38], v[39:40], 1.0
	v_fma_f64 v[39:40], v[39:40], v[41:42], v[39:40]
	v_fma_f64 v[41:42], -v[37:38], v[39:40], 1.0
	v_fma_f64 v[39:40], v[39:40], v[41:42], v[39:40]
	v_mul_f64 v[41:42], v[45:46], v[39:40]
	v_fma_f64 v[37:38], -v[37:38], v[41:42], v[45:46]
	v_div_fmas_f64 v[37:38], v[37:38], v[39:40], v[41:42]
                                        ; implicit-def: $vgpr39_vgpr40
                                        ; implicit-def: $vgpr41_vgpr42
	v_div_fixup_f64 v[5:6], v[37:38], v[5:6], 1.0
	v_mul_f64 v[37:38], v[3:4], v[5:6]
	v_xor_b32_e32 v6, 0x80000000, v6
	v_xor_b32_e32 v4, 0x80000000, v38
	v_mov_b32_e32 v3, v37
.LBB78_15:
	s_andn2_saveexec_b32 s7, s7
	s_cbranch_execz .LBB78_17
; %bb.16:
	v_div_scale_f64 v[3:4], null, v[39:40], v[39:40], v[41:42]
	v_div_scale_f64 v[45:46], vcc_lo, v[41:42], v[39:40], v[41:42]
	v_rcp_f64_e32 v[5:6], v[3:4]
	v_fma_f64 v[37:38], -v[3:4], v[5:6], 1.0
	v_fma_f64 v[5:6], v[5:6], v[37:38], v[5:6]
	v_fma_f64 v[37:38], -v[3:4], v[5:6], 1.0
	v_fma_f64 v[5:6], v[5:6], v[37:38], v[5:6]
	v_mul_f64 v[37:38], v[45:46], v[5:6]
	v_fma_f64 v[3:4], -v[3:4], v[37:38], v[45:46]
	v_div_fmas_f64 v[3:4], v[3:4], v[5:6], v[37:38]
	v_div_fixup_f64 v[3:4], v[3:4], v[39:40], v[41:42]
	v_fma_f64 v[5:6], v[41:42], v[3:4], v[39:40]
	v_div_scale_f64 v[37:38], null, v[5:6], v[5:6], 1.0
	v_rcp_f64_e32 v[39:40], v[37:38]
	v_fma_f64 v[41:42], -v[37:38], v[39:40], 1.0
	v_fma_f64 v[39:40], v[39:40], v[41:42], v[39:40]
	v_fma_f64 v[41:42], -v[37:38], v[39:40], 1.0
	v_fma_f64 v[39:40], v[39:40], v[41:42], v[39:40]
	v_div_scale_f64 v[41:42], vcc_lo, 1.0, v[5:6], 1.0
	v_mul_f64 v[45:46], v[41:42], v[39:40]
	v_fma_f64 v[37:38], -v[37:38], v[45:46], v[41:42]
	v_div_fmas_f64 v[37:38], v[37:38], v[39:40], v[45:46]
	v_div_fixup_f64 v[37:38], v[37:38], v[5:6], 1.0
	v_mul_f64 v[5:6], v[3:4], -v[37:38]
	v_xor_b32_e32 v4, 0x80000000, v38
	v_mov_b32_e32 v3, v37
.LBB78_17:
	s_or_b32 exec_lo, exec_lo, s7
	v_mov_b32_e32 v42, s27
	buffer_store_dword v38, v44, s[0:3], 0 offen offset:4
	buffer_store_dword v37, v44, s[0:3], 0 offen
	buffer_store_dword v6, v44, s[0:3], 0 offen offset:12
	buffer_store_dword v5, v44, s[0:3], 0 offen offset:8
	v_xor_b32_e32 v6, 0x80000000, v6
	v_add_nc_u32_e32 v37, 0xf0, v43
	s_clause 0x3
	buffer_load_dword v41, v42, s[0:3], 0 offen offset:12
	buffer_load_dword v40, v42, s[0:3], 0 offen offset:8
	;; [unrolled: 1-line block ×3, first 2 shown]
	buffer_load_dword v38, v42, s[0:3], 0 offen
	ds_write_b128 v43, v[3:6]
	s_waitcnt vmcnt(0)
	ds_write_b128 v43, v[38:41] offset:240
	s_waitcnt lgkmcnt(0)
	s_waitcnt_vscnt null, 0x0
	s_barrier
	buffer_gl0_inv
	s_and_saveexec_b32 s7, s6
	s_cbranch_execz .LBB78_19
; %bb.18:
	s_clause 0x3
	buffer_load_dword v45, v44, s[0:3], 0 offen offset:8
	buffer_load_dword v46, v44, s[0:3], 0 offen offset:12
	buffer_load_dword v47, v44, s[0:3], 0 offen
	buffer_load_dword v48, v44, s[0:3], 0 offen offset:4
	ds_read_b128 v[3:6], v37
	v_mov_b32_e32 v38, 0
	ds_read_b128 v[38:41], v38 offset:16
	s_waitcnt vmcnt(2) lgkmcnt(1)
	v_mul_f64 v[49:50], v[3:4], v[45:46]
	v_mul_f64 v[45:46], v[5:6], v[45:46]
	s_waitcnt vmcnt(0)
	v_fma_f64 v[5:6], v[5:6], v[47:48], v[49:50]
	v_fma_f64 v[3:4], v[3:4], v[47:48], -v[45:46]
	v_add_f64 v[5:6], v[5:6], 0
	v_add_f64 v[3:4], v[3:4], 0
	s_waitcnt lgkmcnt(0)
	v_mul_f64 v[45:46], v[5:6], v[40:41]
	v_mul_f64 v[40:41], v[3:4], v[40:41]
	v_fma_f64 v[3:4], v[3:4], v[38:39], -v[45:46]
	v_fma_f64 v[5:6], v[5:6], v[38:39], v[40:41]
	buffer_store_dword v3, off, s[0:3], 0 offset:16
	buffer_store_dword v4, off, s[0:3], 0 offset:20
	;; [unrolled: 1-line block ×4, first 2 shown]
.LBB78_19:
	s_or_b32 exec_lo, exec_lo, s7
	v_mov_b32_e32 v6, s26
	s_waitcnt_vscnt null, 0x0
	s_barrier
	buffer_gl0_inv
	s_mov_b32 s7, exec_lo
	s_clause 0x3
	buffer_load_dword v3, v6, s[0:3], 0 offen
	buffer_load_dword v4, v6, s[0:3], 0 offen offset:4
	buffer_load_dword v5, v6, s[0:3], 0 offen offset:8
	;; [unrolled: 1-line block ×3, first 2 shown]
	s_waitcnt vmcnt(0)
	ds_write_b128 v37, v[3:6]
	s_waitcnt lgkmcnt(0)
	s_barrier
	buffer_gl0_inv
	v_cmpx_gt_u32_e32 2, v0
	s_cbranch_execz .LBB78_23
; %bb.20:
	s_clause 0x3
	buffer_load_dword v38, v44, s[0:3], 0 offen offset:8
	buffer_load_dword v39, v44, s[0:3], 0 offen offset:12
	buffer_load_dword v40, v44, s[0:3], 0 offen
	buffer_load_dword v41, v44, s[0:3], 0 offen offset:4
	ds_read_b128 v[3:6], v37
	s_waitcnt vmcnt(2) lgkmcnt(0)
	v_mul_f64 v[44:45], v[5:6], v[38:39]
	v_mul_f64 v[38:39], v[3:4], v[38:39]
	s_waitcnt vmcnt(0)
	v_fma_f64 v[3:4], v[3:4], v[40:41], -v[44:45]
	v_fma_f64 v[5:6], v[5:6], v[40:41], v[38:39]
	v_add_f64 v[3:4], v[3:4], 0
	v_add_f64 v[5:6], v[5:6], 0
	s_and_saveexec_b32 s29, s6
	s_cbranch_execz .LBB78_22
; %bb.21:
	s_clause 0x3
	buffer_load_dword v44, off, s[0:3], 0 offset:24
	buffer_load_dword v45, off, s[0:3], 0 offset:28
	;; [unrolled: 1-line block ×4, first 2 shown]
	v_mov_b32_e32 v38, 0
	ds_read_b128 v[38:41], v38 offset:256
	s_waitcnt vmcnt(2) lgkmcnt(0)
	v_mul_f64 v[48:49], v[38:39], v[44:45]
	v_mul_f64 v[44:45], v[40:41], v[44:45]
	s_waitcnt vmcnt(0)
	v_fma_f64 v[40:41], v[40:41], v[46:47], v[48:49]
	v_fma_f64 v[38:39], v[38:39], v[46:47], -v[44:45]
	v_add_f64 v[5:6], v[5:6], v[40:41]
	v_add_f64 v[3:4], v[3:4], v[38:39]
.LBB78_22:
	s_or_b32 exec_lo, exec_lo, s29
	v_mov_b32_e32 v38, 0
	ds_read_b128 v[38:41], v38 offset:32
	s_waitcnt lgkmcnt(0)
	v_mul_f64 v[44:45], v[5:6], v[40:41]
	v_mul_f64 v[40:41], v[3:4], v[40:41]
	v_fma_f64 v[3:4], v[3:4], v[38:39], -v[44:45]
	v_fma_f64 v[5:6], v[5:6], v[38:39], v[40:41]
	buffer_store_dword v4, off, s[0:3], 0 offset:36
	buffer_store_dword v3, off, s[0:3], 0 offset:32
	;; [unrolled: 1-line block ×4, first 2 shown]
.LBB78_23:
	s_or_b32 exec_lo, exec_lo, s7
	v_mov_b32_e32 v6, s25
	s_waitcnt_vscnt null, 0x0
	s_barrier
	buffer_gl0_inv
	v_add_nc_u32_e32 v38, -1, v0
	s_clause 0x3
	buffer_load_dword v3, v6, s[0:3], 0 offen
	buffer_load_dword v4, v6, s[0:3], 0 offen offset:4
	buffer_load_dword v5, v6, s[0:3], 0 offen offset:8
	buffer_load_dword v6, v6, s[0:3], 0 offen offset:12
	s_mov_b32 s6, exec_lo
	s_waitcnt vmcnt(0)
	ds_write_b128 v37, v[3:6]
	s_waitcnt lgkmcnt(0)
	s_barrier
	buffer_gl0_inv
	v_cmpx_gt_u32_e32 3, v0
	s_cbranch_execz .LBB78_27
; %bb.24:
	v_mov_b32_e32 v3, 0
	v_mov_b32_e32 v5, 0
	v_add_nc_u32_e32 v39, -1, v0
	v_add_nc_u32_e32 v40, 0xf0, v43
	v_mov_b32_e32 v4, 0
	v_mov_b32_e32 v6, 0
	;; [unrolled: 1-line block ×3, first 2 shown]
	s_mov_b32 s7, 0
	.p2align	6
.LBB78_25:                              ; =>This Inner Loop Header: Depth=1
	s_clause 0x3
	buffer_load_dword v48, v41, s[0:3], 0 offen offset:8
	buffer_load_dword v49, v41, s[0:3], 0 offen offset:12
	buffer_load_dword v50, v41, s[0:3], 0 offen
	buffer_load_dword v51, v41, s[0:3], 0 offen offset:4
	ds_read_b128 v[44:47], v40
	v_add_nc_u32_e32 v39, 1, v39
	v_add_nc_u32_e32 v40, 16, v40
	;; [unrolled: 1-line block ×3, first 2 shown]
	v_cmp_lt_u32_e32 vcc_lo, 1, v39
	s_or_b32 s7, vcc_lo, s7
	s_waitcnt vmcnt(2) lgkmcnt(0)
	v_mul_f64 v[52:53], v[46:47], v[48:49]
	v_mul_f64 v[48:49], v[44:45], v[48:49]
	s_waitcnt vmcnt(0)
	v_fma_f64 v[44:45], v[44:45], v[50:51], -v[52:53]
	v_fma_f64 v[46:47], v[46:47], v[50:51], v[48:49]
	v_add_f64 v[5:6], v[5:6], v[44:45]
	v_add_f64 v[3:4], v[3:4], v[46:47]
	s_andn2_b32 exec_lo, exec_lo, s7
	s_cbranch_execnz .LBB78_25
; %bb.26:
	s_or_b32 exec_lo, exec_lo, s7
	v_mov_b32_e32 v39, 0
	ds_read_b128 v[39:42], v39 offset:48
	s_waitcnt lgkmcnt(0)
	v_mul_f64 v[44:45], v[3:4], v[41:42]
	v_mul_f64 v[41:42], v[5:6], v[41:42]
	v_fma_f64 v[5:6], v[5:6], v[39:40], -v[44:45]
	v_fma_f64 v[3:4], v[3:4], v[39:40], v[41:42]
	buffer_store_dword v6, off, s[0:3], 0 offset:52
	buffer_store_dword v5, off, s[0:3], 0 offset:48
	;; [unrolled: 1-line block ×4, first 2 shown]
.LBB78_27:
	s_or_b32 exec_lo, exec_lo, s6
	v_mov_b32_e32 v6, s24
	s_waitcnt_vscnt null, 0x0
	s_barrier
	buffer_gl0_inv
	s_mov_b32 s6, exec_lo
	s_clause 0x3
	buffer_load_dword v3, v6, s[0:3], 0 offen
	buffer_load_dword v4, v6, s[0:3], 0 offen offset:4
	buffer_load_dword v5, v6, s[0:3], 0 offen offset:8
	;; [unrolled: 1-line block ×3, first 2 shown]
	s_waitcnt vmcnt(0)
	ds_write_b128 v37, v[3:6]
	s_waitcnt lgkmcnt(0)
	s_barrier
	buffer_gl0_inv
	v_cmpx_gt_u32_e32 4, v0
	s_cbranch_execz .LBB78_31
; %bb.28:
	v_mov_b32_e32 v3, 0
	v_mov_b32_e32 v5, 0
	v_add_nc_u32_e32 v39, -1, v0
	v_add_nc_u32_e32 v40, 0xf0, v43
	v_mov_b32_e32 v4, 0
	v_mov_b32_e32 v6, 0
	v_mov_b32_e32 v41, v43
	s_mov_b32 s7, 0
	.p2align	6
.LBB78_29:                              ; =>This Inner Loop Header: Depth=1
	s_clause 0x3
	buffer_load_dword v48, v41, s[0:3], 0 offen offset:8
	buffer_load_dword v49, v41, s[0:3], 0 offen offset:12
	buffer_load_dword v50, v41, s[0:3], 0 offen
	buffer_load_dword v51, v41, s[0:3], 0 offen offset:4
	ds_read_b128 v[44:47], v40
	v_add_nc_u32_e32 v39, 1, v39
	v_add_nc_u32_e32 v40, 16, v40
	;; [unrolled: 1-line block ×3, first 2 shown]
	v_cmp_lt_u32_e32 vcc_lo, 2, v39
	s_or_b32 s7, vcc_lo, s7
	s_waitcnt vmcnt(2) lgkmcnt(0)
	v_mul_f64 v[52:53], v[46:47], v[48:49]
	v_mul_f64 v[48:49], v[44:45], v[48:49]
	s_waitcnt vmcnt(0)
	v_fma_f64 v[44:45], v[44:45], v[50:51], -v[52:53]
	v_fma_f64 v[46:47], v[46:47], v[50:51], v[48:49]
	v_add_f64 v[5:6], v[5:6], v[44:45]
	v_add_f64 v[3:4], v[3:4], v[46:47]
	s_andn2_b32 exec_lo, exec_lo, s7
	s_cbranch_execnz .LBB78_29
; %bb.30:
	s_or_b32 exec_lo, exec_lo, s7
	v_mov_b32_e32 v39, 0
	ds_read_b128 v[39:42], v39 offset:64
	s_waitcnt lgkmcnt(0)
	v_mul_f64 v[44:45], v[3:4], v[41:42]
	v_mul_f64 v[41:42], v[5:6], v[41:42]
	v_fma_f64 v[5:6], v[5:6], v[39:40], -v[44:45]
	v_fma_f64 v[3:4], v[3:4], v[39:40], v[41:42]
	buffer_store_dword v6, off, s[0:3], 0 offset:68
	buffer_store_dword v5, off, s[0:3], 0 offset:64
	;; [unrolled: 1-line block ×4, first 2 shown]
.LBB78_31:
	s_or_b32 exec_lo, exec_lo, s6
	v_mov_b32_e32 v6, s23
	s_waitcnt_vscnt null, 0x0
	s_barrier
	buffer_gl0_inv
	s_mov_b32 s6, exec_lo
	s_clause 0x3
	buffer_load_dword v3, v6, s[0:3], 0 offen
	buffer_load_dword v4, v6, s[0:3], 0 offen offset:4
	buffer_load_dword v5, v6, s[0:3], 0 offen offset:8
	;; [unrolled: 1-line block ×3, first 2 shown]
	s_waitcnt vmcnt(0)
	ds_write_b128 v37, v[3:6]
	s_waitcnt lgkmcnt(0)
	s_barrier
	buffer_gl0_inv
	v_cmpx_gt_u32_e32 5, v0
	s_cbranch_execz .LBB78_35
; %bb.32:
	v_mov_b32_e32 v3, 0
	v_mov_b32_e32 v5, 0
	v_add_nc_u32_e32 v39, -1, v0
	v_add_nc_u32_e32 v40, 0xf0, v43
	v_mov_b32_e32 v4, 0
	v_mov_b32_e32 v6, 0
	;; [unrolled: 1-line block ×3, first 2 shown]
	s_mov_b32 s7, 0
	.p2align	6
.LBB78_33:                              ; =>This Inner Loop Header: Depth=1
	s_clause 0x3
	buffer_load_dword v48, v41, s[0:3], 0 offen offset:8
	buffer_load_dword v49, v41, s[0:3], 0 offen offset:12
	buffer_load_dword v50, v41, s[0:3], 0 offen
	buffer_load_dword v51, v41, s[0:3], 0 offen offset:4
	ds_read_b128 v[44:47], v40
	v_add_nc_u32_e32 v39, 1, v39
	v_add_nc_u32_e32 v40, 16, v40
	;; [unrolled: 1-line block ×3, first 2 shown]
	v_cmp_lt_u32_e32 vcc_lo, 3, v39
	s_or_b32 s7, vcc_lo, s7
	s_waitcnt vmcnt(2) lgkmcnt(0)
	v_mul_f64 v[52:53], v[46:47], v[48:49]
	v_mul_f64 v[48:49], v[44:45], v[48:49]
	s_waitcnt vmcnt(0)
	v_fma_f64 v[44:45], v[44:45], v[50:51], -v[52:53]
	v_fma_f64 v[46:47], v[46:47], v[50:51], v[48:49]
	v_add_f64 v[5:6], v[5:6], v[44:45]
	v_add_f64 v[3:4], v[3:4], v[46:47]
	s_andn2_b32 exec_lo, exec_lo, s7
	s_cbranch_execnz .LBB78_33
; %bb.34:
	s_or_b32 exec_lo, exec_lo, s7
	v_mov_b32_e32 v39, 0
	ds_read_b128 v[39:42], v39 offset:80
	s_waitcnt lgkmcnt(0)
	v_mul_f64 v[44:45], v[3:4], v[41:42]
	v_mul_f64 v[41:42], v[5:6], v[41:42]
	v_fma_f64 v[5:6], v[5:6], v[39:40], -v[44:45]
	v_fma_f64 v[3:4], v[3:4], v[39:40], v[41:42]
	buffer_store_dword v6, off, s[0:3], 0 offset:84
	buffer_store_dword v5, off, s[0:3], 0 offset:80
	;; [unrolled: 1-line block ×4, first 2 shown]
.LBB78_35:
	s_or_b32 exec_lo, exec_lo, s6
	v_mov_b32_e32 v6, s22
	s_waitcnt_vscnt null, 0x0
	s_barrier
	buffer_gl0_inv
	s_mov_b32 s6, exec_lo
	s_clause 0x3
	buffer_load_dword v3, v6, s[0:3], 0 offen
	buffer_load_dword v4, v6, s[0:3], 0 offen offset:4
	buffer_load_dword v5, v6, s[0:3], 0 offen offset:8
	;; [unrolled: 1-line block ×3, first 2 shown]
	s_waitcnt vmcnt(0)
	ds_write_b128 v37, v[3:6]
	s_waitcnt lgkmcnt(0)
	s_barrier
	buffer_gl0_inv
	v_cmpx_gt_u32_e32 6, v0
	s_cbranch_execz .LBB78_39
; %bb.36:
	v_mov_b32_e32 v3, 0
	v_mov_b32_e32 v5, 0
	v_add_nc_u32_e32 v39, -1, v0
	v_add_nc_u32_e32 v40, 0xf0, v43
	v_mov_b32_e32 v4, 0
	v_mov_b32_e32 v6, 0
	;; [unrolled: 1-line block ×3, first 2 shown]
	s_mov_b32 s7, 0
	.p2align	6
.LBB78_37:                              ; =>This Inner Loop Header: Depth=1
	s_clause 0x3
	buffer_load_dword v48, v41, s[0:3], 0 offen offset:8
	buffer_load_dword v49, v41, s[0:3], 0 offen offset:12
	buffer_load_dword v50, v41, s[0:3], 0 offen
	buffer_load_dword v51, v41, s[0:3], 0 offen offset:4
	ds_read_b128 v[44:47], v40
	v_add_nc_u32_e32 v39, 1, v39
	v_add_nc_u32_e32 v40, 16, v40
	;; [unrolled: 1-line block ×3, first 2 shown]
	v_cmp_lt_u32_e32 vcc_lo, 4, v39
	s_or_b32 s7, vcc_lo, s7
	s_waitcnt vmcnt(2) lgkmcnt(0)
	v_mul_f64 v[52:53], v[46:47], v[48:49]
	v_mul_f64 v[48:49], v[44:45], v[48:49]
	s_waitcnt vmcnt(0)
	v_fma_f64 v[44:45], v[44:45], v[50:51], -v[52:53]
	v_fma_f64 v[46:47], v[46:47], v[50:51], v[48:49]
	v_add_f64 v[5:6], v[5:6], v[44:45]
	v_add_f64 v[3:4], v[3:4], v[46:47]
	s_andn2_b32 exec_lo, exec_lo, s7
	s_cbranch_execnz .LBB78_37
; %bb.38:
	s_or_b32 exec_lo, exec_lo, s7
	v_mov_b32_e32 v39, 0
	ds_read_b128 v[39:42], v39 offset:96
	s_waitcnt lgkmcnt(0)
	v_mul_f64 v[44:45], v[3:4], v[41:42]
	v_mul_f64 v[41:42], v[5:6], v[41:42]
	v_fma_f64 v[5:6], v[5:6], v[39:40], -v[44:45]
	v_fma_f64 v[3:4], v[3:4], v[39:40], v[41:42]
	buffer_store_dword v6, off, s[0:3], 0 offset:100
	buffer_store_dword v5, off, s[0:3], 0 offset:96
	;; [unrolled: 1-line block ×4, first 2 shown]
.LBB78_39:
	s_or_b32 exec_lo, exec_lo, s6
	v_mov_b32_e32 v6, s21
	s_waitcnt_vscnt null, 0x0
	s_barrier
	buffer_gl0_inv
	s_mov_b32 s6, exec_lo
	s_clause 0x3
	buffer_load_dword v3, v6, s[0:3], 0 offen
	buffer_load_dword v4, v6, s[0:3], 0 offen offset:4
	buffer_load_dword v5, v6, s[0:3], 0 offen offset:8
	;; [unrolled: 1-line block ×3, first 2 shown]
	s_waitcnt vmcnt(0)
	ds_write_b128 v37, v[3:6]
	s_waitcnt lgkmcnt(0)
	s_barrier
	buffer_gl0_inv
	v_cmpx_gt_u32_e32 7, v0
	s_cbranch_execz .LBB78_43
; %bb.40:
	v_mov_b32_e32 v3, 0
	v_mov_b32_e32 v5, 0
	v_add_nc_u32_e32 v39, -1, v0
	v_add_nc_u32_e32 v40, 0xf0, v43
	v_mov_b32_e32 v4, 0
	v_mov_b32_e32 v6, 0
	;; [unrolled: 1-line block ×3, first 2 shown]
	s_mov_b32 s7, 0
	.p2align	6
.LBB78_41:                              ; =>This Inner Loop Header: Depth=1
	s_clause 0x3
	buffer_load_dword v48, v41, s[0:3], 0 offen offset:8
	buffer_load_dword v49, v41, s[0:3], 0 offen offset:12
	buffer_load_dword v50, v41, s[0:3], 0 offen
	buffer_load_dword v51, v41, s[0:3], 0 offen offset:4
	ds_read_b128 v[44:47], v40
	v_add_nc_u32_e32 v39, 1, v39
	v_add_nc_u32_e32 v40, 16, v40
	;; [unrolled: 1-line block ×3, first 2 shown]
	v_cmp_lt_u32_e32 vcc_lo, 5, v39
	s_or_b32 s7, vcc_lo, s7
	s_waitcnt vmcnt(2) lgkmcnt(0)
	v_mul_f64 v[52:53], v[46:47], v[48:49]
	v_mul_f64 v[48:49], v[44:45], v[48:49]
	s_waitcnt vmcnt(0)
	v_fma_f64 v[44:45], v[44:45], v[50:51], -v[52:53]
	v_fma_f64 v[46:47], v[46:47], v[50:51], v[48:49]
	v_add_f64 v[5:6], v[5:6], v[44:45]
	v_add_f64 v[3:4], v[3:4], v[46:47]
	s_andn2_b32 exec_lo, exec_lo, s7
	s_cbranch_execnz .LBB78_41
; %bb.42:
	s_or_b32 exec_lo, exec_lo, s7
	v_mov_b32_e32 v39, 0
	ds_read_b128 v[39:42], v39 offset:112
	s_waitcnt lgkmcnt(0)
	v_mul_f64 v[44:45], v[3:4], v[41:42]
	v_mul_f64 v[41:42], v[5:6], v[41:42]
	v_fma_f64 v[5:6], v[5:6], v[39:40], -v[44:45]
	v_fma_f64 v[3:4], v[3:4], v[39:40], v[41:42]
	buffer_store_dword v6, off, s[0:3], 0 offset:116
	buffer_store_dword v5, off, s[0:3], 0 offset:112
	buffer_store_dword v4, off, s[0:3], 0 offset:124
	buffer_store_dword v3, off, s[0:3], 0 offset:120
.LBB78_43:
	s_or_b32 exec_lo, exec_lo, s6
	v_mov_b32_e32 v6, s20
	s_waitcnt_vscnt null, 0x0
	s_barrier
	buffer_gl0_inv
	s_mov_b32 s6, exec_lo
	s_clause 0x3
	buffer_load_dword v3, v6, s[0:3], 0 offen
	buffer_load_dword v4, v6, s[0:3], 0 offen offset:4
	buffer_load_dword v5, v6, s[0:3], 0 offen offset:8
	;; [unrolled: 1-line block ×3, first 2 shown]
	s_waitcnt vmcnt(0)
	ds_write_b128 v37, v[3:6]
	s_waitcnt lgkmcnt(0)
	s_barrier
	buffer_gl0_inv
	v_cmpx_gt_u32_e32 8, v0
	s_cbranch_execz .LBB78_47
; %bb.44:
	v_mov_b32_e32 v3, 0
	v_mov_b32_e32 v5, 0
	v_add_nc_u32_e32 v39, -1, v0
	v_add_nc_u32_e32 v40, 0xf0, v43
	v_mov_b32_e32 v4, 0
	v_mov_b32_e32 v6, 0
	;; [unrolled: 1-line block ×3, first 2 shown]
	s_mov_b32 s7, 0
	.p2align	6
.LBB78_45:                              ; =>This Inner Loop Header: Depth=1
	s_clause 0x3
	buffer_load_dword v48, v41, s[0:3], 0 offen offset:8
	buffer_load_dword v49, v41, s[0:3], 0 offen offset:12
	buffer_load_dword v50, v41, s[0:3], 0 offen
	buffer_load_dword v51, v41, s[0:3], 0 offen offset:4
	ds_read_b128 v[44:47], v40
	v_add_nc_u32_e32 v39, 1, v39
	v_add_nc_u32_e32 v40, 16, v40
	;; [unrolled: 1-line block ×3, first 2 shown]
	v_cmp_lt_u32_e32 vcc_lo, 6, v39
	s_or_b32 s7, vcc_lo, s7
	s_waitcnt vmcnt(2) lgkmcnt(0)
	v_mul_f64 v[52:53], v[46:47], v[48:49]
	v_mul_f64 v[48:49], v[44:45], v[48:49]
	s_waitcnt vmcnt(0)
	v_fma_f64 v[44:45], v[44:45], v[50:51], -v[52:53]
	v_fma_f64 v[46:47], v[46:47], v[50:51], v[48:49]
	v_add_f64 v[5:6], v[5:6], v[44:45]
	v_add_f64 v[3:4], v[3:4], v[46:47]
	s_andn2_b32 exec_lo, exec_lo, s7
	s_cbranch_execnz .LBB78_45
; %bb.46:
	s_or_b32 exec_lo, exec_lo, s7
	v_mov_b32_e32 v39, 0
	ds_read_b128 v[39:42], v39 offset:128
	s_waitcnt lgkmcnt(0)
	v_mul_f64 v[44:45], v[3:4], v[41:42]
	v_mul_f64 v[41:42], v[5:6], v[41:42]
	v_fma_f64 v[5:6], v[5:6], v[39:40], -v[44:45]
	v_fma_f64 v[3:4], v[3:4], v[39:40], v[41:42]
	buffer_store_dword v6, off, s[0:3], 0 offset:132
	buffer_store_dword v5, off, s[0:3], 0 offset:128
	buffer_store_dword v4, off, s[0:3], 0 offset:140
	buffer_store_dword v3, off, s[0:3], 0 offset:136
.LBB78_47:
	s_or_b32 exec_lo, exec_lo, s6
	v_mov_b32_e32 v6, s19
	s_waitcnt_vscnt null, 0x0
	s_barrier
	buffer_gl0_inv
	s_mov_b32 s6, exec_lo
	s_clause 0x3
	buffer_load_dword v3, v6, s[0:3], 0 offen
	buffer_load_dword v4, v6, s[0:3], 0 offen offset:4
	buffer_load_dword v5, v6, s[0:3], 0 offen offset:8
	;; [unrolled: 1-line block ×3, first 2 shown]
	s_waitcnt vmcnt(0)
	ds_write_b128 v37, v[3:6]
	s_waitcnt lgkmcnt(0)
	s_barrier
	buffer_gl0_inv
	v_cmpx_gt_u32_e32 9, v0
	s_cbranch_execz .LBB78_51
; %bb.48:
	v_mov_b32_e32 v3, 0
	v_mov_b32_e32 v5, 0
	v_add_nc_u32_e32 v39, -1, v0
	v_add_nc_u32_e32 v40, 0xf0, v43
	v_mov_b32_e32 v4, 0
	v_mov_b32_e32 v6, 0
	;; [unrolled: 1-line block ×3, first 2 shown]
	s_mov_b32 s7, 0
	.p2align	6
.LBB78_49:                              ; =>This Inner Loop Header: Depth=1
	s_clause 0x3
	buffer_load_dword v48, v41, s[0:3], 0 offen offset:8
	buffer_load_dword v49, v41, s[0:3], 0 offen offset:12
	buffer_load_dword v50, v41, s[0:3], 0 offen
	buffer_load_dword v51, v41, s[0:3], 0 offen offset:4
	ds_read_b128 v[44:47], v40
	v_add_nc_u32_e32 v39, 1, v39
	v_add_nc_u32_e32 v40, 16, v40
	;; [unrolled: 1-line block ×3, first 2 shown]
	v_cmp_lt_u32_e32 vcc_lo, 7, v39
	s_or_b32 s7, vcc_lo, s7
	s_waitcnt vmcnt(2) lgkmcnt(0)
	v_mul_f64 v[52:53], v[46:47], v[48:49]
	v_mul_f64 v[48:49], v[44:45], v[48:49]
	s_waitcnt vmcnt(0)
	v_fma_f64 v[44:45], v[44:45], v[50:51], -v[52:53]
	v_fma_f64 v[46:47], v[46:47], v[50:51], v[48:49]
	v_add_f64 v[5:6], v[5:6], v[44:45]
	v_add_f64 v[3:4], v[3:4], v[46:47]
	s_andn2_b32 exec_lo, exec_lo, s7
	s_cbranch_execnz .LBB78_49
; %bb.50:
	s_or_b32 exec_lo, exec_lo, s7
	v_mov_b32_e32 v39, 0
	ds_read_b128 v[39:42], v39 offset:144
	s_waitcnt lgkmcnt(0)
	v_mul_f64 v[44:45], v[3:4], v[41:42]
	v_mul_f64 v[41:42], v[5:6], v[41:42]
	v_fma_f64 v[5:6], v[5:6], v[39:40], -v[44:45]
	v_fma_f64 v[3:4], v[3:4], v[39:40], v[41:42]
	buffer_store_dword v6, off, s[0:3], 0 offset:148
	buffer_store_dword v5, off, s[0:3], 0 offset:144
	;; [unrolled: 1-line block ×4, first 2 shown]
.LBB78_51:
	s_or_b32 exec_lo, exec_lo, s6
	v_mov_b32_e32 v6, s18
	s_waitcnt_vscnt null, 0x0
	s_barrier
	buffer_gl0_inv
	s_mov_b32 s6, exec_lo
	s_clause 0x3
	buffer_load_dword v3, v6, s[0:3], 0 offen
	buffer_load_dword v4, v6, s[0:3], 0 offen offset:4
	buffer_load_dword v5, v6, s[0:3], 0 offen offset:8
	;; [unrolled: 1-line block ×3, first 2 shown]
	s_waitcnt vmcnt(0)
	ds_write_b128 v37, v[3:6]
	s_waitcnt lgkmcnt(0)
	s_barrier
	buffer_gl0_inv
	v_cmpx_gt_u32_e32 10, v0
	s_cbranch_execz .LBB78_55
; %bb.52:
	v_mov_b32_e32 v3, 0
	v_mov_b32_e32 v5, 0
	v_add_nc_u32_e32 v39, -1, v0
	v_add_nc_u32_e32 v40, 0xf0, v43
	v_mov_b32_e32 v4, 0
	v_mov_b32_e32 v6, 0
	;; [unrolled: 1-line block ×3, first 2 shown]
	s_mov_b32 s7, 0
	.p2align	6
.LBB78_53:                              ; =>This Inner Loop Header: Depth=1
	s_clause 0x3
	buffer_load_dword v48, v41, s[0:3], 0 offen offset:8
	buffer_load_dword v49, v41, s[0:3], 0 offen offset:12
	buffer_load_dword v50, v41, s[0:3], 0 offen
	buffer_load_dword v51, v41, s[0:3], 0 offen offset:4
	ds_read_b128 v[44:47], v40
	v_add_nc_u32_e32 v39, 1, v39
	v_add_nc_u32_e32 v40, 16, v40
	v_add_nc_u32_e32 v41, 16, v41
	v_cmp_lt_u32_e32 vcc_lo, 8, v39
	s_or_b32 s7, vcc_lo, s7
	s_waitcnt vmcnt(2) lgkmcnt(0)
	v_mul_f64 v[52:53], v[46:47], v[48:49]
	v_mul_f64 v[48:49], v[44:45], v[48:49]
	s_waitcnt vmcnt(0)
	v_fma_f64 v[44:45], v[44:45], v[50:51], -v[52:53]
	v_fma_f64 v[46:47], v[46:47], v[50:51], v[48:49]
	v_add_f64 v[5:6], v[5:6], v[44:45]
	v_add_f64 v[3:4], v[3:4], v[46:47]
	s_andn2_b32 exec_lo, exec_lo, s7
	s_cbranch_execnz .LBB78_53
; %bb.54:
	s_or_b32 exec_lo, exec_lo, s7
	v_mov_b32_e32 v39, 0
	ds_read_b128 v[39:42], v39 offset:160
	s_waitcnt lgkmcnt(0)
	v_mul_f64 v[44:45], v[3:4], v[41:42]
	v_mul_f64 v[41:42], v[5:6], v[41:42]
	v_fma_f64 v[5:6], v[5:6], v[39:40], -v[44:45]
	v_fma_f64 v[3:4], v[3:4], v[39:40], v[41:42]
	buffer_store_dword v6, off, s[0:3], 0 offset:164
	buffer_store_dword v5, off, s[0:3], 0 offset:160
	;; [unrolled: 1-line block ×4, first 2 shown]
.LBB78_55:
	s_or_b32 exec_lo, exec_lo, s6
	v_mov_b32_e32 v6, s17
	s_waitcnt_vscnt null, 0x0
	s_barrier
	buffer_gl0_inv
	s_mov_b32 s6, exec_lo
	s_clause 0x3
	buffer_load_dword v3, v6, s[0:3], 0 offen
	buffer_load_dword v4, v6, s[0:3], 0 offen offset:4
	buffer_load_dword v5, v6, s[0:3], 0 offen offset:8
	;; [unrolled: 1-line block ×3, first 2 shown]
	s_waitcnt vmcnt(0)
	ds_write_b128 v37, v[3:6]
	s_waitcnt lgkmcnt(0)
	s_barrier
	buffer_gl0_inv
	v_cmpx_gt_u32_e32 11, v0
	s_cbranch_execz .LBB78_59
; %bb.56:
	v_mov_b32_e32 v3, 0
	v_mov_b32_e32 v5, 0
	v_add_nc_u32_e32 v39, -1, v0
	v_add_nc_u32_e32 v40, 0xf0, v43
	v_mov_b32_e32 v4, 0
	v_mov_b32_e32 v6, 0
	;; [unrolled: 1-line block ×3, first 2 shown]
	s_mov_b32 s7, 0
	.p2align	6
.LBB78_57:                              ; =>This Inner Loop Header: Depth=1
	s_clause 0x3
	buffer_load_dword v48, v41, s[0:3], 0 offen offset:8
	buffer_load_dword v49, v41, s[0:3], 0 offen offset:12
	buffer_load_dword v50, v41, s[0:3], 0 offen
	buffer_load_dword v51, v41, s[0:3], 0 offen offset:4
	ds_read_b128 v[44:47], v40
	v_add_nc_u32_e32 v39, 1, v39
	v_add_nc_u32_e32 v40, 16, v40
	;; [unrolled: 1-line block ×3, first 2 shown]
	v_cmp_lt_u32_e32 vcc_lo, 9, v39
	s_or_b32 s7, vcc_lo, s7
	s_waitcnt vmcnt(2) lgkmcnt(0)
	v_mul_f64 v[52:53], v[46:47], v[48:49]
	v_mul_f64 v[48:49], v[44:45], v[48:49]
	s_waitcnt vmcnt(0)
	v_fma_f64 v[44:45], v[44:45], v[50:51], -v[52:53]
	v_fma_f64 v[46:47], v[46:47], v[50:51], v[48:49]
	v_add_f64 v[5:6], v[5:6], v[44:45]
	v_add_f64 v[3:4], v[3:4], v[46:47]
	s_andn2_b32 exec_lo, exec_lo, s7
	s_cbranch_execnz .LBB78_57
; %bb.58:
	s_or_b32 exec_lo, exec_lo, s7
	v_mov_b32_e32 v39, 0
	ds_read_b128 v[39:42], v39 offset:176
	s_waitcnt lgkmcnt(0)
	v_mul_f64 v[44:45], v[3:4], v[41:42]
	v_mul_f64 v[41:42], v[5:6], v[41:42]
	v_fma_f64 v[5:6], v[5:6], v[39:40], -v[44:45]
	v_fma_f64 v[3:4], v[3:4], v[39:40], v[41:42]
	buffer_store_dword v6, off, s[0:3], 0 offset:180
	buffer_store_dword v5, off, s[0:3], 0 offset:176
	;; [unrolled: 1-line block ×4, first 2 shown]
.LBB78_59:
	s_or_b32 exec_lo, exec_lo, s6
	v_mov_b32_e32 v6, s16
	s_waitcnt_vscnt null, 0x0
	s_barrier
	buffer_gl0_inv
	s_mov_b32 s6, exec_lo
	s_clause 0x3
	buffer_load_dword v3, v6, s[0:3], 0 offen
	buffer_load_dword v4, v6, s[0:3], 0 offen offset:4
	buffer_load_dword v5, v6, s[0:3], 0 offen offset:8
	;; [unrolled: 1-line block ×3, first 2 shown]
	s_waitcnt vmcnt(0)
	ds_write_b128 v37, v[3:6]
	s_waitcnt lgkmcnt(0)
	s_barrier
	buffer_gl0_inv
	v_cmpx_gt_u32_e32 12, v0
	s_cbranch_execz .LBB78_63
; %bb.60:
	v_mov_b32_e32 v3, 0
	v_mov_b32_e32 v5, 0
	v_add_nc_u32_e32 v39, -1, v0
	v_add_nc_u32_e32 v40, 0xf0, v43
	v_mov_b32_e32 v4, 0
	v_mov_b32_e32 v6, 0
	;; [unrolled: 1-line block ×3, first 2 shown]
	s_mov_b32 s7, 0
	.p2align	6
.LBB78_61:                              ; =>This Inner Loop Header: Depth=1
	s_clause 0x3
	buffer_load_dword v48, v41, s[0:3], 0 offen offset:8
	buffer_load_dword v49, v41, s[0:3], 0 offen offset:12
	buffer_load_dword v50, v41, s[0:3], 0 offen
	buffer_load_dword v51, v41, s[0:3], 0 offen offset:4
	ds_read_b128 v[44:47], v40
	v_add_nc_u32_e32 v39, 1, v39
	v_add_nc_u32_e32 v40, 16, v40
	;; [unrolled: 1-line block ×3, first 2 shown]
	v_cmp_lt_u32_e32 vcc_lo, 10, v39
	s_or_b32 s7, vcc_lo, s7
	s_waitcnt vmcnt(2) lgkmcnt(0)
	v_mul_f64 v[52:53], v[46:47], v[48:49]
	v_mul_f64 v[48:49], v[44:45], v[48:49]
	s_waitcnt vmcnt(0)
	v_fma_f64 v[44:45], v[44:45], v[50:51], -v[52:53]
	v_fma_f64 v[46:47], v[46:47], v[50:51], v[48:49]
	v_add_f64 v[5:6], v[5:6], v[44:45]
	v_add_f64 v[3:4], v[3:4], v[46:47]
	s_andn2_b32 exec_lo, exec_lo, s7
	s_cbranch_execnz .LBB78_61
; %bb.62:
	s_or_b32 exec_lo, exec_lo, s7
	v_mov_b32_e32 v39, 0
	ds_read_b128 v[39:42], v39 offset:192
	s_waitcnt lgkmcnt(0)
	v_mul_f64 v[44:45], v[3:4], v[41:42]
	v_mul_f64 v[41:42], v[5:6], v[41:42]
	v_fma_f64 v[5:6], v[5:6], v[39:40], -v[44:45]
	v_fma_f64 v[3:4], v[3:4], v[39:40], v[41:42]
	buffer_store_dword v6, off, s[0:3], 0 offset:196
	buffer_store_dword v5, off, s[0:3], 0 offset:192
	;; [unrolled: 1-line block ×4, first 2 shown]
.LBB78_63:
	s_or_b32 exec_lo, exec_lo, s6
	v_mov_b32_e32 v6, s13
	s_waitcnt_vscnt null, 0x0
	s_barrier
	buffer_gl0_inv
	s_mov_b32 s6, exec_lo
	s_clause 0x3
	buffer_load_dword v3, v6, s[0:3], 0 offen
	buffer_load_dword v4, v6, s[0:3], 0 offen offset:4
	buffer_load_dword v5, v6, s[0:3], 0 offen offset:8
	;; [unrolled: 1-line block ×3, first 2 shown]
	s_waitcnt vmcnt(0)
	ds_write_b128 v37, v[3:6]
	s_waitcnt lgkmcnt(0)
	s_barrier
	buffer_gl0_inv
	v_cmpx_gt_u32_e32 13, v0
	s_cbranch_execz .LBB78_67
; %bb.64:
	v_mov_b32_e32 v3, 0
	v_mov_b32_e32 v5, 0
	v_add_nc_u32_e32 v39, -1, v0
	v_add_nc_u32_e32 v40, 0xf0, v43
	v_mov_b32_e32 v4, 0
	v_mov_b32_e32 v6, 0
	;; [unrolled: 1-line block ×3, first 2 shown]
	s_mov_b32 s7, 0
	.p2align	6
.LBB78_65:                              ; =>This Inner Loop Header: Depth=1
	s_clause 0x3
	buffer_load_dword v48, v41, s[0:3], 0 offen offset:8
	buffer_load_dword v49, v41, s[0:3], 0 offen offset:12
	buffer_load_dword v50, v41, s[0:3], 0 offen
	buffer_load_dword v51, v41, s[0:3], 0 offen offset:4
	ds_read_b128 v[44:47], v40
	v_add_nc_u32_e32 v39, 1, v39
	v_add_nc_u32_e32 v40, 16, v40
	;; [unrolled: 1-line block ×3, first 2 shown]
	v_cmp_lt_u32_e32 vcc_lo, 11, v39
	s_or_b32 s7, vcc_lo, s7
	s_waitcnt vmcnt(2) lgkmcnt(0)
	v_mul_f64 v[52:53], v[46:47], v[48:49]
	v_mul_f64 v[48:49], v[44:45], v[48:49]
	s_waitcnt vmcnt(0)
	v_fma_f64 v[44:45], v[44:45], v[50:51], -v[52:53]
	v_fma_f64 v[46:47], v[46:47], v[50:51], v[48:49]
	v_add_f64 v[5:6], v[5:6], v[44:45]
	v_add_f64 v[3:4], v[3:4], v[46:47]
	s_andn2_b32 exec_lo, exec_lo, s7
	s_cbranch_execnz .LBB78_65
; %bb.66:
	s_or_b32 exec_lo, exec_lo, s7
	v_mov_b32_e32 v39, 0
	ds_read_b128 v[39:42], v39 offset:208
	s_waitcnt lgkmcnt(0)
	v_mul_f64 v[44:45], v[3:4], v[41:42]
	v_mul_f64 v[41:42], v[5:6], v[41:42]
	v_fma_f64 v[5:6], v[5:6], v[39:40], -v[44:45]
	v_fma_f64 v[3:4], v[3:4], v[39:40], v[41:42]
	buffer_store_dword v6, off, s[0:3], 0 offset:212
	buffer_store_dword v5, off, s[0:3], 0 offset:208
	;; [unrolled: 1-line block ×4, first 2 shown]
.LBB78_67:
	s_or_b32 exec_lo, exec_lo, s6
	v_mov_b32_e32 v6, s12
	s_waitcnt_vscnt null, 0x0
	s_barrier
	buffer_gl0_inv
	s_mov_b32 s6, exec_lo
	s_clause 0x3
	buffer_load_dword v3, v6, s[0:3], 0 offen
	buffer_load_dword v4, v6, s[0:3], 0 offen offset:4
	buffer_load_dword v5, v6, s[0:3], 0 offen offset:8
	;; [unrolled: 1-line block ×3, first 2 shown]
	s_waitcnt vmcnt(0)
	ds_write_b128 v37, v[3:6]
	s_waitcnt lgkmcnt(0)
	s_barrier
	buffer_gl0_inv
	v_cmpx_ne_u32_e32 14, v0
	s_cbranch_execz .LBB78_71
; %bb.68:
	v_mov_b32_e32 v3, 0
	v_mov_b32_e32 v5, 0
	;; [unrolled: 1-line block ×5, first 2 shown]
	s_mov_b32 s7, 0
	.p2align	6
.LBB78_69:                              ; =>This Inner Loop Header: Depth=1
	s_clause 0x3
	buffer_load_dword v44, v39, s[0:3], 0 offen offset:8
	buffer_load_dword v45, v39, s[0:3], 0 offen offset:12
	buffer_load_dword v46, v39, s[0:3], 0 offen
	buffer_load_dword v47, v39, s[0:3], 0 offen offset:4
	ds_read_b128 v[40:43], v37
	v_add_nc_u32_e32 v38, 1, v38
	v_add_nc_u32_e32 v37, 16, v37
	;; [unrolled: 1-line block ×3, first 2 shown]
	v_cmp_lt_u32_e32 vcc_lo, 12, v38
	s_or_b32 s7, vcc_lo, s7
	s_waitcnt vmcnt(2) lgkmcnt(0)
	v_mul_f64 v[48:49], v[42:43], v[44:45]
	v_mul_f64 v[44:45], v[40:41], v[44:45]
	s_waitcnt vmcnt(0)
	v_fma_f64 v[40:41], v[40:41], v[46:47], -v[48:49]
	v_fma_f64 v[42:43], v[42:43], v[46:47], v[44:45]
	v_add_f64 v[5:6], v[5:6], v[40:41]
	v_add_f64 v[3:4], v[3:4], v[42:43]
	s_andn2_b32 exec_lo, exec_lo, s7
	s_cbranch_execnz .LBB78_69
; %bb.70:
	s_or_b32 exec_lo, exec_lo, s7
	v_mov_b32_e32 v37, 0
	ds_read_b128 v[37:40], v37 offset:224
	s_waitcnt lgkmcnt(0)
	v_mul_f64 v[41:42], v[3:4], v[39:40]
	v_mul_f64 v[39:40], v[5:6], v[39:40]
	v_fma_f64 v[5:6], v[5:6], v[37:38], -v[41:42]
	v_fma_f64 v[3:4], v[3:4], v[37:38], v[39:40]
	buffer_store_dword v6, off, s[0:3], 0 offset:228
	buffer_store_dword v5, off, s[0:3], 0 offset:224
	buffer_store_dword v4, off, s[0:3], 0 offset:236
	buffer_store_dword v3, off, s[0:3], 0 offset:232
.LBB78_71:
	s_or_b32 exec_lo, exec_lo, s6
	s_mov_b32 s7, -1
	s_waitcnt_vscnt null, 0x0
	s_barrier
	buffer_gl0_inv
.LBB78_72:
	s_and_b32 vcc_lo, exec_lo, s7
	s_cbranch_vccz .LBB78_74
; %bb.73:
	s_lshl_b64 s[6:7], s[8:9], 2
	v_mov_b32_e32 v3, 0
	s_add_u32 s6, s14, s6
	s_addc_u32 s7, s15, s7
	global_load_dword v3, v3, s[6:7]
	s_waitcnt vmcnt(0)
	v_cmp_ne_u32_e32 vcc_lo, 0, v3
	s_cbranch_vccz .LBB78_75
.LBB78_74:
	s_endpgm
.LBB78_75:
	v_lshl_add_u32 v3, v0, 4, 0xf0
	s_mov_b32 s6, exec_lo
	v_cmpx_eq_u32_e32 14, v0
	s_cbranch_execz .LBB78_77
; %bb.76:
	v_mov_b32_e32 v4, s13
	s_clause 0x3
	buffer_load_dword v37, v4, s[0:3], 0 offen
	buffer_load_dword v38, v4, s[0:3], 0 offen offset:4
	buffer_load_dword v39, v4, s[0:3], 0 offen offset:8
	;; [unrolled: 1-line block ×3, first 2 shown]
	v_mov_b32_e32 v4, 0
	buffer_store_dword v4, off, s[0:3], 0 offset:208
	buffer_store_dword v4, off, s[0:3], 0 offset:212
	;; [unrolled: 1-line block ×4, first 2 shown]
	s_waitcnt vmcnt(0)
	ds_write_b128 v3, v[37:40]
.LBB78_77:
	s_or_b32 exec_lo, exec_lo, s6
	s_waitcnt lgkmcnt(0)
	s_waitcnt_vscnt null, 0x0
	s_barrier
	buffer_gl0_inv
	s_clause 0x7
	buffer_load_dword v5, off, s[0:3], 0 offset:232
	buffer_load_dword v6, off, s[0:3], 0 offset:236
	;; [unrolled: 1-line block ×8, first 2 shown]
	v_mov_b32_e32 v4, 0
	s_mov_b32 s6, exec_lo
	ds_read_b128 v[37:40], v4 offset:464
	s_waitcnt vmcnt(6) lgkmcnt(0)
	v_mul_f64 v[47:48], v[39:40], v[5:6]
	v_mul_f64 v[5:6], v[37:38], v[5:6]
	s_waitcnt vmcnt(4)
	v_fma_f64 v[37:38], v[37:38], v[41:42], -v[47:48]
	v_fma_f64 v[5:6], v[39:40], v[41:42], v[5:6]
	v_add_f64 v[37:38], v[37:38], 0
	v_add_f64 v[5:6], v[5:6], 0
	s_waitcnt vmcnt(2)
	v_add_f64 v[37:38], v[43:44], -v[37:38]
	s_waitcnt vmcnt(0)
	v_add_f64 v[5:6], v[45:46], -v[5:6]
	buffer_store_dword v37, off, s[0:3], 0 offset:208
	buffer_store_dword v38, off, s[0:3], 0 offset:212
	;; [unrolled: 1-line block ×4, first 2 shown]
	v_cmpx_lt_u32_e32 12, v0
	s_cbranch_execz .LBB78_79
; %bb.78:
	v_mov_b32_e32 v5, s16
	s_clause 0x3
	buffer_load_dword v37, v5, s[0:3], 0 offen
	buffer_load_dword v38, v5, s[0:3], 0 offen offset:4
	buffer_load_dword v39, v5, s[0:3], 0 offen offset:8
	;; [unrolled: 1-line block ×3, first 2 shown]
	buffer_store_dword v4, off, s[0:3], 0 offset:192
	buffer_store_dword v4, off, s[0:3], 0 offset:196
	;; [unrolled: 1-line block ×4, first 2 shown]
	s_waitcnt vmcnt(0)
	ds_write_b128 v3, v[37:40]
.LBB78_79:
	s_or_b32 exec_lo, exec_lo, s6
	s_waitcnt lgkmcnt(0)
	s_waitcnt_vscnt null, 0x0
	s_barrier
	buffer_gl0_inv
	s_clause 0xb
	buffer_load_dword v5, off, s[0:3], 0 offset:216
	buffer_load_dword v6, off, s[0:3], 0 offset:220
	;; [unrolled: 1-line block ×12, first 2 shown]
	ds_read_b128 v[37:40], v4 offset:448
	ds_read_b128 v[41:44], v4 offset:464
	s_mov_b32 s6, exec_lo
	s_waitcnt vmcnt(10) lgkmcnt(1)
	v_mul_f64 v[55:56], v[39:40], v[5:6]
	v_mul_f64 v[4:5], v[37:38], v[5:6]
	s_waitcnt vmcnt(8) lgkmcnt(0)
	v_mul_f64 v[57:58], v[43:44], v[45:46]
	v_mul_f64 v[45:46], v[41:42], v[45:46]
	s_waitcnt vmcnt(6)
	v_fma_f64 v[37:38], v[37:38], v[47:48], -v[55:56]
	v_fma_f64 v[4:5], v[39:40], v[47:48], v[4:5]
	s_waitcnt vmcnt(4)
	v_fma_f64 v[39:40], v[41:42], v[49:50], -v[57:58]
	v_fma_f64 v[41:42], v[43:44], v[49:50], v[45:46]
	v_add_f64 v[37:38], v[37:38], 0
	v_add_f64 v[4:5], v[4:5], 0
	v_add_f64 v[37:38], v[37:38], v[39:40]
	v_add_f64 v[4:5], v[4:5], v[41:42]
	s_waitcnt vmcnt(2)
	v_add_f64 v[37:38], v[51:52], -v[37:38]
	s_waitcnt vmcnt(0)
	v_add_f64 v[4:5], v[53:54], -v[4:5]
	buffer_store_dword v37, off, s[0:3], 0 offset:192
	buffer_store_dword v38, off, s[0:3], 0 offset:196
	;; [unrolled: 1-line block ×4, first 2 shown]
	v_cmpx_lt_u32_e32 11, v0
	s_cbranch_execz .LBB78_81
; %bb.80:
	v_mov_b32_e32 v4, s17
	s_clause 0x3
	buffer_load_dword v37, v4, s[0:3], 0 offen
	buffer_load_dword v38, v4, s[0:3], 0 offen offset:4
	buffer_load_dword v39, v4, s[0:3], 0 offen offset:8
	buffer_load_dword v40, v4, s[0:3], 0 offen offset:12
	v_mov_b32_e32 v4, 0
	buffer_store_dword v4, off, s[0:3], 0 offset:176
	buffer_store_dword v4, off, s[0:3], 0 offset:180
	;; [unrolled: 1-line block ×4, first 2 shown]
	s_waitcnt vmcnt(0)
	ds_write_b128 v3, v[37:40]
.LBB78_81:
	s_or_b32 exec_lo, exec_lo, s6
	s_waitcnt lgkmcnt(0)
	s_waitcnt_vscnt null, 0x0
	s_barrier
	buffer_gl0_inv
	s_clause 0xf
	buffer_load_dword v5, off, s[0:3], 0 offset:200
	buffer_load_dword v6, off, s[0:3], 0 offset:204
	;; [unrolled: 1-line block ×16, first 2 shown]
	v_mov_b32_e32 v4, 0
	ds_read_b128 v[37:40], v4 offset:432
	ds_read_b128 v[41:44], v4 offset:448
	;; [unrolled: 1-line block ×3, first 2 shown]
	s_mov_b32 s6, exec_lo
	s_waitcnt vmcnt(14) lgkmcnt(2)
	v_mul_f64 v[63:64], v[39:40], v[5:6]
	v_mul_f64 v[5:6], v[37:38], v[5:6]
	s_waitcnt vmcnt(12) lgkmcnt(1)
	v_mul_f64 v[65:66], v[43:44], v[49:50]
	v_mul_f64 v[49:50], v[41:42], v[49:50]
	s_waitcnt vmcnt(10)
	v_fma_f64 v[37:38], v[37:38], v[51:52], -v[63:64]
	v_fma_f64 v[5:6], v[39:40], v[51:52], v[5:6]
	s_waitcnt vmcnt(8) lgkmcnt(0)
	v_mul_f64 v[51:52], v[47:48], v[53:54]
	s_waitcnt vmcnt(6)
	v_fma_f64 v[41:42], v[41:42], v[55:56], -v[65:66]
	v_mul_f64 v[39:40], v[45:46], v[53:54]
	v_fma_f64 v[43:44], v[43:44], v[55:56], v[49:50]
	v_add_f64 v[37:38], v[37:38], 0
	v_add_f64 v[5:6], v[5:6], 0
	s_waitcnt vmcnt(4)
	v_fma_f64 v[45:46], v[45:46], v[57:58], -v[51:52]
	v_fma_f64 v[39:40], v[47:48], v[57:58], v[39:40]
	v_add_f64 v[37:38], v[37:38], v[41:42]
	v_add_f64 v[5:6], v[5:6], v[43:44]
	;; [unrolled: 1-line block ×4, first 2 shown]
	s_waitcnt vmcnt(2)
	v_add_f64 v[37:38], v[59:60], -v[37:38]
	s_waitcnt vmcnt(0)
	v_add_f64 v[5:6], v[61:62], -v[5:6]
	buffer_store_dword v37, off, s[0:3], 0 offset:176
	buffer_store_dword v38, off, s[0:3], 0 offset:180
	;; [unrolled: 1-line block ×4, first 2 shown]
	v_cmpx_lt_u32_e32 10, v0
	s_cbranch_execz .LBB78_83
; %bb.82:
	v_mov_b32_e32 v5, s18
	s_clause 0x3
	buffer_load_dword v37, v5, s[0:3], 0 offen
	buffer_load_dword v38, v5, s[0:3], 0 offen offset:4
	buffer_load_dword v39, v5, s[0:3], 0 offen offset:8
	;; [unrolled: 1-line block ×3, first 2 shown]
	buffer_store_dword v4, off, s[0:3], 0 offset:160
	buffer_store_dword v4, off, s[0:3], 0 offset:164
	;; [unrolled: 1-line block ×4, first 2 shown]
	s_waitcnt vmcnt(0)
	ds_write_b128 v3, v[37:40]
.LBB78_83:
	s_or_b32 exec_lo, exec_lo, s6
	s_waitcnt lgkmcnt(0)
	s_waitcnt_vscnt null, 0x0
	s_barrier
	buffer_gl0_inv
	s_clause 0x13
	buffer_load_dword v5, off, s[0:3], 0 offset:184
	buffer_load_dword v6, off, s[0:3], 0 offset:188
	;; [unrolled: 1-line block ×20, first 2 shown]
	ds_read_b128 v[37:40], v4 offset:416
	ds_read_b128 v[41:44], v4 offset:432
	;; [unrolled: 1-line block ×3, first 2 shown]
	s_mov_b32 s6, exec_lo
	s_waitcnt vmcnt(18) lgkmcnt(2)
	v_mul_f64 v[67:68], v[39:40], v[5:6]
	v_mul_f64 v[5:6], v[37:38], v[5:6]
	s_waitcnt vmcnt(16) lgkmcnt(1)
	v_mul_f64 v[69:70], v[43:44], v[49:50]
	v_mul_f64 v[49:50], v[41:42], v[49:50]
	s_waitcnt vmcnt(14)
	v_fma_f64 v[67:68], v[37:38], v[51:52], -v[67:68]
	v_fma_f64 v[5:6], v[39:40], v[51:52], v[5:6]
	ds_read_b128 v[37:40], v4 offset:464
	s_waitcnt vmcnt(12) lgkmcnt(1)
	v_mul_f64 v[51:52], v[45:46], v[53:54]
	v_mul_f64 v[53:54], v[47:48], v[53:54]
	s_waitcnt vmcnt(10)
	v_fma_f64 v[41:42], v[41:42], v[55:56], -v[69:70]
	v_fma_f64 v[43:44], v[43:44], v[55:56], v[49:50]
	s_waitcnt vmcnt(8) lgkmcnt(0)
	v_mul_f64 v[55:56], v[39:40], v[57:58]
	v_add_f64 v[67:68], v[67:68], 0
	v_add_f64 v[4:5], v[5:6], 0
	v_mul_f64 v[49:50], v[37:38], v[57:58]
	s_waitcnt vmcnt(6)
	v_fma_f64 v[45:46], v[45:46], v[59:60], -v[53:54]
	v_fma_f64 v[47:48], v[47:48], v[59:60], v[51:52]
	s_waitcnt vmcnt(4)
	v_fma_f64 v[37:38], v[37:38], v[61:62], -v[55:56]
	v_add_f64 v[41:42], v[67:68], v[41:42]
	v_add_f64 v[4:5], v[4:5], v[43:44]
	v_fma_f64 v[39:40], v[39:40], v[61:62], v[49:50]
	v_add_f64 v[41:42], v[41:42], v[45:46]
	v_add_f64 v[4:5], v[4:5], v[47:48]
	;; [unrolled: 1-line block ×4, first 2 shown]
	s_waitcnt vmcnt(2)
	v_add_f64 v[37:38], v[63:64], -v[37:38]
	s_waitcnt vmcnt(0)
	v_add_f64 v[4:5], v[65:66], -v[4:5]
	buffer_store_dword v37, off, s[0:3], 0 offset:160
	buffer_store_dword v38, off, s[0:3], 0 offset:164
	;; [unrolled: 1-line block ×4, first 2 shown]
	v_cmpx_lt_u32_e32 9, v0
	s_cbranch_execz .LBB78_85
; %bb.84:
	v_mov_b32_e32 v4, s19
	s_clause 0x3
	buffer_load_dword v37, v4, s[0:3], 0 offen
	buffer_load_dword v38, v4, s[0:3], 0 offen offset:4
	buffer_load_dword v39, v4, s[0:3], 0 offen offset:8
	;; [unrolled: 1-line block ×3, first 2 shown]
	v_mov_b32_e32 v4, 0
	buffer_store_dword v4, off, s[0:3], 0 offset:144
	buffer_store_dword v4, off, s[0:3], 0 offset:148
	;; [unrolled: 1-line block ×4, first 2 shown]
	s_waitcnt vmcnt(0)
	ds_write_b128 v3, v[37:40]
.LBB78_85:
	s_or_b32 exec_lo, exec_lo, s6
	s_waitcnt lgkmcnt(0)
	s_waitcnt_vscnt null, 0x0
	s_barrier
	buffer_gl0_inv
	s_clause 0x17
	buffer_load_dword v5, off, s[0:3], 0 offset:168
	buffer_load_dword v6, off, s[0:3], 0 offset:172
	;; [unrolled: 1-line block ×24, first 2 shown]
	v_mov_b32_e32 v4, 0
	ds_read_b128 v[37:40], v4 offset:400
	ds_read_b128 v[41:44], v4 offset:416
	;; [unrolled: 1-line block ×3, first 2 shown]
	s_mov_b32 s6, exec_lo
	s_waitcnt vmcnt(22) lgkmcnt(2)
	v_mul_f64 v[71:72], v[39:40], v[5:6]
	v_mul_f64 v[5:6], v[37:38], v[5:6]
	s_waitcnt vmcnt(20) lgkmcnt(1)
	v_mul_f64 v[73:74], v[43:44], v[49:50]
	v_mul_f64 v[49:50], v[41:42], v[49:50]
	s_waitcnt vmcnt(18)
	v_fma_f64 v[71:72], v[37:38], v[51:52], -v[71:72]
	v_fma_f64 v[5:6], v[39:40], v[51:52], v[5:6]
	ds_read_b128 v[37:40], v4 offset:448
	s_waitcnt vmcnt(16) lgkmcnt(1)
	v_mul_f64 v[51:52], v[45:46], v[53:54]
	v_mul_f64 v[53:54], v[47:48], v[53:54]
	s_waitcnt vmcnt(14)
	v_fma_f64 v[73:74], v[41:42], v[55:56], -v[73:74]
	v_fma_f64 v[49:50], v[43:44], v[55:56], v[49:50]
	ds_read_b128 v[41:44], v4 offset:464
	s_waitcnt vmcnt(10) lgkmcnt(1)
	v_mul_f64 v[55:56], v[37:38], v[57:58]
	v_add_f64 v[71:72], v[71:72], 0
	v_add_f64 v[5:6], v[5:6], 0
	v_mul_f64 v[57:58], v[39:40], v[57:58]
	s_waitcnt vmcnt(8)
	v_fma_f64 v[45:46], v[45:46], v[63:64], -v[53:54]
	v_fma_f64 v[47:48], v[47:48], v[63:64], v[51:52]
	s_waitcnt vmcnt(7) lgkmcnt(0)
	v_mul_f64 v[51:52], v[43:44], v[59:60]
	s_waitcnt vmcnt(5)
	v_fma_f64 v[39:40], v[39:40], v[65:66], v[55:56]
	v_add_f64 v[53:54], v[71:72], v[73:74]
	v_add_f64 v[5:6], v[5:6], v[49:50]
	v_fma_f64 v[37:38], v[37:38], v[65:66], -v[57:58]
	v_mul_f64 v[49:50], v[41:42], v[59:60]
	s_waitcnt vmcnt(4)
	v_fma_f64 v[41:42], v[41:42], v[61:62], -v[51:52]
	v_add_f64 v[45:46], v[53:54], v[45:46]
	v_add_f64 v[5:6], v[5:6], v[47:48]
	v_fma_f64 v[43:44], v[43:44], v[61:62], v[49:50]
	v_add_f64 v[37:38], v[45:46], v[37:38]
	v_add_f64 v[5:6], v[5:6], v[39:40]
	;; [unrolled: 1-line block ×4, first 2 shown]
	s_waitcnt vmcnt(2)
	v_add_f64 v[37:38], v[67:68], -v[37:38]
	s_waitcnt vmcnt(0)
	v_add_f64 v[5:6], v[69:70], -v[5:6]
	buffer_store_dword v38, off, s[0:3], 0 offset:148
	buffer_store_dword v37, off, s[0:3], 0 offset:144
	;; [unrolled: 1-line block ×4, first 2 shown]
	v_cmpx_lt_u32_e32 8, v0
	s_cbranch_execz .LBB78_87
; %bb.86:
	v_mov_b32_e32 v5, s20
	s_clause 0x3
	buffer_load_dword v37, v5, s[0:3], 0 offen
	buffer_load_dword v38, v5, s[0:3], 0 offen offset:4
	buffer_load_dword v39, v5, s[0:3], 0 offen offset:8
	;; [unrolled: 1-line block ×3, first 2 shown]
	buffer_store_dword v4, off, s[0:3], 0 offset:128
	buffer_store_dword v4, off, s[0:3], 0 offset:132
	;; [unrolled: 1-line block ×4, first 2 shown]
	s_waitcnt vmcnt(0)
	ds_write_b128 v3, v[37:40]
.LBB78_87:
	s_or_b32 exec_lo, exec_lo, s6
	s_waitcnt lgkmcnt(0)
	s_waitcnt_vscnt null, 0x0
	s_barrier
	buffer_gl0_inv
	s_clause 0x1b
	buffer_load_dword v5, off, s[0:3], 0 offset:152
	buffer_load_dword v6, off, s[0:3], 0 offset:156
	buffer_load_dword v49, off, s[0:3], 0 offset:168
	buffer_load_dword v50, off, s[0:3], 0 offset:172
	buffer_load_dword v51, off, s[0:3], 0 offset:144
	buffer_load_dword v52, off, s[0:3], 0 offset:148
	buffer_load_dword v53, off, s[0:3], 0 offset:184
	buffer_load_dword v54, off, s[0:3], 0 offset:188
	buffer_load_dword v55, off, s[0:3], 0 offset:160
	buffer_load_dword v56, off, s[0:3], 0 offset:164
	buffer_load_dword v58, off, s[0:3], 0 offset:204
	buffer_load_dword v59, off, s[0:3], 0 offset:216
	buffer_load_dword v61, off, s[0:3], 0 offset:208
	buffer_load_dword v57, off, s[0:3], 0 offset:200
	buffer_load_dword v63, off, s[0:3], 0 offset:176
	buffer_load_dword v64, off, s[0:3], 0 offset:180
	buffer_load_dword v60, off, s[0:3], 0 offset:220
	buffer_load_dword v66, off, s[0:3], 0 offset:196
	buffer_load_dword v65, off, s[0:3], 0 offset:192
	buffer_load_dword v68, off, s[0:3], 0 offset:236
	buffer_load_dword v67, off, s[0:3], 0 offset:232
	buffer_load_dword v62, off, s[0:3], 0 offset:212
	buffer_load_dword v70, off, s[0:3], 0 offset:228
	buffer_load_dword v69, off, s[0:3], 0 offset:224
	buffer_load_dword v71, off, s[0:3], 0 offset:128
	buffer_load_dword v72, off, s[0:3], 0 offset:132
	buffer_load_dword v73, off, s[0:3], 0 offset:136
	buffer_load_dword v74, off, s[0:3], 0 offset:140
	ds_read_b128 v[37:40], v4 offset:384
	ds_read_b128 v[41:44], v4 offset:400
	ds_read_b128 v[45:48], v4 offset:416
	s_mov_b32 s6, exec_lo
	s_waitcnt vmcnt(26) lgkmcnt(2)
	v_mul_f64 v[75:76], v[39:40], v[5:6]
	v_mul_f64 v[5:6], v[37:38], v[5:6]
	s_waitcnt vmcnt(24) lgkmcnt(1)
	v_mul_f64 v[77:78], v[43:44], v[49:50]
	v_mul_f64 v[49:50], v[41:42], v[49:50]
	s_waitcnt vmcnt(22)
	v_fma_f64 v[75:76], v[37:38], v[51:52], -v[75:76]
	v_fma_f64 v[5:6], v[39:40], v[51:52], v[5:6]
	ds_read_b128 v[37:40], v4 offset:432
	s_waitcnt vmcnt(20) lgkmcnt(1)
	v_mul_f64 v[51:52], v[45:46], v[53:54]
	v_mul_f64 v[53:54], v[47:48], v[53:54]
	s_waitcnt vmcnt(18)
	v_fma_f64 v[77:78], v[41:42], v[55:56], -v[77:78]
	v_fma_f64 v[49:50], v[43:44], v[55:56], v[49:50]
	ds_read_b128 v[41:44], v4 offset:448
	s_waitcnt vmcnt(14) lgkmcnt(1)
	v_mul_f64 v[55:56], v[37:38], v[57:58]
	v_add_f64 v[75:76], v[75:76], 0
	v_add_f64 v[5:6], v[5:6], 0
	v_mul_f64 v[57:58], v[39:40], v[57:58]
	s_waitcnt vmcnt(12)
	v_fma_f64 v[53:54], v[45:46], v[63:64], -v[53:54]
	v_fma_f64 v[51:52], v[47:48], v[63:64], v[51:52]
	ds_read_b128 v[45:48], v4 offset:464
	s_waitcnt vmcnt(9)
	v_fma_f64 v[39:40], v[39:40], v[65:66], v[55:56]
	v_add_f64 v[75:76], v[75:76], v[77:78]
	v_add_f64 v[5:6], v[5:6], v[49:50]
	s_waitcnt lgkmcnt(1)
	v_mul_f64 v[49:50], v[41:42], v[59:60]
	v_mul_f64 v[59:60], v[43:44], v[59:60]
	v_fma_f64 v[37:38], v[37:38], v[65:66], -v[57:58]
	s_waitcnt vmcnt(7) lgkmcnt(0)
	v_mul_f64 v[55:56], v[47:48], v[67:68]
	v_add_f64 v[53:54], v[75:76], v[53:54]
	v_add_f64 v[4:5], v[5:6], v[51:52]
	v_mul_f64 v[51:52], v[45:46], v[67:68]
	s_waitcnt vmcnt(6)
	v_fma_f64 v[41:42], v[41:42], v[61:62], -v[59:60]
	v_fma_f64 v[43:44], v[43:44], v[61:62], v[49:50]
	v_add_f64 v[37:38], v[53:54], v[37:38]
	v_add_f64 v[4:5], v[4:5], v[39:40]
	s_waitcnt vmcnt(4)
	v_fma_f64 v[39:40], v[45:46], v[69:70], -v[55:56]
	v_add_f64 v[37:38], v[37:38], v[41:42]
	v_fma_f64 v[41:42], v[47:48], v[69:70], v[51:52]
	v_add_f64 v[4:5], v[4:5], v[43:44]
	v_add_f64 v[37:38], v[37:38], v[39:40]
	;; [unrolled: 1-line block ×3, first 2 shown]
	s_waitcnt vmcnt(2)
	v_add_f64 v[37:38], v[71:72], -v[37:38]
	s_waitcnt vmcnt(0)
	v_add_f64 v[4:5], v[73:74], -v[4:5]
	buffer_store_dword v38, off, s[0:3], 0 offset:132
	buffer_store_dword v37, off, s[0:3], 0 offset:128
	;; [unrolled: 1-line block ×4, first 2 shown]
	v_cmpx_lt_u32_e32 7, v0
	s_cbranch_execz .LBB78_89
; %bb.88:
	v_mov_b32_e32 v4, s21
	s_clause 0x3
	buffer_load_dword v37, v4, s[0:3], 0 offen
	buffer_load_dword v38, v4, s[0:3], 0 offen offset:4
	buffer_load_dword v39, v4, s[0:3], 0 offen offset:8
	;; [unrolled: 1-line block ×3, first 2 shown]
	v_mov_b32_e32 v4, 0
	buffer_store_dword v4, off, s[0:3], 0 offset:112
	buffer_store_dword v4, off, s[0:3], 0 offset:116
	buffer_store_dword v4, off, s[0:3], 0 offset:120
	buffer_store_dword v4, off, s[0:3], 0 offset:124
	s_waitcnt vmcnt(0)
	ds_write_b128 v3, v[37:40]
.LBB78_89:
	s_or_b32 exec_lo, exec_lo, s6
	s_waitcnt lgkmcnt(0)
	s_waitcnt_vscnt null, 0x0
	s_barrier
	buffer_gl0_inv
	s_clause 0x1f
	buffer_load_dword v5, off, s[0:3], 0 offset:136
	buffer_load_dword v6, off, s[0:3], 0 offset:140
	;; [unrolled: 1-line block ×32, first 2 shown]
	v_mov_b32_e32 v4, 0
	ds_read_b128 v[37:40], v4 offset:368
	ds_read_b128 v[41:44], v4 offset:384
	;; [unrolled: 1-line block ×3, first 2 shown]
	s_mov_b32 s6, exec_lo
	s_waitcnt vmcnt(30) lgkmcnt(2)
	v_mul_f64 v[79:80], v[39:40], v[5:6]
	v_mul_f64 v[5:6], v[37:38], v[5:6]
	s_waitcnt vmcnt(28) lgkmcnt(1)
	v_mul_f64 v[81:82], v[43:44], v[49:50]
	v_mul_f64 v[49:50], v[41:42], v[49:50]
	s_waitcnt vmcnt(26)
	v_fma_f64 v[79:80], v[37:38], v[51:52], -v[79:80]
	v_fma_f64 v[5:6], v[39:40], v[51:52], v[5:6]
	ds_read_b128 v[37:40], v4 offset:416
	s_waitcnt vmcnt(24) lgkmcnt(1)
	v_mul_f64 v[51:52], v[45:46], v[53:54]
	v_mul_f64 v[53:54], v[47:48], v[53:54]
	s_waitcnt vmcnt(22)
	v_fma_f64 v[81:82], v[41:42], v[55:56], -v[81:82]
	v_fma_f64 v[49:50], v[43:44], v[55:56], v[49:50]
	ds_read_b128 v[41:44], v4 offset:432
	s_waitcnt vmcnt(18) lgkmcnt(1)
	v_mul_f64 v[55:56], v[37:38], v[57:58]
	v_add_f64 v[79:80], v[79:80], 0
	v_add_f64 v[5:6], v[5:6], 0
	v_mul_f64 v[57:58], v[39:40], v[57:58]
	s_waitcnt vmcnt(16)
	v_fma_f64 v[53:54], v[45:46], v[63:64], -v[53:54]
	v_fma_f64 v[51:52], v[47:48], v[63:64], v[51:52]
	ds_read_b128 v[45:48], v4 offset:448
	s_waitcnt vmcnt(13)
	v_fma_f64 v[55:56], v[39:40], v[65:66], v[55:56]
	v_add_f64 v[79:80], v[79:80], v[81:82]
	v_add_f64 v[5:6], v[5:6], v[49:50]
	s_waitcnt lgkmcnt(1)
	v_mul_f64 v[49:50], v[41:42], v[59:60]
	v_mul_f64 v[59:60], v[43:44], v[59:60]
	v_fma_f64 v[57:58], v[37:38], v[65:66], -v[57:58]
	s_waitcnt vmcnt(9) lgkmcnt(0)
	v_mul_f64 v[63:64], v[47:48], v[67:68]
	ds_read_b128 v[37:40], v4 offset:464
	v_add_f64 v[53:54], v[79:80], v[53:54]
	v_add_f64 v[5:6], v[5:6], v[51:52]
	v_mul_f64 v[51:52], v[45:46], v[67:68]
	s_waitcnt vmcnt(8)
	v_fma_f64 v[41:42], v[41:42], v[61:62], -v[59:60]
	v_fma_f64 v[43:44], v[43:44], v[61:62], v[49:50]
	s_waitcnt vmcnt(5)
	v_fma_f64 v[45:46], v[45:46], v[73:74], -v[63:64]
	s_waitcnt lgkmcnt(0)
	v_mul_f64 v[49:50], v[37:38], v[69:70]
	v_add_f64 v[53:54], v[53:54], v[57:58]
	v_add_f64 v[5:6], v[5:6], v[55:56]
	v_mul_f64 v[55:56], v[39:40], v[69:70]
	v_fma_f64 v[47:48], v[47:48], v[73:74], v[51:52]
	s_waitcnt vmcnt(4)
	v_fma_f64 v[39:40], v[39:40], v[71:72], v[49:50]
	v_add_f64 v[41:42], v[53:54], v[41:42]
	v_add_f64 v[5:6], v[5:6], v[43:44]
	v_fma_f64 v[37:38], v[37:38], v[71:72], -v[55:56]
	v_add_f64 v[41:42], v[41:42], v[45:46]
	v_add_f64 v[5:6], v[5:6], v[47:48]
	;; [unrolled: 1-line block ×4, first 2 shown]
	s_waitcnt vmcnt(2)
	v_add_f64 v[37:38], v[75:76], -v[37:38]
	s_waitcnt vmcnt(0)
	v_add_f64 v[5:6], v[77:78], -v[5:6]
	buffer_store_dword v38, off, s[0:3], 0 offset:116
	buffer_store_dword v37, off, s[0:3], 0 offset:112
	;; [unrolled: 1-line block ×4, first 2 shown]
	v_cmpx_lt_u32_e32 6, v0
	s_cbranch_execz .LBB78_91
; %bb.90:
	v_mov_b32_e32 v5, s22
	s_clause 0x3
	buffer_load_dword v37, v5, s[0:3], 0 offen
	buffer_load_dword v38, v5, s[0:3], 0 offen offset:4
	buffer_load_dword v39, v5, s[0:3], 0 offen offset:8
	;; [unrolled: 1-line block ×3, first 2 shown]
	buffer_store_dword v4, off, s[0:3], 0 offset:96
	buffer_store_dword v4, off, s[0:3], 0 offset:100
	;; [unrolled: 1-line block ×4, first 2 shown]
	s_waitcnt vmcnt(0)
	ds_write_b128 v3, v[37:40]
.LBB78_91:
	s_or_b32 exec_lo, exec_lo, s6
	s_waitcnt lgkmcnt(0)
	s_waitcnt_vscnt null, 0x0
	s_barrier
	buffer_gl0_inv
	s_clause 0x23
	buffer_load_dword v5, off, s[0:3], 0 offset:120
	buffer_load_dword v6, off, s[0:3], 0 offset:124
	buffer_load_dword v49, off, s[0:3], 0 offset:136
	buffer_load_dword v50, off, s[0:3], 0 offset:140
	buffer_load_dword v51, off, s[0:3], 0 offset:112
	buffer_load_dword v52, off, s[0:3], 0 offset:116
	buffer_load_dword v53, off, s[0:3], 0 offset:152
	buffer_load_dword v54, off, s[0:3], 0 offset:156
	buffer_load_dword v55, off, s[0:3], 0 offset:128
	buffer_load_dword v56, off, s[0:3], 0 offset:132
	buffer_load_dword v58, off, s[0:3], 0 offset:172
	buffer_load_dword v59, off, s[0:3], 0 offset:184
	buffer_load_dword v61, off, s[0:3], 0 offset:176
	buffer_load_dword v57, off, s[0:3], 0 offset:168
	buffer_load_dword v63, off, s[0:3], 0 offset:144
	buffer_load_dword v64, off, s[0:3], 0 offset:148
	buffer_load_dword v60, off, s[0:3], 0 offset:188
	buffer_load_dword v66, off, s[0:3], 0 offset:164
	buffer_load_dword v65, off, s[0:3], 0 offset:160
	buffer_load_dword v68, off, s[0:3], 0 offset:204
	buffer_load_dword v69, off, s[0:3], 0 offset:216
	buffer_load_dword v71, off, s[0:3], 0 offset:208
	buffer_load_dword v67, off, s[0:3], 0 offset:200
	buffer_load_dword v62, off, s[0:3], 0 offset:180
	buffer_load_dword v70, off, s[0:3], 0 offset:220
	buffer_load_dword v74, off, s[0:3], 0 offset:196
	buffer_load_dword v73, off, s[0:3], 0 offset:192
	buffer_load_dword v76, off, s[0:3], 0 offset:236
	buffer_load_dword v75, off, s[0:3], 0 offset:232
	buffer_load_dword v72, off, s[0:3], 0 offset:212
	buffer_load_dword v78, off, s[0:3], 0 offset:228
	buffer_load_dword v77, off, s[0:3], 0 offset:224
	buffer_load_dword v79, off, s[0:3], 0 offset:96
	buffer_load_dword v80, off, s[0:3], 0 offset:100
	buffer_load_dword v81, off, s[0:3], 0 offset:104
	buffer_load_dword v82, off, s[0:3], 0 offset:108
	ds_read_b128 v[37:40], v4 offset:352
	ds_read_b128 v[41:44], v4 offset:368
	;; [unrolled: 1-line block ×3, first 2 shown]
	s_mov_b32 s6, exec_lo
	s_waitcnt vmcnt(34) lgkmcnt(2)
	v_mul_f64 v[83:84], v[39:40], v[5:6]
	v_mul_f64 v[5:6], v[37:38], v[5:6]
	s_waitcnt vmcnt(32) lgkmcnt(1)
	v_mul_f64 v[85:86], v[43:44], v[49:50]
	v_mul_f64 v[49:50], v[41:42], v[49:50]
	s_waitcnt vmcnt(30)
	v_fma_f64 v[83:84], v[37:38], v[51:52], -v[83:84]
	v_fma_f64 v[5:6], v[39:40], v[51:52], v[5:6]
	ds_read_b128 v[37:40], v4 offset:400
	s_waitcnt vmcnt(28) lgkmcnt(1)
	v_mul_f64 v[51:52], v[45:46], v[53:54]
	v_mul_f64 v[53:54], v[47:48], v[53:54]
	s_waitcnt vmcnt(26)
	v_fma_f64 v[85:86], v[41:42], v[55:56], -v[85:86]
	v_fma_f64 v[49:50], v[43:44], v[55:56], v[49:50]
	ds_read_b128 v[41:44], v4 offset:416
	s_waitcnt vmcnt(22) lgkmcnt(1)
	v_mul_f64 v[55:56], v[37:38], v[57:58]
	v_add_f64 v[83:84], v[83:84], 0
	v_add_f64 v[5:6], v[5:6], 0
	v_mul_f64 v[57:58], v[39:40], v[57:58]
	s_waitcnt vmcnt(20)
	v_fma_f64 v[53:54], v[45:46], v[63:64], -v[53:54]
	v_fma_f64 v[51:52], v[47:48], v[63:64], v[51:52]
	ds_read_b128 v[45:48], v4 offset:432
	s_waitcnt vmcnt(17)
	v_fma_f64 v[55:56], v[39:40], v[65:66], v[55:56]
	v_add_f64 v[83:84], v[83:84], v[85:86]
	v_add_f64 v[5:6], v[5:6], v[49:50]
	s_waitcnt lgkmcnt(1)
	v_mul_f64 v[49:50], v[41:42], v[59:60]
	v_mul_f64 v[59:60], v[43:44], v[59:60]
	v_fma_f64 v[57:58], v[37:38], v[65:66], -v[57:58]
	s_waitcnt vmcnt(13) lgkmcnt(0)
	v_mul_f64 v[63:64], v[47:48], v[67:68]
	ds_read_b128 v[37:40], v4 offset:448
	v_add_f64 v[53:54], v[83:84], v[53:54]
	v_add_f64 v[5:6], v[5:6], v[51:52]
	v_mul_f64 v[51:52], v[45:46], v[67:68]
	s_waitcnt vmcnt(12)
	v_fma_f64 v[59:60], v[41:42], v[61:62], -v[59:60]
	v_fma_f64 v[49:50], v[43:44], v[61:62], v[49:50]
	ds_read_b128 v[41:44], v4 offset:464
	s_waitcnt vmcnt(9)
	v_fma_f64 v[45:46], v[45:46], v[73:74], -v[63:64]
	v_add_f64 v[53:54], v[53:54], v[57:58]
	v_add_f64 v[5:6], v[5:6], v[55:56]
	s_waitcnt lgkmcnt(1)
	v_mul_f64 v[57:58], v[39:40], v[69:70]
	v_mul_f64 v[55:56], v[37:38], v[69:70]
	v_fma_f64 v[47:48], v[47:48], v[73:74], v[51:52]
	s_waitcnt vmcnt(7) lgkmcnt(0)
	v_mul_f64 v[51:52], v[43:44], v[75:76]
	v_add_f64 v[53:54], v[53:54], v[59:60]
	v_add_f64 v[4:5], v[5:6], v[49:50]
	s_waitcnt vmcnt(6)
	v_fma_f64 v[37:38], v[37:38], v[71:72], -v[57:58]
	v_mul_f64 v[49:50], v[41:42], v[75:76]
	v_fma_f64 v[39:40], v[39:40], v[71:72], v[55:56]
	s_waitcnt vmcnt(4)
	v_fma_f64 v[41:42], v[41:42], v[77:78], -v[51:52]
	v_add_f64 v[45:46], v[53:54], v[45:46]
	v_add_f64 v[4:5], v[4:5], v[47:48]
	v_fma_f64 v[43:44], v[43:44], v[77:78], v[49:50]
	v_add_f64 v[37:38], v[45:46], v[37:38]
	v_add_f64 v[4:5], v[4:5], v[39:40]
	;; [unrolled: 1-line block ×4, first 2 shown]
	s_waitcnt vmcnt(2)
	v_add_f64 v[37:38], v[79:80], -v[37:38]
	s_waitcnt vmcnt(0)
	v_add_f64 v[4:5], v[81:82], -v[4:5]
	buffer_store_dword v38, off, s[0:3], 0 offset:100
	buffer_store_dword v37, off, s[0:3], 0 offset:96
	;; [unrolled: 1-line block ×4, first 2 shown]
	v_cmpx_lt_u32_e32 5, v0
	s_cbranch_execz .LBB78_93
; %bb.92:
	v_mov_b32_e32 v4, s23
	s_clause 0x3
	buffer_load_dword v37, v4, s[0:3], 0 offen
	buffer_load_dword v38, v4, s[0:3], 0 offen offset:4
	buffer_load_dword v39, v4, s[0:3], 0 offen offset:8
	;; [unrolled: 1-line block ×3, first 2 shown]
	v_mov_b32_e32 v4, 0
	buffer_store_dword v4, off, s[0:3], 0 offset:80
	buffer_store_dword v4, off, s[0:3], 0 offset:84
	;; [unrolled: 1-line block ×4, first 2 shown]
	s_waitcnt vmcnt(0)
	ds_write_b128 v3, v[37:40]
.LBB78_93:
	s_or_b32 exec_lo, exec_lo, s6
	s_waitcnt lgkmcnt(0)
	s_waitcnt_vscnt null, 0x0
	s_barrier
	buffer_gl0_inv
	s_clause 0x27
	buffer_load_dword v5, off, s[0:3], 0 offset:104
	buffer_load_dword v6, off, s[0:3], 0 offset:108
	buffer_load_dword v49, off, s[0:3], 0 offset:120
	buffer_load_dword v50, off, s[0:3], 0 offset:124
	buffer_load_dword v51, off, s[0:3], 0 offset:96
	buffer_load_dword v52, off, s[0:3], 0 offset:100
	buffer_load_dword v53, off, s[0:3], 0 offset:136
	buffer_load_dword v54, off, s[0:3], 0 offset:140
	buffer_load_dword v55, off, s[0:3], 0 offset:112
	buffer_load_dword v56, off, s[0:3], 0 offset:116
	buffer_load_dword v58, off, s[0:3], 0 offset:156
	buffer_load_dword v59, off, s[0:3], 0 offset:168
	buffer_load_dword v61, off, s[0:3], 0 offset:160
	buffer_load_dword v57, off, s[0:3], 0 offset:152
	buffer_load_dword v63, off, s[0:3], 0 offset:128
	buffer_load_dword v64, off, s[0:3], 0 offset:132
	buffer_load_dword v60, off, s[0:3], 0 offset:172
	buffer_load_dword v66, off, s[0:3], 0 offset:148
	buffer_load_dword v65, off, s[0:3], 0 offset:144
	buffer_load_dword v68, off, s[0:3], 0 offset:188
	buffer_load_dword v69, off, s[0:3], 0 offset:200
	buffer_load_dword v71, off, s[0:3], 0 offset:192
	buffer_load_dword v67, off, s[0:3], 0 offset:184
	buffer_load_dword v62, off, s[0:3], 0 offset:164
	buffer_load_dword v70, off, s[0:3], 0 offset:204
	buffer_load_dword v74, off, s[0:3], 0 offset:180
	buffer_load_dword v73, off, s[0:3], 0 offset:176
	buffer_load_dword v76, off, s[0:3], 0 offset:220
	buffer_load_dword v77, off, s[0:3], 0 offset:232
	buffer_load_dword v79, off, s[0:3], 0 offset:224
	buffer_load_dword v75, off, s[0:3], 0 offset:216
	buffer_load_dword v72, off, s[0:3], 0 offset:196
	buffer_load_dword v78, off, s[0:3], 0 offset:236
	buffer_load_dword v82, off, s[0:3], 0 offset:212
	buffer_load_dword v81, off, s[0:3], 0 offset:208
	buffer_load_dword v80, off, s[0:3], 0 offset:228
	buffer_load_dword v83, off, s[0:3], 0 offset:80
	buffer_load_dword v84, off, s[0:3], 0 offset:84
	buffer_load_dword v85, off, s[0:3], 0 offset:88
	buffer_load_dword v86, off, s[0:3], 0 offset:92
	v_mov_b32_e32 v4, 0
	ds_read_b128 v[37:40], v4 offset:336
	ds_read_b128 v[41:44], v4 offset:352
	;; [unrolled: 1-line block ×3, first 2 shown]
	s_mov_b32 s6, exec_lo
	s_waitcnt vmcnt(38) lgkmcnt(2)
	v_mul_f64 v[87:88], v[39:40], v[5:6]
	v_mul_f64 v[5:6], v[37:38], v[5:6]
	s_waitcnt vmcnt(36) lgkmcnt(1)
	v_mul_f64 v[89:90], v[43:44], v[49:50]
	v_mul_f64 v[49:50], v[41:42], v[49:50]
	s_waitcnt vmcnt(34)
	v_fma_f64 v[87:88], v[37:38], v[51:52], -v[87:88]
	v_fma_f64 v[5:6], v[39:40], v[51:52], v[5:6]
	ds_read_b128 v[37:40], v4 offset:384
	s_waitcnt vmcnt(32) lgkmcnt(1)
	v_mul_f64 v[51:52], v[45:46], v[53:54]
	v_mul_f64 v[53:54], v[47:48], v[53:54]
	s_waitcnt vmcnt(30)
	v_fma_f64 v[89:90], v[41:42], v[55:56], -v[89:90]
	v_fma_f64 v[49:50], v[43:44], v[55:56], v[49:50]
	ds_read_b128 v[41:44], v4 offset:400
	s_waitcnt vmcnt(26) lgkmcnt(1)
	v_mul_f64 v[55:56], v[37:38], v[57:58]
	v_add_f64 v[87:88], v[87:88], 0
	v_add_f64 v[5:6], v[5:6], 0
	v_mul_f64 v[57:58], v[39:40], v[57:58]
	s_waitcnt vmcnt(24)
	v_fma_f64 v[53:54], v[45:46], v[63:64], -v[53:54]
	v_fma_f64 v[51:52], v[47:48], v[63:64], v[51:52]
	ds_read_b128 v[45:48], v4 offset:416
	s_waitcnt vmcnt(21)
	v_fma_f64 v[55:56], v[39:40], v[65:66], v[55:56]
	v_add_f64 v[87:88], v[87:88], v[89:90]
	v_add_f64 v[5:6], v[5:6], v[49:50]
	s_waitcnt lgkmcnt(1)
	v_mul_f64 v[49:50], v[41:42], v[59:60]
	v_mul_f64 v[59:60], v[43:44], v[59:60]
	v_fma_f64 v[57:58], v[37:38], v[65:66], -v[57:58]
	s_waitcnt vmcnt(17) lgkmcnt(0)
	v_mul_f64 v[63:64], v[47:48], v[67:68]
	ds_read_b128 v[37:40], v4 offset:432
	v_add_f64 v[53:54], v[87:88], v[53:54]
	v_add_f64 v[5:6], v[5:6], v[51:52]
	v_mul_f64 v[51:52], v[45:46], v[67:68]
	s_waitcnt vmcnt(16)
	v_fma_f64 v[59:60], v[41:42], v[61:62], -v[59:60]
	v_fma_f64 v[49:50], v[43:44], v[61:62], v[49:50]
	ds_read_b128 v[41:44], v4 offset:448
	s_waitcnt vmcnt(13)
	v_fma_f64 v[61:62], v[45:46], v[73:74], -v[63:64]
	v_add_f64 v[53:54], v[53:54], v[57:58]
	v_add_f64 v[5:6], v[5:6], v[55:56]
	s_waitcnt lgkmcnt(1)
	v_mul_f64 v[57:58], v[39:40], v[69:70]
	v_mul_f64 v[55:56], v[37:38], v[69:70]
	v_fma_f64 v[51:52], v[47:48], v[73:74], v[51:52]
	ds_read_b128 v[45:48], v4 offset:464
	v_add_f64 v[53:54], v[53:54], v[59:60]
	v_add_f64 v[5:6], v[5:6], v[49:50]
	s_waitcnt vmcnt(9) lgkmcnt(1)
	v_mul_f64 v[59:60], v[43:44], v[75:76]
	s_waitcnt vmcnt(8)
	v_fma_f64 v[37:38], v[37:38], v[71:72], -v[57:58]
	v_mul_f64 v[49:50], v[41:42], v[75:76]
	v_fma_f64 v[39:40], v[39:40], v[71:72], v[55:56]
	s_waitcnt vmcnt(7) lgkmcnt(0)
	v_mul_f64 v[55:56], v[47:48], v[77:78]
	v_add_f64 v[53:54], v[53:54], v[61:62]
	v_add_f64 v[5:6], v[5:6], v[51:52]
	s_waitcnt vmcnt(5)
	v_fma_f64 v[41:42], v[41:42], v[81:82], -v[59:60]
	v_mul_f64 v[51:52], v[45:46], v[77:78]
	v_fma_f64 v[43:44], v[43:44], v[81:82], v[49:50]
	v_add_f64 v[37:38], v[53:54], v[37:38]
	v_add_f64 v[5:6], v[5:6], v[39:40]
	s_waitcnt vmcnt(4)
	v_fma_f64 v[39:40], v[45:46], v[79:80], -v[55:56]
	v_add_f64 v[37:38], v[37:38], v[41:42]
	v_fma_f64 v[41:42], v[47:48], v[79:80], v[51:52]
	v_add_f64 v[5:6], v[5:6], v[43:44]
	v_add_f64 v[37:38], v[37:38], v[39:40]
	;; [unrolled: 1-line block ×3, first 2 shown]
	s_waitcnt vmcnt(2)
	v_add_f64 v[37:38], v[83:84], -v[37:38]
	s_waitcnt vmcnt(0)
	v_add_f64 v[5:6], v[85:86], -v[5:6]
	buffer_store_dword v38, off, s[0:3], 0 offset:84
	buffer_store_dword v37, off, s[0:3], 0 offset:80
	;; [unrolled: 1-line block ×4, first 2 shown]
	v_cmpx_lt_u32_e32 4, v0
	s_cbranch_execz .LBB78_95
; %bb.94:
	v_mov_b32_e32 v5, s24
	s_clause 0x3
	buffer_load_dword v37, v5, s[0:3], 0 offen
	buffer_load_dword v38, v5, s[0:3], 0 offen offset:4
	buffer_load_dword v39, v5, s[0:3], 0 offen offset:8
	;; [unrolled: 1-line block ×3, first 2 shown]
	buffer_store_dword v4, off, s[0:3], 0 offset:64
	buffer_store_dword v4, off, s[0:3], 0 offset:68
	buffer_store_dword v4, off, s[0:3], 0 offset:72
	buffer_store_dword v4, off, s[0:3], 0 offset:76
	s_waitcnt vmcnt(0)
	ds_write_b128 v3, v[37:40]
.LBB78_95:
	s_or_b32 exec_lo, exec_lo, s6
	s_waitcnt lgkmcnt(0)
	s_waitcnt_vscnt null, 0x0
	s_barrier
	buffer_gl0_inv
	s_clause 0x2b
	buffer_load_dword v5, off, s[0:3], 0 offset:88
	buffer_load_dword v6, off, s[0:3], 0 offset:92
	;; [unrolled: 1-line block ×44, first 2 shown]
	ds_read_b128 v[37:40], v4 offset:320
	ds_read_b128 v[41:44], v4 offset:336
	;; [unrolled: 1-line block ×3, first 2 shown]
	s_mov_b32 s6, exec_lo
	s_waitcnt vmcnt(42) lgkmcnt(2)
	v_mul_f64 v[91:92], v[39:40], v[5:6]
	v_mul_f64 v[5:6], v[37:38], v[5:6]
	s_waitcnt vmcnt(40) lgkmcnt(1)
	v_mul_f64 v[93:94], v[43:44], v[49:50]
	v_mul_f64 v[49:50], v[41:42], v[49:50]
	s_waitcnt vmcnt(38)
	v_fma_f64 v[91:92], v[37:38], v[51:52], -v[91:92]
	v_fma_f64 v[5:6], v[39:40], v[51:52], v[5:6]
	ds_read_b128 v[37:40], v4 offset:368
	s_waitcnt vmcnt(36) lgkmcnt(1)
	v_mul_f64 v[51:52], v[45:46], v[53:54]
	v_mul_f64 v[53:54], v[47:48], v[53:54]
	s_waitcnt vmcnt(34)
	v_fma_f64 v[93:94], v[41:42], v[55:56], -v[93:94]
	v_fma_f64 v[49:50], v[43:44], v[55:56], v[49:50]
	ds_read_b128 v[41:44], v4 offset:384
	s_waitcnt vmcnt(30) lgkmcnt(1)
	v_mul_f64 v[55:56], v[37:38], v[57:58]
	v_add_f64 v[91:92], v[91:92], 0
	v_add_f64 v[5:6], v[5:6], 0
	v_mul_f64 v[57:58], v[39:40], v[57:58]
	s_waitcnt vmcnt(28)
	v_fma_f64 v[53:54], v[45:46], v[63:64], -v[53:54]
	v_fma_f64 v[51:52], v[47:48], v[63:64], v[51:52]
	ds_read_b128 v[45:48], v4 offset:400
	s_waitcnt vmcnt(25)
	v_fma_f64 v[55:56], v[39:40], v[65:66], v[55:56]
	v_add_f64 v[91:92], v[91:92], v[93:94]
	v_add_f64 v[5:6], v[5:6], v[49:50]
	s_waitcnt lgkmcnt(1)
	v_mul_f64 v[49:50], v[41:42], v[59:60]
	v_mul_f64 v[59:60], v[43:44], v[59:60]
	v_fma_f64 v[57:58], v[37:38], v[65:66], -v[57:58]
	s_waitcnt vmcnt(21) lgkmcnt(0)
	v_mul_f64 v[63:64], v[47:48], v[67:68]
	ds_read_b128 v[37:40], v4 offset:416
	v_add_f64 v[53:54], v[91:92], v[53:54]
	v_add_f64 v[5:6], v[5:6], v[51:52]
	v_mul_f64 v[51:52], v[45:46], v[67:68]
	s_waitcnt vmcnt(20)
	v_fma_f64 v[59:60], v[41:42], v[61:62], -v[59:60]
	v_fma_f64 v[49:50], v[43:44], v[61:62], v[49:50]
	ds_read_b128 v[41:44], v4 offset:432
	s_waitcnt vmcnt(17)
	v_fma_f64 v[61:62], v[45:46], v[73:74], -v[63:64]
	v_add_f64 v[53:54], v[53:54], v[57:58]
	v_add_f64 v[5:6], v[5:6], v[55:56]
	s_waitcnt lgkmcnt(1)
	v_mul_f64 v[57:58], v[39:40], v[69:70]
	v_mul_f64 v[55:56], v[37:38], v[69:70]
	v_fma_f64 v[51:52], v[47:48], v[73:74], v[51:52]
	ds_read_b128 v[45:48], v4 offset:448
	v_add_f64 v[53:54], v[53:54], v[59:60]
	v_add_f64 v[5:6], v[5:6], v[49:50]
	s_waitcnt vmcnt(13) lgkmcnt(1)
	v_mul_f64 v[59:60], v[43:44], v[75:76]
	s_waitcnt vmcnt(12)
	v_fma_f64 v[57:58], v[37:38], v[71:72], -v[57:58]
	v_mul_f64 v[49:50], v[41:42], v[75:76]
	v_fma_f64 v[55:56], v[39:40], v[71:72], v[55:56]
	ds_read_b128 v[37:40], v4 offset:464
	v_add_f64 v[53:54], v[53:54], v[61:62]
	v_add_f64 v[5:6], v[5:6], v[51:52]
	s_waitcnt vmcnt(11) lgkmcnt(1)
	v_mul_f64 v[61:62], v[47:48], v[77:78]
	s_waitcnt vmcnt(9)
	v_fma_f64 v[41:42], v[41:42], v[81:82], -v[59:60]
	v_mul_f64 v[51:52], v[45:46], v[77:78]
	v_fma_f64 v[43:44], v[43:44], v[81:82], v[49:50]
	s_waitcnt vmcnt(7) lgkmcnt(0)
	v_mul_f64 v[49:50], v[37:38], v[83:84]
	v_add_f64 v[53:54], v[53:54], v[57:58]
	v_add_f64 v[4:5], v[5:6], v[55:56]
	v_mul_f64 v[55:56], v[39:40], v[83:84]
	s_waitcnt vmcnt(6)
	v_fma_f64 v[45:46], v[45:46], v[79:80], -v[61:62]
	v_fma_f64 v[47:48], v[47:48], v[79:80], v[51:52]
	s_waitcnt vmcnt(4)
	v_fma_f64 v[39:40], v[39:40], v[85:86], v[49:50]
	v_add_f64 v[41:42], v[53:54], v[41:42]
	v_add_f64 v[4:5], v[4:5], v[43:44]
	v_fma_f64 v[37:38], v[37:38], v[85:86], -v[55:56]
	v_add_f64 v[41:42], v[41:42], v[45:46]
	v_add_f64 v[4:5], v[4:5], v[47:48]
	;; [unrolled: 1-line block ×4, first 2 shown]
	s_waitcnt vmcnt(2)
	v_add_f64 v[37:38], v[87:88], -v[37:38]
	s_waitcnt vmcnt(0)
	v_add_f64 v[4:5], v[89:90], -v[4:5]
	buffer_store_dword v38, off, s[0:3], 0 offset:68
	buffer_store_dword v37, off, s[0:3], 0 offset:64
	;; [unrolled: 1-line block ×4, first 2 shown]
	v_cmpx_lt_u32_e32 3, v0
	s_cbranch_execz .LBB78_97
; %bb.96:
	v_mov_b32_e32 v4, s25
	s_clause 0x3
	buffer_load_dword v37, v4, s[0:3], 0 offen
	buffer_load_dword v38, v4, s[0:3], 0 offen offset:4
	buffer_load_dword v39, v4, s[0:3], 0 offen offset:8
	;; [unrolled: 1-line block ×3, first 2 shown]
	v_mov_b32_e32 v4, 0
	buffer_store_dword v4, off, s[0:3], 0 offset:48
	buffer_store_dword v4, off, s[0:3], 0 offset:52
	;; [unrolled: 1-line block ×4, first 2 shown]
	s_waitcnt vmcnt(0)
	ds_write_b128 v3, v[37:40]
.LBB78_97:
	s_or_b32 exec_lo, exec_lo, s6
	s_waitcnt lgkmcnt(0)
	s_waitcnt_vscnt null, 0x0
	s_barrier
	buffer_gl0_inv
	s_clause 0x2f
	buffer_load_dword v5, off, s[0:3], 0 offset:72
	buffer_load_dword v6, off, s[0:3], 0 offset:76
	;; [unrolled: 1-line block ×48, first 2 shown]
	v_mov_b32_e32 v4, 0
	ds_read_b128 v[37:40], v4 offset:304
	ds_read_b128 v[41:44], v4 offset:320
	;; [unrolled: 1-line block ×3, first 2 shown]
	s_mov_b32 s6, exec_lo
	s_waitcnt vmcnt(46) lgkmcnt(2)
	v_mul_f64 v[95:96], v[39:40], v[5:6]
	v_mul_f64 v[5:6], v[37:38], v[5:6]
	s_waitcnt vmcnt(44) lgkmcnt(1)
	v_mul_f64 v[97:98], v[43:44], v[49:50]
	v_mul_f64 v[49:50], v[41:42], v[49:50]
	s_waitcnt vmcnt(42)
	v_fma_f64 v[95:96], v[37:38], v[51:52], -v[95:96]
	v_fma_f64 v[5:6], v[39:40], v[51:52], v[5:6]
	ds_read_b128 v[37:40], v4 offset:352
	s_waitcnt vmcnt(40) lgkmcnt(1)
	v_mul_f64 v[51:52], v[45:46], v[53:54]
	v_mul_f64 v[53:54], v[47:48], v[53:54]
	s_waitcnt vmcnt(38)
	v_fma_f64 v[97:98], v[41:42], v[55:56], -v[97:98]
	v_fma_f64 v[49:50], v[43:44], v[55:56], v[49:50]
	ds_read_b128 v[41:44], v4 offset:368
	s_waitcnt vmcnt(34) lgkmcnt(1)
	v_mul_f64 v[55:56], v[37:38], v[57:58]
	v_add_f64 v[95:96], v[95:96], 0
	v_add_f64 v[5:6], v[5:6], 0
	v_mul_f64 v[57:58], v[39:40], v[57:58]
	s_waitcnt vmcnt(32)
	v_fma_f64 v[53:54], v[45:46], v[63:64], -v[53:54]
	v_fma_f64 v[51:52], v[47:48], v[63:64], v[51:52]
	ds_read_b128 v[45:48], v4 offset:384
	s_waitcnt vmcnt(29)
	v_fma_f64 v[55:56], v[39:40], v[65:66], v[55:56]
	v_add_f64 v[95:96], v[95:96], v[97:98]
	v_add_f64 v[5:6], v[5:6], v[49:50]
	s_waitcnt lgkmcnt(1)
	v_mul_f64 v[49:50], v[41:42], v[59:60]
	v_mul_f64 v[59:60], v[43:44], v[59:60]
	v_fma_f64 v[57:58], v[37:38], v[65:66], -v[57:58]
	s_waitcnt vmcnt(25) lgkmcnt(0)
	v_mul_f64 v[63:64], v[47:48], v[67:68]
	ds_read_b128 v[37:40], v4 offset:400
	v_add_f64 v[53:54], v[95:96], v[53:54]
	v_add_f64 v[5:6], v[5:6], v[51:52]
	v_mul_f64 v[51:52], v[45:46], v[67:68]
	s_waitcnt vmcnt(24)
	v_fma_f64 v[59:60], v[41:42], v[61:62], -v[59:60]
	v_fma_f64 v[49:50], v[43:44], v[61:62], v[49:50]
	ds_read_b128 v[41:44], v4 offset:416
	s_waitcnt vmcnt(21)
	v_fma_f64 v[61:62], v[45:46], v[73:74], -v[63:64]
	v_add_f64 v[53:54], v[53:54], v[57:58]
	v_add_f64 v[5:6], v[5:6], v[55:56]
	s_waitcnt lgkmcnt(1)
	v_mul_f64 v[57:58], v[39:40], v[69:70]
	v_mul_f64 v[55:56], v[37:38], v[69:70]
	v_fma_f64 v[51:52], v[47:48], v[73:74], v[51:52]
	ds_read_b128 v[45:48], v4 offset:432
	v_add_f64 v[53:54], v[53:54], v[59:60]
	v_add_f64 v[5:6], v[5:6], v[49:50]
	s_waitcnt vmcnt(17) lgkmcnt(1)
	v_mul_f64 v[59:60], v[43:44], v[75:76]
	s_waitcnt vmcnt(16)
	v_fma_f64 v[57:58], v[37:38], v[71:72], -v[57:58]
	v_mul_f64 v[49:50], v[41:42], v[75:76]
	v_fma_f64 v[55:56], v[39:40], v[71:72], v[55:56]
	ds_read_b128 v[37:40], v4 offset:448
	v_add_f64 v[53:54], v[53:54], v[61:62]
	v_add_f64 v[5:6], v[5:6], v[51:52]
	s_waitcnt vmcnt(15) lgkmcnt(1)
	v_mul_f64 v[61:62], v[47:48], v[77:78]
	s_waitcnt vmcnt(13)
	v_fma_f64 v[59:60], v[41:42], v[81:82], -v[59:60]
	v_mul_f64 v[51:52], v[45:46], v[77:78]
	v_fma_f64 v[49:50], v[43:44], v[81:82], v[49:50]
	ds_read_b128 v[41:44], v4 offset:464
	v_add_f64 v[53:54], v[53:54], v[57:58]
	v_add_f64 v[5:6], v[5:6], v[55:56]
	s_waitcnt vmcnt(9) lgkmcnt(1)
	v_mul_f64 v[57:58], v[39:40], v[83:84]
	s_waitcnt vmcnt(8)
	v_fma_f64 v[45:46], v[45:46], v[79:80], -v[61:62]
	v_mul_f64 v[55:56], v[37:38], v[83:84]
	v_fma_f64 v[47:48], v[47:48], v[79:80], v[51:52]
	s_waitcnt vmcnt(7) lgkmcnt(0)
	v_mul_f64 v[51:52], v[43:44], v[85:86]
	v_add_f64 v[53:54], v[53:54], v[59:60]
	v_add_f64 v[5:6], v[5:6], v[49:50]
	s_waitcnt vmcnt(5)
	v_fma_f64 v[37:38], v[37:38], v[89:90], -v[57:58]
	v_mul_f64 v[49:50], v[41:42], v[85:86]
	v_fma_f64 v[39:40], v[39:40], v[89:90], v[55:56]
	s_waitcnt vmcnt(4)
	v_fma_f64 v[41:42], v[41:42], v[87:88], -v[51:52]
	v_add_f64 v[45:46], v[53:54], v[45:46]
	v_add_f64 v[5:6], v[5:6], v[47:48]
	v_fma_f64 v[43:44], v[43:44], v[87:88], v[49:50]
	v_add_f64 v[37:38], v[45:46], v[37:38]
	v_add_f64 v[5:6], v[5:6], v[39:40]
	;; [unrolled: 1-line block ×4, first 2 shown]
	s_waitcnt vmcnt(2)
	v_add_f64 v[37:38], v[91:92], -v[37:38]
	s_waitcnt vmcnt(0)
	v_add_f64 v[5:6], v[93:94], -v[5:6]
	buffer_store_dword v38, off, s[0:3], 0 offset:52
	buffer_store_dword v37, off, s[0:3], 0 offset:48
	;; [unrolled: 1-line block ×4, first 2 shown]
	v_cmpx_lt_u32_e32 2, v0
	s_cbranch_execz .LBB78_99
; %bb.98:
	v_mov_b32_e32 v5, s26
	s_clause 0x3
	buffer_load_dword v37, v5, s[0:3], 0 offen
	buffer_load_dword v38, v5, s[0:3], 0 offen offset:4
	buffer_load_dword v39, v5, s[0:3], 0 offen offset:8
	;; [unrolled: 1-line block ×3, first 2 shown]
	buffer_store_dword v4, off, s[0:3], 0 offset:32
	buffer_store_dword v4, off, s[0:3], 0 offset:36
	;; [unrolled: 1-line block ×4, first 2 shown]
	s_waitcnt vmcnt(0)
	ds_write_b128 v3, v[37:40]
.LBB78_99:
	s_or_b32 exec_lo, exec_lo, s6
	s_waitcnt lgkmcnt(0)
	s_waitcnt_vscnt null, 0x0
	s_barrier
	buffer_gl0_inv
	s_clause 0x2f
	buffer_load_dword v5, off, s[0:3], 0 offset:56
	buffer_load_dword v6, off, s[0:3], 0 offset:60
	;; [unrolled: 1-line block ×48, first 2 shown]
	ds_read_b128 v[37:40], v4 offset:288
	s_clause 0x3
	buffer_load_dword v95, off, s[0:3], 0 offset:32
	buffer_load_dword v96, off, s[0:3], 0 offset:36
	;; [unrolled: 1-line block ×4, first 2 shown]
	ds_read_b128 v[41:44], v4 offset:304
	ds_read_b128 v[45:48], v4 offset:320
	s_mov_b32 s6, exec_lo
	s_waitcnt vmcnt(50) lgkmcnt(2)
	v_mul_f64 v[99:100], v[39:40], v[5:6]
	v_mul_f64 v[5:6], v[37:38], v[5:6]
	s_waitcnt vmcnt(48) lgkmcnt(1)
	v_mul_f64 v[101:102], v[43:44], v[49:50]
	v_mul_f64 v[49:50], v[41:42], v[49:50]
	s_waitcnt vmcnt(46)
	v_fma_f64 v[99:100], v[37:38], v[51:52], -v[99:100]
	v_fma_f64 v[5:6], v[39:40], v[51:52], v[5:6]
	s_waitcnt vmcnt(44) lgkmcnt(0)
	v_mul_f64 v[51:52], v[45:46], v[53:54]
	v_mul_f64 v[53:54], v[47:48], v[53:54]
	s_waitcnt vmcnt(42)
	v_fma_f64 v[101:102], v[41:42], v[55:56], -v[101:102]
	ds_read_b128 v[37:40], v4 offset:336
	v_fma_f64 v[49:50], v[43:44], v[55:56], v[49:50]
	ds_read_b128 v[41:44], v4 offset:352
	v_add_f64 v[99:100], v[99:100], 0
	v_add_f64 v[5:6], v[5:6], 0
	s_waitcnt vmcnt(36)
	v_fma_f64 v[51:52], v[47:48], v[63:64], v[51:52]
	s_waitcnt lgkmcnt(1)
	v_mul_f64 v[55:56], v[37:38], v[57:58]
	v_mul_f64 v[57:58], v[39:40], v[57:58]
	v_fma_f64 v[53:54], v[45:46], v[63:64], -v[53:54]
	ds_read_b128 v[45:48], v4 offset:368
	v_add_f64 v[99:100], v[99:100], v[101:102]
	v_add_f64 v[5:6], v[5:6], v[49:50]
	s_waitcnt vmcnt(35) lgkmcnt(1)
	v_mul_f64 v[49:50], v[41:42], v[59:60]
	v_mul_f64 v[59:60], v[43:44], v[59:60]
	s_waitcnt vmcnt(33)
	v_fma_f64 v[57:58], v[37:38], v[65:66], -v[57:58]
	v_fma_f64 v[55:56], v[39:40], v[65:66], v[55:56]
	ds_read_b128 v[37:40], v4 offset:384
	s_waitcnt vmcnt(29) lgkmcnt(1)
	v_mul_f64 v[63:64], v[47:48], v[67:68]
	v_add_f64 v[53:54], v[99:100], v[53:54]
	v_add_f64 v[5:6], v[5:6], v[51:52]
	v_mul_f64 v[51:52], v[45:46], v[67:68]
	s_waitcnt vmcnt(28)
	v_fma_f64 v[59:60], v[41:42], v[61:62], -v[59:60]
	v_fma_f64 v[49:50], v[43:44], v[61:62], v[49:50]
	ds_read_b128 v[41:44], v4 offset:400
	s_waitcnt vmcnt(25)
	v_fma_f64 v[61:62], v[45:46], v[73:74], -v[63:64]
	v_add_f64 v[53:54], v[53:54], v[57:58]
	v_add_f64 v[5:6], v[5:6], v[55:56]
	s_waitcnt lgkmcnt(1)
	v_mul_f64 v[57:58], v[39:40], v[69:70]
	v_mul_f64 v[55:56], v[37:38], v[69:70]
	v_fma_f64 v[51:52], v[47:48], v[73:74], v[51:52]
	ds_read_b128 v[45:48], v4 offset:416
	v_add_f64 v[53:54], v[53:54], v[59:60]
	v_add_f64 v[5:6], v[5:6], v[49:50]
	s_waitcnt vmcnt(21) lgkmcnt(1)
	v_mul_f64 v[59:60], v[43:44], v[75:76]
	s_waitcnt vmcnt(20)
	v_fma_f64 v[57:58], v[37:38], v[71:72], -v[57:58]
	v_mul_f64 v[49:50], v[41:42], v[75:76]
	v_fma_f64 v[55:56], v[39:40], v[71:72], v[55:56]
	ds_read_b128 v[37:40], v4 offset:432
	v_add_f64 v[53:54], v[53:54], v[61:62]
	v_add_f64 v[5:6], v[5:6], v[51:52]
	s_waitcnt vmcnt(19) lgkmcnt(1)
	v_mul_f64 v[61:62], v[47:48], v[77:78]
	s_waitcnt vmcnt(17)
	v_fma_f64 v[59:60], v[41:42], v[81:82], -v[59:60]
	;; [unrolled: 9-line block ×4, first 2 shown]
	v_mul_f64 v[49:50], v[41:42], v[85:86]
	v_fma_f64 v[39:40], v[39:40], v[89:90], v[55:56]
	s_waitcnt vmcnt(7) lgkmcnt(0)
	v_mul_f64 v[55:56], v[47:48], v[91:92]
	v_add_f64 v[53:54], v[53:54], v[61:62]
	v_add_f64 v[4:5], v[5:6], v[51:52]
	s_waitcnt vmcnt(6)
	v_fma_f64 v[41:42], v[41:42], v[87:88], -v[59:60]
	v_mul_f64 v[51:52], v[45:46], v[91:92]
	v_fma_f64 v[43:44], v[43:44], v[87:88], v[49:50]
	v_add_f64 v[37:38], v[53:54], v[37:38]
	v_add_f64 v[4:5], v[4:5], v[39:40]
	s_waitcnt vmcnt(4)
	v_fma_f64 v[39:40], v[45:46], v[93:94], -v[55:56]
	v_add_f64 v[37:38], v[37:38], v[41:42]
	v_fma_f64 v[41:42], v[47:48], v[93:94], v[51:52]
	v_add_f64 v[4:5], v[4:5], v[43:44]
	v_add_f64 v[37:38], v[37:38], v[39:40]
	;; [unrolled: 1-line block ×3, first 2 shown]
	s_waitcnt vmcnt(2)
	v_add_f64 v[37:38], v[95:96], -v[37:38]
	s_waitcnt vmcnt(0)
	v_add_f64 v[4:5], v[97:98], -v[4:5]
	buffer_store_dword v38, off, s[0:3], 0 offset:36
	buffer_store_dword v37, off, s[0:3], 0 offset:32
	;; [unrolled: 1-line block ×4, first 2 shown]
	v_cmpx_lt_u32_e32 1, v0
	s_cbranch_execz .LBB78_101
; %bb.100:
	v_mov_b32_e32 v4, s27
	s_clause 0x3
	buffer_load_dword v37, v4, s[0:3], 0 offen
	buffer_load_dword v38, v4, s[0:3], 0 offen offset:4
	buffer_load_dword v39, v4, s[0:3], 0 offen offset:8
	;; [unrolled: 1-line block ×3, first 2 shown]
	v_mov_b32_e32 v4, 0
	buffer_store_dword v4, off, s[0:3], 0 offset:16
	buffer_store_dword v4, off, s[0:3], 0 offset:20
	;; [unrolled: 1-line block ×4, first 2 shown]
	s_waitcnt vmcnt(0)
	ds_write_b128 v3, v[37:40]
.LBB78_101:
	s_or_b32 exec_lo, exec_lo, s6
	s_waitcnt lgkmcnt(0)
	s_waitcnt_vscnt null, 0x0
	s_barrier
	buffer_gl0_inv
	s_clause 0x33
	buffer_load_dword v5, off, s[0:3], 0 offset:40
	buffer_load_dword v6, off, s[0:3], 0 offset:44
	buffer_load_dword v49, off, s[0:3], 0 offset:56
	buffer_load_dword v50, off, s[0:3], 0 offset:60
	buffer_load_dword v51, off, s[0:3], 0 offset:32
	buffer_load_dword v52, off, s[0:3], 0 offset:36
	buffer_load_dword v53, off, s[0:3], 0 offset:72
	buffer_load_dword v54, off, s[0:3], 0 offset:76
	buffer_load_dword v55, off, s[0:3], 0 offset:48
	buffer_load_dword v56, off, s[0:3], 0 offset:52
	buffer_load_dword v58, off, s[0:3], 0 offset:92
	buffer_load_dword v59, off, s[0:3], 0 offset:104
	buffer_load_dword v61, off, s[0:3], 0 offset:96
	buffer_load_dword v57, off, s[0:3], 0 offset:88
	buffer_load_dword v63, off, s[0:3], 0 offset:64
	buffer_load_dword v64, off, s[0:3], 0 offset:68
	buffer_load_dword v60, off, s[0:3], 0 offset:108
	buffer_load_dword v66, off, s[0:3], 0 offset:84
	buffer_load_dword v65, off, s[0:3], 0 offset:80
	buffer_load_dword v68, off, s[0:3], 0 offset:124
	buffer_load_dword v69, off, s[0:3], 0 offset:136
	buffer_load_dword v71, off, s[0:3], 0 offset:128
	buffer_load_dword v67, off, s[0:3], 0 offset:120
	buffer_load_dword v62, off, s[0:3], 0 offset:100
	buffer_load_dword v70, off, s[0:3], 0 offset:140
	buffer_load_dword v74, off, s[0:3], 0 offset:116
	buffer_load_dword v73, off, s[0:3], 0 offset:112
	buffer_load_dword v76, off, s[0:3], 0 offset:156
	buffer_load_dword v77, off, s[0:3], 0 offset:168
	buffer_load_dword v79, off, s[0:3], 0 offset:160
	buffer_load_dword v75, off, s[0:3], 0 offset:152
	buffer_load_dword v72, off, s[0:3], 0 offset:132
	buffer_load_dword v78, off, s[0:3], 0 offset:172
	buffer_load_dword v82, off, s[0:3], 0 offset:148
	buffer_load_dword v81, off, s[0:3], 0 offset:144
	buffer_load_dword v84, off, s[0:3], 0 offset:188
	buffer_load_dword v85, off, s[0:3], 0 offset:200
	buffer_load_dword v87, off, s[0:3], 0 offset:192
	buffer_load_dword v83, off, s[0:3], 0 offset:184
	buffer_load_dword v80, off, s[0:3], 0 offset:164
	buffer_load_dword v86, off, s[0:3], 0 offset:204
	buffer_load_dword v90, off, s[0:3], 0 offset:180
	buffer_load_dword v89, off, s[0:3], 0 offset:176
	buffer_load_dword v92, off, s[0:3], 0 offset:220
	buffer_load_dword v93, off, s[0:3], 0 offset:232
	buffer_load_dword v95, off, s[0:3], 0 offset:224
	buffer_load_dword v91, off, s[0:3], 0 offset:216
	buffer_load_dword v88, off, s[0:3], 0 offset:196
	buffer_load_dword v94, off, s[0:3], 0 offset:236
	buffer_load_dword v98, off, s[0:3], 0 offset:212
	buffer_load_dword v97, off, s[0:3], 0 offset:208
	buffer_load_dword v96, off, s[0:3], 0 offset:228
	v_mov_b32_e32 v4, 0
	ds_read_b128 v[37:40], v4 offset:272
	ds_read_b128 v[41:44], v4 offset:288
	s_clause 0x3
	buffer_load_dword v101, off, s[0:3], 0 offset:16
	buffer_load_dword v102, off, s[0:3], 0 offset:20
	;; [unrolled: 1-line block ×4, first 2 shown]
	ds_read_b128 v[45:48], v4 offset:304
	s_mov_b32 s6, exec_lo
	s_waitcnt vmcnt(54) lgkmcnt(2)
	v_mul_f64 v[99:100], v[39:40], v[5:6]
	v_mul_f64 v[5:6], v[37:38], v[5:6]
	s_waitcnt vmcnt(52) lgkmcnt(1)
	v_mul_f64 v[105:106], v[43:44], v[49:50]
	v_mul_f64 v[49:50], v[41:42], v[49:50]
	s_waitcnt vmcnt(50)
	v_fma_f64 v[99:100], v[37:38], v[51:52], -v[99:100]
	v_fma_f64 v[5:6], v[39:40], v[51:52], v[5:6]
	ds_read_b128 v[37:40], v4 offset:320
	s_waitcnt vmcnt(48) lgkmcnt(1)
	v_mul_f64 v[51:52], v[45:46], v[53:54]
	v_mul_f64 v[53:54], v[47:48], v[53:54]
	s_waitcnt vmcnt(46)
	v_fma_f64 v[105:106], v[41:42], v[55:56], -v[105:106]
	v_fma_f64 v[49:50], v[43:44], v[55:56], v[49:50]
	ds_read_b128 v[41:44], v4 offset:336
	s_waitcnt vmcnt(42) lgkmcnt(1)
	v_mul_f64 v[55:56], v[37:38], v[57:58]
	v_add_f64 v[99:100], v[99:100], 0
	v_add_f64 v[5:6], v[5:6], 0
	v_mul_f64 v[57:58], v[39:40], v[57:58]
	s_waitcnt vmcnt(40)
	v_fma_f64 v[53:54], v[45:46], v[63:64], -v[53:54]
	v_fma_f64 v[51:52], v[47:48], v[63:64], v[51:52]
	ds_read_b128 v[45:48], v4 offset:352
	s_waitcnt vmcnt(37)
	v_fma_f64 v[55:56], v[39:40], v[65:66], v[55:56]
	v_add_f64 v[99:100], v[99:100], v[105:106]
	v_add_f64 v[5:6], v[5:6], v[49:50]
	s_waitcnt lgkmcnt(1)
	v_mul_f64 v[49:50], v[41:42], v[59:60]
	v_mul_f64 v[59:60], v[43:44], v[59:60]
	v_fma_f64 v[57:58], v[37:38], v[65:66], -v[57:58]
	s_waitcnt vmcnt(33) lgkmcnt(0)
	v_mul_f64 v[63:64], v[47:48], v[67:68]
	ds_read_b128 v[37:40], v4 offset:368
	v_add_f64 v[53:54], v[99:100], v[53:54]
	v_add_f64 v[5:6], v[5:6], v[51:52]
	v_mul_f64 v[51:52], v[45:46], v[67:68]
	s_waitcnt vmcnt(32)
	v_fma_f64 v[59:60], v[41:42], v[61:62], -v[59:60]
	v_fma_f64 v[49:50], v[43:44], v[61:62], v[49:50]
	ds_read_b128 v[41:44], v4 offset:384
	s_waitcnt vmcnt(29)
	v_fma_f64 v[61:62], v[45:46], v[73:74], -v[63:64]
	v_add_f64 v[53:54], v[53:54], v[57:58]
	v_add_f64 v[5:6], v[5:6], v[55:56]
	s_waitcnt lgkmcnt(1)
	v_mul_f64 v[57:58], v[39:40], v[69:70]
	v_mul_f64 v[55:56], v[37:38], v[69:70]
	v_fma_f64 v[51:52], v[47:48], v[73:74], v[51:52]
	ds_read_b128 v[45:48], v4 offset:400
	v_add_f64 v[53:54], v[53:54], v[59:60]
	v_add_f64 v[5:6], v[5:6], v[49:50]
	s_waitcnt vmcnt(25) lgkmcnt(1)
	v_mul_f64 v[59:60], v[43:44], v[75:76]
	s_waitcnt vmcnt(24)
	v_fma_f64 v[57:58], v[37:38], v[71:72], -v[57:58]
	v_mul_f64 v[49:50], v[41:42], v[75:76]
	v_fma_f64 v[55:56], v[39:40], v[71:72], v[55:56]
	ds_read_b128 v[37:40], v4 offset:416
	v_add_f64 v[53:54], v[53:54], v[61:62]
	v_add_f64 v[5:6], v[5:6], v[51:52]
	s_waitcnt vmcnt(23) lgkmcnt(1)
	v_mul_f64 v[61:62], v[47:48], v[77:78]
	s_waitcnt vmcnt(21)
	v_fma_f64 v[59:60], v[41:42], v[81:82], -v[59:60]
	;; [unrolled: 9-line block ×5, first 2 shown]
	v_mul_f64 v[51:52], v[45:46], v[91:92]
	v_fma_f64 v[43:44], v[43:44], v[87:88], v[49:50]
	s_waitcnt vmcnt(7) lgkmcnt(0)
	v_mul_f64 v[49:50], v[37:38], v[93:94]
	v_add_f64 v[53:54], v[53:54], v[57:58]
	v_add_f64 v[5:6], v[5:6], v[55:56]
	v_mul_f64 v[55:56], v[39:40], v[93:94]
	s_waitcnt vmcnt(5)
	v_fma_f64 v[45:46], v[45:46], v[97:98], -v[61:62]
	v_fma_f64 v[47:48], v[47:48], v[97:98], v[51:52]
	s_waitcnt vmcnt(4)
	v_fma_f64 v[39:40], v[39:40], v[95:96], v[49:50]
	v_add_f64 v[41:42], v[53:54], v[41:42]
	v_add_f64 v[5:6], v[5:6], v[43:44]
	v_fma_f64 v[37:38], v[37:38], v[95:96], -v[55:56]
	v_add_f64 v[41:42], v[41:42], v[45:46]
	v_add_f64 v[5:6], v[5:6], v[47:48]
	;; [unrolled: 1-line block ×4, first 2 shown]
	s_waitcnt vmcnt(2)
	v_add_f64 v[37:38], v[101:102], -v[37:38]
	s_waitcnt vmcnt(0)
	v_add_f64 v[5:6], v[103:104], -v[5:6]
	buffer_store_dword v38, off, s[0:3], 0 offset:20
	buffer_store_dword v37, off, s[0:3], 0 offset:16
	buffer_store_dword v6, off, s[0:3], 0 offset:28
	buffer_store_dword v5, off, s[0:3], 0 offset:24
	v_cmpx_ne_u32_e32 0, v0
	s_cbranch_execz .LBB78_103
; %bb.102:
	s_clause 0x3
	buffer_load_dword v37, off, s[0:3], 0
	buffer_load_dword v38, off, s[0:3], 0 offset:4
	buffer_load_dword v39, off, s[0:3], 0 offset:8
	;; [unrolled: 1-line block ×3, first 2 shown]
	buffer_store_dword v4, off, s[0:3], 0
	buffer_store_dword v4, off, s[0:3], 0 offset:4
	buffer_store_dword v4, off, s[0:3], 0 offset:8
	;; [unrolled: 1-line block ×3, first 2 shown]
	s_waitcnt vmcnt(0)
	ds_write_b128 v3, v[37:40]
.LBB78_103:
	s_or_b32 exec_lo, exec_lo, s6
	s_waitcnt lgkmcnt(0)
	s_waitcnt_vscnt null, 0x0
	s_barrier
	buffer_gl0_inv
	s_clause 0x35
	buffer_load_dword v5, off, s[0:3], 0 offset:24
	buffer_load_dword v6, off, s[0:3], 0 offset:28
	;; [unrolled: 1-line block ×54, first 2 shown]
	ds_read_b128 v[37:40], v4 offset:256
	s_clause 0x1
	buffer_load_dword v102, off, s[0:3], 0 offset:228
	buffer_load_dword v101, off, s[0:3], 0 offset:224
	ds_read_b128 v[41:44], v4 offset:272
	ds_read_b128 v[45:48], v4 offset:288
	s_and_b32 vcc_lo, exec_lo, s28
	s_waitcnt vmcnt(54) lgkmcnt(2)
	v_mul_f64 v[103:104], v[39:40], v[5:6]
	v_mul_f64 v[5:6], v[37:38], v[5:6]
	s_waitcnt vmcnt(52) lgkmcnt(1)
	v_mul_f64 v[105:106], v[43:44], v[49:50]
	v_mul_f64 v[49:50], v[41:42], v[49:50]
	;; [unrolled: 3-line block ×3, first 2 shown]
	v_fma_f64 v[103:104], v[37:38], v[51:52], -v[103:104]
	v_fma_f64 v[5:6], v[39:40], v[51:52], v[5:6]
	s_clause 0x3
	buffer_load_dword v51, off, s[0:3], 0
	buffer_load_dword v52, off, s[0:3], 0 offset:4
	buffer_load_dword v107, off, s[0:3], 0 offset:8
	;; [unrolled: 1-line block ×3, first 2 shown]
	s_waitcnt vmcnt(50)
	v_fma_f64 v[105:106], v[41:42], v[55:56], -v[105:106]
	ds_read_b128 v[37:40], v4 offset:304
	v_fma_f64 v[49:50], v[43:44], v[55:56], v[49:50]
	ds_read_b128 v[41:44], v4 offset:320
	s_waitcnt vmcnt(44)
	v_fma_f64 v[53:54], v[45:46], v[63:64], -v[53:54]
	v_fma_f64 v[63:64], v[47:48], v[63:64], v[109:110]
	ds_read_b128 v[45:48], v4 offset:336
	v_add_f64 v[103:104], v[103:104], 0
	v_add_f64 v[5:6], v[5:6], 0
	s_waitcnt lgkmcnt(2)
	v_mul_f64 v[55:56], v[37:38], v[57:58]
	v_mul_f64 v[57:58], v[39:40], v[57:58]
	v_add_f64 v[103:104], v[103:104], v[105:106]
	v_add_f64 v[5:6], v[5:6], v[49:50]
	s_waitcnt vmcnt(43) lgkmcnt(1)
	v_mul_f64 v[49:50], v[41:42], v[59:60]
	v_mul_f64 v[59:60], v[43:44], v[59:60]
	s_waitcnt vmcnt(41)
	v_fma_f64 v[57:58], v[37:38], v[65:66], -v[57:58]
	v_fma_f64 v[55:56], v[39:40], v[65:66], v[55:56]
	ds_read_b128 v[37:40], v4 offset:352
	s_waitcnt vmcnt(37) lgkmcnt(1)
	v_mul_f64 v[65:66], v[47:48], v[67:68]
	v_add_f64 v[53:54], v[103:104], v[53:54]
	v_add_f64 v[5:6], v[5:6], v[63:64]
	v_mul_f64 v[63:64], v[45:46], v[67:68]
	s_waitcnt vmcnt(36)
	v_fma_f64 v[59:60], v[41:42], v[61:62], -v[59:60]
	v_fma_f64 v[49:50], v[43:44], v[61:62], v[49:50]
	ds_read_b128 v[41:44], v4 offset:368
	s_waitcnt vmcnt(33)
	v_fma_f64 v[61:62], v[45:46], v[73:74], -v[65:66]
	v_add_f64 v[53:54], v[53:54], v[57:58]
	v_add_f64 v[5:6], v[5:6], v[55:56]
	s_waitcnt lgkmcnt(1)
	v_mul_f64 v[57:58], v[39:40], v[69:70]
	v_mul_f64 v[55:56], v[37:38], v[69:70]
	v_add_f64 v[53:54], v[53:54], v[59:60]
	v_fma_f64 v[59:60], v[47:48], v[73:74], v[63:64]
	v_add_f64 v[5:6], v[5:6], v[49:50]
	ds_read_b128 v[45:48], v4 offset:384
	s_waitcnt vmcnt(29) lgkmcnt(1)
	v_mul_f64 v[63:64], v[43:44], v[75:76]
	s_waitcnt vmcnt(28)
	v_fma_f64 v[57:58], v[37:38], v[71:72], -v[57:58]
	v_mul_f64 v[49:50], v[41:42], v[75:76]
	v_fma_f64 v[55:56], v[39:40], v[71:72], v[55:56]
	ds_read_b128 v[37:40], v4 offset:400
	v_add_f64 v[53:54], v[53:54], v[61:62]
	s_waitcnt vmcnt(27) lgkmcnt(1)
	v_mul_f64 v[61:62], v[47:48], v[77:78]
	v_add_f64 v[5:6], v[5:6], v[59:60]
	v_mul_f64 v[59:60], v[45:46], v[77:78]
	s_waitcnt vmcnt(25)
	v_fma_f64 v[63:64], v[41:42], v[81:82], -v[63:64]
	v_fma_f64 v[49:50], v[43:44], v[81:82], v[49:50]
	ds_read_b128 v[41:44], v4 offset:416
	v_add_f64 v[53:54], v[53:54], v[57:58]
	s_waitcnt vmcnt(21) lgkmcnt(1)
	v_mul_f64 v[57:58], v[39:40], v[83:84]
	v_add_f64 v[5:6], v[5:6], v[55:56]
	s_waitcnt vmcnt(20)
	v_fma_f64 v[61:62], v[45:46], v[79:80], -v[61:62]
	v_mul_f64 v[55:56], v[37:38], v[83:84]
	v_fma_f64 v[59:60], v[47:48], v[79:80], v[59:60]
	ds_read_b128 v[45:48], v4 offset:432
	v_add_f64 v[53:54], v[53:54], v[63:64]
	s_waitcnt vmcnt(19) lgkmcnt(1)
	v_mul_f64 v[63:64], v[43:44], v[85:86]
	v_add_f64 v[5:6], v[5:6], v[49:50]
	s_waitcnt vmcnt(17)
	v_fma_f64 v[57:58], v[37:38], v[89:90], -v[57:58]
	v_mul_f64 v[49:50], v[41:42], v[85:86]
	;; [unrolled: 9-line block ×3, first 2 shown]
	v_fma_f64 v[43:44], v[43:44], v[87:88], v[49:50]
	v_add_f64 v[53:54], v[53:54], v[57:58]
	s_waitcnt vmcnt(11) lgkmcnt(0)
	v_mul_f64 v[57:58], v[39:40], v[93:94]
	v_add_f64 v[49:50], v[5:6], v[55:56]
	s_waitcnt vmcnt(9)
	v_fma_f64 v[45:46], v[45:46], v[97:98], -v[61:62]
	ds_read_b128 v[3:6], v4 offset:464
	v_mul_f64 v[55:56], v[37:38], v[93:94]
	v_fma_f64 v[47:48], v[47:48], v[97:98], v[59:60]
	v_add_f64 v[41:42], v[53:54], v[41:42]
	s_waitcnt vmcnt(6)
	v_fma_f64 v[37:38], v[37:38], v[95:96], -v[57:58]
	v_add_f64 v[43:44], v[49:50], v[43:44]
	s_waitcnt lgkmcnt(0)
	v_mul_f64 v[53:54], v[5:6], v[99:100]
	v_mul_f64 v[49:50], v[3:4], v[99:100]
	v_fma_f64 v[39:40], v[39:40], v[95:96], v[55:56]
	v_add_f64 v[41:42], v[41:42], v[45:46]
	v_add_f64 v[43:44], v[43:44], v[47:48]
	s_waitcnt vmcnt(4)
	v_fma_f64 v[3:4], v[3:4], v[101:102], -v[53:54]
	v_fma_f64 v[5:6], v[5:6], v[101:102], v[49:50]
	v_add_f64 v[37:38], v[41:42], v[37:38]
	v_add_f64 v[39:40], v[43:44], v[39:40]
	;; [unrolled: 1-line block ×4, first 2 shown]
	s_waitcnt vmcnt(2)
	v_add_f64 v[3:4], v[51:52], -v[3:4]
	s_waitcnt vmcnt(0)
	v_add_f64 v[5:6], v[107:108], -v[5:6]
	buffer_store_dword v4, off, s[0:3], 0 offset:4
	buffer_store_dword v3, off, s[0:3], 0
	buffer_store_dword v6, off, s[0:3], 0 offset:12
	buffer_store_dword v5, off, s[0:3], 0 offset:8
	s_cbranch_vccz .LBB78_132
; %bb.104:
	v_mov_b32_e32 v3, 0
	s_load_dwordx2 s[4:5], s[4:5], 0x4
	global_load_dword v4, v3, s[10:11] offset:52
	s_waitcnt lgkmcnt(0)
	s_lshr_b32 s4, s4, 16
	v_mul_u32_u24_e32 v5, s5, v1
	s_mul_i32 s4, s4, s5
	v_mul_u32_u24_e32 v0, s4, v0
	v_add3_u32 v0, v0, v5, v2
	v_lshl_add_u32 v0, v0, 4, 0x1e8
	s_waitcnt vmcnt(0)
	v_add_nc_u32_e32 v1, -1, v4
	v_cmp_ne_u32_e32 vcc_lo, 13, v1
	s_cbranch_vccz .LBB78_106
; %bb.105:
	v_lshlrev_b32_e32 v1, 4, v1
	v_mov_b32_e32 v6, s13
	v_mov_b32_e32 v37, v1
	s_clause 0x7
	buffer_load_dword v1, v6, s[0:3], 0 offen
	buffer_load_dword v2, v6, s[0:3], 0 offen offset:4
	buffer_load_dword v4, v6, s[0:3], 0 offen offset:8
	;; [unrolled: 1-line block ×3, first 2 shown]
	buffer_load_dword v38, v37, s[0:3], 0 offen
	buffer_load_dword v39, v37, s[0:3], 0 offen offset:4
	buffer_load_dword v40, v37, s[0:3], 0 offen offset:8
	;; [unrolled: 1-line block ×3, first 2 shown]
	s_waitcnt vmcnt(4)
	ds_write2_b64 v0, v[1:2], v[4:5] offset1:1
	s_waitcnt vmcnt(3)
	buffer_store_dword v38, v6, s[0:3], 0 offen
	s_waitcnt vmcnt(2)
	buffer_store_dword v39, v6, s[0:3], 0 offen offset:4
	s_waitcnt vmcnt(1)
	buffer_store_dword v40, v6, s[0:3], 0 offen offset:8
	s_waitcnt vmcnt(0)
	buffer_store_dword v41, v6, s[0:3], 0 offen offset:12
	buffer_store_dword v5, v37, s[0:3], 0 offen offset:12
	buffer_store_dword v4, v37, s[0:3], 0 offen offset:8
	buffer_store_dword v2, v37, s[0:3], 0 offen offset:4
	buffer_store_dword v1, v37, s[0:3], 0 offen
.LBB78_106:
	global_load_dword v1, v3, s[10:11] offset:48
	s_waitcnt vmcnt(0)
	v_add_nc_u32_e32 v1, -1, v1
	v_cmp_eq_u32_e32 vcc_lo, 12, v1
	s_cbranch_vccnz .LBB78_108
; %bb.107:
	v_lshlrev_b32_e32 v1, 4, v1
	v_mov_b32_e32 v5, s16
	v_mov_b32_e32 v6, v1
	s_clause 0x7
	buffer_load_dword v1, v5, s[0:3], 0 offen
	buffer_load_dword v2, v5, s[0:3], 0 offen offset:4
	buffer_load_dword v3, v5, s[0:3], 0 offen offset:8
	;; [unrolled: 1-line block ×3, first 2 shown]
	buffer_load_dword v37, v6, s[0:3], 0 offen
	buffer_load_dword v38, v6, s[0:3], 0 offen offset:4
	buffer_load_dword v39, v6, s[0:3], 0 offen offset:8
	;; [unrolled: 1-line block ×3, first 2 shown]
	s_waitcnt vmcnt(4)
	ds_write2_b64 v0, v[1:2], v[3:4] offset1:1
	s_waitcnt vmcnt(3)
	buffer_store_dword v37, v5, s[0:3], 0 offen
	s_waitcnt vmcnt(2)
	buffer_store_dword v38, v5, s[0:3], 0 offen offset:4
	s_waitcnt vmcnt(1)
	buffer_store_dword v39, v5, s[0:3], 0 offen offset:8
	;; [unrolled: 2-line block ×3, first 2 shown]
	buffer_store_dword v4, v6, s[0:3], 0 offen offset:12
	buffer_store_dword v3, v6, s[0:3], 0 offen offset:8
	;; [unrolled: 1-line block ×3, first 2 shown]
	buffer_store_dword v1, v6, s[0:3], 0 offen
.LBB78_108:
	v_mov_b32_e32 v1, 0
	global_load_dword v2, v1, s[10:11] offset:44
	s_waitcnt vmcnt(0)
	v_add_nc_u32_e32 v2, -1, v2
	v_cmp_eq_u32_e32 vcc_lo, 11, v2
	s_cbranch_vccnz .LBB78_110
; %bb.109:
	v_lshlrev_b32_e32 v2, 4, v2
	v_mov_b32_e32 v6, s17
	v_mov_b32_e32 v37, v2
	s_clause 0x7
	buffer_load_dword v2, v6, s[0:3], 0 offen
	buffer_load_dword v3, v6, s[0:3], 0 offen offset:4
	buffer_load_dword v4, v6, s[0:3], 0 offen offset:8
	;; [unrolled: 1-line block ×3, first 2 shown]
	buffer_load_dword v38, v37, s[0:3], 0 offen
	buffer_load_dword v39, v37, s[0:3], 0 offen offset:4
	buffer_load_dword v40, v37, s[0:3], 0 offen offset:8
	;; [unrolled: 1-line block ×3, first 2 shown]
	s_waitcnt vmcnt(4)
	ds_write2_b64 v0, v[2:3], v[4:5] offset1:1
	s_waitcnt vmcnt(3)
	buffer_store_dword v38, v6, s[0:3], 0 offen
	s_waitcnt vmcnt(2)
	buffer_store_dword v39, v6, s[0:3], 0 offen offset:4
	s_waitcnt vmcnt(1)
	buffer_store_dword v40, v6, s[0:3], 0 offen offset:8
	;; [unrolled: 2-line block ×3, first 2 shown]
	buffer_store_dword v5, v37, s[0:3], 0 offen offset:12
	buffer_store_dword v4, v37, s[0:3], 0 offen offset:8
	buffer_store_dword v3, v37, s[0:3], 0 offen offset:4
	buffer_store_dword v2, v37, s[0:3], 0 offen
.LBB78_110:
	global_load_dword v1, v1, s[10:11] offset:40
	s_waitcnt vmcnt(0)
	v_add_nc_u32_e32 v1, -1, v1
	v_cmp_eq_u32_e32 vcc_lo, 10, v1
	s_cbranch_vccnz .LBB78_112
; %bb.111:
	v_lshlrev_b32_e32 v1, 4, v1
	v_mov_b32_e32 v5, s18
	v_mov_b32_e32 v6, v1
	s_clause 0x7
	buffer_load_dword v1, v5, s[0:3], 0 offen
	buffer_load_dword v2, v5, s[0:3], 0 offen offset:4
	buffer_load_dword v3, v5, s[0:3], 0 offen offset:8
	;; [unrolled: 1-line block ×3, first 2 shown]
	buffer_load_dword v37, v6, s[0:3], 0 offen
	buffer_load_dword v38, v6, s[0:3], 0 offen offset:4
	buffer_load_dword v39, v6, s[0:3], 0 offen offset:8
	buffer_load_dword v40, v6, s[0:3], 0 offen offset:12
	s_waitcnt vmcnt(4)
	ds_write2_b64 v0, v[1:2], v[3:4] offset1:1
	s_waitcnt vmcnt(3)
	buffer_store_dword v37, v5, s[0:3], 0 offen
	s_waitcnt vmcnt(2)
	buffer_store_dword v38, v5, s[0:3], 0 offen offset:4
	s_waitcnt vmcnt(1)
	buffer_store_dword v39, v5, s[0:3], 0 offen offset:8
	;; [unrolled: 2-line block ×3, first 2 shown]
	buffer_store_dword v4, v6, s[0:3], 0 offen offset:12
	buffer_store_dword v3, v6, s[0:3], 0 offen offset:8
	;; [unrolled: 1-line block ×3, first 2 shown]
	buffer_store_dword v1, v6, s[0:3], 0 offen
.LBB78_112:
	v_mov_b32_e32 v1, 0
	global_load_dword v2, v1, s[10:11] offset:36
	s_waitcnt vmcnt(0)
	v_add_nc_u32_e32 v2, -1, v2
	v_cmp_eq_u32_e32 vcc_lo, 9, v2
	s_cbranch_vccnz .LBB78_114
; %bb.113:
	v_lshlrev_b32_e32 v2, 4, v2
	v_mov_b32_e32 v6, s19
	v_mov_b32_e32 v37, v2
	s_clause 0x7
	buffer_load_dword v2, v6, s[0:3], 0 offen
	buffer_load_dword v3, v6, s[0:3], 0 offen offset:4
	buffer_load_dword v4, v6, s[0:3], 0 offen offset:8
	buffer_load_dword v5, v6, s[0:3], 0 offen offset:12
	buffer_load_dword v38, v37, s[0:3], 0 offen
	buffer_load_dword v39, v37, s[0:3], 0 offen offset:4
	buffer_load_dword v40, v37, s[0:3], 0 offen offset:8
	;; [unrolled: 1-line block ×3, first 2 shown]
	s_waitcnt vmcnt(4)
	ds_write2_b64 v0, v[2:3], v[4:5] offset1:1
	s_waitcnt vmcnt(3)
	buffer_store_dword v38, v6, s[0:3], 0 offen
	s_waitcnt vmcnt(2)
	buffer_store_dword v39, v6, s[0:3], 0 offen offset:4
	s_waitcnt vmcnt(1)
	buffer_store_dword v40, v6, s[0:3], 0 offen offset:8
	s_waitcnt vmcnt(0)
	buffer_store_dword v41, v6, s[0:3], 0 offen offset:12
	buffer_store_dword v5, v37, s[0:3], 0 offen offset:12
	buffer_store_dword v4, v37, s[0:3], 0 offen offset:8
	;; [unrolled: 1-line block ×3, first 2 shown]
	buffer_store_dword v2, v37, s[0:3], 0 offen
.LBB78_114:
	global_load_dword v1, v1, s[10:11] offset:32
	s_waitcnt vmcnt(0)
	v_add_nc_u32_e32 v1, -1, v1
	v_cmp_eq_u32_e32 vcc_lo, 8, v1
	s_cbranch_vccnz .LBB78_116
; %bb.115:
	v_lshlrev_b32_e32 v1, 4, v1
	v_mov_b32_e32 v5, s20
	v_mov_b32_e32 v6, v1
	s_clause 0x7
	buffer_load_dword v1, v5, s[0:3], 0 offen
	buffer_load_dword v2, v5, s[0:3], 0 offen offset:4
	buffer_load_dword v3, v5, s[0:3], 0 offen offset:8
	;; [unrolled: 1-line block ×3, first 2 shown]
	buffer_load_dword v37, v6, s[0:3], 0 offen
	buffer_load_dword v38, v6, s[0:3], 0 offen offset:4
	buffer_load_dword v39, v6, s[0:3], 0 offen offset:8
	;; [unrolled: 1-line block ×3, first 2 shown]
	s_waitcnt vmcnt(4)
	ds_write2_b64 v0, v[1:2], v[3:4] offset1:1
	s_waitcnt vmcnt(3)
	buffer_store_dword v37, v5, s[0:3], 0 offen
	s_waitcnt vmcnt(2)
	buffer_store_dword v38, v5, s[0:3], 0 offen offset:4
	s_waitcnt vmcnt(1)
	buffer_store_dword v39, v5, s[0:3], 0 offen offset:8
	;; [unrolled: 2-line block ×3, first 2 shown]
	buffer_store_dword v4, v6, s[0:3], 0 offen offset:12
	buffer_store_dword v3, v6, s[0:3], 0 offen offset:8
	;; [unrolled: 1-line block ×3, first 2 shown]
	buffer_store_dword v1, v6, s[0:3], 0 offen
.LBB78_116:
	v_mov_b32_e32 v1, 0
	global_load_dword v2, v1, s[10:11] offset:28
	s_waitcnt vmcnt(0)
	v_add_nc_u32_e32 v2, -1, v2
	v_cmp_eq_u32_e32 vcc_lo, 7, v2
	s_cbranch_vccnz .LBB78_118
; %bb.117:
	v_lshlrev_b32_e32 v2, 4, v2
	v_mov_b32_e32 v6, s21
	v_mov_b32_e32 v37, v2
	s_clause 0x7
	buffer_load_dword v2, v6, s[0:3], 0 offen
	buffer_load_dword v3, v6, s[0:3], 0 offen offset:4
	buffer_load_dword v4, v6, s[0:3], 0 offen offset:8
	;; [unrolled: 1-line block ×3, first 2 shown]
	buffer_load_dword v38, v37, s[0:3], 0 offen
	buffer_load_dword v39, v37, s[0:3], 0 offen offset:4
	buffer_load_dword v40, v37, s[0:3], 0 offen offset:8
	;; [unrolled: 1-line block ×3, first 2 shown]
	s_waitcnt vmcnt(4)
	ds_write2_b64 v0, v[2:3], v[4:5] offset1:1
	s_waitcnt vmcnt(3)
	buffer_store_dword v38, v6, s[0:3], 0 offen
	s_waitcnt vmcnt(2)
	buffer_store_dword v39, v6, s[0:3], 0 offen offset:4
	s_waitcnt vmcnt(1)
	buffer_store_dword v40, v6, s[0:3], 0 offen offset:8
	;; [unrolled: 2-line block ×3, first 2 shown]
	buffer_store_dword v5, v37, s[0:3], 0 offen offset:12
	buffer_store_dword v4, v37, s[0:3], 0 offen offset:8
	buffer_store_dword v3, v37, s[0:3], 0 offen offset:4
	buffer_store_dword v2, v37, s[0:3], 0 offen
.LBB78_118:
	global_load_dword v1, v1, s[10:11] offset:24
	s_waitcnt vmcnt(0)
	v_add_nc_u32_e32 v1, -1, v1
	v_cmp_eq_u32_e32 vcc_lo, 6, v1
	s_cbranch_vccnz .LBB78_120
; %bb.119:
	v_lshlrev_b32_e32 v1, 4, v1
	v_mov_b32_e32 v5, s22
	v_mov_b32_e32 v6, v1
	s_clause 0x7
	buffer_load_dword v1, v5, s[0:3], 0 offen
	buffer_load_dword v2, v5, s[0:3], 0 offen offset:4
	buffer_load_dword v3, v5, s[0:3], 0 offen offset:8
	;; [unrolled: 1-line block ×3, first 2 shown]
	buffer_load_dword v37, v6, s[0:3], 0 offen
	buffer_load_dword v38, v6, s[0:3], 0 offen offset:4
	buffer_load_dword v39, v6, s[0:3], 0 offen offset:8
	;; [unrolled: 1-line block ×3, first 2 shown]
	s_waitcnt vmcnt(4)
	ds_write2_b64 v0, v[1:2], v[3:4] offset1:1
	s_waitcnt vmcnt(3)
	buffer_store_dword v37, v5, s[0:3], 0 offen
	s_waitcnt vmcnt(2)
	buffer_store_dword v38, v5, s[0:3], 0 offen offset:4
	s_waitcnt vmcnt(1)
	buffer_store_dword v39, v5, s[0:3], 0 offen offset:8
	;; [unrolled: 2-line block ×3, first 2 shown]
	buffer_store_dword v4, v6, s[0:3], 0 offen offset:12
	buffer_store_dword v3, v6, s[0:3], 0 offen offset:8
	;; [unrolled: 1-line block ×3, first 2 shown]
	buffer_store_dword v1, v6, s[0:3], 0 offen
.LBB78_120:
	v_mov_b32_e32 v1, 0
	global_load_dword v2, v1, s[10:11] offset:20
	s_waitcnt vmcnt(0)
	v_add_nc_u32_e32 v2, -1, v2
	v_cmp_eq_u32_e32 vcc_lo, 5, v2
	s_cbranch_vccnz .LBB78_122
; %bb.121:
	v_lshlrev_b32_e32 v2, 4, v2
	v_mov_b32_e32 v6, s23
	v_mov_b32_e32 v37, v2
	s_clause 0x7
	buffer_load_dword v2, v6, s[0:3], 0 offen
	buffer_load_dword v3, v6, s[0:3], 0 offen offset:4
	buffer_load_dword v4, v6, s[0:3], 0 offen offset:8
	;; [unrolled: 1-line block ×3, first 2 shown]
	buffer_load_dword v38, v37, s[0:3], 0 offen
	buffer_load_dword v39, v37, s[0:3], 0 offen offset:4
	buffer_load_dword v40, v37, s[0:3], 0 offen offset:8
	buffer_load_dword v41, v37, s[0:3], 0 offen offset:12
	s_waitcnt vmcnt(4)
	ds_write2_b64 v0, v[2:3], v[4:5] offset1:1
	s_waitcnt vmcnt(3)
	buffer_store_dword v38, v6, s[0:3], 0 offen
	s_waitcnt vmcnt(2)
	buffer_store_dword v39, v6, s[0:3], 0 offen offset:4
	s_waitcnt vmcnt(1)
	buffer_store_dword v40, v6, s[0:3], 0 offen offset:8
	;; [unrolled: 2-line block ×3, first 2 shown]
	buffer_store_dword v5, v37, s[0:3], 0 offen offset:12
	buffer_store_dword v4, v37, s[0:3], 0 offen offset:8
	;; [unrolled: 1-line block ×3, first 2 shown]
	buffer_store_dword v2, v37, s[0:3], 0 offen
.LBB78_122:
	global_load_dword v1, v1, s[10:11] offset:16
	s_waitcnt vmcnt(0)
	v_add_nc_u32_e32 v1, -1, v1
	v_cmp_eq_u32_e32 vcc_lo, 4, v1
	s_cbranch_vccnz .LBB78_124
; %bb.123:
	v_lshlrev_b32_e32 v1, 4, v1
	v_mov_b32_e32 v5, s24
	v_mov_b32_e32 v6, v1
	s_clause 0x7
	buffer_load_dword v1, v5, s[0:3], 0 offen
	buffer_load_dword v2, v5, s[0:3], 0 offen offset:4
	buffer_load_dword v3, v5, s[0:3], 0 offen offset:8
	;; [unrolled: 1-line block ×3, first 2 shown]
	buffer_load_dword v37, v6, s[0:3], 0 offen
	buffer_load_dword v38, v6, s[0:3], 0 offen offset:4
	buffer_load_dword v39, v6, s[0:3], 0 offen offset:8
	;; [unrolled: 1-line block ×3, first 2 shown]
	s_waitcnt vmcnt(4)
	ds_write2_b64 v0, v[1:2], v[3:4] offset1:1
	s_waitcnt vmcnt(3)
	buffer_store_dword v37, v5, s[0:3], 0 offen
	s_waitcnt vmcnt(2)
	buffer_store_dword v38, v5, s[0:3], 0 offen offset:4
	s_waitcnt vmcnt(1)
	buffer_store_dword v39, v5, s[0:3], 0 offen offset:8
	;; [unrolled: 2-line block ×3, first 2 shown]
	buffer_store_dword v4, v6, s[0:3], 0 offen offset:12
	buffer_store_dword v3, v6, s[0:3], 0 offen offset:8
	buffer_store_dword v2, v6, s[0:3], 0 offen offset:4
	buffer_store_dword v1, v6, s[0:3], 0 offen
.LBB78_124:
	v_mov_b32_e32 v1, 0
	global_load_dword v2, v1, s[10:11] offset:12
	s_waitcnt vmcnt(0)
	v_add_nc_u32_e32 v2, -1, v2
	v_cmp_eq_u32_e32 vcc_lo, 3, v2
	s_cbranch_vccnz .LBB78_126
; %bb.125:
	v_lshlrev_b32_e32 v2, 4, v2
	v_mov_b32_e32 v6, s25
	v_mov_b32_e32 v37, v2
	s_clause 0x7
	buffer_load_dword v2, v6, s[0:3], 0 offen
	buffer_load_dword v3, v6, s[0:3], 0 offen offset:4
	buffer_load_dword v4, v6, s[0:3], 0 offen offset:8
	buffer_load_dword v5, v6, s[0:3], 0 offen offset:12
	buffer_load_dword v38, v37, s[0:3], 0 offen
	buffer_load_dword v39, v37, s[0:3], 0 offen offset:4
	buffer_load_dword v40, v37, s[0:3], 0 offen offset:8
	;; [unrolled: 1-line block ×3, first 2 shown]
	s_waitcnt vmcnt(4)
	ds_write2_b64 v0, v[2:3], v[4:5] offset1:1
	s_waitcnt vmcnt(3)
	buffer_store_dword v38, v6, s[0:3], 0 offen
	s_waitcnt vmcnt(2)
	buffer_store_dword v39, v6, s[0:3], 0 offen offset:4
	s_waitcnt vmcnt(1)
	buffer_store_dword v40, v6, s[0:3], 0 offen offset:8
	;; [unrolled: 2-line block ×3, first 2 shown]
	buffer_store_dword v5, v37, s[0:3], 0 offen offset:12
	buffer_store_dword v4, v37, s[0:3], 0 offen offset:8
	;; [unrolled: 1-line block ×3, first 2 shown]
	buffer_store_dword v2, v37, s[0:3], 0 offen
.LBB78_126:
	global_load_dword v1, v1, s[10:11] offset:8
	s_waitcnt vmcnt(0)
	v_add_nc_u32_e32 v1, -1, v1
	v_cmp_eq_u32_e32 vcc_lo, 2, v1
	s_cbranch_vccnz .LBB78_128
; %bb.127:
	v_lshlrev_b32_e32 v1, 4, v1
	v_mov_b32_e32 v5, s26
	v_mov_b32_e32 v6, v1
	s_clause 0x7
	buffer_load_dword v1, v5, s[0:3], 0 offen
	buffer_load_dword v2, v5, s[0:3], 0 offen offset:4
	buffer_load_dword v3, v5, s[0:3], 0 offen offset:8
	;; [unrolled: 1-line block ×3, first 2 shown]
	buffer_load_dword v37, v6, s[0:3], 0 offen
	buffer_load_dword v38, v6, s[0:3], 0 offen offset:4
	buffer_load_dword v39, v6, s[0:3], 0 offen offset:8
	;; [unrolled: 1-line block ×3, first 2 shown]
	s_waitcnt vmcnt(4)
	ds_write2_b64 v0, v[1:2], v[3:4] offset1:1
	s_waitcnt vmcnt(3)
	buffer_store_dword v37, v5, s[0:3], 0 offen
	s_waitcnt vmcnt(2)
	buffer_store_dword v38, v5, s[0:3], 0 offen offset:4
	s_waitcnt vmcnt(1)
	buffer_store_dword v39, v5, s[0:3], 0 offen offset:8
	;; [unrolled: 2-line block ×3, first 2 shown]
	buffer_store_dword v4, v6, s[0:3], 0 offen offset:12
	buffer_store_dword v3, v6, s[0:3], 0 offen offset:8
	;; [unrolled: 1-line block ×3, first 2 shown]
	buffer_store_dword v1, v6, s[0:3], 0 offen
.LBB78_128:
	v_mov_b32_e32 v1, 0
	global_load_dword v2, v1, s[10:11] offset:4
	s_waitcnt vmcnt(0)
	v_add_nc_u32_e32 v2, -1, v2
	v_cmp_eq_u32_e32 vcc_lo, 1, v2
	s_cbranch_vccnz .LBB78_130
; %bb.129:
	v_lshlrev_b32_e32 v2, 4, v2
	v_mov_b32_e32 v6, s27
	v_mov_b32_e32 v37, v2
	s_clause 0x7
	buffer_load_dword v2, v6, s[0:3], 0 offen
	buffer_load_dword v3, v6, s[0:3], 0 offen offset:4
	buffer_load_dword v4, v6, s[0:3], 0 offen offset:8
	;; [unrolled: 1-line block ×3, first 2 shown]
	buffer_load_dword v38, v37, s[0:3], 0 offen
	buffer_load_dword v39, v37, s[0:3], 0 offen offset:4
	buffer_load_dword v40, v37, s[0:3], 0 offen offset:8
	;; [unrolled: 1-line block ×3, first 2 shown]
	s_waitcnt vmcnt(4)
	ds_write2_b64 v0, v[2:3], v[4:5] offset1:1
	s_waitcnt vmcnt(3)
	buffer_store_dword v38, v6, s[0:3], 0 offen
	s_waitcnt vmcnt(2)
	buffer_store_dword v39, v6, s[0:3], 0 offen offset:4
	s_waitcnt vmcnt(1)
	buffer_store_dword v40, v6, s[0:3], 0 offen offset:8
	;; [unrolled: 2-line block ×3, first 2 shown]
	buffer_store_dword v5, v37, s[0:3], 0 offen offset:12
	buffer_store_dword v4, v37, s[0:3], 0 offen offset:8
	buffer_store_dword v3, v37, s[0:3], 0 offen offset:4
	buffer_store_dword v2, v37, s[0:3], 0 offen
.LBB78_130:
	global_load_dword v1, v1, s[10:11]
	s_waitcnt vmcnt(0)
	v_add_nc_u32_e32 v1, -1, v1
	v_cmp_eq_u32_e32 vcc_lo, 0, v1
	s_cbranch_vccnz .LBB78_132
; %bb.131:
	v_lshlrev_b32_e32 v1, 4, v1
	v_mov_b32_e32 v5, v1
	s_clause 0x7
	buffer_load_dword v1, off, s[0:3], 0
	buffer_load_dword v2, off, s[0:3], 0 offset:4
	buffer_load_dword v3, off, s[0:3], 0 offset:8
	;; [unrolled: 1-line block ×3, first 2 shown]
	buffer_load_dword v6, v5, s[0:3], 0 offen
	buffer_load_dword v37, v5, s[0:3], 0 offen offset:4
	buffer_load_dword v38, v5, s[0:3], 0 offen offset:8
	;; [unrolled: 1-line block ×3, first 2 shown]
	s_waitcnt vmcnt(4)
	ds_write2_b64 v0, v[1:2], v[3:4] offset1:1
	s_waitcnt vmcnt(3)
	buffer_store_dword v6, off, s[0:3], 0
	s_waitcnt vmcnt(2)
	buffer_store_dword v37, off, s[0:3], 0 offset:4
	s_waitcnt vmcnt(1)
	buffer_store_dword v38, off, s[0:3], 0 offset:8
	;; [unrolled: 2-line block ×3, first 2 shown]
	buffer_store_dword v4, v5, s[0:3], 0 offen offset:12
	buffer_store_dword v3, v5, s[0:3], 0 offen offset:8
	buffer_store_dword v2, v5, s[0:3], 0 offen offset:4
	buffer_store_dword v1, v5, s[0:3], 0 offen
.LBB78_132:
	s_clause 0x3
	buffer_load_dword v0, off, s[0:3], 0
	buffer_load_dword v1, off, s[0:3], 0 offset:4
	buffer_load_dword v2, off, s[0:3], 0 offset:8
	;; [unrolled: 1-line block ×3, first 2 shown]
	v_mov_b32_e32 v4, s27
	s_waitcnt vmcnt(0)
	flat_store_dwordx4 v[7:8], v[0:3]
	s_clause 0x3
	buffer_load_dword v0, v4, s[0:3], 0 offen
	buffer_load_dword v1, v4, s[0:3], 0 offen offset:4
	buffer_load_dword v2, v4, s[0:3], 0 offen offset:8
	buffer_load_dword v3, v4, s[0:3], 0 offen offset:12
	v_mov_b32_e32 v4, s26
	s_waitcnt vmcnt(0)
	flat_store_dwordx4 v[9:10], v[0:3]
	s_clause 0x3
	buffer_load_dword v0, v4, s[0:3], 0 offen
	buffer_load_dword v1, v4, s[0:3], 0 offen offset:4
	buffer_load_dword v2, v4, s[0:3], 0 offen offset:8
	buffer_load_dword v3, v4, s[0:3], 0 offen offset:12
	;; [unrolled: 8-line block ×14, first 2 shown]
	s_waitcnt vmcnt(0)
	flat_store_dwordx4 v[35:36], v[0:3]
	s_endpgm
	.section	.rodata,"a",@progbits
	.p2align	6, 0x0
	.amdhsa_kernel _ZN9rocsolver6v33100L18getri_kernel_smallILi15E19rocblas_complex_numIdEPKPS3_EEvT1_iilPiilS8_bb
		.amdhsa_group_segment_fixed_size 1512
		.amdhsa_private_segment_fixed_size 256
		.amdhsa_kernarg_size 60
		.amdhsa_user_sgpr_count 8
		.amdhsa_user_sgpr_private_segment_buffer 1
		.amdhsa_user_sgpr_dispatch_ptr 1
		.amdhsa_user_sgpr_queue_ptr 0
		.amdhsa_user_sgpr_kernarg_segment_ptr 1
		.amdhsa_user_sgpr_dispatch_id 0
		.amdhsa_user_sgpr_flat_scratch_init 0
		.amdhsa_user_sgpr_private_segment_size 0
		.amdhsa_wavefront_size32 1
		.amdhsa_uses_dynamic_stack 0
		.amdhsa_system_sgpr_private_segment_wavefront_offset 1
		.amdhsa_system_sgpr_workgroup_id_x 1
		.amdhsa_system_sgpr_workgroup_id_y 0
		.amdhsa_system_sgpr_workgroup_id_z 0
		.amdhsa_system_sgpr_workgroup_info 0
		.amdhsa_system_vgpr_workitem_id 2
		.amdhsa_next_free_vgpr 111
		.amdhsa_next_free_sgpr 35
		.amdhsa_reserve_vcc 1
		.amdhsa_reserve_flat_scratch 0
		.amdhsa_float_round_mode_32 0
		.amdhsa_float_round_mode_16_64 0
		.amdhsa_float_denorm_mode_32 3
		.amdhsa_float_denorm_mode_16_64 3
		.amdhsa_dx10_clamp 1
		.amdhsa_ieee_mode 1
		.amdhsa_fp16_overflow 0
		.amdhsa_workgroup_processor_mode 1
		.amdhsa_memory_ordered 1
		.amdhsa_forward_progress 1
		.amdhsa_shared_vgpr_count 0
		.amdhsa_exception_fp_ieee_invalid_op 0
		.amdhsa_exception_fp_denorm_src 0
		.amdhsa_exception_fp_ieee_div_zero 0
		.amdhsa_exception_fp_ieee_overflow 0
		.amdhsa_exception_fp_ieee_underflow 0
		.amdhsa_exception_fp_ieee_inexact 0
		.amdhsa_exception_int_div_zero 0
	.end_amdhsa_kernel
	.section	.text._ZN9rocsolver6v33100L18getri_kernel_smallILi15E19rocblas_complex_numIdEPKPS3_EEvT1_iilPiilS8_bb,"axG",@progbits,_ZN9rocsolver6v33100L18getri_kernel_smallILi15E19rocblas_complex_numIdEPKPS3_EEvT1_iilPiilS8_bb,comdat
.Lfunc_end78:
	.size	_ZN9rocsolver6v33100L18getri_kernel_smallILi15E19rocblas_complex_numIdEPKPS3_EEvT1_iilPiilS8_bb, .Lfunc_end78-_ZN9rocsolver6v33100L18getri_kernel_smallILi15E19rocblas_complex_numIdEPKPS3_EEvT1_iilPiilS8_bb
                                        ; -- End function
	.set _ZN9rocsolver6v33100L18getri_kernel_smallILi15E19rocblas_complex_numIdEPKPS3_EEvT1_iilPiilS8_bb.num_vgpr, 111
	.set _ZN9rocsolver6v33100L18getri_kernel_smallILi15E19rocblas_complex_numIdEPKPS3_EEvT1_iilPiilS8_bb.num_agpr, 0
	.set _ZN9rocsolver6v33100L18getri_kernel_smallILi15E19rocblas_complex_numIdEPKPS3_EEvT1_iilPiilS8_bb.numbered_sgpr, 35
	.set _ZN9rocsolver6v33100L18getri_kernel_smallILi15E19rocblas_complex_numIdEPKPS3_EEvT1_iilPiilS8_bb.num_named_barrier, 0
	.set _ZN9rocsolver6v33100L18getri_kernel_smallILi15E19rocblas_complex_numIdEPKPS3_EEvT1_iilPiilS8_bb.private_seg_size, 256
	.set _ZN9rocsolver6v33100L18getri_kernel_smallILi15E19rocblas_complex_numIdEPKPS3_EEvT1_iilPiilS8_bb.uses_vcc, 1
	.set _ZN9rocsolver6v33100L18getri_kernel_smallILi15E19rocblas_complex_numIdEPKPS3_EEvT1_iilPiilS8_bb.uses_flat_scratch, 0
	.set _ZN9rocsolver6v33100L18getri_kernel_smallILi15E19rocblas_complex_numIdEPKPS3_EEvT1_iilPiilS8_bb.has_dyn_sized_stack, 0
	.set _ZN9rocsolver6v33100L18getri_kernel_smallILi15E19rocblas_complex_numIdEPKPS3_EEvT1_iilPiilS8_bb.has_recursion, 0
	.set _ZN9rocsolver6v33100L18getri_kernel_smallILi15E19rocblas_complex_numIdEPKPS3_EEvT1_iilPiilS8_bb.has_indirect_call, 0
	.section	.AMDGPU.csdata,"",@progbits
; Kernel info:
; codeLenInByte = 24308
; TotalNumSgprs: 37
; NumVgprs: 111
; ScratchSize: 256
; MemoryBound: 0
; FloatMode: 240
; IeeeMode: 1
; LDSByteSize: 1512 bytes/workgroup (compile time only)
; SGPRBlocks: 0
; VGPRBlocks: 13
; NumSGPRsForWavesPerEU: 37
; NumVGPRsForWavesPerEU: 111
; Occupancy: 9
; WaveLimiterHint : 1
; COMPUTE_PGM_RSRC2:SCRATCH_EN: 1
; COMPUTE_PGM_RSRC2:USER_SGPR: 8
; COMPUTE_PGM_RSRC2:TRAP_HANDLER: 0
; COMPUTE_PGM_RSRC2:TGID_X_EN: 1
; COMPUTE_PGM_RSRC2:TGID_Y_EN: 0
; COMPUTE_PGM_RSRC2:TGID_Z_EN: 0
; COMPUTE_PGM_RSRC2:TIDIG_COMP_CNT: 2
	.section	.text._ZN9rocsolver6v33100L18getri_kernel_smallILi16E19rocblas_complex_numIdEPKPS3_EEvT1_iilPiilS8_bb,"axG",@progbits,_ZN9rocsolver6v33100L18getri_kernel_smallILi16E19rocblas_complex_numIdEPKPS3_EEvT1_iilPiilS8_bb,comdat
	.globl	_ZN9rocsolver6v33100L18getri_kernel_smallILi16E19rocblas_complex_numIdEPKPS3_EEvT1_iilPiilS8_bb ; -- Begin function _ZN9rocsolver6v33100L18getri_kernel_smallILi16E19rocblas_complex_numIdEPKPS3_EEvT1_iilPiilS8_bb
	.p2align	8
	.type	_ZN9rocsolver6v33100L18getri_kernel_smallILi16E19rocblas_complex_numIdEPKPS3_EEvT1_iilPiilS8_bb,@function
_ZN9rocsolver6v33100L18getri_kernel_smallILi16E19rocblas_complex_numIdEPKPS3_EEvT1_iilPiilS8_bb: ; @_ZN9rocsolver6v33100L18getri_kernel_smallILi16E19rocblas_complex_numIdEPKPS3_EEvT1_iilPiilS8_bb
; %bb.0:
	s_add_u32 s0, s0, s9
	s_addc_u32 s1, s1, 0
	s_mov_b32 s9, exec_lo
	v_cmpx_gt_u32_e32 16, v0
	s_cbranch_execz .LBB79_78
; %bb.1:
	s_clause 0x2
	s_load_dword s18, s[6:7], 0x38
	s_load_dwordx2 s[10:11], s[6:7], 0x0
	s_load_dwordx4 s[12:15], s[6:7], 0x28
	s_waitcnt lgkmcnt(0)
	s_bitcmp1_b32 s18, 8
	s_cselect_b32 s29, -1, 0
	s_ashr_i32 s9, s8, 31
	s_lshl_b64 s[16:17], s[8:9], 3
	s_add_u32 s10, s10, s16
	s_addc_u32 s11, s11, s17
	s_load_dwordx2 s[16:17], s[10:11], 0x0
	s_bfe_u32 s10, s18, 0x10008
	s_cmp_eq_u32 s10, 0
                                        ; implicit-def: $sgpr10_sgpr11
	s_cbranch_scc1 .LBB79_3
; %bb.2:
	s_clause 0x1
	s_load_dword s10, s[6:7], 0x20
	s_load_dwordx2 s[18:19], s[6:7], 0x18
	s_mul_i32 s11, s12, s9
	s_mul_hi_u32 s20, s12, s8
	s_mul_i32 s13, s13, s8
	s_add_i32 s11, s20, s11
	s_mul_i32 s12, s12, s8
	s_add_i32 s13, s11, s13
	s_lshl_b64 s[12:13], s[12:13], 2
	s_waitcnt lgkmcnt(0)
	s_ashr_i32 s11, s10, 31
	s_add_u32 s12, s18, s12
	s_addc_u32 s13, s19, s13
	s_lshl_b64 s[10:11], s[10:11], 2
	s_add_u32 s10, s12, s10
	s_addc_u32 s11, s13, s11
.LBB79_3:
	s_clause 0x1
	s_load_dwordx2 s[12:13], s[6:7], 0x8
	s_load_dword s6, s[6:7], 0x38
	v_lshlrev_b32_e32 v45, 4, v0
	s_movk_i32 s30, 0xb0
	s_movk_i32 s31, 0xc0
	;; [unrolled: 1-line block ×10, first 2 shown]
	s_mov_b32 s28, 16
	s_mov_b32 s27, 32
	;; [unrolled: 1-line block ×4, first 2 shown]
	s_waitcnt lgkmcnt(0)
	s_ashr_i32 s19, s12, 31
	s_mov_b32 s18, s12
	v_add3_u32 v13, s13, s13, v0
	s_lshl_b64 s[18:19], s[18:19], 4
	s_add_u32 s7, s16, s18
	s_addc_u32 s12, s17, s19
	v_add_co_u32 v7, s16, s7, v45
	v_add_co_ci_u32_e64 v8, null, s12, 0, s16
	s_mov_b32 s16, s13
	s_ashr_i32 s17, s13, 31
	v_ashrrev_i32_e32 v14, 31, v13
	flat_load_dwordx4 v[3:6], v[7:8]
	s_lshl_b64 s[16:17], s[16:17], 4
	v_add_nc_u32_e32 v15, s13, v13
	v_add_co_u32 v9, vcc_lo, v7, s16
	v_add_co_ci_u32_e64 v10, null, s17, v8, vcc_lo
	v_lshlrev_b64 v[11:12], 4, v[13:14]
	v_ashrrev_i32_e32 v16, 31, v15
	v_add_nc_u32_e32 v17, s13, v15
	s_movk_i32 s19, 0xa0
	s_mov_b32 s18, s30
	s_mov_b32 s17, s31
	v_add_co_u32 v11, vcc_lo, s7, v11
	v_add_co_ci_u32_e64 v12, null, s12, v12, vcc_lo
	v_lshlrev_b64 v[13:14], 4, v[15:16]
	v_ashrrev_i32_e32 v18, 31, v17
	v_add_nc_u32_e32 v19, s13, v17
	s_mov_b32 s16, s33
	s_bitcmp0_b32 s6, 0
	s_waitcnt vmcnt(0) lgkmcnt(0)
	buffer_store_dword v6, off, s[0:3], 0 offset:12
	buffer_store_dword v5, off, s[0:3], 0 offset:8
	;; [unrolled: 1-line block ×3, first 2 shown]
	buffer_store_dword v3, off, s[0:3], 0
	flat_load_dwordx4 v[3:6], v[9:10]
	v_add_co_u32 v13, vcc_lo, s7, v13
	v_add_co_ci_u32_e64 v14, null, s12, v14, vcc_lo
	v_lshlrev_b64 v[15:16], 4, v[17:18]
	v_ashrrev_i32_e32 v20, 31, v19
	v_add_nc_u32_e32 v21, s13, v19
	s_waitcnt vmcnt(0) lgkmcnt(0)
	buffer_store_dword v6, off, s[0:3], 0 offset:28
	buffer_store_dword v5, off, s[0:3], 0 offset:24
	buffer_store_dword v4, off, s[0:3], 0 offset:20
	buffer_store_dword v3, off, s[0:3], 0 offset:16
	flat_load_dwordx4 v[3:6], v[11:12]
	v_add_co_u32 v15, vcc_lo, s7, v15
	v_add_co_ci_u32_e64 v16, null, s12, v16, vcc_lo
	v_lshlrev_b64 v[17:18], 4, v[19:20]
	v_ashrrev_i32_e32 v22, 31, v21
	v_add_nc_u32_e32 v23, s13, v21
	s_waitcnt vmcnt(0) lgkmcnt(0)
	buffer_store_dword v6, off, s[0:3], 0 offset:44
	buffer_store_dword v5, off, s[0:3], 0 offset:40
	buffer_store_dword v4, off, s[0:3], 0 offset:36
	buffer_store_dword v3, off, s[0:3], 0 offset:32
	;; [unrolled: 11-line block ×9, first 2 shown]
	flat_load_dwordx4 v[3:6], v[27:28]
	v_add_co_u32 v31, vcc_lo, s7, v31
	v_add_co_ci_u32_e64 v32, null, s12, v32, vcc_lo
	v_lshlrev_b64 v[33:34], 4, v[35:36]
	v_ashrrev_i32_e32 v38, 31, v37
	s_waitcnt vmcnt(0) lgkmcnt(0)
	buffer_store_dword v6, off, s[0:3], 0 offset:172
	buffer_store_dword v5, off, s[0:3], 0 offset:168
	;; [unrolled: 1-line block ×4, first 2 shown]
	flat_load_dwordx4 v[3:6], v[29:30]
	v_add_co_u32 v33, vcc_lo, s7, v33
	v_add_co_ci_u32_e64 v34, null, s12, v34, vcc_lo
	v_lshlrev_b64 v[35:36], 4, v[37:38]
	v_add_nc_u32_e32 v37, s13, v37
	s_mov_b32 s13, s34
	s_waitcnt vmcnt(0) lgkmcnt(0)
	buffer_store_dword v6, off, s[0:3], 0 offset:188
	buffer_store_dword v5, off, s[0:3], 0 offset:184
	;; [unrolled: 1-line block ×4, first 2 shown]
	flat_load_dwordx4 v[3:6], v[31:32]
	v_add_co_u32 v35, vcc_lo, s7, v35
	v_add_co_ci_u32_e64 v36, null, s12, v36, vcc_lo
	v_ashrrev_i32_e32 v38, 31, v37
	s_waitcnt vmcnt(0) lgkmcnt(0)
	buffer_store_dword v6, off, s[0:3], 0 offset:204
	buffer_store_dword v5, off, s[0:3], 0 offset:200
	;; [unrolled: 1-line block ×4, first 2 shown]
	flat_load_dwordx4 v[3:6], v[33:34]
	v_lshlrev_b64 v[37:38], 4, v[37:38]
	s_waitcnt vmcnt(0) lgkmcnt(0)
	buffer_store_dword v6, off, s[0:3], 0 offset:220
	buffer_store_dword v5, off, s[0:3], 0 offset:216
	buffer_store_dword v4, off, s[0:3], 0 offset:212
	buffer_store_dword v3, off, s[0:3], 0 offset:208
	flat_load_dwordx4 v[3:6], v[35:36]
	v_add_co_u32 v37, vcc_lo, s7, v37
	v_add_co_ci_u32_e64 v38, null, s12, v38, vcc_lo
	s_mov_b32 s7, -1
	s_mov_b32 s12, s35
	s_waitcnt vmcnt(0) lgkmcnt(0)
	buffer_store_dword v6, off, s[0:3], 0 offset:236
	buffer_store_dword v5, off, s[0:3], 0 offset:232
	;; [unrolled: 1-line block ×4, first 2 shown]
	flat_load_dwordx4 v[3:6], v[37:38]
	s_waitcnt vmcnt(0) lgkmcnt(0)
	buffer_store_dword v6, off, s[0:3], 0 offset:252
	buffer_store_dword v5, off, s[0:3], 0 offset:248
	;; [unrolled: 1-line block ×4, first 2 shown]
	s_cbranch_scc1 .LBB79_76
; %bb.4:
	v_cmp_eq_u32_e64 s6, 0, v0
	s_and_saveexec_b32 s7, s6
; %bb.5:
	v_mov_b32_e32 v3, 0
	ds_write_b32 v3, v3 offset:512
; %bb.6:
	s_or_b32 exec_lo, exec_lo, s7
	v_lshl_add_u32 v46, v0, 4, 0
	s_waitcnt lgkmcnt(0)
	s_waitcnt_vscnt null, 0x0
	s_barrier
	buffer_gl0_inv
	s_clause 0x3
	buffer_load_dword v3, v46, s[0:3], 0 offen
	buffer_load_dword v4, v46, s[0:3], 0 offen offset:4
	buffer_load_dword v5, v46, s[0:3], 0 offen offset:8
	;; [unrolled: 1-line block ×3, first 2 shown]
	s_waitcnt vmcnt(2)
	v_cmp_eq_f64_e32 vcc_lo, 0, v[3:4]
	s_waitcnt vmcnt(0)
	v_cmp_eq_f64_e64 s7, 0, v[5:6]
	s_and_b32 s7, vcc_lo, s7
	s_and_saveexec_b32 s30, s7
	s_cbranch_execz .LBB79_10
; %bb.7:
	v_mov_b32_e32 v3, 0
	s_mov_b32 s31, 0
	ds_read_b32 v4, v3 offset:512
	s_waitcnt lgkmcnt(0)
	v_readfirstlane_b32 s7, v4
	v_add_nc_u32_e32 v4, 1, v0
	s_cmp_eq_u32 s7, 0
	v_cmp_gt_i32_e32 vcc_lo, s7, v4
	s_cselect_b32 s33, -1, 0
	s_or_b32 s33, s33, vcc_lo
	s_and_b32 exec_lo, exec_lo, s33
	s_cbranch_execz .LBB79_10
; %bb.8:
	v_mov_b32_e32 v5, s7
.LBB79_9:                               ; =>This Inner Loop Header: Depth=1
	ds_cmpst_rtn_b32 v5, v3, v5, v4 offset:512
	s_waitcnt lgkmcnt(0)
	v_cmp_ne_u32_e32 vcc_lo, 0, v5
	v_cmp_le_i32_e64 s7, v5, v4
	s_and_b32 s7, vcc_lo, s7
	s_and_b32 s7, exec_lo, s7
	s_or_b32 s31, s7, s31
	s_andn2_b32 exec_lo, exec_lo, s31
	s_cbranch_execnz .LBB79_9
.LBB79_10:
	s_or_b32 exec_lo, exec_lo, s30
	v_mov_b32_e32 v3, 0
	s_barrier
	buffer_gl0_inv
	ds_read_b32 v4, v3 offset:512
	s_and_saveexec_b32 s7, s6
	s_cbranch_execz .LBB79_12
; %bb.11:
	s_lshl_b64 s[30:31], s[8:9], 2
	s_add_u32 s30, s14, s30
	s_addc_u32 s31, s15, s31
	s_waitcnt lgkmcnt(0)
	global_store_dword v3, v4, s[30:31]
.LBB79_12:
	s_or_b32 exec_lo, exec_lo, s7
	s_waitcnt lgkmcnt(0)
	v_cmp_ne_u32_e32 vcc_lo, 0, v4
	s_mov_b32 s7, 0
	s_cbranch_vccnz .LBB79_76
; %bb.13:
	s_clause 0x3
	buffer_load_dword v41, v46, s[0:3], 0 offen
	buffer_load_dword v42, v46, s[0:3], 0 offen offset:4
	buffer_load_dword v43, v46, s[0:3], 0 offen offset:8
	buffer_load_dword v44, v46, s[0:3], 0 offen offset:12
                                        ; implicit-def: $vgpr39_vgpr40
                                        ; implicit-def: $vgpr5_vgpr6
	s_waitcnt vmcnt(0)
	v_cmp_ngt_f64_e64 s7, |v[41:42]|, |v[43:44]|
	s_and_saveexec_b32 s30, s7
	s_xor_b32 s7, exec_lo, s30
	s_cbranch_execz .LBB79_15
; %bb.14:
	v_div_scale_f64 v[3:4], null, v[43:44], v[43:44], v[41:42]
	v_div_scale_f64 v[47:48], vcc_lo, v[41:42], v[43:44], v[41:42]
	v_rcp_f64_e32 v[5:6], v[3:4]
	v_fma_f64 v[39:40], -v[3:4], v[5:6], 1.0
	v_fma_f64 v[5:6], v[5:6], v[39:40], v[5:6]
	v_fma_f64 v[39:40], -v[3:4], v[5:6], 1.0
	v_fma_f64 v[5:6], v[5:6], v[39:40], v[5:6]
	v_mul_f64 v[39:40], v[47:48], v[5:6]
	v_fma_f64 v[3:4], -v[3:4], v[39:40], v[47:48]
	v_div_fmas_f64 v[3:4], v[3:4], v[5:6], v[39:40]
	v_div_fixup_f64 v[3:4], v[3:4], v[43:44], v[41:42]
	v_fma_f64 v[5:6], v[41:42], v[3:4], v[43:44]
	v_div_scale_f64 v[39:40], null, v[5:6], v[5:6], 1.0
	v_div_scale_f64 v[47:48], vcc_lo, 1.0, v[5:6], 1.0
	v_rcp_f64_e32 v[41:42], v[39:40]
	v_fma_f64 v[43:44], -v[39:40], v[41:42], 1.0
	v_fma_f64 v[41:42], v[41:42], v[43:44], v[41:42]
	v_fma_f64 v[43:44], -v[39:40], v[41:42], 1.0
	v_fma_f64 v[41:42], v[41:42], v[43:44], v[41:42]
	v_mul_f64 v[43:44], v[47:48], v[41:42]
	v_fma_f64 v[39:40], -v[39:40], v[43:44], v[47:48]
	v_div_fmas_f64 v[39:40], v[39:40], v[41:42], v[43:44]
                                        ; implicit-def: $vgpr41_vgpr42
                                        ; implicit-def: $vgpr43_vgpr44
	v_div_fixup_f64 v[5:6], v[39:40], v[5:6], 1.0
	v_mul_f64 v[39:40], v[3:4], v[5:6]
	v_xor_b32_e32 v6, 0x80000000, v6
	v_xor_b32_e32 v4, 0x80000000, v40
	v_mov_b32_e32 v3, v39
.LBB79_15:
	s_andn2_saveexec_b32 s7, s7
	s_cbranch_execz .LBB79_17
; %bb.16:
	v_div_scale_f64 v[3:4], null, v[41:42], v[41:42], v[43:44]
	v_div_scale_f64 v[47:48], vcc_lo, v[43:44], v[41:42], v[43:44]
	v_rcp_f64_e32 v[5:6], v[3:4]
	v_fma_f64 v[39:40], -v[3:4], v[5:6], 1.0
	v_fma_f64 v[5:6], v[5:6], v[39:40], v[5:6]
	v_fma_f64 v[39:40], -v[3:4], v[5:6], 1.0
	v_fma_f64 v[5:6], v[5:6], v[39:40], v[5:6]
	v_mul_f64 v[39:40], v[47:48], v[5:6]
	v_fma_f64 v[3:4], -v[3:4], v[39:40], v[47:48]
	v_div_fmas_f64 v[3:4], v[3:4], v[5:6], v[39:40]
	v_div_fixup_f64 v[3:4], v[3:4], v[41:42], v[43:44]
	v_fma_f64 v[5:6], v[43:44], v[3:4], v[41:42]
	v_div_scale_f64 v[39:40], null, v[5:6], v[5:6], 1.0
	v_rcp_f64_e32 v[41:42], v[39:40]
	v_fma_f64 v[43:44], -v[39:40], v[41:42], 1.0
	v_fma_f64 v[41:42], v[41:42], v[43:44], v[41:42]
	v_fma_f64 v[43:44], -v[39:40], v[41:42], 1.0
	v_fma_f64 v[41:42], v[41:42], v[43:44], v[41:42]
	v_div_scale_f64 v[43:44], vcc_lo, 1.0, v[5:6], 1.0
	v_mul_f64 v[47:48], v[43:44], v[41:42]
	v_fma_f64 v[39:40], -v[39:40], v[47:48], v[43:44]
	v_div_fmas_f64 v[39:40], v[39:40], v[41:42], v[47:48]
	v_div_fixup_f64 v[39:40], v[39:40], v[5:6], 1.0
	v_mul_f64 v[5:6], v[3:4], -v[39:40]
	v_xor_b32_e32 v4, 0x80000000, v40
	v_mov_b32_e32 v3, v39
.LBB79_17:
	s_or_b32 exec_lo, exec_lo, s7
	v_mov_b32_e32 v44, s28
	buffer_store_dword v40, v46, s[0:3], 0 offen offset:4
	buffer_store_dword v39, v46, s[0:3], 0 offen
	buffer_store_dword v6, v46, s[0:3], 0 offen offset:12
	buffer_store_dword v5, v46, s[0:3], 0 offen offset:8
	v_xor_b32_e32 v6, 0x80000000, v6
	v_add_nc_u32_e32 v39, 0x100, v45
	s_clause 0x3
	buffer_load_dword v43, v44, s[0:3], 0 offen offset:12
	buffer_load_dword v42, v44, s[0:3], 0 offen offset:8
	;; [unrolled: 1-line block ×3, first 2 shown]
	buffer_load_dword v40, v44, s[0:3], 0 offen
	ds_write_b128 v45, v[3:6]
	s_waitcnt vmcnt(0)
	ds_write_b128 v45, v[40:43] offset:256
	s_waitcnt lgkmcnt(0)
	s_waitcnt_vscnt null, 0x0
	s_barrier
	buffer_gl0_inv
	s_and_saveexec_b32 s7, s6
	s_cbranch_execz .LBB79_19
; %bb.18:
	s_clause 0x3
	buffer_load_dword v47, v46, s[0:3], 0 offen offset:8
	buffer_load_dword v48, v46, s[0:3], 0 offen offset:12
	buffer_load_dword v49, v46, s[0:3], 0 offen
	buffer_load_dword v50, v46, s[0:3], 0 offen offset:4
	ds_read_b128 v[3:6], v39
	v_mov_b32_e32 v40, 0
	ds_read_b128 v[40:43], v40 offset:16
	s_waitcnt vmcnt(2) lgkmcnt(1)
	v_mul_f64 v[51:52], v[3:4], v[47:48]
	v_mul_f64 v[47:48], v[5:6], v[47:48]
	s_waitcnt vmcnt(0)
	v_fma_f64 v[5:6], v[5:6], v[49:50], v[51:52]
	v_fma_f64 v[3:4], v[3:4], v[49:50], -v[47:48]
	v_add_f64 v[5:6], v[5:6], 0
	v_add_f64 v[3:4], v[3:4], 0
	s_waitcnt lgkmcnt(0)
	v_mul_f64 v[47:48], v[5:6], v[42:43]
	v_mul_f64 v[42:43], v[3:4], v[42:43]
	v_fma_f64 v[3:4], v[3:4], v[40:41], -v[47:48]
	v_fma_f64 v[5:6], v[5:6], v[40:41], v[42:43]
	buffer_store_dword v3, off, s[0:3], 0 offset:16
	buffer_store_dword v4, off, s[0:3], 0 offset:20
	;; [unrolled: 1-line block ×4, first 2 shown]
.LBB79_19:
	s_or_b32 exec_lo, exec_lo, s7
	v_mov_b32_e32 v6, s27
	s_waitcnt_vscnt null, 0x0
	s_barrier
	buffer_gl0_inv
	s_mov_b32 s7, exec_lo
	s_clause 0x3
	buffer_load_dword v3, v6, s[0:3], 0 offen
	buffer_load_dword v4, v6, s[0:3], 0 offen offset:4
	buffer_load_dword v5, v6, s[0:3], 0 offen offset:8
	;; [unrolled: 1-line block ×3, first 2 shown]
	s_waitcnt vmcnt(0)
	ds_write_b128 v39, v[3:6]
	s_waitcnt lgkmcnt(0)
	s_barrier
	buffer_gl0_inv
	v_cmpx_gt_u32_e32 2, v0
	s_cbranch_execz .LBB79_23
; %bb.20:
	s_clause 0x3
	buffer_load_dword v40, v46, s[0:3], 0 offen offset:8
	buffer_load_dword v41, v46, s[0:3], 0 offen offset:12
	buffer_load_dword v42, v46, s[0:3], 0 offen
	buffer_load_dword v43, v46, s[0:3], 0 offen offset:4
	ds_read_b128 v[3:6], v39
	s_waitcnt vmcnt(2) lgkmcnt(0)
	v_mul_f64 v[46:47], v[5:6], v[40:41]
	v_mul_f64 v[40:41], v[3:4], v[40:41]
	s_waitcnt vmcnt(0)
	v_fma_f64 v[3:4], v[3:4], v[42:43], -v[46:47]
	v_fma_f64 v[5:6], v[5:6], v[42:43], v[40:41]
	v_add_f64 v[3:4], v[3:4], 0
	v_add_f64 v[5:6], v[5:6], 0
	s_and_saveexec_b32 s30, s6
	s_cbranch_execz .LBB79_22
; %bb.21:
	s_clause 0x3
	buffer_load_dword v46, off, s[0:3], 0 offset:24
	buffer_load_dword v47, off, s[0:3], 0 offset:28
	;; [unrolled: 1-line block ×4, first 2 shown]
	v_mov_b32_e32 v40, 0
	ds_read_b128 v[40:43], v40 offset:272
	s_waitcnt vmcnt(2) lgkmcnt(0)
	v_mul_f64 v[50:51], v[40:41], v[46:47]
	v_mul_f64 v[46:47], v[42:43], v[46:47]
	s_waitcnt vmcnt(0)
	v_fma_f64 v[42:43], v[42:43], v[48:49], v[50:51]
	v_fma_f64 v[40:41], v[40:41], v[48:49], -v[46:47]
	v_add_f64 v[5:6], v[5:6], v[42:43]
	v_add_f64 v[3:4], v[3:4], v[40:41]
.LBB79_22:
	s_or_b32 exec_lo, exec_lo, s30
	v_mov_b32_e32 v40, 0
	ds_read_b128 v[40:43], v40 offset:32
	s_waitcnt lgkmcnt(0)
	v_mul_f64 v[46:47], v[5:6], v[42:43]
	v_mul_f64 v[42:43], v[3:4], v[42:43]
	v_fma_f64 v[3:4], v[3:4], v[40:41], -v[46:47]
	v_fma_f64 v[5:6], v[5:6], v[40:41], v[42:43]
	buffer_store_dword v4, off, s[0:3], 0 offset:36
	buffer_store_dword v3, off, s[0:3], 0 offset:32
	;; [unrolled: 1-line block ×4, first 2 shown]
.LBB79_23:
	s_or_b32 exec_lo, exec_lo, s7
	v_mov_b32_e32 v6, s26
	s_waitcnt_vscnt null, 0x0
	s_barrier
	buffer_gl0_inv
	v_add_nc_u32_e32 v40, -1, v0
	s_clause 0x3
	buffer_load_dword v3, v6, s[0:3], 0 offen
	buffer_load_dword v4, v6, s[0:3], 0 offen offset:4
	buffer_load_dword v5, v6, s[0:3], 0 offen offset:8
	;; [unrolled: 1-line block ×3, first 2 shown]
	s_mov_b32 s6, exec_lo
	s_waitcnt vmcnt(0)
	ds_write_b128 v39, v[3:6]
	s_waitcnt lgkmcnt(0)
	s_barrier
	buffer_gl0_inv
	v_cmpx_gt_u32_e32 3, v0
	s_cbranch_execz .LBB79_27
; %bb.24:
	v_mov_b32_e32 v3, 0
	v_mov_b32_e32 v5, 0
	v_add_nc_u32_e32 v41, -1, v0
	v_add_nc_u32_e32 v42, 0x100, v45
	v_mov_b32_e32 v4, 0
	v_mov_b32_e32 v6, 0
	;; [unrolled: 1-line block ×3, first 2 shown]
	s_mov_b32 s7, 0
	.p2align	6
.LBB79_25:                              ; =>This Inner Loop Header: Depth=1
	s_clause 0x3
	buffer_load_dword v50, v43, s[0:3], 0 offen offset:8
	buffer_load_dword v51, v43, s[0:3], 0 offen offset:12
	buffer_load_dword v52, v43, s[0:3], 0 offen
	buffer_load_dword v53, v43, s[0:3], 0 offen offset:4
	ds_read_b128 v[46:49], v42
	v_add_nc_u32_e32 v41, 1, v41
	v_add_nc_u32_e32 v42, 16, v42
	;; [unrolled: 1-line block ×3, first 2 shown]
	v_cmp_lt_u32_e32 vcc_lo, 1, v41
	s_or_b32 s7, vcc_lo, s7
	s_waitcnt vmcnt(2) lgkmcnt(0)
	v_mul_f64 v[54:55], v[48:49], v[50:51]
	v_mul_f64 v[50:51], v[46:47], v[50:51]
	s_waitcnt vmcnt(0)
	v_fma_f64 v[46:47], v[46:47], v[52:53], -v[54:55]
	v_fma_f64 v[48:49], v[48:49], v[52:53], v[50:51]
	v_add_f64 v[5:6], v[5:6], v[46:47]
	v_add_f64 v[3:4], v[3:4], v[48:49]
	s_andn2_b32 exec_lo, exec_lo, s7
	s_cbranch_execnz .LBB79_25
; %bb.26:
	s_or_b32 exec_lo, exec_lo, s7
	v_mov_b32_e32 v41, 0
	ds_read_b128 v[41:44], v41 offset:48
	s_waitcnt lgkmcnt(0)
	v_mul_f64 v[46:47], v[3:4], v[43:44]
	v_mul_f64 v[43:44], v[5:6], v[43:44]
	v_fma_f64 v[5:6], v[5:6], v[41:42], -v[46:47]
	v_fma_f64 v[3:4], v[3:4], v[41:42], v[43:44]
	buffer_store_dword v6, off, s[0:3], 0 offset:52
	buffer_store_dword v5, off, s[0:3], 0 offset:48
	;; [unrolled: 1-line block ×4, first 2 shown]
.LBB79_27:
	s_or_b32 exec_lo, exec_lo, s6
	v_mov_b32_e32 v6, s25
	s_waitcnt_vscnt null, 0x0
	s_barrier
	buffer_gl0_inv
	s_mov_b32 s6, exec_lo
	s_clause 0x3
	buffer_load_dword v3, v6, s[0:3], 0 offen
	buffer_load_dword v4, v6, s[0:3], 0 offen offset:4
	buffer_load_dword v5, v6, s[0:3], 0 offen offset:8
	;; [unrolled: 1-line block ×3, first 2 shown]
	s_waitcnt vmcnt(0)
	ds_write_b128 v39, v[3:6]
	s_waitcnt lgkmcnt(0)
	s_barrier
	buffer_gl0_inv
	v_cmpx_gt_u32_e32 4, v0
	s_cbranch_execz .LBB79_31
; %bb.28:
	v_mov_b32_e32 v3, 0
	v_mov_b32_e32 v5, 0
	v_add_nc_u32_e32 v41, -1, v0
	v_add_nc_u32_e32 v42, 0x100, v45
	v_mov_b32_e32 v4, 0
	v_mov_b32_e32 v6, 0
	;; [unrolled: 1-line block ×3, first 2 shown]
	s_mov_b32 s7, 0
	.p2align	6
.LBB79_29:                              ; =>This Inner Loop Header: Depth=1
	s_clause 0x3
	buffer_load_dword v50, v43, s[0:3], 0 offen offset:8
	buffer_load_dword v51, v43, s[0:3], 0 offen offset:12
	buffer_load_dword v52, v43, s[0:3], 0 offen
	buffer_load_dword v53, v43, s[0:3], 0 offen offset:4
	ds_read_b128 v[46:49], v42
	v_add_nc_u32_e32 v41, 1, v41
	v_add_nc_u32_e32 v42, 16, v42
	;; [unrolled: 1-line block ×3, first 2 shown]
	v_cmp_lt_u32_e32 vcc_lo, 2, v41
	s_or_b32 s7, vcc_lo, s7
	s_waitcnt vmcnt(2) lgkmcnt(0)
	v_mul_f64 v[54:55], v[48:49], v[50:51]
	v_mul_f64 v[50:51], v[46:47], v[50:51]
	s_waitcnt vmcnt(0)
	v_fma_f64 v[46:47], v[46:47], v[52:53], -v[54:55]
	v_fma_f64 v[48:49], v[48:49], v[52:53], v[50:51]
	v_add_f64 v[5:6], v[5:6], v[46:47]
	v_add_f64 v[3:4], v[3:4], v[48:49]
	s_andn2_b32 exec_lo, exec_lo, s7
	s_cbranch_execnz .LBB79_29
; %bb.30:
	s_or_b32 exec_lo, exec_lo, s7
	v_mov_b32_e32 v41, 0
	ds_read_b128 v[41:44], v41 offset:64
	s_waitcnt lgkmcnt(0)
	v_mul_f64 v[46:47], v[3:4], v[43:44]
	v_mul_f64 v[43:44], v[5:6], v[43:44]
	v_fma_f64 v[5:6], v[5:6], v[41:42], -v[46:47]
	v_fma_f64 v[3:4], v[3:4], v[41:42], v[43:44]
	buffer_store_dword v6, off, s[0:3], 0 offset:68
	buffer_store_dword v5, off, s[0:3], 0 offset:64
	;; [unrolled: 1-line block ×4, first 2 shown]
.LBB79_31:
	s_or_b32 exec_lo, exec_lo, s6
	v_mov_b32_e32 v6, s24
	s_waitcnt_vscnt null, 0x0
	s_barrier
	buffer_gl0_inv
	s_mov_b32 s6, exec_lo
	s_clause 0x3
	buffer_load_dword v3, v6, s[0:3], 0 offen
	buffer_load_dword v4, v6, s[0:3], 0 offen offset:4
	buffer_load_dword v5, v6, s[0:3], 0 offen offset:8
	;; [unrolled: 1-line block ×3, first 2 shown]
	s_waitcnt vmcnt(0)
	ds_write_b128 v39, v[3:6]
	s_waitcnt lgkmcnt(0)
	s_barrier
	buffer_gl0_inv
	v_cmpx_gt_u32_e32 5, v0
	s_cbranch_execz .LBB79_35
; %bb.32:
	v_mov_b32_e32 v3, 0
	v_mov_b32_e32 v5, 0
	v_add_nc_u32_e32 v41, -1, v0
	v_add_nc_u32_e32 v42, 0x100, v45
	v_mov_b32_e32 v4, 0
	v_mov_b32_e32 v6, 0
	;; [unrolled: 1-line block ×3, first 2 shown]
	s_mov_b32 s7, 0
	.p2align	6
.LBB79_33:                              ; =>This Inner Loop Header: Depth=1
	s_clause 0x3
	buffer_load_dword v50, v43, s[0:3], 0 offen offset:8
	buffer_load_dword v51, v43, s[0:3], 0 offen offset:12
	buffer_load_dword v52, v43, s[0:3], 0 offen
	buffer_load_dword v53, v43, s[0:3], 0 offen offset:4
	ds_read_b128 v[46:49], v42
	v_add_nc_u32_e32 v41, 1, v41
	v_add_nc_u32_e32 v42, 16, v42
	v_add_nc_u32_e32 v43, 16, v43
	v_cmp_lt_u32_e32 vcc_lo, 3, v41
	s_or_b32 s7, vcc_lo, s7
	s_waitcnt vmcnt(2) lgkmcnt(0)
	v_mul_f64 v[54:55], v[48:49], v[50:51]
	v_mul_f64 v[50:51], v[46:47], v[50:51]
	s_waitcnt vmcnt(0)
	v_fma_f64 v[46:47], v[46:47], v[52:53], -v[54:55]
	v_fma_f64 v[48:49], v[48:49], v[52:53], v[50:51]
	v_add_f64 v[5:6], v[5:6], v[46:47]
	v_add_f64 v[3:4], v[3:4], v[48:49]
	s_andn2_b32 exec_lo, exec_lo, s7
	s_cbranch_execnz .LBB79_33
; %bb.34:
	s_or_b32 exec_lo, exec_lo, s7
	v_mov_b32_e32 v41, 0
	ds_read_b128 v[41:44], v41 offset:80
	s_waitcnt lgkmcnt(0)
	v_mul_f64 v[46:47], v[3:4], v[43:44]
	v_mul_f64 v[43:44], v[5:6], v[43:44]
	v_fma_f64 v[5:6], v[5:6], v[41:42], -v[46:47]
	v_fma_f64 v[3:4], v[3:4], v[41:42], v[43:44]
	buffer_store_dword v6, off, s[0:3], 0 offset:84
	buffer_store_dword v5, off, s[0:3], 0 offset:80
	;; [unrolled: 1-line block ×4, first 2 shown]
.LBB79_35:
	s_or_b32 exec_lo, exec_lo, s6
	v_mov_b32_e32 v6, s23
	s_waitcnt_vscnt null, 0x0
	s_barrier
	buffer_gl0_inv
	s_mov_b32 s6, exec_lo
	s_clause 0x3
	buffer_load_dword v3, v6, s[0:3], 0 offen
	buffer_load_dword v4, v6, s[0:3], 0 offen offset:4
	buffer_load_dword v5, v6, s[0:3], 0 offen offset:8
	buffer_load_dword v6, v6, s[0:3], 0 offen offset:12
	s_waitcnt vmcnt(0)
	ds_write_b128 v39, v[3:6]
	s_waitcnt lgkmcnt(0)
	s_barrier
	buffer_gl0_inv
	v_cmpx_gt_u32_e32 6, v0
	s_cbranch_execz .LBB79_39
; %bb.36:
	v_mov_b32_e32 v3, 0
	v_mov_b32_e32 v5, 0
	v_add_nc_u32_e32 v41, -1, v0
	v_add_nc_u32_e32 v42, 0x100, v45
	v_mov_b32_e32 v4, 0
	v_mov_b32_e32 v6, 0
	v_mov_b32_e32 v43, v45
	s_mov_b32 s7, 0
	.p2align	6
.LBB79_37:                              ; =>This Inner Loop Header: Depth=1
	s_clause 0x3
	buffer_load_dword v50, v43, s[0:3], 0 offen offset:8
	buffer_load_dword v51, v43, s[0:3], 0 offen offset:12
	buffer_load_dword v52, v43, s[0:3], 0 offen
	buffer_load_dword v53, v43, s[0:3], 0 offen offset:4
	ds_read_b128 v[46:49], v42
	v_add_nc_u32_e32 v41, 1, v41
	v_add_nc_u32_e32 v42, 16, v42
	;; [unrolled: 1-line block ×3, first 2 shown]
	v_cmp_lt_u32_e32 vcc_lo, 4, v41
	s_or_b32 s7, vcc_lo, s7
	s_waitcnt vmcnt(2) lgkmcnt(0)
	v_mul_f64 v[54:55], v[48:49], v[50:51]
	v_mul_f64 v[50:51], v[46:47], v[50:51]
	s_waitcnt vmcnt(0)
	v_fma_f64 v[46:47], v[46:47], v[52:53], -v[54:55]
	v_fma_f64 v[48:49], v[48:49], v[52:53], v[50:51]
	v_add_f64 v[5:6], v[5:6], v[46:47]
	v_add_f64 v[3:4], v[3:4], v[48:49]
	s_andn2_b32 exec_lo, exec_lo, s7
	s_cbranch_execnz .LBB79_37
; %bb.38:
	s_or_b32 exec_lo, exec_lo, s7
	v_mov_b32_e32 v41, 0
	ds_read_b128 v[41:44], v41 offset:96
	s_waitcnt lgkmcnt(0)
	v_mul_f64 v[46:47], v[3:4], v[43:44]
	v_mul_f64 v[43:44], v[5:6], v[43:44]
	v_fma_f64 v[5:6], v[5:6], v[41:42], -v[46:47]
	v_fma_f64 v[3:4], v[3:4], v[41:42], v[43:44]
	buffer_store_dword v6, off, s[0:3], 0 offset:100
	buffer_store_dword v5, off, s[0:3], 0 offset:96
	;; [unrolled: 1-line block ×4, first 2 shown]
.LBB79_39:
	s_or_b32 exec_lo, exec_lo, s6
	v_mov_b32_e32 v6, s22
	s_waitcnt_vscnt null, 0x0
	s_barrier
	buffer_gl0_inv
	s_mov_b32 s6, exec_lo
	s_clause 0x3
	buffer_load_dword v3, v6, s[0:3], 0 offen
	buffer_load_dword v4, v6, s[0:3], 0 offen offset:4
	buffer_load_dword v5, v6, s[0:3], 0 offen offset:8
	;; [unrolled: 1-line block ×3, first 2 shown]
	s_waitcnt vmcnt(0)
	ds_write_b128 v39, v[3:6]
	s_waitcnt lgkmcnt(0)
	s_barrier
	buffer_gl0_inv
	v_cmpx_gt_u32_e32 7, v0
	s_cbranch_execz .LBB79_43
; %bb.40:
	v_mov_b32_e32 v3, 0
	v_mov_b32_e32 v5, 0
	v_add_nc_u32_e32 v41, -1, v0
	v_add_nc_u32_e32 v42, 0x100, v45
	v_mov_b32_e32 v4, 0
	v_mov_b32_e32 v6, 0
	;; [unrolled: 1-line block ×3, first 2 shown]
	s_mov_b32 s7, 0
	.p2align	6
.LBB79_41:                              ; =>This Inner Loop Header: Depth=1
	s_clause 0x3
	buffer_load_dword v50, v43, s[0:3], 0 offen offset:8
	buffer_load_dword v51, v43, s[0:3], 0 offen offset:12
	buffer_load_dword v52, v43, s[0:3], 0 offen
	buffer_load_dword v53, v43, s[0:3], 0 offen offset:4
	ds_read_b128 v[46:49], v42
	v_add_nc_u32_e32 v41, 1, v41
	v_add_nc_u32_e32 v42, 16, v42
	;; [unrolled: 1-line block ×3, first 2 shown]
	v_cmp_lt_u32_e32 vcc_lo, 5, v41
	s_or_b32 s7, vcc_lo, s7
	s_waitcnt vmcnt(2) lgkmcnt(0)
	v_mul_f64 v[54:55], v[48:49], v[50:51]
	v_mul_f64 v[50:51], v[46:47], v[50:51]
	s_waitcnt vmcnt(0)
	v_fma_f64 v[46:47], v[46:47], v[52:53], -v[54:55]
	v_fma_f64 v[48:49], v[48:49], v[52:53], v[50:51]
	v_add_f64 v[5:6], v[5:6], v[46:47]
	v_add_f64 v[3:4], v[3:4], v[48:49]
	s_andn2_b32 exec_lo, exec_lo, s7
	s_cbranch_execnz .LBB79_41
; %bb.42:
	s_or_b32 exec_lo, exec_lo, s7
	v_mov_b32_e32 v41, 0
	ds_read_b128 v[41:44], v41 offset:112
	s_waitcnt lgkmcnt(0)
	v_mul_f64 v[46:47], v[3:4], v[43:44]
	v_mul_f64 v[43:44], v[5:6], v[43:44]
	v_fma_f64 v[5:6], v[5:6], v[41:42], -v[46:47]
	v_fma_f64 v[3:4], v[3:4], v[41:42], v[43:44]
	buffer_store_dword v6, off, s[0:3], 0 offset:116
	buffer_store_dword v5, off, s[0:3], 0 offset:112
	;; [unrolled: 1-line block ×4, first 2 shown]
.LBB79_43:
	s_or_b32 exec_lo, exec_lo, s6
	v_mov_b32_e32 v6, s21
	s_waitcnt_vscnt null, 0x0
	s_barrier
	buffer_gl0_inv
	s_mov_b32 s6, exec_lo
	s_clause 0x3
	buffer_load_dword v3, v6, s[0:3], 0 offen
	buffer_load_dword v4, v6, s[0:3], 0 offen offset:4
	buffer_load_dword v5, v6, s[0:3], 0 offen offset:8
	;; [unrolled: 1-line block ×3, first 2 shown]
	s_waitcnt vmcnt(0)
	ds_write_b128 v39, v[3:6]
	s_waitcnt lgkmcnt(0)
	s_barrier
	buffer_gl0_inv
	v_cmpx_gt_u32_e32 8, v0
	s_cbranch_execz .LBB79_47
; %bb.44:
	v_mov_b32_e32 v3, 0
	v_mov_b32_e32 v5, 0
	v_add_nc_u32_e32 v41, -1, v0
	v_add_nc_u32_e32 v42, 0x100, v45
	v_mov_b32_e32 v4, 0
	v_mov_b32_e32 v6, 0
	;; [unrolled: 1-line block ×3, first 2 shown]
	s_mov_b32 s7, 0
	.p2align	6
.LBB79_45:                              ; =>This Inner Loop Header: Depth=1
	s_clause 0x3
	buffer_load_dword v50, v43, s[0:3], 0 offen offset:8
	buffer_load_dword v51, v43, s[0:3], 0 offen offset:12
	buffer_load_dword v52, v43, s[0:3], 0 offen
	buffer_load_dword v53, v43, s[0:3], 0 offen offset:4
	ds_read_b128 v[46:49], v42
	v_add_nc_u32_e32 v41, 1, v41
	v_add_nc_u32_e32 v42, 16, v42
	;; [unrolled: 1-line block ×3, first 2 shown]
	v_cmp_lt_u32_e32 vcc_lo, 6, v41
	s_or_b32 s7, vcc_lo, s7
	s_waitcnt vmcnt(2) lgkmcnt(0)
	v_mul_f64 v[54:55], v[48:49], v[50:51]
	v_mul_f64 v[50:51], v[46:47], v[50:51]
	s_waitcnt vmcnt(0)
	v_fma_f64 v[46:47], v[46:47], v[52:53], -v[54:55]
	v_fma_f64 v[48:49], v[48:49], v[52:53], v[50:51]
	v_add_f64 v[5:6], v[5:6], v[46:47]
	v_add_f64 v[3:4], v[3:4], v[48:49]
	s_andn2_b32 exec_lo, exec_lo, s7
	s_cbranch_execnz .LBB79_45
; %bb.46:
	s_or_b32 exec_lo, exec_lo, s7
	v_mov_b32_e32 v41, 0
	ds_read_b128 v[41:44], v41 offset:128
	s_waitcnt lgkmcnt(0)
	v_mul_f64 v[46:47], v[3:4], v[43:44]
	v_mul_f64 v[43:44], v[5:6], v[43:44]
	v_fma_f64 v[5:6], v[5:6], v[41:42], -v[46:47]
	v_fma_f64 v[3:4], v[3:4], v[41:42], v[43:44]
	buffer_store_dword v6, off, s[0:3], 0 offset:132
	buffer_store_dword v5, off, s[0:3], 0 offset:128
	;; [unrolled: 1-line block ×4, first 2 shown]
.LBB79_47:
	s_or_b32 exec_lo, exec_lo, s6
	v_mov_b32_e32 v6, s20
	s_waitcnt_vscnt null, 0x0
	s_barrier
	buffer_gl0_inv
	s_mov_b32 s6, exec_lo
	s_clause 0x3
	buffer_load_dword v3, v6, s[0:3], 0 offen
	buffer_load_dword v4, v6, s[0:3], 0 offen offset:4
	buffer_load_dword v5, v6, s[0:3], 0 offen offset:8
	;; [unrolled: 1-line block ×3, first 2 shown]
	s_waitcnt vmcnt(0)
	ds_write_b128 v39, v[3:6]
	s_waitcnt lgkmcnt(0)
	s_barrier
	buffer_gl0_inv
	v_cmpx_gt_u32_e32 9, v0
	s_cbranch_execz .LBB79_51
; %bb.48:
	v_mov_b32_e32 v3, 0
	v_mov_b32_e32 v5, 0
	v_add_nc_u32_e32 v41, -1, v0
	v_add_nc_u32_e32 v42, 0x100, v45
	v_mov_b32_e32 v4, 0
	v_mov_b32_e32 v6, 0
	;; [unrolled: 1-line block ×3, first 2 shown]
	s_mov_b32 s7, 0
	.p2align	6
.LBB79_49:                              ; =>This Inner Loop Header: Depth=1
	s_clause 0x3
	buffer_load_dword v50, v43, s[0:3], 0 offen offset:8
	buffer_load_dword v51, v43, s[0:3], 0 offen offset:12
	buffer_load_dword v52, v43, s[0:3], 0 offen
	buffer_load_dword v53, v43, s[0:3], 0 offen offset:4
	ds_read_b128 v[46:49], v42
	v_add_nc_u32_e32 v41, 1, v41
	v_add_nc_u32_e32 v42, 16, v42
	;; [unrolled: 1-line block ×3, first 2 shown]
	v_cmp_lt_u32_e32 vcc_lo, 7, v41
	s_or_b32 s7, vcc_lo, s7
	s_waitcnt vmcnt(2) lgkmcnt(0)
	v_mul_f64 v[54:55], v[48:49], v[50:51]
	v_mul_f64 v[50:51], v[46:47], v[50:51]
	s_waitcnt vmcnt(0)
	v_fma_f64 v[46:47], v[46:47], v[52:53], -v[54:55]
	v_fma_f64 v[48:49], v[48:49], v[52:53], v[50:51]
	v_add_f64 v[5:6], v[5:6], v[46:47]
	v_add_f64 v[3:4], v[3:4], v[48:49]
	s_andn2_b32 exec_lo, exec_lo, s7
	s_cbranch_execnz .LBB79_49
; %bb.50:
	s_or_b32 exec_lo, exec_lo, s7
	v_mov_b32_e32 v41, 0
	ds_read_b128 v[41:44], v41 offset:144
	s_waitcnt lgkmcnt(0)
	v_mul_f64 v[46:47], v[3:4], v[43:44]
	v_mul_f64 v[43:44], v[5:6], v[43:44]
	v_fma_f64 v[5:6], v[5:6], v[41:42], -v[46:47]
	v_fma_f64 v[3:4], v[3:4], v[41:42], v[43:44]
	buffer_store_dword v6, off, s[0:3], 0 offset:148
	buffer_store_dword v5, off, s[0:3], 0 offset:144
	;; [unrolled: 1-line block ×4, first 2 shown]
.LBB79_51:
	s_or_b32 exec_lo, exec_lo, s6
	v_mov_b32_e32 v6, s19
	s_waitcnt_vscnt null, 0x0
	s_barrier
	buffer_gl0_inv
	s_mov_b32 s6, exec_lo
	s_clause 0x3
	buffer_load_dword v3, v6, s[0:3], 0 offen
	buffer_load_dword v4, v6, s[0:3], 0 offen offset:4
	buffer_load_dword v5, v6, s[0:3], 0 offen offset:8
	;; [unrolled: 1-line block ×3, first 2 shown]
	s_waitcnt vmcnt(0)
	ds_write_b128 v39, v[3:6]
	s_waitcnt lgkmcnt(0)
	s_barrier
	buffer_gl0_inv
	v_cmpx_gt_u32_e32 10, v0
	s_cbranch_execz .LBB79_55
; %bb.52:
	v_mov_b32_e32 v3, 0
	v_mov_b32_e32 v5, 0
	v_add_nc_u32_e32 v41, -1, v0
	v_add_nc_u32_e32 v42, 0x100, v45
	v_mov_b32_e32 v4, 0
	v_mov_b32_e32 v6, 0
	v_mov_b32_e32 v43, v45
	s_mov_b32 s7, 0
	.p2align	6
.LBB79_53:                              ; =>This Inner Loop Header: Depth=1
	s_clause 0x3
	buffer_load_dword v50, v43, s[0:3], 0 offen offset:8
	buffer_load_dword v51, v43, s[0:3], 0 offen offset:12
	buffer_load_dword v52, v43, s[0:3], 0 offen
	buffer_load_dword v53, v43, s[0:3], 0 offen offset:4
	ds_read_b128 v[46:49], v42
	v_add_nc_u32_e32 v41, 1, v41
	v_add_nc_u32_e32 v42, 16, v42
	;; [unrolled: 1-line block ×3, first 2 shown]
	v_cmp_lt_u32_e32 vcc_lo, 8, v41
	s_or_b32 s7, vcc_lo, s7
	s_waitcnt vmcnt(2) lgkmcnt(0)
	v_mul_f64 v[54:55], v[48:49], v[50:51]
	v_mul_f64 v[50:51], v[46:47], v[50:51]
	s_waitcnt vmcnt(0)
	v_fma_f64 v[46:47], v[46:47], v[52:53], -v[54:55]
	v_fma_f64 v[48:49], v[48:49], v[52:53], v[50:51]
	v_add_f64 v[5:6], v[5:6], v[46:47]
	v_add_f64 v[3:4], v[3:4], v[48:49]
	s_andn2_b32 exec_lo, exec_lo, s7
	s_cbranch_execnz .LBB79_53
; %bb.54:
	s_or_b32 exec_lo, exec_lo, s7
	v_mov_b32_e32 v41, 0
	ds_read_b128 v[41:44], v41 offset:160
	s_waitcnt lgkmcnt(0)
	v_mul_f64 v[46:47], v[3:4], v[43:44]
	v_mul_f64 v[43:44], v[5:6], v[43:44]
	v_fma_f64 v[5:6], v[5:6], v[41:42], -v[46:47]
	v_fma_f64 v[3:4], v[3:4], v[41:42], v[43:44]
	buffer_store_dword v6, off, s[0:3], 0 offset:164
	buffer_store_dword v5, off, s[0:3], 0 offset:160
	;; [unrolled: 1-line block ×4, first 2 shown]
.LBB79_55:
	s_or_b32 exec_lo, exec_lo, s6
	v_mov_b32_e32 v6, s18
	s_waitcnt_vscnt null, 0x0
	s_barrier
	buffer_gl0_inv
	s_mov_b32 s6, exec_lo
	s_clause 0x3
	buffer_load_dword v3, v6, s[0:3], 0 offen
	buffer_load_dword v4, v6, s[0:3], 0 offen offset:4
	buffer_load_dword v5, v6, s[0:3], 0 offen offset:8
	;; [unrolled: 1-line block ×3, first 2 shown]
	s_waitcnt vmcnt(0)
	ds_write_b128 v39, v[3:6]
	s_waitcnt lgkmcnt(0)
	s_barrier
	buffer_gl0_inv
	v_cmpx_gt_u32_e32 11, v0
	s_cbranch_execz .LBB79_59
; %bb.56:
	v_mov_b32_e32 v3, 0
	v_mov_b32_e32 v5, 0
	v_add_nc_u32_e32 v41, -1, v0
	v_add_nc_u32_e32 v42, 0x100, v45
	v_mov_b32_e32 v4, 0
	v_mov_b32_e32 v6, 0
	;; [unrolled: 1-line block ×3, first 2 shown]
	s_mov_b32 s7, 0
	.p2align	6
.LBB79_57:                              ; =>This Inner Loop Header: Depth=1
	s_clause 0x3
	buffer_load_dword v50, v43, s[0:3], 0 offen offset:8
	buffer_load_dword v51, v43, s[0:3], 0 offen offset:12
	buffer_load_dword v52, v43, s[0:3], 0 offen
	buffer_load_dword v53, v43, s[0:3], 0 offen offset:4
	ds_read_b128 v[46:49], v42
	v_add_nc_u32_e32 v41, 1, v41
	v_add_nc_u32_e32 v42, 16, v42
	;; [unrolled: 1-line block ×3, first 2 shown]
	v_cmp_lt_u32_e32 vcc_lo, 9, v41
	s_or_b32 s7, vcc_lo, s7
	s_waitcnt vmcnt(2) lgkmcnt(0)
	v_mul_f64 v[54:55], v[48:49], v[50:51]
	v_mul_f64 v[50:51], v[46:47], v[50:51]
	s_waitcnt vmcnt(0)
	v_fma_f64 v[46:47], v[46:47], v[52:53], -v[54:55]
	v_fma_f64 v[48:49], v[48:49], v[52:53], v[50:51]
	v_add_f64 v[5:6], v[5:6], v[46:47]
	v_add_f64 v[3:4], v[3:4], v[48:49]
	s_andn2_b32 exec_lo, exec_lo, s7
	s_cbranch_execnz .LBB79_57
; %bb.58:
	s_or_b32 exec_lo, exec_lo, s7
	v_mov_b32_e32 v41, 0
	ds_read_b128 v[41:44], v41 offset:176
	s_waitcnt lgkmcnt(0)
	v_mul_f64 v[46:47], v[3:4], v[43:44]
	v_mul_f64 v[43:44], v[5:6], v[43:44]
	v_fma_f64 v[5:6], v[5:6], v[41:42], -v[46:47]
	v_fma_f64 v[3:4], v[3:4], v[41:42], v[43:44]
	buffer_store_dword v6, off, s[0:3], 0 offset:180
	buffer_store_dword v5, off, s[0:3], 0 offset:176
	buffer_store_dword v4, off, s[0:3], 0 offset:188
	buffer_store_dword v3, off, s[0:3], 0 offset:184
.LBB79_59:
	s_or_b32 exec_lo, exec_lo, s6
	v_mov_b32_e32 v6, s17
	s_waitcnt_vscnt null, 0x0
	s_barrier
	buffer_gl0_inv
	s_mov_b32 s6, exec_lo
	s_clause 0x3
	buffer_load_dword v3, v6, s[0:3], 0 offen
	buffer_load_dword v4, v6, s[0:3], 0 offen offset:4
	buffer_load_dword v5, v6, s[0:3], 0 offen offset:8
	;; [unrolled: 1-line block ×3, first 2 shown]
	s_waitcnt vmcnt(0)
	ds_write_b128 v39, v[3:6]
	s_waitcnt lgkmcnt(0)
	s_barrier
	buffer_gl0_inv
	v_cmpx_gt_u32_e32 12, v0
	s_cbranch_execz .LBB79_63
; %bb.60:
	v_mov_b32_e32 v3, 0
	v_mov_b32_e32 v5, 0
	v_add_nc_u32_e32 v41, -1, v0
	v_add_nc_u32_e32 v42, 0x100, v45
	v_mov_b32_e32 v4, 0
	v_mov_b32_e32 v6, 0
	;; [unrolled: 1-line block ×3, first 2 shown]
	s_mov_b32 s7, 0
	.p2align	6
.LBB79_61:                              ; =>This Inner Loop Header: Depth=1
	s_clause 0x3
	buffer_load_dword v50, v43, s[0:3], 0 offen offset:8
	buffer_load_dword v51, v43, s[0:3], 0 offen offset:12
	buffer_load_dword v52, v43, s[0:3], 0 offen
	buffer_load_dword v53, v43, s[0:3], 0 offen offset:4
	ds_read_b128 v[46:49], v42
	v_add_nc_u32_e32 v41, 1, v41
	v_add_nc_u32_e32 v42, 16, v42
	v_add_nc_u32_e32 v43, 16, v43
	v_cmp_lt_u32_e32 vcc_lo, 10, v41
	s_or_b32 s7, vcc_lo, s7
	s_waitcnt vmcnt(2) lgkmcnt(0)
	v_mul_f64 v[54:55], v[48:49], v[50:51]
	v_mul_f64 v[50:51], v[46:47], v[50:51]
	s_waitcnt vmcnt(0)
	v_fma_f64 v[46:47], v[46:47], v[52:53], -v[54:55]
	v_fma_f64 v[48:49], v[48:49], v[52:53], v[50:51]
	v_add_f64 v[5:6], v[5:6], v[46:47]
	v_add_f64 v[3:4], v[3:4], v[48:49]
	s_andn2_b32 exec_lo, exec_lo, s7
	s_cbranch_execnz .LBB79_61
; %bb.62:
	s_or_b32 exec_lo, exec_lo, s7
	v_mov_b32_e32 v41, 0
	ds_read_b128 v[41:44], v41 offset:192
	s_waitcnt lgkmcnt(0)
	v_mul_f64 v[46:47], v[3:4], v[43:44]
	v_mul_f64 v[43:44], v[5:6], v[43:44]
	v_fma_f64 v[5:6], v[5:6], v[41:42], -v[46:47]
	v_fma_f64 v[3:4], v[3:4], v[41:42], v[43:44]
	buffer_store_dword v6, off, s[0:3], 0 offset:196
	buffer_store_dword v5, off, s[0:3], 0 offset:192
	;; [unrolled: 1-line block ×4, first 2 shown]
.LBB79_63:
	s_or_b32 exec_lo, exec_lo, s6
	v_mov_b32_e32 v6, s16
	s_waitcnt_vscnt null, 0x0
	s_barrier
	buffer_gl0_inv
	s_mov_b32 s6, exec_lo
	s_clause 0x3
	buffer_load_dword v3, v6, s[0:3], 0 offen
	buffer_load_dword v4, v6, s[0:3], 0 offen offset:4
	buffer_load_dword v5, v6, s[0:3], 0 offen offset:8
	;; [unrolled: 1-line block ×3, first 2 shown]
	s_waitcnt vmcnt(0)
	ds_write_b128 v39, v[3:6]
	s_waitcnt lgkmcnt(0)
	s_barrier
	buffer_gl0_inv
	v_cmpx_gt_u32_e32 13, v0
	s_cbranch_execz .LBB79_67
; %bb.64:
	v_mov_b32_e32 v3, 0
	v_mov_b32_e32 v5, 0
	v_add_nc_u32_e32 v41, -1, v0
	v_add_nc_u32_e32 v42, 0x100, v45
	v_mov_b32_e32 v4, 0
	v_mov_b32_e32 v6, 0
	;; [unrolled: 1-line block ×3, first 2 shown]
	s_mov_b32 s7, 0
	.p2align	6
.LBB79_65:                              ; =>This Inner Loop Header: Depth=1
	s_clause 0x3
	buffer_load_dword v50, v43, s[0:3], 0 offen offset:8
	buffer_load_dword v51, v43, s[0:3], 0 offen offset:12
	buffer_load_dword v52, v43, s[0:3], 0 offen
	buffer_load_dword v53, v43, s[0:3], 0 offen offset:4
	ds_read_b128 v[46:49], v42
	v_add_nc_u32_e32 v41, 1, v41
	v_add_nc_u32_e32 v42, 16, v42
	;; [unrolled: 1-line block ×3, first 2 shown]
	v_cmp_lt_u32_e32 vcc_lo, 11, v41
	s_or_b32 s7, vcc_lo, s7
	s_waitcnt vmcnt(2) lgkmcnt(0)
	v_mul_f64 v[54:55], v[48:49], v[50:51]
	v_mul_f64 v[50:51], v[46:47], v[50:51]
	s_waitcnt vmcnt(0)
	v_fma_f64 v[46:47], v[46:47], v[52:53], -v[54:55]
	v_fma_f64 v[48:49], v[48:49], v[52:53], v[50:51]
	v_add_f64 v[5:6], v[5:6], v[46:47]
	v_add_f64 v[3:4], v[3:4], v[48:49]
	s_andn2_b32 exec_lo, exec_lo, s7
	s_cbranch_execnz .LBB79_65
; %bb.66:
	s_or_b32 exec_lo, exec_lo, s7
	v_mov_b32_e32 v41, 0
	ds_read_b128 v[41:44], v41 offset:208
	s_waitcnt lgkmcnt(0)
	v_mul_f64 v[46:47], v[3:4], v[43:44]
	v_mul_f64 v[43:44], v[5:6], v[43:44]
	v_fma_f64 v[5:6], v[5:6], v[41:42], -v[46:47]
	v_fma_f64 v[3:4], v[3:4], v[41:42], v[43:44]
	buffer_store_dword v6, off, s[0:3], 0 offset:212
	buffer_store_dword v5, off, s[0:3], 0 offset:208
	;; [unrolled: 1-line block ×4, first 2 shown]
.LBB79_67:
	s_or_b32 exec_lo, exec_lo, s6
	v_mov_b32_e32 v6, s13
	s_waitcnt_vscnt null, 0x0
	s_barrier
	buffer_gl0_inv
	s_mov_b32 s6, exec_lo
	s_clause 0x3
	buffer_load_dword v3, v6, s[0:3], 0 offen
	buffer_load_dword v4, v6, s[0:3], 0 offen offset:4
	buffer_load_dword v5, v6, s[0:3], 0 offen offset:8
	buffer_load_dword v6, v6, s[0:3], 0 offen offset:12
	s_waitcnt vmcnt(0)
	ds_write_b128 v39, v[3:6]
	s_waitcnt lgkmcnt(0)
	s_barrier
	buffer_gl0_inv
	v_cmpx_gt_u32_e32 14, v0
	s_cbranch_execz .LBB79_71
; %bb.68:
	v_mov_b32_e32 v3, 0
	v_mov_b32_e32 v5, 0
	v_add_nc_u32_e32 v41, -1, v0
	v_add_nc_u32_e32 v42, 0x100, v45
	v_mov_b32_e32 v4, 0
	v_mov_b32_e32 v6, 0
	;; [unrolled: 1-line block ×3, first 2 shown]
	s_mov_b32 s7, 0
	.p2align	6
.LBB79_69:                              ; =>This Inner Loop Header: Depth=1
	s_clause 0x3
	buffer_load_dword v50, v43, s[0:3], 0 offen offset:8
	buffer_load_dword v51, v43, s[0:3], 0 offen offset:12
	buffer_load_dword v52, v43, s[0:3], 0 offen
	buffer_load_dword v53, v43, s[0:3], 0 offen offset:4
	ds_read_b128 v[46:49], v42
	v_add_nc_u32_e32 v41, 1, v41
	v_add_nc_u32_e32 v42, 16, v42
	;; [unrolled: 1-line block ×3, first 2 shown]
	v_cmp_lt_u32_e32 vcc_lo, 12, v41
	s_or_b32 s7, vcc_lo, s7
	s_waitcnt vmcnt(2) lgkmcnt(0)
	v_mul_f64 v[54:55], v[48:49], v[50:51]
	v_mul_f64 v[50:51], v[46:47], v[50:51]
	s_waitcnt vmcnt(0)
	v_fma_f64 v[46:47], v[46:47], v[52:53], -v[54:55]
	v_fma_f64 v[48:49], v[48:49], v[52:53], v[50:51]
	v_add_f64 v[5:6], v[5:6], v[46:47]
	v_add_f64 v[3:4], v[3:4], v[48:49]
	s_andn2_b32 exec_lo, exec_lo, s7
	s_cbranch_execnz .LBB79_69
; %bb.70:
	s_or_b32 exec_lo, exec_lo, s7
	v_mov_b32_e32 v41, 0
	ds_read_b128 v[41:44], v41 offset:224
	s_waitcnt lgkmcnt(0)
	v_mul_f64 v[46:47], v[3:4], v[43:44]
	v_mul_f64 v[43:44], v[5:6], v[43:44]
	v_fma_f64 v[5:6], v[5:6], v[41:42], -v[46:47]
	v_fma_f64 v[3:4], v[3:4], v[41:42], v[43:44]
	buffer_store_dword v6, off, s[0:3], 0 offset:228
	buffer_store_dword v5, off, s[0:3], 0 offset:224
	;; [unrolled: 1-line block ×4, first 2 shown]
.LBB79_71:
	s_or_b32 exec_lo, exec_lo, s6
	v_mov_b32_e32 v6, s12
	s_waitcnt_vscnt null, 0x0
	s_barrier
	buffer_gl0_inv
	s_mov_b32 s6, exec_lo
	s_clause 0x3
	buffer_load_dword v3, v6, s[0:3], 0 offen
	buffer_load_dword v4, v6, s[0:3], 0 offen offset:4
	buffer_load_dword v5, v6, s[0:3], 0 offen offset:8
	;; [unrolled: 1-line block ×3, first 2 shown]
	s_waitcnt vmcnt(0)
	ds_write_b128 v39, v[3:6]
	s_waitcnt lgkmcnt(0)
	s_barrier
	buffer_gl0_inv
	v_cmpx_ne_u32_e32 15, v0
	s_cbranch_execz .LBB79_75
; %bb.72:
	v_mov_b32_e32 v3, 0
	v_mov_b32_e32 v5, 0
	;; [unrolled: 1-line block ×5, first 2 shown]
	s_mov_b32 s7, 0
	.p2align	6
.LBB79_73:                              ; =>This Inner Loop Header: Depth=1
	s_clause 0x3
	buffer_load_dword v46, v41, s[0:3], 0 offen offset:8
	buffer_load_dword v47, v41, s[0:3], 0 offen offset:12
	buffer_load_dword v48, v41, s[0:3], 0 offen
	buffer_load_dword v49, v41, s[0:3], 0 offen offset:4
	ds_read_b128 v[42:45], v39
	v_add_nc_u32_e32 v40, 1, v40
	v_add_nc_u32_e32 v39, 16, v39
	;; [unrolled: 1-line block ×3, first 2 shown]
	v_cmp_lt_u32_e32 vcc_lo, 13, v40
	s_or_b32 s7, vcc_lo, s7
	s_waitcnt vmcnt(2) lgkmcnt(0)
	v_mul_f64 v[50:51], v[44:45], v[46:47]
	v_mul_f64 v[46:47], v[42:43], v[46:47]
	s_waitcnt vmcnt(0)
	v_fma_f64 v[42:43], v[42:43], v[48:49], -v[50:51]
	v_fma_f64 v[44:45], v[44:45], v[48:49], v[46:47]
	v_add_f64 v[5:6], v[5:6], v[42:43]
	v_add_f64 v[3:4], v[3:4], v[44:45]
	s_andn2_b32 exec_lo, exec_lo, s7
	s_cbranch_execnz .LBB79_73
; %bb.74:
	s_or_b32 exec_lo, exec_lo, s7
	v_mov_b32_e32 v39, 0
	ds_read_b128 v[39:42], v39 offset:240
	s_waitcnt lgkmcnt(0)
	v_mul_f64 v[43:44], v[3:4], v[41:42]
	v_mul_f64 v[41:42], v[5:6], v[41:42]
	v_fma_f64 v[5:6], v[5:6], v[39:40], -v[43:44]
	v_fma_f64 v[3:4], v[3:4], v[39:40], v[41:42]
	buffer_store_dword v6, off, s[0:3], 0 offset:244
	buffer_store_dword v5, off, s[0:3], 0 offset:240
	;; [unrolled: 1-line block ×4, first 2 shown]
.LBB79_75:
	s_or_b32 exec_lo, exec_lo, s6
	s_mov_b32 s7, -1
	s_waitcnt_vscnt null, 0x0
	s_barrier
	buffer_gl0_inv
.LBB79_76:
	s_and_b32 vcc_lo, exec_lo, s7
	s_cbranch_vccz .LBB79_78
; %bb.77:
	s_lshl_b64 s[6:7], s[8:9], 2
	v_mov_b32_e32 v3, 0
	s_add_u32 s6, s14, s6
	s_addc_u32 s7, s15, s7
	global_load_dword v3, v3, s[6:7]
	s_waitcnt vmcnt(0)
	v_cmp_ne_u32_e32 vcc_lo, 0, v3
	s_cbranch_vccz .LBB79_79
.LBB79_78:
	s_endpgm
.LBB79_79:
	v_lshl_add_u32 v3, v0, 4, 0x100
	s_mov_b32 s6, exec_lo
	v_cmpx_eq_u32_e32 15, v0
	s_cbranch_execz .LBB79_81
; %bb.80:
	v_mov_b32_e32 v4, s13
	s_clause 0x3
	buffer_load_dword v39, v4, s[0:3], 0 offen
	buffer_load_dword v40, v4, s[0:3], 0 offen offset:4
	buffer_load_dword v41, v4, s[0:3], 0 offen offset:8
	;; [unrolled: 1-line block ×3, first 2 shown]
	v_mov_b32_e32 v4, 0
	buffer_store_dword v4, off, s[0:3], 0 offset:224
	buffer_store_dword v4, off, s[0:3], 0 offset:228
	;; [unrolled: 1-line block ×4, first 2 shown]
	s_waitcnt vmcnt(0)
	ds_write_b128 v3, v[39:42]
.LBB79_81:
	s_or_b32 exec_lo, exec_lo, s6
	s_waitcnt lgkmcnt(0)
	s_waitcnt_vscnt null, 0x0
	s_barrier
	buffer_gl0_inv
	s_clause 0x7
	buffer_load_dword v5, off, s[0:3], 0 offset:248
	buffer_load_dword v6, off, s[0:3], 0 offset:252
	;; [unrolled: 1-line block ×8, first 2 shown]
	v_mov_b32_e32 v4, 0
	s_mov_b32 s6, exec_lo
	ds_read_b128 v[39:42], v4 offset:496
	s_waitcnt vmcnt(6) lgkmcnt(0)
	v_mul_f64 v[49:50], v[41:42], v[5:6]
	v_mul_f64 v[5:6], v[39:40], v[5:6]
	s_waitcnt vmcnt(4)
	v_fma_f64 v[39:40], v[39:40], v[43:44], -v[49:50]
	v_fma_f64 v[5:6], v[41:42], v[43:44], v[5:6]
	v_add_f64 v[39:40], v[39:40], 0
	v_add_f64 v[5:6], v[5:6], 0
	s_waitcnt vmcnt(2)
	v_add_f64 v[39:40], v[45:46], -v[39:40]
	s_waitcnt vmcnt(0)
	v_add_f64 v[5:6], v[47:48], -v[5:6]
	buffer_store_dword v39, off, s[0:3], 0 offset:224
	buffer_store_dword v40, off, s[0:3], 0 offset:228
	;; [unrolled: 1-line block ×4, first 2 shown]
	v_cmpx_lt_u32_e32 13, v0
	s_cbranch_execz .LBB79_83
; %bb.82:
	v_mov_b32_e32 v5, s16
	s_clause 0x3
	buffer_load_dword v39, v5, s[0:3], 0 offen
	buffer_load_dword v40, v5, s[0:3], 0 offen offset:4
	buffer_load_dword v41, v5, s[0:3], 0 offen offset:8
	;; [unrolled: 1-line block ×3, first 2 shown]
	buffer_store_dword v4, off, s[0:3], 0 offset:208
	buffer_store_dword v4, off, s[0:3], 0 offset:212
	;; [unrolled: 1-line block ×4, first 2 shown]
	s_waitcnt vmcnt(0)
	ds_write_b128 v3, v[39:42]
.LBB79_83:
	s_or_b32 exec_lo, exec_lo, s6
	s_waitcnt lgkmcnt(0)
	s_waitcnt_vscnt null, 0x0
	s_barrier
	buffer_gl0_inv
	s_clause 0xb
	buffer_load_dword v5, off, s[0:3], 0 offset:232
	buffer_load_dword v6, off, s[0:3], 0 offset:236
	;; [unrolled: 1-line block ×12, first 2 shown]
	ds_read_b128 v[39:42], v4 offset:480
	ds_read_b128 v[43:46], v4 offset:496
	s_mov_b32 s6, exec_lo
	s_waitcnt vmcnt(10) lgkmcnt(1)
	v_mul_f64 v[57:58], v[41:42], v[5:6]
	v_mul_f64 v[4:5], v[39:40], v[5:6]
	s_waitcnt vmcnt(8) lgkmcnt(0)
	v_mul_f64 v[59:60], v[45:46], v[47:48]
	v_mul_f64 v[47:48], v[43:44], v[47:48]
	s_waitcnt vmcnt(6)
	v_fma_f64 v[39:40], v[39:40], v[49:50], -v[57:58]
	v_fma_f64 v[4:5], v[41:42], v[49:50], v[4:5]
	s_waitcnt vmcnt(4)
	v_fma_f64 v[41:42], v[43:44], v[51:52], -v[59:60]
	v_fma_f64 v[43:44], v[45:46], v[51:52], v[47:48]
	v_add_f64 v[39:40], v[39:40], 0
	v_add_f64 v[4:5], v[4:5], 0
	;; [unrolled: 1-line block ×4, first 2 shown]
	s_waitcnt vmcnt(2)
	v_add_f64 v[39:40], v[53:54], -v[39:40]
	s_waitcnt vmcnt(0)
	v_add_f64 v[4:5], v[55:56], -v[4:5]
	buffer_store_dword v39, off, s[0:3], 0 offset:208
	buffer_store_dword v40, off, s[0:3], 0 offset:212
	;; [unrolled: 1-line block ×4, first 2 shown]
	v_cmpx_lt_u32_e32 12, v0
	s_cbranch_execz .LBB79_85
; %bb.84:
	v_mov_b32_e32 v4, s17
	s_clause 0x3
	buffer_load_dword v39, v4, s[0:3], 0 offen
	buffer_load_dword v40, v4, s[0:3], 0 offen offset:4
	buffer_load_dword v41, v4, s[0:3], 0 offen offset:8
	;; [unrolled: 1-line block ×3, first 2 shown]
	v_mov_b32_e32 v4, 0
	buffer_store_dword v4, off, s[0:3], 0 offset:192
	buffer_store_dword v4, off, s[0:3], 0 offset:196
	;; [unrolled: 1-line block ×4, first 2 shown]
	s_waitcnt vmcnt(0)
	ds_write_b128 v3, v[39:42]
.LBB79_85:
	s_or_b32 exec_lo, exec_lo, s6
	s_waitcnt lgkmcnt(0)
	s_waitcnt_vscnt null, 0x0
	s_barrier
	buffer_gl0_inv
	s_clause 0xf
	buffer_load_dword v5, off, s[0:3], 0 offset:216
	buffer_load_dword v6, off, s[0:3], 0 offset:220
	;; [unrolled: 1-line block ×16, first 2 shown]
	v_mov_b32_e32 v4, 0
	ds_read_b128 v[39:42], v4 offset:464
	ds_read_b128 v[43:46], v4 offset:480
	;; [unrolled: 1-line block ×3, first 2 shown]
	s_mov_b32 s6, exec_lo
	s_waitcnt vmcnt(14) lgkmcnt(2)
	v_mul_f64 v[65:66], v[41:42], v[5:6]
	v_mul_f64 v[5:6], v[39:40], v[5:6]
	s_waitcnt vmcnt(12) lgkmcnt(1)
	v_mul_f64 v[67:68], v[45:46], v[51:52]
	v_mul_f64 v[51:52], v[43:44], v[51:52]
	s_waitcnt vmcnt(10)
	v_fma_f64 v[39:40], v[39:40], v[53:54], -v[65:66]
	v_fma_f64 v[5:6], v[41:42], v[53:54], v[5:6]
	s_waitcnt vmcnt(8) lgkmcnt(0)
	v_mul_f64 v[53:54], v[49:50], v[55:56]
	s_waitcnt vmcnt(6)
	v_fma_f64 v[43:44], v[43:44], v[57:58], -v[67:68]
	v_mul_f64 v[41:42], v[47:48], v[55:56]
	v_fma_f64 v[45:46], v[45:46], v[57:58], v[51:52]
	v_add_f64 v[39:40], v[39:40], 0
	v_add_f64 v[5:6], v[5:6], 0
	s_waitcnt vmcnt(4)
	v_fma_f64 v[47:48], v[47:48], v[59:60], -v[53:54]
	v_fma_f64 v[41:42], v[49:50], v[59:60], v[41:42]
	v_add_f64 v[39:40], v[39:40], v[43:44]
	v_add_f64 v[5:6], v[5:6], v[45:46]
	;; [unrolled: 1-line block ×4, first 2 shown]
	s_waitcnt vmcnt(2)
	v_add_f64 v[39:40], v[61:62], -v[39:40]
	s_waitcnt vmcnt(0)
	v_add_f64 v[5:6], v[63:64], -v[5:6]
	buffer_store_dword v39, off, s[0:3], 0 offset:192
	buffer_store_dword v40, off, s[0:3], 0 offset:196
	buffer_store_dword v5, off, s[0:3], 0 offset:200
	buffer_store_dword v6, off, s[0:3], 0 offset:204
	v_cmpx_lt_u32_e32 11, v0
	s_cbranch_execz .LBB79_87
; %bb.86:
	v_mov_b32_e32 v5, s18
	s_clause 0x3
	buffer_load_dword v39, v5, s[0:3], 0 offen
	buffer_load_dword v40, v5, s[0:3], 0 offen offset:4
	buffer_load_dword v41, v5, s[0:3], 0 offen offset:8
	;; [unrolled: 1-line block ×3, first 2 shown]
	buffer_store_dword v4, off, s[0:3], 0 offset:176
	buffer_store_dword v4, off, s[0:3], 0 offset:180
	;; [unrolled: 1-line block ×4, first 2 shown]
	s_waitcnt vmcnt(0)
	ds_write_b128 v3, v[39:42]
.LBB79_87:
	s_or_b32 exec_lo, exec_lo, s6
	s_waitcnt lgkmcnt(0)
	s_waitcnt_vscnt null, 0x0
	s_barrier
	buffer_gl0_inv
	s_clause 0x13
	buffer_load_dword v5, off, s[0:3], 0 offset:200
	buffer_load_dword v6, off, s[0:3], 0 offset:204
	;; [unrolled: 1-line block ×20, first 2 shown]
	ds_read_b128 v[39:42], v4 offset:448
	ds_read_b128 v[43:46], v4 offset:464
	;; [unrolled: 1-line block ×3, first 2 shown]
	s_mov_b32 s6, exec_lo
	s_waitcnt vmcnt(18) lgkmcnt(2)
	v_mul_f64 v[69:70], v[41:42], v[5:6]
	v_mul_f64 v[5:6], v[39:40], v[5:6]
	s_waitcnt vmcnt(16) lgkmcnt(1)
	v_mul_f64 v[71:72], v[45:46], v[51:52]
	v_mul_f64 v[51:52], v[43:44], v[51:52]
	s_waitcnt vmcnt(14)
	v_fma_f64 v[69:70], v[39:40], v[53:54], -v[69:70]
	v_fma_f64 v[5:6], v[41:42], v[53:54], v[5:6]
	ds_read_b128 v[39:42], v4 offset:496
	s_waitcnt vmcnt(12) lgkmcnt(1)
	v_mul_f64 v[53:54], v[47:48], v[55:56]
	v_mul_f64 v[55:56], v[49:50], v[55:56]
	s_waitcnt vmcnt(10)
	v_fma_f64 v[43:44], v[43:44], v[57:58], -v[71:72]
	v_fma_f64 v[45:46], v[45:46], v[57:58], v[51:52]
	s_waitcnt vmcnt(8) lgkmcnt(0)
	v_mul_f64 v[57:58], v[41:42], v[59:60]
	v_add_f64 v[69:70], v[69:70], 0
	v_add_f64 v[4:5], v[5:6], 0
	v_mul_f64 v[51:52], v[39:40], v[59:60]
	s_waitcnt vmcnt(6)
	v_fma_f64 v[47:48], v[47:48], v[61:62], -v[55:56]
	v_fma_f64 v[49:50], v[49:50], v[61:62], v[53:54]
	s_waitcnt vmcnt(4)
	v_fma_f64 v[39:40], v[39:40], v[63:64], -v[57:58]
	v_add_f64 v[43:44], v[69:70], v[43:44]
	v_add_f64 v[4:5], v[4:5], v[45:46]
	v_fma_f64 v[41:42], v[41:42], v[63:64], v[51:52]
	v_add_f64 v[43:44], v[43:44], v[47:48]
	v_add_f64 v[4:5], v[4:5], v[49:50]
	;; [unrolled: 1-line block ×4, first 2 shown]
	s_waitcnt vmcnt(2)
	v_add_f64 v[39:40], v[65:66], -v[39:40]
	s_waitcnt vmcnt(0)
	v_add_f64 v[4:5], v[67:68], -v[4:5]
	buffer_store_dword v39, off, s[0:3], 0 offset:176
	buffer_store_dword v40, off, s[0:3], 0 offset:180
	;; [unrolled: 1-line block ×4, first 2 shown]
	v_cmpx_lt_u32_e32 10, v0
	s_cbranch_execz .LBB79_89
; %bb.88:
	v_mov_b32_e32 v4, s19
	s_clause 0x3
	buffer_load_dword v39, v4, s[0:3], 0 offen
	buffer_load_dword v40, v4, s[0:3], 0 offen offset:4
	buffer_load_dword v41, v4, s[0:3], 0 offen offset:8
	;; [unrolled: 1-line block ×3, first 2 shown]
	v_mov_b32_e32 v4, 0
	buffer_store_dword v4, off, s[0:3], 0 offset:160
	buffer_store_dword v4, off, s[0:3], 0 offset:164
	buffer_store_dword v4, off, s[0:3], 0 offset:168
	buffer_store_dword v4, off, s[0:3], 0 offset:172
	s_waitcnt vmcnt(0)
	ds_write_b128 v3, v[39:42]
.LBB79_89:
	s_or_b32 exec_lo, exec_lo, s6
	s_waitcnt lgkmcnt(0)
	s_waitcnt_vscnt null, 0x0
	s_barrier
	buffer_gl0_inv
	s_clause 0x17
	buffer_load_dword v5, off, s[0:3], 0 offset:184
	buffer_load_dword v6, off, s[0:3], 0 offset:188
	;; [unrolled: 1-line block ×24, first 2 shown]
	v_mov_b32_e32 v4, 0
	ds_read_b128 v[39:42], v4 offset:432
	ds_read_b128 v[43:46], v4 offset:448
	;; [unrolled: 1-line block ×3, first 2 shown]
	s_mov_b32 s6, exec_lo
	s_waitcnt vmcnt(22) lgkmcnt(2)
	v_mul_f64 v[73:74], v[41:42], v[5:6]
	v_mul_f64 v[5:6], v[39:40], v[5:6]
	s_waitcnt vmcnt(20) lgkmcnt(1)
	v_mul_f64 v[75:76], v[45:46], v[51:52]
	v_mul_f64 v[51:52], v[43:44], v[51:52]
	s_waitcnt vmcnt(18)
	v_fma_f64 v[73:74], v[39:40], v[53:54], -v[73:74]
	v_fma_f64 v[5:6], v[41:42], v[53:54], v[5:6]
	ds_read_b128 v[39:42], v4 offset:480
	s_waitcnt vmcnt(16) lgkmcnt(1)
	v_mul_f64 v[53:54], v[47:48], v[55:56]
	v_mul_f64 v[55:56], v[49:50], v[55:56]
	s_waitcnt vmcnt(14)
	v_fma_f64 v[75:76], v[43:44], v[57:58], -v[75:76]
	v_fma_f64 v[51:52], v[45:46], v[57:58], v[51:52]
	ds_read_b128 v[43:46], v4 offset:496
	s_waitcnt vmcnt(10) lgkmcnt(1)
	v_mul_f64 v[57:58], v[39:40], v[59:60]
	v_add_f64 v[73:74], v[73:74], 0
	v_add_f64 v[5:6], v[5:6], 0
	v_mul_f64 v[59:60], v[41:42], v[59:60]
	s_waitcnt vmcnt(8)
	v_fma_f64 v[47:48], v[47:48], v[65:66], -v[55:56]
	v_fma_f64 v[49:50], v[49:50], v[65:66], v[53:54]
	s_waitcnt vmcnt(7) lgkmcnt(0)
	v_mul_f64 v[53:54], v[45:46], v[61:62]
	s_waitcnt vmcnt(5)
	v_fma_f64 v[41:42], v[41:42], v[67:68], v[57:58]
	v_add_f64 v[55:56], v[73:74], v[75:76]
	v_add_f64 v[5:6], v[5:6], v[51:52]
	v_fma_f64 v[39:40], v[39:40], v[67:68], -v[59:60]
	v_mul_f64 v[51:52], v[43:44], v[61:62]
	s_waitcnt vmcnt(4)
	v_fma_f64 v[43:44], v[43:44], v[63:64], -v[53:54]
	v_add_f64 v[47:48], v[55:56], v[47:48]
	v_add_f64 v[5:6], v[5:6], v[49:50]
	v_fma_f64 v[45:46], v[45:46], v[63:64], v[51:52]
	v_add_f64 v[39:40], v[47:48], v[39:40]
	v_add_f64 v[5:6], v[5:6], v[41:42]
	;; [unrolled: 1-line block ×4, first 2 shown]
	s_waitcnt vmcnt(2)
	v_add_f64 v[39:40], v[69:70], -v[39:40]
	s_waitcnt vmcnt(0)
	v_add_f64 v[5:6], v[71:72], -v[5:6]
	buffer_store_dword v40, off, s[0:3], 0 offset:164
	buffer_store_dword v39, off, s[0:3], 0 offset:160
	;; [unrolled: 1-line block ×4, first 2 shown]
	v_cmpx_lt_u32_e32 9, v0
	s_cbranch_execz .LBB79_91
; %bb.90:
	v_mov_b32_e32 v5, s20
	s_clause 0x3
	buffer_load_dword v39, v5, s[0:3], 0 offen
	buffer_load_dword v40, v5, s[0:3], 0 offen offset:4
	buffer_load_dword v41, v5, s[0:3], 0 offen offset:8
	buffer_load_dword v42, v5, s[0:3], 0 offen offset:12
	buffer_store_dword v4, off, s[0:3], 0 offset:144
	buffer_store_dword v4, off, s[0:3], 0 offset:148
	;; [unrolled: 1-line block ×4, first 2 shown]
	s_waitcnt vmcnt(0)
	ds_write_b128 v3, v[39:42]
.LBB79_91:
	s_or_b32 exec_lo, exec_lo, s6
	s_waitcnt lgkmcnt(0)
	s_waitcnt_vscnt null, 0x0
	s_barrier
	buffer_gl0_inv
	s_clause 0x1b
	buffer_load_dword v5, off, s[0:3], 0 offset:168
	buffer_load_dword v6, off, s[0:3], 0 offset:172
	buffer_load_dword v51, off, s[0:3], 0 offset:184
	buffer_load_dword v52, off, s[0:3], 0 offset:188
	buffer_load_dword v53, off, s[0:3], 0 offset:160
	buffer_load_dword v54, off, s[0:3], 0 offset:164
	buffer_load_dword v55, off, s[0:3], 0 offset:200
	buffer_load_dword v56, off, s[0:3], 0 offset:204
	buffer_load_dword v57, off, s[0:3], 0 offset:176
	buffer_load_dword v58, off, s[0:3], 0 offset:180
	buffer_load_dword v60, off, s[0:3], 0 offset:220
	buffer_load_dword v61, off, s[0:3], 0 offset:232
	buffer_load_dword v63, off, s[0:3], 0 offset:224
	buffer_load_dword v59, off, s[0:3], 0 offset:216
	buffer_load_dword v65, off, s[0:3], 0 offset:192
	buffer_load_dword v66, off, s[0:3], 0 offset:196
	buffer_load_dword v62, off, s[0:3], 0 offset:236
	buffer_load_dword v68, off, s[0:3], 0 offset:212
	buffer_load_dword v67, off, s[0:3], 0 offset:208
	buffer_load_dword v70, off, s[0:3], 0 offset:252
	buffer_load_dword v69, off, s[0:3], 0 offset:248
	buffer_load_dword v64, off, s[0:3], 0 offset:228
	buffer_load_dword v72, off, s[0:3], 0 offset:244
	buffer_load_dword v71, off, s[0:3], 0 offset:240
	buffer_load_dword v73, off, s[0:3], 0 offset:144
	buffer_load_dword v74, off, s[0:3], 0 offset:148
	buffer_load_dword v75, off, s[0:3], 0 offset:152
	buffer_load_dword v76, off, s[0:3], 0 offset:156
	ds_read_b128 v[39:42], v4 offset:416
	ds_read_b128 v[43:46], v4 offset:432
	;; [unrolled: 1-line block ×3, first 2 shown]
	s_mov_b32 s6, exec_lo
	s_waitcnt vmcnt(26) lgkmcnt(2)
	v_mul_f64 v[77:78], v[41:42], v[5:6]
	v_mul_f64 v[5:6], v[39:40], v[5:6]
	s_waitcnt vmcnt(24) lgkmcnt(1)
	v_mul_f64 v[79:80], v[45:46], v[51:52]
	v_mul_f64 v[51:52], v[43:44], v[51:52]
	s_waitcnt vmcnt(22)
	v_fma_f64 v[77:78], v[39:40], v[53:54], -v[77:78]
	v_fma_f64 v[5:6], v[41:42], v[53:54], v[5:6]
	ds_read_b128 v[39:42], v4 offset:464
	s_waitcnt vmcnt(20) lgkmcnt(1)
	v_mul_f64 v[53:54], v[47:48], v[55:56]
	v_mul_f64 v[55:56], v[49:50], v[55:56]
	s_waitcnt vmcnt(18)
	v_fma_f64 v[79:80], v[43:44], v[57:58], -v[79:80]
	v_fma_f64 v[51:52], v[45:46], v[57:58], v[51:52]
	ds_read_b128 v[43:46], v4 offset:480
	s_waitcnt vmcnt(14) lgkmcnt(1)
	v_mul_f64 v[57:58], v[39:40], v[59:60]
	v_add_f64 v[77:78], v[77:78], 0
	v_add_f64 v[5:6], v[5:6], 0
	v_mul_f64 v[59:60], v[41:42], v[59:60]
	s_waitcnt vmcnt(12)
	v_fma_f64 v[55:56], v[47:48], v[65:66], -v[55:56]
	v_fma_f64 v[53:54], v[49:50], v[65:66], v[53:54]
	ds_read_b128 v[47:50], v4 offset:496
	s_waitcnt vmcnt(9)
	v_fma_f64 v[41:42], v[41:42], v[67:68], v[57:58]
	v_add_f64 v[77:78], v[77:78], v[79:80]
	v_add_f64 v[5:6], v[5:6], v[51:52]
	s_waitcnt lgkmcnt(1)
	v_mul_f64 v[51:52], v[43:44], v[61:62]
	v_mul_f64 v[61:62], v[45:46], v[61:62]
	v_fma_f64 v[39:40], v[39:40], v[67:68], -v[59:60]
	s_waitcnt vmcnt(7) lgkmcnt(0)
	v_mul_f64 v[57:58], v[49:50], v[69:70]
	v_add_f64 v[55:56], v[77:78], v[55:56]
	v_add_f64 v[4:5], v[5:6], v[53:54]
	v_mul_f64 v[53:54], v[47:48], v[69:70]
	s_waitcnt vmcnt(6)
	v_fma_f64 v[43:44], v[43:44], v[63:64], -v[61:62]
	v_fma_f64 v[45:46], v[45:46], v[63:64], v[51:52]
	v_add_f64 v[39:40], v[55:56], v[39:40]
	v_add_f64 v[4:5], v[4:5], v[41:42]
	s_waitcnt vmcnt(4)
	v_fma_f64 v[41:42], v[47:48], v[71:72], -v[57:58]
	v_add_f64 v[39:40], v[39:40], v[43:44]
	v_fma_f64 v[43:44], v[49:50], v[71:72], v[53:54]
	v_add_f64 v[4:5], v[4:5], v[45:46]
	v_add_f64 v[39:40], v[39:40], v[41:42]
	v_add_f64 v[4:5], v[4:5], v[43:44]
	s_waitcnt vmcnt(2)
	v_add_f64 v[39:40], v[73:74], -v[39:40]
	s_waitcnt vmcnt(0)
	v_add_f64 v[4:5], v[75:76], -v[4:5]
	buffer_store_dword v40, off, s[0:3], 0 offset:148
	buffer_store_dword v39, off, s[0:3], 0 offset:144
	;; [unrolled: 1-line block ×4, first 2 shown]
	v_cmpx_lt_u32_e32 8, v0
	s_cbranch_execz .LBB79_93
; %bb.92:
	v_mov_b32_e32 v4, s21
	s_clause 0x3
	buffer_load_dword v39, v4, s[0:3], 0 offen
	buffer_load_dword v40, v4, s[0:3], 0 offen offset:4
	buffer_load_dword v41, v4, s[0:3], 0 offen offset:8
	;; [unrolled: 1-line block ×3, first 2 shown]
	v_mov_b32_e32 v4, 0
	buffer_store_dword v4, off, s[0:3], 0 offset:128
	buffer_store_dword v4, off, s[0:3], 0 offset:132
	;; [unrolled: 1-line block ×4, first 2 shown]
	s_waitcnt vmcnt(0)
	ds_write_b128 v3, v[39:42]
.LBB79_93:
	s_or_b32 exec_lo, exec_lo, s6
	s_waitcnt lgkmcnt(0)
	s_waitcnt_vscnt null, 0x0
	s_barrier
	buffer_gl0_inv
	s_clause 0x1f
	buffer_load_dword v5, off, s[0:3], 0 offset:152
	buffer_load_dword v6, off, s[0:3], 0 offset:156
	;; [unrolled: 1-line block ×32, first 2 shown]
	v_mov_b32_e32 v4, 0
	ds_read_b128 v[39:42], v4 offset:400
	ds_read_b128 v[43:46], v4 offset:416
	;; [unrolled: 1-line block ×3, first 2 shown]
	s_mov_b32 s6, exec_lo
	s_waitcnt vmcnt(30) lgkmcnt(2)
	v_mul_f64 v[81:82], v[41:42], v[5:6]
	v_mul_f64 v[5:6], v[39:40], v[5:6]
	s_waitcnt vmcnt(28) lgkmcnt(1)
	v_mul_f64 v[83:84], v[45:46], v[51:52]
	v_mul_f64 v[51:52], v[43:44], v[51:52]
	s_waitcnt vmcnt(26)
	v_fma_f64 v[81:82], v[39:40], v[53:54], -v[81:82]
	v_fma_f64 v[5:6], v[41:42], v[53:54], v[5:6]
	ds_read_b128 v[39:42], v4 offset:448
	s_waitcnt vmcnt(24) lgkmcnt(1)
	v_mul_f64 v[53:54], v[47:48], v[55:56]
	v_mul_f64 v[55:56], v[49:50], v[55:56]
	s_waitcnt vmcnt(22)
	v_fma_f64 v[83:84], v[43:44], v[57:58], -v[83:84]
	v_fma_f64 v[51:52], v[45:46], v[57:58], v[51:52]
	ds_read_b128 v[43:46], v4 offset:464
	s_waitcnt vmcnt(18) lgkmcnt(1)
	v_mul_f64 v[57:58], v[39:40], v[59:60]
	v_add_f64 v[81:82], v[81:82], 0
	v_add_f64 v[5:6], v[5:6], 0
	v_mul_f64 v[59:60], v[41:42], v[59:60]
	s_waitcnt vmcnt(16)
	v_fma_f64 v[55:56], v[47:48], v[65:66], -v[55:56]
	v_fma_f64 v[53:54], v[49:50], v[65:66], v[53:54]
	ds_read_b128 v[47:50], v4 offset:480
	s_waitcnt vmcnt(13)
	v_fma_f64 v[57:58], v[41:42], v[67:68], v[57:58]
	v_add_f64 v[81:82], v[81:82], v[83:84]
	v_add_f64 v[5:6], v[5:6], v[51:52]
	s_waitcnt lgkmcnt(1)
	v_mul_f64 v[51:52], v[43:44], v[61:62]
	v_mul_f64 v[61:62], v[45:46], v[61:62]
	v_fma_f64 v[59:60], v[39:40], v[67:68], -v[59:60]
	s_waitcnt vmcnt(9) lgkmcnt(0)
	v_mul_f64 v[65:66], v[49:50], v[69:70]
	ds_read_b128 v[39:42], v4 offset:496
	v_add_f64 v[55:56], v[81:82], v[55:56]
	v_add_f64 v[5:6], v[5:6], v[53:54]
	v_mul_f64 v[53:54], v[47:48], v[69:70]
	s_waitcnt vmcnt(8)
	v_fma_f64 v[43:44], v[43:44], v[63:64], -v[61:62]
	v_fma_f64 v[45:46], v[45:46], v[63:64], v[51:52]
	s_waitcnt vmcnt(5)
	v_fma_f64 v[47:48], v[47:48], v[75:76], -v[65:66]
	s_waitcnt lgkmcnt(0)
	v_mul_f64 v[51:52], v[39:40], v[71:72]
	v_add_f64 v[55:56], v[55:56], v[59:60]
	v_add_f64 v[5:6], v[5:6], v[57:58]
	v_mul_f64 v[57:58], v[41:42], v[71:72]
	v_fma_f64 v[49:50], v[49:50], v[75:76], v[53:54]
	s_waitcnt vmcnt(4)
	v_fma_f64 v[41:42], v[41:42], v[73:74], v[51:52]
	v_add_f64 v[43:44], v[55:56], v[43:44]
	v_add_f64 v[5:6], v[5:6], v[45:46]
	v_fma_f64 v[39:40], v[39:40], v[73:74], -v[57:58]
	v_add_f64 v[43:44], v[43:44], v[47:48]
	v_add_f64 v[5:6], v[5:6], v[49:50]
	;; [unrolled: 1-line block ×4, first 2 shown]
	s_waitcnt vmcnt(2)
	v_add_f64 v[39:40], v[77:78], -v[39:40]
	s_waitcnt vmcnt(0)
	v_add_f64 v[5:6], v[79:80], -v[5:6]
	buffer_store_dword v40, off, s[0:3], 0 offset:132
	buffer_store_dword v39, off, s[0:3], 0 offset:128
	;; [unrolled: 1-line block ×4, first 2 shown]
	v_cmpx_lt_u32_e32 7, v0
	s_cbranch_execz .LBB79_95
; %bb.94:
	v_mov_b32_e32 v5, s22
	s_clause 0x3
	buffer_load_dword v39, v5, s[0:3], 0 offen
	buffer_load_dword v40, v5, s[0:3], 0 offen offset:4
	buffer_load_dword v41, v5, s[0:3], 0 offen offset:8
	;; [unrolled: 1-line block ×3, first 2 shown]
	buffer_store_dword v4, off, s[0:3], 0 offset:112
	buffer_store_dword v4, off, s[0:3], 0 offset:116
	buffer_store_dword v4, off, s[0:3], 0 offset:120
	buffer_store_dword v4, off, s[0:3], 0 offset:124
	s_waitcnt vmcnt(0)
	ds_write_b128 v3, v[39:42]
.LBB79_95:
	s_or_b32 exec_lo, exec_lo, s6
	s_waitcnt lgkmcnt(0)
	s_waitcnt_vscnt null, 0x0
	s_barrier
	buffer_gl0_inv
	s_clause 0x23
	buffer_load_dword v5, off, s[0:3], 0 offset:136
	buffer_load_dword v6, off, s[0:3], 0 offset:140
	;; [unrolled: 1-line block ×36, first 2 shown]
	ds_read_b128 v[39:42], v4 offset:384
	ds_read_b128 v[43:46], v4 offset:400
	;; [unrolled: 1-line block ×3, first 2 shown]
	s_mov_b32 s6, exec_lo
	s_waitcnt vmcnt(34) lgkmcnt(2)
	v_mul_f64 v[85:86], v[41:42], v[5:6]
	v_mul_f64 v[5:6], v[39:40], v[5:6]
	s_waitcnt vmcnt(32) lgkmcnt(1)
	v_mul_f64 v[87:88], v[45:46], v[51:52]
	v_mul_f64 v[51:52], v[43:44], v[51:52]
	s_waitcnt vmcnt(30)
	v_fma_f64 v[85:86], v[39:40], v[53:54], -v[85:86]
	v_fma_f64 v[5:6], v[41:42], v[53:54], v[5:6]
	ds_read_b128 v[39:42], v4 offset:432
	s_waitcnt vmcnt(28) lgkmcnt(1)
	v_mul_f64 v[53:54], v[47:48], v[55:56]
	v_mul_f64 v[55:56], v[49:50], v[55:56]
	s_waitcnt vmcnt(26)
	v_fma_f64 v[87:88], v[43:44], v[57:58], -v[87:88]
	v_fma_f64 v[51:52], v[45:46], v[57:58], v[51:52]
	ds_read_b128 v[43:46], v4 offset:448
	s_waitcnt vmcnt(22) lgkmcnt(1)
	v_mul_f64 v[57:58], v[39:40], v[59:60]
	v_add_f64 v[85:86], v[85:86], 0
	v_add_f64 v[5:6], v[5:6], 0
	v_mul_f64 v[59:60], v[41:42], v[59:60]
	s_waitcnt vmcnt(20)
	v_fma_f64 v[55:56], v[47:48], v[65:66], -v[55:56]
	v_fma_f64 v[53:54], v[49:50], v[65:66], v[53:54]
	ds_read_b128 v[47:50], v4 offset:464
	s_waitcnt vmcnt(17)
	v_fma_f64 v[57:58], v[41:42], v[67:68], v[57:58]
	v_add_f64 v[85:86], v[85:86], v[87:88]
	v_add_f64 v[5:6], v[5:6], v[51:52]
	s_waitcnt lgkmcnt(1)
	v_mul_f64 v[51:52], v[43:44], v[61:62]
	v_mul_f64 v[61:62], v[45:46], v[61:62]
	v_fma_f64 v[59:60], v[39:40], v[67:68], -v[59:60]
	s_waitcnt vmcnt(13) lgkmcnt(0)
	v_mul_f64 v[65:66], v[49:50], v[69:70]
	ds_read_b128 v[39:42], v4 offset:480
	v_add_f64 v[55:56], v[85:86], v[55:56]
	v_add_f64 v[5:6], v[5:6], v[53:54]
	v_mul_f64 v[53:54], v[47:48], v[69:70]
	s_waitcnt vmcnt(12)
	v_fma_f64 v[61:62], v[43:44], v[63:64], -v[61:62]
	v_fma_f64 v[51:52], v[45:46], v[63:64], v[51:52]
	ds_read_b128 v[43:46], v4 offset:496
	s_waitcnt vmcnt(9)
	v_fma_f64 v[47:48], v[47:48], v[75:76], -v[65:66]
	v_add_f64 v[55:56], v[55:56], v[59:60]
	v_add_f64 v[5:6], v[5:6], v[57:58]
	s_waitcnt lgkmcnt(1)
	v_mul_f64 v[59:60], v[41:42], v[71:72]
	v_mul_f64 v[57:58], v[39:40], v[71:72]
	v_fma_f64 v[49:50], v[49:50], v[75:76], v[53:54]
	s_waitcnt vmcnt(7) lgkmcnt(0)
	v_mul_f64 v[53:54], v[45:46], v[77:78]
	v_add_f64 v[55:56], v[55:56], v[61:62]
	v_add_f64 v[4:5], v[5:6], v[51:52]
	s_waitcnt vmcnt(6)
	v_fma_f64 v[39:40], v[39:40], v[73:74], -v[59:60]
	v_mul_f64 v[51:52], v[43:44], v[77:78]
	v_fma_f64 v[41:42], v[41:42], v[73:74], v[57:58]
	s_waitcnt vmcnt(4)
	v_fma_f64 v[43:44], v[43:44], v[79:80], -v[53:54]
	v_add_f64 v[47:48], v[55:56], v[47:48]
	v_add_f64 v[4:5], v[4:5], v[49:50]
	v_fma_f64 v[45:46], v[45:46], v[79:80], v[51:52]
	v_add_f64 v[39:40], v[47:48], v[39:40]
	v_add_f64 v[4:5], v[4:5], v[41:42]
	;; [unrolled: 1-line block ×4, first 2 shown]
	s_waitcnt vmcnt(2)
	v_add_f64 v[39:40], v[81:82], -v[39:40]
	s_waitcnt vmcnt(0)
	v_add_f64 v[4:5], v[83:84], -v[4:5]
	buffer_store_dword v40, off, s[0:3], 0 offset:116
	buffer_store_dword v39, off, s[0:3], 0 offset:112
	;; [unrolled: 1-line block ×4, first 2 shown]
	v_cmpx_lt_u32_e32 6, v0
	s_cbranch_execz .LBB79_97
; %bb.96:
	v_mov_b32_e32 v4, s23
	s_clause 0x3
	buffer_load_dword v39, v4, s[0:3], 0 offen
	buffer_load_dword v40, v4, s[0:3], 0 offen offset:4
	buffer_load_dword v41, v4, s[0:3], 0 offen offset:8
	;; [unrolled: 1-line block ×3, first 2 shown]
	v_mov_b32_e32 v4, 0
	buffer_store_dword v4, off, s[0:3], 0 offset:96
	buffer_store_dword v4, off, s[0:3], 0 offset:100
	;; [unrolled: 1-line block ×4, first 2 shown]
	s_waitcnt vmcnt(0)
	ds_write_b128 v3, v[39:42]
.LBB79_97:
	s_or_b32 exec_lo, exec_lo, s6
	s_waitcnt lgkmcnt(0)
	s_waitcnt_vscnt null, 0x0
	s_barrier
	buffer_gl0_inv
	s_clause 0x27
	buffer_load_dword v5, off, s[0:3], 0 offset:120
	buffer_load_dword v6, off, s[0:3], 0 offset:124
	;; [unrolled: 1-line block ×40, first 2 shown]
	v_mov_b32_e32 v4, 0
	ds_read_b128 v[39:42], v4 offset:368
	ds_read_b128 v[43:46], v4 offset:384
	;; [unrolled: 1-line block ×3, first 2 shown]
	s_mov_b32 s6, exec_lo
	s_waitcnt vmcnt(38) lgkmcnt(2)
	v_mul_f64 v[89:90], v[41:42], v[5:6]
	v_mul_f64 v[5:6], v[39:40], v[5:6]
	s_waitcnt vmcnt(36) lgkmcnt(1)
	v_mul_f64 v[91:92], v[45:46], v[51:52]
	v_mul_f64 v[51:52], v[43:44], v[51:52]
	s_waitcnt vmcnt(34)
	v_fma_f64 v[89:90], v[39:40], v[53:54], -v[89:90]
	v_fma_f64 v[5:6], v[41:42], v[53:54], v[5:6]
	ds_read_b128 v[39:42], v4 offset:416
	s_waitcnt vmcnt(32) lgkmcnt(1)
	v_mul_f64 v[53:54], v[47:48], v[55:56]
	v_mul_f64 v[55:56], v[49:50], v[55:56]
	s_waitcnt vmcnt(30)
	v_fma_f64 v[91:92], v[43:44], v[57:58], -v[91:92]
	v_fma_f64 v[51:52], v[45:46], v[57:58], v[51:52]
	ds_read_b128 v[43:46], v4 offset:432
	s_waitcnt vmcnt(26) lgkmcnt(1)
	v_mul_f64 v[57:58], v[39:40], v[59:60]
	v_add_f64 v[89:90], v[89:90], 0
	v_add_f64 v[5:6], v[5:6], 0
	v_mul_f64 v[59:60], v[41:42], v[59:60]
	s_waitcnt vmcnt(24)
	v_fma_f64 v[55:56], v[47:48], v[65:66], -v[55:56]
	v_fma_f64 v[53:54], v[49:50], v[65:66], v[53:54]
	ds_read_b128 v[47:50], v4 offset:448
	s_waitcnt vmcnt(21)
	v_fma_f64 v[57:58], v[41:42], v[67:68], v[57:58]
	v_add_f64 v[89:90], v[89:90], v[91:92]
	v_add_f64 v[5:6], v[5:6], v[51:52]
	s_waitcnt lgkmcnt(1)
	v_mul_f64 v[51:52], v[43:44], v[61:62]
	v_mul_f64 v[61:62], v[45:46], v[61:62]
	v_fma_f64 v[59:60], v[39:40], v[67:68], -v[59:60]
	s_waitcnt vmcnt(17) lgkmcnt(0)
	v_mul_f64 v[65:66], v[49:50], v[69:70]
	ds_read_b128 v[39:42], v4 offset:464
	v_add_f64 v[55:56], v[89:90], v[55:56]
	v_add_f64 v[5:6], v[5:6], v[53:54]
	v_mul_f64 v[53:54], v[47:48], v[69:70]
	s_waitcnt vmcnt(16)
	v_fma_f64 v[61:62], v[43:44], v[63:64], -v[61:62]
	v_fma_f64 v[51:52], v[45:46], v[63:64], v[51:52]
	ds_read_b128 v[43:46], v4 offset:480
	s_waitcnt vmcnt(13)
	v_fma_f64 v[63:64], v[47:48], v[75:76], -v[65:66]
	v_add_f64 v[55:56], v[55:56], v[59:60]
	v_add_f64 v[5:6], v[5:6], v[57:58]
	s_waitcnt lgkmcnt(1)
	v_mul_f64 v[59:60], v[41:42], v[71:72]
	v_mul_f64 v[57:58], v[39:40], v[71:72]
	v_fma_f64 v[53:54], v[49:50], v[75:76], v[53:54]
	ds_read_b128 v[47:50], v4 offset:496
	v_add_f64 v[55:56], v[55:56], v[61:62]
	v_add_f64 v[5:6], v[5:6], v[51:52]
	s_waitcnt vmcnt(9) lgkmcnt(1)
	v_mul_f64 v[61:62], v[45:46], v[77:78]
	s_waitcnt vmcnt(8)
	v_fma_f64 v[39:40], v[39:40], v[73:74], -v[59:60]
	v_mul_f64 v[51:52], v[43:44], v[77:78]
	v_fma_f64 v[41:42], v[41:42], v[73:74], v[57:58]
	s_waitcnt vmcnt(7) lgkmcnt(0)
	v_mul_f64 v[57:58], v[49:50], v[79:80]
	v_add_f64 v[55:56], v[55:56], v[63:64]
	v_add_f64 v[5:6], v[5:6], v[53:54]
	s_waitcnt vmcnt(5)
	v_fma_f64 v[43:44], v[43:44], v[83:84], -v[61:62]
	v_mul_f64 v[53:54], v[47:48], v[79:80]
	v_fma_f64 v[45:46], v[45:46], v[83:84], v[51:52]
	v_add_f64 v[39:40], v[55:56], v[39:40]
	v_add_f64 v[5:6], v[5:6], v[41:42]
	s_waitcnt vmcnt(4)
	v_fma_f64 v[41:42], v[47:48], v[81:82], -v[57:58]
	v_add_f64 v[39:40], v[39:40], v[43:44]
	v_fma_f64 v[43:44], v[49:50], v[81:82], v[53:54]
	v_add_f64 v[5:6], v[5:6], v[45:46]
	v_add_f64 v[39:40], v[39:40], v[41:42]
	;; [unrolled: 1-line block ×3, first 2 shown]
	s_waitcnt vmcnt(2)
	v_add_f64 v[39:40], v[85:86], -v[39:40]
	s_waitcnt vmcnt(0)
	v_add_f64 v[5:6], v[87:88], -v[5:6]
	buffer_store_dword v40, off, s[0:3], 0 offset:100
	buffer_store_dword v39, off, s[0:3], 0 offset:96
	;; [unrolled: 1-line block ×4, first 2 shown]
	v_cmpx_lt_u32_e32 5, v0
	s_cbranch_execz .LBB79_99
; %bb.98:
	v_mov_b32_e32 v5, s24
	s_clause 0x3
	buffer_load_dword v39, v5, s[0:3], 0 offen
	buffer_load_dword v40, v5, s[0:3], 0 offen offset:4
	buffer_load_dword v41, v5, s[0:3], 0 offen offset:8
	;; [unrolled: 1-line block ×3, first 2 shown]
	buffer_store_dword v4, off, s[0:3], 0 offset:80
	buffer_store_dword v4, off, s[0:3], 0 offset:84
	;; [unrolled: 1-line block ×4, first 2 shown]
	s_waitcnt vmcnt(0)
	ds_write_b128 v3, v[39:42]
.LBB79_99:
	s_or_b32 exec_lo, exec_lo, s6
	s_waitcnt lgkmcnt(0)
	s_waitcnt_vscnt null, 0x0
	s_barrier
	buffer_gl0_inv
	s_clause 0x2b
	buffer_load_dword v5, off, s[0:3], 0 offset:104
	buffer_load_dword v6, off, s[0:3], 0 offset:108
	;; [unrolled: 1-line block ×44, first 2 shown]
	ds_read_b128 v[39:42], v4 offset:352
	ds_read_b128 v[43:46], v4 offset:368
	;; [unrolled: 1-line block ×3, first 2 shown]
	s_mov_b32 s6, exec_lo
	s_waitcnt vmcnt(42) lgkmcnt(2)
	v_mul_f64 v[93:94], v[41:42], v[5:6]
	v_mul_f64 v[5:6], v[39:40], v[5:6]
	s_waitcnt vmcnt(40) lgkmcnt(1)
	v_mul_f64 v[95:96], v[45:46], v[51:52]
	v_mul_f64 v[51:52], v[43:44], v[51:52]
	s_waitcnt vmcnt(38)
	v_fma_f64 v[93:94], v[39:40], v[53:54], -v[93:94]
	v_fma_f64 v[5:6], v[41:42], v[53:54], v[5:6]
	ds_read_b128 v[39:42], v4 offset:400
	s_waitcnt vmcnt(36) lgkmcnt(1)
	v_mul_f64 v[53:54], v[47:48], v[55:56]
	v_mul_f64 v[55:56], v[49:50], v[55:56]
	s_waitcnt vmcnt(34)
	v_fma_f64 v[95:96], v[43:44], v[57:58], -v[95:96]
	v_fma_f64 v[51:52], v[45:46], v[57:58], v[51:52]
	ds_read_b128 v[43:46], v4 offset:416
	s_waitcnt vmcnt(30) lgkmcnt(1)
	v_mul_f64 v[57:58], v[39:40], v[59:60]
	v_add_f64 v[93:94], v[93:94], 0
	v_add_f64 v[5:6], v[5:6], 0
	v_mul_f64 v[59:60], v[41:42], v[59:60]
	s_waitcnt vmcnt(28)
	v_fma_f64 v[55:56], v[47:48], v[65:66], -v[55:56]
	v_fma_f64 v[53:54], v[49:50], v[65:66], v[53:54]
	ds_read_b128 v[47:50], v4 offset:432
	s_waitcnt vmcnt(25)
	v_fma_f64 v[57:58], v[41:42], v[67:68], v[57:58]
	v_add_f64 v[93:94], v[93:94], v[95:96]
	v_add_f64 v[5:6], v[5:6], v[51:52]
	s_waitcnt lgkmcnt(1)
	v_mul_f64 v[51:52], v[43:44], v[61:62]
	v_mul_f64 v[61:62], v[45:46], v[61:62]
	v_fma_f64 v[59:60], v[39:40], v[67:68], -v[59:60]
	s_waitcnt vmcnt(21) lgkmcnt(0)
	v_mul_f64 v[65:66], v[49:50], v[69:70]
	ds_read_b128 v[39:42], v4 offset:448
	v_add_f64 v[55:56], v[93:94], v[55:56]
	v_add_f64 v[5:6], v[5:6], v[53:54]
	v_mul_f64 v[53:54], v[47:48], v[69:70]
	s_waitcnt vmcnt(20)
	v_fma_f64 v[61:62], v[43:44], v[63:64], -v[61:62]
	v_fma_f64 v[51:52], v[45:46], v[63:64], v[51:52]
	ds_read_b128 v[43:46], v4 offset:464
	s_waitcnt vmcnt(17)
	v_fma_f64 v[63:64], v[47:48], v[75:76], -v[65:66]
	v_add_f64 v[55:56], v[55:56], v[59:60]
	v_add_f64 v[5:6], v[5:6], v[57:58]
	s_waitcnt lgkmcnt(1)
	v_mul_f64 v[59:60], v[41:42], v[71:72]
	v_mul_f64 v[57:58], v[39:40], v[71:72]
	v_fma_f64 v[53:54], v[49:50], v[75:76], v[53:54]
	ds_read_b128 v[47:50], v4 offset:480
	v_add_f64 v[55:56], v[55:56], v[61:62]
	v_add_f64 v[5:6], v[5:6], v[51:52]
	s_waitcnt vmcnt(13) lgkmcnt(1)
	v_mul_f64 v[61:62], v[45:46], v[77:78]
	s_waitcnt vmcnt(12)
	v_fma_f64 v[59:60], v[39:40], v[73:74], -v[59:60]
	v_mul_f64 v[51:52], v[43:44], v[77:78]
	v_fma_f64 v[57:58], v[41:42], v[73:74], v[57:58]
	ds_read_b128 v[39:42], v4 offset:496
	v_add_f64 v[55:56], v[55:56], v[63:64]
	v_add_f64 v[5:6], v[5:6], v[53:54]
	s_waitcnt vmcnt(11) lgkmcnt(1)
	v_mul_f64 v[63:64], v[49:50], v[79:80]
	s_waitcnt vmcnt(9)
	v_fma_f64 v[43:44], v[43:44], v[83:84], -v[61:62]
	v_mul_f64 v[53:54], v[47:48], v[79:80]
	v_fma_f64 v[45:46], v[45:46], v[83:84], v[51:52]
	s_waitcnt vmcnt(7) lgkmcnt(0)
	v_mul_f64 v[51:52], v[39:40], v[85:86]
	v_add_f64 v[55:56], v[55:56], v[59:60]
	v_add_f64 v[4:5], v[5:6], v[57:58]
	v_mul_f64 v[57:58], v[41:42], v[85:86]
	s_waitcnt vmcnt(6)
	v_fma_f64 v[47:48], v[47:48], v[81:82], -v[63:64]
	v_fma_f64 v[49:50], v[49:50], v[81:82], v[53:54]
	s_waitcnt vmcnt(4)
	v_fma_f64 v[41:42], v[41:42], v[87:88], v[51:52]
	v_add_f64 v[43:44], v[55:56], v[43:44]
	v_add_f64 v[4:5], v[4:5], v[45:46]
	v_fma_f64 v[39:40], v[39:40], v[87:88], -v[57:58]
	v_add_f64 v[43:44], v[43:44], v[47:48]
	v_add_f64 v[4:5], v[4:5], v[49:50]
	;; [unrolled: 1-line block ×4, first 2 shown]
	s_waitcnt vmcnt(2)
	v_add_f64 v[39:40], v[89:90], -v[39:40]
	s_waitcnt vmcnt(0)
	v_add_f64 v[4:5], v[91:92], -v[4:5]
	buffer_store_dword v40, off, s[0:3], 0 offset:84
	buffer_store_dword v39, off, s[0:3], 0 offset:80
	;; [unrolled: 1-line block ×4, first 2 shown]
	v_cmpx_lt_u32_e32 4, v0
	s_cbranch_execz .LBB79_101
; %bb.100:
	v_mov_b32_e32 v4, s25
	s_clause 0x3
	buffer_load_dword v39, v4, s[0:3], 0 offen
	buffer_load_dword v40, v4, s[0:3], 0 offen offset:4
	buffer_load_dword v41, v4, s[0:3], 0 offen offset:8
	;; [unrolled: 1-line block ×3, first 2 shown]
	v_mov_b32_e32 v4, 0
	buffer_store_dword v4, off, s[0:3], 0 offset:64
	buffer_store_dword v4, off, s[0:3], 0 offset:68
	;; [unrolled: 1-line block ×4, first 2 shown]
	s_waitcnt vmcnt(0)
	ds_write_b128 v3, v[39:42]
.LBB79_101:
	s_or_b32 exec_lo, exec_lo, s6
	s_waitcnt lgkmcnt(0)
	s_waitcnt_vscnt null, 0x0
	s_barrier
	buffer_gl0_inv
	s_clause 0x2f
	buffer_load_dword v5, off, s[0:3], 0 offset:88
	buffer_load_dword v6, off, s[0:3], 0 offset:92
	;; [unrolled: 1-line block ×48, first 2 shown]
	v_mov_b32_e32 v4, 0
	ds_read_b128 v[39:42], v4 offset:336
	ds_read_b128 v[43:46], v4 offset:352
	;; [unrolled: 1-line block ×3, first 2 shown]
	s_mov_b32 s6, exec_lo
	s_waitcnt vmcnt(46) lgkmcnt(2)
	v_mul_f64 v[97:98], v[41:42], v[5:6]
	v_mul_f64 v[5:6], v[39:40], v[5:6]
	s_waitcnt vmcnt(44) lgkmcnt(1)
	v_mul_f64 v[99:100], v[45:46], v[51:52]
	v_mul_f64 v[51:52], v[43:44], v[51:52]
	s_waitcnt vmcnt(42)
	v_fma_f64 v[97:98], v[39:40], v[53:54], -v[97:98]
	v_fma_f64 v[5:6], v[41:42], v[53:54], v[5:6]
	ds_read_b128 v[39:42], v4 offset:384
	s_waitcnt vmcnt(40) lgkmcnt(1)
	v_mul_f64 v[53:54], v[47:48], v[55:56]
	v_mul_f64 v[55:56], v[49:50], v[55:56]
	s_waitcnt vmcnt(38)
	v_fma_f64 v[99:100], v[43:44], v[57:58], -v[99:100]
	v_fma_f64 v[51:52], v[45:46], v[57:58], v[51:52]
	ds_read_b128 v[43:46], v4 offset:400
	s_waitcnt vmcnt(34) lgkmcnt(1)
	v_mul_f64 v[57:58], v[39:40], v[59:60]
	v_add_f64 v[97:98], v[97:98], 0
	v_add_f64 v[5:6], v[5:6], 0
	v_mul_f64 v[59:60], v[41:42], v[59:60]
	s_waitcnt vmcnt(32)
	v_fma_f64 v[55:56], v[47:48], v[65:66], -v[55:56]
	v_fma_f64 v[53:54], v[49:50], v[65:66], v[53:54]
	ds_read_b128 v[47:50], v4 offset:416
	s_waitcnt vmcnt(29)
	v_fma_f64 v[57:58], v[41:42], v[67:68], v[57:58]
	v_add_f64 v[97:98], v[97:98], v[99:100]
	v_add_f64 v[5:6], v[5:6], v[51:52]
	s_waitcnt lgkmcnt(1)
	v_mul_f64 v[51:52], v[43:44], v[61:62]
	v_mul_f64 v[61:62], v[45:46], v[61:62]
	v_fma_f64 v[59:60], v[39:40], v[67:68], -v[59:60]
	s_waitcnt vmcnt(25) lgkmcnt(0)
	v_mul_f64 v[65:66], v[49:50], v[69:70]
	ds_read_b128 v[39:42], v4 offset:432
	v_add_f64 v[55:56], v[97:98], v[55:56]
	v_add_f64 v[5:6], v[5:6], v[53:54]
	v_mul_f64 v[53:54], v[47:48], v[69:70]
	s_waitcnt vmcnt(24)
	v_fma_f64 v[61:62], v[43:44], v[63:64], -v[61:62]
	v_fma_f64 v[51:52], v[45:46], v[63:64], v[51:52]
	ds_read_b128 v[43:46], v4 offset:448
	s_waitcnt vmcnt(21)
	v_fma_f64 v[63:64], v[47:48], v[75:76], -v[65:66]
	v_add_f64 v[55:56], v[55:56], v[59:60]
	v_add_f64 v[5:6], v[5:6], v[57:58]
	s_waitcnt lgkmcnt(1)
	v_mul_f64 v[59:60], v[41:42], v[71:72]
	v_mul_f64 v[57:58], v[39:40], v[71:72]
	v_fma_f64 v[53:54], v[49:50], v[75:76], v[53:54]
	ds_read_b128 v[47:50], v4 offset:464
	v_add_f64 v[55:56], v[55:56], v[61:62]
	v_add_f64 v[5:6], v[5:6], v[51:52]
	s_waitcnt vmcnt(17) lgkmcnt(1)
	v_mul_f64 v[61:62], v[45:46], v[77:78]
	s_waitcnt vmcnt(16)
	v_fma_f64 v[59:60], v[39:40], v[73:74], -v[59:60]
	v_mul_f64 v[51:52], v[43:44], v[77:78]
	v_fma_f64 v[57:58], v[41:42], v[73:74], v[57:58]
	ds_read_b128 v[39:42], v4 offset:480
	v_add_f64 v[55:56], v[55:56], v[63:64]
	v_add_f64 v[5:6], v[5:6], v[53:54]
	s_waitcnt vmcnt(15) lgkmcnt(1)
	v_mul_f64 v[63:64], v[49:50], v[79:80]
	s_waitcnt vmcnt(13)
	v_fma_f64 v[61:62], v[43:44], v[83:84], -v[61:62]
	;; [unrolled: 9-line block ×3, first 2 shown]
	v_mul_f64 v[57:58], v[39:40], v[85:86]
	v_fma_f64 v[49:50], v[49:50], v[81:82], v[53:54]
	s_waitcnt vmcnt(7) lgkmcnt(0)
	v_mul_f64 v[53:54], v[45:46], v[87:88]
	v_add_f64 v[55:56], v[55:56], v[61:62]
	v_add_f64 v[5:6], v[5:6], v[51:52]
	s_waitcnt vmcnt(5)
	v_fma_f64 v[39:40], v[39:40], v[91:92], -v[59:60]
	v_mul_f64 v[51:52], v[43:44], v[87:88]
	v_fma_f64 v[41:42], v[41:42], v[91:92], v[57:58]
	s_waitcnt vmcnt(4)
	v_fma_f64 v[43:44], v[43:44], v[89:90], -v[53:54]
	v_add_f64 v[47:48], v[55:56], v[47:48]
	v_add_f64 v[5:6], v[5:6], v[49:50]
	v_fma_f64 v[45:46], v[45:46], v[89:90], v[51:52]
	v_add_f64 v[39:40], v[47:48], v[39:40]
	v_add_f64 v[5:6], v[5:6], v[41:42]
	;; [unrolled: 1-line block ×4, first 2 shown]
	s_waitcnt vmcnt(2)
	v_add_f64 v[39:40], v[93:94], -v[39:40]
	s_waitcnt vmcnt(0)
	v_add_f64 v[5:6], v[95:96], -v[5:6]
	buffer_store_dword v40, off, s[0:3], 0 offset:68
	buffer_store_dword v39, off, s[0:3], 0 offset:64
	;; [unrolled: 1-line block ×4, first 2 shown]
	v_cmpx_lt_u32_e32 3, v0
	s_cbranch_execz .LBB79_103
; %bb.102:
	v_mov_b32_e32 v5, s26
	s_clause 0x3
	buffer_load_dword v39, v5, s[0:3], 0 offen
	buffer_load_dword v40, v5, s[0:3], 0 offen offset:4
	buffer_load_dword v41, v5, s[0:3], 0 offen offset:8
	;; [unrolled: 1-line block ×3, first 2 shown]
	buffer_store_dword v4, off, s[0:3], 0 offset:48
	buffer_store_dword v4, off, s[0:3], 0 offset:52
	;; [unrolled: 1-line block ×4, first 2 shown]
	s_waitcnt vmcnt(0)
	ds_write_b128 v3, v[39:42]
.LBB79_103:
	s_or_b32 exec_lo, exec_lo, s6
	s_waitcnt lgkmcnt(0)
	s_waitcnt_vscnt null, 0x0
	s_barrier
	buffer_gl0_inv
	s_clause 0x2f
	buffer_load_dword v5, off, s[0:3], 0 offset:72
	buffer_load_dword v6, off, s[0:3], 0 offset:76
	;; [unrolled: 1-line block ×48, first 2 shown]
	ds_read_b128 v[39:42], v4 offset:320
	s_clause 0x3
	buffer_load_dword v97, off, s[0:3], 0 offset:48
	buffer_load_dword v98, off, s[0:3], 0 offset:52
	;; [unrolled: 1-line block ×4, first 2 shown]
	ds_read_b128 v[43:46], v4 offset:336
	ds_read_b128 v[47:50], v4 offset:352
	s_mov_b32 s6, exec_lo
	s_waitcnt vmcnt(50) lgkmcnt(2)
	v_mul_f64 v[101:102], v[41:42], v[5:6]
	v_mul_f64 v[5:6], v[39:40], v[5:6]
	s_waitcnt vmcnt(48) lgkmcnt(1)
	v_mul_f64 v[103:104], v[45:46], v[51:52]
	v_mul_f64 v[51:52], v[43:44], v[51:52]
	s_waitcnt vmcnt(46)
	v_fma_f64 v[101:102], v[39:40], v[53:54], -v[101:102]
	v_fma_f64 v[5:6], v[41:42], v[53:54], v[5:6]
	s_waitcnt vmcnt(44) lgkmcnt(0)
	v_mul_f64 v[53:54], v[47:48], v[55:56]
	v_mul_f64 v[55:56], v[49:50], v[55:56]
	s_waitcnt vmcnt(42)
	v_fma_f64 v[103:104], v[43:44], v[57:58], -v[103:104]
	ds_read_b128 v[39:42], v4 offset:368
	v_fma_f64 v[51:52], v[45:46], v[57:58], v[51:52]
	ds_read_b128 v[43:46], v4 offset:384
	v_add_f64 v[101:102], v[101:102], 0
	v_add_f64 v[5:6], v[5:6], 0
	s_waitcnt vmcnt(36)
	v_fma_f64 v[53:54], v[49:50], v[65:66], v[53:54]
	s_waitcnt lgkmcnt(1)
	v_mul_f64 v[57:58], v[39:40], v[59:60]
	v_mul_f64 v[59:60], v[41:42], v[59:60]
	v_fma_f64 v[55:56], v[47:48], v[65:66], -v[55:56]
	ds_read_b128 v[47:50], v4 offset:400
	v_add_f64 v[101:102], v[101:102], v[103:104]
	v_add_f64 v[5:6], v[5:6], v[51:52]
	s_waitcnt vmcnt(35) lgkmcnt(1)
	v_mul_f64 v[51:52], v[43:44], v[61:62]
	v_mul_f64 v[61:62], v[45:46], v[61:62]
	s_waitcnt vmcnt(33)
	v_fma_f64 v[59:60], v[39:40], v[67:68], -v[59:60]
	v_fma_f64 v[57:58], v[41:42], v[67:68], v[57:58]
	ds_read_b128 v[39:42], v4 offset:416
	s_waitcnt vmcnt(29) lgkmcnt(1)
	v_mul_f64 v[65:66], v[49:50], v[69:70]
	v_add_f64 v[55:56], v[101:102], v[55:56]
	v_add_f64 v[5:6], v[5:6], v[53:54]
	v_mul_f64 v[53:54], v[47:48], v[69:70]
	s_waitcnt vmcnt(28)
	v_fma_f64 v[61:62], v[43:44], v[63:64], -v[61:62]
	v_fma_f64 v[51:52], v[45:46], v[63:64], v[51:52]
	ds_read_b128 v[43:46], v4 offset:432
	s_waitcnt vmcnt(25)
	v_fma_f64 v[63:64], v[47:48], v[75:76], -v[65:66]
	v_add_f64 v[55:56], v[55:56], v[59:60]
	v_add_f64 v[5:6], v[5:6], v[57:58]
	s_waitcnt lgkmcnt(1)
	v_mul_f64 v[59:60], v[41:42], v[71:72]
	v_mul_f64 v[57:58], v[39:40], v[71:72]
	v_fma_f64 v[53:54], v[49:50], v[75:76], v[53:54]
	ds_read_b128 v[47:50], v4 offset:448
	v_add_f64 v[55:56], v[55:56], v[61:62]
	v_add_f64 v[5:6], v[5:6], v[51:52]
	s_waitcnt vmcnt(21) lgkmcnt(1)
	v_mul_f64 v[61:62], v[45:46], v[77:78]
	s_waitcnt vmcnt(20)
	v_fma_f64 v[59:60], v[39:40], v[73:74], -v[59:60]
	v_mul_f64 v[51:52], v[43:44], v[77:78]
	v_fma_f64 v[57:58], v[41:42], v[73:74], v[57:58]
	ds_read_b128 v[39:42], v4 offset:464
	v_add_f64 v[55:56], v[55:56], v[63:64]
	v_add_f64 v[5:6], v[5:6], v[53:54]
	s_waitcnt vmcnt(19) lgkmcnt(1)
	v_mul_f64 v[63:64], v[49:50], v[79:80]
	s_waitcnt vmcnt(17)
	v_fma_f64 v[61:62], v[43:44], v[83:84], -v[61:62]
	;; [unrolled: 9-line block ×4, first 2 shown]
	v_mul_f64 v[51:52], v[43:44], v[87:88]
	v_fma_f64 v[41:42], v[41:42], v[91:92], v[57:58]
	s_waitcnt vmcnt(7) lgkmcnt(0)
	v_mul_f64 v[57:58], v[49:50], v[93:94]
	v_add_f64 v[55:56], v[55:56], v[63:64]
	v_add_f64 v[4:5], v[5:6], v[53:54]
	s_waitcnt vmcnt(6)
	v_fma_f64 v[43:44], v[43:44], v[89:90], -v[61:62]
	v_mul_f64 v[53:54], v[47:48], v[93:94]
	v_fma_f64 v[45:46], v[45:46], v[89:90], v[51:52]
	v_add_f64 v[39:40], v[55:56], v[39:40]
	v_add_f64 v[4:5], v[4:5], v[41:42]
	s_waitcnt vmcnt(4)
	v_fma_f64 v[41:42], v[47:48], v[95:96], -v[57:58]
	v_add_f64 v[39:40], v[39:40], v[43:44]
	v_fma_f64 v[43:44], v[49:50], v[95:96], v[53:54]
	v_add_f64 v[4:5], v[4:5], v[45:46]
	v_add_f64 v[39:40], v[39:40], v[41:42]
	v_add_f64 v[4:5], v[4:5], v[43:44]
	s_waitcnt vmcnt(2)
	v_add_f64 v[39:40], v[97:98], -v[39:40]
	s_waitcnt vmcnt(0)
	v_add_f64 v[4:5], v[99:100], -v[4:5]
	buffer_store_dword v40, off, s[0:3], 0 offset:52
	buffer_store_dword v39, off, s[0:3], 0 offset:48
	;; [unrolled: 1-line block ×4, first 2 shown]
	v_cmpx_lt_u32_e32 2, v0
	s_cbranch_execz .LBB79_105
; %bb.104:
	v_mov_b32_e32 v4, s27
	s_clause 0x3
	buffer_load_dword v39, v4, s[0:3], 0 offen
	buffer_load_dword v40, v4, s[0:3], 0 offen offset:4
	buffer_load_dword v41, v4, s[0:3], 0 offen offset:8
	;; [unrolled: 1-line block ×3, first 2 shown]
	v_mov_b32_e32 v4, 0
	buffer_store_dword v4, off, s[0:3], 0 offset:32
	buffer_store_dword v4, off, s[0:3], 0 offset:36
	;; [unrolled: 1-line block ×4, first 2 shown]
	s_waitcnt vmcnt(0)
	ds_write_b128 v3, v[39:42]
.LBB79_105:
	s_or_b32 exec_lo, exec_lo, s6
	s_waitcnt lgkmcnt(0)
	s_waitcnt_vscnt null, 0x0
	s_barrier
	buffer_gl0_inv
	s_clause 0x33
	buffer_load_dword v5, off, s[0:3], 0 offset:56
	buffer_load_dword v6, off, s[0:3], 0 offset:60
	;; [unrolled: 1-line block ×52, first 2 shown]
	v_mov_b32_e32 v4, 0
	ds_read_b128 v[39:42], v4 offset:304
	ds_read_b128 v[43:46], v4 offset:320
	s_clause 0x3
	buffer_load_dword v103, off, s[0:3], 0 offset:32
	buffer_load_dword v104, off, s[0:3], 0 offset:36
	;; [unrolled: 1-line block ×4, first 2 shown]
	ds_read_b128 v[47:50], v4 offset:336
	s_mov_b32 s6, exec_lo
	s_waitcnt vmcnt(54) lgkmcnt(2)
	v_mul_f64 v[101:102], v[41:42], v[5:6]
	v_mul_f64 v[5:6], v[39:40], v[5:6]
	s_waitcnt vmcnt(52) lgkmcnt(1)
	v_mul_f64 v[107:108], v[45:46], v[51:52]
	v_mul_f64 v[51:52], v[43:44], v[51:52]
	s_waitcnt vmcnt(50)
	v_fma_f64 v[101:102], v[39:40], v[53:54], -v[101:102]
	v_fma_f64 v[5:6], v[41:42], v[53:54], v[5:6]
	ds_read_b128 v[39:42], v4 offset:352
	s_waitcnt vmcnt(48) lgkmcnt(1)
	v_mul_f64 v[53:54], v[47:48], v[55:56]
	v_mul_f64 v[55:56], v[49:50], v[55:56]
	s_waitcnt vmcnt(46)
	v_fma_f64 v[107:108], v[43:44], v[57:58], -v[107:108]
	v_fma_f64 v[51:52], v[45:46], v[57:58], v[51:52]
	ds_read_b128 v[43:46], v4 offset:368
	s_waitcnt vmcnt(42) lgkmcnt(1)
	v_mul_f64 v[57:58], v[39:40], v[59:60]
	v_add_f64 v[101:102], v[101:102], 0
	v_add_f64 v[5:6], v[5:6], 0
	v_mul_f64 v[59:60], v[41:42], v[59:60]
	s_waitcnt vmcnt(40)
	v_fma_f64 v[55:56], v[47:48], v[65:66], -v[55:56]
	v_fma_f64 v[53:54], v[49:50], v[65:66], v[53:54]
	ds_read_b128 v[47:50], v4 offset:384
	s_waitcnt vmcnt(37)
	v_fma_f64 v[57:58], v[41:42], v[67:68], v[57:58]
	v_add_f64 v[101:102], v[101:102], v[107:108]
	v_add_f64 v[5:6], v[5:6], v[51:52]
	s_waitcnt lgkmcnt(1)
	v_mul_f64 v[51:52], v[43:44], v[61:62]
	v_mul_f64 v[61:62], v[45:46], v[61:62]
	v_fma_f64 v[59:60], v[39:40], v[67:68], -v[59:60]
	s_waitcnt vmcnt(33) lgkmcnt(0)
	v_mul_f64 v[65:66], v[49:50], v[69:70]
	ds_read_b128 v[39:42], v4 offset:400
	v_add_f64 v[55:56], v[101:102], v[55:56]
	v_add_f64 v[5:6], v[5:6], v[53:54]
	v_mul_f64 v[53:54], v[47:48], v[69:70]
	s_waitcnt vmcnt(32)
	v_fma_f64 v[61:62], v[43:44], v[63:64], -v[61:62]
	v_fma_f64 v[51:52], v[45:46], v[63:64], v[51:52]
	ds_read_b128 v[43:46], v4 offset:416
	s_waitcnt vmcnt(29)
	v_fma_f64 v[63:64], v[47:48], v[75:76], -v[65:66]
	v_add_f64 v[55:56], v[55:56], v[59:60]
	v_add_f64 v[5:6], v[5:6], v[57:58]
	s_waitcnt lgkmcnt(1)
	v_mul_f64 v[59:60], v[41:42], v[71:72]
	v_mul_f64 v[57:58], v[39:40], v[71:72]
	v_fma_f64 v[53:54], v[49:50], v[75:76], v[53:54]
	ds_read_b128 v[47:50], v4 offset:432
	v_add_f64 v[55:56], v[55:56], v[61:62]
	v_add_f64 v[5:6], v[5:6], v[51:52]
	s_waitcnt vmcnt(25) lgkmcnt(1)
	v_mul_f64 v[61:62], v[45:46], v[77:78]
	s_waitcnt vmcnt(24)
	v_fma_f64 v[59:60], v[39:40], v[73:74], -v[59:60]
	v_mul_f64 v[51:52], v[43:44], v[77:78]
	v_fma_f64 v[57:58], v[41:42], v[73:74], v[57:58]
	ds_read_b128 v[39:42], v4 offset:448
	v_add_f64 v[55:56], v[55:56], v[63:64]
	v_add_f64 v[5:6], v[5:6], v[53:54]
	s_waitcnt vmcnt(23) lgkmcnt(1)
	v_mul_f64 v[63:64], v[49:50], v[79:80]
	s_waitcnt vmcnt(21)
	v_fma_f64 v[61:62], v[43:44], v[83:84], -v[61:62]
	;; [unrolled: 9-line block ×5, first 2 shown]
	v_mul_f64 v[53:54], v[47:48], v[93:94]
	v_fma_f64 v[45:46], v[45:46], v[89:90], v[51:52]
	s_waitcnt vmcnt(7) lgkmcnt(0)
	v_mul_f64 v[51:52], v[39:40], v[95:96]
	v_add_f64 v[55:56], v[55:56], v[59:60]
	v_add_f64 v[5:6], v[5:6], v[57:58]
	v_mul_f64 v[57:58], v[41:42], v[95:96]
	s_waitcnt vmcnt(5)
	v_fma_f64 v[47:48], v[47:48], v[99:100], -v[63:64]
	v_fma_f64 v[49:50], v[49:50], v[99:100], v[53:54]
	s_waitcnt vmcnt(4)
	v_fma_f64 v[41:42], v[41:42], v[97:98], v[51:52]
	v_add_f64 v[43:44], v[55:56], v[43:44]
	v_add_f64 v[5:6], v[5:6], v[45:46]
	v_fma_f64 v[39:40], v[39:40], v[97:98], -v[57:58]
	v_add_f64 v[43:44], v[43:44], v[47:48]
	v_add_f64 v[5:6], v[5:6], v[49:50]
	;; [unrolled: 1-line block ×4, first 2 shown]
	s_waitcnt vmcnt(2)
	v_add_f64 v[39:40], v[103:104], -v[39:40]
	s_waitcnt vmcnt(0)
	v_add_f64 v[5:6], v[105:106], -v[5:6]
	buffer_store_dword v40, off, s[0:3], 0 offset:36
	buffer_store_dword v39, off, s[0:3], 0 offset:32
	;; [unrolled: 1-line block ×4, first 2 shown]
	v_cmpx_lt_u32_e32 1, v0
	s_cbranch_execz .LBB79_107
; %bb.106:
	v_mov_b32_e32 v5, s28
	s_clause 0x3
	buffer_load_dword v39, v5, s[0:3], 0 offen
	buffer_load_dword v40, v5, s[0:3], 0 offen offset:4
	buffer_load_dword v41, v5, s[0:3], 0 offen offset:8
	;; [unrolled: 1-line block ×3, first 2 shown]
	buffer_store_dword v4, off, s[0:3], 0 offset:16
	buffer_store_dword v4, off, s[0:3], 0 offset:20
	;; [unrolled: 1-line block ×4, first 2 shown]
	s_waitcnt vmcnt(0)
	ds_write_b128 v3, v[39:42]
.LBB79_107:
	s_or_b32 exec_lo, exec_lo, s6
	s_waitcnt lgkmcnt(0)
	s_waitcnt_vscnt null, 0x0
	s_barrier
	buffer_gl0_inv
	s_clause 0x35
	buffer_load_dword v5, off, s[0:3], 0 offset:40
	buffer_load_dword v6, off, s[0:3], 0 offset:44
	;; [unrolled: 1-line block ×54, first 2 shown]
	ds_read_b128 v[39:42], v4 offset:288
	s_clause 0x1
	buffer_load_dword v104, off, s[0:3], 0 offset:244
	buffer_load_dword v103, off, s[0:3], 0 offset:240
	ds_read_b128 v[43:46], v4 offset:304
	ds_read_b128 v[47:50], v4 offset:320
	s_mov_b32 s6, exec_lo
	s_waitcnt vmcnt(54) lgkmcnt(2)
	v_mul_f64 v[105:106], v[41:42], v[5:6]
	v_mul_f64 v[5:6], v[39:40], v[5:6]
	s_waitcnt vmcnt(52) lgkmcnt(1)
	v_mul_f64 v[107:108], v[45:46], v[51:52]
	v_mul_f64 v[51:52], v[43:44], v[51:52]
	;; [unrolled: 3-line block ×3, first 2 shown]
	v_fma_f64 v[105:106], v[39:40], v[53:54], -v[105:106]
	v_fma_f64 v[5:6], v[41:42], v[53:54], v[5:6]
	s_clause 0x3
	buffer_load_dword v53, off, s[0:3], 0 offset:16
	buffer_load_dword v54, off, s[0:3], 0 offset:20
	;; [unrolled: 1-line block ×4, first 2 shown]
	s_waitcnt vmcnt(50)
	v_fma_f64 v[107:108], v[43:44], v[57:58], -v[107:108]
	ds_read_b128 v[39:42], v4 offset:336
	v_fma_f64 v[51:52], v[45:46], v[57:58], v[51:52]
	ds_read_b128 v[43:46], v4 offset:352
	s_waitcnt vmcnt(44)
	v_fma_f64 v[55:56], v[47:48], v[65:66], -v[55:56]
	v_fma_f64 v[65:66], v[49:50], v[65:66], v[111:112]
	ds_read_b128 v[47:50], v4 offset:368
	v_add_f64 v[105:106], v[105:106], 0
	v_add_f64 v[5:6], v[5:6], 0
	s_waitcnt lgkmcnt(2)
	v_mul_f64 v[57:58], v[39:40], v[59:60]
	v_mul_f64 v[59:60], v[41:42], v[59:60]
	v_add_f64 v[105:106], v[105:106], v[107:108]
	v_add_f64 v[5:6], v[5:6], v[51:52]
	s_waitcnt vmcnt(43) lgkmcnt(1)
	v_mul_f64 v[51:52], v[43:44], v[61:62]
	v_mul_f64 v[61:62], v[45:46], v[61:62]
	s_waitcnt vmcnt(41)
	v_fma_f64 v[59:60], v[39:40], v[67:68], -v[59:60]
	v_fma_f64 v[57:58], v[41:42], v[67:68], v[57:58]
	ds_read_b128 v[39:42], v4 offset:384
	s_waitcnt vmcnt(37) lgkmcnt(1)
	v_mul_f64 v[67:68], v[49:50], v[69:70]
	v_add_f64 v[55:56], v[105:106], v[55:56]
	v_add_f64 v[5:6], v[5:6], v[65:66]
	v_mul_f64 v[65:66], v[47:48], v[69:70]
	s_waitcnt vmcnt(36)
	v_fma_f64 v[61:62], v[43:44], v[63:64], -v[61:62]
	v_fma_f64 v[51:52], v[45:46], v[63:64], v[51:52]
	ds_read_b128 v[43:46], v4 offset:400
	s_waitcnt vmcnt(33)
	v_fma_f64 v[63:64], v[47:48], v[75:76], -v[67:68]
	v_add_f64 v[55:56], v[55:56], v[59:60]
	v_add_f64 v[5:6], v[5:6], v[57:58]
	s_waitcnt lgkmcnt(1)
	v_mul_f64 v[59:60], v[41:42], v[71:72]
	v_mul_f64 v[57:58], v[39:40], v[71:72]
	v_add_f64 v[55:56], v[55:56], v[61:62]
	v_fma_f64 v[61:62], v[49:50], v[75:76], v[65:66]
	v_add_f64 v[5:6], v[5:6], v[51:52]
	ds_read_b128 v[47:50], v4 offset:416
	s_waitcnt vmcnt(29) lgkmcnt(1)
	v_mul_f64 v[65:66], v[45:46], v[77:78]
	s_waitcnt vmcnt(28)
	v_fma_f64 v[59:60], v[39:40], v[73:74], -v[59:60]
	v_mul_f64 v[51:52], v[43:44], v[77:78]
	v_fma_f64 v[57:58], v[41:42], v[73:74], v[57:58]
	ds_read_b128 v[39:42], v4 offset:432
	v_add_f64 v[55:56], v[55:56], v[63:64]
	s_waitcnt vmcnt(27) lgkmcnt(1)
	v_mul_f64 v[63:64], v[49:50], v[79:80]
	v_add_f64 v[5:6], v[5:6], v[61:62]
	v_mul_f64 v[61:62], v[47:48], v[79:80]
	s_waitcnt vmcnt(25)
	v_fma_f64 v[65:66], v[43:44], v[83:84], -v[65:66]
	v_fma_f64 v[51:52], v[45:46], v[83:84], v[51:52]
	ds_read_b128 v[43:46], v4 offset:448
	v_add_f64 v[55:56], v[55:56], v[59:60]
	s_waitcnt vmcnt(21) lgkmcnt(1)
	v_mul_f64 v[59:60], v[41:42], v[85:86]
	v_add_f64 v[5:6], v[5:6], v[57:58]
	s_waitcnt vmcnt(20)
	v_fma_f64 v[63:64], v[47:48], v[81:82], -v[63:64]
	v_mul_f64 v[57:58], v[39:40], v[85:86]
	v_fma_f64 v[61:62], v[49:50], v[81:82], v[61:62]
	ds_read_b128 v[47:50], v4 offset:464
	v_add_f64 v[55:56], v[55:56], v[65:66]
	s_waitcnt vmcnt(19) lgkmcnt(1)
	v_mul_f64 v[65:66], v[45:46], v[87:88]
	v_add_f64 v[5:6], v[5:6], v[51:52]
	s_waitcnt vmcnt(17)
	v_fma_f64 v[59:60], v[39:40], v[91:92], -v[59:60]
	v_mul_f64 v[51:52], v[43:44], v[87:88]
	;; [unrolled: 9-line block ×4, first 2 shown]
	v_fma_f64 v[49:50], v[49:50], v[99:100], v[61:62]
	s_waitcnt vmcnt(7) lgkmcnt(0)
	v_mul_f64 v[61:62], v[45:46], v[101:102]
	v_add_f64 v[55:56], v[55:56], v[65:66]
	s_waitcnt vmcnt(6)
	v_fma_f64 v[39:40], v[39:40], v[97:98], -v[59:60]
	v_add_f64 v[4:5], v[5:6], v[51:52]
	v_mul_f64 v[51:52], v[43:44], v[101:102]
	v_fma_f64 v[41:42], v[41:42], v[97:98], v[57:58]
	s_waitcnt vmcnt(4)
	v_fma_f64 v[43:44], v[43:44], v[103:104], -v[61:62]
	v_add_f64 v[47:48], v[55:56], v[47:48]
	v_add_f64 v[4:5], v[4:5], v[49:50]
	v_fma_f64 v[45:46], v[45:46], v[103:104], v[51:52]
	v_add_f64 v[39:40], v[47:48], v[39:40]
	v_add_f64 v[4:5], v[4:5], v[41:42]
	v_add_f64 v[39:40], v[39:40], v[43:44]
	v_add_f64 v[4:5], v[4:5], v[45:46]
	s_waitcnt vmcnt(2)
	v_add_f64 v[39:40], v[53:54], -v[39:40]
	s_waitcnt vmcnt(0)
	v_add_f64 v[4:5], v[109:110], -v[4:5]
	buffer_store_dword v40, off, s[0:3], 0 offset:20
	buffer_store_dword v39, off, s[0:3], 0 offset:16
	;; [unrolled: 1-line block ×4, first 2 shown]
	v_cmpx_ne_u32_e32 0, v0
	s_cbranch_execz .LBB79_109
; %bb.108:
	s_clause 0x3
	buffer_load_dword v39, off, s[0:3], 0
	buffer_load_dword v40, off, s[0:3], 0 offset:4
	buffer_load_dword v41, off, s[0:3], 0 offset:8
	;; [unrolled: 1-line block ×3, first 2 shown]
	v_mov_b32_e32 v4, 0
	buffer_store_dword v4, off, s[0:3], 0
	buffer_store_dword v4, off, s[0:3], 0 offset:4
	buffer_store_dword v4, off, s[0:3], 0 offset:8
	;; [unrolled: 1-line block ×3, first 2 shown]
	s_waitcnt vmcnt(0)
	ds_write_b128 v3, v[39:42]
.LBB79_109:
	s_or_b32 exec_lo, exec_lo, s6
	s_waitcnt lgkmcnt(0)
	s_waitcnt_vscnt null, 0x0
	s_barrier
	buffer_gl0_inv
	s_clause 0x37
	buffer_load_dword v4, off, s[0:3], 0 offset:24
	buffer_load_dword v5, off, s[0:3], 0 offset:28
	;; [unrolled: 1-line block ×56, first 2 shown]
	v_mov_b32_e32 v3, 0
	s_and_b32 vcc_lo, exec_lo, s29
	ds_read_b128 v[39:42], v3 offset:272
	s_clause 0x2
	buffer_load_dword v104, off, s[0:3], 0 offset:252
	buffer_load_dword v108, off, s[0:3], 0 offset:228
	;; [unrolled: 1-line block ×3, first 2 shown]
	ds_read_b128 v[43:46], v3 offset:288
	ds_read_b128 v[47:50], v3 offset:304
	buffer_load_dword v106, off, s[0:3], 0 offset:244
	s_waitcnt vmcnt(58) lgkmcnt(2)
	v_mul_f64 v[109:110], v[41:42], v[4:5]
	v_mul_f64 v[4:5], v[39:40], v[4:5]
	s_waitcnt vmcnt(56) lgkmcnt(1)
	v_mul_f64 v[111:112], v[45:46], v[51:52]
	v_mul_f64 v[51:52], v[43:44], v[51:52]
	s_waitcnt vmcnt(54)
	v_fma_f64 v[109:110], v[39:40], v[53:54], -v[109:110]
	v_fma_f64 v[4:5], v[41:42], v[53:54], v[4:5]
	s_waitcnt vmcnt(52) lgkmcnt(0)
	v_mul_f64 v[53:54], v[47:48], v[55:56]
	v_mul_f64 v[55:56], v[49:50], v[55:56]
	s_waitcnt vmcnt(50)
	v_fma_f64 v[111:112], v[43:44], v[57:58], -v[111:112]
	ds_read_b128 v[39:42], v3 offset:320
	v_fma_f64 v[51:52], v[45:46], v[57:58], v[51:52]
	s_clause 0x3
	buffer_load_dword v57, off, s[0:3], 0
	buffer_load_dword v58, off, s[0:3], 0 offset:4
	buffer_load_dword v113, off, s[0:3], 0 offset:8
	;; [unrolled: 1-line block ×3, first 2 shown]
	ds_read_b128 v[43:46], v3 offset:336
	v_add_f64 v[109:110], v[109:110], 0
	v_add_f64 v[4:5], v[4:5], 0
	s_waitcnt vmcnt(48)
	v_fma_f64 v[53:54], v[49:50], v[65:66], v[53:54]
	s_waitcnt lgkmcnt(1)
	v_mul_f64 v[115:116], v[39:40], v[59:60]
	v_mul_f64 v[59:60], v[41:42], v[59:60]
	v_fma_f64 v[55:56], v[47:48], v[65:66], -v[55:56]
	ds_read_b128 v[47:50], v3 offset:352
	v_add_f64 v[109:110], v[109:110], v[111:112]
	v_add_f64 v[4:5], v[4:5], v[51:52]
	s_waitcnt vmcnt(47) lgkmcnt(1)
	v_mul_f64 v[51:52], v[43:44], v[61:62]
	v_mul_f64 v[61:62], v[45:46], v[61:62]
	s_waitcnt vmcnt(45)
	v_fma_f64 v[59:60], v[39:40], v[67:68], -v[59:60]
	v_fma_f64 v[65:66], v[41:42], v[67:68], v[115:116]
	s_waitcnt vmcnt(41) lgkmcnt(0)
	v_mul_f64 v[67:68], v[49:50], v[69:70]
	ds_read_b128 v[39:42], v3 offset:368
	v_add_f64 v[55:56], v[109:110], v[55:56]
	v_add_f64 v[4:5], v[4:5], v[53:54]
	v_mul_f64 v[53:54], v[47:48], v[69:70]
	s_waitcnt vmcnt(40)
	v_fma_f64 v[61:62], v[43:44], v[63:64], -v[61:62]
	v_fma_f64 v[51:52], v[45:46], v[63:64], v[51:52]
	ds_read_b128 v[43:46], v3 offset:384
	s_waitcnt vmcnt(39) lgkmcnt(1)
	v_mul_f64 v[63:64], v[41:42], v[71:72]
	v_add_f64 v[55:56], v[55:56], v[59:60]
	v_add_f64 v[4:5], v[4:5], v[65:66]
	s_waitcnt vmcnt(37)
	v_fma_f64 v[65:66], v[47:48], v[75:76], -v[67:68]
	v_mul_f64 v[59:60], v[39:40], v[71:72]
	v_fma_f64 v[53:54], v[49:50], v[75:76], v[53:54]
	ds_read_b128 v[47:50], v3 offset:400
	s_waitcnt vmcnt(32)
	v_fma_f64 v[63:64], v[39:40], v[73:74], -v[63:64]
	v_add_f64 v[55:56], v[55:56], v[61:62]
	v_add_f64 v[4:5], v[4:5], v[51:52]
	s_waitcnt lgkmcnt(1)
	v_mul_f64 v[61:62], v[45:46], v[77:78]
	v_mul_f64 v[51:52], v[43:44], v[77:78]
	v_fma_f64 v[59:60], v[41:42], v[73:74], v[59:60]
	ds_read_b128 v[39:42], v3 offset:416
	v_add_f64 v[55:56], v[55:56], v[65:66]
	v_add_f64 v[4:5], v[4:5], v[53:54]
	s_waitcnt vmcnt(31) lgkmcnt(1)
	v_mul_f64 v[65:66], v[49:50], v[79:80]
	s_waitcnt vmcnt(29)
	v_fma_f64 v[61:62], v[43:44], v[83:84], -v[61:62]
	v_mul_f64 v[53:54], v[47:48], v[79:80]
	v_fma_f64 v[51:52], v[45:46], v[83:84], v[51:52]
	ds_read_b128 v[43:46], v3 offset:432
	v_add_f64 v[55:56], v[55:56], v[63:64]
	v_add_f64 v[4:5], v[4:5], v[59:60]
	s_waitcnt vmcnt(25) lgkmcnt(1)
	v_mul_f64 v[63:64], v[41:42], v[85:86]
	s_waitcnt vmcnt(24)
	v_fma_f64 v[65:66], v[47:48], v[81:82], -v[65:66]
	;; [unrolled: 9-line block ×6, first 2 shown]
	v_mul_f64 v[51:52], v[43:44], v[101:102]
	v_fma_f64 v[41:42], v[41:42], v[97:98], v[59:60]
	s_waitcnt vmcnt(7) lgkmcnt(0)
	v_mul_f64 v[59:60], v[49:50], v[103:104]
	v_add_f64 v[55:56], v[55:56], v[65:66]
	v_add_f64 v[4:5], v[4:5], v[53:54]
	s_waitcnt vmcnt(5)
	v_fma_f64 v[43:44], v[43:44], v[107:108], -v[61:62]
	v_mul_f64 v[53:54], v[47:48], v[103:104]
	v_fma_f64 v[45:46], v[45:46], v[107:108], v[51:52]
	v_add_f64 v[39:40], v[55:56], v[39:40]
	v_add_f64 v[4:5], v[4:5], v[41:42]
	s_waitcnt vmcnt(4)
	v_fma_f64 v[41:42], v[47:48], v[105:106], -v[59:60]
	v_add_f64 v[39:40], v[39:40], v[43:44]
	v_fma_f64 v[43:44], v[49:50], v[105:106], v[53:54]
	v_add_f64 v[4:5], v[4:5], v[45:46]
	v_add_f64 v[39:40], v[39:40], v[41:42]
	;; [unrolled: 1-line block ×3, first 2 shown]
	s_waitcnt vmcnt(2)
	v_add_f64 v[39:40], v[57:58], -v[39:40]
	s_waitcnt vmcnt(0)
	v_add_f64 v[4:5], v[113:114], -v[4:5]
	buffer_store_dword v40, off, s[0:3], 0 offset:4
	buffer_store_dword v39, off, s[0:3], 0
	buffer_store_dword v5, off, s[0:3], 0 offset:12
	buffer_store_dword v4, off, s[0:3], 0 offset:8
	s_cbranch_vccz .LBB79_140
; %bb.110:
	global_load_dword v3, v3, s[10:11] offset:56
	s_load_dwordx2 s[4:5], s[4:5], 0x4
	s_waitcnt lgkmcnt(0)
	s_lshr_b32 s4, s4, 16
	v_mul_u32_u24_e32 v4, s5, v1
	s_mul_i32 s4, s4, s5
	v_mul_u32_u24_e32 v0, s4, v0
	v_add3_u32 v0, v0, v4, v2
	v_lshl_add_u32 v0, v0, 4, 0x208
	s_waitcnt vmcnt(0)
	v_add_nc_u32_e32 v1, -1, v3
	v_cmp_ne_u32_e32 vcc_lo, 14, v1
	s_cbranch_vccz .LBB79_112
; %bb.111:
	v_lshlrev_b32_e32 v1, 4, v1
	v_mov_b32_e32 v5, s13
	v_mov_b32_e32 v6, v1
	s_clause 0x7
	buffer_load_dword v1, v5, s[0:3], 0 offen
	buffer_load_dword v2, v5, s[0:3], 0 offen offset:4
	buffer_load_dword v3, v5, s[0:3], 0 offen offset:8
	;; [unrolled: 1-line block ×3, first 2 shown]
	buffer_load_dword v39, v6, s[0:3], 0 offen
	buffer_load_dword v40, v6, s[0:3], 0 offen offset:4
	buffer_load_dword v41, v6, s[0:3], 0 offen offset:8
	;; [unrolled: 1-line block ×3, first 2 shown]
	s_waitcnt vmcnt(4)
	ds_write2_b64 v0, v[1:2], v[3:4] offset1:1
	s_waitcnt vmcnt(3)
	buffer_store_dword v39, v5, s[0:3], 0 offen
	s_waitcnt vmcnt(2)
	buffer_store_dword v40, v5, s[0:3], 0 offen offset:4
	s_waitcnt vmcnt(1)
	buffer_store_dword v41, v5, s[0:3], 0 offen offset:8
	;; [unrolled: 2-line block ×3, first 2 shown]
	buffer_store_dword v4, v6, s[0:3], 0 offen offset:12
	buffer_store_dword v3, v6, s[0:3], 0 offen offset:8
	;; [unrolled: 1-line block ×3, first 2 shown]
	buffer_store_dword v1, v6, s[0:3], 0 offen
.LBB79_112:
	v_mov_b32_e32 v1, 0
	global_load_dword v2, v1, s[10:11] offset:52
	s_waitcnt vmcnt(0)
	v_add_nc_u32_e32 v2, -1, v2
	v_cmp_eq_u32_e32 vcc_lo, 13, v2
	s_cbranch_vccnz .LBB79_114
; %bb.113:
	v_lshlrev_b32_e32 v2, 4, v2
	v_mov_b32_e32 v6, s16
	v_mov_b32_e32 v39, v2
	s_clause 0x7
	buffer_load_dword v2, v6, s[0:3], 0 offen
	buffer_load_dword v3, v6, s[0:3], 0 offen offset:4
	buffer_load_dword v4, v6, s[0:3], 0 offen offset:8
	;; [unrolled: 1-line block ×3, first 2 shown]
	buffer_load_dword v40, v39, s[0:3], 0 offen
	buffer_load_dword v41, v39, s[0:3], 0 offen offset:4
	buffer_load_dword v42, v39, s[0:3], 0 offen offset:8
	;; [unrolled: 1-line block ×3, first 2 shown]
	s_waitcnt vmcnt(4)
	ds_write2_b64 v0, v[2:3], v[4:5] offset1:1
	s_waitcnt vmcnt(3)
	buffer_store_dword v40, v6, s[0:3], 0 offen
	s_waitcnt vmcnt(2)
	buffer_store_dword v41, v6, s[0:3], 0 offen offset:4
	s_waitcnt vmcnt(1)
	buffer_store_dword v42, v6, s[0:3], 0 offen offset:8
	;; [unrolled: 2-line block ×3, first 2 shown]
	buffer_store_dword v5, v39, s[0:3], 0 offen offset:12
	buffer_store_dword v4, v39, s[0:3], 0 offen offset:8
	;; [unrolled: 1-line block ×3, first 2 shown]
	buffer_store_dword v2, v39, s[0:3], 0 offen
.LBB79_114:
	global_load_dword v1, v1, s[10:11] offset:48
	s_waitcnt vmcnt(0)
	v_add_nc_u32_e32 v1, -1, v1
	v_cmp_eq_u32_e32 vcc_lo, 12, v1
	s_cbranch_vccnz .LBB79_116
; %bb.115:
	v_lshlrev_b32_e32 v1, 4, v1
	v_mov_b32_e32 v5, s17
	v_mov_b32_e32 v6, v1
	s_clause 0x7
	buffer_load_dword v1, v5, s[0:3], 0 offen
	buffer_load_dword v2, v5, s[0:3], 0 offen offset:4
	buffer_load_dword v3, v5, s[0:3], 0 offen offset:8
	;; [unrolled: 1-line block ×3, first 2 shown]
	buffer_load_dword v39, v6, s[0:3], 0 offen
	buffer_load_dword v40, v6, s[0:3], 0 offen offset:4
	buffer_load_dword v41, v6, s[0:3], 0 offen offset:8
	;; [unrolled: 1-line block ×3, first 2 shown]
	s_waitcnt vmcnt(4)
	ds_write2_b64 v0, v[1:2], v[3:4] offset1:1
	s_waitcnt vmcnt(3)
	buffer_store_dword v39, v5, s[0:3], 0 offen
	s_waitcnt vmcnt(2)
	buffer_store_dword v40, v5, s[0:3], 0 offen offset:4
	s_waitcnt vmcnt(1)
	buffer_store_dword v41, v5, s[0:3], 0 offen offset:8
	;; [unrolled: 2-line block ×3, first 2 shown]
	buffer_store_dword v4, v6, s[0:3], 0 offen offset:12
	buffer_store_dword v3, v6, s[0:3], 0 offen offset:8
	;; [unrolled: 1-line block ×3, first 2 shown]
	buffer_store_dword v1, v6, s[0:3], 0 offen
.LBB79_116:
	v_mov_b32_e32 v1, 0
	global_load_dword v2, v1, s[10:11] offset:44
	s_waitcnt vmcnt(0)
	v_add_nc_u32_e32 v2, -1, v2
	v_cmp_eq_u32_e32 vcc_lo, 11, v2
	s_cbranch_vccnz .LBB79_118
; %bb.117:
	v_lshlrev_b32_e32 v2, 4, v2
	v_mov_b32_e32 v6, s18
	v_mov_b32_e32 v39, v2
	s_clause 0x7
	buffer_load_dword v2, v6, s[0:3], 0 offen
	buffer_load_dword v3, v6, s[0:3], 0 offen offset:4
	buffer_load_dword v4, v6, s[0:3], 0 offen offset:8
	;; [unrolled: 1-line block ×3, first 2 shown]
	buffer_load_dword v40, v39, s[0:3], 0 offen
	buffer_load_dword v41, v39, s[0:3], 0 offen offset:4
	buffer_load_dword v42, v39, s[0:3], 0 offen offset:8
	;; [unrolled: 1-line block ×3, first 2 shown]
	s_waitcnt vmcnt(4)
	ds_write2_b64 v0, v[2:3], v[4:5] offset1:1
	s_waitcnt vmcnt(3)
	buffer_store_dword v40, v6, s[0:3], 0 offen
	s_waitcnt vmcnt(2)
	buffer_store_dword v41, v6, s[0:3], 0 offen offset:4
	s_waitcnt vmcnt(1)
	buffer_store_dword v42, v6, s[0:3], 0 offen offset:8
	;; [unrolled: 2-line block ×3, first 2 shown]
	buffer_store_dword v5, v39, s[0:3], 0 offen offset:12
	buffer_store_dword v4, v39, s[0:3], 0 offen offset:8
	buffer_store_dword v3, v39, s[0:3], 0 offen offset:4
	buffer_store_dword v2, v39, s[0:3], 0 offen
.LBB79_118:
	global_load_dword v1, v1, s[10:11] offset:40
	s_waitcnt vmcnt(0)
	v_add_nc_u32_e32 v1, -1, v1
	v_cmp_eq_u32_e32 vcc_lo, 10, v1
	s_cbranch_vccnz .LBB79_120
; %bb.119:
	v_lshlrev_b32_e32 v1, 4, v1
	v_mov_b32_e32 v5, s19
	v_mov_b32_e32 v6, v1
	s_clause 0x7
	buffer_load_dword v1, v5, s[0:3], 0 offen
	buffer_load_dword v2, v5, s[0:3], 0 offen offset:4
	buffer_load_dword v3, v5, s[0:3], 0 offen offset:8
	;; [unrolled: 1-line block ×3, first 2 shown]
	buffer_load_dword v39, v6, s[0:3], 0 offen
	buffer_load_dword v40, v6, s[0:3], 0 offen offset:4
	buffer_load_dword v41, v6, s[0:3], 0 offen offset:8
	;; [unrolled: 1-line block ×3, first 2 shown]
	s_waitcnt vmcnt(4)
	ds_write2_b64 v0, v[1:2], v[3:4] offset1:1
	s_waitcnt vmcnt(3)
	buffer_store_dword v39, v5, s[0:3], 0 offen
	s_waitcnt vmcnt(2)
	buffer_store_dword v40, v5, s[0:3], 0 offen offset:4
	s_waitcnt vmcnt(1)
	buffer_store_dword v41, v5, s[0:3], 0 offen offset:8
	;; [unrolled: 2-line block ×3, first 2 shown]
	buffer_store_dword v4, v6, s[0:3], 0 offen offset:12
	buffer_store_dword v3, v6, s[0:3], 0 offen offset:8
	;; [unrolled: 1-line block ×3, first 2 shown]
	buffer_store_dword v1, v6, s[0:3], 0 offen
.LBB79_120:
	v_mov_b32_e32 v1, 0
	global_load_dword v2, v1, s[10:11] offset:36
	s_waitcnt vmcnt(0)
	v_add_nc_u32_e32 v2, -1, v2
	v_cmp_eq_u32_e32 vcc_lo, 9, v2
	s_cbranch_vccnz .LBB79_122
; %bb.121:
	v_lshlrev_b32_e32 v2, 4, v2
	v_mov_b32_e32 v6, s20
	v_mov_b32_e32 v39, v2
	s_clause 0x7
	buffer_load_dword v2, v6, s[0:3], 0 offen
	buffer_load_dword v3, v6, s[0:3], 0 offen offset:4
	buffer_load_dword v4, v6, s[0:3], 0 offen offset:8
	;; [unrolled: 1-line block ×3, first 2 shown]
	buffer_load_dword v40, v39, s[0:3], 0 offen
	buffer_load_dword v41, v39, s[0:3], 0 offen offset:4
	buffer_load_dword v42, v39, s[0:3], 0 offen offset:8
	buffer_load_dword v43, v39, s[0:3], 0 offen offset:12
	s_waitcnt vmcnt(4)
	ds_write2_b64 v0, v[2:3], v[4:5] offset1:1
	s_waitcnt vmcnt(3)
	buffer_store_dword v40, v6, s[0:3], 0 offen
	s_waitcnt vmcnt(2)
	buffer_store_dword v41, v6, s[0:3], 0 offen offset:4
	s_waitcnt vmcnt(1)
	buffer_store_dword v42, v6, s[0:3], 0 offen offset:8
	s_waitcnt vmcnt(0)
	buffer_store_dword v43, v6, s[0:3], 0 offen offset:12
	buffer_store_dword v5, v39, s[0:3], 0 offen offset:12
	buffer_store_dword v4, v39, s[0:3], 0 offen offset:8
	;; [unrolled: 1-line block ×3, first 2 shown]
	buffer_store_dword v2, v39, s[0:3], 0 offen
.LBB79_122:
	global_load_dword v1, v1, s[10:11] offset:32
	s_waitcnt vmcnt(0)
	v_add_nc_u32_e32 v1, -1, v1
	v_cmp_eq_u32_e32 vcc_lo, 8, v1
	s_cbranch_vccnz .LBB79_124
; %bb.123:
	v_lshlrev_b32_e32 v1, 4, v1
	v_mov_b32_e32 v5, s21
	v_mov_b32_e32 v6, v1
	s_clause 0x7
	buffer_load_dword v1, v5, s[0:3], 0 offen
	buffer_load_dword v2, v5, s[0:3], 0 offen offset:4
	buffer_load_dword v3, v5, s[0:3], 0 offen offset:8
	;; [unrolled: 1-line block ×3, first 2 shown]
	buffer_load_dword v39, v6, s[0:3], 0 offen
	buffer_load_dword v40, v6, s[0:3], 0 offen offset:4
	buffer_load_dword v41, v6, s[0:3], 0 offen offset:8
	buffer_load_dword v42, v6, s[0:3], 0 offen offset:12
	s_waitcnt vmcnt(4)
	ds_write2_b64 v0, v[1:2], v[3:4] offset1:1
	s_waitcnt vmcnt(3)
	buffer_store_dword v39, v5, s[0:3], 0 offen
	s_waitcnt vmcnt(2)
	buffer_store_dword v40, v5, s[0:3], 0 offen offset:4
	s_waitcnt vmcnt(1)
	buffer_store_dword v41, v5, s[0:3], 0 offen offset:8
	;; [unrolled: 2-line block ×3, first 2 shown]
	buffer_store_dword v4, v6, s[0:3], 0 offen offset:12
	buffer_store_dword v3, v6, s[0:3], 0 offen offset:8
	;; [unrolled: 1-line block ×3, first 2 shown]
	buffer_store_dword v1, v6, s[0:3], 0 offen
.LBB79_124:
	v_mov_b32_e32 v1, 0
	global_load_dword v2, v1, s[10:11] offset:28
	s_waitcnt vmcnt(0)
	v_add_nc_u32_e32 v2, -1, v2
	v_cmp_eq_u32_e32 vcc_lo, 7, v2
	s_cbranch_vccnz .LBB79_126
; %bb.125:
	v_lshlrev_b32_e32 v2, 4, v2
	v_mov_b32_e32 v6, s22
	v_mov_b32_e32 v39, v2
	s_clause 0x7
	buffer_load_dword v2, v6, s[0:3], 0 offen
	buffer_load_dword v3, v6, s[0:3], 0 offen offset:4
	buffer_load_dword v4, v6, s[0:3], 0 offen offset:8
	;; [unrolled: 1-line block ×3, first 2 shown]
	buffer_load_dword v40, v39, s[0:3], 0 offen
	buffer_load_dword v41, v39, s[0:3], 0 offen offset:4
	buffer_load_dword v42, v39, s[0:3], 0 offen offset:8
	;; [unrolled: 1-line block ×3, first 2 shown]
	s_waitcnt vmcnt(4)
	ds_write2_b64 v0, v[2:3], v[4:5] offset1:1
	s_waitcnt vmcnt(3)
	buffer_store_dword v40, v6, s[0:3], 0 offen
	s_waitcnt vmcnt(2)
	buffer_store_dword v41, v6, s[0:3], 0 offen offset:4
	s_waitcnt vmcnt(1)
	buffer_store_dword v42, v6, s[0:3], 0 offen offset:8
	;; [unrolled: 2-line block ×3, first 2 shown]
	buffer_store_dword v5, v39, s[0:3], 0 offen offset:12
	buffer_store_dword v4, v39, s[0:3], 0 offen offset:8
	;; [unrolled: 1-line block ×3, first 2 shown]
	buffer_store_dword v2, v39, s[0:3], 0 offen
.LBB79_126:
	global_load_dword v1, v1, s[10:11] offset:24
	s_waitcnt vmcnt(0)
	v_add_nc_u32_e32 v1, -1, v1
	v_cmp_eq_u32_e32 vcc_lo, 6, v1
	s_cbranch_vccnz .LBB79_128
; %bb.127:
	v_lshlrev_b32_e32 v1, 4, v1
	v_mov_b32_e32 v5, s23
	v_mov_b32_e32 v6, v1
	s_clause 0x7
	buffer_load_dword v1, v5, s[0:3], 0 offen
	buffer_load_dword v2, v5, s[0:3], 0 offen offset:4
	buffer_load_dword v3, v5, s[0:3], 0 offen offset:8
	buffer_load_dword v4, v5, s[0:3], 0 offen offset:12
	buffer_load_dword v39, v6, s[0:3], 0 offen
	buffer_load_dword v40, v6, s[0:3], 0 offen offset:4
	buffer_load_dword v41, v6, s[0:3], 0 offen offset:8
	buffer_load_dword v42, v6, s[0:3], 0 offen offset:12
	s_waitcnt vmcnt(4)
	ds_write2_b64 v0, v[1:2], v[3:4] offset1:1
	s_waitcnt vmcnt(3)
	buffer_store_dword v39, v5, s[0:3], 0 offen
	s_waitcnt vmcnt(2)
	buffer_store_dword v40, v5, s[0:3], 0 offen offset:4
	s_waitcnt vmcnt(1)
	buffer_store_dword v41, v5, s[0:3], 0 offen offset:8
	;; [unrolled: 2-line block ×3, first 2 shown]
	buffer_store_dword v4, v6, s[0:3], 0 offen offset:12
	buffer_store_dword v3, v6, s[0:3], 0 offen offset:8
	;; [unrolled: 1-line block ×3, first 2 shown]
	buffer_store_dword v1, v6, s[0:3], 0 offen
.LBB79_128:
	v_mov_b32_e32 v1, 0
	global_load_dword v2, v1, s[10:11] offset:20
	s_waitcnt vmcnt(0)
	v_add_nc_u32_e32 v2, -1, v2
	v_cmp_eq_u32_e32 vcc_lo, 5, v2
	s_cbranch_vccnz .LBB79_130
; %bb.129:
	v_lshlrev_b32_e32 v2, 4, v2
	v_mov_b32_e32 v6, s24
	v_mov_b32_e32 v39, v2
	s_clause 0x7
	buffer_load_dword v2, v6, s[0:3], 0 offen
	buffer_load_dword v3, v6, s[0:3], 0 offen offset:4
	buffer_load_dword v4, v6, s[0:3], 0 offen offset:8
	;; [unrolled: 1-line block ×3, first 2 shown]
	buffer_load_dword v40, v39, s[0:3], 0 offen
	buffer_load_dword v41, v39, s[0:3], 0 offen offset:4
	buffer_load_dword v42, v39, s[0:3], 0 offen offset:8
	;; [unrolled: 1-line block ×3, first 2 shown]
	s_waitcnt vmcnt(4)
	ds_write2_b64 v0, v[2:3], v[4:5] offset1:1
	s_waitcnt vmcnt(3)
	buffer_store_dword v40, v6, s[0:3], 0 offen
	s_waitcnt vmcnt(2)
	buffer_store_dword v41, v6, s[0:3], 0 offen offset:4
	s_waitcnt vmcnt(1)
	buffer_store_dword v42, v6, s[0:3], 0 offen offset:8
	;; [unrolled: 2-line block ×3, first 2 shown]
	buffer_store_dword v5, v39, s[0:3], 0 offen offset:12
	buffer_store_dword v4, v39, s[0:3], 0 offen offset:8
	;; [unrolled: 1-line block ×3, first 2 shown]
	buffer_store_dword v2, v39, s[0:3], 0 offen
.LBB79_130:
	global_load_dword v1, v1, s[10:11] offset:16
	s_waitcnt vmcnt(0)
	v_add_nc_u32_e32 v1, -1, v1
	v_cmp_eq_u32_e32 vcc_lo, 4, v1
	s_cbranch_vccnz .LBB79_132
; %bb.131:
	v_lshlrev_b32_e32 v1, 4, v1
	v_mov_b32_e32 v5, s25
	v_mov_b32_e32 v6, v1
	s_clause 0x7
	buffer_load_dword v1, v5, s[0:3], 0 offen
	buffer_load_dword v2, v5, s[0:3], 0 offen offset:4
	buffer_load_dword v3, v5, s[0:3], 0 offen offset:8
	;; [unrolled: 1-line block ×3, first 2 shown]
	buffer_load_dword v39, v6, s[0:3], 0 offen
	buffer_load_dword v40, v6, s[0:3], 0 offen offset:4
	buffer_load_dword v41, v6, s[0:3], 0 offen offset:8
	;; [unrolled: 1-line block ×3, first 2 shown]
	s_waitcnt vmcnt(4)
	ds_write2_b64 v0, v[1:2], v[3:4] offset1:1
	s_waitcnt vmcnt(3)
	buffer_store_dword v39, v5, s[0:3], 0 offen
	s_waitcnt vmcnt(2)
	buffer_store_dword v40, v5, s[0:3], 0 offen offset:4
	s_waitcnt vmcnt(1)
	buffer_store_dword v41, v5, s[0:3], 0 offen offset:8
	;; [unrolled: 2-line block ×3, first 2 shown]
	buffer_store_dword v4, v6, s[0:3], 0 offen offset:12
	buffer_store_dword v3, v6, s[0:3], 0 offen offset:8
	;; [unrolled: 1-line block ×3, first 2 shown]
	buffer_store_dword v1, v6, s[0:3], 0 offen
.LBB79_132:
	v_mov_b32_e32 v1, 0
	global_load_dword v2, v1, s[10:11] offset:12
	s_waitcnt vmcnt(0)
	v_add_nc_u32_e32 v2, -1, v2
	v_cmp_eq_u32_e32 vcc_lo, 3, v2
	s_cbranch_vccnz .LBB79_134
; %bb.133:
	v_lshlrev_b32_e32 v2, 4, v2
	v_mov_b32_e32 v6, s26
	v_mov_b32_e32 v39, v2
	s_clause 0x7
	buffer_load_dword v2, v6, s[0:3], 0 offen
	buffer_load_dword v3, v6, s[0:3], 0 offen offset:4
	buffer_load_dword v4, v6, s[0:3], 0 offen offset:8
	;; [unrolled: 1-line block ×3, first 2 shown]
	buffer_load_dword v40, v39, s[0:3], 0 offen
	buffer_load_dword v41, v39, s[0:3], 0 offen offset:4
	buffer_load_dword v42, v39, s[0:3], 0 offen offset:8
	;; [unrolled: 1-line block ×3, first 2 shown]
	s_waitcnt vmcnt(4)
	ds_write2_b64 v0, v[2:3], v[4:5] offset1:1
	s_waitcnt vmcnt(3)
	buffer_store_dword v40, v6, s[0:3], 0 offen
	s_waitcnt vmcnt(2)
	buffer_store_dword v41, v6, s[0:3], 0 offen offset:4
	s_waitcnt vmcnt(1)
	buffer_store_dword v42, v6, s[0:3], 0 offen offset:8
	;; [unrolled: 2-line block ×3, first 2 shown]
	buffer_store_dword v5, v39, s[0:3], 0 offen offset:12
	buffer_store_dword v4, v39, s[0:3], 0 offen offset:8
	;; [unrolled: 1-line block ×3, first 2 shown]
	buffer_store_dword v2, v39, s[0:3], 0 offen
.LBB79_134:
	global_load_dword v1, v1, s[10:11] offset:8
	s_waitcnt vmcnt(0)
	v_add_nc_u32_e32 v1, -1, v1
	v_cmp_eq_u32_e32 vcc_lo, 2, v1
	s_cbranch_vccnz .LBB79_136
; %bb.135:
	v_lshlrev_b32_e32 v1, 4, v1
	v_mov_b32_e32 v5, s27
	v_mov_b32_e32 v6, v1
	s_clause 0x7
	buffer_load_dword v1, v5, s[0:3], 0 offen
	buffer_load_dword v2, v5, s[0:3], 0 offen offset:4
	buffer_load_dword v3, v5, s[0:3], 0 offen offset:8
	buffer_load_dword v4, v5, s[0:3], 0 offen offset:12
	buffer_load_dword v39, v6, s[0:3], 0 offen
	buffer_load_dword v40, v6, s[0:3], 0 offen offset:4
	buffer_load_dword v41, v6, s[0:3], 0 offen offset:8
	;; [unrolled: 1-line block ×3, first 2 shown]
	s_waitcnt vmcnt(4)
	ds_write2_b64 v0, v[1:2], v[3:4] offset1:1
	s_waitcnt vmcnt(3)
	buffer_store_dword v39, v5, s[0:3], 0 offen
	s_waitcnt vmcnt(2)
	buffer_store_dword v40, v5, s[0:3], 0 offen offset:4
	s_waitcnt vmcnt(1)
	buffer_store_dword v41, v5, s[0:3], 0 offen offset:8
	;; [unrolled: 2-line block ×3, first 2 shown]
	buffer_store_dword v4, v6, s[0:3], 0 offen offset:12
	buffer_store_dword v3, v6, s[0:3], 0 offen offset:8
	;; [unrolled: 1-line block ×3, first 2 shown]
	buffer_store_dword v1, v6, s[0:3], 0 offen
.LBB79_136:
	v_mov_b32_e32 v1, 0
	global_load_dword v2, v1, s[10:11] offset:4
	s_waitcnt vmcnt(0)
	v_add_nc_u32_e32 v2, -1, v2
	v_cmp_eq_u32_e32 vcc_lo, 1, v2
	s_cbranch_vccnz .LBB79_138
; %bb.137:
	v_lshlrev_b32_e32 v2, 4, v2
	v_mov_b32_e32 v6, s28
	v_mov_b32_e32 v39, v2
	s_clause 0x7
	buffer_load_dword v2, v6, s[0:3], 0 offen
	buffer_load_dword v3, v6, s[0:3], 0 offen offset:4
	buffer_load_dword v4, v6, s[0:3], 0 offen offset:8
	;; [unrolled: 1-line block ×3, first 2 shown]
	buffer_load_dword v40, v39, s[0:3], 0 offen
	buffer_load_dword v41, v39, s[0:3], 0 offen offset:4
	buffer_load_dword v42, v39, s[0:3], 0 offen offset:8
	buffer_load_dword v43, v39, s[0:3], 0 offen offset:12
	s_waitcnt vmcnt(4)
	ds_write2_b64 v0, v[2:3], v[4:5] offset1:1
	s_waitcnt vmcnt(3)
	buffer_store_dword v40, v6, s[0:3], 0 offen
	s_waitcnt vmcnt(2)
	buffer_store_dword v41, v6, s[0:3], 0 offen offset:4
	s_waitcnt vmcnt(1)
	buffer_store_dword v42, v6, s[0:3], 0 offen offset:8
	s_waitcnt vmcnt(0)
	buffer_store_dword v43, v6, s[0:3], 0 offen offset:12
	buffer_store_dword v5, v39, s[0:3], 0 offen offset:12
	buffer_store_dword v4, v39, s[0:3], 0 offen offset:8
	;; [unrolled: 1-line block ×3, first 2 shown]
	buffer_store_dword v2, v39, s[0:3], 0 offen
.LBB79_138:
	global_load_dword v1, v1, s[10:11]
	s_waitcnt vmcnt(0)
	v_add_nc_u32_e32 v1, -1, v1
	v_cmp_eq_u32_e32 vcc_lo, 0, v1
	s_cbranch_vccnz .LBB79_140
; %bb.139:
	v_lshlrev_b32_e32 v1, 4, v1
	v_mov_b32_e32 v5, v1
	s_clause 0x7
	buffer_load_dword v1, off, s[0:3], 0
	buffer_load_dword v2, off, s[0:3], 0 offset:4
	buffer_load_dword v3, off, s[0:3], 0 offset:8
	;; [unrolled: 1-line block ×3, first 2 shown]
	buffer_load_dword v6, v5, s[0:3], 0 offen
	buffer_load_dword v39, v5, s[0:3], 0 offen offset:4
	buffer_load_dword v40, v5, s[0:3], 0 offen offset:8
	;; [unrolled: 1-line block ×3, first 2 shown]
	s_waitcnt vmcnt(4)
	ds_write2_b64 v0, v[1:2], v[3:4] offset1:1
	s_waitcnt vmcnt(3)
	buffer_store_dword v6, off, s[0:3], 0
	s_waitcnt vmcnt(2)
	buffer_store_dword v39, off, s[0:3], 0 offset:4
	s_waitcnt vmcnt(1)
	buffer_store_dword v40, off, s[0:3], 0 offset:8
	;; [unrolled: 2-line block ×3, first 2 shown]
	buffer_store_dword v4, v5, s[0:3], 0 offen offset:12
	buffer_store_dword v3, v5, s[0:3], 0 offen offset:8
	;; [unrolled: 1-line block ×3, first 2 shown]
	buffer_store_dword v1, v5, s[0:3], 0 offen
.LBB79_140:
	s_clause 0x3
	buffer_load_dword v0, off, s[0:3], 0
	buffer_load_dword v1, off, s[0:3], 0 offset:4
	buffer_load_dword v2, off, s[0:3], 0 offset:8
	;; [unrolled: 1-line block ×3, first 2 shown]
	v_mov_b32_e32 v4, s28
	s_waitcnt vmcnt(0)
	flat_store_dwordx4 v[7:8], v[0:3]
	s_clause 0x3
	buffer_load_dword v0, v4, s[0:3], 0 offen
	buffer_load_dword v1, v4, s[0:3], 0 offen offset:4
	buffer_load_dword v2, v4, s[0:3], 0 offen offset:8
	buffer_load_dword v3, v4, s[0:3], 0 offen offset:12
	v_mov_b32_e32 v4, s27
	s_waitcnt vmcnt(0)
	flat_store_dwordx4 v[9:10], v[0:3]
	s_clause 0x3
	buffer_load_dword v0, v4, s[0:3], 0 offen
	buffer_load_dword v1, v4, s[0:3], 0 offen offset:4
	buffer_load_dword v2, v4, s[0:3], 0 offen offset:8
	buffer_load_dword v3, v4, s[0:3], 0 offen offset:12
	;; [unrolled: 8-line block ×15, first 2 shown]
	s_waitcnt vmcnt(0)
	flat_store_dwordx4 v[37:38], v[0:3]
	s_endpgm
	.section	.rodata,"a",@progbits
	.p2align	6, 0x0
	.amdhsa_kernel _ZN9rocsolver6v33100L18getri_kernel_smallILi16E19rocblas_complex_numIdEPKPS3_EEvT1_iilPiilS8_bb
		.amdhsa_group_segment_fixed_size 1544
		.amdhsa_private_segment_fixed_size 272
		.amdhsa_kernarg_size 60
		.amdhsa_user_sgpr_count 8
		.amdhsa_user_sgpr_private_segment_buffer 1
		.amdhsa_user_sgpr_dispatch_ptr 1
		.amdhsa_user_sgpr_queue_ptr 0
		.amdhsa_user_sgpr_kernarg_segment_ptr 1
		.amdhsa_user_sgpr_dispatch_id 0
		.amdhsa_user_sgpr_flat_scratch_init 0
		.amdhsa_user_sgpr_private_segment_size 0
		.amdhsa_wavefront_size32 1
		.amdhsa_uses_dynamic_stack 0
		.amdhsa_system_sgpr_private_segment_wavefront_offset 1
		.amdhsa_system_sgpr_workgroup_id_x 1
		.amdhsa_system_sgpr_workgroup_id_y 0
		.amdhsa_system_sgpr_workgroup_id_z 0
		.amdhsa_system_sgpr_workgroup_info 0
		.amdhsa_system_vgpr_workitem_id 2
		.amdhsa_next_free_vgpr 117
		.amdhsa_next_free_sgpr 36
		.amdhsa_reserve_vcc 1
		.amdhsa_reserve_flat_scratch 0
		.amdhsa_float_round_mode_32 0
		.amdhsa_float_round_mode_16_64 0
		.amdhsa_float_denorm_mode_32 3
		.amdhsa_float_denorm_mode_16_64 3
		.amdhsa_dx10_clamp 1
		.amdhsa_ieee_mode 1
		.amdhsa_fp16_overflow 0
		.amdhsa_workgroup_processor_mode 1
		.amdhsa_memory_ordered 1
		.amdhsa_forward_progress 1
		.amdhsa_shared_vgpr_count 0
		.amdhsa_exception_fp_ieee_invalid_op 0
		.amdhsa_exception_fp_denorm_src 0
		.amdhsa_exception_fp_ieee_div_zero 0
		.amdhsa_exception_fp_ieee_overflow 0
		.amdhsa_exception_fp_ieee_underflow 0
		.amdhsa_exception_fp_ieee_inexact 0
		.amdhsa_exception_int_div_zero 0
	.end_amdhsa_kernel
	.section	.text._ZN9rocsolver6v33100L18getri_kernel_smallILi16E19rocblas_complex_numIdEPKPS3_EEvT1_iilPiilS8_bb,"axG",@progbits,_ZN9rocsolver6v33100L18getri_kernel_smallILi16E19rocblas_complex_numIdEPKPS3_EEvT1_iilPiilS8_bb,comdat
.Lfunc_end79:
	.size	_ZN9rocsolver6v33100L18getri_kernel_smallILi16E19rocblas_complex_numIdEPKPS3_EEvT1_iilPiilS8_bb, .Lfunc_end79-_ZN9rocsolver6v33100L18getri_kernel_smallILi16E19rocblas_complex_numIdEPKPS3_EEvT1_iilPiilS8_bb
                                        ; -- End function
	.set _ZN9rocsolver6v33100L18getri_kernel_smallILi16E19rocblas_complex_numIdEPKPS3_EEvT1_iilPiilS8_bb.num_vgpr, 117
	.set _ZN9rocsolver6v33100L18getri_kernel_smallILi16E19rocblas_complex_numIdEPKPS3_EEvT1_iilPiilS8_bb.num_agpr, 0
	.set _ZN9rocsolver6v33100L18getri_kernel_smallILi16E19rocblas_complex_numIdEPKPS3_EEvT1_iilPiilS8_bb.numbered_sgpr, 36
	.set _ZN9rocsolver6v33100L18getri_kernel_smallILi16E19rocblas_complex_numIdEPKPS3_EEvT1_iilPiilS8_bb.num_named_barrier, 0
	.set _ZN9rocsolver6v33100L18getri_kernel_smallILi16E19rocblas_complex_numIdEPKPS3_EEvT1_iilPiilS8_bb.private_seg_size, 272
	.set _ZN9rocsolver6v33100L18getri_kernel_smallILi16E19rocblas_complex_numIdEPKPS3_EEvT1_iilPiilS8_bb.uses_vcc, 1
	.set _ZN9rocsolver6v33100L18getri_kernel_smallILi16E19rocblas_complex_numIdEPKPS3_EEvT1_iilPiilS8_bb.uses_flat_scratch, 0
	.set _ZN9rocsolver6v33100L18getri_kernel_smallILi16E19rocblas_complex_numIdEPKPS3_EEvT1_iilPiilS8_bb.has_dyn_sized_stack, 0
	.set _ZN9rocsolver6v33100L18getri_kernel_smallILi16E19rocblas_complex_numIdEPKPS3_EEvT1_iilPiilS8_bb.has_recursion, 0
	.set _ZN9rocsolver6v33100L18getri_kernel_smallILi16E19rocblas_complex_numIdEPKPS3_EEvT1_iilPiilS8_bb.has_indirect_call, 0
	.section	.AMDGPU.csdata,"",@progbits
; Kernel info:
; codeLenInByte = 26736
; TotalNumSgprs: 38
; NumVgprs: 117
; ScratchSize: 272
; MemoryBound: 0
; FloatMode: 240
; IeeeMode: 1
; LDSByteSize: 1544 bytes/workgroup (compile time only)
; SGPRBlocks: 0
; VGPRBlocks: 14
; NumSGPRsForWavesPerEU: 38
; NumVGPRsForWavesPerEU: 117
; Occupancy: 8
; WaveLimiterHint : 1
; COMPUTE_PGM_RSRC2:SCRATCH_EN: 1
; COMPUTE_PGM_RSRC2:USER_SGPR: 8
; COMPUTE_PGM_RSRC2:TRAP_HANDLER: 0
; COMPUTE_PGM_RSRC2:TGID_X_EN: 1
; COMPUTE_PGM_RSRC2:TGID_Y_EN: 0
; COMPUTE_PGM_RSRC2:TGID_Z_EN: 0
; COMPUTE_PGM_RSRC2:TIDIG_COMP_CNT: 2
	.section	.text._ZN9rocsolver6v33100L18getri_kernel_smallILi17E19rocblas_complex_numIdEPKPS3_EEvT1_iilPiilS8_bb,"axG",@progbits,_ZN9rocsolver6v33100L18getri_kernel_smallILi17E19rocblas_complex_numIdEPKPS3_EEvT1_iilPiilS8_bb,comdat
	.globl	_ZN9rocsolver6v33100L18getri_kernel_smallILi17E19rocblas_complex_numIdEPKPS3_EEvT1_iilPiilS8_bb ; -- Begin function _ZN9rocsolver6v33100L18getri_kernel_smallILi17E19rocblas_complex_numIdEPKPS3_EEvT1_iilPiilS8_bb
	.p2align	8
	.type	_ZN9rocsolver6v33100L18getri_kernel_smallILi17E19rocblas_complex_numIdEPKPS3_EEvT1_iilPiilS8_bb,@function
_ZN9rocsolver6v33100L18getri_kernel_smallILi17E19rocblas_complex_numIdEPKPS3_EEvT1_iilPiilS8_bb: ; @_ZN9rocsolver6v33100L18getri_kernel_smallILi17E19rocblas_complex_numIdEPKPS3_EEvT1_iilPiilS8_bb
; %bb.0:
	s_add_u32 s0, s0, s7
	s_addc_u32 s1, s1, 0
	s_mov_b32 s7, exec_lo
	v_cmpx_gt_u32_e32 17, v0
	s_cbranch_execz .LBB80_82
; %bb.1:
	s_clause 0x2
	s_load_dword s16, s[4:5], 0x38
	s_load_dwordx2 s[12:13], s[4:5], 0x0
	s_load_dwordx4 s[8:11], s[4:5], 0x28
	s_waitcnt lgkmcnt(0)
	s_bitcmp1_b32 s16, 8
	s_cselect_b32 s28, -1, 0
	s_ashr_i32 s7, s6, 31
	s_lshl_b64 s[14:15], s[6:7], 3
	s_add_u32 s12, s12, s14
	s_addc_u32 s13, s13, s15
	s_load_dwordx2 s[14:15], s[12:13], 0x0
	s_bfe_u32 s12, s16, 0x10008
	s_cmp_eq_u32 s12, 0
                                        ; implicit-def: $sgpr12_sgpr13
	s_cbranch_scc1 .LBB80_3
; %bb.2:
	s_clause 0x1
	s_load_dword s12, s[4:5], 0x20
	s_load_dwordx2 s[16:17], s[4:5], 0x18
	s_mul_i32 s13, s8, s7
	s_mul_hi_u32 s18, s8, s6
	s_mul_i32 s9, s9, s6
	s_add_i32 s13, s18, s13
	s_mul_i32 s8, s8, s6
	s_add_i32 s9, s13, s9
	s_lshl_b64 s[8:9], s[8:9], 2
	s_waitcnt lgkmcnt(0)
	s_ashr_i32 s13, s12, 31
	s_add_u32 s16, s16, s8
	s_addc_u32 s17, s17, s9
	s_lshl_b64 s[8:9], s[12:13], 2
	s_add_u32 s12, s16, s8
	s_addc_u32 s13, s17, s9
.LBB80_3:
	s_clause 0x1
	s_load_dwordx2 s[8:9], s[4:5], 0x8
	s_load_dword s4, s[4:5], 0x38
	v_lshlrev_b32_e32 v45, 4, v0
	s_movk_i32 s29, 0xb0
	s_movk_i32 s30, 0xc0
	;; [unrolled: 1-line block ×6, first 2 shown]
	s_mov_b32 s27, 32
	s_mov_b32 s26, 48
	;; [unrolled: 1-line block ×3, first 2 shown]
	s_movk_i32 s24, 0x50
	s_waitcnt lgkmcnt(0)
	s_ashr_i32 s17, s8, 31
	s_mov_b32 s16, s8
	v_add3_u32 v11, s9, s9, v0
	s_lshl_b64 s[16:17], s[16:17], 4
	s_add_u32 s5, s14, s16
	s_addc_u32 s8, s15, s17
	v_add_co_u32 v5, s14, s5, v45
	v_add_co_ci_u32_e64 v6, null, s8, 0, s14
	s_mov_b32 s14, s9
	s_ashr_i32 s15, s9, 31
	v_ashrrev_i32_e32 v12, 31, v11
	flat_load_dwordx4 v[1:4], v[5:6]
	s_lshl_b64 s[14:15], s[14:15], 4
	v_add_nc_u32_e32 v13, s9, v11
	v_add_co_u32 v7, vcc_lo, v5, s14
	v_add_co_ci_u32_e64 v8, null, s15, v6, vcc_lo
	v_lshlrev_b64 v[9:10], 4, v[11:12]
	v_ashrrev_i32_e32 v14, 31, v13
	v_add_nc_u32_e32 v15, s9, v13
	s_movk_i32 s14, 0x70
	s_movk_i32 s15, 0x80
	;; [unrolled: 1-line block ×3, first 2 shown]
	v_add_co_u32 v9, vcc_lo, s5, v9
	v_add_co_ci_u32_e64 v10, null, s8, v10, vcc_lo
	v_lshlrev_b64 v[11:12], 4, v[13:14]
	v_ashrrev_i32_e32 v16, 31, v15
	v_add_nc_u32_e32 v17, s9, v15
	s_movk_i32 s17, 0xa0
	s_add_i32 s21, s14, 16
	s_add_i32 s20, s15, 16
	v_add_co_u32 v11, vcc_lo, s5, v11
	v_add_co_ci_u32_e64 v12, null, s8, v12, vcc_lo
	v_lshlrev_b64 v[13:14], 4, v[15:16]
	v_ashrrev_i32_e32 v18, 31, v17
	v_add_nc_u32_e32 v19, s9, v17
	s_add_i32 s19, s16, 16
	s_add_i32 s18, s17, 16
	;; [unrolled: 1-line block ×3, first 2 shown]
	v_add_co_u32 v13, vcc_lo, s5, v13
	v_add_co_ci_u32_e64 v14, null, s8, v14, vcc_lo
	v_lshlrev_b64 v[15:16], 4, v[17:18]
	v_ashrrev_i32_e32 v20, 31, v19
	v_add_nc_u32_e32 v21, s9, v19
	s_add_i32 s16, s30, 16
	s_add_i32 s15, s31, 16
	;; [unrolled: 1-line block ×3, first 2 shown]
	v_add_co_u32 v15, vcc_lo, s5, v15
	v_add_co_ci_u32_e64 v16, null, s8, v16, vcc_lo
	v_lshlrev_b64 v[17:18], 4, v[19:20]
	v_ashrrev_i32_e32 v22, 31, v21
	v_add_nc_u32_e32 v23, s9, v21
	s_waitcnt vmcnt(0) lgkmcnt(0)
	buffer_store_dword v4, off, s[0:3], 0 offset:28
	buffer_store_dword v3, off, s[0:3], 0 offset:24
	buffer_store_dword v2, off, s[0:3], 0 offset:20
	buffer_store_dword v1, off, s[0:3], 0 offset:16
	flat_load_dwordx4 v[1:4], v[7:8]
	v_add_co_u32 v17, vcc_lo, s5, v17
	v_add_co_ci_u32_e64 v18, null, s8, v18, vcc_lo
	v_lshlrev_b64 v[19:20], 4, v[21:22]
	v_ashrrev_i32_e32 v24, 31, v23
	v_add_nc_u32_e32 v25, s9, v23
	s_waitcnt vmcnt(0) lgkmcnt(0)
	buffer_store_dword v4, off, s[0:3], 0 offset:44
	buffer_store_dword v3, off, s[0:3], 0 offset:40
	buffer_store_dword v2, off, s[0:3], 0 offset:36
	buffer_store_dword v1, off, s[0:3], 0 offset:32
	flat_load_dwordx4 v[1:4], v[9:10]
	;; [unrolled: 11-line block ×8, first 2 shown]
	v_add_co_u32 v31, vcc_lo, s5, v31
	v_add_co_ci_u32_e64 v32, null, s8, v32, vcc_lo
	v_lshlrev_b64 v[33:34], 4, v[35:36]
	v_ashrrev_i32_e32 v38, 31, v37
	s_waitcnt vmcnt(0) lgkmcnt(0)
	buffer_store_dword v4, off, s[0:3], 0 offset:156
	buffer_store_dword v3, off, s[0:3], 0 offset:152
	;; [unrolled: 1-line block ×4, first 2 shown]
	flat_load_dwordx4 v[1:4], v[23:24]
	v_add_co_u32 v33, vcc_lo, s5, v33
	v_add_co_ci_u32_e64 v34, null, s8, v34, vcc_lo
	v_lshlrev_b64 v[35:36], 4, v[37:38]
	v_add_nc_u32_e32 v37, s9, v37
	s_movk_i32 s9, 0x60
	s_waitcnt vmcnt(0) lgkmcnt(0)
	buffer_store_dword v4, off, s[0:3], 0 offset:172
	buffer_store_dword v3, off, s[0:3], 0 offset:168
	;; [unrolled: 1-line block ×4, first 2 shown]
	flat_load_dwordx4 v[1:4], v[25:26]
	v_add_co_u32 v35, vcc_lo, s5, v35
	v_add_co_ci_u32_e64 v36, null, s8, v36, vcc_lo
	v_ashrrev_i32_e32 v38, 31, v37
	s_add_i32 s22, s9, 16
	s_add_i32 s9, s34, 16
	s_waitcnt vmcnt(0) lgkmcnt(0)
	buffer_store_dword v4, off, s[0:3], 0 offset:188
	buffer_store_dword v3, off, s[0:3], 0 offset:184
	;; [unrolled: 1-line block ×4, first 2 shown]
	flat_load_dwordx4 v[1:4], v[27:28]
	v_lshlrev_b64 v[37:38], 4, v[37:38]
	s_waitcnt vmcnt(0) lgkmcnt(0)
	buffer_store_dword v4, off, s[0:3], 0 offset:204
	buffer_store_dword v3, off, s[0:3], 0 offset:200
	;; [unrolled: 1-line block ×4, first 2 shown]
	flat_load_dwordx4 v[1:4], v[29:30]
	v_add_co_u32 v37, vcc_lo, s5, v37
	v_add_co_ci_u32_e64 v38, null, s8, v38, vcc_lo
	s_movk_i32 s8, 0x50
	s_mov_b32 s5, -1
	s_add_i32 s23, s8, 16
	s_add_i32 s8, s35, 16
	s_bitcmp0_b32 s4, 0
	s_waitcnt vmcnt(0) lgkmcnt(0)
	buffer_store_dword v4, off, s[0:3], 0 offset:220
	buffer_store_dword v3, off, s[0:3], 0 offset:216
	buffer_store_dword v2, off, s[0:3], 0 offset:212
	buffer_store_dword v1, off, s[0:3], 0 offset:208
	flat_load_dwordx4 v[1:4], v[31:32]
	s_waitcnt vmcnt(0) lgkmcnt(0)
	buffer_store_dword v4, off, s[0:3], 0 offset:236
	buffer_store_dword v3, off, s[0:3], 0 offset:232
	buffer_store_dword v2, off, s[0:3], 0 offset:228
	buffer_store_dword v1, off, s[0:3], 0 offset:224
	flat_load_dwordx4 v[1:4], v[33:34]
	;; [unrolled: 6-line block ×4, first 2 shown]
	s_waitcnt vmcnt(0) lgkmcnt(0)
	buffer_store_dword v4, off, s[0:3], 0 offset:284
	buffer_store_dword v3, off, s[0:3], 0 offset:280
	;; [unrolled: 1-line block ×4, first 2 shown]
	s_cbranch_scc1 .LBB80_80
; %bb.4:
	v_cmp_eq_u32_e64 s4, 0, v0
	s_and_saveexec_b32 s5, s4
; %bb.5:
	v_mov_b32_e32 v1, 0
	ds_write_b32 v1, v1 offset:544
; %bb.6:
	s_or_b32 exec_lo, exec_lo, s5
	v_lshl_add_u32 v46, v0, 4, 16
	s_waitcnt lgkmcnt(0)
	s_waitcnt_vscnt null, 0x0
	s_barrier
	buffer_gl0_inv
	s_clause 0x3
	buffer_load_dword v1, v46, s[0:3], 0 offen
	buffer_load_dword v2, v46, s[0:3], 0 offen offset:4
	buffer_load_dword v3, v46, s[0:3], 0 offen offset:8
	;; [unrolled: 1-line block ×3, first 2 shown]
	s_waitcnt vmcnt(2)
	v_cmp_eq_f64_e32 vcc_lo, 0, v[1:2]
	s_waitcnt vmcnt(0)
	v_cmp_eq_f64_e64 s5, 0, v[3:4]
	s_and_b32 s5, vcc_lo, s5
	s_and_saveexec_b32 s29, s5
	s_cbranch_execz .LBB80_10
; %bb.7:
	v_mov_b32_e32 v1, 0
	s_mov_b32 s30, 0
	ds_read_b32 v2, v1 offset:544
	s_waitcnt lgkmcnt(0)
	v_readfirstlane_b32 s5, v2
	v_add_nc_u32_e32 v2, 1, v0
	s_cmp_eq_u32 s5, 0
	v_cmp_gt_i32_e32 vcc_lo, s5, v2
	s_cselect_b32 s31, -1, 0
	s_or_b32 s31, s31, vcc_lo
	s_and_b32 exec_lo, exec_lo, s31
	s_cbranch_execz .LBB80_10
; %bb.8:
	v_mov_b32_e32 v3, s5
.LBB80_9:                               ; =>This Inner Loop Header: Depth=1
	ds_cmpst_rtn_b32 v3, v1, v3, v2 offset:544
	s_waitcnt lgkmcnt(0)
	v_cmp_ne_u32_e32 vcc_lo, 0, v3
	v_cmp_le_i32_e64 s5, v3, v2
	s_and_b32 s5, vcc_lo, s5
	s_and_b32 s5, exec_lo, s5
	s_or_b32 s30, s5, s30
	s_andn2_b32 exec_lo, exec_lo, s30
	s_cbranch_execnz .LBB80_9
.LBB80_10:
	s_or_b32 exec_lo, exec_lo, s29
	v_mov_b32_e32 v1, 0
	s_barrier
	buffer_gl0_inv
	ds_read_b32 v2, v1 offset:544
	s_and_saveexec_b32 s5, s4
	s_cbranch_execz .LBB80_12
; %bb.11:
	s_lshl_b64 s[30:31], s[6:7], 2
	s_add_u32 s30, s10, s30
	s_addc_u32 s31, s11, s31
	s_waitcnt lgkmcnt(0)
	global_store_dword v1, v2, s[30:31]
.LBB80_12:
	s_or_b32 exec_lo, exec_lo, s5
	s_waitcnt lgkmcnt(0)
	v_cmp_ne_u32_e32 vcc_lo, 0, v2
	s_mov_b32 s5, 0
	s_cbranch_vccnz .LBB80_80
; %bb.13:
	s_clause 0x3
	buffer_load_dword v41, v46, s[0:3], 0 offen
	buffer_load_dword v42, v46, s[0:3], 0 offen offset:4
	buffer_load_dword v43, v46, s[0:3], 0 offen offset:8
	;; [unrolled: 1-line block ×3, first 2 shown]
                                        ; implicit-def: $vgpr39_vgpr40
                                        ; implicit-def: $vgpr3_vgpr4
	s_waitcnt vmcnt(0)
	v_cmp_ngt_f64_e64 s5, |v[41:42]|, |v[43:44]|
	s_and_saveexec_b32 s29, s5
	s_xor_b32 s5, exec_lo, s29
	s_cbranch_execz .LBB80_15
; %bb.14:
	v_div_scale_f64 v[1:2], null, v[43:44], v[43:44], v[41:42]
	v_div_scale_f64 v[47:48], vcc_lo, v[41:42], v[43:44], v[41:42]
	v_rcp_f64_e32 v[3:4], v[1:2]
	v_fma_f64 v[39:40], -v[1:2], v[3:4], 1.0
	v_fma_f64 v[3:4], v[3:4], v[39:40], v[3:4]
	v_fma_f64 v[39:40], -v[1:2], v[3:4], 1.0
	v_fma_f64 v[3:4], v[3:4], v[39:40], v[3:4]
	v_mul_f64 v[39:40], v[47:48], v[3:4]
	v_fma_f64 v[1:2], -v[1:2], v[39:40], v[47:48]
	v_div_fmas_f64 v[1:2], v[1:2], v[3:4], v[39:40]
	v_div_fixup_f64 v[1:2], v[1:2], v[43:44], v[41:42]
	v_fma_f64 v[3:4], v[41:42], v[1:2], v[43:44]
	v_div_scale_f64 v[39:40], null, v[3:4], v[3:4], 1.0
	v_div_scale_f64 v[47:48], vcc_lo, 1.0, v[3:4], 1.0
	v_rcp_f64_e32 v[41:42], v[39:40]
	v_fma_f64 v[43:44], -v[39:40], v[41:42], 1.0
	v_fma_f64 v[41:42], v[41:42], v[43:44], v[41:42]
	v_fma_f64 v[43:44], -v[39:40], v[41:42], 1.0
	v_fma_f64 v[41:42], v[41:42], v[43:44], v[41:42]
	v_mul_f64 v[43:44], v[47:48], v[41:42]
	v_fma_f64 v[39:40], -v[39:40], v[43:44], v[47:48]
	v_div_fmas_f64 v[39:40], v[39:40], v[41:42], v[43:44]
                                        ; implicit-def: $vgpr41_vgpr42
                                        ; implicit-def: $vgpr43_vgpr44
	v_div_fixup_f64 v[3:4], v[39:40], v[3:4], 1.0
	v_mul_f64 v[39:40], v[1:2], v[3:4]
	v_xor_b32_e32 v4, 0x80000000, v4
	v_xor_b32_e32 v2, 0x80000000, v40
	v_mov_b32_e32 v1, v39
.LBB80_15:
	s_andn2_saveexec_b32 s5, s5
	s_cbranch_execz .LBB80_17
; %bb.16:
	v_div_scale_f64 v[1:2], null, v[41:42], v[41:42], v[43:44]
	v_div_scale_f64 v[47:48], vcc_lo, v[43:44], v[41:42], v[43:44]
	v_rcp_f64_e32 v[3:4], v[1:2]
	v_fma_f64 v[39:40], -v[1:2], v[3:4], 1.0
	v_fma_f64 v[3:4], v[3:4], v[39:40], v[3:4]
	v_fma_f64 v[39:40], -v[1:2], v[3:4], 1.0
	v_fma_f64 v[3:4], v[3:4], v[39:40], v[3:4]
	v_mul_f64 v[39:40], v[47:48], v[3:4]
	v_fma_f64 v[1:2], -v[1:2], v[39:40], v[47:48]
	v_div_fmas_f64 v[1:2], v[1:2], v[3:4], v[39:40]
	v_div_fixup_f64 v[1:2], v[1:2], v[41:42], v[43:44]
	v_fma_f64 v[3:4], v[43:44], v[1:2], v[41:42]
	v_div_scale_f64 v[39:40], null, v[3:4], v[3:4], 1.0
	v_rcp_f64_e32 v[41:42], v[39:40]
	v_fma_f64 v[43:44], -v[39:40], v[41:42], 1.0
	v_fma_f64 v[41:42], v[41:42], v[43:44], v[41:42]
	v_fma_f64 v[43:44], -v[39:40], v[41:42], 1.0
	v_fma_f64 v[41:42], v[41:42], v[43:44], v[41:42]
	v_div_scale_f64 v[43:44], vcc_lo, 1.0, v[3:4], 1.0
	v_mul_f64 v[47:48], v[43:44], v[41:42]
	v_fma_f64 v[39:40], -v[39:40], v[47:48], v[43:44]
	v_div_fmas_f64 v[39:40], v[39:40], v[41:42], v[47:48]
	v_div_fixup_f64 v[39:40], v[39:40], v[3:4], 1.0
	v_mul_f64 v[3:4], v[1:2], -v[39:40]
	v_xor_b32_e32 v2, 0x80000000, v40
	v_mov_b32_e32 v1, v39
.LBB80_17:
	s_or_b32 exec_lo, exec_lo, s5
	v_mov_b32_e32 v44, s27
	buffer_store_dword v40, v46, s[0:3], 0 offen offset:4
	buffer_store_dword v39, v46, s[0:3], 0 offen
	buffer_store_dword v4, v46, s[0:3], 0 offen offset:12
	buffer_store_dword v3, v46, s[0:3], 0 offen offset:8
	v_xor_b32_e32 v4, 0x80000000, v4
	v_add_nc_u32_e32 v39, 0x110, v45
	s_clause 0x3
	buffer_load_dword v43, v44, s[0:3], 0 offen offset:12
	buffer_load_dword v42, v44, s[0:3], 0 offen offset:8
	;; [unrolled: 1-line block ×3, first 2 shown]
	buffer_load_dword v40, v44, s[0:3], 0 offen
	ds_write_b128 v45, v[1:4]
	s_waitcnt vmcnt(0)
	ds_write_b128 v45, v[40:43] offset:272
	s_waitcnt lgkmcnt(0)
	s_waitcnt_vscnt null, 0x0
	s_barrier
	buffer_gl0_inv
	s_and_saveexec_b32 s5, s4
	s_cbranch_execz .LBB80_19
; %bb.18:
	s_clause 0x3
	buffer_load_dword v47, v46, s[0:3], 0 offen offset:8
	buffer_load_dword v48, v46, s[0:3], 0 offen offset:12
	buffer_load_dword v49, v46, s[0:3], 0 offen
	buffer_load_dword v50, v46, s[0:3], 0 offen offset:4
	ds_read_b128 v[1:4], v39
	v_mov_b32_e32 v40, 0
	ds_read_b128 v[40:43], v40 offset:16
	s_waitcnt vmcnt(2) lgkmcnt(1)
	v_mul_f64 v[51:52], v[1:2], v[47:48]
	v_mul_f64 v[47:48], v[3:4], v[47:48]
	s_waitcnt vmcnt(0)
	v_fma_f64 v[3:4], v[3:4], v[49:50], v[51:52]
	v_fma_f64 v[1:2], v[1:2], v[49:50], -v[47:48]
	v_add_f64 v[3:4], v[3:4], 0
	v_add_f64 v[1:2], v[1:2], 0
	s_waitcnt lgkmcnt(0)
	v_mul_f64 v[47:48], v[3:4], v[42:43]
	v_mul_f64 v[42:43], v[1:2], v[42:43]
	v_fma_f64 v[1:2], v[1:2], v[40:41], -v[47:48]
	v_fma_f64 v[3:4], v[3:4], v[40:41], v[42:43]
	buffer_store_dword v1, off, s[0:3], 0 offset:32
	buffer_store_dword v2, off, s[0:3], 0 offset:36
	;; [unrolled: 1-line block ×4, first 2 shown]
.LBB80_19:
	s_or_b32 exec_lo, exec_lo, s5
	v_mov_b32_e32 v4, s26
	s_waitcnt_vscnt null, 0x0
	s_barrier
	buffer_gl0_inv
	s_mov_b32 s5, exec_lo
	s_clause 0x3
	buffer_load_dword v1, v4, s[0:3], 0 offen
	buffer_load_dword v2, v4, s[0:3], 0 offen offset:4
	buffer_load_dword v3, v4, s[0:3], 0 offen offset:8
	;; [unrolled: 1-line block ×3, first 2 shown]
	s_waitcnt vmcnt(0)
	ds_write_b128 v39, v[1:4]
	s_waitcnt lgkmcnt(0)
	s_barrier
	buffer_gl0_inv
	v_cmpx_gt_u32_e32 2, v0
	s_cbranch_execz .LBB80_23
; %bb.20:
	s_clause 0x3
	buffer_load_dword v40, v46, s[0:3], 0 offen offset:8
	buffer_load_dword v41, v46, s[0:3], 0 offen offset:12
	buffer_load_dword v42, v46, s[0:3], 0 offen
	buffer_load_dword v43, v46, s[0:3], 0 offen offset:4
	ds_read_b128 v[1:4], v39
	s_waitcnt vmcnt(2) lgkmcnt(0)
	v_mul_f64 v[46:47], v[3:4], v[40:41]
	v_mul_f64 v[40:41], v[1:2], v[40:41]
	s_waitcnt vmcnt(0)
	v_fma_f64 v[1:2], v[1:2], v[42:43], -v[46:47]
	v_fma_f64 v[3:4], v[3:4], v[42:43], v[40:41]
	v_add_f64 v[1:2], v[1:2], 0
	v_add_f64 v[3:4], v[3:4], 0
	s_and_saveexec_b32 s29, s4
	s_cbranch_execz .LBB80_22
; %bb.21:
	s_clause 0x3
	buffer_load_dword v46, off, s[0:3], 0 offset:40
	buffer_load_dword v47, off, s[0:3], 0 offset:44
	;; [unrolled: 1-line block ×4, first 2 shown]
	v_mov_b32_e32 v40, 0
	ds_read_b128 v[40:43], v40 offset:288
	s_waitcnt vmcnt(2) lgkmcnt(0)
	v_mul_f64 v[50:51], v[40:41], v[46:47]
	v_mul_f64 v[46:47], v[42:43], v[46:47]
	s_waitcnt vmcnt(0)
	v_fma_f64 v[42:43], v[42:43], v[48:49], v[50:51]
	v_fma_f64 v[40:41], v[40:41], v[48:49], -v[46:47]
	v_add_f64 v[3:4], v[3:4], v[42:43]
	v_add_f64 v[1:2], v[1:2], v[40:41]
.LBB80_22:
	s_or_b32 exec_lo, exec_lo, s29
	v_mov_b32_e32 v40, 0
	ds_read_b128 v[40:43], v40 offset:32
	s_waitcnt lgkmcnt(0)
	v_mul_f64 v[46:47], v[3:4], v[42:43]
	v_mul_f64 v[42:43], v[1:2], v[42:43]
	v_fma_f64 v[1:2], v[1:2], v[40:41], -v[46:47]
	v_fma_f64 v[3:4], v[3:4], v[40:41], v[42:43]
	buffer_store_dword v2, off, s[0:3], 0 offset:52
	buffer_store_dword v1, off, s[0:3], 0 offset:48
	;; [unrolled: 1-line block ×4, first 2 shown]
.LBB80_23:
	s_or_b32 exec_lo, exec_lo, s5
	v_mov_b32_e32 v4, s25
	s_waitcnt_vscnt null, 0x0
	s_barrier
	buffer_gl0_inv
	v_add_nc_u32_e32 v40, -1, v0
	s_clause 0x3
	buffer_load_dword v1, v4, s[0:3], 0 offen
	buffer_load_dword v2, v4, s[0:3], 0 offen offset:4
	buffer_load_dword v3, v4, s[0:3], 0 offen offset:8
	;; [unrolled: 1-line block ×3, first 2 shown]
	s_mov_b32 s4, exec_lo
	s_waitcnt vmcnt(0)
	ds_write_b128 v39, v[1:4]
	s_waitcnt lgkmcnt(0)
	s_barrier
	buffer_gl0_inv
	v_cmpx_gt_u32_e32 3, v0
	s_cbranch_execz .LBB80_27
; %bb.24:
	v_mov_b32_e32 v1, 0
	v_mov_b32_e32 v3, 0
	v_add_nc_u32_e32 v41, -1, v0
	v_add_nc_u32_e32 v42, 0x110, v45
	v_mov_b32_e32 v2, 0
	v_mov_b32_e32 v4, 0
	v_add_nc_u32_e32 v43, 16, v45
	s_mov_b32 s5, 0
	.p2align	6
.LBB80_25:                              ; =>This Inner Loop Header: Depth=1
	s_clause 0x3
	buffer_load_dword v50, v43, s[0:3], 0 offen offset:8
	buffer_load_dword v51, v43, s[0:3], 0 offen offset:12
	buffer_load_dword v52, v43, s[0:3], 0 offen
	buffer_load_dword v53, v43, s[0:3], 0 offen offset:4
	ds_read_b128 v[46:49], v42
	v_add_nc_u32_e32 v41, 1, v41
	v_add_nc_u32_e32 v42, 16, v42
	;; [unrolled: 1-line block ×3, first 2 shown]
	v_cmp_lt_u32_e32 vcc_lo, 1, v41
	s_or_b32 s5, vcc_lo, s5
	s_waitcnt vmcnt(2) lgkmcnt(0)
	v_mul_f64 v[54:55], v[48:49], v[50:51]
	v_mul_f64 v[50:51], v[46:47], v[50:51]
	s_waitcnt vmcnt(0)
	v_fma_f64 v[46:47], v[46:47], v[52:53], -v[54:55]
	v_fma_f64 v[48:49], v[48:49], v[52:53], v[50:51]
	v_add_f64 v[3:4], v[3:4], v[46:47]
	v_add_f64 v[1:2], v[1:2], v[48:49]
	s_andn2_b32 exec_lo, exec_lo, s5
	s_cbranch_execnz .LBB80_25
; %bb.26:
	s_or_b32 exec_lo, exec_lo, s5
	v_mov_b32_e32 v41, 0
	ds_read_b128 v[41:44], v41 offset:48
	s_waitcnt lgkmcnt(0)
	v_mul_f64 v[46:47], v[1:2], v[43:44]
	v_mul_f64 v[43:44], v[3:4], v[43:44]
	v_fma_f64 v[3:4], v[3:4], v[41:42], -v[46:47]
	v_fma_f64 v[1:2], v[1:2], v[41:42], v[43:44]
	buffer_store_dword v4, off, s[0:3], 0 offset:68
	buffer_store_dword v3, off, s[0:3], 0 offset:64
	;; [unrolled: 1-line block ×4, first 2 shown]
.LBB80_27:
	s_or_b32 exec_lo, exec_lo, s4
	v_mov_b32_e32 v4, s24
	s_waitcnt_vscnt null, 0x0
	s_barrier
	buffer_gl0_inv
	s_mov_b32 s4, exec_lo
	s_clause 0x3
	buffer_load_dword v1, v4, s[0:3], 0 offen
	buffer_load_dword v2, v4, s[0:3], 0 offen offset:4
	buffer_load_dword v3, v4, s[0:3], 0 offen offset:8
	;; [unrolled: 1-line block ×3, first 2 shown]
	s_waitcnt vmcnt(0)
	ds_write_b128 v39, v[1:4]
	s_waitcnt lgkmcnt(0)
	s_barrier
	buffer_gl0_inv
	v_cmpx_gt_u32_e32 4, v0
	s_cbranch_execz .LBB80_31
; %bb.28:
	v_mov_b32_e32 v1, 0
	v_mov_b32_e32 v3, 0
	v_add_nc_u32_e32 v41, -1, v0
	v_add_nc_u32_e32 v42, 0x110, v45
	v_mov_b32_e32 v2, 0
	v_mov_b32_e32 v4, 0
	v_add_nc_u32_e32 v43, 16, v45
	s_mov_b32 s5, 0
	.p2align	6
.LBB80_29:                              ; =>This Inner Loop Header: Depth=1
	s_clause 0x3
	buffer_load_dword v50, v43, s[0:3], 0 offen offset:8
	buffer_load_dword v51, v43, s[0:3], 0 offen offset:12
	buffer_load_dword v52, v43, s[0:3], 0 offen
	buffer_load_dword v53, v43, s[0:3], 0 offen offset:4
	ds_read_b128 v[46:49], v42
	v_add_nc_u32_e32 v41, 1, v41
	v_add_nc_u32_e32 v42, 16, v42
	;; [unrolled: 1-line block ×3, first 2 shown]
	v_cmp_lt_u32_e32 vcc_lo, 2, v41
	s_or_b32 s5, vcc_lo, s5
	s_waitcnt vmcnt(2) lgkmcnt(0)
	v_mul_f64 v[54:55], v[48:49], v[50:51]
	v_mul_f64 v[50:51], v[46:47], v[50:51]
	s_waitcnt vmcnt(0)
	v_fma_f64 v[46:47], v[46:47], v[52:53], -v[54:55]
	v_fma_f64 v[48:49], v[48:49], v[52:53], v[50:51]
	v_add_f64 v[3:4], v[3:4], v[46:47]
	v_add_f64 v[1:2], v[1:2], v[48:49]
	s_andn2_b32 exec_lo, exec_lo, s5
	s_cbranch_execnz .LBB80_29
; %bb.30:
	s_or_b32 exec_lo, exec_lo, s5
	v_mov_b32_e32 v41, 0
	ds_read_b128 v[41:44], v41 offset:64
	s_waitcnt lgkmcnt(0)
	v_mul_f64 v[46:47], v[1:2], v[43:44]
	v_mul_f64 v[43:44], v[3:4], v[43:44]
	v_fma_f64 v[3:4], v[3:4], v[41:42], -v[46:47]
	v_fma_f64 v[1:2], v[1:2], v[41:42], v[43:44]
	buffer_store_dword v4, off, s[0:3], 0 offset:84
	buffer_store_dword v3, off, s[0:3], 0 offset:80
	;; [unrolled: 1-line block ×4, first 2 shown]
.LBB80_31:
	s_or_b32 exec_lo, exec_lo, s4
	v_mov_b32_e32 v4, s23
	s_waitcnt_vscnt null, 0x0
	s_barrier
	buffer_gl0_inv
	s_mov_b32 s4, exec_lo
	s_clause 0x3
	buffer_load_dword v1, v4, s[0:3], 0 offen
	buffer_load_dword v2, v4, s[0:3], 0 offen offset:4
	buffer_load_dword v3, v4, s[0:3], 0 offen offset:8
	;; [unrolled: 1-line block ×3, first 2 shown]
	s_waitcnt vmcnt(0)
	ds_write_b128 v39, v[1:4]
	s_waitcnt lgkmcnt(0)
	s_barrier
	buffer_gl0_inv
	v_cmpx_gt_u32_e32 5, v0
	s_cbranch_execz .LBB80_35
; %bb.32:
	v_mov_b32_e32 v1, 0
	v_mov_b32_e32 v3, 0
	v_add_nc_u32_e32 v41, -1, v0
	v_add_nc_u32_e32 v42, 0x110, v45
	v_mov_b32_e32 v2, 0
	v_mov_b32_e32 v4, 0
	v_add_nc_u32_e32 v43, 16, v45
	s_mov_b32 s5, 0
	.p2align	6
.LBB80_33:                              ; =>This Inner Loop Header: Depth=1
	s_clause 0x3
	buffer_load_dword v50, v43, s[0:3], 0 offen offset:8
	buffer_load_dword v51, v43, s[0:3], 0 offen offset:12
	buffer_load_dword v52, v43, s[0:3], 0 offen
	buffer_load_dword v53, v43, s[0:3], 0 offen offset:4
	ds_read_b128 v[46:49], v42
	v_add_nc_u32_e32 v41, 1, v41
	v_add_nc_u32_e32 v42, 16, v42
	;; [unrolled: 1-line block ×3, first 2 shown]
	v_cmp_lt_u32_e32 vcc_lo, 3, v41
	s_or_b32 s5, vcc_lo, s5
	s_waitcnt vmcnt(2) lgkmcnt(0)
	v_mul_f64 v[54:55], v[48:49], v[50:51]
	v_mul_f64 v[50:51], v[46:47], v[50:51]
	s_waitcnt vmcnt(0)
	v_fma_f64 v[46:47], v[46:47], v[52:53], -v[54:55]
	v_fma_f64 v[48:49], v[48:49], v[52:53], v[50:51]
	v_add_f64 v[3:4], v[3:4], v[46:47]
	v_add_f64 v[1:2], v[1:2], v[48:49]
	s_andn2_b32 exec_lo, exec_lo, s5
	s_cbranch_execnz .LBB80_33
; %bb.34:
	s_or_b32 exec_lo, exec_lo, s5
	v_mov_b32_e32 v41, 0
	ds_read_b128 v[41:44], v41 offset:80
	s_waitcnt lgkmcnt(0)
	v_mul_f64 v[46:47], v[1:2], v[43:44]
	v_mul_f64 v[43:44], v[3:4], v[43:44]
	v_fma_f64 v[3:4], v[3:4], v[41:42], -v[46:47]
	v_fma_f64 v[1:2], v[1:2], v[41:42], v[43:44]
	buffer_store_dword v4, off, s[0:3], 0 offset:100
	buffer_store_dword v3, off, s[0:3], 0 offset:96
	;; [unrolled: 1-line block ×4, first 2 shown]
.LBB80_35:
	s_or_b32 exec_lo, exec_lo, s4
	v_mov_b32_e32 v4, s22
	s_waitcnt_vscnt null, 0x0
	s_barrier
	buffer_gl0_inv
	s_mov_b32 s4, exec_lo
	s_clause 0x3
	buffer_load_dword v1, v4, s[0:3], 0 offen
	buffer_load_dword v2, v4, s[0:3], 0 offen offset:4
	buffer_load_dword v3, v4, s[0:3], 0 offen offset:8
	;; [unrolled: 1-line block ×3, first 2 shown]
	s_waitcnt vmcnt(0)
	ds_write_b128 v39, v[1:4]
	s_waitcnt lgkmcnt(0)
	s_barrier
	buffer_gl0_inv
	v_cmpx_gt_u32_e32 6, v0
	s_cbranch_execz .LBB80_39
; %bb.36:
	v_mov_b32_e32 v1, 0
	v_mov_b32_e32 v3, 0
	v_add_nc_u32_e32 v41, -1, v0
	v_add_nc_u32_e32 v42, 0x110, v45
	v_mov_b32_e32 v2, 0
	v_mov_b32_e32 v4, 0
	v_add_nc_u32_e32 v43, 16, v45
	s_mov_b32 s5, 0
	.p2align	6
.LBB80_37:                              ; =>This Inner Loop Header: Depth=1
	s_clause 0x3
	buffer_load_dword v50, v43, s[0:3], 0 offen offset:8
	buffer_load_dword v51, v43, s[0:3], 0 offen offset:12
	buffer_load_dword v52, v43, s[0:3], 0 offen
	buffer_load_dword v53, v43, s[0:3], 0 offen offset:4
	ds_read_b128 v[46:49], v42
	v_add_nc_u32_e32 v41, 1, v41
	v_add_nc_u32_e32 v42, 16, v42
	;; [unrolled: 1-line block ×3, first 2 shown]
	v_cmp_lt_u32_e32 vcc_lo, 4, v41
	s_or_b32 s5, vcc_lo, s5
	s_waitcnt vmcnt(2) lgkmcnt(0)
	v_mul_f64 v[54:55], v[48:49], v[50:51]
	v_mul_f64 v[50:51], v[46:47], v[50:51]
	s_waitcnt vmcnt(0)
	v_fma_f64 v[46:47], v[46:47], v[52:53], -v[54:55]
	v_fma_f64 v[48:49], v[48:49], v[52:53], v[50:51]
	v_add_f64 v[3:4], v[3:4], v[46:47]
	v_add_f64 v[1:2], v[1:2], v[48:49]
	s_andn2_b32 exec_lo, exec_lo, s5
	s_cbranch_execnz .LBB80_37
; %bb.38:
	s_or_b32 exec_lo, exec_lo, s5
	v_mov_b32_e32 v41, 0
	ds_read_b128 v[41:44], v41 offset:96
	s_waitcnt lgkmcnt(0)
	v_mul_f64 v[46:47], v[1:2], v[43:44]
	v_mul_f64 v[43:44], v[3:4], v[43:44]
	v_fma_f64 v[3:4], v[3:4], v[41:42], -v[46:47]
	v_fma_f64 v[1:2], v[1:2], v[41:42], v[43:44]
	buffer_store_dword v4, off, s[0:3], 0 offset:116
	buffer_store_dword v3, off, s[0:3], 0 offset:112
	;; [unrolled: 1-line block ×4, first 2 shown]
.LBB80_39:
	s_or_b32 exec_lo, exec_lo, s4
	v_mov_b32_e32 v4, s21
	s_waitcnt_vscnt null, 0x0
	s_barrier
	buffer_gl0_inv
	s_mov_b32 s4, exec_lo
	s_clause 0x3
	buffer_load_dword v1, v4, s[0:3], 0 offen
	buffer_load_dword v2, v4, s[0:3], 0 offen offset:4
	buffer_load_dword v3, v4, s[0:3], 0 offen offset:8
	;; [unrolled: 1-line block ×3, first 2 shown]
	s_waitcnt vmcnt(0)
	ds_write_b128 v39, v[1:4]
	s_waitcnt lgkmcnt(0)
	s_barrier
	buffer_gl0_inv
	v_cmpx_gt_u32_e32 7, v0
	s_cbranch_execz .LBB80_43
; %bb.40:
	v_mov_b32_e32 v1, 0
	v_mov_b32_e32 v3, 0
	v_add_nc_u32_e32 v41, -1, v0
	v_add_nc_u32_e32 v42, 0x110, v45
	v_mov_b32_e32 v2, 0
	v_mov_b32_e32 v4, 0
	v_add_nc_u32_e32 v43, 16, v45
	s_mov_b32 s5, 0
	.p2align	6
.LBB80_41:                              ; =>This Inner Loop Header: Depth=1
	s_clause 0x3
	buffer_load_dword v50, v43, s[0:3], 0 offen offset:8
	buffer_load_dword v51, v43, s[0:3], 0 offen offset:12
	buffer_load_dword v52, v43, s[0:3], 0 offen
	buffer_load_dword v53, v43, s[0:3], 0 offen offset:4
	ds_read_b128 v[46:49], v42
	v_add_nc_u32_e32 v41, 1, v41
	v_add_nc_u32_e32 v42, 16, v42
	;; [unrolled: 1-line block ×3, first 2 shown]
	v_cmp_lt_u32_e32 vcc_lo, 5, v41
	s_or_b32 s5, vcc_lo, s5
	s_waitcnt vmcnt(2) lgkmcnt(0)
	v_mul_f64 v[54:55], v[48:49], v[50:51]
	v_mul_f64 v[50:51], v[46:47], v[50:51]
	s_waitcnt vmcnt(0)
	v_fma_f64 v[46:47], v[46:47], v[52:53], -v[54:55]
	v_fma_f64 v[48:49], v[48:49], v[52:53], v[50:51]
	v_add_f64 v[3:4], v[3:4], v[46:47]
	v_add_f64 v[1:2], v[1:2], v[48:49]
	s_andn2_b32 exec_lo, exec_lo, s5
	s_cbranch_execnz .LBB80_41
; %bb.42:
	s_or_b32 exec_lo, exec_lo, s5
	v_mov_b32_e32 v41, 0
	ds_read_b128 v[41:44], v41 offset:112
	s_waitcnt lgkmcnt(0)
	v_mul_f64 v[46:47], v[1:2], v[43:44]
	v_mul_f64 v[43:44], v[3:4], v[43:44]
	v_fma_f64 v[3:4], v[3:4], v[41:42], -v[46:47]
	v_fma_f64 v[1:2], v[1:2], v[41:42], v[43:44]
	buffer_store_dword v4, off, s[0:3], 0 offset:132
	buffer_store_dword v3, off, s[0:3], 0 offset:128
	buffer_store_dword v2, off, s[0:3], 0 offset:140
	buffer_store_dword v1, off, s[0:3], 0 offset:136
.LBB80_43:
	s_or_b32 exec_lo, exec_lo, s4
	v_mov_b32_e32 v4, s20
	s_waitcnt_vscnt null, 0x0
	s_barrier
	buffer_gl0_inv
	s_mov_b32 s4, exec_lo
	s_clause 0x3
	buffer_load_dword v1, v4, s[0:3], 0 offen
	buffer_load_dword v2, v4, s[0:3], 0 offen offset:4
	buffer_load_dword v3, v4, s[0:3], 0 offen offset:8
	;; [unrolled: 1-line block ×3, first 2 shown]
	s_waitcnt vmcnt(0)
	ds_write_b128 v39, v[1:4]
	s_waitcnt lgkmcnt(0)
	s_barrier
	buffer_gl0_inv
	v_cmpx_gt_u32_e32 8, v0
	s_cbranch_execz .LBB80_47
; %bb.44:
	v_mov_b32_e32 v1, 0
	v_mov_b32_e32 v3, 0
	v_add_nc_u32_e32 v41, -1, v0
	v_add_nc_u32_e32 v42, 0x110, v45
	v_mov_b32_e32 v2, 0
	v_mov_b32_e32 v4, 0
	v_add_nc_u32_e32 v43, 16, v45
	s_mov_b32 s5, 0
	.p2align	6
.LBB80_45:                              ; =>This Inner Loop Header: Depth=1
	s_clause 0x3
	buffer_load_dword v50, v43, s[0:3], 0 offen offset:8
	buffer_load_dword v51, v43, s[0:3], 0 offen offset:12
	buffer_load_dword v52, v43, s[0:3], 0 offen
	buffer_load_dword v53, v43, s[0:3], 0 offen offset:4
	ds_read_b128 v[46:49], v42
	v_add_nc_u32_e32 v41, 1, v41
	v_add_nc_u32_e32 v42, 16, v42
	;; [unrolled: 1-line block ×3, first 2 shown]
	v_cmp_lt_u32_e32 vcc_lo, 6, v41
	s_or_b32 s5, vcc_lo, s5
	s_waitcnt vmcnt(2) lgkmcnt(0)
	v_mul_f64 v[54:55], v[48:49], v[50:51]
	v_mul_f64 v[50:51], v[46:47], v[50:51]
	s_waitcnt vmcnt(0)
	v_fma_f64 v[46:47], v[46:47], v[52:53], -v[54:55]
	v_fma_f64 v[48:49], v[48:49], v[52:53], v[50:51]
	v_add_f64 v[3:4], v[3:4], v[46:47]
	v_add_f64 v[1:2], v[1:2], v[48:49]
	s_andn2_b32 exec_lo, exec_lo, s5
	s_cbranch_execnz .LBB80_45
; %bb.46:
	s_or_b32 exec_lo, exec_lo, s5
	v_mov_b32_e32 v41, 0
	ds_read_b128 v[41:44], v41 offset:128
	s_waitcnt lgkmcnt(0)
	v_mul_f64 v[46:47], v[1:2], v[43:44]
	v_mul_f64 v[43:44], v[3:4], v[43:44]
	v_fma_f64 v[3:4], v[3:4], v[41:42], -v[46:47]
	v_fma_f64 v[1:2], v[1:2], v[41:42], v[43:44]
	buffer_store_dword v4, off, s[0:3], 0 offset:148
	buffer_store_dword v3, off, s[0:3], 0 offset:144
	;; [unrolled: 1-line block ×4, first 2 shown]
.LBB80_47:
	s_or_b32 exec_lo, exec_lo, s4
	v_mov_b32_e32 v4, s19
	s_waitcnt_vscnt null, 0x0
	s_barrier
	buffer_gl0_inv
	s_mov_b32 s4, exec_lo
	s_clause 0x3
	buffer_load_dword v1, v4, s[0:3], 0 offen
	buffer_load_dword v2, v4, s[0:3], 0 offen offset:4
	buffer_load_dword v3, v4, s[0:3], 0 offen offset:8
	;; [unrolled: 1-line block ×3, first 2 shown]
	s_waitcnt vmcnt(0)
	ds_write_b128 v39, v[1:4]
	s_waitcnt lgkmcnt(0)
	s_barrier
	buffer_gl0_inv
	v_cmpx_gt_u32_e32 9, v0
	s_cbranch_execz .LBB80_51
; %bb.48:
	v_mov_b32_e32 v1, 0
	v_mov_b32_e32 v3, 0
	v_add_nc_u32_e32 v41, -1, v0
	v_add_nc_u32_e32 v42, 0x110, v45
	v_mov_b32_e32 v2, 0
	v_mov_b32_e32 v4, 0
	v_add_nc_u32_e32 v43, 16, v45
	s_mov_b32 s5, 0
	.p2align	6
.LBB80_49:                              ; =>This Inner Loop Header: Depth=1
	s_clause 0x3
	buffer_load_dword v50, v43, s[0:3], 0 offen offset:8
	buffer_load_dword v51, v43, s[0:3], 0 offen offset:12
	buffer_load_dword v52, v43, s[0:3], 0 offen
	buffer_load_dword v53, v43, s[0:3], 0 offen offset:4
	ds_read_b128 v[46:49], v42
	v_add_nc_u32_e32 v41, 1, v41
	v_add_nc_u32_e32 v42, 16, v42
	;; [unrolled: 1-line block ×3, first 2 shown]
	v_cmp_lt_u32_e32 vcc_lo, 7, v41
	s_or_b32 s5, vcc_lo, s5
	s_waitcnt vmcnt(2) lgkmcnt(0)
	v_mul_f64 v[54:55], v[48:49], v[50:51]
	v_mul_f64 v[50:51], v[46:47], v[50:51]
	s_waitcnt vmcnt(0)
	v_fma_f64 v[46:47], v[46:47], v[52:53], -v[54:55]
	v_fma_f64 v[48:49], v[48:49], v[52:53], v[50:51]
	v_add_f64 v[3:4], v[3:4], v[46:47]
	v_add_f64 v[1:2], v[1:2], v[48:49]
	s_andn2_b32 exec_lo, exec_lo, s5
	s_cbranch_execnz .LBB80_49
; %bb.50:
	s_or_b32 exec_lo, exec_lo, s5
	v_mov_b32_e32 v41, 0
	ds_read_b128 v[41:44], v41 offset:144
	s_waitcnt lgkmcnt(0)
	v_mul_f64 v[46:47], v[1:2], v[43:44]
	v_mul_f64 v[43:44], v[3:4], v[43:44]
	v_fma_f64 v[3:4], v[3:4], v[41:42], -v[46:47]
	v_fma_f64 v[1:2], v[1:2], v[41:42], v[43:44]
	buffer_store_dword v4, off, s[0:3], 0 offset:164
	buffer_store_dword v3, off, s[0:3], 0 offset:160
	;; [unrolled: 1-line block ×4, first 2 shown]
.LBB80_51:
	s_or_b32 exec_lo, exec_lo, s4
	v_mov_b32_e32 v4, s18
	s_waitcnt_vscnt null, 0x0
	s_barrier
	buffer_gl0_inv
	s_mov_b32 s4, exec_lo
	s_clause 0x3
	buffer_load_dword v1, v4, s[0:3], 0 offen
	buffer_load_dword v2, v4, s[0:3], 0 offen offset:4
	buffer_load_dword v3, v4, s[0:3], 0 offen offset:8
	;; [unrolled: 1-line block ×3, first 2 shown]
	s_waitcnt vmcnt(0)
	ds_write_b128 v39, v[1:4]
	s_waitcnt lgkmcnt(0)
	s_barrier
	buffer_gl0_inv
	v_cmpx_gt_u32_e32 10, v0
	s_cbranch_execz .LBB80_55
; %bb.52:
	v_mov_b32_e32 v1, 0
	v_mov_b32_e32 v3, 0
	v_add_nc_u32_e32 v41, -1, v0
	v_add_nc_u32_e32 v42, 0x110, v45
	v_mov_b32_e32 v2, 0
	v_mov_b32_e32 v4, 0
	v_add_nc_u32_e32 v43, 16, v45
	s_mov_b32 s5, 0
	.p2align	6
.LBB80_53:                              ; =>This Inner Loop Header: Depth=1
	s_clause 0x3
	buffer_load_dword v50, v43, s[0:3], 0 offen offset:8
	buffer_load_dword v51, v43, s[0:3], 0 offen offset:12
	buffer_load_dword v52, v43, s[0:3], 0 offen
	buffer_load_dword v53, v43, s[0:3], 0 offen offset:4
	ds_read_b128 v[46:49], v42
	v_add_nc_u32_e32 v41, 1, v41
	v_add_nc_u32_e32 v42, 16, v42
	;; [unrolled: 1-line block ×3, first 2 shown]
	v_cmp_lt_u32_e32 vcc_lo, 8, v41
	s_or_b32 s5, vcc_lo, s5
	s_waitcnt vmcnt(2) lgkmcnt(0)
	v_mul_f64 v[54:55], v[48:49], v[50:51]
	v_mul_f64 v[50:51], v[46:47], v[50:51]
	s_waitcnt vmcnt(0)
	v_fma_f64 v[46:47], v[46:47], v[52:53], -v[54:55]
	v_fma_f64 v[48:49], v[48:49], v[52:53], v[50:51]
	v_add_f64 v[3:4], v[3:4], v[46:47]
	v_add_f64 v[1:2], v[1:2], v[48:49]
	s_andn2_b32 exec_lo, exec_lo, s5
	s_cbranch_execnz .LBB80_53
; %bb.54:
	s_or_b32 exec_lo, exec_lo, s5
	v_mov_b32_e32 v41, 0
	ds_read_b128 v[41:44], v41 offset:160
	s_waitcnt lgkmcnt(0)
	v_mul_f64 v[46:47], v[1:2], v[43:44]
	v_mul_f64 v[43:44], v[3:4], v[43:44]
	v_fma_f64 v[3:4], v[3:4], v[41:42], -v[46:47]
	v_fma_f64 v[1:2], v[1:2], v[41:42], v[43:44]
	buffer_store_dword v4, off, s[0:3], 0 offset:180
	buffer_store_dword v3, off, s[0:3], 0 offset:176
	;; [unrolled: 1-line block ×4, first 2 shown]
.LBB80_55:
	s_or_b32 exec_lo, exec_lo, s4
	v_mov_b32_e32 v4, s17
	s_waitcnt_vscnt null, 0x0
	s_barrier
	buffer_gl0_inv
	s_mov_b32 s4, exec_lo
	s_clause 0x3
	buffer_load_dword v1, v4, s[0:3], 0 offen
	buffer_load_dword v2, v4, s[0:3], 0 offen offset:4
	buffer_load_dword v3, v4, s[0:3], 0 offen offset:8
	;; [unrolled: 1-line block ×3, first 2 shown]
	s_waitcnt vmcnt(0)
	ds_write_b128 v39, v[1:4]
	s_waitcnt lgkmcnt(0)
	s_barrier
	buffer_gl0_inv
	v_cmpx_gt_u32_e32 11, v0
	s_cbranch_execz .LBB80_59
; %bb.56:
	v_mov_b32_e32 v1, 0
	v_mov_b32_e32 v3, 0
	v_add_nc_u32_e32 v41, -1, v0
	v_add_nc_u32_e32 v42, 0x110, v45
	v_mov_b32_e32 v2, 0
	v_mov_b32_e32 v4, 0
	v_add_nc_u32_e32 v43, 16, v45
	s_mov_b32 s5, 0
	.p2align	6
.LBB80_57:                              ; =>This Inner Loop Header: Depth=1
	s_clause 0x3
	buffer_load_dword v50, v43, s[0:3], 0 offen offset:8
	buffer_load_dword v51, v43, s[0:3], 0 offen offset:12
	buffer_load_dword v52, v43, s[0:3], 0 offen
	buffer_load_dword v53, v43, s[0:3], 0 offen offset:4
	ds_read_b128 v[46:49], v42
	v_add_nc_u32_e32 v41, 1, v41
	v_add_nc_u32_e32 v42, 16, v42
	;; [unrolled: 1-line block ×3, first 2 shown]
	v_cmp_lt_u32_e32 vcc_lo, 9, v41
	s_or_b32 s5, vcc_lo, s5
	s_waitcnt vmcnt(2) lgkmcnt(0)
	v_mul_f64 v[54:55], v[48:49], v[50:51]
	v_mul_f64 v[50:51], v[46:47], v[50:51]
	s_waitcnt vmcnt(0)
	v_fma_f64 v[46:47], v[46:47], v[52:53], -v[54:55]
	v_fma_f64 v[48:49], v[48:49], v[52:53], v[50:51]
	v_add_f64 v[3:4], v[3:4], v[46:47]
	v_add_f64 v[1:2], v[1:2], v[48:49]
	s_andn2_b32 exec_lo, exec_lo, s5
	s_cbranch_execnz .LBB80_57
; %bb.58:
	s_or_b32 exec_lo, exec_lo, s5
	v_mov_b32_e32 v41, 0
	ds_read_b128 v[41:44], v41 offset:176
	s_waitcnt lgkmcnt(0)
	v_mul_f64 v[46:47], v[1:2], v[43:44]
	v_mul_f64 v[43:44], v[3:4], v[43:44]
	v_fma_f64 v[3:4], v[3:4], v[41:42], -v[46:47]
	v_fma_f64 v[1:2], v[1:2], v[41:42], v[43:44]
	buffer_store_dword v4, off, s[0:3], 0 offset:196
	buffer_store_dword v3, off, s[0:3], 0 offset:192
	buffer_store_dword v2, off, s[0:3], 0 offset:204
	buffer_store_dword v1, off, s[0:3], 0 offset:200
.LBB80_59:
	s_or_b32 exec_lo, exec_lo, s4
	v_mov_b32_e32 v4, s16
	s_waitcnt_vscnt null, 0x0
	s_barrier
	buffer_gl0_inv
	s_mov_b32 s4, exec_lo
	s_clause 0x3
	buffer_load_dword v1, v4, s[0:3], 0 offen
	buffer_load_dword v2, v4, s[0:3], 0 offen offset:4
	buffer_load_dword v3, v4, s[0:3], 0 offen offset:8
	;; [unrolled: 1-line block ×3, first 2 shown]
	s_waitcnt vmcnt(0)
	ds_write_b128 v39, v[1:4]
	s_waitcnt lgkmcnt(0)
	s_barrier
	buffer_gl0_inv
	v_cmpx_gt_u32_e32 12, v0
	s_cbranch_execz .LBB80_63
; %bb.60:
	v_mov_b32_e32 v1, 0
	v_mov_b32_e32 v3, 0
	v_add_nc_u32_e32 v41, -1, v0
	v_add_nc_u32_e32 v42, 0x110, v45
	v_mov_b32_e32 v2, 0
	v_mov_b32_e32 v4, 0
	v_add_nc_u32_e32 v43, 16, v45
	s_mov_b32 s5, 0
	.p2align	6
.LBB80_61:                              ; =>This Inner Loop Header: Depth=1
	s_clause 0x3
	buffer_load_dword v50, v43, s[0:3], 0 offen offset:8
	buffer_load_dword v51, v43, s[0:3], 0 offen offset:12
	buffer_load_dword v52, v43, s[0:3], 0 offen
	buffer_load_dword v53, v43, s[0:3], 0 offen offset:4
	ds_read_b128 v[46:49], v42
	v_add_nc_u32_e32 v41, 1, v41
	v_add_nc_u32_e32 v42, 16, v42
	;; [unrolled: 1-line block ×3, first 2 shown]
	v_cmp_lt_u32_e32 vcc_lo, 10, v41
	s_or_b32 s5, vcc_lo, s5
	s_waitcnt vmcnt(2) lgkmcnt(0)
	v_mul_f64 v[54:55], v[48:49], v[50:51]
	v_mul_f64 v[50:51], v[46:47], v[50:51]
	s_waitcnt vmcnt(0)
	v_fma_f64 v[46:47], v[46:47], v[52:53], -v[54:55]
	v_fma_f64 v[48:49], v[48:49], v[52:53], v[50:51]
	v_add_f64 v[3:4], v[3:4], v[46:47]
	v_add_f64 v[1:2], v[1:2], v[48:49]
	s_andn2_b32 exec_lo, exec_lo, s5
	s_cbranch_execnz .LBB80_61
; %bb.62:
	s_or_b32 exec_lo, exec_lo, s5
	v_mov_b32_e32 v41, 0
	ds_read_b128 v[41:44], v41 offset:192
	s_waitcnt lgkmcnt(0)
	v_mul_f64 v[46:47], v[1:2], v[43:44]
	v_mul_f64 v[43:44], v[3:4], v[43:44]
	v_fma_f64 v[3:4], v[3:4], v[41:42], -v[46:47]
	v_fma_f64 v[1:2], v[1:2], v[41:42], v[43:44]
	buffer_store_dword v4, off, s[0:3], 0 offset:212
	buffer_store_dword v3, off, s[0:3], 0 offset:208
	;; [unrolled: 1-line block ×4, first 2 shown]
.LBB80_63:
	s_or_b32 exec_lo, exec_lo, s4
	v_mov_b32_e32 v4, s15
	s_waitcnt_vscnt null, 0x0
	s_barrier
	buffer_gl0_inv
	s_mov_b32 s4, exec_lo
	s_clause 0x3
	buffer_load_dword v1, v4, s[0:3], 0 offen
	buffer_load_dword v2, v4, s[0:3], 0 offen offset:4
	buffer_load_dword v3, v4, s[0:3], 0 offen offset:8
	;; [unrolled: 1-line block ×3, first 2 shown]
	s_waitcnt vmcnt(0)
	ds_write_b128 v39, v[1:4]
	s_waitcnt lgkmcnt(0)
	s_barrier
	buffer_gl0_inv
	v_cmpx_gt_u32_e32 13, v0
	s_cbranch_execz .LBB80_67
; %bb.64:
	v_mov_b32_e32 v1, 0
	v_mov_b32_e32 v3, 0
	v_add_nc_u32_e32 v41, -1, v0
	v_add_nc_u32_e32 v42, 0x110, v45
	v_mov_b32_e32 v2, 0
	v_mov_b32_e32 v4, 0
	v_add_nc_u32_e32 v43, 16, v45
	s_mov_b32 s5, 0
	.p2align	6
.LBB80_65:                              ; =>This Inner Loop Header: Depth=1
	s_clause 0x3
	buffer_load_dword v50, v43, s[0:3], 0 offen offset:8
	buffer_load_dword v51, v43, s[0:3], 0 offen offset:12
	buffer_load_dword v52, v43, s[0:3], 0 offen
	buffer_load_dword v53, v43, s[0:3], 0 offen offset:4
	ds_read_b128 v[46:49], v42
	v_add_nc_u32_e32 v41, 1, v41
	v_add_nc_u32_e32 v42, 16, v42
	v_add_nc_u32_e32 v43, 16, v43
	v_cmp_lt_u32_e32 vcc_lo, 11, v41
	s_or_b32 s5, vcc_lo, s5
	s_waitcnt vmcnt(2) lgkmcnt(0)
	v_mul_f64 v[54:55], v[48:49], v[50:51]
	v_mul_f64 v[50:51], v[46:47], v[50:51]
	s_waitcnt vmcnt(0)
	v_fma_f64 v[46:47], v[46:47], v[52:53], -v[54:55]
	v_fma_f64 v[48:49], v[48:49], v[52:53], v[50:51]
	v_add_f64 v[3:4], v[3:4], v[46:47]
	v_add_f64 v[1:2], v[1:2], v[48:49]
	s_andn2_b32 exec_lo, exec_lo, s5
	s_cbranch_execnz .LBB80_65
; %bb.66:
	s_or_b32 exec_lo, exec_lo, s5
	v_mov_b32_e32 v41, 0
	ds_read_b128 v[41:44], v41 offset:208
	s_waitcnt lgkmcnt(0)
	v_mul_f64 v[46:47], v[1:2], v[43:44]
	v_mul_f64 v[43:44], v[3:4], v[43:44]
	v_fma_f64 v[3:4], v[3:4], v[41:42], -v[46:47]
	v_fma_f64 v[1:2], v[1:2], v[41:42], v[43:44]
	buffer_store_dword v4, off, s[0:3], 0 offset:228
	buffer_store_dword v3, off, s[0:3], 0 offset:224
	;; [unrolled: 1-line block ×4, first 2 shown]
.LBB80_67:
	s_or_b32 exec_lo, exec_lo, s4
	v_mov_b32_e32 v4, s14
	s_waitcnt_vscnt null, 0x0
	s_barrier
	buffer_gl0_inv
	s_mov_b32 s4, exec_lo
	s_clause 0x3
	buffer_load_dword v1, v4, s[0:3], 0 offen
	buffer_load_dword v2, v4, s[0:3], 0 offen offset:4
	buffer_load_dword v3, v4, s[0:3], 0 offen offset:8
	;; [unrolled: 1-line block ×3, first 2 shown]
	s_waitcnt vmcnt(0)
	ds_write_b128 v39, v[1:4]
	s_waitcnt lgkmcnt(0)
	s_barrier
	buffer_gl0_inv
	v_cmpx_gt_u32_e32 14, v0
	s_cbranch_execz .LBB80_71
; %bb.68:
	v_mov_b32_e32 v1, 0
	v_mov_b32_e32 v3, 0
	v_add_nc_u32_e32 v41, -1, v0
	v_add_nc_u32_e32 v42, 0x110, v45
	v_mov_b32_e32 v2, 0
	v_mov_b32_e32 v4, 0
	v_add_nc_u32_e32 v43, 16, v45
	s_mov_b32 s5, 0
	.p2align	6
.LBB80_69:                              ; =>This Inner Loop Header: Depth=1
	s_clause 0x3
	buffer_load_dword v50, v43, s[0:3], 0 offen offset:8
	buffer_load_dword v51, v43, s[0:3], 0 offen offset:12
	buffer_load_dword v52, v43, s[0:3], 0 offen
	buffer_load_dword v53, v43, s[0:3], 0 offen offset:4
	ds_read_b128 v[46:49], v42
	v_add_nc_u32_e32 v41, 1, v41
	v_add_nc_u32_e32 v42, 16, v42
	;; [unrolled: 1-line block ×3, first 2 shown]
	v_cmp_lt_u32_e32 vcc_lo, 12, v41
	s_or_b32 s5, vcc_lo, s5
	s_waitcnt vmcnt(2) lgkmcnt(0)
	v_mul_f64 v[54:55], v[48:49], v[50:51]
	v_mul_f64 v[50:51], v[46:47], v[50:51]
	s_waitcnt vmcnt(0)
	v_fma_f64 v[46:47], v[46:47], v[52:53], -v[54:55]
	v_fma_f64 v[48:49], v[48:49], v[52:53], v[50:51]
	v_add_f64 v[3:4], v[3:4], v[46:47]
	v_add_f64 v[1:2], v[1:2], v[48:49]
	s_andn2_b32 exec_lo, exec_lo, s5
	s_cbranch_execnz .LBB80_69
; %bb.70:
	s_or_b32 exec_lo, exec_lo, s5
	v_mov_b32_e32 v41, 0
	ds_read_b128 v[41:44], v41 offset:224
	s_waitcnt lgkmcnt(0)
	v_mul_f64 v[46:47], v[1:2], v[43:44]
	v_mul_f64 v[43:44], v[3:4], v[43:44]
	v_fma_f64 v[3:4], v[3:4], v[41:42], -v[46:47]
	v_fma_f64 v[1:2], v[1:2], v[41:42], v[43:44]
	buffer_store_dword v4, off, s[0:3], 0 offset:244
	buffer_store_dword v3, off, s[0:3], 0 offset:240
	;; [unrolled: 1-line block ×4, first 2 shown]
.LBB80_71:
	s_or_b32 exec_lo, exec_lo, s4
	v_mov_b32_e32 v4, s9
	s_waitcnt_vscnt null, 0x0
	s_barrier
	buffer_gl0_inv
	s_mov_b32 s4, exec_lo
	s_clause 0x3
	buffer_load_dword v1, v4, s[0:3], 0 offen
	buffer_load_dword v2, v4, s[0:3], 0 offen offset:4
	buffer_load_dword v3, v4, s[0:3], 0 offen offset:8
	;; [unrolled: 1-line block ×3, first 2 shown]
	s_waitcnt vmcnt(0)
	ds_write_b128 v39, v[1:4]
	s_waitcnt lgkmcnt(0)
	s_barrier
	buffer_gl0_inv
	v_cmpx_gt_u32_e32 15, v0
	s_cbranch_execz .LBB80_75
; %bb.72:
	v_mov_b32_e32 v1, 0
	v_mov_b32_e32 v3, 0
	v_add_nc_u32_e32 v41, -1, v0
	v_add_nc_u32_e32 v42, 0x110, v45
	v_mov_b32_e32 v2, 0
	v_mov_b32_e32 v4, 0
	v_add_nc_u32_e32 v43, 16, v45
	s_mov_b32 s5, 0
	.p2align	6
.LBB80_73:                              ; =>This Inner Loop Header: Depth=1
	s_clause 0x3
	buffer_load_dword v50, v43, s[0:3], 0 offen offset:8
	buffer_load_dword v51, v43, s[0:3], 0 offen offset:12
	buffer_load_dword v52, v43, s[0:3], 0 offen
	buffer_load_dword v53, v43, s[0:3], 0 offen offset:4
	ds_read_b128 v[46:49], v42
	v_add_nc_u32_e32 v41, 1, v41
	v_add_nc_u32_e32 v42, 16, v42
	;; [unrolled: 1-line block ×3, first 2 shown]
	v_cmp_lt_u32_e32 vcc_lo, 13, v41
	s_or_b32 s5, vcc_lo, s5
	s_waitcnt vmcnt(2) lgkmcnt(0)
	v_mul_f64 v[54:55], v[48:49], v[50:51]
	v_mul_f64 v[50:51], v[46:47], v[50:51]
	s_waitcnt vmcnt(0)
	v_fma_f64 v[46:47], v[46:47], v[52:53], -v[54:55]
	v_fma_f64 v[48:49], v[48:49], v[52:53], v[50:51]
	v_add_f64 v[3:4], v[3:4], v[46:47]
	v_add_f64 v[1:2], v[1:2], v[48:49]
	s_andn2_b32 exec_lo, exec_lo, s5
	s_cbranch_execnz .LBB80_73
; %bb.74:
	s_or_b32 exec_lo, exec_lo, s5
	v_mov_b32_e32 v41, 0
	ds_read_b128 v[41:44], v41 offset:240
	s_waitcnt lgkmcnt(0)
	v_mul_f64 v[46:47], v[1:2], v[43:44]
	v_mul_f64 v[43:44], v[3:4], v[43:44]
	v_fma_f64 v[3:4], v[3:4], v[41:42], -v[46:47]
	v_fma_f64 v[1:2], v[1:2], v[41:42], v[43:44]
	buffer_store_dword v4, off, s[0:3], 0 offset:260
	buffer_store_dword v3, off, s[0:3], 0 offset:256
	;; [unrolled: 1-line block ×4, first 2 shown]
.LBB80_75:
	s_or_b32 exec_lo, exec_lo, s4
	v_mov_b32_e32 v4, s8
	s_waitcnt_vscnt null, 0x0
	s_barrier
	buffer_gl0_inv
	s_mov_b32 s4, exec_lo
	s_clause 0x3
	buffer_load_dword v1, v4, s[0:3], 0 offen
	buffer_load_dword v2, v4, s[0:3], 0 offen offset:4
	buffer_load_dword v3, v4, s[0:3], 0 offen offset:8
	;; [unrolled: 1-line block ×3, first 2 shown]
	s_waitcnt vmcnt(0)
	ds_write_b128 v39, v[1:4]
	s_waitcnt lgkmcnt(0)
	s_barrier
	buffer_gl0_inv
	v_cmpx_ne_u32_e32 16, v0
	s_cbranch_execz .LBB80_79
; %bb.76:
	v_mov_b32_e32 v1, 0
	v_mov_b32_e32 v3, 0
	;; [unrolled: 1-line block ×4, first 2 shown]
	v_add_nc_u32_e32 v41, 16, v45
	s_mov_b32 s5, 0
	.p2align	6
.LBB80_77:                              ; =>This Inner Loop Header: Depth=1
	s_clause 0x3
	buffer_load_dword v46, v41, s[0:3], 0 offen offset:8
	buffer_load_dword v47, v41, s[0:3], 0 offen offset:12
	buffer_load_dword v48, v41, s[0:3], 0 offen
	buffer_load_dword v49, v41, s[0:3], 0 offen offset:4
	ds_read_b128 v[42:45], v39
	v_add_nc_u32_e32 v40, 1, v40
	v_add_nc_u32_e32 v39, 16, v39
	;; [unrolled: 1-line block ×3, first 2 shown]
	v_cmp_lt_u32_e32 vcc_lo, 14, v40
	s_or_b32 s5, vcc_lo, s5
	s_waitcnt vmcnt(2) lgkmcnt(0)
	v_mul_f64 v[50:51], v[44:45], v[46:47]
	v_mul_f64 v[46:47], v[42:43], v[46:47]
	s_waitcnt vmcnt(0)
	v_fma_f64 v[42:43], v[42:43], v[48:49], -v[50:51]
	v_fma_f64 v[44:45], v[44:45], v[48:49], v[46:47]
	v_add_f64 v[3:4], v[3:4], v[42:43]
	v_add_f64 v[1:2], v[1:2], v[44:45]
	s_andn2_b32 exec_lo, exec_lo, s5
	s_cbranch_execnz .LBB80_77
; %bb.78:
	s_or_b32 exec_lo, exec_lo, s5
	v_mov_b32_e32 v39, 0
	ds_read_b128 v[39:42], v39 offset:256
	s_waitcnt lgkmcnt(0)
	v_mul_f64 v[43:44], v[1:2], v[41:42]
	v_mul_f64 v[41:42], v[3:4], v[41:42]
	v_fma_f64 v[3:4], v[3:4], v[39:40], -v[43:44]
	v_fma_f64 v[1:2], v[1:2], v[39:40], v[41:42]
	buffer_store_dword v4, off, s[0:3], 0 offset:276
	buffer_store_dword v3, off, s[0:3], 0 offset:272
	;; [unrolled: 1-line block ×4, first 2 shown]
.LBB80_79:
	s_or_b32 exec_lo, exec_lo, s4
	s_mov_b32 s5, -1
	s_waitcnt_vscnt null, 0x0
	s_barrier
	buffer_gl0_inv
.LBB80_80:
	s_and_b32 vcc_lo, exec_lo, s5
	s_cbranch_vccz .LBB80_82
; %bb.81:
	s_lshl_b64 s[4:5], s[6:7], 2
	v_mov_b32_e32 v1, 0
	s_add_u32 s4, s10, s4
	s_addc_u32 s5, s11, s5
	global_load_dword v1, v1, s[4:5]
	s_waitcnt vmcnt(0)
	v_cmp_ne_u32_e32 vcc_lo, 0, v1
	s_cbranch_vccz .LBB80_83
.LBB80_82:
	s_endpgm
.LBB80_83:
	v_lshl_add_u32 v1, v0, 4, 0x110
	s_mov_b32 s4, exec_lo
	v_cmpx_eq_u32_e32 16, v0
	s_cbranch_execz .LBB80_85
; %bb.84:
	v_mov_b32_e32 v2, s9
	s_clause 0x3
	buffer_load_dword v39, v2, s[0:3], 0 offen
	buffer_load_dword v40, v2, s[0:3], 0 offen offset:4
	buffer_load_dword v41, v2, s[0:3], 0 offen offset:8
	;; [unrolled: 1-line block ×3, first 2 shown]
	v_mov_b32_e32 v2, 0
	buffer_store_dword v2, off, s[0:3], 0 offset:256
	buffer_store_dword v2, off, s[0:3], 0 offset:260
	;; [unrolled: 1-line block ×4, first 2 shown]
	s_waitcnt vmcnt(0)
	ds_write_b128 v1, v[39:42]
.LBB80_85:
	s_or_b32 exec_lo, exec_lo, s4
	s_waitcnt lgkmcnt(0)
	s_waitcnt_vscnt null, 0x0
	s_barrier
	buffer_gl0_inv
	s_clause 0x7
	buffer_load_dword v3, off, s[0:3], 0 offset:280
	buffer_load_dword v4, off, s[0:3], 0 offset:284
	;; [unrolled: 1-line block ×8, first 2 shown]
	v_mov_b32_e32 v2, 0
	s_mov_b32 s4, exec_lo
	ds_read_b128 v[39:42], v2 offset:528
	s_waitcnt vmcnt(6) lgkmcnt(0)
	v_mul_f64 v[49:50], v[41:42], v[3:4]
	v_mul_f64 v[3:4], v[39:40], v[3:4]
	s_waitcnt vmcnt(4)
	v_fma_f64 v[39:40], v[39:40], v[43:44], -v[49:50]
	v_fma_f64 v[3:4], v[41:42], v[43:44], v[3:4]
	v_add_f64 v[39:40], v[39:40], 0
	v_add_f64 v[3:4], v[3:4], 0
	s_waitcnt vmcnt(2)
	v_add_f64 v[39:40], v[45:46], -v[39:40]
	s_waitcnt vmcnt(0)
	v_add_f64 v[3:4], v[47:48], -v[3:4]
	buffer_store_dword v39, off, s[0:3], 0 offset:256
	buffer_store_dword v40, off, s[0:3], 0 offset:260
	;; [unrolled: 1-line block ×4, first 2 shown]
	v_cmpx_lt_u32_e32 14, v0
	s_cbranch_execz .LBB80_87
; %bb.86:
	v_mov_b32_e32 v3, s14
	s_clause 0x3
	buffer_load_dword v39, v3, s[0:3], 0 offen
	buffer_load_dword v40, v3, s[0:3], 0 offen offset:4
	buffer_load_dword v41, v3, s[0:3], 0 offen offset:8
	;; [unrolled: 1-line block ×3, first 2 shown]
	buffer_store_dword v2, off, s[0:3], 0 offset:240
	buffer_store_dword v2, off, s[0:3], 0 offset:244
	;; [unrolled: 1-line block ×4, first 2 shown]
	s_waitcnt vmcnt(0)
	ds_write_b128 v1, v[39:42]
.LBB80_87:
	s_or_b32 exec_lo, exec_lo, s4
	s_waitcnt lgkmcnt(0)
	s_waitcnt_vscnt null, 0x0
	s_barrier
	buffer_gl0_inv
	s_clause 0xb
	buffer_load_dword v3, off, s[0:3], 0 offset:264
	buffer_load_dword v4, off, s[0:3], 0 offset:268
	;; [unrolled: 1-line block ×12, first 2 shown]
	ds_read_b128 v[39:42], v2 offset:512
	ds_read_b128 v[43:46], v2 offset:528
	s_mov_b32 s4, exec_lo
	s_waitcnt vmcnt(10) lgkmcnt(1)
	v_mul_f64 v[57:58], v[41:42], v[3:4]
	v_mul_f64 v[2:3], v[39:40], v[3:4]
	s_waitcnt vmcnt(8) lgkmcnt(0)
	v_mul_f64 v[59:60], v[45:46], v[47:48]
	v_mul_f64 v[47:48], v[43:44], v[47:48]
	s_waitcnt vmcnt(6)
	v_fma_f64 v[39:40], v[39:40], v[49:50], -v[57:58]
	v_fma_f64 v[2:3], v[41:42], v[49:50], v[2:3]
	s_waitcnt vmcnt(4)
	v_fma_f64 v[41:42], v[43:44], v[51:52], -v[59:60]
	v_fma_f64 v[43:44], v[45:46], v[51:52], v[47:48]
	v_add_f64 v[39:40], v[39:40], 0
	v_add_f64 v[2:3], v[2:3], 0
	;; [unrolled: 1-line block ×4, first 2 shown]
	s_waitcnt vmcnt(2)
	v_add_f64 v[39:40], v[53:54], -v[39:40]
	s_waitcnt vmcnt(0)
	v_add_f64 v[2:3], v[55:56], -v[2:3]
	buffer_store_dword v39, off, s[0:3], 0 offset:240
	buffer_store_dword v40, off, s[0:3], 0 offset:244
	;; [unrolled: 1-line block ×4, first 2 shown]
	v_cmpx_lt_u32_e32 13, v0
	s_cbranch_execz .LBB80_89
; %bb.88:
	v_mov_b32_e32 v2, s15
	s_clause 0x3
	buffer_load_dword v39, v2, s[0:3], 0 offen
	buffer_load_dword v40, v2, s[0:3], 0 offen offset:4
	buffer_load_dword v41, v2, s[0:3], 0 offen offset:8
	;; [unrolled: 1-line block ×3, first 2 shown]
	v_mov_b32_e32 v2, 0
	buffer_store_dword v2, off, s[0:3], 0 offset:224
	buffer_store_dword v2, off, s[0:3], 0 offset:228
	;; [unrolled: 1-line block ×4, first 2 shown]
	s_waitcnt vmcnt(0)
	ds_write_b128 v1, v[39:42]
.LBB80_89:
	s_or_b32 exec_lo, exec_lo, s4
	s_waitcnt lgkmcnt(0)
	s_waitcnt_vscnt null, 0x0
	s_barrier
	buffer_gl0_inv
	s_clause 0xf
	buffer_load_dword v3, off, s[0:3], 0 offset:248
	buffer_load_dword v4, off, s[0:3], 0 offset:252
	;; [unrolled: 1-line block ×16, first 2 shown]
	v_mov_b32_e32 v2, 0
	ds_read_b128 v[39:42], v2 offset:496
	ds_read_b128 v[43:46], v2 offset:512
	;; [unrolled: 1-line block ×3, first 2 shown]
	s_mov_b32 s4, exec_lo
	s_waitcnt vmcnt(14) lgkmcnt(2)
	v_mul_f64 v[65:66], v[41:42], v[3:4]
	v_mul_f64 v[3:4], v[39:40], v[3:4]
	s_waitcnt vmcnt(12) lgkmcnt(1)
	v_mul_f64 v[67:68], v[45:46], v[51:52]
	v_mul_f64 v[51:52], v[43:44], v[51:52]
	s_waitcnt vmcnt(10)
	v_fma_f64 v[39:40], v[39:40], v[53:54], -v[65:66]
	v_fma_f64 v[3:4], v[41:42], v[53:54], v[3:4]
	s_waitcnt vmcnt(8) lgkmcnt(0)
	v_mul_f64 v[53:54], v[49:50], v[55:56]
	s_waitcnt vmcnt(6)
	v_fma_f64 v[43:44], v[43:44], v[57:58], -v[67:68]
	v_mul_f64 v[41:42], v[47:48], v[55:56]
	v_fma_f64 v[45:46], v[45:46], v[57:58], v[51:52]
	v_add_f64 v[39:40], v[39:40], 0
	v_add_f64 v[3:4], v[3:4], 0
	s_waitcnt vmcnt(4)
	v_fma_f64 v[47:48], v[47:48], v[59:60], -v[53:54]
	v_fma_f64 v[41:42], v[49:50], v[59:60], v[41:42]
	v_add_f64 v[39:40], v[39:40], v[43:44]
	v_add_f64 v[3:4], v[3:4], v[45:46]
	;; [unrolled: 1-line block ×4, first 2 shown]
	s_waitcnt vmcnt(2)
	v_add_f64 v[39:40], v[61:62], -v[39:40]
	s_waitcnt vmcnt(0)
	v_add_f64 v[3:4], v[63:64], -v[3:4]
	buffer_store_dword v39, off, s[0:3], 0 offset:224
	buffer_store_dword v40, off, s[0:3], 0 offset:228
	;; [unrolled: 1-line block ×4, first 2 shown]
	v_cmpx_lt_u32_e32 12, v0
	s_cbranch_execz .LBB80_91
; %bb.90:
	v_mov_b32_e32 v3, s16
	s_clause 0x3
	buffer_load_dword v39, v3, s[0:3], 0 offen
	buffer_load_dword v40, v3, s[0:3], 0 offen offset:4
	buffer_load_dword v41, v3, s[0:3], 0 offen offset:8
	;; [unrolled: 1-line block ×3, first 2 shown]
	buffer_store_dword v2, off, s[0:3], 0 offset:208
	buffer_store_dword v2, off, s[0:3], 0 offset:212
	;; [unrolled: 1-line block ×4, first 2 shown]
	s_waitcnt vmcnt(0)
	ds_write_b128 v1, v[39:42]
.LBB80_91:
	s_or_b32 exec_lo, exec_lo, s4
	s_waitcnt lgkmcnt(0)
	s_waitcnt_vscnt null, 0x0
	s_barrier
	buffer_gl0_inv
	s_clause 0x13
	buffer_load_dword v3, off, s[0:3], 0 offset:232
	buffer_load_dword v4, off, s[0:3], 0 offset:236
	buffer_load_dword v51, off, s[0:3], 0 offset:248
	buffer_load_dword v52, off, s[0:3], 0 offset:252
	buffer_load_dword v53, off, s[0:3], 0 offset:224
	buffer_load_dword v54, off, s[0:3], 0 offset:228
	buffer_load_dword v55, off, s[0:3], 0 offset:264
	buffer_load_dword v56, off, s[0:3], 0 offset:268
	buffer_load_dword v57, off, s[0:3], 0 offset:240
	buffer_load_dword v58, off, s[0:3], 0 offset:244
	buffer_load_dword v60, off, s[0:3], 0 offset:284
	buffer_load_dword v59, off, s[0:3], 0 offset:280
	buffer_load_dword v61, off, s[0:3], 0 offset:256
	buffer_load_dword v62, off, s[0:3], 0 offset:260
	buffer_load_dword v64, off, s[0:3], 0 offset:276
	buffer_load_dword v63, off, s[0:3], 0 offset:272
	buffer_load_dword v65, off, s[0:3], 0 offset:208
	buffer_load_dword v66, off, s[0:3], 0 offset:212
	buffer_load_dword v67, off, s[0:3], 0 offset:216
	buffer_load_dword v68, off, s[0:3], 0 offset:220
	ds_read_b128 v[39:42], v2 offset:480
	ds_read_b128 v[43:46], v2 offset:496
	ds_read_b128 v[47:50], v2 offset:512
	s_mov_b32 s4, exec_lo
	s_waitcnt vmcnt(18) lgkmcnt(2)
	v_mul_f64 v[69:70], v[41:42], v[3:4]
	v_mul_f64 v[3:4], v[39:40], v[3:4]
	s_waitcnt vmcnt(16) lgkmcnt(1)
	v_mul_f64 v[71:72], v[45:46], v[51:52]
	v_mul_f64 v[51:52], v[43:44], v[51:52]
	s_waitcnt vmcnt(14)
	v_fma_f64 v[69:70], v[39:40], v[53:54], -v[69:70]
	v_fma_f64 v[3:4], v[41:42], v[53:54], v[3:4]
	ds_read_b128 v[39:42], v2 offset:528
	s_waitcnt vmcnt(12) lgkmcnt(1)
	v_mul_f64 v[53:54], v[47:48], v[55:56]
	v_mul_f64 v[55:56], v[49:50], v[55:56]
	s_waitcnt vmcnt(10)
	v_fma_f64 v[43:44], v[43:44], v[57:58], -v[71:72]
	v_fma_f64 v[45:46], v[45:46], v[57:58], v[51:52]
	s_waitcnt vmcnt(8) lgkmcnt(0)
	v_mul_f64 v[57:58], v[41:42], v[59:60]
	v_add_f64 v[69:70], v[69:70], 0
	v_add_f64 v[2:3], v[3:4], 0
	v_mul_f64 v[51:52], v[39:40], v[59:60]
	s_waitcnt vmcnt(6)
	v_fma_f64 v[47:48], v[47:48], v[61:62], -v[55:56]
	v_fma_f64 v[49:50], v[49:50], v[61:62], v[53:54]
	s_waitcnt vmcnt(4)
	v_fma_f64 v[39:40], v[39:40], v[63:64], -v[57:58]
	v_add_f64 v[43:44], v[69:70], v[43:44]
	v_add_f64 v[2:3], v[2:3], v[45:46]
	v_fma_f64 v[41:42], v[41:42], v[63:64], v[51:52]
	v_add_f64 v[43:44], v[43:44], v[47:48]
	v_add_f64 v[2:3], v[2:3], v[49:50]
	;; [unrolled: 1-line block ×4, first 2 shown]
	s_waitcnt vmcnt(2)
	v_add_f64 v[39:40], v[65:66], -v[39:40]
	s_waitcnt vmcnt(0)
	v_add_f64 v[2:3], v[67:68], -v[2:3]
	buffer_store_dword v39, off, s[0:3], 0 offset:208
	buffer_store_dword v40, off, s[0:3], 0 offset:212
	;; [unrolled: 1-line block ×4, first 2 shown]
	v_cmpx_lt_u32_e32 11, v0
	s_cbranch_execz .LBB80_93
; %bb.92:
	v_mov_b32_e32 v2, s17
	s_clause 0x3
	buffer_load_dword v39, v2, s[0:3], 0 offen
	buffer_load_dword v40, v2, s[0:3], 0 offen offset:4
	buffer_load_dword v41, v2, s[0:3], 0 offen offset:8
	;; [unrolled: 1-line block ×3, first 2 shown]
	v_mov_b32_e32 v2, 0
	buffer_store_dword v2, off, s[0:3], 0 offset:192
	buffer_store_dword v2, off, s[0:3], 0 offset:196
	;; [unrolled: 1-line block ×4, first 2 shown]
	s_waitcnt vmcnt(0)
	ds_write_b128 v1, v[39:42]
.LBB80_93:
	s_or_b32 exec_lo, exec_lo, s4
	s_waitcnt lgkmcnt(0)
	s_waitcnt_vscnt null, 0x0
	s_barrier
	buffer_gl0_inv
	s_clause 0x17
	buffer_load_dword v3, off, s[0:3], 0 offset:216
	buffer_load_dword v4, off, s[0:3], 0 offset:220
	;; [unrolled: 1-line block ×24, first 2 shown]
	v_mov_b32_e32 v2, 0
	ds_read_b128 v[39:42], v2 offset:464
	ds_read_b128 v[43:46], v2 offset:480
	;; [unrolled: 1-line block ×3, first 2 shown]
	s_mov_b32 s4, exec_lo
	s_waitcnt vmcnt(22) lgkmcnt(2)
	v_mul_f64 v[73:74], v[41:42], v[3:4]
	v_mul_f64 v[3:4], v[39:40], v[3:4]
	s_waitcnt vmcnt(20) lgkmcnt(1)
	v_mul_f64 v[75:76], v[45:46], v[51:52]
	v_mul_f64 v[51:52], v[43:44], v[51:52]
	s_waitcnt vmcnt(18)
	v_fma_f64 v[73:74], v[39:40], v[53:54], -v[73:74]
	v_fma_f64 v[3:4], v[41:42], v[53:54], v[3:4]
	ds_read_b128 v[39:42], v2 offset:512
	s_waitcnt vmcnt(16) lgkmcnt(1)
	v_mul_f64 v[53:54], v[47:48], v[55:56]
	v_mul_f64 v[55:56], v[49:50], v[55:56]
	s_waitcnt vmcnt(14)
	v_fma_f64 v[75:76], v[43:44], v[57:58], -v[75:76]
	v_fma_f64 v[51:52], v[45:46], v[57:58], v[51:52]
	ds_read_b128 v[43:46], v2 offset:528
	s_waitcnt vmcnt(10) lgkmcnt(1)
	v_mul_f64 v[57:58], v[39:40], v[59:60]
	v_add_f64 v[73:74], v[73:74], 0
	v_add_f64 v[3:4], v[3:4], 0
	v_mul_f64 v[59:60], v[41:42], v[59:60]
	s_waitcnt vmcnt(8)
	v_fma_f64 v[47:48], v[47:48], v[65:66], -v[55:56]
	v_fma_f64 v[49:50], v[49:50], v[65:66], v[53:54]
	s_waitcnt vmcnt(7) lgkmcnt(0)
	v_mul_f64 v[53:54], v[45:46], v[61:62]
	s_waitcnt vmcnt(5)
	v_fma_f64 v[41:42], v[41:42], v[67:68], v[57:58]
	v_add_f64 v[55:56], v[73:74], v[75:76]
	v_add_f64 v[3:4], v[3:4], v[51:52]
	v_fma_f64 v[39:40], v[39:40], v[67:68], -v[59:60]
	v_mul_f64 v[51:52], v[43:44], v[61:62]
	s_waitcnt vmcnt(4)
	v_fma_f64 v[43:44], v[43:44], v[63:64], -v[53:54]
	v_add_f64 v[47:48], v[55:56], v[47:48]
	v_add_f64 v[3:4], v[3:4], v[49:50]
	v_fma_f64 v[45:46], v[45:46], v[63:64], v[51:52]
	v_add_f64 v[39:40], v[47:48], v[39:40]
	v_add_f64 v[3:4], v[3:4], v[41:42]
	;; [unrolled: 1-line block ×4, first 2 shown]
	s_waitcnt vmcnt(2)
	v_add_f64 v[39:40], v[69:70], -v[39:40]
	s_waitcnt vmcnt(0)
	v_add_f64 v[3:4], v[71:72], -v[3:4]
	buffer_store_dword v40, off, s[0:3], 0 offset:196
	buffer_store_dword v39, off, s[0:3], 0 offset:192
	;; [unrolled: 1-line block ×4, first 2 shown]
	v_cmpx_lt_u32_e32 10, v0
	s_cbranch_execz .LBB80_95
; %bb.94:
	v_mov_b32_e32 v3, s18
	s_clause 0x3
	buffer_load_dword v39, v3, s[0:3], 0 offen
	buffer_load_dword v40, v3, s[0:3], 0 offen offset:4
	buffer_load_dword v41, v3, s[0:3], 0 offen offset:8
	;; [unrolled: 1-line block ×3, first 2 shown]
	buffer_store_dword v2, off, s[0:3], 0 offset:176
	buffer_store_dword v2, off, s[0:3], 0 offset:180
	;; [unrolled: 1-line block ×4, first 2 shown]
	s_waitcnt vmcnt(0)
	ds_write_b128 v1, v[39:42]
.LBB80_95:
	s_or_b32 exec_lo, exec_lo, s4
	s_waitcnt lgkmcnt(0)
	s_waitcnt_vscnt null, 0x0
	s_barrier
	buffer_gl0_inv
	s_clause 0x1b
	buffer_load_dword v3, off, s[0:3], 0 offset:200
	buffer_load_dword v4, off, s[0:3], 0 offset:204
	;; [unrolled: 1-line block ×28, first 2 shown]
	ds_read_b128 v[39:42], v2 offset:448
	ds_read_b128 v[43:46], v2 offset:464
	;; [unrolled: 1-line block ×3, first 2 shown]
	s_mov_b32 s4, exec_lo
	s_waitcnt vmcnt(26) lgkmcnt(2)
	v_mul_f64 v[77:78], v[41:42], v[3:4]
	v_mul_f64 v[3:4], v[39:40], v[3:4]
	s_waitcnt vmcnt(24) lgkmcnt(1)
	v_mul_f64 v[79:80], v[45:46], v[51:52]
	v_mul_f64 v[51:52], v[43:44], v[51:52]
	s_waitcnt vmcnt(22)
	v_fma_f64 v[77:78], v[39:40], v[53:54], -v[77:78]
	v_fma_f64 v[3:4], v[41:42], v[53:54], v[3:4]
	ds_read_b128 v[39:42], v2 offset:496
	s_waitcnt vmcnt(20) lgkmcnt(1)
	v_mul_f64 v[53:54], v[47:48], v[55:56]
	v_mul_f64 v[55:56], v[49:50], v[55:56]
	s_waitcnt vmcnt(18)
	v_fma_f64 v[79:80], v[43:44], v[57:58], -v[79:80]
	v_fma_f64 v[51:52], v[45:46], v[57:58], v[51:52]
	ds_read_b128 v[43:46], v2 offset:512
	s_waitcnt vmcnt(14) lgkmcnt(1)
	v_mul_f64 v[57:58], v[39:40], v[59:60]
	v_add_f64 v[77:78], v[77:78], 0
	v_add_f64 v[3:4], v[3:4], 0
	v_mul_f64 v[59:60], v[41:42], v[59:60]
	s_waitcnt vmcnt(12)
	v_fma_f64 v[55:56], v[47:48], v[65:66], -v[55:56]
	v_fma_f64 v[53:54], v[49:50], v[65:66], v[53:54]
	ds_read_b128 v[47:50], v2 offset:528
	s_waitcnt vmcnt(9)
	v_fma_f64 v[41:42], v[41:42], v[67:68], v[57:58]
	v_add_f64 v[77:78], v[77:78], v[79:80]
	v_add_f64 v[3:4], v[3:4], v[51:52]
	s_waitcnt lgkmcnt(1)
	v_mul_f64 v[51:52], v[43:44], v[61:62]
	v_mul_f64 v[61:62], v[45:46], v[61:62]
	v_fma_f64 v[39:40], v[39:40], v[67:68], -v[59:60]
	s_waitcnt vmcnt(7) lgkmcnt(0)
	v_mul_f64 v[57:58], v[49:50], v[69:70]
	v_add_f64 v[55:56], v[77:78], v[55:56]
	v_add_f64 v[2:3], v[3:4], v[53:54]
	v_mul_f64 v[53:54], v[47:48], v[69:70]
	s_waitcnt vmcnt(6)
	v_fma_f64 v[43:44], v[43:44], v[63:64], -v[61:62]
	v_fma_f64 v[45:46], v[45:46], v[63:64], v[51:52]
	v_add_f64 v[39:40], v[55:56], v[39:40]
	v_add_f64 v[2:3], v[2:3], v[41:42]
	s_waitcnt vmcnt(4)
	v_fma_f64 v[41:42], v[47:48], v[71:72], -v[57:58]
	v_add_f64 v[39:40], v[39:40], v[43:44]
	v_fma_f64 v[43:44], v[49:50], v[71:72], v[53:54]
	v_add_f64 v[2:3], v[2:3], v[45:46]
	v_add_f64 v[39:40], v[39:40], v[41:42]
	;; [unrolled: 1-line block ×3, first 2 shown]
	s_waitcnt vmcnt(2)
	v_add_f64 v[39:40], v[73:74], -v[39:40]
	s_waitcnt vmcnt(0)
	v_add_f64 v[2:3], v[75:76], -v[2:3]
	buffer_store_dword v40, off, s[0:3], 0 offset:180
	buffer_store_dword v39, off, s[0:3], 0 offset:176
	;; [unrolled: 1-line block ×4, first 2 shown]
	v_cmpx_lt_u32_e32 9, v0
	s_cbranch_execz .LBB80_97
; %bb.96:
	v_mov_b32_e32 v2, s19
	s_clause 0x3
	buffer_load_dword v39, v2, s[0:3], 0 offen
	buffer_load_dword v40, v2, s[0:3], 0 offen offset:4
	buffer_load_dword v41, v2, s[0:3], 0 offen offset:8
	;; [unrolled: 1-line block ×3, first 2 shown]
	v_mov_b32_e32 v2, 0
	buffer_store_dword v2, off, s[0:3], 0 offset:160
	buffer_store_dword v2, off, s[0:3], 0 offset:164
	buffer_store_dword v2, off, s[0:3], 0 offset:168
	buffer_store_dword v2, off, s[0:3], 0 offset:172
	s_waitcnt vmcnt(0)
	ds_write_b128 v1, v[39:42]
.LBB80_97:
	s_or_b32 exec_lo, exec_lo, s4
	s_waitcnt lgkmcnt(0)
	s_waitcnt_vscnt null, 0x0
	s_barrier
	buffer_gl0_inv
	s_clause 0x1f
	buffer_load_dword v3, off, s[0:3], 0 offset:184
	buffer_load_dword v4, off, s[0:3], 0 offset:188
	;; [unrolled: 1-line block ×32, first 2 shown]
	v_mov_b32_e32 v2, 0
	ds_read_b128 v[39:42], v2 offset:432
	ds_read_b128 v[43:46], v2 offset:448
	ds_read_b128 v[47:50], v2 offset:464
	s_mov_b32 s4, exec_lo
	s_waitcnt vmcnt(30) lgkmcnt(2)
	v_mul_f64 v[81:82], v[41:42], v[3:4]
	v_mul_f64 v[3:4], v[39:40], v[3:4]
	s_waitcnt vmcnt(28) lgkmcnt(1)
	v_mul_f64 v[83:84], v[45:46], v[51:52]
	v_mul_f64 v[51:52], v[43:44], v[51:52]
	s_waitcnt vmcnt(26)
	v_fma_f64 v[81:82], v[39:40], v[53:54], -v[81:82]
	v_fma_f64 v[3:4], v[41:42], v[53:54], v[3:4]
	ds_read_b128 v[39:42], v2 offset:480
	s_waitcnt vmcnt(24) lgkmcnt(1)
	v_mul_f64 v[53:54], v[47:48], v[55:56]
	v_mul_f64 v[55:56], v[49:50], v[55:56]
	s_waitcnt vmcnt(22)
	v_fma_f64 v[83:84], v[43:44], v[57:58], -v[83:84]
	v_fma_f64 v[51:52], v[45:46], v[57:58], v[51:52]
	ds_read_b128 v[43:46], v2 offset:496
	s_waitcnt vmcnt(18) lgkmcnt(1)
	v_mul_f64 v[57:58], v[39:40], v[59:60]
	v_add_f64 v[81:82], v[81:82], 0
	v_add_f64 v[3:4], v[3:4], 0
	v_mul_f64 v[59:60], v[41:42], v[59:60]
	s_waitcnt vmcnt(16)
	v_fma_f64 v[55:56], v[47:48], v[65:66], -v[55:56]
	v_fma_f64 v[53:54], v[49:50], v[65:66], v[53:54]
	ds_read_b128 v[47:50], v2 offset:512
	s_waitcnt vmcnt(13)
	v_fma_f64 v[57:58], v[41:42], v[67:68], v[57:58]
	v_add_f64 v[81:82], v[81:82], v[83:84]
	v_add_f64 v[3:4], v[3:4], v[51:52]
	s_waitcnt lgkmcnt(1)
	v_mul_f64 v[51:52], v[43:44], v[61:62]
	v_mul_f64 v[61:62], v[45:46], v[61:62]
	v_fma_f64 v[59:60], v[39:40], v[67:68], -v[59:60]
	s_waitcnt vmcnt(9) lgkmcnt(0)
	v_mul_f64 v[65:66], v[49:50], v[69:70]
	ds_read_b128 v[39:42], v2 offset:528
	v_add_f64 v[55:56], v[81:82], v[55:56]
	v_add_f64 v[3:4], v[3:4], v[53:54]
	v_mul_f64 v[53:54], v[47:48], v[69:70]
	s_waitcnt vmcnt(8)
	v_fma_f64 v[43:44], v[43:44], v[63:64], -v[61:62]
	v_fma_f64 v[45:46], v[45:46], v[63:64], v[51:52]
	s_waitcnt vmcnt(5)
	v_fma_f64 v[47:48], v[47:48], v[75:76], -v[65:66]
	s_waitcnt lgkmcnt(0)
	v_mul_f64 v[51:52], v[39:40], v[71:72]
	v_add_f64 v[55:56], v[55:56], v[59:60]
	v_add_f64 v[3:4], v[3:4], v[57:58]
	v_mul_f64 v[57:58], v[41:42], v[71:72]
	v_fma_f64 v[49:50], v[49:50], v[75:76], v[53:54]
	s_waitcnt vmcnt(4)
	v_fma_f64 v[41:42], v[41:42], v[73:74], v[51:52]
	v_add_f64 v[43:44], v[55:56], v[43:44]
	v_add_f64 v[3:4], v[3:4], v[45:46]
	v_fma_f64 v[39:40], v[39:40], v[73:74], -v[57:58]
	v_add_f64 v[43:44], v[43:44], v[47:48]
	v_add_f64 v[3:4], v[3:4], v[49:50]
	;; [unrolled: 1-line block ×4, first 2 shown]
	s_waitcnt vmcnt(2)
	v_add_f64 v[39:40], v[77:78], -v[39:40]
	s_waitcnt vmcnt(0)
	v_add_f64 v[3:4], v[79:80], -v[3:4]
	buffer_store_dword v40, off, s[0:3], 0 offset:164
	buffer_store_dword v39, off, s[0:3], 0 offset:160
	;; [unrolled: 1-line block ×4, first 2 shown]
	v_cmpx_lt_u32_e32 8, v0
	s_cbranch_execz .LBB80_99
; %bb.98:
	v_mov_b32_e32 v3, s20
	s_clause 0x3
	buffer_load_dword v39, v3, s[0:3], 0 offen
	buffer_load_dword v40, v3, s[0:3], 0 offen offset:4
	buffer_load_dword v41, v3, s[0:3], 0 offen offset:8
	;; [unrolled: 1-line block ×3, first 2 shown]
	buffer_store_dword v2, off, s[0:3], 0 offset:144
	buffer_store_dword v2, off, s[0:3], 0 offset:148
	;; [unrolled: 1-line block ×4, first 2 shown]
	s_waitcnt vmcnt(0)
	ds_write_b128 v1, v[39:42]
.LBB80_99:
	s_or_b32 exec_lo, exec_lo, s4
	s_waitcnt lgkmcnt(0)
	s_waitcnt_vscnt null, 0x0
	s_barrier
	buffer_gl0_inv
	s_clause 0x23
	buffer_load_dword v3, off, s[0:3], 0 offset:168
	buffer_load_dword v4, off, s[0:3], 0 offset:172
	buffer_load_dword v51, off, s[0:3], 0 offset:184
	buffer_load_dword v52, off, s[0:3], 0 offset:188
	buffer_load_dword v53, off, s[0:3], 0 offset:160
	buffer_load_dword v54, off, s[0:3], 0 offset:164
	buffer_load_dword v55, off, s[0:3], 0 offset:200
	buffer_load_dword v56, off, s[0:3], 0 offset:204
	buffer_load_dword v57, off, s[0:3], 0 offset:176
	buffer_load_dword v58, off, s[0:3], 0 offset:180
	buffer_load_dword v60, off, s[0:3], 0 offset:220
	buffer_load_dword v61, off, s[0:3], 0 offset:232
	buffer_load_dword v63, off, s[0:3], 0 offset:224
	buffer_load_dword v59, off, s[0:3], 0 offset:216
	buffer_load_dword v65, off, s[0:3], 0 offset:192
	buffer_load_dword v66, off, s[0:3], 0 offset:196
	buffer_load_dword v62, off, s[0:3], 0 offset:236
	buffer_load_dword v68, off, s[0:3], 0 offset:212
	buffer_load_dword v67, off, s[0:3], 0 offset:208
	buffer_load_dword v70, off, s[0:3], 0 offset:252
	buffer_load_dword v71, off, s[0:3], 0 offset:264
	buffer_load_dword v73, off, s[0:3], 0 offset:256
	buffer_load_dword v69, off, s[0:3], 0 offset:248
	buffer_load_dword v64, off, s[0:3], 0 offset:228
	buffer_load_dword v72, off, s[0:3], 0 offset:268
	buffer_load_dword v76, off, s[0:3], 0 offset:244
	buffer_load_dword v75, off, s[0:3], 0 offset:240
	buffer_load_dword v78, off, s[0:3], 0 offset:284
	buffer_load_dword v77, off, s[0:3], 0 offset:280
	buffer_load_dword v74, off, s[0:3], 0 offset:260
	buffer_load_dword v80, off, s[0:3], 0 offset:276
	buffer_load_dword v79, off, s[0:3], 0 offset:272
	buffer_load_dword v81, off, s[0:3], 0 offset:144
	buffer_load_dword v82, off, s[0:3], 0 offset:148
	buffer_load_dword v83, off, s[0:3], 0 offset:152
	buffer_load_dword v84, off, s[0:3], 0 offset:156
	ds_read_b128 v[39:42], v2 offset:416
	ds_read_b128 v[43:46], v2 offset:432
	;; [unrolled: 1-line block ×3, first 2 shown]
	s_mov_b32 s4, exec_lo
	s_waitcnt vmcnt(34) lgkmcnt(2)
	v_mul_f64 v[85:86], v[41:42], v[3:4]
	v_mul_f64 v[3:4], v[39:40], v[3:4]
	s_waitcnt vmcnt(32) lgkmcnt(1)
	v_mul_f64 v[87:88], v[45:46], v[51:52]
	v_mul_f64 v[51:52], v[43:44], v[51:52]
	s_waitcnt vmcnt(30)
	v_fma_f64 v[85:86], v[39:40], v[53:54], -v[85:86]
	v_fma_f64 v[3:4], v[41:42], v[53:54], v[3:4]
	ds_read_b128 v[39:42], v2 offset:464
	s_waitcnt vmcnt(28) lgkmcnt(1)
	v_mul_f64 v[53:54], v[47:48], v[55:56]
	v_mul_f64 v[55:56], v[49:50], v[55:56]
	s_waitcnt vmcnt(26)
	v_fma_f64 v[87:88], v[43:44], v[57:58], -v[87:88]
	v_fma_f64 v[51:52], v[45:46], v[57:58], v[51:52]
	ds_read_b128 v[43:46], v2 offset:480
	s_waitcnt vmcnt(22) lgkmcnt(1)
	v_mul_f64 v[57:58], v[39:40], v[59:60]
	v_add_f64 v[85:86], v[85:86], 0
	v_add_f64 v[3:4], v[3:4], 0
	v_mul_f64 v[59:60], v[41:42], v[59:60]
	s_waitcnt vmcnt(20)
	v_fma_f64 v[55:56], v[47:48], v[65:66], -v[55:56]
	v_fma_f64 v[53:54], v[49:50], v[65:66], v[53:54]
	ds_read_b128 v[47:50], v2 offset:496
	s_waitcnt vmcnt(17)
	v_fma_f64 v[57:58], v[41:42], v[67:68], v[57:58]
	v_add_f64 v[85:86], v[85:86], v[87:88]
	v_add_f64 v[3:4], v[3:4], v[51:52]
	s_waitcnt lgkmcnt(1)
	v_mul_f64 v[51:52], v[43:44], v[61:62]
	v_mul_f64 v[61:62], v[45:46], v[61:62]
	v_fma_f64 v[59:60], v[39:40], v[67:68], -v[59:60]
	s_waitcnt vmcnt(13) lgkmcnt(0)
	v_mul_f64 v[65:66], v[49:50], v[69:70]
	ds_read_b128 v[39:42], v2 offset:512
	v_add_f64 v[55:56], v[85:86], v[55:56]
	v_add_f64 v[3:4], v[3:4], v[53:54]
	v_mul_f64 v[53:54], v[47:48], v[69:70]
	s_waitcnt vmcnt(12)
	v_fma_f64 v[61:62], v[43:44], v[63:64], -v[61:62]
	v_fma_f64 v[51:52], v[45:46], v[63:64], v[51:52]
	ds_read_b128 v[43:46], v2 offset:528
	s_waitcnt vmcnt(9)
	v_fma_f64 v[47:48], v[47:48], v[75:76], -v[65:66]
	v_add_f64 v[55:56], v[55:56], v[59:60]
	v_add_f64 v[3:4], v[3:4], v[57:58]
	s_waitcnt lgkmcnt(1)
	v_mul_f64 v[59:60], v[41:42], v[71:72]
	v_mul_f64 v[57:58], v[39:40], v[71:72]
	v_fma_f64 v[49:50], v[49:50], v[75:76], v[53:54]
	s_waitcnt vmcnt(7) lgkmcnt(0)
	v_mul_f64 v[53:54], v[45:46], v[77:78]
	v_add_f64 v[55:56], v[55:56], v[61:62]
	v_add_f64 v[2:3], v[3:4], v[51:52]
	s_waitcnt vmcnt(6)
	v_fma_f64 v[39:40], v[39:40], v[73:74], -v[59:60]
	v_mul_f64 v[51:52], v[43:44], v[77:78]
	v_fma_f64 v[41:42], v[41:42], v[73:74], v[57:58]
	s_waitcnt vmcnt(4)
	v_fma_f64 v[43:44], v[43:44], v[79:80], -v[53:54]
	v_add_f64 v[47:48], v[55:56], v[47:48]
	v_add_f64 v[2:3], v[2:3], v[49:50]
	v_fma_f64 v[45:46], v[45:46], v[79:80], v[51:52]
	v_add_f64 v[39:40], v[47:48], v[39:40]
	v_add_f64 v[2:3], v[2:3], v[41:42]
	;; [unrolled: 1-line block ×4, first 2 shown]
	s_waitcnt vmcnt(2)
	v_add_f64 v[39:40], v[81:82], -v[39:40]
	s_waitcnt vmcnt(0)
	v_add_f64 v[2:3], v[83:84], -v[2:3]
	buffer_store_dword v40, off, s[0:3], 0 offset:148
	buffer_store_dword v39, off, s[0:3], 0 offset:144
	buffer_store_dword v3, off, s[0:3], 0 offset:156
	buffer_store_dword v2, off, s[0:3], 0 offset:152
	v_cmpx_lt_u32_e32 7, v0
	s_cbranch_execz .LBB80_101
; %bb.100:
	v_mov_b32_e32 v2, s21
	s_clause 0x3
	buffer_load_dword v39, v2, s[0:3], 0 offen
	buffer_load_dword v40, v2, s[0:3], 0 offen offset:4
	buffer_load_dword v41, v2, s[0:3], 0 offen offset:8
	;; [unrolled: 1-line block ×3, first 2 shown]
	v_mov_b32_e32 v2, 0
	buffer_store_dword v2, off, s[0:3], 0 offset:128
	buffer_store_dword v2, off, s[0:3], 0 offset:132
	;; [unrolled: 1-line block ×4, first 2 shown]
	s_waitcnt vmcnt(0)
	ds_write_b128 v1, v[39:42]
.LBB80_101:
	s_or_b32 exec_lo, exec_lo, s4
	s_waitcnt lgkmcnt(0)
	s_waitcnt_vscnt null, 0x0
	s_barrier
	buffer_gl0_inv
	s_clause 0x27
	buffer_load_dword v3, off, s[0:3], 0 offset:152
	buffer_load_dword v4, off, s[0:3], 0 offset:156
	;; [unrolled: 1-line block ×40, first 2 shown]
	v_mov_b32_e32 v2, 0
	ds_read_b128 v[39:42], v2 offset:400
	ds_read_b128 v[43:46], v2 offset:416
	;; [unrolled: 1-line block ×3, first 2 shown]
	s_mov_b32 s4, exec_lo
	s_waitcnt vmcnt(38) lgkmcnt(2)
	v_mul_f64 v[89:90], v[41:42], v[3:4]
	v_mul_f64 v[3:4], v[39:40], v[3:4]
	s_waitcnt vmcnt(36) lgkmcnt(1)
	v_mul_f64 v[91:92], v[45:46], v[51:52]
	v_mul_f64 v[51:52], v[43:44], v[51:52]
	s_waitcnt vmcnt(34)
	v_fma_f64 v[89:90], v[39:40], v[53:54], -v[89:90]
	v_fma_f64 v[3:4], v[41:42], v[53:54], v[3:4]
	ds_read_b128 v[39:42], v2 offset:448
	s_waitcnt vmcnt(32) lgkmcnt(1)
	v_mul_f64 v[53:54], v[47:48], v[55:56]
	v_mul_f64 v[55:56], v[49:50], v[55:56]
	s_waitcnt vmcnt(30)
	v_fma_f64 v[91:92], v[43:44], v[57:58], -v[91:92]
	v_fma_f64 v[51:52], v[45:46], v[57:58], v[51:52]
	ds_read_b128 v[43:46], v2 offset:464
	s_waitcnt vmcnt(26) lgkmcnt(1)
	v_mul_f64 v[57:58], v[39:40], v[59:60]
	v_add_f64 v[89:90], v[89:90], 0
	v_add_f64 v[3:4], v[3:4], 0
	v_mul_f64 v[59:60], v[41:42], v[59:60]
	s_waitcnt vmcnt(24)
	v_fma_f64 v[55:56], v[47:48], v[65:66], -v[55:56]
	v_fma_f64 v[53:54], v[49:50], v[65:66], v[53:54]
	ds_read_b128 v[47:50], v2 offset:480
	s_waitcnt vmcnt(21)
	v_fma_f64 v[57:58], v[41:42], v[67:68], v[57:58]
	v_add_f64 v[89:90], v[89:90], v[91:92]
	v_add_f64 v[3:4], v[3:4], v[51:52]
	s_waitcnt lgkmcnt(1)
	v_mul_f64 v[51:52], v[43:44], v[61:62]
	v_mul_f64 v[61:62], v[45:46], v[61:62]
	v_fma_f64 v[59:60], v[39:40], v[67:68], -v[59:60]
	s_waitcnt vmcnt(17) lgkmcnt(0)
	v_mul_f64 v[65:66], v[49:50], v[69:70]
	ds_read_b128 v[39:42], v2 offset:496
	v_add_f64 v[55:56], v[89:90], v[55:56]
	v_add_f64 v[3:4], v[3:4], v[53:54]
	v_mul_f64 v[53:54], v[47:48], v[69:70]
	s_waitcnt vmcnt(16)
	v_fma_f64 v[61:62], v[43:44], v[63:64], -v[61:62]
	v_fma_f64 v[51:52], v[45:46], v[63:64], v[51:52]
	ds_read_b128 v[43:46], v2 offset:512
	s_waitcnt vmcnt(13)
	v_fma_f64 v[63:64], v[47:48], v[75:76], -v[65:66]
	v_add_f64 v[55:56], v[55:56], v[59:60]
	v_add_f64 v[3:4], v[3:4], v[57:58]
	s_waitcnt lgkmcnt(1)
	v_mul_f64 v[59:60], v[41:42], v[71:72]
	v_mul_f64 v[57:58], v[39:40], v[71:72]
	v_fma_f64 v[53:54], v[49:50], v[75:76], v[53:54]
	ds_read_b128 v[47:50], v2 offset:528
	v_add_f64 v[55:56], v[55:56], v[61:62]
	v_add_f64 v[3:4], v[3:4], v[51:52]
	s_waitcnt vmcnt(9) lgkmcnt(1)
	v_mul_f64 v[61:62], v[45:46], v[77:78]
	s_waitcnt vmcnt(8)
	v_fma_f64 v[39:40], v[39:40], v[73:74], -v[59:60]
	v_mul_f64 v[51:52], v[43:44], v[77:78]
	v_fma_f64 v[41:42], v[41:42], v[73:74], v[57:58]
	s_waitcnt vmcnt(7) lgkmcnt(0)
	v_mul_f64 v[57:58], v[49:50], v[79:80]
	v_add_f64 v[55:56], v[55:56], v[63:64]
	v_add_f64 v[3:4], v[3:4], v[53:54]
	s_waitcnt vmcnt(5)
	v_fma_f64 v[43:44], v[43:44], v[83:84], -v[61:62]
	v_mul_f64 v[53:54], v[47:48], v[79:80]
	v_fma_f64 v[45:46], v[45:46], v[83:84], v[51:52]
	v_add_f64 v[39:40], v[55:56], v[39:40]
	v_add_f64 v[3:4], v[3:4], v[41:42]
	s_waitcnt vmcnt(4)
	v_fma_f64 v[41:42], v[47:48], v[81:82], -v[57:58]
	v_add_f64 v[39:40], v[39:40], v[43:44]
	v_fma_f64 v[43:44], v[49:50], v[81:82], v[53:54]
	v_add_f64 v[3:4], v[3:4], v[45:46]
	v_add_f64 v[39:40], v[39:40], v[41:42]
	v_add_f64 v[3:4], v[3:4], v[43:44]
	s_waitcnt vmcnt(2)
	v_add_f64 v[39:40], v[85:86], -v[39:40]
	s_waitcnt vmcnt(0)
	v_add_f64 v[3:4], v[87:88], -v[3:4]
	buffer_store_dword v40, off, s[0:3], 0 offset:132
	buffer_store_dword v39, off, s[0:3], 0 offset:128
	;; [unrolled: 1-line block ×4, first 2 shown]
	v_cmpx_lt_u32_e32 6, v0
	s_cbranch_execz .LBB80_103
; %bb.102:
	v_mov_b32_e32 v3, s22
	s_clause 0x3
	buffer_load_dword v39, v3, s[0:3], 0 offen
	buffer_load_dword v40, v3, s[0:3], 0 offen offset:4
	buffer_load_dword v41, v3, s[0:3], 0 offen offset:8
	;; [unrolled: 1-line block ×3, first 2 shown]
	buffer_store_dword v2, off, s[0:3], 0 offset:112
	buffer_store_dword v2, off, s[0:3], 0 offset:116
	;; [unrolled: 1-line block ×4, first 2 shown]
	s_waitcnt vmcnt(0)
	ds_write_b128 v1, v[39:42]
.LBB80_103:
	s_or_b32 exec_lo, exec_lo, s4
	s_waitcnt lgkmcnt(0)
	s_waitcnt_vscnt null, 0x0
	s_barrier
	buffer_gl0_inv
	s_clause 0x2b
	buffer_load_dword v3, off, s[0:3], 0 offset:136
	buffer_load_dword v4, off, s[0:3], 0 offset:140
	;; [unrolled: 1-line block ×44, first 2 shown]
	ds_read_b128 v[39:42], v2 offset:384
	ds_read_b128 v[43:46], v2 offset:400
	;; [unrolled: 1-line block ×3, first 2 shown]
	s_mov_b32 s4, exec_lo
	s_waitcnt vmcnt(42) lgkmcnt(2)
	v_mul_f64 v[93:94], v[41:42], v[3:4]
	v_mul_f64 v[3:4], v[39:40], v[3:4]
	s_waitcnt vmcnt(40) lgkmcnt(1)
	v_mul_f64 v[95:96], v[45:46], v[51:52]
	v_mul_f64 v[51:52], v[43:44], v[51:52]
	s_waitcnt vmcnt(38)
	v_fma_f64 v[93:94], v[39:40], v[53:54], -v[93:94]
	v_fma_f64 v[3:4], v[41:42], v[53:54], v[3:4]
	ds_read_b128 v[39:42], v2 offset:432
	s_waitcnt vmcnt(36) lgkmcnt(1)
	v_mul_f64 v[53:54], v[47:48], v[55:56]
	v_mul_f64 v[55:56], v[49:50], v[55:56]
	s_waitcnt vmcnt(34)
	v_fma_f64 v[95:96], v[43:44], v[57:58], -v[95:96]
	v_fma_f64 v[51:52], v[45:46], v[57:58], v[51:52]
	ds_read_b128 v[43:46], v2 offset:448
	s_waitcnt vmcnt(30) lgkmcnt(1)
	v_mul_f64 v[57:58], v[39:40], v[59:60]
	v_add_f64 v[93:94], v[93:94], 0
	v_add_f64 v[3:4], v[3:4], 0
	v_mul_f64 v[59:60], v[41:42], v[59:60]
	s_waitcnt vmcnt(28)
	v_fma_f64 v[55:56], v[47:48], v[65:66], -v[55:56]
	v_fma_f64 v[53:54], v[49:50], v[65:66], v[53:54]
	ds_read_b128 v[47:50], v2 offset:464
	s_waitcnt vmcnt(25)
	v_fma_f64 v[57:58], v[41:42], v[67:68], v[57:58]
	v_add_f64 v[93:94], v[93:94], v[95:96]
	v_add_f64 v[3:4], v[3:4], v[51:52]
	s_waitcnt lgkmcnt(1)
	v_mul_f64 v[51:52], v[43:44], v[61:62]
	v_mul_f64 v[61:62], v[45:46], v[61:62]
	v_fma_f64 v[59:60], v[39:40], v[67:68], -v[59:60]
	s_waitcnt vmcnt(21) lgkmcnt(0)
	v_mul_f64 v[65:66], v[49:50], v[69:70]
	ds_read_b128 v[39:42], v2 offset:480
	v_add_f64 v[55:56], v[93:94], v[55:56]
	v_add_f64 v[3:4], v[3:4], v[53:54]
	v_mul_f64 v[53:54], v[47:48], v[69:70]
	s_waitcnt vmcnt(20)
	v_fma_f64 v[61:62], v[43:44], v[63:64], -v[61:62]
	v_fma_f64 v[51:52], v[45:46], v[63:64], v[51:52]
	ds_read_b128 v[43:46], v2 offset:496
	s_waitcnt vmcnt(17)
	v_fma_f64 v[63:64], v[47:48], v[75:76], -v[65:66]
	v_add_f64 v[55:56], v[55:56], v[59:60]
	v_add_f64 v[3:4], v[3:4], v[57:58]
	s_waitcnt lgkmcnt(1)
	v_mul_f64 v[59:60], v[41:42], v[71:72]
	v_mul_f64 v[57:58], v[39:40], v[71:72]
	v_fma_f64 v[53:54], v[49:50], v[75:76], v[53:54]
	ds_read_b128 v[47:50], v2 offset:512
	v_add_f64 v[55:56], v[55:56], v[61:62]
	v_add_f64 v[3:4], v[3:4], v[51:52]
	s_waitcnt vmcnt(13) lgkmcnt(1)
	v_mul_f64 v[61:62], v[45:46], v[77:78]
	s_waitcnt vmcnt(12)
	v_fma_f64 v[59:60], v[39:40], v[73:74], -v[59:60]
	v_mul_f64 v[51:52], v[43:44], v[77:78]
	v_fma_f64 v[57:58], v[41:42], v[73:74], v[57:58]
	ds_read_b128 v[39:42], v2 offset:528
	v_add_f64 v[55:56], v[55:56], v[63:64]
	v_add_f64 v[3:4], v[3:4], v[53:54]
	s_waitcnt vmcnt(11) lgkmcnt(1)
	v_mul_f64 v[63:64], v[49:50], v[79:80]
	s_waitcnt vmcnt(9)
	v_fma_f64 v[43:44], v[43:44], v[83:84], -v[61:62]
	v_mul_f64 v[53:54], v[47:48], v[79:80]
	v_fma_f64 v[45:46], v[45:46], v[83:84], v[51:52]
	s_waitcnt vmcnt(7) lgkmcnt(0)
	v_mul_f64 v[51:52], v[39:40], v[85:86]
	v_add_f64 v[55:56], v[55:56], v[59:60]
	v_add_f64 v[2:3], v[3:4], v[57:58]
	v_mul_f64 v[57:58], v[41:42], v[85:86]
	s_waitcnt vmcnt(6)
	v_fma_f64 v[47:48], v[47:48], v[81:82], -v[63:64]
	v_fma_f64 v[49:50], v[49:50], v[81:82], v[53:54]
	s_waitcnt vmcnt(4)
	v_fma_f64 v[41:42], v[41:42], v[87:88], v[51:52]
	v_add_f64 v[43:44], v[55:56], v[43:44]
	v_add_f64 v[2:3], v[2:3], v[45:46]
	v_fma_f64 v[39:40], v[39:40], v[87:88], -v[57:58]
	v_add_f64 v[43:44], v[43:44], v[47:48]
	v_add_f64 v[2:3], v[2:3], v[49:50]
	;; [unrolled: 1-line block ×4, first 2 shown]
	s_waitcnt vmcnt(2)
	v_add_f64 v[39:40], v[89:90], -v[39:40]
	s_waitcnt vmcnt(0)
	v_add_f64 v[2:3], v[91:92], -v[2:3]
	buffer_store_dword v40, off, s[0:3], 0 offset:116
	buffer_store_dword v39, off, s[0:3], 0 offset:112
	;; [unrolled: 1-line block ×4, first 2 shown]
	v_cmpx_lt_u32_e32 5, v0
	s_cbranch_execz .LBB80_105
; %bb.104:
	v_mov_b32_e32 v2, s23
	s_clause 0x3
	buffer_load_dword v39, v2, s[0:3], 0 offen
	buffer_load_dword v40, v2, s[0:3], 0 offen offset:4
	buffer_load_dword v41, v2, s[0:3], 0 offen offset:8
	;; [unrolled: 1-line block ×3, first 2 shown]
	v_mov_b32_e32 v2, 0
	buffer_store_dword v2, off, s[0:3], 0 offset:96
	buffer_store_dword v2, off, s[0:3], 0 offset:100
	;; [unrolled: 1-line block ×4, first 2 shown]
	s_waitcnt vmcnt(0)
	ds_write_b128 v1, v[39:42]
.LBB80_105:
	s_or_b32 exec_lo, exec_lo, s4
	s_waitcnt lgkmcnt(0)
	s_waitcnt_vscnt null, 0x0
	s_barrier
	buffer_gl0_inv
	s_clause 0x2f
	buffer_load_dword v3, off, s[0:3], 0 offset:120
	buffer_load_dword v4, off, s[0:3], 0 offset:124
	;; [unrolled: 1-line block ×48, first 2 shown]
	v_mov_b32_e32 v2, 0
	ds_read_b128 v[39:42], v2 offset:368
	ds_read_b128 v[43:46], v2 offset:384
	;; [unrolled: 1-line block ×3, first 2 shown]
	s_mov_b32 s4, exec_lo
	s_waitcnt vmcnt(46) lgkmcnt(2)
	v_mul_f64 v[97:98], v[41:42], v[3:4]
	v_mul_f64 v[3:4], v[39:40], v[3:4]
	s_waitcnt vmcnt(44) lgkmcnt(1)
	v_mul_f64 v[99:100], v[45:46], v[51:52]
	v_mul_f64 v[51:52], v[43:44], v[51:52]
	s_waitcnt vmcnt(42)
	v_fma_f64 v[97:98], v[39:40], v[53:54], -v[97:98]
	v_fma_f64 v[3:4], v[41:42], v[53:54], v[3:4]
	ds_read_b128 v[39:42], v2 offset:416
	s_waitcnt vmcnt(40) lgkmcnt(1)
	v_mul_f64 v[53:54], v[47:48], v[55:56]
	v_mul_f64 v[55:56], v[49:50], v[55:56]
	s_waitcnt vmcnt(38)
	v_fma_f64 v[99:100], v[43:44], v[57:58], -v[99:100]
	v_fma_f64 v[51:52], v[45:46], v[57:58], v[51:52]
	ds_read_b128 v[43:46], v2 offset:432
	s_waitcnt vmcnt(34) lgkmcnt(1)
	v_mul_f64 v[57:58], v[39:40], v[59:60]
	v_add_f64 v[97:98], v[97:98], 0
	v_add_f64 v[3:4], v[3:4], 0
	v_mul_f64 v[59:60], v[41:42], v[59:60]
	s_waitcnt vmcnt(32)
	v_fma_f64 v[55:56], v[47:48], v[65:66], -v[55:56]
	v_fma_f64 v[53:54], v[49:50], v[65:66], v[53:54]
	ds_read_b128 v[47:50], v2 offset:448
	s_waitcnt vmcnt(29)
	v_fma_f64 v[57:58], v[41:42], v[67:68], v[57:58]
	v_add_f64 v[97:98], v[97:98], v[99:100]
	v_add_f64 v[3:4], v[3:4], v[51:52]
	s_waitcnt lgkmcnt(1)
	v_mul_f64 v[51:52], v[43:44], v[61:62]
	v_mul_f64 v[61:62], v[45:46], v[61:62]
	v_fma_f64 v[59:60], v[39:40], v[67:68], -v[59:60]
	s_waitcnt vmcnt(25) lgkmcnt(0)
	v_mul_f64 v[65:66], v[49:50], v[69:70]
	ds_read_b128 v[39:42], v2 offset:464
	v_add_f64 v[55:56], v[97:98], v[55:56]
	v_add_f64 v[3:4], v[3:4], v[53:54]
	v_mul_f64 v[53:54], v[47:48], v[69:70]
	s_waitcnt vmcnt(24)
	v_fma_f64 v[61:62], v[43:44], v[63:64], -v[61:62]
	v_fma_f64 v[51:52], v[45:46], v[63:64], v[51:52]
	ds_read_b128 v[43:46], v2 offset:480
	s_waitcnt vmcnt(21)
	v_fma_f64 v[63:64], v[47:48], v[75:76], -v[65:66]
	v_add_f64 v[55:56], v[55:56], v[59:60]
	v_add_f64 v[3:4], v[3:4], v[57:58]
	s_waitcnt lgkmcnt(1)
	v_mul_f64 v[59:60], v[41:42], v[71:72]
	v_mul_f64 v[57:58], v[39:40], v[71:72]
	v_fma_f64 v[53:54], v[49:50], v[75:76], v[53:54]
	ds_read_b128 v[47:50], v2 offset:496
	v_add_f64 v[55:56], v[55:56], v[61:62]
	v_add_f64 v[3:4], v[3:4], v[51:52]
	s_waitcnt vmcnt(17) lgkmcnt(1)
	v_mul_f64 v[61:62], v[45:46], v[77:78]
	s_waitcnt vmcnt(16)
	v_fma_f64 v[59:60], v[39:40], v[73:74], -v[59:60]
	v_mul_f64 v[51:52], v[43:44], v[77:78]
	v_fma_f64 v[57:58], v[41:42], v[73:74], v[57:58]
	ds_read_b128 v[39:42], v2 offset:512
	v_add_f64 v[55:56], v[55:56], v[63:64]
	v_add_f64 v[3:4], v[3:4], v[53:54]
	s_waitcnt vmcnt(15) lgkmcnt(1)
	v_mul_f64 v[63:64], v[49:50], v[79:80]
	s_waitcnt vmcnt(13)
	v_fma_f64 v[61:62], v[43:44], v[83:84], -v[61:62]
	;; [unrolled: 9-line block ×3, first 2 shown]
	v_mul_f64 v[57:58], v[39:40], v[85:86]
	v_fma_f64 v[49:50], v[49:50], v[81:82], v[53:54]
	s_waitcnt vmcnt(7) lgkmcnt(0)
	v_mul_f64 v[53:54], v[45:46], v[87:88]
	v_add_f64 v[55:56], v[55:56], v[61:62]
	v_add_f64 v[3:4], v[3:4], v[51:52]
	s_waitcnt vmcnt(5)
	v_fma_f64 v[39:40], v[39:40], v[91:92], -v[59:60]
	v_mul_f64 v[51:52], v[43:44], v[87:88]
	v_fma_f64 v[41:42], v[41:42], v[91:92], v[57:58]
	s_waitcnt vmcnt(4)
	v_fma_f64 v[43:44], v[43:44], v[89:90], -v[53:54]
	v_add_f64 v[47:48], v[55:56], v[47:48]
	v_add_f64 v[3:4], v[3:4], v[49:50]
	v_fma_f64 v[45:46], v[45:46], v[89:90], v[51:52]
	v_add_f64 v[39:40], v[47:48], v[39:40]
	v_add_f64 v[3:4], v[3:4], v[41:42]
	;; [unrolled: 1-line block ×4, first 2 shown]
	s_waitcnt vmcnt(2)
	v_add_f64 v[39:40], v[93:94], -v[39:40]
	s_waitcnt vmcnt(0)
	v_add_f64 v[3:4], v[95:96], -v[3:4]
	buffer_store_dword v40, off, s[0:3], 0 offset:100
	buffer_store_dword v39, off, s[0:3], 0 offset:96
	;; [unrolled: 1-line block ×4, first 2 shown]
	v_cmpx_lt_u32_e32 4, v0
	s_cbranch_execz .LBB80_107
; %bb.106:
	v_mov_b32_e32 v3, s24
	s_clause 0x3
	buffer_load_dword v39, v3, s[0:3], 0 offen
	buffer_load_dword v40, v3, s[0:3], 0 offen offset:4
	buffer_load_dword v41, v3, s[0:3], 0 offen offset:8
	;; [unrolled: 1-line block ×3, first 2 shown]
	buffer_store_dword v2, off, s[0:3], 0 offset:80
	buffer_store_dword v2, off, s[0:3], 0 offset:84
	;; [unrolled: 1-line block ×4, first 2 shown]
	s_waitcnt vmcnt(0)
	ds_write_b128 v1, v[39:42]
.LBB80_107:
	s_or_b32 exec_lo, exec_lo, s4
	s_waitcnt lgkmcnt(0)
	s_waitcnt_vscnt null, 0x0
	s_barrier
	buffer_gl0_inv
	s_clause 0x2f
	buffer_load_dword v3, off, s[0:3], 0 offset:104
	buffer_load_dword v4, off, s[0:3], 0 offset:108
	;; [unrolled: 1-line block ×48, first 2 shown]
	ds_read_b128 v[39:42], v2 offset:352
	s_clause 0x3
	buffer_load_dword v97, off, s[0:3], 0 offset:80
	buffer_load_dword v98, off, s[0:3], 0 offset:84
	;; [unrolled: 1-line block ×4, first 2 shown]
	ds_read_b128 v[43:46], v2 offset:368
	ds_read_b128 v[47:50], v2 offset:384
	s_mov_b32 s4, exec_lo
	s_waitcnt vmcnt(50) lgkmcnt(2)
	v_mul_f64 v[101:102], v[41:42], v[3:4]
	v_mul_f64 v[3:4], v[39:40], v[3:4]
	s_waitcnt vmcnt(48) lgkmcnt(1)
	v_mul_f64 v[103:104], v[45:46], v[51:52]
	v_mul_f64 v[51:52], v[43:44], v[51:52]
	s_waitcnt vmcnt(46)
	v_fma_f64 v[101:102], v[39:40], v[53:54], -v[101:102]
	v_fma_f64 v[3:4], v[41:42], v[53:54], v[3:4]
	s_waitcnt vmcnt(44) lgkmcnt(0)
	v_mul_f64 v[53:54], v[47:48], v[55:56]
	v_mul_f64 v[55:56], v[49:50], v[55:56]
	s_waitcnt vmcnt(42)
	v_fma_f64 v[103:104], v[43:44], v[57:58], -v[103:104]
	ds_read_b128 v[39:42], v2 offset:400
	v_fma_f64 v[51:52], v[45:46], v[57:58], v[51:52]
	ds_read_b128 v[43:46], v2 offset:416
	v_add_f64 v[101:102], v[101:102], 0
	v_add_f64 v[3:4], v[3:4], 0
	s_waitcnt vmcnt(36)
	v_fma_f64 v[53:54], v[49:50], v[65:66], v[53:54]
	s_waitcnt lgkmcnt(1)
	v_mul_f64 v[57:58], v[39:40], v[59:60]
	v_mul_f64 v[59:60], v[41:42], v[59:60]
	v_fma_f64 v[55:56], v[47:48], v[65:66], -v[55:56]
	ds_read_b128 v[47:50], v2 offset:432
	v_add_f64 v[101:102], v[101:102], v[103:104]
	v_add_f64 v[3:4], v[3:4], v[51:52]
	s_waitcnt vmcnt(35) lgkmcnt(1)
	v_mul_f64 v[51:52], v[43:44], v[61:62]
	v_mul_f64 v[61:62], v[45:46], v[61:62]
	s_waitcnt vmcnt(33)
	v_fma_f64 v[59:60], v[39:40], v[67:68], -v[59:60]
	v_fma_f64 v[57:58], v[41:42], v[67:68], v[57:58]
	ds_read_b128 v[39:42], v2 offset:448
	s_waitcnt vmcnt(29) lgkmcnt(1)
	v_mul_f64 v[65:66], v[49:50], v[69:70]
	v_add_f64 v[55:56], v[101:102], v[55:56]
	v_add_f64 v[3:4], v[3:4], v[53:54]
	v_mul_f64 v[53:54], v[47:48], v[69:70]
	s_waitcnt vmcnt(28)
	v_fma_f64 v[61:62], v[43:44], v[63:64], -v[61:62]
	v_fma_f64 v[51:52], v[45:46], v[63:64], v[51:52]
	ds_read_b128 v[43:46], v2 offset:464
	s_waitcnt vmcnt(25)
	v_fma_f64 v[63:64], v[47:48], v[75:76], -v[65:66]
	v_add_f64 v[55:56], v[55:56], v[59:60]
	v_add_f64 v[3:4], v[3:4], v[57:58]
	s_waitcnt lgkmcnt(1)
	v_mul_f64 v[59:60], v[41:42], v[71:72]
	v_mul_f64 v[57:58], v[39:40], v[71:72]
	v_fma_f64 v[53:54], v[49:50], v[75:76], v[53:54]
	ds_read_b128 v[47:50], v2 offset:480
	v_add_f64 v[55:56], v[55:56], v[61:62]
	v_add_f64 v[3:4], v[3:4], v[51:52]
	s_waitcnt vmcnt(21) lgkmcnt(1)
	v_mul_f64 v[61:62], v[45:46], v[77:78]
	s_waitcnt vmcnt(20)
	v_fma_f64 v[59:60], v[39:40], v[73:74], -v[59:60]
	v_mul_f64 v[51:52], v[43:44], v[77:78]
	v_fma_f64 v[57:58], v[41:42], v[73:74], v[57:58]
	ds_read_b128 v[39:42], v2 offset:496
	v_add_f64 v[55:56], v[55:56], v[63:64]
	v_add_f64 v[3:4], v[3:4], v[53:54]
	s_waitcnt vmcnt(19) lgkmcnt(1)
	v_mul_f64 v[63:64], v[49:50], v[79:80]
	s_waitcnt vmcnt(17)
	v_fma_f64 v[61:62], v[43:44], v[83:84], -v[61:62]
	;; [unrolled: 9-line block ×4, first 2 shown]
	v_mul_f64 v[51:52], v[43:44], v[87:88]
	v_fma_f64 v[41:42], v[41:42], v[91:92], v[57:58]
	s_waitcnt vmcnt(7) lgkmcnt(0)
	v_mul_f64 v[57:58], v[49:50], v[93:94]
	v_add_f64 v[55:56], v[55:56], v[63:64]
	v_add_f64 v[2:3], v[3:4], v[53:54]
	s_waitcnt vmcnt(6)
	v_fma_f64 v[43:44], v[43:44], v[89:90], -v[61:62]
	v_mul_f64 v[53:54], v[47:48], v[93:94]
	v_fma_f64 v[45:46], v[45:46], v[89:90], v[51:52]
	v_add_f64 v[39:40], v[55:56], v[39:40]
	v_add_f64 v[2:3], v[2:3], v[41:42]
	s_waitcnt vmcnt(4)
	v_fma_f64 v[41:42], v[47:48], v[95:96], -v[57:58]
	v_add_f64 v[39:40], v[39:40], v[43:44]
	v_fma_f64 v[43:44], v[49:50], v[95:96], v[53:54]
	v_add_f64 v[2:3], v[2:3], v[45:46]
	v_add_f64 v[39:40], v[39:40], v[41:42]
	v_add_f64 v[2:3], v[2:3], v[43:44]
	s_waitcnt vmcnt(2)
	v_add_f64 v[39:40], v[97:98], -v[39:40]
	s_waitcnt vmcnt(0)
	v_add_f64 v[2:3], v[99:100], -v[2:3]
	buffer_store_dword v40, off, s[0:3], 0 offset:84
	buffer_store_dword v39, off, s[0:3], 0 offset:80
	;; [unrolled: 1-line block ×4, first 2 shown]
	v_cmpx_lt_u32_e32 3, v0
	s_cbranch_execz .LBB80_109
; %bb.108:
	v_mov_b32_e32 v2, s25
	s_clause 0x3
	buffer_load_dword v39, v2, s[0:3], 0 offen
	buffer_load_dword v40, v2, s[0:3], 0 offen offset:4
	buffer_load_dword v41, v2, s[0:3], 0 offen offset:8
	;; [unrolled: 1-line block ×3, first 2 shown]
	v_mov_b32_e32 v2, 0
	buffer_store_dword v2, off, s[0:3], 0 offset:64
	buffer_store_dword v2, off, s[0:3], 0 offset:68
	;; [unrolled: 1-line block ×4, first 2 shown]
	s_waitcnt vmcnt(0)
	ds_write_b128 v1, v[39:42]
.LBB80_109:
	s_or_b32 exec_lo, exec_lo, s4
	s_waitcnt lgkmcnt(0)
	s_waitcnt_vscnt null, 0x0
	s_barrier
	buffer_gl0_inv
	s_clause 0x33
	buffer_load_dword v3, off, s[0:3], 0 offset:88
	buffer_load_dword v4, off, s[0:3], 0 offset:92
	;; [unrolled: 1-line block ×52, first 2 shown]
	v_mov_b32_e32 v2, 0
	ds_read_b128 v[39:42], v2 offset:336
	ds_read_b128 v[43:46], v2 offset:352
	s_clause 0x3
	buffer_load_dword v103, off, s[0:3], 0 offset:64
	buffer_load_dword v104, off, s[0:3], 0 offset:68
	;; [unrolled: 1-line block ×4, first 2 shown]
	ds_read_b128 v[47:50], v2 offset:368
	s_mov_b32 s4, exec_lo
	s_waitcnt vmcnt(54) lgkmcnt(2)
	v_mul_f64 v[101:102], v[41:42], v[3:4]
	v_mul_f64 v[3:4], v[39:40], v[3:4]
	s_waitcnt vmcnt(52) lgkmcnt(1)
	v_mul_f64 v[107:108], v[45:46], v[51:52]
	v_mul_f64 v[51:52], v[43:44], v[51:52]
	s_waitcnt vmcnt(50)
	v_fma_f64 v[101:102], v[39:40], v[53:54], -v[101:102]
	v_fma_f64 v[3:4], v[41:42], v[53:54], v[3:4]
	ds_read_b128 v[39:42], v2 offset:384
	s_waitcnt vmcnt(48) lgkmcnt(1)
	v_mul_f64 v[53:54], v[47:48], v[55:56]
	v_mul_f64 v[55:56], v[49:50], v[55:56]
	s_waitcnt vmcnt(46)
	v_fma_f64 v[107:108], v[43:44], v[57:58], -v[107:108]
	v_fma_f64 v[51:52], v[45:46], v[57:58], v[51:52]
	ds_read_b128 v[43:46], v2 offset:400
	s_waitcnt vmcnt(42) lgkmcnt(1)
	v_mul_f64 v[57:58], v[39:40], v[59:60]
	v_add_f64 v[101:102], v[101:102], 0
	v_add_f64 v[3:4], v[3:4], 0
	v_mul_f64 v[59:60], v[41:42], v[59:60]
	s_waitcnt vmcnt(40)
	v_fma_f64 v[55:56], v[47:48], v[65:66], -v[55:56]
	v_fma_f64 v[53:54], v[49:50], v[65:66], v[53:54]
	ds_read_b128 v[47:50], v2 offset:416
	s_waitcnt vmcnt(37)
	v_fma_f64 v[57:58], v[41:42], v[67:68], v[57:58]
	v_add_f64 v[101:102], v[101:102], v[107:108]
	v_add_f64 v[3:4], v[3:4], v[51:52]
	s_waitcnt lgkmcnt(1)
	v_mul_f64 v[51:52], v[43:44], v[61:62]
	v_mul_f64 v[61:62], v[45:46], v[61:62]
	v_fma_f64 v[59:60], v[39:40], v[67:68], -v[59:60]
	s_waitcnt vmcnt(33) lgkmcnt(0)
	v_mul_f64 v[65:66], v[49:50], v[69:70]
	ds_read_b128 v[39:42], v2 offset:432
	v_add_f64 v[55:56], v[101:102], v[55:56]
	v_add_f64 v[3:4], v[3:4], v[53:54]
	v_mul_f64 v[53:54], v[47:48], v[69:70]
	s_waitcnt vmcnt(32)
	v_fma_f64 v[61:62], v[43:44], v[63:64], -v[61:62]
	v_fma_f64 v[51:52], v[45:46], v[63:64], v[51:52]
	ds_read_b128 v[43:46], v2 offset:448
	s_waitcnt vmcnt(29)
	v_fma_f64 v[63:64], v[47:48], v[75:76], -v[65:66]
	v_add_f64 v[55:56], v[55:56], v[59:60]
	v_add_f64 v[3:4], v[3:4], v[57:58]
	s_waitcnt lgkmcnt(1)
	v_mul_f64 v[59:60], v[41:42], v[71:72]
	v_mul_f64 v[57:58], v[39:40], v[71:72]
	v_fma_f64 v[53:54], v[49:50], v[75:76], v[53:54]
	ds_read_b128 v[47:50], v2 offset:464
	v_add_f64 v[55:56], v[55:56], v[61:62]
	v_add_f64 v[3:4], v[3:4], v[51:52]
	s_waitcnt vmcnt(25) lgkmcnt(1)
	v_mul_f64 v[61:62], v[45:46], v[77:78]
	s_waitcnt vmcnt(24)
	v_fma_f64 v[59:60], v[39:40], v[73:74], -v[59:60]
	v_mul_f64 v[51:52], v[43:44], v[77:78]
	v_fma_f64 v[57:58], v[41:42], v[73:74], v[57:58]
	ds_read_b128 v[39:42], v2 offset:480
	v_add_f64 v[55:56], v[55:56], v[63:64]
	v_add_f64 v[3:4], v[3:4], v[53:54]
	s_waitcnt vmcnt(23) lgkmcnt(1)
	v_mul_f64 v[63:64], v[49:50], v[79:80]
	s_waitcnt vmcnt(21)
	v_fma_f64 v[61:62], v[43:44], v[83:84], -v[61:62]
	;; [unrolled: 9-line block ×5, first 2 shown]
	v_mul_f64 v[53:54], v[47:48], v[93:94]
	v_fma_f64 v[45:46], v[45:46], v[89:90], v[51:52]
	s_waitcnt vmcnt(7) lgkmcnt(0)
	v_mul_f64 v[51:52], v[39:40], v[95:96]
	v_add_f64 v[55:56], v[55:56], v[59:60]
	v_add_f64 v[3:4], v[3:4], v[57:58]
	v_mul_f64 v[57:58], v[41:42], v[95:96]
	s_waitcnt vmcnt(5)
	v_fma_f64 v[47:48], v[47:48], v[99:100], -v[63:64]
	v_fma_f64 v[49:50], v[49:50], v[99:100], v[53:54]
	s_waitcnt vmcnt(4)
	v_fma_f64 v[41:42], v[41:42], v[97:98], v[51:52]
	v_add_f64 v[43:44], v[55:56], v[43:44]
	v_add_f64 v[3:4], v[3:4], v[45:46]
	v_fma_f64 v[39:40], v[39:40], v[97:98], -v[57:58]
	v_add_f64 v[43:44], v[43:44], v[47:48]
	v_add_f64 v[3:4], v[3:4], v[49:50]
	;; [unrolled: 1-line block ×4, first 2 shown]
	s_waitcnt vmcnt(2)
	v_add_f64 v[39:40], v[103:104], -v[39:40]
	s_waitcnt vmcnt(0)
	v_add_f64 v[3:4], v[105:106], -v[3:4]
	buffer_store_dword v40, off, s[0:3], 0 offset:68
	buffer_store_dword v39, off, s[0:3], 0 offset:64
	;; [unrolled: 1-line block ×4, first 2 shown]
	v_cmpx_lt_u32_e32 2, v0
	s_cbranch_execz .LBB80_111
; %bb.110:
	v_mov_b32_e32 v3, s26
	s_clause 0x3
	buffer_load_dword v39, v3, s[0:3], 0 offen
	buffer_load_dword v40, v3, s[0:3], 0 offen offset:4
	buffer_load_dword v41, v3, s[0:3], 0 offen offset:8
	;; [unrolled: 1-line block ×3, first 2 shown]
	buffer_store_dword v2, off, s[0:3], 0 offset:48
	buffer_store_dword v2, off, s[0:3], 0 offset:52
	;; [unrolled: 1-line block ×4, first 2 shown]
	s_waitcnt vmcnt(0)
	ds_write_b128 v1, v[39:42]
.LBB80_111:
	s_or_b32 exec_lo, exec_lo, s4
	s_waitcnt lgkmcnt(0)
	s_waitcnt_vscnt null, 0x0
	s_barrier
	buffer_gl0_inv
	s_clause 0x35
	buffer_load_dword v3, off, s[0:3], 0 offset:72
	buffer_load_dword v4, off, s[0:3], 0 offset:76
	;; [unrolled: 1-line block ×54, first 2 shown]
	ds_read_b128 v[39:42], v2 offset:320
	s_clause 0x1
	buffer_load_dword v104, off, s[0:3], 0 offset:276
	buffer_load_dword v103, off, s[0:3], 0 offset:272
	ds_read_b128 v[43:46], v2 offset:336
	ds_read_b128 v[47:50], v2 offset:352
	s_mov_b32 s4, exec_lo
	s_waitcnt vmcnt(54) lgkmcnt(2)
	v_mul_f64 v[105:106], v[41:42], v[3:4]
	v_mul_f64 v[3:4], v[39:40], v[3:4]
	s_waitcnt vmcnt(52) lgkmcnt(1)
	v_mul_f64 v[107:108], v[45:46], v[51:52]
	v_mul_f64 v[51:52], v[43:44], v[51:52]
	s_waitcnt vmcnt(48) lgkmcnt(0)
	v_mul_f64 v[111:112], v[47:48], v[55:56]
	v_mul_f64 v[55:56], v[49:50], v[55:56]
	v_fma_f64 v[105:106], v[39:40], v[53:54], -v[105:106]
	v_fma_f64 v[3:4], v[41:42], v[53:54], v[3:4]
	s_clause 0x3
	buffer_load_dword v53, off, s[0:3], 0 offset:48
	buffer_load_dword v54, off, s[0:3], 0 offset:52
	;; [unrolled: 1-line block ×4, first 2 shown]
	s_waitcnt vmcnt(50)
	v_fma_f64 v[107:108], v[43:44], v[57:58], -v[107:108]
	ds_read_b128 v[39:42], v2 offset:368
	v_fma_f64 v[51:52], v[45:46], v[57:58], v[51:52]
	ds_read_b128 v[43:46], v2 offset:384
	s_waitcnt vmcnt(44)
	v_fma_f64 v[55:56], v[47:48], v[65:66], -v[55:56]
	v_fma_f64 v[65:66], v[49:50], v[65:66], v[111:112]
	ds_read_b128 v[47:50], v2 offset:400
	v_add_f64 v[105:106], v[105:106], 0
	v_add_f64 v[3:4], v[3:4], 0
	s_waitcnt lgkmcnt(2)
	v_mul_f64 v[57:58], v[39:40], v[59:60]
	v_mul_f64 v[59:60], v[41:42], v[59:60]
	v_add_f64 v[105:106], v[105:106], v[107:108]
	v_add_f64 v[3:4], v[3:4], v[51:52]
	s_waitcnt vmcnt(43) lgkmcnt(1)
	v_mul_f64 v[51:52], v[43:44], v[61:62]
	v_mul_f64 v[61:62], v[45:46], v[61:62]
	s_waitcnt vmcnt(41)
	v_fma_f64 v[59:60], v[39:40], v[67:68], -v[59:60]
	v_fma_f64 v[57:58], v[41:42], v[67:68], v[57:58]
	ds_read_b128 v[39:42], v2 offset:416
	s_waitcnt vmcnt(37) lgkmcnt(1)
	v_mul_f64 v[67:68], v[49:50], v[69:70]
	v_add_f64 v[55:56], v[105:106], v[55:56]
	v_add_f64 v[3:4], v[3:4], v[65:66]
	v_mul_f64 v[65:66], v[47:48], v[69:70]
	s_waitcnt vmcnt(36)
	v_fma_f64 v[61:62], v[43:44], v[63:64], -v[61:62]
	v_fma_f64 v[51:52], v[45:46], v[63:64], v[51:52]
	ds_read_b128 v[43:46], v2 offset:432
	s_waitcnt vmcnt(33)
	v_fma_f64 v[63:64], v[47:48], v[75:76], -v[67:68]
	v_add_f64 v[55:56], v[55:56], v[59:60]
	v_add_f64 v[3:4], v[3:4], v[57:58]
	s_waitcnt lgkmcnt(1)
	v_mul_f64 v[59:60], v[41:42], v[71:72]
	v_mul_f64 v[57:58], v[39:40], v[71:72]
	v_add_f64 v[55:56], v[55:56], v[61:62]
	v_fma_f64 v[61:62], v[49:50], v[75:76], v[65:66]
	v_add_f64 v[3:4], v[3:4], v[51:52]
	ds_read_b128 v[47:50], v2 offset:448
	s_waitcnt vmcnt(29) lgkmcnt(1)
	v_mul_f64 v[65:66], v[45:46], v[77:78]
	s_waitcnt vmcnt(28)
	v_fma_f64 v[59:60], v[39:40], v[73:74], -v[59:60]
	v_mul_f64 v[51:52], v[43:44], v[77:78]
	v_fma_f64 v[57:58], v[41:42], v[73:74], v[57:58]
	ds_read_b128 v[39:42], v2 offset:464
	v_add_f64 v[55:56], v[55:56], v[63:64]
	s_waitcnt vmcnt(27) lgkmcnt(1)
	v_mul_f64 v[63:64], v[49:50], v[79:80]
	v_add_f64 v[3:4], v[3:4], v[61:62]
	v_mul_f64 v[61:62], v[47:48], v[79:80]
	s_waitcnt vmcnt(25)
	v_fma_f64 v[65:66], v[43:44], v[83:84], -v[65:66]
	v_fma_f64 v[51:52], v[45:46], v[83:84], v[51:52]
	ds_read_b128 v[43:46], v2 offset:480
	v_add_f64 v[55:56], v[55:56], v[59:60]
	s_waitcnt vmcnt(21) lgkmcnt(1)
	v_mul_f64 v[59:60], v[41:42], v[85:86]
	v_add_f64 v[3:4], v[3:4], v[57:58]
	s_waitcnt vmcnt(20)
	v_fma_f64 v[63:64], v[47:48], v[81:82], -v[63:64]
	v_mul_f64 v[57:58], v[39:40], v[85:86]
	v_fma_f64 v[61:62], v[49:50], v[81:82], v[61:62]
	ds_read_b128 v[47:50], v2 offset:496
	v_add_f64 v[55:56], v[55:56], v[65:66]
	s_waitcnt vmcnt(19) lgkmcnt(1)
	v_mul_f64 v[65:66], v[45:46], v[87:88]
	v_add_f64 v[3:4], v[3:4], v[51:52]
	s_waitcnt vmcnt(17)
	v_fma_f64 v[59:60], v[39:40], v[91:92], -v[59:60]
	v_mul_f64 v[51:52], v[43:44], v[87:88]
	v_fma_f64 v[57:58], v[41:42], v[91:92], v[57:58]
	ds_read_b128 v[39:42], v2 offset:512
	v_add_f64 v[55:56], v[55:56], v[63:64]
	s_waitcnt vmcnt(13) lgkmcnt(1)
	v_mul_f64 v[63:64], v[49:50], v[93:94]
	v_add_f64 v[3:4], v[3:4], v[61:62]
	s_waitcnt vmcnt(12)
	v_fma_f64 v[65:66], v[43:44], v[89:90], -v[65:66]
	v_mul_f64 v[61:62], v[47:48], v[93:94]
	v_fma_f64 v[51:52], v[45:46], v[89:90], v[51:52]
	ds_read_b128 v[43:46], v2 offset:528
	v_add_f64 v[55:56], v[55:56], v[59:60]
	s_waitcnt vmcnt(11) lgkmcnt(1)
	v_mul_f64 v[59:60], v[41:42], v[95:96]
	v_add_f64 v[3:4], v[3:4], v[57:58]
	s_waitcnt vmcnt(9)
	v_fma_f64 v[47:48], v[47:48], v[99:100], -v[63:64]
	v_mul_f64 v[57:58], v[39:40], v[95:96]
	v_fma_f64 v[49:50], v[49:50], v[99:100], v[61:62]
	s_waitcnt vmcnt(7) lgkmcnt(0)
	v_mul_f64 v[61:62], v[45:46], v[101:102]
	v_add_f64 v[55:56], v[55:56], v[65:66]
	s_waitcnt vmcnt(6)
	v_fma_f64 v[39:40], v[39:40], v[97:98], -v[59:60]
	v_add_f64 v[2:3], v[3:4], v[51:52]
	v_mul_f64 v[51:52], v[43:44], v[101:102]
	v_fma_f64 v[41:42], v[41:42], v[97:98], v[57:58]
	s_waitcnt vmcnt(4)
	v_fma_f64 v[43:44], v[43:44], v[103:104], -v[61:62]
	v_add_f64 v[47:48], v[55:56], v[47:48]
	v_add_f64 v[2:3], v[2:3], v[49:50]
	v_fma_f64 v[45:46], v[45:46], v[103:104], v[51:52]
	v_add_f64 v[39:40], v[47:48], v[39:40]
	v_add_f64 v[2:3], v[2:3], v[41:42]
	;; [unrolled: 1-line block ×4, first 2 shown]
	s_waitcnt vmcnt(2)
	v_add_f64 v[39:40], v[53:54], -v[39:40]
	s_waitcnt vmcnt(0)
	v_add_f64 v[2:3], v[109:110], -v[2:3]
	buffer_store_dword v40, off, s[0:3], 0 offset:52
	buffer_store_dword v39, off, s[0:3], 0 offset:48
	;; [unrolled: 1-line block ×4, first 2 shown]
	v_cmpx_lt_u32_e32 1, v0
	s_cbranch_execz .LBB80_113
; %bb.112:
	v_mov_b32_e32 v2, s27
	s_clause 0x3
	buffer_load_dword v39, v2, s[0:3], 0 offen
	buffer_load_dword v40, v2, s[0:3], 0 offen offset:4
	buffer_load_dword v41, v2, s[0:3], 0 offen offset:8
	;; [unrolled: 1-line block ×3, first 2 shown]
	v_mov_b32_e32 v2, 0
	buffer_store_dword v2, off, s[0:3], 0 offset:32
	buffer_store_dword v2, off, s[0:3], 0 offset:36
	;; [unrolled: 1-line block ×4, first 2 shown]
	s_waitcnt vmcnt(0)
	ds_write_b128 v1, v[39:42]
.LBB80_113:
	s_or_b32 exec_lo, exec_lo, s4
	s_waitcnt lgkmcnt(0)
	s_waitcnt_vscnt null, 0x0
	s_barrier
	buffer_gl0_inv
	s_clause 0x37
	buffer_load_dword v3, off, s[0:3], 0 offset:56
	buffer_load_dword v4, off, s[0:3], 0 offset:60
	;; [unrolled: 1-line block ×56, first 2 shown]
	v_mov_b32_e32 v2, 0
	s_mov_b32 s4, exec_lo
	ds_read_b128 v[39:42], v2 offset:304
	s_clause 0x2
	buffer_load_dword v104, off, s[0:3], 0 offset:284
	buffer_load_dword v108, off, s[0:3], 0 offset:260
	;; [unrolled: 1-line block ×3, first 2 shown]
	ds_read_b128 v[43:46], v2 offset:320
	ds_read_b128 v[47:50], v2 offset:336
	buffer_load_dword v106, off, s[0:3], 0 offset:276
	s_waitcnt vmcnt(58) lgkmcnt(2)
	v_mul_f64 v[109:110], v[41:42], v[3:4]
	v_mul_f64 v[3:4], v[39:40], v[3:4]
	s_waitcnt vmcnt(56) lgkmcnt(1)
	v_mul_f64 v[111:112], v[45:46], v[51:52]
	v_mul_f64 v[51:52], v[43:44], v[51:52]
	s_waitcnt vmcnt(54)
	v_fma_f64 v[109:110], v[39:40], v[53:54], -v[109:110]
	v_fma_f64 v[3:4], v[41:42], v[53:54], v[3:4]
	s_waitcnt vmcnt(52) lgkmcnt(0)
	v_mul_f64 v[53:54], v[47:48], v[55:56]
	v_mul_f64 v[55:56], v[49:50], v[55:56]
	s_waitcnt vmcnt(50)
	v_fma_f64 v[111:112], v[43:44], v[57:58], -v[111:112]
	ds_read_b128 v[39:42], v2 offset:352
	v_fma_f64 v[51:52], v[45:46], v[57:58], v[51:52]
	s_clause 0x3
	buffer_load_dword v57, off, s[0:3], 0 offset:32
	buffer_load_dword v58, off, s[0:3], 0 offset:36
	;; [unrolled: 1-line block ×4, first 2 shown]
	ds_read_b128 v[43:46], v2 offset:368
	v_add_f64 v[109:110], v[109:110], 0
	v_add_f64 v[3:4], v[3:4], 0
	s_waitcnt vmcnt(48)
	v_fma_f64 v[53:54], v[49:50], v[65:66], v[53:54]
	s_waitcnt lgkmcnt(1)
	v_mul_f64 v[115:116], v[39:40], v[59:60]
	v_mul_f64 v[59:60], v[41:42], v[59:60]
	v_fma_f64 v[55:56], v[47:48], v[65:66], -v[55:56]
	ds_read_b128 v[47:50], v2 offset:384
	v_add_f64 v[109:110], v[109:110], v[111:112]
	v_add_f64 v[3:4], v[3:4], v[51:52]
	s_waitcnt vmcnt(47) lgkmcnt(1)
	v_mul_f64 v[51:52], v[43:44], v[61:62]
	v_mul_f64 v[61:62], v[45:46], v[61:62]
	s_waitcnt vmcnt(45)
	v_fma_f64 v[59:60], v[39:40], v[67:68], -v[59:60]
	v_fma_f64 v[65:66], v[41:42], v[67:68], v[115:116]
	s_waitcnt vmcnt(41) lgkmcnt(0)
	v_mul_f64 v[67:68], v[49:50], v[69:70]
	ds_read_b128 v[39:42], v2 offset:400
	v_add_f64 v[55:56], v[109:110], v[55:56]
	v_add_f64 v[3:4], v[3:4], v[53:54]
	v_mul_f64 v[53:54], v[47:48], v[69:70]
	s_waitcnt vmcnt(40)
	v_fma_f64 v[61:62], v[43:44], v[63:64], -v[61:62]
	v_fma_f64 v[51:52], v[45:46], v[63:64], v[51:52]
	ds_read_b128 v[43:46], v2 offset:416
	s_waitcnt vmcnt(39) lgkmcnt(1)
	v_mul_f64 v[63:64], v[41:42], v[71:72]
	v_add_f64 v[55:56], v[55:56], v[59:60]
	v_add_f64 v[3:4], v[3:4], v[65:66]
	s_waitcnt vmcnt(37)
	v_fma_f64 v[65:66], v[47:48], v[75:76], -v[67:68]
	v_mul_f64 v[59:60], v[39:40], v[71:72]
	v_fma_f64 v[53:54], v[49:50], v[75:76], v[53:54]
	ds_read_b128 v[47:50], v2 offset:432
	s_waitcnt vmcnt(32)
	v_fma_f64 v[63:64], v[39:40], v[73:74], -v[63:64]
	v_add_f64 v[55:56], v[55:56], v[61:62]
	v_add_f64 v[3:4], v[3:4], v[51:52]
	s_waitcnt lgkmcnt(1)
	v_mul_f64 v[61:62], v[45:46], v[77:78]
	v_mul_f64 v[51:52], v[43:44], v[77:78]
	v_fma_f64 v[59:60], v[41:42], v[73:74], v[59:60]
	ds_read_b128 v[39:42], v2 offset:448
	v_add_f64 v[55:56], v[55:56], v[65:66]
	v_add_f64 v[3:4], v[3:4], v[53:54]
	s_waitcnt vmcnt(31) lgkmcnt(1)
	v_mul_f64 v[65:66], v[49:50], v[79:80]
	s_waitcnt vmcnt(29)
	v_fma_f64 v[61:62], v[43:44], v[83:84], -v[61:62]
	v_mul_f64 v[53:54], v[47:48], v[79:80]
	v_fma_f64 v[51:52], v[45:46], v[83:84], v[51:52]
	ds_read_b128 v[43:46], v2 offset:464
	v_add_f64 v[55:56], v[55:56], v[63:64]
	v_add_f64 v[3:4], v[3:4], v[59:60]
	s_waitcnt vmcnt(25) lgkmcnt(1)
	v_mul_f64 v[63:64], v[41:42], v[85:86]
	s_waitcnt vmcnt(24)
	v_fma_f64 v[65:66], v[47:48], v[81:82], -v[65:66]
	;; [unrolled: 9-line block ×6, first 2 shown]
	v_mul_f64 v[51:52], v[43:44], v[101:102]
	v_fma_f64 v[41:42], v[41:42], v[97:98], v[59:60]
	s_waitcnt vmcnt(7) lgkmcnt(0)
	v_mul_f64 v[59:60], v[49:50], v[103:104]
	v_add_f64 v[55:56], v[55:56], v[65:66]
	v_add_f64 v[3:4], v[3:4], v[53:54]
	s_waitcnt vmcnt(5)
	v_fma_f64 v[43:44], v[43:44], v[107:108], -v[61:62]
	v_mul_f64 v[53:54], v[47:48], v[103:104]
	v_fma_f64 v[45:46], v[45:46], v[107:108], v[51:52]
	v_add_f64 v[39:40], v[55:56], v[39:40]
	v_add_f64 v[3:4], v[3:4], v[41:42]
	s_waitcnt vmcnt(4)
	v_fma_f64 v[41:42], v[47:48], v[105:106], -v[59:60]
	v_add_f64 v[39:40], v[39:40], v[43:44]
	v_fma_f64 v[43:44], v[49:50], v[105:106], v[53:54]
	v_add_f64 v[3:4], v[3:4], v[45:46]
	v_add_f64 v[39:40], v[39:40], v[41:42]
	;; [unrolled: 1-line block ×3, first 2 shown]
	s_waitcnt vmcnt(2)
	v_add_f64 v[39:40], v[57:58], -v[39:40]
	s_waitcnt vmcnt(0)
	v_add_f64 v[3:4], v[113:114], -v[3:4]
	buffer_store_dword v40, off, s[0:3], 0 offset:36
	buffer_store_dword v39, off, s[0:3], 0 offset:32
	;; [unrolled: 1-line block ×4, first 2 shown]
	v_cmpx_ne_u32_e32 0, v0
	s_cbranch_execz .LBB80_115
; %bb.114:
	s_clause 0x3
	buffer_load_dword v39, off, s[0:3], 0 offset:16
	buffer_load_dword v40, off, s[0:3], 0 offset:20
	;; [unrolled: 1-line block ×4, first 2 shown]
	buffer_store_dword v2, off, s[0:3], 0 offset:16
	buffer_store_dword v2, off, s[0:3], 0 offset:20
	;; [unrolled: 1-line block ×4, first 2 shown]
	s_waitcnt vmcnt(0)
	ds_write_b128 v1, v[39:42]
.LBB80_115:
	s_or_b32 exec_lo, exec_lo, s4
	s_waitcnt lgkmcnt(0)
	s_waitcnt_vscnt null, 0x0
	s_barrier
	buffer_gl0_inv
	s_clause 0x37
	buffer_load_dword v0, off, s[0:3], 0 offset:40
	buffer_load_dword v1, off, s[0:3], 0 offset:44
	;; [unrolled: 1-line block ×56, first 2 shown]
	ds_read_b128 v[39:42], v2 offset:288
	s_clause 0x2
	buffer_load_dword v102, off, s[0:3], 0 offset:268
	buffer_load_dword v106, off, s[0:3], 0 offset:244
	;; [unrolled: 1-line block ×3, first 2 shown]
	ds_read_b128 v[43:46], v2 offset:304
	s_clause 0x2
	buffer_load_dword v110, off, s[0:3], 0 offset:284
	buffer_load_dword v109, off, s[0:3], 0 offset:280
	;; [unrolled: 1-line block ×3, first 2 shown]
	ds_read_b128 v[47:50], v2 offset:320
	s_and_b32 vcc_lo, exec_lo, s28
	s_waitcnt vmcnt(60) lgkmcnt(2)
	v_mul_f64 v[107:108], v[41:42], v[0:1]
	v_mul_f64 v[0:1], v[39:40], v[0:1]
	s_waitcnt vmcnt(58) lgkmcnt(1)
	v_mul_f64 v[111:112], v[45:46], v[3:4]
	v_mul_f64 v[3:4], v[43:44], v[3:4]
	;; [unrolled: 3-line block ×3, first 2 shown]
	v_fma_f64 v[107:108], v[39:40], v[51:52], -v[107:108]
	v_fma_f64 v[0:1], v[41:42], v[51:52], v[0:1]
	s_clause 0x1
	buffer_load_dword v52, off, s[0:3], 0 offset:276
	buffer_load_dword v51, off, s[0:3], 0 offset:272
	s_waitcnt vmcnt(54)
	v_fma_f64 v[111:112], v[43:44], v[55:56], -v[111:112]
	ds_read_b128 v[39:42], v2 offset:336
	v_fma_f64 v[3:4], v[45:46], v[55:56], v[3:4]
	ds_read_b128 v[43:46], v2 offset:352
	s_waitcnt vmcnt(48)
	v_fma_f64 v[53:54], v[47:48], v[63:64], -v[53:54]
	v_fma_f64 v[63:64], v[49:50], v[63:64], v[113:114]
	v_add_f64 v[107:108], v[107:108], 0
	v_add_f64 v[0:1], v[0:1], 0
	s_waitcnt lgkmcnt(1)
	v_mul_f64 v[55:56], v[39:40], v[57:58]
	v_mul_f64 v[57:58], v[41:42], v[57:58]
	v_add_f64 v[107:108], v[107:108], v[111:112]
	v_add_f64 v[0:1], v[0:1], v[3:4]
	s_clause 0x3
	buffer_load_dword v111, off, s[0:3], 0 offset:16
	buffer_load_dword v112, off, s[0:3], 0 offset:20
	;; [unrolled: 1-line block ×4, first 2 shown]
	s_waitcnt vmcnt(51) lgkmcnt(0)
	v_mul_f64 v[3:4], v[43:44], v[59:60]
	v_mul_f64 v[59:60], v[45:46], v[59:60]
	s_waitcnt vmcnt(49)
	v_fma_f64 v[57:58], v[39:40], v[65:66], -v[57:58]
	ds_read_b128 v[47:50], v2 offset:368
	v_fma_f64 v[55:56], v[41:42], v[65:66], v[55:56]
	ds_read_b128 v[39:42], v2 offset:384
	v_add_f64 v[53:54], v[107:108], v[53:54]
	v_add_f64 v[0:1], v[0:1], v[63:64]
	s_waitcnt vmcnt(44)
	v_fma_f64 v[3:4], v[45:46], v[61:62], v[3:4]
	s_waitcnt lgkmcnt(1)
	v_mul_f64 v[65:66], v[49:50], v[67:68]
	v_fma_f64 v[59:60], v[43:44], v[61:62], -v[59:60]
	v_mul_f64 v[63:64], v[47:48], v[67:68]
	ds_read_b128 v[43:46], v2 offset:400
	v_add_f64 v[53:54], v[53:54], v[57:58]
	v_add_f64 v[0:1], v[0:1], v[55:56]
	s_waitcnt vmcnt(43) lgkmcnt(1)
	v_mul_f64 v[57:58], v[41:42], v[69:70]
	v_mul_f64 v[55:56], v[39:40], v[69:70]
	s_waitcnt vmcnt(41)
	v_fma_f64 v[61:62], v[47:48], v[73:74], -v[65:66]
	v_add_f64 v[53:54], v[53:54], v[59:60]
	v_fma_f64 v[59:60], v[49:50], v[73:74], v[63:64]
	v_add_f64 v[0:1], v[0:1], v[3:4]
	ds_read_b128 v[47:50], v2 offset:416
	s_waitcnt vmcnt(37) lgkmcnt(1)
	v_mul_f64 v[63:64], v[45:46], v[75:76]
	s_waitcnt vmcnt(36)
	v_fma_f64 v[57:58], v[39:40], v[71:72], -v[57:58]
	v_mul_f64 v[3:4], v[43:44], v[75:76]
	v_fma_f64 v[55:56], v[41:42], v[71:72], v[55:56]
	ds_read_b128 v[39:42], v2 offset:432
	v_add_f64 v[53:54], v[53:54], v[61:62]
	s_waitcnt vmcnt(35) lgkmcnt(1)
	v_mul_f64 v[61:62], v[49:50], v[77:78]
	v_add_f64 v[0:1], v[0:1], v[59:60]
	v_mul_f64 v[59:60], v[47:48], v[77:78]
	s_waitcnt vmcnt(33)
	v_fma_f64 v[63:64], v[43:44], v[81:82], -v[63:64]
	v_fma_f64 v[3:4], v[45:46], v[81:82], v[3:4]
	ds_read_b128 v[43:46], v2 offset:448
	v_add_f64 v[53:54], v[53:54], v[57:58]
	s_waitcnt vmcnt(29) lgkmcnt(1)
	v_mul_f64 v[57:58], v[41:42], v[83:84]
	v_add_f64 v[0:1], v[0:1], v[55:56]
	s_waitcnt vmcnt(28)
	v_fma_f64 v[61:62], v[47:48], v[79:80], -v[61:62]
	v_mul_f64 v[55:56], v[39:40], v[83:84]
	v_fma_f64 v[59:60], v[49:50], v[79:80], v[59:60]
	ds_read_b128 v[47:50], v2 offset:464
	v_add_f64 v[53:54], v[53:54], v[63:64]
	s_waitcnt vmcnt(27) lgkmcnt(1)
	v_mul_f64 v[63:64], v[45:46], v[85:86]
	v_add_f64 v[0:1], v[0:1], v[3:4]
	s_waitcnt vmcnt(25)
	v_fma_f64 v[57:58], v[39:40], v[89:90], -v[57:58]
	v_mul_f64 v[3:4], v[43:44], v[85:86]
	;; [unrolled: 9-line block ×4, first 2 shown]
	v_fma_f64 v[59:60], v[49:50], v[97:98], v[59:60]
	ds_read_b128 v[47:50], v2 offset:512
	s_waitcnt vmcnt(13) lgkmcnt(1)
	v_mul_f64 v[65:66], v[45:46], v[99:100]
	v_add_f64 v[53:54], v[53:54], v[63:64]
	s_waitcnt vmcnt(12)
	v_fma_f64 v[39:40], v[39:40], v[95:96], -v[57:58]
	v_add_f64 v[0:1], v[0:1], v[3:4]
	v_mul_f64 v[63:64], v[43:44], v[99:100]
	v_fma_f64 v[41:42], v[41:42], v[95:96], v[55:56]
	s_waitcnt vmcnt(11) lgkmcnt(0)
	v_mul_f64 v[57:58], v[47:48], v[101:102]
	s_waitcnt vmcnt(9)
	v_fma_f64 v[43:44], v[43:44], v[105:106], -v[65:66]
	v_add_f64 v[53:54], v[53:54], v[61:62]
	v_add_f64 v[55:56], v[0:1], v[59:60]
	v_mul_f64 v[59:60], v[49:50], v[101:102]
	ds_read_b128 v[0:3], v2 offset:528
	v_fma_f64 v[45:46], v[45:46], v[105:106], v[63:64]
	v_add_f64 v[39:40], v[53:54], v[39:40]
	v_add_f64 v[41:42], v[55:56], v[41:42]
	s_waitcnt vmcnt(7) lgkmcnt(0)
	v_mul_f64 v[55:56], v[2:3], v[109:110]
	s_waitcnt vmcnt(6)
	v_fma_f64 v[47:48], v[47:48], v[103:104], -v[59:60]
	v_mul_f64 v[53:54], v[0:1], v[109:110]
	v_add_f64 v[39:40], v[39:40], v[43:44]
	v_fma_f64 v[43:44], v[49:50], v[103:104], v[57:58]
	v_add_f64 v[41:42], v[41:42], v[45:46]
	s_waitcnt vmcnt(4)
	v_fma_f64 v[0:1], v[0:1], v[51:52], -v[55:56]
	v_fma_f64 v[2:3], v[2:3], v[51:52], v[53:54]
	v_add_f64 v[39:40], v[39:40], v[47:48]
	v_add_f64 v[41:42], v[41:42], v[43:44]
	;; [unrolled: 1-line block ×4, first 2 shown]
	s_waitcnt vmcnt(2)
	v_add_f64 v[0:1], v[111:112], -v[0:1]
	s_waitcnt vmcnt(0)
	v_add_f64 v[2:3], v[113:114], -v[2:3]
	buffer_store_dword v1, off, s[0:3], 0 offset:20
	buffer_store_dword v0, off, s[0:3], 0 offset:16
	;; [unrolled: 1-line block ×4, first 2 shown]
	s_cbranch_vccz .LBB80_148
; %bb.116:
	v_mov_b32_e32 v0, 0
	global_load_dword v1, v0, s[12:13] offset:60
	s_waitcnt vmcnt(0)
	v_add_nc_u32_e32 v1, -1, v1
	v_cmp_ne_u32_e32 vcc_lo, 15, v1
	s_cbranch_vccz .LBB80_118
; %bb.117:
	v_lshlrev_b32_e32 v1, 4, v1
	v_mov_b32_e32 v2, s9
	v_add_nc_u32_e32 v1, 16, v1
	s_clause 0x7
	buffer_load_dword v3, v1, s[0:3], 0 offen
	buffer_load_dword v4, v1, s[0:3], 0 offen offset:4
	buffer_load_dword v39, v1, s[0:3], 0 offen offset:8
	buffer_load_dword v40, v1, s[0:3], 0 offen offset:12
	buffer_load_dword v41, v2, s[0:3], 0 offen offset:12
	buffer_load_dword v42, v2, s[0:3], 0 offen offset:8
	buffer_load_dword v43, v2, s[0:3], 0 offen offset:4
	buffer_load_dword v44, v2, s[0:3], 0 offen
	s_waitcnt vmcnt(7)
	buffer_store_dword v3, v2, s[0:3], 0 offen
	s_waitcnt vmcnt(6)
	buffer_store_dword v4, v2, s[0:3], 0 offen offset:4
	s_waitcnt vmcnt(5)
	buffer_store_dword v39, v2, s[0:3], 0 offen offset:8
	;; [unrolled: 2-line block ×6, first 2 shown]
	s_waitcnt vmcnt(0)
	buffer_store_dword v44, v1, s[0:3], 0 offen
.LBB80_118:
	global_load_dword v0, v0, s[12:13] offset:56
	s_waitcnt vmcnt(0)
	v_add_nc_u32_e32 v0, -1, v0
	v_cmp_eq_u32_e32 vcc_lo, 14, v0
	s_cbranch_vccnz .LBB80_120
; %bb.119:
	v_lshlrev_b32_e32 v0, 4, v0
	v_mov_b32_e32 v1, s14
	v_add_nc_u32_e32 v0, 16, v0
	s_clause 0x7
	buffer_load_dword v2, v0, s[0:3], 0 offen
	buffer_load_dword v3, v0, s[0:3], 0 offen offset:4
	buffer_load_dword v4, v0, s[0:3], 0 offen offset:8
	;; [unrolled: 1-line block ×6, first 2 shown]
	buffer_load_dword v43, v1, s[0:3], 0 offen
	s_waitcnt vmcnt(7)
	buffer_store_dword v2, v1, s[0:3], 0 offen
	s_waitcnt vmcnt(6)
	buffer_store_dword v3, v1, s[0:3], 0 offen offset:4
	s_waitcnt vmcnt(5)
	buffer_store_dword v4, v1, s[0:3], 0 offen offset:8
	;; [unrolled: 2-line block ×6, first 2 shown]
	s_waitcnt vmcnt(0)
	buffer_store_dword v43, v0, s[0:3], 0 offen
.LBB80_120:
	v_mov_b32_e32 v0, 0
	global_load_dword v1, v0, s[12:13] offset:52
	s_waitcnt vmcnt(0)
	v_add_nc_u32_e32 v1, -1, v1
	v_cmp_eq_u32_e32 vcc_lo, 13, v1
	s_cbranch_vccnz .LBB80_122
; %bb.121:
	v_lshlrev_b32_e32 v1, 4, v1
	v_mov_b32_e32 v2, s15
	v_add_nc_u32_e32 v1, 16, v1
	s_clause 0x7
	buffer_load_dword v3, v1, s[0:3], 0 offen
	buffer_load_dword v4, v1, s[0:3], 0 offen offset:4
	buffer_load_dword v39, v1, s[0:3], 0 offen offset:8
	buffer_load_dword v40, v1, s[0:3], 0 offen offset:12
	buffer_load_dword v41, v2, s[0:3], 0 offen offset:12
	buffer_load_dword v42, v2, s[0:3], 0 offen offset:8
	buffer_load_dword v43, v2, s[0:3], 0 offen offset:4
	buffer_load_dword v44, v2, s[0:3], 0 offen
	s_waitcnt vmcnt(7)
	buffer_store_dword v3, v2, s[0:3], 0 offen
	s_waitcnt vmcnt(6)
	buffer_store_dword v4, v2, s[0:3], 0 offen offset:4
	s_waitcnt vmcnt(5)
	buffer_store_dword v39, v2, s[0:3], 0 offen offset:8
	;; [unrolled: 2-line block ×6, first 2 shown]
	s_waitcnt vmcnt(0)
	buffer_store_dword v44, v1, s[0:3], 0 offen
.LBB80_122:
	global_load_dword v0, v0, s[12:13] offset:48
	s_waitcnt vmcnt(0)
	v_add_nc_u32_e32 v0, -1, v0
	v_cmp_eq_u32_e32 vcc_lo, 12, v0
	s_cbranch_vccnz .LBB80_124
; %bb.123:
	v_lshlrev_b32_e32 v0, 4, v0
	v_mov_b32_e32 v1, s16
	v_add_nc_u32_e32 v0, 16, v0
	s_clause 0x7
	buffer_load_dword v2, v0, s[0:3], 0 offen
	buffer_load_dword v3, v0, s[0:3], 0 offen offset:4
	buffer_load_dword v4, v0, s[0:3], 0 offen offset:8
	;; [unrolled: 1-line block ×6, first 2 shown]
	buffer_load_dword v43, v1, s[0:3], 0 offen
	s_waitcnt vmcnt(7)
	buffer_store_dword v2, v1, s[0:3], 0 offen
	s_waitcnt vmcnt(6)
	buffer_store_dword v3, v1, s[0:3], 0 offen offset:4
	s_waitcnt vmcnt(5)
	buffer_store_dword v4, v1, s[0:3], 0 offen offset:8
	;; [unrolled: 2-line block ×6, first 2 shown]
	s_waitcnt vmcnt(0)
	buffer_store_dword v43, v0, s[0:3], 0 offen
.LBB80_124:
	v_mov_b32_e32 v0, 0
	global_load_dword v1, v0, s[12:13] offset:44
	s_waitcnt vmcnt(0)
	v_add_nc_u32_e32 v1, -1, v1
	v_cmp_eq_u32_e32 vcc_lo, 11, v1
	s_cbranch_vccnz .LBB80_126
; %bb.125:
	v_lshlrev_b32_e32 v1, 4, v1
	v_mov_b32_e32 v2, s17
	v_add_nc_u32_e32 v1, 16, v1
	s_clause 0x7
	buffer_load_dword v3, v1, s[0:3], 0 offen
	buffer_load_dword v4, v1, s[0:3], 0 offen offset:4
	buffer_load_dword v39, v1, s[0:3], 0 offen offset:8
	;; [unrolled: 1-line block ×6, first 2 shown]
	buffer_load_dword v44, v2, s[0:3], 0 offen
	s_waitcnt vmcnt(7)
	buffer_store_dword v3, v2, s[0:3], 0 offen
	s_waitcnt vmcnt(6)
	buffer_store_dword v4, v2, s[0:3], 0 offen offset:4
	s_waitcnt vmcnt(5)
	buffer_store_dword v39, v2, s[0:3], 0 offen offset:8
	;; [unrolled: 2-line block ×6, first 2 shown]
	s_waitcnt vmcnt(0)
	buffer_store_dword v44, v1, s[0:3], 0 offen
.LBB80_126:
	global_load_dword v0, v0, s[12:13] offset:40
	s_waitcnt vmcnt(0)
	v_add_nc_u32_e32 v0, -1, v0
	v_cmp_eq_u32_e32 vcc_lo, 10, v0
	s_cbranch_vccnz .LBB80_128
; %bb.127:
	v_lshlrev_b32_e32 v0, 4, v0
	v_mov_b32_e32 v1, s18
	v_add_nc_u32_e32 v0, 16, v0
	s_clause 0x7
	buffer_load_dword v2, v0, s[0:3], 0 offen
	buffer_load_dword v3, v0, s[0:3], 0 offen offset:4
	buffer_load_dword v4, v0, s[0:3], 0 offen offset:8
	buffer_load_dword v39, v0, s[0:3], 0 offen offset:12
	buffer_load_dword v40, v1, s[0:3], 0 offen offset:12
	buffer_load_dword v41, v1, s[0:3], 0 offen offset:8
	buffer_load_dword v42, v1, s[0:3], 0 offen offset:4
	buffer_load_dword v43, v1, s[0:3], 0 offen
	s_waitcnt vmcnt(7)
	buffer_store_dword v2, v1, s[0:3], 0 offen
	s_waitcnt vmcnt(6)
	buffer_store_dword v3, v1, s[0:3], 0 offen offset:4
	s_waitcnt vmcnt(5)
	buffer_store_dword v4, v1, s[0:3], 0 offen offset:8
	;; [unrolled: 2-line block ×6, first 2 shown]
	s_waitcnt vmcnt(0)
	buffer_store_dword v43, v0, s[0:3], 0 offen
.LBB80_128:
	v_mov_b32_e32 v0, 0
	global_load_dword v1, v0, s[12:13] offset:36
	s_waitcnt vmcnt(0)
	v_add_nc_u32_e32 v1, -1, v1
	v_cmp_eq_u32_e32 vcc_lo, 9, v1
	s_cbranch_vccnz .LBB80_130
; %bb.129:
	v_lshlrev_b32_e32 v1, 4, v1
	v_mov_b32_e32 v2, s19
	v_add_nc_u32_e32 v1, 16, v1
	s_clause 0x7
	buffer_load_dword v3, v1, s[0:3], 0 offen
	buffer_load_dword v4, v1, s[0:3], 0 offen offset:4
	buffer_load_dword v39, v1, s[0:3], 0 offen offset:8
	;; [unrolled: 1-line block ×6, first 2 shown]
	buffer_load_dword v44, v2, s[0:3], 0 offen
	s_waitcnt vmcnt(7)
	buffer_store_dword v3, v2, s[0:3], 0 offen
	s_waitcnt vmcnt(6)
	buffer_store_dword v4, v2, s[0:3], 0 offen offset:4
	s_waitcnt vmcnt(5)
	buffer_store_dword v39, v2, s[0:3], 0 offen offset:8
	;; [unrolled: 2-line block ×6, first 2 shown]
	s_waitcnt vmcnt(0)
	buffer_store_dword v44, v1, s[0:3], 0 offen
.LBB80_130:
	global_load_dword v0, v0, s[12:13] offset:32
	s_waitcnt vmcnt(0)
	v_add_nc_u32_e32 v0, -1, v0
	v_cmp_eq_u32_e32 vcc_lo, 8, v0
	s_cbranch_vccnz .LBB80_132
; %bb.131:
	v_lshlrev_b32_e32 v0, 4, v0
	v_mov_b32_e32 v1, s20
	v_add_nc_u32_e32 v0, 16, v0
	s_clause 0x7
	buffer_load_dword v2, v0, s[0:3], 0 offen
	buffer_load_dword v3, v0, s[0:3], 0 offen offset:4
	buffer_load_dword v4, v0, s[0:3], 0 offen offset:8
	;; [unrolled: 1-line block ×6, first 2 shown]
	buffer_load_dword v43, v1, s[0:3], 0 offen
	s_waitcnt vmcnt(7)
	buffer_store_dword v2, v1, s[0:3], 0 offen
	s_waitcnt vmcnt(6)
	buffer_store_dword v3, v1, s[0:3], 0 offen offset:4
	s_waitcnt vmcnt(5)
	buffer_store_dword v4, v1, s[0:3], 0 offen offset:8
	;; [unrolled: 2-line block ×6, first 2 shown]
	s_waitcnt vmcnt(0)
	buffer_store_dword v43, v0, s[0:3], 0 offen
.LBB80_132:
	v_mov_b32_e32 v0, 0
	global_load_dword v1, v0, s[12:13] offset:28
	s_waitcnt vmcnt(0)
	v_add_nc_u32_e32 v1, -1, v1
	v_cmp_eq_u32_e32 vcc_lo, 7, v1
	s_cbranch_vccnz .LBB80_134
; %bb.133:
	v_lshlrev_b32_e32 v1, 4, v1
	v_mov_b32_e32 v2, s21
	v_add_nc_u32_e32 v1, 16, v1
	s_clause 0x7
	buffer_load_dword v3, v1, s[0:3], 0 offen
	buffer_load_dword v4, v1, s[0:3], 0 offen offset:4
	buffer_load_dword v39, v1, s[0:3], 0 offen offset:8
	;; [unrolled: 1-line block ×6, first 2 shown]
	buffer_load_dword v44, v2, s[0:3], 0 offen
	s_waitcnt vmcnt(7)
	buffer_store_dword v3, v2, s[0:3], 0 offen
	s_waitcnt vmcnt(6)
	buffer_store_dword v4, v2, s[0:3], 0 offen offset:4
	s_waitcnt vmcnt(5)
	buffer_store_dword v39, v2, s[0:3], 0 offen offset:8
	;; [unrolled: 2-line block ×6, first 2 shown]
	s_waitcnt vmcnt(0)
	buffer_store_dword v44, v1, s[0:3], 0 offen
.LBB80_134:
	global_load_dword v0, v0, s[12:13] offset:24
	s_waitcnt vmcnt(0)
	v_add_nc_u32_e32 v0, -1, v0
	v_cmp_eq_u32_e32 vcc_lo, 6, v0
	s_cbranch_vccnz .LBB80_136
; %bb.135:
	v_lshlrev_b32_e32 v0, 4, v0
	v_mov_b32_e32 v1, s22
	v_add_nc_u32_e32 v0, 16, v0
	s_clause 0x7
	buffer_load_dword v2, v0, s[0:3], 0 offen
	buffer_load_dword v3, v0, s[0:3], 0 offen offset:4
	buffer_load_dword v4, v0, s[0:3], 0 offen offset:8
	;; [unrolled: 1-line block ×6, first 2 shown]
	buffer_load_dword v43, v1, s[0:3], 0 offen
	s_waitcnt vmcnt(7)
	buffer_store_dword v2, v1, s[0:3], 0 offen
	s_waitcnt vmcnt(6)
	buffer_store_dword v3, v1, s[0:3], 0 offen offset:4
	s_waitcnt vmcnt(5)
	buffer_store_dword v4, v1, s[0:3], 0 offen offset:8
	;; [unrolled: 2-line block ×6, first 2 shown]
	s_waitcnt vmcnt(0)
	buffer_store_dword v43, v0, s[0:3], 0 offen
.LBB80_136:
	v_mov_b32_e32 v0, 0
	global_load_dword v1, v0, s[12:13] offset:20
	s_waitcnt vmcnt(0)
	v_add_nc_u32_e32 v1, -1, v1
	v_cmp_eq_u32_e32 vcc_lo, 5, v1
	s_cbranch_vccnz .LBB80_138
; %bb.137:
	v_lshlrev_b32_e32 v1, 4, v1
	v_mov_b32_e32 v2, s23
	v_add_nc_u32_e32 v1, 16, v1
	s_clause 0x7
	buffer_load_dword v3, v1, s[0:3], 0 offen
	buffer_load_dword v4, v1, s[0:3], 0 offen offset:4
	buffer_load_dword v39, v1, s[0:3], 0 offen offset:8
	buffer_load_dword v40, v1, s[0:3], 0 offen offset:12
	buffer_load_dword v41, v2, s[0:3], 0 offen offset:12
	buffer_load_dword v42, v2, s[0:3], 0 offen offset:8
	buffer_load_dword v43, v2, s[0:3], 0 offen offset:4
	buffer_load_dword v44, v2, s[0:3], 0 offen
	s_waitcnt vmcnt(7)
	buffer_store_dword v3, v2, s[0:3], 0 offen
	s_waitcnt vmcnt(6)
	buffer_store_dword v4, v2, s[0:3], 0 offen offset:4
	s_waitcnt vmcnt(5)
	buffer_store_dword v39, v2, s[0:3], 0 offen offset:8
	;; [unrolled: 2-line block ×6, first 2 shown]
	s_waitcnt vmcnt(0)
	buffer_store_dword v44, v1, s[0:3], 0 offen
.LBB80_138:
	global_load_dword v0, v0, s[12:13] offset:16
	s_waitcnt vmcnt(0)
	v_add_nc_u32_e32 v0, -1, v0
	v_cmp_eq_u32_e32 vcc_lo, 4, v0
	s_cbranch_vccnz .LBB80_140
; %bb.139:
	v_lshlrev_b32_e32 v0, 4, v0
	v_mov_b32_e32 v1, s24
	v_add_nc_u32_e32 v0, 16, v0
	s_clause 0x7
	buffer_load_dword v2, v0, s[0:3], 0 offen
	buffer_load_dword v3, v0, s[0:3], 0 offen offset:4
	buffer_load_dword v4, v0, s[0:3], 0 offen offset:8
	;; [unrolled: 1-line block ×6, first 2 shown]
	buffer_load_dword v43, v1, s[0:3], 0 offen
	s_waitcnt vmcnt(7)
	buffer_store_dword v2, v1, s[0:3], 0 offen
	s_waitcnt vmcnt(6)
	buffer_store_dword v3, v1, s[0:3], 0 offen offset:4
	s_waitcnt vmcnt(5)
	buffer_store_dword v4, v1, s[0:3], 0 offen offset:8
	;; [unrolled: 2-line block ×6, first 2 shown]
	s_waitcnt vmcnt(0)
	buffer_store_dword v43, v0, s[0:3], 0 offen
.LBB80_140:
	v_mov_b32_e32 v0, 0
	global_load_dword v1, v0, s[12:13] offset:12
	s_waitcnt vmcnt(0)
	v_add_nc_u32_e32 v1, -1, v1
	v_cmp_eq_u32_e32 vcc_lo, 3, v1
	s_cbranch_vccnz .LBB80_142
; %bb.141:
	v_lshlrev_b32_e32 v1, 4, v1
	v_mov_b32_e32 v2, s25
	v_add_nc_u32_e32 v1, 16, v1
	s_clause 0x7
	buffer_load_dword v3, v1, s[0:3], 0 offen
	buffer_load_dword v4, v1, s[0:3], 0 offen offset:4
	buffer_load_dword v39, v1, s[0:3], 0 offen offset:8
	;; [unrolled: 1-line block ×6, first 2 shown]
	buffer_load_dword v44, v2, s[0:3], 0 offen
	s_waitcnt vmcnt(7)
	buffer_store_dword v3, v2, s[0:3], 0 offen
	s_waitcnt vmcnt(6)
	buffer_store_dword v4, v2, s[0:3], 0 offen offset:4
	s_waitcnt vmcnt(5)
	buffer_store_dword v39, v2, s[0:3], 0 offen offset:8
	;; [unrolled: 2-line block ×6, first 2 shown]
	s_waitcnt vmcnt(0)
	buffer_store_dword v44, v1, s[0:3], 0 offen
.LBB80_142:
	global_load_dword v0, v0, s[12:13] offset:8
	s_waitcnt vmcnt(0)
	v_add_nc_u32_e32 v0, -1, v0
	v_cmp_eq_u32_e32 vcc_lo, 2, v0
	s_cbranch_vccnz .LBB80_144
; %bb.143:
	v_lshlrev_b32_e32 v0, 4, v0
	v_mov_b32_e32 v1, s26
	v_add_nc_u32_e32 v0, 16, v0
	s_clause 0x7
	buffer_load_dword v2, v0, s[0:3], 0 offen
	buffer_load_dword v3, v0, s[0:3], 0 offen offset:4
	buffer_load_dword v4, v0, s[0:3], 0 offen offset:8
	;; [unrolled: 1-line block ×6, first 2 shown]
	buffer_load_dword v43, v1, s[0:3], 0 offen
	s_waitcnt vmcnt(7)
	buffer_store_dword v2, v1, s[0:3], 0 offen
	s_waitcnt vmcnt(6)
	buffer_store_dword v3, v1, s[0:3], 0 offen offset:4
	s_waitcnt vmcnt(5)
	buffer_store_dword v4, v1, s[0:3], 0 offen offset:8
	;; [unrolled: 2-line block ×6, first 2 shown]
	s_waitcnt vmcnt(0)
	buffer_store_dword v43, v0, s[0:3], 0 offen
.LBB80_144:
	v_mov_b32_e32 v0, 0
	global_load_dword v1, v0, s[12:13] offset:4
	s_waitcnt vmcnt(0)
	v_add_nc_u32_e32 v1, -1, v1
	v_cmp_eq_u32_e32 vcc_lo, 1, v1
	s_cbranch_vccnz .LBB80_146
; %bb.145:
	v_lshlrev_b32_e32 v1, 4, v1
	v_mov_b32_e32 v2, s27
	v_add_nc_u32_e32 v1, 16, v1
	s_clause 0x7
	buffer_load_dword v3, v1, s[0:3], 0 offen
	buffer_load_dword v4, v1, s[0:3], 0 offen offset:4
	buffer_load_dword v39, v1, s[0:3], 0 offen offset:8
	;; [unrolled: 1-line block ×6, first 2 shown]
	buffer_load_dword v44, v2, s[0:3], 0 offen
	s_waitcnt vmcnt(7)
	buffer_store_dword v3, v2, s[0:3], 0 offen
	s_waitcnt vmcnt(6)
	buffer_store_dword v4, v2, s[0:3], 0 offen offset:4
	s_waitcnt vmcnt(5)
	buffer_store_dword v39, v2, s[0:3], 0 offen offset:8
	;; [unrolled: 2-line block ×6, first 2 shown]
	s_waitcnt vmcnt(0)
	buffer_store_dword v44, v1, s[0:3], 0 offen
.LBB80_146:
	global_load_dword v0, v0, s[12:13]
	s_waitcnt vmcnt(0)
	v_add_nc_u32_e32 v0, -1, v0
	v_cmp_eq_u32_e32 vcc_lo, 0, v0
	s_cbranch_vccnz .LBB80_148
; %bb.147:
	v_lshlrev_b32_e32 v0, 4, v0
	v_add_nc_u32_e32 v0, 16, v0
	s_clause 0x7
	buffer_load_dword v1, v0, s[0:3], 0 offen
	buffer_load_dword v2, v0, s[0:3], 0 offen offset:4
	buffer_load_dword v3, v0, s[0:3], 0 offen offset:8
	;; [unrolled: 1-line block ×3, first 2 shown]
	buffer_load_dword v39, off, s[0:3], 0 offset:28
	buffer_load_dword v40, off, s[0:3], 0 offset:24
	buffer_load_dword v41, off, s[0:3], 0 offset:20
	buffer_load_dword v42, off, s[0:3], 0 offset:16
	s_waitcnt vmcnt(7)
	buffer_store_dword v1, off, s[0:3], 0 offset:16
	s_waitcnt vmcnt(6)
	buffer_store_dword v2, off, s[0:3], 0 offset:20
	;; [unrolled: 2-line block ×4, first 2 shown]
	s_waitcnt vmcnt(3)
	buffer_store_dword v39, v0, s[0:3], 0 offen offset:12
	s_waitcnt vmcnt(2)
	buffer_store_dword v40, v0, s[0:3], 0 offen offset:8
	;; [unrolled: 2-line block ×3, first 2 shown]
	s_waitcnt vmcnt(0)
	buffer_store_dword v42, v0, s[0:3], 0 offen
.LBB80_148:
	s_clause 0x3
	buffer_load_dword v0, off, s[0:3], 0 offset:16
	buffer_load_dword v1, off, s[0:3], 0 offset:20
	buffer_load_dword v2, off, s[0:3], 0 offset:24
	buffer_load_dword v3, off, s[0:3], 0 offset:28
	v_mov_b32_e32 v4, s27
	s_waitcnt vmcnt(0)
	flat_store_dwordx4 v[5:6], v[0:3]
	s_clause 0x3
	buffer_load_dword v0, v4, s[0:3], 0 offen
	buffer_load_dword v1, v4, s[0:3], 0 offen offset:4
	buffer_load_dword v2, v4, s[0:3], 0 offen offset:8
	buffer_load_dword v3, v4, s[0:3], 0 offen offset:12
	v_mov_b32_e32 v4, s26
	s_waitcnt vmcnt(0)
	flat_store_dwordx4 v[7:8], v[0:3]
	s_clause 0x3
	buffer_load_dword v0, v4, s[0:3], 0 offen
	buffer_load_dword v1, v4, s[0:3], 0 offen offset:4
	buffer_load_dword v2, v4, s[0:3], 0 offen offset:8
	buffer_load_dword v3, v4, s[0:3], 0 offen offset:12
	;; [unrolled: 8-line block ×16, first 2 shown]
	s_waitcnt vmcnt(0)
	flat_store_dwordx4 v[37:38], v[0:3]
	s_endpgm
	.section	.rodata,"a",@progbits
	.p2align	6, 0x0
	.amdhsa_kernel _ZN9rocsolver6v33100L18getri_kernel_smallILi17E19rocblas_complex_numIdEPKPS3_EEvT1_iilPiilS8_bb
		.amdhsa_group_segment_fixed_size 552
		.amdhsa_private_segment_fixed_size 304
		.amdhsa_kernarg_size 60
		.amdhsa_user_sgpr_count 6
		.amdhsa_user_sgpr_private_segment_buffer 1
		.amdhsa_user_sgpr_dispatch_ptr 0
		.amdhsa_user_sgpr_queue_ptr 0
		.amdhsa_user_sgpr_kernarg_segment_ptr 1
		.amdhsa_user_sgpr_dispatch_id 0
		.amdhsa_user_sgpr_flat_scratch_init 0
		.amdhsa_user_sgpr_private_segment_size 0
		.amdhsa_wavefront_size32 1
		.amdhsa_uses_dynamic_stack 0
		.amdhsa_system_sgpr_private_segment_wavefront_offset 1
		.amdhsa_system_sgpr_workgroup_id_x 1
		.amdhsa_system_sgpr_workgroup_id_y 0
		.amdhsa_system_sgpr_workgroup_id_z 0
		.amdhsa_system_sgpr_workgroup_info 0
		.amdhsa_system_vgpr_workitem_id 0
		.amdhsa_next_free_vgpr 117
		.amdhsa_next_free_sgpr 36
		.amdhsa_reserve_vcc 1
		.amdhsa_reserve_flat_scratch 0
		.amdhsa_float_round_mode_32 0
		.amdhsa_float_round_mode_16_64 0
		.amdhsa_float_denorm_mode_32 3
		.amdhsa_float_denorm_mode_16_64 3
		.amdhsa_dx10_clamp 1
		.amdhsa_ieee_mode 1
		.amdhsa_fp16_overflow 0
		.amdhsa_workgroup_processor_mode 1
		.amdhsa_memory_ordered 1
		.amdhsa_forward_progress 1
		.amdhsa_shared_vgpr_count 0
		.amdhsa_exception_fp_ieee_invalid_op 0
		.amdhsa_exception_fp_denorm_src 0
		.amdhsa_exception_fp_ieee_div_zero 0
		.amdhsa_exception_fp_ieee_overflow 0
		.amdhsa_exception_fp_ieee_underflow 0
		.amdhsa_exception_fp_ieee_inexact 0
		.amdhsa_exception_int_div_zero 0
	.end_amdhsa_kernel
	.section	.text._ZN9rocsolver6v33100L18getri_kernel_smallILi17E19rocblas_complex_numIdEPKPS3_EEvT1_iilPiilS8_bb,"axG",@progbits,_ZN9rocsolver6v33100L18getri_kernel_smallILi17E19rocblas_complex_numIdEPKPS3_EEvT1_iilPiilS8_bb,comdat
.Lfunc_end80:
	.size	_ZN9rocsolver6v33100L18getri_kernel_smallILi17E19rocblas_complex_numIdEPKPS3_EEvT1_iilPiilS8_bb, .Lfunc_end80-_ZN9rocsolver6v33100L18getri_kernel_smallILi17E19rocblas_complex_numIdEPKPS3_EEvT1_iilPiilS8_bb
                                        ; -- End function
	.set _ZN9rocsolver6v33100L18getri_kernel_smallILi17E19rocblas_complex_numIdEPKPS3_EEvT1_iilPiilS8_bb.num_vgpr, 117
	.set _ZN9rocsolver6v33100L18getri_kernel_smallILi17E19rocblas_complex_numIdEPKPS3_EEvT1_iilPiilS8_bb.num_agpr, 0
	.set _ZN9rocsolver6v33100L18getri_kernel_smallILi17E19rocblas_complex_numIdEPKPS3_EEvT1_iilPiilS8_bb.numbered_sgpr, 36
	.set _ZN9rocsolver6v33100L18getri_kernel_smallILi17E19rocblas_complex_numIdEPKPS3_EEvT1_iilPiilS8_bb.num_named_barrier, 0
	.set _ZN9rocsolver6v33100L18getri_kernel_smallILi17E19rocblas_complex_numIdEPKPS3_EEvT1_iilPiilS8_bb.private_seg_size, 304
	.set _ZN9rocsolver6v33100L18getri_kernel_smallILi17E19rocblas_complex_numIdEPKPS3_EEvT1_iilPiilS8_bb.uses_vcc, 1
	.set _ZN9rocsolver6v33100L18getri_kernel_smallILi17E19rocblas_complex_numIdEPKPS3_EEvT1_iilPiilS8_bb.uses_flat_scratch, 0
	.set _ZN9rocsolver6v33100L18getri_kernel_smallILi17E19rocblas_complex_numIdEPKPS3_EEvT1_iilPiilS8_bb.has_dyn_sized_stack, 0
	.set _ZN9rocsolver6v33100L18getri_kernel_smallILi17E19rocblas_complex_numIdEPKPS3_EEvT1_iilPiilS8_bb.has_recursion, 0
	.set _ZN9rocsolver6v33100L18getri_kernel_smallILi17E19rocblas_complex_numIdEPKPS3_EEvT1_iilPiilS8_bb.has_indirect_call, 0
	.section	.AMDGPU.csdata,"",@progbits
; Kernel info:
; codeLenInByte = 29212
; TotalNumSgprs: 38
; NumVgprs: 117
; ScratchSize: 304
; MemoryBound: 0
; FloatMode: 240
; IeeeMode: 1
; LDSByteSize: 552 bytes/workgroup (compile time only)
; SGPRBlocks: 0
; VGPRBlocks: 14
; NumSGPRsForWavesPerEU: 38
; NumVGPRsForWavesPerEU: 117
; Occupancy: 8
; WaveLimiterHint : 1
; COMPUTE_PGM_RSRC2:SCRATCH_EN: 1
; COMPUTE_PGM_RSRC2:USER_SGPR: 6
; COMPUTE_PGM_RSRC2:TRAP_HANDLER: 0
; COMPUTE_PGM_RSRC2:TGID_X_EN: 1
; COMPUTE_PGM_RSRC2:TGID_Y_EN: 0
; COMPUTE_PGM_RSRC2:TGID_Z_EN: 0
; COMPUTE_PGM_RSRC2:TIDIG_COMP_CNT: 0
	.section	.text._ZN9rocsolver6v33100L18getri_kernel_smallILi18E19rocblas_complex_numIdEPKPS3_EEvT1_iilPiilS8_bb,"axG",@progbits,_ZN9rocsolver6v33100L18getri_kernel_smallILi18E19rocblas_complex_numIdEPKPS3_EEvT1_iilPiilS8_bb,comdat
	.globl	_ZN9rocsolver6v33100L18getri_kernel_smallILi18E19rocblas_complex_numIdEPKPS3_EEvT1_iilPiilS8_bb ; -- Begin function _ZN9rocsolver6v33100L18getri_kernel_smallILi18E19rocblas_complex_numIdEPKPS3_EEvT1_iilPiilS8_bb
	.p2align	8
	.type	_ZN9rocsolver6v33100L18getri_kernel_smallILi18E19rocblas_complex_numIdEPKPS3_EEvT1_iilPiilS8_bb,@function
_ZN9rocsolver6v33100L18getri_kernel_smallILi18E19rocblas_complex_numIdEPKPS3_EEvT1_iilPiilS8_bb: ; @_ZN9rocsolver6v33100L18getri_kernel_smallILi18E19rocblas_complex_numIdEPKPS3_EEvT1_iilPiilS8_bb
; %bb.0:
	s_add_u32 s0, s0, s7
	s_addc_u32 s1, s1, 0
	s_mov_b32 s7, exec_lo
	v_cmpx_gt_u32_e32 18, v0
	s_cbranch_execz .LBB81_86
; %bb.1:
	s_clause 0x2
	s_load_dword s16, s[4:5], 0x38
	s_load_dwordx2 s[12:13], s[4:5], 0x0
	s_load_dwordx4 s[8:11], s[4:5], 0x28
	s_waitcnt lgkmcnt(0)
	s_bitcmp1_b32 s16, 8
	s_cselect_b32 s29, -1, 0
	s_ashr_i32 s7, s6, 31
	s_lshl_b64 s[14:15], s[6:7], 3
	s_add_u32 s12, s12, s14
	s_addc_u32 s13, s13, s15
	s_load_dwordx2 s[14:15], s[12:13], 0x0
	s_bfe_u32 s12, s16, 0x10008
	s_cmp_eq_u32 s12, 0
                                        ; implicit-def: $sgpr12_sgpr13
	s_cbranch_scc1 .LBB81_3
; %bb.2:
	s_clause 0x1
	s_load_dword s12, s[4:5], 0x20
	s_load_dwordx2 s[16:17], s[4:5], 0x18
	s_mul_i32 s13, s8, s7
	s_mul_hi_u32 s18, s8, s6
	s_mul_i32 s9, s9, s6
	s_add_i32 s13, s18, s13
	s_mul_i32 s8, s8, s6
	s_add_i32 s9, s13, s9
	s_lshl_b64 s[8:9], s[8:9], 2
	s_waitcnt lgkmcnt(0)
	s_ashr_i32 s13, s12, 31
	s_add_u32 s16, s16, s8
	s_addc_u32 s17, s17, s9
	s_lshl_b64 s[8:9], s[12:13], 2
	s_add_u32 s12, s16, s8
	s_addc_u32 s13, s17, s9
.LBB81_3:
	s_clause 0x1
	s_load_dwordx2 s[8:9], s[4:5], 0x8
	s_load_dword s4, s[4:5], 0x38
	v_lshlrev_b32_e32 v47, 4, v0
	s_movk_i32 s18, 0xb0
	s_movk_i32 s30, 0xc0
	;; [unrolled: 1-line block ×7, first 2 shown]
	s_mov_b32 s28, 32
	s_mov_b32 s27, 48
	s_mov_b32 s26, 64
	s_movk_i32 s25, 0x50
	s_waitcnt lgkmcnt(0)
	s_ashr_i32 s17, s8, 31
	s_mov_b32 s16, s8
	v_add3_u32 v11, s9, s9, v0
	s_lshl_b64 s[16:17], s[16:17], 4
	s_add_u32 s5, s14, s16
	s_addc_u32 s8, s15, s17
	v_add_co_u32 v5, s14, s5, v47
	v_add_co_ci_u32_e64 v6, null, s8, 0, s14
	s_mov_b32 s14, s9
	s_ashr_i32 s15, s9, 31
	v_ashrrev_i32_e32 v12, 31, v11
	flat_load_dwordx4 v[1:4], v[5:6]
	s_lshl_b64 s[14:15], s[14:15], 4
	v_add_nc_u32_e32 v13, s9, v11
	v_add_co_u32 v7, vcc_lo, v5, s14
	v_add_co_ci_u32_e64 v8, null, s15, v6, vcc_lo
	v_lshlrev_b64 v[9:10], 4, v[11:12]
	v_ashrrev_i32_e32 v14, 31, v13
	v_add_nc_u32_e32 v15, s9, v13
	s_movk_i32 s14, 0x70
	s_movk_i32 s15, 0x80
	;; [unrolled: 1-line block ×3, first 2 shown]
	v_add_co_u32 v9, vcc_lo, s5, v9
	v_add_co_ci_u32_e64 v10, null, s8, v10, vcc_lo
	v_lshlrev_b64 v[11:12], 4, v[13:14]
	v_ashrrev_i32_e32 v16, 31, v15
	v_add_nc_u32_e32 v17, s9, v15
	s_movk_i32 s17, 0xa0
	s_add_i32 s22, s14, 16
	s_add_i32 s21, s15, 16
	v_add_co_u32 v11, vcc_lo, s5, v11
	v_add_co_ci_u32_e64 v12, null, s8, v12, vcc_lo
	v_lshlrev_b64 v[13:14], 4, v[15:16]
	v_ashrrev_i32_e32 v18, 31, v17
	v_add_nc_u32_e32 v19, s9, v17
	s_add_i32 s20, s16, 16
	s_add_i32 s19, s17, 16
	s_add_i32 s18, s18, 16
	v_add_co_u32 v13, vcc_lo, s5, v13
	v_add_co_ci_u32_e64 v14, null, s8, v14, vcc_lo
	v_lshlrev_b64 v[15:16], 4, v[17:18]
	v_ashrrev_i32_e32 v20, 31, v19
	v_add_nc_u32_e32 v21, s9, v19
	s_add_i32 s17, s30, 16
	;; [unrolled: 8-line block ×3, first 2 shown]
	s_waitcnt vmcnt(0) lgkmcnt(0)
	buffer_store_dword v4, off, s[0:3], 0 offset:28
	buffer_store_dword v3, off, s[0:3], 0 offset:24
	buffer_store_dword v2, off, s[0:3], 0 offset:20
	buffer_store_dword v1, off, s[0:3], 0 offset:16
	flat_load_dwordx4 v[1:4], v[7:8]
	v_add_co_u32 v17, vcc_lo, s5, v17
	v_add_co_ci_u32_e64 v18, null, s8, v18, vcc_lo
	v_lshlrev_b64 v[19:20], 4, v[21:22]
	v_ashrrev_i32_e32 v24, 31, v23
	v_add_nc_u32_e32 v25, s9, v23
	s_waitcnt vmcnt(0) lgkmcnt(0)
	buffer_store_dword v4, off, s[0:3], 0 offset:44
	buffer_store_dword v3, off, s[0:3], 0 offset:40
	buffer_store_dword v2, off, s[0:3], 0 offset:36
	buffer_store_dword v1, off, s[0:3], 0 offset:32
	flat_load_dwordx4 v[1:4], v[9:10]
	v_add_co_u32 v19, vcc_lo, s5, v19
	v_add_co_ci_u32_e64 v20, null, s8, v20, vcc_lo
	v_lshlrev_b64 v[21:22], 4, v[23:24]
	v_ashrrev_i32_e32 v26, 31, v25
	v_add_nc_u32_e32 v27, s9, v25
	;; [unrolled: 11-line block ×8, first 2 shown]
	s_waitcnt vmcnt(0) lgkmcnt(0)
	buffer_store_dword v4, off, s[0:3], 0 offset:156
	buffer_store_dword v3, off, s[0:3], 0 offset:152
	;; [unrolled: 1-line block ×4, first 2 shown]
	flat_load_dwordx4 v[1:4], v[23:24]
	v_add_co_u32 v33, vcc_lo, s5, v33
	v_add_co_ci_u32_e64 v34, null, s8, v34, vcc_lo
	v_lshlrev_b64 v[35:36], 4, v[37:38]
	v_ashrrev_i32_e32 v40, 31, v39
	s_waitcnt vmcnt(0) lgkmcnt(0)
	buffer_store_dword v4, off, s[0:3], 0 offset:172
	buffer_store_dword v3, off, s[0:3], 0 offset:168
	;; [unrolled: 1-line block ×4, first 2 shown]
	flat_load_dwordx4 v[1:4], v[25:26]
	v_add_co_u32 v35, vcc_lo, s5, v35
	v_add_co_ci_u32_e64 v36, null, s8, v36, vcc_lo
	v_lshlrev_b64 v[37:38], 4, v[39:40]
	v_add_nc_u32_e32 v39, s9, v39
	s_movk_i32 s9, 0x60
	s_waitcnt vmcnt(0) lgkmcnt(0)
	buffer_store_dword v4, off, s[0:3], 0 offset:188
	buffer_store_dword v3, off, s[0:3], 0 offset:184
	;; [unrolled: 1-line block ×4, first 2 shown]
	flat_load_dwordx4 v[1:4], v[27:28]
	v_add_co_u32 v37, vcc_lo, s5, v37
	v_add_co_ci_u32_e64 v38, null, s8, v38, vcc_lo
	v_ashrrev_i32_e32 v40, 31, v39
	s_add_i32 s23, s9, 16
	s_add_i32 s9, s35, 16
	s_waitcnt vmcnt(0) lgkmcnt(0)
	buffer_store_dword v4, off, s[0:3], 0 offset:204
	buffer_store_dword v3, off, s[0:3], 0 offset:200
	;; [unrolled: 1-line block ×4, first 2 shown]
	flat_load_dwordx4 v[1:4], v[29:30]
	v_lshlrev_b64 v[39:40], 4, v[39:40]
	s_waitcnt vmcnt(0) lgkmcnt(0)
	buffer_store_dword v4, off, s[0:3], 0 offset:220
	buffer_store_dword v3, off, s[0:3], 0 offset:216
	;; [unrolled: 1-line block ×4, first 2 shown]
	flat_load_dwordx4 v[1:4], v[31:32]
	v_add_co_u32 v39, vcc_lo, s5, v39
	v_add_co_ci_u32_e64 v40, null, s8, v40, vcc_lo
	s_movk_i32 s8, 0x50
	s_mov_b32 s5, -1
	s_add_i32 s24, s8, 16
	s_add_i32 s8, s36, 16
	s_bitcmp0_b32 s4, 0
	s_waitcnt vmcnt(0) lgkmcnt(0)
	buffer_store_dword v4, off, s[0:3], 0 offset:236
	buffer_store_dword v3, off, s[0:3], 0 offset:232
	buffer_store_dword v2, off, s[0:3], 0 offset:228
	buffer_store_dword v1, off, s[0:3], 0 offset:224
	flat_load_dwordx4 v[1:4], v[33:34]
	s_waitcnt vmcnt(0) lgkmcnt(0)
	buffer_store_dword v4, off, s[0:3], 0 offset:252
	buffer_store_dword v3, off, s[0:3], 0 offset:248
	buffer_store_dword v2, off, s[0:3], 0 offset:244
	buffer_store_dword v1, off, s[0:3], 0 offset:240
	flat_load_dwordx4 v[1:4], v[35:36]
	;; [unrolled: 6-line block ×4, first 2 shown]
	s_waitcnt vmcnt(0) lgkmcnt(0)
	buffer_store_dword v4, off, s[0:3], 0 offset:300
	buffer_store_dword v3, off, s[0:3], 0 offset:296
	;; [unrolled: 1-line block ×4, first 2 shown]
	s_cbranch_scc1 .LBB81_84
; %bb.4:
	v_cmp_eq_u32_e64 s4, 0, v0
	s_and_saveexec_b32 s5, s4
; %bb.5:
	v_mov_b32_e32 v1, 0
	ds_write_b32 v1, v1 offset:576
; %bb.6:
	s_or_b32 exec_lo, exec_lo, s5
	v_lshl_add_u32 v48, v0, 4, 16
	s_waitcnt lgkmcnt(0)
	s_waitcnt_vscnt null, 0x0
	s_barrier
	buffer_gl0_inv
	s_clause 0x3
	buffer_load_dword v1, v48, s[0:3], 0 offen
	buffer_load_dword v2, v48, s[0:3], 0 offen offset:4
	buffer_load_dword v3, v48, s[0:3], 0 offen offset:8
	;; [unrolled: 1-line block ×3, first 2 shown]
	s_waitcnt vmcnt(2)
	v_cmp_eq_f64_e32 vcc_lo, 0, v[1:2]
	s_waitcnt vmcnt(0)
	v_cmp_eq_f64_e64 s5, 0, v[3:4]
	s_and_b32 s5, vcc_lo, s5
	s_and_saveexec_b32 s30, s5
	s_cbranch_execz .LBB81_10
; %bb.7:
	v_mov_b32_e32 v1, 0
	s_mov_b32 s31, 0
	ds_read_b32 v2, v1 offset:576
	s_waitcnt lgkmcnt(0)
	v_readfirstlane_b32 s5, v2
	v_add_nc_u32_e32 v2, 1, v0
	s_cmp_eq_u32 s5, 0
	v_cmp_gt_i32_e32 vcc_lo, s5, v2
	s_cselect_b32 s33, -1, 0
	s_or_b32 s33, s33, vcc_lo
	s_and_b32 exec_lo, exec_lo, s33
	s_cbranch_execz .LBB81_10
; %bb.8:
	v_mov_b32_e32 v3, s5
.LBB81_9:                               ; =>This Inner Loop Header: Depth=1
	ds_cmpst_rtn_b32 v3, v1, v3, v2 offset:576
	s_waitcnt lgkmcnt(0)
	v_cmp_ne_u32_e32 vcc_lo, 0, v3
	v_cmp_le_i32_e64 s5, v3, v2
	s_and_b32 s5, vcc_lo, s5
	s_and_b32 s5, exec_lo, s5
	s_or_b32 s31, s5, s31
	s_andn2_b32 exec_lo, exec_lo, s31
	s_cbranch_execnz .LBB81_9
.LBB81_10:
	s_or_b32 exec_lo, exec_lo, s30
	v_mov_b32_e32 v1, 0
	s_barrier
	buffer_gl0_inv
	ds_read_b32 v2, v1 offset:576
	s_and_saveexec_b32 s5, s4
	s_cbranch_execz .LBB81_12
; %bb.11:
	s_lshl_b64 s[30:31], s[6:7], 2
	s_add_u32 s30, s10, s30
	s_addc_u32 s31, s11, s31
	s_waitcnt lgkmcnt(0)
	global_store_dword v1, v2, s[30:31]
.LBB81_12:
	s_or_b32 exec_lo, exec_lo, s5
	s_waitcnt lgkmcnt(0)
	v_cmp_ne_u32_e32 vcc_lo, 0, v2
	s_mov_b32 s5, 0
	s_cbranch_vccnz .LBB81_84
; %bb.13:
	s_clause 0x3
	buffer_load_dword v43, v48, s[0:3], 0 offen
	buffer_load_dword v44, v48, s[0:3], 0 offen offset:4
	buffer_load_dword v45, v48, s[0:3], 0 offen offset:8
	;; [unrolled: 1-line block ×3, first 2 shown]
                                        ; implicit-def: $vgpr41_vgpr42
                                        ; implicit-def: $vgpr3_vgpr4
	s_waitcnt vmcnt(0)
	v_cmp_ngt_f64_e64 s5, |v[43:44]|, |v[45:46]|
	s_and_saveexec_b32 s30, s5
	s_xor_b32 s5, exec_lo, s30
	s_cbranch_execz .LBB81_15
; %bb.14:
	v_div_scale_f64 v[1:2], null, v[45:46], v[45:46], v[43:44]
	v_div_scale_f64 v[49:50], vcc_lo, v[43:44], v[45:46], v[43:44]
	v_rcp_f64_e32 v[3:4], v[1:2]
	v_fma_f64 v[41:42], -v[1:2], v[3:4], 1.0
	v_fma_f64 v[3:4], v[3:4], v[41:42], v[3:4]
	v_fma_f64 v[41:42], -v[1:2], v[3:4], 1.0
	v_fma_f64 v[3:4], v[3:4], v[41:42], v[3:4]
	v_mul_f64 v[41:42], v[49:50], v[3:4]
	v_fma_f64 v[1:2], -v[1:2], v[41:42], v[49:50]
	v_div_fmas_f64 v[1:2], v[1:2], v[3:4], v[41:42]
	v_div_fixup_f64 v[1:2], v[1:2], v[45:46], v[43:44]
	v_fma_f64 v[3:4], v[43:44], v[1:2], v[45:46]
	v_div_scale_f64 v[41:42], null, v[3:4], v[3:4], 1.0
	v_div_scale_f64 v[49:50], vcc_lo, 1.0, v[3:4], 1.0
	v_rcp_f64_e32 v[43:44], v[41:42]
	v_fma_f64 v[45:46], -v[41:42], v[43:44], 1.0
	v_fma_f64 v[43:44], v[43:44], v[45:46], v[43:44]
	v_fma_f64 v[45:46], -v[41:42], v[43:44], 1.0
	v_fma_f64 v[43:44], v[43:44], v[45:46], v[43:44]
	v_mul_f64 v[45:46], v[49:50], v[43:44]
	v_fma_f64 v[41:42], -v[41:42], v[45:46], v[49:50]
	v_div_fmas_f64 v[41:42], v[41:42], v[43:44], v[45:46]
                                        ; implicit-def: $vgpr43_vgpr44
                                        ; implicit-def: $vgpr45_vgpr46
	v_div_fixup_f64 v[3:4], v[41:42], v[3:4], 1.0
	v_mul_f64 v[41:42], v[1:2], v[3:4]
	v_xor_b32_e32 v4, 0x80000000, v4
	v_xor_b32_e32 v2, 0x80000000, v42
	v_mov_b32_e32 v1, v41
.LBB81_15:
	s_andn2_saveexec_b32 s5, s5
	s_cbranch_execz .LBB81_17
; %bb.16:
	v_div_scale_f64 v[1:2], null, v[43:44], v[43:44], v[45:46]
	v_div_scale_f64 v[49:50], vcc_lo, v[45:46], v[43:44], v[45:46]
	v_rcp_f64_e32 v[3:4], v[1:2]
	v_fma_f64 v[41:42], -v[1:2], v[3:4], 1.0
	v_fma_f64 v[3:4], v[3:4], v[41:42], v[3:4]
	v_fma_f64 v[41:42], -v[1:2], v[3:4], 1.0
	v_fma_f64 v[3:4], v[3:4], v[41:42], v[3:4]
	v_mul_f64 v[41:42], v[49:50], v[3:4]
	v_fma_f64 v[1:2], -v[1:2], v[41:42], v[49:50]
	v_div_fmas_f64 v[1:2], v[1:2], v[3:4], v[41:42]
	v_div_fixup_f64 v[1:2], v[1:2], v[43:44], v[45:46]
	v_fma_f64 v[3:4], v[45:46], v[1:2], v[43:44]
	v_div_scale_f64 v[41:42], null, v[3:4], v[3:4], 1.0
	v_rcp_f64_e32 v[43:44], v[41:42]
	v_fma_f64 v[45:46], -v[41:42], v[43:44], 1.0
	v_fma_f64 v[43:44], v[43:44], v[45:46], v[43:44]
	v_fma_f64 v[45:46], -v[41:42], v[43:44], 1.0
	v_fma_f64 v[43:44], v[43:44], v[45:46], v[43:44]
	v_div_scale_f64 v[45:46], vcc_lo, 1.0, v[3:4], 1.0
	v_mul_f64 v[49:50], v[45:46], v[43:44]
	v_fma_f64 v[41:42], -v[41:42], v[49:50], v[45:46]
	v_div_fmas_f64 v[41:42], v[41:42], v[43:44], v[49:50]
	v_div_fixup_f64 v[41:42], v[41:42], v[3:4], 1.0
	v_mul_f64 v[3:4], v[1:2], -v[41:42]
	v_xor_b32_e32 v2, 0x80000000, v42
	v_mov_b32_e32 v1, v41
.LBB81_17:
	s_or_b32 exec_lo, exec_lo, s5
	v_mov_b32_e32 v46, s28
	buffer_store_dword v42, v48, s[0:3], 0 offen offset:4
	buffer_store_dword v41, v48, s[0:3], 0 offen
	buffer_store_dword v4, v48, s[0:3], 0 offen offset:12
	buffer_store_dword v3, v48, s[0:3], 0 offen offset:8
	v_xor_b32_e32 v4, 0x80000000, v4
	v_add_nc_u32_e32 v41, 0x120, v47
	s_clause 0x3
	buffer_load_dword v45, v46, s[0:3], 0 offen offset:12
	buffer_load_dword v44, v46, s[0:3], 0 offen offset:8
	;; [unrolled: 1-line block ×3, first 2 shown]
	buffer_load_dword v42, v46, s[0:3], 0 offen
	ds_write_b128 v47, v[1:4]
	s_waitcnt vmcnt(0)
	ds_write_b128 v47, v[42:45] offset:288
	s_waitcnt lgkmcnt(0)
	s_waitcnt_vscnt null, 0x0
	s_barrier
	buffer_gl0_inv
	s_and_saveexec_b32 s5, s4
	s_cbranch_execz .LBB81_19
; %bb.18:
	s_clause 0x3
	buffer_load_dword v49, v48, s[0:3], 0 offen offset:8
	buffer_load_dword v50, v48, s[0:3], 0 offen offset:12
	buffer_load_dword v51, v48, s[0:3], 0 offen
	buffer_load_dword v52, v48, s[0:3], 0 offen offset:4
	ds_read_b128 v[1:4], v41
	v_mov_b32_e32 v42, 0
	ds_read_b128 v[42:45], v42 offset:16
	s_waitcnt vmcnt(2) lgkmcnt(1)
	v_mul_f64 v[53:54], v[1:2], v[49:50]
	v_mul_f64 v[49:50], v[3:4], v[49:50]
	s_waitcnt vmcnt(0)
	v_fma_f64 v[3:4], v[3:4], v[51:52], v[53:54]
	v_fma_f64 v[1:2], v[1:2], v[51:52], -v[49:50]
	v_add_f64 v[3:4], v[3:4], 0
	v_add_f64 v[1:2], v[1:2], 0
	s_waitcnt lgkmcnt(0)
	v_mul_f64 v[49:50], v[3:4], v[44:45]
	v_mul_f64 v[44:45], v[1:2], v[44:45]
	v_fma_f64 v[1:2], v[1:2], v[42:43], -v[49:50]
	v_fma_f64 v[3:4], v[3:4], v[42:43], v[44:45]
	buffer_store_dword v1, off, s[0:3], 0 offset:32
	buffer_store_dword v2, off, s[0:3], 0 offset:36
	;; [unrolled: 1-line block ×4, first 2 shown]
.LBB81_19:
	s_or_b32 exec_lo, exec_lo, s5
	v_mov_b32_e32 v4, s27
	s_waitcnt_vscnt null, 0x0
	s_barrier
	buffer_gl0_inv
	s_mov_b32 s5, exec_lo
	s_clause 0x3
	buffer_load_dword v1, v4, s[0:3], 0 offen
	buffer_load_dword v2, v4, s[0:3], 0 offen offset:4
	buffer_load_dword v3, v4, s[0:3], 0 offen offset:8
	;; [unrolled: 1-line block ×3, first 2 shown]
	s_waitcnt vmcnt(0)
	ds_write_b128 v41, v[1:4]
	s_waitcnt lgkmcnt(0)
	s_barrier
	buffer_gl0_inv
	v_cmpx_gt_u32_e32 2, v0
	s_cbranch_execz .LBB81_23
; %bb.20:
	s_clause 0x3
	buffer_load_dword v42, v48, s[0:3], 0 offen offset:8
	buffer_load_dword v43, v48, s[0:3], 0 offen offset:12
	buffer_load_dword v44, v48, s[0:3], 0 offen
	buffer_load_dword v45, v48, s[0:3], 0 offen offset:4
	ds_read_b128 v[1:4], v41
	s_waitcnt vmcnt(2) lgkmcnt(0)
	v_mul_f64 v[48:49], v[3:4], v[42:43]
	v_mul_f64 v[42:43], v[1:2], v[42:43]
	s_waitcnt vmcnt(0)
	v_fma_f64 v[1:2], v[1:2], v[44:45], -v[48:49]
	v_fma_f64 v[3:4], v[3:4], v[44:45], v[42:43]
	v_add_f64 v[1:2], v[1:2], 0
	v_add_f64 v[3:4], v[3:4], 0
	s_and_saveexec_b32 s30, s4
	s_cbranch_execz .LBB81_22
; %bb.21:
	s_clause 0x3
	buffer_load_dword v48, off, s[0:3], 0 offset:40
	buffer_load_dword v49, off, s[0:3], 0 offset:44
	;; [unrolled: 1-line block ×4, first 2 shown]
	v_mov_b32_e32 v42, 0
	ds_read_b128 v[42:45], v42 offset:304
	s_waitcnt vmcnt(2) lgkmcnt(0)
	v_mul_f64 v[52:53], v[42:43], v[48:49]
	v_mul_f64 v[48:49], v[44:45], v[48:49]
	s_waitcnt vmcnt(0)
	v_fma_f64 v[44:45], v[44:45], v[50:51], v[52:53]
	v_fma_f64 v[42:43], v[42:43], v[50:51], -v[48:49]
	v_add_f64 v[3:4], v[3:4], v[44:45]
	v_add_f64 v[1:2], v[1:2], v[42:43]
.LBB81_22:
	s_or_b32 exec_lo, exec_lo, s30
	v_mov_b32_e32 v42, 0
	ds_read_b128 v[42:45], v42 offset:32
	s_waitcnt lgkmcnt(0)
	v_mul_f64 v[48:49], v[3:4], v[44:45]
	v_mul_f64 v[44:45], v[1:2], v[44:45]
	v_fma_f64 v[1:2], v[1:2], v[42:43], -v[48:49]
	v_fma_f64 v[3:4], v[3:4], v[42:43], v[44:45]
	buffer_store_dword v2, off, s[0:3], 0 offset:52
	buffer_store_dword v1, off, s[0:3], 0 offset:48
	;; [unrolled: 1-line block ×4, first 2 shown]
.LBB81_23:
	s_or_b32 exec_lo, exec_lo, s5
	v_mov_b32_e32 v4, s26
	s_waitcnt_vscnt null, 0x0
	s_barrier
	buffer_gl0_inv
	v_add_nc_u32_e32 v42, -1, v0
	s_clause 0x3
	buffer_load_dword v1, v4, s[0:3], 0 offen
	buffer_load_dword v2, v4, s[0:3], 0 offen offset:4
	buffer_load_dword v3, v4, s[0:3], 0 offen offset:8
	;; [unrolled: 1-line block ×3, first 2 shown]
	s_mov_b32 s4, exec_lo
	s_waitcnt vmcnt(0)
	ds_write_b128 v41, v[1:4]
	s_waitcnt lgkmcnt(0)
	s_barrier
	buffer_gl0_inv
	v_cmpx_gt_u32_e32 3, v0
	s_cbranch_execz .LBB81_27
; %bb.24:
	v_mov_b32_e32 v1, 0
	v_mov_b32_e32 v3, 0
	v_add_nc_u32_e32 v43, -1, v0
	v_add_nc_u32_e32 v44, 0x120, v47
	v_mov_b32_e32 v2, 0
	v_mov_b32_e32 v4, 0
	v_add_nc_u32_e32 v45, 16, v47
	s_mov_b32 s5, 0
	.p2align	6
.LBB81_25:                              ; =>This Inner Loop Header: Depth=1
	s_clause 0x3
	buffer_load_dword v52, v45, s[0:3], 0 offen offset:8
	buffer_load_dword v53, v45, s[0:3], 0 offen offset:12
	buffer_load_dword v54, v45, s[0:3], 0 offen
	buffer_load_dword v55, v45, s[0:3], 0 offen offset:4
	ds_read_b128 v[48:51], v44
	v_add_nc_u32_e32 v43, 1, v43
	v_add_nc_u32_e32 v44, 16, v44
	;; [unrolled: 1-line block ×3, first 2 shown]
	v_cmp_lt_u32_e32 vcc_lo, 1, v43
	s_or_b32 s5, vcc_lo, s5
	s_waitcnt vmcnt(2) lgkmcnt(0)
	v_mul_f64 v[56:57], v[50:51], v[52:53]
	v_mul_f64 v[52:53], v[48:49], v[52:53]
	s_waitcnt vmcnt(0)
	v_fma_f64 v[48:49], v[48:49], v[54:55], -v[56:57]
	v_fma_f64 v[50:51], v[50:51], v[54:55], v[52:53]
	v_add_f64 v[3:4], v[3:4], v[48:49]
	v_add_f64 v[1:2], v[1:2], v[50:51]
	s_andn2_b32 exec_lo, exec_lo, s5
	s_cbranch_execnz .LBB81_25
; %bb.26:
	s_or_b32 exec_lo, exec_lo, s5
	v_mov_b32_e32 v43, 0
	ds_read_b128 v[43:46], v43 offset:48
	s_waitcnt lgkmcnt(0)
	v_mul_f64 v[48:49], v[1:2], v[45:46]
	v_mul_f64 v[45:46], v[3:4], v[45:46]
	v_fma_f64 v[3:4], v[3:4], v[43:44], -v[48:49]
	v_fma_f64 v[1:2], v[1:2], v[43:44], v[45:46]
	buffer_store_dword v4, off, s[0:3], 0 offset:68
	buffer_store_dword v3, off, s[0:3], 0 offset:64
	;; [unrolled: 1-line block ×4, first 2 shown]
.LBB81_27:
	s_or_b32 exec_lo, exec_lo, s4
	v_mov_b32_e32 v4, s25
	s_waitcnt_vscnt null, 0x0
	s_barrier
	buffer_gl0_inv
	s_mov_b32 s4, exec_lo
	s_clause 0x3
	buffer_load_dword v1, v4, s[0:3], 0 offen
	buffer_load_dword v2, v4, s[0:3], 0 offen offset:4
	buffer_load_dword v3, v4, s[0:3], 0 offen offset:8
	;; [unrolled: 1-line block ×3, first 2 shown]
	s_waitcnt vmcnt(0)
	ds_write_b128 v41, v[1:4]
	s_waitcnt lgkmcnt(0)
	s_barrier
	buffer_gl0_inv
	v_cmpx_gt_u32_e32 4, v0
	s_cbranch_execz .LBB81_31
; %bb.28:
	v_mov_b32_e32 v1, 0
	v_mov_b32_e32 v3, 0
	v_add_nc_u32_e32 v43, -1, v0
	v_add_nc_u32_e32 v44, 0x120, v47
	v_mov_b32_e32 v2, 0
	v_mov_b32_e32 v4, 0
	v_add_nc_u32_e32 v45, 16, v47
	s_mov_b32 s5, 0
	.p2align	6
.LBB81_29:                              ; =>This Inner Loop Header: Depth=1
	s_clause 0x3
	buffer_load_dword v52, v45, s[0:3], 0 offen offset:8
	buffer_load_dword v53, v45, s[0:3], 0 offen offset:12
	buffer_load_dword v54, v45, s[0:3], 0 offen
	buffer_load_dword v55, v45, s[0:3], 0 offen offset:4
	ds_read_b128 v[48:51], v44
	v_add_nc_u32_e32 v43, 1, v43
	v_add_nc_u32_e32 v44, 16, v44
	;; [unrolled: 1-line block ×3, first 2 shown]
	v_cmp_lt_u32_e32 vcc_lo, 2, v43
	s_or_b32 s5, vcc_lo, s5
	s_waitcnt vmcnt(2) lgkmcnt(0)
	v_mul_f64 v[56:57], v[50:51], v[52:53]
	v_mul_f64 v[52:53], v[48:49], v[52:53]
	s_waitcnt vmcnt(0)
	v_fma_f64 v[48:49], v[48:49], v[54:55], -v[56:57]
	v_fma_f64 v[50:51], v[50:51], v[54:55], v[52:53]
	v_add_f64 v[3:4], v[3:4], v[48:49]
	v_add_f64 v[1:2], v[1:2], v[50:51]
	s_andn2_b32 exec_lo, exec_lo, s5
	s_cbranch_execnz .LBB81_29
; %bb.30:
	s_or_b32 exec_lo, exec_lo, s5
	v_mov_b32_e32 v43, 0
	ds_read_b128 v[43:46], v43 offset:64
	s_waitcnt lgkmcnt(0)
	v_mul_f64 v[48:49], v[1:2], v[45:46]
	v_mul_f64 v[45:46], v[3:4], v[45:46]
	v_fma_f64 v[3:4], v[3:4], v[43:44], -v[48:49]
	v_fma_f64 v[1:2], v[1:2], v[43:44], v[45:46]
	buffer_store_dword v4, off, s[0:3], 0 offset:84
	buffer_store_dword v3, off, s[0:3], 0 offset:80
	;; [unrolled: 1-line block ×4, first 2 shown]
.LBB81_31:
	s_or_b32 exec_lo, exec_lo, s4
	v_mov_b32_e32 v4, s24
	s_waitcnt_vscnt null, 0x0
	s_barrier
	buffer_gl0_inv
	s_mov_b32 s4, exec_lo
	s_clause 0x3
	buffer_load_dword v1, v4, s[0:3], 0 offen
	buffer_load_dword v2, v4, s[0:3], 0 offen offset:4
	buffer_load_dword v3, v4, s[0:3], 0 offen offset:8
	buffer_load_dword v4, v4, s[0:3], 0 offen offset:12
	s_waitcnt vmcnt(0)
	ds_write_b128 v41, v[1:4]
	s_waitcnt lgkmcnt(0)
	s_barrier
	buffer_gl0_inv
	v_cmpx_gt_u32_e32 5, v0
	s_cbranch_execz .LBB81_35
; %bb.32:
	v_mov_b32_e32 v1, 0
	v_mov_b32_e32 v3, 0
	v_add_nc_u32_e32 v43, -1, v0
	v_add_nc_u32_e32 v44, 0x120, v47
	v_mov_b32_e32 v2, 0
	v_mov_b32_e32 v4, 0
	v_add_nc_u32_e32 v45, 16, v47
	s_mov_b32 s5, 0
	.p2align	6
.LBB81_33:                              ; =>This Inner Loop Header: Depth=1
	s_clause 0x3
	buffer_load_dword v52, v45, s[0:3], 0 offen offset:8
	buffer_load_dword v53, v45, s[0:3], 0 offen offset:12
	buffer_load_dword v54, v45, s[0:3], 0 offen
	buffer_load_dword v55, v45, s[0:3], 0 offen offset:4
	ds_read_b128 v[48:51], v44
	v_add_nc_u32_e32 v43, 1, v43
	v_add_nc_u32_e32 v44, 16, v44
	;; [unrolled: 1-line block ×3, first 2 shown]
	v_cmp_lt_u32_e32 vcc_lo, 3, v43
	s_or_b32 s5, vcc_lo, s5
	s_waitcnt vmcnt(2) lgkmcnt(0)
	v_mul_f64 v[56:57], v[50:51], v[52:53]
	v_mul_f64 v[52:53], v[48:49], v[52:53]
	s_waitcnt vmcnt(0)
	v_fma_f64 v[48:49], v[48:49], v[54:55], -v[56:57]
	v_fma_f64 v[50:51], v[50:51], v[54:55], v[52:53]
	v_add_f64 v[3:4], v[3:4], v[48:49]
	v_add_f64 v[1:2], v[1:2], v[50:51]
	s_andn2_b32 exec_lo, exec_lo, s5
	s_cbranch_execnz .LBB81_33
; %bb.34:
	s_or_b32 exec_lo, exec_lo, s5
	v_mov_b32_e32 v43, 0
	ds_read_b128 v[43:46], v43 offset:80
	s_waitcnt lgkmcnt(0)
	v_mul_f64 v[48:49], v[1:2], v[45:46]
	v_mul_f64 v[45:46], v[3:4], v[45:46]
	v_fma_f64 v[3:4], v[3:4], v[43:44], -v[48:49]
	v_fma_f64 v[1:2], v[1:2], v[43:44], v[45:46]
	buffer_store_dword v4, off, s[0:3], 0 offset:100
	buffer_store_dword v3, off, s[0:3], 0 offset:96
	;; [unrolled: 1-line block ×4, first 2 shown]
.LBB81_35:
	s_or_b32 exec_lo, exec_lo, s4
	v_mov_b32_e32 v4, s23
	s_waitcnt_vscnt null, 0x0
	s_barrier
	buffer_gl0_inv
	s_mov_b32 s4, exec_lo
	s_clause 0x3
	buffer_load_dword v1, v4, s[0:3], 0 offen
	buffer_load_dword v2, v4, s[0:3], 0 offen offset:4
	buffer_load_dword v3, v4, s[0:3], 0 offen offset:8
	;; [unrolled: 1-line block ×3, first 2 shown]
	s_waitcnt vmcnt(0)
	ds_write_b128 v41, v[1:4]
	s_waitcnt lgkmcnt(0)
	s_barrier
	buffer_gl0_inv
	v_cmpx_gt_u32_e32 6, v0
	s_cbranch_execz .LBB81_39
; %bb.36:
	v_mov_b32_e32 v1, 0
	v_mov_b32_e32 v3, 0
	v_add_nc_u32_e32 v43, -1, v0
	v_add_nc_u32_e32 v44, 0x120, v47
	v_mov_b32_e32 v2, 0
	v_mov_b32_e32 v4, 0
	v_add_nc_u32_e32 v45, 16, v47
	s_mov_b32 s5, 0
	.p2align	6
.LBB81_37:                              ; =>This Inner Loop Header: Depth=1
	s_clause 0x3
	buffer_load_dword v52, v45, s[0:3], 0 offen offset:8
	buffer_load_dword v53, v45, s[0:3], 0 offen offset:12
	buffer_load_dword v54, v45, s[0:3], 0 offen
	buffer_load_dword v55, v45, s[0:3], 0 offen offset:4
	ds_read_b128 v[48:51], v44
	v_add_nc_u32_e32 v43, 1, v43
	v_add_nc_u32_e32 v44, 16, v44
	;; [unrolled: 1-line block ×3, first 2 shown]
	v_cmp_lt_u32_e32 vcc_lo, 4, v43
	s_or_b32 s5, vcc_lo, s5
	s_waitcnt vmcnt(2) lgkmcnt(0)
	v_mul_f64 v[56:57], v[50:51], v[52:53]
	v_mul_f64 v[52:53], v[48:49], v[52:53]
	s_waitcnt vmcnt(0)
	v_fma_f64 v[48:49], v[48:49], v[54:55], -v[56:57]
	v_fma_f64 v[50:51], v[50:51], v[54:55], v[52:53]
	v_add_f64 v[3:4], v[3:4], v[48:49]
	v_add_f64 v[1:2], v[1:2], v[50:51]
	s_andn2_b32 exec_lo, exec_lo, s5
	s_cbranch_execnz .LBB81_37
; %bb.38:
	s_or_b32 exec_lo, exec_lo, s5
	v_mov_b32_e32 v43, 0
	ds_read_b128 v[43:46], v43 offset:96
	s_waitcnt lgkmcnt(0)
	v_mul_f64 v[48:49], v[1:2], v[45:46]
	v_mul_f64 v[45:46], v[3:4], v[45:46]
	v_fma_f64 v[3:4], v[3:4], v[43:44], -v[48:49]
	v_fma_f64 v[1:2], v[1:2], v[43:44], v[45:46]
	buffer_store_dword v4, off, s[0:3], 0 offset:116
	buffer_store_dword v3, off, s[0:3], 0 offset:112
	;; [unrolled: 1-line block ×4, first 2 shown]
.LBB81_39:
	s_or_b32 exec_lo, exec_lo, s4
	v_mov_b32_e32 v4, s22
	s_waitcnt_vscnt null, 0x0
	s_barrier
	buffer_gl0_inv
	s_mov_b32 s4, exec_lo
	s_clause 0x3
	buffer_load_dword v1, v4, s[0:3], 0 offen
	buffer_load_dword v2, v4, s[0:3], 0 offen offset:4
	buffer_load_dword v3, v4, s[0:3], 0 offen offset:8
	;; [unrolled: 1-line block ×3, first 2 shown]
	s_waitcnt vmcnt(0)
	ds_write_b128 v41, v[1:4]
	s_waitcnt lgkmcnt(0)
	s_barrier
	buffer_gl0_inv
	v_cmpx_gt_u32_e32 7, v0
	s_cbranch_execz .LBB81_43
; %bb.40:
	v_mov_b32_e32 v1, 0
	v_mov_b32_e32 v3, 0
	v_add_nc_u32_e32 v43, -1, v0
	v_add_nc_u32_e32 v44, 0x120, v47
	v_mov_b32_e32 v2, 0
	v_mov_b32_e32 v4, 0
	v_add_nc_u32_e32 v45, 16, v47
	s_mov_b32 s5, 0
	.p2align	6
.LBB81_41:                              ; =>This Inner Loop Header: Depth=1
	s_clause 0x3
	buffer_load_dword v52, v45, s[0:3], 0 offen offset:8
	buffer_load_dword v53, v45, s[0:3], 0 offen offset:12
	buffer_load_dword v54, v45, s[0:3], 0 offen
	buffer_load_dword v55, v45, s[0:3], 0 offen offset:4
	ds_read_b128 v[48:51], v44
	v_add_nc_u32_e32 v43, 1, v43
	v_add_nc_u32_e32 v44, 16, v44
	;; [unrolled: 1-line block ×3, first 2 shown]
	v_cmp_lt_u32_e32 vcc_lo, 5, v43
	s_or_b32 s5, vcc_lo, s5
	s_waitcnt vmcnt(2) lgkmcnt(0)
	v_mul_f64 v[56:57], v[50:51], v[52:53]
	v_mul_f64 v[52:53], v[48:49], v[52:53]
	s_waitcnt vmcnt(0)
	v_fma_f64 v[48:49], v[48:49], v[54:55], -v[56:57]
	v_fma_f64 v[50:51], v[50:51], v[54:55], v[52:53]
	v_add_f64 v[3:4], v[3:4], v[48:49]
	v_add_f64 v[1:2], v[1:2], v[50:51]
	s_andn2_b32 exec_lo, exec_lo, s5
	s_cbranch_execnz .LBB81_41
; %bb.42:
	s_or_b32 exec_lo, exec_lo, s5
	v_mov_b32_e32 v43, 0
	ds_read_b128 v[43:46], v43 offset:112
	s_waitcnt lgkmcnt(0)
	v_mul_f64 v[48:49], v[1:2], v[45:46]
	v_mul_f64 v[45:46], v[3:4], v[45:46]
	v_fma_f64 v[3:4], v[3:4], v[43:44], -v[48:49]
	v_fma_f64 v[1:2], v[1:2], v[43:44], v[45:46]
	buffer_store_dword v4, off, s[0:3], 0 offset:132
	buffer_store_dword v3, off, s[0:3], 0 offset:128
	;; [unrolled: 1-line block ×4, first 2 shown]
.LBB81_43:
	s_or_b32 exec_lo, exec_lo, s4
	v_mov_b32_e32 v4, s21
	s_waitcnt_vscnt null, 0x0
	s_barrier
	buffer_gl0_inv
	s_mov_b32 s4, exec_lo
	s_clause 0x3
	buffer_load_dword v1, v4, s[0:3], 0 offen
	buffer_load_dword v2, v4, s[0:3], 0 offen offset:4
	buffer_load_dword v3, v4, s[0:3], 0 offen offset:8
	;; [unrolled: 1-line block ×3, first 2 shown]
	s_waitcnt vmcnt(0)
	ds_write_b128 v41, v[1:4]
	s_waitcnt lgkmcnt(0)
	s_barrier
	buffer_gl0_inv
	v_cmpx_gt_u32_e32 8, v0
	s_cbranch_execz .LBB81_47
; %bb.44:
	v_mov_b32_e32 v1, 0
	v_mov_b32_e32 v3, 0
	v_add_nc_u32_e32 v43, -1, v0
	v_add_nc_u32_e32 v44, 0x120, v47
	v_mov_b32_e32 v2, 0
	v_mov_b32_e32 v4, 0
	v_add_nc_u32_e32 v45, 16, v47
	s_mov_b32 s5, 0
	.p2align	6
.LBB81_45:                              ; =>This Inner Loop Header: Depth=1
	s_clause 0x3
	buffer_load_dword v52, v45, s[0:3], 0 offen offset:8
	buffer_load_dword v53, v45, s[0:3], 0 offen offset:12
	buffer_load_dword v54, v45, s[0:3], 0 offen
	buffer_load_dword v55, v45, s[0:3], 0 offen offset:4
	ds_read_b128 v[48:51], v44
	v_add_nc_u32_e32 v43, 1, v43
	v_add_nc_u32_e32 v44, 16, v44
	;; [unrolled: 1-line block ×3, first 2 shown]
	v_cmp_lt_u32_e32 vcc_lo, 6, v43
	s_or_b32 s5, vcc_lo, s5
	s_waitcnt vmcnt(2) lgkmcnt(0)
	v_mul_f64 v[56:57], v[50:51], v[52:53]
	v_mul_f64 v[52:53], v[48:49], v[52:53]
	s_waitcnt vmcnt(0)
	v_fma_f64 v[48:49], v[48:49], v[54:55], -v[56:57]
	v_fma_f64 v[50:51], v[50:51], v[54:55], v[52:53]
	v_add_f64 v[3:4], v[3:4], v[48:49]
	v_add_f64 v[1:2], v[1:2], v[50:51]
	s_andn2_b32 exec_lo, exec_lo, s5
	s_cbranch_execnz .LBB81_45
; %bb.46:
	s_or_b32 exec_lo, exec_lo, s5
	v_mov_b32_e32 v43, 0
	ds_read_b128 v[43:46], v43 offset:128
	s_waitcnt lgkmcnt(0)
	v_mul_f64 v[48:49], v[1:2], v[45:46]
	v_mul_f64 v[45:46], v[3:4], v[45:46]
	v_fma_f64 v[3:4], v[3:4], v[43:44], -v[48:49]
	v_fma_f64 v[1:2], v[1:2], v[43:44], v[45:46]
	buffer_store_dword v4, off, s[0:3], 0 offset:148
	buffer_store_dword v3, off, s[0:3], 0 offset:144
	;; [unrolled: 1-line block ×4, first 2 shown]
.LBB81_47:
	s_or_b32 exec_lo, exec_lo, s4
	v_mov_b32_e32 v4, s20
	s_waitcnt_vscnt null, 0x0
	s_barrier
	buffer_gl0_inv
	s_mov_b32 s4, exec_lo
	s_clause 0x3
	buffer_load_dword v1, v4, s[0:3], 0 offen
	buffer_load_dword v2, v4, s[0:3], 0 offen offset:4
	buffer_load_dword v3, v4, s[0:3], 0 offen offset:8
	;; [unrolled: 1-line block ×3, first 2 shown]
	s_waitcnt vmcnt(0)
	ds_write_b128 v41, v[1:4]
	s_waitcnt lgkmcnt(0)
	s_barrier
	buffer_gl0_inv
	v_cmpx_gt_u32_e32 9, v0
	s_cbranch_execz .LBB81_51
; %bb.48:
	v_mov_b32_e32 v1, 0
	v_mov_b32_e32 v3, 0
	v_add_nc_u32_e32 v43, -1, v0
	v_add_nc_u32_e32 v44, 0x120, v47
	v_mov_b32_e32 v2, 0
	v_mov_b32_e32 v4, 0
	v_add_nc_u32_e32 v45, 16, v47
	s_mov_b32 s5, 0
	.p2align	6
.LBB81_49:                              ; =>This Inner Loop Header: Depth=1
	s_clause 0x3
	buffer_load_dword v52, v45, s[0:3], 0 offen offset:8
	buffer_load_dword v53, v45, s[0:3], 0 offen offset:12
	buffer_load_dword v54, v45, s[0:3], 0 offen
	buffer_load_dword v55, v45, s[0:3], 0 offen offset:4
	ds_read_b128 v[48:51], v44
	v_add_nc_u32_e32 v43, 1, v43
	v_add_nc_u32_e32 v44, 16, v44
	;; [unrolled: 1-line block ×3, first 2 shown]
	v_cmp_lt_u32_e32 vcc_lo, 7, v43
	s_or_b32 s5, vcc_lo, s5
	s_waitcnt vmcnt(2) lgkmcnt(0)
	v_mul_f64 v[56:57], v[50:51], v[52:53]
	v_mul_f64 v[52:53], v[48:49], v[52:53]
	s_waitcnt vmcnt(0)
	v_fma_f64 v[48:49], v[48:49], v[54:55], -v[56:57]
	v_fma_f64 v[50:51], v[50:51], v[54:55], v[52:53]
	v_add_f64 v[3:4], v[3:4], v[48:49]
	v_add_f64 v[1:2], v[1:2], v[50:51]
	s_andn2_b32 exec_lo, exec_lo, s5
	s_cbranch_execnz .LBB81_49
; %bb.50:
	s_or_b32 exec_lo, exec_lo, s5
	v_mov_b32_e32 v43, 0
	ds_read_b128 v[43:46], v43 offset:144
	s_waitcnt lgkmcnt(0)
	v_mul_f64 v[48:49], v[1:2], v[45:46]
	v_mul_f64 v[45:46], v[3:4], v[45:46]
	v_fma_f64 v[3:4], v[3:4], v[43:44], -v[48:49]
	v_fma_f64 v[1:2], v[1:2], v[43:44], v[45:46]
	buffer_store_dword v4, off, s[0:3], 0 offset:164
	buffer_store_dword v3, off, s[0:3], 0 offset:160
	;; [unrolled: 1-line block ×4, first 2 shown]
.LBB81_51:
	s_or_b32 exec_lo, exec_lo, s4
	v_mov_b32_e32 v4, s19
	s_waitcnt_vscnt null, 0x0
	s_barrier
	buffer_gl0_inv
	s_mov_b32 s4, exec_lo
	s_clause 0x3
	buffer_load_dword v1, v4, s[0:3], 0 offen
	buffer_load_dword v2, v4, s[0:3], 0 offen offset:4
	buffer_load_dword v3, v4, s[0:3], 0 offen offset:8
	;; [unrolled: 1-line block ×3, first 2 shown]
	s_waitcnt vmcnt(0)
	ds_write_b128 v41, v[1:4]
	s_waitcnt lgkmcnt(0)
	s_barrier
	buffer_gl0_inv
	v_cmpx_gt_u32_e32 10, v0
	s_cbranch_execz .LBB81_55
; %bb.52:
	v_mov_b32_e32 v1, 0
	v_mov_b32_e32 v3, 0
	v_add_nc_u32_e32 v43, -1, v0
	v_add_nc_u32_e32 v44, 0x120, v47
	v_mov_b32_e32 v2, 0
	v_mov_b32_e32 v4, 0
	v_add_nc_u32_e32 v45, 16, v47
	s_mov_b32 s5, 0
	.p2align	6
.LBB81_53:                              ; =>This Inner Loop Header: Depth=1
	s_clause 0x3
	buffer_load_dword v52, v45, s[0:3], 0 offen offset:8
	buffer_load_dword v53, v45, s[0:3], 0 offen offset:12
	buffer_load_dword v54, v45, s[0:3], 0 offen
	buffer_load_dword v55, v45, s[0:3], 0 offen offset:4
	ds_read_b128 v[48:51], v44
	v_add_nc_u32_e32 v43, 1, v43
	v_add_nc_u32_e32 v44, 16, v44
	;; [unrolled: 1-line block ×3, first 2 shown]
	v_cmp_lt_u32_e32 vcc_lo, 8, v43
	s_or_b32 s5, vcc_lo, s5
	s_waitcnt vmcnt(2) lgkmcnt(0)
	v_mul_f64 v[56:57], v[50:51], v[52:53]
	v_mul_f64 v[52:53], v[48:49], v[52:53]
	s_waitcnt vmcnt(0)
	v_fma_f64 v[48:49], v[48:49], v[54:55], -v[56:57]
	v_fma_f64 v[50:51], v[50:51], v[54:55], v[52:53]
	v_add_f64 v[3:4], v[3:4], v[48:49]
	v_add_f64 v[1:2], v[1:2], v[50:51]
	s_andn2_b32 exec_lo, exec_lo, s5
	s_cbranch_execnz .LBB81_53
; %bb.54:
	s_or_b32 exec_lo, exec_lo, s5
	v_mov_b32_e32 v43, 0
	ds_read_b128 v[43:46], v43 offset:160
	s_waitcnt lgkmcnt(0)
	v_mul_f64 v[48:49], v[1:2], v[45:46]
	v_mul_f64 v[45:46], v[3:4], v[45:46]
	v_fma_f64 v[3:4], v[3:4], v[43:44], -v[48:49]
	v_fma_f64 v[1:2], v[1:2], v[43:44], v[45:46]
	buffer_store_dword v4, off, s[0:3], 0 offset:180
	buffer_store_dword v3, off, s[0:3], 0 offset:176
	;; [unrolled: 1-line block ×4, first 2 shown]
.LBB81_55:
	s_or_b32 exec_lo, exec_lo, s4
	v_mov_b32_e32 v4, s18
	s_waitcnt_vscnt null, 0x0
	s_barrier
	buffer_gl0_inv
	s_mov_b32 s4, exec_lo
	s_clause 0x3
	buffer_load_dword v1, v4, s[0:3], 0 offen
	buffer_load_dword v2, v4, s[0:3], 0 offen offset:4
	buffer_load_dword v3, v4, s[0:3], 0 offen offset:8
	;; [unrolled: 1-line block ×3, first 2 shown]
	s_waitcnt vmcnt(0)
	ds_write_b128 v41, v[1:4]
	s_waitcnt lgkmcnt(0)
	s_barrier
	buffer_gl0_inv
	v_cmpx_gt_u32_e32 11, v0
	s_cbranch_execz .LBB81_59
; %bb.56:
	v_mov_b32_e32 v1, 0
	v_mov_b32_e32 v3, 0
	v_add_nc_u32_e32 v43, -1, v0
	v_add_nc_u32_e32 v44, 0x120, v47
	v_mov_b32_e32 v2, 0
	v_mov_b32_e32 v4, 0
	v_add_nc_u32_e32 v45, 16, v47
	s_mov_b32 s5, 0
	.p2align	6
.LBB81_57:                              ; =>This Inner Loop Header: Depth=1
	s_clause 0x3
	buffer_load_dword v52, v45, s[0:3], 0 offen offset:8
	buffer_load_dword v53, v45, s[0:3], 0 offen offset:12
	buffer_load_dword v54, v45, s[0:3], 0 offen
	buffer_load_dword v55, v45, s[0:3], 0 offen offset:4
	ds_read_b128 v[48:51], v44
	v_add_nc_u32_e32 v43, 1, v43
	v_add_nc_u32_e32 v44, 16, v44
	;; [unrolled: 1-line block ×3, first 2 shown]
	v_cmp_lt_u32_e32 vcc_lo, 9, v43
	s_or_b32 s5, vcc_lo, s5
	s_waitcnt vmcnt(2) lgkmcnt(0)
	v_mul_f64 v[56:57], v[50:51], v[52:53]
	v_mul_f64 v[52:53], v[48:49], v[52:53]
	s_waitcnt vmcnt(0)
	v_fma_f64 v[48:49], v[48:49], v[54:55], -v[56:57]
	v_fma_f64 v[50:51], v[50:51], v[54:55], v[52:53]
	v_add_f64 v[3:4], v[3:4], v[48:49]
	v_add_f64 v[1:2], v[1:2], v[50:51]
	s_andn2_b32 exec_lo, exec_lo, s5
	s_cbranch_execnz .LBB81_57
; %bb.58:
	s_or_b32 exec_lo, exec_lo, s5
	v_mov_b32_e32 v43, 0
	ds_read_b128 v[43:46], v43 offset:176
	s_waitcnt lgkmcnt(0)
	v_mul_f64 v[48:49], v[1:2], v[45:46]
	v_mul_f64 v[45:46], v[3:4], v[45:46]
	v_fma_f64 v[3:4], v[3:4], v[43:44], -v[48:49]
	v_fma_f64 v[1:2], v[1:2], v[43:44], v[45:46]
	buffer_store_dword v4, off, s[0:3], 0 offset:196
	buffer_store_dword v3, off, s[0:3], 0 offset:192
	;; [unrolled: 1-line block ×4, first 2 shown]
.LBB81_59:
	s_or_b32 exec_lo, exec_lo, s4
	v_mov_b32_e32 v4, s17
	s_waitcnt_vscnt null, 0x0
	s_barrier
	buffer_gl0_inv
	s_mov_b32 s4, exec_lo
	s_clause 0x3
	buffer_load_dword v1, v4, s[0:3], 0 offen
	buffer_load_dword v2, v4, s[0:3], 0 offen offset:4
	buffer_load_dword v3, v4, s[0:3], 0 offen offset:8
	;; [unrolled: 1-line block ×3, first 2 shown]
	s_waitcnt vmcnt(0)
	ds_write_b128 v41, v[1:4]
	s_waitcnt lgkmcnt(0)
	s_barrier
	buffer_gl0_inv
	v_cmpx_gt_u32_e32 12, v0
	s_cbranch_execz .LBB81_63
; %bb.60:
	v_mov_b32_e32 v1, 0
	v_mov_b32_e32 v3, 0
	v_add_nc_u32_e32 v43, -1, v0
	v_add_nc_u32_e32 v44, 0x120, v47
	v_mov_b32_e32 v2, 0
	v_mov_b32_e32 v4, 0
	v_add_nc_u32_e32 v45, 16, v47
	s_mov_b32 s5, 0
	.p2align	6
.LBB81_61:                              ; =>This Inner Loop Header: Depth=1
	s_clause 0x3
	buffer_load_dword v52, v45, s[0:3], 0 offen offset:8
	buffer_load_dword v53, v45, s[0:3], 0 offen offset:12
	buffer_load_dword v54, v45, s[0:3], 0 offen
	buffer_load_dword v55, v45, s[0:3], 0 offen offset:4
	ds_read_b128 v[48:51], v44
	v_add_nc_u32_e32 v43, 1, v43
	v_add_nc_u32_e32 v44, 16, v44
	;; [unrolled: 1-line block ×3, first 2 shown]
	v_cmp_lt_u32_e32 vcc_lo, 10, v43
	s_or_b32 s5, vcc_lo, s5
	s_waitcnt vmcnt(2) lgkmcnt(0)
	v_mul_f64 v[56:57], v[50:51], v[52:53]
	v_mul_f64 v[52:53], v[48:49], v[52:53]
	s_waitcnt vmcnt(0)
	v_fma_f64 v[48:49], v[48:49], v[54:55], -v[56:57]
	v_fma_f64 v[50:51], v[50:51], v[54:55], v[52:53]
	v_add_f64 v[3:4], v[3:4], v[48:49]
	v_add_f64 v[1:2], v[1:2], v[50:51]
	s_andn2_b32 exec_lo, exec_lo, s5
	s_cbranch_execnz .LBB81_61
; %bb.62:
	s_or_b32 exec_lo, exec_lo, s5
	v_mov_b32_e32 v43, 0
	ds_read_b128 v[43:46], v43 offset:192
	s_waitcnt lgkmcnt(0)
	v_mul_f64 v[48:49], v[1:2], v[45:46]
	v_mul_f64 v[45:46], v[3:4], v[45:46]
	v_fma_f64 v[3:4], v[3:4], v[43:44], -v[48:49]
	v_fma_f64 v[1:2], v[1:2], v[43:44], v[45:46]
	buffer_store_dword v4, off, s[0:3], 0 offset:212
	buffer_store_dword v3, off, s[0:3], 0 offset:208
	;; [unrolled: 1-line block ×4, first 2 shown]
.LBB81_63:
	s_or_b32 exec_lo, exec_lo, s4
	v_mov_b32_e32 v4, s16
	s_waitcnt_vscnt null, 0x0
	s_barrier
	buffer_gl0_inv
	s_mov_b32 s4, exec_lo
	s_clause 0x3
	buffer_load_dword v1, v4, s[0:3], 0 offen
	buffer_load_dword v2, v4, s[0:3], 0 offen offset:4
	buffer_load_dword v3, v4, s[0:3], 0 offen offset:8
	;; [unrolled: 1-line block ×3, first 2 shown]
	s_waitcnt vmcnt(0)
	ds_write_b128 v41, v[1:4]
	s_waitcnt lgkmcnt(0)
	s_barrier
	buffer_gl0_inv
	v_cmpx_gt_u32_e32 13, v0
	s_cbranch_execz .LBB81_67
; %bb.64:
	v_mov_b32_e32 v1, 0
	v_mov_b32_e32 v3, 0
	v_add_nc_u32_e32 v43, -1, v0
	v_add_nc_u32_e32 v44, 0x120, v47
	v_mov_b32_e32 v2, 0
	v_mov_b32_e32 v4, 0
	v_add_nc_u32_e32 v45, 16, v47
	s_mov_b32 s5, 0
	.p2align	6
.LBB81_65:                              ; =>This Inner Loop Header: Depth=1
	s_clause 0x3
	buffer_load_dword v52, v45, s[0:3], 0 offen offset:8
	buffer_load_dword v53, v45, s[0:3], 0 offen offset:12
	buffer_load_dword v54, v45, s[0:3], 0 offen
	buffer_load_dword v55, v45, s[0:3], 0 offen offset:4
	ds_read_b128 v[48:51], v44
	v_add_nc_u32_e32 v43, 1, v43
	v_add_nc_u32_e32 v44, 16, v44
	;; [unrolled: 1-line block ×3, first 2 shown]
	v_cmp_lt_u32_e32 vcc_lo, 11, v43
	s_or_b32 s5, vcc_lo, s5
	s_waitcnt vmcnt(2) lgkmcnt(0)
	v_mul_f64 v[56:57], v[50:51], v[52:53]
	v_mul_f64 v[52:53], v[48:49], v[52:53]
	s_waitcnt vmcnt(0)
	v_fma_f64 v[48:49], v[48:49], v[54:55], -v[56:57]
	v_fma_f64 v[50:51], v[50:51], v[54:55], v[52:53]
	v_add_f64 v[3:4], v[3:4], v[48:49]
	v_add_f64 v[1:2], v[1:2], v[50:51]
	s_andn2_b32 exec_lo, exec_lo, s5
	s_cbranch_execnz .LBB81_65
; %bb.66:
	s_or_b32 exec_lo, exec_lo, s5
	v_mov_b32_e32 v43, 0
	ds_read_b128 v[43:46], v43 offset:208
	s_waitcnt lgkmcnt(0)
	v_mul_f64 v[48:49], v[1:2], v[45:46]
	v_mul_f64 v[45:46], v[3:4], v[45:46]
	v_fma_f64 v[3:4], v[3:4], v[43:44], -v[48:49]
	v_fma_f64 v[1:2], v[1:2], v[43:44], v[45:46]
	buffer_store_dword v4, off, s[0:3], 0 offset:228
	buffer_store_dword v3, off, s[0:3], 0 offset:224
	;; [unrolled: 1-line block ×4, first 2 shown]
.LBB81_67:
	s_or_b32 exec_lo, exec_lo, s4
	v_mov_b32_e32 v4, s15
	s_waitcnt_vscnt null, 0x0
	s_barrier
	buffer_gl0_inv
	s_mov_b32 s4, exec_lo
	s_clause 0x3
	buffer_load_dword v1, v4, s[0:3], 0 offen
	buffer_load_dword v2, v4, s[0:3], 0 offen offset:4
	buffer_load_dword v3, v4, s[0:3], 0 offen offset:8
	;; [unrolled: 1-line block ×3, first 2 shown]
	s_waitcnt vmcnt(0)
	ds_write_b128 v41, v[1:4]
	s_waitcnt lgkmcnt(0)
	s_barrier
	buffer_gl0_inv
	v_cmpx_gt_u32_e32 14, v0
	s_cbranch_execz .LBB81_71
; %bb.68:
	v_mov_b32_e32 v1, 0
	v_mov_b32_e32 v3, 0
	v_add_nc_u32_e32 v43, -1, v0
	v_add_nc_u32_e32 v44, 0x120, v47
	v_mov_b32_e32 v2, 0
	v_mov_b32_e32 v4, 0
	v_add_nc_u32_e32 v45, 16, v47
	s_mov_b32 s5, 0
	.p2align	6
.LBB81_69:                              ; =>This Inner Loop Header: Depth=1
	s_clause 0x3
	buffer_load_dword v52, v45, s[0:3], 0 offen offset:8
	buffer_load_dword v53, v45, s[0:3], 0 offen offset:12
	buffer_load_dword v54, v45, s[0:3], 0 offen
	buffer_load_dword v55, v45, s[0:3], 0 offen offset:4
	ds_read_b128 v[48:51], v44
	v_add_nc_u32_e32 v43, 1, v43
	v_add_nc_u32_e32 v44, 16, v44
	;; [unrolled: 1-line block ×3, first 2 shown]
	v_cmp_lt_u32_e32 vcc_lo, 12, v43
	s_or_b32 s5, vcc_lo, s5
	s_waitcnt vmcnt(2) lgkmcnt(0)
	v_mul_f64 v[56:57], v[50:51], v[52:53]
	v_mul_f64 v[52:53], v[48:49], v[52:53]
	s_waitcnt vmcnt(0)
	v_fma_f64 v[48:49], v[48:49], v[54:55], -v[56:57]
	v_fma_f64 v[50:51], v[50:51], v[54:55], v[52:53]
	v_add_f64 v[3:4], v[3:4], v[48:49]
	v_add_f64 v[1:2], v[1:2], v[50:51]
	s_andn2_b32 exec_lo, exec_lo, s5
	s_cbranch_execnz .LBB81_69
; %bb.70:
	s_or_b32 exec_lo, exec_lo, s5
	v_mov_b32_e32 v43, 0
	ds_read_b128 v[43:46], v43 offset:224
	s_waitcnt lgkmcnt(0)
	v_mul_f64 v[48:49], v[1:2], v[45:46]
	v_mul_f64 v[45:46], v[3:4], v[45:46]
	v_fma_f64 v[3:4], v[3:4], v[43:44], -v[48:49]
	v_fma_f64 v[1:2], v[1:2], v[43:44], v[45:46]
	buffer_store_dword v4, off, s[0:3], 0 offset:244
	buffer_store_dword v3, off, s[0:3], 0 offset:240
	;; [unrolled: 1-line block ×4, first 2 shown]
.LBB81_71:
	s_or_b32 exec_lo, exec_lo, s4
	v_mov_b32_e32 v4, s14
	s_waitcnt_vscnt null, 0x0
	s_barrier
	buffer_gl0_inv
	s_mov_b32 s4, exec_lo
	s_clause 0x3
	buffer_load_dword v1, v4, s[0:3], 0 offen
	buffer_load_dword v2, v4, s[0:3], 0 offen offset:4
	buffer_load_dword v3, v4, s[0:3], 0 offen offset:8
	;; [unrolled: 1-line block ×3, first 2 shown]
	s_waitcnt vmcnt(0)
	ds_write_b128 v41, v[1:4]
	s_waitcnt lgkmcnt(0)
	s_barrier
	buffer_gl0_inv
	v_cmpx_gt_u32_e32 15, v0
	s_cbranch_execz .LBB81_75
; %bb.72:
	v_mov_b32_e32 v1, 0
	v_mov_b32_e32 v3, 0
	v_add_nc_u32_e32 v43, -1, v0
	v_add_nc_u32_e32 v44, 0x120, v47
	v_mov_b32_e32 v2, 0
	v_mov_b32_e32 v4, 0
	v_add_nc_u32_e32 v45, 16, v47
	s_mov_b32 s5, 0
	.p2align	6
.LBB81_73:                              ; =>This Inner Loop Header: Depth=1
	s_clause 0x3
	buffer_load_dword v52, v45, s[0:3], 0 offen offset:8
	buffer_load_dword v53, v45, s[0:3], 0 offen offset:12
	buffer_load_dword v54, v45, s[0:3], 0 offen
	buffer_load_dword v55, v45, s[0:3], 0 offen offset:4
	ds_read_b128 v[48:51], v44
	v_add_nc_u32_e32 v43, 1, v43
	v_add_nc_u32_e32 v44, 16, v44
	;; [unrolled: 1-line block ×3, first 2 shown]
	v_cmp_lt_u32_e32 vcc_lo, 13, v43
	s_or_b32 s5, vcc_lo, s5
	s_waitcnt vmcnt(2) lgkmcnt(0)
	v_mul_f64 v[56:57], v[50:51], v[52:53]
	v_mul_f64 v[52:53], v[48:49], v[52:53]
	s_waitcnt vmcnt(0)
	v_fma_f64 v[48:49], v[48:49], v[54:55], -v[56:57]
	v_fma_f64 v[50:51], v[50:51], v[54:55], v[52:53]
	v_add_f64 v[3:4], v[3:4], v[48:49]
	v_add_f64 v[1:2], v[1:2], v[50:51]
	s_andn2_b32 exec_lo, exec_lo, s5
	s_cbranch_execnz .LBB81_73
; %bb.74:
	s_or_b32 exec_lo, exec_lo, s5
	v_mov_b32_e32 v43, 0
	ds_read_b128 v[43:46], v43 offset:240
	s_waitcnt lgkmcnt(0)
	v_mul_f64 v[48:49], v[1:2], v[45:46]
	v_mul_f64 v[45:46], v[3:4], v[45:46]
	v_fma_f64 v[3:4], v[3:4], v[43:44], -v[48:49]
	v_fma_f64 v[1:2], v[1:2], v[43:44], v[45:46]
	buffer_store_dword v4, off, s[0:3], 0 offset:260
	buffer_store_dword v3, off, s[0:3], 0 offset:256
	;; [unrolled: 1-line block ×4, first 2 shown]
.LBB81_75:
	s_or_b32 exec_lo, exec_lo, s4
	v_mov_b32_e32 v4, s9
	s_waitcnt_vscnt null, 0x0
	s_barrier
	buffer_gl0_inv
	s_mov_b32 s4, exec_lo
	s_clause 0x3
	buffer_load_dword v1, v4, s[0:3], 0 offen
	buffer_load_dword v2, v4, s[0:3], 0 offen offset:4
	buffer_load_dword v3, v4, s[0:3], 0 offen offset:8
	;; [unrolled: 1-line block ×3, first 2 shown]
	s_waitcnt vmcnt(0)
	ds_write_b128 v41, v[1:4]
	s_waitcnt lgkmcnt(0)
	s_barrier
	buffer_gl0_inv
	v_cmpx_gt_u32_e32 16, v0
	s_cbranch_execz .LBB81_79
; %bb.76:
	v_mov_b32_e32 v1, 0
	v_mov_b32_e32 v3, 0
	v_add_nc_u32_e32 v43, -1, v0
	v_add_nc_u32_e32 v44, 0x120, v47
	v_mov_b32_e32 v2, 0
	v_mov_b32_e32 v4, 0
	v_add_nc_u32_e32 v45, 16, v47
	s_mov_b32 s5, 0
	.p2align	6
.LBB81_77:                              ; =>This Inner Loop Header: Depth=1
	s_clause 0x3
	buffer_load_dword v52, v45, s[0:3], 0 offen offset:8
	buffer_load_dword v53, v45, s[0:3], 0 offen offset:12
	buffer_load_dword v54, v45, s[0:3], 0 offen
	buffer_load_dword v55, v45, s[0:3], 0 offen offset:4
	ds_read_b128 v[48:51], v44
	v_add_nc_u32_e32 v43, 1, v43
	v_add_nc_u32_e32 v44, 16, v44
	;; [unrolled: 1-line block ×3, first 2 shown]
	v_cmp_lt_u32_e32 vcc_lo, 14, v43
	s_or_b32 s5, vcc_lo, s5
	s_waitcnt vmcnt(2) lgkmcnt(0)
	v_mul_f64 v[56:57], v[50:51], v[52:53]
	v_mul_f64 v[52:53], v[48:49], v[52:53]
	s_waitcnt vmcnt(0)
	v_fma_f64 v[48:49], v[48:49], v[54:55], -v[56:57]
	v_fma_f64 v[50:51], v[50:51], v[54:55], v[52:53]
	v_add_f64 v[3:4], v[3:4], v[48:49]
	v_add_f64 v[1:2], v[1:2], v[50:51]
	s_andn2_b32 exec_lo, exec_lo, s5
	s_cbranch_execnz .LBB81_77
; %bb.78:
	s_or_b32 exec_lo, exec_lo, s5
	v_mov_b32_e32 v43, 0
	ds_read_b128 v[43:46], v43 offset:256
	s_waitcnt lgkmcnt(0)
	v_mul_f64 v[48:49], v[1:2], v[45:46]
	v_mul_f64 v[45:46], v[3:4], v[45:46]
	v_fma_f64 v[3:4], v[3:4], v[43:44], -v[48:49]
	v_fma_f64 v[1:2], v[1:2], v[43:44], v[45:46]
	buffer_store_dword v4, off, s[0:3], 0 offset:276
	buffer_store_dword v3, off, s[0:3], 0 offset:272
	;; [unrolled: 1-line block ×4, first 2 shown]
.LBB81_79:
	s_or_b32 exec_lo, exec_lo, s4
	v_mov_b32_e32 v4, s8
	s_waitcnt_vscnt null, 0x0
	s_barrier
	buffer_gl0_inv
	s_mov_b32 s4, exec_lo
	s_clause 0x3
	buffer_load_dword v1, v4, s[0:3], 0 offen
	buffer_load_dword v2, v4, s[0:3], 0 offen offset:4
	buffer_load_dword v3, v4, s[0:3], 0 offen offset:8
	buffer_load_dword v4, v4, s[0:3], 0 offen offset:12
	s_waitcnt vmcnt(0)
	ds_write_b128 v41, v[1:4]
	s_waitcnt lgkmcnt(0)
	s_barrier
	buffer_gl0_inv
	v_cmpx_ne_u32_e32 17, v0
	s_cbranch_execz .LBB81_83
; %bb.80:
	v_mov_b32_e32 v1, 0
	v_mov_b32_e32 v3, 0
	;; [unrolled: 1-line block ×4, first 2 shown]
	v_add_nc_u32_e32 v43, 16, v47
	s_mov_b32 s5, 0
	.p2align	6
.LBB81_81:                              ; =>This Inner Loop Header: Depth=1
	s_clause 0x3
	buffer_load_dword v48, v43, s[0:3], 0 offen offset:8
	buffer_load_dword v49, v43, s[0:3], 0 offen offset:12
	buffer_load_dword v50, v43, s[0:3], 0 offen
	buffer_load_dword v51, v43, s[0:3], 0 offen offset:4
	ds_read_b128 v[44:47], v41
	v_add_nc_u32_e32 v42, 1, v42
	v_add_nc_u32_e32 v41, 16, v41
	;; [unrolled: 1-line block ×3, first 2 shown]
	v_cmp_lt_u32_e32 vcc_lo, 15, v42
	s_or_b32 s5, vcc_lo, s5
	s_waitcnt vmcnt(2) lgkmcnt(0)
	v_mul_f64 v[52:53], v[46:47], v[48:49]
	v_mul_f64 v[48:49], v[44:45], v[48:49]
	s_waitcnt vmcnt(0)
	v_fma_f64 v[44:45], v[44:45], v[50:51], -v[52:53]
	v_fma_f64 v[46:47], v[46:47], v[50:51], v[48:49]
	v_add_f64 v[3:4], v[3:4], v[44:45]
	v_add_f64 v[1:2], v[1:2], v[46:47]
	s_andn2_b32 exec_lo, exec_lo, s5
	s_cbranch_execnz .LBB81_81
; %bb.82:
	s_or_b32 exec_lo, exec_lo, s5
	v_mov_b32_e32 v41, 0
	ds_read_b128 v[41:44], v41 offset:272
	s_waitcnt lgkmcnt(0)
	v_mul_f64 v[45:46], v[1:2], v[43:44]
	v_mul_f64 v[43:44], v[3:4], v[43:44]
	v_fma_f64 v[3:4], v[3:4], v[41:42], -v[45:46]
	v_fma_f64 v[1:2], v[1:2], v[41:42], v[43:44]
	buffer_store_dword v4, off, s[0:3], 0 offset:292
	buffer_store_dword v3, off, s[0:3], 0 offset:288
	;; [unrolled: 1-line block ×4, first 2 shown]
.LBB81_83:
	s_or_b32 exec_lo, exec_lo, s4
	s_mov_b32 s5, -1
	s_waitcnt_vscnt null, 0x0
	s_barrier
	buffer_gl0_inv
.LBB81_84:
	s_and_b32 vcc_lo, exec_lo, s5
	s_cbranch_vccz .LBB81_86
; %bb.85:
	s_lshl_b64 s[4:5], s[6:7], 2
	v_mov_b32_e32 v1, 0
	s_add_u32 s4, s10, s4
	s_addc_u32 s5, s11, s5
	global_load_dword v1, v1, s[4:5]
	s_waitcnt vmcnt(0)
	v_cmp_ne_u32_e32 vcc_lo, 0, v1
	s_cbranch_vccz .LBB81_87
.LBB81_86:
	s_endpgm
.LBB81_87:
	v_lshl_add_u32 v1, v0, 4, 0x120
	s_mov_b32 s4, exec_lo
	v_cmpx_eq_u32_e32 17, v0
	s_cbranch_execz .LBB81_89
; %bb.88:
	v_mov_b32_e32 v2, s9
	s_clause 0x3
	buffer_load_dword v41, v2, s[0:3], 0 offen
	buffer_load_dword v42, v2, s[0:3], 0 offen offset:4
	buffer_load_dword v43, v2, s[0:3], 0 offen offset:8
	;; [unrolled: 1-line block ×3, first 2 shown]
	v_mov_b32_e32 v2, 0
	buffer_store_dword v2, off, s[0:3], 0 offset:272
	buffer_store_dword v2, off, s[0:3], 0 offset:276
	;; [unrolled: 1-line block ×4, first 2 shown]
	s_waitcnt vmcnt(0)
	ds_write_b128 v1, v[41:44]
.LBB81_89:
	s_or_b32 exec_lo, exec_lo, s4
	s_waitcnt lgkmcnt(0)
	s_waitcnt_vscnt null, 0x0
	s_barrier
	buffer_gl0_inv
	s_clause 0x7
	buffer_load_dword v3, off, s[0:3], 0 offset:296
	buffer_load_dword v4, off, s[0:3], 0 offset:300
	;; [unrolled: 1-line block ×8, first 2 shown]
	v_mov_b32_e32 v2, 0
	s_mov_b32 s4, exec_lo
	ds_read_b128 v[41:44], v2 offset:560
	s_waitcnt vmcnt(6) lgkmcnt(0)
	v_mul_f64 v[51:52], v[43:44], v[3:4]
	v_mul_f64 v[3:4], v[41:42], v[3:4]
	s_waitcnt vmcnt(4)
	v_fma_f64 v[41:42], v[41:42], v[45:46], -v[51:52]
	v_fma_f64 v[3:4], v[43:44], v[45:46], v[3:4]
	v_add_f64 v[41:42], v[41:42], 0
	v_add_f64 v[3:4], v[3:4], 0
	s_waitcnt vmcnt(2)
	v_add_f64 v[41:42], v[47:48], -v[41:42]
	s_waitcnt vmcnt(0)
	v_add_f64 v[3:4], v[49:50], -v[3:4]
	buffer_store_dword v41, off, s[0:3], 0 offset:272
	buffer_store_dword v42, off, s[0:3], 0 offset:276
	;; [unrolled: 1-line block ×4, first 2 shown]
	v_cmpx_lt_u32_e32 15, v0
	s_cbranch_execz .LBB81_91
; %bb.90:
	v_mov_b32_e32 v3, s14
	s_clause 0x3
	buffer_load_dword v41, v3, s[0:3], 0 offen
	buffer_load_dword v42, v3, s[0:3], 0 offen offset:4
	buffer_load_dword v43, v3, s[0:3], 0 offen offset:8
	;; [unrolled: 1-line block ×3, first 2 shown]
	buffer_store_dword v2, off, s[0:3], 0 offset:256
	buffer_store_dword v2, off, s[0:3], 0 offset:260
	;; [unrolled: 1-line block ×4, first 2 shown]
	s_waitcnt vmcnt(0)
	ds_write_b128 v1, v[41:44]
.LBB81_91:
	s_or_b32 exec_lo, exec_lo, s4
	s_waitcnt lgkmcnt(0)
	s_waitcnt_vscnt null, 0x0
	s_barrier
	buffer_gl0_inv
	s_clause 0xb
	buffer_load_dword v3, off, s[0:3], 0 offset:280
	buffer_load_dword v4, off, s[0:3], 0 offset:284
	;; [unrolled: 1-line block ×12, first 2 shown]
	ds_read_b128 v[41:44], v2 offset:544
	ds_read_b128 v[45:48], v2 offset:560
	s_mov_b32 s4, exec_lo
	s_waitcnt vmcnt(10) lgkmcnt(1)
	v_mul_f64 v[59:60], v[43:44], v[3:4]
	v_mul_f64 v[2:3], v[41:42], v[3:4]
	s_waitcnt vmcnt(8) lgkmcnt(0)
	v_mul_f64 v[61:62], v[47:48], v[49:50]
	v_mul_f64 v[49:50], v[45:46], v[49:50]
	s_waitcnt vmcnt(6)
	v_fma_f64 v[41:42], v[41:42], v[51:52], -v[59:60]
	v_fma_f64 v[2:3], v[43:44], v[51:52], v[2:3]
	s_waitcnt vmcnt(4)
	v_fma_f64 v[43:44], v[45:46], v[53:54], -v[61:62]
	v_fma_f64 v[45:46], v[47:48], v[53:54], v[49:50]
	v_add_f64 v[41:42], v[41:42], 0
	v_add_f64 v[2:3], v[2:3], 0
	;; [unrolled: 1-line block ×4, first 2 shown]
	s_waitcnt vmcnt(2)
	v_add_f64 v[41:42], v[55:56], -v[41:42]
	s_waitcnt vmcnt(0)
	v_add_f64 v[2:3], v[57:58], -v[2:3]
	buffer_store_dword v41, off, s[0:3], 0 offset:256
	buffer_store_dword v42, off, s[0:3], 0 offset:260
	;; [unrolled: 1-line block ×4, first 2 shown]
	v_cmpx_lt_u32_e32 14, v0
	s_cbranch_execz .LBB81_93
; %bb.92:
	v_mov_b32_e32 v2, s15
	s_clause 0x3
	buffer_load_dword v41, v2, s[0:3], 0 offen
	buffer_load_dword v42, v2, s[0:3], 0 offen offset:4
	buffer_load_dword v43, v2, s[0:3], 0 offen offset:8
	buffer_load_dword v44, v2, s[0:3], 0 offen offset:12
	v_mov_b32_e32 v2, 0
	buffer_store_dword v2, off, s[0:3], 0 offset:240
	buffer_store_dword v2, off, s[0:3], 0 offset:244
	;; [unrolled: 1-line block ×4, first 2 shown]
	s_waitcnt vmcnt(0)
	ds_write_b128 v1, v[41:44]
.LBB81_93:
	s_or_b32 exec_lo, exec_lo, s4
	s_waitcnt lgkmcnt(0)
	s_waitcnt_vscnt null, 0x0
	s_barrier
	buffer_gl0_inv
	s_clause 0xf
	buffer_load_dword v3, off, s[0:3], 0 offset:264
	buffer_load_dword v4, off, s[0:3], 0 offset:268
	buffer_load_dword v53, off, s[0:3], 0 offset:280
	buffer_load_dword v54, off, s[0:3], 0 offset:284
	buffer_load_dword v55, off, s[0:3], 0 offset:256
	buffer_load_dword v56, off, s[0:3], 0 offset:260
	buffer_load_dword v57, off, s[0:3], 0 offset:296
	buffer_load_dword v58, off, s[0:3], 0 offset:300
	buffer_load_dword v59, off, s[0:3], 0 offset:272
	buffer_load_dword v60, off, s[0:3], 0 offset:276
	buffer_load_dword v61, off, s[0:3], 0 offset:288
	buffer_load_dword v62, off, s[0:3], 0 offset:292
	buffer_load_dword v63, off, s[0:3], 0 offset:240
	buffer_load_dword v64, off, s[0:3], 0 offset:244
	buffer_load_dword v65, off, s[0:3], 0 offset:248
	buffer_load_dword v66, off, s[0:3], 0 offset:252
	v_mov_b32_e32 v2, 0
	ds_read_b128 v[41:44], v2 offset:528
	ds_read_b128 v[45:48], v2 offset:544
	;; [unrolled: 1-line block ×3, first 2 shown]
	s_mov_b32 s4, exec_lo
	s_waitcnt vmcnt(14) lgkmcnt(2)
	v_mul_f64 v[67:68], v[43:44], v[3:4]
	v_mul_f64 v[3:4], v[41:42], v[3:4]
	s_waitcnt vmcnt(12) lgkmcnt(1)
	v_mul_f64 v[69:70], v[47:48], v[53:54]
	v_mul_f64 v[53:54], v[45:46], v[53:54]
	s_waitcnt vmcnt(10)
	v_fma_f64 v[41:42], v[41:42], v[55:56], -v[67:68]
	v_fma_f64 v[3:4], v[43:44], v[55:56], v[3:4]
	s_waitcnt vmcnt(8) lgkmcnt(0)
	v_mul_f64 v[55:56], v[51:52], v[57:58]
	s_waitcnt vmcnt(6)
	v_fma_f64 v[45:46], v[45:46], v[59:60], -v[69:70]
	v_mul_f64 v[43:44], v[49:50], v[57:58]
	v_fma_f64 v[47:48], v[47:48], v[59:60], v[53:54]
	v_add_f64 v[41:42], v[41:42], 0
	v_add_f64 v[3:4], v[3:4], 0
	s_waitcnt vmcnt(4)
	v_fma_f64 v[49:50], v[49:50], v[61:62], -v[55:56]
	v_fma_f64 v[43:44], v[51:52], v[61:62], v[43:44]
	v_add_f64 v[41:42], v[41:42], v[45:46]
	v_add_f64 v[3:4], v[3:4], v[47:48]
	;; [unrolled: 1-line block ×4, first 2 shown]
	s_waitcnt vmcnt(2)
	v_add_f64 v[41:42], v[63:64], -v[41:42]
	s_waitcnt vmcnt(0)
	v_add_f64 v[3:4], v[65:66], -v[3:4]
	buffer_store_dword v41, off, s[0:3], 0 offset:240
	buffer_store_dword v42, off, s[0:3], 0 offset:244
	;; [unrolled: 1-line block ×4, first 2 shown]
	v_cmpx_lt_u32_e32 13, v0
	s_cbranch_execz .LBB81_95
; %bb.94:
	v_mov_b32_e32 v3, s16
	s_clause 0x3
	buffer_load_dword v41, v3, s[0:3], 0 offen
	buffer_load_dword v42, v3, s[0:3], 0 offen offset:4
	buffer_load_dword v43, v3, s[0:3], 0 offen offset:8
	;; [unrolled: 1-line block ×3, first 2 shown]
	buffer_store_dword v2, off, s[0:3], 0 offset:224
	buffer_store_dword v2, off, s[0:3], 0 offset:228
	;; [unrolled: 1-line block ×4, first 2 shown]
	s_waitcnt vmcnt(0)
	ds_write_b128 v1, v[41:44]
.LBB81_95:
	s_or_b32 exec_lo, exec_lo, s4
	s_waitcnt lgkmcnt(0)
	s_waitcnt_vscnt null, 0x0
	s_barrier
	buffer_gl0_inv
	s_clause 0x13
	buffer_load_dword v3, off, s[0:3], 0 offset:248
	buffer_load_dword v4, off, s[0:3], 0 offset:252
	;; [unrolled: 1-line block ×20, first 2 shown]
	ds_read_b128 v[41:44], v2 offset:512
	ds_read_b128 v[45:48], v2 offset:528
	;; [unrolled: 1-line block ×3, first 2 shown]
	s_mov_b32 s4, exec_lo
	s_waitcnt vmcnt(18) lgkmcnt(2)
	v_mul_f64 v[71:72], v[43:44], v[3:4]
	v_mul_f64 v[3:4], v[41:42], v[3:4]
	s_waitcnt vmcnt(16) lgkmcnt(1)
	v_mul_f64 v[73:74], v[47:48], v[53:54]
	v_mul_f64 v[53:54], v[45:46], v[53:54]
	s_waitcnt vmcnt(14)
	v_fma_f64 v[71:72], v[41:42], v[55:56], -v[71:72]
	v_fma_f64 v[3:4], v[43:44], v[55:56], v[3:4]
	ds_read_b128 v[41:44], v2 offset:560
	s_waitcnt vmcnt(12) lgkmcnt(1)
	v_mul_f64 v[55:56], v[49:50], v[57:58]
	v_mul_f64 v[57:58], v[51:52], v[57:58]
	s_waitcnt vmcnt(10)
	v_fma_f64 v[45:46], v[45:46], v[59:60], -v[73:74]
	v_fma_f64 v[47:48], v[47:48], v[59:60], v[53:54]
	s_waitcnt vmcnt(8) lgkmcnt(0)
	v_mul_f64 v[59:60], v[43:44], v[61:62]
	v_add_f64 v[71:72], v[71:72], 0
	v_add_f64 v[2:3], v[3:4], 0
	v_mul_f64 v[53:54], v[41:42], v[61:62]
	s_waitcnt vmcnt(6)
	v_fma_f64 v[49:50], v[49:50], v[63:64], -v[57:58]
	v_fma_f64 v[51:52], v[51:52], v[63:64], v[55:56]
	s_waitcnt vmcnt(4)
	v_fma_f64 v[41:42], v[41:42], v[65:66], -v[59:60]
	v_add_f64 v[45:46], v[71:72], v[45:46]
	v_add_f64 v[2:3], v[2:3], v[47:48]
	v_fma_f64 v[43:44], v[43:44], v[65:66], v[53:54]
	v_add_f64 v[45:46], v[45:46], v[49:50]
	v_add_f64 v[2:3], v[2:3], v[51:52]
	;; [unrolled: 1-line block ×4, first 2 shown]
	s_waitcnt vmcnt(2)
	v_add_f64 v[41:42], v[67:68], -v[41:42]
	s_waitcnt vmcnt(0)
	v_add_f64 v[2:3], v[69:70], -v[2:3]
	buffer_store_dword v41, off, s[0:3], 0 offset:224
	buffer_store_dword v42, off, s[0:3], 0 offset:228
	;; [unrolled: 1-line block ×4, first 2 shown]
	v_cmpx_lt_u32_e32 12, v0
	s_cbranch_execz .LBB81_97
; %bb.96:
	v_mov_b32_e32 v2, s17
	s_clause 0x3
	buffer_load_dword v41, v2, s[0:3], 0 offen
	buffer_load_dword v42, v2, s[0:3], 0 offen offset:4
	buffer_load_dword v43, v2, s[0:3], 0 offen offset:8
	;; [unrolled: 1-line block ×3, first 2 shown]
	v_mov_b32_e32 v2, 0
	buffer_store_dword v2, off, s[0:3], 0 offset:208
	buffer_store_dword v2, off, s[0:3], 0 offset:212
	;; [unrolled: 1-line block ×4, first 2 shown]
	s_waitcnt vmcnt(0)
	ds_write_b128 v1, v[41:44]
.LBB81_97:
	s_or_b32 exec_lo, exec_lo, s4
	s_waitcnt lgkmcnt(0)
	s_waitcnt_vscnt null, 0x0
	s_barrier
	buffer_gl0_inv
	s_clause 0x17
	buffer_load_dword v3, off, s[0:3], 0 offset:232
	buffer_load_dword v4, off, s[0:3], 0 offset:236
	;; [unrolled: 1-line block ×24, first 2 shown]
	v_mov_b32_e32 v2, 0
	ds_read_b128 v[41:44], v2 offset:496
	ds_read_b128 v[45:48], v2 offset:512
	;; [unrolled: 1-line block ×3, first 2 shown]
	s_mov_b32 s4, exec_lo
	s_waitcnt vmcnt(22) lgkmcnt(2)
	v_mul_f64 v[75:76], v[43:44], v[3:4]
	v_mul_f64 v[3:4], v[41:42], v[3:4]
	s_waitcnt vmcnt(20) lgkmcnt(1)
	v_mul_f64 v[77:78], v[47:48], v[53:54]
	v_mul_f64 v[53:54], v[45:46], v[53:54]
	s_waitcnt vmcnt(18)
	v_fma_f64 v[75:76], v[41:42], v[55:56], -v[75:76]
	v_fma_f64 v[3:4], v[43:44], v[55:56], v[3:4]
	ds_read_b128 v[41:44], v2 offset:544
	s_waitcnt vmcnt(16) lgkmcnt(1)
	v_mul_f64 v[55:56], v[49:50], v[57:58]
	v_mul_f64 v[57:58], v[51:52], v[57:58]
	s_waitcnt vmcnt(14)
	v_fma_f64 v[77:78], v[45:46], v[59:60], -v[77:78]
	v_fma_f64 v[53:54], v[47:48], v[59:60], v[53:54]
	ds_read_b128 v[45:48], v2 offset:560
	s_waitcnt vmcnt(10) lgkmcnt(1)
	v_mul_f64 v[59:60], v[41:42], v[61:62]
	v_add_f64 v[75:76], v[75:76], 0
	v_add_f64 v[3:4], v[3:4], 0
	v_mul_f64 v[61:62], v[43:44], v[61:62]
	s_waitcnt vmcnt(8)
	v_fma_f64 v[49:50], v[49:50], v[67:68], -v[57:58]
	v_fma_f64 v[51:52], v[51:52], v[67:68], v[55:56]
	s_waitcnt vmcnt(7) lgkmcnt(0)
	v_mul_f64 v[55:56], v[47:48], v[63:64]
	s_waitcnt vmcnt(5)
	v_fma_f64 v[43:44], v[43:44], v[69:70], v[59:60]
	v_add_f64 v[57:58], v[75:76], v[77:78]
	v_add_f64 v[3:4], v[3:4], v[53:54]
	v_fma_f64 v[41:42], v[41:42], v[69:70], -v[61:62]
	v_mul_f64 v[53:54], v[45:46], v[63:64]
	s_waitcnt vmcnt(4)
	v_fma_f64 v[45:46], v[45:46], v[65:66], -v[55:56]
	v_add_f64 v[49:50], v[57:58], v[49:50]
	v_add_f64 v[3:4], v[3:4], v[51:52]
	v_fma_f64 v[47:48], v[47:48], v[65:66], v[53:54]
	v_add_f64 v[41:42], v[49:50], v[41:42]
	v_add_f64 v[3:4], v[3:4], v[43:44]
	;; [unrolled: 1-line block ×4, first 2 shown]
	s_waitcnt vmcnt(2)
	v_add_f64 v[41:42], v[71:72], -v[41:42]
	s_waitcnt vmcnt(0)
	v_add_f64 v[3:4], v[73:74], -v[3:4]
	buffer_store_dword v42, off, s[0:3], 0 offset:212
	buffer_store_dword v41, off, s[0:3], 0 offset:208
	;; [unrolled: 1-line block ×4, first 2 shown]
	v_cmpx_lt_u32_e32 11, v0
	s_cbranch_execz .LBB81_99
; %bb.98:
	v_mov_b32_e32 v3, s18
	s_clause 0x3
	buffer_load_dword v41, v3, s[0:3], 0 offen
	buffer_load_dword v42, v3, s[0:3], 0 offen offset:4
	buffer_load_dword v43, v3, s[0:3], 0 offen offset:8
	;; [unrolled: 1-line block ×3, first 2 shown]
	buffer_store_dword v2, off, s[0:3], 0 offset:192
	buffer_store_dword v2, off, s[0:3], 0 offset:196
	buffer_store_dword v2, off, s[0:3], 0 offset:200
	buffer_store_dword v2, off, s[0:3], 0 offset:204
	s_waitcnt vmcnt(0)
	ds_write_b128 v1, v[41:44]
.LBB81_99:
	s_or_b32 exec_lo, exec_lo, s4
	s_waitcnt lgkmcnt(0)
	s_waitcnt_vscnt null, 0x0
	s_barrier
	buffer_gl0_inv
	s_clause 0x1b
	buffer_load_dword v3, off, s[0:3], 0 offset:216
	buffer_load_dword v4, off, s[0:3], 0 offset:220
	;; [unrolled: 1-line block ×28, first 2 shown]
	ds_read_b128 v[41:44], v2 offset:480
	ds_read_b128 v[45:48], v2 offset:496
	;; [unrolled: 1-line block ×3, first 2 shown]
	s_mov_b32 s4, exec_lo
	s_waitcnt vmcnt(26) lgkmcnt(2)
	v_mul_f64 v[79:80], v[43:44], v[3:4]
	v_mul_f64 v[3:4], v[41:42], v[3:4]
	s_waitcnt vmcnt(24) lgkmcnt(1)
	v_mul_f64 v[81:82], v[47:48], v[53:54]
	v_mul_f64 v[53:54], v[45:46], v[53:54]
	s_waitcnt vmcnt(22)
	v_fma_f64 v[79:80], v[41:42], v[55:56], -v[79:80]
	v_fma_f64 v[3:4], v[43:44], v[55:56], v[3:4]
	ds_read_b128 v[41:44], v2 offset:528
	s_waitcnt vmcnt(20) lgkmcnt(1)
	v_mul_f64 v[55:56], v[49:50], v[57:58]
	v_mul_f64 v[57:58], v[51:52], v[57:58]
	s_waitcnt vmcnt(18)
	v_fma_f64 v[81:82], v[45:46], v[59:60], -v[81:82]
	v_fma_f64 v[53:54], v[47:48], v[59:60], v[53:54]
	ds_read_b128 v[45:48], v2 offset:544
	s_waitcnt vmcnt(14) lgkmcnt(1)
	v_mul_f64 v[59:60], v[41:42], v[61:62]
	v_add_f64 v[79:80], v[79:80], 0
	v_add_f64 v[3:4], v[3:4], 0
	v_mul_f64 v[61:62], v[43:44], v[61:62]
	s_waitcnt vmcnt(12)
	v_fma_f64 v[57:58], v[49:50], v[67:68], -v[57:58]
	v_fma_f64 v[55:56], v[51:52], v[67:68], v[55:56]
	ds_read_b128 v[49:52], v2 offset:560
	s_waitcnt vmcnt(9)
	v_fma_f64 v[43:44], v[43:44], v[69:70], v[59:60]
	v_add_f64 v[79:80], v[79:80], v[81:82]
	v_add_f64 v[3:4], v[3:4], v[53:54]
	s_waitcnt lgkmcnt(1)
	v_mul_f64 v[53:54], v[45:46], v[63:64]
	v_mul_f64 v[63:64], v[47:48], v[63:64]
	v_fma_f64 v[41:42], v[41:42], v[69:70], -v[61:62]
	s_waitcnt vmcnt(7) lgkmcnt(0)
	v_mul_f64 v[59:60], v[51:52], v[71:72]
	v_add_f64 v[57:58], v[79:80], v[57:58]
	v_add_f64 v[2:3], v[3:4], v[55:56]
	v_mul_f64 v[55:56], v[49:50], v[71:72]
	s_waitcnt vmcnt(6)
	v_fma_f64 v[45:46], v[45:46], v[65:66], -v[63:64]
	v_fma_f64 v[47:48], v[47:48], v[65:66], v[53:54]
	v_add_f64 v[41:42], v[57:58], v[41:42]
	v_add_f64 v[2:3], v[2:3], v[43:44]
	s_waitcnt vmcnt(4)
	v_fma_f64 v[43:44], v[49:50], v[73:74], -v[59:60]
	v_add_f64 v[41:42], v[41:42], v[45:46]
	v_fma_f64 v[45:46], v[51:52], v[73:74], v[55:56]
	v_add_f64 v[2:3], v[2:3], v[47:48]
	v_add_f64 v[41:42], v[41:42], v[43:44]
	;; [unrolled: 1-line block ×3, first 2 shown]
	s_waitcnt vmcnt(2)
	v_add_f64 v[41:42], v[75:76], -v[41:42]
	s_waitcnt vmcnt(0)
	v_add_f64 v[2:3], v[77:78], -v[2:3]
	buffer_store_dword v42, off, s[0:3], 0 offset:196
	buffer_store_dword v41, off, s[0:3], 0 offset:192
	;; [unrolled: 1-line block ×4, first 2 shown]
	v_cmpx_lt_u32_e32 10, v0
	s_cbranch_execz .LBB81_101
; %bb.100:
	v_mov_b32_e32 v2, s19
	s_clause 0x3
	buffer_load_dword v41, v2, s[0:3], 0 offen
	buffer_load_dword v42, v2, s[0:3], 0 offen offset:4
	buffer_load_dword v43, v2, s[0:3], 0 offen offset:8
	buffer_load_dword v44, v2, s[0:3], 0 offen offset:12
	v_mov_b32_e32 v2, 0
	buffer_store_dword v2, off, s[0:3], 0 offset:176
	buffer_store_dword v2, off, s[0:3], 0 offset:180
	;; [unrolled: 1-line block ×4, first 2 shown]
	s_waitcnt vmcnt(0)
	ds_write_b128 v1, v[41:44]
.LBB81_101:
	s_or_b32 exec_lo, exec_lo, s4
	s_waitcnt lgkmcnt(0)
	s_waitcnt_vscnt null, 0x0
	s_barrier
	buffer_gl0_inv
	s_clause 0x1f
	buffer_load_dword v3, off, s[0:3], 0 offset:200
	buffer_load_dword v4, off, s[0:3], 0 offset:204
	;; [unrolled: 1-line block ×32, first 2 shown]
	v_mov_b32_e32 v2, 0
	ds_read_b128 v[41:44], v2 offset:464
	ds_read_b128 v[45:48], v2 offset:480
	;; [unrolled: 1-line block ×3, first 2 shown]
	s_mov_b32 s4, exec_lo
	s_waitcnt vmcnt(30) lgkmcnt(2)
	v_mul_f64 v[83:84], v[43:44], v[3:4]
	v_mul_f64 v[3:4], v[41:42], v[3:4]
	s_waitcnt vmcnt(28) lgkmcnt(1)
	v_mul_f64 v[85:86], v[47:48], v[53:54]
	v_mul_f64 v[53:54], v[45:46], v[53:54]
	s_waitcnt vmcnt(26)
	v_fma_f64 v[83:84], v[41:42], v[55:56], -v[83:84]
	v_fma_f64 v[3:4], v[43:44], v[55:56], v[3:4]
	ds_read_b128 v[41:44], v2 offset:512
	s_waitcnt vmcnt(24) lgkmcnt(1)
	v_mul_f64 v[55:56], v[49:50], v[57:58]
	v_mul_f64 v[57:58], v[51:52], v[57:58]
	s_waitcnt vmcnt(22)
	v_fma_f64 v[85:86], v[45:46], v[59:60], -v[85:86]
	v_fma_f64 v[53:54], v[47:48], v[59:60], v[53:54]
	ds_read_b128 v[45:48], v2 offset:528
	s_waitcnt vmcnt(18) lgkmcnt(1)
	v_mul_f64 v[59:60], v[41:42], v[61:62]
	v_add_f64 v[83:84], v[83:84], 0
	v_add_f64 v[3:4], v[3:4], 0
	v_mul_f64 v[61:62], v[43:44], v[61:62]
	s_waitcnt vmcnt(16)
	v_fma_f64 v[57:58], v[49:50], v[67:68], -v[57:58]
	v_fma_f64 v[55:56], v[51:52], v[67:68], v[55:56]
	ds_read_b128 v[49:52], v2 offset:544
	s_waitcnt vmcnt(13)
	v_fma_f64 v[59:60], v[43:44], v[69:70], v[59:60]
	v_add_f64 v[83:84], v[83:84], v[85:86]
	v_add_f64 v[3:4], v[3:4], v[53:54]
	s_waitcnt lgkmcnt(1)
	v_mul_f64 v[53:54], v[45:46], v[63:64]
	v_mul_f64 v[63:64], v[47:48], v[63:64]
	v_fma_f64 v[61:62], v[41:42], v[69:70], -v[61:62]
	s_waitcnt vmcnt(9) lgkmcnt(0)
	v_mul_f64 v[67:68], v[51:52], v[71:72]
	ds_read_b128 v[41:44], v2 offset:560
	v_add_f64 v[57:58], v[83:84], v[57:58]
	v_add_f64 v[3:4], v[3:4], v[55:56]
	v_mul_f64 v[55:56], v[49:50], v[71:72]
	s_waitcnt vmcnt(8)
	v_fma_f64 v[45:46], v[45:46], v[65:66], -v[63:64]
	v_fma_f64 v[47:48], v[47:48], v[65:66], v[53:54]
	s_waitcnt vmcnt(5)
	v_fma_f64 v[49:50], v[49:50], v[77:78], -v[67:68]
	s_waitcnt lgkmcnt(0)
	v_mul_f64 v[53:54], v[41:42], v[73:74]
	v_add_f64 v[57:58], v[57:58], v[61:62]
	v_add_f64 v[3:4], v[3:4], v[59:60]
	v_mul_f64 v[59:60], v[43:44], v[73:74]
	v_fma_f64 v[51:52], v[51:52], v[77:78], v[55:56]
	s_waitcnt vmcnt(4)
	v_fma_f64 v[43:44], v[43:44], v[75:76], v[53:54]
	v_add_f64 v[45:46], v[57:58], v[45:46]
	v_add_f64 v[3:4], v[3:4], v[47:48]
	v_fma_f64 v[41:42], v[41:42], v[75:76], -v[59:60]
	v_add_f64 v[45:46], v[45:46], v[49:50]
	v_add_f64 v[3:4], v[3:4], v[51:52]
	;; [unrolled: 1-line block ×4, first 2 shown]
	s_waitcnt vmcnt(2)
	v_add_f64 v[41:42], v[79:80], -v[41:42]
	s_waitcnt vmcnt(0)
	v_add_f64 v[3:4], v[81:82], -v[3:4]
	buffer_store_dword v42, off, s[0:3], 0 offset:180
	buffer_store_dword v41, off, s[0:3], 0 offset:176
	;; [unrolled: 1-line block ×4, first 2 shown]
	v_cmpx_lt_u32_e32 9, v0
	s_cbranch_execz .LBB81_103
; %bb.102:
	v_mov_b32_e32 v3, s20
	s_clause 0x3
	buffer_load_dword v41, v3, s[0:3], 0 offen
	buffer_load_dword v42, v3, s[0:3], 0 offen offset:4
	buffer_load_dword v43, v3, s[0:3], 0 offen offset:8
	buffer_load_dword v44, v3, s[0:3], 0 offen offset:12
	buffer_store_dword v2, off, s[0:3], 0 offset:160
	buffer_store_dword v2, off, s[0:3], 0 offset:164
	buffer_store_dword v2, off, s[0:3], 0 offset:168
	buffer_store_dword v2, off, s[0:3], 0 offset:172
	s_waitcnt vmcnt(0)
	ds_write_b128 v1, v[41:44]
.LBB81_103:
	s_or_b32 exec_lo, exec_lo, s4
	s_waitcnt lgkmcnt(0)
	s_waitcnt_vscnt null, 0x0
	s_barrier
	buffer_gl0_inv
	s_clause 0x23
	buffer_load_dword v3, off, s[0:3], 0 offset:184
	buffer_load_dword v4, off, s[0:3], 0 offset:188
	;; [unrolled: 1-line block ×36, first 2 shown]
	ds_read_b128 v[41:44], v2 offset:448
	ds_read_b128 v[45:48], v2 offset:464
	ds_read_b128 v[49:52], v2 offset:480
	s_mov_b32 s4, exec_lo
	s_waitcnt vmcnt(34) lgkmcnt(2)
	v_mul_f64 v[87:88], v[43:44], v[3:4]
	v_mul_f64 v[3:4], v[41:42], v[3:4]
	s_waitcnt vmcnt(32) lgkmcnt(1)
	v_mul_f64 v[89:90], v[47:48], v[53:54]
	v_mul_f64 v[53:54], v[45:46], v[53:54]
	s_waitcnt vmcnt(30)
	v_fma_f64 v[87:88], v[41:42], v[55:56], -v[87:88]
	v_fma_f64 v[3:4], v[43:44], v[55:56], v[3:4]
	ds_read_b128 v[41:44], v2 offset:496
	s_waitcnt vmcnt(28) lgkmcnt(1)
	v_mul_f64 v[55:56], v[49:50], v[57:58]
	v_mul_f64 v[57:58], v[51:52], v[57:58]
	s_waitcnt vmcnt(26)
	v_fma_f64 v[89:90], v[45:46], v[59:60], -v[89:90]
	v_fma_f64 v[53:54], v[47:48], v[59:60], v[53:54]
	ds_read_b128 v[45:48], v2 offset:512
	s_waitcnt vmcnt(22) lgkmcnt(1)
	v_mul_f64 v[59:60], v[41:42], v[61:62]
	v_add_f64 v[87:88], v[87:88], 0
	v_add_f64 v[3:4], v[3:4], 0
	v_mul_f64 v[61:62], v[43:44], v[61:62]
	s_waitcnt vmcnt(20)
	v_fma_f64 v[57:58], v[49:50], v[67:68], -v[57:58]
	v_fma_f64 v[55:56], v[51:52], v[67:68], v[55:56]
	ds_read_b128 v[49:52], v2 offset:528
	s_waitcnt vmcnt(17)
	v_fma_f64 v[59:60], v[43:44], v[69:70], v[59:60]
	v_add_f64 v[87:88], v[87:88], v[89:90]
	v_add_f64 v[3:4], v[3:4], v[53:54]
	s_waitcnt lgkmcnt(1)
	v_mul_f64 v[53:54], v[45:46], v[63:64]
	v_mul_f64 v[63:64], v[47:48], v[63:64]
	v_fma_f64 v[61:62], v[41:42], v[69:70], -v[61:62]
	s_waitcnt vmcnt(13) lgkmcnt(0)
	v_mul_f64 v[67:68], v[51:52], v[71:72]
	ds_read_b128 v[41:44], v2 offset:544
	v_add_f64 v[57:58], v[87:88], v[57:58]
	v_add_f64 v[3:4], v[3:4], v[55:56]
	v_mul_f64 v[55:56], v[49:50], v[71:72]
	s_waitcnt vmcnt(12)
	v_fma_f64 v[63:64], v[45:46], v[65:66], -v[63:64]
	v_fma_f64 v[53:54], v[47:48], v[65:66], v[53:54]
	ds_read_b128 v[45:48], v2 offset:560
	s_waitcnt vmcnt(9)
	v_fma_f64 v[49:50], v[49:50], v[77:78], -v[67:68]
	v_add_f64 v[57:58], v[57:58], v[61:62]
	v_add_f64 v[3:4], v[3:4], v[59:60]
	s_waitcnt lgkmcnt(1)
	v_mul_f64 v[61:62], v[43:44], v[73:74]
	v_mul_f64 v[59:60], v[41:42], v[73:74]
	v_fma_f64 v[51:52], v[51:52], v[77:78], v[55:56]
	s_waitcnt vmcnt(7) lgkmcnt(0)
	v_mul_f64 v[55:56], v[47:48], v[79:80]
	v_add_f64 v[57:58], v[57:58], v[63:64]
	v_add_f64 v[2:3], v[3:4], v[53:54]
	s_waitcnt vmcnt(6)
	v_fma_f64 v[41:42], v[41:42], v[75:76], -v[61:62]
	v_mul_f64 v[53:54], v[45:46], v[79:80]
	v_fma_f64 v[43:44], v[43:44], v[75:76], v[59:60]
	s_waitcnt vmcnt(4)
	v_fma_f64 v[45:46], v[45:46], v[81:82], -v[55:56]
	v_add_f64 v[49:50], v[57:58], v[49:50]
	v_add_f64 v[2:3], v[2:3], v[51:52]
	v_fma_f64 v[47:48], v[47:48], v[81:82], v[53:54]
	v_add_f64 v[41:42], v[49:50], v[41:42]
	v_add_f64 v[2:3], v[2:3], v[43:44]
	;; [unrolled: 1-line block ×4, first 2 shown]
	s_waitcnt vmcnt(2)
	v_add_f64 v[41:42], v[83:84], -v[41:42]
	s_waitcnt vmcnt(0)
	v_add_f64 v[2:3], v[85:86], -v[2:3]
	buffer_store_dword v42, off, s[0:3], 0 offset:164
	buffer_store_dword v41, off, s[0:3], 0 offset:160
	;; [unrolled: 1-line block ×4, first 2 shown]
	v_cmpx_lt_u32_e32 8, v0
	s_cbranch_execz .LBB81_105
; %bb.104:
	v_mov_b32_e32 v2, s21
	s_clause 0x3
	buffer_load_dword v41, v2, s[0:3], 0 offen
	buffer_load_dword v42, v2, s[0:3], 0 offen offset:4
	buffer_load_dword v43, v2, s[0:3], 0 offen offset:8
	;; [unrolled: 1-line block ×3, first 2 shown]
	v_mov_b32_e32 v2, 0
	buffer_store_dword v2, off, s[0:3], 0 offset:144
	buffer_store_dword v2, off, s[0:3], 0 offset:148
	;; [unrolled: 1-line block ×4, first 2 shown]
	s_waitcnt vmcnt(0)
	ds_write_b128 v1, v[41:44]
.LBB81_105:
	s_or_b32 exec_lo, exec_lo, s4
	s_waitcnt lgkmcnt(0)
	s_waitcnt_vscnt null, 0x0
	s_barrier
	buffer_gl0_inv
	s_clause 0x27
	buffer_load_dword v3, off, s[0:3], 0 offset:168
	buffer_load_dword v4, off, s[0:3], 0 offset:172
	buffer_load_dword v53, off, s[0:3], 0 offset:184
	buffer_load_dword v54, off, s[0:3], 0 offset:188
	buffer_load_dword v55, off, s[0:3], 0 offset:160
	buffer_load_dword v56, off, s[0:3], 0 offset:164
	buffer_load_dword v57, off, s[0:3], 0 offset:200
	buffer_load_dword v58, off, s[0:3], 0 offset:204
	buffer_load_dword v59, off, s[0:3], 0 offset:176
	buffer_load_dword v60, off, s[0:3], 0 offset:180
	buffer_load_dword v62, off, s[0:3], 0 offset:220
	buffer_load_dword v63, off, s[0:3], 0 offset:232
	buffer_load_dword v65, off, s[0:3], 0 offset:224
	buffer_load_dword v61, off, s[0:3], 0 offset:216
	buffer_load_dword v67, off, s[0:3], 0 offset:192
	buffer_load_dword v68, off, s[0:3], 0 offset:196
	buffer_load_dword v64, off, s[0:3], 0 offset:236
	buffer_load_dword v70, off, s[0:3], 0 offset:212
	buffer_load_dword v69, off, s[0:3], 0 offset:208
	buffer_load_dword v72, off, s[0:3], 0 offset:252
	buffer_load_dword v73, off, s[0:3], 0 offset:264
	buffer_load_dword v75, off, s[0:3], 0 offset:256
	buffer_load_dword v71, off, s[0:3], 0 offset:248
	buffer_load_dword v66, off, s[0:3], 0 offset:228
	buffer_load_dword v74, off, s[0:3], 0 offset:268
	buffer_load_dword v78, off, s[0:3], 0 offset:244
	buffer_load_dword v77, off, s[0:3], 0 offset:240
	buffer_load_dword v80, off, s[0:3], 0 offset:284
	buffer_load_dword v81, off, s[0:3], 0 offset:296
	buffer_load_dword v83, off, s[0:3], 0 offset:288
	buffer_load_dword v79, off, s[0:3], 0 offset:280
	buffer_load_dword v76, off, s[0:3], 0 offset:260
	buffer_load_dword v82, off, s[0:3], 0 offset:300
	buffer_load_dword v86, off, s[0:3], 0 offset:276
	buffer_load_dword v85, off, s[0:3], 0 offset:272
	buffer_load_dword v84, off, s[0:3], 0 offset:292
	buffer_load_dword v87, off, s[0:3], 0 offset:144
	buffer_load_dword v88, off, s[0:3], 0 offset:148
	buffer_load_dword v89, off, s[0:3], 0 offset:152
	buffer_load_dword v90, off, s[0:3], 0 offset:156
	v_mov_b32_e32 v2, 0
	ds_read_b128 v[41:44], v2 offset:432
	ds_read_b128 v[45:48], v2 offset:448
	;; [unrolled: 1-line block ×3, first 2 shown]
	s_mov_b32 s4, exec_lo
	s_waitcnt vmcnt(38) lgkmcnt(2)
	v_mul_f64 v[91:92], v[43:44], v[3:4]
	v_mul_f64 v[3:4], v[41:42], v[3:4]
	s_waitcnt vmcnt(36) lgkmcnt(1)
	v_mul_f64 v[93:94], v[47:48], v[53:54]
	v_mul_f64 v[53:54], v[45:46], v[53:54]
	s_waitcnt vmcnt(34)
	v_fma_f64 v[91:92], v[41:42], v[55:56], -v[91:92]
	v_fma_f64 v[3:4], v[43:44], v[55:56], v[3:4]
	ds_read_b128 v[41:44], v2 offset:480
	s_waitcnt vmcnt(32) lgkmcnt(1)
	v_mul_f64 v[55:56], v[49:50], v[57:58]
	v_mul_f64 v[57:58], v[51:52], v[57:58]
	s_waitcnt vmcnt(30)
	v_fma_f64 v[93:94], v[45:46], v[59:60], -v[93:94]
	v_fma_f64 v[53:54], v[47:48], v[59:60], v[53:54]
	ds_read_b128 v[45:48], v2 offset:496
	s_waitcnt vmcnt(26) lgkmcnt(1)
	v_mul_f64 v[59:60], v[41:42], v[61:62]
	v_add_f64 v[91:92], v[91:92], 0
	v_add_f64 v[3:4], v[3:4], 0
	v_mul_f64 v[61:62], v[43:44], v[61:62]
	s_waitcnt vmcnt(24)
	v_fma_f64 v[57:58], v[49:50], v[67:68], -v[57:58]
	v_fma_f64 v[55:56], v[51:52], v[67:68], v[55:56]
	ds_read_b128 v[49:52], v2 offset:512
	s_waitcnt vmcnt(21)
	v_fma_f64 v[59:60], v[43:44], v[69:70], v[59:60]
	v_add_f64 v[91:92], v[91:92], v[93:94]
	v_add_f64 v[3:4], v[3:4], v[53:54]
	s_waitcnt lgkmcnt(1)
	v_mul_f64 v[53:54], v[45:46], v[63:64]
	v_mul_f64 v[63:64], v[47:48], v[63:64]
	v_fma_f64 v[61:62], v[41:42], v[69:70], -v[61:62]
	s_waitcnt vmcnt(17) lgkmcnt(0)
	v_mul_f64 v[67:68], v[51:52], v[71:72]
	ds_read_b128 v[41:44], v2 offset:528
	v_add_f64 v[57:58], v[91:92], v[57:58]
	v_add_f64 v[3:4], v[3:4], v[55:56]
	v_mul_f64 v[55:56], v[49:50], v[71:72]
	s_waitcnt vmcnt(16)
	v_fma_f64 v[63:64], v[45:46], v[65:66], -v[63:64]
	v_fma_f64 v[53:54], v[47:48], v[65:66], v[53:54]
	ds_read_b128 v[45:48], v2 offset:544
	s_waitcnt vmcnt(13)
	v_fma_f64 v[65:66], v[49:50], v[77:78], -v[67:68]
	v_add_f64 v[57:58], v[57:58], v[61:62]
	v_add_f64 v[3:4], v[3:4], v[59:60]
	s_waitcnt lgkmcnt(1)
	v_mul_f64 v[61:62], v[43:44], v[73:74]
	v_mul_f64 v[59:60], v[41:42], v[73:74]
	v_fma_f64 v[55:56], v[51:52], v[77:78], v[55:56]
	ds_read_b128 v[49:52], v2 offset:560
	v_add_f64 v[57:58], v[57:58], v[63:64]
	v_add_f64 v[3:4], v[3:4], v[53:54]
	s_waitcnt vmcnt(9) lgkmcnt(1)
	v_mul_f64 v[63:64], v[47:48], v[79:80]
	s_waitcnt vmcnt(8)
	v_fma_f64 v[41:42], v[41:42], v[75:76], -v[61:62]
	v_mul_f64 v[53:54], v[45:46], v[79:80]
	v_fma_f64 v[43:44], v[43:44], v[75:76], v[59:60]
	s_waitcnt vmcnt(7) lgkmcnt(0)
	v_mul_f64 v[59:60], v[51:52], v[81:82]
	v_add_f64 v[57:58], v[57:58], v[65:66]
	v_add_f64 v[3:4], v[3:4], v[55:56]
	s_waitcnt vmcnt(5)
	v_fma_f64 v[45:46], v[45:46], v[85:86], -v[63:64]
	v_mul_f64 v[55:56], v[49:50], v[81:82]
	v_fma_f64 v[47:48], v[47:48], v[85:86], v[53:54]
	v_add_f64 v[41:42], v[57:58], v[41:42]
	v_add_f64 v[3:4], v[3:4], v[43:44]
	s_waitcnt vmcnt(4)
	v_fma_f64 v[43:44], v[49:50], v[83:84], -v[59:60]
	v_add_f64 v[41:42], v[41:42], v[45:46]
	v_fma_f64 v[45:46], v[51:52], v[83:84], v[55:56]
	v_add_f64 v[3:4], v[3:4], v[47:48]
	v_add_f64 v[41:42], v[41:42], v[43:44]
	;; [unrolled: 1-line block ×3, first 2 shown]
	s_waitcnt vmcnt(2)
	v_add_f64 v[41:42], v[87:88], -v[41:42]
	s_waitcnt vmcnt(0)
	v_add_f64 v[3:4], v[89:90], -v[3:4]
	buffer_store_dword v42, off, s[0:3], 0 offset:148
	buffer_store_dword v41, off, s[0:3], 0 offset:144
	;; [unrolled: 1-line block ×4, first 2 shown]
	v_cmpx_lt_u32_e32 7, v0
	s_cbranch_execz .LBB81_107
; %bb.106:
	v_mov_b32_e32 v3, s22
	s_clause 0x3
	buffer_load_dword v41, v3, s[0:3], 0 offen
	buffer_load_dword v42, v3, s[0:3], 0 offen offset:4
	buffer_load_dword v43, v3, s[0:3], 0 offen offset:8
	;; [unrolled: 1-line block ×3, first 2 shown]
	buffer_store_dword v2, off, s[0:3], 0 offset:128
	buffer_store_dword v2, off, s[0:3], 0 offset:132
	;; [unrolled: 1-line block ×4, first 2 shown]
	s_waitcnt vmcnt(0)
	ds_write_b128 v1, v[41:44]
.LBB81_107:
	s_or_b32 exec_lo, exec_lo, s4
	s_waitcnt lgkmcnt(0)
	s_waitcnt_vscnt null, 0x0
	s_barrier
	buffer_gl0_inv
	s_clause 0x2b
	buffer_load_dword v3, off, s[0:3], 0 offset:152
	buffer_load_dword v4, off, s[0:3], 0 offset:156
	;; [unrolled: 1-line block ×44, first 2 shown]
	ds_read_b128 v[41:44], v2 offset:416
	ds_read_b128 v[45:48], v2 offset:432
	ds_read_b128 v[49:52], v2 offset:448
	s_mov_b32 s4, exec_lo
	s_waitcnt vmcnt(42) lgkmcnt(2)
	v_mul_f64 v[95:96], v[43:44], v[3:4]
	v_mul_f64 v[3:4], v[41:42], v[3:4]
	s_waitcnt vmcnt(40) lgkmcnt(1)
	v_mul_f64 v[97:98], v[47:48], v[53:54]
	v_mul_f64 v[53:54], v[45:46], v[53:54]
	s_waitcnt vmcnt(38)
	v_fma_f64 v[95:96], v[41:42], v[55:56], -v[95:96]
	v_fma_f64 v[3:4], v[43:44], v[55:56], v[3:4]
	ds_read_b128 v[41:44], v2 offset:464
	s_waitcnt vmcnt(36) lgkmcnt(1)
	v_mul_f64 v[55:56], v[49:50], v[57:58]
	v_mul_f64 v[57:58], v[51:52], v[57:58]
	s_waitcnt vmcnt(34)
	v_fma_f64 v[97:98], v[45:46], v[59:60], -v[97:98]
	v_fma_f64 v[53:54], v[47:48], v[59:60], v[53:54]
	ds_read_b128 v[45:48], v2 offset:480
	s_waitcnt vmcnt(30) lgkmcnt(1)
	v_mul_f64 v[59:60], v[41:42], v[61:62]
	v_add_f64 v[95:96], v[95:96], 0
	v_add_f64 v[3:4], v[3:4], 0
	v_mul_f64 v[61:62], v[43:44], v[61:62]
	s_waitcnt vmcnt(28)
	v_fma_f64 v[57:58], v[49:50], v[67:68], -v[57:58]
	v_fma_f64 v[55:56], v[51:52], v[67:68], v[55:56]
	ds_read_b128 v[49:52], v2 offset:496
	s_waitcnt vmcnt(25)
	v_fma_f64 v[59:60], v[43:44], v[69:70], v[59:60]
	v_add_f64 v[95:96], v[95:96], v[97:98]
	v_add_f64 v[3:4], v[3:4], v[53:54]
	s_waitcnt lgkmcnt(1)
	v_mul_f64 v[53:54], v[45:46], v[63:64]
	v_mul_f64 v[63:64], v[47:48], v[63:64]
	v_fma_f64 v[61:62], v[41:42], v[69:70], -v[61:62]
	s_waitcnt vmcnt(21) lgkmcnt(0)
	v_mul_f64 v[67:68], v[51:52], v[71:72]
	ds_read_b128 v[41:44], v2 offset:512
	v_add_f64 v[57:58], v[95:96], v[57:58]
	v_add_f64 v[3:4], v[3:4], v[55:56]
	v_mul_f64 v[55:56], v[49:50], v[71:72]
	s_waitcnt vmcnt(20)
	v_fma_f64 v[63:64], v[45:46], v[65:66], -v[63:64]
	v_fma_f64 v[53:54], v[47:48], v[65:66], v[53:54]
	ds_read_b128 v[45:48], v2 offset:528
	s_waitcnt vmcnt(17)
	v_fma_f64 v[65:66], v[49:50], v[77:78], -v[67:68]
	v_add_f64 v[57:58], v[57:58], v[61:62]
	v_add_f64 v[3:4], v[3:4], v[59:60]
	s_waitcnt lgkmcnt(1)
	v_mul_f64 v[61:62], v[43:44], v[73:74]
	v_mul_f64 v[59:60], v[41:42], v[73:74]
	v_fma_f64 v[55:56], v[51:52], v[77:78], v[55:56]
	ds_read_b128 v[49:52], v2 offset:544
	v_add_f64 v[57:58], v[57:58], v[63:64]
	v_add_f64 v[3:4], v[3:4], v[53:54]
	s_waitcnt vmcnt(13) lgkmcnt(1)
	v_mul_f64 v[63:64], v[47:48], v[79:80]
	s_waitcnt vmcnt(12)
	v_fma_f64 v[61:62], v[41:42], v[75:76], -v[61:62]
	v_mul_f64 v[53:54], v[45:46], v[79:80]
	v_fma_f64 v[59:60], v[43:44], v[75:76], v[59:60]
	ds_read_b128 v[41:44], v2 offset:560
	v_add_f64 v[57:58], v[57:58], v[65:66]
	v_add_f64 v[3:4], v[3:4], v[55:56]
	s_waitcnt vmcnt(11) lgkmcnt(1)
	v_mul_f64 v[65:66], v[51:52], v[81:82]
	s_waitcnt vmcnt(9)
	v_fma_f64 v[45:46], v[45:46], v[85:86], -v[63:64]
	v_mul_f64 v[55:56], v[49:50], v[81:82]
	v_fma_f64 v[47:48], v[47:48], v[85:86], v[53:54]
	s_waitcnt vmcnt(7) lgkmcnt(0)
	v_mul_f64 v[53:54], v[41:42], v[87:88]
	v_add_f64 v[57:58], v[57:58], v[61:62]
	v_add_f64 v[2:3], v[3:4], v[59:60]
	v_mul_f64 v[59:60], v[43:44], v[87:88]
	s_waitcnt vmcnt(6)
	v_fma_f64 v[49:50], v[49:50], v[83:84], -v[65:66]
	v_fma_f64 v[51:52], v[51:52], v[83:84], v[55:56]
	s_waitcnt vmcnt(4)
	v_fma_f64 v[43:44], v[43:44], v[89:90], v[53:54]
	v_add_f64 v[45:46], v[57:58], v[45:46]
	v_add_f64 v[2:3], v[2:3], v[47:48]
	v_fma_f64 v[41:42], v[41:42], v[89:90], -v[59:60]
	v_add_f64 v[45:46], v[45:46], v[49:50]
	v_add_f64 v[2:3], v[2:3], v[51:52]
	;; [unrolled: 1-line block ×4, first 2 shown]
	s_waitcnt vmcnt(2)
	v_add_f64 v[41:42], v[91:92], -v[41:42]
	s_waitcnt vmcnt(0)
	v_add_f64 v[2:3], v[93:94], -v[2:3]
	buffer_store_dword v42, off, s[0:3], 0 offset:132
	buffer_store_dword v41, off, s[0:3], 0 offset:128
	;; [unrolled: 1-line block ×4, first 2 shown]
	v_cmpx_lt_u32_e32 6, v0
	s_cbranch_execz .LBB81_109
; %bb.108:
	v_mov_b32_e32 v2, s23
	s_clause 0x3
	buffer_load_dword v41, v2, s[0:3], 0 offen
	buffer_load_dword v42, v2, s[0:3], 0 offen offset:4
	buffer_load_dword v43, v2, s[0:3], 0 offen offset:8
	;; [unrolled: 1-line block ×3, first 2 shown]
	v_mov_b32_e32 v2, 0
	buffer_store_dword v2, off, s[0:3], 0 offset:112
	buffer_store_dword v2, off, s[0:3], 0 offset:116
	;; [unrolled: 1-line block ×4, first 2 shown]
	s_waitcnt vmcnt(0)
	ds_write_b128 v1, v[41:44]
.LBB81_109:
	s_or_b32 exec_lo, exec_lo, s4
	s_waitcnt lgkmcnt(0)
	s_waitcnt_vscnt null, 0x0
	s_barrier
	buffer_gl0_inv
	s_clause 0x2f
	buffer_load_dword v3, off, s[0:3], 0 offset:136
	buffer_load_dword v4, off, s[0:3], 0 offset:140
	;; [unrolled: 1-line block ×48, first 2 shown]
	v_mov_b32_e32 v2, 0
	ds_read_b128 v[41:44], v2 offset:400
	ds_read_b128 v[45:48], v2 offset:416
	;; [unrolled: 1-line block ×3, first 2 shown]
	s_mov_b32 s4, exec_lo
	s_waitcnt vmcnt(46) lgkmcnt(2)
	v_mul_f64 v[99:100], v[43:44], v[3:4]
	v_mul_f64 v[3:4], v[41:42], v[3:4]
	s_waitcnt vmcnt(44) lgkmcnt(1)
	v_mul_f64 v[101:102], v[47:48], v[53:54]
	v_mul_f64 v[53:54], v[45:46], v[53:54]
	s_waitcnt vmcnt(42)
	v_fma_f64 v[99:100], v[41:42], v[55:56], -v[99:100]
	v_fma_f64 v[3:4], v[43:44], v[55:56], v[3:4]
	ds_read_b128 v[41:44], v2 offset:448
	s_waitcnt vmcnt(40) lgkmcnt(1)
	v_mul_f64 v[55:56], v[49:50], v[57:58]
	v_mul_f64 v[57:58], v[51:52], v[57:58]
	s_waitcnt vmcnt(38)
	v_fma_f64 v[101:102], v[45:46], v[59:60], -v[101:102]
	v_fma_f64 v[53:54], v[47:48], v[59:60], v[53:54]
	ds_read_b128 v[45:48], v2 offset:464
	s_waitcnt vmcnt(34) lgkmcnt(1)
	v_mul_f64 v[59:60], v[41:42], v[61:62]
	v_add_f64 v[99:100], v[99:100], 0
	v_add_f64 v[3:4], v[3:4], 0
	v_mul_f64 v[61:62], v[43:44], v[61:62]
	s_waitcnt vmcnt(32)
	v_fma_f64 v[57:58], v[49:50], v[67:68], -v[57:58]
	v_fma_f64 v[55:56], v[51:52], v[67:68], v[55:56]
	ds_read_b128 v[49:52], v2 offset:480
	s_waitcnt vmcnt(29)
	v_fma_f64 v[59:60], v[43:44], v[69:70], v[59:60]
	v_add_f64 v[99:100], v[99:100], v[101:102]
	v_add_f64 v[3:4], v[3:4], v[53:54]
	s_waitcnt lgkmcnt(1)
	v_mul_f64 v[53:54], v[45:46], v[63:64]
	v_mul_f64 v[63:64], v[47:48], v[63:64]
	v_fma_f64 v[61:62], v[41:42], v[69:70], -v[61:62]
	s_waitcnt vmcnt(25) lgkmcnt(0)
	v_mul_f64 v[67:68], v[51:52], v[71:72]
	ds_read_b128 v[41:44], v2 offset:496
	v_add_f64 v[57:58], v[99:100], v[57:58]
	v_add_f64 v[3:4], v[3:4], v[55:56]
	v_mul_f64 v[55:56], v[49:50], v[71:72]
	s_waitcnt vmcnt(24)
	v_fma_f64 v[63:64], v[45:46], v[65:66], -v[63:64]
	v_fma_f64 v[53:54], v[47:48], v[65:66], v[53:54]
	ds_read_b128 v[45:48], v2 offset:512
	s_waitcnt vmcnt(21)
	v_fma_f64 v[65:66], v[49:50], v[77:78], -v[67:68]
	v_add_f64 v[57:58], v[57:58], v[61:62]
	v_add_f64 v[3:4], v[3:4], v[59:60]
	s_waitcnt lgkmcnt(1)
	v_mul_f64 v[61:62], v[43:44], v[73:74]
	v_mul_f64 v[59:60], v[41:42], v[73:74]
	v_fma_f64 v[55:56], v[51:52], v[77:78], v[55:56]
	ds_read_b128 v[49:52], v2 offset:528
	v_add_f64 v[57:58], v[57:58], v[63:64]
	v_add_f64 v[3:4], v[3:4], v[53:54]
	s_waitcnt vmcnt(17) lgkmcnt(1)
	v_mul_f64 v[63:64], v[47:48], v[79:80]
	s_waitcnt vmcnt(16)
	v_fma_f64 v[61:62], v[41:42], v[75:76], -v[61:62]
	v_mul_f64 v[53:54], v[45:46], v[79:80]
	v_fma_f64 v[59:60], v[43:44], v[75:76], v[59:60]
	ds_read_b128 v[41:44], v2 offset:544
	v_add_f64 v[57:58], v[57:58], v[65:66]
	v_add_f64 v[3:4], v[3:4], v[55:56]
	s_waitcnt vmcnt(15) lgkmcnt(1)
	v_mul_f64 v[65:66], v[51:52], v[81:82]
	s_waitcnt vmcnt(13)
	v_fma_f64 v[63:64], v[45:46], v[85:86], -v[63:64]
	;; [unrolled: 9-line block ×3, first 2 shown]
	v_mul_f64 v[59:60], v[41:42], v[87:88]
	v_fma_f64 v[51:52], v[51:52], v[83:84], v[55:56]
	s_waitcnt vmcnt(7) lgkmcnt(0)
	v_mul_f64 v[55:56], v[47:48], v[89:90]
	v_add_f64 v[57:58], v[57:58], v[63:64]
	v_add_f64 v[3:4], v[3:4], v[53:54]
	s_waitcnt vmcnt(5)
	v_fma_f64 v[41:42], v[41:42], v[93:94], -v[61:62]
	v_mul_f64 v[53:54], v[45:46], v[89:90]
	v_fma_f64 v[43:44], v[43:44], v[93:94], v[59:60]
	s_waitcnt vmcnt(4)
	v_fma_f64 v[45:46], v[45:46], v[91:92], -v[55:56]
	v_add_f64 v[49:50], v[57:58], v[49:50]
	v_add_f64 v[3:4], v[3:4], v[51:52]
	v_fma_f64 v[47:48], v[47:48], v[91:92], v[53:54]
	v_add_f64 v[41:42], v[49:50], v[41:42]
	v_add_f64 v[3:4], v[3:4], v[43:44]
	;; [unrolled: 1-line block ×4, first 2 shown]
	s_waitcnt vmcnt(2)
	v_add_f64 v[41:42], v[95:96], -v[41:42]
	s_waitcnt vmcnt(0)
	v_add_f64 v[3:4], v[97:98], -v[3:4]
	buffer_store_dword v42, off, s[0:3], 0 offset:116
	buffer_store_dword v41, off, s[0:3], 0 offset:112
	;; [unrolled: 1-line block ×4, first 2 shown]
	v_cmpx_lt_u32_e32 5, v0
	s_cbranch_execz .LBB81_111
; %bb.110:
	v_mov_b32_e32 v3, s24
	s_clause 0x3
	buffer_load_dword v41, v3, s[0:3], 0 offen
	buffer_load_dword v42, v3, s[0:3], 0 offen offset:4
	buffer_load_dword v43, v3, s[0:3], 0 offen offset:8
	;; [unrolled: 1-line block ×3, first 2 shown]
	buffer_store_dword v2, off, s[0:3], 0 offset:96
	buffer_store_dword v2, off, s[0:3], 0 offset:100
	;; [unrolled: 1-line block ×4, first 2 shown]
	s_waitcnt vmcnt(0)
	ds_write_b128 v1, v[41:44]
.LBB81_111:
	s_or_b32 exec_lo, exec_lo, s4
	s_waitcnt lgkmcnt(0)
	s_waitcnt_vscnt null, 0x0
	s_barrier
	buffer_gl0_inv
	s_clause 0x2f
	buffer_load_dword v3, off, s[0:3], 0 offset:120
	buffer_load_dword v4, off, s[0:3], 0 offset:124
	;; [unrolled: 1-line block ×48, first 2 shown]
	ds_read_b128 v[41:44], v2 offset:384
	s_clause 0x3
	buffer_load_dword v99, off, s[0:3], 0 offset:96
	buffer_load_dword v100, off, s[0:3], 0 offset:100
	;; [unrolled: 1-line block ×4, first 2 shown]
	ds_read_b128 v[45:48], v2 offset:400
	ds_read_b128 v[49:52], v2 offset:416
	s_mov_b32 s4, exec_lo
	s_waitcnt vmcnt(50) lgkmcnt(2)
	v_mul_f64 v[103:104], v[43:44], v[3:4]
	v_mul_f64 v[3:4], v[41:42], v[3:4]
	s_waitcnt vmcnt(48) lgkmcnt(1)
	v_mul_f64 v[105:106], v[47:48], v[53:54]
	v_mul_f64 v[53:54], v[45:46], v[53:54]
	s_waitcnt vmcnt(46)
	v_fma_f64 v[103:104], v[41:42], v[55:56], -v[103:104]
	v_fma_f64 v[3:4], v[43:44], v[55:56], v[3:4]
	s_waitcnt vmcnt(44) lgkmcnt(0)
	v_mul_f64 v[55:56], v[49:50], v[57:58]
	v_mul_f64 v[57:58], v[51:52], v[57:58]
	s_waitcnt vmcnt(42)
	v_fma_f64 v[105:106], v[45:46], v[59:60], -v[105:106]
	ds_read_b128 v[41:44], v2 offset:432
	v_fma_f64 v[53:54], v[47:48], v[59:60], v[53:54]
	ds_read_b128 v[45:48], v2 offset:448
	v_add_f64 v[103:104], v[103:104], 0
	v_add_f64 v[3:4], v[3:4], 0
	s_waitcnt vmcnt(36)
	v_fma_f64 v[55:56], v[51:52], v[67:68], v[55:56]
	s_waitcnt lgkmcnt(1)
	v_mul_f64 v[59:60], v[41:42], v[61:62]
	v_mul_f64 v[61:62], v[43:44], v[61:62]
	v_fma_f64 v[57:58], v[49:50], v[67:68], -v[57:58]
	ds_read_b128 v[49:52], v2 offset:464
	v_add_f64 v[103:104], v[103:104], v[105:106]
	v_add_f64 v[3:4], v[3:4], v[53:54]
	s_waitcnt vmcnt(35) lgkmcnt(1)
	v_mul_f64 v[53:54], v[45:46], v[63:64]
	v_mul_f64 v[63:64], v[47:48], v[63:64]
	s_waitcnt vmcnt(33)
	v_fma_f64 v[61:62], v[41:42], v[69:70], -v[61:62]
	v_fma_f64 v[59:60], v[43:44], v[69:70], v[59:60]
	ds_read_b128 v[41:44], v2 offset:480
	s_waitcnt vmcnt(29) lgkmcnt(1)
	v_mul_f64 v[67:68], v[51:52], v[71:72]
	v_add_f64 v[57:58], v[103:104], v[57:58]
	v_add_f64 v[3:4], v[3:4], v[55:56]
	v_mul_f64 v[55:56], v[49:50], v[71:72]
	s_waitcnt vmcnt(28)
	v_fma_f64 v[63:64], v[45:46], v[65:66], -v[63:64]
	v_fma_f64 v[53:54], v[47:48], v[65:66], v[53:54]
	ds_read_b128 v[45:48], v2 offset:496
	s_waitcnt vmcnt(25)
	v_fma_f64 v[65:66], v[49:50], v[77:78], -v[67:68]
	v_add_f64 v[57:58], v[57:58], v[61:62]
	v_add_f64 v[3:4], v[3:4], v[59:60]
	s_waitcnt lgkmcnt(1)
	v_mul_f64 v[61:62], v[43:44], v[73:74]
	v_mul_f64 v[59:60], v[41:42], v[73:74]
	v_fma_f64 v[55:56], v[51:52], v[77:78], v[55:56]
	ds_read_b128 v[49:52], v2 offset:512
	v_add_f64 v[57:58], v[57:58], v[63:64]
	v_add_f64 v[3:4], v[3:4], v[53:54]
	s_waitcnt vmcnt(21) lgkmcnt(1)
	v_mul_f64 v[63:64], v[47:48], v[79:80]
	s_waitcnt vmcnt(20)
	v_fma_f64 v[61:62], v[41:42], v[75:76], -v[61:62]
	v_mul_f64 v[53:54], v[45:46], v[79:80]
	v_fma_f64 v[59:60], v[43:44], v[75:76], v[59:60]
	ds_read_b128 v[41:44], v2 offset:528
	v_add_f64 v[57:58], v[57:58], v[65:66]
	v_add_f64 v[3:4], v[3:4], v[55:56]
	s_waitcnt vmcnt(19) lgkmcnt(1)
	v_mul_f64 v[65:66], v[51:52], v[81:82]
	s_waitcnt vmcnt(17)
	v_fma_f64 v[63:64], v[45:46], v[85:86], -v[63:64]
	;; [unrolled: 9-line block ×4, first 2 shown]
	v_mul_f64 v[53:54], v[45:46], v[89:90]
	v_fma_f64 v[43:44], v[43:44], v[93:94], v[59:60]
	s_waitcnt vmcnt(7) lgkmcnt(0)
	v_mul_f64 v[59:60], v[51:52], v[95:96]
	v_add_f64 v[57:58], v[57:58], v[65:66]
	v_add_f64 v[2:3], v[3:4], v[55:56]
	s_waitcnt vmcnt(6)
	v_fma_f64 v[45:46], v[45:46], v[91:92], -v[63:64]
	v_mul_f64 v[55:56], v[49:50], v[95:96]
	v_fma_f64 v[47:48], v[47:48], v[91:92], v[53:54]
	v_add_f64 v[41:42], v[57:58], v[41:42]
	v_add_f64 v[2:3], v[2:3], v[43:44]
	s_waitcnt vmcnt(4)
	v_fma_f64 v[43:44], v[49:50], v[97:98], -v[59:60]
	v_add_f64 v[41:42], v[41:42], v[45:46]
	v_fma_f64 v[45:46], v[51:52], v[97:98], v[55:56]
	v_add_f64 v[2:3], v[2:3], v[47:48]
	v_add_f64 v[41:42], v[41:42], v[43:44]
	v_add_f64 v[2:3], v[2:3], v[45:46]
	s_waitcnt vmcnt(2)
	v_add_f64 v[41:42], v[99:100], -v[41:42]
	s_waitcnt vmcnt(0)
	v_add_f64 v[2:3], v[101:102], -v[2:3]
	buffer_store_dword v42, off, s[0:3], 0 offset:100
	buffer_store_dword v41, off, s[0:3], 0 offset:96
	;; [unrolled: 1-line block ×4, first 2 shown]
	v_cmpx_lt_u32_e32 4, v0
	s_cbranch_execz .LBB81_113
; %bb.112:
	v_mov_b32_e32 v2, s25
	s_clause 0x3
	buffer_load_dword v41, v2, s[0:3], 0 offen
	buffer_load_dword v42, v2, s[0:3], 0 offen offset:4
	buffer_load_dword v43, v2, s[0:3], 0 offen offset:8
	;; [unrolled: 1-line block ×3, first 2 shown]
	v_mov_b32_e32 v2, 0
	buffer_store_dword v2, off, s[0:3], 0 offset:80
	buffer_store_dword v2, off, s[0:3], 0 offset:84
	;; [unrolled: 1-line block ×4, first 2 shown]
	s_waitcnt vmcnt(0)
	ds_write_b128 v1, v[41:44]
.LBB81_113:
	s_or_b32 exec_lo, exec_lo, s4
	s_waitcnt lgkmcnt(0)
	s_waitcnt_vscnt null, 0x0
	s_barrier
	buffer_gl0_inv
	s_clause 0x33
	buffer_load_dword v3, off, s[0:3], 0 offset:104
	buffer_load_dword v4, off, s[0:3], 0 offset:108
	buffer_load_dword v53, off, s[0:3], 0 offset:120
	buffer_load_dword v54, off, s[0:3], 0 offset:124
	buffer_load_dword v55, off, s[0:3], 0 offset:96
	buffer_load_dword v56, off, s[0:3], 0 offset:100
	buffer_load_dword v57, off, s[0:3], 0 offset:136
	buffer_load_dword v58, off, s[0:3], 0 offset:140
	buffer_load_dword v59, off, s[0:3], 0 offset:112
	buffer_load_dword v60, off, s[0:3], 0 offset:116
	buffer_load_dword v62, off, s[0:3], 0 offset:156
	buffer_load_dword v63, off, s[0:3], 0 offset:168
	buffer_load_dword v65, off, s[0:3], 0 offset:160
	buffer_load_dword v61, off, s[0:3], 0 offset:152
	buffer_load_dword v67, off, s[0:3], 0 offset:128
	buffer_load_dword v68, off, s[0:3], 0 offset:132
	buffer_load_dword v64, off, s[0:3], 0 offset:172
	buffer_load_dword v70, off, s[0:3], 0 offset:148
	buffer_load_dword v69, off, s[0:3], 0 offset:144
	buffer_load_dword v72, off, s[0:3], 0 offset:188
	buffer_load_dword v73, off, s[0:3], 0 offset:200
	buffer_load_dword v75, off, s[0:3], 0 offset:192
	buffer_load_dword v71, off, s[0:3], 0 offset:184
	buffer_load_dword v66, off, s[0:3], 0 offset:164
	buffer_load_dword v74, off, s[0:3], 0 offset:204
	buffer_load_dword v78, off, s[0:3], 0 offset:180
	buffer_load_dword v77, off, s[0:3], 0 offset:176
	buffer_load_dword v80, off, s[0:3], 0 offset:220
	buffer_load_dword v81, off, s[0:3], 0 offset:232
	buffer_load_dword v83, off, s[0:3], 0 offset:224
	buffer_load_dword v79, off, s[0:3], 0 offset:216
	buffer_load_dword v76, off, s[0:3], 0 offset:196
	buffer_load_dword v82, off, s[0:3], 0 offset:236
	buffer_load_dword v86, off, s[0:3], 0 offset:212
	buffer_load_dword v85, off, s[0:3], 0 offset:208
	buffer_load_dword v88, off, s[0:3], 0 offset:252
	buffer_load_dword v89, off, s[0:3], 0 offset:264
	buffer_load_dword v91, off, s[0:3], 0 offset:256
	buffer_load_dword v87, off, s[0:3], 0 offset:248
	buffer_load_dword v84, off, s[0:3], 0 offset:228
	buffer_load_dword v90, off, s[0:3], 0 offset:268
	buffer_load_dword v94, off, s[0:3], 0 offset:244
	buffer_load_dword v93, off, s[0:3], 0 offset:240
	buffer_load_dword v96, off, s[0:3], 0 offset:284
	buffer_load_dword v97, off, s[0:3], 0 offset:296
	buffer_load_dword v99, off, s[0:3], 0 offset:288
	buffer_load_dword v95, off, s[0:3], 0 offset:280
	buffer_load_dword v92, off, s[0:3], 0 offset:260
	buffer_load_dword v98, off, s[0:3], 0 offset:300
	buffer_load_dword v102, off, s[0:3], 0 offset:276
	buffer_load_dword v101, off, s[0:3], 0 offset:272
	buffer_load_dword v100, off, s[0:3], 0 offset:292
	v_mov_b32_e32 v2, 0
	ds_read_b128 v[41:44], v2 offset:368
	ds_read_b128 v[45:48], v2 offset:384
	s_clause 0x3
	buffer_load_dword v105, off, s[0:3], 0 offset:80
	buffer_load_dword v106, off, s[0:3], 0 offset:84
	;; [unrolled: 1-line block ×4, first 2 shown]
	ds_read_b128 v[49:52], v2 offset:400
	s_mov_b32 s4, exec_lo
	s_waitcnt vmcnt(54) lgkmcnt(2)
	v_mul_f64 v[103:104], v[43:44], v[3:4]
	v_mul_f64 v[3:4], v[41:42], v[3:4]
	s_waitcnt vmcnt(52) lgkmcnt(1)
	v_mul_f64 v[109:110], v[47:48], v[53:54]
	v_mul_f64 v[53:54], v[45:46], v[53:54]
	s_waitcnt vmcnt(50)
	v_fma_f64 v[103:104], v[41:42], v[55:56], -v[103:104]
	v_fma_f64 v[3:4], v[43:44], v[55:56], v[3:4]
	ds_read_b128 v[41:44], v2 offset:416
	s_waitcnt vmcnt(48) lgkmcnt(1)
	v_mul_f64 v[55:56], v[49:50], v[57:58]
	v_mul_f64 v[57:58], v[51:52], v[57:58]
	s_waitcnt vmcnt(46)
	v_fma_f64 v[109:110], v[45:46], v[59:60], -v[109:110]
	v_fma_f64 v[53:54], v[47:48], v[59:60], v[53:54]
	ds_read_b128 v[45:48], v2 offset:432
	s_waitcnt vmcnt(42) lgkmcnt(1)
	v_mul_f64 v[59:60], v[41:42], v[61:62]
	v_add_f64 v[103:104], v[103:104], 0
	v_add_f64 v[3:4], v[3:4], 0
	v_mul_f64 v[61:62], v[43:44], v[61:62]
	s_waitcnt vmcnt(40)
	v_fma_f64 v[57:58], v[49:50], v[67:68], -v[57:58]
	v_fma_f64 v[55:56], v[51:52], v[67:68], v[55:56]
	ds_read_b128 v[49:52], v2 offset:448
	s_waitcnt vmcnt(37)
	v_fma_f64 v[59:60], v[43:44], v[69:70], v[59:60]
	v_add_f64 v[103:104], v[103:104], v[109:110]
	v_add_f64 v[3:4], v[3:4], v[53:54]
	s_waitcnt lgkmcnt(1)
	v_mul_f64 v[53:54], v[45:46], v[63:64]
	v_mul_f64 v[63:64], v[47:48], v[63:64]
	v_fma_f64 v[61:62], v[41:42], v[69:70], -v[61:62]
	s_waitcnt vmcnt(33) lgkmcnt(0)
	v_mul_f64 v[67:68], v[51:52], v[71:72]
	ds_read_b128 v[41:44], v2 offset:464
	v_add_f64 v[57:58], v[103:104], v[57:58]
	v_add_f64 v[3:4], v[3:4], v[55:56]
	v_mul_f64 v[55:56], v[49:50], v[71:72]
	s_waitcnt vmcnt(32)
	v_fma_f64 v[63:64], v[45:46], v[65:66], -v[63:64]
	v_fma_f64 v[53:54], v[47:48], v[65:66], v[53:54]
	ds_read_b128 v[45:48], v2 offset:480
	s_waitcnt vmcnt(29)
	v_fma_f64 v[65:66], v[49:50], v[77:78], -v[67:68]
	v_add_f64 v[57:58], v[57:58], v[61:62]
	v_add_f64 v[3:4], v[3:4], v[59:60]
	s_waitcnt lgkmcnt(1)
	v_mul_f64 v[61:62], v[43:44], v[73:74]
	v_mul_f64 v[59:60], v[41:42], v[73:74]
	v_fma_f64 v[55:56], v[51:52], v[77:78], v[55:56]
	ds_read_b128 v[49:52], v2 offset:496
	v_add_f64 v[57:58], v[57:58], v[63:64]
	v_add_f64 v[3:4], v[3:4], v[53:54]
	s_waitcnt vmcnt(25) lgkmcnt(1)
	v_mul_f64 v[63:64], v[47:48], v[79:80]
	s_waitcnt vmcnt(24)
	v_fma_f64 v[61:62], v[41:42], v[75:76], -v[61:62]
	v_mul_f64 v[53:54], v[45:46], v[79:80]
	v_fma_f64 v[59:60], v[43:44], v[75:76], v[59:60]
	ds_read_b128 v[41:44], v2 offset:512
	v_add_f64 v[57:58], v[57:58], v[65:66]
	v_add_f64 v[3:4], v[3:4], v[55:56]
	s_waitcnt vmcnt(23) lgkmcnt(1)
	v_mul_f64 v[65:66], v[51:52], v[81:82]
	s_waitcnt vmcnt(21)
	v_fma_f64 v[63:64], v[45:46], v[85:86], -v[63:64]
	;; [unrolled: 9-line block ×5, first 2 shown]
	v_mul_f64 v[55:56], v[49:50], v[95:96]
	v_fma_f64 v[47:48], v[47:48], v[91:92], v[53:54]
	s_waitcnt vmcnt(7) lgkmcnt(0)
	v_mul_f64 v[53:54], v[41:42], v[97:98]
	v_add_f64 v[57:58], v[57:58], v[61:62]
	v_add_f64 v[3:4], v[3:4], v[59:60]
	v_mul_f64 v[59:60], v[43:44], v[97:98]
	s_waitcnt vmcnt(5)
	v_fma_f64 v[49:50], v[49:50], v[101:102], -v[65:66]
	v_fma_f64 v[51:52], v[51:52], v[101:102], v[55:56]
	s_waitcnt vmcnt(4)
	v_fma_f64 v[43:44], v[43:44], v[99:100], v[53:54]
	v_add_f64 v[45:46], v[57:58], v[45:46]
	v_add_f64 v[3:4], v[3:4], v[47:48]
	v_fma_f64 v[41:42], v[41:42], v[99:100], -v[59:60]
	v_add_f64 v[45:46], v[45:46], v[49:50]
	v_add_f64 v[3:4], v[3:4], v[51:52]
	;; [unrolled: 1-line block ×4, first 2 shown]
	s_waitcnt vmcnt(2)
	v_add_f64 v[41:42], v[105:106], -v[41:42]
	s_waitcnt vmcnt(0)
	v_add_f64 v[3:4], v[107:108], -v[3:4]
	buffer_store_dword v42, off, s[0:3], 0 offset:84
	buffer_store_dword v41, off, s[0:3], 0 offset:80
	buffer_store_dword v4, off, s[0:3], 0 offset:92
	buffer_store_dword v3, off, s[0:3], 0 offset:88
	v_cmpx_lt_u32_e32 3, v0
	s_cbranch_execz .LBB81_115
; %bb.114:
	v_mov_b32_e32 v3, s26
	s_clause 0x3
	buffer_load_dword v41, v3, s[0:3], 0 offen
	buffer_load_dword v42, v3, s[0:3], 0 offen offset:4
	buffer_load_dword v43, v3, s[0:3], 0 offen offset:8
	buffer_load_dword v44, v3, s[0:3], 0 offen offset:12
	buffer_store_dword v2, off, s[0:3], 0 offset:64
	buffer_store_dword v2, off, s[0:3], 0 offset:68
	;; [unrolled: 1-line block ×4, first 2 shown]
	s_waitcnt vmcnt(0)
	ds_write_b128 v1, v[41:44]
.LBB81_115:
	s_or_b32 exec_lo, exec_lo, s4
	s_waitcnt lgkmcnt(0)
	s_waitcnt_vscnt null, 0x0
	s_barrier
	buffer_gl0_inv
	s_clause 0x35
	buffer_load_dword v3, off, s[0:3], 0 offset:88
	buffer_load_dword v4, off, s[0:3], 0 offset:92
	;; [unrolled: 1-line block ×54, first 2 shown]
	ds_read_b128 v[41:44], v2 offset:352
	s_clause 0x1
	buffer_load_dword v106, off, s[0:3], 0 offset:292
	buffer_load_dword v105, off, s[0:3], 0 offset:288
	ds_read_b128 v[45:48], v2 offset:368
	ds_read_b128 v[49:52], v2 offset:384
	s_mov_b32 s4, exec_lo
	s_waitcnt vmcnt(54) lgkmcnt(2)
	v_mul_f64 v[107:108], v[43:44], v[3:4]
	v_mul_f64 v[3:4], v[41:42], v[3:4]
	s_waitcnt vmcnt(52) lgkmcnt(1)
	v_mul_f64 v[109:110], v[47:48], v[53:54]
	v_mul_f64 v[53:54], v[45:46], v[53:54]
	;; [unrolled: 3-line block ×3, first 2 shown]
	v_fma_f64 v[107:108], v[41:42], v[55:56], -v[107:108]
	v_fma_f64 v[3:4], v[43:44], v[55:56], v[3:4]
	s_clause 0x3
	buffer_load_dword v55, off, s[0:3], 0 offset:64
	buffer_load_dword v56, off, s[0:3], 0 offset:68
	;; [unrolled: 1-line block ×4, first 2 shown]
	s_waitcnt vmcnt(50)
	v_fma_f64 v[109:110], v[45:46], v[59:60], -v[109:110]
	ds_read_b128 v[41:44], v2 offset:400
	v_fma_f64 v[53:54], v[47:48], v[59:60], v[53:54]
	ds_read_b128 v[45:48], v2 offset:416
	s_waitcnt vmcnt(44)
	v_fma_f64 v[57:58], v[49:50], v[67:68], -v[57:58]
	v_fma_f64 v[67:68], v[51:52], v[67:68], v[113:114]
	ds_read_b128 v[49:52], v2 offset:432
	v_add_f64 v[107:108], v[107:108], 0
	v_add_f64 v[3:4], v[3:4], 0
	s_waitcnt lgkmcnt(2)
	v_mul_f64 v[59:60], v[41:42], v[61:62]
	v_mul_f64 v[61:62], v[43:44], v[61:62]
	v_add_f64 v[107:108], v[107:108], v[109:110]
	v_add_f64 v[3:4], v[3:4], v[53:54]
	s_waitcnt vmcnt(43) lgkmcnt(1)
	v_mul_f64 v[53:54], v[45:46], v[63:64]
	v_mul_f64 v[63:64], v[47:48], v[63:64]
	s_waitcnt vmcnt(41)
	v_fma_f64 v[61:62], v[41:42], v[69:70], -v[61:62]
	v_fma_f64 v[59:60], v[43:44], v[69:70], v[59:60]
	ds_read_b128 v[41:44], v2 offset:448
	s_waitcnt vmcnt(37) lgkmcnt(1)
	v_mul_f64 v[69:70], v[51:52], v[71:72]
	v_add_f64 v[57:58], v[107:108], v[57:58]
	v_add_f64 v[3:4], v[3:4], v[67:68]
	v_mul_f64 v[67:68], v[49:50], v[71:72]
	s_waitcnt vmcnt(36)
	v_fma_f64 v[63:64], v[45:46], v[65:66], -v[63:64]
	v_fma_f64 v[53:54], v[47:48], v[65:66], v[53:54]
	ds_read_b128 v[45:48], v2 offset:464
	s_waitcnt vmcnt(33)
	v_fma_f64 v[65:66], v[49:50], v[77:78], -v[69:70]
	v_add_f64 v[57:58], v[57:58], v[61:62]
	v_add_f64 v[3:4], v[3:4], v[59:60]
	s_waitcnt lgkmcnt(1)
	v_mul_f64 v[61:62], v[43:44], v[73:74]
	v_mul_f64 v[59:60], v[41:42], v[73:74]
	v_add_f64 v[57:58], v[57:58], v[63:64]
	v_fma_f64 v[63:64], v[51:52], v[77:78], v[67:68]
	v_add_f64 v[3:4], v[3:4], v[53:54]
	ds_read_b128 v[49:52], v2 offset:480
	s_waitcnt vmcnt(29) lgkmcnt(1)
	v_mul_f64 v[67:68], v[47:48], v[79:80]
	s_waitcnt vmcnt(28)
	v_fma_f64 v[61:62], v[41:42], v[75:76], -v[61:62]
	v_mul_f64 v[53:54], v[45:46], v[79:80]
	v_fma_f64 v[59:60], v[43:44], v[75:76], v[59:60]
	ds_read_b128 v[41:44], v2 offset:496
	v_add_f64 v[57:58], v[57:58], v[65:66]
	s_waitcnt vmcnt(27) lgkmcnt(1)
	v_mul_f64 v[65:66], v[51:52], v[81:82]
	v_add_f64 v[3:4], v[3:4], v[63:64]
	v_mul_f64 v[63:64], v[49:50], v[81:82]
	s_waitcnt vmcnt(25)
	v_fma_f64 v[67:68], v[45:46], v[85:86], -v[67:68]
	v_fma_f64 v[53:54], v[47:48], v[85:86], v[53:54]
	ds_read_b128 v[45:48], v2 offset:512
	v_add_f64 v[57:58], v[57:58], v[61:62]
	s_waitcnt vmcnt(21) lgkmcnt(1)
	v_mul_f64 v[61:62], v[43:44], v[87:88]
	v_add_f64 v[3:4], v[3:4], v[59:60]
	s_waitcnt vmcnt(20)
	v_fma_f64 v[65:66], v[49:50], v[83:84], -v[65:66]
	v_mul_f64 v[59:60], v[41:42], v[87:88]
	v_fma_f64 v[63:64], v[51:52], v[83:84], v[63:64]
	ds_read_b128 v[49:52], v2 offset:528
	v_add_f64 v[57:58], v[57:58], v[67:68]
	s_waitcnt vmcnt(19) lgkmcnt(1)
	v_mul_f64 v[67:68], v[47:48], v[89:90]
	v_add_f64 v[3:4], v[3:4], v[53:54]
	s_waitcnt vmcnt(17)
	v_fma_f64 v[61:62], v[41:42], v[93:94], -v[61:62]
	v_mul_f64 v[53:54], v[45:46], v[89:90]
	;; [unrolled: 9-line block ×4, first 2 shown]
	v_fma_f64 v[51:52], v[51:52], v[101:102], v[63:64]
	s_waitcnt vmcnt(7) lgkmcnt(0)
	v_mul_f64 v[63:64], v[47:48], v[103:104]
	v_add_f64 v[57:58], v[57:58], v[67:68]
	s_waitcnt vmcnt(6)
	v_fma_f64 v[41:42], v[41:42], v[99:100], -v[61:62]
	v_add_f64 v[2:3], v[3:4], v[53:54]
	v_mul_f64 v[53:54], v[45:46], v[103:104]
	v_fma_f64 v[43:44], v[43:44], v[99:100], v[59:60]
	s_waitcnt vmcnt(4)
	v_fma_f64 v[45:46], v[45:46], v[105:106], -v[63:64]
	v_add_f64 v[49:50], v[57:58], v[49:50]
	v_add_f64 v[2:3], v[2:3], v[51:52]
	v_fma_f64 v[47:48], v[47:48], v[105:106], v[53:54]
	v_add_f64 v[41:42], v[49:50], v[41:42]
	v_add_f64 v[2:3], v[2:3], v[43:44]
	;; [unrolled: 1-line block ×4, first 2 shown]
	s_waitcnt vmcnt(2)
	v_add_f64 v[41:42], v[55:56], -v[41:42]
	s_waitcnt vmcnt(0)
	v_add_f64 v[2:3], v[111:112], -v[2:3]
	buffer_store_dword v42, off, s[0:3], 0 offset:68
	buffer_store_dword v41, off, s[0:3], 0 offset:64
	;; [unrolled: 1-line block ×4, first 2 shown]
	v_cmpx_lt_u32_e32 2, v0
	s_cbranch_execz .LBB81_117
; %bb.116:
	v_mov_b32_e32 v2, s27
	s_clause 0x3
	buffer_load_dword v41, v2, s[0:3], 0 offen
	buffer_load_dword v42, v2, s[0:3], 0 offen offset:4
	buffer_load_dword v43, v2, s[0:3], 0 offen offset:8
	;; [unrolled: 1-line block ×3, first 2 shown]
	v_mov_b32_e32 v2, 0
	buffer_store_dword v2, off, s[0:3], 0 offset:48
	buffer_store_dword v2, off, s[0:3], 0 offset:52
	;; [unrolled: 1-line block ×4, first 2 shown]
	s_waitcnt vmcnt(0)
	ds_write_b128 v1, v[41:44]
.LBB81_117:
	s_or_b32 exec_lo, exec_lo, s4
	s_waitcnt lgkmcnt(0)
	s_waitcnt_vscnt null, 0x0
	s_barrier
	buffer_gl0_inv
	s_clause 0x37
	buffer_load_dword v3, off, s[0:3], 0 offset:72
	buffer_load_dword v4, off, s[0:3], 0 offset:76
	;; [unrolled: 1-line block ×56, first 2 shown]
	v_mov_b32_e32 v2, 0
	s_mov_b32 s4, exec_lo
	ds_read_b128 v[41:44], v2 offset:336
	s_clause 0x2
	buffer_load_dword v106, off, s[0:3], 0 offset:300
	buffer_load_dword v110, off, s[0:3], 0 offset:276
	;; [unrolled: 1-line block ×3, first 2 shown]
	ds_read_b128 v[45:48], v2 offset:352
	ds_read_b128 v[49:52], v2 offset:368
	buffer_load_dword v108, off, s[0:3], 0 offset:292
	s_waitcnt vmcnt(58) lgkmcnt(2)
	v_mul_f64 v[111:112], v[43:44], v[3:4]
	v_mul_f64 v[3:4], v[41:42], v[3:4]
	s_waitcnt vmcnt(56) lgkmcnt(1)
	v_mul_f64 v[113:114], v[47:48], v[53:54]
	v_mul_f64 v[53:54], v[45:46], v[53:54]
	s_waitcnt vmcnt(54)
	v_fma_f64 v[111:112], v[41:42], v[55:56], -v[111:112]
	v_fma_f64 v[3:4], v[43:44], v[55:56], v[3:4]
	s_waitcnt vmcnt(52) lgkmcnt(0)
	v_mul_f64 v[55:56], v[49:50], v[57:58]
	v_mul_f64 v[57:58], v[51:52], v[57:58]
	s_waitcnt vmcnt(50)
	v_fma_f64 v[113:114], v[45:46], v[59:60], -v[113:114]
	ds_read_b128 v[41:44], v2 offset:384
	v_fma_f64 v[53:54], v[47:48], v[59:60], v[53:54]
	s_clause 0x3
	buffer_load_dword v59, off, s[0:3], 0 offset:48
	buffer_load_dword v60, off, s[0:3], 0 offset:52
	;; [unrolled: 1-line block ×4, first 2 shown]
	ds_read_b128 v[45:48], v2 offset:400
	v_add_f64 v[111:112], v[111:112], 0
	v_add_f64 v[3:4], v[3:4], 0
	s_waitcnt vmcnt(48)
	v_fma_f64 v[55:56], v[51:52], v[67:68], v[55:56]
	s_waitcnt lgkmcnt(1)
	v_mul_f64 v[117:118], v[41:42], v[61:62]
	v_mul_f64 v[61:62], v[43:44], v[61:62]
	v_fma_f64 v[57:58], v[49:50], v[67:68], -v[57:58]
	ds_read_b128 v[49:52], v2 offset:416
	v_add_f64 v[111:112], v[111:112], v[113:114]
	v_add_f64 v[3:4], v[3:4], v[53:54]
	s_waitcnt vmcnt(47) lgkmcnt(1)
	v_mul_f64 v[53:54], v[45:46], v[63:64]
	v_mul_f64 v[63:64], v[47:48], v[63:64]
	s_waitcnt vmcnt(45)
	v_fma_f64 v[61:62], v[41:42], v[69:70], -v[61:62]
	v_fma_f64 v[67:68], v[43:44], v[69:70], v[117:118]
	s_waitcnt vmcnt(41) lgkmcnt(0)
	v_mul_f64 v[69:70], v[51:52], v[71:72]
	ds_read_b128 v[41:44], v2 offset:432
	v_add_f64 v[57:58], v[111:112], v[57:58]
	v_add_f64 v[3:4], v[3:4], v[55:56]
	v_mul_f64 v[55:56], v[49:50], v[71:72]
	s_waitcnt vmcnt(40)
	v_fma_f64 v[63:64], v[45:46], v[65:66], -v[63:64]
	v_fma_f64 v[53:54], v[47:48], v[65:66], v[53:54]
	ds_read_b128 v[45:48], v2 offset:448
	s_waitcnt vmcnt(39) lgkmcnt(1)
	v_mul_f64 v[65:66], v[43:44], v[73:74]
	v_add_f64 v[57:58], v[57:58], v[61:62]
	v_add_f64 v[3:4], v[3:4], v[67:68]
	s_waitcnt vmcnt(37)
	v_fma_f64 v[67:68], v[49:50], v[77:78], -v[69:70]
	v_mul_f64 v[61:62], v[41:42], v[73:74]
	v_fma_f64 v[55:56], v[51:52], v[77:78], v[55:56]
	ds_read_b128 v[49:52], v2 offset:464
	s_waitcnt vmcnt(32)
	v_fma_f64 v[65:66], v[41:42], v[75:76], -v[65:66]
	v_add_f64 v[57:58], v[57:58], v[63:64]
	v_add_f64 v[3:4], v[3:4], v[53:54]
	s_waitcnt lgkmcnt(1)
	v_mul_f64 v[63:64], v[47:48], v[79:80]
	v_mul_f64 v[53:54], v[45:46], v[79:80]
	v_fma_f64 v[61:62], v[43:44], v[75:76], v[61:62]
	ds_read_b128 v[41:44], v2 offset:480
	v_add_f64 v[57:58], v[57:58], v[67:68]
	v_add_f64 v[3:4], v[3:4], v[55:56]
	s_waitcnt vmcnt(31) lgkmcnt(1)
	v_mul_f64 v[67:68], v[51:52], v[81:82]
	s_waitcnt vmcnt(29)
	v_fma_f64 v[63:64], v[45:46], v[85:86], -v[63:64]
	v_mul_f64 v[55:56], v[49:50], v[81:82]
	v_fma_f64 v[53:54], v[47:48], v[85:86], v[53:54]
	ds_read_b128 v[45:48], v2 offset:496
	v_add_f64 v[57:58], v[57:58], v[65:66]
	v_add_f64 v[3:4], v[3:4], v[61:62]
	s_waitcnt vmcnt(25) lgkmcnt(1)
	v_mul_f64 v[65:66], v[43:44], v[87:88]
	s_waitcnt vmcnt(24)
	v_fma_f64 v[67:68], v[49:50], v[83:84], -v[67:68]
	;; [unrolled: 9-line block ×6, first 2 shown]
	v_mul_f64 v[53:54], v[45:46], v[103:104]
	v_fma_f64 v[43:44], v[43:44], v[99:100], v[61:62]
	s_waitcnt vmcnt(7) lgkmcnt(0)
	v_mul_f64 v[61:62], v[51:52], v[105:106]
	v_add_f64 v[57:58], v[57:58], v[67:68]
	v_add_f64 v[3:4], v[3:4], v[55:56]
	s_waitcnt vmcnt(5)
	v_fma_f64 v[45:46], v[45:46], v[109:110], -v[63:64]
	v_mul_f64 v[55:56], v[49:50], v[105:106]
	v_fma_f64 v[47:48], v[47:48], v[109:110], v[53:54]
	v_add_f64 v[41:42], v[57:58], v[41:42]
	v_add_f64 v[3:4], v[3:4], v[43:44]
	s_waitcnt vmcnt(4)
	v_fma_f64 v[43:44], v[49:50], v[107:108], -v[61:62]
	v_add_f64 v[41:42], v[41:42], v[45:46]
	v_fma_f64 v[45:46], v[51:52], v[107:108], v[55:56]
	v_add_f64 v[3:4], v[3:4], v[47:48]
	v_add_f64 v[41:42], v[41:42], v[43:44]
	;; [unrolled: 1-line block ×3, first 2 shown]
	s_waitcnt vmcnt(2)
	v_add_f64 v[41:42], v[59:60], -v[41:42]
	s_waitcnt vmcnt(0)
	v_add_f64 v[3:4], v[115:116], -v[3:4]
	buffer_store_dword v42, off, s[0:3], 0 offset:52
	buffer_store_dword v41, off, s[0:3], 0 offset:48
	buffer_store_dword v4, off, s[0:3], 0 offset:60
	buffer_store_dword v3, off, s[0:3], 0 offset:56
	v_cmpx_lt_u32_e32 1, v0
	s_cbranch_execz .LBB81_119
; %bb.118:
	v_mov_b32_e32 v3, s28
	s_clause 0x3
	buffer_load_dword v41, v3, s[0:3], 0 offen
	buffer_load_dword v42, v3, s[0:3], 0 offen offset:4
	buffer_load_dword v43, v3, s[0:3], 0 offen offset:8
	;; [unrolled: 1-line block ×3, first 2 shown]
	buffer_store_dword v2, off, s[0:3], 0 offset:32
	buffer_store_dword v2, off, s[0:3], 0 offset:36
	;; [unrolled: 1-line block ×4, first 2 shown]
	s_waitcnt vmcnt(0)
	ds_write_b128 v1, v[41:44]
.LBB81_119:
	s_or_b32 exec_lo, exec_lo, s4
	s_waitcnt lgkmcnt(0)
	s_waitcnt_vscnt null, 0x0
	s_barrier
	buffer_gl0_inv
	s_clause 0x37
	buffer_load_dword v3, off, s[0:3], 0 offset:56
	buffer_load_dword v4, off, s[0:3], 0 offset:60
	;; [unrolled: 1-line block ×56, first 2 shown]
	ds_read_b128 v[41:44], v2 offset:320
	s_clause 0x2
	buffer_load_dword v106, off, s[0:3], 0 offset:284
	buffer_load_dword v110, off, s[0:3], 0 offset:260
	;; [unrolled: 1-line block ×3, first 2 shown]
	ds_read_b128 v[45:48], v2 offset:336
	s_clause 0x2
	buffer_load_dword v114, off, s[0:3], 0 offset:300
	buffer_load_dword v113, off, s[0:3], 0 offset:296
	;; [unrolled: 1-line block ×3, first 2 shown]
	ds_read_b128 v[49:52], v2 offset:352
	s_mov_b32 s4, exec_lo
	s_waitcnt vmcnt(60) lgkmcnt(2)
	v_mul_f64 v[111:112], v[43:44], v[3:4]
	v_mul_f64 v[3:4], v[41:42], v[3:4]
	s_waitcnt vmcnt(58) lgkmcnt(1)
	v_mul_f64 v[115:116], v[47:48], v[53:54]
	v_mul_f64 v[53:54], v[45:46], v[53:54]
	;; [unrolled: 3-line block ×3, first 2 shown]
	v_fma_f64 v[111:112], v[41:42], v[55:56], -v[111:112]
	v_fma_f64 v[3:4], v[43:44], v[55:56], v[3:4]
	s_clause 0x1
	buffer_load_dword v56, off, s[0:3], 0 offset:292
	buffer_load_dword v55, off, s[0:3], 0 offset:288
	s_waitcnt vmcnt(54)
	v_fma_f64 v[115:116], v[45:46], v[59:60], -v[115:116]
	ds_read_b128 v[41:44], v2 offset:368
	v_fma_f64 v[53:54], v[47:48], v[59:60], v[53:54]
	ds_read_b128 v[45:48], v2 offset:384
	s_waitcnt vmcnt(48)
	v_fma_f64 v[57:58], v[49:50], v[67:68], -v[57:58]
	v_fma_f64 v[67:68], v[51:52], v[67:68], v[117:118]
	v_add_f64 v[111:112], v[111:112], 0
	v_add_f64 v[3:4], v[3:4], 0
	s_waitcnt lgkmcnt(1)
	v_mul_f64 v[59:60], v[41:42], v[61:62]
	v_mul_f64 v[61:62], v[43:44], v[61:62]
	s_waitcnt vmcnt(47) lgkmcnt(0)
	v_mul_f64 v[117:118], v[45:46], v[63:64]
	v_mul_f64 v[63:64], v[47:48], v[63:64]
	v_add_f64 v[111:112], v[111:112], v[115:116]
	v_add_f64 v[3:4], v[3:4], v[53:54]
	s_clause 0x3
	buffer_load_dword v53, off, s[0:3], 0 offset:32
	buffer_load_dword v54, off, s[0:3], 0 offset:36
	;; [unrolled: 1-line block ×4, first 2 shown]
	s_waitcnt vmcnt(49)
	v_fma_f64 v[61:62], v[41:42], v[69:70], -v[61:62]
	ds_read_b128 v[49:52], v2 offset:400
	v_fma_f64 v[59:60], v[43:44], v[69:70], v[59:60]
	ds_read_b128 v[41:44], v2 offset:416
	s_waitcnt vmcnt(44)
	v_fma_f64 v[63:64], v[45:46], v[65:66], -v[63:64]
	v_add_f64 v[57:58], v[111:112], v[57:58]
	v_add_f64 v[3:4], v[3:4], v[67:68]
	s_waitcnt lgkmcnt(1)
	v_mul_f64 v[69:70], v[51:52], v[71:72]
	v_mul_f64 v[67:68], v[49:50], v[71:72]
	v_add_f64 v[57:58], v[57:58], v[61:62]
	v_fma_f64 v[61:62], v[47:48], v[65:66], v[117:118]
	v_add_f64 v[3:4], v[3:4], v[59:60]
	s_waitcnt vmcnt(43) lgkmcnt(0)
	v_mul_f64 v[65:66], v[43:44], v[73:74]
	s_waitcnt vmcnt(41)
	v_fma_f64 v[69:70], v[49:50], v[77:78], -v[69:70]
	ds_read_b128 v[45:48], v2 offset:432
	v_mul_f64 v[59:60], v[41:42], v[73:74]
	v_add_f64 v[57:58], v[57:58], v[63:64]
	v_fma_f64 v[63:64], v[51:52], v[77:78], v[67:68]
	v_add_f64 v[3:4], v[3:4], v[61:62]
	ds_read_b128 v[49:52], v2 offset:448
	s_waitcnt vmcnt(37) lgkmcnt(1)
	v_mul_f64 v[67:68], v[47:48], v[79:80]
	s_waitcnt vmcnt(36)
	v_fma_f64 v[65:66], v[41:42], v[75:76], -v[65:66]
	v_mul_f64 v[61:62], v[45:46], v[79:80]
	v_fma_f64 v[59:60], v[43:44], v[75:76], v[59:60]
	ds_read_b128 v[41:44], v2 offset:464
	v_add_f64 v[57:58], v[57:58], v[69:70]
	s_waitcnt vmcnt(35) lgkmcnt(1)
	v_mul_f64 v[69:70], v[51:52], v[81:82]
	v_add_f64 v[3:4], v[3:4], v[63:64]
	v_mul_f64 v[63:64], v[49:50], v[81:82]
	s_waitcnt vmcnt(33)
	v_fma_f64 v[67:68], v[45:46], v[85:86], -v[67:68]
	v_fma_f64 v[61:62], v[47:48], v[85:86], v[61:62]
	ds_read_b128 v[45:48], v2 offset:480
	v_add_f64 v[57:58], v[57:58], v[65:66]
	s_waitcnt vmcnt(29) lgkmcnt(1)
	v_mul_f64 v[65:66], v[43:44], v[87:88]
	v_add_f64 v[3:4], v[3:4], v[59:60]
	s_waitcnt vmcnt(28)
	v_fma_f64 v[69:70], v[49:50], v[83:84], -v[69:70]
	v_mul_f64 v[59:60], v[41:42], v[87:88]
	v_fma_f64 v[63:64], v[51:52], v[83:84], v[63:64]
	ds_read_b128 v[49:52], v2 offset:496
	v_add_f64 v[57:58], v[57:58], v[67:68]
	s_waitcnt vmcnt(27) lgkmcnt(1)
	v_mul_f64 v[67:68], v[47:48], v[89:90]
	v_add_f64 v[3:4], v[3:4], v[61:62]
	s_waitcnt vmcnt(25)
	v_fma_f64 v[65:66], v[41:42], v[93:94], -v[65:66]
	v_mul_f64 v[61:62], v[45:46], v[89:90]
	;; [unrolled: 9-line block ×6, first 2 shown]
	v_fma_f64 v[47:48], v[47:48], v[109:110], v[61:62]
	s_waitcnt vmcnt(7) lgkmcnt(0)
	v_mul_f64 v[61:62], v[43:44], v[113:114]
	v_add_f64 v[57:58], v[57:58], v[65:66]
	s_waitcnt vmcnt(6)
	v_fma_f64 v[49:50], v[49:50], v[107:108], -v[69:70]
	v_add_f64 v[2:3], v[3:4], v[59:60]
	v_mul_f64 v[59:60], v[41:42], v[113:114]
	v_fma_f64 v[51:52], v[51:52], v[107:108], v[63:64]
	v_add_f64 v[45:46], v[57:58], v[45:46]
	v_add_f64 v[2:3], v[2:3], v[47:48]
	s_waitcnt vmcnt(4)
	v_fma_f64 v[41:42], v[41:42], v[55:56], -v[61:62]
	v_fma_f64 v[43:44], v[43:44], v[55:56], v[59:60]
	v_add_f64 v[45:46], v[45:46], v[49:50]
	v_add_f64 v[2:3], v[2:3], v[51:52]
	;; [unrolled: 1-line block ×4, first 2 shown]
	s_waitcnt vmcnt(2)
	v_add_f64 v[41:42], v[53:54], -v[41:42]
	s_waitcnt vmcnt(0)
	v_add_f64 v[2:3], v[115:116], -v[2:3]
	buffer_store_dword v42, off, s[0:3], 0 offset:36
	buffer_store_dword v41, off, s[0:3], 0 offset:32
	buffer_store_dword v3, off, s[0:3], 0 offset:44
	buffer_store_dword v2, off, s[0:3], 0 offset:40
	v_cmpx_ne_u32_e32 0, v0
	s_cbranch_execz .LBB81_121
; %bb.120:
	s_clause 0x3
	buffer_load_dword v41, off, s[0:3], 0 offset:16
	buffer_load_dword v42, off, s[0:3], 0 offset:20
	;; [unrolled: 1-line block ×4, first 2 shown]
	v_mov_b32_e32 v0, 0
	buffer_store_dword v0, off, s[0:3], 0 offset:16
	buffer_store_dword v0, off, s[0:3], 0 offset:20
	;; [unrolled: 1-line block ×4, first 2 shown]
	s_waitcnt vmcnt(0)
	ds_write_b128 v1, v[41:44]
.LBB81_121:
	s_or_b32 exec_lo, exec_lo, s4
	s_waitcnt lgkmcnt(0)
	s_waitcnt_vscnt null, 0x0
	s_barrier
	buffer_gl0_inv
	s_clause 0x37
	buffer_load_dword v45, off, s[0:3], 0 offset:40
	buffer_load_dword v46, off, s[0:3], 0 offset:44
	;; [unrolled: 1-line block ×56, first 2 shown]
	v_mov_b32_e32 v0, 0
	s_and_b32 vcc_lo, exec_lo, s29
	ds_read_b128 v[1:4], v0 offset:304
	s_clause 0x2
	buffer_load_dword v102, off, s[0:3], 0 offset:268
	buffer_load_dword v106, off, s[0:3], 0 offset:244
	;; [unrolled: 1-line block ×3, first 2 shown]
	ds_read_b128 v[41:44], v0 offset:320
	s_clause 0x4
	buffer_load_dword v112, off, s[0:3], 0 offset:284
	buffer_load_dword v113, off, s[0:3], 0 offset:296
	;; [unrolled: 1-line block ×5, first 2 shown]
	s_waitcnt vmcnt(62) lgkmcnt(1)
	v_mul_f64 v[107:108], v[3:4], v[45:46]
	v_mul_f64 v[109:110], v[1:2], v[45:46]
	s_waitcnt vmcnt(60) lgkmcnt(0)
	v_mul_f64 v[116:117], v[43:44], v[49:50]
	ds_read_b128 v[45:48], v0 offset:336
	v_mul_f64 v[49:50], v[41:42], v[49:50]
	s_waitcnt vmcnt(58)
	v_fma_f64 v[107:108], v[1:2], v[51:52], -v[107:108]
	v_fma_f64 v[51:52], v[3:4], v[51:52], v[109:110]
	s_clause 0x2
	buffer_load_dword v114, off, s[0:3], 0 offset:300
	buffer_load_dword v110, off, s[0:3], 0 offset:276
	;; [unrolled: 1-line block ×3, first 2 shown]
	s_waitcnt vmcnt(59) lgkmcnt(0)
	v_mul_f64 v[118:119], v[45:46], v[53:54]
	v_mul_f64 v[53:54], v[47:48], v[53:54]
	s_waitcnt vmcnt(57)
	v_fma_f64 v[120:121], v[41:42], v[55:56], -v[116:117]
	ds_read_b128 v[1:4], v0 offset:352
	v_fma_f64 v[49:50], v[43:44], v[55:56], v[49:50]
	buffer_load_dword v116, off, s[0:3], 0 offset:292
	ds_read_b128 v[41:44], v0 offset:368
	v_add_f64 v[107:108], v[107:108], 0
	v_add_f64 v[51:52], v[51:52], 0
	s_waitcnt vmcnt(54) lgkmcnt(1)
	v_mul_f64 v[55:56], v[1:2], v[57:58]
	v_mul_f64 v[57:58], v[3:4], v[57:58]
	s_waitcnt vmcnt(52)
	v_fma_f64 v[53:54], v[45:46], v[63:64], -v[53:54]
	v_fma_f64 v[63:64], v[47:48], v[63:64], v[118:119]
	ds_read_b128 v[45:48], v0 offset:384
	v_add_f64 v[107:108], v[107:108], v[120:121]
	v_add_f64 v[49:50], v[51:52], v[49:50]
	s_waitcnt vmcnt(51) lgkmcnt(1)
	v_mul_f64 v[51:52], v[41:42], v[59:60]
	v_mul_f64 v[59:60], v[43:44], v[59:60]
	s_waitcnt vmcnt(49)
	v_fma_f64 v[55:56], v[3:4], v[65:66], v[55:56]
	v_fma_f64 v[57:58], v[1:2], v[65:66], -v[57:58]
	v_add_f64 v[53:54], v[107:108], v[53:54]
	v_add_f64 v[49:50], v[49:50], v[63:64]
	s_clause 0x3
	buffer_load_dword v63, off, s[0:3], 0 offset:16
	buffer_load_dword v64, off, s[0:3], 0 offset:20
	;; [unrolled: 1-line block ×4, first 2 shown]
	s_waitcnt vmcnt(49) lgkmcnt(0)
	v_mul_f64 v[107:108], v[45:46], v[67:68]
	v_mul_f64 v[67:68], v[47:48], v[67:68]
	s_waitcnt vmcnt(48)
	v_fma_f64 v[59:60], v[41:42], v[61:62], -v[59:60]
	ds_read_b128 v[1:4], v0 offset:400
	v_fma_f64 v[51:52], v[43:44], v[61:62], v[51:52]
	ds_read_b128 v[41:44], v0 offset:416
	v_add_f64 v[53:54], v[53:54], v[57:58]
	v_add_f64 v[49:50], v[49:50], v[55:56]
	s_waitcnt vmcnt(47) lgkmcnt(1)
	v_mul_f64 v[57:58], v[3:4], v[69:70]
	s_waitcnt vmcnt(45)
	v_fma_f64 v[61:62], v[45:46], v[73:74], -v[67:68]
	v_mul_f64 v[55:56], v[1:2], v[69:70]
	s_waitcnt vmcnt(41) lgkmcnt(0)
	v_mul_f64 v[67:68], v[43:44], v[75:76]
	v_add_f64 v[53:54], v[53:54], v[59:60]
	v_fma_f64 v[59:60], v[47:48], v[73:74], v[107:108]
	v_add_f64 v[49:50], v[49:50], v[51:52]
	ds_read_b128 v[45:48], v0 offset:432
	s_waitcnt vmcnt(40)
	v_fma_f64 v[57:58], v[1:2], v[71:72], -v[57:58]
	v_mul_f64 v[51:52], v[41:42], v[75:76]
	v_fma_f64 v[55:56], v[3:4], v[71:72], v[55:56]
	ds_read_b128 v[1:4], v0 offset:448
	s_waitcnt vmcnt(37)
	v_fma_f64 v[67:68], v[41:42], v[81:82], -v[67:68]
	v_add_f64 v[53:54], v[53:54], v[61:62]
	s_waitcnt lgkmcnt(1)
	v_mul_f64 v[61:62], v[47:48], v[77:78]
	v_add_f64 v[49:50], v[49:50], v[59:60]
	v_mul_f64 v[59:60], v[45:46], v[77:78]
	v_fma_f64 v[51:52], v[43:44], v[81:82], v[51:52]
	ds_read_b128 v[41:44], v0 offset:464
	v_add_f64 v[53:54], v[53:54], v[57:58]
	s_waitcnt vmcnt(33) lgkmcnt(1)
	v_mul_f64 v[57:58], v[3:4], v[83:84]
	v_add_f64 v[49:50], v[49:50], v[55:56]
	s_waitcnt vmcnt(32)
	v_fma_f64 v[61:62], v[45:46], v[79:80], -v[61:62]
	v_mul_f64 v[55:56], v[1:2], v[83:84]
	v_fma_f64 v[59:60], v[47:48], v[79:80], v[59:60]
	ds_read_b128 v[45:48], v0 offset:480
	v_add_f64 v[53:54], v[53:54], v[67:68]
	s_waitcnt vmcnt(31) lgkmcnt(1)
	v_mul_f64 v[67:68], v[43:44], v[85:86]
	v_add_f64 v[49:50], v[49:50], v[51:52]
	s_waitcnt vmcnt(29)
	v_fma_f64 v[57:58], v[1:2], v[89:90], -v[57:58]
	;; [unrolled: 9-line block ×7, first 2 shown]
	v_mul_f64 v[55:56], v[1:2], v[111:112]
	v_fma_f64 v[47:48], v[47:48], v[103:104], v[59:60]
	v_add_f64 v[53:54], v[53:54], v[67:68]
	v_add_f64 v[49:50], v[49:50], v[51:52]
	s_waitcnt vmcnt(7) lgkmcnt(0)
	v_mul_f64 v[59:60], v[43:44], v[113:114]
	v_mul_f64 v[51:52], v[41:42], v[113:114]
	s_waitcnt vmcnt(5)
	v_fma_f64 v[1:2], v[1:2], v[109:110], -v[57:58]
	v_fma_f64 v[3:4], v[3:4], v[109:110], v[55:56]
	v_add_f64 v[45:46], v[53:54], v[45:46]
	v_add_f64 v[47:48], v[49:50], v[47:48]
	s_waitcnt vmcnt(4)
	v_fma_f64 v[41:42], v[41:42], v[115:116], -v[59:60]
	v_fma_f64 v[43:44], v[43:44], v[115:116], v[51:52]
	v_add_f64 v[1:2], v[45:46], v[1:2]
	v_add_f64 v[3:4], v[47:48], v[3:4]
	;; [unrolled: 1-line block ×4, first 2 shown]
	s_waitcnt vmcnt(2)
	v_add_f64 v[1:2], v[63:64], -v[1:2]
	s_waitcnt vmcnt(0)
	v_add_f64 v[3:4], v[65:66], -v[3:4]
	buffer_store_dword v2, off, s[0:3], 0 offset:20
	buffer_store_dword v1, off, s[0:3], 0 offset:16
	;; [unrolled: 1-line block ×4, first 2 shown]
	s_cbranch_vccz .LBB81_156
; %bb.122:
	global_load_dword v0, v0, s[12:13] offset:64
	s_waitcnt vmcnt(0)
	v_add_nc_u32_e32 v0, -1, v0
	v_cmp_ne_u32_e32 vcc_lo, 16, v0
	s_cbranch_vccz .LBB81_124
; %bb.123:
	v_lshlrev_b32_e32 v0, 4, v0
	v_mov_b32_e32 v1, s9
	v_add_nc_u32_e32 v0, 16, v0
	s_clause 0x7
	buffer_load_dword v2, v0, s[0:3], 0 offen
	buffer_load_dword v3, v0, s[0:3], 0 offen offset:4
	buffer_load_dword v4, v0, s[0:3], 0 offen offset:8
	;; [unrolled: 1-line block ×6, first 2 shown]
	buffer_load_dword v45, v1, s[0:3], 0 offen
	s_waitcnt vmcnt(7)
	buffer_store_dword v2, v1, s[0:3], 0 offen
	s_waitcnt vmcnt(6)
	buffer_store_dword v3, v1, s[0:3], 0 offen offset:4
	s_waitcnt vmcnt(5)
	buffer_store_dword v4, v1, s[0:3], 0 offen offset:8
	;; [unrolled: 2-line block ×6, first 2 shown]
	s_waitcnt vmcnt(0)
	buffer_store_dword v45, v0, s[0:3], 0 offen
.LBB81_124:
	v_mov_b32_e32 v0, 0
	global_load_dword v1, v0, s[12:13] offset:60
	s_waitcnt vmcnt(0)
	v_add_nc_u32_e32 v1, -1, v1
	v_cmp_eq_u32_e32 vcc_lo, 15, v1
	s_cbranch_vccnz .LBB81_126
; %bb.125:
	v_lshlrev_b32_e32 v1, 4, v1
	v_mov_b32_e32 v2, s14
	v_add_nc_u32_e32 v1, 16, v1
	s_clause 0x7
	buffer_load_dword v3, v1, s[0:3], 0 offen
	buffer_load_dword v4, v1, s[0:3], 0 offen offset:4
	buffer_load_dword v41, v1, s[0:3], 0 offen offset:8
	;; [unrolled: 1-line block ×6, first 2 shown]
	buffer_load_dword v46, v2, s[0:3], 0 offen
	s_waitcnt vmcnt(7)
	buffer_store_dword v3, v2, s[0:3], 0 offen
	s_waitcnt vmcnt(6)
	buffer_store_dword v4, v2, s[0:3], 0 offen offset:4
	s_waitcnt vmcnt(5)
	buffer_store_dword v41, v2, s[0:3], 0 offen offset:8
	;; [unrolled: 2-line block ×6, first 2 shown]
	s_waitcnt vmcnt(0)
	buffer_store_dword v46, v1, s[0:3], 0 offen
.LBB81_126:
	global_load_dword v0, v0, s[12:13] offset:56
	s_waitcnt vmcnt(0)
	v_add_nc_u32_e32 v0, -1, v0
	v_cmp_eq_u32_e32 vcc_lo, 14, v0
	s_cbranch_vccnz .LBB81_128
; %bb.127:
	v_lshlrev_b32_e32 v0, 4, v0
	v_mov_b32_e32 v1, s15
	v_add_nc_u32_e32 v0, 16, v0
	s_clause 0x7
	buffer_load_dword v2, v0, s[0:3], 0 offen
	buffer_load_dword v3, v0, s[0:3], 0 offen offset:4
	buffer_load_dword v4, v0, s[0:3], 0 offen offset:8
	;; [unrolled: 1-line block ×6, first 2 shown]
	buffer_load_dword v45, v1, s[0:3], 0 offen
	s_waitcnt vmcnt(7)
	buffer_store_dword v2, v1, s[0:3], 0 offen
	s_waitcnt vmcnt(6)
	buffer_store_dword v3, v1, s[0:3], 0 offen offset:4
	s_waitcnt vmcnt(5)
	buffer_store_dword v4, v1, s[0:3], 0 offen offset:8
	;; [unrolled: 2-line block ×6, first 2 shown]
	s_waitcnt vmcnt(0)
	buffer_store_dword v45, v0, s[0:3], 0 offen
.LBB81_128:
	v_mov_b32_e32 v0, 0
	global_load_dword v1, v0, s[12:13] offset:52
	s_waitcnt vmcnt(0)
	v_add_nc_u32_e32 v1, -1, v1
	v_cmp_eq_u32_e32 vcc_lo, 13, v1
	s_cbranch_vccnz .LBB81_130
; %bb.129:
	v_lshlrev_b32_e32 v1, 4, v1
	v_mov_b32_e32 v2, s16
	v_add_nc_u32_e32 v1, 16, v1
	s_clause 0x7
	buffer_load_dword v3, v1, s[0:3], 0 offen
	buffer_load_dword v4, v1, s[0:3], 0 offen offset:4
	buffer_load_dword v41, v1, s[0:3], 0 offen offset:8
	;; [unrolled: 1-line block ×6, first 2 shown]
	buffer_load_dword v46, v2, s[0:3], 0 offen
	s_waitcnt vmcnt(7)
	buffer_store_dword v3, v2, s[0:3], 0 offen
	s_waitcnt vmcnt(6)
	buffer_store_dword v4, v2, s[0:3], 0 offen offset:4
	s_waitcnt vmcnt(5)
	buffer_store_dword v41, v2, s[0:3], 0 offen offset:8
	s_waitcnt vmcnt(4)
	buffer_store_dword v42, v2, s[0:3], 0 offen offset:12
	s_waitcnt vmcnt(3)
	buffer_store_dword v43, v1, s[0:3], 0 offen offset:12
	s_waitcnt vmcnt(2)
	buffer_store_dword v44, v1, s[0:3], 0 offen offset:8
	s_waitcnt vmcnt(1)
	buffer_store_dword v45, v1, s[0:3], 0 offen offset:4
	s_waitcnt vmcnt(0)
	buffer_store_dword v46, v1, s[0:3], 0 offen
.LBB81_130:
	global_load_dword v0, v0, s[12:13] offset:48
	s_waitcnt vmcnt(0)
	v_add_nc_u32_e32 v0, -1, v0
	v_cmp_eq_u32_e32 vcc_lo, 12, v0
	s_cbranch_vccnz .LBB81_132
; %bb.131:
	v_lshlrev_b32_e32 v0, 4, v0
	v_mov_b32_e32 v1, s17
	v_add_nc_u32_e32 v0, 16, v0
	s_clause 0x7
	buffer_load_dword v2, v0, s[0:3], 0 offen
	buffer_load_dword v3, v0, s[0:3], 0 offen offset:4
	buffer_load_dword v4, v0, s[0:3], 0 offen offset:8
	buffer_load_dword v41, v0, s[0:3], 0 offen offset:12
	buffer_load_dword v42, v1, s[0:3], 0 offen offset:12
	buffer_load_dword v43, v1, s[0:3], 0 offen offset:8
	buffer_load_dword v44, v1, s[0:3], 0 offen offset:4
	buffer_load_dword v45, v1, s[0:3], 0 offen
	s_waitcnt vmcnt(7)
	buffer_store_dword v2, v1, s[0:3], 0 offen
	s_waitcnt vmcnt(6)
	buffer_store_dword v3, v1, s[0:3], 0 offen offset:4
	s_waitcnt vmcnt(5)
	buffer_store_dword v4, v1, s[0:3], 0 offen offset:8
	;; [unrolled: 2-line block ×6, first 2 shown]
	s_waitcnt vmcnt(0)
	buffer_store_dword v45, v0, s[0:3], 0 offen
.LBB81_132:
	v_mov_b32_e32 v0, 0
	global_load_dword v1, v0, s[12:13] offset:44
	s_waitcnt vmcnt(0)
	v_add_nc_u32_e32 v1, -1, v1
	v_cmp_eq_u32_e32 vcc_lo, 11, v1
	s_cbranch_vccnz .LBB81_134
; %bb.133:
	v_lshlrev_b32_e32 v1, 4, v1
	v_mov_b32_e32 v2, s18
	v_add_nc_u32_e32 v1, 16, v1
	s_clause 0x7
	buffer_load_dword v3, v1, s[0:3], 0 offen
	buffer_load_dword v4, v1, s[0:3], 0 offen offset:4
	buffer_load_dword v41, v1, s[0:3], 0 offen offset:8
	;; [unrolled: 1-line block ×6, first 2 shown]
	buffer_load_dword v46, v2, s[0:3], 0 offen
	s_waitcnt vmcnt(7)
	buffer_store_dword v3, v2, s[0:3], 0 offen
	s_waitcnt vmcnt(6)
	buffer_store_dword v4, v2, s[0:3], 0 offen offset:4
	s_waitcnt vmcnt(5)
	buffer_store_dword v41, v2, s[0:3], 0 offen offset:8
	;; [unrolled: 2-line block ×6, first 2 shown]
	s_waitcnt vmcnt(0)
	buffer_store_dword v46, v1, s[0:3], 0 offen
.LBB81_134:
	global_load_dword v0, v0, s[12:13] offset:40
	s_waitcnt vmcnt(0)
	v_add_nc_u32_e32 v0, -1, v0
	v_cmp_eq_u32_e32 vcc_lo, 10, v0
	s_cbranch_vccnz .LBB81_136
; %bb.135:
	v_lshlrev_b32_e32 v0, 4, v0
	v_mov_b32_e32 v1, s19
	v_add_nc_u32_e32 v0, 16, v0
	s_clause 0x7
	buffer_load_dword v2, v0, s[0:3], 0 offen
	buffer_load_dword v3, v0, s[0:3], 0 offen offset:4
	buffer_load_dword v4, v0, s[0:3], 0 offen offset:8
	;; [unrolled: 1-line block ×6, first 2 shown]
	buffer_load_dword v45, v1, s[0:3], 0 offen
	s_waitcnt vmcnt(7)
	buffer_store_dword v2, v1, s[0:3], 0 offen
	s_waitcnt vmcnt(6)
	buffer_store_dword v3, v1, s[0:3], 0 offen offset:4
	s_waitcnt vmcnt(5)
	buffer_store_dword v4, v1, s[0:3], 0 offen offset:8
	;; [unrolled: 2-line block ×6, first 2 shown]
	s_waitcnt vmcnt(0)
	buffer_store_dword v45, v0, s[0:3], 0 offen
.LBB81_136:
	v_mov_b32_e32 v0, 0
	global_load_dword v1, v0, s[12:13] offset:36
	s_waitcnt vmcnt(0)
	v_add_nc_u32_e32 v1, -1, v1
	v_cmp_eq_u32_e32 vcc_lo, 9, v1
	s_cbranch_vccnz .LBB81_138
; %bb.137:
	v_lshlrev_b32_e32 v1, 4, v1
	v_mov_b32_e32 v2, s20
	v_add_nc_u32_e32 v1, 16, v1
	s_clause 0x7
	buffer_load_dword v3, v1, s[0:3], 0 offen
	buffer_load_dword v4, v1, s[0:3], 0 offen offset:4
	buffer_load_dword v41, v1, s[0:3], 0 offen offset:8
	;; [unrolled: 1-line block ×6, first 2 shown]
	buffer_load_dword v46, v2, s[0:3], 0 offen
	s_waitcnt vmcnt(7)
	buffer_store_dword v3, v2, s[0:3], 0 offen
	s_waitcnt vmcnt(6)
	buffer_store_dword v4, v2, s[0:3], 0 offen offset:4
	s_waitcnt vmcnt(5)
	buffer_store_dword v41, v2, s[0:3], 0 offen offset:8
	;; [unrolled: 2-line block ×6, first 2 shown]
	s_waitcnt vmcnt(0)
	buffer_store_dword v46, v1, s[0:3], 0 offen
.LBB81_138:
	global_load_dword v0, v0, s[12:13] offset:32
	s_waitcnt vmcnt(0)
	v_add_nc_u32_e32 v0, -1, v0
	v_cmp_eq_u32_e32 vcc_lo, 8, v0
	s_cbranch_vccnz .LBB81_140
; %bb.139:
	v_lshlrev_b32_e32 v0, 4, v0
	v_mov_b32_e32 v1, s21
	v_add_nc_u32_e32 v0, 16, v0
	s_clause 0x7
	buffer_load_dword v2, v0, s[0:3], 0 offen
	buffer_load_dword v3, v0, s[0:3], 0 offen offset:4
	buffer_load_dword v4, v0, s[0:3], 0 offen offset:8
	;; [unrolled: 1-line block ×6, first 2 shown]
	buffer_load_dword v45, v1, s[0:3], 0 offen
	s_waitcnt vmcnt(7)
	buffer_store_dword v2, v1, s[0:3], 0 offen
	s_waitcnt vmcnt(6)
	buffer_store_dword v3, v1, s[0:3], 0 offen offset:4
	s_waitcnt vmcnt(5)
	buffer_store_dword v4, v1, s[0:3], 0 offen offset:8
	;; [unrolled: 2-line block ×6, first 2 shown]
	s_waitcnt vmcnt(0)
	buffer_store_dword v45, v0, s[0:3], 0 offen
.LBB81_140:
	v_mov_b32_e32 v0, 0
	global_load_dword v1, v0, s[12:13] offset:28
	s_waitcnt vmcnt(0)
	v_add_nc_u32_e32 v1, -1, v1
	v_cmp_eq_u32_e32 vcc_lo, 7, v1
	s_cbranch_vccnz .LBB81_142
; %bb.141:
	v_lshlrev_b32_e32 v1, 4, v1
	v_mov_b32_e32 v2, s22
	v_add_nc_u32_e32 v1, 16, v1
	s_clause 0x7
	buffer_load_dword v3, v1, s[0:3], 0 offen
	buffer_load_dword v4, v1, s[0:3], 0 offen offset:4
	buffer_load_dword v41, v1, s[0:3], 0 offen offset:8
	;; [unrolled: 1-line block ×6, first 2 shown]
	buffer_load_dword v46, v2, s[0:3], 0 offen
	s_waitcnt vmcnt(7)
	buffer_store_dword v3, v2, s[0:3], 0 offen
	s_waitcnt vmcnt(6)
	buffer_store_dword v4, v2, s[0:3], 0 offen offset:4
	s_waitcnt vmcnt(5)
	buffer_store_dword v41, v2, s[0:3], 0 offen offset:8
	;; [unrolled: 2-line block ×6, first 2 shown]
	s_waitcnt vmcnt(0)
	buffer_store_dword v46, v1, s[0:3], 0 offen
.LBB81_142:
	global_load_dword v0, v0, s[12:13] offset:24
	s_waitcnt vmcnt(0)
	v_add_nc_u32_e32 v0, -1, v0
	v_cmp_eq_u32_e32 vcc_lo, 6, v0
	s_cbranch_vccnz .LBB81_144
; %bb.143:
	v_lshlrev_b32_e32 v0, 4, v0
	v_mov_b32_e32 v1, s23
	v_add_nc_u32_e32 v0, 16, v0
	s_clause 0x7
	buffer_load_dword v2, v0, s[0:3], 0 offen
	buffer_load_dword v3, v0, s[0:3], 0 offen offset:4
	buffer_load_dword v4, v0, s[0:3], 0 offen offset:8
	;; [unrolled: 1-line block ×6, first 2 shown]
	buffer_load_dword v45, v1, s[0:3], 0 offen
	s_waitcnt vmcnt(7)
	buffer_store_dword v2, v1, s[0:3], 0 offen
	s_waitcnt vmcnt(6)
	buffer_store_dword v3, v1, s[0:3], 0 offen offset:4
	s_waitcnt vmcnt(5)
	buffer_store_dword v4, v1, s[0:3], 0 offen offset:8
	;; [unrolled: 2-line block ×6, first 2 shown]
	s_waitcnt vmcnt(0)
	buffer_store_dword v45, v0, s[0:3], 0 offen
.LBB81_144:
	v_mov_b32_e32 v0, 0
	global_load_dword v1, v0, s[12:13] offset:20
	s_waitcnt vmcnt(0)
	v_add_nc_u32_e32 v1, -1, v1
	v_cmp_eq_u32_e32 vcc_lo, 5, v1
	s_cbranch_vccnz .LBB81_146
; %bb.145:
	v_lshlrev_b32_e32 v1, 4, v1
	v_mov_b32_e32 v2, s24
	v_add_nc_u32_e32 v1, 16, v1
	s_clause 0x7
	buffer_load_dword v3, v1, s[0:3], 0 offen
	buffer_load_dword v4, v1, s[0:3], 0 offen offset:4
	buffer_load_dword v41, v1, s[0:3], 0 offen offset:8
	buffer_load_dword v42, v1, s[0:3], 0 offen offset:12
	buffer_load_dword v43, v2, s[0:3], 0 offen offset:12
	buffer_load_dword v44, v2, s[0:3], 0 offen offset:8
	buffer_load_dword v45, v2, s[0:3], 0 offen offset:4
	buffer_load_dword v46, v2, s[0:3], 0 offen
	s_waitcnt vmcnt(7)
	buffer_store_dword v3, v2, s[0:3], 0 offen
	s_waitcnt vmcnt(6)
	buffer_store_dword v4, v2, s[0:3], 0 offen offset:4
	s_waitcnt vmcnt(5)
	buffer_store_dword v41, v2, s[0:3], 0 offen offset:8
	;; [unrolled: 2-line block ×6, first 2 shown]
	s_waitcnt vmcnt(0)
	buffer_store_dword v46, v1, s[0:3], 0 offen
.LBB81_146:
	global_load_dword v0, v0, s[12:13] offset:16
	s_waitcnt vmcnt(0)
	v_add_nc_u32_e32 v0, -1, v0
	v_cmp_eq_u32_e32 vcc_lo, 4, v0
	s_cbranch_vccnz .LBB81_148
; %bb.147:
	v_lshlrev_b32_e32 v0, 4, v0
	v_mov_b32_e32 v1, s25
	v_add_nc_u32_e32 v0, 16, v0
	s_clause 0x7
	buffer_load_dword v2, v0, s[0:3], 0 offen
	buffer_load_dword v3, v0, s[0:3], 0 offen offset:4
	buffer_load_dword v4, v0, s[0:3], 0 offen offset:8
	;; [unrolled: 1-line block ×6, first 2 shown]
	buffer_load_dword v45, v1, s[0:3], 0 offen
	s_waitcnt vmcnt(7)
	buffer_store_dword v2, v1, s[0:3], 0 offen
	s_waitcnt vmcnt(6)
	buffer_store_dword v3, v1, s[0:3], 0 offen offset:4
	s_waitcnt vmcnt(5)
	buffer_store_dword v4, v1, s[0:3], 0 offen offset:8
	;; [unrolled: 2-line block ×6, first 2 shown]
	s_waitcnt vmcnt(0)
	buffer_store_dword v45, v0, s[0:3], 0 offen
.LBB81_148:
	v_mov_b32_e32 v0, 0
	global_load_dword v1, v0, s[12:13] offset:12
	s_waitcnt vmcnt(0)
	v_add_nc_u32_e32 v1, -1, v1
	v_cmp_eq_u32_e32 vcc_lo, 3, v1
	s_cbranch_vccnz .LBB81_150
; %bb.149:
	v_lshlrev_b32_e32 v1, 4, v1
	v_mov_b32_e32 v2, s26
	v_add_nc_u32_e32 v1, 16, v1
	s_clause 0x7
	buffer_load_dword v3, v1, s[0:3], 0 offen
	buffer_load_dword v4, v1, s[0:3], 0 offen offset:4
	buffer_load_dword v41, v1, s[0:3], 0 offen offset:8
	;; [unrolled: 1-line block ×6, first 2 shown]
	buffer_load_dword v46, v2, s[0:3], 0 offen
	s_waitcnt vmcnt(7)
	buffer_store_dword v3, v2, s[0:3], 0 offen
	s_waitcnt vmcnt(6)
	buffer_store_dword v4, v2, s[0:3], 0 offen offset:4
	s_waitcnt vmcnt(5)
	buffer_store_dword v41, v2, s[0:3], 0 offen offset:8
	;; [unrolled: 2-line block ×6, first 2 shown]
	s_waitcnt vmcnt(0)
	buffer_store_dword v46, v1, s[0:3], 0 offen
.LBB81_150:
	global_load_dword v0, v0, s[12:13] offset:8
	s_waitcnt vmcnt(0)
	v_add_nc_u32_e32 v0, -1, v0
	v_cmp_eq_u32_e32 vcc_lo, 2, v0
	s_cbranch_vccnz .LBB81_152
; %bb.151:
	v_lshlrev_b32_e32 v0, 4, v0
	v_mov_b32_e32 v1, s27
	v_add_nc_u32_e32 v0, 16, v0
	s_clause 0x7
	buffer_load_dword v2, v0, s[0:3], 0 offen
	buffer_load_dword v3, v0, s[0:3], 0 offen offset:4
	buffer_load_dword v4, v0, s[0:3], 0 offen offset:8
	;; [unrolled: 1-line block ×6, first 2 shown]
	buffer_load_dword v45, v1, s[0:3], 0 offen
	s_waitcnt vmcnt(7)
	buffer_store_dword v2, v1, s[0:3], 0 offen
	s_waitcnt vmcnt(6)
	buffer_store_dword v3, v1, s[0:3], 0 offen offset:4
	s_waitcnt vmcnt(5)
	buffer_store_dword v4, v1, s[0:3], 0 offen offset:8
	;; [unrolled: 2-line block ×6, first 2 shown]
	s_waitcnt vmcnt(0)
	buffer_store_dword v45, v0, s[0:3], 0 offen
.LBB81_152:
	v_mov_b32_e32 v0, 0
	global_load_dword v1, v0, s[12:13] offset:4
	s_waitcnt vmcnt(0)
	v_add_nc_u32_e32 v1, -1, v1
	v_cmp_eq_u32_e32 vcc_lo, 1, v1
	s_cbranch_vccnz .LBB81_154
; %bb.153:
	v_lshlrev_b32_e32 v1, 4, v1
	v_mov_b32_e32 v2, s28
	v_add_nc_u32_e32 v1, 16, v1
	s_clause 0x7
	buffer_load_dword v3, v1, s[0:3], 0 offen
	buffer_load_dword v4, v1, s[0:3], 0 offen offset:4
	buffer_load_dword v41, v1, s[0:3], 0 offen offset:8
	;; [unrolled: 1-line block ×6, first 2 shown]
	buffer_load_dword v46, v2, s[0:3], 0 offen
	s_waitcnt vmcnt(7)
	buffer_store_dword v3, v2, s[0:3], 0 offen
	s_waitcnt vmcnt(6)
	buffer_store_dword v4, v2, s[0:3], 0 offen offset:4
	s_waitcnt vmcnt(5)
	buffer_store_dword v41, v2, s[0:3], 0 offen offset:8
	;; [unrolled: 2-line block ×6, first 2 shown]
	s_waitcnt vmcnt(0)
	buffer_store_dword v46, v1, s[0:3], 0 offen
.LBB81_154:
	global_load_dword v0, v0, s[12:13]
	s_waitcnt vmcnt(0)
	v_add_nc_u32_e32 v0, -1, v0
	v_cmp_eq_u32_e32 vcc_lo, 0, v0
	s_cbranch_vccnz .LBB81_156
; %bb.155:
	v_lshlrev_b32_e32 v0, 4, v0
	v_add_nc_u32_e32 v0, 16, v0
	s_clause 0x7
	buffer_load_dword v1, v0, s[0:3], 0 offen
	buffer_load_dword v2, v0, s[0:3], 0 offen offset:4
	buffer_load_dword v3, v0, s[0:3], 0 offen offset:8
	;; [unrolled: 1-line block ×3, first 2 shown]
	buffer_load_dword v41, off, s[0:3], 0 offset:28
	buffer_load_dword v42, off, s[0:3], 0 offset:24
	;; [unrolled: 1-line block ×4, first 2 shown]
	s_waitcnt vmcnt(7)
	buffer_store_dword v1, off, s[0:3], 0 offset:16
	s_waitcnt vmcnt(6)
	buffer_store_dword v2, off, s[0:3], 0 offset:20
	s_waitcnt vmcnt(5)
	buffer_store_dword v3, off, s[0:3], 0 offset:24
	s_waitcnt vmcnt(4)
	buffer_store_dword v4, off, s[0:3], 0 offset:28
	s_waitcnt vmcnt(3)
	buffer_store_dword v41, v0, s[0:3], 0 offen offset:12
	s_waitcnt vmcnt(2)
	buffer_store_dword v42, v0, s[0:3], 0 offen offset:8
	;; [unrolled: 2-line block ×3, first 2 shown]
	s_waitcnt vmcnt(0)
	buffer_store_dword v44, v0, s[0:3], 0 offen
.LBB81_156:
	s_clause 0x3
	buffer_load_dword v0, off, s[0:3], 0 offset:16
	buffer_load_dword v1, off, s[0:3], 0 offset:20
	;; [unrolled: 1-line block ×4, first 2 shown]
	v_mov_b32_e32 v4, s28
	s_waitcnt vmcnt(0)
	flat_store_dwordx4 v[5:6], v[0:3]
	s_clause 0x3
	buffer_load_dword v0, v4, s[0:3], 0 offen
	buffer_load_dword v1, v4, s[0:3], 0 offen offset:4
	buffer_load_dword v2, v4, s[0:3], 0 offen offset:8
	buffer_load_dword v3, v4, s[0:3], 0 offen offset:12
	v_mov_b32_e32 v4, s27
	s_waitcnt vmcnt(0)
	flat_store_dwordx4 v[7:8], v[0:3]
	s_clause 0x3
	buffer_load_dword v0, v4, s[0:3], 0 offen
	buffer_load_dword v1, v4, s[0:3], 0 offen offset:4
	buffer_load_dword v2, v4, s[0:3], 0 offen offset:8
	buffer_load_dword v3, v4, s[0:3], 0 offen offset:12
	;; [unrolled: 8-line block ×17, first 2 shown]
	s_waitcnt vmcnt(0)
	flat_store_dwordx4 v[39:40], v[0:3]
	s_endpgm
	.section	.rodata,"a",@progbits
	.p2align	6, 0x0
	.amdhsa_kernel _ZN9rocsolver6v33100L18getri_kernel_smallILi18E19rocblas_complex_numIdEPKPS3_EEvT1_iilPiilS8_bb
		.amdhsa_group_segment_fixed_size 584
		.amdhsa_private_segment_fixed_size 320
		.amdhsa_kernarg_size 60
		.amdhsa_user_sgpr_count 6
		.amdhsa_user_sgpr_private_segment_buffer 1
		.amdhsa_user_sgpr_dispatch_ptr 0
		.amdhsa_user_sgpr_queue_ptr 0
		.amdhsa_user_sgpr_kernarg_segment_ptr 1
		.amdhsa_user_sgpr_dispatch_id 0
		.amdhsa_user_sgpr_flat_scratch_init 0
		.amdhsa_user_sgpr_private_segment_size 0
		.amdhsa_wavefront_size32 1
		.amdhsa_uses_dynamic_stack 0
		.amdhsa_system_sgpr_private_segment_wavefront_offset 1
		.amdhsa_system_sgpr_workgroup_id_x 1
		.amdhsa_system_sgpr_workgroup_id_y 0
		.amdhsa_system_sgpr_workgroup_id_z 0
		.amdhsa_system_sgpr_workgroup_info 0
		.amdhsa_system_vgpr_workitem_id 0
		.amdhsa_next_free_vgpr 122
		.amdhsa_next_free_sgpr 37
		.amdhsa_reserve_vcc 1
		.amdhsa_reserve_flat_scratch 0
		.amdhsa_float_round_mode_32 0
		.amdhsa_float_round_mode_16_64 0
		.amdhsa_float_denorm_mode_32 3
		.amdhsa_float_denorm_mode_16_64 3
		.amdhsa_dx10_clamp 1
		.amdhsa_ieee_mode 1
		.amdhsa_fp16_overflow 0
		.amdhsa_workgroup_processor_mode 1
		.amdhsa_memory_ordered 1
		.amdhsa_forward_progress 1
		.amdhsa_shared_vgpr_count 0
		.amdhsa_exception_fp_ieee_invalid_op 0
		.amdhsa_exception_fp_denorm_src 0
		.amdhsa_exception_fp_ieee_div_zero 0
		.amdhsa_exception_fp_ieee_overflow 0
		.amdhsa_exception_fp_ieee_underflow 0
		.amdhsa_exception_fp_ieee_inexact 0
		.amdhsa_exception_int_div_zero 0
	.end_amdhsa_kernel
	.section	.text._ZN9rocsolver6v33100L18getri_kernel_smallILi18E19rocblas_complex_numIdEPKPS3_EEvT1_iilPiilS8_bb,"axG",@progbits,_ZN9rocsolver6v33100L18getri_kernel_smallILi18E19rocblas_complex_numIdEPKPS3_EEvT1_iilPiilS8_bb,comdat
.Lfunc_end81:
	.size	_ZN9rocsolver6v33100L18getri_kernel_smallILi18E19rocblas_complex_numIdEPKPS3_EEvT1_iilPiilS8_bb, .Lfunc_end81-_ZN9rocsolver6v33100L18getri_kernel_smallILi18E19rocblas_complex_numIdEPKPS3_EEvT1_iilPiilS8_bb
                                        ; -- End function
	.set _ZN9rocsolver6v33100L18getri_kernel_smallILi18E19rocblas_complex_numIdEPKPS3_EEvT1_iilPiilS8_bb.num_vgpr, 122
	.set _ZN9rocsolver6v33100L18getri_kernel_smallILi18E19rocblas_complex_numIdEPKPS3_EEvT1_iilPiilS8_bb.num_agpr, 0
	.set _ZN9rocsolver6v33100L18getri_kernel_smallILi18E19rocblas_complex_numIdEPKPS3_EEvT1_iilPiilS8_bb.numbered_sgpr, 37
	.set _ZN9rocsolver6v33100L18getri_kernel_smallILi18E19rocblas_complex_numIdEPKPS3_EEvT1_iilPiilS8_bb.num_named_barrier, 0
	.set _ZN9rocsolver6v33100L18getri_kernel_smallILi18E19rocblas_complex_numIdEPKPS3_EEvT1_iilPiilS8_bb.private_seg_size, 320
	.set _ZN9rocsolver6v33100L18getri_kernel_smallILi18E19rocblas_complex_numIdEPKPS3_EEvT1_iilPiilS8_bb.uses_vcc, 1
	.set _ZN9rocsolver6v33100L18getri_kernel_smallILi18E19rocblas_complex_numIdEPKPS3_EEvT1_iilPiilS8_bb.uses_flat_scratch, 0
	.set _ZN9rocsolver6v33100L18getri_kernel_smallILi18E19rocblas_complex_numIdEPKPS3_EEvT1_iilPiilS8_bb.has_dyn_sized_stack, 0
	.set _ZN9rocsolver6v33100L18getri_kernel_smallILi18E19rocblas_complex_numIdEPKPS3_EEvT1_iilPiilS8_bb.has_recursion, 0
	.set _ZN9rocsolver6v33100L18getri_kernel_smallILi18E19rocblas_complex_numIdEPKPS3_EEvT1_iilPiilS8_bb.has_indirect_call, 0
	.section	.AMDGPU.csdata,"",@progbits
; Kernel info:
; codeLenInByte = 31844
; TotalNumSgprs: 39
; NumVgprs: 122
; ScratchSize: 320
; MemoryBound: 0
; FloatMode: 240
; IeeeMode: 1
; LDSByteSize: 584 bytes/workgroup (compile time only)
; SGPRBlocks: 0
; VGPRBlocks: 15
; NumSGPRsForWavesPerEU: 39
; NumVGPRsForWavesPerEU: 122
; Occupancy: 8
; WaveLimiterHint : 1
; COMPUTE_PGM_RSRC2:SCRATCH_EN: 1
; COMPUTE_PGM_RSRC2:USER_SGPR: 6
; COMPUTE_PGM_RSRC2:TRAP_HANDLER: 0
; COMPUTE_PGM_RSRC2:TGID_X_EN: 1
; COMPUTE_PGM_RSRC2:TGID_Y_EN: 0
; COMPUTE_PGM_RSRC2:TGID_Z_EN: 0
; COMPUTE_PGM_RSRC2:TIDIG_COMP_CNT: 0
	.section	.text._ZN9rocsolver6v33100L18getri_kernel_smallILi19E19rocblas_complex_numIdEPKPS3_EEvT1_iilPiilS8_bb,"axG",@progbits,_ZN9rocsolver6v33100L18getri_kernel_smallILi19E19rocblas_complex_numIdEPKPS3_EEvT1_iilPiilS8_bb,comdat
	.globl	_ZN9rocsolver6v33100L18getri_kernel_smallILi19E19rocblas_complex_numIdEPKPS3_EEvT1_iilPiilS8_bb ; -- Begin function _ZN9rocsolver6v33100L18getri_kernel_smallILi19E19rocblas_complex_numIdEPKPS3_EEvT1_iilPiilS8_bb
	.p2align	8
	.type	_ZN9rocsolver6v33100L18getri_kernel_smallILi19E19rocblas_complex_numIdEPKPS3_EEvT1_iilPiilS8_bb,@function
_ZN9rocsolver6v33100L18getri_kernel_smallILi19E19rocblas_complex_numIdEPKPS3_EEvT1_iilPiilS8_bb: ; @_ZN9rocsolver6v33100L18getri_kernel_smallILi19E19rocblas_complex_numIdEPKPS3_EEvT1_iilPiilS8_bb
; %bb.0:
	s_add_u32 s0, s0, s7
	s_addc_u32 s1, s1, 0
	s_mov_b32 s7, exec_lo
	v_cmpx_gt_u32_e32 19, v0
	s_cbranch_execz .LBB82_90
; %bb.1:
	s_clause 0x2
	s_load_dword s16, s[4:5], 0x38
	s_load_dwordx2 s[12:13], s[4:5], 0x0
	s_load_dwordx4 s[8:11], s[4:5], 0x28
	s_waitcnt lgkmcnt(0)
	s_bitcmp1_b32 s16, 8
	s_cselect_b32 s30, -1, 0
	s_ashr_i32 s7, s6, 31
	s_lshl_b64 s[14:15], s[6:7], 3
	s_add_u32 s12, s12, s14
	s_addc_u32 s13, s13, s15
	s_load_dwordx2 s[14:15], s[12:13], 0x0
	s_bfe_u32 s12, s16, 0x10008
	s_cmp_eq_u32 s12, 0
                                        ; implicit-def: $sgpr12_sgpr13
	s_cbranch_scc1 .LBB82_3
; %bb.2:
	s_clause 0x1
	s_load_dword s12, s[4:5], 0x20
	s_load_dwordx2 s[16:17], s[4:5], 0x18
	s_mul_i32 s13, s8, s7
	s_mul_hi_u32 s18, s8, s6
	s_mul_i32 s9, s9, s6
	s_add_i32 s13, s18, s13
	s_mul_i32 s8, s8, s6
	s_add_i32 s9, s13, s9
	s_lshl_b64 s[8:9], s[8:9], 2
	s_waitcnt lgkmcnt(0)
	s_ashr_i32 s13, s12, 31
	s_add_u32 s16, s16, s8
	s_addc_u32 s17, s17, s9
	s_lshl_b64 s[8:9], s[12:13], 2
	s_add_u32 s12, s16, s8
	s_addc_u32 s13, s17, s9
.LBB82_3:
	s_clause 0x1
	s_load_dwordx2 s[8:9], s[4:5], 0x8
	s_load_dword s4, s[4:5], 0x38
	v_lshlrev_b32_e32 v49, 4, v0
	s_movk_i32 s18, 0xb0
	s_movk_i32 s31, 0xc0
	;; [unrolled: 1-line block ×8, first 2 shown]
	s_mov_b32 s29, 32
	s_mov_b32 s28, 48
	;; [unrolled: 1-line block ×3, first 2 shown]
	s_movk_i32 s26, 0x50
	s_waitcnt lgkmcnt(0)
	s_ashr_i32 s17, s8, 31
	s_mov_b32 s16, s8
	v_add3_u32 v11, s9, s9, v0
	s_lshl_b64 s[16:17], s[16:17], 4
	s_add_u32 s5, s14, s16
	s_addc_u32 s8, s15, s17
	v_add_co_u32 v5, s14, s5, v49
	v_add_co_ci_u32_e64 v6, null, s8, 0, s14
	s_mov_b32 s14, s9
	s_ashr_i32 s15, s9, 31
	v_ashrrev_i32_e32 v12, 31, v11
	flat_load_dwordx4 v[1:4], v[5:6]
	s_lshl_b64 s[14:15], s[14:15], 4
	v_add_nc_u32_e32 v13, s9, v11
	v_add_co_u32 v7, vcc_lo, v5, s14
	v_add_co_ci_u32_e64 v8, null, s15, v6, vcc_lo
	v_lshlrev_b64 v[9:10], 4, v[11:12]
	v_ashrrev_i32_e32 v14, 31, v13
	v_add_nc_u32_e32 v15, s9, v13
	s_movk_i32 s14, 0x70
	s_movk_i32 s15, 0x80
	;; [unrolled: 1-line block ×3, first 2 shown]
	v_add_co_u32 v9, vcc_lo, s5, v9
	v_add_co_ci_u32_e64 v10, null, s8, v10, vcc_lo
	v_lshlrev_b64 v[11:12], 4, v[13:14]
	v_ashrrev_i32_e32 v16, 31, v15
	v_add_nc_u32_e32 v17, s9, v15
	s_movk_i32 s17, 0xa0
	s_add_i32 s23, s14, 16
	s_add_i32 s22, s15, 16
	v_add_co_u32 v11, vcc_lo, s5, v11
	v_add_co_ci_u32_e64 v12, null, s8, v12, vcc_lo
	v_lshlrev_b64 v[13:14], 4, v[15:16]
	v_ashrrev_i32_e32 v18, 31, v17
	v_add_nc_u32_e32 v19, s9, v17
	s_add_i32 s21, s16, 16
	s_add_i32 s20, s17, 16
	s_add_i32 s19, s18, 16
	v_add_co_u32 v13, vcc_lo, s5, v13
	v_add_co_ci_u32_e64 v14, null, s8, v14, vcc_lo
	v_lshlrev_b64 v[15:16], 4, v[17:18]
	v_ashrrev_i32_e32 v20, 31, v19
	v_add_nc_u32_e32 v21, s9, v19
	s_add_i32 s18, s31, 16
	;; [unrolled: 8-line block ×3, first 2 shown]
	s_add_i32 s14, s36, 16
	s_waitcnt vmcnt(0) lgkmcnt(0)
	buffer_store_dword v4, off, s[0:3], 0 offset:28
	buffer_store_dword v3, off, s[0:3], 0 offset:24
	buffer_store_dword v2, off, s[0:3], 0 offset:20
	buffer_store_dword v1, off, s[0:3], 0 offset:16
	flat_load_dwordx4 v[1:4], v[7:8]
	v_add_co_u32 v17, vcc_lo, s5, v17
	v_add_co_ci_u32_e64 v18, null, s8, v18, vcc_lo
	v_lshlrev_b64 v[19:20], 4, v[21:22]
	v_ashrrev_i32_e32 v24, 31, v23
	v_add_nc_u32_e32 v25, s9, v23
	s_waitcnt vmcnt(0) lgkmcnt(0)
	buffer_store_dword v4, off, s[0:3], 0 offset:44
	buffer_store_dword v3, off, s[0:3], 0 offset:40
	buffer_store_dword v2, off, s[0:3], 0 offset:36
	buffer_store_dword v1, off, s[0:3], 0 offset:32
	flat_load_dwordx4 v[1:4], v[9:10]
	v_add_co_u32 v19, vcc_lo, s5, v19
	v_add_co_ci_u32_e64 v20, null, s8, v20, vcc_lo
	v_lshlrev_b64 v[21:22], 4, v[23:24]
	v_ashrrev_i32_e32 v26, 31, v25
	v_add_nc_u32_e32 v27, s9, v25
	;; [unrolled: 11-line block ×9, first 2 shown]
	s_waitcnt vmcnt(0) lgkmcnt(0)
	buffer_store_dword v4, off, s[0:3], 0 offset:172
	buffer_store_dword v3, off, s[0:3], 0 offset:168
	;; [unrolled: 1-line block ×4, first 2 shown]
	flat_load_dwordx4 v[1:4], v[25:26]
	v_add_co_u32 v35, vcc_lo, s5, v35
	v_add_co_ci_u32_e64 v36, null, s8, v36, vcc_lo
	v_lshlrev_b64 v[37:38], 4, v[39:40]
	v_ashrrev_i32_e32 v42, 31, v41
	s_waitcnt vmcnt(0) lgkmcnt(0)
	buffer_store_dword v4, off, s[0:3], 0 offset:188
	buffer_store_dword v3, off, s[0:3], 0 offset:184
	;; [unrolled: 1-line block ×4, first 2 shown]
	flat_load_dwordx4 v[1:4], v[27:28]
	v_add_co_u32 v37, vcc_lo, s5, v37
	v_add_co_ci_u32_e64 v38, null, s8, v38, vcc_lo
	v_lshlrev_b64 v[39:40], 4, v[41:42]
	v_add_nc_u32_e32 v41, s9, v41
	s_movk_i32 s9, 0x60
	s_waitcnt vmcnt(0) lgkmcnt(0)
	buffer_store_dword v4, off, s[0:3], 0 offset:204
	buffer_store_dword v3, off, s[0:3], 0 offset:200
	buffer_store_dword v2, off, s[0:3], 0 offset:196
	buffer_store_dword v1, off, s[0:3], 0 offset:192
	flat_load_dwordx4 v[1:4], v[29:30]
	v_add_co_u32 v39, vcc_lo, s5, v39
	v_add_co_ci_u32_e64 v40, null, s8, v40, vcc_lo
	v_ashrrev_i32_e32 v42, 31, v41
	s_add_i32 s24, s9, 16
	s_add_i32 s9, s37, 16
	s_waitcnt vmcnt(0) lgkmcnt(0)
	buffer_store_dword v4, off, s[0:3], 0 offset:220
	buffer_store_dword v3, off, s[0:3], 0 offset:216
	;; [unrolled: 1-line block ×4, first 2 shown]
	flat_load_dwordx4 v[1:4], v[31:32]
	v_lshlrev_b64 v[41:42], 4, v[41:42]
	s_waitcnt vmcnt(0) lgkmcnt(0)
	buffer_store_dword v4, off, s[0:3], 0 offset:236
	buffer_store_dword v3, off, s[0:3], 0 offset:232
	;; [unrolled: 1-line block ×4, first 2 shown]
	flat_load_dwordx4 v[1:4], v[33:34]
	v_add_co_u32 v41, vcc_lo, s5, v41
	v_add_co_ci_u32_e64 v42, null, s8, v42, vcc_lo
	s_movk_i32 s8, 0x50
	s_mov_b32 s5, -1
	s_add_i32 s25, s8, 16
	s_add_i32 s8, s38, 16
	s_bitcmp0_b32 s4, 0
	s_waitcnt vmcnt(0) lgkmcnt(0)
	buffer_store_dword v4, off, s[0:3], 0 offset:252
	buffer_store_dword v3, off, s[0:3], 0 offset:248
	buffer_store_dword v2, off, s[0:3], 0 offset:244
	buffer_store_dword v1, off, s[0:3], 0 offset:240
	flat_load_dwordx4 v[1:4], v[35:36]
	s_waitcnt vmcnt(0) lgkmcnt(0)
	buffer_store_dword v4, off, s[0:3], 0 offset:268
	buffer_store_dword v3, off, s[0:3], 0 offset:264
	buffer_store_dword v2, off, s[0:3], 0 offset:260
	buffer_store_dword v1, off, s[0:3], 0 offset:256
	flat_load_dwordx4 v[1:4], v[37:38]
	s_waitcnt vmcnt(0) lgkmcnt(0)
	buffer_store_dword v4, off, s[0:3], 0 offset:284
	buffer_store_dword v3, off, s[0:3], 0 offset:280
	buffer_store_dword v2, off, s[0:3], 0 offset:276
	buffer_store_dword v1, off, s[0:3], 0 offset:272
	flat_load_dwordx4 v[1:4], v[39:40]
	s_waitcnt vmcnt(0) lgkmcnt(0)
	buffer_store_dword v4, off, s[0:3], 0 offset:300
	buffer_store_dword v3, off, s[0:3], 0 offset:296
	buffer_store_dword v2, off, s[0:3], 0 offset:292
	buffer_store_dword v1, off, s[0:3], 0 offset:288
	flat_load_dwordx4 v[1:4], v[41:42]
	s_waitcnt vmcnt(0) lgkmcnt(0)
	buffer_store_dword v4, off, s[0:3], 0 offset:316
	buffer_store_dword v3, off, s[0:3], 0 offset:312
	;; [unrolled: 1-line block ×4, first 2 shown]
	s_cbranch_scc1 .LBB82_88
; %bb.4:
	v_cmp_eq_u32_e64 s4, 0, v0
	s_and_saveexec_b32 s5, s4
; %bb.5:
	v_mov_b32_e32 v1, 0
	ds_write_b32 v1, v1 offset:608
; %bb.6:
	s_or_b32 exec_lo, exec_lo, s5
	v_lshl_add_u32 v50, v0, 4, 16
	s_waitcnt lgkmcnt(0)
	s_waitcnt_vscnt null, 0x0
	s_barrier
	buffer_gl0_inv
	s_clause 0x3
	buffer_load_dword v1, v50, s[0:3], 0 offen
	buffer_load_dword v2, v50, s[0:3], 0 offen offset:4
	buffer_load_dword v3, v50, s[0:3], 0 offen offset:8
	;; [unrolled: 1-line block ×3, first 2 shown]
	s_waitcnt vmcnt(2)
	v_cmp_eq_f64_e32 vcc_lo, 0, v[1:2]
	s_waitcnt vmcnt(0)
	v_cmp_eq_f64_e64 s5, 0, v[3:4]
	s_and_b32 s5, vcc_lo, s5
	s_and_saveexec_b32 s31, s5
	s_cbranch_execz .LBB82_10
; %bb.7:
	v_mov_b32_e32 v1, 0
	s_mov_b32 s33, 0
	ds_read_b32 v2, v1 offset:608
	s_waitcnt lgkmcnt(0)
	v_readfirstlane_b32 s5, v2
	v_add_nc_u32_e32 v2, 1, v0
	s_cmp_eq_u32 s5, 0
	v_cmp_gt_i32_e32 vcc_lo, s5, v2
	s_cselect_b32 s34, -1, 0
	s_or_b32 s34, s34, vcc_lo
	s_and_b32 exec_lo, exec_lo, s34
	s_cbranch_execz .LBB82_10
; %bb.8:
	v_mov_b32_e32 v3, s5
.LBB82_9:                               ; =>This Inner Loop Header: Depth=1
	ds_cmpst_rtn_b32 v3, v1, v3, v2 offset:608
	s_waitcnt lgkmcnt(0)
	v_cmp_ne_u32_e32 vcc_lo, 0, v3
	v_cmp_le_i32_e64 s5, v3, v2
	s_and_b32 s5, vcc_lo, s5
	s_and_b32 s5, exec_lo, s5
	s_or_b32 s33, s5, s33
	s_andn2_b32 exec_lo, exec_lo, s33
	s_cbranch_execnz .LBB82_9
.LBB82_10:
	s_or_b32 exec_lo, exec_lo, s31
	v_mov_b32_e32 v1, 0
	s_barrier
	buffer_gl0_inv
	ds_read_b32 v2, v1 offset:608
	s_and_saveexec_b32 s5, s4
	s_cbranch_execz .LBB82_12
; %bb.11:
	s_lshl_b64 s[34:35], s[6:7], 2
	s_add_u32 s34, s10, s34
	s_addc_u32 s35, s11, s35
	s_waitcnt lgkmcnt(0)
	global_store_dword v1, v2, s[34:35]
.LBB82_12:
	s_or_b32 exec_lo, exec_lo, s5
	s_waitcnt lgkmcnt(0)
	v_cmp_ne_u32_e32 vcc_lo, 0, v2
	s_mov_b32 s5, 0
	s_cbranch_vccnz .LBB82_88
; %bb.13:
	s_clause 0x3
	buffer_load_dword v45, v50, s[0:3], 0 offen
	buffer_load_dword v46, v50, s[0:3], 0 offen offset:4
	buffer_load_dword v47, v50, s[0:3], 0 offen offset:8
	;; [unrolled: 1-line block ×3, first 2 shown]
                                        ; implicit-def: $vgpr43_vgpr44
                                        ; implicit-def: $vgpr3_vgpr4
	s_waitcnt vmcnt(0)
	v_cmp_ngt_f64_e64 s5, |v[45:46]|, |v[47:48]|
	s_and_saveexec_b32 s31, s5
	s_xor_b32 s5, exec_lo, s31
	s_cbranch_execz .LBB82_15
; %bb.14:
	v_div_scale_f64 v[1:2], null, v[47:48], v[47:48], v[45:46]
	v_div_scale_f64 v[51:52], vcc_lo, v[45:46], v[47:48], v[45:46]
	v_rcp_f64_e32 v[3:4], v[1:2]
	v_fma_f64 v[43:44], -v[1:2], v[3:4], 1.0
	v_fma_f64 v[3:4], v[3:4], v[43:44], v[3:4]
	v_fma_f64 v[43:44], -v[1:2], v[3:4], 1.0
	v_fma_f64 v[3:4], v[3:4], v[43:44], v[3:4]
	v_mul_f64 v[43:44], v[51:52], v[3:4]
	v_fma_f64 v[1:2], -v[1:2], v[43:44], v[51:52]
	v_div_fmas_f64 v[1:2], v[1:2], v[3:4], v[43:44]
	v_div_fixup_f64 v[1:2], v[1:2], v[47:48], v[45:46]
	v_fma_f64 v[3:4], v[45:46], v[1:2], v[47:48]
	v_div_scale_f64 v[43:44], null, v[3:4], v[3:4], 1.0
	v_div_scale_f64 v[51:52], vcc_lo, 1.0, v[3:4], 1.0
	v_rcp_f64_e32 v[45:46], v[43:44]
	v_fma_f64 v[47:48], -v[43:44], v[45:46], 1.0
	v_fma_f64 v[45:46], v[45:46], v[47:48], v[45:46]
	v_fma_f64 v[47:48], -v[43:44], v[45:46], 1.0
	v_fma_f64 v[45:46], v[45:46], v[47:48], v[45:46]
	v_mul_f64 v[47:48], v[51:52], v[45:46]
	v_fma_f64 v[43:44], -v[43:44], v[47:48], v[51:52]
	v_div_fmas_f64 v[43:44], v[43:44], v[45:46], v[47:48]
                                        ; implicit-def: $vgpr45_vgpr46
                                        ; implicit-def: $vgpr47_vgpr48
	v_div_fixup_f64 v[3:4], v[43:44], v[3:4], 1.0
	v_mul_f64 v[43:44], v[1:2], v[3:4]
	v_xor_b32_e32 v4, 0x80000000, v4
	v_xor_b32_e32 v2, 0x80000000, v44
	v_mov_b32_e32 v1, v43
.LBB82_15:
	s_andn2_saveexec_b32 s5, s5
	s_cbranch_execz .LBB82_17
; %bb.16:
	v_div_scale_f64 v[1:2], null, v[45:46], v[45:46], v[47:48]
	v_div_scale_f64 v[51:52], vcc_lo, v[47:48], v[45:46], v[47:48]
	v_rcp_f64_e32 v[3:4], v[1:2]
	v_fma_f64 v[43:44], -v[1:2], v[3:4], 1.0
	v_fma_f64 v[3:4], v[3:4], v[43:44], v[3:4]
	v_fma_f64 v[43:44], -v[1:2], v[3:4], 1.0
	v_fma_f64 v[3:4], v[3:4], v[43:44], v[3:4]
	v_mul_f64 v[43:44], v[51:52], v[3:4]
	v_fma_f64 v[1:2], -v[1:2], v[43:44], v[51:52]
	v_div_fmas_f64 v[1:2], v[1:2], v[3:4], v[43:44]
	v_div_fixup_f64 v[1:2], v[1:2], v[45:46], v[47:48]
	v_fma_f64 v[3:4], v[47:48], v[1:2], v[45:46]
	v_div_scale_f64 v[43:44], null, v[3:4], v[3:4], 1.0
	v_rcp_f64_e32 v[45:46], v[43:44]
	v_fma_f64 v[47:48], -v[43:44], v[45:46], 1.0
	v_fma_f64 v[45:46], v[45:46], v[47:48], v[45:46]
	v_fma_f64 v[47:48], -v[43:44], v[45:46], 1.0
	v_fma_f64 v[45:46], v[45:46], v[47:48], v[45:46]
	v_div_scale_f64 v[47:48], vcc_lo, 1.0, v[3:4], 1.0
	v_mul_f64 v[51:52], v[47:48], v[45:46]
	v_fma_f64 v[43:44], -v[43:44], v[51:52], v[47:48]
	v_div_fmas_f64 v[43:44], v[43:44], v[45:46], v[51:52]
	v_div_fixup_f64 v[43:44], v[43:44], v[3:4], 1.0
	v_mul_f64 v[3:4], v[1:2], -v[43:44]
	v_xor_b32_e32 v2, 0x80000000, v44
	v_mov_b32_e32 v1, v43
.LBB82_17:
	s_or_b32 exec_lo, exec_lo, s5
	v_mov_b32_e32 v48, s29
	buffer_store_dword v44, v50, s[0:3], 0 offen offset:4
	buffer_store_dword v43, v50, s[0:3], 0 offen
	buffer_store_dword v4, v50, s[0:3], 0 offen offset:12
	buffer_store_dword v3, v50, s[0:3], 0 offen offset:8
	v_xor_b32_e32 v4, 0x80000000, v4
	v_add_nc_u32_e32 v43, 0x130, v49
	s_clause 0x3
	buffer_load_dword v47, v48, s[0:3], 0 offen offset:12
	buffer_load_dword v46, v48, s[0:3], 0 offen offset:8
	;; [unrolled: 1-line block ×3, first 2 shown]
	buffer_load_dword v44, v48, s[0:3], 0 offen
	ds_write_b128 v49, v[1:4]
	s_waitcnt vmcnt(0)
	ds_write_b128 v49, v[44:47] offset:304
	s_waitcnt lgkmcnt(0)
	s_waitcnt_vscnt null, 0x0
	s_barrier
	buffer_gl0_inv
	s_and_saveexec_b32 s5, s4
	s_cbranch_execz .LBB82_19
; %bb.18:
	s_clause 0x3
	buffer_load_dword v51, v50, s[0:3], 0 offen offset:8
	buffer_load_dword v52, v50, s[0:3], 0 offen offset:12
	buffer_load_dword v53, v50, s[0:3], 0 offen
	buffer_load_dword v54, v50, s[0:3], 0 offen offset:4
	ds_read_b128 v[1:4], v43
	v_mov_b32_e32 v44, 0
	ds_read_b128 v[44:47], v44 offset:16
	s_waitcnt vmcnt(2) lgkmcnt(1)
	v_mul_f64 v[55:56], v[1:2], v[51:52]
	v_mul_f64 v[51:52], v[3:4], v[51:52]
	s_waitcnt vmcnt(0)
	v_fma_f64 v[3:4], v[3:4], v[53:54], v[55:56]
	v_fma_f64 v[1:2], v[1:2], v[53:54], -v[51:52]
	v_add_f64 v[3:4], v[3:4], 0
	v_add_f64 v[1:2], v[1:2], 0
	s_waitcnt lgkmcnt(0)
	v_mul_f64 v[51:52], v[3:4], v[46:47]
	v_mul_f64 v[46:47], v[1:2], v[46:47]
	v_fma_f64 v[1:2], v[1:2], v[44:45], -v[51:52]
	v_fma_f64 v[3:4], v[3:4], v[44:45], v[46:47]
	buffer_store_dword v1, off, s[0:3], 0 offset:32
	buffer_store_dword v2, off, s[0:3], 0 offset:36
	buffer_store_dword v3, off, s[0:3], 0 offset:40
	buffer_store_dword v4, off, s[0:3], 0 offset:44
.LBB82_19:
	s_or_b32 exec_lo, exec_lo, s5
	v_mov_b32_e32 v4, s28
	s_waitcnt_vscnt null, 0x0
	s_barrier
	buffer_gl0_inv
	s_mov_b32 s5, exec_lo
	s_clause 0x3
	buffer_load_dword v1, v4, s[0:3], 0 offen
	buffer_load_dword v2, v4, s[0:3], 0 offen offset:4
	buffer_load_dword v3, v4, s[0:3], 0 offen offset:8
	buffer_load_dword v4, v4, s[0:3], 0 offen offset:12
	s_waitcnt vmcnt(0)
	ds_write_b128 v43, v[1:4]
	s_waitcnt lgkmcnt(0)
	s_barrier
	buffer_gl0_inv
	v_cmpx_gt_u32_e32 2, v0
	s_cbranch_execz .LBB82_23
; %bb.20:
	s_clause 0x3
	buffer_load_dword v44, v50, s[0:3], 0 offen offset:8
	buffer_load_dword v45, v50, s[0:3], 0 offen offset:12
	buffer_load_dword v46, v50, s[0:3], 0 offen
	buffer_load_dword v47, v50, s[0:3], 0 offen offset:4
	ds_read_b128 v[1:4], v43
	s_waitcnt vmcnt(2) lgkmcnt(0)
	v_mul_f64 v[50:51], v[3:4], v[44:45]
	v_mul_f64 v[44:45], v[1:2], v[44:45]
	s_waitcnt vmcnt(0)
	v_fma_f64 v[1:2], v[1:2], v[46:47], -v[50:51]
	v_fma_f64 v[3:4], v[3:4], v[46:47], v[44:45]
	v_add_f64 v[1:2], v[1:2], 0
	v_add_f64 v[3:4], v[3:4], 0
	s_and_saveexec_b32 s31, s4
	s_cbranch_execz .LBB82_22
; %bb.21:
	s_clause 0x3
	buffer_load_dword v50, off, s[0:3], 0 offset:40
	buffer_load_dword v51, off, s[0:3], 0 offset:44
	;; [unrolled: 1-line block ×4, first 2 shown]
	v_mov_b32_e32 v44, 0
	ds_read_b128 v[44:47], v44 offset:320
	s_waitcnt vmcnt(2) lgkmcnt(0)
	v_mul_f64 v[54:55], v[44:45], v[50:51]
	v_mul_f64 v[50:51], v[46:47], v[50:51]
	s_waitcnt vmcnt(0)
	v_fma_f64 v[46:47], v[46:47], v[52:53], v[54:55]
	v_fma_f64 v[44:45], v[44:45], v[52:53], -v[50:51]
	v_add_f64 v[3:4], v[3:4], v[46:47]
	v_add_f64 v[1:2], v[1:2], v[44:45]
.LBB82_22:
	s_or_b32 exec_lo, exec_lo, s31
	v_mov_b32_e32 v44, 0
	ds_read_b128 v[44:47], v44 offset:32
	s_waitcnt lgkmcnt(0)
	v_mul_f64 v[50:51], v[3:4], v[46:47]
	v_mul_f64 v[46:47], v[1:2], v[46:47]
	v_fma_f64 v[1:2], v[1:2], v[44:45], -v[50:51]
	v_fma_f64 v[3:4], v[3:4], v[44:45], v[46:47]
	buffer_store_dword v2, off, s[0:3], 0 offset:52
	buffer_store_dword v1, off, s[0:3], 0 offset:48
	;; [unrolled: 1-line block ×4, first 2 shown]
.LBB82_23:
	s_or_b32 exec_lo, exec_lo, s5
	v_mov_b32_e32 v4, s27
	s_waitcnt_vscnt null, 0x0
	s_barrier
	buffer_gl0_inv
	v_add_nc_u32_e32 v44, -1, v0
	s_clause 0x3
	buffer_load_dword v1, v4, s[0:3], 0 offen
	buffer_load_dword v2, v4, s[0:3], 0 offen offset:4
	buffer_load_dword v3, v4, s[0:3], 0 offen offset:8
	;; [unrolled: 1-line block ×3, first 2 shown]
	s_mov_b32 s4, exec_lo
	s_waitcnt vmcnt(0)
	ds_write_b128 v43, v[1:4]
	s_waitcnt lgkmcnt(0)
	s_barrier
	buffer_gl0_inv
	v_cmpx_gt_u32_e32 3, v0
	s_cbranch_execz .LBB82_27
; %bb.24:
	v_mov_b32_e32 v1, 0
	v_mov_b32_e32 v3, 0
	v_add_nc_u32_e32 v45, -1, v0
	v_add_nc_u32_e32 v46, 0x130, v49
	v_mov_b32_e32 v2, 0
	v_mov_b32_e32 v4, 0
	v_add_nc_u32_e32 v47, 16, v49
	s_mov_b32 s5, 0
	.p2align	6
.LBB82_25:                              ; =>This Inner Loop Header: Depth=1
	s_clause 0x3
	buffer_load_dword v54, v47, s[0:3], 0 offen offset:8
	buffer_load_dword v55, v47, s[0:3], 0 offen offset:12
	buffer_load_dword v56, v47, s[0:3], 0 offen
	buffer_load_dword v57, v47, s[0:3], 0 offen offset:4
	ds_read_b128 v[50:53], v46
	v_add_nc_u32_e32 v45, 1, v45
	v_add_nc_u32_e32 v46, 16, v46
	;; [unrolled: 1-line block ×3, first 2 shown]
	v_cmp_lt_u32_e32 vcc_lo, 1, v45
	s_or_b32 s5, vcc_lo, s5
	s_waitcnt vmcnt(2) lgkmcnt(0)
	v_mul_f64 v[58:59], v[52:53], v[54:55]
	v_mul_f64 v[54:55], v[50:51], v[54:55]
	s_waitcnt vmcnt(0)
	v_fma_f64 v[50:51], v[50:51], v[56:57], -v[58:59]
	v_fma_f64 v[52:53], v[52:53], v[56:57], v[54:55]
	v_add_f64 v[3:4], v[3:4], v[50:51]
	v_add_f64 v[1:2], v[1:2], v[52:53]
	s_andn2_b32 exec_lo, exec_lo, s5
	s_cbranch_execnz .LBB82_25
; %bb.26:
	s_or_b32 exec_lo, exec_lo, s5
	v_mov_b32_e32 v45, 0
	ds_read_b128 v[45:48], v45 offset:48
	s_waitcnt lgkmcnt(0)
	v_mul_f64 v[50:51], v[1:2], v[47:48]
	v_mul_f64 v[47:48], v[3:4], v[47:48]
	v_fma_f64 v[3:4], v[3:4], v[45:46], -v[50:51]
	v_fma_f64 v[1:2], v[1:2], v[45:46], v[47:48]
	buffer_store_dword v4, off, s[0:3], 0 offset:68
	buffer_store_dword v3, off, s[0:3], 0 offset:64
	buffer_store_dword v2, off, s[0:3], 0 offset:76
	buffer_store_dword v1, off, s[0:3], 0 offset:72
.LBB82_27:
	s_or_b32 exec_lo, exec_lo, s4
	v_mov_b32_e32 v4, s26
	s_waitcnt_vscnt null, 0x0
	s_barrier
	buffer_gl0_inv
	s_mov_b32 s4, exec_lo
	s_clause 0x3
	buffer_load_dword v1, v4, s[0:3], 0 offen
	buffer_load_dword v2, v4, s[0:3], 0 offen offset:4
	buffer_load_dword v3, v4, s[0:3], 0 offen offset:8
	;; [unrolled: 1-line block ×3, first 2 shown]
	s_waitcnt vmcnt(0)
	ds_write_b128 v43, v[1:4]
	s_waitcnt lgkmcnt(0)
	s_barrier
	buffer_gl0_inv
	v_cmpx_gt_u32_e32 4, v0
	s_cbranch_execz .LBB82_31
; %bb.28:
	v_mov_b32_e32 v1, 0
	v_mov_b32_e32 v3, 0
	v_add_nc_u32_e32 v45, -1, v0
	v_add_nc_u32_e32 v46, 0x130, v49
	v_mov_b32_e32 v2, 0
	v_mov_b32_e32 v4, 0
	v_add_nc_u32_e32 v47, 16, v49
	s_mov_b32 s5, 0
	.p2align	6
.LBB82_29:                              ; =>This Inner Loop Header: Depth=1
	s_clause 0x3
	buffer_load_dword v54, v47, s[0:3], 0 offen offset:8
	buffer_load_dword v55, v47, s[0:3], 0 offen offset:12
	buffer_load_dword v56, v47, s[0:3], 0 offen
	buffer_load_dword v57, v47, s[0:3], 0 offen offset:4
	ds_read_b128 v[50:53], v46
	v_add_nc_u32_e32 v45, 1, v45
	v_add_nc_u32_e32 v46, 16, v46
	;; [unrolled: 1-line block ×3, first 2 shown]
	v_cmp_lt_u32_e32 vcc_lo, 2, v45
	s_or_b32 s5, vcc_lo, s5
	s_waitcnt vmcnt(2) lgkmcnt(0)
	v_mul_f64 v[58:59], v[52:53], v[54:55]
	v_mul_f64 v[54:55], v[50:51], v[54:55]
	s_waitcnt vmcnt(0)
	v_fma_f64 v[50:51], v[50:51], v[56:57], -v[58:59]
	v_fma_f64 v[52:53], v[52:53], v[56:57], v[54:55]
	v_add_f64 v[3:4], v[3:4], v[50:51]
	v_add_f64 v[1:2], v[1:2], v[52:53]
	s_andn2_b32 exec_lo, exec_lo, s5
	s_cbranch_execnz .LBB82_29
; %bb.30:
	s_or_b32 exec_lo, exec_lo, s5
	v_mov_b32_e32 v45, 0
	ds_read_b128 v[45:48], v45 offset:64
	s_waitcnt lgkmcnt(0)
	v_mul_f64 v[50:51], v[1:2], v[47:48]
	v_mul_f64 v[47:48], v[3:4], v[47:48]
	v_fma_f64 v[3:4], v[3:4], v[45:46], -v[50:51]
	v_fma_f64 v[1:2], v[1:2], v[45:46], v[47:48]
	buffer_store_dword v4, off, s[0:3], 0 offset:84
	buffer_store_dword v3, off, s[0:3], 0 offset:80
	;; [unrolled: 1-line block ×4, first 2 shown]
.LBB82_31:
	s_or_b32 exec_lo, exec_lo, s4
	v_mov_b32_e32 v4, s25
	s_waitcnt_vscnt null, 0x0
	s_barrier
	buffer_gl0_inv
	s_mov_b32 s4, exec_lo
	s_clause 0x3
	buffer_load_dword v1, v4, s[0:3], 0 offen
	buffer_load_dword v2, v4, s[0:3], 0 offen offset:4
	buffer_load_dword v3, v4, s[0:3], 0 offen offset:8
	;; [unrolled: 1-line block ×3, first 2 shown]
	s_waitcnt vmcnt(0)
	ds_write_b128 v43, v[1:4]
	s_waitcnt lgkmcnt(0)
	s_barrier
	buffer_gl0_inv
	v_cmpx_gt_u32_e32 5, v0
	s_cbranch_execz .LBB82_35
; %bb.32:
	v_mov_b32_e32 v1, 0
	v_mov_b32_e32 v3, 0
	v_add_nc_u32_e32 v45, -1, v0
	v_add_nc_u32_e32 v46, 0x130, v49
	v_mov_b32_e32 v2, 0
	v_mov_b32_e32 v4, 0
	v_add_nc_u32_e32 v47, 16, v49
	s_mov_b32 s5, 0
	.p2align	6
.LBB82_33:                              ; =>This Inner Loop Header: Depth=1
	s_clause 0x3
	buffer_load_dword v54, v47, s[0:3], 0 offen offset:8
	buffer_load_dword v55, v47, s[0:3], 0 offen offset:12
	buffer_load_dword v56, v47, s[0:3], 0 offen
	buffer_load_dword v57, v47, s[0:3], 0 offen offset:4
	ds_read_b128 v[50:53], v46
	v_add_nc_u32_e32 v45, 1, v45
	v_add_nc_u32_e32 v46, 16, v46
	;; [unrolled: 1-line block ×3, first 2 shown]
	v_cmp_lt_u32_e32 vcc_lo, 3, v45
	s_or_b32 s5, vcc_lo, s5
	s_waitcnt vmcnt(2) lgkmcnt(0)
	v_mul_f64 v[58:59], v[52:53], v[54:55]
	v_mul_f64 v[54:55], v[50:51], v[54:55]
	s_waitcnt vmcnt(0)
	v_fma_f64 v[50:51], v[50:51], v[56:57], -v[58:59]
	v_fma_f64 v[52:53], v[52:53], v[56:57], v[54:55]
	v_add_f64 v[3:4], v[3:4], v[50:51]
	v_add_f64 v[1:2], v[1:2], v[52:53]
	s_andn2_b32 exec_lo, exec_lo, s5
	s_cbranch_execnz .LBB82_33
; %bb.34:
	s_or_b32 exec_lo, exec_lo, s5
	v_mov_b32_e32 v45, 0
	ds_read_b128 v[45:48], v45 offset:80
	s_waitcnt lgkmcnt(0)
	v_mul_f64 v[50:51], v[1:2], v[47:48]
	v_mul_f64 v[47:48], v[3:4], v[47:48]
	v_fma_f64 v[3:4], v[3:4], v[45:46], -v[50:51]
	v_fma_f64 v[1:2], v[1:2], v[45:46], v[47:48]
	buffer_store_dword v4, off, s[0:3], 0 offset:100
	buffer_store_dword v3, off, s[0:3], 0 offset:96
	;; [unrolled: 1-line block ×4, first 2 shown]
.LBB82_35:
	s_or_b32 exec_lo, exec_lo, s4
	v_mov_b32_e32 v4, s24
	s_waitcnt_vscnt null, 0x0
	s_barrier
	buffer_gl0_inv
	s_mov_b32 s4, exec_lo
	s_clause 0x3
	buffer_load_dword v1, v4, s[0:3], 0 offen
	buffer_load_dword v2, v4, s[0:3], 0 offen offset:4
	buffer_load_dword v3, v4, s[0:3], 0 offen offset:8
	;; [unrolled: 1-line block ×3, first 2 shown]
	s_waitcnt vmcnt(0)
	ds_write_b128 v43, v[1:4]
	s_waitcnt lgkmcnt(0)
	s_barrier
	buffer_gl0_inv
	v_cmpx_gt_u32_e32 6, v0
	s_cbranch_execz .LBB82_39
; %bb.36:
	v_mov_b32_e32 v1, 0
	v_mov_b32_e32 v3, 0
	v_add_nc_u32_e32 v45, -1, v0
	v_add_nc_u32_e32 v46, 0x130, v49
	v_mov_b32_e32 v2, 0
	v_mov_b32_e32 v4, 0
	v_add_nc_u32_e32 v47, 16, v49
	s_mov_b32 s5, 0
	.p2align	6
.LBB82_37:                              ; =>This Inner Loop Header: Depth=1
	s_clause 0x3
	buffer_load_dword v54, v47, s[0:3], 0 offen offset:8
	buffer_load_dword v55, v47, s[0:3], 0 offen offset:12
	buffer_load_dword v56, v47, s[0:3], 0 offen
	buffer_load_dword v57, v47, s[0:3], 0 offen offset:4
	ds_read_b128 v[50:53], v46
	v_add_nc_u32_e32 v45, 1, v45
	v_add_nc_u32_e32 v46, 16, v46
	;; [unrolled: 1-line block ×3, first 2 shown]
	v_cmp_lt_u32_e32 vcc_lo, 4, v45
	s_or_b32 s5, vcc_lo, s5
	s_waitcnt vmcnt(2) lgkmcnt(0)
	v_mul_f64 v[58:59], v[52:53], v[54:55]
	v_mul_f64 v[54:55], v[50:51], v[54:55]
	s_waitcnt vmcnt(0)
	v_fma_f64 v[50:51], v[50:51], v[56:57], -v[58:59]
	v_fma_f64 v[52:53], v[52:53], v[56:57], v[54:55]
	v_add_f64 v[3:4], v[3:4], v[50:51]
	v_add_f64 v[1:2], v[1:2], v[52:53]
	s_andn2_b32 exec_lo, exec_lo, s5
	s_cbranch_execnz .LBB82_37
; %bb.38:
	s_or_b32 exec_lo, exec_lo, s5
	v_mov_b32_e32 v45, 0
	ds_read_b128 v[45:48], v45 offset:96
	s_waitcnt lgkmcnt(0)
	v_mul_f64 v[50:51], v[1:2], v[47:48]
	v_mul_f64 v[47:48], v[3:4], v[47:48]
	v_fma_f64 v[3:4], v[3:4], v[45:46], -v[50:51]
	v_fma_f64 v[1:2], v[1:2], v[45:46], v[47:48]
	buffer_store_dword v4, off, s[0:3], 0 offset:116
	buffer_store_dword v3, off, s[0:3], 0 offset:112
	;; [unrolled: 1-line block ×4, first 2 shown]
.LBB82_39:
	s_or_b32 exec_lo, exec_lo, s4
	v_mov_b32_e32 v4, s23
	s_waitcnt_vscnt null, 0x0
	s_barrier
	buffer_gl0_inv
	s_mov_b32 s4, exec_lo
	s_clause 0x3
	buffer_load_dword v1, v4, s[0:3], 0 offen
	buffer_load_dword v2, v4, s[0:3], 0 offen offset:4
	buffer_load_dword v3, v4, s[0:3], 0 offen offset:8
	;; [unrolled: 1-line block ×3, first 2 shown]
	s_waitcnt vmcnt(0)
	ds_write_b128 v43, v[1:4]
	s_waitcnt lgkmcnt(0)
	s_barrier
	buffer_gl0_inv
	v_cmpx_gt_u32_e32 7, v0
	s_cbranch_execz .LBB82_43
; %bb.40:
	v_mov_b32_e32 v1, 0
	v_mov_b32_e32 v3, 0
	v_add_nc_u32_e32 v45, -1, v0
	v_add_nc_u32_e32 v46, 0x130, v49
	v_mov_b32_e32 v2, 0
	v_mov_b32_e32 v4, 0
	v_add_nc_u32_e32 v47, 16, v49
	s_mov_b32 s5, 0
	.p2align	6
.LBB82_41:                              ; =>This Inner Loop Header: Depth=1
	s_clause 0x3
	buffer_load_dword v54, v47, s[0:3], 0 offen offset:8
	buffer_load_dword v55, v47, s[0:3], 0 offen offset:12
	buffer_load_dword v56, v47, s[0:3], 0 offen
	buffer_load_dword v57, v47, s[0:3], 0 offen offset:4
	ds_read_b128 v[50:53], v46
	v_add_nc_u32_e32 v45, 1, v45
	v_add_nc_u32_e32 v46, 16, v46
	;; [unrolled: 1-line block ×3, first 2 shown]
	v_cmp_lt_u32_e32 vcc_lo, 5, v45
	s_or_b32 s5, vcc_lo, s5
	s_waitcnt vmcnt(2) lgkmcnt(0)
	v_mul_f64 v[58:59], v[52:53], v[54:55]
	v_mul_f64 v[54:55], v[50:51], v[54:55]
	s_waitcnt vmcnt(0)
	v_fma_f64 v[50:51], v[50:51], v[56:57], -v[58:59]
	v_fma_f64 v[52:53], v[52:53], v[56:57], v[54:55]
	v_add_f64 v[3:4], v[3:4], v[50:51]
	v_add_f64 v[1:2], v[1:2], v[52:53]
	s_andn2_b32 exec_lo, exec_lo, s5
	s_cbranch_execnz .LBB82_41
; %bb.42:
	s_or_b32 exec_lo, exec_lo, s5
	v_mov_b32_e32 v45, 0
	ds_read_b128 v[45:48], v45 offset:112
	s_waitcnt lgkmcnt(0)
	v_mul_f64 v[50:51], v[1:2], v[47:48]
	v_mul_f64 v[47:48], v[3:4], v[47:48]
	v_fma_f64 v[3:4], v[3:4], v[45:46], -v[50:51]
	v_fma_f64 v[1:2], v[1:2], v[45:46], v[47:48]
	buffer_store_dword v4, off, s[0:3], 0 offset:132
	buffer_store_dword v3, off, s[0:3], 0 offset:128
	;; [unrolled: 1-line block ×4, first 2 shown]
.LBB82_43:
	s_or_b32 exec_lo, exec_lo, s4
	v_mov_b32_e32 v4, s22
	s_waitcnt_vscnt null, 0x0
	s_barrier
	buffer_gl0_inv
	s_mov_b32 s4, exec_lo
	s_clause 0x3
	buffer_load_dword v1, v4, s[0:3], 0 offen
	buffer_load_dword v2, v4, s[0:3], 0 offen offset:4
	buffer_load_dword v3, v4, s[0:3], 0 offen offset:8
	;; [unrolled: 1-line block ×3, first 2 shown]
	s_waitcnt vmcnt(0)
	ds_write_b128 v43, v[1:4]
	s_waitcnt lgkmcnt(0)
	s_barrier
	buffer_gl0_inv
	v_cmpx_gt_u32_e32 8, v0
	s_cbranch_execz .LBB82_47
; %bb.44:
	v_mov_b32_e32 v1, 0
	v_mov_b32_e32 v3, 0
	v_add_nc_u32_e32 v45, -1, v0
	v_add_nc_u32_e32 v46, 0x130, v49
	v_mov_b32_e32 v2, 0
	v_mov_b32_e32 v4, 0
	v_add_nc_u32_e32 v47, 16, v49
	s_mov_b32 s5, 0
	.p2align	6
.LBB82_45:                              ; =>This Inner Loop Header: Depth=1
	s_clause 0x3
	buffer_load_dword v54, v47, s[0:3], 0 offen offset:8
	buffer_load_dword v55, v47, s[0:3], 0 offen offset:12
	buffer_load_dword v56, v47, s[0:3], 0 offen
	buffer_load_dword v57, v47, s[0:3], 0 offen offset:4
	ds_read_b128 v[50:53], v46
	v_add_nc_u32_e32 v45, 1, v45
	v_add_nc_u32_e32 v46, 16, v46
	;; [unrolled: 1-line block ×3, first 2 shown]
	v_cmp_lt_u32_e32 vcc_lo, 6, v45
	s_or_b32 s5, vcc_lo, s5
	s_waitcnt vmcnt(2) lgkmcnt(0)
	v_mul_f64 v[58:59], v[52:53], v[54:55]
	v_mul_f64 v[54:55], v[50:51], v[54:55]
	s_waitcnt vmcnt(0)
	v_fma_f64 v[50:51], v[50:51], v[56:57], -v[58:59]
	v_fma_f64 v[52:53], v[52:53], v[56:57], v[54:55]
	v_add_f64 v[3:4], v[3:4], v[50:51]
	v_add_f64 v[1:2], v[1:2], v[52:53]
	s_andn2_b32 exec_lo, exec_lo, s5
	s_cbranch_execnz .LBB82_45
; %bb.46:
	s_or_b32 exec_lo, exec_lo, s5
	v_mov_b32_e32 v45, 0
	ds_read_b128 v[45:48], v45 offset:128
	s_waitcnt lgkmcnt(0)
	v_mul_f64 v[50:51], v[1:2], v[47:48]
	v_mul_f64 v[47:48], v[3:4], v[47:48]
	v_fma_f64 v[3:4], v[3:4], v[45:46], -v[50:51]
	v_fma_f64 v[1:2], v[1:2], v[45:46], v[47:48]
	buffer_store_dword v4, off, s[0:3], 0 offset:148
	buffer_store_dword v3, off, s[0:3], 0 offset:144
	buffer_store_dword v2, off, s[0:3], 0 offset:156
	buffer_store_dword v1, off, s[0:3], 0 offset:152
.LBB82_47:
	s_or_b32 exec_lo, exec_lo, s4
	v_mov_b32_e32 v4, s21
	s_waitcnt_vscnt null, 0x0
	s_barrier
	buffer_gl0_inv
	s_mov_b32 s4, exec_lo
	s_clause 0x3
	buffer_load_dword v1, v4, s[0:3], 0 offen
	buffer_load_dword v2, v4, s[0:3], 0 offen offset:4
	buffer_load_dword v3, v4, s[0:3], 0 offen offset:8
	;; [unrolled: 1-line block ×3, first 2 shown]
	s_waitcnt vmcnt(0)
	ds_write_b128 v43, v[1:4]
	s_waitcnt lgkmcnt(0)
	s_barrier
	buffer_gl0_inv
	v_cmpx_gt_u32_e32 9, v0
	s_cbranch_execz .LBB82_51
; %bb.48:
	v_mov_b32_e32 v1, 0
	v_mov_b32_e32 v3, 0
	v_add_nc_u32_e32 v45, -1, v0
	v_add_nc_u32_e32 v46, 0x130, v49
	v_mov_b32_e32 v2, 0
	v_mov_b32_e32 v4, 0
	v_add_nc_u32_e32 v47, 16, v49
	s_mov_b32 s5, 0
	.p2align	6
.LBB82_49:                              ; =>This Inner Loop Header: Depth=1
	s_clause 0x3
	buffer_load_dword v54, v47, s[0:3], 0 offen offset:8
	buffer_load_dword v55, v47, s[0:3], 0 offen offset:12
	buffer_load_dword v56, v47, s[0:3], 0 offen
	buffer_load_dword v57, v47, s[0:3], 0 offen offset:4
	ds_read_b128 v[50:53], v46
	v_add_nc_u32_e32 v45, 1, v45
	v_add_nc_u32_e32 v46, 16, v46
	;; [unrolled: 1-line block ×3, first 2 shown]
	v_cmp_lt_u32_e32 vcc_lo, 7, v45
	s_or_b32 s5, vcc_lo, s5
	s_waitcnt vmcnt(2) lgkmcnt(0)
	v_mul_f64 v[58:59], v[52:53], v[54:55]
	v_mul_f64 v[54:55], v[50:51], v[54:55]
	s_waitcnt vmcnt(0)
	v_fma_f64 v[50:51], v[50:51], v[56:57], -v[58:59]
	v_fma_f64 v[52:53], v[52:53], v[56:57], v[54:55]
	v_add_f64 v[3:4], v[3:4], v[50:51]
	v_add_f64 v[1:2], v[1:2], v[52:53]
	s_andn2_b32 exec_lo, exec_lo, s5
	s_cbranch_execnz .LBB82_49
; %bb.50:
	s_or_b32 exec_lo, exec_lo, s5
	v_mov_b32_e32 v45, 0
	ds_read_b128 v[45:48], v45 offset:144
	s_waitcnt lgkmcnt(0)
	v_mul_f64 v[50:51], v[1:2], v[47:48]
	v_mul_f64 v[47:48], v[3:4], v[47:48]
	v_fma_f64 v[3:4], v[3:4], v[45:46], -v[50:51]
	v_fma_f64 v[1:2], v[1:2], v[45:46], v[47:48]
	buffer_store_dword v4, off, s[0:3], 0 offset:164
	buffer_store_dword v3, off, s[0:3], 0 offset:160
	;; [unrolled: 1-line block ×4, first 2 shown]
.LBB82_51:
	s_or_b32 exec_lo, exec_lo, s4
	v_mov_b32_e32 v4, s20
	s_waitcnt_vscnt null, 0x0
	s_barrier
	buffer_gl0_inv
	s_mov_b32 s4, exec_lo
	s_clause 0x3
	buffer_load_dword v1, v4, s[0:3], 0 offen
	buffer_load_dword v2, v4, s[0:3], 0 offen offset:4
	buffer_load_dword v3, v4, s[0:3], 0 offen offset:8
	;; [unrolled: 1-line block ×3, first 2 shown]
	s_waitcnt vmcnt(0)
	ds_write_b128 v43, v[1:4]
	s_waitcnt lgkmcnt(0)
	s_barrier
	buffer_gl0_inv
	v_cmpx_gt_u32_e32 10, v0
	s_cbranch_execz .LBB82_55
; %bb.52:
	v_mov_b32_e32 v1, 0
	v_mov_b32_e32 v3, 0
	v_add_nc_u32_e32 v45, -1, v0
	v_add_nc_u32_e32 v46, 0x130, v49
	v_mov_b32_e32 v2, 0
	v_mov_b32_e32 v4, 0
	v_add_nc_u32_e32 v47, 16, v49
	s_mov_b32 s5, 0
	.p2align	6
.LBB82_53:                              ; =>This Inner Loop Header: Depth=1
	s_clause 0x3
	buffer_load_dword v54, v47, s[0:3], 0 offen offset:8
	buffer_load_dword v55, v47, s[0:3], 0 offen offset:12
	buffer_load_dword v56, v47, s[0:3], 0 offen
	buffer_load_dword v57, v47, s[0:3], 0 offen offset:4
	ds_read_b128 v[50:53], v46
	v_add_nc_u32_e32 v45, 1, v45
	v_add_nc_u32_e32 v46, 16, v46
	;; [unrolled: 1-line block ×3, first 2 shown]
	v_cmp_lt_u32_e32 vcc_lo, 8, v45
	s_or_b32 s5, vcc_lo, s5
	s_waitcnt vmcnt(2) lgkmcnt(0)
	v_mul_f64 v[58:59], v[52:53], v[54:55]
	v_mul_f64 v[54:55], v[50:51], v[54:55]
	s_waitcnt vmcnt(0)
	v_fma_f64 v[50:51], v[50:51], v[56:57], -v[58:59]
	v_fma_f64 v[52:53], v[52:53], v[56:57], v[54:55]
	v_add_f64 v[3:4], v[3:4], v[50:51]
	v_add_f64 v[1:2], v[1:2], v[52:53]
	s_andn2_b32 exec_lo, exec_lo, s5
	s_cbranch_execnz .LBB82_53
; %bb.54:
	s_or_b32 exec_lo, exec_lo, s5
	v_mov_b32_e32 v45, 0
	ds_read_b128 v[45:48], v45 offset:160
	s_waitcnt lgkmcnt(0)
	v_mul_f64 v[50:51], v[1:2], v[47:48]
	v_mul_f64 v[47:48], v[3:4], v[47:48]
	v_fma_f64 v[3:4], v[3:4], v[45:46], -v[50:51]
	v_fma_f64 v[1:2], v[1:2], v[45:46], v[47:48]
	buffer_store_dword v4, off, s[0:3], 0 offset:180
	buffer_store_dword v3, off, s[0:3], 0 offset:176
	;; [unrolled: 1-line block ×4, first 2 shown]
.LBB82_55:
	s_or_b32 exec_lo, exec_lo, s4
	v_mov_b32_e32 v4, s19
	s_waitcnt_vscnt null, 0x0
	s_barrier
	buffer_gl0_inv
	s_mov_b32 s4, exec_lo
	s_clause 0x3
	buffer_load_dword v1, v4, s[0:3], 0 offen
	buffer_load_dword v2, v4, s[0:3], 0 offen offset:4
	buffer_load_dword v3, v4, s[0:3], 0 offen offset:8
	;; [unrolled: 1-line block ×3, first 2 shown]
	s_waitcnt vmcnt(0)
	ds_write_b128 v43, v[1:4]
	s_waitcnt lgkmcnt(0)
	s_barrier
	buffer_gl0_inv
	v_cmpx_gt_u32_e32 11, v0
	s_cbranch_execz .LBB82_59
; %bb.56:
	v_mov_b32_e32 v1, 0
	v_mov_b32_e32 v3, 0
	v_add_nc_u32_e32 v45, -1, v0
	v_add_nc_u32_e32 v46, 0x130, v49
	v_mov_b32_e32 v2, 0
	v_mov_b32_e32 v4, 0
	v_add_nc_u32_e32 v47, 16, v49
	s_mov_b32 s5, 0
	.p2align	6
.LBB82_57:                              ; =>This Inner Loop Header: Depth=1
	s_clause 0x3
	buffer_load_dword v54, v47, s[0:3], 0 offen offset:8
	buffer_load_dword v55, v47, s[0:3], 0 offen offset:12
	buffer_load_dword v56, v47, s[0:3], 0 offen
	buffer_load_dword v57, v47, s[0:3], 0 offen offset:4
	ds_read_b128 v[50:53], v46
	v_add_nc_u32_e32 v45, 1, v45
	v_add_nc_u32_e32 v46, 16, v46
	;; [unrolled: 1-line block ×3, first 2 shown]
	v_cmp_lt_u32_e32 vcc_lo, 9, v45
	s_or_b32 s5, vcc_lo, s5
	s_waitcnt vmcnt(2) lgkmcnt(0)
	v_mul_f64 v[58:59], v[52:53], v[54:55]
	v_mul_f64 v[54:55], v[50:51], v[54:55]
	s_waitcnt vmcnt(0)
	v_fma_f64 v[50:51], v[50:51], v[56:57], -v[58:59]
	v_fma_f64 v[52:53], v[52:53], v[56:57], v[54:55]
	v_add_f64 v[3:4], v[3:4], v[50:51]
	v_add_f64 v[1:2], v[1:2], v[52:53]
	s_andn2_b32 exec_lo, exec_lo, s5
	s_cbranch_execnz .LBB82_57
; %bb.58:
	s_or_b32 exec_lo, exec_lo, s5
	v_mov_b32_e32 v45, 0
	ds_read_b128 v[45:48], v45 offset:176
	s_waitcnt lgkmcnt(0)
	v_mul_f64 v[50:51], v[1:2], v[47:48]
	v_mul_f64 v[47:48], v[3:4], v[47:48]
	v_fma_f64 v[3:4], v[3:4], v[45:46], -v[50:51]
	v_fma_f64 v[1:2], v[1:2], v[45:46], v[47:48]
	buffer_store_dword v4, off, s[0:3], 0 offset:196
	buffer_store_dword v3, off, s[0:3], 0 offset:192
	;; [unrolled: 1-line block ×4, first 2 shown]
.LBB82_59:
	s_or_b32 exec_lo, exec_lo, s4
	v_mov_b32_e32 v4, s18
	s_waitcnt_vscnt null, 0x0
	s_barrier
	buffer_gl0_inv
	s_mov_b32 s4, exec_lo
	s_clause 0x3
	buffer_load_dword v1, v4, s[0:3], 0 offen
	buffer_load_dword v2, v4, s[0:3], 0 offen offset:4
	buffer_load_dword v3, v4, s[0:3], 0 offen offset:8
	;; [unrolled: 1-line block ×3, first 2 shown]
	s_waitcnt vmcnt(0)
	ds_write_b128 v43, v[1:4]
	s_waitcnt lgkmcnt(0)
	s_barrier
	buffer_gl0_inv
	v_cmpx_gt_u32_e32 12, v0
	s_cbranch_execz .LBB82_63
; %bb.60:
	v_mov_b32_e32 v1, 0
	v_mov_b32_e32 v3, 0
	v_add_nc_u32_e32 v45, -1, v0
	v_add_nc_u32_e32 v46, 0x130, v49
	v_mov_b32_e32 v2, 0
	v_mov_b32_e32 v4, 0
	v_add_nc_u32_e32 v47, 16, v49
	s_mov_b32 s5, 0
	.p2align	6
.LBB82_61:                              ; =>This Inner Loop Header: Depth=1
	s_clause 0x3
	buffer_load_dword v54, v47, s[0:3], 0 offen offset:8
	buffer_load_dword v55, v47, s[0:3], 0 offen offset:12
	buffer_load_dword v56, v47, s[0:3], 0 offen
	buffer_load_dword v57, v47, s[0:3], 0 offen offset:4
	ds_read_b128 v[50:53], v46
	v_add_nc_u32_e32 v45, 1, v45
	v_add_nc_u32_e32 v46, 16, v46
	;; [unrolled: 1-line block ×3, first 2 shown]
	v_cmp_lt_u32_e32 vcc_lo, 10, v45
	s_or_b32 s5, vcc_lo, s5
	s_waitcnt vmcnt(2) lgkmcnt(0)
	v_mul_f64 v[58:59], v[52:53], v[54:55]
	v_mul_f64 v[54:55], v[50:51], v[54:55]
	s_waitcnt vmcnt(0)
	v_fma_f64 v[50:51], v[50:51], v[56:57], -v[58:59]
	v_fma_f64 v[52:53], v[52:53], v[56:57], v[54:55]
	v_add_f64 v[3:4], v[3:4], v[50:51]
	v_add_f64 v[1:2], v[1:2], v[52:53]
	s_andn2_b32 exec_lo, exec_lo, s5
	s_cbranch_execnz .LBB82_61
; %bb.62:
	s_or_b32 exec_lo, exec_lo, s5
	v_mov_b32_e32 v45, 0
	ds_read_b128 v[45:48], v45 offset:192
	s_waitcnt lgkmcnt(0)
	v_mul_f64 v[50:51], v[1:2], v[47:48]
	v_mul_f64 v[47:48], v[3:4], v[47:48]
	v_fma_f64 v[3:4], v[3:4], v[45:46], -v[50:51]
	v_fma_f64 v[1:2], v[1:2], v[45:46], v[47:48]
	buffer_store_dword v4, off, s[0:3], 0 offset:212
	buffer_store_dword v3, off, s[0:3], 0 offset:208
	;; [unrolled: 1-line block ×4, first 2 shown]
.LBB82_63:
	s_or_b32 exec_lo, exec_lo, s4
	v_mov_b32_e32 v4, s17
	s_waitcnt_vscnt null, 0x0
	s_barrier
	buffer_gl0_inv
	s_mov_b32 s4, exec_lo
	s_clause 0x3
	buffer_load_dword v1, v4, s[0:3], 0 offen
	buffer_load_dword v2, v4, s[0:3], 0 offen offset:4
	buffer_load_dword v3, v4, s[0:3], 0 offen offset:8
	buffer_load_dword v4, v4, s[0:3], 0 offen offset:12
	s_waitcnt vmcnt(0)
	ds_write_b128 v43, v[1:4]
	s_waitcnt lgkmcnt(0)
	s_barrier
	buffer_gl0_inv
	v_cmpx_gt_u32_e32 13, v0
	s_cbranch_execz .LBB82_67
; %bb.64:
	v_mov_b32_e32 v1, 0
	v_mov_b32_e32 v3, 0
	v_add_nc_u32_e32 v45, -1, v0
	v_add_nc_u32_e32 v46, 0x130, v49
	v_mov_b32_e32 v2, 0
	v_mov_b32_e32 v4, 0
	v_add_nc_u32_e32 v47, 16, v49
	s_mov_b32 s5, 0
	.p2align	6
.LBB82_65:                              ; =>This Inner Loop Header: Depth=1
	s_clause 0x3
	buffer_load_dword v54, v47, s[0:3], 0 offen offset:8
	buffer_load_dword v55, v47, s[0:3], 0 offen offset:12
	buffer_load_dword v56, v47, s[0:3], 0 offen
	buffer_load_dword v57, v47, s[0:3], 0 offen offset:4
	ds_read_b128 v[50:53], v46
	v_add_nc_u32_e32 v45, 1, v45
	v_add_nc_u32_e32 v46, 16, v46
	;; [unrolled: 1-line block ×3, first 2 shown]
	v_cmp_lt_u32_e32 vcc_lo, 11, v45
	s_or_b32 s5, vcc_lo, s5
	s_waitcnt vmcnt(2) lgkmcnt(0)
	v_mul_f64 v[58:59], v[52:53], v[54:55]
	v_mul_f64 v[54:55], v[50:51], v[54:55]
	s_waitcnt vmcnt(0)
	v_fma_f64 v[50:51], v[50:51], v[56:57], -v[58:59]
	v_fma_f64 v[52:53], v[52:53], v[56:57], v[54:55]
	v_add_f64 v[3:4], v[3:4], v[50:51]
	v_add_f64 v[1:2], v[1:2], v[52:53]
	s_andn2_b32 exec_lo, exec_lo, s5
	s_cbranch_execnz .LBB82_65
; %bb.66:
	s_or_b32 exec_lo, exec_lo, s5
	v_mov_b32_e32 v45, 0
	ds_read_b128 v[45:48], v45 offset:208
	s_waitcnt lgkmcnt(0)
	v_mul_f64 v[50:51], v[1:2], v[47:48]
	v_mul_f64 v[47:48], v[3:4], v[47:48]
	v_fma_f64 v[3:4], v[3:4], v[45:46], -v[50:51]
	v_fma_f64 v[1:2], v[1:2], v[45:46], v[47:48]
	buffer_store_dword v4, off, s[0:3], 0 offset:228
	buffer_store_dword v3, off, s[0:3], 0 offset:224
	;; [unrolled: 1-line block ×4, first 2 shown]
.LBB82_67:
	s_or_b32 exec_lo, exec_lo, s4
	v_mov_b32_e32 v4, s16
	s_waitcnt_vscnt null, 0x0
	s_barrier
	buffer_gl0_inv
	s_mov_b32 s4, exec_lo
	s_clause 0x3
	buffer_load_dword v1, v4, s[0:3], 0 offen
	buffer_load_dword v2, v4, s[0:3], 0 offen offset:4
	buffer_load_dword v3, v4, s[0:3], 0 offen offset:8
	;; [unrolled: 1-line block ×3, first 2 shown]
	s_waitcnt vmcnt(0)
	ds_write_b128 v43, v[1:4]
	s_waitcnt lgkmcnt(0)
	s_barrier
	buffer_gl0_inv
	v_cmpx_gt_u32_e32 14, v0
	s_cbranch_execz .LBB82_71
; %bb.68:
	v_mov_b32_e32 v1, 0
	v_mov_b32_e32 v3, 0
	v_add_nc_u32_e32 v45, -1, v0
	v_add_nc_u32_e32 v46, 0x130, v49
	v_mov_b32_e32 v2, 0
	v_mov_b32_e32 v4, 0
	v_add_nc_u32_e32 v47, 16, v49
	s_mov_b32 s5, 0
	.p2align	6
.LBB82_69:                              ; =>This Inner Loop Header: Depth=1
	s_clause 0x3
	buffer_load_dword v54, v47, s[0:3], 0 offen offset:8
	buffer_load_dword v55, v47, s[0:3], 0 offen offset:12
	buffer_load_dword v56, v47, s[0:3], 0 offen
	buffer_load_dword v57, v47, s[0:3], 0 offen offset:4
	ds_read_b128 v[50:53], v46
	v_add_nc_u32_e32 v45, 1, v45
	v_add_nc_u32_e32 v46, 16, v46
	;; [unrolled: 1-line block ×3, first 2 shown]
	v_cmp_lt_u32_e32 vcc_lo, 12, v45
	s_or_b32 s5, vcc_lo, s5
	s_waitcnt vmcnt(2) lgkmcnt(0)
	v_mul_f64 v[58:59], v[52:53], v[54:55]
	v_mul_f64 v[54:55], v[50:51], v[54:55]
	s_waitcnt vmcnt(0)
	v_fma_f64 v[50:51], v[50:51], v[56:57], -v[58:59]
	v_fma_f64 v[52:53], v[52:53], v[56:57], v[54:55]
	v_add_f64 v[3:4], v[3:4], v[50:51]
	v_add_f64 v[1:2], v[1:2], v[52:53]
	s_andn2_b32 exec_lo, exec_lo, s5
	s_cbranch_execnz .LBB82_69
; %bb.70:
	s_or_b32 exec_lo, exec_lo, s5
	v_mov_b32_e32 v45, 0
	ds_read_b128 v[45:48], v45 offset:224
	s_waitcnt lgkmcnt(0)
	v_mul_f64 v[50:51], v[1:2], v[47:48]
	v_mul_f64 v[47:48], v[3:4], v[47:48]
	v_fma_f64 v[3:4], v[3:4], v[45:46], -v[50:51]
	v_fma_f64 v[1:2], v[1:2], v[45:46], v[47:48]
	buffer_store_dword v4, off, s[0:3], 0 offset:244
	buffer_store_dword v3, off, s[0:3], 0 offset:240
	;; [unrolled: 1-line block ×4, first 2 shown]
.LBB82_71:
	s_or_b32 exec_lo, exec_lo, s4
	v_mov_b32_e32 v4, s15
	s_waitcnt_vscnt null, 0x0
	s_barrier
	buffer_gl0_inv
	s_mov_b32 s4, exec_lo
	s_clause 0x3
	buffer_load_dword v1, v4, s[0:3], 0 offen
	buffer_load_dword v2, v4, s[0:3], 0 offen offset:4
	buffer_load_dword v3, v4, s[0:3], 0 offen offset:8
	;; [unrolled: 1-line block ×3, first 2 shown]
	s_waitcnt vmcnt(0)
	ds_write_b128 v43, v[1:4]
	s_waitcnt lgkmcnt(0)
	s_barrier
	buffer_gl0_inv
	v_cmpx_gt_u32_e32 15, v0
	s_cbranch_execz .LBB82_75
; %bb.72:
	v_mov_b32_e32 v1, 0
	v_mov_b32_e32 v3, 0
	v_add_nc_u32_e32 v45, -1, v0
	v_add_nc_u32_e32 v46, 0x130, v49
	v_mov_b32_e32 v2, 0
	v_mov_b32_e32 v4, 0
	v_add_nc_u32_e32 v47, 16, v49
	s_mov_b32 s5, 0
	.p2align	6
.LBB82_73:                              ; =>This Inner Loop Header: Depth=1
	s_clause 0x3
	buffer_load_dword v54, v47, s[0:3], 0 offen offset:8
	buffer_load_dword v55, v47, s[0:3], 0 offen offset:12
	buffer_load_dword v56, v47, s[0:3], 0 offen
	buffer_load_dword v57, v47, s[0:3], 0 offen offset:4
	ds_read_b128 v[50:53], v46
	v_add_nc_u32_e32 v45, 1, v45
	v_add_nc_u32_e32 v46, 16, v46
	;; [unrolled: 1-line block ×3, first 2 shown]
	v_cmp_lt_u32_e32 vcc_lo, 13, v45
	s_or_b32 s5, vcc_lo, s5
	s_waitcnt vmcnt(2) lgkmcnt(0)
	v_mul_f64 v[58:59], v[52:53], v[54:55]
	v_mul_f64 v[54:55], v[50:51], v[54:55]
	s_waitcnt vmcnt(0)
	v_fma_f64 v[50:51], v[50:51], v[56:57], -v[58:59]
	v_fma_f64 v[52:53], v[52:53], v[56:57], v[54:55]
	v_add_f64 v[3:4], v[3:4], v[50:51]
	v_add_f64 v[1:2], v[1:2], v[52:53]
	s_andn2_b32 exec_lo, exec_lo, s5
	s_cbranch_execnz .LBB82_73
; %bb.74:
	s_or_b32 exec_lo, exec_lo, s5
	v_mov_b32_e32 v45, 0
	ds_read_b128 v[45:48], v45 offset:240
	s_waitcnt lgkmcnt(0)
	v_mul_f64 v[50:51], v[1:2], v[47:48]
	v_mul_f64 v[47:48], v[3:4], v[47:48]
	v_fma_f64 v[3:4], v[3:4], v[45:46], -v[50:51]
	v_fma_f64 v[1:2], v[1:2], v[45:46], v[47:48]
	buffer_store_dword v4, off, s[0:3], 0 offset:260
	buffer_store_dword v3, off, s[0:3], 0 offset:256
	;; [unrolled: 1-line block ×4, first 2 shown]
.LBB82_75:
	s_or_b32 exec_lo, exec_lo, s4
	v_mov_b32_e32 v4, s14
	s_waitcnt_vscnt null, 0x0
	s_barrier
	buffer_gl0_inv
	s_mov_b32 s4, exec_lo
	s_clause 0x3
	buffer_load_dword v1, v4, s[0:3], 0 offen
	buffer_load_dword v2, v4, s[0:3], 0 offen offset:4
	buffer_load_dword v3, v4, s[0:3], 0 offen offset:8
	;; [unrolled: 1-line block ×3, first 2 shown]
	s_waitcnt vmcnt(0)
	ds_write_b128 v43, v[1:4]
	s_waitcnt lgkmcnt(0)
	s_barrier
	buffer_gl0_inv
	v_cmpx_gt_u32_e32 16, v0
	s_cbranch_execz .LBB82_79
; %bb.76:
	v_mov_b32_e32 v1, 0
	v_mov_b32_e32 v3, 0
	v_add_nc_u32_e32 v45, -1, v0
	v_add_nc_u32_e32 v46, 0x130, v49
	v_mov_b32_e32 v2, 0
	v_mov_b32_e32 v4, 0
	v_add_nc_u32_e32 v47, 16, v49
	s_mov_b32 s5, 0
	.p2align	6
.LBB82_77:                              ; =>This Inner Loop Header: Depth=1
	s_clause 0x3
	buffer_load_dword v54, v47, s[0:3], 0 offen offset:8
	buffer_load_dword v55, v47, s[0:3], 0 offen offset:12
	buffer_load_dword v56, v47, s[0:3], 0 offen
	buffer_load_dword v57, v47, s[0:3], 0 offen offset:4
	ds_read_b128 v[50:53], v46
	v_add_nc_u32_e32 v45, 1, v45
	v_add_nc_u32_e32 v46, 16, v46
	;; [unrolled: 1-line block ×3, first 2 shown]
	v_cmp_lt_u32_e32 vcc_lo, 14, v45
	s_or_b32 s5, vcc_lo, s5
	s_waitcnt vmcnt(2) lgkmcnt(0)
	v_mul_f64 v[58:59], v[52:53], v[54:55]
	v_mul_f64 v[54:55], v[50:51], v[54:55]
	s_waitcnt vmcnt(0)
	v_fma_f64 v[50:51], v[50:51], v[56:57], -v[58:59]
	v_fma_f64 v[52:53], v[52:53], v[56:57], v[54:55]
	v_add_f64 v[3:4], v[3:4], v[50:51]
	v_add_f64 v[1:2], v[1:2], v[52:53]
	s_andn2_b32 exec_lo, exec_lo, s5
	s_cbranch_execnz .LBB82_77
; %bb.78:
	s_or_b32 exec_lo, exec_lo, s5
	v_mov_b32_e32 v45, 0
	ds_read_b128 v[45:48], v45 offset:256
	s_waitcnt lgkmcnt(0)
	v_mul_f64 v[50:51], v[1:2], v[47:48]
	v_mul_f64 v[47:48], v[3:4], v[47:48]
	v_fma_f64 v[3:4], v[3:4], v[45:46], -v[50:51]
	v_fma_f64 v[1:2], v[1:2], v[45:46], v[47:48]
	buffer_store_dword v4, off, s[0:3], 0 offset:276
	buffer_store_dword v3, off, s[0:3], 0 offset:272
	;; [unrolled: 1-line block ×4, first 2 shown]
.LBB82_79:
	s_or_b32 exec_lo, exec_lo, s4
	v_mov_b32_e32 v4, s9
	s_waitcnt_vscnt null, 0x0
	s_barrier
	buffer_gl0_inv
	s_mov_b32 s4, exec_lo
	s_clause 0x3
	buffer_load_dword v1, v4, s[0:3], 0 offen
	buffer_load_dword v2, v4, s[0:3], 0 offen offset:4
	buffer_load_dword v3, v4, s[0:3], 0 offen offset:8
	;; [unrolled: 1-line block ×3, first 2 shown]
	s_waitcnt vmcnt(0)
	ds_write_b128 v43, v[1:4]
	s_waitcnt lgkmcnt(0)
	s_barrier
	buffer_gl0_inv
	v_cmpx_gt_u32_e32 17, v0
	s_cbranch_execz .LBB82_83
; %bb.80:
	v_mov_b32_e32 v1, 0
	v_mov_b32_e32 v3, 0
	v_add_nc_u32_e32 v45, -1, v0
	v_add_nc_u32_e32 v46, 0x130, v49
	v_mov_b32_e32 v2, 0
	v_mov_b32_e32 v4, 0
	v_add_nc_u32_e32 v47, 16, v49
	s_mov_b32 s5, 0
	.p2align	6
.LBB82_81:                              ; =>This Inner Loop Header: Depth=1
	s_clause 0x3
	buffer_load_dword v54, v47, s[0:3], 0 offen offset:8
	buffer_load_dword v55, v47, s[0:3], 0 offen offset:12
	buffer_load_dword v56, v47, s[0:3], 0 offen
	buffer_load_dword v57, v47, s[0:3], 0 offen offset:4
	ds_read_b128 v[50:53], v46
	v_add_nc_u32_e32 v45, 1, v45
	v_add_nc_u32_e32 v46, 16, v46
	;; [unrolled: 1-line block ×3, first 2 shown]
	v_cmp_lt_u32_e32 vcc_lo, 15, v45
	s_or_b32 s5, vcc_lo, s5
	s_waitcnt vmcnt(2) lgkmcnt(0)
	v_mul_f64 v[58:59], v[52:53], v[54:55]
	v_mul_f64 v[54:55], v[50:51], v[54:55]
	s_waitcnt vmcnt(0)
	v_fma_f64 v[50:51], v[50:51], v[56:57], -v[58:59]
	v_fma_f64 v[52:53], v[52:53], v[56:57], v[54:55]
	v_add_f64 v[3:4], v[3:4], v[50:51]
	v_add_f64 v[1:2], v[1:2], v[52:53]
	s_andn2_b32 exec_lo, exec_lo, s5
	s_cbranch_execnz .LBB82_81
; %bb.82:
	s_or_b32 exec_lo, exec_lo, s5
	v_mov_b32_e32 v45, 0
	ds_read_b128 v[45:48], v45 offset:272
	s_waitcnt lgkmcnt(0)
	v_mul_f64 v[50:51], v[1:2], v[47:48]
	v_mul_f64 v[47:48], v[3:4], v[47:48]
	v_fma_f64 v[3:4], v[3:4], v[45:46], -v[50:51]
	v_fma_f64 v[1:2], v[1:2], v[45:46], v[47:48]
	buffer_store_dword v4, off, s[0:3], 0 offset:292
	buffer_store_dword v3, off, s[0:3], 0 offset:288
	;; [unrolled: 1-line block ×4, first 2 shown]
.LBB82_83:
	s_or_b32 exec_lo, exec_lo, s4
	v_mov_b32_e32 v4, s8
	s_waitcnt_vscnt null, 0x0
	s_barrier
	buffer_gl0_inv
	s_mov_b32 s4, exec_lo
	s_clause 0x3
	buffer_load_dword v1, v4, s[0:3], 0 offen
	buffer_load_dword v2, v4, s[0:3], 0 offen offset:4
	buffer_load_dword v3, v4, s[0:3], 0 offen offset:8
	;; [unrolled: 1-line block ×3, first 2 shown]
	s_waitcnt vmcnt(0)
	ds_write_b128 v43, v[1:4]
	s_waitcnt lgkmcnt(0)
	s_barrier
	buffer_gl0_inv
	v_cmpx_ne_u32_e32 18, v0
	s_cbranch_execz .LBB82_87
; %bb.84:
	v_mov_b32_e32 v1, 0
	v_mov_b32_e32 v3, 0
	;; [unrolled: 1-line block ×4, first 2 shown]
	v_add_nc_u32_e32 v45, 16, v49
	s_mov_b32 s5, 0
	.p2align	6
.LBB82_85:                              ; =>This Inner Loop Header: Depth=1
	s_clause 0x3
	buffer_load_dword v50, v45, s[0:3], 0 offen offset:8
	buffer_load_dword v51, v45, s[0:3], 0 offen offset:12
	buffer_load_dword v52, v45, s[0:3], 0 offen
	buffer_load_dword v53, v45, s[0:3], 0 offen offset:4
	ds_read_b128 v[46:49], v43
	v_add_nc_u32_e32 v44, 1, v44
	v_add_nc_u32_e32 v43, 16, v43
	;; [unrolled: 1-line block ×3, first 2 shown]
	v_cmp_lt_u32_e32 vcc_lo, 16, v44
	s_or_b32 s5, vcc_lo, s5
	s_waitcnt vmcnt(2) lgkmcnt(0)
	v_mul_f64 v[54:55], v[48:49], v[50:51]
	v_mul_f64 v[50:51], v[46:47], v[50:51]
	s_waitcnt vmcnt(0)
	v_fma_f64 v[46:47], v[46:47], v[52:53], -v[54:55]
	v_fma_f64 v[48:49], v[48:49], v[52:53], v[50:51]
	v_add_f64 v[3:4], v[3:4], v[46:47]
	v_add_f64 v[1:2], v[1:2], v[48:49]
	s_andn2_b32 exec_lo, exec_lo, s5
	s_cbranch_execnz .LBB82_85
; %bb.86:
	s_or_b32 exec_lo, exec_lo, s5
	v_mov_b32_e32 v43, 0
	ds_read_b128 v[43:46], v43 offset:288
	s_waitcnt lgkmcnt(0)
	v_mul_f64 v[47:48], v[1:2], v[45:46]
	v_mul_f64 v[45:46], v[3:4], v[45:46]
	v_fma_f64 v[3:4], v[3:4], v[43:44], -v[47:48]
	v_fma_f64 v[1:2], v[1:2], v[43:44], v[45:46]
	buffer_store_dword v4, off, s[0:3], 0 offset:308
	buffer_store_dword v3, off, s[0:3], 0 offset:304
	;; [unrolled: 1-line block ×4, first 2 shown]
.LBB82_87:
	s_or_b32 exec_lo, exec_lo, s4
	s_mov_b32 s5, -1
	s_waitcnt_vscnt null, 0x0
	s_barrier
	buffer_gl0_inv
.LBB82_88:
	s_and_b32 vcc_lo, exec_lo, s5
	s_cbranch_vccz .LBB82_90
; %bb.89:
	s_lshl_b64 s[4:5], s[6:7], 2
	v_mov_b32_e32 v1, 0
	s_add_u32 s4, s10, s4
	s_addc_u32 s5, s11, s5
	global_load_dword v1, v1, s[4:5]
	s_waitcnt vmcnt(0)
	v_cmp_ne_u32_e32 vcc_lo, 0, v1
	s_cbranch_vccz .LBB82_91
.LBB82_90:
	s_endpgm
.LBB82_91:
	v_lshl_add_u32 v1, v0, 4, 0x130
	s_mov_b32 s4, exec_lo
	v_cmpx_eq_u32_e32 18, v0
	s_cbranch_execz .LBB82_93
; %bb.92:
	v_mov_b32_e32 v2, s9
	s_clause 0x3
	buffer_load_dword v43, v2, s[0:3], 0 offen
	buffer_load_dword v44, v2, s[0:3], 0 offen offset:4
	buffer_load_dword v45, v2, s[0:3], 0 offen offset:8
	;; [unrolled: 1-line block ×3, first 2 shown]
	v_mov_b32_e32 v2, 0
	buffer_store_dword v2, off, s[0:3], 0 offset:288
	buffer_store_dword v2, off, s[0:3], 0 offset:292
	;; [unrolled: 1-line block ×4, first 2 shown]
	s_waitcnt vmcnt(0)
	ds_write_b128 v1, v[43:46]
.LBB82_93:
	s_or_b32 exec_lo, exec_lo, s4
	s_waitcnt lgkmcnt(0)
	s_waitcnt_vscnt null, 0x0
	s_barrier
	buffer_gl0_inv
	s_clause 0x7
	buffer_load_dword v3, off, s[0:3], 0 offset:312
	buffer_load_dword v4, off, s[0:3], 0 offset:316
	;; [unrolled: 1-line block ×8, first 2 shown]
	v_mov_b32_e32 v2, 0
	s_mov_b32 s4, exec_lo
	ds_read_b128 v[43:46], v2 offset:592
	s_waitcnt vmcnt(6) lgkmcnt(0)
	v_mul_f64 v[53:54], v[45:46], v[3:4]
	v_mul_f64 v[3:4], v[43:44], v[3:4]
	s_waitcnt vmcnt(4)
	v_fma_f64 v[43:44], v[43:44], v[47:48], -v[53:54]
	v_fma_f64 v[3:4], v[45:46], v[47:48], v[3:4]
	v_add_f64 v[43:44], v[43:44], 0
	v_add_f64 v[3:4], v[3:4], 0
	s_waitcnt vmcnt(2)
	v_add_f64 v[43:44], v[49:50], -v[43:44]
	s_waitcnt vmcnt(0)
	v_add_f64 v[3:4], v[51:52], -v[3:4]
	buffer_store_dword v43, off, s[0:3], 0 offset:288
	buffer_store_dword v44, off, s[0:3], 0 offset:292
	;; [unrolled: 1-line block ×4, first 2 shown]
	v_cmpx_lt_u32_e32 16, v0
	s_cbranch_execz .LBB82_95
; %bb.94:
	v_mov_b32_e32 v3, s14
	s_clause 0x3
	buffer_load_dword v43, v3, s[0:3], 0 offen
	buffer_load_dword v44, v3, s[0:3], 0 offen offset:4
	buffer_load_dword v45, v3, s[0:3], 0 offen offset:8
	;; [unrolled: 1-line block ×3, first 2 shown]
	buffer_store_dword v2, off, s[0:3], 0 offset:272
	buffer_store_dword v2, off, s[0:3], 0 offset:276
	;; [unrolled: 1-line block ×4, first 2 shown]
	s_waitcnt vmcnt(0)
	ds_write_b128 v1, v[43:46]
.LBB82_95:
	s_or_b32 exec_lo, exec_lo, s4
	s_waitcnt lgkmcnt(0)
	s_waitcnt_vscnt null, 0x0
	s_barrier
	buffer_gl0_inv
	s_clause 0xb
	buffer_load_dword v3, off, s[0:3], 0 offset:296
	buffer_load_dword v4, off, s[0:3], 0 offset:300
	;; [unrolled: 1-line block ×12, first 2 shown]
	ds_read_b128 v[43:46], v2 offset:576
	ds_read_b128 v[47:50], v2 offset:592
	s_mov_b32 s4, exec_lo
	s_waitcnt vmcnt(10) lgkmcnt(1)
	v_mul_f64 v[61:62], v[45:46], v[3:4]
	v_mul_f64 v[2:3], v[43:44], v[3:4]
	s_waitcnt vmcnt(8) lgkmcnt(0)
	v_mul_f64 v[63:64], v[49:50], v[51:52]
	v_mul_f64 v[51:52], v[47:48], v[51:52]
	s_waitcnt vmcnt(6)
	v_fma_f64 v[43:44], v[43:44], v[53:54], -v[61:62]
	v_fma_f64 v[2:3], v[45:46], v[53:54], v[2:3]
	s_waitcnt vmcnt(4)
	v_fma_f64 v[45:46], v[47:48], v[55:56], -v[63:64]
	v_fma_f64 v[47:48], v[49:50], v[55:56], v[51:52]
	v_add_f64 v[43:44], v[43:44], 0
	v_add_f64 v[2:3], v[2:3], 0
	;; [unrolled: 1-line block ×4, first 2 shown]
	s_waitcnt vmcnt(2)
	v_add_f64 v[43:44], v[57:58], -v[43:44]
	s_waitcnt vmcnt(0)
	v_add_f64 v[2:3], v[59:60], -v[2:3]
	buffer_store_dword v43, off, s[0:3], 0 offset:272
	buffer_store_dword v44, off, s[0:3], 0 offset:276
	;; [unrolled: 1-line block ×4, first 2 shown]
	v_cmpx_lt_u32_e32 15, v0
	s_cbranch_execz .LBB82_97
; %bb.96:
	v_mov_b32_e32 v2, s15
	s_clause 0x3
	buffer_load_dword v43, v2, s[0:3], 0 offen
	buffer_load_dword v44, v2, s[0:3], 0 offen offset:4
	buffer_load_dword v45, v2, s[0:3], 0 offen offset:8
	;; [unrolled: 1-line block ×3, first 2 shown]
	v_mov_b32_e32 v2, 0
	buffer_store_dword v2, off, s[0:3], 0 offset:256
	buffer_store_dword v2, off, s[0:3], 0 offset:260
	;; [unrolled: 1-line block ×4, first 2 shown]
	s_waitcnt vmcnt(0)
	ds_write_b128 v1, v[43:46]
.LBB82_97:
	s_or_b32 exec_lo, exec_lo, s4
	s_waitcnt lgkmcnt(0)
	s_waitcnt_vscnt null, 0x0
	s_barrier
	buffer_gl0_inv
	s_clause 0xf
	buffer_load_dword v3, off, s[0:3], 0 offset:280
	buffer_load_dword v4, off, s[0:3], 0 offset:284
	;; [unrolled: 1-line block ×16, first 2 shown]
	v_mov_b32_e32 v2, 0
	ds_read_b128 v[43:46], v2 offset:560
	ds_read_b128 v[47:50], v2 offset:576
	;; [unrolled: 1-line block ×3, first 2 shown]
	s_mov_b32 s4, exec_lo
	s_waitcnt vmcnt(14) lgkmcnt(2)
	v_mul_f64 v[69:70], v[45:46], v[3:4]
	v_mul_f64 v[3:4], v[43:44], v[3:4]
	s_waitcnt vmcnt(12) lgkmcnt(1)
	v_mul_f64 v[71:72], v[49:50], v[55:56]
	v_mul_f64 v[55:56], v[47:48], v[55:56]
	s_waitcnt vmcnt(10)
	v_fma_f64 v[43:44], v[43:44], v[57:58], -v[69:70]
	v_fma_f64 v[3:4], v[45:46], v[57:58], v[3:4]
	s_waitcnt vmcnt(8) lgkmcnt(0)
	v_mul_f64 v[57:58], v[53:54], v[59:60]
	s_waitcnt vmcnt(6)
	v_fma_f64 v[47:48], v[47:48], v[61:62], -v[71:72]
	v_mul_f64 v[45:46], v[51:52], v[59:60]
	v_fma_f64 v[49:50], v[49:50], v[61:62], v[55:56]
	v_add_f64 v[43:44], v[43:44], 0
	v_add_f64 v[3:4], v[3:4], 0
	s_waitcnt vmcnt(4)
	v_fma_f64 v[51:52], v[51:52], v[63:64], -v[57:58]
	v_fma_f64 v[45:46], v[53:54], v[63:64], v[45:46]
	v_add_f64 v[43:44], v[43:44], v[47:48]
	v_add_f64 v[3:4], v[3:4], v[49:50]
	;; [unrolled: 1-line block ×4, first 2 shown]
	s_waitcnt vmcnt(2)
	v_add_f64 v[43:44], v[65:66], -v[43:44]
	s_waitcnt vmcnt(0)
	v_add_f64 v[3:4], v[67:68], -v[3:4]
	buffer_store_dword v43, off, s[0:3], 0 offset:256
	buffer_store_dword v44, off, s[0:3], 0 offset:260
	;; [unrolled: 1-line block ×4, first 2 shown]
	v_cmpx_lt_u32_e32 14, v0
	s_cbranch_execz .LBB82_99
; %bb.98:
	v_mov_b32_e32 v3, s16
	s_clause 0x3
	buffer_load_dword v43, v3, s[0:3], 0 offen
	buffer_load_dword v44, v3, s[0:3], 0 offen offset:4
	buffer_load_dword v45, v3, s[0:3], 0 offen offset:8
	;; [unrolled: 1-line block ×3, first 2 shown]
	buffer_store_dword v2, off, s[0:3], 0 offset:240
	buffer_store_dword v2, off, s[0:3], 0 offset:244
	;; [unrolled: 1-line block ×4, first 2 shown]
	s_waitcnt vmcnt(0)
	ds_write_b128 v1, v[43:46]
.LBB82_99:
	s_or_b32 exec_lo, exec_lo, s4
	s_waitcnt lgkmcnt(0)
	s_waitcnt_vscnt null, 0x0
	s_barrier
	buffer_gl0_inv
	s_clause 0x13
	buffer_load_dword v3, off, s[0:3], 0 offset:264
	buffer_load_dword v4, off, s[0:3], 0 offset:268
	;; [unrolled: 1-line block ×20, first 2 shown]
	ds_read_b128 v[43:46], v2 offset:544
	ds_read_b128 v[47:50], v2 offset:560
	;; [unrolled: 1-line block ×3, first 2 shown]
	s_mov_b32 s4, exec_lo
	s_waitcnt vmcnt(18) lgkmcnt(2)
	v_mul_f64 v[73:74], v[45:46], v[3:4]
	v_mul_f64 v[3:4], v[43:44], v[3:4]
	s_waitcnt vmcnt(16) lgkmcnt(1)
	v_mul_f64 v[75:76], v[49:50], v[55:56]
	v_mul_f64 v[55:56], v[47:48], v[55:56]
	s_waitcnt vmcnt(14)
	v_fma_f64 v[73:74], v[43:44], v[57:58], -v[73:74]
	v_fma_f64 v[3:4], v[45:46], v[57:58], v[3:4]
	ds_read_b128 v[43:46], v2 offset:592
	s_waitcnt vmcnt(12) lgkmcnt(1)
	v_mul_f64 v[57:58], v[51:52], v[59:60]
	v_mul_f64 v[59:60], v[53:54], v[59:60]
	s_waitcnt vmcnt(10)
	v_fma_f64 v[47:48], v[47:48], v[61:62], -v[75:76]
	v_fma_f64 v[49:50], v[49:50], v[61:62], v[55:56]
	s_waitcnt vmcnt(8) lgkmcnt(0)
	v_mul_f64 v[61:62], v[45:46], v[63:64]
	v_add_f64 v[73:74], v[73:74], 0
	v_add_f64 v[2:3], v[3:4], 0
	v_mul_f64 v[55:56], v[43:44], v[63:64]
	s_waitcnt vmcnt(6)
	v_fma_f64 v[51:52], v[51:52], v[65:66], -v[59:60]
	v_fma_f64 v[53:54], v[53:54], v[65:66], v[57:58]
	s_waitcnt vmcnt(4)
	v_fma_f64 v[43:44], v[43:44], v[67:68], -v[61:62]
	v_add_f64 v[47:48], v[73:74], v[47:48]
	v_add_f64 v[2:3], v[2:3], v[49:50]
	v_fma_f64 v[45:46], v[45:46], v[67:68], v[55:56]
	v_add_f64 v[47:48], v[47:48], v[51:52]
	v_add_f64 v[2:3], v[2:3], v[53:54]
	;; [unrolled: 1-line block ×4, first 2 shown]
	s_waitcnt vmcnt(2)
	v_add_f64 v[43:44], v[69:70], -v[43:44]
	s_waitcnt vmcnt(0)
	v_add_f64 v[2:3], v[71:72], -v[2:3]
	buffer_store_dword v43, off, s[0:3], 0 offset:240
	buffer_store_dword v44, off, s[0:3], 0 offset:244
	;; [unrolled: 1-line block ×4, first 2 shown]
	v_cmpx_lt_u32_e32 13, v0
	s_cbranch_execz .LBB82_101
; %bb.100:
	v_mov_b32_e32 v2, s17
	s_clause 0x3
	buffer_load_dword v43, v2, s[0:3], 0 offen
	buffer_load_dword v44, v2, s[0:3], 0 offen offset:4
	buffer_load_dword v45, v2, s[0:3], 0 offen offset:8
	;; [unrolled: 1-line block ×3, first 2 shown]
	v_mov_b32_e32 v2, 0
	buffer_store_dword v2, off, s[0:3], 0 offset:224
	buffer_store_dword v2, off, s[0:3], 0 offset:228
	;; [unrolled: 1-line block ×4, first 2 shown]
	s_waitcnt vmcnt(0)
	ds_write_b128 v1, v[43:46]
.LBB82_101:
	s_or_b32 exec_lo, exec_lo, s4
	s_waitcnt lgkmcnt(0)
	s_waitcnt_vscnt null, 0x0
	s_barrier
	buffer_gl0_inv
	s_clause 0x17
	buffer_load_dword v3, off, s[0:3], 0 offset:248
	buffer_load_dword v4, off, s[0:3], 0 offset:252
	;; [unrolled: 1-line block ×24, first 2 shown]
	v_mov_b32_e32 v2, 0
	ds_read_b128 v[43:46], v2 offset:528
	ds_read_b128 v[47:50], v2 offset:544
	;; [unrolled: 1-line block ×3, first 2 shown]
	s_mov_b32 s4, exec_lo
	s_waitcnt vmcnt(22) lgkmcnt(2)
	v_mul_f64 v[77:78], v[45:46], v[3:4]
	v_mul_f64 v[3:4], v[43:44], v[3:4]
	s_waitcnt vmcnt(20) lgkmcnt(1)
	v_mul_f64 v[79:80], v[49:50], v[55:56]
	v_mul_f64 v[55:56], v[47:48], v[55:56]
	s_waitcnt vmcnt(18)
	v_fma_f64 v[77:78], v[43:44], v[57:58], -v[77:78]
	v_fma_f64 v[3:4], v[45:46], v[57:58], v[3:4]
	ds_read_b128 v[43:46], v2 offset:576
	s_waitcnt vmcnt(16) lgkmcnt(1)
	v_mul_f64 v[57:58], v[51:52], v[59:60]
	v_mul_f64 v[59:60], v[53:54], v[59:60]
	s_waitcnt vmcnt(14)
	v_fma_f64 v[79:80], v[47:48], v[61:62], -v[79:80]
	v_fma_f64 v[55:56], v[49:50], v[61:62], v[55:56]
	ds_read_b128 v[47:50], v2 offset:592
	s_waitcnt vmcnt(10) lgkmcnt(1)
	v_mul_f64 v[61:62], v[43:44], v[63:64]
	v_add_f64 v[77:78], v[77:78], 0
	v_add_f64 v[3:4], v[3:4], 0
	v_mul_f64 v[63:64], v[45:46], v[63:64]
	s_waitcnt vmcnt(8)
	v_fma_f64 v[51:52], v[51:52], v[69:70], -v[59:60]
	v_fma_f64 v[53:54], v[53:54], v[69:70], v[57:58]
	s_waitcnt vmcnt(7) lgkmcnt(0)
	v_mul_f64 v[57:58], v[49:50], v[65:66]
	s_waitcnt vmcnt(5)
	v_fma_f64 v[45:46], v[45:46], v[71:72], v[61:62]
	v_add_f64 v[59:60], v[77:78], v[79:80]
	v_add_f64 v[3:4], v[3:4], v[55:56]
	v_fma_f64 v[43:44], v[43:44], v[71:72], -v[63:64]
	v_mul_f64 v[55:56], v[47:48], v[65:66]
	s_waitcnt vmcnt(4)
	v_fma_f64 v[47:48], v[47:48], v[67:68], -v[57:58]
	v_add_f64 v[51:52], v[59:60], v[51:52]
	v_add_f64 v[3:4], v[3:4], v[53:54]
	v_fma_f64 v[49:50], v[49:50], v[67:68], v[55:56]
	v_add_f64 v[43:44], v[51:52], v[43:44]
	v_add_f64 v[3:4], v[3:4], v[45:46]
	;; [unrolled: 1-line block ×4, first 2 shown]
	s_waitcnt vmcnt(2)
	v_add_f64 v[43:44], v[73:74], -v[43:44]
	s_waitcnt vmcnt(0)
	v_add_f64 v[3:4], v[75:76], -v[3:4]
	buffer_store_dword v44, off, s[0:3], 0 offset:228
	buffer_store_dword v43, off, s[0:3], 0 offset:224
	;; [unrolled: 1-line block ×4, first 2 shown]
	v_cmpx_lt_u32_e32 12, v0
	s_cbranch_execz .LBB82_103
; %bb.102:
	v_mov_b32_e32 v3, s18
	s_clause 0x3
	buffer_load_dword v43, v3, s[0:3], 0 offen
	buffer_load_dword v44, v3, s[0:3], 0 offen offset:4
	buffer_load_dword v45, v3, s[0:3], 0 offen offset:8
	;; [unrolled: 1-line block ×3, first 2 shown]
	buffer_store_dword v2, off, s[0:3], 0 offset:208
	buffer_store_dword v2, off, s[0:3], 0 offset:212
	buffer_store_dword v2, off, s[0:3], 0 offset:216
	buffer_store_dword v2, off, s[0:3], 0 offset:220
	s_waitcnt vmcnt(0)
	ds_write_b128 v1, v[43:46]
.LBB82_103:
	s_or_b32 exec_lo, exec_lo, s4
	s_waitcnt lgkmcnt(0)
	s_waitcnt_vscnt null, 0x0
	s_barrier
	buffer_gl0_inv
	s_clause 0x1b
	buffer_load_dword v3, off, s[0:3], 0 offset:232
	buffer_load_dword v4, off, s[0:3], 0 offset:236
	;; [unrolled: 1-line block ×28, first 2 shown]
	ds_read_b128 v[43:46], v2 offset:512
	ds_read_b128 v[47:50], v2 offset:528
	ds_read_b128 v[51:54], v2 offset:544
	s_mov_b32 s4, exec_lo
	s_waitcnt vmcnt(26) lgkmcnt(2)
	v_mul_f64 v[81:82], v[45:46], v[3:4]
	v_mul_f64 v[3:4], v[43:44], v[3:4]
	s_waitcnt vmcnt(24) lgkmcnt(1)
	v_mul_f64 v[83:84], v[49:50], v[55:56]
	v_mul_f64 v[55:56], v[47:48], v[55:56]
	s_waitcnt vmcnt(22)
	v_fma_f64 v[81:82], v[43:44], v[57:58], -v[81:82]
	v_fma_f64 v[3:4], v[45:46], v[57:58], v[3:4]
	ds_read_b128 v[43:46], v2 offset:560
	s_waitcnt vmcnt(20) lgkmcnt(1)
	v_mul_f64 v[57:58], v[51:52], v[59:60]
	v_mul_f64 v[59:60], v[53:54], v[59:60]
	s_waitcnt vmcnt(18)
	v_fma_f64 v[83:84], v[47:48], v[61:62], -v[83:84]
	v_fma_f64 v[55:56], v[49:50], v[61:62], v[55:56]
	ds_read_b128 v[47:50], v2 offset:576
	s_waitcnt vmcnt(14) lgkmcnt(1)
	v_mul_f64 v[61:62], v[43:44], v[63:64]
	v_add_f64 v[81:82], v[81:82], 0
	v_add_f64 v[3:4], v[3:4], 0
	v_mul_f64 v[63:64], v[45:46], v[63:64]
	s_waitcnt vmcnt(12)
	v_fma_f64 v[59:60], v[51:52], v[69:70], -v[59:60]
	v_fma_f64 v[57:58], v[53:54], v[69:70], v[57:58]
	ds_read_b128 v[51:54], v2 offset:592
	s_waitcnt vmcnt(9)
	v_fma_f64 v[45:46], v[45:46], v[71:72], v[61:62]
	v_add_f64 v[81:82], v[81:82], v[83:84]
	v_add_f64 v[3:4], v[3:4], v[55:56]
	s_waitcnt lgkmcnt(1)
	v_mul_f64 v[55:56], v[47:48], v[65:66]
	v_mul_f64 v[65:66], v[49:50], v[65:66]
	v_fma_f64 v[43:44], v[43:44], v[71:72], -v[63:64]
	s_waitcnt vmcnt(7) lgkmcnt(0)
	v_mul_f64 v[61:62], v[53:54], v[73:74]
	v_add_f64 v[59:60], v[81:82], v[59:60]
	v_add_f64 v[2:3], v[3:4], v[57:58]
	v_mul_f64 v[57:58], v[51:52], v[73:74]
	s_waitcnt vmcnt(6)
	v_fma_f64 v[47:48], v[47:48], v[67:68], -v[65:66]
	v_fma_f64 v[49:50], v[49:50], v[67:68], v[55:56]
	v_add_f64 v[43:44], v[59:60], v[43:44]
	v_add_f64 v[2:3], v[2:3], v[45:46]
	s_waitcnt vmcnt(4)
	v_fma_f64 v[45:46], v[51:52], v[75:76], -v[61:62]
	v_add_f64 v[43:44], v[43:44], v[47:48]
	v_fma_f64 v[47:48], v[53:54], v[75:76], v[57:58]
	v_add_f64 v[2:3], v[2:3], v[49:50]
	v_add_f64 v[43:44], v[43:44], v[45:46]
	;; [unrolled: 1-line block ×3, first 2 shown]
	s_waitcnt vmcnt(2)
	v_add_f64 v[43:44], v[77:78], -v[43:44]
	s_waitcnt vmcnt(0)
	v_add_f64 v[2:3], v[79:80], -v[2:3]
	buffer_store_dword v44, off, s[0:3], 0 offset:212
	buffer_store_dword v43, off, s[0:3], 0 offset:208
	buffer_store_dword v3, off, s[0:3], 0 offset:220
	buffer_store_dword v2, off, s[0:3], 0 offset:216
	v_cmpx_lt_u32_e32 11, v0
	s_cbranch_execz .LBB82_105
; %bb.104:
	v_mov_b32_e32 v2, s19
	s_clause 0x3
	buffer_load_dword v43, v2, s[0:3], 0 offen
	buffer_load_dword v44, v2, s[0:3], 0 offen offset:4
	buffer_load_dword v45, v2, s[0:3], 0 offen offset:8
	;; [unrolled: 1-line block ×3, first 2 shown]
	v_mov_b32_e32 v2, 0
	buffer_store_dword v2, off, s[0:3], 0 offset:192
	buffer_store_dword v2, off, s[0:3], 0 offset:196
	;; [unrolled: 1-line block ×4, first 2 shown]
	s_waitcnt vmcnt(0)
	ds_write_b128 v1, v[43:46]
.LBB82_105:
	s_or_b32 exec_lo, exec_lo, s4
	s_waitcnt lgkmcnt(0)
	s_waitcnt_vscnt null, 0x0
	s_barrier
	buffer_gl0_inv
	s_clause 0x1f
	buffer_load_dword v3, off, s[0:3], 0 offset:216
	buffer_load_dword v4, off, s[0:3], 0 offset:220
	;; [unrolled: 1-line block ×32, first 2 shown]
	v_mov_b32_e32 v2, 0
	ds_read_b128 v[43:46], v2 offset:496
	ds_read_b128 v[47:50], v2 offset:512
	;; [unrolled: 1-line block ×3, first 2 shown]
	s_mov_b32 s4, exec_lo
	s_waitcnt vmcnt(30) lgkmcnt(2)
	v_mul_f64 v[85:86], v[45:46], v[3:4]
	v_mul_f64 v[3:4], v[43:44], v[3:4]
	s_waitcnt vmcnt(28) lgkmcnt(1)
	v_mul_f64 v[87:88], v[49:50], v[55:56]
	v_mul_f64 v[55:56], v[47:48], v[55:56]
	s_waitcnt vmcnt(26)
	v_fma_f64 v[85:86], v[43:44], v[57:58], -v[85:86]
	v_fma_f64 v[3:4], v[45:46], v[57:58], v[3:4]
	ds_read_b128 v[43:46], v2 offset:544
	s_waitcnt vmcnt(24) lgkmcnt(1)
	v_mul_f64 v[57:58], v[51:52], v[59:60]
	v_mul_f64 v[59:60], v[53:54], v[59:60]
	s_waitcnt vmcnt(22)
	v_fma_f64 v[87:88], v[47:48], v[61:62], -v[87:88]
	v_fma_f64 v[55:56], v[49:50], v[61:62], v[55:56]
	ds_read_b128 v[47:50], v2 offset:560
	s_waitcnt vmcnt(18) lgkmcnt(1)
	v_mul_f64 v[61:62], v[43:44], v[63:64]
	v_add_f64 v[85:86], v[85:86], 0
	v_add_f64 v[3:4], v[3:4], 0
	v_mul_f64 v[63:64], v[45:46], v[63:64]
	s_waitcnt vmcnt(16)
	v_fma_f64 v[59:60], v[51:52], v[69:70], -v[59:60]
	v_fma_f64 v[57:58], v[53:54], v[69:70], v[57:58]
	ds_read_b128 v[51:54], v2 offset:576
	s_waitcnt vmcnt(13)
	v_fma_f64 v[61:62], v[45:46], v[71:72], v[61:62]
	v_add_f64 v[85:86], v[85:86], v[87:88]
	v_add_f64 v[3:4], v[3:4], v[55:56]
	s_waitcnt lgkmcnt(1)
	v_mul_f64 v[55:56], v[47:48], v[65:66]
	v_mul_f64 v[65:66], v[49:50], v[65:66]
	v_fma_f64 v[63:64], v[43:44], v[71:72], -v[63:64]
	s_waitcnt vmcnt(9) lgkmcnt(0)
	v_mul_f64 v[69:70], v[53:54], v[73:74]
	ds_read_b128 v[43:46], v2 offset:592
	v_add_f64 v[59:60], v[85:86], v[59:60]
	v_add_f64 v[3:4], v[3:4], v[57:58]
	v_mul_f64 v[57:58], v[51:52], v[73:74]
	s_waitcnt vmcnt(8)
	v_fma_f64 v[47:48], v[47:48], v[67:68], -v[65:66]
	v_fma_f64 v[49:50], v[49:50], v[67:68], v[55:56]
	s_waitcnt vmcnt(5)
	v_fma_f64 v[51:52], v[51:52], v[79:80], -v[69:70]
	s_waitcnt lgkmcnt(0)
	v_mul_f64 v[55:56], v[43:44], v[75:76]
	v_add_f64 v[59:60], v[59:60], v[63:64]
	v_add_f64 v[3:4], v[3:4], v[61:62]
	v_mul_f64 v[61:62], v[45:46], v[75:76]
	v_fma_f64 v[53:54], v[53:54], v[79:80], v[57:58]
	s_waitcnt vmcnt(4)
	v_fma_f64 v[45:46], v[45:46], v[77:78], v[55:56]
	v_add_f64 v[47:48], v[59:60], v[47:48]
	v_add_f64 v[3:4], v[3:4], v[49:50]
	v_fma_f64 v[43:44], v[43:44], v[77:78], -v[61:62]
	v_add_f64 v[47:48], v[47:48], v[51:52]
	v_add_f64 v[3:4], v[3:4], v[53:54]
	;; [unrolled: 1-line block ×4, first 2 shown]
	s_waitcnt vmcnt(2)
	v_add_f64 v[43:44], v[81:82], -v[43:44]
	s_waitcnt vmcnt(0)
	v_add_f64 v[3:4], v[83:84], -v[3:4]
	buffer_store_dword v44, off, s[0:3], 0 offset:196
	buffer_store_dword v43, off, s[0:3], 0 offset:192
	;; [unrolled: 1-line block ×4, first 2 shown]
	v_cmpx_lt_u32_e32 10, v0
	s_cbranch_execz .LBB82_107
; %bb.106:
	v_mov_b32_e32 v3, s20
	s_clause 0x3
	buffer_load_dword v43, v3, s[0:3], 0 offen
	buffer_load_dword v44, v3, s[0:3], 0 offen offset:4
	buffer_load_dword v45, v3, s[0:3], 0 offen offset:8
	;; [unrolled: 1-line block ×3, first 2 shown]
	buffer_store_dword v2, off, s[0:3], 0 offset:176
	buffer_store_dword v2, off, s[0:3], 0 offset:180
	;; [unrolled: 1-line block ×4, first 2 shown]
	s_waitcnt vmcnt(0)
	ds_write_b128 v1, v[43:46]
.LBB82_107:
	s_or_b32 exec_lo, exec_lo, s4
	s_waitcnt lgkmcnt(0)
	s_waitcnt_vscnt null, 0x0
	s_barrier
	buffer_gl0_inv
	s_clause 0x23
	buffer_load_dword v3, off, s[0:3], 0 offset:200
	buffer_load_dword v4, off, s[0:3], 0 offset:204
	;; [unrolled: 1-line block ×36, first 2 shown]
	ds_read_b128 v[43:46], v2 offset:480
	ds_read_b128 v[47:50], v2 offset:496
	ds_read_b128 v[51:54], v2 offset:512
	s_mov_b32 s4, exec_lo
	s_waitcnt vmcnt(34) lgkmcnt(2)
	v_mul_f64 v[89:90], v[45:46], v[3:4]
	v_mul_f64 v[3:4], v[43:44], v[3:4]
	s_waitcnt vmcnt(32) lgkmcnt(1)
	v_mul_f64 v[91:92], v[49:50], v[55:56]
	v_mul_f64 v[55:56], v[47:48], v[55:56]
	s_waitcnt vmcnt(30)
	v_fma_f64 v[89:90], v[43:44], v[57:58], -v[89:90]
	v_fma_f64 v[3:4], v[45:46], v[57:58], v[3:4]
	ds_read_b128 v[43:46], v2 offset:528
	s_waitcnt vmcnt(28) lgkmcnt(1)
	v_mul_f64 v[57:58], v[51:52], v[59:60]
	v_mul_f64 v[59:60], v[53:54], v[59:60]
	s_waitcnt vmcnt(26)
	v_fma_f64 v[91:92], v[47:48], v[61:62], -v[91:92]
	v_fma_f64 v[55:56], v[49:50], v[61:62], v[55:56]
	ds_read_b128 v[47:50], v2 offset:544
	s_waitcnt vmcnt(22) lgkmcnt(1)
	v_mul_f64 v[61:62], v[43:44], v[63:64]
	v_add_f64 v[89:90], v[89:90], 0
	v_add_f64 v[3:4], v[3:4], 0
	v_mul_f64 v[63:64], v[45:46], v[63:64]
	s_waitcnt vmcnt(20)
	v_fma_f64 v[59:60], v[51:52], v[69:70], -v[59:60]
	v_fma_f64 v[57:58], v[53:54], v[69:70], v[57:58]
	ds_read_b128 v[51:54], v2 offset:560
	s_waitcnt vmcnt(17)
	v_fma_f64 v[61:62], v[45:46], v[71:72], v[61:62]
	v_add_f64 v[89:90], v[89:90], v[91:92]
	v_add_f64 v[3:4], v[3:4], v[55:56]
	s_waitcnt lgkmcnt(1)
	v_mul_f64 v[55:56], v[47:48], v[65:66]
	v_mul_f64 v[65:66], v[49:50], v[65:66]
	v_fma_f64 v[63:64], v[43:44], v[71:72], -v[63:64]
	s_waitcnt vmcnt(13) lgkmcnt(0)
	v_mul_f64 v[69:70], v[53:54], v[73:74]
	ds_read_b128 v[43:46], v2 offset:576
	v_add_f64 v[59:60], v[89:90], v[59:60]
	v_add_f64 v[3:4], v[3:4], v[57:58]
	v_mul_f64 v[57:58], v[51:52], v[73:74]
	s_waitcnt vmcnt(12)
	v_fma_f64 v[65:66], v[47:48], v[67:68], -v[65:66]
	v_fma_f64 v[55:56], v[49:50], v[67:68], v[55:56]
	ds_read_b128 v[47:50], v2 offset:592
	s_waitcnt vmcnt(9)
	v_fma_f64 v[51:52], v[51:52], v[79:80], -v[69:70]
	v_add_f64 v[59:60], v[59:60], v[63:64]
	v_add_f64 v[3:4], v[3:4], v[61:62]
	s_waitcnt lgkmcnt(1)
	v_mul_f64 v[63:64], v[45:46], v[75:76]
	v_mul_f64 v[61:62], v[43:44], v[75:76]
	v_fma_f64 v[53:54], v[53:54], v[79:80], v[57:58]
	s_waitcnt vmcnt(7) lgkmcnt(0)
	v_mul_f64 v[57:58], v[49:50], v[81:82]
	v_add_f64 v[59:60], v[59:60], v[65:66]
	v_add_f64 v[2:3], v[3:4], v[55:56]
	s_waitcnt vmcnt(6)
	v_fma_f64 v[43:44], v[43:44], v[77:78], -v[63:64]
	v_mul_f64 v[55:56], v[47:48], v[81:82]
	v_fma_f64 v[45:46], v[45:46], v[77:78], v[61:62]
	s_waitcnt vmcnt(4)
	v_fma_f64 v[47:48], v[47:48], v[83:84], -v[57:58]
	v_add_f64 v[51:52], v[59:60], v[51:52]
	v_add_f64 v[2:3], v[2:3], v[53:54]
	v_fma_f64 v[49:50], v[49:50], v[83:84], v[55:56]
	v_add_f64 v[43:44], v[51:52], v[43:44]
	v_add_f64 v[2:3], v[2:3], v[45:46]
	;; [unrolled: 1-line block ×4, first 2 shown]
	s_waitcnt vmcnt(2)
	v_add_f64 v[43:44], v[85:86], -v[43:44]
	s_waitcnt vmcnt(0)
	v_add_f64 v[2:3], v[87:88], -v[2:3]
	buffer_store_dword v44, off, s[0:3], 0 offset:180
	buffer_store_dword v43, off, s[0:3], 0 offset:176
	;; [unrolled: 1-line block ×4, first 2 shown]
	v_cmpx_lt_u32_e32 9, v0
	s_cbranch_execz .LBB82_109
; %bb.108:
	v_mov_b32_e32 v2, s21
	s_clause 0x3
	buffer_load_dword v43, v2, s[0:3], 0 offen
	buffer_load_dword v44, v2, s[0:3], 0 offen offset:4
	buffer_load_dword v45, v2, s[0:3], 0 offen offset:8
	;; [unrolled: 1-line block ×3, first 2 shown]
	v_mov_b32_e32 v2, 0
	buffer_store_dword v2, off, s[0:3], 0 offset:160
	buffer_store_dword v2, off, s[0:3], 0 offset:164
	;; [unrolled: 1-line block ×4, first 2 shown]
	s_waitcnt vmcnt(0)
	ds_write_b128 v1, v[43:46]
.LBB82_109:
	s_or_b32 exec_lo, exec_lo, s4
	s_waitcnt lgkmcnt(0)
	s_waitcnt_vscnt null, 0x0
	s_barrier
	buffer_gl0_inv
	s_clause 0x27
	buffer_load_dword v3, off, s[0:3], 0 offset:184
	buffer_load_dword v4, off, s[0:3], 0 offset:188
	;; [unrolled: 1-line block ×40, first 2 shown]
	v_mov_b32_e32 v2, 0
	ds_read_b128 v[43:46], v2 offset:464
	ds_read_b128 v[47:50], v2 offset:480
	ds_read_b128 v[51:54], v2 offset:496
	s_mov_b32 s4, exec_lo
	s_waitcnt vmcnt(38) lgkmcnt(2)
	v_mul_f64 v[93:94], v[45:46], v[3:4]
	v_mul_f64 v[3:4], v[43:44], v[3:4]
	s_waitcnt vmcnt(36) lgkmcnt(1)
	v_mul_f64 v[95:96], v[49:50], v[55:56]
	v_mul_f64 v[55:56], v[47:48], v[55:56]
	s_waitcnt vmcnt(34)
	v_fma_f64 v[93:94], v[43:44], v[57:58], -v[93:94]
	v_fma_f64 v[3:4], v[45:46], v[57:58], v[3:4]
	ds_read_b128 v[43:46], v2 offset:512
	s_waitcnt vmcnt(32) lgkmcnt(1)
	v_mul_f64 v[57:58], v[51:52], v[59:60]
	v_mul_f64 v[59:60], v[53:54], v[59:60]
	s_waitcnt vmcnt(30)
	v_fma_f64 v[95:96], v[47:48], v[61:62], -v[95:96]
	v_fma_f64 v[55:56], v[49:50], v[61:62], v[55:56]
	ds_read_b128 v[47:50], v2 offset:528
	s_waitcnt vmcnt(26) lgkmcnt(1)
	v_mul_f64 v[61:62], v[43:44], v[63:64]
	v_add_f64 v[93:94], v[93:94], 0
	v_add_f64 v[3:4], v[3:4], 0
	v_mul_f64 v[63:64], v[45:46], v[63:64]
	s_waitcnt vmcnt(24)
	v_fma_f64 v[59:60], v[51:52], v[69:70], -v[59:60]
	v_fma_f64 v[57:58], v[53:54], v[69:70], v[57:58]
	ds_read_b128 v[51:54], v2 offset:544
	s_waitcnt vmcnt(21)
	v_fma_f64 v[61:62], v[45:46], v[71:72], v[61:62]
	v_add_f64 v[93:94], v[93:94], v[95:96]
	v_add_f64 v[3:4], v[3:4], v[55:56]
	s_waitcnt lgkmcnt(1)
	v_mul_f64 v[55:56], v[47:48], v[65:66]
	v_mul_f64 v[65:66], v[49:50], v[65:66]
	v_fma_f64 v[63:64], v[43:44], v[71:72], -v[63:64]
	s_waitcnt vmcnt(17) lgkmcnt(0)
	v_mul_f64 v[69:70], v[53:54], v[73:74]
	ds_read_b128 v[43:46], v2 offset:560
	v_add_f64 v[59:60], v[93:94], v[59:60]
	v_add_f64 v[3:4], v[3:4], v[57:58]
	v_mul_f64 v[57:58], v[51:52], v[73:74]
	s_waitcnt vmcnt(16)
	v_fma_f64 v[65:66], v[47:48], v[67:68], -v[65:66]
	v_fma_f64 v[55:56], v[49:50], v[67:68], v[55:56]
	ds_read_b128 v[47:50], v2 offset:576
	s_waitcnt vmcnt(13)
	v_fma_f64 v[67:68], v[51:52], v[79:80], -v[69:70]
	v_add_f64 v[59:60], v[59:60], v[63:64]
	v_add_f64 v[3:4], v[3:4], v[61:62]
	s_waitcnt lgkmcnt(1)
	v_mul_f64 v[63:64], v[45:46], v[75:76]
	v_mul_f64 v[61:62], v[43:44], v[75:76]
	v_fma_f64 v[57:58], v[53:54], v[79:80], v[57:58]
	ds_read_b128 v[51:54], v2 offset:592
	v_add_f64 v[59:60], v[59:60], v[65:66]
	v_add_f64 v[3:4], v[3:4], v[55:56]
	s_waitcnt vmcnt(9) lgkmcnt(1)
	v_mul_f64 v[65:66], v[49:50], v[81:82]
	s_waitcnt vmcnt(8)
	v_fma_f64 v[43:44], v[43:44], v[77:78], -v[63:64]
	v_mul_f64 v[55:56], v[47:48], v[81:82]
	v_fma_f64 v[45:46], v[45:46], v[77:78], v[61:62]
	s_waitcnt vmcnt(7) lgkmcnt(0)
	v_mul_f64 v[61:62], v[53:54], v[83:84]
	v_add_f64 v[59:60], v[59:60], v[67:68]
	v_add_f64 v[3:4], v[3:4], v[57:58]
	s_waitcnt vmcnt(5)
	v_fma_f64 v[47:48], v[47:48], v[87:88], -v[65:66]
	v_mul_f64 v[57:58], v[51:52], v[83:84]
	v_fma_f64 v[49:50], v[49:50], v[87:88], v[55:56]
	v_add_f64 v[43:44], v[59:60], v[43:44]
	v_add_f64 v[3:4], v[3:4], v[45:46]
	s_waitcnt vmcnt(4)
	v_fma_f64 v[45:46], v[51:52], v[85:86], -v[61:62]
	v_add_f64 v[43:44], v[43:44], v[47:48]
	v_fma_f64 v[47:48], v[53:54], v[85:86], v[57:58]
	v_add_f64 v[3:4], v[3:4], v[49:50]
	v_add_f64 v[43:44], v[43:44], v[45:46]
	;; [unrolled: 1-line block ×3, first 2 shown]
	s_waitcnt vmcnt(2)
	v_add_f64 v[43:44], v[89:90], -v[43:44]
	s_waitcnt vmcnt(0)
	v_add_f64 v[3:4], v[91:92], -v[3:4]
	buffer_store_dword v44, off, s[0:3], 0 offset:164
	buffer_store_dword v43, off, s[0:3], 0 offset:160
	;; [unrolled: 1-line block ×4, first 2 shown]
	v_cmpx_lt_u32_e32 8, v0
	s_cbranch_execz .LBB82_111
; %bb.110:
	v_mov_b32_e32 v3, s22
	s_clause 0x3
	buffer_load_dword v43, v3, s[0:3], 0 offen
	buffer_load_dword v44, v3, s[0:3], 0 offen offset:4
	buffer_load_dword v45, v3, s[0:3], 0 offen offset:8
	;; [unrolled: 1-line block ×3, first 2 shown]
	buffer_store_dword v2, off, s[0:3], 0 offset:144
	buffer_store_dword v2, off, s[0:3], 0 offset:148
	;; [unrolled: 1-line block ×4, first 2 shown]
	s_waitcnt vmcnt(0)
	ds_write_b128 v1, v[43:46]
.LBB82_111:
	s_or_b32 exec_lo, exec_lo, s4
	s_waitcnt lgkmcnt(0)
	s_waitcnt_vscnt null, 0x0
	s_barrier
	buffer_gl0_inv
	s_clause 0x2b
	buffer_load_dword v3, off, s[0:3], 0 offset:168
	buffer_load_dword v4, off, s[0:3], 0 offset:172
	;; [unrolled: 1-line block ×44, first 2 shown]
	ds_read_b128 v[43:46], v2 offset:448
	ds_read_b128 v[47:50], v2 offset:464
	;; [unrolled: 1-line block ×3, first 2 shown]
	s_mov_b32 s4, exec_lo
	s_waitcnt vmcnt(42) lgkmcnt(2)
	v_mul_f64 v[97:98], v[45:46], v[3:4]
	v_mul_f64 v[3:4], v[43:44], v[3:4]
	s_waitcnt vmcnt(40) lgkmcnt(1)
	v_mul_f64 v[99:100], v[49:50], v[55:56]
	v_mul_f64 v[55:56], v[47:48], v[55:56]
	s_waitcnt vmcnt(38)
	v_fma_f64 v[97:98], v[43:44], v[57:58], -v[97:98]
	v_fma_f64 v[3:4], v[45:46], v[57:58], v[3:4]
	ds_read_b128 v[43:46], v2 offset:496
	s_waitcnt vmcnt(36) lgkmcnt(1)
	v_mul_f64 v[57:58], v[51:52], v[59:60]
	v_mul_f64 v[59:60], v[53:54], v[59:60]
	s_waitcnt vmcnt(34)
	v_fma_f64 v[99:100], v[47:48], v[61:62], -v[99:100]
	v_fma_f64 v[55:56], v[49:50], v[61:62], v[55:56]
	ds_read_b128 v[47:50], v2 offset:512
	s_waitcnt vmcnt(30) lgkmcnt(1)
	v_mul_f64 v[61:62], v[43:44], v[63:64]
	v_add_f64 v[97:98], v[97:98], 0
	v_add_f64 v[3:4], v[3:4], 0
	v_mul_f64 v[63:64], v[45:46], v[63:64]
	s_waitcnt vmcnt(28)
	v_fma_f64 v[59:60], v[51:52], v[69:70], -v[59:60]
	v_fma_f64 v[57:58], v[53:54], v[69:70], v[57:58]
	ds_read_b128 v[51:54], v2 offset:528
	s_waitcnt vmcnt(25)
	v_fma_f64 v[61:62], v[45:46], v[71:72], v[61:62]
	v_add_f64 v[97:98], v[97:98], v[99:100]
	v_add_f64 v[3:4], v[3:4], v[55:56]
	s_waitcnt lgkmcnt(1)
	v_mul_f64 v[55:56], v[47:48], v[65:66]
	v_mul_f64 v[65:66], v[49:50], v[65:66]
	v_fma_f64 v[63:64], v[43:44], v[71:72], -v[63:64]
	s_waitcnt vmcnt(21) lgkmcnt(0)
	v_mul_f64 v[69:70], v[53:54], v[73:74]
	ds_read_b128 v[43:46], v2 offset:544
	v_add_f64 v[59:60], v[97:98], v[59:60]
	v_add_f64 v[3:4], v[3:4], v[57:58]
	v_mul_f64 v[57:58], v[51:52], v[73:74]
	s_waitcnt vmcnt(20)
	v_fma_f64 v[65:66], v[47:48], v[67:68], -v[65:66]
	v_fma_f64 v[55:56], v[49:50], v[67:68], v[55:56]
	ds_read_b128 v[47:50], v2 offset:560
	s_waitcnt vmcnt(17)
	v_fma_f64 v[67:68], v[51:52], v[79:80], -v[69:70]
	v_add_f64 v[59:60], v[59:60], v[63:64]
	v_add_f64 v[3:4], v[3:4], v[61:62]
	s_waitcnt lgkmcnt(1)
	v_mul_f64 v[63:64], v[45:46], v[75:76]
	v_mul_f64 v[61:62], v[43:44], v[75:76]
	v_fma_f64 v[57:58], v[53:54], v[79:80], v[57:58]
	ds_read_b128 v[51:54], v2 offset:576
	v_add_f64 v[59:60], v[59:60], v[65:66]
	v_add_f64 v[3:4], v[3:4], v[55:56]
	s_waitcnt vmcnt(13) lgkmcnt(1)
	v_mul_f64 v[65:66], v[49:50], v[81:82]
	s_waitcnt vmcnt(12)
	v_fma_f64 v[63:64], v[43:44], v[77:78], -v[63:64]
	v_mul_f64 v[55:56], v[47:48], v[81:82]
	v_fma_f64 v[61:62], v[45:46], v[77:78], v[61:62]
	ds_read_b128 v[43:46], v2 offset:592
	v_add_f64 v[59:60], v[59:60], v[67:68]
	v_add_f64 v[3:4], v[3:4], v[57:58]
	s_waitcnt vmcnt(11) lgkmcnt(1)
	v_mul_f64 v[67:68], v[53:54], v[83:84]
	s_waitcnt vmcnt(9)
	v_fma_f64 v[47:48], v[47:48], v[87:88], -v[65:66]
	v_mul_f64 v[57:58], v[51:52], v[83:84]
	v_fma_f64 v[49:50], v[49:50], v[87:88], v[55:56]
	s_waitcnt vmcnt(7) lgkmcnt(0)
	v_mul_f64 v[55:56], v[43:44], v[89:90]
	v_add_f64 v[59:60], v[59:60], v[63:64]
	v_add_f64 v[2:3], v[3:4], v[61:62]
	v_mul_f64 v[61:62], v[45:46], v[89:90]
	s_waitcnt vmcnt(6)
	v_fma_f64 v[51:52], v[51:52], v[85:86], -v[67:68]
	v_fma_f64 v[53:54], v[53:54], v[85:86], v[57:58]
	s_waitcnt vmcnt(4)
	v_fma_f64 v[45:46], v[45:46], v[91:92], v[55:56]
	v_add_f64 v[47:48], v[59:60], v[47:48]
	v_add_f64 v[2:3], v[2:3], v[49:50]
	v_fma_f64 v[43:44], v[43:44], v[91:92], -v[61:62]
	v_add_f64 v[47:48], v[47:48], v[51:52]
	v_add_f64 v[2:3], v[2:3], v[53:54]
	;; [unrolled: 1-line block ×4, first 2 shown]
	s_waitcnt vmcnt(2)
	v_add_f64 v[43:44], v[93:94], -v[43:44]
	s_waitcnt vmcnt(0)
	v_add_f64 v[2:3], v[95:96], -v[2:3]
	buffer_store_dword v44, off, s[0:3], 0 offset:148
	buffer_store_dword v43, off, s[0:3], 0 offset:144
	buffer_store_dword v3, off, s[0:3], 0 offset:156
	buffer_store_dword v2, off, s[0:3], 0 offset:152
	v_cmpx_lt_u32_e32 7, v0
	s_cbranch_execz .LBB82_113
; %bb.112:
	v_mov_b32_e32 v2, s23
	s_clause 0x3
	buffer_load_dword v43, v2, s[0:3], 0 offen
	buffer_load_dword v44, v2, s[0:3], 0 offen offset:4
	buffer_load_dword v45, v2, s[0:3], 0 offen offset:8
	;; [unrolled: 1-line block ×3, first 2 shown]
	v_mov_b32_e32 v2, 0
	buffer_store_dword v2, off, s[0:3], 0 offset:128
	buffer_store_dword v2, off, s[0:3], 0 offset:132
	;; [unrolled: 1-line block ×4, first 2 shown]
	s_waitcnt vmcnt(0)
	ds_write_b128 v1, v[43:46]
.LBB82_113:
	s_or_b32 exec_lo, exec_lo, s4
	s_waitcnt lgkmcnt(0)
	s_waitcnt_vscnt null, 0x0
	s_barrier
	buffer_gl0_inv
	s_clause 0x2f
	buffer_load_dword v3, off, s[0:3], 0 offset:152
	buffer_load_dword v4, off, s[0:3], 0 offset:156
	buffer_load_dword v55, off, s[0:3], 0 offset:168
	buffer_load_dword v56, off, s[0:3], 0 offset:172
	buffer_load_dword v57, off, s[0:3], 0 offset:144
	buffer_load_dword v58, off, s[0:3], 0 offset:148
	buffer_load_dword v59, off, s[0:3], 0 offset:184
	buffer_load_dword v60, off, s[0:3], 0 offset:188
	buffer_load_dword v61, off, s[0:3], 0 offset:160
	buffer_load_dword v62, off, s[0:3], 0 offset:164
	buffer_load_dword v64, off, s[0:3], 0 offset:204
	buffer_load_dword v65, off, s[0:3], 0 offset:216
	buffer_load_dword v67, off, s[0:3], 0 offset:208
	buffer_load_dword v63, off, s[0:3], 0 offset:200
	buffer_load_dword v69, off, s[0:3], 0 offset:176
	buffer_load_dword v70, off, s[0:3], 0 offset:180
	buffer_load_dword v66, off, s[0:3], 0 offset:220
	buffer_load_dword v72, off, s[0:3], 0 offset:196
	buffer_load_dword v71, off, s[0:3], 0 offset:192
	buffer_load_dword v74, off, s[0:3], 0 offset:236
	buffer_load_dword v75, off, s[0:3], 0 offset:248
	buffer_load_dword v77, off, s[0:3], 0 offset:240
	buffer_load_dword v73, off, s[0:3], 0 offset:232
	buffer_load_dword v68, off, s[0:3], 0 offset:212
	buffer_load_dword v76, off, s[0:3], 0 offset:252
	buffer_load_dword v80, off, s[0:3], 0 offset:228
	buffer_load_dword v79, off, s[0:3], 0 offset:224
	buffer_load_dword v82, off, s[0:3], 0 offset:268
	buffer_load_dword v83, off, s[0:3], 0 offset:280
	buffer_load_dword v85, off, s[0:3], 0 offset:272
	buffer_load_dword v81, off, s[0:3], 0 offset:264
	buffer_load_dword v78, off, s[0:3], 0 offset:244
	buffer_load_dword v84, off, s[0:3], 0 offset:284
	buffer_load_dword v88, off, s[0:3], 0 offset:260
	buffer_load_dword v87, off, s[0:3], 0 offset:256
	buffer_load_dword v90, off, s[0:3], 0 offset:300
	buffer_load_dword v91, off, s[0:3], 0 offset:312
	buffer_load_dword v93, off, s[0:3], 0 offset:304
	buffer_load_dword v89, off, s[0:3], 0 offset:296
	buffer_load_dword v86, off, s[0:3], 0 offset:276
	buffer_load_dword v92, off, s[0:3], 0 offset:316
	buffer_load_dword v96, off, s[0:3], 0 offset:292
	buffer_load_dword v95, off, s[0:3], 0 offset:288
	buffer_load_dword v94, off, s[0:3], 0 offset:308
	buffer_load_dword v97, off, s[0:3], 0 offset:128
	buffer_load_dword v98, off, s[0:3], 0 offset:132
	buffer_load_dword v99, off, s[0:3], 0 offset:136
	buffer_load_dword v100, off, s[0:3], 0 offset:140
	v_mov_b32_e32 v2, 0
	ds_read_b128 v[43:46], v2 offset:432
	ds_read_b128 v[47:50], v2 offset:448
	;; [unrolled: 1-line block ×3, first 2 shown]
	s_mov_b32 s4, exec_lo
	s_waitcnt vmcnt(46) lgkmcnt(2)
	v_mul_f64 v[101:102], v[45:46], v[3:4]
	v_mul_f64 v[3:4], v[43:44], v[3:4]
	s_waitcnt vmcnt(44) lgkmcnt(1)
	v_mul_f64 v[103:104], v[49:50], v[55:56]
	v_mul_f64 v[55:56], v[47:48], v[55:56]
	s_waitcnt vmcnt(42)
	v_fma_f64 v[101:102], v[43:44], v[57:58], -v[101:102]
	v_fma_f64 v[3:4], v[45:46], v[57:58], v[3:4]
	ds_read_b128 v[43:46], v2 offset:480
	s_waitcnt vmcnt(40) lgkmcnt(1)
	v_mul_f64 v[57:58], v[51:52], v[59:60]
	v_mul_f64 v[59:60], v[53:54], v[59:60]
	s_waitcnt vmcnt(38)
	v_fma_f64 v[103:104], v[47:48], v[61:62], -v[103:104]
	v_fma_f64 v[55:56], v[49:50], v[61:62], v[55:56]
	ds_read_b128 v[47:50], v2 offset:496
	s_waitcnt vmcnt(34) lgkmcnt(1)
	v_mul_f64 v[61:62], v[43:44], v[63:64]
	v_add_f64 v[101:102], v[101:102], 0
	v_add_f64 v[3:4], v[3:4], 0
	v_mul_f64 v[63:64], v[45:46], v[63:64]
	s_waitcnt vmcnt(32)
	v_fma_f64 v[59:60], v[51:52], v[69:70], -v[59:60]
	v_fma_f64 v[57:58], v[53:54], v[69:70], v[57:58]
	ds_read_b128 v[51:54], v2 offset:512
	s_waitcnt vmcnt(29)
	v_fma_f64 v[61:62], v[45:46], v[71:72], v[61:62]
	v_add_f64 v[101:102], v[101:102], v[103:104]
	v_add_f64 v[3:4], v[3:4], v[55:56]
	s_waitcnt lgkmcnt(1)
	v_mul_f64 v[55:56], v[47:48], v[65:66]
	v_mul_f64 v[65:66], v[49:50], v[65:66]
	v_fma_f64 v[63:64], v[43:44], v[71:72], -v[63:64]
	s_waitcnt vmcnt(25) lgkmcnt(0)
	v_mul_f64 v[69:70], v[53:54], v[73:74]
	ds_read_b128 v[43:46], v2 offset:528
	v_add_f64 v[59:60], v[101:102], v[59:60]
	v_add_f64 v[3:4], v[3:4], v[57:58]
	v_mul_f64 v[57:58], v[51:52], v[73:74]
	s_waitcnt vmcnt(24)
	v_fma_f64 v[65:66], v[47:48], v[67:68], -v[65:66]
	v_fma_f64 v[55:56], v[49:50], v[67:68], v[55:56]
	ds_read_b128 v[47:50], v2 offset:544
	s_waitcnt vmcnt(21)
	v_fma_f64 v[67:68], v[51:52], v[79:80], -v[69:70]
	v_add_f64 v[59:60], v[59:60], v[63:64]
	v_add_f64 v[3:4], v[3:4], v[61:62]
	s_waitcnt lgkmcnt(1)
	v_mul_f64 v[63:64], v[45:46], v[75:76]
	v_mul_f64 v[61:62], v[43:44], v[75:76]
	v_fma_f64 v[57:58], v[53:54], v[79:80], v[57:58]
	ds_read_b128 v[51:54], v2 offset:560
	v_add_f64 v[59:60], v[59:60], v[65:66]
	v_add_f64 v[3:4], v[3:4], v[55:56]
	s_waitcnt vmcnt(17) lgkmcnt(1)
	v_mul_f64 v[65:66], v[49:50], v[81:82]
	s_waitcnt vmcnt(16)
	v_fma_f64 v[63:64], v[43:44], v[77:78], -v[63:64]
	v_mul_f64 v[55:56], v[47:48], v[81:82]
	v_fma_f64 v[61:62], v[45:46], v[77:78], v[61:62]
	ds_read_b128 v[43:46], v2 offset:576
	v_add_f64 v[59:60], v[59:60], v[67:68]
	v_add_f64 v[3:4], v[3:4], v[57:58]
	s_waitcnt vmcnt(15) lgkmcnt(1)
	v_mul_f64 v[67:68], v[53:54], v[83:84]
	s_waitcnt vmcnt(13)
	v_fma_f64 v[65:66], v[47:48], v[87:88], -v[65:66]
	v_mul_f64 v[57:58], v[51:52], v[83:84]
	v_fma_f64 v[55:56], v[49:50], v[87:88], v[55:56]
	ds_read_b128 v[47:50], v2 offset:592
	v_add_f64 v[59:60], v[59:60], v[63:64]
	v_add_f64 v[3:4], v[3:4], v[61:62]
	s_waitcnt vmcnt(9) lgkmcnt(1)
	v_mul_f64 v[63:64], v[45:46], v[89:90]
	s_waitcnt vmcnt(8)
	v_fma_f64 v[51:52], v[51:52], v[85:86], -v[67:68]
	v_mul_f64 v[61:62], v[43:44], v[89:90]
	v_fma_f64 v[53:54], v[53:54], v[85:86], v[57:58]
	s_waitcnt vmcnt(7) lgkmcnt(0)
	v_mul_f64 v[57:58], v[49:50], v[91:92]
	v_add_f64 v[59:60], v[59:60], v[65:66]
	v_add_f64 v[3:4], v[3:4], v[55:56]
	s_waitcnt vmcnt(5)
	v_fma_f64 v[43:44], v[43:44], v[95:96], -v[63:64]
	v_mul_f64 v[55:56], v[47:48], v[91:92]
	v_fma_f64 v[45:46], v[45:46], v[95:96], v[61:62]
	s_waitcnt vmcnt(4)
	v_fma_f64 v[47:48], v[47:48], v[93:94], -v[57:58]
	v_add_f64 v[51:52], v[59:60], v[51:52]
	v_add_f64 v[3:4], v[3:4], v[53:54]
	v_fma_f64 v[49:50], v[49:50], v[93:94], v[55:56]
	v_add_f64 v[43:44], v[51:52], v[43:44]
	v_add_f64 v[3:4], v[3:4], v[45:46]
	;; [unrolled: 1-line block ×4, first 2 shown]
	s_waitcnt vmcnt(2)
	v_add_f64 v[43:44], v[97:98], -v[43:44]
	s_waitcnt vmcnt(0)
	v_add_f64 v[3:4], v[99:100], -v[3:4]
	buffer_store_dword v44, off, s[0:3], 0 offset:132
	buffer_store_dword v43, off, s[0:3], 0 offset:128
	;; [unrolled: 1-line block ×4, first 2 shown]
	v_cmpx_lt_u32_e32 6, v0
	s_cbranch_execz .LBB82_115
; %bb.114:
	v_mov_b32_e32 v3, s24
	s_clause 0x3
	buffer_load_dword v43, v3, s[0:3], 0 offen
	buffer_load_dword v44, v3, s[0:3], 0 offen offset:4
	buffer_load_dword v45, v3, s[0:3], 0 offen offset:8
	;; [unrolled: 1-line block ×3, first 2 shown]
	buffer_store_dword v2, off, s[0:3], 0 offset:112
	buffer_store_dword v2, off, s[0:3], 0 offset:116
	;; [unrolled: 1-line block ×4, first 2 shown]
	s_waitcnt vmcnt(0)
	ds_write_b128 v1, v[43:46]
.LBB82_115:
	s_or_b32 exec_lo, exec_lo, s4
	s_waitcnt lgkmcnt(0)
	s_waitcnt_vscnt null, 0x0
	s_barrier
	buffer_gl0_inv
	s_clause 0x2f
	buffer_load_dword v3, off, s[0:3], 0 offset:136
	buffer_load_dword v4, off, s[0:3], 0 offset:140
	;; [unrolled: 1-line block ×48, first 2 shown]
	ds_read_b128 v[43:46], v2 offset:416
	s_clause 0x3
	buffer_load_dword v101, off, s[0:3], 0 offset:112
	buffer_load_dword v102, off, s[0:3], 0 offset:116
	;; [unrolled: 1-line block ×4, first 2 shown]
	ds_read_b128 v[47:50], v2 offset:432
	ds_read_b128 v[51:54], v2 offset:448
	s_mov_b32 s4, exec_lo
	s_waitcnt vmcnt(50) lgkmcnt(2)
	v_mul_f64 v[105:106], v[45:46], v[3:4]
	v_mul_f64 v[3:4], v[43:44], v[3:4]
	s_waitcnt vmcnt(48) lgkmcnt(1)
	v_mul_f64 v[107:108], v[49:50], v[55:56]
	v_mul_f64 v[55:56], v[47:48], v[55:56]
	s_waitcnt vmcnt(46)
	v_fma_f64 v[105:106], v[43:44], v[57:58], -v[105:106]
	v_fma_f64 v[3:4], v[45:46], v[57:58], v[3:4]
	s_waitcnt vmcnt(44) lgkmcnt(0)
	v_mul_f64 v[57:58], v[51:52], v[59:60]
	v_mul_f64 v[59:60], v[53:54], v[59:60]
	s_waitcnt vmcnt(42)
	v_fma_f64 v[107:108], v[47:48], v[61:62], -v[107:108]
	ds_read_b128 v[43:46], v2 offset:464
	v_fma_f64 v[55:56], v[49:50], v[61:62], v[55:56]
	ds_read_b128 v[47:50], v2 offset:480
	v_add_f64 v[105:106], v[105:106], 0
	v_add_f64 v[3:4], v[3:4], 0
	s_waitcnt vmcnt(36)
	v_fma_f64 v[57:58], v[53:54], v[69:70], v[57:58]
	s_waitcnt lgkmcnt(1)
	v_mul_f64 v[61:62], v[43:44], v[63:64]
	v_mul_f64 v[63:64], v[45:46], v[63:64]
	v_fma_f64 v[59:60], v[51:52], v[69:70], -v[59:60]
	ds_read_b128 v[51:54], v2 offset:496
	v_add_f64 v[105:106], v[105:106], v[107:108]
	v_add_f64 v[3:4], v[3:4], v[55:56]
	s_waitcnt vmcnt(35) lgkmcnt(1)
	v_mul_f64 v[55:56], v[47:48], v[65:66]
	v_mul_f64 v[65:66], v[49:50], v[65:66]
	s_waitcnt vmcnt(33)
	v_fma_f64 v[63:64], v[43:44], v[71:72], -v[63:64]
	v_fma_f64 v[61:62], v[45:46], v[71:72], v[61:62]
	ds_read_b128 v[43:46], v2 offset:512
	s_waitcnt vmcnt(29) lgkmcnt(1)
	v_mul_f64 v[69:70], v[53:54], v[73:74]
	v_add_f64 v[59:60], v[105:106], v[59:60]
	v_add_f64 v[3:4], v[3:4], v[57:58]
	v_mul_f64 v[57:58], v[51:52], v[73:74]
	s_waitcnt vmcnt(28)
	v_fma_f64 v[65:66], v[47:48], v[67:68], -v[65:66]
	v_fma_f64 v[55:56], v[49:50], v[67:68], v[55:56]
	ds_read_b128 v[47:50], v2 offset:528
	s_waitcnt vmcnt(25)
	v_fma_f64 v[67:68], v[51:52], v[79:80], -v[69:70]
	v_add_f64 v[59:60], v[59:60], v[63:64]
	v_add_f64 v[3:4], v[3:4], v[61:62]
	s_waitcnt lgkmcnt(1)
	v_mul_f64 v[63:64], v[45:46], v[75:76]
	v_mul_f64 v[61:62], v[43:44], v[75:76]
	v_fma_f64 v[57:58], v[53:54], v[79:80], v[57:58]
	ds_read_b128 v[51:54], v2 offset:544
	v_add_f64 v[59:60], v[59:60], v[65:66]
	v_add_f64 v[3:4], v[3:4], v[55:56]
	s_waitcnt vmcnt(21) lgkmcnt(1)
	v_mul_f64 v[65:66], v[49:50], v[81:82]
	s_waitcnt vmcnt(20)
	v_fma_f64 v[63:64], v[43:44], v[77:78], -v[63:64]
	v_mul_f64 v[55:56], v[47:48], v[81:82]
	v_fma_f64 v[61:62], v[45:46], v[77:78], v[61:62]
	ds_read_b128 v[43:46], v2 offset:560
	v_add_f64 v[59:60], v[59:60], v[67:68]
	v_add_f64 v[3:4], v[3:4], v[57:58]
	s_waitcnt vmcnt(19) lgkmcnt(1)
	v_mul_f64 v[67:68], v[53:54], v[83:84]
	s_waitcnt vmcnt(17)
	v_fma_f64 v[65:66], v[47:48], v[87:88], -v[65:66]
	;; [unrolled: 9-line block ×4, first 2 shown]
	v_mul_f64 v[55:56], v[47:48], v[91:92]
	v_fma_f64 v[45:46], v[45:46], v[95:96], v[61:62]
	s_waitcnt vmcnt(7) lgkmcnt(0)
	v_mul_f64 v[61:62], v[53:54], v[97:98]
	v_add_f64 v[59:60], v[59:60], v[67:68]
	v_add_f64 v[2:3], v[3:4], v[57:58]
	s_waitcnt vmcnt(6)
	v_fma_f64 v[47:48], v[47:48], v[93:94], -v[65:66]
	v_mul_f64 v[57:58], v[51:52], v[97:98]
	v_fma_f64 v[49:50], v[49:50], v[93:94], v[55:56]
	v_add_f64 v[43:44], v[59:60], v[43:44]
	v_add_f64 v[2:3], v[2:3], v[45:46]
	s_waitcnt vmcnt(4)
	v_fma_f64 v[45:46], v[51:52], v[99:100], -v[61:62]
	v_add_f64 v[43:44], v[43:44], v[47:48]
	v_fma_f64 v[47:48], v[53:54], v[99:100], v[57:58]
	v_add_f64 v[2:3], v[2:3], v[49:50]
	v_add_f64 v[43:44], v[43:44], v[45:46]
	;; [unrolled: 1-line block ×3, first 2 shown]
	s_waitcnt vmcnt(2)
	v_add_f64 v[43:44], v[101:102], -v[43:44]
	s_waitcnt vmcnt(0)
	v_add_f64 v[2:3], v[103:104], -v[2:3]
	buffer_store_dword v44, off, s[0:3], 0 offset:116
	buffer_store_dword v43, off, s[0:3], 0 offset:112
	;; [unrolled: 1-line block ×4, first 2 shown]
	v_cmpx_lt_u32_e32 5, v0
	s_cbranch_execz .LBB82_117
; %bb.116:
	v_mov_b32_e32 v2, s25
	s_clause 0x3
	buffer_load_dword v43, v2, s[0:3], 0 offen
	buffer_load_dword v44, v2, s[0:3], 0 offen offset:4
	buffer_load_dword v45, v2, s[0:3], 0 offen offset:8
	;; [unrolled: 1-line block ×3, first 2 shown]
	v_mov_b32_e32 v2, 0
	buffer_store_dword v2, off, s[0:3], 0 offset:96
	buffer_store_dword v2, off, s[0:3], 0 offset:100
	;; [unrolled: 1-line block ×4, first 2 shown]
	s_waitcnt vmcnt(0)
	ds_write_b128 v1, v[43:46]
.LBB82_117:
	s_or_b32 exec_lo, exec_lo, s4
	s_waitcnt lgkmcnt(0)
	s_waitcnt_vscnt null, 0x0
	s_barrier
	buffer_gl0_inv
	s_clause 0x33
	buffer_load_dword v3, off, s[0:3], 0 offset:120
	buffer_load_dword v4, off, s[0:3], 0 offset:124
	;; [unrolled: 1-line block ×52, first 2 shown]
	v_mov_b32_e32 v2, 0
	ds_read_b128 v[43:46], v2 offset:400
	ds_read_b128 v[47:50], v2 offset:416
	s_clause 0x3
	buffer_load_dword v107, off, s[0:3], 0 offset:96
	buffer_load_dword v108, off, s[0:3], 0 offset:100
	;; [unrolled: 1-line block ×4, first 2 shown]
	ds_read_b128 v[51:54], v2 offset:432
	s_mov_b32 s4, exec_lo
	s_waitcnt vmcnt(54) lgkmcnt(2)
	v_mul_f64 v[105:106], v[45:46], v[3:4]
	v_mul_f64 v[3:4], v[43:44], v[3:4]
	s_waitcnt vmcnt(52) lgkmcnt(1)
	v_mul_f64 v[111:112], v[49:50], v[55:56]
	v_mul_f64 v[55:56], v[47:48], v[55:56]
	s_waitcnt vmcnt(50)
	v_fma_f64 v[105:106], v[43:44], v[57:58], -v[105:106]
	v_fma_f64 v[3:4], v[45:46], v[57:58], v[3:4]
	ds_read_b128 v[43:46], v2 offset:448
	s_waitcnt vmcnt(48) lgkmcnt(1)
	v_mul_f64 v[57:58], v[51:52], v[59:60]
	v_mul_f64 v[59:60], v[53:54], v[59:60]
	s_waitcnt vmcnt(46)
	v_fma_f64 v[111:112], v[47:48], v[61:62], -v[111:112]
	v_fma_f64 v[55:56], v[49:50], v[61:62], v[55:56]
	ds_read_b128 v[47:50], v2 offset:464
	s_waitcnt vmcnt(42) lgkmcnt(1)
	v_mul_f64 v[61:62], v[43:44], v[63:64]
	v_add_f64 v[105:106], v[105:106], 0
	v_add_f64 v[3:4], v[3:4], 0
	v_mul_f64 v[63:64], v[45:46], v[63:64]
	s_waitcnt vmcnt(40)
	v_fma_f64 v[59:60], v[51:52], v[69:70], -v[59:60]
	v_fma_f64 v[57:58], v[53:54], v[69:70], v[57:58]
	ds_read_b128 v[51:54], v2 offset:480
	s_waitcnt vmcnt(37)
	v_fma_f64 v[61:62], v[45:46], v[71:72], v[61:62]
	v_add_f64 v[105:106], v[105:106], v[111:112]
	v_add_f64 v[3:4], v[3:4], v[55:56]
	s_waitcnt lgkmcnt(1)
	v_mul_f64 v[55:56], v[47:48], v[65:66]
	v_mul_f64 v[65:66], v[49:50], v[65:66]
	v_fma_f64 v[63:64], v[43:44], v[71:72], -v[63:64]
	s_waitcnt vmcnt(33) lgkmcnt(0)
	v_mul_f64 v[69:70], v[53:54], v[73:74]
	ds_read_b128 v[43:46], v2 offset:496
	v_add_f64 v[59:60], v[105:106], v[59:60]
	v_add_f64 v[3:4], v[3:4], v[57:58]
	v_mul_f64 v[57:58], v[51:52], v[73:74]
	s_waitcnt vmcnt(32)
	v_fma_f64 v[65:66], v[47:48], v[67:68], -v[65:66]
	v_fma_f64 v[55:56], v[49:50], v[67:68], v[55:56]
	ds_read_b128 v[47:50], v2 offset:512
	s_waitcnt vmcnt(29)
	v_fma_f64 v[67:68], v[51:52], v[79:80], -v[69:70]
	v_add_f64 v[59:60], v[59:60], v[63:64]
	v_add_f64 v[3:4], v[3:4], v[61:62]
	s_waitcnt lgkmcnt(1)
	v_mul_f64 v[63:64], v[45:46], v[75:76]
	v_mul_f64 v[61:62], v[43:44], v[75:76]
	v_fma_f64 v[57:58], v[53:54], v[79:80], v[57:58]
	ds_read_b128 v[51:54], v2 offset:528
	v_add_f64 v[59:60], v[59:60], v[65:66]
	v_add_f64 v[3:4], v[3:4], v[55:56]
	s_waitcnt vmcnt(25) lgkmcnt(1)
	v_mul_f64 v[65:66], v[49:50], v[81:82]
	s_waitcnt vmcnt(24)
	v_fma_f64 v[63:64], v[43:44], v[77:78], -v[63:64]
	v_mul_f64 v[55:56], v[47:48], v[81:82]
	v_fma_f64 v[61:62], v[45:46], v[77:78], v[61:62]
	ds_read_b128 v[43:46], v2 offset:544
	v_add_f64 v[59:60], v[59:60], v[67:68]
	v_add_f64 v[3:4], v[3:4], v[57:58]
	s_waitcnt vmcnt(23) lgkmcnt(1)
	v_mul_f64 v[67:68], v[53:54], v[83:84]
	s_waitcnt vmcnt(21)
	v_fma_f64 v[65:66], v[47:48], v[87:88], -v[65:66]
	;; [unrolled: 9-line block ×5, first 2 shown]
	v_mul_f64 v[57:58], v[51:52], v[97:98]
	v_fma_f64 v[49:50], v[49:50], v[93:94], v[55:56]
	s_waitcnt vmcnt(7) lgkmcnt(0)
	v_mul_f64 v[55:56], v[43:44], v[99:100]
	v_add_f64 v[59:60], v[59:60], v[63:64]
	v_add_f64 v[3:4], v[3:4], v[61:62]
	v_mul_f64 v[61:62], v[45:46], v[99:100]
	s_waitcnt vmcnt(5)
	v_fma_f64 v[51:52], v[51:52], v[103:104], -v[67:68]
	v_fma_f64 v[53:54], v[53:54], v[103:104], v[57:58]
	s_waitcnt vmcnt(4)
	v_fma_f64 v[45:46], v[45:46], v[101:102], v[55:56]
	v_add_f64 v[47:48], v[59:60], v[47:48]
	v_add_f64 v[3:4], v[3:4], v[49:50]
	v_fma_f64 v[43:44], v[43:44], v[101:102], -v[61:62]
	v_add_f64 v[47:48], v[47:48], v[51:52]
	v_add_f64 v[3:4], v[3:4], v[53:54]
	;; [unrolled: 1-line block ×4, first 2 shown]
	s_waitcnt vmcnt(2)
	v_add_f64 v[43:44], v[107:108], -v[43:44]
	s_waitcnt vmcnt(0)
	v_add_f64 v[3:4], v[109:110], -v[3:4]
	buffer_store_dword v44, off, s[0:3], 0 offset:100
	buffer_store_dword v43, off, s[0:3], 0 offset:96
	;; [unrolled: 1-line block ×4, first 2 shown]
	v_cmpx_lt_u32_e32 4, v0
	s_cbranch_execz .LBB82_119
; %bb.118:
	v_mov_b32_e32 v3, s26
	s_clause 0x3
	buffer_load_dword v43, v3, s[0:3], 0 offen
	buffer_load_dword v44, v3, s[0:3], 0 offen offset:4
	buffer_load_dword v45, v3, s[0:3], 0 offen offset:8
	;; [unrolled: 1-line block ×3, first 2 shown]
	buffer_store_dword v2, off, s[0:3], 0 offset:80
	buffer_store_dword v2, off, s[0:3], 0 offset:84
	buffer_store_dword v2, off, s[0:3], 0 offset:88
	buffer_store_dword v2, off, s[0:3], 0 offset:92
	s_waitcnt vmcnt(0)
	ds_write_b128 v1, v[43:46]
.LBB82_119:
	s_or_b32 exec_lo, exec_lo, s4
	s_waitcnt lgkmcnt(0)
	s_waitcnt_vscnt null, 0x0
	s_barrier
	buffer_gl0_inv
	s_clause 0x35
	buffer_load_dword v3, off, s[0:3], 0 offset:104
	buffer_load_dword v4, off, s[0:3], 0 offset:108
	;; [unrolled: 1-line block ×54, first 2 shown]
	ds_read_b128 v[43:46], v2 offset:384
	s_clause 0x1
	buffer_load_dword v108, off, s[0:3], 0 offset:308
	buffer_load_dword v107, off, s[0:3], 0 offset:304
	ds_read_b128 v[47:50], v2 offset:400
	ds_read_b128 v[51:54], v2 offset:416
	s_mov_b32 s4, exec_lo
	s_waitcnt vmcnt(54) lgkmcnt(2)
	v_mul_f64 v[109:110], v[45:46], v[3:4]
	v_mul_f64 v[3:4], v[43:44], v[3:4]
	s_waitcnt vmcnt(52) lgkmcnt(1)
	v_mul_f64 v[111:112], v[49:50], v[55:56]
	v_mul_f64 v[55:56], v[47:48], v[55:56]
	;; [unrolled: 3-line block ×3, first 2 shown]
	v_fma_f64 v[109:110], v[43:44], v[57:58], -v[109:110]
	v_fma_f64 v[3:4], v[45:46], v[57:58], v[3:4]
	s_clause 0x3
	buffer_load_dword v57, off, s[0:3], 0 offset:80
	buffer_load_dword v58, off, s[0:3], 0 offset:84
	;; [unrolled: 1-line block ×4, first 2 shown]
	s_waitcnt vmcnt(50)
	v_fma_f64 v[111:112], v[47:48], v[61:62], -v[111:112]
	ds_read_b128 v[43:46], v2 offset:432
	v_fma_f64 v[55:56], v[49:50], v[61:62], v[55:56]
	ds_read_b128 v[47:50], v2 offset:448
	s_waitcnt vmcnt(44)
	v_fma_f64 v[59:60], v[51:52], v[69:70], -v[59:60]
	v_fma_f64 v[69:70], v[53:54], v[69:70], v[115:116]
	ds_read_b128 v[51:54], v2 offset:464
	v_add_f64 v[109:110], v[109:110], 0
	v_add_f64 v[3:4], v[3:4], 0
	s_waitcnt lgkmcnt(2)
	v_mul_f64 v[61:62], v[43:44], v[63:64]
	v_mul_f64 v[63:64], v[45:46], v[63:64]
	v_add_f64 v[109:110], v[109:110], v[111:112]
	v_add_f64 v[3:4], v[3:4], v[55:56]
	s_waitcnt vmcnt(43) lgkmcnt(1)
	v_mul_f64 v[55:56], v[47:48], v[65:66]
	v_mul_f64 v[65:66], v[49:50], v[65:66]
	s_waitcnt vmcnt(41)
	v_fma_f64 v[63:64], v[43:44], v[71:72], -v[63:64]
	v_fma_f64 v[61:62], v[45:46], v[71:72], v[61:62]
	ds_read_b128 v[43:46], v2 offset:480
	s_waitcnt vmcnt(37) lgkmcnt(1)
	v_mul_f64 v[71:72], v[53:54], v[73:74]
	v_add_f64 v[59:60], v[109:110], v[59:60]
	v_add_f64 v[3:4], v[3:4], v[69:70]
	v_mul_f64 v[69:70], v[51:52], v[73:74]
	s_waitcnt vmcnt(36)
	v_fma_f64 v[65:66], v[47:48], v[67:68], -v[65:66]
	v_fma_f64 v[55:56], v[49:50], v[67:68], v[55:56]
	ds_read_b128 v[47:50], v2 offset:496
	s_waitcnt vmcnt(33)
	v_fma_f64 v[67:68], v[51:52], v[79:80], -v[71:72]
	v_add_f64 v[59:60], v[59:60], v[63:64]
	v_add_f64 v[3:4], v[3:4], v[61:62]
	s_waitcnt lgkmcnt(1)
	v_mul_f64 v[63:64], v[45:46], v[75:76]
	v_mul_f64 v[61:62], v[43:44], v[75:76]
	v_add_f64 v[59:60], v[59:60], v[65:66]
	v_fma_f64 v[65:66], v[53:54], v[79:80], v[69:70]
	v_add_f64 v[3:4], v[3:4], v[55:56]
	ds_read_b128 v[51:54], v2 offset:512
	s_waitcnt vmcnt(29) lgkmcnt(1)
	v_mul_f64 v[69:70], v[49:50], v[81:82]
	s_waitcnt vmcnt(28)
	v_fma_f64 v[63:64], v[43:44], v[77:78], -v[63:64]
	v_mul_f64 v[55:56], v[47:48], v[81:82]
	v_fma_f64 v[61:62], v[45:46], v[77:78], v[61:62]
	ds_read_b128 v[43:46], v2 offset:528
	v_add_f64 v[59:60], v[59:60], v[67:68]
	s_waitcnt vmcnt(27) lgkmcnt(1)
	v_mul_f64 v[67:68], v[53:54], v[83:84]
	v_add_f64 v[3:4], v[3:4], v[65:66]
	v_mul_f64 v[65:66], v[51:52], v[83:84]
	s_waitcnt vmcnt(25)
	v_fma_f64 v[69:70], v[47:48], v[87:88], -v[69:70]
	v_fma_f64 v[55:56], v[49:50], v[87:88], v[55:56]
	ds_read_b128 v[47:50], v2 offset:544
	v_add_f64 v[59:60], v[59:60], v[63:64]
	s_waitcnt vmcnt(21) lgkmcnt(1)
	v_mul_f64 v[63:64], v[45:46], v[89:90]
	v_add_f64 v[3:4], v[3:4], v[61:62]
	s_waitcnt vmcnt(20)
	v_fma_f64 v[67:68], v[51:52], v[85:86], -v[67:68]
	v_mul_f64 v[61:62], v[43:44], v[89:90]
	v_fma_f64 v[65:66], v[53:54], v[85:86], v[65:66]
	ds_read_b128 v[51:54], v2 offset:560
	v_add_f64 v[59:60], v[59:60], v[69:70]
	s_waitcnt vmcnt(19) lgkmcnt(1)
	v_mul_f64 v[69:70], v[49:50], v[91:92]
	v_add_f64 v[3:4], v[3:4], v[55:56]
	s_waitcnt vmcnt(17)
	v_fma_f64 v[63:64], v[43:44], v[95:96], -v[63:64]
	v_mul_f64 v[55:56], v[47:48], v[91:92]
	v_fma_f64 v[61:62], v[45:46], v[95:96], v[61:62]
	ds_read_b128 v[43:46], v2 offset:576
	v_add_f64 v[59:60], v[59:60], v[67:68]
	s_waitcnt vmcnt(13) lgkmcnt(1)
	v_mul_f64 v[67:68], v[53:54], v[97:98]
	v_add_f64 v[3:4], v[3:4], v[65:66]
	s_waitcnt vmcnt(12)
	v_fma_f64 v[69:70], v[47:48], v[93:94], -v[69:70]
	v_mul_f64 v[65:66], v[51:52], v[97:98]
	v_fma_f64 v[55:56], v[49:50], v[93:94], v[55:56]
	ds_read_b128 v[47:50], v2 offset:592
	v_add_f64 v[59:60], v[59:60], v[63:64]
	s_waitcnt vmcnt(11) lgkmcnt(1)
	v_mul_f64 v[63:64], v[45:46], v[99:100]
	v_add_f64 v[3:4], v[3:4], v[61:62]
	s_waitcnt vmcnt(9)
	v_fma_f64 v[51:52], v[51:52], v[103:104], -v[67:68]
	v_mul_f64 v[61:62], v[43:44], v[99:100]
	v_fma_f64 v[53:54], v[53:54], v[103:104], v[65:66]
	s_waitcnt vmcnt(7) lgkmcnt(0)
	v_mul_f64 v[65:66], v[49:50], v[105:106]
	v_add_f64 v[59:60], v[59:60], v[69:70]
	s_waitcnt vmcnt(6)
	v_fma_f64 v[43:44], v[43:44], v[101:102], -v[63:64]
	v_add_f64 v[2:3], v[3:4], v[55:56]
	v_mul_f64 v[55:56], v[47:48], v[105:106]
	v_fma_f64 v[45:46], v[45:46], v[101:102], v[61:62]
	s_waitcnt vmcnt(4)
	v_fma_f64 v[47:48], v[47:48], v[107:108], -v[65:66]
	v_add_f64 v[51:52], v[59:60], v[51:52]
	v_add_f64 v[2:3], v[2:3], v[53:54]
	v_fma_f64 v[49:50], v[49:50], v[107:108], v[55:56]
	v_add_f64 v[43:44], v[51:52], v[43:44]
	v_add_f64 v[2:3], v[2:3], v[45:46]
	v_add_f64 v[43:44], v[43:44], v[47:48]
	v_add_f64 v[2:3], v[2:3], v[49:50]
	s_waitcnt vmcnt(2)
	v_add_f64 v[43:44], v[57:58], -v[43:44]
	s_waitcnt vmcnt(0)
	v_add_f64 v[2:3], v[113:114], -v[2:3]
	buffer_store_dword v44, off, s[0:3], 0 offset:84
	buffer_store_dword v43, off, s[0:3], 0 offset:80
	;; [unrolled: 1-line block ×4, first 2 shown]
	v_cmpx_lt_u32_e32 3, v0
	s_cbranch_execz .LBB82_121
; %bb.120:
	v_mov_b32_e32 v2, s27
	s_clause 0x3
	buffer_load_dword v43, v2, s[0:3], 0 offen
	buffer_load_dword v44, v2, s[0:3], 0 offen offset:4
	buffer_load_dword v45, v2, s[0:3], 0 offen offset:8
	;; [unrolled: 1-line block ×3, first 2 shown]
	v_mov_b32_e32 v2, 0
	buffer_store_dword v2, off, s[0:3], 0 offset:64
	buffer_store_dword v2, off, s[0:3], 0 offset:68
	;; [unrolled: 1-line block ×4, first 2 shown]
	s_waitcnt vmcnt(0)
	ds_write_b128 v1, v[43:46]
.LBB82_121:
	s_or_b32 exec_lo, exec_lo, s4
	s_waitcnt lgkmcnt(0)
	s_waitcnt_vscnt null, 0x0
	s_barrier
	buffer_gl0_inv
	s_clause 0x37
	buffer_load_dword v3, off, s[0:3], 0 offset:88
	buffer_load_dword v4, off, s[0:3], 0 offset:92
	;; [unrolled: 1-line block ×56, first 2 shown]
	v_mov_b32_e32 v2, 0
	s_mov_b32 s4, exec_lo
	ds_read_b128 v[43:46], v2 offset:368
	s_clause 0x2
	buffer_load_dword v108, off, s[0:3], 0 offset:316
	buffer_load_dword v112, off, s[0:3], 0 offset:292
	;; [unrolled: 1-line block ×3, first 2 shown]
	ds_read_b128 v[47:50], v2 offset:384
	ds_read_b128 v[51:54], v2 offset:400
	buffer_load_dword v110, off, s[0:3], 0 offset:308
	s_waitcnt vmcnt(58) lgkmcnt(2)
	v_mul_f64 v[113:114], v[45:46], v[3:4]
	v_mul_f64 v[3:4], v[43:44], v[3:4]
	s_waitcnt vmcnt(56) lgkmcnt(1)
	v_mul_f64 v[115:116], v[49:50], v[55:56]
	v_mul_f64 v[55:56], v[47:48], v[55:56]
	s_waitcnt vmcnt(54)
	v_fma_f64 v[113:114], v[43:44], v[57:58], -v[113:114]
	v_fma_f64 v[3:4], v[45:46], v[57:58], v[3:4]
	s_waitcnt vmcnt(52) lgkmcnt(0)
	v_mul_f64 v[57:58], v[51:52], v[59:60]
	v_mul_f64 v[59:60], v[53:54], v[59:60]
	s_waitcnt vmcnt(50)
	v_fma_f64 v[115:116], v[47:48], v[61:62], -v[115:116]
	ds_read_b128 v[43:46], v2 offset:416
	v_fma_f64 v[55:56], v[49:50], v[61:62], v[55:56]
	s_clause 0x3
	buffer_load_dword v61, off, s[0:3], 0 offset:64
	buffer_load_dword v62, off, s[0:3], 0 offset:68
	;; [unrolled: 1-line block ×4, first 2 shown]
	ds_read_b128 v[47:50], v2 offset:432
	v_add_f64 v[113:114], v[113:114], 0
	v_add_f64 v[3:4], v[3:4], 0
	s_waitcnt vmcnt(48)
	v_fma_f64 v[57:58], v[53:54], v[69:70], v[57:58]
	s_waitcnt lgkmcnt(1)
	v_mul_f64 v[119:120], v[43:44], v[63:64]
	v_mul_f64 v[63:64], v[45:46], v[63:64]
	v_fma_f64 v[59:60], v[51:52], v[69:70], -v[59:60]
	ds_read_b128 v[51:54], v2 offset:448
	v_add_f64 v[113:114], v[113:114], v[115:116]
	v_add_f64 v[3:4], v[3:4], v[55:56]
	s_waitcnt vmcnt(47) lgkmcnt(1)
	v_mul_f64 v[55:56], v[47:48], v[65:66]
	v_mul_f64 v[65:66], v[49:50], v[65:66]
	s_waitcnt vmcnt(45)
	v_fma_f64 v[63:64], v[43:44], v[71:72], -v[63:64]
	v_fma_f64 v[69:70], v[45:46], v[71:72], v[119:120]
	s_waitcnt vmcnt(41) lgkmcnt(0)
	v_mul_f64 v[71:72], v[53:54], v[73:74]
	ds_read_b128 v[43:46], v2 offset:464
	v_add_f64 v[59:60], v[113:114], v[59:60]
	v_add_f64 v[3:4], v[3:4], v[57:58]
	v_mul_f64 v[57:58], v[51:52], v[73:74]
	s_waitcnt vmcnt(40)
	v_fma_f64 v[65:66], v[47:48], v[67:68], -v[65:66]
	v_fma_f64 v[55:56], v[49:50], v[67:68], v[55:56]
	ds_read_b128 v[47:50], v2 offset:480
	s_waitcnt vmcnt(39) lgkmcnt(1)
	v_mul_f64 v[67:68], v[45:46], v[75:76]
	v_add_f64 v[59:60], v[59:60], v[63:64]
	v_add_f64 v[3:4], v[3:4], v[69:70]
	s_waitcnt vmcnt(37)
	v_fma_f64 v[69:70], v[51:52], v[79:80], -v[71:72]
	v_mul_f64 v[63:64], v[43:44], v[75:76]
	v_fma_f64 v[57:58], v[53:54], v[79:80], v[57:58]
	ds_read_b128 v[51:54], v2 offset:496
	s_waitcnt vmcnt(32)
	v_fma_f64 v[67:68], v[43:44], v[77:78], -v[67:68]
	v_add_f64 v[59:60], v[59:60], v[65:66]
	v_add_f64 v[3:4], v[3:4], v[55:56]
	s_waitcnt lgkmcnt(1)
	v_mul_f64 v[65:66], v[49:50], v[81:82]
	v_mul_f64 v[55:56], v[47:48], v[81:82]
	v_fma_f64 v[63:64], v[45:46], v[77:78], v[63:64]
	ds_read_b128 v[43:46], v2 offset:512
	v_add_f64 v[59:60], v[59:60], v[69:70]
	v_add_f64 v[3:4], v[3:4], v[57:58]
	s_waitcnt vmcnt(31) lgkmcnt(1)
	v_mul_f64 v[69:70], v[53:54], v[83:84]
	s_waitcnt vmcnt(29)
	v_fma_f64 v[65:66], v[47:48], v[87:88], -v[65:66]
	v_mul_f64 v[57:58], v[51:52], v[83:84]
	v_fma_f64 v[55:56], v[49:50], v[87:88], v[55:56]
	ds_read_b128 v[47:50], v2 offset:528
	v_add_f64 v[59:60], v[59:60], v[67:68]
	v_add_f64 v[3:4], v[3:4], v[63:64]
	s_waitcnt vmcnt(25) lgkmcnt(1)
	v_mul_f64 v[67:68], v[45:46], v[89:90]
	s_waitcnt vmcnt(24)
	v_fma_f64 v[69:70], v[51:52], v[85:86], -v[69:70]
	;; [unrolled: 9-line block ×6, first 2 shown]
	v_mul_f64 v[55:56], v[47:48], v[105:106]
	v_fma_f64 v[45:46], v[45:46], v[101:102], v[63:64]
	s_waitcnt vmcnt(7) lgkmcnt(0)
	v_mul_f64 v[63:64], v[53:54], v[107:108]
	v_add_f64 v[59:60], v[59:60], v[69:70]
	v_add_f64 v[3:4], v[3:4], v[57:58]
	s_waitcnt vmcnt(5)
	v_fma_f64 v[47:48], v[47:48], v[111:112], -v[65:66]
	v_mul_f64 v[57:58], v[51:52], v[107:108]
	v_fma_f64 v[49:50], v[49:50], v[111:112], v[55:56]
	v_add_f64 v[43:44], v[59:60], v[43:44]
	v_add_f64 v[3:4], v[3:4], v[45:46]
	s_waitcnt vmcnt(4)
	v_fma_f64 v[45:46], v[51:52], v[109:110], -v[63:64]
	v_add_f64 v[43:44], v[43:44], v[47:48]
	v_fma_f64 v[47:48], v[53:54], v[109:110], v[57:58]
	v_add_f64 v[3:4], v[3:4], v[49:50]
	v_add_f64 v[43:44], v[43:44], v[45:46]
	;; [unrolled: 1-line block ×3, first 2 shown]
	s_waitcnt vmcnt(2)
	v_add_f64 v[43:44], v[61:62], -v[43:44]
	s_waitcnt vmcnt(0)
	v_add_f64 v[3:4], v[117:118], -v[3:4]
	buffer_store_dword v44, off, s[0:3], 0 offset:68
	buffer_store_dword v43, off, s[0:3], 0 offset:64
	;; [unrolled: 1-line block ×4, first 2 shown]
	v_cmpx_lt_u32_e32 2, v0
	s_cbranch_execz .LBB82_123
; %bb.122:
	v_mov_b32_e32 v3, s28
	s_clause 0x3
	buffer_load_dword v43, v3, s[0:3], 0 offen
	buffer_load_dword v44, v3, s[0:3], 0 offen offset:4
	buffer_load_dword v45, v3, s[0:3], 0 offen offset:8
	;; [unrolled: 1-line block ×3, first 2 shown]
	buffer_store_dword v2, off, s[0:3], 0 offset:48
	buffer_store_dword v2, off, s[0:3], 0 offset:52
	;; [unrolled: 1-line block ×4, first 2 shown]
	s_waitcnt vmcnt(0)
	ds_write_b128 v1, v[43:46]
.LBB82_123:
	s_or_b32 exec_lo, exec_lo, s4
	s_waitcnt lgkmcnt(0)
	s_waitcnt_vscnt null, 0x0
	s_barrier
	buffer_gl0_inv
	s_clause 0x37
	buffer_load_dword v3, off, s[0:3], 0 offset:72
	buffer_load_dword v4, off, s[0:3], 0 offset:76
	;; [unrolled: 1-line block ×56, first 2 shown]
	ds_read_b128 v[43:46], v2 offset:352
	s_clause 0x2
	buffer_load_dword v108, off, s[0:3], 0 offset:300
	buffer_load_dword v112, off, s[0:3], 0 offset:276
	;; [unrolled: 1-line block ×3, first 2 shown]
	ds_read_b128 v[47:50], v2 offset:368
	s_clause 0x2
	buffer_load_dword v116, off, s[0:3], 0 offset:316
	buffer_load_dword v115, off, s[0:3], 0 offset:312
	;; [unrolled: 1-line block ×3, first 2 shown]
	ds_read_b128 v[51:54], v2 offset:384
	s_mov_b32 s4, exec_lo
	s_waitcnt vmcnt(60) lgkmcnt(2)
	v_mul_f64 v[113:114], v[45:46], v[3:4]
	v_mul_f64 v[3:4], v[43:44], v[3:4]
	s_waitcnt vmcnt(58) lgkmcnt(1)
	v_mul_f64 v[117:118], v[49:50], v[55:56]
	v_mul_f64 v[55:56], v[47:48], v[55:56]
	;; [unrolled: 3-line block ×3, first 2 shown]
	v_fma_f64 v[113:114], v[43:44], v[57:58], -v[113:114]
	v_fma_f64 v[3:4], v[45:46], v[57:58], v[3:4]
	s_clause 0x1
	buffer_load_dword v58, off, s[0:3], 0 offset:308
	buffer_load_dword v57, off, s[0:3], 0 offset:304
	s_waitcnt vmcnt(54)
	v_fma_f64 v[117:118], v[47:48], v[61:62], -v[117:118]
	ds_read_b128 v[43:46], v2 offset:400
	v_fma_f64 v[55:56], v[49:50], v[61:62], v[55:56]
	ds_read_b128 v[47:50], v2 offset:416
	s_waitcnt vmcnt(48)
	v_fma_f64 v[59:60], v[51:52], v[69:70], -v[59:60]
	v_fma_f64 v[69:70], v[53:54], v[69:70], v[119:120]
	v_add_f64 v[113:114], v[113:114], 0
	v_add_f64 v[3:4], v[3:4], 0
	s_waitcnt lgkmcnt(1)
	v_mul_f64 v[61:62], v[43:44], v[63:64]
	v_mul_f64 v[63:64], v[45:46], v[63:64]
	s_waitcnt vmcnt(47) lgkmcnt(0)
	v_mul_f64 v[119:120], v[47:48], v[65:66]
	v_mul_f64 v[65:66], v[49:50], v[65:66]
	v_add_f64 v[113:114], v[113:114], v[117:118]
	v_add_f64 v[3:4], v[3:4], v[55:56]
	s_clause 0x3
	buffer_load_dword v55, off, s[0:3], 0 offset:48
	buffer_load_dword v56, off, s[0:3], 0 offset:52
	;; [unrolled: 1-line block ×4, first 2 shown]
	s_waitcnt vmcnt(49)
	v_fma_f64 v[63:64], v[43:44], v[71:72], -v[63:64]
	ds_read_b128 v[51:54], v2 offset:432
	v_fma_f64 v[61:62], v[45:46], v[71:72], v[61:62]
	ds_read_b128 v[43:46], v2 offset:448
	s_waitcnt vmcnt(44)
	v_fma_f64 v[65:66], v[47:48], v[67:68], -v[65:66]
	v_add_f64 v[59:60], v[113:114], v[59:60]
	v_add_f64 v[3:4], v[3:4], v[69:70]
	s_waitcnt lgkmcnt(1)
	v_mul_f64 v[71:72], v[53:54], v[73:74]
	v_mul_f64 v[69:70], v[51:52], v[73:74]
	v_add_f64 v[59:60], v[59:60], v[63:64]
	v_fma_f64 v[63:64], v[49:50], v[67:68], v[119:120]
	v_add_f64 v[3:4], v[3:4], v[61:62]
	s_waitcnt vmcnt(43) lgkmcnt(0)
	v_mul_f64 v[67:68], v[45:46], v[75:76]
	s_waitcnt vmcnt(41)
	v_fma_f64 v[71:72], v[51:52], v[79:80], -v[71:72]
	ds_read_b128 v[47:50], v2 offset:464
	v_mul_f64 v[61:62], v[43:44], v[75:76]
	v_add_f64 v[59:60], v[59:60], v[65:66]
	v_fma_f64 v[65:66], v[53:54], v[79:80], v[69:70]
	v_add_f64 v[3:4], v[3:4], v[63:64]
	ds_read_b128 v[51:54], v2 offset:480
	s_waitcnt vmcnt(37) lgkmcnt(1)
	v_mul_f64 v[69:70], v[49:50], v[81:82]
	s_waitcnt vmcnt(36)
	v_fma_f64 v[67:68], v[43:44], v[77:78], -v[67:68]
	v_mul_f64 v[63:64], v[47:48], v[81:82]
	v_fma_f64 v[61:62], v[45:46], v[77:78], v[61:62]
	ds_read_b128 v[43:46], v2 offset:496
	v_add_f64 v[59:60], v[59:60], v[71:72]
	s_waitcnt vmcnt(35) lgkmcnt(1)
	v_mul_f64 v[71:72], v[53:54], v[83:84]
	v_add_f64 v[3:4], v[3:4], v[65:66]
	v_mul_f64 v[65:66], v[51:52], v[83:84]
	s_waitcnt vmcnt(33)
	v_fma_f64 v[69:70], v[47:48], v[87:88], -v[69:70]
	v_fma_f64 v[63:64], v[49:50], v[87:88], v[63:64]
	ds_read_b128 v[47:50], v2 offset:512
	v_add_f64 v[59:60], v[59:60], v[67:68]
	s_waitcnt vmcnt(29) lgkmcnt(1)
	v_mul_f64 v[67:68], v[45:46], v[89:90]
	v_add_f64 v[3:4], v[3:4], v[61:62]
	s_waitcnt vmcnt(28)
	v_fma_f64 v[71:72], v[51:52], v[85:86], -v[71:72]
	v_mul_f64 v[61:62], v[43:44], v[89:90]
	v_fma_f64 v[65:66], v[53:54], v[85:86], v[65:66]
	ds_read_b128 v[51:54], v2 offset:528
	v_add_f64 v[59:60], v[59:60], v[69:70]
	s_waitcnt vmcnt(27) lgkmcnt(1)
	v_mul_f64 v[69:70], v[49:50], v[91:92]
	v_add_f64 v[3:4], v[3:4], v[63:64]
	s_waitcnt vmcnt(25)
	v_fma_f64 v[67:68], v[43:44], v[95:96], -v[67:68]
	v_mul_f64 v[63:64], v[47:48], v[91:92]
	v_fma_f64 v[61:62], v[45:46], v[95:96], v[61:62]
	ds_read_b128 v[43:46], v2 offset:544
	v_add_f64 v[59:60], v[59:60], v[71:72]
	s_waitcnt vmcnt(21) lgkmcnt(1)
	v_mul_f64 v[71:72], v[53:54], v[97:98]
	v_add_f64 v[3:4], v[3:4], v[65:66]
	s_waitcnt vmcnt(20)
	v_fma_f64 v[69:70], v[47:48], v[93:94], -v[69:70]
	v_mul_f64 v[65:66], v[51:52], v[97:98]
	v_fma_f64 v[63:64], v[49:50], v[93:94], v[63:64]
	ds_read_b128 v[47:50], v2 offset:560
	v_add_f64 v[59:60], v[59:60], v[67:68]
	s_waitcnt vmcnt(19) lgkmcnt(1)
	v_mul_f64 v[67:68], v[45:46], v[99:100]
	v_add_f64 v[3:4], v[3:4], v[61:62]
	s_waitcnt vmcnt(17)
	v_fma_f64 v[71:72], v[51:52], v[103:104], -v[71:72]
	v_mul_f64 v[61:62], v[43:44], v[99:100]
	v_fma_f64 v[65:66], v[53:54], v[103:104], v[65:66]
	ds_read_b128 v[51:54], v2 offset:576
	v_add_f64 v[59:60], v[59:60], v[69:70]
	s_waitcnt vmcnt(13) lgkmcnt(1)
	v_mul_f64 v[69:70], v[49:50], v[105:106]
	v_add_f64 v[3:4], v[3:4], v[63:64]
	s_waitcnt vmcnt(12)
	v_fma_f64 v[67:68], v[43:44], v[101:102], -v[67:68]
	v_mul_f64 v[63:64], v[47:48], v[105:106]
	v_fma_f64 v[61:62], v[45:46], v[101:102], v[61:62]
	ds_read_b128 v[43:46], v2 offset:592
	v_add_f64 v[59:60], v[59:60], v[71:72]
	s_waitcnt vmcnt(11) lgkmcnt(1)
	v_mul_f64 v[71:72], v[53:54], v[107:108]
	v_add_f64 v[3:4], v[3:4], v[65:66]
	s_waitcnt vmcnt(9)
	v_fma_f64 v[47:48], v[47:48], v[111:112], -v[69:70]
	v_mul_f64 v[65:66], v[51:52], v[107:108]
	v_fma_f64 v[49:50], v[49:50], v[111:112], v[63:64]
	s_waitcnt vmcnt(7) lgkmcnt(0)
	v_mul_f64 v[63:64], v[45:46], v[115:116]
	v_add_f64 v[59:60], v[59:60], v[67:68]
	s_waitcnt vmcnt(6)
	v_fma_f64 v[51:52], v[51:52], v[109:110], -v[71:72]
	v_add_f64 v[2:3], v[3:4], v[61:62]
	v_mul_f64 v[61:62], v[43:44], v[115:116]
	v_fma_f64 v[53:54], v[53:54], v[109:110], v[65:66]
	v_add_f64 v[47:48], v[59:60], v[47:48]
	v_add_f64 v[2:3], v[2:3], v[49:50]
	s_waitcnt vmcnt(4)
	v_fma_f64 v[43:44], v[43:44], v[57:58], -v[63:64]
	v_fma_f64 v[45:46], v[45:46], v[57:58], v[61:62]
	v_add_f64 v[47:48], v[47:48], v[51:52]
	v_add_f64 v[2:3], v[2:3], v[53:54]
	;; [unrolled: 1-line block ×4, first 2 shown]
	s_waitcnt vmcnt(2)
	v_add_f64 v[43:44], v[55:56], -v[43:44]
	s_waitcnt vmcnt(0)
	v_add_f64 v[2:3], v[117:118], -v[2:3]
	buffer_store_dword v44, off, s[0:3], 0 offset:52
	buffer_store_dword v43, off, s[0:3], 0 offset:48
	;; [unrolled: 1-line block ×4, first 2 shown]
	v_cmpx_lt_u32_e32 1, v0
	s_cbranch_execz .LBB82_125
; %bb.124:
	v_mov_b32_e32 v2, s29
	s_clause 0x3
	buffer_load_dword v43, v2, s[0:3], 0 offen
	buffer_load_dword v44, v2, s[0:3], 0 offen offset:4
	buffer_load_dword v45, v2, s[0:3], 0 offen offset:8
	;; [unrolled: 1-line block ×3, first 2 shown]
	v_mov_b32_e32 v2, 0
	buffer_store_dword v2, off, s[0:3], 0 offset:32
	buffer_store_dword v2, off, s[0:3], 0 offset:36
	;; [unrolled: 1-line block ×4, first 2 shown]
	s_waitcnt vmcnt(0)
	ds_write_b128 v1, v[43:46]
.LBB82_125:
	s_or_b32 exec_lo, exec_lo, s4
	s_waitcnt lgkmcnt(0)
	s_waitcnt_vscnt null, 0x0
	s_barrier
	buffer_gl0_inv
	s_clause 0x37
	buffer_load_dword v3, off, s[0:3], 0 offset:56
	buffer_load_dword v4, off, s[0:3], 0 offset:60
	;; [unrolled: 1-line block ×56, first 2 shown]
	v_mov_b32_e32 v2, 0
	s_mov_b32 s4, exec_lo
	ds_read_b128 v[43:46], v2 offset:336
	s_clause 0x2
	buffer_load_dword v108, off, s[0:3], 0 offset:284
	buffer_load_dword v112, off, s[0:3], 0 offset:260
	;; [unrolled: 1-line block ×3, first 2 shown]
	ds_read_b128 v[47:50], v2 offset:352
	s_clause 0x4
	buffer_load_dword v116, off, s[0:3], 0 offset:300
	buffer_load_dword v117, off, s[0:3], 0 offset:312
	;; [unrolled: 1-line block ×5, first 2 shown]
	ds_read_b128 v[51:54], v2 offset:368
	s_waitcnt vmcnt(62) lgkmcnt(2)
	v_mul_f64 v[113:114], v[45:46], v[3:4]
	v_mul_f64 v[3:4], v[43:44], v[3:4]
	s_waitcnt vmcnt(60) lgkmcnt(1)
	v_mul_f64 v[120:121], v[49:50], v[55:56]
	v_mul_f64 v[55:56], v[47:48], v[55:56]
	;; [unrolled: 3-line block ×3, first 2 shown]
	v_fma_f64 v[113:114], v[43:44], v[57:58], -v[113:114]
	v_fma_f64 v[3:4], v[45:46], v[57:58], v[3:4]
	s_clause 0x2
	buffer_load_dword v118, off, s[0:3], 0 offset:316
	buffer_load_dword v58, off, s[0:3], 0 offset:292
	;; [unrolled: 1-line block ×3, first 2 shown]
	s_waitcnt vmcnt(57)
	v_fma_f64 v[124:125], v[47:48], v[61:62], -v[120:121]
	ds_read_b128 v[43:46], v2 offset:384
	v_fma_f64 v[55:56], v[49:50], v[61:62], v[55:56]
	buffer_load_dword v120, off, s[0:3], 0 offset:308
	ds_read_b128 v[47:50], v2 offset:400
	s_waitcnt vmcnt(52)
	v_fma_f64 v[59:60], v[51:52], v[69:70], -v[59:60]
	v_fma_f64 v[69:70], v[53:54], v[69:70], v[122:123]
	ds_read_b128 v[51:54], v2 offset:416
	v_add_f64 v[113:114], v[113:114], 0
	v_add_f64 v[3:4], v[3:4], 0
	s_waitcnt lgkmcnt(2)
	v_mul_f64 v[61:62], v[43:44], v[63:64]
	v_mul_f64 v[63:64], v[45:46], v[63:64]
	v_add_f64 v[113:114], v[113:114], v[124:125]
	v_add_f64 v[3:4], v[3:4], v[55:56]
	s_waitcnt vmcnt(51) lgkmcnt(1)
	v_mul_f64 v[55:56], v[47:48], v[65:66]
	v_mul_f64 v[65:66], v[49:50], v[65:66]
	s_waitcnt vmcnt(49)
	v_fma_f64 v[63:64], v[43:44], v[71:72], -v[63:64]
	v_fma_f64 v[61:62], v[45:46], v[71:72], v[61:62]
	v_add_f64 v[59:60], v[113:114], v[59:60]
	v_add_f64 v[3:4], v[3:4], v[69:70]
	s_clause 0x3
	buffer_load_dword v69, off, s[0:3], 0 offset:32
	buffer_load_dword v70, off, s[0:3], 0 offset:36
	;; [unrolled: 1-line block ×4, first 2 shown]
	s_waitcnt vmcnt(49) lgkmcnt(0)
	v_mul_f64 v[113:114], v[51:52], v[73:74]
	v_mul_f64 v[73:74], v[53:54], v[73:74]
	s_waitcnt vmcnt(48)
	v_fma_f64 v[65:66], v[47:48], v[67:68], -v[65:66]
	ds_read_b128 v[43:46], v2 offset:432
	v_fma_f64 v[55:56], v[49:50], v[67:68], v[55:56]
	ds_read_b128 v[47:50], v2 offset:448
	v_add_f64 v[59:60], v[59:60], v[63:64]
	v_add_f64 v[3:4], v[3:4], v[61:62]
	s_waitcnt vmcnt(47) lgkmcnt(1)
	v_mul_f64 v[63:64], v[45:46], v[75:76]
	s_waitcnt vmcnt(45)
	v_fma_f64 v[67:68], v[51:52], v[79:80], -v[73:74]
	v_mul_f64 v[61:62], v[43:44], v[75:76]
	s_waitcnt vmcnt(41) lgkmcnt(0)
	v_mul_f64 v[73:74], v[49:50], v[81:82]
	v_add_f64 v[59:60], v[59:60], v[65:66]
	v_fma_f64 v[65:66], v[53:54], v[79:80], v[113:114]
	v_add_f64 v[3:4], v[3:4], v[55:56]
	ds_read_b128 v[51:54], v2 offset:464
	s_waitcnt vmcnt(40)
	v_fma_f64 v[63:64], v[43:44], v[77:78], -v[63:64]
	v_mul_f64 v[55:56], v[47:48], v[81:82]
	v_fma_f64 v[61:62], v[45:46], v[77:78], v[61:62]
	ds_read_b128 v[43:46], v2 offset:480
	s_waitcnt vmcnt(37)
	v_fma_f64 v[73:74], v[47:48], v[87:88], -v[73:74]
	v_add_f64 v[59:60], v[59:60], v[67:68]
	s_waitcnt lgkmcnt(1)
	v_mul_f64 v[67:68], v[53:54], v[83:84]
	v_add_f64 v[3:4], v[3:4], v[65:66]
	v_mul_f64 v[65:66], v[51:52], v[83:84]
	v_fma_f64 v[55:56], v[49:50], v[87:88], v[55:56]
	ds_read_b128 v[47:50], v2 offset:496
	v_add_f64 v[59:60], v[59:60], v[63:64]
	s_waitcnt vmcnt(33) lgkmcnt(1)
	v_mul_f64 v[63:64], v[45:46], v[89:90]
	v_add_f64 v[3:4], v[3:4], v[61:62]
	s_waitcnt vmcnt(32)
	v_fma_f64 v[67:68], v[51:52], v[85:86], -v[67:68]
	v_mul_f64 v[61:62], v[43:44], v[89:90]
	v_fma_f64 v[65:66], v[53:54], v[85:86], v[65:66]
	ds_read_b128 v[51:54], v2 offset:512
	v_add_f64 v[59:60], v[59:60], v[73:74]
	s_waitcnt vmcnt(31) lgkmcnt(1)
	v_mul_f64 v[73:74], v[49:50], v[91:92]
	v_add_f64 v[3:4], v[3:4], v[55:56]
	s_waitcnt vmcnt(29)
	v_fma_f64 v[63:64], v[43:44], v[95:96], -v[63:64]
	;; [unrolled: 9-line block ×7, first 2 shown]
	v_mul_f64 v[61:62], v[43:44], v[115:116]
	v_fma_f64 v[53:54], v[53:54], v[109:110], v[65:66]
	v_add_f64 v[59:60], v[59:60], v[73:74]
	v_add_f64 v[3:4], v[3:4], v[55:56]
	s_waitcnt vmcnt(7) lgkmcnt(0)
	v_mul_f64 v[65:66], v[49:50], v[117:118]
	v_mul_f64 v[55:56], v[47:48], v[117:118]
	s_waitcnt vmcnt(5)
	v_fma_f64 v[43:44], v[43:44], v[57:58], -v[63:64]
	v_fma_f64 v[45:46], v[45:46], v[57:58], v[61:62]
	v_add_f64 v[51:52], v[59:60], v[51:52]
	v_add_f64 v[3:4], v[3:4], v[53:54]
	s_waitcnt vmcnt(4)
	v_fma_f64 v[47:48], v[47:48], v[119:120], -v[65:66]
	v_fma_f64 v[49:50], v[49:50], v[119:120], v[55:56]
	v_add_f64 v[43:44], v[51:52], v[43:44]
	v_add_f64 v[3:4], v[3:4], v[45:46]
	;; [unrolled: 1-line block ×4, first 2 shown]
	s_waitcnt vmcnt(2)
	v_add_f64 v[43:44], v[69:70], -v[43:44]
	s_waitcnt vmcnt(0)
	v_add_f64 v[3:4], v[71:72], -v[3:4]
	buffer_store_dword v44, off, s[0:3], 0 offset:36
	buffer_store_dword v43, off, s[0:3], 0 offset:32
	;; [unrolled: 1-line block ×4, first 2 shown]
	v_cmpx_ne_u32_e32 0, v0
	s_cbranch_execz .LBB82_127
; %bb.126:
	s_clause 0x3
	buffer_load_dword v43, off, s[0:3], 0 offset:16
	buffer_load_dword v44, off, s[0:3], 0 offset:20
	;; [unrolled: 1-line block ×4, first 2 shown]
	buffer_store_dword v2, off, s[0:3], 0 offset:16
	buffer_store_dword v2, off, s[0:3], 0 offset:20
	;; [unrolled: 1-line block ×4, first 2 shown]
	s_waitcnt vmcnt(0)
	ds_write_b128 v1, v[43:46]
.LBB82_127:
	s_or_b32 exec_lo, exec_lo, s4
	s_waitcnt lgkmcnt(0)
	s_waitcnt_vscnt null, 0x0
	s_barrier
	buffer_gl0_inv
	s_clause 0x37
	buffer_load_dword v0, off, s[0:3], 0 offset:40
	buffer_load_dword v1, off, s[0:3], 0 offset:44
	;; [unrolled: 1-line block ×56, first 2 shown]
	ds_read_b128 v[43:46], v2 offset:320
	s_clause 0x2
	buffer_load_dword v106, off, s[0:3], 0 offset:268
	buffer_load_dword v110, off, s[0:3], 0 offset:244
	;; [unrolled: 1-line block ×3, first 2 shown]
	ds_read_b128 v[47:50], v2 offset:336
	s_clause 0x4
	buffer_load_dword v114, off, s[0:3], 0 offset:284
	buffer_load_dword v115, off, s[0:3], 0 offset:296
	;; [unrolled: 1-line block ×5, first 2 shown]
	ds_read_b128 v[51:54], v2 offset:352
	s_and_b32 vcc_lo, exec_lo, s30
	s_waitcnt vmcnt(62) lgkmcnt(2)
	v_mul_f64 v[111:112], v[45:46], v[0:1]
	v_mul_f64 v[0:1], v[43:44], v[0:1]
	s_waitcnt vmcnt(60) lgkmcnt(1)
	v_mul_f64 v[118:119], v[49:50], v[3:4]
	v_mul_f64 v[3:4], v[47:48], v[3:4]
	;; [unrolled: 3-line block ×3, first 2 shown]
	v_fma_f64 v[111:112], v[43:44], v[55:56], -v[111:112]
	v_fma_f64 v[0:1], v[45:46], v[55:56], v[0:1]
	s_clause 0x2
	buffer_load_dword v116, off, s[0:3], 0 offset:300
	buffer_load_dword v56, off, s[0:3], 0 offset:276
	buffer_load_dword v55, off, s[0:3], 0 offset:272
	s_waitcnt vmcnt(57)
	v_fma_f64 v[122:123], v[47:48], v[59:60], -v[118:119]
	ds_read_b128 v[43:46], v2 offset:368
	v_fma_f64 v[3:4], v[49:50], v[59:60], v[3:4]
	s_clause 0x2
	buffer_load_dword v60, off, s[0:3], 0 offset:316
	buffer_load_dword v59, off, s[0:3], 0 offset:312
	;; [unrolled: 1-line block ×3, first 2 shown]
	s_waitcnt vmcnt(54)
	v_fma_f64 v[57:58], v[51:52], v[67:68], -v[57:58]
	ds_read_b128 v[47:50], v2 offset:384
	v_fma_f64 v[67:68], v[53:54], v[67:68], v[120:121]
	s_clause 0x1
	buffer_load_dword v120, off, s[0:3], 0 offset:308
	buffer_load_dword v119, off, s[0:3], 0 offset:304
	ds_read_b128 v[51:54], v2 offset:400
	v_add_f64 v[111:112], v[111:112], 0
	v_add_f64 v[0:1], v[0:1], 0
	s_waitcnt lgkmcnt(2)
	v_mul_f64 v[124:125], v[43:44], v[61:62]
	v_mul_f64 v[61:62], v[45:46], v[61:62]
	v_add_f64 v[111:112], v[111:112], v[122:123]
	v_add_f64 v[0:1], v[0:1], v[3:4]
	s_waitcnt vmcnt(55) lgkmcnt(1)
	v_mul_f64 v[3:4], v[47:48], v[63:64]
	v_mul_f64 v[63:64], v[49:50], v[63:64]
	s_waitcnt vmcnt(53)
	v_fma_f64 v[61:62], v[43:44], v[69:70], -v[61:62]
	v_fma_f64 v[69:70], v[45:46], v[69:70], v[124:125]
	ds_read_b128 v[43:46], v2 offset:416
	v_add_f64 v[57:58], v[111:112], v[57:58]
	v_add_f64 v[0:1], v[0:1], v[67:68]
	s_waitcnt vmcnt(49) lgkmcnt(1)
	v_mul_f64 v[67:68], v[51:52], v[71:72]
	v_mul_f64 v[71:72], v[53:54], v[71:72]
	s_waitcnt vmcnt(48)
	v_fma_f64 v[63:64], v[47:48], v[65:66], -v[63:64]
	v_fma_f64 v[3:4], v[49:50], v[65:66], v[3:4]
	v_add_f64 v[57:58], v[57:58], v[61:62]
	v_add_f64 v[0:1], v[0:1], v[69:70]
	s_clause 0x3
	buffer_load_dword v61, off, s[0:3], 0 offset:16
	buffer_load_dword v62, off, s[0:3], 0 offset:20
	;; [unrolled: 1-line block ×4, first 2 shown]
	s_waitcnt vmcnt(51) lgkmcnt(0)
	v_mul_f64 v[69:70], v[43:44], v[73:74]
	v_mul_f64 v[73:74], v[45:46], v[73:74]
	s_waitcnt vmcnt(49)
	v_fma_f64 v[71:72], v[51:52], v[77:78], -v[71:72]
	ds_read_b128 v[47:50], v2 offset:432
	v_add_f64 v[57:58], v[57:58], v[63:64]
	v_fma_f64 v[63:64], v[53:54], v[77:78], v[67:68]
	v_add_f64 v[0:1], v[0:1], v[3:4]
	ds_read_b128 v[51:54], v2 offset:448
	s_waitcnt vmcnt(45) lgkmcnt(1)
	v_mul_f64 v[67:68], v[49:50], v[79:80]
	s_waitcnt vmcnt(44)
	v_fma_f64 v[73:74], v[43:44], v[75:76], -v[73:74]
	v_mul_f64 v[3:4], v[47:48], v[79:80]
	v_fma_f64 v[69:70], v[45:46], v[75:76], v[69:70]
	ds_read_b128 v[43:46], v2 offset:464
	v_add_f64 v[57:58], v[57:58], v[71:72]
	s_waitcnt vmcnt(43) lgkmcnt(1)
	v_mul_f64 v[71:72], v[53:54], v[81:82]
	v_add_f64 v[0:1], v[0:1], v[63:64]
	v_mul_f64 v[63:64], v[51:52], v[81:82]
	s_waitcnt vmcnt(41)
	v_fma_f64 v[67:68], v[47:48], v[85:86], -v[67:68]
	v_fma_f64 v[3:4], v[49:50], v[85:86], v[3:4]
	ds_read_b128 v[47:50], v2 offset:480
	v_add_f64 v[57:58], v[57:58], v[73:74]
	s_waitcnt vmcnt(37) lgkmcnt(1)
	v_mul_f64 v[73:74], v[45:46], v[87:88]
	v_add_f64 v[0:1], v[0:1], v[69:70]
	s_waitcnt vmcnt(36)
	v_fma_f64 v[71:72], v[51:52], v[83:84], -v[71:72]
	v_mul_f64 v[69:70], v[43:44], v[87:88]
	v_fma_f64 v[63:64], v[53:54], v[83:84], v[63:64]
	ds_read_b128 v[51:54], v2 offset:496
	v_add_f64 v[57:58], v[57:58], v[67:68]
	s_waitcnt vmcnt(35) lgkmcnt(1)
	v_mul_f64 v[67:68], v[49:50], v[89:90]
	v_add_f64 v[0:1], v[0:1], v[3:4]
	s_waitcnt vmcnt(33)
	v_fma_f64 v[73:74], v[43:44], v[93:94], -v[73:74]
	v_mul_f64 v[3:4], v[47:48], v[89:90]
	;; [unrolled: 9-line block ×7, first 2 shown]
	v_fma_f64 v[53:54], v[53:54], v[107:108], v[63:64]
	v_add_f64 v[57:58], v[57:58], v[67:68]
	v_add_f64 v[63:64], v[0:1], v[3:4]
	ds_read_b128 v[0:3], v2 offset:592
	s_waitcnt vmcnt(11) lgkmcnt(1)
	v_mul_f64 v[71:72], v[49:50], v[115:116]
	v_mul_f64 v[67:68], v[47:48], v[115:116]
	s_waitcnt vmcnt(9)
	v_fma_f64 v[43:44], v[43:44], v[55:56], -v[73:74]
	v_fma_f64 v[45:46], v[45:46], v[55:56], v[69:70]
	v_add_f64 v[51:52], v[57:58], v[51:52]
	s_waitcnt vmcnt(7) lgkmcnt(0)
	v_mul_f64 v[57:58], v[2:3], v[59:60]
	v_add_f64 v[53:54], v[63:64], v[53:54]
	v_mul_f64 v[55:56], v[0:1], v[59:60]
	s_waitcnt vmcnt(6)
	v_fma_f64 v[47:48], v[47:48], v[117:118], -v[71:72]
	v_fma_f64 v[49:50], v[49:50], v[117:118], v[67:68]
	v_add_f64 v[43:44], v[51:52], v[43:44]
	s_waitcnt vmcnt(4)
	v_fma_f64 v[0:1], v[0:1], v[119:120], -v[57:58]
	v_add_f64 v[45:46], v[53:54], v[45:46]
	v_fma_f64 v[2:3], v[2:3], v[119:120], v[55:56]
	v_add_f64 v[43:44], v[43:44], v[47:48]
	v_add_f64 v[45:46], v[45:46], v[49:50]
	;; [unrolled: 1-line block ×4, first 2 shown]
	s_waitcnt vmcnt(2)
	v_add_f64 v[0:1], v[61:62], -v[0:1]
	s_waitcnt vmcnt(0)
	v_add_f64 v[2:3], v[65:66], -v[2:3]
	buffer_store_dword v1, off, s[0:3], 0 offset:20
	buffer_store_dword v0, off, s[0:3], 0 offset:16
	;; [unrolled: 1-line block ×4, first 2 shown]
	s_cbranch_vccz .LBB82_164
; %bb.128:
	v_mov_b32_e32 v0, 0
	global_load_dword v1, v0, s[12:13] offset:68
	s_waitcnt vmcnt(0)
	v_add_nc_u32_e32 v1, -1, v1
	v_cmp_ne_u32_e32 vcc_lo, 17, v1
	s_cbranch_vccz .LBB82_130
; %bb.129:
	v_lshlrev_b32_e32 v1, 4, v1
	v_mov_b32_e32 v2, s9
	v_add_nc_u32_e32 v1, 16, v1
	s_clause 0x7
	buffer_load_dword v3, v1, s[0:3], 0 offen
	buffer_load_dword v4, v1, s[0:3], 0 offen offset:4
	buffer_load_dword v43, v1, s[0:3], 0 offen offset:8
	;; [unrolled: 1-line block ×6, first 2 shown]
	buffer_load_dword v48, v2, s[0:3], 0 offen
	s_waitcnt vmcnt(7)
	buffer_store_dword v3, v2, s[0:3], 0 offen
	s_waitcnt vmcnt(6)
	buffer_store_dword v4, v2, s[0:3], 0 offen offset:4
	s_waitcnt vmcnt(5)
	buffer_store_dword v43, v2, s[0:3], 0 offen offset:8
	;; [unrolled: 2-line block ×6, first 2 shown]
	s_waitcnt vmcnt(0)
	buffer_store_dword v48, v1, s[0:3], 0 offen
.LBB82_130:
	global_load_dword v0, v0, s[12:13] offset:64
	s_waitcnt vmcnt(0)
	v_add_nc_u32_e32 v0, -1, v0
	v_cmp_eq_u32_e32 vcc_lo, 16, v0
	s_cbranch_vccnz .LBB82_132
; %bb.131:
	v_lshlrev_b32_e32 v0, 4, v0
	v_mov_b32_e32 v1, s14
	v_add_nc_u32_e32 v0, 16, v0
	s_clause 0x7
	buffer_load_dword v2, v0, s[0:3], 0 offen
	buffer_load_dword v3, v0, s[0:3], 0 offen offset:4
	buffer_load_dword v4, v0, s[0:3], 0 offen offset:8
	;; [unrolled: 1-line block ×6, first 2 shown]
	buffer_load_dword v47, v1, s[0:3], 0 offen
	s_waitcnt vmcnt(7)
	buffer_store_dword v2, v1, s[0:3], 0 offen
	s_waitcnt vmcnt(6)
	buffer_store_dword v3, v1, s[0:3], 0 offen offset:4
	s_waitcnt vmcnt(5)
	buffer_store_dword v4, v1, s[0:3], 0 offen offset:8
	s_waitcnt vmcnt(4)
	buffer_store_dword v43, v1, s[0:3], 0 offen offset:12
	s_waitcnt vmcnt(3)
	buffer_store_dword v44, v0, s[0:3], 0 offen offset:12
	s_waitcnt vmcnt(2)
	buffer_store_dword v45, v0, s[0:3], 0 offen offset:8
	s_waitcnt vmcnt(1)
	buffer_store_dword v46, v0, s[0:3], 0 offen offset:4
	s_waitcnt vmcnt(0)
	buffer_store_dword v47, v0, s[0:3], 0 offen
.LBB82_132:
	v_mov_b32_e32 v0, 0
	global_load_dword v1, v0, s[12:13] offset:60
	s_waitcnt vmcnt(0)
	v_add_nc_u32_e32 v1, -1, v1
	v_cmp_eq_u32_e32 vcc_lo, 15, v1
	s_cbranch_vccnz .LBB82_134
; %bb.133:
	v_lshlrev_b32_e32 v1, 4, v1
	v_mov_b32_e32 v2, s15
	v_add_nc_u32_e32 v1, 16, v1
	s_clause 0x7
	buffer_load_dword v3, v1, s[0:3], 0 offen
	buffer_load_dword v4, v1, s[0:3], 0 offen offset:4
	buffer_load_dword v43, v1, s[0:3], 0 offen offset:8
	;; [unrolled: 1-line block ×6, first 2 shown]
	buffer_load_dword v48, v2, s[0:3], 0 offen
	s_waitcnt vmcnt(7)
	buffer_store_dword v3, v2, s[0:3], 0 offen
	s_waitcnt vmcnt(6)
	buffer_store_dword v4, v2, s[0:3], 0 offen offset:4
	s_waitcnt vmcnt(5)
	buffer_store_dword v43, v2, s[0:3], 0 offen offset:8
	;; [unrolled: 2-line block ×6, first 2 shown]
	s_waitcnt vmcnt(0)
	buffer_store_dword v48, v1, s[0:3], 0 offen
.LBB82_134:
	global_load_dword v0, v0, s[12:13] offset:56
	s_waitcnt vmcnt(0)
	v_add_nc_u32_e32 v0, -1, v0
	v_cmp_eq_u32_e32 vcc_lo, 14, v0
	s_cbranch_vccnz .LBB82_136
; %bb.135:
	v_lshlrev_b32_e32 v0, 4, v0
	v_mov_b32_e32 v1, s16
	v_add_nc_u32_e32 v0, 16, v0
	s_clause 0x7
	buffer_load_dword v2, v0, s[0:3], 0 offen
	buffer_load_dword v3, v0, s[0:3], 0 offen offset:4
	buffer_load_dword v4, v0, s[0:3], 0 offen offset:8
	;; [unrolled: 1-line block ×6, first 2 shown]
	buffer_load_dword v47, v1, s[0:3], 0 offen
	s_waitcnt vmcnt(7)
	buffer_store_dword v2, v1, s[0:3], 0 offen
	s_waitcnt vmcnt(6)
	buffer_store_dword v3, v1, s[0:3], 0 offen offset:4
	s_waitcnt vmcnt(5)
	buffer_store_dword v4, v1, s[0:3], 0 offen offset:8
	;; [unrolled: 2-line block ×6, first 2 shown]
	s_waitcnt vmcnt(0)
	buffer_store_dword v47, v0, s[0:3], 0 offen
.LBB82_136:
	v_mov_b32_e32 v0, 0
	global_load_dword v1, v0, s[12:13] offset:52
	s_waitcnt vmcnt(0)
	v_add_nc_u32_e32 v1, -1, v1
	v_cmp_eq_u32_e32 vcc_lo, 13, v1
	s_cbranch_vccnz .LBB82_138
; %bb.137:
	v_lshlrev_b32_e32 v1, 4, v1
	v_mov_b32_e32 v2, s17
	v_add_nc_u32_e32 v1, 16, v1
	s_clause 0x7
	buffer_load_dword v3, v1, s[0:3], 0 offen
	buffer_load_dword v4, v1, s[0:3], 0 offen offset:4
	buffer_load_dword v43, v1, s[0:3], 0 offen offset:8
	;; [unrolled: 1-line block ×6, first 2 shown]
	buffer_load_dword v48, v2, s[0:3], 0 offen
	s_waitcnt vmcnt(7)
	buffer_store_dword v3, v2, s[0:3], 0 offen
	s_waitcnt vmcnt(6)
	buffer_store_dword v4, v2, s[0:3], 0 offen offset:4
	s_waitcnt vmcnt(5)
	buffer_store_dword v43, v2, s[0:3], 0 offen offset:8
	;; [unrolled: 2-line block ×6, first 2 shown]
	s_waitcnt vmcnt(0)
	buffer_store_dword v48, v1, s[0:3], 0 offen
.LBB82_138:
	global_load_dword v0, v0, s[12:13] offset:48
	s_waitcnt vmcnt(0)
	v_add_nc_u32_e32 v0, -1, v0
	v_cmp_eq_u32_e32 vcc_lo, 12, v0
	s_cbranch_vccnz .LBB82_140
; %bb.139:
	v_lshlrev_b32_e32 v0, 4, v0
	v_mov_b32_e32 v1, s18
	v_add_nc_u32_e32 v0, 16, v0
	s_clause 0x7
	buffer_load_dword v2, v0, s[0:3], 0 offen
	buffer_load_dword v3, v0, s[0:3], 0 offen offset:4
	buffer_load_dword v4, v0, s[0:3], 0 offen offset:8
	;; [unrolled: 1-line block ×6, first 2 shown]
	buffer_load_dword v47, v1, s[0:3], 0 offen
	s_waitcnt vmcnt(7)
	buffer_store_dword v2, v1, s[0:3], 0 offen
	s_waitcnt vmcnt(6)
	buffer_store_dword v3, v1, s[0:3], 0 offen offset:4
	s_waitcnt vmcnt(5)
	buffer_store_dword v4, v1, s[0:3], 0 offen offset:8
	;; [unrolled: 2-line block ×6, first 2 shown]
	s_waitcnt vmcnt(0)
	buffer_store_dword v47, v0, s[0:3], 0 offen
.LBB82_140:
	v_mov_b32_e32 v0, 0
	global_load_dword v1, v0, s[12:13] offset:44
	s_waitcnt vmcnt(0)
	v_add_nc_u32_e32 v1, -1, v1
	v_cmp_eq_u32_e32 vcc_lo, 11, v1
	s_cbranch_vccnz .LBB82_142
; %bb.141:
	v_lshlrev_b32_e32 v1, 4, v1
	v_mov_b32_e32 v2, s19
	v_add_nc_u32_e32 v1, 16, v1
	s_clause 0x7
	buffer_load_dword v3, v1, s[0:3], 0 offen
	buffer_load_dword v4, v1, s[0:3], 0 offen offset:4
	buffer_load_dword v43, v1, s[0:3], 0 offen offset:8
	;; [unrolled: 1-line block ×6, first 2 shown]
	buffer_load_dword v48, v2, s[0:3], 0 offen
	s_waitcnt vmcnt(7)
	buffer_store_dword v3, v2, s[0:3], 0 offen
	s_waitcnt vmcnt(6)
	buffer_store_dword v4, v2, s[0:3], 0 offen offset:4
	s_waitcnt vmcnt(5)
	buffer_store_dword v43, v2, s[0:3], 0 offen offset:8
	;; [unrolled: 2-line block ×6, first 2 shown]
	s_waitcnt vmcnt(0)
	buffer_store_dword v48, v1, s[0:3], 0 offen
.LBB82_142:
	global_load_dword v0, v0, s[12:13] offset:40
	s_waitcnt vmcnt(0)
	v_add_nc_u32_e32 v0, -1, v0
	v_cmp_eq_u32_e32 vcc_lo, 10, v0
	s_cbranch_vccnz .LBB82_144
; %bb.143:
	v_lshlrev_b32_e32 v0, 4, v0
	v_mov_b32_e32 v1, s20
	v_add_nc_u32_e32 v0, 16, v0
	s_clause 0x7
	buffer_load_dword v2, v0, s[0:3], 0 offen
	buffer_load_dword v3, v0, s[0:3], 0 offen offset:4
	buffer_load_dword v4, v0, s[0:3], 0 offen offset:8
	;; [unrolled: 1-line block ×6, first 2 shown]
	buffer_load_dword v47, v1, s[0:3], 0 offen
	s_waitcnt vmcnt(7)
	buffer_store_dword v2, v1, s[0:3], 0 offen
	s_waitcnt vmcnt(6)
	buffer_store_dword v3, v1, s[0:3], 0 offen offset:4
	s_waitcnt vmcnt(5)
	buffer_store_dword v4, v1, s[0:3], 0 offen offset:8
	;; [unrolled: 2-line block ×6, first 2 shown]
	s_waitcnt vmcnt(0)
	buffer_store_dword v47, v0, s[0:3], 0 offen
.LBB82_144:
	v_mov_b32_e32 v0, 0
	global_load_dword v1, v0, s[12:13] offset:36
	s_waitcnt vmcnt(0)
	v_add_nc_u32_e32 v1, -1, v1
	v_cmp_eq_u32_e32 vcc_lo, 9, v1
	s_cbranch_vccnz .LBB82_146
; %bb.145:
	v_lshlrev_b32_e32 v1, 4, v1
	v_mov_b32_e32 v2, s21
	v_add_nc_u32_e32 v1, 16, v1
	s_clause 0x7
	buffer_load_dword v3, v1, s[0:3], 0 offen
	buffer_load_dword v4, v1, s[0:3], 0 offen offset:4
	buffer_load_dword v43, v1, s[0:3], 0 offen offset:8
	;; [unrolled: 1-line block ×6, first 2 shown]
	buffer_load_dword v48, v2, s[0:3], 0 offen
	s_waitcnt vmcnt(7)
	buffer_store_dword v3, v2, s[0:3], 0 offen
	s_waitcnt vmcnt(6)
	buffer_store_dword v4, v2, s[0:3], 0 offen offset:4
	s_waitcnt vmcnt(5)
	buffer_store_dword v43, v2, s[0:3], 0 offen offset:8
	;; [unrolled: 2-line block ×6, first 2 shown]
	s_waitcnt vmcnt(0)
	buffer_store_dword v48, v1, s[0:3], 0 offen
.LBB82_146:
	global_load_dword v0, v0, s[12:13] offset:32
	s_waitcnt vmcnt(0)
	v_add_nc_u32_e32 v0, -1, v0
	v_cmp_eq_u32_e32 vcc_lo, 8, v0
	s_cbranch_vccnz .LBB82_148
; %bb.147:
	v_lshlrev_b32_e32 v0, 4, v0
	v_mov_b32_e32 v1, s22
	v_add_nc_u32_e32 v0, 16, v0
	s_clause 0x7
	buffer_load_dword v2, v0, s[0:3], 0 offen
	buffer_load_dword v3, v0, s[0:3], 0 offen offset:4
	buffer_load_dword v4, v0, s[0:3], 0 offen offset:8
	;; [unrolled: 1-line block ×6, first 2 shown]
	buffer_load_dword v47, v1, s[0:3], 0 offen
	s_waitcnt vmcnt(7)
	buffer_store_dword v2, v1, s[0:3], 0 offen
	s_waitcnt vmcnt(6)
	buffer_store_dword v3, v1, s[0:3], 0 offen offset:4
	s_waitcnt vmcnt(5)
	buffer_store_dword v4, v1, s[0:3], 0 offen offset:8
	;; [unrolled: 2-line block ×6, first 2 shown]
	s_waitcnt vmcnt(0)
	buffer_store_dword v47, v0, s[0:3], 0 offen
.LBB82_148:
	v_mov_b32_e32 v0, 0
	global_load_dword v1, v0, s[12:13] offset:28
	s_waitcnt vmcnt(0)
	v_add_nc_u32_e32 v1, -1, v1
	v_cmp_eq_u32_e32 vcc_lo, 7, v1
	s_cbranch_vccnz .LBB82_150
; %bb.149:
	v_lshlrev_b32_e32 v1, 4, v1
	v_mov_b32_e32 v2, s23
	v_add_nc_u32_e32 v1, 16, v1
	s_clause 0x7
	buffer_load_dword v3, v1, s[0:3], 0 offen
	buffer_load_dword v4, v1, s[0:3], 0 offen offset:4
	buffer_load_dword v43, v1, s[0:3], 0 offen offset:8
	;; [unrolled: 1-line block ×6, first 2 shown]
	buffer_load_dword v48, v2, s[0:3], 0 offen
	s_waitcnt vmcnt(7)
	buffer_store_dword v3, v2, s[0:3], 0 offen
	s_waitcnt vmcnt(6)
	buffer_store_dword v4, v2, s[0:3], 0 offen offset:4
	s_waitcnt vmcnt(5)
	buffer_store_dword v43, v2, s[0:3], 0 offen offset:8
	;; [unrolled: 2-line block ×6, first 2 shown]
	s_waitcnt vmcnt(0)
	buffer_store_dword v48, v1, s[0:3], 0 offen
.LBB82_150:
	global_load_dword v0, v0, s[12:13] offset:24
	s_waitcnt vmcnt(0)
	v_add_nc_u32_e32 v0, -1, v0
	v_cmp_eq_u32_e32 vcc_lo, 6, v0
	s_cbranch_vccnz .LBB82_152
; %bb.151:
	v_lshlrev_b32_e32 v0, 4, v0
	v_mov_b32_e32 v1, s24
	v_add_nc_u32_e32 v0, 16, v0
	s_clause 0x7
	buffer_load_dword v2, v0, s[0:3], 0 offen
	buffer_load_dword v3, v0, s[0:3], 0 offen offset:4
	buffer_load_dword v4, v0, s[0:3], 0 offen offset:8
	;; [unrolled: 1-line block ×6, first 2 shown]
	buffer_load_dword v47, v1, s[0:3], 0 offen
	s_waitcnt vmcnt(7)
	buffer_store_dword v2, v1, s[0:3], 0 offen
	s_waitcnt vmcnt(6)
	buffer_store_dword v3, v1, s[0:3], 0 offen offset:4
	s_waitcnt vmcnt(5)
	buffer_store_dword v4, v1, s[0:3], 0 offen offset:8
	;; [unrolled: 2-line block ×6, first 2 shown]
	s_waitcnt vmcnt(0)
	buffer_store_dword v47, v0, s[0:3], 0 offen
.LBB82_152:
	v_mov_b32_e32 v0, 0
	global_load_dword v1, v0, s[12:13] offset:20
	s_waitcnt vmcnt(0)
	v_add_nc_u32_e32 v1, -1, v1
	v_cmp_eq_u32_e32 vcc_lo, 5, v1
	s_cbranch_vccnz .LBB82_154
; %bb.153:
	v_lshlrev_b32_e32 v1, 4, v1
	v_mov_b32_e32 v2, s25
	v_add_nc_u32_e32 v1, 16, v1
	s_clause 0x7
	buffer_load_dword v3, v1, s[0:3], 0 offen
	buffer_load_dword v4, v1, s[0:3], 0 offen offset:4
	buffer_load_dword v43, v1, s[0:3], 0 offen offset:8
	;; [unrolled: 1-line block ×6, first 2 shown]
	buffer_load_dword v48, v2, s[0:3], 0 offen
	s_waitcnt vmcnt(7)
	buffer_store_dword v3, v2, s[0:3], 0 offen
	s_waitcnt vmcnt(6)
	buffer_store_dword v4, v2, s[0:3], 0 offen offset:4
	s_waitcnt vmcnt(5)
	buffer_store_dword v43, v2, s[0:3], 0 offen offset:8
	;; [unrolled: 2-line block ×6, first 2 shown]
	s_waitcnt vmcnt(0)
	buffer_store_dword v48, v1, s[0:3], 0 offen
.LBB82_154:
	global_load_dword v0, v0, s[12:13] offset:16
	s_waitcnt vmcnt(0)
	v_add_nc_u32_e32 v0, -1, v0
	v_cmp_eq_u32_e32 vcc_lo, 4, v0
	s_cbranch_vccnz .LBB82_156
; %bb.155:
	v_lshlrev_b32_e32 v0, 4, v0
	v_mov_b32_e32 v1, s26
	v_add_nc_u32_e32 v0, 16, v0
	s_clause 0x7
	buffer_load_dword v2, v0, s[0:3], 0 offen
	buffer_load_dword v3, v0, s[0:3], 0 offen offset:4
	buffer_load_dword v4, v0, s[0:3], 0 offen offset:8
	;; [unrolled: 1-line block ×6, first 2 shown]
	buffer_load_dword v47, v1, s[0:3], 0 offen
	s_waitcnt vmcnt(7)
	buffer_store_dword v2, v1, s[0:3], 0 offen
	s_waitcnt vmcnt(6)
	buffer_store_dword v3, v1, s[0:3], 0 offen offset:4
	s_waitcnt vmcnt(5)
	buffer_store_dword v4, v1, s[0:3], 0 offen offset:8
	;; [unrolled: 2-line block ×6, first 2 shown]
	s_waitcnt vmcnt(0)
	buffer_store_dword v47, v0, s[0:3], 0 offen
.LBB82_156:
	v_mov_b32_e32 v0, 0
	global_load_dword v1, v0, s[12:13] offset:12
	s_waitcnt vmcnt(0)
	v_add_nc_u32_e32 v1, -1, v1
	v_cmp_eq_u32_e32 vcc_lo, 3, v1
	s_cbranch_vccnz .LBB82_158
; %bb.157:
	v_lshlrev_b32_e32 v1, 4, v1
	v_mov_b32_e32 v2, s27
	v_add_nc_u32_e32 v1, 16, v1
	s_clause 0x7
	buffer_load_dword v3, v1, s[0:3], 0 offen
	buffer_load_dword v4, v1, s[0:3], 0 offen offset:4
	buffer_load_dword v43, v1, s[0:3], 0 offen offset:8
	;; [unrolled: 1-line block ×6, first 2 shown]
	buffer_load_dword v48, v2, s[0:3], 0 offen
	s_waitcnt vmcnt(7)
	buffer_store_dword v3, v2, s[0:3], 0 offen
	s_waitcnt vmcnt(6)
	buffer_store_dword v4, v2, s[0:3], 0 offen offset:4
	s_waitcnt vmcnt(5)
	buffer_store_dword v43, v2, s[0:3], 0 offen offset:8
	;; [unrolled: 2-line block ×6, first 2 shown]
	s_waitcnt vmcnt(0)
	buffer_store_dword v48, v1, s[0:3], 0 offen
.LBB82_158:
	global_load_dword v0, v0, s[12:13] offset:8
	s_waitcnt vmcnt(0)
	v_add_nc_u32_e32 v0, -1, v0
	v_cmp_eq_u32_e32 vcc_lo, 2, v0
	s_cbranch_vccnz .LBB82_160
; %bb.159:
	v_lshlrev_b32_e32 v0, 4, v0
	v_mov_b32_e32 v1, s28
	v_add_nc_u32_e32 v0, 16, v0
	s_clause 0x7
	buffer_load_dword v2, v0, s[0:3], 0 offen
	buffer_load_dword v3, v0, s[0:3], 0 offen offset:4
	buffer_load_dword v4, v0, s[0:3], 0 offen offset:8
	;; [unrolled: 1-line block ×6, first 2 shown]
	buffer_load_dword v47, v1, s[0:3], 0 offen
	s_waitcnt vmcnt(7)
	buffer_store_dword v2, v1, s[0:3], 0 offen
	s_waitcnt vmcnt(6)
	buffer_store_dword v3, v1, s[0:3], 0 offen offset:4
	s_waitcnt vmcnt(5)
	buffer_store_dword v4, v1, s[0:3], 0 offen offset:8
	;; [unrolled: 2-line block ×6, first 2 shown]
	s_waitcnt vmcnt(0)
	buffer_store_dword v47, v0, s[0:3], 0 offen
.LBB82_160:
	v_mov_b32_e32 v0, 0
	global_load_dword v1, v0, s[12:13] offset:4
	s_waitcnt vmcnt(0)
	v_add_nc_u32_e32 v1, -1, v1
	v_cmp_eq_u32_e32 vcc_lo, 1, v1
	s_cbranch_vccnz .LBB82_162
; %bb.161:
	v_lshlrev_b32_e32 v1, 4, v1
	v_mov_b32_e32 v2, s29
	v_add_nc_u32_e32 v1, 16, v1
	s_clause 0x7
	buffer_load_dword v3, v1, s[0:3], 0 offen
	buffer_load_dword v4, v1, s[0:3], 0 offen offset:4
	buffer_load_dword v43, v1, s[0:3], 0 offen offset:8
	;; [unrolled: 1-line block ×6, first 2 shown]
	buffer_load_dword v48, v2, s[0:3], 0 offen
	s_waitcnt vmcnt(7)
	buffer_store_dword v3, v2, s[0:3], 0 offen
	s_waitcnt vmcnt(6)
	buffer_store_dword v4, v2, s[0:3], 0 offen offset:4
	s_waitcnt vmcnt(5)
	buffer_store_dword v43, v2, s[0:3], 0 offen offset:8
	s_waitcnt vmcnt(4)
	buffer_store_dword v44, v2, s[0:3], 0 offen offset:12
	s_waitcnt vmcnt(3)
	buffer_store_dword v45, v1, s[0:3], 0 offen offset:12
	s_waitcnt vmcnt(2)
	buffer_store_dword v46, v1, s[0:3], 0 offen offset:8
	s_waitcnt vmcnt(1)
	buffer_store_dword v47, v1, s[0:3], 0 offen offset:4
	s_waitcnt vmcnt(0)
	buffer_store_dword v48, v1, s[0:3], 0 offen
.LBB82_162:
	global_load_dword v0, v0, s[12:13]
	s_waitcnt vmcnt(0)
	v_add_nc_u32_e32 v0, -1, v0
	v_cmp_eq_u32_e32 vcc_lo, 0, v0
	s_cbranch_vccnz .LBB82_164
; %bb.163:
	v_lshlrev_b32_e32 v0, 4, v0
	v_add_nc_u32_e32 v0, 16, v0
	s_clause 0x7
	buffer_load_dword v1, v0, s[0:3], 0 offen
	buffer_load_dword v2, v0, s[0:3], 0 offen offset:4
	buffer_load_dword v3, v0, s[0:3], 0 offen offset:8
	;; [unrolled: 1-line block ×3, first 2 shown]
	buffer_load_dword v43, off, s[0:3], 0 offset:28
	buffer_load_dword v44, off, s[0:3], 0 offset:24
	;; [unrolled: 1-line block ×4, first 2 shown]
	s_waitcnt vmcnt(7)
	buffer_store_dword v1, off, s[0:3], 0 offset:16
	s_waitcnt vmcnt(6)
	buffer_store_dword v2, off, s[0:3], 0 offset:20
	;; [unrolled: 2-line block ×4, first 2 shown]
	s_waitcnt vmcnt(3)
	buffer_store_dword v43, v0, s[0:3], 0 offen offset:12
	s_waitcnt vmcnt(2)
	buffer_store_dword v44, v0, s[0:3], 0 offen offset:8
	s_waitcnt vmcnt(1)
	buffer_store_dword v45, v0, s[0:3], 0 offen offset:4
	s_waitcnt vmcnt(0)
	buffer_store_dword v46, v0, s[0:3], 0 offen
.LBB82_164:
	s_clause 0x3
	buffer_load_dword v0, off, s[0:3], 0 offset:16
	buffer_load_dword v1, off, s[0:3], 0 offset:20
	;; [unrolled: 1-line block ×4, first 2 shown]
	v_mov_b32_e32 v4, s29
	s_waitcnt vmcnt(0)
	flat_store_dwordx4 v[5:6], v[0:3]
	s_clause 0x3
	buffer_load_dword v0, v4, s[0:3], 0 offen
	buffer_load_dword v1, v4, s[0:3], 0 offen offset:4
	buffer_load_dword v2, v4, s[0:3], 0 offen offset:8
	buffer_load_dword v3, v4, s[0:3], 0 offen offset:12
	v_mov_b32_e32 v4, s28
	s_waitcnt vmcnt(0)
	flat_store_dwordx4 v[7:8], v[0:3]
	s_clause 0x3
	buffer_load_dword v0, v4, s[0:3], 0 offen
	buffer_load_dword v1, v4, s[0:3], 0 offen offset:4
	buffer_load_dword v2, v4, s[0:3], 0 offen offset:8
	buffer_load_dword v3, v4, s[0:3], 0 offen offset:12
	;; [unrolled: 8-line block ×18, first 2 shown]
	s_waitcnt vmcnt(0)
	flat_store_dwordx4 v[41:42], v[0:3]
	s_endpgm
	.section	.rodata,"a",@progbits
	.p2align	6, 0x0
	.amdhsa_kernel _ZN9rocsolver6v33100L18getri_kernel_smallILi19E19rocblas_complex_numIdEPKPS3_EEvT1_iilPiilS8_bb
		.amdhsa_group_segment_fixed_size 616
		.amdhsa_private_segment_fixed_size 336
		.amdhsa_kernarg_size 60
		.amdhsa_user_sgpr_count 6
		.amdhsa_user_sgpr_private_segment_buffer 1
		.amdhsa_user_sgpr_dispatch_ptr 0
		.amdhsa_user_sgpr_queue_ptr 0
		.amdhsa_user_sgpr_kernarg_segment_ptr 1
		.amdhsa_user_sgpr_dispatch_id 0
		.amdhsa_user_sgpr_flat_scratch_init 0
		.amdhsa_user_sgpr_private_segment_size 0
		.amdhsa_wavefront_size32 1
		.amdhsa_uses_dynamic_stack 0
		.amdhsa_system_sgpr_private_segment_wavefront_offset 1
		.amdhsa_system_sgpr_workgroup_id_x 1
		.amdhsa_system_sgpr_workgroup_id_y 0
		.amdhsa_system_sgpr_workgroup_id_z 0
		.amdhsa_system_sgpr_workgroup_info 0
		.amdhsa_system_vgpr_workitem_id 0
		.amdhsa_next_free_vgpr 126
		.amdhsa_next_free_sgpr 39
		.amdhsa_reserve_vcc 1
		.amdhsa_reserve_flat_scratch 0
		.amdhsa_float_round_mode_32 0
		.amdhsa_float_round_mode_16_64 0
		.amdhsa_float_denorm_mode_32 3
		.amdhsa_float_denorm_mode_16_64 3
		.amdhsa_dx10_clamp 1
		.amdhsa_ieee_mode 1
		.amdhsa_fp16_overflow 0
		.amdhsa_workgroup_processor_mode 1
		.amdhsa_memory_ordered 1
		.amdhsa_forward_progress 1
		.amdhsa_shared_vgpr_count 0
		.amdhsa_exception_fp_ieee_invalid_op 0
		.amdhsa_exception_fp_denorm_src 0
		.amdhsa_exception_fp_ieee_div_zero 0
		.amdhsa_exception_fp_ieee_overflow 0
		.amdhsa_exception_fp_ieee_underflow 0
		.amdhsa_exception_fp_ieee_inexact 0
		.amdhsa_exception_int_div_zero 0
	.end_amdhsa_kernel
	.section	.text._ZN9rocsolver6v33100L18getri_kernel_smallILi19E19rocblas_complex_numIdEPKPS3_EEvT1_iilPiilS8_bb,"axG",@progbits,_ZN9rocsolver6v33100L18getri_kernel_smallILi19E19rocblas_complex_numIdEPKPS3_EEvT1_iilPiilS8_bb,comdat
.Lfunc_end82:
	.size	_ZN9rocsolver6v33100L18getri_kernel_smallILi19E19rocblas_complex_numIdEPKPS3_EEvT1_iilPiilS8_bb, .Lfunc_end82-_ZN9rocsolver6v33100L18getri_kernel_smallILi19E19rocblas_complex_numIdEPKPS3_EEvT1_iilPiilS8_bb
                                        ; -- End function
	.set _ZN9rocsolver6v33100L18getri_kernel_smallILi19E19rocblas_complex_numIdEPKPS3_EEvT1_iilPiilS8_bb.num_vgpr, 126
	.set _ZN9rocsolver6v33100L18getri_kernel_smallILi19E19rocblas_complex_numIdEPKPS3_EEvT1_iilPiilS8_bb.num_agpr, 0
	.set _ZN9rocsolver6v33100L18getri_kernel_smallILi19E19rocblas_complex_numIdEPKPS3_EEvT1_iilPiilS8_bb.numbered_sgpr, 39
	.set _ZN9rocsolver6v33100L18getri_kernel_smallILi19E19rocblas_complex_numIdEPKPS3_EEvT1_iilPiilS8_bb.num_named_barrier, 0
	.set _ZN9rocsolver6v33100L18getri_kernel_smallILi19E19rocblas_complex_numIdEPKPS3_EEvT1_iilPiilS8_bb.private_seg_size, 336
	.set _ZN9rocsolver6v33100L18getri_kernel_smallILi19E19rocblas_complex_numIdEPKPS3_EEvT1_iilPiilS8_bb.uses_vcc, 1
	.set _ZN9rocsolver6v33100L18getri_kernel_smallILi19E19rocblas_complex_numIdEPKPS3_EEvT1_iilPiilS8_bb.uses_flat_scratch, 0
	.set _ZN9rocsolver6v33100L18getri_kernel_smallILi19E19rocblas_complex_numIdEPKPS3_EEvT1_iilPiilS8_bb.has_dyn_sized_stack, 0
	.set _ZN9rocsolver6v33100L18getri_kernel_smallILi19E19rocblas_complex_numIdEPKPS3_EEvT1_iilPiilS8_bb.has_recursion, 0
	.set _ZN9rocsolver6v33100L18getri_kernel_smallILi19E19rocblas_complex_numIdEPKPS3_EEvT1_iilPiilS8_bb.has_indirect_call, 0
	.section	.AMDGPU.csdata,"",@progbits
; Kernel info:
; codeLenInByte = 34504
; TotalNumSgprs: 41
; NumVgprs: 126
; ScratchSize: 336
; MemoryBound: 0
; FloatMode: 240
; IeeeMode: 1
; LDSByteSize: 616 bytes/workgroup (compile time only)
; SGPRBlocks: 0
; VGPRBlocks: 15
; NumSGPRsForWavesPerEU: 41
; NumVGPRsForWavesPerEU: 126
; Occupancy: 8
; WaveLimiterHint : 1
; COMPUTE_PGM_RSRC2:SCRATCH_EN: 1
; COMPUTE_PGM_RSRC2:USER_SGPR: 6
; COMPUTE_PGM_RSRC2:TRAP_HANDLER: 0
; COMPUTE_PGM_RSRC2:TGID_X_EN: 1
; COMPUTE_PGM_RSRC2:TGID_Y_EN: 0
; COMPUTE_PGM_RSRC2:TGID_Z_EN: 0
; COMPUTE_PGM_RSRC2:TIDIG_COMP_CNT: 0
	.section	.text._ZN9rocsolver6v33100L18getri_kernel_smallILi20E19rocblas_complex_numIdEPKPS3_EEvT1_iilPiilS8_bb,"axG",@progbits,_ZN9rocsolver6v33100L18getri_kernel_smallILi20E19rocblas_complex_numIdEPKPS3_EEvT1_iilPiilS8_bb,comdat
	.globl	_ZN9rocsolver6v33100L18getri_kernel_smallILi20E19rocblas_complex_numIdEPKPS3_EEvT1_iilPiilS8_bb ; -- Begin function _ZN9rocsolver6v33100L18getri_kernel_smallILi20E19rocblas_complex_numIdEPKPS3_EEvT1_iilPiilS8_bb
	.p2align	8
	.type	_ZN9rocsolver6v33100L18getri_kernel_smallILi20E19rocblas_complex_numIdEPKPS3_EEvT1_iilPiilS8_bb,@function
_ZN9rocsolver6v33100L18getri_kernel_smallILi20E19rocblas_complex_numIdEPKPS3_EEvT1_iilPiilS8_bb: ; @_ZN9rocsolver6v33100L18getri_kernel_smallILi20E19rocblas_complex_numIdEPKPS3_EEvT1_iilPiilS8_bb
; %bb.0:
	s_add_u32 s0, s0, s7
	s_addc_u32 s1, s1, 0
	s_mov_b32 s7, exec_lo
	v_cmpx_gt_u32_e32 20, v0
	s_cbranch_execz .LBB83_94
; %bb.1:
	s_clause 0x2
	s_load_dword s16, s[4:5], 0x38
	s_load_dwordx2 s[12:13], s[4:5], 0x0
	s_load_dwordx4 s[8:11], s[4:5], 0x28
	s_waitcnt lgkmcnt(0)
	s_bitcmp1_b32 s16, 8
	s_cselect_b32 s31, -1, 0
	s_ashr_i32 s7, s6, 31
	s_lshl_b64 s[14:15], s[6:7], 3
	s_add_u32 s12, s12, s14
	s_addc_u32 s13, s13, s15
	s_load_dwordx2 s[14:15], s[12:13], 0x0
	s_bfe_u32 s12, s16, 0x10008
	s_cmp_eq_u32 s12, 0
                                        ; implicit-def: $sgpr12_sgpr13
	s_cbranch_scc1 .LBB83_3
; %bb.2:
	s_clause 0x1
	s_load_dword s12, s[4:5], 0x20
	s_load_dwordx2 s[16:17], s[4:5], 0x18
	s_mul_i32 s13, s8, s7
	s_mul_hi_u32 s18, s8, s6
	s_mul_i32 s9, s9, s6
	s_add_i32 s13, s18, s13
	s_mul_i32 s8, s8, s6
	s_add_i32 s9, s13, s9
	s_lshl_b64 s[8:9], s[8:9], 2
	s_waitcnt lgkmcnt(0)
	s_ashr_i32 s13, s12, 31
	s_add_u32 s16, s16, s8
	s_addc_u32 s17, s17, s9
	s_lshl_b64 s[8:9], s[12:13], 2
	s_add_u32 s12, s16, s8
	s_addc_u32 s13, s17, s9
.LBB83_3:
	s_clause 0x1
	s_load_dwordx2 s[8:9], s[4:5], 0x8
	s_load_dword s4, s[4:5], 0x38
	v_lshlrev_b32_e32 v51, 4, v0
	s_movk_i32 s18, 0xb0
	s_movk_i32 s19, 0xc0
	;; [unrolled: 1-line block ×9, first 2 shown]
	s_mov_b32 s30, 32
	s_mov_b32 s29, 48
	;; [unrolled: 1-line block ×3, first 2 shown]
	s_movk_i32 s27, 0x50
	s_waitcnt lgkmcnt(0)
	s_ashr_i32 s17, s8, 31
	s_mov_b32 s16, s8
	v_add3_u32 v11, s9, s9, v0
	s_lshl_b64 s[16:17], s[16:17], 4
	s_add_u32 s5, s14, s16
	s_addc_u32 s8, s15, s17
	v_add_co_u32 v5, s14, s5, v51
	v_add_co_ci_u32_e64 v6, null, s8, 0, s14
	s_mov_b32 s14, s9
	s_ashr_i32 s15, s9, 31
	v_ashrrev_i32_e32 v12, 31, v11
	flat_load_dwordx4 v[1:4], v[5:6]
	s_lshl_b64 s[14:15], s[14:15], 4
	v_add_nc_u32_e32 v13, s9, v11
	v_add_co_u32 v7, vcc_lo, v5, s14
	v_add_co_ci_u32_e64 v8, null, s15, v6, vcc_lo
	v_lshlrev_b64 v[9:10], 4, v[11:12]
	v_ashrrev_i32_e32 v14, 31, v13
	v_add_nc_u32_e32 v15, s9, v13
	s_movk_i32 s14, 0x70
	s_movk_i32 s15, 0x80
	;; [unrolled: 1-line block ×3, first 2 shown]
	v_add_co_u32 v9, vcc_lo, s5, v9
	v_add_co_ci_u32_e64 v10, null, s8, v10, vcc_lo
	v_lshlrev_b64 v[11:12], 4, v[13:14]
	v_ashrrev_i32_e32 v16, 31, v15
	v_add_nc_u32_e32 v17, s9, v15
	s_movk_i32 s17, 0xa0
	s_add_i32 s24, s14, 16
	s_add_i32 s23, s15, 16
	v_add_co_u32 v11, vcc_lo, s5, v11
	v_add_co_ci_u32_e64 v12, null, s8, v12, vcc_lo
	v_lshlrev_b64 v[13:14], 4, v[15:16]
	v_ashrrev_i32_e32 v18, 31, v17
	v_add_nc_u32_e32 v19, s9, v17
	s_add_i32 s22, s16, 16
	s_add_i32 s21, s17, 16
	s_add_i32 s20, s18, 16
	v_add_co_u32 v13, vcc_lo, s5, v13
	v_add_co_ci_u32_e64 v14, null, s8, v14, vcc_lo
	v_lshlrev_b64 v[15:16], 4, v[17:18]
	v_ashrrev_i32_e32 v20, 31, v19
	v_add_nc_u32_e32 v21, s9, v19
	s_add_i32 s19, s19, 16
	;; [unrolled: 8-line block ×3, first 2 shown]
	s_add_i32 s15, s36, 16
	s_add_i32 s14, s37, 16
	v_add_co_u32 v17, vcc_lo, s5, v17
	v_add_co_ci_u32_e64 v18, null, s8, v18, vcc_lo
	v_lshlrev_b64 v[19:20], 4, v[21:22]
	v_ashrrev_i32_e32 v24, 31, v23
	v_add_nc_u32_e32 v25, s9, v23
	s_waitcnt vmcnt(0) lgkmcnt(0)
	buffer_store_dword v4, off, s[0:3], 0 offset:28
	buffer_store_dword v3, off, s[0:3], 0 offset:24
	buffer_store_dword v2, off, s[0:3], 0 offset:20
	buffer_store_dword v1, off, s[0:3], 0 offset:16
	flat_load_dwordx4 v[1:4], v[7:8]
	v_add_co_u32 v19, vcc_lo, s5, v19
	v_add_co_ci_u32_e64 v20, null, s8, v20, vcc_lo
	v_lshlrev_b64 v[21:22], 4, v[23:24]
	v_ashrrev_i32_e32 v26, 31, v25
	v_add_nc_u32_e32 v27, s9, v25
	s_waitcnt vmcnt(0) lgkmcnt(0)
	buffer_store_dword v4, off, s[0:3], 0 offset:44
	buffer_store_dword v3, off, s[0:3], 0 offset:40
	buffer_store_dword v2, off, s[0:3], 0 offset:36
	buffer_store_dword v1, off, s[0:3], 0 offset:32
	flat_load_dwordx4 v[1:4], v[9:10]
	;; [unrolled: 11-line block ×10, first 2 shown]
	v_add_co_u32 v37, vcc_lo, s5, v37
	v_add_co_ci_u32_e64 v38, null, s8, v38, vcc_lo
	v_lshlrev_b64 v[39:40], 4, v[41:42]
	v_ashrrev_i32_e32 v44, 31, v43
	s_waitcnt vmcnt(0) lgkmcnt(0)
	buffer_store_dword v4, off, s[0:3], 0 offset:188
	buffer_store_dword v3, off, s[0:3], 0 offset:184
	;; [unrolled: 1-line block ×4, first 2 shown]
	flat_load_dwordx4 v[1:4], v[27:28]
	v_add_co_u32 v39, vcc_lo, s5, v39
	v_add_co_ci_u32_e64 v40, null, s8, v40, vcc_lo
	v_lshlrev_b64 v[41:42], 4, v[43:44]
	v_add_nc_u32_e32 v43, s9, v43
	s_movk_i32 s9, 0x60
	s_waitcnt vmcnt(0) lgkmcnt(0)
	buffer_store_dword v4, off, s[0:3], 0 offset:204
	buffer_store_dword v3, off, s[0:3], 0 offset:200
	;; [unrolled: 1-line block ×4, first 2 shown]
	flat_load_dwordx4 v[1:4], v[29:30]
	v_add_co_u32 v41, vcc_lo, s5, v41
	v_add_co_ci_u32_e64 v42, null, s8, v42, vcc_lo
	v_ashrrev_i32_e32 v44, 31, v43
	s_add_i32 s25, s9, 16
	s_add_i32 s9, s38, 16
	s_waitcnt vmcnt(0) lgkmcnt(0)
	buffer_store_dword v4, off, s[0:3], 0 offset:220
	buffer_store_dword v3, off, s[0:3], 0 offset:216
	;; [unrolled: 1-line block ×4, first 2 shown]
	flat_load_dwordx4 v[1:4], v[31:32]
	v_lshlrev_b64 v[43:44], 4, v[43:44]
	s_waitcnt vmcnt(0) lgkmcnt(0)
	buffer_store_dword v4, off, s[0:3], 0 offset:236
	buffer_store_dword v3, off, s[0:3], 0 offset:232
	buffer_store_dword v2, off, s[0:3], 0 offset:228
	buffer_store_dword v1, off, s[0:3], 0 offset:224
	flat_load_dwordx4 v[1:4], v[33:34]
	v_add_co_u32 v43, vcc_lo, s5, v43
	v_add_co_ci_u32_e64 v44, null, s8, v44, vcc_lo
	s_movk_i32 s8, 0x50
	s_mov_b32 s5, -1
	s_add_i32 s26, s8, 16
	s_add_i32 s8, s39, 16
	s_bitcmp0_b32 s4, 0
	s_waitcnt vmcnt(0) lgkmcnt(0)
	buffer_store_dword v4, off, s[0:3], 0 offset:252
	buffer_store_dword v3, off, s[0:3], 0 offset:248
	buffer_store_dword v2, off, s[0:3], 0 offset:244
	buffer_store_dword v1, off, s[0:3], 0 offset:240
	flat_load_dwordx4 v[1:4], v[35:36]
	s_waitcnt vmcnt(0) lgkmcnt(0)
	buffer_store_dword v4, off, s[0:3], 0 offset:268
	buffer_store_dword v3, off, s[0:3], 0 offset:264
	buffer_store_dword v2, off, s[0:3], 0 offset:260
	buffer_store_dword v1, off, s[0:3], 0 offset:256
	flat_load_dwordx4 v[1:4], v[37:38]
	;; [unrolled: 6-line block ×5, first 2 shown]
	s_waitcnt vmcnt(0) lgkmcnt(0)
	buffer_store_dword v4, off, s[0:3], 0 offset:332
	buffer_store_dword v3, off, s[0:3], 0 offset:328
	;; [unrolled: 1-line block ×4, first 2 shown]
	s_cbranch_scc1 .LBB83_92
; %bb.4:
	v_cmp_eq_u32_e64 s4, 0, v0
	s_and_saveexec_b32 s5, s4
; %bb.5:
	v_mov_b32_e32 v1, 0
	ds_write_b32 v1, v1 offset:640
; %bb.6:
	s_or_b32 exec_lo, exec_lo, s5
	v_lshl_add_u32 v52, v0, 4, 16
	s_waitcnt lgkmcnt(0)
	s_waitcnt_vscnt null, 0x0
	s_barrier
	buffer_gl0_inv
	s_clause 0x3
	buffer_load_dword v1, v52, s[0:3], 0 offen
	buffer_load_dword v2, v52, s[0:3], 0 offen offset:4
	buffer_load_dword v3, v52, s[0:3], 0 offen offset:8
	;; [unrolled: 1-line block ×3, first 2 shown]
	s_waitcnt vmcnt(2)
	v_cmp_eq_f64_e32 vcc_lo, 0, v[1:2]
	s_waitcnt vmcnt(0)
	v_cmp_eq_f64_e64 s5, 0, v[3:4]
	s_and_b32 s5, vcc_lo, s5
	s_and_saveexec_b32 s33, s5
	s_cbranch_execz .LBB83_10
; %bb.7:
	v_mov_b32_e32 v1, 0
	s_mov_b32 s34, 0
	ds_read_b32 v2, v1 offset:640
	s_waitcnt lgkmcnt(0)
	v_readfirstlane_b32 s5, v2
	v_add_nc_u32_e32 v2, 1, v0
	s_cmp_eq_u32 s5, 0
	v_cmp_gt_i32_e32 vcc_lo, s5, v2
	s_cselect_b32 s35, -1, 0
	s_or_b32 s35, s35, vcc_lo
	s_and_b32 exec_lo, exec_lo, s35
	s_cbranch_execz .LBB83_10
; %bb.8:
	v_mov_b32_e32 v3, s5
.LBB83_9:                               ; =>This Inner Loop Header: Depth=1
	ds_cmpst_rtn_b32 v3, v1, v3, v2 offset:640
	s_waitcnt lgkmcnt(0)
	v_cmp_ne_u32_e32 vcc_lo, 0, v3
	v_cmp_le_i32_e64 s5, v3, v2
	s_and_b32 s5, vcc_lo, s5
	s_and_b32 s5, exec_lo, s5
	s_or_b32 s34, s5, s34
	s_andn2_b32 exec_lo, exec_lo, s34
	s_cbranch_execnz .LBB83_9
.LBB83_10:
	s_or_b32 exec_lo, exec_lo, s33
	v_mov_b32_e32 v1, 0
	s_barrier
	buffer_gl0_inv
	ds_read_b32 v2, v1 offset:640
	s_and_saveexec_b32 s5, s4
	s_cbranch_execz .LBB83_12
; %bb.11:
	s_lshl_b64 s[34:35], s[6:7], 2
	s_add_u32 s34, s10, s34
	s_addc_u32 s35, s11, s35
	s_waitcnt lgkmcnt(0)
	global_store_dword v1, v2, s[34:35]
.LBB83_12:
	s_or_b32 exec_lo, exec_lo, s5
	s_waitcnt lgkmcnt(0)
	v_cmp_ne_u32_e32 vcc_lo, 0, v2
	s_mov_b32 s5, 0
	s_cbranch_vccnz .LBB83_92
; %bb.13:
	s_clause 0x3
	buffer_load_dword v47, v52, s[0:3], 0 offen
	buffer_load_dword v48, v52, s[0:3], 0 offen offset:4
	buffer_load_dword v49, v52, s[0:3], 0 offen offset:8
	;; [unrolled: 1-line block ×3, first 2 shown]
                                        ; implicit-def: $vgpr45_vgpr46
                                        ; implicit-def: $vgpr3_vgpr4
	s_waitcnt vmcnt(0)
	v_cmp_ngt_f64_e64 s5, |v[47:48]|, |v[49:50]|
	s_and_saveexec_b32 s33, s5
	s_xor_b32 s5, exec_lo, s33
	s_cbranch_execz .LBB83_15
; %bb.14:
	v_div_scale_f64 v[1:2], null, v[49:50], v[49:50], v[47:48]
	v_div_scale_f64 v[53:54], vcc_lo, v[47:48], v[49:50], v[47:48]
	v_rcp_f64_e32 v[3:4], v[1:2]
	v_fma_f64 v[45:46], -v[1:2], v[3:4], 1.0
	v_fma_f64 v[3:4], v[3:4], v[45:46], v[3:4]
	v_fma_f64 v[45:46], -v[1:2], v[3:4], 1.0
	v_fma_f64 v[3:4], v[3:4], v[45:46], v[3:4]
	v_mul_f64 v[45:46], v[53:54], v[3:4]
	v_fma_f64 v[1:2], -v[1:2], v[45:46], v[53:54]
	v_div_fmas_f64 v[1:2], v[1:2], v[3:4], v[45:46]
	v_div_fixup_f64 v[1:2], v[1:2], v[49:50], v[47:48]
	v_fma_f64 v[3:4], v[47:48], v[1:2], v[49:50]
	v_div_scale_f64 v[45:46], null, v[3:4], v[3:4], 1.0
	v_div_scale_f64 v[53:54], vcc_lo, 1.0, v[3:4], 1.0
	v_rcp_f64_e32 v[47:48], v[45:46]
	v_fma_f64 v[49:50], -v[45:46], v[47:48], 1.0
	v_fma_f64 v[47:48], v[47:48], v[49:50], v[47:48]
	v_fma_f64 v[49:50], -v[45:46], v[47:48], 1.0
	v_fma_f64 v[47:48], v[47:48], v[49:50], v[47:48]
	v_mul_f64 v[49:50], v[53:54], v[47:48]
	v_fma_f64 v[45:46], -v[45:46], v[49:50], v[53:54]
	v_div_fmas_f64 v[45:46], v[45:46], v[47:48], v[49:50]
                                        ; implicit-def: $vgpr47_vgpr48
                                        ; implicit-def: $vgpr49_vgpr50
	v_div_fixup_f64 v[3:4], v[45:46], v[3:4], 1.0
	v_mul_f64 v[45:46], v[1:2], v[3:4]
	v_xor_b32_e32 v4, 0x80000000, v4
	v_xor_b32_e32 v2, 0x80000000, v46
	v_mov_b32_e32 v1, v45
.LBB83_15:
	s_andn2_saveexec_b32 s5, s5
	s_cbranch_execz .LBB83_17
; %bb.16:
	v_div_scale_f64 v[1:2], null, v[47:48], v[47:48], v[49:50]
	v_div_scale_f64 v[53:54], vcc_lo, v[49:50], v[47:48], v[49:50]
	v_rcp_f64_e32 v[3:4], v[1:2]
	v_fma_f64 v[45:46], -v[1:2], v[3:4], 1.0
	v_fma_f64 v[3:4], v[3:4], v[45:46], v[3:4]
	v_fma_f64 v[45:46], -v[1:2], v[3:4], 1.0
	v_fma_f64 v[3:4], v[3:4], v[45:46], v[3:4]
	v_mul_f64 v[45:46], v[53:54], v[3:4]
	v_fma_f64 v[1:2], -v[1:2], v[45:46], v[53:54]
	v_div_fmas_f64 v[1:2], v[1:2], v[3:4], v[45:46]
	v_div_fixup_f64 v[1:2], v[1:2], v[47:48], v[49:50]
	v_fma_f64 v[3:4], v[49:50], v[1:2], v[47:48]
	v_div_scale_f64 v[45:46], null, v[3:4], v[3:4], 1.0
	v_rcp_f64_e32 v[47:48], v[45:46]
	v_fma_f64 v[49:50], -v[45:46], v[47:48], 1.0
	v_fma_f64 v[47:48], v[47:48], v[49:50], v[47:48]
	v_fma_f64 v[49:50], -v[45:46], v[47:48], 1.0
	v_fma_f64 v[47:48], v[47:48], v[49:50], v[47:48]
	v_div_scale_f64 v[49:50], vcc_lo, 1.0, v[3:4], 1.0
	v_mul_f64 v[53:54], v[49:50], v[47:48]
	v_fma_f64 v[45:46], -v[45:46], v[53:54], v[49:50]
	v_div_fmas_f64 v[45:46], v[45:46], v[47:48], v[53:54]
	v_div_fixup_f64 v[45:46], v[45:46], v[3:4], 1.0
	v_mul_f64 v[3:4], v[1:2], -v[45:46]
	v_xor_b32_e32 v2, 0x80000000, v46
	v_mov_b32_e32 v1, v45
.LBB83_17:
	s_or_b32 exec_lo, exec_lo, s5
	v_mov_b32_e32 v50, s30
	buffer_store_dword v46, v52, s[0:3], 0 offen offset:4
	buffer_store_dword v45, v52, s[0:3], 0 offen
	buffer_store_dword v4, v52, s[0:3], 0 offen offset:12
	buffer_store_dword v3, v52, s[0:3], 0 offen offset:8
	v_xor_b32_e32 v4, 0x80000000, v4
	v_add_nc_u32_e32 v45, 0x140, v51
	s_clause 0x3
	buffer_load_dword v49, v50, s[0:3], 0 offen offset:12
	buffer_load_dword v48, v50, s[0:3], 0 offen offset:8
	;; [unrolled: 1-line block ×3, first 2 shown]
	buffer_load_dword v46, v50, s[0:3], 0 offen
	ds_write_b128 v51, v[1:4]
	s_waitcnt vmcnt(0)
	ds_write_b128 v51, v[46:49] offset:320
	s_waitcnt lgkmcnt(0)
	s_waitcnt_vscnt null, 0x0
	s_barrier
	buffer_gl0_inv
	s_and_saveexec_b32 s5, s4
	s_cbranch_execz .LBB83_19
; %bb.18:
	s_clause 0x3
	buffer_load_dword v53, v52, s[0:3], 0 offen offset:8
	buffer_load_dword v54, v52, s[0:3], 0 offen offset:12
	buffer_load_dword v55, v52, s[0:3], 0 offen
	buffer_load_dword v56, v52, s[0:3], 0 offen offset:4
	ds_read_b128 v[1:4], v45
	v_mov_b32_e32 v46, 0
	ds_read_b128 v[46:49], v46 offset:16
	s_waitcnt vmcnt(2) lgkmcnt(1)
	v_mul_f64 v[57:58], v[1:2], v[53:54]
	v_mul_f64 v[53:54], v[3:4], v[53:54]
	s_waitcnt vmcnt(0)
	v_fma_f64 v[3:4], v[3:4], v[55:56], v[57:58]
	v_fma_f64 v[1:2], v[1:2], v[55:56], -v[53:54]
	v_add_f64 v[3:4], v[3:4], 0
	v_add_f64 v[1:2], v[1:2], 0
	s_waitcnt lgkmcnt(0)
	v_mul_f64 v[53:54], v[3:4], v[48:49]
	v_mul_f64 v[48:49], v[1:2], v[48:49]
	v_fma_f64 v[1:2], v[1:2], v[46:47], -v[53:54]
	v_fma_f64 v[3:4], v[3:4], v[46:47], v[48:49]
	buffer_store_dword v1, off, s[0:3], 0 offset:32
	buffer_store_dword v2, off, s[0:3], 0 offset:36
	;; [unrolled: 1-line block ×4, first 2 shown]
.LBB83_19:
	s_or_b32 exec_lo, exec_lo, s5
	v_mov_b32_e32 v4, s29
	s_waitcnt_vscnt null, 0x0
	s_barrier
	buffer_gl0_inv
	s_mov_b32 s5, exec_lo
	s_clause 0x3
	buffer_load_dword v1, v4, s[0:3], 0 offen
	buffer_load_dword v2, v4, s[0:3], 0 offen offset:4
	buffer_load_dword v3, v4, s[0:3], 0 offen offset:8
	;; [unrolled: 1-line block ×3, first 2 shown]
	s_waitcnt vmcnt(0)
	ds_write_b128 v45, v[1:4]
	s_waitcnt lgkmcnt(0)
	s_barrier
	buffer_gl0_inv
	v_cmpx_gt_u32_e32 2, v0
	s_cbranch_execz .LBB83_23
; %bb.20:
	s_clause 0x3
	buffer_load_dword v46, v52, s[0:3], 0 offen offset:8
	buffer_load_dword v47, v52, s[0:3], 0 offen offset:12
	buffer_load_dword v48, v52, s[0:3], 0 offen
	buffer_load_dword v49, v52, s[0:3], 0 offen offset:4
	ds_read_b128 v[1:4], v45
	s_waitcnt vmcnt(2) lgkmcnt(0)
	v_mul_f64 v[52:53], v[3:4], v[46:47]
	v_mul_f64 v[46:47], v[1:2], v[46:47]
	s_waitcnt vmcnt(0)
	v_fma_f64 v[1:2], v[1:2], v[48:49], -v[52:53]
	v_fma_f64 v[3:4], v[3:4], v[48:49], v[46:47]
	v_add_f64 v[1:2], v[1:2], 0
	v_add_f64 v[3:4], v[3:4], 0
	s_and_saveexec_b32 s33, s4
	s_cbranch_execz .LBB83_22
; %bb.21:
	s_clause 0x3
	buffer_load_dword v52, off, s[0:3], 0 offset:40
	buffer_load_dword v53, off, s[0:3], 0 offset:44
	;; [unrolled: 1-line block ×4, first 2 shown]
	v_mov_b32_e32 v46, 0
	ds_read_b128 v[46:49], v46 offset:336
	s_waitcnt vmcnt(2) lgkmcnt(0)
	v_mul_f64 v[56:57], v[46:47], v[52:53]
	v_mul_f64 v[52:53], v[48:49], v[52:53]
	s_waitcnt vmcnt(0)
	v_fma_f64 v[48:49], v[48:49], v[54:55], v[56:57]
	v_fma_f64 v[46:47], v[46:47], v[54:55], -v[52:53]
	v_add_f64 v[3:4], v[3:4], v[48:49]
	v_add_f64 v[1:2], v[1:2], v[46:47]
.LBB83_22:
	s_or_b32 exec_lo, exec_lo, s33
	v_mov_b32_e32 v46, 0
	ds_read_b128 v[46:49], v46 offset:32
	s_waitcnt lgkmcnt(0)
	v_mul_f64 v[52:53], v[3:4], v[48:49]
	v_mul_f64 v[48:49], v[1:2], v[48:49]
	v_fma_f64 v[1:2], v[1:2], v[46:47], -v[52:53]
	v_fma_f64 v[3:4], v[3:4], v[46:47], v[48:49]
	buffer_store_dword v2, off, s[0:3], 0 offset:52
	buffer_store_dword v1, off, s[0:3], 0 offset:48
	;; [unrolled: 1-line block ×4, first 2 shown]
.LBB83_23:
	s_or_b32 exec_lo, exec_lo, s5
	v_mov_b32_e32 v4, s28
	s_waitcnt_vscnt null, 0x0
	s_barrier
	buffer_gl0_inv
	v_add_nc_u32_e32 v46, -1, v0
	s_clause 0x3
	buffer_load_dword v1, v4, s[0:3], 0 offen
	buffer_load_dword v2, v4, s[0:3], 0 offen offset:4
	buffer_load_dword v3, v4, s[0:3], 0 offen offset:8
	;; [unrolled: 1-line block ×3, first 2 shown]
	s_mov_b32 s4, exec_lo
	s_waitcnt vmcnt(0)
	ds_write_b128 v45, v[1:4]
	s_waitcnt lgkmcnt(0)
	s_barrier
	buffer_gl0_inv
	v_cmpx_gt_u32_e32 3, v0
	s_cbranch_execz .LBB83_27
; %bb.24:
	v_mov_b32_e32 v1, 0
	v_mov_b32_e32 v3, 0
	v_add_nc_u32_e32 v47, -1, v0
	v_add_nc_u32_e32 v48, 0x140, v51
	v_mov_b32_e32 v2, 0
	v_mov_b32_e32 v4, 0
	v_add_nc_u32_e32 v49, 16, v51
	s_mov_b32 s5, 0
	.p2align	6
.LBB83_25:                              ; =>This Inner Loop Header: Depth=1
	s_clause 0x3
	buffer_load_dword v56, v49, s[0:3], 0 offen offset:8
	buffer_load_dword v57, v49, s[0:3], 0 offen offset:12
	buffer_load_dword v58, v49, s[0:3], 0 offen
	buffer_load_dword v59, v49, s[0:3], 0 offen offset:4
	ds_read_b128 v[52:55], v48
	v_add_nc_u32_e32 v47, 1, v47
	v_add_nc_u32_e32 v48, 16, v48
	;; [unrolled: 1-line block ×3, first 2 shown]
	v_cmp_lt_u32_e32 vcc_lo, 1, v47
	s_or_b32 s5, vcc_lo, s5
	s_waitcnt vmcnt(2) lgkmcnt(0)
	v_mul_f64 v[60:61], v[54:55], v[56:57]
	v_mul_f64 v[56:57], v[52:53], v[56:57]
	s_waitcnt vmcnt(0)
	v_fma_f64 v[52:53], v[52:53], v[58:59], -v[60:61]
	v_fma_f64 v[54:55], v[54:55], v[58:59], v[56:57]
	v_add_f64 v[3:4], v[3:4], v[52:53]
	v_add_f64 v[1:2], v[1:2], v[54:55]
	s_andn2_b32 exec_lo, exec_lo, s5
	s_cbranch_execnz .LBB83_25
; %bb.26:
	s_or_b32 exec_lo, exec_lo, s5
	v_mov_b32_e32 v47, 0
	ds_read_b128 v[47:50], v47 offset:48
	s_waitcnt lgkmcnt(0)
	v_mul_f64 v[52:53], v[1:2], v[49:50]
	v_mul_f64 v[49:50], v[3:4], v[49:50]
	v_fma_f64 v[3:4], v[3:4], v[47:48], -v[52:53]
	v_fma_f64 v[1:2], v[1:2], v[47:48], v[49:50]
	buffer_store_dword v4, off, s[0:3], 0 offset:68
	buffer_store_dword v3, off, s[0:3], 0 offset:64
	buffer_store_dword v2, off, s[0:3], 0 offset:76
	buffer_store_dword v1, off, s[0:3], 0 offset:72
.LBB83_27:
	s_or_b32 exec_lo, exec_lo, s4
	v_mov_b32_e32 v4, s27
	s_waitcnt_vscnt null, 0x0
	s_barrier
	buffer_gl0_inv
	s_mov_b32 s4, exec_lo
	s_clause 0x3
	buffer_load_dword v1, v4, s[0:3], 0 offen
	buffer_load_dword v2, v4, s[0:3], 0 offen offset:4
	buffer_load_dword v3, v4, s[0:3], 0 offen offset:8
	;; [unrolled: 1-line block ×3, first 2 shown]
	s_waitcnt vmcnt(0)
	ds_write_b128 v45, v[1:4]
	s_waitcnt lgkmcnt(0)
	s_barrier
	buffer_gl0_inv
	v_cmpx_gt_u32_e32 4, v0
	s_cbranch_execz .LBB83_31
; %bb.28:
	v_mov_b32_e32 v1, 0
	v_mov_b32_e32 v3, 0
	v_add_nc_u32_e32 v47, -1, v0
	v_add_nc_u32_e32 v48, 0x140, v51
	v_mov_b32_e32 v2, 0
	v_mov_b32_e32 v4, 0
	v_add_nc_u32_e32 v49, 16, v51
	s_mov_b32 s5, 0
	.p2align	6
.LBB83_29:                              ; =>This Inner Loop Header: Depth=1
	s_clause 0x3
	buffer_load_dword v56, v49, s[0:3], 0 offen offset:8
	buffer_load_dword v57, v49, s[0:3], 0 offen offset:12
	buffer_load_dword v58, v49, s[0:3], 0 offen
	buffer_load_dword v59, v49, s[0:3], 0 offen offset:4
	ds_read_b128 v[52:55], v48
	v_add_nc_u32_e32 v47, 1, v47
	v_add_nc_u32_e32 v48, 16, v48
	;; [unrolled: 1-line block ×3, first 2 shown]
	v_cmp_lt_u32_e32 vcc_lo, 2, v47
	s_or_b32 s5, vcc_lo, s5
	s_waitcnt vmcnt(2) lgkmcnt(0)
	v_mul_f64 v[60:61], v[54:55], v[56:57]
	v_mul_f64 v[56:57], v[52:53], v[56:57]
	s_waitcnt vmcnt(0)
	v_fma_f64 v[52:53], v[52:53], v[58:59], -v[60:61]
	v_fma_f64 v[54:55], v[54:55], v[58:59], v[56:57]
	v_add_f64 v[3:4], v[3:4], v[52:53]
	v_add_f64 v[1:2], v[1:2], v[54:55]
	s_andn2_b32 exec_lo, exec_lo, s5
	s_cbranch_execnz .LBB83_29
; %bb.30:
	s_or_b32 exec_lo, exec_lo, s5
	v_mov_b32_e32 v47, 0
	ds_read_b128 v[47:50], v47 offset:64
	s_waitcnt lgkmcnt(0)
	v_mul_f64 v[52:53], v[1:2], v[49:50]
	v_mul_f64 v[49:50], v[3:4], v[49:50]
	v_fma_f64 v[3:4], v[3:4], v[47:48], -v[52:53]
	v_fma_f64 v[1:2], v[1:2], v[47:48], v[49:50]
	buffer_store_dword v4, off, s[0:3], 0 offset:84
	buffer_store_dword v3, off, s[0:3], 0 offset:80
	;; [unrolled: 1-line block ×4, first 2 shown]
.LBB83_31:
	s_or_b32 exec_lo, exec_lo, s4
	v_mov_b32_e32 v4, s26
	s_waitcnt_vscnt null, 0x0
	s_barrier
	buffer_gl0_inv
	s_mov_b32 s4, exec_lo
	s_clause 0x3
	buffer_load_dword v1, v4, s[0:3], 0 offen
	buffer_load_dword v2, v4, s[0:3], 0 offen offset:4
	buffer_load_dword v3, v4, s[0:3], 0 offen offset:8
	buffer_load_dword v4, v4, s[0:3], 0 offen offset:12
	s_waitcnt vmcnt(0)
	ds_write_b128 v45, v[1:4]
	s_waitcnt lgkmcnt(0)
	s_barrier
	buffer_gl0_inv
	v_cmpx_gt_u32_e32 5, v0
	s_cbranch_execz .LBB83_35
; %bb.32:
	v_mov_b32_e32 v1, 0
	v_mov_b32_e32 v3, 0
	v_add_nc_u32_e32 v47, -1, v0
	v_add_nc_u32_e32 v48, 0x140, v51
	v_mov_b32_e32 v2, 0
	v_mov_b32_e32 v4, 0
	v_add_nc_u32_e32 v49, 16, v51
	s_mov_b32 s5, 0
	.p2align	6
.LBB83_33:                              ; =>This Inner Loop Header: Depth=1
	s_clause 0x3
	buffer_load_dword v56, v49, s[0:3], 0 offen offset:8
	buffer_load_dword v57, v49, s[0:3], 0 offen offset:12
	buffer_load_dword v58, v49, s[0:3], 0 offen
	buffer_load_dword v59, v49, s[0:3], 0 offen offset:4
	ds_read_b128 v[52:55], v48
	v_add_nc_u32_e32 v47, 1, v47
	v_add_nc_u32_e32 v48, 16, v48
	;; [unrolled: 1-line block ×3, first 2 shown]
	v_cmp_lt_u32_e32 vcc_lo, 3, v47
	s_or_b32 s5, vcc_lo, s5
	s_waitcnt vmcnt(2) lgkmcnt(0)
	v_mul_f64 v[60:61], v[54:55], v[56:57]
	v_mul_f64 v[56:57], v[52:53], v[56:57]
	s_waitcnt vmcnt(0)
	v_fma_f64 v[52:53], v[52:53], v[58:59], -v[60:61]
	v_fma_f64 v[54:55], v[54:55], v[58:59], v[56:57]
	v_add_f64 v[3:4], v[3:4], v[52:53]
	v_add_f64 v[1:2], v[1:2], v[54:55]
	s_andn2_b32 exec_lo, exec_lo, s5
	s_cbranch_execnz .LBB83_33
; %bb.34:
	s_or_b32 exec_lo, exec_lo, s5
	v_mov_b32_e32 v47, 0
	ds_read_b128 v[47:50], v47 offset:80
	s_waitcnt lgkmcnt(0)
	v_mul_f64 v[52:53], v[1:2], v[49:50]
	v_mul_f64 v[49:50], v[3:4], v[49:50]
	v_fma_f64 v[3:4], v[3:4], v[47:48], -v[52:53]
	v_fma_f64 v[1:2], v[1:2], v[47:48], v[49:50]
	buffer_store_dword v4, off, s[0:3], 0 offset:100
	buffer_store_dword v3, off, s[0:3], 0 offset:96
	;; [unrolled: 1-line block ×4, first 2 shown]
.LBB83_35:
	s_or_b32 exec_lo, exec_lo, s4
	v_mov_b32_e32 v4, s25
	s_waitcnt_vscnt null, 0x0
	s_barrier
	buffer_gl0_inv
	s_mov_b32 s4, exec_lo
	s_clause 0x3
	buffer_load_dword v1, v4, s[0:3], 0 offen
	buffer_load_dword v2, v4, s[0:3], 0 offen offset:4
	buffer_load_dword v3, v4, s[0:3], 0 offen offset:8
	;; [unrolled: 1-line block ×3, first 2 shown]
	s_waitcnt vmcnt(0)
	ds_write_b128 v45, v[1:4]
	s_waitcnt lgkmcnt(0)
	s_barrier
	buffer_gl0_inv
	v_cmpx_gt_u32_e32 6, v0
	s_cbranch_execz .LBB83_39
; %bb.36:
	v_mov_b32_e32 v1, 0
	v_mov_b32_e32 v3, 0
	v_add_nc_u32_e32 v47, -1, v0
	v_add_nc_u32_e32 v48, 0x140, v51
	v_mov_b32_e32 v2, 0
	v_mov_b32_e32 v4, 0
	v_add_nc_u32_e32 v49, 16, v51
	s_mov_b32 s5, 0
	.p2align	6
.LBB83_37:                              ; =>This Inner Loop Header: Depth=1
	s_clause 0x3
	buffer_load_dword v56, v49, s[0:3], 0 offen offset:8
	buffer_load_dword v57, v49, s[0:3], 0 offen offset:12
	buffer_load_dword v58, v49, s[0:3], 0 offen
	buffer_load_dword v59, v49, s[0:3], 0 offen offset:4
	ds_read_b128 v[52:55], v48
	v_add_nc_u32_e32 v47, 1, v47
	v_add_nc_u32_e32 v48, 16, v48
	;; [unrolled: 1-line block ×3, first 2 shown]
	v_cmp_lt_u32_e32 vcc_lo, 4, v47
	s_or_b32 s5, vcc_lo, s5
	s_waitcnt vmcnt(2) lgkmcnt(0)
	v_mul_f64 v[60:61], v[54:55], v[56:57]
	v_mul_f64 v[56:57], v[52:53], v[56:57]
	s_waitcnt vmcnt(0)
	v_fma_f64 v[52:53], v[52:53], v[58:59], -v[60:61]
	v_fma_f64 v[54:55], v[54:55], v[58:59], v[56:57]
	v_add_f64 v[3:4], v[3:4], v[52:53]
	v_add_f64 v[1:2], v[1:2], v[54:55]
	s_andn2_b32 exec_lo, exec_lo, s5
	s_cbranch_execnz .LBB83_37
; %bb.38:
	s_or_b32 exec_lo, exec_lo, s5
	v_mov_b32_e32 v47, 0
	ds_read_b128 v[47:50], v47 offset:96
	s_waitcnt lgkmcnt(0)
	v_mul_f64 v[52:53], v[1:2], v[49:50]
	v_mul_f64 v[49:50], v[3:4], v[49:50]
	v_fma_f64 v[3:4], v[3:4], v[47:48], -v[52:53]
	v_fma_f64 v[1:2], v[1:2], v[47:48], v[49:50]
	buffer_store_dword v4, off, s[0:3], 0 offset:116
	buffer_store_dword v3, off, s[0:3], 0 offset:112
	;; [unrolled: 1-line block ×4, first 2 shown]
.LBB83_39:
	s_or_b32 exec_lo, exec_lo, s4
	v_mov_b32_e32 v4, s24
	s_waitcnt_vscnt null, 0x0
	s_barrier
	buffer_gl0_inv
	s_mov_b32 s4, exec_lo
	s_clause 0x3
	buffer_load_dword v1, v4, s[0:3], 0 offen
	buffer_load_dword v2, v4, s[0:3], 0 offen offset:4
	buffer_load_dword v3, v4, s[0:3], 0 offen offset:8
	buffer_load_dword v4, v4, s[0:3], 0 offen offset:12
	s_waitcnt vmcnt(0)
	ds_write_b128 v45, v[1:4]
	s_waitcnt lgkmcnt(0)
	s_barrier
	buffer_gl0_inv
	v_cmpx_gt_u32_e32 7, v0
	s_cbranch_execz .LBB83_43
; %bb.40:
	v_mov_b32_e32 v1, 0
	v_mov_b32_e32 v3, 0
	v_add_nc_u32_e32 v47, -1, v0
	v_add_nc_u32_e32 v48, 0x140, v51
	v_mov_b32_e32 v2, 0
	v_mov_b32_e32 v4, 0
	v_add_nc_u32_e32 v49, 16, v51
	s_mov_b32 s5, 0
	.p2align	6
.LBB83_41:                              ; =>This Inner Loop Header: Depth=1
	s_clause 0x3
	buffer_load_dword v56, v49, s[0:3], 0 offen offset:8
	buffer_load_dword v57, v49, s[0:3], 0 offen offset:12
	buffer_load_dword v58, v49, s[0:3], 0 offen
	buffer_load_dword v59, v49, s[0:3], 0 offen offset:4
	ds_read_b128 v[52:55], v48
	v_add_nc_u32_e32 v47, 1, v47
	v_add_nc_u32_e32 v48, 16, v48
	;; [unrolled: 1-line block ×3, first 2 shown]
	v_cmp_lt_u32_e32 vcc_lo, 5, v47
	s_or_b32 s5, vcc_lo, s5
	s_waitcnt vmcnt(2) lgkmcnt(0)
	v_mul_f64 v[60:61], v[54:55], v[56:57]
	v_mul_f64 v[56:57], v[52:53], v[56:57]
	s_waitcnt vmcnt(0)
	v_fma_f64 v[52:53], v[52:53], v[58:59], -v[60:61]
	v_fma_f64 v[54:55], v[54:55], v[58:59], v[56:57]
	v_add_f64 v[3:4], v[3:4], v[52:53]
	v_add_f64 v[1:2], v[1:2], v[54:55]
	s_andn2_b32 exec_lo, exec_lo, s5
	s_cbranch_execnz .LBB83_41
; %bb.42:
	s_or_b32 exec_lo, exec_lo, s5
	v_mov_b32_e32 v47, 0
	ds_read_b128 v[47:50], v47 offset:112
	s_waitcnt lgkmcnt(0)
	v_mul_f64 v[52:53], v[1:2], v[49:50]
	v_mul_f64 v[49:50], v[3:4], v[49:50]
	v_fma_f64 v[3:4], v[3:4], v[47:48], -v[52:53]
	v_fma_f64 v[1:2], v[1:2], v[47:48], v[49:50]
	buffer_store_dword v4, off, s[0:3], 0 offset:132
	buffer_store_dword v3, off, s[0:3], 0 offset:128
	;; [unrolled: 1-line block ×4, first 2 shown]
.LBB83_43:
	s_or_b32 exec_lo, exec_lo, s4
	v_mov_b32_e32 v4, s23
	s_waitcnt_vscnt null, 0x0
	s_barrier
	buffer_gl0_inv
	s_mov_b32 s4, exec_lo
	s_clause 0x3
	buffer_load_dword v1, v4, s[0:3], 0 offen
	buffer_load_dword v2, v4, s[0:3], 0 offen offset:4
	buffer_load_dword v3, v4, s[0:3], 0 offen offset:8
	;; [unrolled: 1-line block ×3, first 2 shown]
	s_waitcnt vmcnt(0)
	ds_write_b128 v45, v[1:4]
	s_waitcnt lgkmcnt(0)
	s_barrier
	buffer_gl0_inv
	v_cmpx_gt_u32_e32 8, v0
	s_cbranch_execz .LBB83_47
; %bb.44:
	v_mov_b32_e32 v1, 0
	v_mov_b32_e32 v3, 0
	v_add_nc_u32_e32 v47, -1, v0
	v_add_nc_u32_e32 v48, 0x140, v51
	v_mov_b32_e32 v2, 0
	v_mov_b32_e32 v4, 0
	v_add_nc_u32_e32 v49, 16, v51
	s_mov_b32 s5, 0
	.p2align	6
.LBB83_45:                              ; =>This Inner Loop Header: Depth=1
	s_clause 0x3
	buffer_load_dword v56, v49, s[0:3], 0 offen offset:8
	buffer_load_dword v57, v49, s[0:3], 0 offen offset:12
	buffer_load_dword v58, v49, s[0:3], 0 offen
	buffer_load_dword v59, v49, s[0:3], 0 offen offset:4
	ds_read_b128 v[52:55], v48
	v_add_nc_u32_e32 v47, 1, v47
	v_add_nc_u32_e32 v48, 16, v48
	;; [unrolled: 1-line block ×3, first 2 shown]
	v_cmp_lt_u32_e32 vcc_lo, 6, v47
	s_or_b32 s5, vcc_lo, s5
	s_waitcnt vmcnt(2) lgkmcnt(0)
	v_mul_f64 v[60:61], v[54:55], v[56:57]
	v_mul_f64 v[56:57], v[52:53], v[56:57]
	s_waitcnt vmcnt(0)
	v_fma_f64 v[52:53], v[52:53], v[58:59], -v[60:61]
	v_fma_f64 v[54:55], v[54:55], v[58:59], v[56:57]
	v_add_f64 v[3:4], v[3:4], v[52:53]
	v_add_f64 v[1:2], v[1:2], v[54:55]
	s_andn2_b32 exec_lo, exec_lo, s5
	s_cbranch_execnz .LBB83_45
; %bb.46:
	s_or_b32 exec_lo, exec_lo, s5
	v_mov_b32_e32 v47, 0
	ds_read_b128 v[47:50], v47 offset:128
	s_waitcnt lgkmcnt(0)
	v_mul_f64 v[52:53], v[1:2], v[49:50]
	v_mul_f64 v[49:50], v[3:4], v[49:50]
	v_fma_f64 v[3:4], v[3:4], v[47:48], -v[52:53]
	v_fma_f64 v[1:2], v[1:2], v[47:48], v[49:50]
	buffer_store_dword v4, off, s[0:3], 0 offset:148
	buffer_store_dword v3, off, s[0:3], 0 offset:144
	;; [unrolled: 1-line block ×4, first 2 shown]
.LBB83_47:
	s_or_b32 exec_lo, exec_lo, s4
	v_mov_b32_e32 v4, s22
	s_waitcnt_vscnt null, 0x0
	s_barrier
	buffer_gl0_inv
	s_mov_b32 s4, exec_lo
	s_clause 0x3
	buffer_load_dword v1, v4, s[0:3], 0 offen
	buffer_load_dword v2, v4, s[0:3], 0 offen offset:4
	buffer_load_dword v3, v4, s[0:3], 0 offen offset:8
	;; [unrolled: 1-line block ×3, first 2 shown]
	s_waitcnt vmcnt(0)
	ds_write_b128 v45, v[1:4]
	s_waitcnt lgkmcnt(0)
	s_barrier
	buffer_gl0_inv
	v_cmpx_gt_u32_e32 9, v0
	s_cbranch_execz .LBB83_51
; %bb.48:
	v_mov_b32_e32 v1, 0
	v_mov_b32_e32 v3, 0
	v_add_nc_u32_e32 v47, -1, v0
	v_add_nc_u32_e32 v48, 0x140, v51
	v_mov_b32_e32 v2, 0
	v_mov_b32_e32 v4, 0
	v_add_nc_u32_e32 v49, 16, v51
	s_mov_b32 s5, 0
	.p2align	6
.LBB83_49:                              ; =>This Inner Loop Header: Depth=1
	s_clause 0x3
	buffer_load_dword v56, v49, s[0:3], 0 offen offset:8
	buffer_load_dword v57, v49, s[0:3], 0 offen offset:12
	buffer_load_dword v58, v49, s[0:3], 0 offen
	buffer_load_dword v59, v49, s[0:3], 0 offen offset:4
	ds_read_b128 v[52:55], v48
	v_add_nc_u32_e32 v47, 1, v47
	v_add_nc_u32_e32 v48, 16, v48
	;; [unrolled: 1-line block ×3, first 2 shown]
	v_cmp_lt_u32_e32 vcc_lo, 7, v47
	s_or_b32 s5, vcc_lo, s5
	s_waitcnt vmcnt(2) lgkmcnt(0)
	v_mul_f64 v[60:61], v[54:55], v[56:57]
	v_mul_f64 v[56:57], v[52:53], v[56:57]
	s_waitcnt vmcnt(0)
	v_fma_f64 v[52:53], v[52:53], v[58:59], -v[60:61]
	v_fma_f64 v[54:55], v[54:55], v[58:59], v[56:57]
	v_add_f64 v[3:4], v[3:4], v[52:53]
	v_add_f64 v[1:2], v[1:2], v[54:55]
	s_andn2_b32 exec_lo, exec_lo, s5
	s_cbranch_execnz .LBB83_49
; %bb.50:
	s_or_b32 exec_lo, exec_lo, s5
	v_mov_b32_e32 v47, 0
	ds_read_b128 v[47:50], v47 offset:144
	s_waitcnt lgkmcnt(0)
	v_mul_f64 v[52:53], v[1:2], v[49:50]
	v_mul_f64 v[49:50], v[3:4], v[49:50]
	v_fma_f64 v[3:4], v[3:4], v[47:48], -v[52:53]
	v_fma_f64 v[1:2], v[1:2], v[47:48], v[49:50]
	buffer_store_dword v4, off, s[0:3], 0 offset:164
	buffer_store_dword v3, off, s[0:3], 0 offset:160
	;; [unrolled: 1-line block ×4, first 2 shown]
.LBB83_51:
	s_or_b32 exec_lo, exec_lo, s4
	v_mov_b32_e32 v4, s21
	s_waitcnt_vscnt null, 0x0
	s_barrier
	buffer_gl0_inv
	s_mov_b32 s4, exec_lo
	s_clause 0x3
	buffer_load_dword v1, v4, s[0:3], 0 offen
	buffer_load_dword v2, v4, s[0:3], 0 offen offset:4
	buffer_load_dword v3, v4, s[0:3], 0 offen offset:8
	;; [unrolled: 1-line block ×3, first 2 shown]
	s_waitcnt vmcnt(0)
	ds_write_b128 v45, v[1:4]
	s_waitcnt lgkmcnt(0)
	s_barrier
	buffer_gl0_inv
	v_cmpx_gt_u32_e32 10, v0
	s_cbranch_execz .LBB83_55
; %bb.52:
	v_mov_b32_e32 v1, 0
	v_mov_b32_e32 v3, 0
	v_add_nc_u32_e32 v47, -1, v0
	v_add_nc_u32_e32 v48, 0x140, v51
	v_mov_b32_e32 v2, 0
	v_mov_b32_e32 v4, 0
	v_add_nc_u32_e32 v49, 16, v51
	s_mov_b32 s5, 0
	.p2align	6
.LBB83_53:                              ; =>This Inner Loop Header: Depth=1
	s_clause 0x3
	buffer_load_dword v56, v49, s[0:3], 0 offen offset:8
	buffer_load_dword v57, v49, s[0:3], 0 offen offset:12
	buffer_load_dword v58, v49, s[0:3], 0 offen
	buffer_load_dword v59, v49, s[0:3], 0 offen offset:4
	ds_read_b128 v[52:55], v48
	v_add_nc_u32_e32 v47, 1, v47
	v_add_nc_u32_e32 v48, 16, v48
	;; [unrolled: 1-line block ×3, first 2 shown]
	v_cmp_lt_u32_e32 vcc_lo, 8, v47
	s_or_b32 s5, vcc_lo, s5
	s_waitcnt vmcnt(2) lgkmcnt(0)
	v_mul_f64 v[60:61], v[54:55], v[56:57]
	v_mul_f64 v[56:57], v[52:53], v[56:57]
	s_waitcnt vmcnt(0)
	v_fma_f64 v[52:53], v[52:53], v[58:59], -v[60:61]
	v_fma_f64 v[54:55], v[54:55], v[58:59], v[56:57]
	v_add_f64 v[3:4], v[3:4], v[52:53]
	v_add_f64 v[1:2], v[1:2], v[54:55]
	s_andn2_b32 exec_lo, exec_lo, s5
	s_cbranch_execnz .LBB83_53
; %bb.54:
	s_or_b32 exec_lo, exec_lo, s5
	v_mov_b32_e32 v47, 0
	ds_read_b128 v[47:50], v47 offset:160
	s_waitcnt lgkmcnt(0)
	v_mul_f64 v[52:53], v[1:2], v[49:50]
	v_mul_f64 v[49:50], v[3:4], v[49:50]
	v_fma_f64 v[3:4], v[3:4], v[47:48], -v[52:53]
	v_fma_f64 v[1:2], v[1:2], v[47:48], v[49:50]
	buffer_store_dword v4, off, s[0:3], 0 offset:180
	buffer_store_dword v3, off, s[0:3], 0 offset:176
	;; [unrolled: 1-line block ×4, first 2 shown]
.LBB83_55:
	s_or_b32 exec_lo, exec_lo, s4
	v_mov_b32_e32 v4, s20
	s_waitcnt_vscnt null, 0x0
	s_barrier
	buffer_gl0_inv
	s_mov_b32 s4, exec_lo
	s_clause 0x3
	buffer_load_dword v1, v4, s[0:3], 0 offen
	buffer_load_dword v2, v4, s[0:3], 0 offen offset:4
	buffer_load_dword v3, v4, s[0:3], 0 offen offset:8
	;; [unrolled: 1-line block ×3, first 2 shown]
	s_waitcnt vmcnt(0)
	ds_write_b128 v45, v[1:4]
	s_waitcnt lgkmcnt(0)
	s_barrier
	buffer_gl0_inv
	v_cmpx_gt_u32_e32 11, v0
	s_cbranch_execz .LBB83_59
; %bb.56:
	v_mov_b32_e32 v1, 0
	v_mov_b32_e32 v3, 0
	v_add_nc_u32_e32 v47, -1, v0
	v_add_nc_u32_e32 v48, 0x140, v51
	v_mov_b32_e32 v2, 0
	v_mov_b32_e32 v4, 0
	v_add_nc_u32_e32 v49, 16, v51
	s_mov_b32 s5, 0
	.p2align	6
.LBB83_57:                              ; =>This Inner Loop Header: Depth=1
	s_clause 0x3
	buffer_load_dword v56, v49, s[0:3], 0 offen offset:8
	buffer_load_dword v57, v49, s[0:3], 0 offen offset:12
	buffer_load_dword v58, v49, s[0:3], 0 offen
	buffer_load_dword v59, v49, s[0:3], 0 offen offset:4
	ds_read_b128 v[52:55], v48
	v_add_nc_u32_e32 v47, 1, v47
	v_add_nc_u32_e32 v48, 16, v48
	;; [unrolled: 1-line block ×3, first 2 shown]
	v_cmp_lt_u32_e32 vcc_lo, 9, v47
	s_or_b32 s5, vcc_lo, s5
	s_waitcnt vmcnt(2) lgkmcnt(0)
	v_mul_f64 v[60:61], v[54:55], v[56:57]
	v_mul_f64 v[56:57], v[52:53], v[56:57]
	s_waitcnt vmcnt(0)
	v_fma_f64 v[52:53], v[52:53], v[58:59], -v[60:61]
	v_fma_f64 v[54:55], v[54:55], v[58:59], v[56:57]
	v_add_f64 v[3:4], v[3:4], v[52:53]
	v_add_f64 v[1:2], v[1:2], v[54:55]
	s_andn2_b32 exec_lo, exec_lo, s5
	s_cbranch_execnz .LBB83_57
; %bb.58:
	s_or_b32 exec_lo, exec_lo, s5
	v_mov_b32_e32 v47, 0
	ds_read_b128 v[47:50], v47 offset:176
	s_waitcnt lgkmcnt(0)
	v_mul_f64 v[52:53], v[1:2], v[49:50]
	v_mul_f64 v[49:50], v[3:4], v[49:50]
	v_fma_f64 v[3:4], v[3:4], v[47:48], -v[52:53]
	v_fma_f64 v[1:2], v[1:2], v[47:48], v[49:50]
	buffer_store_dword v4, off, s[0:3], 0 offset:196
	buffer_store_dword v3, off, s[0:3], 0 offset:192
	;; [unrolled: 1-line block ×4, first 2 shown]
.LBB83_59:
	s_or_b32 exec_lo, exec_lo, s4
	v_mov_b32_e32 v4, s19
	s_waitcnt_vscnt null, 0x0
	s_barrier
	buffer_gl0_inv
	s_mov_b32 s4, exec_lo
	s_clause 0x3
	buffer_load_dword v1, v4, s[0:3], 0 offen
	buffer_load_dword v2, v4, s[0:3], 0 offen offset:4
	buffer_load_dword v3, v4, s[0:3], 0 offen offset:8
	;; [unrolled: 1-line block ×3, first 2 shown]
	s_waitcnt vmcnt(0)
	ds_write_b128 v45, v[1:4]
	s_waitcnt lgkmcnt(0)
	s_barrier
	buffer_gl0_inv
	v_cmpx_gt_u32_e32 12, v0
	s_cbranch_execz .LBB83_63
; %bb.60:
	v_mov_b32_e32 v1, 0
	v_mov_b32_e32 v3, 0
	v_add_nc_u32_e32 v47, -1, v0
	v_add_nc_u32_e32 v48, 0x140, v51
	v_mov_b32_e32 v2, 0
	v_mov_b32_e32 v4, 0
	v_add_nc_u32_e32 v49, 16, v51
	s_mov_b32 s5, 0
	.p2align	6
.LBB83_61:                              ; =>This Inner Loop Header: Depth=1
	s_clause 0x3
	buffer_load_dword v56, v49, s[0:3], 0 offen offset:8
	buffer_load_dword v57, v49, s[0:3], 0 offen offset:12
	buffer_load_dword v58, v49, s[0:3], 0 offen
	buffer_load_dword v59, v49, s[0:3], 0 offen offset:4
	ds_read_b128 v[52:55], v48
	v_add_nc_u32_e32 v47, 1, v47
	v_add_nc_u32_e32 v48, 16, v48
	;; [unrolled: 1-line block ×3, first 2 shown]
	v_cmp_lt_u32_e32 vcc_lo, 10, v47
	s_or_b32 s5, vcc_lo, s5
	s_waitcnt vmcnt(2) lgkmcnt(0)
	v_mul_f64 v[60:61], v[54:55], v[56:57]
	v_mul_f64 v[56:57], v[52:53], v[56:57]
	s_waitcnt vmcnt(0)
	v_fma_f64 v[52:53], v[52:53], v[58:59], -v[60:61]
	v_fma_f64 v[54:55], v[54:55], v[58:59], v[56:57]
	v_add_f64 v[3:4], v[3:4], v[52:53]
	v_add_f64 v[1:2], v[1:2], v[54:55]
	s_andn2_b32 exec_lo, exec_lo, s5
	s_cbranch_execnz .LBB83_61
; %bb.62:
	s_or_b32 exec_lo, exec_lo, s5
	v_mov_b32_e32 v47, 0
	ds_read_b128 v[47:50], v47 offset:192
	s_waitcnt lgkmcnt(0)
	v_mul_f64 v[52:53], v[1:2], v[49:50]
	v_mul_f64 v[49:50], v[3:4], v[49:50]
	v_fma_f64 v[3:4], v[3:4], v[47:48], -v[52:53]
	v_fma_f64 v[1:2], v[1:2], v[47:48], v[49:50]
	buffer_store_dword v4, off, s[0:3], 0 offset:212
	buffer_store_dword v3, off, s[0:3], 0 offset:208
	;; [unrolled: 1-line block ×4, first 2 shown]
.LBB83_63:
	s_or_b32 exec_lo, exec_lo, s4
	v_mov_b32_e32 v4, s18
	s_waitcnt_vscnt null, 0x0
	s_barrier
	buffer_gl0_inv
	s_mov_b32 s4, exec_lo
	s_clause 0x3
	buffer_load_dword v1, v4, s[0:3], 0 offen
	buffer_load_dword v2, v4, s[0:3], 0 offen offset:4
	buffer_load_dword v3, v4, s[0:3], 0 offen offset:8
	;; [unrolled: 1-line block ×3, first 2 shown]
	s_waitcnt vmcnt(0)
	ds_write_b128 v45, v[1:4]
	s_waitcnt lgkmcnt(0)
	s_barrier
	buffer_gl0_inv
	v_cmpx_gt_u32_e32 13, v0
	s_cbranch_execz .LBB83_67
; %bb.64:
	v_mov_b32_e32 v1, 0
	v_mov_b32_e32 v3, 0
	v_add_nc_u32_e32 v47, -1, v0
	v_add_nc_u32_e32 v48, 0x140, v51
	v_mov_b32_e32 v2, 0
	v_mov_b32_e32 v4, 0
	v_add_nc_u32_e32 v49, 16, v51
	s_mov_b32 s5, 0
	.p2align	6
.LBB83_65:                              ; =>This Inner Loop Header: Depth=1
	s_clause 0x3
	buffer_load_dword v56, v49, s[0:3], 0 offen offset:8
	buffer_load_dword v57, v49, s[0:3], 0 offen offset:12
	buffer_load_dword v58, v49, s[0:3], 0 offen
	buffer_load_dword v59, v49, s[0:3], 0 offen offset:4
	ds_read_b128 v[52:55], v48
	v_add_nc_u32_e32 v47, 1, v47
	v_add_nc_u32_e32 v48, 16, v48
	;; [unrolled: 1-line block ×3, first 2 shown]
	v_cmp_lt_u32_e32 vcc_lo, 11, v47
	s_or_b32 s5, vcc_lo, s5
	s_waitcnt vmcnt(2) lgkmcnt(0)
	v_mul_f64 v[60:61], v[54:55], v[56:57]
	v_mul_f64 v[56:57], v[52:53], v[56:57]
	s_waitcnt vmcnt(0)
	v_fma_f64 v[52:53], v[52:53], v[58:59], -v[60:61]
	v_fma_f64 v[54:55], v[54:55], v[58:59], v[56:57]
	v_add_f64 v[3:4], v[3:4], v[52:53]
	v_add_f64 v[1:2], v[1:2], v[54:55]
	s_andn2_b32 exec_lo, exec_lo, s5
	s_cbranch_execnz .LBB83_65
; %bb.66:
	s_or_b32 exec_lo, exec_lo, s5
	v_mov_b32_e32 v47, 0
	ds_read_b128 v[47:50], v47 offset:208
	s_waitcnt lgkmcnt(0)
	v_mul_f64 v[52:53], v[1:2], v[49:50]
	v_mul_f64 v[49:50], v[3:4], v[49:50]
	v_fma_f64 v[3:4], v[3:4], v[47:48], -v[52:53]
	v_fma_f64 v[1:2], v[1:2], v[47:48], v[49:50]
	buffer_store_dword v4, off, s[0:3], 0 offset:228
	buffer_store_dword v3, off, s[0:3], 0 offset:224
	;; [unrolled: 1-line block ×4, first 2 shown]
.LBB83_67:
	s_or_b32 exec_lo, exec_lo, s4
	v_mov_b32_e32 v4, s17
	s_waitcnt_vscnt null, 0x0
	s_barrier
	buffer_gl0_inv
	s_mov_b32 s4, exec_lo
	s_clause 0x3
	buffer_load_dword v1, v4, s[0:3], 0 offen
	buffer_load_dword v2, v4, s[0:3], 0 offen offset:4
	buffer_load_dword v3, v4, s[0:3], 0 offen offset:8
	;; [unrolled: 1-line block ×3, first 2 shown]
	s_waitcnt vmcnt(0)
	ds_write_b128 v45, v[1:4]
	s_waitcnt lgkmcnt(0)
	s_barrier
	buffer_gl0_inv
	v_cmpx_gt_u32_e32 14, v0
	s_cbranch_execz .LBB83_71
; %bb.68:
	v_mov_b32_e32 v1, 0
	v_mov_b32_e32 v3, 0
	v_add_nc_u32_e32 v47, -1, v0
	v_add_nc_u32_e32 v48, 0x140, v51
	v_mov_b32_e32 v2, 0
	v_mov_b32_e32 v4, 0
	v_add_nc_u32_e32 v49, 16, v51
	s_mov_b32 s5, 0
	.p2align	6
.LBB83_69:                              ; =>This Inner Loop Header: Depth=1
	s_clause 0x3
	buffer_load_dword v56, v49, s[0:3], 0 offen offset:8
	buffer_load_dword v57, v49, s[0:3], 0 offen offset:12
	buffer_load_dword v58, v49, s[0:3], 0 offen
	buffer_load_dword v59, v49, s[0:3], 0 offen offset:4
	ds_read_b128 v[52:55], v48
	v_add_nc_u32_e32 v47, 1, v47
	v_add_nc_u32_e32 v48, 16, v48
	v_add_nc_u32_e32 v49, 16, v49
	v_cmp_lt_u32_e32 vcc_lo, 12, v47
	s_or_b32 s5, vcc_lo, s5
	s_waitcnt vmcnt(2) lgkmcnt(0)
	v_mul_f64 v[60:61], v[54:55], v[56:57]
	v_mul_f64 v[56:57], v[52:53], v[56:57]
	s_waitcnt vmcnt(0)
	v_fma_f64 v[52:53], v[52:53], v[58:59], -v[60:61]
	v_fma_f64 v[54:55], v[54:55], v[58:59], v[56:57]
	v_add_f64 v[3:4], v[3:4], v[52:53]
	v_add_f64 v[1:2], v[1:2], v[54:55]
	s_andn2_b32 exec_lo, exec_lo, s5
	s_cbranch_execnz .LBB83_69
; %bb.70:
	s_or_b32 exec_lo, exec_lo, s5
	v_mov_b32_e32 v47, 0
	ds_read_b128 v[47:50], v47 offset:224
	s_waitcnt lgkmcnt(0)
	v_mul_f64 v[52:53], v[1:2], v[49:50]
	v_mul_f64 v[49:50], v[3:4], v[49:50]
	v_fma_f64 v[3:4], v[3:4], v[47:48], -v[52:53]
	v_fma_f64 v[1:2], v[1:2], v[47:48], v[49:50]
	buffer_store_dword v4, off, s[0:3], 0 offset:244
	buffer_store_dword v3, off, s[0:3], 0 offset:240
	;; [unrolled: 1-line block ×4, first 2 shown]
.LBB83_71:
	s_or_b32 exec_lo, exec_lo, s4
	v_mov_b32_e32 v4, s16
	s_waitcnt_vscnt null, 0x0
	s_barrier
	buffer_gl0_inv
	s_mov_b32 s4, exec_lo
	s_clause 0x3
	buffer_load_dword v1, v4, s[0:3], 0 offen
	buffer_load_dword v2, v4, s[0:3], 0 offen offset:4
	buffer_load_dword v3, v4, s[0:3], 0 offen offset:8
	;; [unrolled: 1-line block ×3, first 2 shown]
	s_waitcnt vmcnt(0)
	ds_write_b128 v45, v[1:4]
	s_waitcnt lgkmcnt(0)
	s_barrier
	buffer_gl0_inv
	v_cmpx_gt_u32_e32 15, v0
	s_cbranch_execz .LBB83_75
; %bb.72:
	v_mov_b32_e32 v1, 0
	v_mov_b32_e32 v3, 0
	v_add_nc_u32_e32 v47, -1, v0
	v_add_nc_u32_e32 v48, 0x140, v51
	v_mov_b32_e32 v2, 0
	v_mov_b32_e32 v4, 0
	v_add_nc_u32_e32 v49, 16, v51
	s_mov_b32 s5, 0
	.p2align	6
.LBB83_73:                              ; =>This Inner Loop Header: Depth=1
	s_clause 0x3
	buffer_load_dword v56, v49, s[0:3], 0 offen offset:8
	buffer_load_dword v57, v49, s[0:3], 0 offen offset:12
	buffer_load_dword v58, v49, s[0:3], 0 offen
	buffer_load_dword v59, v49, s[0:3], 0 offen offset:4
	ds_read_b128 v[52:55], v48
	v_add_nc_u32_e32 v47, 1, v47
	v_add_nc_u32_e32 v48, 16, v48
	;; [unrolled: 1-line block ×3, first 2 shown]
	v_cmp_lt_u32_e32 vcc_lo, 13, v47
	s_or_b32 s5, vcc_lo, s5
	s_waitcnt vmcnt(2) lgkmcnt(0)
	v_mul_f64 v[60:61], v[54:55], v[56:57]
	v_mul_f64 v[56:57], v[52:53], v[56:57]
	s_waitcnt vmcnt(0)
	v_fma_f64 v[52:53], v[52:53], v[58:59], -v[60:61]
	v_fma_f64 v[54:55], v[54:55], v[58:59], v[56:57]
	v_add_f64 v[3:4], v[3:4], v[52:53]
	v_add_f64 v[1:2], v[1:2], v[54:55]
	s_andn2_b32 exec_lo, exec_lo, s5
	s_cbranch_execnz .LBB83_73
; %bb.74:
	s_or_b32 exec_lo, exec_lo, s5
	v_mov_b32_e32 v47, 0
	ds_read_b128 v[47:50], v47 offset:240
	s_waitcnt lgkmcnt(0)
	v_mul_f64 v[52:53], v[1:2], v[49:50]
	v_mul_f64 v[49:50], v[3:4], v[49:50]
	v_fma_f64 v[3:4], v[3:4], v[47:48], -v[52:53]
	v_fma_f64 v[1:2], v[1:2], v[47:48], v[49:50]
	buffer_store_dword v4, off, s[0:3], 0 offset:260
	buffer_store_dword v3, off, s[0:3], 0 offset:256
	;; [unrolled: 1-line block ×4, first 2 shown]
.LBB83_75:
	s_or_b32 exec_lo, exec_lo, s4
	v_mov_b32_e32 v4, s15
	s_waitcnt_vscnt null, 0x0
	s_barrier
	buffer_gl0_inv
	s_mov_b32 s4, exec_lo
	s_clause 0x3
	buffer_load_dword v1, v4, s[0:3], 0 offen
	buffer_load_dword v2, v4, s[0:3], 0 offen offset:4
	buffer_load_dword v3, v4, s[0:3], 0 offen offset:8
	;; [unrolled: 1-line block ×3, first 2 shown]
	s_waitcnt vmcnt(0)
	ds_write_b128 v45, v[1:4]
	s_waitcnt lgkmcnt(0)
	s_barrier
	buffer_gl0_inv
	v_cmpx_gt_u32_e32 16, v0
	s_cbranch_execz .LBB83_79
; %bb.76:
	v_mov_b32_e32 v1, 0
	v_mov_b32_e32 v3, 0
	v_add_nc_u32_e32 v47, -1, v0
	v_add_nc_u32_e32 v48, 0x140, v51
	v_mov_b32_e32 v2, 0
	v_mov_b32_e32 v4, 0
	v_add_nc_u32_e32 v49, 16, v51
	s_mov_b32 s5, 0
	.p2align	6
.LBB83_77:                              ; =>This Inner Loop Header: Depth=1
	s_clause 0x3
	buffer_load_dword v56, v49, s[0:3], 0 offen offset:8
	buffer_load_dword v57, v49, s[0:3], 0 offen offset:12
	buffer_load_dword v58, v49, s[0:3], 0 offen
	buffer_load_dword v59, v49, s[0:3], 0 offen offset:4
	ds_read_b128 v[52:55], v48
	v_add_nc_u32_e32 v47, 1, v47
	v_add_nc_u32_e32 v48, 16, v48
	;; [unrolled: 1-line block ×3, first 2 shown]
	v_cmp_lt_u32_e32 vcc_lo, 14, v47
	s_or_b32 s5, vcc_lo, s5
	s_waitcnt vmcnt(2) lgkmcnt(0)
	v_mul_f64 v[60:61], v[54:55], v[56:57]
	v_mul_f64 v[56:57], v[52:53], v[56:57]
	s_waitcnt vmcnt(0)
	v_fma_f64 v[52:53], v[52:53], v[58:59], -v[60:61]
	v_fma_f64 v[54:55], v[54:55], v[58:59], v[56:57]
	v_add_f64 v[3:4], v[3:4], v[52:53]
	v_add_f64 v[1:2], v[1:2], v[54:55]
	s_andn2_b32 exec_lo, exec_lo, s5
	s_cbranch_execnz .LBB83_77
; %bb.78:
	s_or_b32 exec_lo, exec_lo, s5
	v_mov_b32_e32 v47, 0
	ds_read_b128 v[47:50], v47 offset:256
	s_waitcnt lgkmcnt(0)
	v_mul_f64 v[52:53], v[1:2], v[49:50]
	v_mul_f64 v[49:50], v[3:4], v[49:50]
	v_fma_f64 v[3:4], v[3:4], v[47:48], -v[52:53]
	v_fma_f64 v[1:2], v[1:2], v[47:48], v[49:50]
	buffer_store_dword v4, off, s[0:3], 0 offset:276
	buffer_store_dword v3, off, s[0:3], 0 offset:272
	;; [unrolled: 1-line block ×4, first 2 shown]
.LBB83_79:
	s_or_b32 exec_lo, exec_lo, s4
	v_mov_b32_e32 v4, s14
	s_waitcnt_vscnt null, 0x0
	s_barrier
	buffer_gl0_inv
	s_mov_b32 s4, exec_lo
	s_clause 0x3
	buffer_load_dword v1, v4, s[0:3], 0 offen
	buffer_load_dword v2, v4, s[0:3], 0 offen offset:4
	buffer_load_dword v3, v4, s[0:3], 0 offen offset:8
	;; [unrolled: 1-line block ×3, first 2 shown]
	s_waitcnt vmcnt(0)
	ds_write_b128 v45, v[1:4]
	s_waitcnt lgkmcnt(0)
	s_barrier
	buffer_gl0_inv
	v_cmpx_gt_u32_e32 17, v0
	s_cbranch_execz .LBB83_83
; %bb.80:
	v_mov_b32_e32 v1, 0
	v_mov_b32_e32 v3, 0
	v_add_nc_u32_e32 v47, -1, v0
	v_add_nc_u32_e32 v48, 0x140, v51
	v_mov_b32_e32 v2, 0
	v_mov_b32_e32 v4, 0
	v_add_nc_u32_e32 v49, 16, v51
	s_mov_b32 s5, 0
	.p2align	6
.LBB83_81:                              ; =>This Inner Loop Header: Depth=1
	s_clause 0x3
	buffer_load_dword v56, v49, s[0:3], 0 offen offset:8
	buffer_load_dword v57, v49, s[0:3], 0 offen offset:12
	buffer_load_dword v58, v49, s[0:3], 0 offen
	buffer_load_dword v59, v49, s[0:3], 0 offen offset:4
	ds_read_b128 v[52:55], v48
	v_add_nc_u32_e32 v47, 1, v47
	v_add_nc_u32_e32 v48, 16, v48
	;; [unrolled: 1-line block ×3, first 2 shown]
	v_cmp_lt_u32_e32 vcc_lo, 15, v47
	s_or_b32 s5, vcc_lo, s5
	s_waitcnt vmcnt(2) lgkmcnt(0)
	v_mul_f64 v[60:61], v[54:55], v[56:57]
	v_mul_f64 v[56:57], v[52:53], v[56:57]
	s_waitcnt vmcnt(0)
	v_fma_f64 v[52:53], v[52:53], v[58:59], -v[60:61]
	v_fma_f64 v[54:55], v[54:55], v[58:59], v[56:57]
	v_add_f64 v[3:4], v[3:4], v[52:53]
	v_add_f64 v[1:2], v[1:2], v[54:55]
	s_andn2_b32 exec_lo, exec_lo, s5
	s_cbranch_execnz .LBB83_81
; %bb.82:
	s_or_b32 exec_lo, exec_lo, s5
	v_mov_b32_e32 v47, 0
	ds_read_b128 v[47:50], v47 offset:272
	s_waitcnt lgkmcnt(0)
	v_mul_f64 v[52:53], v[1:2], v[49:50]
	v_mul_f64 v[49:50], v[3:4], v[49:50]
	v_fma_f64 v[3:4], v[3:4], v[47:48], -v[52:53]
	v_fma_f64 v[1:2], v[1:2], v[47:48], v[49:50]
	buffer_store_dword v4, off, s[0:3], 0 offset:292
	buffer_store_dword v3, off, s[0:3], 0 offset:288
	;; [unrolled: 1-line block ×4, first 2 shown]
.LBB83_83:
	s_or_b32 exec_lo, exec_lo, s4
	v_mov_b32_e32 v4, s9
	s_waitcnt_vscnt null, 0x0
	s_barrier
	buffer_gl0_inv
	s_mov_b32 s4, exec_lo
	s_clause 0x3
	buffer_load_dword v1, v4, s[0:3], 0 offen
	buffer_load_dword v2, v4, s[0:3], 0 offen offset:4
	buffer_load_dword v3, v4, s[0:3], 0 offen offset:8
	;; [unrolled: 1-line block ×3, first 2 shown]
	s_waitcnt vmcnt(0)
	ds_write_b128 v45, v[1:4]
	s_waitcnt lgkmcnt(0)
	s_barrier
	buffer_gl0_inv
	v_cmpx_gt_u32_e32 18, v0
	s_cbranch_execz .LBB83_87
; %bb.84:
	v_mov_b32_e32 v1, 0
	v_mov_b32_e32 v3, 0
	v_add_nc_u32_e32 v47, -1, v0
	v_add_nc_u32_e32 v48, 0x140, v51
	v_mov_b32_e32 v2, 0
	v_mov_b32_e32 v4, 0
	v_add_nc_u32_e32 v49, 16, v51
	s_mov_b32 s5, 0
	.p2align	6
.LBB83_85:                              ; =>This Inner Loop Header: Depth=1
	s_clause 0x3
	buffer_load_dword v56, v49, s[0:3], 0 offen offset:8
	buffer_load_dword v57, v49, s[0:3], 0 offen offset:12
	buffer_load_dword v58, v49, s[0:3], 0 offen
	buffer_load_dword v59, v49, s[0:3], 0 offen offset:4
	ds_read_b128 v[52:55], v48
	v_add_nc_u32_e32 v47, 1, v47
	v_add_nc_u32_e32 v48, 16, v48
	;; [unrolled: 1-line block ×3, first 2 shown]
	v_cmp_lt_u32_e32 vcc_lo, 16, v47
	s_or_b32 s5, vcc_lo, s5
	s_waitcnt vmcnt(2) lgkmcnt(0)
	v_mul_f64 v[60:61], v[54:55], v[56:57]
	v_mul_f64 v[56:57], v[52:53], v[56:57]
	s_waitcnt vmcnt(0)
	v_fma_f64 v[52:53], v[52:53], v[58:59], -v[60:61]
	v_fma_f64 v[54:55], v[54:55], v[58:59], v[56:57]
	v_add_f64 v[3:4], v[3:4], v[52:53]
	v_add_f64 v[1:2], v[1:2], v[54:55]
	s_andn2_b32 exec_lo, exec_lo, s5
	s_cbranch_execnz .LBB83_85
; %bb.86:
	s_or_b32 exec_lo, exec_lo, s5
	v_mov_b32_e32 v47, 0
	ds_read_b128 v[47:50], v47 offset:288
	s_waitcnt lgkmcnt(0)
	v_mul_f64 v[52:53], v[1:2], v[49:50]
	v_mul_f64 v[49:50], v[3:4], v[49:50]
	v_fma_f64 v[3:4], v[3:4], v[47:48], -v[52:53]
	v_fma_f64 v[1:2], v[1:2], v[47:48], v[49:50]
	buffer_store_dword v4, off, s[0:3], 0 offset:308
	buffer_store_dword v3, off, s[0:3], 0 offset:304
	;; [unrolled: 1-line block ×4, first 2 shown]
.LBB83_87:
	s_or_b32 exec_lo, exec_lo, s4
	v_mov_b32_e32 v4, s8
	s_waitcnt_vscnt null, 0x0
	s_barrier
	buffer_gl0_inv
	s_mov_b32 s4, exec_lo
	s_clause 0x3
	buffer_load_dword v1, v4, s[0:3], 0 offen
	buffer_load_dword v2, v4, s[0:3], 0 offen offset:4
	buffer_load_dword v3, v4, s[0:3], 0 offen offset:8
	;; [unrolled: 1-line block ×3, first 2 shown]
	s_waitcnt vmcnt(0)
	ds_write_b128 v45, v[1:4]
	s_waitcnt lgkmcnt(0)
	s_barrier
	buffer_gl0_inv
	v_cmpx_ne_u32_e32 19, v0
	s_cbranch_execz .LBB83_91
; %bb.88:
	v_mov_b32_e32 v1, 0
	v_mov_b32_e32 v3, 0
	;; [unrolled: 1-line block ×4, first 2 shown]
	v_add_nc_u32_e32 v47, 16, v51
	s_mov_b32 s5, 0
	.p2align	6
.LBB83_89:                              ; =>This Inner Loop Header: Depth=1
	s_clause 0x3
	buffer_load_dword v52, v47, s[0:3], 0 offen offset:8
	buffer_load_dword v53, v47, s[0:3], 0 offen offset:12
	buffer_load_dword v54, v47, s[0:3], 0 offen
	buffer_load_dword v55, v47, s[0:3], 0 offen offset:4
	ds_read_b128 v[48:51], v45
	v_add_nc_u32_e32 v46, 1, v46
	v_add_nc_u32_e32 v45, 16, v45
	;; [unrolled: 1-line block ×3, first 2 shown]
	v_cmp_lt_u32_e32 vcc_lo, 17, v46
	s_or_b32 s5, vcc_lo, s5
	s_waitcnt vmcnt(2) lgkmcnt(0)
	v_mul_f64 v[56:57], v[50:51], v[52:53]
	v_mul_f64 v[52:53], v[48:49], v[52:53]
	s_waitcnt vmcnt(0)
	v_fma_f64 v[48:49], v[48:49], v[54:55], -v[56:57]
	v_fma_f64 v[50:51], v[50:51], v[54:55], v[52:53]
	v_add_f64 v[3:4], v[3:4], v[48:49]
	v_add_f64 v[1:2], v[1:2], v[50:51]
	s_andn2_b32 exec_lo, exec_lo, s5
	s_cbranch_execnz .LBB83_89
; %bb.90:
	s_or_b32 exec_lo, exec_lo, s5
	v_mov_b32_e32 v45, 0
	ds_read_b128 v[45:48], v45 offset:304
	s_waitcnt lgkmcnt(0)
	v_mul_f64 v[49:50], v[1:2], v[47:48]
	v_mul_f64 v[47:48], v[3:4], v[47:48]
	v_fma_f64 v[3:4], v[3:4], v[45:46], -v[49:50]
	v_fma_f64 v[1:2], v[1:2], v[45:46], v[47:48]
	buffer_store_dword v4, off, s[0:3], 0 offset:324
	buffer_store_dword v3, off, s[0:3], 0 offset:320
	;; [unrolled: 1-line block ×4, first 2 shown]
.LBB83_91:
	s_or_b32 exec_lo, exec_lo, s4
	s_mov_b32 s5, -1
	s_waitcnt_vscnt null, 0x0
	s_barrier
	buffer_gl0_inv
.LBB83_92:
	s_and_b32 vcc_lo, exec_lo, s5
	s_cbranch_vccz .LBB83_94
; %bb.93:
	s_lshl_b64 s[4:5], s[6:7], 2
	v_mov_b32_e32 v1, 0
	s_add_u32 s4, s10, s4
	s_addc_u32 s5, s11, s5
	global_load_dword v1, v1, s[4:5]
	s_waitcnt vmcnt(0)
	v_cmp_ne_u32_e32 vcc_lo, 0, v1
	s_cbranch_vccz .LBB83_95
.LBB83_94:
	s_endpgm
.LBB83_95:
	v_lshl_add_u32 v1, v0, 4, 0x140
	s_mov_b32 s4, exec_lo
	v_cmpx_eq_u32_e32 19, v0
	s_cbranch_execz .LBB83_97
; %bb.96:
	v_mov_b32_e32 v2, s9
	s_clause 0x3
	buffer_load_dword v45, v2, s[0:3], 0 offen
	buffer_load_dword v46, v2, s[0:3], 0 offen offset:4
	buffer_load_dword v47, v2, s[0:3], 0 offen offset:8
	;; [unrolled: 1-line block ×3, first 2 shown]
	v_mov_b32_e32 v2, 0
	buffer_store_dword v2, off, s[0:3], 0 offset:304
	buffer_store_dword v2, off, s[0:3], 0 offset:308
	;; [unrolled: 1-line block ×4, first 2 shown]
	s_waitcnt vmcnt(0)
	ds_write_b128 v1, v[45:48]
.LBB83_97:
	s_or_b32 exec_lo, exec_lo, s4
	s_waitcnt lgkmcnt(0)
	s_waitcnt_vscnt null, 0x0
	s_barrier
	buffer_gl0_inv
	s_clause 0x7
	buffer_load_dword v3, off, s[0:3], 0 offset:328
	buffer_load_dword v4, off, s[0:3], 0 offset:332
	;; [unrolled: 1-line block ×8, first 2 shown]
	v_mov_b32_e32 v2, 0
	s_mov_b32 s4, exec_lo
	ds_read_b128 v[45:48], v2 offset:624
	s_waitcnt vmcnt(6) lgkmcnt(0)
	v_mul_f64 v[55:56], v[47:48], v[3:4]
	v_mul_f64 v[3:4], v[45:46], v[3:4]
	s_waitcnt vmcnt(4)
	v_fma_f64 v[45:46], v[45:46], v[49:50], -v[55:56]
	v_fma_f64 v[3:4], v[47:48], v[49:50], v[3:4]
	v_add_f64 v[45:46], v[45:46], 0
	v_add_f64 v[3:4], v[3:4], 0
	s_waitcnt vmcnt(2)
	v_add_f64 v[45:46], v[51:52], -v[45:46]
	s_waitcnt vmcnt(0)
	v_add_f64 v[3:4], v[53:54], -v[3:4]
	buffer_store_dword v45, off, s[0:3], 0 offset:304
	buffer_store_dword v46, off, s[0:3], 0 offset:308
	;; [unrolled: 1-line block ×4, first 2 shown]
	v_cmpx_lt_u32_e32 17, v0
	s_cbranch_execz .LBB83_99
; %bb.98:
	v_mov_b32_e32 v3, s14
	s_clause 0x3
	buffer_load_dword v45, v3, s[0:3], 0 offen
	buffer_load_dword v46, v3, s[0:3], 0 offen offset:4
	buffer_load_dword v47, v3, s[0:3], 0 offen offset:8
	;; [unrolled: 1-line block ×3, first 2 shown]
	buffer_store_dword v2, off, s[0:3], 0 offset:288
	buffer_store_dword v2, off, s[0:3], 0 offset:292
	;; [unrolled: 1-line block ×4, first 2 shown]
	s_waitcnt vmcnt(0)
	ds_write_b128 v1, v[45:48]
.LBB83_99:
	s_or_b32 exec_lo, exec_lo, s4
	s_waitcnt lgkmcnt(0)
	s_waitcnt_vscnt null, 0x0
	s_barrier
	buffer_gl0_inv
	s_clause 0xb
	buffer_load_dword v3, off, s[0:3], 0 offset:312
	buffer_load_dword v4, off, s[0:3], 0 offset:316
	;; [unrolled: 1-line block ×12, first 2 shown]
	ds_read_b128 v[45:48], v2 offset:608
	ds_read_b128 v[49:52], v2 offset:624
	s_mov_b32 s4, exec_lo
	s_waitcnt vmcnt(10) lgkmcnt(1)
	v_mul_f64 v[63:64], v[47:48], v[3:4]
	v_mul_f64 v[2:3], v[45:46], v[3:4]
	s_waitcnt vmcnt(8) lgkmcnt(0)
	v_mul_f64 v[65:66], v[51:52], v[53:54]
	v_mul_f64 v[53:54], v[49:50], v[53:54]
	s_waitcnt vmcnt(6)
	v_fma_f64 v[45:46], v[45:46], v[55:56], -v[63:64]
	v_fma_f64 v[2:3], v[47:48], v[55:56], v[2:3]
	s_waitcnt vmcnt(4)
	v_fma_f64 v[47:48], v[49:50], v[57:58], -v[65:66]
	v_fma_f64 v[49:50], v[51:52], v[57:58], v[53:54]
	v_add_f64 v[45:46], v[45:46], 0
	v_add_f64 v[2:3], v[2:3], 0
	;; [unrolled: 1-line block ×4, first 2 shown]
	s_waitcnt vmcnt(2)
	v_add_f64 v[45:46], v[59:60], -v[45:46]
	s_waitcnt vmcnt(0)
	v_add_f64 v[2:3], v[61:62], -v[2:3]
	buffer_store_dword v45, off, s[0:3], 0 offset:288
	buffer_store_dword v46, off, s[0:3], 0 offset:292
	;; [unrolled: 1-line block ×4, first 2 shown]
	v_cmpx_lt_u32_e32 16, v0
	s_cbranch_execz .LBB83_101
; %bb.100:
	v_mov_b32_e32 v2, s15
	s_clause 0x3
	buffer_load_dword v45, v2, s[0:3], 0 offen
	buffer_load_dword v46, v2, s[0:3], 0 offen offset:4
	buffer_load_dword v47, v2, s[0:3], 0 offen offset:8
	;; [unrolled: 1-line block ×3, first 2 shown]
	v_mov_b32_e32 v2, 0
	buffer_store_dword v2, off, s[0:3], 0 offset:272
	buffer_store_dword v2, off, s[0:3], 0 offset:276
	;; [unrolled: 1-line block ×4, first 2 shown]
	s_waitcnt vmcnt(0)
	ds_write_b128 v1, v[45:48]
.LBB83_101:
	s_or_b32 exec_lo, exec_lo, s4
	s_waitcnt lgkmcnt(0)
	s_waitcnt_vscnt null, 0x0
	s_barrier
	buffer_gl0_inv
	s_clause 0xf
	buffer_load_dword v3, off, s[0:3], 0 offset:296
	buffer_load_dword v4, off, s[0:3], 0 offset:300
	;; [unrolled: 1-line block ×16, first 2 shown]
	v_mov_b32_e32 v2, 0
	ds_read_b128 v[45:48], v2 offset:592
	ds_read_b128 v[49:52], v2 offset:608
	;; [unrolled: 1-line block ×3, first 2 shown]
	s_mov_b32 s4, exec_lo
	s_waitcnt vmcnt(14) lgkmcnt(2)
	v_mul_f64 v[71:72], v[47:48], v[3:4]
	v_mul_f64 v[3:4], v[45:46], v[3:4]
	s_waitcnt vmcnt(12) lgkmcnt(1)
	v_mul_f64 v[73:74], v[51:52], v[57:58]
	v_mul_f64 v[57:58], v[49:50], v[57:58]
	s_waitcnt vmcnt(10)
	v_fma_f64 v[45:46], v[45:46], v[59:60], -v[71:72]
	v_fma_f64 v[3:4], v[47:48], v[59:60], v[3:4]
	s_waitcnt vmcnt(8) lgkmcnt(0)
	v_mul_f64 v[59:60], v[55:56], v[61:62]
	s_waitcnt vmcnt(6)
	v_fma_f64 v[49:50], v[49:50], v[63:64], -v[73:74]
	v_mul_f64 v[47:48], v[53:54], v[61:62]
	v_fma_f64 v[51:52], v[51:52], v[63:64], v[57:58]
	v_add_f64 v[45:46], v[45:46], 0
	v_add_f64 v[3:4], v[3:4], 0
	s_waitcnt vmcnt(4)
	v_fma_f64 v[53:54], v[53:54], v[65:66], -v[59:60]
	v_fma_f64 v[47:48], v[55:56], v[65:66], v[47:48]
	v_add_f64 v[45:46], v[45:46], v[49:50]
	v_add_f64 v[3:4], v[3:4], v[51:52]
	;; [unrolled: 1-line block ×4, first 2 shown]
	s_waitcnt vmcnt(2)
	v_add_f64 v[45:46], v[67:68], -v[45:46]
	s_waitcnt vmcnt(0)
	v_add_f64 v[3:4], v[69:70], -v[3:4]
	buffer_store_dword v45, off, s[0:3], 0 offset:272
	buffer_store_dword v46, off, s[0:3], 0 offset:276
	;; [unrolled: 1-line block ×4, first 2 shown]
	v_cmpx_lt_u32_e32 15, v0
	s_cbranch_execz .LBB83_103
; %bb.102:
	v_mov_b32_e32 v3, s16
	s_clause 0x3
	buffer_load_dword v45, v3, s[0:3], 0 offen
	buffer_load_dword v46, v3, s[0:3], 0 offen offset:4
	buffer_load_dword v47, v3, s[0:3], 0 offen offset:8
	;; [unrolled: 1-line block ×3, first 2 shown]
	buffer_store_dword v2, off, s[0:3], 0 offset:256
	buffer_store_dword v2, off, s[0:3], 0 offset:260
	;; [unrolled: 1-line block ×4, first 2 shown]
	s_waitcnt vmcnt(0)
	ds_write_b128 v1, v[45:48]
.LBB83_103:
	s_or_b32 exec_lo, exec_lo, s4
	s_waitcnt lgkmcnt(0)
	s_waitcnt_vscnt null, 0x0
	s_barrier
	buffer_gl0_inv
	s_clause 0x13
	buffer_load_dword v3, off, s[0:3], 0 offset:280
	buffer_load_dword v4, off, s[0:3], 0 offset:284
	;; [unrolled: 1-line block ×20, first 2 shown]
	ds_read_b128 v[45:48], v2 offset:576
	ds_read_b128 v[49:52], v2 offset:592
	;; [unrolled: 1-line block ×3, first 2 shown]
	s_mov_b32 s4, exec_lo
	s_waitcnt vmcnt(18) lgkmcnt(2)
	v_mul_f64 v[75:76], v[47:48], v[3:4]
	v_mul_f64 v[3:4], v[45:46], v[3:4]
	s_waitcnt vmcnt(16) lgkmcnt(1)
	v_mul_f64 v[77:78], v[51:52], v[57:58]
	v_mul_f64 v[57:58], v[49:50], v[57:58]
	s_waitcnt vmcnt(14)
	v_fma_f64 v[75:76], v[45:46], v[59:60], -v[75:76]
	v_fma_f64 v[3:4], v[47:48], v[59:60], v[3:4]
	ds_read_b128 v[45:48], v2 offset:624
	s_waitcnt vmcnt(12) lgkmcnt(1)
	v_mul_f64 v[59:60], v[53:54], v[61:62]
	v_mul_f64 v[61:62], v[55:56], v[61:62]
	s_waitcnt vmcnt(10)
	v_fma_f64 v[49:50], v[49:50], v[63:64], -v[77:78]
	v_fma_f64 v[51:52], v[51:52], v[63:64], v[57:58]
	s_waitcnt vmcnt(8) lgkmcnt(0)
	v_mul_f64 v[63:64], v[47:48], v[65:66]
	v_add_f64 v[75:76], v[75:76], 0
	v_add_f64 v[2:3], v[3:4], 0
	v_mul_f64 v[57:58], v[45:46], v[65:66]
	s_waitcnt vmcnt(6)
	v_fma_f64 v[53:54], v[53:54], v[67:68], -v[61:62]
	v_fma_f64 v[55:56], v[55:56], v[67:68], v[59:60]
	s_waitcnt vmcnt(4)
	v_fma_f64 v[45:46], v[45:46], v[69:70], -v[63:64]
	v_add_f64 v[49:50], v[75:76], v[49:50]
	v_add_f64 v[2:3], v[2:3], v[51:52]
	v_fma_f64 v[47:48], v[47:48], v[69:70], v[57:58]
	v_add_f64 v[49:50], v[49:50], v[53:54]
	v_add_f64 v[2:3], v[2:3], v[55:56]
	;; [unrolled: 1-line block ×4, first 2 shown]
	s_waitcnt vmcnt(2)
	v_add_f64 v[45:46], v[71:72], -v[45:46]
	s_waitcnt vmcnt(0)
	v_add_f64 v[2:3], v[73:74], -v[2:3]
	buffer_store_dword v45, off, s[0:3], 0 offset:256
	buffer_store_dword v46, off, s[0:3], 0 offset:260
	;; [unrolled: 1-line block ×4, first 2 shown]
	v_cmpx_lt_u32_e32 14, v0
	s_cbranch_execz .LBB83_105
; %bb.104:
	v_mov_b32_e32 v2, s17
	s_clause 0x3
	buffer_load_dword v45, v2, s[0:3], 0 offen
	buffer_load_dword v46, v2, s[0:3], 0 offen offset:4
	buffer_load_dword v47, v2, s[0:3], 0 offen offset:8
	;; [unrolled: 1-line block ×3, first 2 shown]
	v_mov_b32_e32 v2, 0
	buffer_store_dword v2, off, s[0:3], 0 offset:240
	buffer_store_dword v2, off, s[0:3], 0 offset:244
	;; [unrolled: 1-line block ×4, first 2 shown]
	s_waitcnt vmcnt(0)
	ds_write_b128 v1, v[45:48]
.LBB83_105:
	s_or_b32 exec_lo, exec_lo, s4
	s_waitcnt lgkmcnt(0)
	s_waitcnt_vscnt null, 0x0
	s_barrier
	buffer_gl0_inv
	s_clause 0x17
	buffer_load_dword v3, off, s[0:3], 0 offset:264
	buffer_load_dword v4, off, s[0:3], 0 offset:268
	;; [unrolled: 1-line block ×24, first 2 shown]
	v_mov_b32_e32 v2, 0
	ds_read_b128 v[45:48], v2 offset:560
	ds_read_b128 v[49:52], v2 offset:576
	;; [unrolled: 1-line block ×3, first 2 shown]
	s_mov_b32 s4, exec_lo
	s_waitcnt vmcnt(22) lgkmcnt(2)
	v_mul_f64 v[79:80], v[47:48], v[3:4]
	v_mul_f64 v[3:4], v[45:46], v[3:4]
	s_waitcnt vmcnt(20) lgkmcnt(1)
	v_mul_f64 v[81:82], v[51:52], v[57:58]
	v_mul_f64 v[57:58], v[49:50], v[57:58]
	s_waitcnt vmcnt(18)
	v_fma_f64 v[79:80], v[45:46], v[59:60], -v[79:80]
	v_fma_f64 v[3:4], v[47:48], v[59:60], v[3:4]
	ds_read_b128 v[45:48], v2 offset:608
	s_waitcnt vmcnt(16) lgkmcnt(1)
	v_mul_f64 v[59:60], v[53:54], v[61:62]
	v_mul_f64 v[61:62], v[55:56], v[61:62]
	s_waitcnt vmcnt(14)
	v_fma_f64 v[81:82], v[49:50], v[63:64], -v[81:82]
	v_fma_f64 v[57:58], v[51:52], v[63:64], v[57:58]
	ds_read_b128 v[49:52], v2 offset:624
	s_waitcnt vmcnt(10) lgkmcnt(1)
	v_mul_f64 v[63:64], v[45:46], v[65:66]
	v_add_f64 v[79:80], v[79:80], 0
	v_add_f64 v[3:4], v[3:4], 0
	v_mul_f64 v[65:66], v[47:48], v[65:66]
	s_waitcnt vmcnt(8)
	v_fma_f64 v[53:54], v[53:54], v[71:72], -v[61:62]
	v_fma_f64 v[55:56], v[55:56], v[71:72], v[59:60]
	s_waitcnt vmcnt(7) lgkmcnt(0)
	v_mul_f64 v[59:60], v[51:52], v[67:68]
	s_waitcnt vmcnt(5)
	v_fma_f64 v[47:48], v[47:48], v[73:74], v[63:64]
	v_add_f64 v[61:62], v[79:80], v[81:82]
	v_add_f64 v[3:4], v[3:4], v[57:58]
	v_fma_f64 v[45:46], v[45:46], v[73:74], -v[65:66]
	v_mul_f64 v[57:58], v[49:50], v[67:68]
	s_waitcnt vmcnt(4)
	v_fma_f64 v[49:50], v[49:50], v[69:70], -v[59:60]
	v_add_f64 v[53:54], v[61:62], v[53:54]
	v_add_f64 v[3:4], v[3:4], v[55:56]
	v_fma_f64 v[51:52], v[51:52], v[69:70], v[57:58]
	v_add_f64 v[45:46], v[53:54], v[45:46]
	v_add_f64 v[3:4], v[3:4], v[47:48]
	;; [unrolled: 1-line block ×4, first 2 shown]
	s_waitcnt vmcnt(2)
	v_add_f64 v[45:46], v[75:76], -v[45:46]
	s_waitcnt vmcnt(0)
	v_add_f64 v[3:4], v[77:78], -v[3:4]
	buffer_store_dword v46, off, s[0:3], 0 offset:244
	buffer_store_dword v45, off, s[0:3], 0 offset:240
	;; [unrolled: 1-line block ×4, first 2 shown]
	v_cmpx_lt_u32_e32 13, v0
	s_cbranch_execz .LBB83_107
; %bb.106:
	v_mov_b32_e32 v3, s18
	s_clause 0x3
	buffer_load_dword v45, v3, s[0:3], 0 offen
	buffer_load_dword v46, v3, s[0:3], 0 offen offset:4
	buffer_load_dword v47, v3, s[0:3], 0 offen offset:8
	;; [unrolled: 1-line block ×3, first 2 shown]
	buffer_store_dword v2, off, s[0:3], 0 offset:224
	buffer_store_dword v2, off, s[0:3], 0 offset:228
	;; [unrolled: 1-line block ×4, first 2 shown]
	s_waitcnt vmcnt(0)
	ds_write_b128 v1, v[45:48]
.LBB83_107:
	s_or_b32 exec_lo, exec_lo, s4
	s_waitcnt lgkmcnt(0)
	s_waitcnt_vscnt null, 0x0
	s_barrier
	buffer_gl0_inv
	s_clause 0x1b
	buffer_load_dword v3, off, s[0:3], 0 offset:248
	buffer_load_dword v4, off, s[0:3], 0 offset:252
	;; [unrolled: 1-line block ×28, first 2 shown]
	ds_read_b128 v[45:48], v2 offset:544
	ds_read_b128 v[49:52], v2 offset:560
	;; [unrolled: 1-line block ×3, first 2 shown]
	s_mov_b32 s4, exec_lo
	s_waitcnt vmcnt(26) lgkmcnt(2)
	v_mul_f64 v[83:84], v[47:48], v[3:4]
	v_mul_f64 v[3:4], v[45:46], v[3:4]
	s_waitcnt vmcnt(24) lgkmcnt(1)
	v_mul_f64 v[85:86], v[51:52], v[57:58]
	v_mul_f64 v[57:58], v[49:50], v[57:58]
	s_waitcnt vmcnt(22)
	v_fma_f64 v[83:84], v[45:46], v[59:60], -v[83:84]
	v_fma_f64 v[3:4], v[47:48], v[59:60], v[3:4]
	ds_read_b128 v[45:48], v2 offset:592
	s_waitcnt vmcnt(20) lgkmcnt(1)
	v_mul_f64 v[59:60], v[53:54], v[61:62]
	v_mul_f64 v[61:62], v[55:56], v[61:62]
	s_waitcnt vmcnt(18)
	v_fma_f64 v[85:86], v[49:50], v[63:64], -v[85:86]
	v_fma_f64 v[57:58], v[51:52], v[63:64], v[57:58]
	ds_read_b128 v[49:52], v2 offset:608
	s_waitcnt vmcnt(14) lgkmcnt(1)
	v_mul_f64 v[63:64], v[45:46], v[65:66]
	v_add_f64 v[83:84], v[83:84], 0
	v_add_f64 v[3:4], v[3:4], 0
	v_mul_f64 v[65:66], v[47:48], v[65:66]
	s_waitcnt vmcnt(12)
	v_fma_f64 v[61:62], v[53:54], v[71:72], -v[61:62]
	v_fma_f64 v[59:60], v[55:56], v[71:72], v[59:60]
	ds_read_b128 v[53:56], v2 offset:624
	s_waitcnt vmcnt(9)
	v_fma_f64 v[47:48], v[47:48], v[73:74], v[63:64]
	v_add_f64 v[83:84], v[83:84], v[85:86]
	v_add_f64 v[3:4], v[3:4], v[57:58]
	s_waitcnt lgkmcnt(1)
	v_mul_f64 v[57:58], v[49:50], v[67:68]
	v_mul_f64 v[67:68], v[51:52], v[67:68]
	v_fma_f64 v[45:46], v[45:46], v[73:74], -v[65:66]
	s_waitcnt vmcnt(7) lgkmcnt(0)
	v_mul_f64 v[63:64], v[55:56], v[75:76]
	v_add_f64 v[61:62], v[83:84], v[61:62]
	v_add_f64 v[2:3], v[3:4], v[59:60]
	v_mul_f64 v[59:60], v[53:54], v[75:76]
	s_waitcnt vmcnt(6)
	v_fma_f64 v[49:50], v[49:50], v[69:70], -v[67:68]
	v_fma_f64 v[51:52], v[51:52], v[69:70], v[57:58]
	v_add_f64 v[45:46], v[61:62], v[45:46]
	v_add_f64 v[2:3], v[2:3], v[47:48]
	s_waitcnt vmcnt(4)
	v_fma_f64 v[47:48], v[53:54], v[77:78], -v[63:64]
	v_add_f64 v[45:46], v[45:46], v[49:50]
	v_fma_f64 v[49:50], v[55:56], v[77:78], v[59:60]
	v_add_f64 v[2:3], v[2:3], v[51:52]
	v_add_f64 v[45:46], v[45:46], v[47:48]
	;; [unrolled: 1-line block ×3, first 2 shown]
	s_waitcnt vmcnt(2)
	v_add_f64 v[45:46], v[79:80], -v[45:46]
	s_waitcnt vmcnt(0)
	v_add_f64 v[2:3], v[81:82], -v[2:3]
	buffer_store_dword v46, off, s[0:3], 0 offset:228
	buffer_store_dword v45, off, s[0:3], 0 offset:224
	;; [unrolled: 1-line block ×4, first 2 shown]
	v_cmpx_lt_u32_e32 12, v0
	s_cbranch_execz .LBB83_109
; %bb.108:
	v_mov_b32_e32 v2, s19
	s_clause 0x3
	buffer_load_dword v45, v2, s[0:3], 0 offen
	buffer_load_dword v46, v2, s[0:3], 0 offen offset:4
	buffer_load_dword v47, v2, s[0:3], 0 offen offset:8
	;; [unrolled: 1-line block ×3, first 2 shown]
	v_mov_b32_e32 v2, 0
	buffer_store_dword v2, off, s[0:3], 0 offset:208
	buffer_store_dword v2, off, s[0:3], 0 offset:212
	;; [unrolled: 1-line block ×4, first 2 shown]
	s_waitcnt vmcnt(0)
	ds_write_b128 v1, v[45:48]
.LBB83_109:
	s_or_b32 exec_lo, exec_lo, s4
	s_waitcnt lgkmcnt(0)
	s_waitcnt_vscnt null, 0x0
	s_barrier
	buffer_gl0_inv
	s_clause 0x1f
	buffer_load_dword v3, off, s[0:3], 0 offset:232
	buffer_load_dword v4, off, s[0:3], 0 offset:236
	;; [unrolled: 1-line block ×32, first 2 shown]
	v_mov_b32_e32 v2, 0
	ds_read_b128 v[45:48], v2 offset:528
	ds_read_b128 v[49:52], v2 offset:544
	;; [unrolled: 1-line block ×3, first 2 shown]
	s_mov_b32 s4, exec_lo
	s_waitcnt vmcnt(30) lgkmcnt(2)
	v_mul_f64 v[87:88], v[47:48], v[3:4]
	v_mul_f64 v[3:4], v[45:46], v[3:4]
	s_waitcnt vmcnt(28) lgkmcnt(1)
	v_mul_f64 v[89:90], v[51:52], v[57:58]
	v_mul_f64 v[57:58], v[49:50], v[57:58]
	s_waitcnt vmcnt(26)
	v_fma_f64 v[87:88], v[45:46], v[59:60], -v[87:88]
	v_fma_f64 v[3:4], v[47:48], v[59:60], v[3:4]
	ds_read_b128 v[45:48], v2 offset:576
	s_waitcnt vmcnt(24) lgkmcnt(1)
	v_mul_f64 v[59:60], v[53:54], v[61:62]
	v_mul_f64 v[61:62], v[55:56], v[61:62]
	s_waitcnt vmcnt(22)
	v_fma_f64 v[89:90], v[49:50], v[63:64], -v[89:90]
	v_fma_f64 v[57:58], v[51:52], v[63:64], v[57:58]
	ds_read_b128 v[49:52], v2 offset:592
	s_waitcnt vmcnt(18) lgkmcnt(1)
	v_mul_f64 v[63:64], v[45:46], v[65:66]
	v_add_f64 v[87:88], v[87:88], 0
	v_add_f64 v[3:4], v[3:4], 0
	v_mul_f64 v[65:66], v[47:48], v[65:66]
	s_waitcnt vmcnt(16)
	v_fma_f64 v[61:62], v[53:54], v[71:72], -v[61:62]
	v_fma_f64 v[59:60], v[55:56], v[71:72], v[59:60]
	ds_read_b128 v[53:56], v2 offset:608
	s_waitcnt vmcnt(13)
	v_fma_f64 v[63:64], v[47:48], v[73:74], v[63:64]
	v_add_f64 v[87:88], v[87:88], v[89:90]
	v_add_f64 v[3:4], v[3:4], v[57:58]
	s_waitcnt lgkmcnt(1)
	v_mul_f64 v[57:58], v[49:50], v[67:68]
	v_mul_f64 v[67:68], v[51:52], v[67:68]
	v_fma_f64 v[65:66], v[45:46], v[73:74], -v[65:66]
	s_waitcnt vmcnt(9) lgkmcnt(0)
	v_mul_f64 v[71:72], v[55:56], v[75:76]
	ds_read_b128 v[45:48], v2 offset:624
	v_add_f64 v[61:62], v[87:88], v[61:62]
	v_add_f64 v[3:4], v[3:4], v[59:60]
	v_mul_f64 v[59:60], v[53:54], v[75:76]
	s_waitcnt vmcnt(8)
	v_fma_f64 v[49:50], v[49:50], v[69:70], -v[67:68]
	v_fma_f64 v[51:52], v[51:52], v[69:70], v[57:58]
	s_waitcnt vmcnt(5)
	v_fma_f64 v[53:54], v[53:54], v[81:82], -v[71:72]
	s_waitcnt lgkmcnt(0)
	v_mul_f64 v[57:58], v[45:46], v[77:78]
	v_add_f64 v[61:62], v[61:62], v[65:66]
	v_add_f64 v[3:4], v[3:4], v[63:64]
	v_mul_f64 v[63:64], v[47:48], v[77:78]
	v_fma_f64 v[55:56], v[55:56], v[81:82], v[59:60]
	s_waitcnt vmcnt(4)
	v_fma_f64 v[47:48], v[47:48], v[79:80], v[57:58]
	v_add_f64 v[49:50], v[61:62], v[49:50]
	v_add_f64 v[3:4], v[3:4], v[51:52]
	v_fma_f64 v[45:46], v[45:46], v[79:80], -v[63:64]
	v_add_f64 v[49:50], v[49:50], v[53:54]
	v_add_f64 v[3:4], v[3:4], v[55:56]
	;; [unrolled: 1-line block ×4, first 2 shown]
	s_waitcnt vmcnt(2)
	v_add_f64 v[45:46], v[83:84], -v[45:46]
	s_waitcnt vmcnt(0)
	v_add_f64 v[3:4], v[85:86], -v[3:4]
	buffer_store_dword v46, off, s[0:3], 0 offset:212
	buffer_store_dword v45, off, s[0:3], 0 offset:208
	;; [unrolled: 1-line block ×4, first 2 shown]
	v_cmpx_lt_u32_e32 11, v0
	s_cbranch_execz .LBB83_111
; %bb.110:
	v_mov_b32_e32 v3, s20
	s_clause 0x3
	buffer_load_dword v45, v3, s[0:3], 0 offen
	buffer_load_dword v46, v3, s[0:3], 0 offen offset:4
	buffer_load_dword v47, v3, s[0:3], 0 offen offset:8
	;; [unrolled: 1-line block ×3, first 2 shown]
	buffer_store_dword v2, off, s[0:3], 0 offset:192
	buffer_store_dword v2, off, s[0:3], 0 offset:196
	buffer_store_dword v2, off, s[0:3], 0 offset:200
	buffer_store_dword v2, off, s[0:3], 0 offset:204
	s_waitcnt vmcnt(0)
	ds_write_b128 v1, v[45:48]
.LBB83_111:
	s_or_b32 exec_lo, exec_lo, s4
	s_waitcnt lgkmcnt(0)
	s_waitcnt_vscnt null, 0x0
	s_barrier
	buffer_gl0_inv
	s_clause 0x23
	buffer_load_dword v3, off, s[0:3], 0 offset:216
	buffer_load_dword v4, off, s[0:3], 0 offset:220
	buffer_load_dword v57, off, s[0:3], 0 offset:232
	buffer_load_dword v58, off, s[0:3], 0 offset:236
	buffer_load_dword v59, off, s[0:3], 0 offset:208
	buffer_load_dword v60, off, s[0:3], 0 offset:212
	buffer_load_dword v61, off, s[0:3], 0 offset:248
	buffer_load_dword v62, off, s[0:3], 0 offset:252
	buffer_load_dword v63, off, s[0:3], 0 offset:224
	buffer_load_dword v64, off, s[0:3], 0 offset:228
	buffer_load_dword v66, off, s[0:3], 0 offset:268
	buffer_load_dword v67, off, s[0:3], 0 offset:280
	buffer_load_dword v69, off, s[0:3], 0 offset:272
	buffer_load_dword v65, off, s[0:3], 0 offset:264
	buffer_load_dword v71, off, s[0:3], 0 offset:240
	buffer_load_dword v72, off, s[0:3], 0 offset:244
	buffer_load_dword v68, off, s[0:3], 0 offset:284
	buffer_load_dword v74, off, s[0:3], 0 offset:260
	buffer_load_dword v73, off, s[0:3], 0 offset:256
	buffer_load_dword v76, off, s[0:3], 0 offset:300
	buffer_load_dword v77, off, s[0:3], 0 offset:312
	buffer_load_dword v79, off, s[0:3], 0 offset:304
	buffer_load_dword v75, off, s[0:3], 0 offset:296
	buffer_load_dword v70, off, s[0:3], 0 offset:276
	buffer_load_dword v78, off, s[0:3], 0 offset:316
	buffer_load_dword v82, off, s[0:3], 0 offset:292
	buffer_load_dword v81, off, s[0:3], 0 offset:288
	buffer_load_dword v84, off, s[0:3], 0 offset:332
	buffer_load_dword v83, off, s[0:3], 0 offset:328
	buffer_load_dword v80, off, s[0:3], 0 offset:308
	buffer_load_dword v86, off, s[0:3], 0 offset:324
	buffer_load_dword v85, off, s[0:3], 0 offset:320
	buffer_load_dword v87, off, s[0:3], 0 offset:192
	buffer_load_dword v88, off, s[0:3], 0 offset:196
	buffer_load_dword v89, off, s[0:3], 0 offset:200
	buffer_load_dword v90, off, s[0:3], 0 offset:204
	ds_read_b128 v[45:48], v2 offset:512
	ds_read_b128 v[49:52], v2 offset:528
	;; [unrolled: 1-line block ×3, first 2 shown]
	s_mov_b32 s4, exec_lo
	s_waitcnt vmcnt(34) lgkmcnt(2)
	v_mul_f64 v[91:92], v[47:48], v[3:4]
	v_mul_f64 v[3:4], v[45:46], v[3:4]
	s_waitcnt vmcnt(32) lgkmcnt(1)
	v_mul_f64 v[93:94], v[51:52], v[57:58]
	v_mul_f64 v[57:58], v[49:50], v[57:58]
	s_waitcnt vmcnt(30)
	v_fma_f64 v[91:92], v[45:46], v[59:60], -v[91:92]
	v_fma_f64 v[3:4], v[47:48], v[59:60], v[3:4]
	ds_read_b128 v[45:48], v2 offset:560
	s_waitcnt vmcnt(28) lgkmcnt(1)
	v_mul_f64 v[59:60], v[53:54], v[61:62]
	v_mul_f64 v[61:62], v[55:56], v[61:62]
	s_waitcnt vmcnt(26)
	v_fma_f64 v[93:94], v[49:50], v[63:64], -v[93:94]
	v_fma_f64 v[57:58], v[51:52], v[63:64], v[57:58]
	ds_read_b128 v[49:52], v2 offset:576
	s_waitcnt vmcnt(22) lgkmcnt(1)
	v_mul_f64 v[63:64], v[45:46], v[65:66]
	v_add_f64 v[91:92], v[91:92], 0
	v_add_f64 v[3:4], v[3:4], 0
	v_mul_f64 v[65:66], v[47:48], v[65:66]
	s_waitcnt vmcnt(20)
	v_fma_f64 v[61:62], v[53:54], v[71:72], -v[61:62]
	v_fma_f64 v[59:60], v[55:56], v[71:72], v[59:60]
	ds_read_b128 v[53:56], v2 offset:592
	s_waitcnt vmcnt(17)
	v_fma_f64 v[63:64], v[47:48], v[73:74], v[63:64]
	v_add_f64 v[91:92], v[91:92], v[93:94]
	v_add_f64 v[3:4], v[3:4], v[57:58]
	s_waitcnt lgkmcnt(1)
	v_mul_f64 v[57:58], v[49:50], v[67:68]
	v_mul_f64 v[67:68], v[51:52], v[67:68]
	v_fma_f64 v[65:66], v[45:46], v[73:74], -v[65:66]
	s_waitcnt vmcnt(13) lgkmcnt(0)
	v_mul_f64 v[71:72], v[55:56], v[75:76]
	ds_read_b128 v[45:48], v2 offset:608
	v_add_f64 v[61:62], v[91:92], v[61:62]
	v_add_f64 v[3:4], v[3:4], v[59:60]
	v_mul_f64 v[59:60], v[53:54], v[75:76]
	s_waitcnt vmcnt(12)
	v_fma_f64 v[67:68], v[49:50], v[69:70], -v[67:68]
	v_fma_f64 v[57:58], v[51:52], v[69:70], v[57:58]
	ds_read_b128 v[49:52], v2 offset:624
	s_waitcnt vmcnt(9)
	v_fma_f64 v[53:54], v[53:54], v[81:82], -v[71:72]
	v_add_f64 v[61:62], v[61:62], v[65:66]
	v_add_f64 v[3:4], v[3:4], v[63:64]
	s_waitcnt lgkmcnt(1)
	v_mul_f64 v[65:66], v[47:48], v[77:78]
	v_mul_f64 v[63:64], v[45:46], v[77:78]
	v_fma_f64 v[55:56], v[55:56], v[81:82], v[59:60]
	s_waitcnt vmcnt(7) lgkmcnt(0)
	v_mul_f64 v[59:60], v[51:52], v[83:84]
	v_add_f64 v[61:62], v[61:62], v[67:68]
	v_add_f64 v[2:3], v[3:4], v[57:58]
	s_waitcnt vmcnt(6)
	v_fma_f64 v[45:46], v[45:46], v[79:80], -v[65:66]
	v_mul_f64 v[57:58], v[49:50], v[83:84]
	v_fma_f64 v[47:48], v[47:48], v[79:80], v[63:64]
	s_waitcnt vmcnt(4)
	v_fma_f64 v[49:50], v[49:50], v[85:86], -v[59:60]
	v_add_f64 v[53:54], v[61:62], v[53:54]
	v_add_f64 v[2:3], v[2:3], v[55:56]
	v_fma_f64 v[51:52], v[51:52], v[85:86], v[57:58]
	v_add_f64 v[45:46], v[53:54], v[45:46]
	v_add_f64 v[2:3], v[2:3], v[47:48]
	;; [unrolled: 1-line block ×4, first 2 shown]
	s_waitcnt vmcnt(2)
	v_add_f64 v[45:46], v[87:88], -v[45:46]
	s_waitcnt vmcnt(0)
	v_add_f64 v[2:3], v[89:90], -v[2:3]
	buffer_store_dword v46, off, s[0:3], 0 offset:196
	buffer_store_dword v45, off, s[0:3], 0 offset:192
	;; [unrolled: 1-line block ×4, first 2 shown]
	v_cmpx_lt_u32_e32 10, v0
	s_cbranch_execz .LBB83_113
; %bb.112:
	v_mov_b32_e32 v2, s21
	s_clause 0x3
	buffer_load_dword v45, v2, s[0:3], 0 offen
	buffer_load_dword v46, v2, s[0:3], 0 offen offset:4
	buffer_load_dword v47, v2, s[0:3], 0 offen offset:8
	;; [unrolled: 1-line block ×3, first 2 shown]
	v_mov_b32_e32 v2, 0
	buffer_store_dword v2, off, s[0:3], 0 offset:176
	buffer_store_dword v2, off, s[0:3], 0 offset:180
	;; [unrolled: 1-line block ×4, first 2 shown]
	s_waitcnt vmcnt(0)
	ds_write_b128 v1, v[45:48]
.LBB83_113:
	s_or_b32 exec_lo, exec_lo, s4
	s_waitcnt lgkmcnt(0)
	s_waitcnt_vscnt null, 0x0
	s_barrier
	buffer_gl0_inv
	s_clause 0x27
	buffer_load_dword v3, off, s[0:3], 0 offset:200
	buffer_load_dword v4, off, s[0:3], 0 offset:204
	;; [unrolled: 1-line block ×40, first 2 shown]
	v_mov_b32_e32 v2, 0
	ds_read_b128 v[45:48], v2 offset:496
	ds_read_b128 v[49:52], v2 offset:512
	;; [unrolled: 1-line block ×3, first 2 shown]
	s_mov_b32 s4, exec_lo
	s_waitcnt vmcnt(38) lgkmcnt(2)
	v_mul_f64 v[95:96], v[47:48], v[3:4]
	v_mul_f64 v[3:4], v[45:46], v[3:4]
	s_waitcnt vmcnt(36) lgkmcnt(1)
	v_mul_f64 v[97:98], v[51:52], v[57:58]
	v_mul_f64 v[57:58], v[49:50], v[57:58]
	s_waitcnt vmcnt(34)
	v_fma_f64 v[95:96], v[45:46], v[59:60], -v[95:96]
	v_fma_f64 v[3:4], v[47:48], v[59:60], v[3:4]
	ds_read_b128 v[45:48], v2 offset:544
	s_waitcnt vmcnt(32) lgkmcnt(1)
	v_mul_f64 v[59:60], v[53:54], v[61:62]
	v_mul_f64 v[61:62], v[55:56], v[61:62]
	s_waitcnt vmcnt(30)
	v_fma_f64 v[97:98], v[49:50], v[63:64], -v[97:98]
	v_fma_f64 v[57:58], v[51:52], v[63:64], v[57:58]
	ds_read_b128 v[49:52], v2 offset:560
	s_waitcnt vmcnt(26) lgkmcnt(1)
	v_mul_f64 v[63:64], v[45:46], v[65:66]
	v_add_f64 v[95:96], v[95:96], 0
	v_add_f64 v[3:4], v[3:4], 0
	v_mul_f64 v[65:66], v[47:48], v[65:66]
	s_waitcnt vmcnt(24)
	v_fma_f64 v[61:62], v[53:54], v[71:72], -v[61:62]
	v_fma_f64 v[59:60], v[55:56], v[71:72], v[59:60]
	ds_read_b128 v[53:56], v2 offset:576
	s_waitcnt vmcnt(21)
	v_fma_f64 v[63:64], v[47:48], v[73:74], v[63:64]
	v_add_f64 v[95:96], v[95:96], v[97:98]
	v_add_f64 v[3:4], v[3:4], v[57:58]
	s_waitcnt lgkmcnt(1)
	v_mul_f64 v[57:58], v[49:50], v[67:68]
	v_mul_f64 v[67:68], v[51:52], v[67:68]
	v_fma_f64 v[65:66], v[45:46], v[73:74], -v[65:66]
	s_waitcnt vmcnt(17) lgkmcnt(0)
	v_mul_f64 v[71:72], v[55:56], v[75:76]
	ds_read_b128 v[45:48], v2 offset:592
	v_add_f64 v[61:62], v[95:96], v[61:62]
	v_add_f64 v[3:4], v[3:4], v[59:60]
	v_mul_f64 v[59:60], v[53:54], v[75:76]
	s_waitcnt vmcnt(16)
	v_fma_f64 v[67:68], v[49:50], v[69:70], -v[67:68]
	v_fma_f64 v[57:58], v[51:52], v[69:70], v[57:58]
	ds_read_b128 v[49:52], v2 offset:608
	s_waitcnt vmcnt(13)
	v_fma_f64 v[69:70], v[53:54], v[81:82], -v[71:72]
	v_add_f64 v[61:62], v[61:62], v[65:66]
	v_add_f64 v[3:4], v[3:4], v[63:64]
	s_waitcnt lgkmcnt(1)
	v_mul_f64 v[65:66], v[47:48], v[77:78]
	v_mul_f64 v[63:64], v[45:46], v[77:78]
	v_fma_f64 v[59:60], v[55:56], v[81:82], v[59:60]
	ds_read_b128 v[53:56], v2 offset:624
	v_add_f64 v[61:62], v[61:62], v[67:68]
	v_add_f64 v[3:4], v[3:4], v[57:58]
	s_waitcnt vmcnt(9) lgkmcnt(1)
	v_mul_f64 v[67:68], v[51:52], v[83:84]
	s_waitcnt vmcnt(8)
	v_fma_f64 v[45:46], v[45:46], v[79:80], -v[65:66]
	v_mul_f64 v[57:58], v[49:50], v[83:84]
	v_fma_f64 v[47:48], v[47:48], v[79:80], v[63:64]
	s_waitcnt vmcnt(7) lgkmcnt(0)
	v_mul_f64 v[63:64], v[55:56], v[85:86]
	v_add_f64 v[61:62], v[61:62], v[69:70]
	v_add_f64 v[3:4], v[3:4], v[59:60]
	s_waitcnt vmcnt(5)
	v_fma_f64 v[49:50], v[49:50], v[89:90], -v[67:68]
	v_mul_f64 v[59:60], v[53:54], v[85:86]
	v_fma_f64 v[51:52], v[51:52], v[89:90], v[57:58]
	v_add_f64 v[45:46], v[61:62], v[45:46]
	v_add_f64 v[3:4], v[3:4], v[47:48]
	s_waitcnt vmcnt(4)
	v_fma_f64 v[47:48], v[53:54], v[87:88], -v[63:64]
	v_add_f64 v[45:46], v[45:46], v[49:50]
	v_fma_f64 v[49:50], v[55:56], v[87:88], v[59:60]
	v_add_f64 v[3:4], v[3:4], v[51:52]
	v_add_f64 v[45:46], v[45:46], v[47:48]
	;; [unrolled: 1-line block ×3, first 2 shown]
	s_waitcnt vmcnt(2)
	v_add_f64 v[45:46], v[91:92], -v[45:46]
	s_waitcnt vmcnt(0)
	v_add_f64 v[3:4], v[93:94], -v[3:4]
	buffer_store_dword v46, off, s[0:3], 0 offset:180
	buffer_store_dword v45, off, s[0:3], 0 offset:176
	;; [unrolled: 1-line block ×4, first 2 shown]
	v_cmpx_lt_u32_e32 9, v0
	s_cbranch_execz .LBB83_115
; %bb.114:
	v_mov_b32_e32 v3, s22
	s_clause 0x3
	buffer_load_dword v45, v3, s[0:3], 0 offen
	buffer_load_dword v46, v3, s[0:3], 0 offen offset:4
	buffer_load_dword v47, v3, s[0:3], 0 offen offset:8
	buffer_load_dword v48, v3, s[0:3], 0 offen offset:12
	buffer_store_dword v2, off, s[0:3], 0 offset:160
	buffer_store_dword v2, off, s[0:3], 0 offset:164
	;; [unrolled: 1-line block ×4, first 2 shown]
	s_waitcnt vmcnt(0)
	ds_write_b128 v1, v[45:48]
.LBB83_115:
	s_or_b32 exec_lo, exec_lo, s4
	s_waitcnt lgkmcnt(0)
	s_waitcnt_vscnt null, 0x0
	s_barrier
	buffer_gl0_inv
	s_clause 0x2b
	buffer_load_dword v3, off, s[0:3], 0 offset:184
	buffer_load_dword v4, off, s[0:3], 0 offset:188
	buffer_load_dword v57, off, s[0:3], 0 offset:200
	buffer_load_dword v58, off, s[0:3], 0 offset:204
	buffer_load_dword v59, off, s[0:3], 0 offset:176
	buffer_load_dword v60, off, s[0:3], 0 offset:180
	buffer_load_dword v61, off, s[0:3], 0 offset:216
	buffer_load_dword v62, off, s[0:3], 0 offset:220
	buffer_load_dword v63, off, s[0:3], 0 offset:192
	buffer_load_dword v64, off, s[0:3], 0 offset:196
	buffer_load_dword v66, off, s[0:3], 0 offset:236
	buffer_load_dword v67, off, s[0:3], 0 offset:248
	buffer_load_dword v69, off, s[0:3], 0 offset:240
	buffer_load_dword v65, off, s[0:3], 0 offset:232
	buffer_load_dword v71, off, s[0:3], 0 offset:208
	buffer_load_dword v72, off, s[0:3], 0 offset:212
	buffer_load_dword v68, off, s[0:3], 0 offset:252
	buffer_load_dword v74, off, s[0:3], 0 offset:228
	buffer_load_dword v73, off, s[0:3], 0 offset:224
	buffer_load_dword v76, off, s[0:3], 0 offset:268
	buffer_load_dword v77, off, s[0:3], 0 offset:280
	buffer_load_dword v79, off, s[0:3], 0 offset:272
	buffer_load_dword v75, off, s[0:3], 0 offset:264
	buffer_load_dword v70, off, s[0:3], 0 offset:244
	buffer_load_dword v78, off, s[0:3], 0 offset:284
	buffer_load_dword v82, off, s[0:3], 0 offset:260
	buffer_load_dword v81, off, s[0:3], 0 offset:256
	buffer_load_dword v84, off, s[0:3], 0 offset:300
	buffer_load_dword v85, off, s[0:3], 0 offset:312
	buffer_load_dword v87, off, s[0:3], 0 offset:304
	buffer_load_dword v83, off, s[0:3], 0 offset:296
	buffer_load_dword v80, off, s[0:3], 0 offset:276
	buffer_load_dword v86, off, s[0:3], 0 offset:316
	buffer_load_dword v90, off, s[0:3], 0 offset:292
	buffer_load_dword v89, off, s[0:3], 0 offset:288
	buffer_load_dword v92, off, s[0:3], 0 offset:332
	buffer_load_dword v91, off, s[0:3], 0 offset:328
	buffer_load_dword v88, off, s[0:3], 0 offset:308
	buffer_load_dword v94, off, s[0:3], 0 offset:324
	buffer_load_dword v93, off, s[0:3], 0 offset:320
	buffer_load_dword v95, off, s[0:3], 0 offset:160
	buffer_load_dword v96, off, s[0:3], 0 offset:164
	buffer_load_dword v97, off, s[0:3], 0 offset:168
	buffer_load_dword v98, off, s[0:3], 0 offset:172
	ds_read_b128 v[45:48], v2 offset:480
	ds_read_b128 v[49:52], v2 offset:496
	;; [unrolled: 1-line block ×3, first 2 shown]
	s_mov_b32 s4, exec_lo
	s_waitcnt vmcnt(42) lgkmcnt(2)
	v_mul_f64 v[99:100], v[47:48], v[3:4]
	v_mul_f64 v[3:4], v[45:46], v[3:4]
	s_waitcnt vmcnt(40) lgkmcnt(1)
	v_mul_f64 v[101:102], v[51:52], v[57:58]
	v_mul_f64 v[57:58], v[49:50], v[57:58]
	s_waitcnt vmcnt(38)
	v_fma_f64 v[99:100], v[45:46], v[59:60], -v[99:100]
	v_fma_f64 v[3:4], v[47:48], v[59:60], v[3:4]
	ds_read_b128 v[45:48], v2 offset:528
	s_waitcnt vmcnt(36) lgkmcnt(1)
	v_mul_f64 v[59:60], v[53:54], v[61:62]
	v_mul_f64 v[61:62], v[55:56], v[61:62]
	s_waitcnt vmcnt(34)
	v_fma_f64 v[101:102], v[49:50], v[63:64], -v[101:102]
	v_fma_f64 v[57:58], v[51:52], v[63:64], v[57:58]
	ds_read_b128 v[49:52], v2 offset:544
	s_waitcnt vmcnt(30) lgkmcnt(1)
	v_mul_f64 v[63:64], v[45:46], v[65:66]
	v_add_f64 v[99:100], v[99:100], 0
	v_add_f64 v[3:4], v[3:4], 0
	v_mul_f64 v[65:66], v[47:48], v[65:66]
	s_waitcnt vmcnt(28)
	v_fma_f64 v[61:62], v[53:54], v[71:72], -v[61:62]
	v_fma_f64 v[59:60], v[55:56], v[71:72], v[59:60]
	ds_read_b128 v[53:56], v2 offset:560
	s_waitcnt vmcnt(25)
	v_fma_f64 v[63:64], v[47:48], v[73:74], v[63:64]
	v_add_f64 v[99:100], v[99:100], v[101:102]
	v_add_f64 v[3:4], v[3:4], v[57:58]
	s_waitcnt lgkmcnt(1)
	v_mul_f64 v[57:58], v[49:50], v[67:68]
	v_mul_f64 v[67:68], v[51:52], v[67:68]
	v_fma_f64 v[65:66], v[45:46], v[73:74], -v[65:66]
	s_waitcnt vmcnt(21) lgkmcnt(0)
	v_mul_f64 v[71:72], v[55:56], v[75:76]
	ds_read_b128 v[45:48], v2 offset:576
	v_add_f64 v[61:62], v[99:100], v[61:62]
	v_add_f64 v[3:4], v[3:4], v[59:60]
	v_mul_f64 v[59:60], v[53:54], v[75:76]
	s_waitcnt vmcnt(20)
	v_fma_f64 v[67:68], v[49:50], v[69:70], -v[67:68]
	v_fma_f64 v[57:58], v[51:52], v[69:70], v[57:58]
	ds_read_b128 v[49:52], v2 offset:592
	s_waitcnt vmcnt(17)
	v_fma_f64 v[69:70], v[53:54], v[81:82], -v[71:72]
	v_add_f64 v[61:62], v[61:62], v[65:66]
	v_add_f64 v[3:4], v[3:4], v[63:64]
	s_waitcnt lgkmcnt(1)
	v_mul_f64 v[65:66], v[47:48], v[77:78]
	v_mul_f64 v[63:64], v[45:46], v[77:78]
	v_fma_f64 v[59:60], v[55:56], v[81:82], v[59:60]
	ds_read_b128 v[53:56], v2 offset:608
	v_add_f64 v[61:62], v[61:62], v[67:68]
	v_add_f64 v[3:4], v[3:4], v[57:58]
	s_waitcnt vmcnt(13) lgkmcnt(1)
	v_mul_f64 v[67:68], v[51:52], v[83:84]
	s_waitcnt vmcnt(12)
	v_fma_f64 v[65:66], v[45:46], v[79:80], -v[65:66]
	v_mul_f64 v[57:58], v[49:50], v[83:84]
	v_fma_f64 v[63:64], v[47:48], v[79:80], v[63:64]
	ds_read_b128 v[45:48], v2 offset:624
	v_add_f64 v[61:62], v[61:62], v[69:70]
	v_add_f64 v[3:4], v[3:4], v[59:60]
	s_waitcnt vmcnt(11) lgkmcnt(1)
	v_mul_f64 v[69:70], v[55:56], v[85:86]
	s_waitcnt vmcnt(9)
	v_fma_f64 v[49:50], v[49:50], v[89:90], -v[67:68]
	v_mul_f64 v[59:60], v[53:54], v[85:86]
	v_fma_f64 v[51:52], v[51:52], v[89:90], v[57:58]
	s_waitcnt vmcnt(7) lgkmcnt(0)
	v_mul_f64 v[57:58], v[45:46], v[91:92]
	v_add_f64 v[61:62], v[61:62], v[65:66]
	v_add_f64 v[2:3], v[3:4], v[63:64]
	v_mul_f64 v[63:64], v[47:48], v[91:92]
	s_waitcnt vmcnt(6)
	v_fma_f64 v[53:54], v[53:54], v[87:88], -v[69:70]
	v_fma_f64 v[55:56], v[55:56], v[87:88], v[59:60]
	s_waitcnt vmcnt(4)
	v_fma_f64 v[47:48], v[47:48], v[93:94], v[57:58]
	v_add_f64 v[49:50], v[61:62], v[49:50]
	v_add_f64 v[2:3], v[2:3], v[51:52]
	v_fma_f64 v[45:46], v[45:46], v[93:94], -v[63:64]
	v_add_f64 v[49:50], v[49:50], v[53:54]
	v_add_f64 v[2:3], v[2:3], v[55:56]
	;; [unrolled: 1-line block ×4, first 2 shown]
	s_waitcnt vmcnt(2)
	v_add_f64 v[45:46], v[95:96], -v[45:46]
	s_waitcnt vmcnt(0)
	v_add_f64 v[2:3], v[97:98], -v[2:3]
	buffer_store_dword v46, off, s[0:3], 0 offset:164
	buffer_store_dword v45, off, s[0:3], 0 offset:160
	;; [unrolled: 1-line block ×4, first 2 shown]
	v_cmpx_lt_u32_e32 8, v0
	s_cbranch_execz .LBB83_117
; %bb.116:
	v_mov_b32_e32 v2, s23
	s_clause 0x3
	buffer_load_dword v45, v2, s[0:3], 0 offen
	buffer_load_dword v46, v2, s[0:3], 0 offen offset:4
	buffer_load_dword v47, v2, s[0:3], 0 offen offset:8
	;; [unrolled: 1-line block ×3, first 2 shown]
	v_mov_b32_e32 v2, 0
	buffer_store_dword v2, off, s[0:3], 0 offset:144
	buffer_store_dword v2, off, s[0:3], 0 offset:148
	buffer_store_dword v2, off, s[0:3], 0 offset:152
	buffer_store_dword v2, off, s[0:3], 0 offset:156
	s_waitcnt vmcnt(0)
	ds_write_b128 v1, v[45:48]
.LBB83_117:
	s_or_b32 exec_lo, exec_lo, s4
	s_waitcnt lgkmcnt(0)
	s_waitcnt_vscnt null, 0x0
	s_barrier
	buffer_gl0_inv
	s_clause 0x2f
	buffer_load_dword v3, off, s[0:3], 0 offset:168
	buffer_load_dword v4, off, s[0:3], 0 offset:172
	;; [unrolled: 1-line block ×48, first 2 shown]
	v_mov_b32_e32 v2, 0
	ds_read_b128 v[45:48], v2 offset:464
	ds_read_b128 v[49:52], v2 offset:480
	;; [unrolled: 1-line block ×3, first 2 shown]
	s_mov_b32 s4, exec_lo
	s_waitcnt vmcnt(46) lgkmcnt(2)
	v_mul_f64 v[103:104], v[47:48], v[3:4]
	v_mul_f64 v[3:4], v[45:46], v[3:4]
	s_waitcnt vmcnt(44) lgkmcnt(1)
	v_mul_f64 v[105:106], v[51:52], v[57:58]
	v_mul_f64 v[57:58], v[49:50], v[57:58]
	s_waitcnt vmcnt(42)
	v_fma_f64 v[103:104], v[45:46], v[59:60], -v[103:104]
	v_fma_f64 v[3:4], v[47:48], v[59:60], v[3:4]
	ds_read_b128 v[45:48], v2 offset:512
	s_waitcnt vmcnt(40) lgkmcnt(1)
	v_mul_f64 v[59:60], v[53:54], v[61:62]
	v_mul_f64 v[61:62], v[55:56], v[61:62]
	s_waitcnt vmcnt(38)
	v_fma_f64 v[105:106], v[49:50], v[63:64], -v[105:106]
	v_fma_f64 v[57:58], v[51:52], v[63:64], v[57:58]
	ds_read_b128 v[49:52], v2 offset:528
	s_waitcnt vmcnt(34) lgkmcnt(1)
	v_mul_f64 v[63:64], v[45:46], v[65:66]
	v_add_f64 v[103:104], v[103:104], 0
	v_add_f64 v[3:4], v[3:4], 0
	v_mul_f64 v[65:66], v[47:48], v[65:66]
	s_waitcnt vmcnt(32)
	v_fma_f64 v[61:62], v[53:54], v[71:72], -v[61:62]
	v_fma_f64 v[59:60], v[55:56], v[71:72], v[59:60]
	ds_read_b128 v[53:56], v2 offset:544
	s_waitcnt vmcnt(29)
	v_fma_f64 v[63:64], v[47:48], v[73:74], v[63:64]
	v_add_f64 v[103:104], v[103:104], v[105:106]
	v_add_f64 v[3:4], v[3:4], v[57:58]
	s_waitcnt lgkmcnt(1)
	v_mul_f64 v[57:58], v[49:50], v[67:68]
	v_mul_f64 v[67:68], v[51:52], v[67:68]
	v_fma_f64 v[65:66], v[45:46], v[73:74], -v[65:66]
	s_waitcnt vmcnt(25) lgkmcnt(0)
	v_mul_f64 v[71:72], v[55:56], v[75:76]
	ds_read_b128 v[45:48], v2 offset:560
	v_add_f64 v[61:62], v[103:104], v[61:62]
	v_add_f64 v[3:4], v[3:4], v[59:60]
	v_mul_f64 v[59:60], v[53:54], v[75:76]
	s_waitcnt vmcnt(24)
	v_fma_f64 v[67:68], v[49:50], v[69:70], -v[67:68]
	v_fma_f64 v[57:58], v[51:52], v[69:70], v[57:58]
	ds_read_b128 v[49:52], v2 offset:576
	s_waitcnt vmcnt(21)
	v_fma_f64 v[69:70], v[53:54], v[81:82], -v[71:72]
	v_add_f64 v[61:62], v[61:62], v[65:66]
	v_add_f64 v[3:4], v[3:4], v[63:64]
	s_waitcnt lgkmcnt(1)
	v_mul_f64 v[65:66], v[47:48], v[77:78]
	v_mul_f64 v[63:64], v[45:46], v[77:78]
	v_fma_f64 v[59:60], v[55:56], v[81:82], v[59:60]
	ds_read_b128 v[53:56], v2 offset:592
	v_add_f64 v[61:62], v[61:62], v[67:68]
	v_add_f64 v[3:4], v[3:4], v[57:58]
	s_waitcnt vmcnt(17) lgkmcnt(1)
	v_mul_f64 v[67:68], v[51:52], v[83:84]
	s_waitcnt vmcnt(16)
	v_fma_f64 v[65:66], v[45:46], v[79:80], -v[65:66]
	v_mul_f64 v[57:58], v[49:50], v[83:84]
	v_fma_f64 v[63:64], v[47:48], v[79:80], v[63:64]
	ds_read_b128 v[45:48], v2 offset:608
	v_add_f64 v[61:62], v[61:62], v[69:70]
	v_add_f64 v[3:4], v[3:4], v[59:60]
	s_waitcnt vmcnt(15) lgkmcnt(1)
	v_mul_f64 v[69:70], v[55:56], v[85:86]
	s_waitcnt vmcnt(13)
	v_fma_f64 v[67:68], v[49:50], v[89:90], -v[67:68]
	;; [unrolled: 9-line block ×3, first 2 shown]
	v_mul_f64 v[63:64], v[45:46], v[91:92]
	v_fma_f64 v[55:56], v[55:56], v[87:88], v[59:60]
	s_waitcnt vmcnt(7) lgkmcnt(0)
	v_mul_f64 v[59:60], v[51:52], v[93:94]
	v_add_f64 v[61:62], v[61:62], v[67:68]
	v_add_f64 v[3:4], v[3:4], v[57:58]
	s_waitcnt vmcnt(5)
	v_fma_f64 v[45:46], v[45:46], v[97:98], -v[65:66]
	v_mul_f64 v[57:58], v[49:50], v[93:94]
	v_fma_f64 v[47:48], v[47:48], v[97:98], v[63:64]
	s_waitcnt vmcnt(4)
	v_fma_f64 v[49:50], v[49:50], v[95:96], -v[59:60]
	v_add_f64 v[53:54], v[61:62], v[53:54]
	v_add_f64 v[3:4], v[3:4], v[55:56]
	v_fma_f64 v[51:52], v[51:52], v[95:96], v[57:58]
	v_add_f64 v[45:46], v[53:54], v[45:46]
	v_add_f64 v[3:4], v[3:4], v[47:48]
	;; [unrolled: 1-line block ×4, first 2 shown]
	s_waitcnt vmcnt(2)
	v_add_f64 v[45:46], v[99:100], -v[45:46]
	s_waitcnt vmcnt(0)
	v_add_f64 v[3:4], v[101:102], -v[3:4]
	buffer_store_dword v46, off, s[0:3], 0 offset:148
	buffer_store_dword v45, off, s[0:3], 0 offset:144
	;; [unrolled: 1-line block ×4, first 2 shown]
	v_cmpx_lt_u32_e32 7, v0
	s_cbranch_execz .LBB83_119
; %bb.118:
	v_mov_b32_e32 v3, s24
	s_clause 0x3
	buffer_load_dword v45, v3, s[0:3], 0 offen
	buffer_load_dword v46, v3, s[0:3], 0 offen offset:4
	buffer_load_dword v47, v3, s[0:3], 0 offen offset:8
	;; [unrolled: 1-line block ×3, first 2 shown]
	buffer_store_dword v2, off, s[0:3], 0 offset:128
	buffer_store_dword v2, off, s[0:3], 0 offset:132
	;; [unrolled: 1-line block ×4, first 2 shown]
	s_waitcnt vmcnt(0)
	ds_write_b128 v1, v[45:48]
.LBB83_119:
	s_or_b32 exec_lo, exec_lo, s4
	s_waitcnt lgkmcnt(0)
	s_waitcnt_vscnt null, 0x0
	s_barrier
	buffer_gl0_inv
	s_clause 0x2f
	buffer_load_dword v3, off, s[0:3], 0 offset:152
	buffer_load_dword v4, off, s[0:3], 0 offset:156
	;; [unrolled: 1-line block ×48, first 2 shown]
	ds_read_b128 v[45:48], v2 offset:448
	s_clause 0x3
	buffer_load_dword v103, off, s[0:3], 0 offset:128
	buffer_load_dword v104, off, s[0:3], 0 offset:132
	;; [unrolled: 1-line block ×4, first 2 shown]
	ds_read_b128 v[49:52], v2 offset:464
	ds_read_b128 v[53:56], v2 offset:480
	s_mov_b32 s4, exec_lo
	s_waitcnt vmcnt(50) lgkmcnt(2)
	v_mul_f64 v[107:108], v[47:48], v[3:4]
	v_mul_f64 v[3:4], v[45:46], v[3:4]
	s_waitcnt vmcnt(48) lgkmcnt(1)
	v_mul_f64 v[109:110], v[51:52], v[57:58]
	v_mul_f64 v[57:58], v[49:50], v[57:58]
	s_waitcnt vmcnt(46)
	v_fma_f64 v[107:108], v[45:46], v[59:60], -v[107:108]
	v_fma_f64 v[3:4], v[47:48], v[59:60], v[3:4]
	s_waitcnt vmcnt(44) lgkmcnt(0)
	v_mul_f64 v[59:60], v[53:54], v[61:62]
	v_mul_f64 v[61:62], v[55:56], v[61:62]
	s_waitcnt vmcnt(42)
	v_fma_f64 v[109:110], v[49:50], v[63:64], -v[109:110]
	ds_read_b128 v[45:48], v2 offset:496
	v_fma_f64 v[57:58], v[51:52], v[63:64], v[57:58]
	ds_read_b128 v[49:52], v2 offset:512
	v_add_f64 v[107:108], v[107:108], 0
	v_add_f64 v[3:4], v[3:4], 0
	s_waitcnt vmcnt(36)
	v_fma_f64 v[59:60], v[55:56], v[71:72], v[59:60]
	s_waitcnt lgkmcnt(1)
	v_mul_f64 v[63:64], v[45:46], v[65:66]
	v_mul_f64 v[65:66], v[47:48], v[65:66]
	v_fma_f64 v[61:62], v[53:54], v[71:72], -v[61:62]
	ds_read_b128 v[53:56], v2 offset:528
	v_add_f64 v[107:108], v[107:108], v[109:110]
	v_add_f64 v[3:4], v[3:4], v[57:58]
	s_waitcnt vmcnt(35) lgkmcnt(1)
	v_mul_f64 v[57:58], v[49:50], v[67:68]
	v_mul_f64 v[67:68], v[51:52], v[67:68]
	s_waitcnt vmcnt(33)
	v_fma_f64 v[65:66], v[45:46], v[73:74], -v[65:66]
	v_fma_f64 v[63:64], v[47:48], v[73:74], v[63:64]
	ds_read_b128 v[45:48], v2 offset:544
	s_waitcnt vmcnt(29) lgkmcnt(1)
	v_mul_f64 v[71:72], v[55:56], v[75:76]
	v_add_f64 v[61:62], v[107:108], v[61:62]
	v_add_f64 v[3:4], v[3:4], v[59:60]
	v_mul_f64 v[59:60], v[53:54], v[75:76]
	s_waitcnt vmcnt(28)
	v_fma_f64 v[67:68], v[49:50], v[69:70], -v[67:68]
	v_fma_f64 v[57:58], v[51:52], v[69:70], v[57:58]
	ds_read_b128 v[49:52], v2 offset:560
	s_waitcnt vmcnt(25)
	v_fma_f64 v[69:70], v[53:54], v[81:82], -v[71:72]
	v_add_f64 v[61:62], v[61:62], v[65:66]
	v_add_f64 v[3:4], v[3:4], v[63:64]
	s_waitcnt lgkmcnt(1)
	v_mul_f64 v[65:66], v[47:48], v[77:78]
	v_mul_f64 v[63:64], v[45:46], v[77:78]
	v_fma_f64 v[59:60], v[55:56], v[81:82], v[59:60]
	ds_read_b128 v[53:56], v2 offset:576
	v_add_f64 v[61:62], v[61:62], v[67:68]
	v_add_f64 v[3:4], v[3:4], v[57:58]
	s_waitcnt vmcnt(21) lgkmcnt(1)
	v_mul_f64 v[67:68], v[51:52], v[83:84]
	s_waitcnt vmcnt(20)
	v_fma_f64 v[65:66], v[45:46], v[79:80], -v[65:66]
	v_mul_f64 v[57:58], v[49:50], v[83:84]
	v_fma_f64 v[63:64], v[47:48], v[79:80], v[63:64]
	ds_read_b128 v[45:48], v2 offset:592
	v_add_f64 v[61:62], v[61:62], v[69:70]
	v_add_f64 v[3:4], v[3:4], v[59:60]
	s_waitcnt vmcnt(19) lgkmcnt(1)
	v_mul_f64 v[69:70], v[55:56], v[85:86]
	s_waitcnt vmcnt(17)
	v_fma_f64 v[67:68], v[49:50], v[89:90], -v[67:68]
	;; [unrolled: 9-line block ×4, first 2 shown]
	v_mul_f64 v[57:58], v[49:50], v[93:94]
	v_fma_f64 v[47:48], v[47:48], v[97:98], v[63:64]
	s_waitcnt vmcnt(7) lgkmcnt(0)
	v_mul_f64 v[63:64], v[55:56], v[99:100]
	v_add_f64 v[61:62], v[61:62], v[69:70]
	v_add_f64 v[2:3], v[3:4], v[59:60]
	s_waitcnt vmcnt(6)
	v_fma_f64 v[49:50], v[49:50], v[95:96], -v[67:68]
	v_mul_f64 v[59:60], v[53:54], v[99:100]
	v_fma_f64 v[51:52], v[51:52], v[95:96], v[57:58]
	v_add_f64 v[45:46], v[61:62], v[45:46]
	v_add_f64 v[2:3], v[2:3], v[47:48]
	s_waitcnt vmcnt(4)
	v_fma_f64 v[47:48], v[53:54], v[101:102], -v[63:64]
	v_add_f64 v[45:46], v[45:46], v[49:50]
	v_fma_f64 v[49:50], v[55:56], v[101:102], v[59:60]
	v_add_f64 v[2:3], v[2:3], v[51:52]
	v_add_f64 v[45:46], v[45:46], v[47:48]
	;; [unrolled: 1-line block ×3, first 2 shown]
	s_waitcnt vmcnt(2)
	v_add_f64 v[45:46], v[103:104], -v[45:46]
	s_waitcnt vmcnt(0)
	v_add_f64 v[2:3], v[105:106], -v[2:3]
	buffer_store_dword v46, off, s[0:3], 0 offset:132
	buffer_store_dword v45, off, s[0:3], 0 offset:128
	;; [unrolled: 1-line block ×4, first 2 shown]
	v_cmpx_lt_u32_e32 6, v0
	s_cbranch_execz .LBB83_121
; %bb.120:
	v_mov_b32_e32 v2, s25
	s_clause 0x3
	buffer_load_dword v45, v2, s[0:3], 0 offen
	buffer_load_dword v46, v2, s[0:3], 0 offen offset:4
	buffer_load_dword v47, v2, s[0:3], 0 offen offset:8
	;; [unrolled: 1-line block ×3, first 2 shown]
	v_mov_b32_e32 v2, 0
	buffer_store_dword v2, off, s[0:3], 0 offset:112
	buffer_store_dword v2, off, s[0:3], 0 offset:116
	;; [unrolled: 1-line block ×4, first 2 shown]
	s_waitcnt vmcnt(0)
	ds_write_b128 v1, v[45:48]
.LBB83_121:
	s_or_b32 exec_lo, exec_lo, s4
	s_waitcnt lgkmcnt(0)
	s_waitcnt_vscnt null, 0x0
	s_barrier
	buffer_gl0_inv
	s_clause 0x33
	buffer_load_dword v3, off, s[0:3], 0 offset:136
	buffer_load_dword v4, off, s[0:3], 0 offset:140
	;; [unrolled: 1-line block ×52, first 2 shown]
	v_mov_b32_e32 v2, 0
	ds_read_b128 v[45:48], v2 offset:432
	ds_read_b128 v[49:52], v2 offset:448
	s_clause 0x3
	buffer_load_dword v109, off, s[0:3], 0 offset:112
	buffer_load_dword v110, off, s[0:3], 0 offset:116
	;; [unrolled: 1-line block ×4, first 2 shown]
	ds_read_b128 v[53:56], v2 offset:464
	s_mov_b32 s4, exec_lo
	s_waitcnt vmcnt(54) lgkmcnt(2)
	v_mul_f64 v[107:108], v[47:48], v[3:4]
	v_mul_f64 v[3:4], v[45:46], v[3:4]
	s_waitcnt vmcnt(52) lgkmcnt(1)
	v_mul_f64 v[113:114], v[51:52], v[57:58]
	v_mul_f64 v[57:58], v[49:50], v[57:58]
	s_waitcnt vmcnt(50)
	v_fma_f64 v[107:108], v[45:46], v[59:60], -v[107:108]
	v_fma_f64 v[3:4], v[47:48], v[59:60], v[3:4]
	ds_read_b128 v[45:48], v2 offset:480
	s_waitcnt vmcnt(48) lgkmcnt(1)
	v_mul_f64 v[59:60], v[53:54], v[61:62]
	v_mul_f64 v[61:62], v[55:56], v[61:62]
	s_waitcnt vmcnt(46)
	v_fma_f64 v[113:114], v[49:50], v[63:64], -v[113:114]
	v_fma_f64 v[57:58], v[51:52], v[63:64], v[57:58]
	ds_read_b128 v[49:52], v2 offset:496
	s_waitcnt vmcnt(42) lgkmcnt(1)
	v_mul_f64 v[63:64], v[45:46], v[65:66]
	v_add_f64 v[107:108], v[107:108], 0
	v_add_f64 v[3:4], v[3:4], 0
	v_mul_f64 v[65:66], v[47:48], v[65:66]
	s_waitcnt vmcnt(40)
	v_fma_f64 v[61:62], v[53:54], v[71:72], -v[61:62]
	v_fma_f64 v[59:60], v[55:56], v[71:72], v[59:60]
	ds_read_b128 v[53:56], v2 offset:512
	s_waitcnt vmcnt(37)
	v_fma_f64 v[63:64], v[47:48], v[73:74], v[63:64]
	v_add_f64 v[107:108], v[107:108], v[113:114]
	v_add_f64 v[3:4], v[3:4], v[57:58]
	s_waitcnt lgkmcnt(1)
	v_mul_f64 v[57:58], v[49:50], v[67:68]
	v_mul_f64 v[67:68], v[51:52], v[67:68]
	v_fma_f64 v[65:66], v[45:46], v[73:74], -v[65:66]
	s_waitcnt vmcnt(33) lgkmcnt(0)
	v_mul_f64 v[71:72], v[55:56], v[75:76]
	ds_read_b128 v[45:48], v2 offset:528
	v_add_f64 v[61:62], v[107:108], v[61:62]
	v_add_f64 v[3:4], v[3:4], v[59:60]
	v_mul_f64 v[59:60], v[53:54], v[75:76]
	s_waitcnt vmcnt(32)
	v_fma_f64 v[67:68], v[49:50], v[69:70], -v[67:68]
	v_fma_f64 v[57:58], v[51:52], v[69:70], v[57:58]
	ds_read_b128 v[49:52], v2 offset:544
	s_waitcnt vmcnt(29)
	v_fma_f64 v[69:70], v[53:54], v[81:82], -v[71:72]
	v_add_f64 v[61:62], v[61:62], v[65:66]
	v_add_f64 v[3:4], v[3:4], v[63:64]
	s_waitcnt lgkmcnt(1)
	v_mul_f64 v[65:66], v[47:48], v[77:78]
	v_mul_f64 v[63:64], v[45:46], v[77:78]
	v_fma_f64 v[59:60], v[55:56], v[81:82], v[59:60]
	ds_read_b128 v[53:56], v2 offset:560
	v_add_f64 v[61:62], v[61:62], v[67:68]
	v_add_f64 v[3:4], v[3:4], v[57:58]
	s_waitcnt vmcnt(25) lgkmcnt(1)
	v_mul_f64 v[67:68], v[51:52], v[83:84]
	s_waitcnt vmcnt(24)
	v_fma_f64 v[65:66], v[45:46], v[79:80], -v[65:66]
	v_mul_f64 v[57:58], v[49:50], v[83:84]
	v_fma_f64 v[63:64], v[47:48], v[79:80], v[63:64]
	ds_read_b128 v[45:48], v2 offset:576
	v_add_f64 v[61:62], v[61:62], v[69:70]
	v_add_f64 v[3:4], v[3:4], v[59:60]
	s_waitcnt vmcnt(23) lgkmcnt(1)
	v_mul_f64 v[69:70], v[55:56], v[85:86]
	s_waitcnt vmcnt(21)
	v_fma_f64 v[67:68], v[49:50], v[89:90], -v[67:68]
	;; [unrolled: 9-line block ×5, first 2 shown]
	v_mul_f64 v[59:60], v[53:54], v[99:100]
	v_fma_f64 v[51:52], v[51:52], v[95:96], v[57:58]
	s_waitcnt vmcnt(7) lgkmcnt(0)
	v_mul_f64 v[57:58], v[45:46], v[101:102]
	v_add_f64 v[61:62], v[61:62], v[65:66]
	v_add_f64 v[3:4], v[3:4], v[63:64]
	v_mul_f64 v[63:64], v[47:48], v[101:102]
	s_waitcnt vmcnt(5)
	v_fma_f64 v[53:54], v[53:54], v[105:106], -v[69:70]
	v_fma_f64 v[55:56], v[55:56], v[105:106], v[59:60]
	s_waitcnt vmcnt(4)
	v_fma_f64 v[47:48], v[47:48], v[103:104], v[57:58]
	v_add_f64 v[49:50], v[61:62], v[49:50]
	v_add_f64 v[3:4], v[3:4], v[51:52]
	v_fma_f64 v[45:46], v[45:46], v[103:104], -v[63:64]
	v_add_f64 v[49:50], v[49:50], v[53:54]
	v_add_f64 v[3:4], v[3:4], v[55:56]
	;; [unrolled: 1-line block ×4, first 2 shown]
	s_waitcnt vmcnt(2)
	v_add_f64 v[45:46], v[109:110], -v[45:46]
	s_waitcnt vmcnt(0)
	v_add_f64 v[3:4], v[111:112], -v[3:4]
	buffer_store_dword v46, off, s[0:3], 0 offset:116
	buffer_store_dword v45, off, s[0:3], 0 offset:112
	;; [unrolled: 1-line block ×4, first 2 shown]
	v_cmpx_lt_u32_e32 5, v0
	s_cbranch_execz .LBB83_123
; %bb.122:
	v_mov_b32_e32 v3, s26
	s_clause 0x3
	buffer_load_dword v45, v3, s[0:3], 0 offen
	buffer_load_dword v46, v3, s[0:3], 0 offen offset:4
	buffer_load_dword v47, v3, s[0:3], 0 offen offset:8
	;; [unrolled: 1-line block ×3, first 2 shown]
	buffer_store_dword v2, off, s[0:3], 0 offset:96
	buffer_store_dword v2, off, s[0:3], 0 offset:100
	;; [unrolled: 1-line block ×4, first 2 shown]
	s_waitcnt vmcnt(0)
	ds_write_b128 v1, v[45:48]
.LBB83_123:
	s_or_b32 exec_lo, exec_lo, s4
	s_waitcnt lgkmcnt(0)
	s_waitcnt_vscnt null, 0x0
	s_barrier
	buffer_gl0_inv
	s_clause 0x35
	buffer_load_dword v3, off, s[0:3], 0 offset:120
	buffer_load_dword v4, off, s[0:3], 0 offset:124
	;; [unrolled: 1-line block ×54, first 2 shown]
	ds_read_b128 v[45:48], v2 offset:416
	s_clause 0x1
	buffer_load_dword v110, off, s[0:3], 0 offset:324
	buffer_load_dword v109, off, s[0:3], 0 offset:320
	ds_read_b128 v[49:52], v2 offset:432
	ds_read_b128 v[53:56], v2 offset:448
	s_mov_b32 s4, exec_lo
	s_waitcnt vmcnt(54) lgkmcnt(2)
	v_mul_f64 v[111:112], v[47:48], v[3:4]
	v_mul_f64 v[3:4], v[45:46], v[3:4]
	s_waitcnt vmcnt(52) lgkmcnt(1)
	v_mul_f64 v[113:114], v[51:52], v[57:58]
	v_mul_f64 v[57:58], v[49:50], v[57:58]
	;; [unrolled: 3-line block ×3, first 2 shown]
	v_fma_f64 v[111:112], v[45:46], v[59:60], -v[111:112]
	v_fma_f64 v[3:4], v[47:48], v[59:60], v[3:4]
	s_clause 0x3
	buffer_load_dword v59, off, s[0:3], 0 offset:96
	buffer_load_dword v60, off, s[0:3], 0 offset:100
	;; [unrolled: 1-line block ×4, first 2 shown]
	s_waitcnt vmcnt(50)
	v_fma_f64 v[113:114], v[49:50], v[63:64], -v[113:114]
	ds_read_b128 v[45:48], v2 offset:464
	v_fma_f64 v[57:58], v[51:52], v[63:64], v[57:58]
	ds_read_b128 v[49:52], v2 offset:480
	s_waitcnt vmcnt(44)
	v_fma_f64 v[61:62], v[53:54], v[71:72], -v[61:62]
	v_fma_f64 v[71:72], v[55:56], v[71:72], v[117:118]
	ds_read_b128 v[53:56], v2 offset:496
	v_add_f64 v[111:112], v[111:112], 0
	v_add_f64 v[3:4], v[3:4], 0
	s_waitcnt lgkmcnt(2)
	v_mul_f64 v[63:64], v[45:46], v[65:66]
	v_mul_f64 v[65:66], v[47:48], v[65:66]
	v_add_f64 v[111:112], v[111:112], v[113:114]
	v_add_f64 v[3:4], v[3:4], v[57:58]
	s_waitcnt vmcnt(43) lgkmcnt(1)
	v_mul_f64 v[57:58], v[49:50], v[67:68]
	v_mul_f64 v[67:68], v[51:52], v[67:68]
	s_waitcnt vmcnt(41)
	v_fma_f64 v[65:66], v[45:46], v[73:74], -v[65:66]
	v_fma_f64 v[63:64], v[47:48], v[73:74], v[63:64]
	ds_read_b128 v[45:48], v2 offset:512
	s_waitcnt vmcnt(37) lgkmcnt(1)
	v_mul_f64 v[73:74], v[55:56], v[75:76]
	v_add_f64 v[61:62], v[111:112], v[61:62]
	v_add_f64 v[3:4], v[3:4], v[71:72]
	v_mul_f64 v[71:72], v[53:54], v[75:76]
	s_waitcnt vmcnt(36)
	v_fma_f64 v[67:68], v[49:50], v[69:70], -v[67:68]
	v_fma_f64 v[57:58], v[51:52], v[69:70], v[57:58]
	ds_read_b128 v[49:52], v2 offset:528
	s_waitcnt vmcnt(33)
	v_fma_f64 v[69:70], v[53:54], v[81:82], -v[73:74]
	v_add_f64 v[61:62], v[61:62], v[65:66]
	v_add_f64 v[3:4], v[3:4], v[63:64]
	s_waitcnt lgkmcnt(1)
	v_mul_f64 v[65:66], v[47:48], v[77:78]
	v_mul_f64 v[63:64], v[45:46], v[77:78]
	v_add_f64 v[61:62], v[61:62], v[67:68]
	v_fma_f64 v[67:68], v[55:56], v[81:82], v[71:72]
	v_add_f64 v[3:4], v[3:4], v[57:58]
	ds_read_b128 v[53:56], v2 offset:544
	s_waitcnt vmcnt(29) lgkmcnt(1)
	v_mul_f64 v[71:72], v[51:52], v[83:84]
	s_waitcnt vmcnt(28)
	v_fma_f64 v[65:66], v[45:46], v[79:80], -v[65:66]
	v_mul_f64 v[57:58], v[49:50], v[83:84]
	v_fma_f64 v[63:64], v[47:48], v[79:80], v[63:64]
	ds_read_b128 v[45:48], v2 offset:560
	v_add_f64 v[61:62], v[61:62], v[69:70]
	s_waitcnt vmcnt(27) lgkmcnt(1)
	v_mul_f64 v[69:70], v[55:56], v[85:86]
	v_add_f64 v[3:4], v[3:4], v[67:68]
	v_mul_f64 v[67:68], v[53:54], v[85:86]
	s_waitcnt vmcnt(25)
	v_fma_f64 v[71:72], v[49:50], v[89:90], -v[71:72]
	v_fma_f64 v[57:58], v[51:52], v[89:90], v[57:58]
	ds_read_b128 v[49:52], v2 offset:576
	v_add_f64 v[61:62], v[61:62], v[65:66]
	s_waitcnt vmcnt(21) lgkmcnt(1)
	v_mul_f64 v[65:66], v[47:48], v[91:92]
	v_add_f64 v[3:4], v[3:4], v[63:64]
	s_waitcnt vmcnt(20)
	v_fma_f64 v[69:70], v[53:54], v[87:88], -v[69:70]
	v_mul_f64 v[63:64], v[45:46], v[91:92]
	v_fma_f64 v[67:68], v[55:56], v[87:88], v[67:68]
	ds_read_b128 v[53:56], v2 offset:592
	v_add_f64 v[61:62], v[61:62], v[71:72]
	s_waitcnt vmcnt(19) lgkmcnt(1)
	v_mul_f64 v[71:72], v[51:52], v[93:94]
	v_add_f64 v[3:4], v[3:4], v[57:58]
	s_waitcnt vmcnt(17)
	v_fma_f64 v[65:66], v[45:46], v[97:98], -v[65:66]
	v_mul_f64 v[57:58], v[49:50], v[93:94]
	;; [unrolled: 9-line block ×4, first 2 shown]
	v_fma_f64 v[55:56], v[55:56], v[105:106], v[67:68]
	s_waitcnt vmcnt(7) lgkmcnt(0)
	v_mul_f64 v[67:68], v[51:52], v[107:108]
	v_add_f64 v[61:62], v[61:62], v[71:72]
	s_waitcnt vmcnt(6)
	v_fma_f64 v[45:46], v[45:46], v[103:104], -v[65:66]
	v_add_f64 v[2:3], v[3:4], v[57:58]
	v_mul_f64 v[57:58], v[49:50], v[107:108]
	v_fma_f64 v[47:48], v[47:48], v[103:104], v[63:64]
	s_waitcnt vmcnt(4)
	v_fma_f64 v[49:50], v[49:50], v[109:110], -v[67:68]
	v_add_f64 v[53:54], v[61:62], v[53:54]
	v_add_f64 v[2:3], v[2:3], v[55:56]
	v_fma_f64 v[51:52], v[51:52], v[109:110], v[57:58]
	v_add_f64 v[45:46], v[53:54], v[45:46]
	v_add_f64 v[2:3], v[2:3], v[47:48]
	;; [unrolled: 1-line block ×4, first 2 shown]
	s_waitcnt vmcnt(2)
	v_add_f64 v[45:46], v[59:60], -v[45:46]
	s_waitcnt vmcnt(0)
	v_add_f64 v[2:3], v[115:116], -v[2:3]
	buffer_store_dword v46, off, s[0:3], 0 offset:100
	buffer_store_dword v45, off, s[0:3], 0 offset:96
	;; [unrolled: 1-line block ×4, first 2 shown]
	v_cmpx_lt_u32_e32 4, v0
	s_cbranch_execz .LBB83_125
; %bb.124:
	v_mov_b32_e32 v2, s27
	s_clause 0x3
	buffer_load_dword v45, v2, s[0:3], 0 offen
	buffer_load_dword v46, v2, s[0:3], 0 offen offset:4
	buffer_load_dword v47, v2, s[0:3], 0 offen offset:8
	;; [unrolled: 1-line block ×3, first 2 shown]
	v_mov_b32_e32 v2, 0
	buffer_store_dword v2, off, s[0:3], 0 offset:80
	buffer_store_dword v2, off, s[0:3], 0 offset:84
	buffer_store_dword v2, off, s[0:3], 0 offset:88
	buffer_store_dword v2, off, s[0:3], 0 offset:92
	s_waitcnt vmcnt(0)
	ds_write_b128 v1, v[45:48]
.LBB83_125:
	s_or_b32 exec_lo, exec_lo, s4
	s_waitcnt lgkmcnt(0)
	s_waitcnt_vscnt null, 0x0
	s_barrier
	buffer_gl0_inv
	s_clause 0x37
	buffer_load_dword v3, off, s[0:3], 0 offset:104
	buffer_load_dword v4, off, s[0:3], 0 offset:108
	;; [unrolled: 1-line block ×56, first 2 shown]
	v_mov_b32_e32 v2, 0
	s_mov_b32 s4, exec_lo
	ds_read_b128 v[45:48], v2 offset:400
	s_clause 0x2
	buffer_load_dword v110, off, s[0:3], 0 offset:332
	buffer_load_dword v114, off, s[0:3], 0 offset:308
	;; [unrolled: 1-line block ×3, first 2 shown]
	ds_read_b128 v[49:52], v2 offset:416
	ds_read_b128 v[53:56], v2 offset:432
	buffer_load_dword v112, off, s[0:3], 0 offset:324
	s_waitcnt vmcnt(58) lgkmcnt(2)
	v_mul_f64 v[115:116], v[47:48], v[3:4]
	v_mul_f64 v[3:4], v[45:46], v[3:4]
	s_waitcnt vmcnt(56) lgkmcnt(1)
	v_mul_f64 v[117:118], v[51:52], v[57:58]
	v_mul_f64 v[57:58], v[49:50], v[57:58]
	s_waitcnt vmcnt(54)
	v_fma_f64 v[115:116], v[45:46], v[59:60], -v[115:116]
	v_fma_f64 v[3:4], v[47:48], v[59:60], v[3:4]
	s_waitcnt vmcnt(52) lgkmcnt(0)
	v_mul_f64 v[59:60], v[53:54], v[61:62]
	v_mul_f64 v[61:62], v[55:56], v[61:62]
	s_waitcnt vmcnt(50)
	v_fma_f64 v[117:118], v[49:50], v[63:64], -v[117:118]
	ds_read_b128 v[45:48], v2 offset:448
	v_fma_f64 v[57:58], v[51:52], v[63:64], v[57:58]
	s_clause 0x3
	buffer_load_dword v63, off, s[0:3], 0 offset:80
	buffer_load_dword v64, off, s[0:3], 0 offset:84
	;; [unrolled: 1-line block ×4, first 2 shown]
	ds_read_b128 v[49:52], v2 offset:464
	v_add_f64 v[115:116], v[115:116], 0
	v_add_f64 v[3:4], v[3:4], 0
	s_waitcnt vmcnt(48)
	v_fma_f64 v[59:60], v[55:56], v[71:72], v[59:60]
	s_waitcnt lgkmcnt(1)
	v_mul_f64 v[121:122], v[45:46], v[65:66]
	v_mul_f64 v[65:66], v[47:48], v[65:66]
	v_fma_f64 v[61:62], v[53:54], v[71:72], -v[61:62]
	ds_read_b128 v[53:56], v2 offset:480
	v_add_f64 v[115:116], v[115:116], v[117:118]
	v_add_f64 v[3:4], v[3:4], v[57:58]
	s_waitcnt vmcnt(47) lgkmcnt(1)
	v_mul_f64 v[57:58], v[49:50], v[67:68]
	v_mul_f64 v[67:68], v[51:52], v[67:68]
	s_waitcnt vmcnt(45)
	v_fma_f64 v[65:66], v[45:46], v[73:74], -v[65:66]
	v_fma_f64 v[71:72], v[47:48], v[73:74], v[121:122]
	s_waitcnt vmcnt(41) lgkmcnt(0)
	v_mul_f64 v[73:74], v[55:56], v[75:76]
	ds_read_b128 v[45:48], v2 offset:496
	v_add_f64 v[61:62], v[115:116], v[61:62]
	v_add_f64 v[3:4], v[3:4], v[59:60]
	v_mul_f64 v[59:60], v[53:54], v[75:76]
	s_waitcnt vmcnt(40)
	v_fma_f64 v[67:68], v[49:50], v[69:70], -v[67:68]
	v_fma_f64 v[57:58], v[51:52], v[69:70], v[57:58]
	ds_read_b128 v[49:52], v2 offset:512
	s_waitcnt vmcnt(39) lgkmcnt(1)
	v_mul_f64 v[69:70], v[47:48], v[77:78]
	v_add_f64 v[61:62], v[61:62], v[65:66]
	v_add_f64 v[3:4], v[3:4], v[71:72]
	s_waitcnt vmcnt(37)
	v_fma_f64 v[71:72], v[53:54], v[81:82], -v[73:74]
	v_mul_f64 v[65:66], v[45:46], v[77:78]
	v_fma_f64 v[59:60], v[55:56], v[81:82], v[59:60]
	ds_read_b128 v[53:56], v2 offset:528
	s_waitcnt vmcnt(32)
	v_fma_f64 v[69:70], v[45:46], v[79:80], -v[69:70]
	v_add_f64 v[61:62], v[61:62], v[67:68]
	v_add_f64 v[3:4], v[3:4], v[57:58]
	s_waitcnt lgkmcnt(1)
	v_mul_f64 v[67:68], v[51:52], v[83:84]
	v_mul_f64 v[57:58], v[49:50], v[83:84]
	v_fma_f64 v[65:66], v[47:48], v[79:80], v[65:66]
	ds_read_b128 v[45:48], v2 offset:544
	v_add_f64 v[61:62], v[61:62], v[71:72]
	v_add_f64 v[3:4], v[3:4], v[59:60]
	s_waitcnt vmcnt(31) lgkmcnt(1)
	v_mul_f64 v[71:72], v[55:56], v[85:86]
	s_waitcnt vmcnt(29)
	v_fma_f64 v[67:68], v[49:50], v[89:90], -v[67:68]
	v_mul_f64 v[59:60], v[53:54], v[85:86]
	v_fma_f64 v[57:58], v[51:52], v[89:90], v[57:58]
	ds_read_b128 v[49:52], v2 offset:560
	v_add_f64 v[61:62], v[61:62], v[69:70]
	v_add_f64 v[3:4], v[3:4], v[65:66]
	s_waitcnt vmcnt(25) lgkmcnt(1)
	v_mul_f64 v[69:70], v[47:48], v[91:92]
	s_waitcnt vmcnt(24)
	v_fma_f64 v[71:72], v[53:54], v[87:88], -v[71:72]
	;; [unrolled: 9-line block ×6, first 2 shown]
	v_mul_f64 v[57:58], v[49:50], v[107:108]
	v_fma_f64 v[47:48], v[47:48], v[103:104], v[65:66]
	s_waitcnt vmcnt(7) lgkmcnt(0)
	v_mul_f64 v[65:66], v[55:56], v[109:110]
	v_add_f64 v[61:62], v[61:62], v[71:72]
	v_add_f64 v[3:4], v[3:4], v[59:60]
	s_waitcnt vmcnt(5)
	v_fma_f64 v[49:50], v[49:50], v[113:114], -v[67:68]
	v_mul_f64 v[59:60], v[53:54], v[109:110]
	v_fma_f64 v[51:52], v[51:52], v[113:114], v[57:58]
	v_add_f64 v[45:46], v[61:62], v[45:46]
	v_add_f64 v[3:4], v[3:4], v[47:48]
	s_waitcnt vmcnt(4)
	v_fma_f64 v[47:48], v[53:54], v[111:112], -v[65:66]
	v_add_f64 v[45:46], v[45:46], v[49:50]
	v_fma_f64 v[49:50], v[55:56], v[111:112], v[59:60]
	v_add_f64 v[3:4], v[3:4], v[51:52]
	v_add_f64 v[45:46], v[45:46], v[47:48]
	;; [unrolled: 1-line block ×3, first 2 shown]
	s_waitcnt vmcnt(2)
	v_add_f64 v[45:46], v[63:64], -v[45:46]
	s_waitcnt vmcnt(0)
	v_add_f64 v[3:4], v[119:120], -v[3:4]
	buffer_store_dword v46, off, s[0:3], 0 offset:84
	buffer_store_dword v45, off, s[0:3], 0 offset:80
	;; [unrolled: 1-line block ×4, first 2 shown]
	v_cmpx_lt_u32_e32 3, v0
	s_cbranch_execz .LBB83_127
; %bb.126:
	v_mov_b32_e32 v3, s28
	s_clause 0x3
	buffer_load_dword v45, v3, s[0:3], 0 offen
	buffer_load_dword v46, v3, s[0:3], 0 offen offset:4
	buffer_load_dword v47, v3, s[0:3], 0 offen offset:8
	;; [unrolled: 1-line block ×3, first 2 shown]
	buffer_store_dword v2, off, s[0:3], 0 offset:64
	buffer_store_dword v2, off, s[0:3], 0 offset:68
	buffer_store_dword v2, off, s[0:3], 0 offset:72
	buffer_store_dword v2, off, s[0:3], 0 offset:76
	s_waitcnt vmcnt(0)
	ds_write_b128 v1, v[45:48]
.LBB83_127:
	s_or_b32 exec_lo, exec_lo, s4
	s_waitcnt lgkmcnt(0)
	s_waitcnt_vscnt null, 0x0
	s_barrier
	buffer_gl0_inv
	s_clause 0x37
	buffer_load_dword v3, off, s[0:3], 0 offset:88
	buffer_load_dword v4, off, s[0:3], 0 offset:92
	;; [unrolled: 1-line block ×56, first 2 shown]
	ds_read_b128 v[45:48], v2 offset:384
	s_clause 0x2
	buffer_load_dword v110, off, s[0:3], 0 offset:316
	buffer_load_dword v114, off, s[0:3], 0 offset:292
	;; [unrolled: 1-line block ×3, first 2 shown]
	ds_read_b128 v[49:52], v2 offset:400
	s_clause 0x2
	buffer_load_dword v118, off, s[0:3], 0 offset:332
	buffer_load_dword v117, off, s[0:3], 0 offset:328
	;; [unrolled: 1-line block ×3, first 2 shown]
	ds_read_b128 v[53:56], v2 offset:416
	s_mov_b32 s4, exec_lo
	s_waitcnt vmcnt(60) lgkmcnt(2)
	v_mul_f64 v[115:116], v[47:48], v[3:4]
	v_mul_f64 v[3:4], v[45:46], v[3:4]
	s_waitcnt vmcnt(58) lgkmcnt(1)
	v_mul_f64 v[119:120], v[51:52], v[57:58]
	v_mul_f64 v[57:58], v[49:50], v[57:58]
	s_waitcnt vmcnt(54) lgkmcnt(0)
	v_mul_f64 v[121:122], v[53:54], v[61:62]
	v_mul_f64 v[61:62], v[55:56], v[61:62]
	v_fma_f64 v[115:116], v[45:46], v[59:60], -v[115:116]
	v_fma_f64 v[3:4], v[47:48], v[59:60], v[3:4]
	s_clause 0x1
	buffer_load_dword v60, off, s[0:3], 0 offset:324
	buffer_load_dword v59, off, s[0:3], 0 offset:320
	s_waitcnt vmcnt(54)
	v_fma_f64 v[119:120], v[49:50], v[63:64], -v[119:120]
	ds_read_b128 v[45:48], v2 offset:432
	v_fma_f64 v[57:58], v[51:52], v[63:64], v[57:58]
	ds_read_b128 v[49:52], v2 offset:448
	s_waitcnt vmcnt(48)
	v_fma_f64 v[61:62], v[53:54], v[71:72], -v[61:62]
	v_fma_f64 v[71:72], v[55:56], v[71:72], v[121:122]
	v_add_f64 v[115:116], v[115:116], 0
	v_add_f64 v[3:4], v[3:4], 0
	s_waitcnt lgkmcnt(1)
	v_mul_f64 v[63:64], v[45:46], v[65:66]
	v_mul_f64 v[65:66], v[47:48], v[65:66]
	s_waitcnt vmcnt(47) lgkmcnt(0)
	v_mul_f64 v[121:122], v[49:50], v[67:68]
	v_mul_f64 v[67:68], v[51:52], v[67:68]
	v_add_f64 v[115:116], v[115:116], v[119:120]
	v_add_f64 v[3:4], v[3:4], v[57:58]
	s_clause 0x3
	buffer_load_dword v57, off, s[0:3], 0 offset:64
	buffer_load_dword v58, off, s[0:3], 0 offset:68
	;; [unrolled: 1-line block ×4, first 2 shown]
	s_waitcnt vmcnt(49)
	v_fma_f64 v[65:66], v[45:46], v[73:74], -v[65:66]
	ds_read_b128 v[53:56], v2 offset:464
	v_fma_f64 v[63:64], v[47:48], v[73:74], v[63:64]
	ds_read_b128 v[45:48], v2 offset:480
	s_waitcnt vmcnt(44)
	v_fma_f64 v[67:68], v[49:50], v[69:70], -v[67:68]
	v_add_f64 v[61:62], v[115:116], v[61:62]
	v_add_f64 v[3:4], v[3:4], v[71:72]
	s_waitcnt lgkmcnt(1)
	v_mul_f64 v[73:74], v[55:56], v[75:76]
	v_mul_f64 v[71:72], v[53:54], v[75:76]
	v_add_f64 v[61:62], v[61:62], v[65:66]
	v_fma_f64 v[65:66], v[51:52], v[69:70], v[121:122]
	v_add_f64 v[3:4], v[3:4], v[63:64]
	s_waitcnt vmcnt(43) lgkmcnt(0)
	v_mul_f64 v[69:70], v[47:48], v[77:78]
	s_waitcnt vmcnt(41)
	v_fma_f64 v[73:74], v[53:54], v[81:82], -v[73:74]
	ds_read_b128 v[49:52], v2 offset:496
	v_mul_f64 v[63:64], v[45:46], v[77:78]
	v_add_f64 v[61:62], v[61:62], v[67:68]
	v_fma_f64 v[67:68], v[55:56], v[81:82], v[71:72]
	v_add_f64 v[3:4], v[3:4], v[65:66]
	ds_read_b128 v[53:56], v2 offset:512
	s_waitcnt vmcnt(37) lgkmcnt(1)
	v_mul_f64 v[71:72], v[51:52], v[83:84]
	s_waitcnt vmcnt(36)
	v_fma_f64 v[69:70], v[45:46], v[79:80], -v[69:70]
	v_mul_f64 v[65:66], v[49:50], v[83:84]
	v_fma_f64 v[63:64], v[47:48], v[79:80], v[63:64]
	ds_read_b128 v[45:48], v2 offset:528
	v_add_f64 v[61:62], v[61:62], v[73:74]
	s_waitcnt vmcnt(35) lgkmcnt(1)
	v_mul_f64 v[73:74], v[55:56], v[85:86]
	v_add_f64 v[3:4], v[3:4], v[67:68]
	v_mul_f64 v[67:68], v[53:54], v[85:86]
	s_waitcnt vmcnt(33)
	v_fma_f64 v[71:72], v[49:50], v[89:90], -v[71:72]
	v_fma_f64 v[65:66], v[51:52], v[89:90], v[65:66]
	ds_read_b128 v[49:52], v2 offset:544
	v_add_f64 v[61:62], v[61:62], v[69:70]
	s_waitcnt vmcnt(29) lgkmcnt(1)
	v_mul_f64 v[69:70], v[47:48], v[91:92]
	v_add_f64 v[3:4], v[3:4], v[63:64]
	s_waitcnt vmcnt(28)
	v_fma_f64 v[73:74], v[53:54], v[87:88], -v[73:74]
	v_mul_f64 v[63:64], v[45:46], v[91:92]
	v_fma_f64 v[67:68], v[55:56], v[87:88], v[67:68]
	ds_read_b128 v[53:56], v2 offset:560
	v_add_f64 v[61:62], v[61:62], v[71:72]
	s_waitcnt vmcnt(27) lgkmcnt(1)
	v_mul_f64 v[71:72], v[51:52], v[93:94]
	v_add_f64 v[3:4], v[3:4], v[65:66]
	s_waitcnt vmcnt(25)
	v_fma_f64 v[69:70], v[45:46], v[97:98], -v[69:70]
	v_mul_f64 v[65:66], v[49:50], v[93:94]
	;; [unrolled: 9-line block ×6, first 2 shown]
	v_fma_f64 v[51:52], v[51:52], v[113:114], v[65:66]
	s_waitcnt vmcnt(7) lgkmcnt(0)
	v_mul_f64 v[65:66], v[47:48], v[117:118]
	v_add_f64 v[61:62], v[61:62], v[69:70]
	s_waitcnt vmcnt(6)
	v_fma_f64 v[53:54], v[53:54], v[111:112], -v[73:74]
	v_add_f64 v[2:3], v[3:4], v[63:64]
	v_mul_f64 v[63:64], v[45:46], v[117:118]
	v_fma_f64 v[55:56], v[55:56], v[111:112], v[67:68]
	v_add_f64 v[49:50], v[61:62], v[49:50]
	v_add_f64 v[2:3], v[2:3], v[51:52]
	s_waitcnt vmcnt(4)
	v_fma_f64 v[45:46], v[45:46], v[59:60], -v[65:66]
	v_fma_f64 v[47:48], v[47:48], v[59:60], v[63:64]
	v_add_f64 v[49:50], v[49:50], v[53:54]
	v_add_f64 v[2:3], v[2:3], v[55:56]
	;; [unrolled: 1-line block ×4, first 2 shown]
	s_waitcnt vmcnt(2)
	v_add_f64 v[45:46], v[57:58], -v[45:46]
	s_waitcnt vmcnt(0)
	v_add_f64 v[2:3], v[119:120], -v[2:3]
	buffer_store_dword v46, off, s[0:3], 0 offset:68
	buffer_store_dword v45, off, s[0:3], 0 offset:64
	;; [unrolled: 1-line block ×4, first 2 shown]
	v_cmpx_lt_u32_e32 2, v0
	s_cbranch_execz .LBB83_129
; %bb.128:
	v_mov_b32_e32 v2, s29
	s_clause 0x3
	buffer_load_dword v45, v2, s[0:3], 0 offen
	buffer_load_dword v46, v2, s[0:3], 0 offen offset:4
	buffer_load_dword v47, v2, s[0:3], 0 offen offset:8
	;; [unrolled: 1-line block ×3, first 2 shown]
	v_mov_b32_e32 v2, 0
	buffer_store_dword v2, off, s[0:3], 0 offset:48
	buffer_store_dword v2, off, s[0:3], 0 offset:52
	;; [unrolled: 1-line block ×4, first 2 shown]
	s_waitcnt vmcnt(0)
	ds_write_b128 v1, v[45:48]
.LBB83_129:
	s_or_b32 exec_lo, exec_lo, s4
	s_waitcnt lgkmcnt(0)
	s_waitcnt_vscnt null, 0x0
	s_barrier
	buffer_gl0_inv
	s_clause 0x37
	buffer_load_dword v3, off, s[0:3], 0 offset:72
	buffer_load_dword v4, off, s[0:3], 0 offset:76
	;; [unrolled: 1-line block ×56, first 2 shown]
	v_mov_b32_e32 v2, 0
	s_mov_b32 s4, exec_lo
	ds_read_b128 v[45:48], v2 offset:368
	s_clause 0x2
	buffer_load_dword v110, off, s[0:3], 0 offset:300
	buffer_load_dword v114, off, s[0:3], 0 offset:276
	;; [unrolled: 1-line block ×3, first 2 shown]
	ds_read_b128 v[49:52], v2 offset:384
	s_clause 0x4
	buffer_load_dword v118, off, s[0:3], 0 offset:316
	buffer_load_dword v119, off, s[0:3], 0 offset:328
	;; [unrolled: 1-line block ×5, first 2 shown]
	ds_read_b128 v[53:56], v2 offset:400
	s_waitcnt vmcnt(62) lgkmcnt(2)
	v_mul_f64 v[115:116], v[47:48], v[3:4]
	v_mul_f64 v[3:4], v[45:46], v[3:4]
	s_waitcnt vmcnt(60) lgkmcnt(1)
	v_mul_f64 v[122:123], v[51:52], v[57:58]
	v_mul_f64 v[57:58], v[49:50], v[57:58]
	;; [unrolled: 3-line block ×3, first 2 shown]
	v_fma_f64 v[115:116], v[45:46], v[59:60], -v[115:116]
	v_fma_f64 v[3:4], v[47:48], v[59:60], v[3:4]
	s_clause 0x2
	buffer_load_dword v120, off, s[0:3], 0 offset:332
	buffer_load_dword v60, off, s[0:3], 0 offset:308
	;; [unrolled: 1-line block ×3, first 2 shown]
	s_waitcnt vmcnt(57)
	v_fma_f64 v[126:127], v[49:50], v[63:64], -v[122:123]
	ds_read_b128 v[45:48], v2 offset:416
	v_fma_f64 v[57:58], v[51:52], v[63:64], v[57:58]
	buffer_load_dword v122, off, s[0:3], 0 offset:324
	ds_read_b128 v[49:52], v2 offset:432
	s_waitcnt vmcnt(52)
	v_fma_f64 v[61:62], v[53:54], v[71:72], -v[61:62]
	v_fma_f64 v[71:72], v[55:56], v[71:72], v[124:125]
	ds_read_b128 v[53:56], v2 offset:448
	v_add_f64 v[115:116], v[115:116], 0
	v_add_f64 v[3:4], v[3:4], 0
	s_waitcnt lgkmcnt(2)
	v_mul_f64 v[63:64], v[45:46], v[65:66]
	v_mul_f64 v[65:66], v[47:48], v[65:66]
	v_add_f64 v[115:116], v[115:116], v[126:127]
	v_add_f64 v[3:4], v[3:4], v[57:58]
	s_waitcnt vmcnt(51) lgkmcnt(1)
	v_mul_f64 v[57:58], v[49:50], v[67:68]
	v_mul_f64 v[67:68], v[51:52], v[67:68]
	s_waitcnt vmcnt(49)
	v_fma_f64 v[65:66], v[45:46], v[73:74], -v[65:66]
	v_fma_f64 v[63:64], v[47:48], v[73:74], v[63:64]
	v_add_f64 v[61:62], v[115:116], v[61:62]
	v_add_f64 v[3:4], v[3:4], v[71:72]
	s_clause 0x3
	buffer_load_dword v71, off, s[0:3], 0 offset:48
	buffer_load_dword v72, off, s[0:3], 0 offset:52
	;; [unrolled: 1-line block ×4, first 2 shown]
	s_waitcnt vmcnt(49) lgkmcnt(0)
	v_mul_f64 v[115:116], v[53:54], v[75:76]
	v_mul_f64 v[75:76], v[55:56], v[75:76]
	s_waitcnt vmcnt(48)
	v_fma_f64 v[67:68], v[49:50], v[69:70], -v[67:68]
	ds_read_b128 v[45:48], v2 offset:464
	v_fma_f64 v[57:58], v[51:52], v[69:70], v[57:58]
	ds_read_b128 v[49:52], v2 offset:480
	v_add_f64 v[61:62], v[61:62], v[65:66]
	v_add_f64 v[3:4], v[3:4], v[63:64]
	s_waitcnt vmcnt(47) lgkmcnt(1)
	v_mul_f64 v[65:66], v[47:48], v[77:78]
	s_waitcnt vmcnt(45)
	v_fma_f64 v[69:70], v[53:54], v[81:82], -v[75:76]
	v_mul_f64 v[63:64], v[45:46], v[77:78]
	s_waitcnt vmcnt(41) lgkmcnt(0)
	v_mul_f64 v[75:76], v[51:52], v[83:84]
	v_add_f64 v[61:62], v[61:62], v[67:68]
	v_fma_f64 v[67:68], v[55:56], v[81:82], v[115:116]
	v_add_f64 v[3:4], v[3:4], v[57:58]
	ds_read_b128 v[53:56], v2 offset:496
	s_waitcnt vmcnt(40)
	v_fma_f64 v[65:66], v[45:46], v[79:80], -v[65:66]
	v_mul_f64 v[57:58], v[49:50], v[83:84]
	v_fma_f64 v[63:64], v[47:48], v[79:80], v[63:64]
	ds_read_b128 v[45:48], v2 offset:512
	s_waitcnt vmcnt(37)
	v_fma_f64 v[75:76], v[49:50], v[89:90], -v[75:76]
	v_add_f64 v[61:62], v[61:62], v[69:70]
	s_waitcnt lgkmcnt(1)
	v_mul_f64 v[69:70], v[55:56], v[85:86]
	v_add_f64 v[3:4], v[3:4], v[67:68]
	v_mul_f64 v[67:68], v[53:54], v[85:86]
	v_fma_f64 v[57:58], v[51:52], v[89:90], v[57:58]
	ds_read_b128 v[49:52], v2 offset:528
	v_add_f64 v[61:62], v[61:62], v[65:66]
	s_waitcnt vmcnt(33) lgkmcnt(1)
	v_mul_f64 v[65:66], v[47:48], v[91:92]
	v_add_f64 v[3:4], v[3:4], v[63:64]
	s_waitcnt vmcnt(32)
	v_fma_f64 v[69:70], v[53:54], v[87:88], -v[69:70]
	v_mul_f64 v[63:64], v[45:46], v[91:92]
	v_fma_f64 v[67:68], v[55:56], v[87:88], v[67:68]
	ds_read_b128 v[53:56], v2 offset:544
	v_add_f64 v[61:62], v[61:62], v[75:76]
	s_waitcnt vmcnt(31) lgkmcnt(1)
	v_mul_f64 v[75:76], v[51:52], v[93:94]
	v_add_f64 v[3:4], v[3:4], v[57:58]
	s_waitcnt vmcnt(29)
	v_fma_f64 v[65:66], v[45:46], v[97:98], -v[65:66]
	;; [unrolled: 9-line block ×7, first 2 shown]
	v_mul_f64 v[63:64], v[45:46], v[117:118]
	v_fma_f64 v[55:56], v[55:56], v[111:112], v[67:68]
	v_add_f64 v[61:62], v[61:62], v[75:76]
	v_add_f64 v[3:4], v[3:4], v[57:58]
	s_waitcnt vmcnt(7) lgkmcnt(0)
	v_mul_f64 v[67:68], v[51:52], v[119:120]
	v_mul_f64 v[57:58], v[49:50], v[119:120]
	s_waitcnt vmcnt(5)
	v_fma_f64 v[45:46], v[45:46], v[59:60], -v[65:66]
	v_fma_f64 v[47:48], v[47:48], v[59:60], v[63:64]
	v_add_f64 v[53:54], v[61:62], v[53:54]
	v_add_f64 v[3:4], v[3:4], v[55:56]
	s_waitcnt vmcnt(4)
	v_fma_f64 v[49:50], v[49:50], v[121:122], -v[67:68]
	v_fma_f64 v[51:52], v[51:52], v[121:122], v[57:58]
	v_add_f64 v[45:46], v[53:54], v[45:46]
	v_add_f64 v[3:4], v[3:4], v[47:48]
	;; [unrolled: 1-line block ×4, first 2 shown]
	s_waitcnt vmcnt(2)
	v_add_f64 v[45:46], v[71:72], -v[45:46]
	s_waitcnt vmcnt(0)
	v_add_f64 v[3:4], v[73:74], -v[3:4]
	buffer_store_dword v46, off, s[0:3], 0 offset:52
	buffer_store_dword v45, off, s[0:3], 0 offset:48
	;; [unrolled: 1-line block ×4, first 2 shown]
	v_cmpx_lt_u32_e32 1, v0
	s_cbranch_execz .LBB83_131
; %bb.130:
	v_mov_b32_e32 v3, s30
	s_clause 0x3
	buffer_load_dword v45, v3, s[0:3], 0 offen
	buffer_load_dword v46, v3, s[0:3], 0 offen offset:4
	buffer_load_dword v47, v3, s[0:3], 0 offen offset:8
	;; [unrolled: 1-line block ×3, first 2 shown]
	buffer_store_dword v2, off, s[0:3], 0 offset:32
	buffer_store_dword v2, off, s[0:3], 0 offset:36
	;; [unrolled: 1-line block ×4, first 2 shown]
	s_waitcnt vmcnt(0)
	ds_write_b128 v1, v[45:48]
.LBB83_131:
	s_or_b32 exec_lo, exec_lo, s4
	s_waitcnt lgkmcnt(0)
	s_waitcnt_vscnt null, 0x0
	s_barrier
	buffer_gl0_inv
	s_clause 0x37
	buffer_load_dword v3, off, s[0:3], 0 offset:56
	buffer_load_dword v4, off, s[0:3], 0 offset:60
	;; [unrolled: 1-line block ×56, first 2 shown]
	ds_read_b128 v[45:48], v2 offset:352
	s_clause 0x2
	buffer_load_dword v110, off, s[0:3], 0 offset:284
	buffer_load_dword v114, off, s[0:3], 0 offset:260
	;; [unrolled: 1-line block ×3, first 2 shown]
	ds_read_b128 v[49:52], v2 offset:368
	s_clause 0x4
	buffer_load_dword v118, off, s[0:3], 0 offset:300
	buffer_load_dword v119, off, s[0:3], 0 offset:312
	;; [unrolled: 1-line block ×5, first 2 shown]
	ds_read_b128 v[53:56], v2 offset:384
	s_mov_b32 s4, exec_lo
	s_waitcnt vmcnt(62) lgkmcnt(2)
	v_mul_f64 v[115:116], v[47:48], v[3:4]
	v_mul_f64 v[3:4], v[45:46], v[3:4]
	s_waitcnt vmcnt(60) lgkmcnt(1)
	v_mul_f64 v[122:123], v[51:52], v[57:58]
	v_mul_f64 v[57:58], v[49:50], v[57:58]
	;; [unrolled: 3-line block ×3, first 2 shown]
	v_fma_f64 v[115:116], v[45:46], v[59:60], -v[115:116]
	v_fma_f64 v[3:4], v[47:48], v[59:60], v[3:4]
	s_clause 0x2
	buffer_load_dword v120, off, s[0:3], 0 offset:316
	buffer_load_dword v60, off, s[0:3], 0 offset:292
	;; [unrolled: 1-line block ×3, first 2 shown]
	s_waitcnt vmcnt(57)
	v_fma_f64 v[126:127], v[49:50], v[63:64], -v[122:123]
	ds_read_b128 v[45:48], v2 offset:400
	v_fma_f64 v[57:58], v[51:52], v[63:64], v[57:58]
	s_clause 0x2
	buffer_load_dword v64, off, s[0:3], 0 offset:332
	buffer_load_dword v63, off, s[0:3], 0 offset:328
	;; [unrolled: 1-line block ×3, first 2 shown]
	s_waitcnt vmcnt(54)
	v_fma_f64 v[61:62], v[53:54], v[71:72], -v[61:62]
	ds_read_b128 v[49:52], v2 offset:416
	v_fma_f64 v[71:72], v[55:56], v[71:72], v[124:125]
	v_add_f64 v[115:116], v[115:116], 0
	v_add_f64 v[3:4], v[3:4], 0
	s_waitcnt lgkmcnt(1)
	v_mul_f64 v[128:129], v[45:46], v[65:66]
	v_mul_f64 v[65:66], v[47:48], v[65:66]
	s_waitcnt vmcnt(53) lgkmcnt(0)
	v_mul_f64 v[123:124], v[49:50], v[67:68]
	v_mul_f64 v[67:68], v[51:52], v[67:68]
	v_add_f64 v[115:116], v[115:116], v[126:127]
	v_add_f64 v[3:4], v[3:4], v[57:58]
	s_clause 0x1
	buffer_load_dword v58, off, s[0:3], 0 offset:324
	buffer_load_dword v57, off, s[0:3], 0 offset:320
	s_waitcnt vmcnt(53)
	v_fma_f64 v[65:66], v[45:46], v[73:74], -v[65:66]
	ds_read_b128 v[53:56], v2 offset:432
	v_fma_f64 v[73:74], v[47:48], v[73:74], v[128:129]
	ds_read_b128 v[45:48], v2 offset:448
	s_waitcnt vmcnt(48)
	v_fma_f64 v[67:68], v[49:50], v[69:70], -v[67:68]
	v_add_f64 v[61:62], v[115:116], v[61:62]
	v_add_f64 v[3:4], v[3:4], v[71:72]
	s_waitcnt lgkmcnt(1)
	v_mul_f64 v[71:72], v[53:54], v[75:76]
	v_mul_f64 v[75:76], v[55:56], v[75:76]
	s_waitcnt vmcnt(47) lgkmcnt(0)
	v_mul_f64 v[115:116], v[45:46], v[77:78]
	v_mul_f64 v[77:78], v[47:48], v[77:78]
	v_add_f64 v[61:62], v[61:62], v[65:66]
	v_fma_f64 v[65:66], v[51:52], v[69:70], v[123:124]
	v_add_f64 v[3:4], v[3:4], v[73:74]
	s_clause 0x3
	buffer_load_dword v69, off, s[0:3], 0 offset:32
	buffer_load_dword v70, off, s[0:3], 0 offset:36
	;; [unrolled: 1-line block ×4, first 2 shown]
	s_waitcnt vmcnt(49)
	v_fma_f64 v[75:76], v[53:54], v[81:82], -v[75:76]
	ds_read_b128 v[49:52], v2 offset:464
	s_waitcnt vmcnt(44)
	v_fma_f64 v[77:78], v[45:46], v[79:80], -v[77:78]
	v_add_f64 v[61:62], v[61:62], v[67:68]
	v_fma_f64 v[67:68], v[55:56], v[81:82], v[71:72]
	v_add_f64 v[3:4], v[3:4], v[65:66]
	ds_read_b128 v[53:56], v2 offset:480
	s_waitcnt lgkmcnt(1)
	v_mul_f64 v[71:72], v[51:52], v[83:84]
	v_mul_f64 v[65:66], v[49:50], v[83:84]
	v_add_f64 v[61:62], v[61:62], v[75:76]
	v_fma_f64 v[75:76], v[47:48], v[79:80], v[115:116]
	v_add_f64 v[3:4], v[3:4], v[67:68]
	s_waitcnt vmcnt(43) lgkmcnt(0)
	v_mul_f64 v[79:80], v[55:56], v[85:86]
	s_waitcnt vmcnt(41)
	v_fma_f64 v[71:72], v[49:50], v[89:90], -v[71:72]
	ds_read_b128 v[45:48], v2 offset:496
	v_mul_f64 v[67:68], v[53:54], v[85:86]
	v_fma_f64 v[65:66], v[51:52], v[89:90], v[65:66]
	ds_read_b128 v[49:52], v2 offset:512
	v_add_f64 v[61:62], v[61:62], v[77:78]
	v_add_f64 v[3:4], v[3:4], v[75:76]
	s_waitcnt vmcnt(37) lgkmcnt(1)
	v_mul_f64 v[77:78], v[47:48], v[91:92]
	s_waitcnt vmcnt(36)
	v_fma_f64 v[79:80], v[53:54], v[87:88], -v[79:80]
	v_mul_f64 v[75:76], v[45:46], v[91:92]
	v_fma_f64 v[67:68], v[55:56], v[87:88], v[67:68]
	ds_read_b128 v[53:56], v2 offset:528
	v_add_f64 v[61:62], v[61:62], v[71:72]
	s_waitcnt vmcnt(35) lgkmcnt(1)
	v_mul_f64 v[71:72], v[51:52], v[93:94]
	v_add_f64 v[3:4], v[3:4], v[65:66]
	s_waitcnt vmcnt(33)
	v_fma_f64 v[77:78], v[45:46], v[97:98], -v[77:78]
	v_mul_f64 v[65:66], v[49:50], v[93:94]
	v_fma_f64 v[75:76], v[47:48], v[97:98], v[75:76]
	ds_read_b128 v[45:48], v2 offset:544
	v_add_f64 v[61:62], v[61:62], v[79:80]
	s_waitcnt vmcnt(29) lgkmcnt(1)
	v_mul_f64 v[79:80], v[55:56], v[99:100]
	v_add_f64 v[3:4], v[3:4], v[67:68]
	;; [unrolled: 9-line block ×6, first 2 shown]
	s_waitcnt vmcnt(12)
	v_fma_f64 v[79:80], v[53:54], v[111:112], -v[79:80]
	v_mul_f64 v[75:76], v[45:46], v[117:118]
	v_fma_f64 v[67:68], v[55:56], v[111:112], v[67:68]
	ds_read_b128 v[53:56], v2 offset:624
	v_add_f64 v[61:62], v[61:62], v[71:72]
	v_add_f64 v[3:4], v[3:4], v[65:66]
	s_waitcnt vmcnt(11) lgkmcnt(1)
	v_mul_f64 v[71:72], v[51:52], v[119:120]
	v_mul_f64 v[65:66], v[49:50], v[119:120]
	s_waitcnt vmcnt(9)
	v_fma_f64 v[45:46], v[45:46], v[59:60], -v[77:78]
	v_fma_f64 v[47:48], v[47:48], v[59:60], v[75:76]
	s_waitcnt vmcnt(7) lgkmcnt(0)
	v_mul_f64 v[59:60], v[53:54], v[63:64]
	v_mul_f64 v[63:64], v[55:56], v[63:64]
	v_add_f64 v[61:62], v[61:62], v[79:80]
	v_add_f64 v[2:3], v[3:4], v[67:68]
	s_waitcnt vmcnt(6)
	v_fma_f64 v[49:50], v[49:50], v[121:122], -v[71:72]
	v_fma_f64 v[51:52], v[51:52], v[121:122], v[65:66]
	v_add_f64 v[45:46], v[61:62], v[45:46]
	v_add_f64 v[2:3], v[2:3], v[47:48]
	s_waitcnt vmcnt(4)
	v_fma_f64 v[47:48], v[53:54], v[57:58], -v[63:64]
	v_add_f64 v[45:46], v[45:46], v[49:50]
	v_fma_f64 v[49:50], v[55:56], v[57:58], v[59:60]
	v_add_f64 v[2:3], v[2:3], v[51:52]
	v_add_f64 v[45:46], v[45:46], v[47:48]
	;; [unrolled: 1-line block ×3, first 2 shown]
	s_waitcnt vmcnt(2)
	v_add_f64 v[45:46], v[69:70], -v[45:46]
	s_waitcnt vmcnt(0)
	v_add_f64 v[2:3], v[73:74], -v[2:3]
	buffer_store_dword v46, off, s[0:3], 0 offset:36
	buffer_store_dword v45, off, s[0:3], 0 offset:32
	;; [unrolled: 1-line block ×4, first 2 shown]
	v_cmpx_ne_u32_e32 0, v0
	s_cbranch_execz .LBB83_133
; %bb.132:
	s_clause 0x3
	buffer_load_dword v45, off, s[0:3], 0 offset:16
	buffer_load_dword v46, off, s[0:3], 0 offset:20
	;; [unrolled: 1-line block ×4, first 2 shown]
	v_mov_b32_e32 v0, 0
	buffer_store_dword v0, off, s[0:3], 0 offset:16
	buffer_store_dword v0, off, s[0:3], 0 offset:20
	;; [unrolled: 1-line block ×4, first 2 shown]
	s_waitcnt vmcnt(0)
	ds_write_b128 v1, v[45:48]
.LBB83_133:
	s_or_b32 exec_lo, exec_lo, s4
	s_waitcnt lgkmcnt(0)
	s_waitcnt_vscnt null, 0x0
	s_barrier
	buffer_gl0_inv
	s_clause 0x37
	buffer_load_dword v49, off, s[0:3], 0 offset:40
	buffer_load_dword v50, off, s[0:3], 0 offset:44
	buffer_load_dword v53, off, s[0:3], 0 offset:56
	buffer_load_dword v54, off, s[0:3], 0 offset:60
	buffer_load_dword v55, off, s[0:3], 0 offset:32
	buffer_load_dword v56, off, s[0:3], 0 offset:36
	buffer_load_dword v57, off, s[0:3], 0 offset:72
	buffer_load_dword v58, off, s[0:3], 0 offset:76
	buffer_load_dword v59, off, s[0:3], 0 offset:48
	buffer_load_dword v60, off, s[0:3], 0 offset:52
	buffer_load_dword v62, off, s[0:3], 0 offset:92
	buffer_load_dword v63, off, s[0:3], 0 offset:104
	buffer_load_dword v65, off, s[0:3], 0 offset:96
	buffer_load_dword v61, off, s[0:3], 0 offset:88
	buffer_load_dword v67, off, s[0:3], 0 offset:64
	buffer_load_dword v68, off, s[0:3], 0 offset:68
	buffer_load_dword v64, off, s[0:3], 0 offset:108
	buffer_load_dword v70, off, s[0:3], 0 offset:84
	buffer_load_dword v69, off, s[0:3], 0 offset:80
	buffer_load_dword v72, off, s[0:3], 0 offset:124
	buffer_load_dword v73, off, s[0:3], 0 offset:136
	buffer_load_dword v75, off, s[0:3], 0 offset:128
	buffer_load_dword v71, off, s[0:3], 0 offset:120
	buffer_load_dword v66, off, s[0:3], 0 offset:100
	buffer_load_dword v74, off, s[0:3], 0 offset:140
	buffer_load_dword v78, off, s[0:3], 0 offset:116
	buffer_load_dword v77, off, s[0:3], 0 offset:112
	buffer_load_dword v80, off, s[0:3], 0 offset:156
	buffer_load_dword v81, off, s[0:3], 0 offset:168
	buffer_load_dword v83, off, s[0:3], 0 offset:160
	buffer_load_dword v79, off, s[0:3], 0 offset:152
	buffer_load_dword v76, off, s[0:3], 0 offset:132
	buffer_load_dword v82, off, s[0:3], 0 offset:172
	buffer_load_dword v86, off, s[0:3], 0 offset:148
	buffer_load_dword v85, off, s[0:3], 0 offset:144
	buffer_load_dword v88, off, s[0:3], 0 offset:188
	buffer_load_dword v89, off, s[0:3], 0 offset:200
	buffer_load_dword v91, off, s[0:3], 0 offset:192
	buffer_load_dword v87, off, s[0:3], 0 offset:184
	buffer_load_dword v84, off, s[0:3], 0 offset:164
	buffer_load_dword v90, off, s[0:3], 0 offset:204
	buffer_load_dword v94, off, s[0:3], 0 offset:180
	buffer_load_dword v93, off, s[0:3], 0 offset:176
	buffer_load_dword v96, off, s[0:3], 0 offset:220
	buffer_load_dword v97, off, s[0:3], 0 offset:232
	buffer_load_dword v99, off, s[0:3], 0 offset:224
	buffer_load_dword v95, off, s[0:3], 0 offset:216
	buffer_load_dword v92, off, s[0:3], 0 offset:196
	buffer_load_dword v98, off, s[0:3], 0 offset:236
	buffer_load_dword v102, off, s[0:3], 0 offset:212
	buffer_load_dword v101, off, s[0:3], 0 offset:208
	buffer_load_dword v104, off, s[0:3], 0 offset:252
	buffer_load_dword v105, off, s[0:3], 0 offset:264
	buffer_load_dword v107, off, s[0:3], 0 offset:256
	buffer_load_dword v103, off, s[0:3], 0 offset:248
	buffer_load_dword v100, off, s[0:3], 0 offset:228
	v_mov_b32_e32 v0, 0
	s_and_b32 vcc_lo, exec_lo, s31
	ds_read_b128 v[1:4], v0 offset:336
	s_clause 0x2
	buffer_load_dword v106, off, s[0:3], 0 offset:268
	buffer_load_dword v110, off, s[0:3], 0 offset:244
	;; [unrolled: 1-line block ×3, first 2 shown]
	ds_read_b128 v[45:48], v0 offset:352
	s_clause 0x4
	buffer_load_dword v116, off, s[0:3], 0 offset:284
	buffer_load_dword v117, off, s[0:3], 0 offset:296
	;; [unrolled: 1-line block ×5, first 2 shown]
	s_waitcnt vmcnt(62) lgkmcnt(1)
	v_mul_f64 v[111:112], v[3:4], v[49:50]
	v_mul_f64 v[113:114], v[1:2], v[49:50]
	s_waitcnt vmcnt(60) lgkmcnt(0)
	v_mul_f64 v[120:121], v[47:48], v[53:54]
	ds_read_b128 v[49:52], v0 offset:368
	v_mul_f64 v[53:54], v[45:46], v[53:54]
	s_waitcnt vmcnt(58)
	v_fma_f64 v[111:112], v[1:2], v[55:56], -v[111:112]
	v_fma_f64 v[55:56], v[3:4], v[55:56], v[113:114]
	s_clause 0x2
	buffer_load_dword v118, off, s[0:3], 0 offset:300
	buffer_load_dword v114, off, s[0:3], 0 offset:276
	;; [unrolled: 1-line block ×3, first 2 shown]
	s_waitcnt vmcnt(59) lgkmcnt(0)
	v_mul_f64 v[122:123], v[49:50], v[57:58]
	v_mul_f64 v[57:58], v[51:52], v[57:58]
	s_waitcnt vmcnt(57)
	v_fma_f64 v[124:125], v[45:46], v[59:60], -v[120:121]
	ds_read_b128 v[1:4], v0 offset:384
	v_fma_f64 v[53:54], v[47:48], v[59:60], v[53:54]
	s_clause 0x4
	buffer_load_dword v60, off, s[0:3], 0 offset:316
	buffer_load_dword v121, off, s[0:3], 0 offset:328
	;; [unrolled: 1-line block ×5, first 2 shown]
	ds_read_b128 v[45:48], v0 offset:400
	v_add_f64 v[111:112], v[111:112], 0
	v_add_f64 v[55:56], v[55:56], 0
	s_waitcnt vmcnt(58) lgkmcnt(1)
	v_mul_f64 v[127:128], v[1:2], v[61:62]
	v_mul_f64 v[61:62], v[3:4], v[61:62]
	s_waitcnt vmcnt(56)
	v_fma_f64 v[57:58], v[49:50], v[67:68], -v[57:58]
	v_fma_f64 v[67:68], v[51:52], v[67:68], v[122:123]
	v_add_f64 v[111:112], v[111:112], v[124:125]
	v_add_f64 v[53:54], v[55:56], v[53:54]
	s_clause 0x2
	buffer_load_dword v122, off, s[0:3], 0 offset:332
	buffer_load_dword v56, off, s[0:3], 0 offset:308
	;; [unrolled: 1-line block ×3, first 2 shown]
	s_waitcnt vmcnt(58) lgkmcnt(0)
	v_mul_f64 v[123:124], v[45:46], v[63:64]
	v_mul_f64 v[63:64], v[47:48], v[63:64]
	s_waitcnt vmcnt(56)
	v_fma_f64 v[61:62], v[1:2], v[69:70], -v[61:62]
	ds_read_b128 v[49:52], v0 offset:416
	v_fma_f64 v[69:70], v[3:4], v[69:70], v[127:128]
	buffer_load_dword v127, off, s[0:3], 0 offset:324
	ds_read_b128 v[1:4], v0 offset:432
	v_add_f64 v[57:58], v[111:112], v[57:58]
	v_add_f64 v[53:54], v[53:54], v[67:68]
	s_waitcnt vmcnt(53) lgkmcnt(1)
	v_mul_f64 v[67:68], v[49:50], v[71:72]
	v_mul_f64 v[71:72], v[51:52], v[71:72]
	s_waitcnt vmcnt(52)
	v_fma_f64 v[63:64], v[45:46], v[65:66], -v[63:64]
	v_add_f64 v[57:58], v[57:58], v[61:62]
	v_fma_f64 v[61:62], v[47:48], v[65:66], v[123:124]
	v_add_f64 v[53:54], v[53:54], v[69:70]
	s_waitcnt vmcnt(51) lgkmcnt(0)
	v_mul_f64 v[69:70], v[3:4], v[73:74]
	ds_read_b128 v[45:48], v0 offset:448
	s_waitcnt vmcnt(49)
	v_fma_f64 v[71:72], v[49:50], v[77:78], -v[71:72]
	v_mul_f64 v[65:66], v[1:2], v[73:74]
	v_add_f64 v[57:58], v[57:58], v[63:64]
	v_fma_f64 v[63:64], v[51:52], v[77:78], v[67:68]
	v_add_f64 v[53:54], v[53:54], v[61:62]
	s_clause 0x3
	buffer_load_dword v61, off, s[0:3], 0 offset:16
	buffer_load_dword v62, off, s[0:3], 0 offset:20
	;; [unrolled: 1-line block ×4, first 2 shown]
	s_waitcnt vmcnt(49) lgkmcnt(0)
	v_mul_f64 v[77:78], v[47:48], v[79:80]
	s_waitcnt vmcnt(48)
	v_fma_f64 v[69:70], v[1:2], v[75:76], -v[69:70]
	ds_read_b128 v[49:52], v0 offset:464
	v_mul_f64 v[73:74], v[45:46], v[79:80]
	v_fma_f64 v[65:66], v[3:4], v[75:76], v[65:66]
	ds_read_b128 v[1:4], v0 offset:480
	v_add_f64 v[57:58], v[57:58], v[71:72]
	v_add_f64 v[53:54], v[53:54], v[63:64]
	s_waitcnt vmcnt(47) lgkmcnt(1)
	v_mul_f64 v[71:72], v[51:52], v[81:82]
	s_waitcnt vmcnt(45)
	v_fma_f64 v[75:76], v[45:46], v[85:86], -v[77:78]
	v_mul_f64 v[63:64], v[49:50], v[81:82]
	v_add_f64 v[57:58], v[57:58], v[69:70]
	v_fma_f64 v[69:70], v[47:48], v[85:86], v[73:74]
	v_add_f64 v[53:54], v[53:54], v[65:66]
	s_waitcnt vmcnt(41) lgkmcnt(0)
	v_mul_f64 v[73:74], v[3:4], v[87:88]
	s_waitcnt vmcnt(40)
	v_fma_f64 v[71:72], v[49:50], v[83:84], -v[71:72]
	ds_read_b128 v[45:48], v0 offset:496
	v_mul_f64 v[65:66], v[1:2], v[87:88]
	v_fma_f64 v[63:64], v[51:52], v[83:84], v[63:64]
	ds_read_b128 v[49:52], v0 offset:512
	v_add_f64 v[57:58], v[57:58], v[75:76]
	v_add_f64 v[53:54], v[53:54], v[69:70]
	s_waitcnt vmcnt(39) lgkmcnt(1)
	v_mul_f64 v[75:76], v[47:48], v[89:90]
	s_waitcnt vmcnt(37)
	v_fma_f64 v[73:74], v[1:2], v[93:94], -v[73:74]
	v_mul_f64 v[69:70], v[45:46], v[89:90]
	v_fma_f64 v[65:66], v[3:4], v[93:94], v[65:66]
	ds_read_b128 v[1:4], v0 offset:528
	v_add_f64 v[57:58], v[57:58], v[71:72]
	s_waitcnt vmcnt(33) lgkmcnt(1)
	v_mul_f64 v[71:72], v[51:52], v[95:96]
	v_add_f64 v[53:54], v[53:54], v[63:64]
	s_waitcnt vmcnt(32)
	v_fma_f64 v[75:76], v[45:46], v[91:92], -v[75:76]
	v_mul_f64 v[63:64], v[49:50], v[95:96]
	v_fma_f64 v[69:70], v[47:48], v[91:92], v[69:70]
	ds_read_b128 v[45:48], v0 offset:544
	v_add_f64 v[57:58], v[57:58], v[73:74]
	s_waitcnt vmcnt(31) lgkmcnt(1)
	v_mul_f64 v[73:74], v[3:4], v[97:98]
	v_add_f64 v[53:54], v[53:54], v[65:66]
	;; [unrolled: 9-line block ×5, first 2 shown]
	s_waitcnt vmcnt(16)
	v_fma_f64 v[71:72], v[49:50], v[107:108], -v[71:72]
	v_mul_f64 v[65:66], v[1:2], v[115:116]
	v_fma_f64 v[63:64], v[51:52], v[107:108], v[63:64]
	ds_read_b128 v[49:52], v0 offset:608
	v_add_f64 v[57:58], v[57:58], v[75:76]
	v_add_f64 v[53:54], v[53:54], v[69:70]
	s_waitcnt vmcnt(15) lgkmcnt(1)
	v_mul_f64 v[75:76], v[47:48], v[117:118]
	v_mul_f64 v[69:70], v[45:46], v[117:118]
	s_waitcnt vmcnt(13)
	v_fma_f64 v[73:74], v[1:2], v[113:114], -v[73:74]
	v_fma_f64 v[65:66], v[3:4], v[113:114], v[65:66]
	ds_read_b128 v[1:4], v0 offset:624
	v_add_f64 v[57:58], v[57:58], v[71:72]
	v_add_f64 v[53:54], v[53:54], v[63:64]
	s_waitcnt vmcnt(9) lgkmcnt(1)
	v_mul_f64 v[63:64], v[49:50], v[59:60]
	v_mul_f64 v[59:60], v[51:52], v[59:60]
	s_waitcnt vmcnt(8)
	v_fma_f64 v[45:46], v[45:46], v[119:120], -v[75:76]
	v_fma_f64 v[47:48], v[47:48], v[119:120], v[69:70]
	v_add_f64 v[57:58], v[57:58], v[73:74]
	v_add_f64 v[53:54], v[53:54], v[65:66]
	s_waitcnt vmcnt(7) lgkmcnt(0)
	v_mul_f64 v[69:70], v[3:4], v[121:122]
	v_mul_f64 v[65:66], v[1:2], v[121:122]
	s_waitcnt vmcnt(5)
	v_fma_f64 v[49:50], v[49:50], v[55:56], -v[59:60]
	v_fma_f64 v[51:52], v[51:52], v[55:56], v[63:64]
	v_add_f64 v[45:46], v[57:58], v[45:46]
	v_add_f64 v[47:48], v[53:54], v[47:48]
	s_waitcnt vmcnt(4)
	v_fma_f64 v[1:2], v[1:2], v[126:127], -v[69:70]
	v_fma_f64 v[3:4], v[3:4], v[126:127], v[65:66]
	v_add_f64 v[45:46], v[45:46], v[49:50]
	v_add_f64 v[47:48], v[47:48], v[51:52]
	;; [unrolled: 1-line block ×4, first 2 shown]
	s_waitcnt vmcnt(2)
	v_add_f64 v[1:2], v[61:62], -v[1:2]
	s_waitcnt vmcnt(0)
	v_add_f64 v[3:4], v[67:68], -v[3:4]
	buffer_store_dword v2, off, s[0:3], 0 offset:20
	buffer_store_dword v1, off, s[0:3], 0 offset:16
	buffer_store_dword v4, off, s[0:3], 0 offset:28
	buffer_store_dword v3, off, s[0:3], 0 offset:24
	s_cbranch_vccz .LBB83_172
; %bb.134:
	global_load_dword v0, v0, s[12:13] offset:72
	s_waitcnt vmcnt(0)
	v_add_nc_u32_e32 v0, -1, v0
	v_cmp_ne_u32_e32 vcc_lo, 18, v0
	s_cbranch_vccz .LBB83_136
; %bb.135:
	v_lshlrev_b32_e32 v0, 4, v0
	v_mov_b32_e32 v1, s9
	v_add_nc_u32_e32 v0, 16, v0
	s_clause 0x7
	buffer_load_dword v2, v0, s[0:3], 0 offen
	buffer_load_dword v3, v0, s[0:3], 0 offen offset:4
	buffer_load_dword v4, v0, s[0:3], 0 offen offset:8
	;; [unrolled: 1-line block ×6, first 2 shown]
	buffer_load_dword v49, v1, s[0:3], 0 offen
	s_waitcnt vmcnt(7)
	buffer_store_dword v2, v1, s[0:3], 0 offen
	s_waitcnt vmcnt(6)
	buffer_store_dword v3, v1, s[0:3], 0 offen offset:4
	s_waitcnt vmcnt(5)
	buffer_store_dword v4, v1, s[0:3], 0 offen offset:8
	s_waitcnt vmcnt(4)
	buffer_store_dword v45, v1, s[0:3], 0 offen offset:12
	s_waitcnt vmcnt(3)
	buffer_store_dword v46, v0, s[0:3], 0 offen offset:12
	s_waitcnt vmcnt(2)
	buffer_store_dword v47, v0, s[0:3], 0 offen offset:8
	s_waitcnt vmcnt(1)
	buffer_store_dword v48, v0, s[0:3], 0 offen offset:4
	s_waitcnt vmcnt(0)
	buffer_store_dword v49, v0, s[0:3], 0 offen
.LBB83_136:
	v_mov_b32_e32 v0, 0
	global_load_dword v1, v0, s[12:13] offset:68
	s_waitcnt vmcnt(0)
	v_add_nc_u32_e32 v1, -1, v1
	v_cmp_eq_u32_e32 vcc_lo, 17, v1
	s_cbranch_vccnz .LBB83_138
; %bb.137:
	v_lshlrev_b32_e32 v1, 4, v1
	v_mov_b32_e32 v2, s14
	v_add_nc_u32_e32 v1, 16, v1
	s_clause 0x7
	buffer_load_dword v3, v1, s[0:3], 0 offen
	buffer_load_dword v4, v1, s[0:3], 0 offen offset:4
	buffer_load_dword v45, v1, s[0:3], 0 offen offset:8
	;; [unrolled: 1-line block ×6, first 2 shown]
	buffer_load_dword v50, v2, s[0:3], 0 offen
	s_waitcnt vmcnt(7)
	buffer_store_dword v3, v2, s[0:3], 0 offen
	s_waitcnt vmcnt(6)
	buffer_store_dword v4, v2, s[0:3], 0 offen offset:4
	s_waitcnt vmcnt(5)
	buffer_store_dword v45, v2, s[0:3], 0 offen offset:8
	;; [unrolled: 2-line block ×6, first 2 shown]
	s_waitcnt vmcnt(0)
	buffer_store_dword v50, v1, s[0:3], 0 offen
.LBB83_138:
	global_load_dword v0, v0, s[12:13] offset:64
	s_waitcnt vmcnt(0)
	v_add_nc_u32_e32 v0, -1, v0
	v_cmp_eq_u32_e32 vcc_lo, 16, v0
	s_cbranch_vccnz .LBB83_140
; %bb.139:
	v_lshlrev_b32_e32 v0, 4, v0
	v_mov_b32_e32 v1, s15
	v_add_nc_u32_e32 v0, 16, v0
	s_clause 0x7
	buffer_load_dword v2, v0, s[0:3], 0 offen
	buffer_load_dword v3, v0, s[0:3], 0 offen offset:4
	buffer_load_dword v4, v0, s[0:3], 0 offen offset:8
	;; [unrolled: 1-line block ×6, first 2 shown]
	buffer_load_dword v49, v1, s[0:3], 0 offen
	s_waitcnt vmcnt(7)
	buffer_store_dword v2, v1, s[0:3], 0 offen
	s_waitcnt vmcnt(6)
	buffer_store_dword v3, v1, s[0:3], 0 offen offset:4
	s_waitcnt vmcnt(5)
	buffer_store_dword v4, v1, s[0:3], 0 offen offset:8
	;; [unrolled: 2-line block ×6, first 2 shown]
	s_waitcnt vmcnt(0)
	buffer_store_dword v49, v0, s[0:3], 0 offen
.LBB83_140:
	v_mov_b32_e32 v0, 0
	global_load_dword v1, v0, s[12:13] offset:60
	s_waitcnt vmcnt(0)
	v_add_nc_u32_e32 v1, -1, v1
	v_cmp_eq_u32_e32 vcc_lo, 15, v1
	s_cbranch_vccnz .LBB83_142
; %bb.141:
	v_lshlrev_b32_e32 v1, 4, v1
	v_mov_b32_e32 v2, s16
	v_add_nc_u32_e32 v1, 16, v1
	s_clause 0x7
	buffer_load_dword v3, v1, s[0:3], 0 offen
	buffer_load_dword v4, v1, s[0:3], 0 offen offset:4
	buffer_load_dword v45, v1, s[0:3], 0 offen offset:8
	buffer_load_dword v46, v1, s[0:3], 0 offen offset:12
	buffer_load_dword v47, v2, s[0:3], 0 offen offset:12
	buffer_load_dword v48, v2, s[0:3], 0 offen offset:8
	buffer_load_dword v49, v2, s[0:3], 0 offen offset:4
	buffer_load_dword v50, v2, s[0:3], 0 offen
	s_waitcnt vmcnt(7)
	buffer_store_dword v3, v2, s[0:3], 0 offen
	s_waitcnt vmcnt(6)
	buffer_store_dword v4, v2, s[0:3], 0 offen offset:4
	s_waitcnt vmcnt(5)
	buffer_store_dword v45, v2, s[0:3], 0 offen offset:8
	;; [unrolled: 2-line block ×6, first 2 shown]
	s_waitcnt vmcnt(0)
	buffer_store_dword v50, v1, s[0:3], 0 offen
.LBB83_142:
	global_load_dword v0, v0, s[12:13] offset:56
	s_waitcnt vmcnt(0)
	v_add_nc_u32_e32 v0, -1, v0
	v_cmp_eq_u32_e32 vcc_lo, 14, v0
	s_cbranch_vccnz .LBB83_144
; %bb.143:
	v_lshlrev_b32_e32 v0, 4, v0
	v_mov_b32_e32 v1, s17
	v_add_nc_u32_e32 v0, 16, v0
	s_clause 0x7
	buffer_load_dword v2, v0, s[0:3], 0 offen
	buffer_load_dword v3, v0, s[0:3], 0 offen offset:4
	buffer_load_dword v4, v0, s[0:3], 0 offen offset:8
	;; [unrolled: 1-line block ×6, first 2 shown]
	buffer_load_dword v49, v1, s[0:3], 0 offen
	s_waitcnt vmcnt(7)
	buffer_store_dword v2, v1, s[0:3], 0 offen
	s_waitcnt vmcnt(6)
	buffer_store_dword v3, v1, s[0:3], 0 offen offset:4
	s_waitcnt vmcnt(5)
	buffer_store_dword v4, v1, s[0:3], 0 offen offset:8
	;; [unrolled: 2-line block ×6, first 2 shown]
	s_waitcnt vmcnt(0)
	buffer_store_dword v49, v0, s[0:3], 0 offen
.LBB83_144:
	v_mov_b32_e32 v0, 0
	global_load_dword v1, v0, s[12:13] offset:52
	s_waitcnt vmcnt(0)
	v_add_nc_u32_e32 v1, -1, v1
	v_cmp_eq_u32_e32 vcc_lo, 13, v1
	s_cbranch_vccnz .LBB83_146
; %bb.145:
	v_lshlrev_b32_e32 v1, 4, v1
	v_mov_b32_e32 v2, s18
	v_add_nc_u32_e32 v1, 16, v1
	s_clause 0x7
	buffer_load_dword v3, v1, s[0:3], 0 offen
	buffer_load_dword v4, v1, s[0:3], 0 offen offset:4
	buffer_load_dword v45, v1, s[0:3], 0 offen offset:8
	;; [unrolled: 1-line block ×6, first 2 shown]
	buffer_load_dword v50, v2, s[0:3], 0 offen
	s_waitcnt vmcnt(7)
	buffer_store_dword v3, v2, s[0:3], 0 offen
	s_waitcnt vmcnt(6)
	buffer_store_dword v4, v2, s[0:3], 0 offen offset:4
	s_waitcnt vmcnt(5)
	buffer_store_dword v45, v2, s[0:3], 0 offen offset:8
	;; [unrolled: 2-line block ×6, first 2 shown]
	s_waitcnt vmcnt(0)
	buffer_store_dword v50, v1, s[0:3], 0 offen
.LBB83_146:
	global_load_dword v0, v0, s[12:13] offset:48
	s_waitcnt vmcnt(0)
	v_add_nc_u32_e32 v0, -1, v0
	v_cmp_eq_u32_e32 vcc_lo, 12, v0
	s_cbranch_vccnz .LBB83_148
; %bb.147:
	v_lshlrev_b32_e32 v0, 4, v0
	v_mov_b32_e32 v1, s19
	v_add_nc_u32_e32 v0, 16, v0
	s_clause 0x7
	buffer_load_dword v2, v0, s[0:3], 0 offen
	buffer_load_dword v3, v0, s[0:3], 0 offen offset:4
	buffer_load_dword v4, v0, s[0:3], 0 offen offset:8
	;; [unrolled: 1-line block ×6, first 2 shown]
	buffer_load_dword v49, v1, s[0:3], 0 offen
	s_waitcnt vmcnt(7)
	buffer_store_dword v2, v1, s[0:3], 0 offen
	s_waitcnt vmcnt(6)
	buffer_store_dword v3, v1, s[0:3], 0 offen offset:4
	s_waitcnt vmcnt(5)
	buffer_store_dword v4, v1, s[0:3], 0 offen offset:8
	;; [unrolled: 2-line block ×6, first 2 shown]
	s_waitcnt vmcnt(0)
	buffer_store_dword v49, v0, s[0:3], 0 offen
.LBB83_148:
	v_mov_b32_e32 v0, 0
	global_load_dword v1, v0, s[12:13] offset:44
	s_waitcnt vmcnt(0)
	v_add_nc_u32_e32 v1, -1, v1
	v_cmp_eq_u32_e32 vcc_lo, 11, v1
	s_cbranch_vccnz .LBB83_150
; %bb.149:
	v_lshlrev_b32_e32 v1, 4, v1
	v_mov_b32_e32 v2, s20
	v_add_nc_u32_e32 v1, 16, v1
	s_clause 0x7
	buffer_load_dword v3, v1, s[0:3], 0 offen
	buffer_load_dword v4, v1, s[0:3], 0 offen offset:4
	buffer_load_dword v45, v1, s[0:3], 0 offen offset:8
	;; [unrolled: 1-line block ×6, first 2 shown]
	buffer_load_dword v50, v2, s[0:3], 0 offen
	s_waitcnt vmcnt(7)
	buffer_store_dword v3, v2, s[0:3], 0 offen
	s_waitcnt vmcnt(6)
	buffer_store_dword v4, v2, s[0:3], 0 offen offset:4
	s_waitcnt vmcnt(5)
	buffer_store_dword v45, v2, s[0:3], 0 offen offset:8
	;; [unrolled: 2-line block ×6, first 2 shown]
	s_waitcnt vmcnt(0)
	buffer_store_dword v50, v1, s[0:3], 0 offen
.LBB83_150:
	global_load_dword v0, v0, s[12:13] offset:40
	s_waitcnt vmcnt(0)
	v_add_nc_u32_e32 v0, -1, v0
	v_cmp_eq_u32_e32 vcc_lo, 10, v0
	s_cbranch_vccnz .LBB83_152
; %bb.151:
	v_lshlrev_b32_e32 v0, 4, v0
	v_mov_b32_e32 v1, s21
	v_add_nc_u32_e32 v0, 16, v0
	s_clause 0x7
	buffer_load_dword v2, v0, s[0:3], 0 offen
	buffer_load_dword v3, v0, s[0:3], 0 offen offset:4
	buffer_load_dword v4, v0, s[0:3], 0 offen offset:8
	;; [unrolled: 1-line block ×6, first 2 shown]
	buffer_load_dword v49, v1, s[0:3], 0 offen
	s_waitcnt vmcnt(7)
	buffer_store_dword v2, v1, s[0:3], 0 offen
	s_waitcnt vmcnt(6)
	buffer_store_dword v3, v1, s[0:3], 0 offen offset:4
	s_waitcnt vmcnt(5)
	buffer_store_dword v4, v1, s[0:3], 0 offen offset:8
	;; [unrolled: 2-line block ×6, first 2 shown]
	s_waitcnt vmcnt(0)
	buffer_store_dword v49, v0, s[0:3], 0 offen
.LBB83_152:
	v_mov_b32_e32 v0, 0
	global_load_dword v1, v0, s[12:13] offset:36
	s_waitcnt vmcnt(0)
	v_add_nc_u32_e32 v1, -1, v1
	v_cmp_eq_u32_e32 vcc_lo, 9, v1
	s_cbranch_vccnz .LBB83_154
; %bb.153:
	v_lshlrev_b32_e32 v1, 4, v1
	v_mov_b32_e32 v2, s22
	v_add_nc_u32_e32 v1, 16, v1
	s_clause 0x7
	buffer_load_dword v3, v1, s[0:3], 0 offen
	buffer_load_dword v4, v1, s[0:3], 0 offen offset:4
	buffer_load_dword v45, v1, s[0:3], 0 offen offset:8
	;; [unrolled: 1-line block ×6, first 2 shown]
	buffer_load_dword v50, v2, s[0:3], 0 offen
	s_waitcnt vmcnt(7)
	buffer_store_dword v3, v2, s[0:3], 0 offen
	s_waitcnt vmcnt(6)
	buffer_store_dword v4, v2, s[0:3], 0 offen offset:4
	s_waitcnt vmcnt(5)
	buffer_store_dword v45, v2, s[0:3], 0 offen offset:8
	;; [unrolled: 2-line block ×6, first 2 shown]
	s_waitcnt vmcnt(0)
	buffer_store_dword v50, v1, s[0:3], 0 offen
.LBB83_154:
	global_load_dword v0, v0, s[12:13] offset:32
	s_waitcnt vmcnt(0)
	v_add_nc_u32_e32 v0, -1, v0
	v_cmp_eq_u32_e32 vcc_lo, 8, v0
	s_cbranch_vccnz .LBB83_156
; %bb.155:
	v_lshlrev_b32_e32 v0, 4, v0
	v_mov_b32_e32 v1, s23
	v_add_nc_u32_e32 v0, 16, v0
	s_clause 0x7
	buffer_load_dword v2, v0, s[0:3], 0 offen
	buffer_load_dword v3, v0, s[0:3], 0 offen offset:4
	buffer_load_dword v4, v0, s[0:3], 0 offen offset:8
	;; [unrolled: 1-line block ×6, first 2 shown]
	buffer_load_dword v49, v1, s[0:3], 0 offen
	s_waitcnt vmcnt(7)
	buffer_store_dword v2, v1, s[0:3], 0 offen
	s_waitcnt vmcnt(6)
	buffer_store_dword v3, v1, s[0:3], 0 offen offset:4
	s_waitcnt vmcnt(5)
	buffer_store_dword v4, v1, s[0:3], 0 offen offset:8
	;; [unrolled: 2-line block ×6, first 2 shown]
	s_waitcnt vmcnt(0)
	buffer_store_dword v49, v0, s[0:3], 0 offen
.LBB83_156:
	v_mov_b32_e32 v0, 0
	global_load_dword v1, v0, s[12:13] offset:28
	s_waitcnt vmcnt(0)
	v_add_nc_u32_e32 v1, -1, v1
	v_cmp_eq_u32_e32 vcc_lo, 7, v1
	s_cbranch_vccnz .LBB83_158
; %bb.157:
	v_lshlrev_b32_e32 v1, 4, v1
	v_mov_b32_e32 v2, s24
	v_add_nc_u32_e32 v1, 16, v1
	s_clause 0x7
	buffer_load_dword v3, v1, s[0:3], 0 offen
	buffer_load_dword v4, v1, s[0:3], 0 offen offset:4
	buffer_load_dword v45, v1, s[0:3], 0 offen offset:8
	;; [unrolled: 1-line block ×6, first 2 shown]
	buffer_load_dword v50, v2, s[0:3], 0 offen
	s_waitcnt vmcnt(7)
	buffer_store_dword v3, v2, s[0:3], 0 offen
	s_waitcnt vmcnt(6)
	buffer_store_dword v4, v2, s[0:3], 0 offen offset:4
	s_waitcnt vmcnt(5)
	buffer_store_dword v45, v2, s[0:3], 0 offen offset:8
	s_waitcnt vmcnt(4)
	buffer_store_dword v46, v2, s[0:3], 0 offen offset:12
	s_waitcnt vmcnt(3)
	buffer_store_dword v47, v1, s[0:3], 0 offen offset:12
	s_waitcnt vmcnt(2)
	buffer_store_dword v48, v1, s[0:3], 0 offen offset:8
	s_waitcnt vmcnt(1)
	buffer_store_dword v49, v1, s[0:3], 0 offen offset:4
	s_waitcnt vmcnt(0)
	buffer_store_dword v50, v1, s[0:3], 0 offen
.LBB83_158:
	global_load_dword v0, v0, s[12:13] offset:24
	s_waitcnt vmcnt(0)
	v_add_nc_u32_e32 v0, -1, v0
	v_cmp_eq_u32_e32 vcc_lo, 6, v0
	s_cbranch_vccnz .LBB83_160
; %bb.159:
	v_lshlrev_b32_e32 v0, 4, v0
	v_mov_b32_e32 v1, s25
	v_add_nc_u32_e32 v0, 16, v0
	s_clause 0x7
	buffer_load_dword v2, v0, s[0:3], 0 offen
	buffer_load_dword v3, v0, s[0:3], 0 offen offset:4
	buffer_load_dword v4, v0, s[0:3], 0 offen offset:8
	;; [unrolled: 1-line block ×6, first 2 shown]
	buffer_load_dword v49, v1, s[0:3], 0 offen
	s_waitcnt vmcnt(7)
	buffer_store_dword v2, v1, s[0:3], 0 offen
	s_waitcnt vmcnt(6)
	buffer_store_dword v3, v1, s[0:3], 0 offen offset:4
	s_waitcnt vmcnt(5)
	buffer_store_dword v4, v1, s[0:3], 0 offen offset:8
	;; [unrolled: 2-line block ×6, first 2 shown]
	s_waitcnt vmcnt(0)
	buffer_store_dword v49, v0, s[0:3], 0 offen
.LBB83_160:
	v_mov_b32_e32 v0, 0
	global_load_dword v1, v0, s[12:13] offset:20
	s_waitcnt vmcnt(0)
	v_add_nc_u32_e32 v1, -1, v1
	v_cmp_eq_u32_e32 vcc_lo, 5, v1
	s_cbranch_vccnz .LBB83_162
; %bb.161:
	v_lshlrev_b32_e32 v1, 4, v1
	v_mov_b32_e32 v2, s26
	v_add_nc_u32_e32 v1, 16, v1
	s_clause 0x7
	buffer_load_dword v3, v1, s[0:3], 0 offen
	buffer_load_dword v4, v1, s[0:3], 0 offen offset:4
	buffer_load_dword v45, v1, s[0:3], 0 offen offset:8
	;; [unrolled: 1-line block ×6, first 2 shown]
	buffer_load_dword v50, v2, s[0:3], 0 offen
	s_waitcnt vmcnt(7)
	buffer_store_dword v3, v2, s[0:3], 0 offen
	s_waitcnt vmcnt(6)
	buffer_store_dword v4, v2, s[0:3], 0 offen offset:4
	s_waitcnt vmcnt(5)
	buffer_store_dword v45, v2, s[0:3], 0 offen offset:8
	;; [unrolled: 2-line block ×6, first 2 shown]
	s_waitcnt vmcnt(0)
	buffer_store_dword v50, v1, s[0:3], 0 offen
.LBB83_162:
	global_load_dword v0, v0, s[12:13] offset:16
	s_waitcnt vmcnt(0)
	v_add_nc_u32_e32 v0, -1, v0
	v_cmp_eq_u32_e32 vcc_lo, 4, v0
	s_cbranch_vccnz .LBB83_164
; %bb.163:
	v_lshlrev_b32_e32 v0, 4, v0
	v_mov_b32_e32 v1, s27
	v_add_nc_u32_e32 v0, 16, v0
	s_clause 0x7
	buffer_load_dword v2, v0, s[0:3], 0 offen
	buffer_load_dword v3, v0, s[0:3], 0 offen offset:4
	buffer_load_dword v4, v0, s[0:3], 0 offen offset:8
	;; [unrolled: 1-line block ×6, first 2 shown]
	buffer_load_dword v49, v1, s[0:3], 0 offen
	s_waitcnt vmcnt(7)
	buffer_store_dword v2, v1, s[0:3], 0 offen
	s_waitcnt vmcnt(6)
	buffer_store_dword v3, v1, s[0:3], 0 offen offset:4
	s_waitcnt vmcnt(5)
	buffer_store_dword v4, v1, s[0:3], 0 offen offset:8
	;; [unrolled: 2-line block ×6, first 2 shown]
	s_waitcnt vmcnt(0)
	buffer_store_dword v49, v0, s[0:3], 0 offen
.LBB83_164:
	v_mov_b32_e32 v0, 0
	global_load_dword v1, v0, s[12:13] offset:12
	s_waitcnt vmcnt(0)
	v_add_nc_u32_e32 v1, -1, v1
	v_cmp_eq_u32_e32 vcc_lo, 3, v1
	s_cbranch_vccnz .LBB83_166
; %bb.165:
	v_lshlrev_b32_e32 v1, 4, v1
	v_mov_b32_e32 v2, s28
	v_add_nc_u32_e32 v1, 16, v1
	s_clause 0x7
	buffer_load_dword v3, v1, s[0:3], 0 offen
	buffer_load_dword v4, v1, s[0:3], 0 offen offset:4
	buffer_load_dword v45, v1, s[0:3], 0 offen offset:8
	;; [unrolled: 1-line block ×6, first 2 shown]
	buffer_load_dword v50, v2, s[0:3], 0 offen
	s_waitcnt vmcnt(7)
	buffer_store_dword v3, v2, s[0:3], 0 offen
	s_waitcnt vmcnt(6)
	buffer_store_dword v4, v2, s[0:3], 0 offen offset:4
	s_waitcnt vmcnt(5)
	buffer_store_dword v45, v2, s[0:3], 0 offen offset:8
	;; [unrolled: 2-line block ×6, first 2 shown]
	s_waitcnt vmcnt(0)
	buffer_store_dword v50, v1, s[0:3], 0 offen
.LBB83_166:
	global_load_dword v0, v0, s[12:13] offset:8
	s_waitcnt vmcnt(0)
	v_add_nc_u32_e32 v0, -1, v0
	v_cmp_eq_u32_e32 vcc_lo, 2, v0
	s_cbranch_vccnz .LBB83_168
; %bb.167:
	v_lshlrev_b32_e32 v0, 4, v0
	v_mov_b32_e32 v1, s29
	v_add_nc_u32_e32 v0, 16, v0
	s_clause 0x7
	buffer_load_dword v2, v0, s[0:3], 0 offen
	buffer_load_dword v3, v0, s[0:3], 0 offen offset:4
	buffer_load_dword v4, v0, s[0:3], 0 offen offset:8
	buffer_load_dword v45, v0, s[0:3], 0 offen offset:12
	buffer_load_dword v46, v1, s[0:3], 0 offen offset:12
	buffer_load_dword v47, v1, s[0:3], 0 offen offset:8
	buffer_load_dword v48, v1, s[0:3], 0 offen offset:4
	buffer_load_dword v49, v1, s[0:3], 0 offen
	s_waitcnt vmcnt(7)
	buffer_store_dword v2, v1, s[0:3], 0 offen
	s_waitcnt vmcnt(6)
	buffer_store_dword v3, v1, s[0:3], 0 offen offset:4
	s_waitcnt vmcnt(5)
	buffer_store_dword v4, v1, s[0:3], 0 offen offset:8
	;; [unrolled: 2-line block ×6, first 2 shown]
	s_waitcnt vmcnt(0)
	buffer_store_dword v49, v0, s[0:3], 0 offen
.LBB83_168:
	v_mov_b32_e32 v0, 0
	global_load_dword v1, v0, s[12:13] offset:4
	s_waitcnt vmcnt(0)
	v_add_nc_u32_e32 v1, -1, v1
	v_cmp_eq_u32_e32 vcc_lo, 1, v1
	s_cbranch_vccnz .LBB83_170
; %bb.169:
	v_lshlrev_b32_e32 v1, 4, v1
	v_mov_b32_e32 v2, s30
	v_add_nc_u32_e32 v1, 16, v1
	s_clause 0x7
	buffer_load_dword v3, v1, s[0:3], 0 offen
	buffer_load_dword v4, v1, s[0:3], 0 offen offset:4
	buffer_load_dword v45, v1, s[0:3], 0 offen offset:8
	;; [unrolled: 1-line block ×6, first 2 shown]
	buffer_load_dword v50, v2, s[0:3], 0 offen
	s_waitcnt vmcnt(7)
	buffer_store_dword v3, v2, s[0:3], 0 offen
	s_waitcnt vmcnt(6)
	buffer_store_dword v4, v2, s[0:3], 0 offen offset:4
	s_waitcnt vmcnt(5)
	buffer_store_dword v45, v2, s[0:3], 0 offen offset:8
	;; [unrolled: 2-line block ×6, first 2 shown]
	s_waitcnt vmcnt(0)
	buffer_store_dword v50, v1, s[0:3], 0 offen
.LBB83_170:
	global_load_dword v0, v0, s[12:13]
	s_waitcnt vmcnt(0)
	v_add_nc_u32_e32 v0, -1, v0
	v_cmp_eq_u32_e32 vcc_lo, 0, v0
	s_cbranch_vccnz .LBB83_172
; %bb.171:
	v_lshlrev_b32_e32 v0, 4, v0
	v_add_nc_u32_e32 v0, 16, v0
	s_clause 0x7
	buffer_load_dword v1, v0, s[0:3], 0 offen
	buffer_load_dword v2, v0, s[0:3], 0 offen offset:4
	buffer_load_dword v3, v0, s[0:3], 0 offen offset:8
	;; [unrolled: 1-line block ×3, first 2 shown]
	buffer_load_dword v45, off, s[0:3], 0 offset:28
	buffer_load_dword v46, off, s[0:3], 0 offset:24
	;; [unrolled: 1-line block ×4, first 2 shown]
	s_waitcnt vmcnt(7)
	buffer_store_dword v1, off, s[0:3], 0 offset:16
	s_waitcnt vmcnt(6)
	buffer_store_dword v2, off, s[0:3], 0 offset:20
	;; [unrolled: 2-line block ×4, first 2 shown]
	s_waitcnt vmcnt(3)
	buffer_store_dword v45, v0, s[0:3], 0 offen offset:12
	s_waitcnt vmcnt(2)
	buffer_store_dword v46, v0, s[0:3], 0 offen offset:8
	;; [unrolled: 2-line block ×3, first 2 shown]
	s_waitcnt vmcnt(0)
	buffer_store_dword v48, v0, s[0:3], 0 offen
.LBB83_172:
	s_clause 0x3
	buffer_load_dword v0, off, s[0:3], 0 offset:16
	buffer_load_dword v1, off, s[0:3], 0 offset:20
	;; [unrolled: 1-line block ×4, first 2 shown]
	v_mov_b32_e32 v4, s30
	s_waitcnt vmcnt(0)
	flat_store_dwordx4 v[5:6], v[0:3]
	s_clause 0x3
	buffer_load_dword v0, v4, s[0:3], 0 offen
	buffer_load_dword v1, v4, s[0:3], 0 offen offset:4
	buffer_load_dword v2, v4, s[0:3], 0 offen offset:8
	buffer_load_dword v3, v4, s[0:3], 0 offen offset:12
	v_mov_b32_e32 v4, s29
	s_waitcnt vmcnt(0)
	flat_store_dwordx4 v[7:8], v[0:3]
	s_clause 0x3
	buffer_load_dword v0, v4, s[0:3], 0 offen
	buffer_load_dword v1, v4, s[0:3], 0 offen offset:4
	buffer_load_dword v2, v4, s[0:3], 0 offen offset:8
	buffer_load_dword v3, v4, s[0:3], 0 offen offset:12
	;; [unrolled: 8-line block ×19, first 2 shown]
	s_waitcnt vmcnt(0)
	flat_store_dwordx4 v[43:44], v[0:3]
	s_endpgm
	.section	.rodata,"a",@progbits
	.p2align	6, 0x0
	.amdhsa_kernel _ZN9rocsolver6v33100L18getri_kernel_smallILi20E19rocblas_complex_numIdEPKPS3_EEvT1_iilPiilS8_bb
		.amdhsa_group_segment_fixed_size 648
		.amdhsa_private_segment_fixed_size 352
		.amdhsa_kernarg_size 60
		.amdhsa_user_sgpr_count 6
		.amdhsa_user_sgpr_private_segment_buffer 1
		.amdhsa_user_sgpr_dispatch_ptr 0
		.amdhsa_user_sgpr_queue_ptr 0
		.amdhsa_user_sgpr_kernarg_segment_ptr 1
		.amdhsa_user_sgpr_dispatch_id 0
		.amdhsa_user_sgpr_flat_scratch_init 0
		.amdhsa_user_sgpr_private_segment_size 0
		.amdhsa_wavefront_size32 1
		.amdhsa_uses_dynamic_stack 0
		.amdhsa_system_sgpr_private_segment_wavefront_offset 1
		.amdhsa_system_sgpr_workgroup_id_x 1
		.amdhsa_system_sgpr_workgroup_id_y 0
		.amdhsa_system_sgpr_workgroup_id_z 0
		.amdhsa_system_sgpr_workgroup_info 0
		.amdhsa_system_vgpr_workitem_id 0
		.amdhsa_next_free_vgpr 130
		.amdhsa_next_free_sgpr 40
		.amdhsa_reserve_vcc 1
		.amdhsa_reserve_flat_scratch 0
		.amdhsa_float_round_mode_32 0
		.amdhsa_float_round_mode_16_64 0
		.amdhsa_float_denorm_mode_32 3
		.amdhsa_float_denorm_mode_16_64 3
		.amdhsa_dx10_clamp 1
		.amdhsa_ieee_mode 1
		.amdhsa_fp16_overflow 0
		.amdhsa_workgroup_processor_mode 1
		.amdhsa_memory_ordered 1
		.amdhsa_forward_progress 1
		.amdhsa_shared_vgpr_count 0
		.amdhsa_exception_fp_ieee_invalid_op 0
		.amdhsa_exception_fp_denorm_src 0
		.amdhsa_exception_fp_ieee_div_zero 0
		.amdhsa_exception_fp_ieee_overflow 0
		.amdhsa_exception_fp_ieee_underflow 0
		.amdhsa_exception_fp_ieee_inexact 0
		.amdhsa_exception_int_div_zero 0
	.end_amdhsa_kernel
	.section	.text._ZN9rocsolver6v33100L18getri_kernel_smallILi20E19rocblas_complex_numIdEPKPS3_EEvT1_iilPiilS8_bb,"axG",@progbits,_ZN9rocsolver6v33100L18getri_kernel_smallILi20E19rocblas_complex_numIdEPKPS3_EEvT1_iilPiilS8_bb,comdat
.Lfunc_end83:
	.size	_ZN9rocsolver6v33100L18getri_kernel_smallILi20E19rocblas_complex_numIdEPKPS3_EEvT1_iilPiilS8_bb, .Lfunc_end83-_ZN9rocsolver6v33100L18getri_kernel_smallILi20E19rocblas_complex_numIdEPKPS3_EEvT1_iilPiilS8_bb
                                        ; -- End function
	.set _ZN9rocsolver6v33100L18getri_kernel_smallILi20E19rocblas_complex_numIdEPKPS3_EEvT1_iilPiilS8_bb.num_vgpr, 130
	.set _ZN9rocsolver6v33100L18getri_kernel_smallILi20E19rocblas_complex_numIdEPKPS3_EEvT1_iilPiilS8_bb.num_agpr, 0
	.set _ZN9rocsolver6v33100L18getri_kernel_smallILi20E19rocblas_complex_numIdEPKPS3_EEvT1_iilPiilS8_bb.numbered_sgpr, 40
	.set _ZN9rocsolver6v33100L18getri_kernel_smallILi20E19rocblas_complex_numIdEPKPS3_EEvT1_iilPiilS8_bb.num_named_barrier, 0
	.set _ZN9rocsolver6v33100L18getri_kernel_smallILi20E19rocblas_complex_numIdEPKPS3_EEvT1_iilPiilS8_bb.private_seg_size, 352
	.set _ZN9rocsolver6v33100L18getri_kernel_smallILi20E19rocblas_complex_numIdEPKPS3_EEvT1_iilPiilS8_bb.uses_vcc, 1
	.set _ZN9rocsolver6v33100L18getri_kernel_smallILi20E19rocblas_complex_numIdEPKPS3_EEvT1_iilPiilS8_bb.uses_flat_scratch, 0
	.set _ZN9rocsolver6v33100L18getri_kernel_smallILi20E19rocblas_complex_numIdEPKPS3_EEvT1_iilPiilS8_bb.has_dyn_sized_stack, 0
	.set _ZN9rocsolver6v33100L18getri_kernel_smallILi20E19rocblas_complex_numIdEPKPS3_EEvT1_iilPiilS8_bb.has_recursion, 0
	.set _ZN9rocsolver6v33100L18getri_kernel_smallILi20E19rocblas_complex_numIdEPKPS3_EEvT1_iilPiilS8_bb.has_indirect_call, 0
	.section	.AMDGPU.csdata,"",@progbits
; Kernel info:
; codeLenInByte = 37272
; TotalNumSgprs: 42
; NumVgprs: 130
; ScratchSize: 352
; MemoryBound: 0
; FloatMode: 240
; IeeeMode: 1
; LDSByteSize: 648 bytes/workgroup (compile time only)
; SGPRBlocks: 0
; VGPRBlocks: 16
; NumSGPRsForWavesPerEU: 42
; NumVGPRsForWavesPerEU: 130
; Occupancy: 7
; WaveLimiterHint : 1
; COMPUTE_PGM_RSRC2:SCRATCH_EN: 1
; COMPUTE_PGM_RSRC2:USER_SGPR: 6
; COMPUTE_PGM_RSRC2:TRAP_HANDLER: 0
; COMPUTE_PGM_RSRC2:TGID_X_EN: 1
; COMPUTE_PGM_RSRC2:TGID_Y_EN: 0
; COMPUTE_PGM_RSRC2:TGID_Z_EN: 0
; COMPUTE_PGM_RSRC2:TIDIG_COMP_CNT: 0
	.section	.text._ZN9rocsolver6v33100L18getri_kernel_smallILi21E19rocblas_complex_numIdEPKPS3_EEvT1_iilPiilS8_bb,"axG",@progbits,_ZN9rocsolver6v33100L18getri_kernel_smallILi21E19rocblas_complex_numIdEPKPS3_EEvT1_iilPiilS8_bb,comdat
	.globl	_ZN9rocsolver6v33100L18getri_kernel_smallILi21E19rocblas_complex_numIdEPKPS3_EEvT1_iilPiilS8_bb ; -- Begin function _ZN9rocsolver6v33100L18getri_kernel_smallILi21E19rocblas_complex_numIdEPKPS3_EEvT1_iilPiilS8_bb
	.p2align	8
	.type	_ZN9rocsolver6v33100L18getri_kernel_smallILi21E19rocblas_complex_numIdEPKPS3_EEvT1_iilPiilS8_bb,@function
_ZN9rocsolver6v33100L18getri_kernel_smallILi21E19rocblas_complex_numIdEPKPS3_EEvT1_iilPiilS8_bb: ; @_ZN9rocsolver6v33100L18getri_kernel_smallILi21E19rocblas_complex_numIdEPKPS3_EEvT1_iilPiilS8_bb
; %bb.0:
	s_add_u32 s0, s0, s7
	s_addc_u32 s1, s1, 0
	s_mov_b32 s7, exec_lo
	v_cmpx_gt_u32_e32 21, v0
	s_cbranch_execz .LBB84_98
; %bb.1:
	s_clause 0x2
	s_load_dword s16, s[4:5], 0x38
	s_load_dwordx2 s[12:13], s[4:5], 0x0
	s_load_dwordx4 s[8:11], s[4:5], 0x28
	s_waitcnt lgkmcnt(0)
	s_bitcmp1_b32 s16, 8
	s_cselect_b32 s33, -1, 0
	s_ashr_i32 s7, s6, 31
	s_lshl_b64 s[14:15], s[6:7], 3
	s_add_u32 s12, s12, s14
	s_addc_u32 s13, s13, s15
	s_load_dwordx2 s[14:15], s[12:13], 0x0
	s_bfe_u32 s12, s16, 0x10008
	s_cmp_eq_u32 s12, 0
                                        ; implicit-def: $sgpr12_sgpr13
	s_cbranch_scc1 .LBB84_3
; %bb.2:
	s_clause 0x1
	s_load_dword s12, s[4:5], 0x20
	s_load_dwordx2 s[16:17], s[4:5], 0x18
	s_mul_i32 s13, s8, s7
	s_mul_hi_u32 s18, s8, s6
	s_mul_i32 s9, s9, s6
	s_add_i32 s13, s18, s13
	s_mul_i32 s8, s8, s6
	s_add_i32 s9, s13, s9
	s_lshl_b64 s[8:9], s[8:9], 2
	s_waitcnt lgkmcnt(0)
	s_ashr_i32 s13, s12, 31
	s_add_u32 s16, s16, s8
	s_addc_u32 s17, s17, s9
	s_lshl_b64 s[8:9], s[12:13], 2
	s_add_u32 s12, s16, s8
	s_addc_u32 s13, s17, s9
.LBB84_3:
	s_clause 0x1
	s_load_dwordx2 s[8:9], s[4:5], 0x8
	s_load_dword s4, s[4:5], 0x38
	v_lshlrev_b32_e32 v53, 4, v0
	s_movk_i32 s18, 0xb0
	s_movk_i32 s19, 0xc0
	;; [unrolled: 1-line block ×10, first 2 shown]
	s_mov_b32 s31, 32
	s_mov_b32 s30, 48
	;; [unrolled: 1-line block ×3, first 2 shown]
	s_movk_i32 s28, 0x50
	s_waitcnt lgkmcnt(0)
	s_ashr_i32 s17, s8, 31
	s_mov_b32 s16, s8
	v_add3_u32 v11, s9, s9, v0
	s_lshl_b64 s[16:17], s[16:17], 4
	s_add_u32 s5, s14, s16
	s_addc_u32 s8, s15, s17
	v_add_co_u32 v5, s14, s5, v53
	v_add_co_ci_u32_e64 v6, null, s8, 0, s14
	s_mov_b32 s14, s9
	s_ashr_i32 s15, s9, 31
	v_ashrrev_i32_e32 v12, 31, v11
	flat_load_dwordx4 v[1:4], v[5:6]
	s_lshl_b64 s[14:15], s[14:15], 4
	v_add_nc_u32_e32 v13, s9, v11
	v_add_co_u32 v7, vcc_lo, v5, s14
	v_add_co_ci_u32_e64 v8, null, s15, v6, vcc_lo
	v_lshlrev_b64 v[9:10], 4, v[11:12]
	v_ashrrev_i32_e32 v14, 31, v13
	v_add_nc_u32_e32 v15, s9, v13
	s_movk_i32 s14, 0x70
	s_movk_i32 s15, 0x80
	s_movk_i32 s16, 0x90
	v_add_co_u32 v9, vcc_lo, s5, v9
	v_add_co_ci_u32_e64 v10, null, s8, v10, vcc_lo
	v_lshlrev_b64 v[11:12], 4, v[13:14]
	v_ashrrev_i32_e32 v16, 31, v15
	v_add_nc_u32_e32 v17, s9, v15
	s_movk_i32 s17, 0xa0
	s_add_i32 s25, s14, 16
	s_add_i32 s24, s15, 16
	v_add_co_u32 v11, vcc_lo, s5, v11
	v_add_co_ci_u32_e64 v12, null, s8, v12, vcc_lo
	v_lshlrev_b64 v[13:14], 4, v[15:16]
	v_ashrrev_i32_e32 v18, 31, v17
	v_add_nc_u32_e32 v19, s9, v17
	s_add_i32 s23, s16, 16
	s_add_i32 s22, s17, 16
	s_add_i32 s21, s18, 16
	v_add_co_u32 v13, vcc_lo, s5, v13
	v_add_co_ci_u32_e64 v14, null, s8, v14, vcc_lo
	v_lshlrev_b64 v[15:16], 4, v[17:18]
	v_ashrrev_i32_e32 v20, 31, v19
	v_add_nc_u32_e32 v21, s9, v19
	s_add_i32 s20, s19, 16
	;; [unrolled: 8-line block ×4, first 2 shown]
	s_waitcnt vmcnt(0) lgkmcnt(0)
	buffer_store_dword v4, off, s[0:3], 0 offset:28
	buffer_store_dword v3, off, s[0:3], 0 offset:24
	buffer_store_dword v2, off, s[0:3], 0 offset:20
	buffer_store_dword v1, off, s[0:3], 0 offset:16
	flat_load_dwordx4 v[1:4], v[7:8]
	v_add_co_u32 v19, vcc_lo, s5, v19
	v_add_co_ci_u32_e64 v20, null, s8, v20, vcc_lo
	v_lshlrev_b64 v[21:22], 4, v[23:24]
	v_ashrrev_i32_e32 v26, 31, v25
	v_add_nc_u32_e32 v27, s9, v25
	s_waitcnt vmcnt(0) lgkmcnt(0)
	buffer_store_dword v4, off, s[0:3], 0 offset:44
	buffer_store_dword v3, off, s[0:3], 0 offset:40
	buffer_store_dword v2, off, s[0:3], 0 offset:36
	buffer_store_dword v1, off, s[0:3], 0 offset:32
	flat_load_dwordx4 v[1:4], v[9:10]
	v_add_co_u32 v21, vcc_lo, s5, v21
	v_add_co_ci_u32_e64 v22, null, s8, v22, vcc_lo
	v_lshlrev_b64 v[23:24], 4, v[25:26]
	v_ashrrev_i32_e32 v28, 31, v27
	v_add_nc_u32_e32 v29, s9, v27
	;; [unrolled: 11-line block ×10, first 2 shown]
	s_waitcnt vmcnt(0) lgkmcnt(0)
	buffer_store_dword v4, off, s[0:3], 0 offset:188
	buffer_store_dword v3, off, s[0:3], 0 offset:184
	buffer_store_dword v2, off, s[0:3], 0 offset:180
	buffer_store_dword v1, off, s[0:3], 0 offset:176
	flat_load_dwordx4 v[1:4], v[27:28]
	v_add_co_u32 v39, vcc_lo, s5, v39
	v_add_co_ci_u32_e64 v40, null, s8, v40, vcc_lo
	v_lshlrev_b64 v[41:42], 4, v[43:44]
	v_ashrrev_i32_e32 v46, 31, v45
	s_waitcnt vmcnt(0) lgkmcnt(0)
	buffer_store_dword v4, off, s[0:3], 0 offset:204
	buffer_store_dword v3, off, s[0:3], 0 offset:200
	;; [unrolled: 1-line block ×4, first 2 shown]
	flat_load_dwordx4 v[1:4], v[29:30]
	v_add_co_u32 v41, vcc_lo, s5, v41
	v_add_co_ci_u32_e64 v42, null, s8, v42, vcc_lo
	v_lshlrev_b64 v[43:44], 4, v[45:46]
	v_add_nc_u32_e32 v45, s9, v45
	s_movk_i32 s9, 0x60
	s_waitcnt vmcnt(0) lgkmcnt(0)
	buffer_store_dword v4, off, s[0:3], 0 offset:220
	buffer_store_dword v3, off, s[0:3], 0 offset:216
	;; [unrolled: 1-line block ×4, first 2 shown]
	flat_load_dwordx4 v[1:4], v[31:32]
	v_add_co_u32 v43, vcc_lo, s5, v43
	v_add_co_ci_u32_e64 v44, null, s8, v44, vcc_lo
	v_ashrrev_i32_e32 v46, 31, v45
	s_add_i32 s26, s9, 16
	s_add_i32 s9, s40, 16
	s_waitcnt vmcnt(0) lgkmcnt(0)
	buffer_store_dword v4, off, s[0:3], 0 offset:236
	buffer_store_dword v3, off, s[0:3], 0 offset:232
	;; [unrolled: 1-line block ×4, first 2 shown]
	flat_load_dwordx4 v[1:4], v[33:34]
	v_lshlrev_b64 v[45:46], 4, v[45:46]
	s_waitcnt vmcnt(0) lgkmcnt(0)
	buffer_store_dword v4, off, s[0:3], 0 offset:252
	buffer_store_dword v3, off, s[0:3], 0 offset:248
	;; [unrolled: 1-line block ×4, first 2 shown]
	flat_load_dwordx4 v[1:4], v[35:36]
	v_add_co_u32 v45, vcc_lo, s5, v45
	v_add_co_ci_u32_e64 v46, null, s8, v46, vcc_lo
	s_movk_i32 s8, 0x50
	s_mov_b32 s5, -1
	s_add_i32 s27, s8, 16
	s_add_i32 s8, s41, 16
	s_bitcmp0_b32 s4, 0
	s_waitcnt vmcnt(0) lgkmcnt(0)
	buffer_store_dword v4, off, s[0:3], 0 offset:268
	buffer_store_dword v3, off, s[0:3], 0 offset:264
	buffer_store_dword v2, off, s[0:3], 0 offset:260
	buffer_store_dword v1, off, s[0:3], 0 offset:256
	flat_load_dwordx4 v[1:4], v[37:38]
	s_waitcnt vmcnt(0) lgkmcnt(0)
	buffer_store_dword v4, off, s[0:3], 0 offset:284
	buffer_store_dword v3, off, s[0:3], 0 offset:280
	buffer_store_dword v2, off, s[0:3], 0 offset:276
	buffer_store_dword v1, off, s[0:3], 0 offset:272
	flat_load_dwordx4 v[1:4], v[39:40]
	;; [unrolled: 6-line block ×5, first 2 shown]
	s_waitcnt vmcnt(0) lgkmcnt(0)
	buffer_store_dword v4, off, s[0:3], 0 offset:348
	buffer_store_dword v3, off, s[0:3], 0 offset:344
	;; [unrolled: 1-line block ×4, first 2 shown]
	s_cbranch_scc1 .LBB84_96
; %bb.4:
	v_cmp_eq_u32_e64 s4, 0, v0
	s_and_saveexec_b32 s5, s4
; %bb.5:
	v_mov_b32_e32 v1, 0
	ds_write_b32 v1, v1 offset:672
; %bb.6:
	s_or_b32 exec_lo, exec_lo, s5
	v_lshl_add_u32 v54, v0, 4, 16
	s_waitcnt lgkmcnt(0)
	s_waitcnt_vscnt null, 0x0
	s_barrier
	buffer_gl0_inv
	s_clause 0x3
	buffer_load_dword v1, v54, s[0:3], 0 offen
	buffer_load_dword v2, v54, s[0:3], 0 offen offset:4
	buffer_load_dword v3, v54, s[0:3], 0 offen offset:8
	;; [unrolled: 1-line block ×3, first 2 shown]
	s_waitcnt vmcnt(2)
	v_cmp_eq_f64_e32 vcc_lo, 0, v[1:2]
	s_waitcnt vmcnt(0)
	v_cmp_eq_f64_e64 s5, 0, v[3:4]
	s_and_b32 s5, vcc_lo, s5
	s_and_saveexec_b32 s34, s5
	s_cbranch_execz .LBB84_10
; %bb.7:
	v_mov_b32_e32 v1, 0
	s_mov_b32 s35, 0
	ds_read_b32 v2, v1 offset:672
	s_waitcnt lgkmcnt(0)
	v_readfirstlane_b32 s5, v2
	v_add_nc_u32_e32 v2, 1, v0
	s_cmp_eq_u32 s5, 0
	v_cmp_gt_i32_e32 vcc_lo, s5, v2
	s_cselect_b32 s36, -1, 0
	s_or_b32 s36, s36, vcc_lo
	s_and_b32 exec_lo, exec_lo, s36
	s_cbranch_execz .LBB84_10
; %bb.8:
	v_mov_b32_e32 v3, s5
.LBB84_9:                               ; =>This Inner Loop Header: Depth=1
	ds_cmpst_rtn_b32 v3, v1, v3, v2 offset:672
	s_waitcnt lgkmcnt(0)
	v_cmp_ne_u32_e32 vcc_lo, 0, v3
	v_cmp_le_i32_e64 s5, v3, v2
	s_and_b32 s5, vcc_lo, s5
	s_and_b32 s5, exec_lo, s5
	s_or_b32 s35, s5, s35
	s_andn2_b32 exec_lo, exec_lo, s35
	s_cbranch_execnz .LBB84_9
.LBB84_10:
	s_or_b32 exec_lo, exec_lo, s34
	v_mov_b32_e32 v1, 0
	s_barrier
	buffer_gl0_inv
	ds_read_b32 v2, v1 offset:672
	s_and_saveexec_b32 s5, s4
	s_cbranch_execz .LBB84_12
; %bb.11:
	s_lshl_b64 s[34:35], s[6:7], 2
	s_add_u32 s34, s10, s34
	s_addc_u32 s35, s11, s35
	s_waitcnt lgkmcnt(0)
	global_store_dword v1, v2, s[34:35]
.LBB84_12:
	s_or_b32 exec_lo, exec_lo, s5
	s_waitcnt lgkmcnt(0)
	v_cmp_ne_u32_e32 vcc_lo, 0, v2
	s_mov_b32 s5, 0
	s_cbranch_vccnz .LBB84_96
; %bb.13:
	s_clause 0x3
	buffer_load_dword v49, v54, s[0:3], 0 offen
	buffer_load_dword v50, v54, s[0:3], 0 offen offset:4
	buffer_load_dword v51, v54, s[0:3], 0 offen offset:8
	;; [unrolled: 1-line block ×3, first 2 shown]
                                        ; implicit-def: $vgpr47_vgpr48
                                        ; implicit-def: $vgpr3_vgpr4
	s_waitcnt vmcnt(0)
	v_cmp_ngt_f64_e64 s5, |v[49:50]|, |v[51:52]|
	s_and_saveexec_b32 s34, s5
	s_xor_b32 s5, exec_lo, s34
	s_cbranch_execz .LBB84_15
; %bb.14:
	v_div_scale_f64 v[1:2], null, v[51:52], v[51:52], v[49:50]
	v_div_scale_f64 v[55:56], vcc_lo, v[49:50], v[51:52], v[49:50]
	v_rcp_f64_e32 v[3:4], v[1:2]
	v_fma_f64 v[47:48], -v[1:2], v[3:4], 1.0
	v_fma_f64 v[3:4], v[3:4], v[47:48], v[3:4]
	v_fma_f64 v[47:48], -v[1:2], v[3:4], 1.0
	v_fma_f64 v[3:4], v[3:4], v[47:48], v[3:4]
	v_mul_f64 v[47:48], v[55:56], v[3:4]
	v_fma_f64 v[1:2], -v[1:2], v[47:48], v[55:56]
	v_div_fmas_f64 v[1:2], v[1:2], v[3:4], v[47:48]
	v_div_fixup_f64 v[1:2], v[1:2], v[51:52], v[49:50]
	v_fma_f64 v[3:4], v[49:50], v[1:2], v[51:52]
	v_div_scale_f64 v[47:48], null, v[3:4], v[3:4], 1.0
	v_div_scale_f64 v[55:56], vcc_lo, 1.0, v[3:4], 1.0
	v_rcp_f64_e32 v[49:50], v[47:48]
	v_fma_f64 v[51:52], -v[47:48], v[49:50], 1.0
	v_fma_f64 v[49:50], v[49:50], v[51:52], v[49:50]
	v_fma_f64 v[51:52], -v[47:48], v[49:50], 1.0
	v_fma_f64 v[49:50], v[49:50], v[51:52], v[49:50]
	v_mul_f64 v[51:52], v[55:56], v[49:50]
	v_fma_f64 v[47:48], -v[47:48], v[51:52], v[55:56]
	v_div_fmas_f64 v[47:48], v[47:48], v[49:50], v[51:52]
                                        ; implicit-def: $vgpr49_vgpr50
                                        ; implicit-def: $vgpr51_vgpr52
	v_div_fixup_f64 v[3:4], v[47:48], v[3:4], 1.0
	v_mul_f64 v[47:48], v[1:2], v[3:4]
	v_xor_b32_e32 v4, 0x80000000, v4
	v_xor_b32_e32 v2, 0x80000000, v48
	v_mov_b32_e32 v1, v47
.LBB84_15:
	s_andn2_saveexec_b32 s5, s5
	s_cbranch_execz .LBB84_17
; %bb.16:
	v_div_scale_f64 v[1:2], null, v[49:50], v[49:50], v[51:52]
	v_div_scale_f64 v[55:56], vcc_lo, v[51:52], v[49:50], v[51:52]
	v_rcp_f64_e32 v[3:4], v[1:2]
	v_fma_f64 v[47:48], -v[1:2], v[3:4], 1.0
	v_fma_f64 v[3:4], v[3:4], v[47:48], v[3:4]
	v_fma_f64 v[47:48], -v[1:2], v[3:4], 1.0
	v_fma_f64 v[3:4], v[3:4], v[47:48], v[3:4]
	v_mul_f64 v[47:48], v[55:56], v[3:4]
	v_fma_f64 v[1:2], -v[1:2], v[47:48], v[55:56]
	v_div_fmas_f64 v[1:2], v[1:2], v[3:4], v[47:48]
	v_div_fixup_f64 v[1:2], v[1:2], v[49:50], v[51:52]
	v_fma_f64 v[3:4], v[51:52], v[1:2], v[49:50]
	v_div_scale_f64 v[47:48], null, v[3:4], v[3:4], 1.0
	v_rcp_f64_e32 v[49:50], v[47:48]
	v_fma_f64 v[51:52], -v[47:48], v[49:50], 1.0
	v_fma_f64 v[49:50], v[49:50], v[51:52], v[49:50]
	v_fma_f64 v[51:52], -v[47:48], v[49:50], 1.0
	v_fma_f64 v[49:50], v[49:50], v[51:52], v[49:50]
	v_div_scale_f64 v[51:52], vcc_lo, 1.0, v[3:4], 1.0
	v_mul_f64 v[55:56], v[51:52], v[49:50]
	v_fma_f64 v[47:48], -v[47:48], v[55:56], v[51:52]
	v_div_fmas_f64 v[47:48], v[47:48], v[49:50], v[55:56]
	v_div_fixup_f64 v[47:48], v[47:48], v[3:4], 1.0
	v_mul_f64 v[3:4], v[1:2], -v[47:48]
	v_xor_b32_e32 v2, 0x80000000, v48
	v_mov_b32_e32 v1, v47
.LBB84_17:
	s_or_b32 exec_lo, exec_lo, s5
	v_mov_b32_e32 v52, s31
	buffer_store_dword v48, v54, s[0:3], 0 offen offset:4
	buffer_store_dword v47, v54, s[0:3], 0 offen
	buffer_store_dword v4, v54, s[0:3], 0 offen offset:12
	buffer_store_dword v3, v54, s[0:3], 0 offen offset:8
	v_xor_b32_e32 v4, 0x80000000, v4
	v_add_nc_u32_e32 v47, 0x150, v53
	s_clause 0x3
	buffer_load_dword v51, v52, s[0:3], 0 offen offset:12
	buffer_load_dword v50, v52, s[0:3], 0 offen offset:8
	;; [unrolled: 1-line block ×3, first 2 shown]
	buffer_load_dword v48, v52, s[0:3], 0 offen
	ds_write_b128 v53, v[1:4]
	s_waitcnt vmcnt(0)
	ds_write_b128 v53, v[48:51] offset:336
	s_waitcnt lgkmcnt(0)
	s_waitcnt_vscnt null, 0x0
	s_barrier
	buffer_gl0_inv
	s_and_saveexec_b32 s5, s4
	s_cbranch_execz .LBB84_19
; %bb.18:
	s_clause 0x3
	buffer_load_dword v55, v54, s[0:3], 0 offen offset:8
	buffer_load_dword v56, v54, s[0:3], 0 offen offset:12
	buffer_load_dword v57, v54, s[0:3], 0 offen
	buffer_load_dword v58, v54, s[0:3], 0 offen offset:4
	ds_read_b128 v[1:4], v47
	v_mov_b32_e32 v48, 0
	ds_read_b128 v[48:51], v48 offset:16
	s_waitcnt vmcnt(2) lgkmcnt(1)
	v_mul_f64 v[59:60], v[1:2], v[55:56]
	v_mul_f64 v[55:56], v[3:4], v[55:56]
	s_waitcnt vmcnt(0)
	v_fma_f64 v[3:4], v[3:4], v[57:58], v[59:60]
	v_fma_f64 v[1:2], v[1:2], v[57:58], -v[55:56]
	v_add_f64 v[3:4], v[3:4], 0
	v_add_f64 v[1:2], v[1:2], 0
	s_waitcnt lgkmcnt(0)
	v_mul_f64 v[55:56], v[3:4], v[50:51]
	v_mul_f64 v[50:51], v[1:2], v[50:51]
	v_fma_f64 v[1:2], v[1:2], v[48:49], -v[55:56]
	v_fma_f64 v[3:4], v[3:4], v[48:49], v[50:51]
	buffer_store_dword v1, off, s[0:3], 0 offset:32
	buffer_store_dword v2, off, s[0:3], 0 offset:36
	;; [unrolled: 1-line block ×4, first 2 shown]
.LBB84_19:
	s_or_b32 exec_lo, exec_lo, s5
	v_mov_b32_e32 v4, s30
	s_waitcnt_vscnt null, 0x0
	s_barrier
	buffer_gl0_inv
	s_mov_b32 s5, exec_lo
	s_clause 0x3
	buffer_load_dword v1, v4, s[0:3], 0 offen
	buffer_load_dword v2, v4, s[0:3], 0 offen offset:4
	buffer_load_dword v3, v4, s[0:3], 0 offen offset:8
	buffer_load_dword v4, v4, s[0:3], 0 offen offset:12
	s_waitcnt vmcnt(0)
	ds_write_b128 v47, v[1:4]
	s_waitcnt lgkmcnt(0)
	s_barrier
	buffer_gl0_inv
	v_cmpx_gt_u32_e32 2, v0
	s_cbranch_execz .LBB84_23
; %bb.20:
	s_clause 0x3
	buffer_load_dword v48, v54, s[0:3], 0 offen offset:8
	buffer_load_dword v49, v54, s[0:3], 0 offen offset:12
	buffer_load_dword v50, v54, s[0:3], 0 offen
	buffer_load_dword v51, v54, s[0:3], 0 offen offset:4
	ds_read_b128 v[1:4], v47
	s_waitcnt vmcnt(2) lgkmcnt(0)
	v_mul_f64 v[54:55], v[3:4], v[48:49]
	v_mul_f64 v[48:49], v[1:2], v[48:49]
	s_waitcnt vmcnt(0)
	v_fma_f64 v[1:2], v[1:2], v[50:51], -v[54:55]
	v_fma_f64 v[3:4], v[3:4], v[50:51], v[48:49]
	v_add_f64 v[1:2], v[1:2], 0
	v_add_f64 v[3:4], v[3:4], 0
	s_and_saveexec_b32 s34, s4
	s_cbranch_execz .LBB84_22
; %bb.21:
	s_clause 0x3
	buffer_load_dword v54, off, s[0:3], 0 offset:40
	buffer_load_dword v55, off, s[0:3], 0 offset:44
	;; [unrolled: 1-line block ×4, first 2 shown]
	v_mov_b32_e32 v48, 0
	ds_read_b128 v[48:51], v48 offset:352
	s_waitcnt vmcnt(2) lgkmcnt(0)
	v_mul_f64 v[58:59], v[48:49], v[54:55]
	v_mul_f64 v[54:55], v[50:51], v[54:55]
	s_waitcnt vmcnt(0)
	v_fma_f64 v[50:51], v[50:51], v[56:57], v[58:59]
	v_fma_f64 v[48:49], v[48:49], v[56:57], -v[54:55]
	v_add_f64 v[3:4], v[3:4], v[50:51]
	v_add_f64 v[1:2], v[1:2], v[48:49]
.LBB84_22:
	s_or_b32 exec_lo, exec_lo, s34
	v_mov_b32_e32 v48, 0
	ds_read_b128 v[48:51], v48 offset:32
	s_waitcnt lgkmcnt(0)
	v_mul_f64 v[54:55], v[3:4], v[50:51]
	v_mul_f64 v[50:51], v[1:2], v[50:51]
	v_fma_f64 v[1:2], v[1:2], v[48:49], -v[54:55]
	v_fma_f64 v[3:4], v[3:4], v[48:49], v[50:51]
	buffer_store_dword v2, off, s[0:3], 0 offset:52
	buffer_store_dword v1, off, s[0:3], 0 offset:48
	buffer_store_dword v4, off, s[0:3], 0 offset:60
	buffer_store_dword v3, off, s[0:3], 0 offset:56
.LBB84_23:
	s_or_b32 exec_lo, exec_lo, s5
	v_mov_b32_e32 v4, s29
	s_waitcnt_vscnt null, 0x0
	s_barrier
	buffer_gl0_inv
	v_add_nc_u32_e32 v48, -1, v0
	s_clause 0x3
	buffer_load_dword v1, v4, s[0:3], 0 offen
	buffer_load_dword v2, v4, s[0:3], 0 offen offset:4
	buffer_load_dword v3, v4, s[0:3], 0 offen offset:8
	;; [unrolled: 1-line block ×3, first 2 shown]
	s_mov_b32 s4, exec_lo
	s_waitcnt vmcnt(0)
	ds_write_b128 v47, v[1:4]
	s_waitcnt lgkmcnt(0)
	s_barrier
	buffer_gl0_inv
	v_cmpx_gt_u32_e32 3, v0
	s_cbranch_execz .LBB84_27
; %bb.24:
	v_mov_b32_e32 v1, 0
	v_mov_b32_e32 v3, 0
	v_add_nc_u32_e32 v49, -1, v0
	v_add_nc_u32_e32 v50, 0x150, v53
	v_mov_b32_e32 v2, 0
	v_mov_b32_e32 v4, 0
	v_add_nc_u32_e32 v51, 16, v53
	s_mov_b32 s5, 0
	.p2align	6
.LBB84_25:                              ; =>This Inner Loop Header: Depth=1
	s_clause 0x3
	buffer_load_dword v58, v51, s[0:3], 0 offen offset:8
	buffer_load_dword v59, v51, s[0:3], 0 offen offset:12
	buffer_load_dword v60, v51, s[0:3], 0 offen
	buffer_load_dword v61, v51, s[0:3], 0 offen offset:4
	ds_read_b128 v[54:57], v50
	v_add_nc_u32_e32 v49, 1, v49
	v_add_nc_u32_e32 v50, 16, v50
	;; [unrolled: 1-line block ×3, first 2 shown]
	v_cmp_lt_u32_e32 vcc_lo, 1, v49
	s_or_b32 s5, vcc_lo, s5
	s_waitcnt vmcnt(2) lgkmcnt(0)
	v_mul_f64 v[62:63], v[56:57], v[58:59]
	v_mul_f64 v[58:59], v[54:55], v[58:59]
	s_waitcnt vmcnt(0)
	v_fma_f64 v[54:55], v[54:55], v[60:61], -v[62:63]
	v_fma_f64 v[56:57], v[56:57], v[60:61], v[58:59]
	v_add_f64 v[3:4], v[3:4], v[54:55]
	v_add_f64 v[1:2], v[1:2], v[56:57]
	s_andn2_b32 exec_lo, exec_lo, s5
	s_cbranch_execnz .LBB84_25
; %bb.26:
	s_or_b32 exec_lo, exec_lo, s5
	v_mov_b32_e32 v49, 0
	ds_read_b128 v[49:52], v49 offset:48
	s_waitcnt lgkmcnt(0)
	v_mul_f64 v[54:55], v[1:2], v[51:52]
	v_mul_f64 v[51:52], v[3:4], v[51:52]
	v_fma_f64 v[3:4], v[3:4], v[49:50], -v[54:55]
	v_fma_f64 v[1:2], v[1:2], v[49:50], v[51:52]
	buffer_store_dword v4, off, s[0:3], 0 offset:68
	buffer_store_dword v3, off, s[0:3], 0 offset:64
	;; [unrolled: 1-line block ×4, first 2 shown]
.LBB84_27:
	s_or_b32 exec_lo, exec_lo, s4
	v_mov_b32_e32 v4, s28
	s_waitcnt_vscnt null, 0x0
	s_barrier
	buffer_gl0_inv
	s_mov_b32 s4, exec_lo
	s_clause 0x3
	buffer_load_dword v1, v4, s[0:3], 0 offen
	buffer_load_dword v2, v4, s[0:3], 0 offen offset:4
	buffer_load_dword v3, v4, s[0:3], 0 offen offset:8
	;; [unrolled: 1-line block ×3, first 2 shown]
	s_waitcnt vmcnt(0)
	ds_write_b128 v47, v[1:4]
	s_waitcnt lgkmcnt(0)
	s_barrier
	buffer_gl0_inv
	v_cmpx_gt_u32_e32 4, v0
	s_cbranch_execz .LBB84_31
; %bb.28:
	v_mov_b32_e32 v1, 0
	v_mov_b32_e32 v3, 0
	v_add_nc_u32_e32 v49, -1, v0
	v_add_nc_u32_e32 v50, 0x150, v53
	v_mov_b32_e32 v2, 0
	v_mov_b32_e32 v4, 0
	v_add_nc_u32_e32 v51, 16, v53
	s_mov_b32 s5, 0
	.p2align	6
.LBB84_29:                              ; =>This Inner Loop Header: Depth=1
	s_clause 0x3
	buffer_load_dword v58, v51, s[0:3], 0 offen offset:8
	buffer_load_dword v59, v51, s[0:3], 0 offen offset:12
	buffer_load_dword v60, v51, s[0:3], 0 offen
	buffer_load_dword v61, v51, s[0:3], 0 offen offset:4
	ds_read_b128 v[54:57], v50
	v_add_nc_u32_e32 v49, 1, v49
	v_add_nc_u32_e32 v50, 16, v50
	;; [unrolled: 1-line block ×3, first 2 shown]
	v_cmp_lt_u32_e32 vcc_lo, 2, v49
	s_or_b32 s5, vcc_lo, s5
	s_waitcnt vmcnt(2) lgkmcnt(0)
	v_mul_f64 v[62:63], v[56:57], v[58:59]
	v_mul_f64 v[58:59], v[54:55], v[58:59]
	s_waitcnt vmcnt(0)
	v_fma_f64 v[54:55], v[54:55], v[60:61], -v[62:63]
	v_fma_f64 v[56:57], v[56:57], v[60:61], v[58:59]
	v_add_f64 v[3:4], v[3:4], v[54:55]
	v_add_f64 v[1:2], v[1:2], v[56:57]
	s_andn2_b32 exec_lo, exec_lo, s5
	s_cbranch_execnz .LBB84_29
; %bb.30:
	s_or_b32 exec_lo, exec_lo, s5
	v_mov_b32_e32 v49, 0
	ds_read_b128 v[49:52], v49 offset:64
	s_waitcnt lgkmcnt(0)
	v_mul_f64 v[54:55], v[1:2], v[51:52]
	v_mul_f64 v[51:52], v[3:4], v[51:52]
	v_fma_f64 v[3:4], v[3:4], v[49:50], -v[54:55]
	v_fma_f64 v[1:2], v[1:2], v[49:50], v[51:52]
	buffer_store_dword v4, off, s[0:3], 0 offset:84
	buffer_store_dword v3, off, s[0:3], 0 offset:80
	;; [unrolled: 1-line block ×4, first 2 shown]
.LBB84_31:
	s_or_b32 exec_lo, exec_lo, s4
	v_mov_b32_e32 v4, s27
	s_waitcnt_vscnt null, 0x0
	s_barrier
	buffer_gl0_inv
	s_mov_b32 s4, exec_lo
	s_clause 0x3
	buffer_load_dword v1, v4, s[0:3], 0 offen
	buffer_load_dword v2, v4, s[0:3], 0 offen offset:4
	buffer_load_dword v3, v4, s[0:3], 0 offen offset:8
	;; [unrolled: 1-line block ×3, first 2 shown]
	s_waitcnt vmcnt(0)
	ds_write_b128 v47, v[1:4]
	s_waitcnt lgkmcnt(0)
	s_barrier
	buffer_gl0_inv
	v_cmpx_gt_u32_e32 5, v0
	s_cbranch_execz .LBB84_35
; %bb.32:
	v_mov_b32_e32 v1, 0
	v_mov_b32_e32 v3, 0
	v_add_nc_u32_e32 v49, -1, v0
	v_add_nc_u32_e32 v50, 0x150, v53
	v_mov_b32_e32 v2, 0
	v_mov_b32_e32 v4, 0
	v_add_nc_u32_e32 v51, 16, v53
	s_mov_b32 s5, 0
	.p2align	6
.LBB84_33:                              ; =>This Inner Loop Header: Depth=1
	s_clause 0x3
	buffer_load_dword v58, v51, s[0:3], 0 offen offset:8
	buffer_load_dword v59, v51, s[0:3], 0 offen offset:12
	buffer_load_dword v60, v51, s[0:3], 0 offen
	buffer_load_dword v61, v51, s[0:3], 0 offen offset:4
	ds_read_b128 v[54:57], v50
	v_add_nc_u32_e32 v49, 1, v49
	v_add_nc_u32_e32 v50, 16, v50
	;; [unrolled: 1-line block ×3, first 2 shown]
	v_cmp_lt_u32_e32 vcc_lo, 3, v49
	s_or_b32 s5, vcc_lo, s5
	s_waitcnt vmcnt(2) lgkmcnt(0)
	v_mul_f64 v[62:63], v[56:57], v[58:59]
	v_mul_f64 v[58:59], v[54:55], v[58:59]
	s_waitcnt vmcnt(0)
	v_fma_f64 v[54:55], v[54:55], v[60:61], -v[62:63]
	v_fma_f64 v[56:57], v[56:57], v[60:61], v[58:59]
	v_add_f64 v[3:4], v[3:4], v[54:55]
	v_add_f64 v[1:2], v[1:2], v[56:57]
	s_andn2_b32 exec_lo, exec_lo, s5
	s_cbranch_execnz .LBB84_33
; %bb.34:
	s_or_b32 exec_lo, exec_lo, s5
	v_mov_b32_e32 v49, 0
	ds_read_b128 v[49:52], v49 offset:80
	s_waitcnt lgkmcnt(0)
	v_mul_f64 v[54:55], v[1:2], v[51:52]
	v_mul_f64 v[51:52], v[3:4], v[51:52]
	v_fma_f64 v[3:4], v[3:4], v[49:50], -v[54:55]
	v_fma_f64 v[1:2], v[1:2], v[49:50], v[51:52]
	buffer_store_dword v4, off, s[0:3], 0 offset:100
	buffer_store_dword v3, off, s[0:3], 0 offset:96
	;; [unrolled: 1-line block ×4, first 2 shown]
.LBB84_35:
	s_or_b32 exec_lo, exec_lo, s4
	v_mov_b32_e32 v4, s26
	s_waitcnt_vscnt null, 0x0
	s_barrier
	buffer_gl0_inv
	s_mov_b32 s4, exec_lo
	s_clause 0x3
	buffer_load_dword v1, v4, s[0:3], 0 offen
	buffer_load_dword v2, v4, s[0:3], 0 offen offset:4
	buffer_load_dword v3, v4, s[0:3], 0 offen offset:8
	;; [unrolled: 1-line block ×3, first 2 shown]
	s_waitcnt vmcnt(0)
	ds_write_b128 v47, v[1:4]
	s_waitcnt lgkmcnt(0)
	s_barrier
	buffer_gl0_inv
	v_cmpx_gt_u32_e32 6, v0
	s_cbranch_execz .LBB84_39
; %bb.36:
	v_mov_b32_e32 v1, 0
	v_mov_b32_e32 v3, 0
	v_add_nc_u32_e32 v49, -1, v0
	v_add_nc_u32_e32 v50, 0x150, v53
	v_mov_b32_e32 v2, 0
	v_mov_b32_e32 v4, 0
	v_add_nc_u32_e32 v51, 16, v53
	s_mov_b32 s5, 0
	.p2align	6
.LBB84_37:                              ; =>This Inner Loop Header: Depth=1
	s_clause 0x3
	buffer_load_dword v58, v51, s[0:3], 0 offen offset:8
	buffer_load_dword v59, v51, s[0:3], 0 offen offset:12
	buffer_load_dword v60, v51, s[0:3], 0 offen
	buffer_load_dword v61, v51, s[0:3], 0 offen offset:4
	ds_read_b128 v[54:57], v50
	v_add_nc_u32_e32 v49, 1, v49
	v_add_nc_u32_e32 v50, 16, v50
	;; [unrolled: 1-line block ×3, first 2 shown]
	v_cmp_lt_u32_e32 vcc_lo, 4, v49
	s_or_b32 s5, vcc_lo, s5
	s_waitcnt vmcnt(2) lgkmcnt(0)
	v_mul_f64 v[62:63], v[56:57], v[58:59]
	v_mul_f64 v[58:59], v[54:55], v[58:59]
	s_waitcnt vmcnt(0)
	v_fma_f64 v[54:55], v[54:55], v[60:61], -v[62:63]
	v_fma_f64 v[56:57], v[56:57], v[60:61], v[58:59]
	v_add_f64 v[3:4], v[3:4], v[54:55]
	v_add_f64 v[1:2], v[1:2], v[56:57]
	s_andn2_b32 exec_lo, exec_lo, s5
	s_cbranch_execnz .LBB84_37
; %bb.38:
	s_or_b32 exec_lo, exec_lo, s5
	v_mov_b32_e32 v49, 0
	ds_read_b128 v[49:52], v49 offset:96
	s_waitcnt lgkmcnt(0)
	v_mul_f64 v[54:55], v[1:2], v[51:52]
	v_mul_f64 v[51:52], v[3:4], v[51:52]
	v_fma_f64 v[3:4], v[3:4], v[49:50], -v[54:55]
	v_fma_f64 v[1:2], v[1:2], v[49:50], v[51:52]
	buffer_store_dword v4, off, s[0:3], 0 offset:116
	buffer_store_dword v3, off, s[0:3], 0 offset:112
	;; [unrolled: 1-line block ×4, first 2 shown]
.LBB84_39:
	s_or_b32 exec_lo, exec_lo, s4
	v_mov_b32_e32 v4, s25
	s_waitcnt_vscnt null, 0x0
	s_barrier
	buffer_gl0_inv
	s_mov_b32 s4, exec_lo
	s_clause 0x3
	buffer_load_dword v1, v4, s[0:3], 0 offen
	buffer_load_dword v2, v4, s[0:3], 0 offen offset:4
	buffer_load_dword v3, v4, s[0:3], 0 offen offset:8
	;; [unrolled: 1-line block ×3, first 2 shown]
	s_waitcnt vmcnt(0)
	ds_write_b128 v47, v[1:4]
	s_waitcnt lgkmcnt(0)
	s_barrier
	buffer_gl0_inv
	v_cmpx_gt_u32_e32 7, v0
	s_cbranch_execz .LBB84_43
; %bb.40:
	v_mov_b32_e32 v1, 0
	v_mov_b32_e32 v3, 0
	v_add_nc_u32_e32 v49, -1, v0
	v_add_nc_u32_e32 v50, 0x150, v53
	v_mov_b32_e32 v2, 0
	v_mov_b32_e32 v4, 0
	v_add_nc_u32_e32 v51, 16, v53
	s_mov_b32 s5, 0
	.p2align	6
.LBB84_41:                              ; =>This Inner Loop Header: Depth=1
	s_clause 0x3
	buffer_load_dword v58, v51, s[0:3], 0 offen offset:8
	buffer_load_dword v59, v51, s[0:3], 0 offen offset:12
	buffer_load_dword v60, v51, s[0:3], 0 offen
	buffer_load_dword v61, v51, s[0:3], 0 offen offset:4
	ds_read_b128 v[54:57], v50
	v_add_nc_u32_e32 v49, 1, v49
	v_add_nc_u32_e32 v50, 16, v50
	;; [unrolled: 1-line block ×3, first 2 shown]
	v_cmp_lt_u32_e32 vcc_lo, 5, v49
	s_or_b32 s5, vcc_lo, s5
	s_waitcnt vmcnt(2) lgkmcnt(0)
	v_mul_f64 v[62:63], v[56:57], v[58:59]
	v_mul_f64 v[58:59], v[54:55], v[58:59]
	s_waitcnt vmcnt(0)
	v_fma_f64 v[54:55], v[54:55], v[60:61], -v[62:63]
	v_fma_f64 v[56:57], v[56:57], v[60:61], v[58:59]
	v_add_f64 v[3:4], v[3:4], v[54:55]
	v_add_f64 v[1:2], v[1:2], v[56:57]
	s_andn2_b32 exec_lo, exec_lo, s5
	s_cbranch_execnz .LBB84_41
; %bb.42:
	s_or_b32 exec_lo, exec_lo, s5
	v_mov_b32_e32 v49, 0
	ds_read_b128 v[49:52], v49 offset:112
	s_waitcnt lgkmcnt(0)
	v_mul_f64 v[54:55], v[1:2], v[51:52]
	v_mul_f64 v[51:52], v[3:4], v[51:52]
	v_fma_f64 v[3:4], v[3:4], v[49:50], -v[54:55]
	v_fma_f64 v[1:2], v[1:2], v[49:50], v[51:52]
	buffer_store_dword v4, off, s[0:3], 0 offset:132
	buffer_store_dword v3, off, s[0:3], 0 offset:128
	;; [unrolled: 1-line block ×4, first 2 shown]
.LBB84_43:
	s_or_b32 exec_lo, exec_lo, s4
	v_mov_b32_e32 v4, s24
	s_waitcnt_vscnt null, 0x0
	s_barrier
	buffer_gl0_inv
	s_mov_b32 s4, exec_lo
	s_clause 0x3
	buffer_load_dword v1, v4, s[0:3], 0 offen
	buffer_load_dword v2, v4, s[0:3], 0 offen offset:4
	buffer_load_dword v3, v4, s[0:3], 0 offen offset:8
	;; [unrolled: 1-line block ×3, first 2 shown]
	s_waitcnt vmcnt(0)
	ds_write_b128 v47, v[1:4]
	s_waitcnt lgkmcnt(0)
	s_barrier
	buffer_gl0_inv
	v_cmpx_gt_u32_e32 8, v0
	s_cbranch_execz .LBB84_47
; %bb.44:
	v_mov_b32_e32 v1, 0
	v_mov_b32_e32 v3, 0
	v_add_nc_u32_e32 v49, -1, v0
	v_add_nc_u32_e32 v50, 0x150, v53
	v_mov_b32_e32 v2, 0
	v_mov_b32_e32 v4, 0
	v_add_nc_u32_e32 v51, 16, v53
	s_mov_b32 s5, 0
	.p2align	6
.LBB84_45:                              ; =>This Inner Loop Header: Depth=1
	s_clause 0x3
	buffer_load_dword v58, v51, s[0:3], 0 offen offset:8
	buffer_load_dword v59, v51, s[0:3], 0 offen offset:12
	buffer_load_dword v60, v51, s[0:3], 0 offen
	buffer_load_dword v61, v51, s[0:3], 0 offen offset:4
	ds_read_b128 v[54:57], v50
	v_add_nc_u32_e32 v49, 1, v49
	v_add_nc_u32_e32 v50, 16, v50
	;; [unrolled: 1-line block ×3, first 2 shown]
	v_cmp_lt_u32_e32 vcc_lo, 6, v49
	s_or_b32 s5, vcc_lo, s5
	s_waitcnt vmcnt(2) lgkmcnt(0)
	v_mul_f64 v[62:63], v[56:57], v[58:59]
	v_mul_f64 v[58:59], v[54:55], v[58:59]
	s_waitcnt vmcnt(0)
	v_fma_f64 v[54:55], v[54:55], v[60:61], -v[62:63]
	v_fma_f64 v[56:57], v[56:57], v[60:61], v[58:59]
	v_add_f64 v[3:4], v[3:4], v[54:55]
	v_add_f64 v[1:2], v[1:2], v[56:57]
	s_andn2_b32 exec_lo, exec_lo, s5
	s_cbranch_execnz .LBB84_45
; %bb.46:
	s_or_b32 exec_lo, exec_lo, s5
	v_mov_b32_e32 v49, 0
	ds_read_b128 v[49:52], v49 offset:128
	s_waitcnt lgkmcnt(0)
	v_mul_f64 v[54:55], v[1:2], v[51:52]
	v_mul_f64 v[51:52], v[3:4], v[51:52]
	v_fma_f64 v[3:4], v[3:4], v[49:50], -v[54:55]
	v_fma_f64 v[1:2], v[1:2], v[49:50], v[51:52]
	buffer_store_dword v4, off, s[0:3], 0 offset:148
	buffer_store_dword v3, off, s[0:3], 0 offset:144
	;; [unrolled: 1-line block ×4, first 2 shown]
.LBB84_47:
	s_or_b32 exec_lo, exec_lo, s4
	v_mov_b32_e32 v4, s23
	s_waitcnt_vscnt null, 0x0
	s_barrier
	buffer_gl0_inv
	s_mov_b32 s4, exec_lo
	s_clause 0x3
	buffer_load_dword v1, v4, s[0:3], 0 offen
	buffer_load_dword v2, v4, s[0:3], 0 offen offset:4
	buffer_load_dword v3, v4, s[0:3], 0 offen offset:8
	;; [unrolled: 1-line block ×3, first 2 shown]
	s_waitcnt vmcnt(0)
	ds_write_b128 v47, v[1:4]
	s_waitcnt lgkmcnt(0)
	s_barrier
	buffer_gl0_inv
	v_cmpx_gt_u32_e32 9, v0
	s_cbranch_execz .LBB84_51
; %bb.48:
	v_mov_b32_e32 v1, 0
	v_mov_b32_e32 v3, 0
	v_add_nc_u32_e32 v49, -1, v0
	v_add_nc_u32_e32 v50, 0x150, v53
	v_mov_b32_e32 v2, 0
	v_mov_b32_e32 v4, 0
	v_add_nc_u32_e32 v51, 16, v53
	s_mov_b32 s5, 0
	.p2align	6
.LBB84_49:                              ; =>This Inner Loop Header: Depth=1
	s_clause 0x3
	buffer_load_dword v58, v51, s[0:3], 0 offen offset:8
	buffer_load_dword v59, v51, s[0:3], 0 offen offset:12
	buffer_load_dword v60, v51, s[0:3], 0 offen
	buffer_load_dword v61, v51, s[0:3], 0 offen offset:4
	ds_read_b128 v[54:57], v50
	v_add_nc_u32_e32 v49, 1, v49
	v_add_nc_u32_e32 v50, 16, v50
	;; [unrolled: 1-line block ×3, first 2 shown]
	v_cmp_lt_u32_e32 vcc_lo, 7, v49
	s_or_b32 s5, vcc_lo, s5
	s_waitcnt vmcnt(2) lgkmcnt(0)
	v_mul_f64 v[62:63], v[56:57], v[58:59]
	v_mul_f64 v[58:59], v[54:55], v[58:59]
	s_waitcnt vmcnt(0)
	v_fma_f64 v[54:55], v[54:55], v[60:61], -v[62:63]
	v_fma_f64 v[56:57], v[56:57], v[60:61], v[58:59]
	v_add_f64 v[3:4], v[3:4], v[54:55]
	v_add_f64 v[1:2], v[1:2], v[56:57]
	s_andn2_b32 exec_lo, exec_lo, s5
	s_cbranch_execnz .LBB84_49
; %bb.50:
	s_or_b32 exec_lo, exec_lo, s5
	v_mov_b32_e32 v49, 0
	ds_read_b128 v[49:52], v49 offset:144
	s_waitcnt lgkmcnt(0)
	v_mul_f64 v[54:55], v[1:2], v[51:52]
	v_mul_f64 v[51:52], v[3:4], v[51:52]
	v_fma_f64 v[3:4], v[3:4], v[49:50], -v[54:55]
	v_fma_f64 v[1:2], v[1:2], v[49:50], v[51:52]
	buffer_store_dword v4, off, s[0:3], 0 offset:164
	buffer_store_dword v3, off, s[0:3], 0 offset:160
	;; [unrolled: 1-line block ×4, first 2 shown]
.LBB84_51:
	s_or_b32 exec_lo, exec_lo, s4
	v_mov_b32_e32 v4, s22
	s_waitcnt_vscnt null, 0x0
	s_barrier
	buffer_gl0_inv
	s_mov_b32 s4, exec_lo
	s_clause 0x3
	buffer_load_dword v1, v4, s[0:3], 0 offen
	buffer_load_dword v2, v4, s[0:3], 0 offen offset:4
	buffer_load_dword v3, v4, s[0:3], 0 offen offset:8
	;; [unrolled: 1-line block ×3, first 2 shown]
	s_waitcnt vmcnt(0)
	ds_write_b128 v47, v[1:4]
	s_waitcnt lgkmcnt(0)
	s_barrier
	buffer_gl0_inv
	v_cmpx_gt_u32_e32 10, v0
	s_cbranch_execz .LBB84_55
; %bb.52:
	v_mov_b32_e32 v1, 0
	v_mov_b32_e32 v3, 0
	v_add_nc_u32_e32 v49, -1, v0
	v_add_nc_u32_e32 v50, 0x150, v53
	v_mov_b32_e32 v2, 0
	v_mov_b32_e32 v4, 0
	v_add_nc_u32_e32 v51, 16, v53
	s_mov_b32 s5, 0
	.p2align	6
.LBB84_53:                              ; =>This Inner Loop Header: Depth=1
	s_clause 0x3
	buffer_load_dword v58, v51, s[0:3], 0 offen offset:8
	buffer_load_dword v59, v51, s[0:3], 0 offen offset:12
	buffer_load_dword v60, v51, s[0:3], 0 offen
	buffer_load_dword v61, v51, s[0:3], 0 offen offset:4
	ds_read_b128 v[54:57], v50
	v_add_nc_u32_e32 v49, 1, v49
	v_add_nc_u32_e32 v50, 16, v50
	;; [unrolled: 1-line block ×3, first 2 shown]
	v_cmp_lt_u32_e32 vcc_lo, 8, v49
	s_or_b32 s5, vcc_lo, s5
	s_waitcnt vmcnt(2) lgkmcnt(0)
	v_mul_f64 v[62:63], v[56:57], v[58:59]
	v_mul_f64 v[58:59], v[54:55], v[58:59]
	s_waitcnt vmcnt(0)
	v_fma_f64 v[54:55], v[54:55], v[60:61], -v[62:63]
	v_fma_f64 v[56:57], v[56:57], v[60:61], v[58:59]
	v_add_f64 v[3:4], v[3:4], v[54:55]
	v_add_f64 v[1:2], v[1:2], v[56:57]
	s_andn2_b32 exec_lo, exec_lo, s5
	s_cbranch_execnz .LBB84_53
; %bb.54:
	s_or_b32 exec_lo, exec_lo, s5
	v_mov_b32_e32 v49, 0
	ds_read_b128 v[49:52], v49 offset:160
	s_waitcnt lgkmcnt(0)
	v_mul_f64 v[54:55], v[1:2], v[51:52]
	v_mul_f64 v[51:52], v[3:4], v[51:52]
	v_fma_f64 v[3:4], v[3:4], v[49:50], -v[54:55]
	v_fma_f64 v[1:2], v[1:2], v[49:50], v[51:52]
	buffer_store_dword v4, off, s[0:3], 0 offset:180
	buffer_store_dword v3, off, s[0:3], 0 offset:176
	;; [unrolled: 1-line block ×4, first 2 shown]
.LBB84_55:
	s_or_b32 exec_lo, exec_lo, s4
	v_mov_b32_e32 v4, s21
	s_waitcnt_vscnt null, 0x0
	s_barrier
	buffer_gl0_inv
	s_mov_b32 s4, exec_lo
	s_clause 0x3
	buffer_load_dword v1, v4, s[0:3], 0 offen
	buffer_load_dword v2, v4, s[0:3], 0 offen offset:4
	buffer_load_dword v3, v4, s[0:3], 0 offen offset:8
	;; [unrolled: 1-line block ×3, first 2 shown]
	s_waitcnt vmcnt(0)
	ds_write_b128 v47, v[1:4]
	s_waitcnt lgkmcnt(0)
	s_barrier
	buffer_gl0_inv
	v_cmpx_gt_u32_e32 11, v0
	s_cbranch_execz .LBB84_59
; %bb.56:
	v_mov_b32_e32 v1, 0
	v_mov_b32_e32 v3, 0
	v_add_nc_u32_e32 v49, -1, v0
	v_add_nc_u32_e32 v50, 0x150, v53
	v_mov_b32_e32 v2, 0
	v_mov_b32_e32 v4, 0
	v_add_nc_u32_e32 v51, 16, v53
	s_mov_b32 s5, 0
	.p2align	6
.LBB84_57:                              ; =>This Inner Loop Header: Depth=1
	s_clause 0x3
	buffer_load_dword v58, v51, s[0:3], 0 offen offset:8
	buffer_load_dword v59, v51, s[0:3], 0 offen offset:12
	buffer_load_dword v60, v51, s[0:3], 0 offen
	buffer_load_dword v61, v51, s[0:3], 0 offen offset:4
	ds_read_b128 v[54:57], v50
	v_add_nc_u32_e32 v49, 1, v49
	v_add_nc_u32_e32 v50, 16, v50
	;; [unrolled: 1-line block ×3, first 2 shown]
	v_cmp_lt_u32_e32 vcc_lo, 9, v49
	s_or_b32 s5, vcc_lo, s5
	s_waitcnt vmcnt(2) lgkmcnt(0)
	v_mul_f64 v[62:63], v[56:57], v[58:59]
	v_mul_f64 v[58:59], v[54:55], v[58:59]
	s_waitcnt vmcnt(0)
	v_fma_f64 v[54:55], v[54:55], v[60:61], -v[62:63]
	v_fma_f64 v[56:57], v[56:57], v[60:61], v[58:59]
	v_add_f64 v[3:4], v[3:4], v[54:55]
	v_add_f64 v[1:2], v[1:2], v[56:57]
	s_andn2_b32 exec_lo, exec_lo, s5
	s_cbranch_execnz .LBB84_57
; %bb.58:
	s_or_b32 exec_lo, exec_lo, s5
	v_mov_b32_e32 v49, 0
	ds_read_b128 v[49:52], v49 offset:176
	s_waitcnt lgkmcnt(0)
	v_mul_f64 v[54:55], v[1:2], v[51:52]
	v_mul_f64 v[51:52], v[3:4], v[51:52]
	v_fma_f64 v[3:4], v[3:4], v[49:50], -v[54:55]
	v_fma_f64 v[1:2], v[1:2], v[49:50], v[51:52]
	buffer_store_dword v4, off, s[0:3], 0 offset:196
	buffer_store_dword v3, off, s[0:3], 0 offset:192
	;; [unrolled: 1-line block ×4, first 2 shown]
.LBB84_59:
	s_or_b32 exec_lo, exec_lo, s4
	v_mov_b32_e32 v4, s20
	s_waitcnt_vscnt null, 0x0
	s_barrier
	buffer_gl0_inv
	s_mov_b32 s4, exec_lo
	s_clause 0x3
	buffer_load_dword v1, v4, s[0:3], 0 offen
	buffer_load_dword v2, v4, s[0:3], 0 offen offset:4
	buffer_load_dword v3, v4, s[0:3], 0 offen offset:8
	;; [unrolled: 1-line block ×3, first 2 shown]
	s_waitcnt vmcnt(0)
	ds_write_b128 v47, v[1:4]
	s_waitcnt lgkmcnt(0)
	s_barrier
	buffer_gl0_inv
	v_cmpx_gt_u32_e32 12, v0
	s_cbranch_execz .LBB84_63
; %bb.60:
	v_mov_b32_e32 v1, 0
	v_mov_b32_e32 v3, 0
	v_add_nc_u32_e32 v49, -1, v0
	v_add_nc_u32_e32 v50, 0x150, v53
	v_mov_b32_e32 v2, 0
	v_mov_b32_e32 v4, 0
	v_add_nc_u32_e32 v51, 16, v53
	s_mov_b32 s5, 0
	.p2align	6
.LBB84_61:                              ; =>This Inner Loop Header: Depth=1
	s_clause 0x3
	buffer_load_dword v58, v51, s[0:3], 0 offen offset:8
	buffer_load_dword v59, v51, s[0:3], 0 offen offset:12
	buffer_load_dword v60, v51, s[0:3], 0 offen
	buffer_load_dword v61, v51, s[0:3], 0 offen offset:4
	ds_read_b128 v[54:57], v50
	v_add_nc_u32_e32 v49, 1, v49
	v_add_nc_u32_e32 v50, 16, v50
	;; [unrolled: 1-line block ×3, first 2 shown]
	v_cmp_lt_u32_e32 vcc_lo, 10, v49
	s_or_b32 s5, vcc_lo, s5
	s_waitcnt vmcnt(2) lgkmcnt(0)
	v_mul_f64 v[62:63], v[56:57], v[58:59]
	v_mul_f64 v[58:59], v[54:55], v[58:59]
	s_waitcnt vmcnt(0)
	v_fma_f64 v[54:55], v[54:55], v[60:61], -v[62:63]
	v_fma_f64 v[56:57], v[56:57], v[60:61], v[58:59]
	v_add_f64 v[3:4], v[3:4], v[54:55]
	v_add_f64 v[1:2], v[1:2], v[56:57]
	s_andn2_b32 exec_lo, exec_lo, s5
	s_cbranch_execnz .LBB84_61
; %bb.62:
	s_or_b32 exec_lo, exec_lo, s5
	v_mov_b32_e32 v49, 0
	ds_read_b128 v[49:52], v49 offset:192
	s_waitcnt lgkmcnt(0)
	v_mul_f64 v[54:55], v[1:2], v[51:52]
	v_mul_f64 v[51:52], v[3:4], v[51:52]
	v_fma_f64 v[3:4], v[3:4], v[49:50], -v[54:55]
	v_fma_f64 v[1:2], v[1:2], v[49:50], v[51:52]
	buffer_store_dword v4, off, s[0:3], 0 offset:212
	buffer_store_dword v3, off, s[0:3], 0 offset:208
	;; [unrolled: 1-line block ×4, first 2 shown]
.LBB84_63:
	s_or_b32 exec_lo, exec_lo, s4
	v_mov_b32_e32 v4, s19
	s_waitcnt_vscnt null, 0x0
	s_barrier
	buffer_gl0_inv
	s_mov_b32 s4, exec_lo
	s_clause 0x3
	buffer_load_dword v1, v4, s[0:3], 0 offen
	buffer_load_dword v2, v4, s[0:3], 0 offen offset:4
	buffer_load_dword v3, v4, s[0:3], 0 offen offset:8
	buffer_load_dword v4, v4, s[0:3], 0 offen offset:12
	s_waitcnt vmcnt(0)
	ds_write_b128 v47, v[1:4]
	s_waitcnt lgkmcnt(0)
	s_barrier
	buffer_gl0_inv
	v_cmpx_gt_u32_e32 13, v0
	s_cbranch_execz .LBB84_67
; %bb.64:
	v_mov_b32_e32 v1, 0
	v_mov_b32_e32 v3, 0
	v_add_nc_u32_e32 v49, -1, v0
	v_add_nc_u32_e32 v50, 0x150, v53
	v_mov_b32_e32 v2, 0
	v_mov_b32_e32 v4, 0
	v_add_nc_u32_e32 v51, 16, v53
	s_mov_b32 s5, 0
	.p2align	6
.LBB84_65:                              ; =>This Inner Loop Header: Depth=1
	s_clause 0x3
	buffer_load_dword v58, v51, s[0:3], 0 offen offset:8
	buffer_load_dword v59, v51, s[0:3], 0 offen offset:12
	buffer_load_dword v60, v51, s[0:3], 0 offen
	buffer_load_dword v61, v51, s[0:3], 0 offen offset:4
	ds_read_b128 v[54:57], v50
	v_add_nc_u32_e32 v49, 1, v49
	v_add_nc_u32_e32 v50, 16, v50
	;; [unrolled: 1-line block ×3, first 2 shown]
	v_cmp_lt_u32_e32 vcc_lo, 11, v49
	s_or_b32 s5, vcc_lo, s5
	s_waitcnt vmcnt(2) lgkmcnt(0)
	v_mul_f64 v[62:63], v[56:57], v[58:59]
	v_mul_f64 v[58:59], v[54:55], v[58:59]
	s_waitcnt vmcnt(0)
	v_fma_f64 v[54:55], v[54:55], v[60:61], -v[62:63]
	v_fma_f64 v[56:57], v[56:57], v[60:61], v[58:59]
	v_add_f64 v[3:4], v[3:4], v[54:55]
	v_add_f64 v[1:2], v[1:2], v[56:57]
	s_andn2_b32 exec_lo, exec_lo, s5
	s_cbranch_execnz .LBB84_65
; %bb.66:
	s_or_b32 exec_lo, exec_lo, s5
	v_mov_b32_e32 v49, 0
	ds_read_b128 v[49:52], v49 offset:208
	s_waitcnt lgkmcnt(0)
	v_mul_f64 v[54:55], v[1:2], v[51:52]
	v_mul_f64 v[51:52], v[3:4], v[51:52]
	v_fma_f64 v[3:4], v[3:4], v[49:50], -v[54:55]
	v_fma_f64 v[1:2], v[1:2], v[49:50], v[51:52]
	buffer_store_dword v4, off, s[0:3], 0 offset:228
	buffer_store_dword v3, off, s[0:3], 0 offset:224
	;; [unrolled: 1-line block ×4, first 2 shown]
.LBB84_67:
	s_or_b32 exec_lo, exec_lo, s4
	v_mov_b32_e32 v4, s18
	s_waitcnt_vscnt null, 0x0
	s_barrier
	buffer_gl0_inv
	s_mov_b32 s4, exec_lo
	s_clause 0x3
	buffer_load_dword v1, v4, s[0:3], 0 offen
	buffer_load_dword v2, v4, s[0:3], 0 offen offset:4
	buffer_load_dword v3, v4, s[0:3], 0 offen offset:8
	;; [unrolled: 1-line block ×3, first 2 shown]
	s_waitcnt vmcnt(0)
	ds_write_b128 v47, v[1:4]
	s_waitcnt lgkmcnt(0)
	s_barrier
	buffer_gl0_inv
	v_cmpx_gt_u32_e32 14, v0
	s_cbranch_execz .LBB84_71
; %bb.68:
	v_mov_b32_e32 v1, 0
	v_mov_b32_e32 v3, 0
	v_add_nc_u32_e32 v49, -1, v0
	v_add_nc_u32_e32 v50, 0x150, v53
	v_mov_b32_e32 v2, 0
	v_mov_b32_e32 v4, 0
	v_add_nc_u32_e32 v51, 16, v53
	s_mov_b32 s5, 0
	.p2align	6
.LBB84_69:                              ; =>This Inner Loop Header: Depth=1
	s_clause 0x3
	buffer_load_dword v58, v51, s[0:3], 0 offen offset:8
	buffer_load_dword v59, v51, s[0:3], 0 offen offset:12
	buffer_load_dword v60, v51, s[0:3], 0 offen
	buffer_load_dword v61, v51, s[0:3], 0 offen offset:4
	ds_read_b128 v[54:57], v50
	v_add_nc_u32_e32 v49, 1, v49
	v_add_nc_u32_e32 v50, 16, v50
	;; [unrolled: 1-line block ×3, first 2 shown]
	v_cmp_lt_u32_e32 vcc_lo, 12, v49
	s_or_b32 s5, vcc_lo, s5
	s_waitcnt vmcnt(2) lgkmcnt(0)
	v_mul_f64 v[62:63], v[56:57], v[58:59]
	v_mul_f64 v[58:59], v[54:55], v[58:59]
	s_waitcnt vmcnt(0)
	v_fma_f64 v[54:55], v[54:55], v[60:61], -v[62:63]
	v_fma_f64 v[56:57], v[56:57], v[60:61], v[58:59]
	v_add_f64 v[3:4], v[3:4], v[54:55]
	v_add_f64 v[1:2], v[1:2], v[56:57]
	s_andn2_b32 exec_lo, exec_lo, s5
	s_cbranch_execnz .LBB84_69
; %bb.70:
	s_or_b32 exec_lo, exec_lo, s5
	v_mov_b32_e32 v49, 0
	ds_read_b128 v[49:52], v49 offset:224
	s_waitcnt lgkmcnt(0)
	v_mul_f64 v[54:55], v[1:2], v[51:52]
	v_mul_f64 v[51:52], v[3:4], v[51:52]
	v_fma_f64 v[3:4], v[3:4], v[49:50], -v[54:55]
	v_fma_f64 v[1:2], v[1:2], v[49:50], v[51:52]
	buffer_store_dword v4, off, s[0:3], 0 offset:244
	buffer_store_dword v3, off, s[0:3], 0 offset:240
	;; [unrolled: 1-line block ×4, first 2 shown]
.LBB84_71:
	s_or_b32 exec_lo, exec_lo, s4
	v_mov_b32_e32 v4, s17
	s_waitcnt_vscnt null, 0x0
	s_barrier
	buffer_gl0_inv
	s_mov_b32 s4, exec_lo
	s_clause 0x3
	buffer_load_dword v1, v4, s[0:3], 0 offen
	buffer_load_dword v2, v4, s[0:3], 0 offen offset:4
	buffer_load_dword v3, v4, s[0:3], 0 offen offset:8
	;; [unrolled: 1-line block ×3, first 2 shown]
	s_waitcnt vmcnt(0)
	ds_write_b128 v47, v[1:4]
	s_waitcnt lgkmcnt(0)
	s_barrier
	buffer_gl0_inv
	v_cmpx_gt_u32_e32 15, v0
	s_cbranch_execz .LBB84_75
; %bb.72:
	v_mov_b32_e32 v1, 0
	v_mov_b32_e32 v3, 0
	v_add_nc_u32_e32 v49, -1, v0
	v_add_nc_u32_e32 v50, 0x150, v53
	v_mov_b32_e32 v2, 0
	v_mov_b32_e32 v4, 0
	v_add_nc_u32_e32 v51, 16, v53
	s_mov_b32 s5, 0
	.p2align	6
.LBB84_73:                              ; =>This Inner Loop Header: Depth=1
	s_clause 0x3
	buffer_load_dword v58, v51, s[0:3], 0 offen offset:8
	buffer_load_dword v59, v51, s[0:3], 0 offen offset:12
	buffer_load_dword v60, v51, s[0:3], 0 offen
	buffer_load_dword v61, v51, s[0:3], 0 offen offset:4
	ds_read_b128 v[54:57], v50
	v_add_nc_u32_e32 v49, 1, v49
	v_add_nc_u32_e32 v50, 16, v50
	;; [unrolled: 1-line block ×3, first 2 shown]
	v_cmp_lt_u32_e32 vcc_lo, 13, v49
	s_or_b32 s5, vcc_lo, s5
	s_waitcnt vmcnt(2) lgkmcnt(0)
	v_mul_f64 v[62:63], v[56:57], v[58:59]
	v_mul_f64 v[58:59], v[54:55], v[58:59]
	s_waitcnt vmcnt(0)
	v_fma_f64 v[54:55], v[54:55], v[60:61], -v[62:63]
	v_fma_f64 v[56:57], v[56:57], v[60:61], v[58:59]
	v_add_f64 v[3:4], v[3:4], v[54:55]
	v_add_f64 v[1:2], v[1:2], v[56:57]
	s_andn2_b32 exec_lo, exec_lo, s5
	s_cbranch_execnz .LBB84_73
; %bb.74:
	s_or_b32 exec_lo, exec_lo, s5
	v_mov_b32_e32 v49, 0
	ds_read_b128 v[49:52], v49 offset:240
	s_waitcnt lgkmcnt(0)
	v_mul_f64 v[54:55], v[1:2], v[51:52]
	v_mul_f64 v[51:52], v[3:4], v[51:52]
	v_fma_f64 v[3:4], v[3:4], v[49:50], -v[54:55]
	v_fma_f64 v[1:2], v[1:2], v[49:50], v[51:52]
	buffer_store_dword v4, off, s[0:3], 0 offset:260
	buffer_store_dword v3, off, s[0:3], 0 offset:256
	;; [unrolled: 1-line block ×4, first 2 shown]
.LBB84_75:
	s_or_b32 exec_lo, exec_lo, s4
	v_mov_b32_e32 v4, s16
	s_waitcnt_vscnt null, 0x0
	s_barrier
	buffer_gl0_inv
	s_mov_b32 s4, exec_lo
	s_clause 0x3
	buffer_load_dword v1, v4, s[0:3], 0 offen
	buffer_load_dword v2, v4, s[0:3], 0 offen offset:4
	buffer_load_dword v3, v4, s[0:3], 0 offen offset:8
	;; [unrolled: 1-line block ×3, first 2 shown]
	s_waitcnt vmcnt(0)
	ds_write_b128 v47, v[1:4]
	s_waitcnt lgkmcnt(0)
	s_barrier
	buffer_gl0_inv
	v_cmpx_gt_u32_e32 16, v0
	s_cbranch_execz .LBB84_79
; %bb.76:
	v_mov_b32_e32 v1, 0
	v_mov_b32_e32 v3, 0
	v_add_nc_u32_e32 v49, -1, v0
	v_add_nc_u32_e32 v50, 0x150, v53
	v_mov_b32_e32 v2, 0
	v_mov_b32_e32 v4, 0
	v_add_nc_u32_e32 v51, 16, v53
	s_mov_b32 s5, 0
	.p2align	6
.LBB84_77:                              ; =>This Inner Loop Header: Depth=1
	s_clause 0x3
	buffer_load_dword v58, v51, s[0:3], 0 offen offset:8
	buffer_load_dword v59, v51, s[0:3], 0 offen offset:12
	buffer_load_dword v60, v51, s[0:3], 0 offen
	buffer_load_dword v61, v51, s[0:3], 0 offen offset:4
	ds_read_b128 v[54:57], v50
	v_add_nc_u32_e32 v49, 1, v49
	v_add_nc_u32_e32 v50, 16, v50
	;; [unrolled: 1-line block ×3, first 2 shown]
	v_cmp_lt_u32_e32 vcc_lo, 14, v49
	s_or_b32 s5, vcc_lo, s5
	s_waitcnt vmcnt(2) lgkmcnt(0)
	v_mul_f64 v[62:63], v[56:57], v[58:59]
	v_mul_f64 v[58:59], v[54:55], v[58:59]
	s_waitcnt vmcnt(0)
	v_fma_f64 v[54:55], v[54:55], v[60:61], -v[62:63]
	v_fma_f64 v[56:57], v[56:57], v[60:61], v[58:59]
	v_add_f64 v[3:4], v[3:4], v[54:55]
	v_add_f64 v[1:2], v[1:2], v[56:57]
	s_andn2_b32 exec_lo, exec_lo, s5
	s_cbranch_execnz .LBB84_77
; %bb.78:
	s_or_b32 exec_lo, exec_lo, s5
	v_mov_b32_e32 v49, 0
	ds_read_b128 v[49:52], v49 offset:256
	s_waitcnt lgkmcnt(0)
	v_mul_f64 v[54:55], v[1:2], v[51:52]
	v_mul_f64 v[51:52], v[3:4], v[51:52]
	v_fma_f64 v[3:4], v[3:4], v[49:50], -v[54:55]
	v_fma_f64 v[1:2], v[1:2], v[49:50], v[51:52]
	buffer_store_dword v4, off, s[0:3], 0 offset:276
	buffer_store_dword v3, off, s[0:3], 0 offset:272
	buffer_store_dword v2, off, s[0:3], 0 offset:284
	buffer_store_dword v1, off, s[0:3], 0 offset:280
.LBB84_79:
	s_or_b32 exec_lo, exec_lo, s4
	v_mov_b32_e32 v4, s15
	s_waitcnt_vscnt null, 0x0
	s_barrier
	buffer_gl0_inv
	s_mov_b32 s4, exec_lo
	s_clause 0x3
	buffer_load_dword v1, v4, s[0:3], 0 offen
	buffer_load_dword v2, v4, s[0:3], 0 offen offset:4
	buffer_load_dword v3, v4, s[0:3], 0 offen offset:8
	;; [unrolled: 1-line block ×3, first 2 shown]
	s_waitcnt vmcnt(0)
	ds_write_b128 v47, v[1:4]
	s_waitcnt lgkmcnt(0)
	s_barrier
	buffer_gl0_inv
	v_cmpx_gt_u32_e32 17, v0
	s_cbranch_execz .LBB84_83
; %bb.80:
	v_mov_b32_e32 v1, 0
	v_mov_b32_e32 v3, 0
	v_add_nc_u32_e32 v49, -1, v0
	v_add_nc_u32_e32 v50, 0x150, v53
	v_mov_b32_e32 v2, 0
	v_mov_b32_e32 v4, 0
	v_add_nc_u32_e32 v51, 16, v53
	s_mov_b32 s5, 0
	.p2align	6
.LBB84_81:                              ; =>This Inner Loop Header: Depth=1
	s_clause 0x3
	buffer_load_dword v58, v51, s[0:3], 0 offen offset:8
	buffer_load_dword v59, v51, s[0:3], 0 offen offset:12
	buffer_load_dword v60, v51, s[0:3], 0 offen
	buffer_load_dword v61, v51, s[0:3], 0 offen offset:4
	ds_read_b128 v[54:57], v50
	v_add_nc_u32_e32 v49, 1, v49
	v_add_nc_u32_e32 v50, 16, v50
	;; [unrolled: 1-line block ×3, first 2 shown]
	v_cmp_lt_u32_e32 vcc_lo, 15, v49
	s_or_b32 s5, vcc_lo, s5
	s_waitcnt vmcnt(2) lgkmcnt(0)
	v_mul_f64 v[62:63], v[56:57], v[58:59]
	v_mul_f64 v[58:59], v[54:55], v[58:59]
	s_waitcnt vmcnt(0)
	v_fma_f64 v[54:55], v[54:55], v[60:61], -v[62:63]
	v_fma_f64 v[56:57], v[56:57], v[60:61], v[58:59]
	v_add_f64 v[3:4], v[3:4], v[54:55]
	v_add_f64 v[1:2], v[1:2], v[56:57]
	s_andn2_b32 exec_lo, exec_lo, s5
	s_cbranch_execnz .LBB84_81
; %bb.82:
	s_or_b32 exec_lo, exec_lo, s5
	v_mov_b32_e32 v49, 0
	ds_read_b128 v[49:52], v49 offset:272
	s_waitcnt lgkmcnt(0)
	v_mul_f64 v[54:55], v[1:2], v[51:52]
	v_mul_f64 v[51:52], v[3:4], v[51:52]
	v_fma_f64 v[3:4], v[3:4], v[49:50], -v[54:55]
	v_fma_f64 v[1:2], v[1:2], v[49:50], v[51:52]
	buffer_store_dword v4, off, s[0:3], 0 offset:292
	buffer_store_dword v3, off, s[0:3], 0 offset:288
	;; [unrolled: 1-line block ×4, first 2 shown]
.LBB84_83:
	s_or_b32 exec_lo, exec_lo, s4
	v_mov_b32_e32 v4, s14
	s_waitcnt_vscnt null, 0x0
	s_barrier
	buffer_gl0_inv
	s_mov_b32 s4, exec_lo
	s_clause 0x3
	buffer_load_dword v1, v4, s[0:3], 0 offen
	buffer_load_dword v2, v4, s[0:3], 0 offen offset:4
	buffer_load_dword v3, v4, s[0:3], 0 offen offset:8
	;; [unrolled: 1-line block ×3, first 2 shown]
	s_waitcnt vmcnt(0)
	ds_write_b128 v47, v[1:4]
	s_waitcnt lgkmcnt(0)
	s_barrier
	buffer_gl0_inv
	v_cmpx_gt_u32_e32 18, v0
	s_cbranch_execz .LBB84_87
; %bb.84:
	v_mov_b32_e32 v1, 0
	v_mov_b32_e32 v3, 0
	v_add_nc_u32_e32 v49, -1, v0
	v_add_nc_u32_e32 v50, 0x150, v53
	v_mov_b32_e32 v2, 0
	v_mov_b32_e32 v4, 0
	v_add_nc_u32_e32 v51, 16, v53
	s_mov_b32 s5, 0
	.p2align	6
.LBB84_85:                              ; =>This Inner Loop Header: Depth=1
	s_clause 0x3
	buffer_load_dword v58, v51, s[0:3], 0 offen offset:8
	buffer_load_dword v59, v51, s[0:3], 0 offen offset:12
	buffer_load_dword v60, v51, s[0:3], 0 offen
	buffer_load_dword v61, v51, s[0:3], 0 offen offset:4
	ds_read_b128 v[54:57], v50
	v_add_nc_u32_e32 v49, 1, v49
	v_add_nc_u32_e32 v50, 16, v50
	;; [unrolled: 1-line block ×3, first 2 shown]
	v_cmp_lt_u32_e32 vcc_lo, 16, v49
	s_or_b32 s5, vcc_lo, s5
	s_waitcnt vmcnt(2) lgkmcnt(0)
	v_mul_f64 v[62:63], v[56:57], v[58:59]
	v_mul_f64 v[58:59], v[54:55], v[58:59]
	s_waitcnt vmcnt(0)
	v_fma_f64 v[54:55], v[54:55], v[60:61], -v[62:63]
	v_fma_f64 v[56:57], v[56:57], v[60:61], v[58:59]
	v_add_f64 v[3:4], v[3:4], v[54:55]
	v_add_f64 v[1:2], v[1:2], v[56:57]
	s_andn2_b32 exec_lo, exec_lo, s5
	s_cbranch_execnz .LBB84_85
; %bb.86:
	s_or_b32 exec_lo, exec_lo, s5
	v_mov_b32_e32 v49, 0
	ds_read_b128 v[49:52], v49 offset:288
	s_waitcnt lgkmcnt(0)
	v_mul_f64 v[54:55], v[1:2], v[51:52]
	v_mul_f64 v[51:52], v[3:4], v[51:52]
	v_fma_f64 v[3:4], v[3:4], v[49:50], -v[54:55]
	v_fma_f64 v[1:2], v[1:2], v[49:50], v[51:52]
	buffer_store_dword v4, off, s[0:3], 0 offset:308
	buffer_store_dword v3, off, s[0:3], 0 offset:304
	;; [unrolled: 1-line block ×4, first 2 shown]
.LBB84_87:
	s_or_b32 exec_lo, exec_lo, s4
	v_mov_b32_e32 v4, s9
	s_waitcnt_vscnt null, 0x0
	s_barrier
	buffer_gl0_inv
	s_mov_b32 s4, exec_lo
	s_clause 0x3
	buffer_load_dword v1, v4, s[0:3], 0 offen
	buffer_load_dword v2, v4, s[0:3], 0 offen offset:4
	buffer_load_dword v3, v4, s[0:3], 0 offen offset:8
	;; [unrolled: 1-line block ×3, first 2 shown]
	s_waitcnt vmcnt(0)
	ds_write_b128 v47, v[1:4]
	s_waitcnt lgkmcnt(0)
	s_barrier
	buffer_gl0_inv
	v_cmpx_gt_u32_e32 19, v0
	s_cbranch_execz .LBB84_91
; %bb.88:
	v_mov_b32_e32 v1, 0
	v_mov_b32_e32 v3, 0
	v_add_nc_u32_e32 v49, -1, v0
	v_add_nc_u32_e32 v50, 0x150, v53
	v_mov_b32_e32 v2, 0
	v_mov_b32_e32 v4, 0
	v_add_nc_u32_e32 v51, 16, v53
	s_mov_b32 s5, 0
	.p2align	6
.LBB84_89:                              ; =>This Inner Loop Header: Depth=1
	s_clause 0x3
	buffer_load_dword v58, v51, s[0:3], 0 offen offset:8
	buffer_load_dword v59, v51, s[0:3], 0 offen offset:12
	buffer_load_dword v60, v51, s[0:3], 0 offen
	buffer_load_dword v61, v51, s[0:3], 0 offen offset:4
	ds_read_b128 v[54:57], v50
	v_add_nc_u32_e32 v49, 1, v49
	v_add_nc_u32_e32 v50, 16, v50
	;; [unrolled: 1-line block ×3, first 2 shown]
	v_cmp_lt_u32_e32 vcc_lo, 17, v49
	s_or_b32 s5, vcc_lo, s5
	s_waitcnt vmcnt(2) lgkmcnt(0)
	v_mul_f64 v[62:63], v[56:57], v[58:59]
	v_mul_f64 v[58:59], v[54:55], v[58:59]
	s_waitcnt vmcnt(0)
	v_fma_f64 v[54:55], v[54:55], v[60:61], -v[62:63]
	v_fma_f64 v[56:57], v[56:57], v[60:61], v[58:59]
	v_add_f64 v[3:4], v[3:4], v[54:55]
	v_add_f64 v[1:2], v[1:2], v[56:57]
	s_andn2_b32 exec_lo, exec_lo, s5
	s_cbranch_execnz .LBB84_89
; %bb.90:
	s_or_b32 exec_lo, exec_lo, s5
	v_mov_b32_e32 v49, 0
	ds_read_b128 v[49:52], v49 offset:304
	s_waitcnt lgkmcnt(0)
	v_mul_f64 v[54:55], v[1:2], v[51:52]
	v_mul_f64 v[51:52], v[3:4], v[51:52]
	v_fma_f64 v[3:4], v[3:4], v[49:50], -v[54:55]
	v_fma_f64 v[1:2], v[1:2], v[49:50], v[51:52]
	buffer_store_dword v4, off, s[0:3], 0 offset:324
	buffer_store_dword v3, off, s[0:3], 0 offset:320
	;; [unrolled: 1-line block ×4, first 2 shown]
.LBB84_91:
	s_or_b32 exec_lo, exec_lo, s4
	v_mov_b32_e32 v4, s8
	s_waitcnt_vscnt null, 0x0
	s_barrier
	buffer_gl0_inv
	s_mov_b32 s4, exec_lo
	s_clause 0x3
	buffer_load_dword v1, v4, s[0:3], 0 offen
	buffer_load_dword v2, v4, s[0:3], 0 offen offset:4
	buffer_load_dword v3, v4, s[0:3], 0 offen offset:8
	buffer_load_dword v4, v4, s[0:3], 0 offen offset:12
	s_waitcnt vmcnt(0)
	ds_write_b128 v47, v[1:4]
	s_waitcnt lgkmcnt(0)
	s_barrier
	buffer_gl0_inv
	v_cmpx_ne_u32_e32 20, v0
	s_cbranch_execz .LBB84_95
; %bb.92:
	v_mov_b32_e32 v1, 0
	v_mov_b32_e32 v3, 0
	v_mov_b32_e32 v2, 0
	v_mov_b32_e32 v4, 0
	v_add_nc_u32_e32 v49, 16, v53
	s_mov_b32 s5, 0
	.p2align	6
.LBB84_93:                              ; =>This Inner Loop Header: Depth=1
	s_clause 0x3
	buffer_load_dword v54, v49, s[0:3], 0 offen offset:8
	buffer_load_dword v55, v49, s[0:3], 0 offen offset:12
	buffer_load_dword v56, v49, s[0:3], 0 offen
	buffer_load_dword v57, v49, s[0:3], 0 offen offset:4
	ds_read_b128 v[50:53], v47
	v_add_nc_u32_e32 v48, 1, v48
	v_add_nc_u32_e32 v47, 16, v47
	;; [unrolled: 1-line block ×3, first 2 shown]
	v_cmp_lt_u32_e32 vcc_lo, 18, v48
	s_or_b32 s5, vcc_lo, s5
	s_waitcnt vmcnt(2) lgkmcnt(0)
	v_mul_f64 v[58:59], v[52:53], v[54:55]
	v_mul_f64 v[54:55], v[50:51], v[54:55]
	s_waitcnt vmcnt(0)
	v_fma_f64 v[50:51], v[50:51], v[56:57], -v[58:59]
	v_fma_f64 v[52:53], v[52:53], v[56:57], v[54:55]
	v_add_f64 v[3:4], v[3:4], v[50:51]
	v_add_f64 v[1:2], v[1:2], v[52:53]
	s_andn2_b32 exec_lo, exec_lo, s5
	s_cbranch_execnz .LBB84_93
; %bb.94:
	s_or_b32 exec_lo, exec_lo, s5
	v_mov_b32_e32 v47, 0
	ds_read_b128 v[47:50], v47 offset:320
	s_waitcnt lgkmcnt(0)
	v_mul_f64 v[51:52], v[1:2], v[49:50]
	v_mul_f64 v[49:50], v[3:4], v[49:50]
	v_fma_f64 v[3:4], v[3:4], v[47:48], -v[51:52]
	v_fma_f64 v[1:2], v[1:2], v[47:48], v[49:50]
	buffer_store_dword v4, off, s[0:3], 0 offset:340
	buffer_store_dword v3, off, s[0:3], 0 offset:336
	;; [unrolled: 1-line block ×4, first 2 shown]
.LBB84_95:
	s_or_b32 exec_lo, exec_lo, s4
	s_mov_b32 s5, -1
	s_waitcnt_vscnt null, 0x0
	s_barrier
	buffer_gl0_inv
.LBB84_96:
	s_and_b32 vcc_lo, exec_lo, s5
	s_cbranch_vccz .LBB84_98
; %bb.97:
	s_lshl_b64 s[4:5], s[6:7], 2
	v_mov_b32_e32 v1, 0
	s_add_u32 s4, s10, s4
	s_addc_u32 s5, s11, s5
	global_load_dword v1, v1, s[4:5]
	s_waitcnt vmcnt(0)
	v_cmp_ne_u32_e32 vcc_lo, 0, v1
	s_cbranch_vccz .LBB84_99
.LBB84_98:
	s_endpgm
.LBB84_99:
	v_lshl_add_u32 v1, v0, 4, 0x150
	s_mov_b32 s4, exec_lo
	v_cmpx_eq_u32_e32 20, v0
	s_cbranch_execz .LBB84_101
; %bb.100:
	v_mov_b32_e32 v2, s9
	s_clause 0x3
	buffer_load_dword v47, v2, s[0:3], 0 offen
	buffer_load_dword v48, v2, s[0:3], 0 offen offset:4
	buffer_load_dword v49, v2, s[0:3], 0 offen offset:8
	;; [unrolled: 1-line block ×3, first 2 shown]
	v_mov_b32_e32 v2, 0
	buffer_store_dword v2, off, s[0:3], 0 offset:320
	buffer_store_dword v2, off, s[0:3], 0 offset:324
	;; [unrolled: 1-line block ×4, first 2 shown]
	s_waitcnt vmcnt(0)
	ds_write_b128 v1, v[47:50]
.LBB84_101:
	s_or_b32 exec_lo, exec_lo, s4
	s_waitcnt lgkmcnt(0)
	s_waitcnt_vscnt null, 0x0
	s_barrier
	buffer_gl0_inv
	s_clause 0x7
	buffer_load_dword v3, off, s[0:3], 0 offset:344
	buffer_load_dword v4, off, s[0:3], 0 offset:348
	;; [unrolled: 1-line block ×8, first 2 shown]
	v_mov_b32_e32 v2, 0
	s_mov_b32 s4, exec_lo
	ds_read_b128 v[47:50], v2 offset:656
	s_waitcnt vmcnt(6) lgkmcnt(0)
	v_mul_f64 v[57:58], v[49:50], v[3:4]
	v_mul_f64 v[3:4], v[47:48], v[3:4]
	s_waitcnt vmcnt(4)
	v_fma_f64 v[47:48], v[47:48], v[51:52], -v[57:58]
	v_fma_f64 v[3:4], v[49:50], v[51:52], v[3:4]
	v_add_f64 v[47:48], v[47:48], 0
	v_add_f64 v[3:4], v[3:4], 0
	s_waitcnt vmcnt(2)
	v_add_f64 v[47:48], v[53:54], -v[47:48]
	s_waitcnt vmcnt(0)
	v_add_f64 v[3:4], v[55:56], -v[3:4]
	buffer_store_dword v47, off, s[0:3], 0 offset:320
	buffer_store_dword v48, off, s[0:3], 0 offset:324
	;; [unrolled: 1-line block ×4, first 2 shown]
	v_cmpx_lt_u32_e32 18, v0
	s_cbranch_execz .LBB84_103
; %bb.102:
	v_mov_b32_e32 v3, s14
	s_clause 0x3
	buffer_load_dword v47, v3, s[0:3], 0 offen
	buffer_load_dword v48, v3, s[0:3], 0 offen offset:4
	buffer_load_dword v49, v3, s[0:3], 0 offen offset:8
	;; [unrolled: 1-line block ×3, first 2 shown]
	buffer_store_dword v2, off, s[0:3], 0 offset:304
	buffer_store_dword v2, off, s[0:3], 0 offset:308
	;; [unrolled: 1-line block ×4, first 2 shown]
	s_waitcnt vmcnt(0)
	ds_write_b128 v1, v[47:50]
.LBB84_103:
	s_or_b32 exec_lo, exec_lo, s4
	s_waitcnt lgkmcnt(0)
	s_waitcnt_vscnt null, 0x0
	s_barrier
	buffer_gl0_inv
	s_clause 0xb
	buffer_load_dword v3, off, s[0:3], 0 offset:328
	buffer_load_dword v4, off, s[0:3], 0 offset:332
	;; [unrolled: 1-line block ×12, first 2 shown]
	ds_read_b128 v[47:50], v2 offset:640
	ds_read_b128 v[51:54], v2 offset:656
	s_mov_b32 s4, exec_lo
	s_waitcnt vmcnt(10) lgkmcnt(1)
	v_mul_f64 v[65:66], v[49:50], v[3:4]
	v_mul_f64 v[2:3], v[47:48], v[3:4]
	s_waitcnt vmcnt(8) lgkmcnt(0)
	v_mul_f64 v[67:68], v[53:54], v[55:56]
	v_mul_f64 v[55:56], v[51:52], v[55:56]
	s_waitcnt vmcnt(6)
	v_fma_f64 v[47:48], v[47:48], v[57:58], -v[65:66]
	v_fma_f64 v[2:3], v[49:50], v[57:58], v[2:3]
	s_waitcnt vmcnt(4)
	v_fma_f64 v[49:50], v[51:52], v[59:60], -v[67:68]
	v_fma_f64 v[51:52], v[53:54], v[59:60], v[55:56]
	v_add_f64 v[47:48], v[47:48], 0
	v_add_f64 v[2:3], v[2:3], 0
	;; [unrolled: 1-line block ×4, first 2 shown]
	s_waitcnt vmcnt(2)
	v_add_f64 v[47:48], v[61:62], -v[47:48]
	s_waitcnt vmcnt(0)
	v_add_f64 v[2:3], v[63:64], -v[2:3]
	buffer_store_dword v47, off, s[0:3], 0 offset:304
	buffer_store_dword v48, off, s[0:3], 0 offset:308
	buffer_store_dword v2, off, s[0:3], 0 offset:312
	buffer_store_dword v3, off, s[0:3], 0 offset:316
	v_cmpx_lt_u32_e32 17, v0
	s_cbranch_execz .LBB84_105
; %bb.104:
	v_mov_b32_e32 v2, s15
	s_clause 0x3
	buffer_load_dword v47, v2, s[0:3], 0 offen
	buffer_load_dword v48, v2, s[0:3], 0 offen offset:4
	buffer_load_dword v49, v2, s[0:3], 0 offen offset:8
	;; [unrolled: 1-line block ×3, first 2 shown]
	v_mov_b32_e32 v2, 0
	buffer_store_dword v2, off, s[0:3], 0 offset:288
	buffer_store_dword v2, off, s[0:3], 0 offset:292
	;; [unrolled: 1-line block ×4, first 2 shown]
	s_waitcnt vmcnt(0)
	ds_write_b128 v1, v[47:50]
.LBB84_105:
	s_or_b32 exec_lo, exec_lo, s4
	s_waitcnt lgkmcnt(0)
	s_waitcnt_vscnt null, 0x0
	s_barrier
	buffer_gl0_inv
	s_clause 0xf
	buffer_load_dword v3, off, s[0:3], 0 offset:312
	buffer_load_dword v4, off, s[0:3], 0 offset:316
	;; [unrolled: 1-line block ×16, first 2 shown]
	v_mov_b32_e32 v2, 0
	ds_read_b128 v[47:50], v2 offset:624
	ds_read_b128 v[51:54], v2 offset:640
	;; [unrolled: 1-line block ×3, first 2 shown]
	s_mov_b32 s4, exec_lo
	s_waitcnt vmcnt(14) lgkmcnt(2)
	v_mul_f64 v[73:74], v[49:50], v[3:4]
	v_mul_f64 v[3:4], v[47:48], v[3:4]
	s_waitcnt vmcnt(12) lgkmcnt(1)
	v_mul_f64 v[75:76], v[53:54], v[59:60]
	v_mul_f64 v[59:60], v[51:52], v[59:60]
	s_waitcnt vmcnt(10)
	v_fma_f64 v[47:48], v[47:48], v[61:62], -v[73:74]
	v_fma_f64 v[3:4], v[49:50], v[61:62], v[3:4]
	s_waitcnt vmcnt(8) lgkmcnt(0)
	v_mul_f64 v[61:62], v[57:58], v[63:64]
	s_waitcnt vmcnt(6)
	v_fma_f64 v[51:52], v[51:52], v[65:66], -v[75:76]
	v_mul_f64 v[49:50], v[55:56], v[63:64]
	v_fma_f64 v[53:54], v[53:54], v[65:66], v[59:60]
	v_add_f64 v[47:48], v[47:48], 0
	v_add_f64 v[3:4], v[3:4], 0
	s_waitcnt vmcnt(4)
	v_fma_f64 v[55:56], v[55:56], v[67:68], -v[61:62]
	v_fma_f64 v[49:50], v[57:58], v[67:68], v[49:50]
	v_add_f64 v[47:48], v[47:48], v[51:52]
	v_add_f64 v[3:4], v[3:4], v[53:54]
	;; [unrolled: 1-line block ×4, first 2 shown]
	s_waitcnt vmcnt(2)
	v_add_f64 v[47:48], v[69:70], -v[47:48]
	s_waitcnt vmcnt(0)
	v_add_f64 v[3:4], v[71:72], -v[3:4]
	buffer_store_dword v47, off, s[0:3], 0 offset:288
	buffer_store_dword v48, off, s[0:3], 0 offset:292
	;; [unrolled: 1-line block ×4, first 2 shown]
	v_cmpx_lt_u32_e32 16, v0
	s_cbranch_execz .LBB84_107
; %bb.106:
	v_mov_b32_e32 v3, s16
	s_clause 0x3
	buffer_load_dword v47, v3, s[0:3], 0 offen
	buffer_load_dword v48, v3, s[0:3], 0 offen offset:4
	buffer_load_dword v49, v3, s[0:3], 0 offen offset:8
	;; [unrolled: 1-line block ×3, first 2 shown]
	buffer_store_dword v2, off, s[0:3], 0 offset:272
	buffer_store_dword v2, off, s[0:3], 0 offset:276
	;; [unrolled: 1-line block ×4, first 2 shown]
	s_waitcnt vmcnt(0)
	ds_write_b128 v1, v[47:50]
.LBB84_107:
	s_or_b32 exec_lo, exec_lo, s4
	s_waitcnt lgkmcnt(0)
	s_waitcnt_vscnt null, 0x0
	s_barrier
	buffer_gl0_inv
	s_clause 0x13
	buffer_load_dword v3, off, s[0:3], 0 offset:296
	buffer_load_dword v4, off, s[0:3], 0 offset:300
	;; [unrolled: 1-line block ×20, first 2 shown]
	ds_read_b128 v[47:50], v2 offset:608
	ds_read_b128 v[51:54], v2 offset:624
	;; [unrolled: 1-line block ×3, first 2 shown]
	s_mov_b32 s4, exec_lo
	s_waitcnt vmcnt(18) lgkmcnt(2)
	v_mul_f64 v[77:78], v[49:50], v[3:4]
	v_mul_f64 v[3:4], v[47:48], v[3:4]
	s_waitcnt vmcnt(16) lgkmcnt(1)
	v_mul_f64 v[79:80], v[53:54], v[59:60]
	v_mul_f64 v[59:60], v[51:52], v[59:60]
	s_waitcnt vmcnt(14)
	v_fma_f64 v[77:78], v[47:48], v[61:62], -v[77:78]
	v_fma_f64 v[3:4], v[49:50], v[61:62], v[3:4]
	ds_read_b128 v[47:50], v2 offset:656
	s_waitcnt vmcnt(12) lgkmcnt(1)
	v_mul_f64 v[61:62], v[55:56], v[63:64]
	v_mul_f64 v[63:64], v[57:58], v[63:64]
	s_waitcnt vmcnt(10)
	v_fma_f64 v[51:52], v[51:52], v[65:66], -v[79:80]
	v_fma_f64 v[53:54], v[53:54], v[65:66], v[59:60]
	s_waitcnt vmcnt(8) lgkmcnt(0)
	v_mul_f64 v[65:66], v[49:50], v[67:68]
	v_add_f64 v[77:78], v[77:78], 0
	v_add_f64 v[2:3], v[3:4], 0
	v_mul_f64 v[59:60], v[47:48], v[67:68]
	s_waitcnt vmcnt(6)
	v_fma_f64 v[55:56], v[55:56], v[69:70], -v[63:64]
	v_fma_f64 v[57:58], v[57:58], v[69:70], v[61:62]
	s_waitcnt vmcnt(4)
	v_fma_f64 v[47:48], v[47:48], v[71:72], -v[65:66]
	v_add_f64 v[51:52], v[77:78], v[51:52]
	v_add_f64 v[2:3], v[2:3], v[53:54]
	v_fma_f64 v[49:50], v[49:50], v[71:72], v[59:60]
	v_add_f64 v[51:52], v[51:52], v[55:56]
	v_add_f64 v[2:3], v[2:3], v[57:58]
	;; [unrolled: 1-line block ×4, first 2 shown]
	s_waitcnt vmcnt(2)
	v_add_f64 v[47:48], v[73:74], -v[47:48]
	s_waitcnt vmcnt(0)
	v_add_f64 v[2:3], v[75:76], -v[2:3]
	buffer_store_dword v47, off, s[0:3], 0 offset:272
	buffer_store_dword v48, off, s[0:3], 0 offset:276
	;; [unrolled: 1-line block ×4, first 2 shown]
	v_cmpx_lt_u32_e32 15, v0
	s_cbranch_execz .LBB84_109
; %bb.108:
	v_mov_b32_e32 v2, s17
	s_clause 0x3
	buffer_load_dword v47, v2, s[0:3], 0 offen
	buffer_load_dword v48, v2, s[0:3], 0 offen offset:4
	buffer_load_dword v49, v2, s[0:3], 0 offen offset:8
	;; [unrolled: 1-line block ×3, first 2 shown]
	v_mov_b32_e32 v2, 0
	buffer_store_dword v2, off, s[0:3], 0 offset:256
	buffer_store_dword v2, off, s[0:3], 0 offset:260
	;; [unrolled: 1-line block ×4, first 2 shown]
	s_waitcnt vmcnt(0)
	ds_write_b128 v1, v[47:50]
.LBB84_109:
	s_or_b32 exec_lo, exec_lo, s4
	s_waitcnt lgkmcnt(0)
	s_waitcnt_vscnt null, 0x0
	s_barrier
	buffer_gl0_inv
	s_clause 0x17
	buffer_load_dword v3, off, s[0:3], 0 offset:280
	buffer_load_dword v4, off, s[0:3], 0 offset:284
	;; [unrolled: 1-line block ×24, first 2 shown]
	v_mov_b32_e32 v2, 0
	ds_read_b128 v[47:50], v2 offset:592
	ds_read_b128 v[51:54], v2 offset:608
	ds_read_b128 v[55:58], v2 offset:624
	s_mov_b32 s4, exec_lo
	s_waitcnt vmcnt(22) lgkmcnt(2)
	v_mul_f64 v[81:82], v[49:50], v[3:4]
	v_mul_f64 v[3:4], v[47:48], v[3:4]
	s_waitcnt vmcnt(20) lgkmcnt(1)
	v_mul_f64 v[83:84], v[53:54], v[59:60]
	v_mul_f64 v[59:60], v[51:52], v[59:60]
	s_waitcnt vmcnt(18)
	v_fma_f64 v[81:82], v[47:48], v[61:62], -v[81:82]
	v_fma_f64 v[3:4], v[49:50], v[61:62], v[3:4]
	ds_read_b128 v[47:50], v2 offset:640
	s_waitcnt vmcnt(16) lgkmcnt(1)
	v_mul_f64 v[61:62], v[55:56], v[63:64]
	v_mul_f64 v[63:64], v[57:58], v[63:64]
	s_waitcnt vmcnt(14)
	v_fma_f64 v[83:84], v[51:52], v[65:66], -v[83:84]
	v_fma_f64 v[59:60], v[53:54], v[65:66], v[59:60]
	ds_read_b128 v[51:54], v2 offset:656
	s_waitcnt vmcnt(10) lgkmcnt(1)
	v_mul_f64 v[65:66], v[47:48], v[67:68]
	v_add_f64 v[81:82], v[81:82], 0
	v_add_f64 v[3:4], v[3:4], 0
	v_mul_f64 v[67:68], v[49:50], v[67:68]
	s_waitcnt vmcnt(8)
	v_fma_f64 v[55:56], v[55:56], v[73:74], -v[63:64]
	v_fma_f64 v[57:58], v[57:58], v[73:74], v[61:62]
	s_waitcnt vmcnt(7) lgkmcnt(0)
	v_mul_f64 v[61:62], v[53:54], v[69:70]
	s_waitcnt vmcnt(5)
	v_fma_f64 v[49:50], v[49:50], v[75:76], v[65:66]
	v_add_f64 v[63:64], v[81:82], v[83:84]
	v_add_f64 v[3:4], v[3:4], v[59:60]
	v_fma_f64 v[47:48], v[47:48], v[75:76], -v[67:68]
	v_mul_f64 v[59:60], v[51:52], v[69:70]
	s_waitcnt vmcnt(4)
	v_fma_f64 v[51:52], v[51:52], v[71:72], -v[61:62]
	v_add_f64 v[55:56], v[63:64], v[55:56]
	v_add_f64 v[3:4], v[3:4], v[57:58]
	v_fma_f64 v[53:54], v[53:54], v[71:72], v[59:60]
	v_add_f64 v[47:48], v[55:56], v[47:48]
	v_add_f64 v[3:4], v[3:4], v[49:50]
	;; [unrolled: 1-line block ×4, first 2 shown]
	s_waitcnt vmcnt(2)
	v_add_f64 v[47:48], v[77:78], -v[47:48]
	s_waitcnt vmcnt(0)
	v_add_f64 v[3:4], v[79:80], -v[3:4]
	buffer_store_dword v48, off, s[0:3], 0 offset:260
	buffer_store_dword v47, off, s[0:3], 0 offset:256
	;; [unrolled: 1-line block ×4, first 2 shown]
	v_cmpx_lt_u32_e32 14, v0
	s_cbranch_execz .LBB84_111
; %bb.110:
	v_mov_b32_e32 v3, s18
	s_clause 0x3
	buffer_load_dword v47, v3, s[0:3], 0 offen
	buffer_load_dword v48, v3, s[0:3], 0 offen offset:4
	buffer_load_dword v49, v3, s[0:3], 0 offen offset:8
	;; [unrolled: 1-line block ×3, first 2 shown]
	buffer_store_dword v2, off, s[0:3], 0 offset:240
	buffer_store_dword v2, off, s[0:3], 0 offset:244
	;; [unrolled: 1-line block ×4, first 2 shown]
	s_waitcnt vmcnt(0)
	ds_write_b128 v1, v[47:50]
.LBB84_111:
	s_or_b32 exec_lo, exec_lo, s4
	s_waitcnt lgkmcnt(0)
	s_waitcnt_vscnt null, 0x0
	s_barrier
	buffer_gl0_inv
	s_clause 0x1b
	buffer_load_dword v3, off, s[0:3], 0 offset:264
	buffer_load_dword v4, off, s[0:3], 0 offset:268
	;; [unrolled: 1-line block ×28, first 2 shown]
	ds_read_b128 v[47:50], v2 offset:576
	ds_read_b128 v[51:54], v2 offset:592
	;; [unrolled: 1-line block ×3, first 2 shown]
	s_mov_b32 s4, exec_lo
	s_waitcnt vmcnt(26) lgkmcnt(2)
	v_mul_f64 v[85:86], v[49:50], v[3:4]
	v_mul_f64 v[3:4], v[47:48], v[3:4]
	s_waitcnt vmcnt(24) lgkmcnt(1)
	v_mul_f64 v[87:88], v[53:54], v[59:60]
	v_mul_f64 v[59:60], v[51:52], v[59:60]
	s_waitcnt vmcnt(22)
	v_fma_f64 v[85:86], v[47:48], v[61:62], -v[85:86]
	v_fma_f64 v[3:4], v[49:50], v[61:62], v[3:4]
	ds_read_b128 v[47:50], v2 offset:624
	s_waitcnt vmcnt(20) lgkmcnt(1)
	v_mul_f64 v[61:62], v[55:56], v[63:64]
	v_mul_f64 v[63:64], v[57:58], v[63:64]
	s_waitcnt vmcnt(18)
	v_fma_f64 v[87:88], v[51:52], v[65:66], -v[87:88]
	v_fma_f64 v[59:60], v[53:54], v[65:66], v[59:60]
	ds_read_b128 v[51:54], v2 offset:640
	s_waitcnt vmcnt(14) lgkmcnt(1)
	v_mul_f64 v[65:66], v[47:48], v[67:68]
	v_add_f64 v[85:86], v[85:86], 0
	v_add_f64 v[3:4], v[3:4], 0
	v_mul_f64 v[67:68], v[49:50], v[67:68]
	s_waitcnt vmcnt(12)
	v_fma_f64 v[63:64], v[55:56], v[73:74], -v[63:64]
	v_fma_f64 v[61:62], v[57:58], v[73:74], v[61:62]
	ds_read_b128 v[55:58], v2 offset:656
	s_waitcnt vmcnt(9)
	v_fma_f64 v[49:50], v[49:50], v[75:76], v[65:66]
	v_add_f64 v[85:86], v[85:86], v[87:88]
	v_add_f64 v[3:4], v[3:4], v[59:60]
	s_waitcnt lgkmcnt(1)
	v_mul_f64 v[59:60], v[51:52], v[69:70]
	v_mul_f64 v[69:70], v[53:54], v[69:70]
	v_fma_f64 v[47:48], v[47:48], v[75:76], -v[67:68]
	s_waitcnt vmcnt(7) lgkmcnt(0)
	v_mul_f64 v[65:66], v[57:58], v[77:78]
	v_add_f64 v[63:64], v[85:86], v[63:64]
	v_add_f64 v[2:3], v[3:4], v[61:62]
	v_mul_f64 v[61:62], v[55:56], v[77:78]
	s_waitcnt vmcnt(6)
	v_fma_f64 v[51:52], v[51:52], v[71:72], -v[69:70]
	v_fma_f64 v[53:54], v[53:54], v[71:72], v[59:60]
	v_add_f64 v[47:48], v[63:64], v[47:48]
	v_add_f64 v[2:3], v[2:3], v[49:50]
	s_waitcnt vmcnt(4)
	v_fma_f64 v[49:50], v[55:56], v[79:80], -v[65:66]
	v_add_f64 v[47:48], v[47:48], v[51:52]
	v_fma_f64 v[51:52], v[57:58], v[79:80], v[61:62]
	v_add_f64 v[2:3], v[2:3], v[53:54]
	v_add_f64 v[47:48], v[47:48], v[49:50]
	;; [unrolled: 1-line block ×3, first 2 shown]
	s_waitcnt vmcnt(2)
	v_add_f64 v[47:48], v[81:82], -v[47:48]
	s_waitcnt vmcnt(0)
	v_add_f64 v[2:3], v[83:84], -v[2:3]
	buffer_store_dword v48, off, s[0:3], 0 offset:244
	buffer_store_dword v47, off, s[0:3], 0 offset:240
	;; [unrolled: 1-line block ×4, first 2 shown]
	v_cmpx_lt_u32_e32 13, v0
	s_cbranch_execz .LBB84_113
; %bb.112:
	v_mov_b32_e32 v2, s19
	s_clause 0x3
	buffer_load_dword v47, v2, s[0:3], 0 offen
	buffer_load_dword v48, v2, s[0:3], 0 offen offset:4
	buffer_load_dword v49, v2, s[0:3], 0 offen offset:8
	;; [unrolled: 1-line block ×3, first 2 shown]
	v_mov_b32_e32 v2, 0
	buffer_store_dword v2, off, s[0:3], 0 offset:224
	buffer_store_dword v2, off, s[0:3], 0 offset:228
	;; [unrolled: 1-line block ×4, first 2 shown]
	s_waitcnt vmcnt(0)
	ds_write_b128 v1, v[47:50]
.LBB84_113:
	s_or_b32 exec_lo, exec_lo, s4
	s_waitcnt lgkmcnt(0)
	s_waitcnt_vscnt null, 0x0
	s_barrier
	buffer_gl0_inv
	s_clause 0x1f
	buffer_load_dword v3, off, s[0:3], 0 offset:248
	buffer_load_dword v4, off, s[0:3], 0 offset:252
	;; [unrolled: 1-line block ×32, first 2 shown]
	v_mov_b32_e32 v2, 0
	ds_read_b128 v[47:50], v2 offset:560
	ds_read_b128 v[51:54], v2 offset:576
	;; [unrolled: 1-line block ×3, first 2 shown]
	s_mov_b32 s4, exec_lo
	s_waitcnt vmcnt(30) lgkmcnt(2)
	v_mul_f64 v[89:90], v[49:50], v[3:4]
	v_mul_f64 v[3:4], v[47:48], v[3:4]
	s_waitcnt vmcnt(28) lgkmcnt(1)
	v_mul_f64 v[91:92], v[53:54], v[59:60]
	v_mul_f64 v[59:60], v[51:52], v[59:60]
	s_waitcnt vmcnt(26)
	v_fma_f64 v[89:90], v[47:48], v[61:62], -v[89:90]
	v_fma_f64 v[3:4], v[49:50], v[61:62], v[3:4]
	ds_read_b128 v[47:50], v2 offset:608
	s_waitcnt vmcnt(24) lgkmcnt(1)
	v_mul_f64 v[61:62], v[55:56], v[63:64]
	v_mul_f64 v[63:64], v[57:58], v[63:64]
	s_waitcnt vmcnt(22)
	v_fma_f64 v[91:92], v[51:52], v[65:66], -v[91:92]
	v_fma_f64 v[59:60], v[53:54], v[65:66], v[59:60]
	ds_read_b128 v[51:54], v2 offset:624
	s_waitcnt vmcnt(18) lgkmcnt(1)
	v_mul_f64 v[65:66], v[47:48], v[67:68]
	v_add_f64 v[89:90], v[89:90], 0
	v_add_f64 v[3:4], v[3:4], 0
	v_mul_f64 v[67:68], v[49:50], v[67:68]
	s_waitcnt vmcnt(16)
	v_fma_f64 v[63:64], v[55:56], v[73:74], -v[63:64]
	v_fma_f64 v[61:62], v[57:58], v[73:74], v[61:62]
	ds_read_b128 v[55:58], v2 offset:640
	s_waitcnt vmcnt(13)
	v_fma_f64 v[65:66], v[49:50], v[75:76], v[65:66]
	v_add_f64 v[89:90], v[89:90], v[91:92]
	v_add_f64 v[3:4], v[3:4], v[59:60]
	s_waitcnt lgkmcnt(1)
	v_mul_f64 v[59:60], v[51:52], v[69:70]
	v_mul_f64 v[69:70], v[53:54], v[69:70]
	v_fma_f64 v[67:68], v[47:48], v[75:76], -v[67:68]
	s_waitcnt vmcnt(9) lgkmcnt(0)
	v_mul_f64 v[73:74], v[57:58], v[77:78]
	ds_read_b128 v[47:50], v2 offset:656
	v_add_f64 v[63:64], v[89:90], v[63:64]
	v_add_f64 v[3:4], v[3:4], v[61:62]
	v_mul_f64 v[61:62], v[55:56], v[77:78]
	s_waitcnt vmcnt(8)
	v_fma_f64 v[51:52], v[51:52], v[71:72], -v[69:70]
	v_fma_f64 v[53:54], v[53:54], v[71:72], v[59:60]
	s_waitcnt vmcnt(5)
	v_fma_f64 v[55:56], v[55:56], v[83:84], -v[73:74]
	s_waitcnt lgkmcnt(0)
	v_mul_f64 v[59:60], v[47:48], v[79:80]
	v_add_f64 v[63:64], v[63:64], v[67:68]
	v_add_f64 v[3:4], v[3:4], v[65:66]
	v_mul_f64 v[65:66], v[49:50], v[79:80]
	v_fma_f64 v[57:58], v[57:58], v[83:84], v[61:62]
	s_waitcnt vmcnt(4)
	v_fma_f64 v[49:50], v[49:50], v[81:82], v[59:60]
	v_add_f64 v[51:52], v[63:64], v[51:52]
	v_add_f64 v[3:4], v[3:4], v[53:54]
	v_fma_f64 v[47:48], v[47:48], v[81:82], -v[65:66]
	v_add_f64 v[51:52], v[51:52], v[55:56]
	v_add_f64 v[3:4], v[3:4], v[57:58]
	;; [unrolled: 1-line block ×4, first 2 shown]
	s_waitcnt vmcnt(2)
	v_add_f64 v[47:48], v[85:86], -v[47:48]
	s_waitcnt vmcnt(0)
	v_add_f64 v[3:4], v[87:88], -v[3:4]
	buffer_store_dword v48, off, s[0:3], 0 offset:228
	buffer_store_dword v47, off, s[0:3], 0 offset:224
	;; [unrolled: 1-line block ×4, first 2 shown]
	v_cmpx_lt_u32_e32 12, v0
	s_cbranch_execz .LBB84_115
; %bb.114:
	v_mov_b32_e32 v3, s20
	s_clause 0x3
	buffer_load_dword v47, v3, s[0:3], 0 offen
	buffer_load_dword v48, v3, s[0:3], 0 offen offset:4
	buffer_load_dword v49, v3, s[0:3], 0 offen offset:8
	;; [unrolled: 1-line block ×3, first 2 shown]
	buffer_store_dword v2, off, s[0:3], 0 offset:208
	buffer_store_dword v2, off, s[0:3], 0 offset:212
	;; [unrolled: 1-line block ×4, first 2 shown]
	s_waitcnt vmcnt(0)
	ds_write_b128 v1, v[47:50]
.LBB84_115:
	s_or_b32 exec_lo, exec_lo, s4
	s_waitcnt lgkmcnt(0)
	s_waitcnt_vscnt null, 0x0
	s_barrier
	buffer_gl0_inv
	s_clause 0x23
	buffer_load_dword v3, off, s[0:3], 0 offset:232
	buffer_load_dword v4, off, s[0:3], 0 offset:236
	;; [unrolled: 1-line block ×36, first 2 shown]
	ds_read_b128 v[47:50], v2 offset:544
	ds_read_b128 v[51:54], v2 offset:560
	;; [unrolled: 1-line block ×3, first 2 shown]
	s_mov_b32 s4, exec_lo
	s_waitcnt vmcnt(34) lgkmcnt(2)
	v_mul_f64 v[93:94], v[49:50], v[3:4]
	v_mul_f64 v[3:4], v[47:48], v[3:4]
	s_waitcnt vmcnt(32) lgkmcnt(1)
	v_mul_f64 v[95:96], v[53:54], v[59:60]
	v_mul_f64 v[59:60], v[51:52], v[59:60]
	s_waitcnt vmcnt(30)
	v_fma_f64 v[93:94], v[47:48], v[61:62], -v[93:94]
	v_fma_f64 v[3:4], v[49:50], v[61:62], v[3:4]
	ds_read_b128 v[47:50], v2 offset:592
	s_waitcnt vmcnt(28) lgkmcnt(1)
	v_mul_f64 v[61:62], v[55:56], v[63:64]
	v_mul_f64 v[63:64], v[57:58], v[63:64]
	s_waitcnt vmcnt(26)
	v_fma_f64 v[95:96], v[51:52], v[65:66], -v[95:96]
	v_fma_f64 v[59:60], v[53:54], v[65:66], v[59:60]
	ds_read_b128 v[51:54], v2 offset:608
	s_waitcnt vmcnt(22) lgkmcnt(1)
	v_mul_f64 v[65:66], v[47:48], v[67:68]
	v_add_f64 v[93:94], v[93:94], 0
	v_add_f64 v[3:4], v[3:4], 0
	v_mul_f64 v[67:68], v[49:50], v[67:68]
	s_waitcnt vmcnt(20)
	v_fma_f64 v[63:64], v[55:56], v[73:74], -v[63:64]
	v_fma_f64 v[61:62], v[57:58], v[73:74], v[61:62]
	ds_read_b128 v[55:58], v2 offset:624
	s_waitcnt vmcnt(17)
	v_fma_f64 v[65:66], v[49:50], v[75:76], v[65:66]
	v_add_f64 v[93:94], v[93:94], v[95:96]
	v_add_f64 v[3:4], v[3:4], v[59:60]
	s_waitcnt lgkmcnt(1)
	v_mul_f64 v[59:60], v[51:52], v[69:70]
	v_mul_f64 v[69:70], v[53:54], v[69:70]
	v_fma_f64 v[67:68], v[47:48], v[75:76], -v[67:68]
	s_waitcnt vmcnt(13) lgkmcnt(0)
	v_mul_f64 v[73:74], v[57:58], v[77:78]
	ds_read_b128 v[47:50], v2 offset:640
	v_add_f64 v[63:64], v[93:94], v[63:64]
	v_add_f64 v[3:4], v[3:4], v[61:62]
	v_mul_f64 v[61:62], v[55:56], v[77:78]
	s_waitcnt vmcnt(12)
	v_fma_f64 v[69:70], v[51:52], v[71:72], -v[69:70]
	v_fma_f64 v[59:60], v[53:54], v[71:72], v[59:60]
	ds_read_b128 v[51:54], v2 offset:656
	s_waitcnt vmcnt(9)
	v_fma_f64 v[55:56], v[55:56], v[83:84], -v[73:74]
	v_add_f64 v[63:64], v[63:64], v[67:68]
	v_add_f64 v[3:4], v[3:4], v[65:66]
	s_waitcnt lgkmcnt(1)
	v_mul_f64 v[67:68], v[49:50], v[79:80]
	v_mul_f64 v[65:66], v[47:48], v[79:80]
	v_fma_f64 v[57:58], v[57:58], v[83:84], v[61:62]
	s_waitcnt vmcnt(7) lgkmcnt(0)
	v_mul_f64 v[61:62], v[53:54], v[85:86]
	v_add_f64 v[63:64], v[63:64], v[69:70]
	v_add_f64 v[2:3], v[3:4], v[59:60]
	s_waitcnt vmcnt(6)
	v_fma_f64 v[47:48], v[47:48], v[81:82], -v[67:68]
	v_mul_f64 v[59:60], v[51:52], v[85:86]
	v_fma_f64 v[49:50], v[49:50], v[81:82], v[65:66]
	s_waitcnt vmcnt(4)
	v_fma_f64 v[51:52], v[51:52], v[87:88], -v[61:62]
	v_add_f64 v[55:56], v[63:64], v[55:56]
	v_add_f64 v[2:3], v[2:3], v[57:58]
	v_fma_f64 v[53:54], v[53:54], v[87:88], v[59:60]
	v_add_f64 v[47:48], v[55:56], v[47:48]
	v_add_f64 v[2:3], v[2:3], v[49:50]
	;; [unrolled: 1-line block ×4, first 2 shown]
	s_waitcnt vmcnt(2)
	v_add_f64 v[47:48], v[89:90], -v[47:48]
	s_waitcnt vmcnt(0)
	v_add_f64 v[2:3], v[91:92], -v[2:3]
	buffer_store_dword v48, off, s[0:3], 0 offset:212
	buffer_store_dword v47, off, s[0:3], 0 offset:208
	;; [unrolled: 1-line block ×4, first 2 shown]
	v_cmpx_lt_u32_e32 11, v0
	s_cbranch_execz .LBB84_117
; %bb.116:
	v_mov_b32_e32 v2, s21
	s_clause 0x3
	buffer_load_dword v47, v2, s[0:3], 0 offen
	buffer_load_dword v48, v2, s[0:3], 0 offen offset:4
	buffer_load_dword v49, v2, s[0:3], 0 offen offset:8
	;; [unrolled: 1-line block ×3, first 2 shown]
	v_mov_b32_e32 v2, 0
	buffer_store_dword v2, off, s[0:3], 0 offset:192
	buffer_store_dword v2, off, s[0:3], 0 offset:196
	buffer_store_dword v2, off, s[0:3], 0 offset:200
	buffer_store_dword v2, off, s[0:3], 0 offset:204
	s_waitcnt vmcnt(0)
	ds_write_b128 v1, v[47:50]
.LBB84_117:
	s_or_b32 exec_lo, exec_lo, s4
	s_waitcnt lgkmcnt(0)
	s_waitcnt_vscnt null, 0x0
	s_barrier
	buffer_gl0_inv
	s_clause 0x27
	buffer_load_dword v3, off, s[0:3], 0 offset:216
	buffer_load_dword v4, off, s[0:3], 0 offset:220
	;; [unrolled: 1-line block ×40, first 2 shown]
	v_mov_b32_e32 v2, 0
	ds_read_b128 v[47:50], v2 offset:528
	ds_read_b128 v[51:54], v2 offset:544
	;; [unrolled: 1-line block ×3, first 2 shown]
	s_mov_b32 s4, exec_lo
	s_waitcnt vmcnt(38) lgkmcnt(2)
	v_mul_f64 v[97:98], v[49:50], v[3:4]
	v_mul_f64 v[3:4], v[47:48], v[3:4]
	s_waitcnt vmcnt(36) lgkmcnt(1)
	v_mul_f64 v[99:100], v[53:54], v[59:60]
	v_mul_f64 v[59:60], v[51:52], v[59:60]
	s_waitcnt vmcnt(34)
	v_fma_f64 v[97:98], v[47:48], v[61:62], -v[97:98]
	v_fma_f64 v[3:4], v[49:50], v[61:62], v[3:4]
	ds_read_b128 v[47:50], v2 offset:576
	s_waitcnt vmcnt(32) lgkmcnt(1)
	v_mul_f64 v[61:62], v[55:56], v[63:64]
	v_mul_f64 v[63:64], v[57:58], v[63:64]
	s_waitcnt vmcnt(30)
	v_fma_f64 v[99:100], v[51:52], v[65:66], -v[99:100]
	v_fma_f64 v[59:60], v[53:54], v[65:66], v[59:60]
	ds_read_b128 v[51:54], v2 offset:592
	s_waitcnt vmcnt(26) lgkmcnt(1)
	v_mul_f64 v[65:66], v[47:48], v[67:68]
	v_add_f64 v[97:98], v[97:98], 0
	v_add_f64 v[3:4], v[3:4], 0
	v_mul_f64 v[67:68], v[49:50], v[67:68]
	s_waitcnt vmcnt(24)
	v_fma_f64 v[63:64], v[55:56], v[73:74], -v[63:64]
	v_fma_f64 v[61:62], v[57:58], v[73:74], v[61:62]
	ds_read_b128 v[55:58], v2 offset:608
	s_waitcnt vmcnt(21)
	v_fma_f64 v[65:66], v[49:50], v[75:76], v[65:66]
	v_add_f64 v[97:98], v[97:98], v[99:100]
	v_add_f64 v[3:4], v[3:4], v[59:60]
	s_waitcnt lgkmcnt(1)
	v_mul_f64 v[59:60], v[51:52], v[69:70]
	v_mul_f64 v[69:70], v[53:54], v[69:70]
	v_fma_f64 v[67:68], v[47:48], v[75:76], -v[67:68]
	s_waitcnt vmcnt(17) lgkmcnt(0)
	v_mul_f64 v[73:74], v[57:58], v[77:78]
	ds_read_b128 v[47:50], v2 offset:624
	v_add_f64 v[63:64], v[97:98], v[63:64]
	v_add_f64 v[3:4], v[3:4], v[61:62]
	v_mul_f64 v[61:62], v[55:56], v[77:78]
	s_waitcnt vmcnt(16)
	v_fma_f64 v[69:70], v[51:52], v[71:72], -v[69:70]
	v_fma_f64 v[59:60], v[53:54], v[71:72], v[59:60]
	ds_read_b128 v[51:54], v2 offset:640
	s_waitcnt vmcnt(13)
	v_fma_f64 v[71:72], v[55:56], v[83:84], -v[73:74]
	v_add_f64 v[63:64], v[63:64], v[67:68]
	v_add_f64 v[3:4], v[3:4], v[65:66]
	s_waitcnt lgkmcnt(1)
	v_mul_f64 v[67:68], v[49:50], v[79:80]
	v_mul_f64 v[65:66], v[47:48], v[79:80]
	v_fma_f64 v[61:62], v[57:58], v[83:84], v[61:62]
	ds_read_b128 v[55:58], v2 offset:656
	v_add_f64 v[63:64], v[63:64], v[69:70]
	v_add_f64 v[3:4], v[3:4], v[59:60]
	s_waitcnt vmcnt(9) lgkmcnt(1)
	v_mul_f64 v[69:70], v[53:54], v[85:86]
	s_waitcnt vmcnt(8)
	v_fma_f64 v[47:48], v[47:48], v[81:82], -v[67:68]
	v_mul_f64 v[59:60], v[51:52], v[85:86]
	v_fma_f64 v[49:50], v[49:50], v[81:82], v[65:66]
	s_waitcnt vmcnt(7) lgkmcnt(0)
	v_mul_f64 v[65:66], v[57:58], v[87:88]
	v_add_f64 v[63:64], v[63:64], v[71:72]
	v_add_f64 v[3:4], v[3:4], v[61:62]
	s_waitcnt vmcnt(5)
	v_fma_f64 v[51:52], v[51:52], v[91:92], -v[69:70]
	v_mul_f64 v[61:62], v[55:56], v[87:88]
	v_fma_f64 v[53:54], v[53:54], v[91:92], v[59:60]
	v_add_f64 v[47:48], v[63:64], v[47:48]
	v_add_f64 v[3:4], v[3:4], v[49:50]
	s_waitcnt vmcnt(4)
	v_fma_f64 v[49:50], v[55:56], v[89:90], -v[65:66]
	v_add_f64 v[47:48], v[47:48], v[51:52]
	v_fma_f64 v[51:52], v[57:58], v[89:90], v[61:62]
	v_add_f64 v[3:4], v[3:4], v[53:54]
	v_add_f64 v[47:48], v[47:48], v[49:50]
	v_add_f64 v[3:4], v[3:4], v[51:52]
	s_waitcnt vmcnt(2)
	v_add_f64 v[47:48], v[93:94], -v[47:48]
	s_waitcnt vmcnt(0)
	v_add_f64 v[3:4], v[95:96], -v[3:4]
	buffer_store_dword v48, off, s[0:3], 0 offset:196
	buffer_store_dword v47, off, s[0:3], 0 offset:192
	;; [unrolled: 1-line block ×4, first 2 shown]
	v_cmpx_lt_u32_e32 10, v0
	s_cbranch_execz .LBB84_119
; %bb.118:
	v_mov_b32_e32 v3, s22
	s_clause 0x3
	buffer_load_dword v47, v3, s[0:3], 0 offen
	buffer_load_dword v48, v3, s[0:3], 0 offen offset:4
	buffer_load_dword v49, v3, s[0:3], 0 offen offset:8
	;; [unrolled: 1-line block ×3, first 2 shown]
	buffer_store_dword v2, off, s[0:3], 0 offset:176
	buffer_store_dword v2, off, s[0:3], 0 offset:180
	;; [unrolled: 1-line block ×4, first 2 shown]
	s_waitcnt vmcnt(0)
	ds_write_b128 v1, v[47:50]
.LBB84_119:
	s_or_b32 exec_lo, exec_lo, s4
	s_waitcnt lgkmcnt(0)
	s_waitcnt_vscnt null, 0x0
	s_barrier
	buffer_gl0_inv
	s_clause 0x2b
	buffer_load_dword v3, off, s[0:3], 0 offset:200
	buffer_load_dword v4, off, s[0:3], 0 offset:204
	;; [unrolled: 1-line block ×44, first 2 shown]
	ds_read_b128 v[47:50], v2 offset:512
	ds_read_b128 v[51:54], v2 offset:528
	ds_read_b128 v[55:58], v2 offset:544
	s_mov_b32 s4, exec_lo
	s_waitcnt vmcnt(42) lgkmcnt(2)
	v_mul_f64 v[101:102], v[49:50], v[3:4]
	v_mul_f64 v[3:4], v[47:48], v[3:4]
	s_waitcnt vmcnt(40) lgkmcnt(1)
	v_mul_f64 v[103:104], v[53:54], v[59:60]
	v_mul_f64 v[59:60], v[51:52], v[59:60]
	s_waitcnt vmcnt(38)
	v_fma_f64 v[101:102], v[47:48], v[61:62], -v[101:102]
	v_fma_f64 v[3:4], v[49:50], v[61:62], v[3:4]
	ds_read_b128 v[47:50], v2 offset:560
	s_waitcnt vmcnt(36) lgkmcnt(1)
	v_mul_f64 v[61:62], v[55:56], v[63:64]
	v_mul_f64 v[63:64], v[57:58], v[63:64]
	s_waitcnt vmcnt(34)
	v_fma_f64 v[103:104], v[51:52], v[65:66], -v[103:104]
	v_fma_f64 v[59:60], v[53:54], v[65:66], v[59:60]
	ds_read_b128 v[51:54], v2 offset:576
	s_waitcnt vmcnt(30) lgkmcnt(1)
	v_mul_f64 v[65:66], v[47:48], v[67:68]
	v_add_f64 v[101:102], v[101:102], 0
	v_add_f64 v[3:4], v[3:4], 0
	v_mul_f64 v[67:68], v[49:50], v[67:68]
	s_waitcnt vmcnt(28)
	v_fma_f64 v[63:64], v[55:56], v[73:74], -v[63:64]
	v_fma_f64 v[61:62], v[57:58], v[73:74], v[61:62]
	ds_read_b128 v[55:58], v2 offset:592
	s_waitcnt vmcnt(25)
	v_fma_f64 v[65:66], v[49:50], v[75:76], v[65:66]
	v_add_f64 v[101:102], v[101:102], v[103:104]
	v_add_f64 v[3:4], v[3:4], v[59:60]
	s_waitcnt lgkmcnt(1)
	v_mul_f64 v[59:60], v[51:52], v[69:70]
	v_mul_f64 v[69:70], v[53:54], v[69:70]
	v_fma_f64 v[67:68], v[47:48], v[75:76], -v[67:68]
	s_waitcnt vmcnt(21) lgkmcnt(0)
	v_mul_f64 v[73:74], v[57:58], v[77:78]
	ds_read_b128 v[47:50], v2 offset:608
	v_add_f64 v[63:64], v[101:102], v[63:64]
	v_add_f64 v[3:4], v[3:4], v[61:62]
	v_mul_f64 v[61:62], v[55:56], v[77:78]
	s_waitcnt vmcnt(20)
	v_fma_f64 v[69:70], v[51:52], v[71:72], -v[69:70]
	v_fma_f64 v[59:60], v[53:54], v[71:72], v[59:60]
	ds_read_b128 v[51:54], v2 offset:624
	s_waitcnt vmcnt(17)
	v_fma_f64 v[71:72], v[55:56], v[83:84], -v[73:74]
	v_add_f64 v[63:64], v[63:64], v[67:68]
	v_add_f64 v[3:4], v[3:4], v[65:66]
	s_waitcnt lgkmcnt(1)
	v_mul_f64 v[67:68], v[49:50], v[79:80]
	v_mul_f64 v[65:66], v[47:48], v[79:80]
	v_fma_f64 v[61:62], v[57:58], v[83:84], v[61:62]
	ds_read_b128 v[55:58], v2 offset:640
	v_add_f64 v[63:64], v[63:64], v[69:70]
	v_add_f64 v[3:4], v[3:4], v[59:60]
	s_waitcnt vmcnt(13) lgkmcnt(1)
	v_mul_f64 v[69:70], v[53:54], v[85:86]
	s_waitcnt vmcnt(12)
	v_fma_f64 v[67:68], v[47:48], v[81:82], -v[67:68]
	v_mul_f64 v[59:60], v[51:52], v[85:86]
	v_fma_f64 v[65:66], v[49:50], v[81:82], v[65:66]
	ds_read_b128 v[47:50], v2 offset:656
	v_add_f64 v[63:64], v[63:64], v[71:72]
	v_add_f64 v[3:4], v[3:4], v[61:62]
	s_waitcnt vmcnt(11) lgkmcnt(1)
	v_mul_f64 v[71:72], v[57:58], v[87:88]
	s_waitcnt vmcnt(9)
	v_fma_f64 v[51:52], v[51:52], v[91:92], -v[69:70]
	v_mul_f64 v[61:62], v[55:56], v[87:88]
	v_fma_f64 v[53:54], v[53:54], v[91:92], v[59:60]
	s_waitcnt vmcnt(7) lgkmcnt(0)
	v_mul_f64 v[59:60], v[47:48], v[93:94]
	v_add_f64 v[63:64], v[63:64], v[67:68]
	v_add_f64 v[2:3], v[3:4], v[65:66]
	v_mul_f64 v[65:66], v[49:50], v[93:94]
	s_waitcnt vmcnt(6)
	v_fma_f64 v[55:56], v[55:56], v[89:90], -v[71:72]
	v_fma_f64 v[57:58], v[57:58], v[89:90], v[61:62]
	s_waitcnt vmcnt(4)
	v_fma_f64 v[49:50], v[49:50], v[95:96], v[59:60]
	v_add_f64 v[51:52], v[63:64], v[51:52]
	v_add_f64 v[2:3], v[2:3], v[53:54]
	v_fma_f64 v[47:48], v[47:48], v[95:96], -v[65:66]
	v_add_f64 v[51:52], v[51:52], v[55:56]
	v_add_f64 v[2:3], v[2:3], v[57:58]
	v_add_f64 v[47:48], v[51:52], v[47:48]
	v_add_f64 v[2:3], v[2:3], v[49:50]
	s_waitcnt vmcnt(2)
	v_add_f64 v[47:48], v[97:98], -v[47:48]
	s_waitcnt vmcnt(0)
	v_add_f64 v[2:3], v[99:100], -v[2:3]
	buffer_store_dword v48, off, s[0:3], 0 offset:180
	buffer_store_dword v47, off, s[0:3], 0 offset:176
	;; [unrolled: 1-line block ×4, first 2 shown]
	v_cmpx_lt_u32_e32 9, v0
	s_cbranch_execz .LBB84_121
; %bb.120:
	v_mov_b32_e32 v2, s23
	s_clause 0x3
	buffer_load_dword v47, v2, s[0:3], 0 offen
	buffer_load_dword v48, v2, s[0:3], 0 offen offset:4
	buffer_load_dword v49, v2, s[0:3], 0 offen offset:8
	buffer_load_dword v50, v2, s[0:3], 0 offen offset:12
	v_mov_b32_e32 v2, 0
	buffer_store_dword v2, off, s[0:3], 0 offset:160
	buffer_store_dword v2, off, s[0:3], 0 offset:164
	;; [unrolled: 1-line block ×4, first 2 shown]
	s_waitcnt vmcnt(0)
	ds_write_b128 v1, v[47:50]
.LBB84_121:
	s_or_b32 exec_lo, exec_lo, s4
	s_waitcnt lgkmcnt(0)
	s_waitcnt_vscnt null, 0x0
	s_barrier
	buffer_gl0_inv
	s_clause 0x2f
	buffer_load_dword v3, off, s[0:3], 0 offset:184
	buffer_load_dword v4, off, s[0:3], 0 offset:188
	;; [unrolled: 1-line block ×48, first 2 shown]
	v_mov_b32_e32 v2, 0
	ds_read_b128 v[47:50], v2 offset:496
	ds_read_b128 v[51:54], v2 offset:512
	;; [unrolled: 1-line block ×3, first 2 shown]
	s_mov_b32 s4, exec_lo
	s_waitcnt vmcnt(46) lgkmcnt(2)
	v_mul_f64 v[105:106], v[49:50], v[3:4]
	v_mul_f64 v[3:4], v[47:48], v[3:4]
	s_waitcnt vmcnt(44) lgkmcnt(1)
	v_mul_f64 v[107:108], v[53:54], v[59:60]
	v_mul_f64 v[59:60], v[51:52], v[59:60]
	s_waitcnt vmcnt(42)
	v_fma_f64 v[105:106], v[47:48], v[61:62], -v[105:106]
	v_fma_f64 v[3:4], v[49:50], v[61:62], v[3:4]
	ds_read_b128 v[47:50], v2 offset:544
	s_waitcnt vmcnt(40) lgkmcnt(1)
	v_mul_f64 v[61:62], v[55:56], v[63:64]
	v_mul_f64 v[63:64], v[57:58], v[63:64]
	s_waitcnt vmcnt(38)
	v_fma_f64 v[107:108], v[51:52], v[65:66], -v[107:108]
	v_fma_f64 v[59:60], v[53:54], v[65:66], v[59:60]
	ds_read_b128 v[51:54], v2 offset:560
	s_waitcnt vmcnt(34) lgkmcnt(1)
	v_mul_f64 v[65:66], v[47:48], v[67:68]
	v_add_f64 v[105:106], v[105:106], 0
	v_add_f64 v[3:4], v[3:4], 0
	v_mul_f64 v[67:68], v[49:50], v[67:68]
	s_waitcnt vmcnt(32)
	v_fma_f64 v[63:64], v[55:56], v[73:74], -v[63:64]
	v_fma_f64 v[61:62], v[57:58], v[73:74], v[61:62]
	ds_read_b128 v[55:58], v2 offset:576
	s_waitcnt vmcnt(29)
	v_fma_f64 v[65:66], v[49:50], v[75:76], v[65:66]
	v_add_f64 v[105:106], v[105:106], v[107:108]
	v_add_f64 v[3:4], v[3:4], v[59:60]
	s_waitcnt lgkmcnt(1)
	v_mul_f64 v[59:60], v[51:52], v[69:70]
	v_mul_f64 v[69:70], v[53:54], v[69:70]
	v_fma_f64 v[67:68], v[47:48], v[75:76], -v[67:68]
	s_waitcnt vmcnt(25) lgkmcnt(0)
	v_mul_f64 v[73:74], v[57:58], v[77:78]
	ds_read_b128 v[47:50], v2 offset:592
	v_add_f64 v[63:64], v[105:106], v[63:64]
	v_add_f64 v[3:4], v[3:4], v[61:62]
	v_mul_f64 v[61:62], v[55:56], v[77:78]
	s_waitcnt vmcnt(24)
	v_fma_f64 v[69:70], v[51:52], v[71:72], -v[69:70]
	v_fma_f64 v[59:60], v[53:54], v[71:72], v[59:60]
	ds_read_b128 v[51:54], v2 offset:608
	s_waitcnt vmcnt(21)
	v_fma_f64 v[71:72], v[55:56], v[83:84], -v[73:74]
	v_add_f64 v[63:64], v[63:64], v[67:68]
	v_add_f64 v[3:4], v[3:4], v[65:66]
	s_waitcnt lgkmcnt(1)
	v_mul_f64 v[67:68], v[49:50], v[79:80]
	v_mul_f64 v[65:66], v[47:48], v[79:80]
	v_fma_f64 v[61:62], v[57:58], v[83:84], v[61:62]
	ds_read_b128 v[55:58], v2 offset:624
	v_add_f64 v[63:64], v[63:64], v[69:70]
	v_add_f64 v[3:4], v[3:4], v[59:60]
	s_waitcnt vmcnt(17) lgkmcnt(1)
	v_mul_f64 v[69:70], v[53:54], v[85:86]
	s_waitcnt vmcnt(16)
	v_fma_f64 v[67:68], v[47:48], v[81:82], -v[67:68]
	v_mul_f64 v[59:60], v[51:52], v[85:86]
	v_fma_f64 v[65:66], v[49:50], v[81:82], v[65:66]
	ds_read_b128 v[47:50], v2 offset:640
	v_add_f64 v[63:64], v[63:64], v[71:72]
	v_add_f64 v[3:4], v[3:4], v[61:62]
	s_waitcnt vmcnt(15) lgkmcnt(1)
	v_mul_f64 v[71:72], v[57:58], v[87:88]
	s_waitcnt vmcnt(13)
	v_fma_f64 v[69:70], v[51:52], v[91:92], -v[69:70]
	;; [unrolled: 9-line block ×3, first 2 shown]
	v_mul_f64 v[65:66], v[47:48], v[93:94]
	v_fma_f64 v[57:58], v[57:58], v[89:90], v[61:62]
	s_waitcnt vmcnt(7) lgkmcnt(0)
	v_mul_f64 v[61:62], v[53:54], v[95:96]
	v_add_f64 v[63:64], v[63:64], v[69:70]
	v_add_f64 v[3:4], v[3:4], v[59:60]
	s_waitcnt vmcnt(5)
	v_fma_f64 v[47:48], v[47:48], v[99:100], -v[67:68]
	v_mul_f64 v[59:60], v[51:52], v[95:96]
	v_fma_f64 v[49:50], v[49:50], v[99:100], v[65:66]
	s_waitcnt vmcnt(4)
	v_fma_f64 v[51:52], v[51:52], v[97:98], -v[61:62]
	v_add_f64 v[55:56], v[63:64], v[55:56]
	v_add_f64 v[3:4], v[3:4], v[57:58]
	v_fma_f64 v[53:54], v[53:54], v[97:98], v[59:60]
	v_add_f64 v[47:48], v[55:56], v[47:48]
	v_add_f64 v[3:4], v[3:4], v[49:50]
	;; [unrolled: 1-line block ×4, first 2 shown]
	s_waitcnt vmcnt(2)
	v_add_f64 v[47:48], v[101:102], -v[47:48]
	s_waitcnt vmcnt(0)
	v_add_f64 v[3:4], v[103:104], -v[3:4]
	buffer_store_dword v48, off, s[0:3], 0 offset:164
	buffer_store_dword v47, off, s[0:3], 0 offset:160
	;; [unrolled: 1-line block ×4, first 2 shown]
	v_cmpx_lt_u32_e32 8, v0
	s_cbranch_execz .LBB84_123
; %bb.122:
	v_mov_b32_e32 v3, s24
	s_clause 0x3
	buffer_load_dword v47, v3, s[0:3], 0 offen
	buffer_load_dword v48, v3, s[0:3], 0 offen offset:4
	buffer_load_dword v49, v3, s[0:3], 0 offen offset:8
	;; [unrolled: 1-line block ×3, first 2 shown]
	buffer_store_dword v2, off, s[0:3], 0 offset:144
	buffer_store_dword v2, off, s[0:3], 0 offset:148
	;; [unrolled: 1-line block ×4, first 2 shown]
	s_waitcnt vmcnt(0)
	ds_write_b128 v1, v[47:50]
.LBB84_123:
	s_or_b32 exec_lo, exec_lo, s4
	s_waitcnt lgkmcnt(0)
	s_waitcnt_vscnt null, 0x0
	s_barrier
	buffer_gl0_inv
	s_clause 0x2f
	buffer_load_dword v3, off, s[0:3], 0 offset:168
	buffer_load_dword v4, off, s[0:3], 0 offset:172
	;; [unrolled: 1-line block ×48, first 2 shown]
	ds_read_b128 v[47:50], v2 offset:480
	s_clause 0x3
	buffer_load_dword v105, off, s[0:3], 0 offset:144
	buffer_load_dword v106, off, s[0:3], 0 offset:148
	;; [unrolled: 1-line block ×4, first 2 shown]
	ds_read_b128 v[51:54], v2 offset:496
	ds_read_b128 v[55:58], v2 offset:512
	s_mov_b32 s4, exec_lo
	s_waitcnt vmcnt(50) lgkmcnt(2)
	v_mul_f64 v[109:110], v[49:50], v[3:4]
	v_mul_f64 v[3:4], v[47:48], v[3:4]
	s_waitcnt vmcnt(48) lgkmcnt(1)
	v_mul_f64 v[111:112], v[53:54], v[59:60]
	v_mul_f64 v[59:60], v[51:52], v[59:60]
	s_waitcnt vmcnt(46)
	v_fma_f64 v[109:110], v[47:48], v[61:62], -v[109:110]
	v_fma_f64 v[3:4], v[49:50], v[61:62], v[3:4]
	s_waitcnt vmcnt(44) lgkmcnt(0)
	v_mul_f64 v[61:62], v[55:56], v[63:64]
	v_mul_f64 v[63:64], v[57:58], v[63:64]
	s_waitcnt vmcnt(42)
	v_fma_f64 v[111:112], v[51:52], v[65:66], -v[111:112]
	ds_read_b128 v[47:50], v2 offset:528
	v_fma_f64 v[59:60], v[53:54], v[65:66], v[59:60]
	ds_read_b128 v[51:54], v2 offset:544
	v_add_f64 v[109:110], v[109:110], 0
	v_add_f64 v[3:4], v[3:4], 0
	s_waitcnt vmcnt(36)
	v_fma_f64 v[61:62], v[57:58], v[73:74], v[61:62]
	s_waitcnt lgkmcnt(1)
	v_mul_f64 v[65:66], v[47:48], v[67:68]
	v_mul_f64 v[67:68], v[49:50], v[67:68]
	v_fma_f64 v[63:64], v[55:56], v[73:74], -v[63:64]
	ds_read_b128 v[55:58], v2 offset:560
	v_add_f64 v[109:110], v[109:110], v[111:112]
	v_add_f64 v[3:4], v[3:4], v[59:60]
	s_waitcnt vmcnt(35) lgkmcnt(1)
	v_mul_f64 v[59:60], v[51:52], v[69:70]
	v_mul_f64 v[69:70], v[53:54], v[69:70]
	s_waitcnt vmcnt(33)
	v_fma_f64 v[67:68], v[47:48], v[75:76], -v[67:68]
	v_fma_f64 v[65:66], v[49:50], v[75:76], v[65:66]
	ds_read_b128 v[47:50], v2 offset:576
	s_waitcnt vmcnt(29) lgkmcnt(1)
	v_mul_f64 v[73:74], v[57:58], v[77:78]
	v_add_f64 v[63:64], v[109:110], v[63:64]
	v_add_f64 v[3:4], v[3:4], v[61:62]
	v_mul_f64 v[61:62], v[55:56], v[77:78]
	s_waitcnt vmcnt(28)
	v_fma_f64 v[69:70], v[51:52], v[71:72], -v[69:70]
	v_fma_f64 v[59:60], v[53:54], v[71:72], v[59:60]
	ds_read_b128 v[51:54], v2 offset:592
	s_waitcnt vmcnt(25)
	v_fma_f64 v[71:72], v[55:56], v[83:84], -v[73:74]
	v_add_f64 v[63:64], v[63:64], v[67:68]
	v_add_f64 v[3:4], v[3:4], v[65:66]
	s_waitcnt lgkmcnt(1)
	v_mul_f64 v[67:68], v[49:50], v[79:80]
	v_mul_f64 v[65:66], v[47:48], v[79:80]
	v_fma_f64 v[61:62], v[57:58], v[83:84], v[61:62]
	ds_read_b128 v[55:58], v2 offset:608
	v_add_f64 v[63:64], v[63:64], v[69:70]
	v_add_f64 v[3:4], v[3:4], v[59:60]
	s_waitcnt vmcnt(21) lgkmcnt(1)
	v_mul_f64 v[69:70], v[53:54], v[85:86]
	s_waitcnt vmcnt(20)
	v_fma_f64 v[67:68], v[47:48], v[81:82], -v[67:68]
	v_mul_f64 v[59:60], v[51:52], v[85:86]
	v_fma_f64 v[65:66], v[49:50], v[81:82], v[65:66]
	ds_read_b128 v[47:50], v2 offset:624
	v_add_f64 v[63:64], v[63:64], v[71:72]
	v_add_f64 v[3:4], v[3:4], v[61:62]
	s_waitcnt vmcnt(19) lgkmcnt(1)
	v_mul_f64 v[71:72], v[57:58], v[87:88]
	s_waitcnt vmcnt(17)
	v_fma_f64 v[69:70], v[51:52], v[91:92], -v[69:70]
	;; [unrolled: 9-line block ×4, first 2 shown]
	v_mul_f64 v[59:60], v[51:52], v[95:96]
	v_fma_f64 v[49:50], v[49:50], v[99:100], v[65:66]
	s_waitcnt vmcnt(7) lgkmcnt(0)
	v_mul_f64 v[65:66], v[57:58], v[101:102]
	v_add_f64 v[63:64], v[63:64], v[71:72]
	v_add_f64 v[2:3], v[3:4], v[61:62]
	s_waitcnt vmcnt(6)
	v_fma_f64 v[51:52], v[51:52], v[97:98], -v[69:70]
	v_mul_f64 v[61:62], v[55:56], v[101:102]
	v_fma_f64 v[53:54], v[53:54], v[97:98], v[59:60]
	v_add_f64 v[47:48], v[63:64], v[47:48]
	v_add_f64 v[2:3], v[2:3], v[49:50]
	s_waitcnt vmcnt(4)
	v_fma_f64 v[49:50], v[55:56], v[103:104], -v[65:66]
	v_add_f64 v[47:48], v[47:48], v[51:52]
	v_fma_f64 v[51:52], v[57:58], v[103:104], v[61:62]
	v_add_f64 v[2:3], v[2:3], v[53:54]
	v_add_f64 v[47:48], v[47:48], v[49:50]
	;; [unrolled: 1-line block ×3, first 2 shown]
	s_waitcnt vmcnt(2)
	v_add_f64 v[47:48], v[105:106], -v[47:48]
	s_waitcnt vmcnt(0)
	v_add_f64 v[2:3], v[107:108], -v[2:3]
	buffer_store_dword v48, off, s[0:3], 0 offset:148
	buffer_store_dword v47, off, s[0:3], 0 offset:144
	;; [unrolled: 1-line block ×4, first 2 shown]
	v_cmpx_lt_u32_e32 7, v0
	s_cbranch_execz .LBB84_125
; %bb.124:
	v_mov_b32_e32 v2, s25
	s_clause 0x3
	buffer_load_dword v47, v2, s[0:3], 0 offen
	buffer_load_dword v48, v2, s[0:3], 0 offen offset:4
	buffer_load_dword v49, v2, s[0:3], 0 offen offset:8
	;; [unrolled: 1-line block ×3, first 2 shown]
	v_mov_b32_e32 v2, 0
	buffer_store_dword v2, off, s[0:3], 0 offset:128
	buffer_store_dword v2, off, s[0:3], 0 offset:132
	;; [unrolled: 1-line block ×4, first 2 shown]
	s_waitcnt vmcnt(0)
	ds_write_b128 v1, v[47:50]
.LBB84_125:
	s_or_b32 exec_lo, exec_lo, s4
	s_waitcnt lgkmcnt(0)
	s_waitcnt_vscnt null, 0x0
	s_barrier
	buffer_gl0_inv
	s_clause 0x33
	buffer_load_dword v3, off, s[0:3], 0 offset:152
	buffer_load_dword v4, off, s[0:3], 0 offset:156
	;; [unrolled: 1-line block ×52, first 2 shown]
	v_mov_b32_e32 v2, 0
	ds_read_b128 v[47:50], v2 offset:464
	ds_read_b128 v[51:54], v2 offset:480
	s_clause 0x3
	buffer_load_dword v111, off, s[0:3], 0 offset:128
	buffer_load_dword v112, off, s[0:3], 0 offset:132
	;; [unrolled: 1-line block ×4, first 2 shown]
	ds_read_b128 v[55:58], v2 offset:496
	s_mov_b32 s4, exec_lo
	s_waitcnt vmcnt(54) lgkmcnt(2)
	v_mul_f64 v[109:110], v[49:50], v[3:4]
	v_mul_f64 v[3:4], v[47:48], v[3:4]
	s_waitcnt vmcnt(52) lgkmcnt(1)
	v_mul_f64 v[115:116], v[53:54], v[59:60]
	v_mul_f64 v[59:60], v[51:52], v[59:60]
	s_waitcnt vmcnt(50)
	v_fma_f64 v[109:110], v[47:48], v[61:62], -v[109:110]
	v_fma_f64 v[3:4], v[49:50], v[61:62], v[3:4]
	ds_read_b128 v[47:50], v2 offset:512
	s_waitcnt vmcnt(48) lgkmcnt(1)
	v_mul_f64 v[61:62], v[55:56], v[63:64]
	v_mul_f64 v[63:64], v[57:58], v[63:64]
	s_waitcnt vmcnt(46)
	v_fma_f64 v[115:116], v[51:52], v[65:66], -v[115:116]
	v_fma_f64 v[59:60], v[53:54], v[65:66], v[59:60]
	ds_read_b128 v[51:54], v2 offset:528
	s_waitcnt vmcnt(42) lgkmcnt(1)
	v_mul_f64 v[65:66], v[47:48], v[67:68]
	v_add_f64 v[109:110], v[109:110], 0
	v_add_f64 v[3:4], v[3:4], 0
	v_mul_f64 v[67:68], v[49:50], v[67:68]
	s_waitcnt vmcnt(40)
	v_fma_f64 v[63:64], v[55:56], v[73:74], -v[63:64]
	v_fma_f64 v[61:62], v[57:58], v[73:74], v[61:62]
	ds_read_b128 v[55:58], v2 offset:544
	s_waitcnt vmcnt(37)
	v_fma_f64 v[65:66], v[49:50], v[75:76], v[65:66]
	v_add_f64 v[109:110], v[109:110], v[115:116]
	v_add_f64 v[3:4], v[3:4], v[59:60]
	s_waitcnt lgkmcnt(1)
	v_mul_f64 v[59:60], v[51:52], v[69:70]
	v_mul_f64 v[69:70], v[53:54], v[69:70]
	v_fma_f64 v[67:68], v[47:48], v[75:76], -v[67:68]
	s_waitcnt vmcnt(33) lgkmcnt(0)
	v_mul_f64 v[73:74], v[57:58], v[77:78]
	ds_read_b128 v[47:50], v2 offset:560
	v_add_f64 v[63:64], v[109:110], v[63:64]
	v_add_f64 v[3:4], v[3:4], v[61:62]
	v_mul_f64 v[61:62], v[55:56], v[77:78]
	s_waitcnt vmcnt(32)
	v_fma_f64 v[69:70], v[51:52], v[71:72], -v[69:70]
	v_fma_f64 v[59:60], v[53:54], v[71:72], v[59:60]
	ds_read_b128 v[51:54], v2 offset:576
	s_waitcnt vmcnt(29)
	v_fma_f64 v[71:72], v[55:56], v[83:84], -v[73:74]
	v_add_f64 v[63:64], v[63:64], v[67:68]
	v_add_f64 v[3:4], v[3:4], v[65:66]
	s_waitcnt lgkmcnt(1)
	v_mul_f64 v[67:68], v[49:50], v[79:80]
	v_mul_f64 v[65:66], v[47:48], v[79:80]
	v_fma_f64 v[61:62], v[57:58], v[83:84], v[61:62]
	ds_read_b128 v[55:58], v2 offset:592
	v_add_f64 v[63:64], v[63:64], v[69:70]
	v_add_f64 v[3:4], v[3:4], v[59:60]
	s_waitcnt vmcnt(25) lgkmcnt(1)
	v_mul_f64 v[69:70], v[53:54], v[85:86]
	s_waitcnt vmcnt(24)
	v_fma_f64 v[67:68], v[47:48], v[81:82], -v[67:68]
	v_mul_f64 v[59:60], v[51:52], v[85:86]
	v_fma_f64 v[65:66], v[49:50], v[81:82], v[65:66]
	ds_read_b128 v[47:50], v2 offset:608
	v_add_f64 v[63:64], v[63:64], v[71:72]
	v_add_f64 v[3:4], v[3:4], v[61:62]
	s_waitcnt vmcnt(23) lgkmcnt(1)
	v_mul_f64 v[71:72], v[57:58], v[87:88]
	s_waitcnt vmcnt(21)
	v_fma_f64 v[69:70], v[51:52], v[91:92], -v[69:70]
	v_mul_f64 v[61:62], v[55:56], v[87:88]
	v_fma_f64 v[59:60], v[53:54], v[91:92], v[59:60]
	ds_read_b128 v[51:54], v2 offset:624
	v_add_f64 v[63:64], v[63:64], v[67:68]
	v_add_f64 v[3:4], v[3:4], v[65:66]
	s_waitcnt vmcnt(17) lgkmcnt(1)
	v_mul_f64 v[67:68], v[49:50], v[93:94]
	s_waitcnt vmcnt(16)
	v_fma_f64 v[71:72], v[55:56], v[89:90], -v[71:72]
	v_mul_f64 v[65:66], v[47:48], v[93:94]
	v_fma_f64 v[61:62], v[57:58], v[89:90], v[61:62]
	ds_read_b128 v[55:58], v2 offset:640
	v_add_f64 v[63:64], v[63:64], v[69:70]
	v_add_f64 v[3:4], v[3:4], v[59:60]
	s_waitcnt vmcnt(15) lgkmcnt(1)
	v_mul_f64 v[69:70], v[53:54], v[95:96]
	s_waitcnt vmcnt(13)
	v_fma_f64 v[67:68], v[47:48], v[99:100], -v[67:68]
	v_mul_f64 v[59:60], v[51:52], v[95:96]
	v_fma_f64 v[65:66], v[49:50], v[99:100], v[65:66]
	ds_read_b128 v[47:50], v2 offset:656
	v_add_f64 v[63:64], v[63:64], v[71:72]
	v_add_f64 v[3:4], v[3:4], v[61:62]
	s_waitcnt vmcnt(9) lgkmcnt(1)
	v_mul_f64 v[71:72], v[57:58], v[101:102]
	s_waitcnt vmcnt(8)
	v_fma_f64 v[51:52], v[51:52], v[97:98], -v[69:70]
	v_mul_f64 v[61:62], v[55:56], v[101:102]
	v_fma_f64 v[53:54], v[53:54], v[97:98], v[59:60]
	s_waitcnt vmcnt(7) lgkmcnt(0)
	v_mul_f64 v[59:60], v[47:48], v[103:104]
	v_add_f64 v[63:64], v[63:64], v[67:68]
	v_add_f64 v[3:4], v[3:4], v[65:66]
	v_mul_f64 v[65:66], v[49:50], v[103:104]
	s_waitcnt vmcnt(5)
	v_fma_f64 v[55:56], v[55:56], v[107:108], -v[71:72]
	v_fma_f64 v[57:58], v[57:58], v[107:108], v[61:62]
	s_waitcnt vmcnt(4)
	v_fma_f64 v[49:50], v[49:50], v[105:106], v[59:60]
	v_add_f64 v[51:52], v[63:64], v[51:52]
	v_add_f64 v[3:4], v[3:4], v[53:54]
	v_fma_f64 v[47:48], v[47:48], v[105:106], -v[65:66]
	v_add_f64 v[51:52], v[51:52], v[55:56]
	v_add_f64 v[3:4], v[3:4], v[57:58]
	v_add_f64 v[47:48], v[51:52], v[47:48]
	v_add_f64 v[3:4], v[3:4], v[49:50]
	s_waitcnt vmcnt(2)
	v_add_f64 v[47:48], v[111:112], -v[47:48]
	s_waitcnt vmcnt(0)
	v_add_f64 v[3:4], v[113:114], -v[3:4]
	buffer_store_dword v48, off, s[0:3], 0 offset:132
	buffer_store_dword v47, off, s[0:3], 0 offset:128
	;; [unrolled: 1-line block ×4, first 2 shown]
	v_cmpx_lt_u32_e32 6, v0
	s_cbranch_execz .LBB84_127
; %bb.126:
	v_mov_b32_e32 v3, s26
	s_clause 0x3
	buffer_load_dword v47, v3, s[0:3], 0 offen
	buffer_load_dword v48, v3, s[0:3], 0 offen offset:4
	buffer_load_dword v49, v3, s[0:3], 0 offen offset:8
	;; [unrolled: 1-line block ×3, first 2 shown]
	buffer_store_dword v2, off, s[0:3], 0 offset:112
	buffer_store_dword v2, off, s[0:3], 0 offset:116
	;; [unrolled: 1-line block ×4, first 2 shown]
	s_waitcnt vmcnt(0)
	ds_write_b128 v1, v[47:50]
.LBB84_127:
	s_or_b32 exec_lo, exec_lo, s4
	s_waitcnt lgkmcnt(0)
	s_waitcnt_vscnt null, 0x0
	s_barrier
	buffer_gl0_inv
	s_clause 0x35
	buffer_load_dword v3, off, s[0:3], 0 offset:136
	buffer_load_dword v4, off, s[0:3], 0 offset:140
	;; [unrolled: 1-line block ×54, first 2 shown]
	ds_read_b128 v[47:50], v2 offset:448
	s_clause 0x1
	buffer_load_dword v112, off, s[0:3], 0 offset:340
	buffer_load_dword v111, off, s[0:3], 0 offset:336
	ds_read_b128 v[51:54], v2 offset:464
	ds_read_b128 v[55:58], v2 offset:480
	s_mov_b32 s4, exec_lo
	s_waitcnt vmcnt(54) lgkmcnt(2)
	v_mul_f64 v[113:114], v[49:50], v[3:4]
	v_mul_f64 v[3:4], v[47:48], v[3:4]
	s_waitcnt vmcnt(52) lgkmcnt(1)
	v_mul_f64 v[115:116], v[53:54], v[59:60]
	v_mul_f64 v[59:60], v[51:52], v[59:60]
	;; [unrolled: 3-line block ×3, first 2 shown]
	v_fma_f64 v[113:114], v[47:48], v[61:62], -v[113:114]
	v_fma_f64 v[3:4], v[49:50], v[61:62], v[3:4]
	s_clause 0x3
	buffer_load_dword v61, off, s[0:3], 0 offset:112
	buffer_load_dword v62, off, s[0:3], 0 offset:116
	;; [unrolled: 1-line block ×4, first 2 shown]
	s_waitcnt vmcnt(50)
	v_fma_f64 v[115:116], v[51:52], v[65:66], -v[115:116]
	ds_read_b128 v[47:50], v2 offset:496
	v_fma_f64 v[59:60], v[53:54], v[65:66], v[59:60]
	ds_read_b128 v[51:54], v2 offset:512
	s_waitcnt vmcnt(44)
	v_fma_f64 v[63:64], v[55:56], v[73:74], -v[63:64]
	v_fma_f64 v[73:74], v[57:58], v[73:74], v[119:120]
	ds_read_b128 v[55:58], v2 offset:528
	v_add_f64 v[113:114], v[113:114], 0
	v_add_f64 v[3:4], v[3:4], 0
	s_waitcnt lgkmcnt(2)
	v_mul_f64 v[65:66], v[47:48], v[67:68]
	v_mul_f64 v[67:68], v[49:50], v[67:68]
	v_add_f64 v[113:114], v[113:114], v[115:116]
	v_add_f64 v[3:4], v[3:4], v[59:60]
	s_waitcnt vmcnt(43) lgkmcnt(1)
	v_mul_f64 v[59:60], v[51:52], v[69:70]
	v_mul_f64 v[69:70], v[53:54], v[69:70]
	s_waitcnt vmcnt(41)
	v_fma_f64 v[67:68], v[47:48], v[75:76], -v[67:68]
	v_fma_f64 v[65:66], v[49:50], v[75:76], v[65:66]
	ds_read_b128 v[47:50], v2 offset:544
	s_waitcnt vmcnt(37) lgkmcnt(1)
	v_mul_f64 v[75:76], v[57:58], v[77:78]
	v_add_f64 v[63:64], v[113:114], v[63:64]
	v_add_f64 v[3:4], v[3:4], v[73:74]
	v_mul_f64 v[73:74], v[55:56], v[77:78]
	s_waitcnt vmcnt(36)
	v_fma_f64 v[69:70], v[51:52], v[71:72], -v[69:70]
	v_fma_f64 v[59:60], v[53:54], v[71:72], v[59:60]
	ds_read_b128 v[51:54], v2 offset:560
	s_waitcnt vmcnt(33)
	v_fma_f64 v[71:72], v[55:56], v[83:84], -v[75:76]
	v_add_f64 v[63:64], v[63:64], v[67:68]
	v_add_f64 v[3:4], v[3:4], v[65:66]
	s_waitcnt lgkmcnt(1)
	v_mul_f64 v[67:68], v[49:50], v[79:80]
	v_mul_f64 v[65:66], v[47:48], v[79:80]
	v_add_f64 v[63:64], v[63:64], v[69:70]
	v_fma_f64 v[69:70], v[57:58], v[83:84], v[73:74]
	v_add_f64 v[3:4], v[3:4], v[59:60]
	ds_read_b128 v[55:58], v2 offset:576
	s_waitcnt vmcnt(29) lgkmcnt(1)
	v_mul_f64 v[73:74], v[53:54], v[85:86]
	s_waitcnt vmcnt(28)
	v_fma_f64 v[67:68], v[47:48], v[81:82], -v[67:68]
	v_mul_f64 v[59:60], v[51:52], v[85:86]
	v_fma_f64 v[65:66], v[49:50], v[81:82], v[65:66]
	ds_read_b128 v[47:50], v2 offset:592
	v_add_f64 v[63:64], v[63:64], v[71:72]
	s_waitcnt vmcnt(27) lgkmcnt(1)
	v_mul_f64 v[71:72], v[57:58], v[87:88]
	v_add_f64 v[3:4], v[3:4], v[69:70]
	v_mul_f64 v[69:70], v[55:56], v[87:88]
	s_waitcnt vmcnt(25)
	v_fma_f64 v[73:74], v[51:52], v[91:92], -v[73:74]
	v_fma_f64 v[59:60], v[53:54], v[91:92], v[59:60]
	ds_read_b128 v[51:54], v2 offset:608
	v_add_f64 v[63:64], v[63:64], v[67:68]
	s_waitcnt vmcnt(21) lgkmcnt(1)
	v_mul_f64 v[67:68], v[49:50], v[93:94]
	v_add_f64 v[3:4], v[3:4], v[65:66]
	s_waitcnt vmcnt(20)
	v_fma_f64 v[71:72], v[55:56], v[89:90], -v[71:72]
	v_mul_f64 v[65:66], v[47:48], v[93:94]
	v_fma_f64 v[69:70], v[57:58], v[89:90], v[69:70]
	ds_read_b128 v[55:58], v2 offset:624
	v_add_f64 v[63:64], v[63:64], v[73:74]
	s_waitcnt vmcnt(19) lgkmcnt(1)
	v_mul_f64 v[73:74], v[53:54], v[95:96]
	v_add_f64 v[3:4], v[3:4], v[59:60]
	s_waitcnt vmcnt(17)
	v_fma_f64 v[67:68], v[47:48], v[99:100], -v[67:68]
	v_mul_f64 v[59:60], v[51:52], v[95:96]
	;; [unrolled: 9-line block ×4, first 2 shown]
	v_fma_f64 v[57:58], v[57:58], v[107:108], v[69:70]
	s_waitcnt vmcnt(7) lgkmcnt(0)
	v_mul_f64 v[69:70], v[53:54], v[109:110]
	v_add_f64 v[63:64], v[63:64], v[73:74]
	s_waitcnt vmcnt(6)
	v_fma_f64 v[47:48], v[47:48], v[105:106], -v[67:68]
	v_add_f64 v[2:3], v[3:4], v[59:60]
	v_mul_f64 v[59:60], v[51:52], v[109:110]
	v_fma_f64 v[49:50], v[49:50], v[105:106], v[65:66]
	s_waitcnt vmcnt(4)
	v_fma_f64 v[51:52], v[51:52], v[111:112], -v[69:70]
	v_add_f64 v[55:56], v[63:64], v[55:56]
	v_add_f64 v[2:3], v[2:3], v[57:58]
	v_fma_f64 v[53:54], v[53:54], v[111:112], v[59:60]
	v_add_f64 v[47:48], v[55:56], v[47:48]
	v_add_f64 v[2:3], v[2:3], v[49:50]
	;; [unrolled: 1-line block ×4, first 2 shown]
	s_waitcnt vmcnt(2)
	v_add_f64 v[47:48], v[61:62], -v[47:48]
	s_waitcnt vmcnt(0)
	v_add_f64 v[2:3], v[117:118], -v[2:3]
	buffer_store_dword v48, off, s[0:3], 0 offset:116
	buffer_store_dword v47, off, s[0:3], 0 offset:112
	;; [unrolled: 1-line block ×4, first 2 shown]
	v_cmpx_lt_u32_e32 5, v0
	s_cbranch_execz .LBB84_129
; %bb.128:
	v_mov_b32_e32 v2, s27
	s_clause 0x3
	buffer_load_dword v47, v2, s[0:3], 0 offen
	buffer_load_dword v48, v2, s[0:3], 0 offen offset:4
	buffer_load_dword v49, v2, s[0:3], 0 offen offset:8
	;; [unrolled: 1-line block ×3, first 2 shown]
	v_mov_b32_e32 v2, 0
	buffer_store_dword v2, off, s[0:3], 0 offset:96
	buffer_store_dword v2, off, s[0:3], 0 offset:100
	;; [unrolled: 1-line block ×4, first 2 shown]
	s_waitcnt vmcnt(0)
	ds_write_b128 v1, v[47:50]
.LBB84_129:
	s_or_b32 exec_lo, exec_lo, s4
	s_waitcnt lgkmcnt(0)
	s_waitcnt_vscnt null, 0x0
	s_barrier
	buffer_gl0_inv
	s_clause 0x37
	buffer_load_dword v3, off, s[0:3], 0 offset:120
	buffer_load_dword v4, off, s[0:3], 0 offset:124
	;; [unrolled: 1-line block ×56, first 2 shown]
	v_mov_b32_e32 v2, 0
	s_mov_b32 s4, exec_lo
	ds_read_b128 v[47:50], v2 offset:432
	s_clause 0x2
	buffer_load_dword v112, off, s[0:3], 0 offset:348
	buffer_load_dword v116, off, s[0:3], 0 offset:324
	;; [unrolled: 1-line block ×3, first 2 shown]
	ds_read_b128 v[51:54], v2 offset:448
	ds_read_b128 v[55:58], v2 offset:464
	buffer_load_dword v114, off, s[0:3], 0 offset:340
	s_waitcnt vmcnt(58) lgkmcnt(2)
	v_mul_f64 v[117:118], v[49:50], v[3:4]
	v_mul_f64 v[3:4], v[47:48], v[3:4]
	s_waitcnt vmcnt(56) lgkmcnt(1)
	v_mul_f64 v[119:120], v[53:54], v[59:60]
	v_mul_f64 v[59:60], v[51:52], v[59:60]
	s_waitcnt vmcnt(54)
	v_fma_f64 v[117:118], v[47:48], v[61:62], -v[117:118]
	v_fma_f64 v[3:4], v[49:50], v[61:62], v[3:4]
	s_waitcnt vmcnt(52) lgkmcnt(0)
	v_mul_f64 v[61:62], v[55:56], v[63:64]
	v_mul_f64 v[63:64], v[57:58], v[63:64]
	s_waitcnt vmcnt(50)
	v_fma_f64 v[119:120], v[51:52], v[65:66], -v[119:120]
	ds_read_b128 v[47:50], v2 offset:480
	v_fma_f64 v[59:60], v[53:54], v[65:66], v[59:60]
	s_clause 0x3
	buffer_load_dword v65, off, s[0:3], 0 offset:96
	buffer_load_dword v66, off, s[0:3], 0 offset:100
	;; [unrolled: 1-line block ×4, first 2 shown]
	ds_read_b128 v[51:54], v2 offset:496
	v_add_f64 v[117:118], v[117:118], 0
	v_add_f64 v[3:4], v[3:4], 0
	s_waitcnt vmcnt(48)
	v_fma_f64 v[61:62], v[57:58], v[73:74], v[61:62]
	s_waitcnt lgkmcnt(1)
	v_mul_f64 v[123:124], v[47:48], v[67:68]
	v_mul_f64 v[67:68], v[49:50], v[67:68]
	v_fma_f64 v[63:64], v[55:56], v[73:74], -v[63:64]
	ds_read_b128 v[55:58], v2 offset:512
	v_add_f64 v[117:118], v[117:118], v[119:120]
	v_add_f64 v[3:4], v[3:4], v[59:60]
	s_waitcnt vmcnt(47) lgkmcnt(1)
	v_mul_f64 v[59:60], v[51:52], v[69:70]
	v_mul_f64 v[69:70], v[53:54], v[69:70]
	s_waitcnt vmcnt(45)
	v_fma_f64 v[67:68], v[47:48], v[75:76], -v[67:68]
	v_fma_f64 v[73:74], v[49:50], v[75:76], v[123:124]
	s_waitcnt vmcnt(41) lgkmcnt(0)
	v_mul_f64 v[75:76], v[57:58], v[77:78]
	ds_read_b128 v[47:50], v2 offset:528
	v_add_f64 v[63:64], v[117:118], v[63:64]
	v_add_f64 v[3:4], v[3:4], v[61:62]
	v_mul_f64 v[61:62], v[55:56], v[77:78]
	s_waitcnt vmcnt(40)
	v_fma_f64 v[69:70], v[51:52], v[71:72], -v[69:70]
	v_fma_f64 v[59:60], v[53:54], v[71:72], v[59:60]
	ds_read_b128 v[51:54], v2 offset:544
	s_waitcnt vmcnt(39) lgkmcnt(1)
	v_mul_f64 v[71:72], v[49:50], v[79:80]
	v_add_f64 v[63:64], v[63:64], v[67:68]
	v_add_f64 v[3:4], v[3:4], v[73:74]
	s_waitcnt vmcnt(37)
	v_fma_f64 v[73:74], v[55:56], v[83:84], -v[75:76]
	v_mul_f64 v[67:68], v[47:48], v[79:80]
	v_fma_f64 v[61:62], v[57:58], v[83:84], v[61:62]
	ds_read_b128 v[55:58], v2 offset:560
	s_waitcnt vmcnt(32)
	v_fma_f64 v[71:72], v[47:48], v[81:82], -v[71:72]
	v_add_f64 v[63:64], v[63:64], v[69:70]
	v_add_f64 v[3:4], v[3:4], v[59:60]
	s_waitcnt lgkmcnt(1)
	v_mul_f64 v[69:70], v[53:54], v[85:86]
	v_mul_f64 v[59:60], v[51:52], v[85:86]
	v_fma_f64 v[67:68], v[49:50], v[81:82], v[67:68]
	ds_read_b128 v[47:50], v2 offset:576
	v_add_f64 v[63:64], v[63:64], v[73:74]
	v_add_f64 v[3:4], v[3:4], v[61:62]
	s_waitcnt vmcnt(31) lgkmcnt(1)
	v_mul_f64 v[73:74], v[57:58], v[87:88]
	s_waitcnt vmcnt(29)
	v_fma_f64 v[69:70], v[51:52], v[91:92], -v[69:70]
	v_mul_f64 v[61:62], v[55:56], v[87:88]
	v_fma_f64 v[59:60], v[53:54], v[91:92], v[59:60]
	ds_read_b128 v[51:54], v2 offset:592
	v_add_f64 v[63:64], v[63:64], v[71:72]
	v_add_f64 v[3:4], v[3:4], v[67:68]
	s_waitcnt vmcnt(25) lgkmcnt(1)
	v_mul_f64 v[71:72], v[49:50], v[93:94]
	s_waitcnt vmcnt(24)
	v_fma_f64 v[73:74], v[55:56], v[89:90], -v[73:74]
	;; [unrolled: 9-line block ×6, first 2 shown]
	v_mul_f64 v[59:60], v[51:52], v[109:110]
	v_fma_f64 v[49:50], v[49:50], v[105:106], v[67:68]
	s_waitcnt vmcnt(7) lgkmcnt(0)
	v_mul_f64 v[67:68], v[57:58], v[111:112]
	v_add_f64 v[63:64], v[63:64], v[73:74]
	v_add_f64 v[3:4], v[3:4], v[61:62]
	s_waitcnt vmcnt(5)
	v_fma_f64 v[51:52], v[51:52], v[115:116], -v[69:70]
	v_mul_f64 v[61:62], v[55:56], v[111:112]
	v_fma_f64 v[53:54], v[53:54], v[115:116], v[59:60]
	v_add_f64 v[47:48], v[63:64], v[47:48]
	v_add_f64 v[3:4], v[3:4], v[49:50]
	s_waitcnt vmcnt(4)
	v_fma_f64 v[49:50], v[55:56], v[113:114], -v[67:68]
	v_add_f64 v[47:48], v[47:48], v[51:52]
	v_fma_f64 v[51:52], v[57:58], v[113:114], v[61:62]
	v_add_f64 v[3:4], v[3:4], v[53:54]
	v_add_f64 v[47:48], v[47:48], v[49:50]
	;; [unrolled: 1-line block ×3, first 2 shown]
	s_waitcnt vmcnt(2)
	v_add_f64 v[47:48], v[65:66], -v[47:48]
	s_waitcnt vmcnt(0)
	v_add_f64 v[3:4], v[121:122], -v[3:4]
	buffer_store_dword v48, off, s[0:3], 0 offset:100
	buffer_store_dword v47, off, s[0:3], 0 offset:96
	;; [unrolled: 1-line block ×4, first 2 shown]
	v_cmpx_lt_u32_e32 4, v0
	s_cbranch_execz .LBB84_131
; %bb.130:
	v_mov_b32_e32 v3, s28
	s_clause 0x3
	buffer_load_dword v47, v3, s[0:3], 0 offen
	buffer_load_dword v48, v3, s[0:3], 0 offen offset:4
	buffer_load_dword v49, v3, s[0:3], 0 offen offset:8
	;; [unrolled: 1-line block ×3, first 2 shown]
	buffer_store_dword v2, off, s[0:3], 0 offset:80
	buffer_store_dword v2, off, s[0:3], 0 offset:84
	buffer_store_dword v2, off, s[0:3], 0 offset:88
	buffer_store_dword v2, off, s[0:3], 0 offset:92
	s_waitcnt vmcnt(0)
	ds_write_b128 v1, v[47:50]
.LBB84_131:
	s_or_b32 exec_lo, exec_lo, s4
	s_waitcnt lgkmcnt(0)
	s_waitcnt_vscnt null, 0x0
	s_barrier
	buffer_gl0_inv
	s_clause 0x37
	buffer_load_dword v3, off, s[0:3], 0 offset:104
	buffer_load_dword v4, off, s[0:3], 0 offset:108
	;; [unrolled: 1-line block ×56, first 2 shown]
	ds_read_b128 v[47:50], v2 offset:416
	s_clause 0x2
	buffer_load_dword v112, off, s[0:3], 0 offset:332
	buffer_load_dword v116, off, s[0:3], 0 offset:308
	buffer_load_dword v115, off, s[0:3], 0 offset:304
	ds_read_b128 v[51:54], v2 offset:432
	s_clause 0x2
	buffer_load_dword v120, off, s[0:3], 0 offset:348
	buffer_load_dword v119, off, s[0:3], 0 offset:344
	;; [unrolled: 1-line block ×3, first 2 shown]
	ds_read_b128 v[55:58], v2 offset:448
	s_mov_b32 s4, exec_lo
	s_waitcnt vmcnt(60) lgkmcnt(2)
	v_mul_f64 v[117:118], v[49:50], v[3:4]
	v_mul_f64 v[3:4], v[47:48], v[3:4]
	s_waitcnt vmcnt(58) lgkmcnt(1)
	v_mul_f64 v[121:122], v[53:54], v[59:60]
	v_mul_f64 v[59:60], v[51:52], v[59:60]
	;; [unrolled: 3-line block ×3, first 2 shown]
	v_fma_f64 v[117:118], v[47:48], v[61:62], -v[117:118]
	v_fma_f64 v[3:4], v[49:50], v[61:62], v[3:4]
	s_clause 0x1
	buffer_load_dword v62, off, s[0:3], 0 offset:340
	buffer_load_dword v61, off, s[0:3], 0 offset:336
	s_waitcnt vmcnt(54)
	v_fma_f64 v[121:122], v[51:52], v[65:66], -v[121:122]
	ds_read_b128 v[47:50], v2 offset:464
	v_fma_f64 v[59:60], v[53:54], v[65:66], v[59:60]
	ds_read_b128 v[51:54], v2 offset:480
	s_waitcnt vmcnt(48)
	v_fma_f64 v[63:64], v[55:56], v[73:74], -v[63:64]
	v_fma_f64 v[73:74], v[57:58], v[73:74], v[123:124]
	v_add_f64 v[117:118], v[117:118], 0
	v_add_f64 v[3:4], v[3:4], 0
	s_waitcnt lgkmcnt(1)
	v_mul_f64 v[65:66], v[47:48], v[67:68]
	v_mul_f64 v[67:68], v[49:50], v[67:68]
	s_waitcnt vmcnt(47) lgkmcnt(0)
	v_mul_f64 v[123:124], v[51:52], v[69:70]
	v_mul_f64 v[69:70], v[53:54], v[69:70]
	v_add_f64 v[117:118], v[117:118], v[121:122]
	v_add_f64 v[3:4], v[3:4], v[59:60]
	s_clause 0x3
	buffer_load_dword v59, off, s[0:3], 0 offset:80
	buffer_load_dword v60, off, s[0:3], 0 offset:84
	;; [unrolled: 1-line block ×4, first 2 shown]
	s_waitcnt vmcnt(49)
	v_fma_f64 v[67:68], v[47:48], v[75:76], -v[67:68]
	ds_read_b128 v[55:58], v2 offset:496
	v_fma_f64 v[65:66], v[49:50], v[75:76], v[65:66]
	ds_read_b128 v[47:50], v2 offset:512
	s_waitcnt vmcnt(44)
	v_fma_f64 v[69:70], v[51:52], v[71:72], -v[69:70]
	v_add_f64 v[63:64], v[117:118], v[63:64]
	v_add_f64 v[3:4], v[3:4], v[73:74]
	s_waitcnt lgkmcnt(1)
	v_mul_f64 v[75:76], v[57:58], v[77:78]
	v_mul_f64 v[73:74], v[55:56], v[77:78]
	v_add_f64 v[63:64], v[63:64], v[67:68]
	v_fma_f64 v[67:68], v[53:54], v[71:72], v[123:124]
	v_add_f64 v[3:4], v[3:4], v[65:66]
	s_waitcnt vmcnt(43) lgkmcnt(0)
	v_mul_f64 v[71:72], v[49:50], v[79:80]
	s_waitcnt vmcnt(41)
	v_fma_f64 v[75:76], v[55:56], v[83:84], -v[75:76]
	ds_read_b128 v[51:54], v2 offset:528
	v_mul_f64 v[65:66], v[47:48], v[79:80]
	v_add_f64 v[63:64], v[63:64], v[69:70]
	v_fma_f64 v[69:70], v[57:58], v[83:84], v[73:74]
	v_add_f64 v[3:4], v[3:4], v[67:68]
	ds_read_b128 v[55:58], v2 offset:544
	s_waitcnt vmcnt(37) lgkmcnt(1)
	v_mul_f64 v[73:74], v[53:54], v[85:86]
	s_waitcnt vmcnt(36)
	v_fma_f64 v[71:72], v[47:48], v[81:82], -v[71:72]
	v_mul_f64 v[67:68], v[51:52], v[85:86]
	v_fma_f64 v[65:66], v[49:50], v[81:82], v[65:66]
	ds_read_b128 v[47:50], v2 offset:560
	v_add_f64 v[63:64], v[63:64], v[75:76]
	s_waitcnt vmcnt(35) lgkmcnt(1)
	v_mul_f64 v[75:76], v[57:58], v[87:88]
	v_add_f64 v[3:4], v[3:4], v[69:70]
	v_mul_f64 v[69:70], v[55:56], v[87:88]
	s_waitcnt vmcnt(33)
	v_fma_f64 v[73:74], v[51:52], v[91:92], -v[73:74]
	v_fma_f64 v[67:68], v[53:54], v[91:92], v[67:68]
	ds_read_b128 v[51:54], v2 offset:576
	v_add_f64 v[63:64], v[63:64], v[71:72]
	s_waitcnt vmcnt(29) lgkmcnt(1)
	v_mul_f64 v[71:72], v[49:50], v[93:94]
	v_add_f64 v[3:4], v[3:4], v[65:66]
	s_waitcnt vmcnt(28)
	v_fma_f64 v[75:76], v[55:56], v[89:90], -v[75:76]
	v_mul_f64 v[65:66], v[47:48], v[93:94]
	v_fma_f64 v[69:70], v[57:58], v[89:90], v[69:70]
	ds_read_b128 v[55:58], v2 offset:592
	v_add_f64 v[63:64], v[63:64], v[73:74]
	s_waitcnt vmcnt(27) lgkmcnt(1)
	v_mul_f64 v[73:74], v[53:54], v[95:96]
	v_add_f64 v[3:4], v[3:4], v[67:68]
	s_waitcnt vmcnt(25)
	v_fma_f64 v[71:72], v[47:48], v[99:100], -v[71:72]
	v_mul_f64 v[67:68], v[51:52], v[95:96]
	;; [unrolled: 9-line block ×6, first 2 shown]
	v_fma_f64 v[53:54], v[53:54], v[115:116], v[67:68]
	s_waitcnt vmcnt(7) lgkmcnt(0)
	v_mul_f64 v[67:68], v[49:50], v[119:120]
	v_add_f64 v[63:64], v[63:64], v[71:72]
	s_waitcnt vmcnt(6)
	v_fma_f64 v[55:56], v[55:56], v[113:114], -v[75:76]
	v_add_f64 v[2:3], v[3:4], v[65:66]
	v_mul_f64 v[65:66], v[47:48], v[119:120]
	v_fma_f64 v[57:58], v[57:58], v[113:114], v[69:70]
	v_add_f64 v[51:52], v[63:64], v[51:52]
	v_add_f64 v[2:3], v[2:3], v[53:54]
	s_waitcnt vmcnt(4)
	v_fma_f64 v[47:48], v[47:48], v[61:62], -v[67:68]
	v_fma_f64 v[49:50], v[49:50], v[61:62], v[65:66]
	v_add_f64 v[51:52], v[51:52], v[55:56]
	v_add_f64 v[2:3], v[2:3], v[57:58]
	;; [unrolled: 1-line block ×4, first 2 shown]
	s_waitcnt vmcnt(2)
	v_add_f64 v[47:48], v[59:60], -v[47:48]
	s_waitcnt vmcnt(0)
	v_add_f64 v[2:3], v[121:122], -v[2:3]
	buffer_store_dword v48, off, s[0:3], 0 offset:84
	buffer_store_dword v47, off, s[0:3], 0 offset:80
	buffer_store_dword v3, off, s[0:3], 0 offset:92
	buffer_store_dword v2, off, s[0:3], 0 offset:88
	v_cmpx_lt_u32_e32 3, v0
	s_cbranch_execz .LBB84_133
; %bb.132:
	v_mov_b32_e32 v2, s29
	s_clause 0x3
	buffer_load_dword v47, v2, s[0:3], 0 offen
	buffer_load_dword v48, v2, s[0:3], 0 offen offset:4
	buffer_load_dword v49, v2, s[0:3], 0 offen offset:8
	;; [unrolled: 1-line block ×3, first 2 shown]
	v_mov_b32_e32 v2, 0
	buffer_store_dword v2, off, s[0:3], 0 offset:64
	buffer_store_dword v2, off, s[0:3], 0 offset:68
	;; [unrolled: 1-line block ×4, first 2 shown]
	s_waitcnt vmcnt(0)
	ds_write_b128 v1, v[47:50]
.LBB84_133:
	s_or_b32 exec_lo, exec_lo, s4
	s_waitcnt lgkmcnt(0)
	s_waitcnt_vscnt null, 0x0
	s_barrier
	buffer_gl0_inv
	s_clause 0x37
	buffer_load_dword v3, off, s[0:3], 0 offset:88
	buffer_load_dword v4, off, s[0:3], 0 offset:92
	buffer_load_dword v59, off, s[0:3], 0 offset:104
	buffer_load_dword v60, off, s[0:3], 0 offset:108
	buffer_load_dword v61, off, s[0:3], 0 offset:80
	buffer_load_dword v62, off, s[0:3], 0 offset:84
	buffer_load_dword v63, off, s[0:3], 0 offset:120
	buffer_load_dword v64, off, s[0:3], 0 offset:124
	buffer_load_dword v65, off, s[0:3], 0 offset:96
	buffer_load_dword v66, off, s[0:3], 0 offset:100
	buffer_load_dword v68, off, s[0:3], 0 offset:140
	buffer_load_dword v69, off, s[0:3], 0 offset:152
	buffer_load_dword v71, off, s[0:3], 0 offset:144
	buffer_load_dword v67, off, s[0:3], 0 offset:136
	buffer_load_dword v73, off, s[0:3], 0 offset:112
	buffer_load_dword v74, off, s[0:3], 0 offset:116
	buffer_load_dword v70, off, s[0:3], 0 offset:156
	buffer_load_dword v76, off, s[0:3], 0 offset:132
	buffer_load_dword v75, off, s[0:3], 0 offset:128
	buffer_load_dword v78, off, s[0:3], 0 offset:172
	buffer_load_dword v79, off, s[0:3], 0 offset:184
	buffer_load_dword v81, off, s[0:3], 0 offset:176
	buffer_load_dword v77, off, s[0:3], 0 offset:168
	buffer_load_dword v72, off, s[0:3], 0 offset:148
	buffer_load_dword v80, off, s[0:3], 0 offset:188
	buffer_load_dword v84, off, s[0:3], 0 offset:164
	buffer_load_dword v83, off, s[0:3], 0 offset:160
	buffer_load_dword v86, off, s[0:3], 0 offset:204
	buffer_load_dword v87, off, s[0:3], 0 offset:216
	buffer_load_dword v89, off, s[0:3], 0 offset:208
	buffer_load_dword v85, off, s[0:3], 0 offset:200
	buffer_load_dword v82, off, s[0:3], 0 offset:180
	buffer_load_dword v88, off, s[0:3], 0 offset:220
	buffer_load_dword v92, off, s[0:3], 0 offset:196
	buffer_load_dword v91, off, s[0:3], 0 offset:192
	buffer_load_dword v94, off, s[0:3], 0 offset:236
	buffer_load_dword v95, off, s[0:3], 0 offset:248
	buffer_load_dword v97, off, s[0:3], 0 offset:240
	buffer_load_dword v93, off, s[0:3], 0 offset:232
	buffer_load_dword v90, off, s[0:3], 0 offset:212
	buffer_load_dword v96, off, s[0:3], 0 offset:252
	buffer_load_dword v100, off, s[0:3], 0 offset:228
	buffer_load_dword v99, off, s[0:3], 0 offset:224
	buffer_load_dword v102, off, s[0:3], 0 offset:268
	buffer_load_dword v103, off, s[0:3], 0 offset:280
	buffer_load_dword v105, off, s[0:3], 0 offset:272
	buffer_load_dword v101, off, s[0:3], 0 offset:264
	buffer_load_dword v98, off, s[0:3], 0 offset:244
	buffer_load_dword v104, off, s[0:3], 0 offset:284
	buffer_load_dword v108, off, s[0:3], 0 offset:260
	buffer_load_dword v107, off, s[0:3], 0 offset:256
	buffer_load_dword v110, off, s[0:3], 0 offset:300
	buffer_load_dword v111, off, s[0:3], 0 offset:312
	buffer_load_dword v113, off, s[0:3], 0 offset:304
	buffer_load_dword v109, off, s[0:3], 0 offset:296
	buffer_load_dword v106, off, s[0:3], 0 offset:276
	v_mov_b32_e32 v2, 0
	s_mov_b32 s4, exec_lo
	ds_read_b128 v[47:50], v2 offset:400
	s_clause 0x2
	buffer_load_dword v112, off, s[0:3], 0 offset:316
	buffer_load_dword v116, off, s[0:3], 0 offset:292
	;; [unrolled: 1-line block ×3, first 2 shown]
	ds_read_b128 v[51:54], v2 offset:416
	s_clause 0x4
	buffer_load_dword v120, off, s[0:3], 0 offset:332
	buffer_load_dword v121, off, s[0:3], 0 offset:344
	;; [unrolled: 1-line block ×5, first 2 shown]
	ds_read_b128 v[55:58], v2 offset:432
	s_waitcnt vmcnt(62) lgkmcnt(2)
	v_mul_f64 v[117:118], v[49:50], v[3:4]
	v_mul_f64 v[3:4], v[47:48], v[3:4]
	s_waitcnt vmcnt(60) lgkmcnt(1)
	v_mul_f64 v[124:125], v[53:54], v[59:60]
	v_mul_f64 v[59:60], v[51:52], v[59:60]
	;; [unrolled: 3-line block ×3, first 2 shown]
	v_fma_f64 v[117:118], v[47:48], v[61:62], -v[117:118]
	v_fma_f64 v[3:4], v[49:50], v[61:62], v[3:4]
	s_clause 0x2
	buffer_load_dword v122, off, s[0:3], 0 offset:348
	buffer_load_dword v62, off, s[0:3], 0 offset:324
	;; [unrolled: 1-line block ×3, first 2 shown]
	s_waitcnt vmcnt(57)
	v_fma_f64 v[128:129], v[51:52], v[65:66], -v[124:125]
	ds_read_b128 v[47:50], v2 offset:448
	v_fma_f64 v[59:60], v[53:54], v[65:66], v[59:60]
	buffer_load_dword v124, off, s[0:3], 0 offset:340
	ds_read_b128 v[51:54], v2 offset:464
	s_waitcnt vmcnt(52)
	v_fma_f64 v[63:64], v[55:56], v[73:74], -v[63:64]
	v_fma_f64 v[73:74], v[57:58], v[73:74], v[126:127]
	ds_read_b128 v[55:58], v2 offset:480
	v_add_f64 v[117:118], v[117:118], 0
	v_add_f64 v[3:4], v[3:4], 0
	s_waitcnt lgkmcnt(2)
	v_mul_f64 v[65:66], v[47:48], v[67:68]
	v_mul_f64 v[67:68], v[49:50], v[67:68]
	v_add_f64 v[117:118], v[117:118], v[128:129]
	v_add_f64 v[3:4], v[3:4], v[59:60]
	s_waitcnt vmcnt(51) lgkmcnt(1)
	v_mul_f64 v[59:60], v[51:52], v[69:70]
	v_mul_f64 v[69:70], v[53:54], v[69:70]
	s_waitcnt vmcnt(49)
	v_fma_f64 v[67:68], v[47:48], v[75:76], -v[67:68]
	v_fma_f64 v[65:66], v[49:50], v[75:76], v[65:66]
	v_add_f64 v[63:64], v[117:118], v[63:64]
	v_add_f64 v[3:4], v[3:4], v[73:74]
	s_clause 0x3
	buffer_load_dword v73, off, s[0:3], 0 offset:64
	buffer_load_dword v74, off, s[0:3], 0 offset:68
	;; [unrolled: 1-line block ×4, first 2 shown]
	s_waitcnt vmcnt(49) lgkmcnt(0)
	v_mul_f64 v[117:118], v[55:56], v[77:78]
	v_mul_f64 v[77:78], v[57:58], v[77:78]
	s_waitcnt vmcnt(48)
	v_fma_f64 v[69:70], v[51:52], v[71:72], -v[69:70]
	ds_read_b128 v[47:50], v2 offset:496
	v_fma_f64 v[59:60], v[53:54], v[71:72], v[59:60]
	ds_read_b128 v[51:54], v2 offset:512
	v_add_f64 v[63:64], v[63:64], v[67:68]
	v_add_f64 v[3:4], v[3:4], v[65:66]
	s_waitcnt vmcnt(47) lgkmcnt(1)
	v_mul_f64 v[67:68], v[49:50], v[79:80]
	s_waitcnt vmcnt(45)
	v_fma_f64 v[71:72], v[55:56], v[83:84], -v[77:78]
	v_mul_f64 v[65:66], v[47:48], v[79:80]
	s_waitcnt vmcnt(41) lgkmcnt(0)
	v_mul_f64 v[77:78], v[53:54], v[85:86]
	v_add_f64 v[63:64], v[63:64], v[69:70]
	v_fma_f64 v[69:70], v[57:58], v[83:84], v[117:118]
	v_add_f64 v[3:4], v[3:4], v[59:60]
	ds_read_b128 v[55:58], v2 offset:528
	s_waitcnt vmcnt(40)
	v_fma_f64 v[67:68], v[47:48], v[81:82], -v[67:68]
	v_mul_f64 v[59:60], v[51:52], v[85:86]
	v_fma_f64 v[65:66], v[49:50], v[81:82], v[65:66]
	ds_read_b128 v[47:50], v2 offset:544
	s_waitcnt vmcnt(37)
	v_fma_f64 v[77:78], v[51:52], v[91:92], -v[77:78]
	v_add_f64 v[63:64], v[63:64], v[71:72]
	s_waitcnt lgkmcnt(1)
	v_mul_f64 v[71:72], v[57:58], v[87:88]
	v_add_f64 v[3:4], v[3:4], v[69:70]
	v_mul_f64 v[69:70], v[55:56], v[87:88]
	v_fma_f64 v[59:60], v[53:54], v[91:92], v[59:60]
	ds_read_b128 v[51:54], v2 offset:560
	v_add_f64 v[63:64], v[63:64], v[67:68]
	s_waitcnt vmcnt(33) lgkmcnt(1)
	v_mul_f64 v[67:68], v[49:50], v[93:94]
	v_add_f64 v[3:4], v[3:4], v[65:66]
	s_waitcnt vmcnt(32)
	v_fma_f64 v[71:72], v[55:56], v[89:90], -v[71:72]
	v_mul_f64 v[65:66], v[47:48], v[93:94]
	v_fma_f64 v[69:70], v[57:58], v[89:90], v[69:70]
	ds_read_b128 v[55:58], v2 offset:576
	v_add_f64 v[63:64], v[63:64], v[77:78]
	s_waitcnt vmcnt(31) lgkmcnt(1)
	v_mul_f64 v[77:78], v[53:54], v[95:96]
	v_add_f64 v[3:4], v[3:4], v[59:60]
	s_waitcnt vmcnt(29)
	v_fma_f64 v[67:68], v[47:48], v[99:100], -v[67:68]
	;; [unrolled: 9-line block ×7, first 2 shown]
	v_mul_f64 v[65:66], v[47:48], v[119:120]
	v_fma_f64 v[57:58], v[57:58], v[113:114], v[69:70]
	v_add_f64 v[63:64], v[63:64], v[77:78]
	v_add_f64 v[3:4], v[3:4], v[59:60]
	s_waitcnt vmcnt(7) lgkmcnt(0)
	v_mul_f64 v[69:70], v[53:54], v[121:122]
	v_mul_f64 v[59:60], v[51:52], v[121:122]
	s_waitcnt vmcnt(5)
	v_fma_f64 v[47:48], v[47:48], v[61:62], -v[67:68]
	v_fma_f64 v[49:50], v[49:50], v[61:62], v[65:66]
	v_add_f64 v[55:56], v[63:64], v[55:56]
	v_add_f64 v[3:4], v[3:4], v[57:58]
	s_waitcnt vmcnt(4)
	v_fma_f64 v[51:52], v[51:52], v[123:124], -v[69:70]
	v_fma_f64 v[53:54], v[53:54], v[123:124], v[59:60]
	v_add_f64 v[47:48], v[55:56], v[47:48]
	v_add_f64 v[3:4], v[3:4], v[49:50]
	;; [unrolled: 1-line block ×4, first 2 shown]
	s_waitcnt vmcnt(2)
	v_add_f64 v[47:48], v[73:74], -v[47:48]
	s_waitcnt vmcnt(0)
	v_add_f64 v[3:4], v[75:76], -v[3:4]
	buffer_store_dword v48, off, s[0:3], 0 offset:68
	buffer_store_dword v47, off, s[0:3], 0 offset:64
	;; [unrolled: 1-line block ×4, first 2 shown]
	v_cmpx_lt_u32_e32 2, v0
	s_cbranch_execz .LBB84_135
; %bb.134:
	v_mov_b32_e32 v3, s30
	s_clause 0x3
	buffer_load_dword v47, v3, s[0:3], 0 offen
	buffer_load_dword v48, v3, s[0:3], 0 offen offset:4
	buffer_load_dword v49, v3, s[0:3], 0 offen offset:8
	buffer_load_dword v50, v3, s[0:3], 0 offen offset:12
	buffer_store_dword v2, off, s[0:3], 0 offset:48
	buffer_store_dword v2, off, s[0:3], 0 offset:52
	buffer_store_dword v2, off, s[0:3], 0 offset:56
	buffer_store_dword v2, off, s[0:3], 0 offset:60
	s_waitcnt vmcnt(0)
	ds_write_b128 v1, v[47:50]
.LBB84_135:
	s_or_b32 exec_lo, exec_lo, s4
	s_waitcnt lgkmcnt(0)
	s_waitcnt_vscnt null, 0x0
	s_barrier
	buffer_gl0_inv
	s_clause 0x37
	buffer_load_dword v3, off, s[0:3], 0 offset:72
	buffer_load_dword v4, off, s[0:3], 0 offset:76
	;; [unrolled: 1-line block ×56, first 2 shown]
	ds_read_b128 v[47:50], v2 offset:384
	s_clause 0x2
	buffer_load_dword v112, off, s[0:3], 0 offset:300
	buffer_load_dword v116, off, s[0:3], 0 offset:276
	;; [unrolled: 1-line block ×3, first 2 shown]
	ds_read_b128 v[51:54], v2 offset:400
	s_clause 0x4
	buffer_load_dword v120, off, s[0:3], 0 offset:316
	buffer_load_dword v121, off, s[0:3], 0 offset:328
	;; [unrolled: 1-line block ×5, first 2 shown]
	ds_read_b128 v[55:58], v2 offset:416
	s_mov_b32 s4, exec_lo
	s_waitcnt vmcnt(62) lgkmcnt(2)
	v_mul_f64 v[117:118], v[49:50], v[3:4]
	v_mul_f64 v[3:4], v[47:48], v[3:4]
	s_waitcnt vmcnt(60) lgkmcnt(1)
	v_mul_f64 v[124:125], v[53:54], v[59:60]
	v_mul_f64 v[59:60], v[51:52], v[59:60]
	;; [unrolled: 3-line block ×3, first 2 shown]
	v_fma_f64 v[117:118], v[47:48], v[61:62], -v[117:118]
	v_fma_f64 v[3:4], v[49:50], v[61:62], v[3:4]
	s_clause 0x2
	buffer_load_dword v122, off, s[0:3], 0 offset:332
	buffer_load_dword v62, off, s[0:3], 0 offset:308
	;; [unrolled: 1-line block ×3, first 2 shown]
	s_waitcnt vmcnt(57)
	v_fma_f64 v[128:129], v[51:52], v[65:66], -v[124:125]
	ds_read_b128 v[47:50], v2 offset:432
	v_fma_f64 v[59:60], v[53:54], v[65:66], v[59:60]
	s_clause 0x2
	buffer_load_dword v66, off, s[0:3], 0 offset:348
	buffer_load_dword v65, off, s[0:3], 0 offset:344
	;; [unrolled: 1-line block ×3, first 2 shown]
	s_waitcnt vmcnt(54)
	v_fma_f64 v[63:64], v[55:56], v[73:74], -v[63:64]
	ds_read_b128 v[51:54], v2 offset:448
	v_fma_f64 v[73:74], v[57:58], v[73:74], v[126:127]
	v_add_f64 v[117:118], v[117:118], 0
	v_add_f64 v[3:4], v[3:4], 0
	s_waitcnt lgkmcnt(1)
	v_mul_f64 v[130:131], v[47:48], v[67:68]
	v_mul_f64 v[67:68], v[49:50], v[67:68]
	s_waitcnt vmcnt(53) lgkmcnt(0)
	v_mul_f64 v[125:126], v[51:52], v[69:70]
	v_mul_f64 v[69:70], v[53:54], v[69:70]
	v_add_f64 v[117:118], v[117:118], v[128:129]
	v_add_f64 v[3:4], v[3:4], v[59:60]
	s_clause 0x1
	buffer_load_dword v60, off, s[0:3], 0 offset:340
	buffer_load_dword v59, off, s[0:3], 0 offset:336
	s_waitcnt vmcnt(53)
	v_fma_f64 v[67:68], v[47:48], v[75:76], -v[67:68]
	ds_read_b128 v[55:58], v2 offset:464
	v_fma_f64 v[75:76], v[49:50], v[75:76], v[130:131]
	ds_read_b128 v[47:50], v2 offset:480
	s_waitcnt vmcnt(48)
	v_fma_f64 v[69:70], v[51:52], v[71:72], -v[69:70]
	v_add_f64 v[63:64], v[117:118], v[63:64]
	v_add_f64 v[3:4], v[3:4], v[73:74]
	s_waitcnt lgkmcnt(1)
	v_mul_f64 v[73:74], v[55:56], v[77:78]
	v_mul_f64 v[77:78], v[57:58], v[77:78]
	s_waitcnt vmcnt(47) lgkmcnt(0)
	v_mul_f64 v[117:118], v[47:48], v[79:80]
	v_mul_f64 v[79:80], v[49:50], v[79:80]
	v_add_f64 v[63:64], v[63:64], v[67:68]
	v_fma_f64 v[67:68], v[53:54], v[71:72], v[125:126]
	v_add_f64 v[3:4], v[3:4], v[75:76]
	s_clause 0x3
	buffer_load_dword v71, off, s[0:3], 0 offset:48
	buffer_load_dword v72, off, s[0:3], 0 offset:52
	;; [unrolled: 1-line block ×4, first 2 shown]
	s_waitcnt vmcnt(49)
	v_fma_f64 v[77:78], v[55:56], v[83:84], -v[77:78]
	ds_read_b128 v[51:54], v2 offset:496
	s_waitcnt vmcnt(44)
	v_fma_f64 v[79:80], v[47:48], v[81:82], -v[79:80]
	v_add_f64 v[63:64], v[63:64], v[69:70]
	v_fma_f64 v[69:70], v[57:58], v[83:84], v[73:74]
	v_add_f64 v[3:4], v[3:4], v[67:68]
	ds_read_b128 v[55:58], v2 offset:512
	s_waitcnt lgkmcnt(1)
	v_mul_f64 v[73:74], v[53:54], v[85:86]
	v_mul_f64 v[67:68], v[51:52], v[85:86]
	v_add_f64 v[63:64], v[63:64], v[77:78]
	v_fma_f64 v[77:78], v[49:50], v[81:82], v[117:118]
	v_add_f64 v[3:4], v[3:4], v[69:70]
	s_waitcnt vmcnt(43) lgkmcnt(0)
	v_mul_f64 v[81:82], v[57:58], v[87:88]
	s_waitcnt vmcnt(41)
	v_fma_f64 v[73:74], v[51:52], v[91:92], -v[73:74]
	ds_read_b128 v[47:50], v2 offset:528
	v_mul_f64 v[69:70], v[55:56], v[87:88]
	v_fma_f64 v[67:68], v[53:54], v[91:92], v[67:68]
	ds_read_b128 v[51:54], v2 offset:544
	v_add_f64 v[63:64], v[63:64], v[79:80]
	v_add_f64 v[3:4], v[3:4], v[77:78]
	s_waitcnt vmcnt(37) lgkmcnt(1)
	v_mul_f64 v[79:80], v[49:50], v[93:94]
	s_waitcnt vmcnt(36)
	v_fma_f64 v[81:82], v[55:56], v[89:90], -v[81:82]
	v_mul_f64 v[77:78], v[47:48], v[93:94]
	v_fma_f64 v[69:70], v[57:58], v[89:90], v[69:70]
	ds_read_b128 v[55:58], v2 offset:560
	v_add_f64 v[63:64], v[63:64], v[73:74]
	s_waitcnt vmcnt(35) lgkmcnt(1)
	v_mul_f64 v[73:74], v[53:54], v[95:96]
	v_add_f64 v[3:4], v[3:4], v[67:68]
	s_waitcnt vmcnt(33)
	v_fma_f64 v[79:80], v[47:48], v[99:100], -v[79:80]
	v_mul_f64 v[67:68], v[51:52], v[95:96]
	v_fma_f64 v[77:78], v[49:50], v[99:100], v[77:78]
	ds_read_b128 v[47:50], v2 offset:576
	v_add_f64 v[63:64], v[63:64], v[81:82]
	s_waitcnt vmcnt(29) lgkmcnt(1)
	v_mul_f64 v[81:82], v[57:58], v[101:102]
	v_add_f64 v[3:4], v[3:4], v[69:70]
	;; [unrolled: 9-line block ×6, first 2 shown]
	s_waitcnt vmcnt(12)
	v_fma_f64 v[81:82], v[55:56], v[113:114], -v[81:82]
	v_mul_f64 v[77:78], v[47:48], v[119:120]
	v_fma_f64 v[69:70], v[57:58], v[113:114], v[69:70]
	ds_read_b128 v[55:58], v2 offset:656
	v_add_f64 v[63:64], v[63:64], v[73:74]
	v_add_f64 v[3:4], v[3:4], v[67:68]
	s_waitcnt vmcnt(11) lgkmcnt(1)
	v_mul_f64 v[73:74], v[53:54], v[121:122]
	v_mul_f64 v[67:68], v[51:52], v[121:122]
	s_waitcnt vmcnt(9)
	v_fma_f64 v[47:48], v[47:48], v[61:62], -v[79:80]
	v_fma_f64 v[49:50], v[49:50], v[61:62], v[77:78]
	s_waitcnt vmcnt(7) lgkmcnt(0)
	v_mul_f64 v[61:62], v[55:56], v[65:66]
	v_mul_f64 v[65:66], v[57:58], v[65:66]
	v_add_f64 v[63:64], v[63:64], v[81:82]
	v_add_f64 v[2:3], v[3:4], v[69:70]
	s_waitcnt vmcnt(6)
	v_fma_f64 v[51:52], v[51:52], v[123:124], -v[73:74]
	v_fma_f64 v[53:54], v[53:54], v[123:124], v[67:68]
	v_add_f64 v[47:48], v[63:64], v[47:48]
	v_add_f64 v[2:3], v[2:3], v[49:50]
	s_waitcnt vmcnt(4)
	v_fma_f64 v[49:50], v[55:56], v[59:60], -v[65:66]
	v_add_f64 v[47:48], v[47:48], v[51:52]
	v_fma_f64 v[51:52], v[57:58], v[59:60], v[61:62]
	v_add_f64 v[2:3], v[2:3], v[53:54]
	v_add_f64 v[47:48], v[47:48], v[49:50]
	;; [unrolled: 1-line block ×3, first 2 shown]
	s_waitcnt vmcnt(2)
	v_add_f64 v[47:48], v[71:72], -v[47:48]
	s_waitcnt vmcnt(0)
	v_add_f64 v[2:3], v[75:76], -v[2:3]
	buffer_store_dword v48, off, s[0:3], 0 offset:52
	buffer_store_dword v47, off, s[0:3], 0 offset:48
	;; [unrolled: 1-line block ×4, first 2 shown]
	v_cmpx_lt_u32_e32 1, v0
	s_cbranch_execz .LBB84_137
; %bb.136:
	v_mov_b32_e32 v2, s31
	s_clause 0x3
	buffer_load_dword v47, v2, s[0:3], 0 offen
	buffer_load_dword v48, v2, s[0:3], 0 offen offset:4
	buffer_load_dword v49, v2, s[0:3], 0 offen offset:8
	;; [unrolled: 1-line block ×3, first 2 shown]
	v_mov_b32_e32 v2, 0
	buffer_store_dword v2, off, s[0:3], 0 offset:32
	buffer_store_dword v2, off, s[0:3], 0 offset:36
	;; [unrolled: 1-line block ×4, first 2 shown]
	s_waitcnt vmcnt(0)
	ds_write_b128 v1, v[47:50]
.LBB84_137:
	s_or_b32 exec_lo, exec_lo, s4
	s_waitcnt lgkmcnt(0)
	s_waitcnt_vscnt null, 0x0
	s_barrier
	buffer_gl0_inv
	s_clause 0x37
	buffer_load_dword v3, off, s[0:3], 0 offset:56
	buffer_load_dword v4, off, s[0:3], 0 offset:60
	;; [unrolled: 1-line block ×56, first 2 shown]
	v_mov_b32_e32 v2, 0
	s_mov_b32 s4, exec_lo
	ds_read_b128 v[47:50], v2 offset:368
	s_clause 0x2
	buffer_load_dword v112, off, s[0:3], 0 offset:284
	buffer_load_dword v116, off, s[0:3], 0 offset:260
	;; [unrolled: 1-line block ×3, first 2 shown]
	ds_read_b128 v[51:54], v2 offset:384
	s_clause 0x4
	buffer_load_dword v120, off, s[0:3], 0 offset:300
	buffer_load_dword v121, off, s[0:3], 0 offset:312
	;; [unrolled: 1-line block ×5, first 2 shown]
	ds_read_b128 v[55:58], v2 offset:400
	s_waitcnt vmcnt(62) lgkmcnt(2)
	v_mul_f64 v[117:118], v[49:50], v[3:4]
	v_mul_f64 v[3:4], v[47:48], v[3:4]
	s_waitcnt vmcnt(60) lgkmcnt(1)
	v_mul_f64 v[124:125], v[53:54], v[59:60]
	v_mul_f64 v[59:60], v[51:52], v[59:60]
	;; [unrolled: 3-line block ×3, first 2 shown]
	v_fma_f64 v[117:118], v[47:48], v[61:62], -v[117:118]
	v_fma_f64 v[3:4], v[49:50], v[61:62], v[3:4]
	s_clause 0x2
	buffer_load_dword v122, off, s[0:3], 0 offset:316
	buffer_load_dword v62, off, s[0:3], 0 offset:292
	;; [unrolled: 1-line block ×3, first 2 shown]
	s_waitcnt vmcnt(57)
	v_fma_f64 v[128:129], v[51:52], v[65:66], -v[124:125]
	ds_read_b128 v[47:50], v2 offset:416
	v_fma_f64 v[59:60], v[53:54], v[65:66], v[59:60]
	s_clause 0x4
	buffer_load_dword v66, off, s[0:3], 0 offset:332
	buffer_load_dword v125, off, s[0:3], 0 offset:344
	;; [unrolled: 1-line block ×5, first 2 shown]
	s_waitcnt vmcnt(56)
	v_fma_f64 v[63:64], v[55:56], v[73:74], -v[63:64]
	ds_read_b128 v[51:54], v2 offset:432
	v_fma_f64 v[73:74], v[57:58], v[73:74], v[126:127]
	v_add_f64 v[117:118], v[117:118], 0
	v_add_f64 v[3:4], v[3:4], 0
	s_waitcnt lgkmcnt(1)
	v_mul_f64 v[131:132], v[47:48], v[67:68]
	v_mul_f64 v[67:68], v[49:50], v[67:68]
	v_add_f64 v[117:118], v[117:118], v[128:129]
	v_add_f64 v[3:4], v[3:4], v[59:60]
	s_clause 0x2
	buffer_load_dword v126, off, s[0:3], 0 offset:348
	buffer_load_dword v60, off, s[0:3], 0 offset:324
	;; [unrolled: 1-line block ×3, first 2 shown]
	s_waitcnt vmcnt(58) lgkmcnt(0)
	v_mul_f64 v[127:128], v[51:52], v[69:70]
	v_mul_f64 v[69:70], v[53:54], v[69:70]
	s_waitcnt vmcnt(56)
	v_fma_f64 v[67:68], v[47:48], v[75:76], -v[67:68]
	ds_read_b128 v[55:58], v2 offset:448
	v_fma_f64 v[75:76], v[49:50], v[75:76], v[131:132]
	buffer_load_dword v131, off, s[0:3], 0 offset:340
	ds_read_b128 v[47:50], v2 offset:464
	v_add_f64 v[63:64], v[117:118], v[63:64]
	v_add_f64 v[3:4], v[3:4], v[73:74]
	s_waitcnt vmcnt(53) lgkmcnt(1)
	v_mul_f64 v[73:74], v[55:56], v[77:78]
	v_mul_f64 v[77:78], v[57:58], v[77:78]
	s_waitcnt vmcnt(52)
	v_fma_f64 v[69:70], v[51:52], v[71:72], -v[69:70]
	v_add_f64 v[63:64], v[63:64], v[67:68]
	v_fma_f64 v[67:68], v[53:54], v[71:72], v[127:128]
	v_add_f64 v[3:4], v[3:4], v[75:76]
	s_waitcnt vmcnt(51) lgkmcnt(0)
	v_mul_f64 v[75:76], v[49:50], v[79:80]
	ds_read_b128 v[51:54], v2 offset:480
	s_waitcnt vmcnt(49)
	v_fma_f64 v[77:78], v[55:56], v[83:84], -v[77:78]
	v_mul_f64 v[71:72], v[47:48], v[79:80]
	v_add_f64 v[63:64], v[63:64], v[69:70]
	v_fma_f64 v[69:70], v[57:58], v[83:84], v[73:74]
	v_add_f64 v[3:4], v[3:4], v[67:68]
	s_clause 0x3
	buffer_load_dword v67, off, s[0:3], 0 offset:32
	buffer_load_dword v68, off, s[0:3], 0 offset:36
	;; [unrolled: 1-line block ×4, first 2 shown]
	s_waitcnt vmcnt(49) lgkmcnt(0)
	v_mul_f64 v[83:84], v[53:54], v[85:86]
	s_waitcnt vmcnt(48)
	v_fma_f64 v[75:76], v[47:48], v[81:82], -v[75:76]
	ds_read_b128 v[55:58], v2 offset:496
	v_mul_f64 v[79:80], v[51:52], v[85:86]
	v_fma_f64 v[71:72], v[49:50], v[81:82], v[71:72]
	ds_read_b128 v[47:50], v2 offset:512
	v_add_f64 v[63:64], v[63:64], v[77:78]
	v_add_f64 v[3:4], v[3:4], v[69:70]
	s_waitcnt vmcnt(47) lgkmcnt(1)
	v_mul_f64 v[77:78], v[57:58], v[87:88]
	s_waitcnt vmcnt(45)
	v_fma_f64 v[81:82], v[51:52], v[91:92], -v[83:84]
	v_mul_f64 v[69:70], v[55:56], v[87:88]
	v_add_f64 v[63:64], v[63:64], v[75:76]
	v_fma_f64 v[75:76], v[53:54], v[91:92], v[79:80]
	v_add_f64 v[3:4], v[3:4], v[71:72]
	s_waitcnt vmcnt(41) lgkmcnt(0)
	v_mul_f64 v[79:80], v[49:50], v[93:94]
	s_waitcnt vmcnt(40)
	v_fma_f64 v[77:78], v[55:56], v[89:90], -v[77:78]
	ds_read_b128 v[51:54], v2 offset:528
	v_mul_f64 v[71:72], v[47:48], v[93:94]
	v_fma_f64 v[69:70], v[57:58], v[89:90], v[69:70]
	ds_read_b128 v[55:58], v2 offset:544
	v_add_f64 v[63:64], v[63:64], v[81:82]
	v_add_f64 v[3:4], v[3:4], v[75:76]
	s_waitcnt vmcnt(39) lgkmcnt(1)
	v_mul_f64 v[81:82], v[53:54], v[95:96]
	s_waitcnt vmcnt(37)
	v_fma_f64 v[79:80], v[47:48], v[99:100], -v[79:80]
	v_mul_f64 v[75:76], v[51:52], v[95:96]
	v_fma_f64 v[71:72], v[49:50], v[99:100], v[71:72]
	ds_read_b128 v[47:50], v2 offset:560
	v_add_f64 v[63:64], v[63:64], v[77:78]
	s_waitcnt vmcnt(33) lgkmcnt(1)
	v_mul_f64 v[77:78], v[57:58], v[101:102]
	v_add_f64 v[3:4], v[3:4], v[69:70]
	s_waitcnt vmcnt(32)
	v_fma_f64 v[81:82], v[51:52], v[97:98], -v[81:82]
	v_mul_f64 v[69:70], v[55:56], v[101:102]
	v_fma_f64 v[75:76], v[53:54], v[97:98], v[75:76]
	ds_read_b128 v[51:54], v2 offset:576
	v_add_f64 v[63:64], v[63:64], v[79:80]
	s_waitcnt vmcnt(31) lgkmcnt(1)
	v_mul_f64 v[79:80], v[49:50], v[103:104]
	v_add_f64 v[3:4], v[3:4], v[71:72]
	;; [unrolled: 9-line block ×5, first 2 shown]
	s_waitcnt vmcnt(16)
	v_fma_f64 v[77:78], v[55:56], v[113:114], -v[77:78]
	v_mul_f64 v[71:72], v[47:48], v[119:120]
	v_fma_f64 v[69:70], v[57:58], v[113:114], v[69:70]
	ds_read_b128 v[55:58], v2 offset:640
	v_add_f64 v[63:64], v[63:64], v[81:82]
	v_add_f64 v[3:4], v[3:4], v[75:76]
	s_waitcnt vmcnt(15) lgkmcnt(1)
	v_mul_f64 v[81:82], v[53:54], v[121:122]
	v_mul_f64 v[75:76], v[51:52], v[121:122]
	s_waitcnt vmcnt(13)
	v_fma_f64 v[79:80], v[47:48], v[61:62], -v[79:80]
	v_fma_f64 v[61:62], v[49:50], v[61:62], v[71:72]
	ds_read_b128 v[47:50], v2 offset:656
	v_add_f64 v[63:64], v[63:64], v[77:78]
	v_add_f64 v[3:4], v[3:4], v[69:70]
	s_waitcnt vmcnt(9) lgkmcnt(1)
	v_mul_f64 v[69:70], v[55:56], v[65:66]
	v_mul_f64 v[65:66], v[57:58], v[65:66]
	s_waitcnt vmcnt(8)
	v_fma_f64 v[51:52], v[51:52], v[123:124], -v[81:82]
	v_fma_f64 v[53:54], v[53:54], v[123:124], v[75:76]
	v_add_f64 v[63:64], v[63:64], v[79:80]
	v_add_f64 v[3:4], v[3:4], v[61:62]
	s_waitcnt vmcnt(7) lgkmcnt(0)
	v_mul_f64 v[71:72], v[49:50], v[125:126]
	v_mul_f64 v[61:62], v[47:48], v[125:126]
	s_waitcnt vmcnt(5)
	v_fma_f64 v[55:56], v[55:56], v[59:60], -v[65:66]
	v_fma_f64 v[57:58], v[57:58], v[59:60], v[69:70]
	v_add_f64 v[51:52], v[63:64], v[51:52]
	v_add_f64 v[3:4], v[3:4], v[53:54]
	s_waitcnt vmcnt(4)
	v_fma_f64 v[47:48], v[47:48], v[130:131], -v[71:72]
	v_fma_f64 v[49:50], v[49:50], v[130:131], v[61:62]
	v_add_f64 v[51:52], v[51:52], v[55:56]
	v_add_f64 v[3:4], v[3:4], v[57:58]
	;; [unrolled: 1-line block ×4, first 2 shown]
	s_waitcnt vmcnt(2)
	v_add_f64 v[47:48], v[67:68], -v[47:48]
	s_waitcnt vmcnt(0)
	v_add_f64 v[3:4], v[73:74], -v[3:4]
	buffer_store_dword v48, off, s[0:3], 0 offset:36
	buffer_store_dword v47, off, s[0:3], 0 offset:32
	;; [unrolled: 1-line block ×4, first 2 shown]
	v_cmpx_ne_u32_e32 0, v0
	s_cbranch_execz .LBB84_139
; %bb.138:
	s_clause 0x3
	buffer_load_dword v47, off, s[0:3], 0 offset:16
	buffer_load_dword v48, off, s[0:3], 0 offset:20
	;; [unrolled: 1-line block ×4, first 2 shown]
	buffer_store_dword v2, off, s[0:3], 0 offset:16
	buffer_store_dword v2, off, s[0:3], 0 offset:20
	;; [unrolled: 1-line block ×4, first 2 shown]
	s_waitcnt vmcnt(0)
	ds_write_b128 v1, v[47:50]
.LBB84_139:
	s_or_b32 exec_lo, exec_lo, s4
	s_waitcnt lgkmcnt(0)
	s_waitcnt_vscnt null, 0x0
	s_barrier
	buffer_gl0_inv
	s_clause 0x37
	buffer_load_dword v0, off, s[0:3], 0 offset:40
	buffer_load_dword v1, off, s[0:3], 0 offset:44
	;; [unrolled: 1-line block ×56, first 2 shown]
	ds_read_b128 v[47:50], v2 offset:352
	s_clause 0x2
	buffer_load_dword v110, off, s[0:3], 0 offset:268
	buffer_load_dword v114, off, s[0:3], 0 offset:244
	;; [unrolled: 1-line block ×3, first 2 shown]
	ds_read_b128 v[51:54], v2 offset:368
	s_clause 0x4
	buffer_load_dword v118, off, s[0:3], 0 offset:284
	buffer_load_dword v119, off, s[0:3], 0 offset:296
	;; [unrolled: 1-line block ×5, first 2 shown]
	ds_read_b128 v[55:58], v2 offset:384
	s_and_b32 vcc_lo, exec_lo, s33
	s_waitcnt vmcnt(62) lgkmcnt(2)
	v_mul_f64 v[115:116], v[49:50], v[0:1]
	v_mul_f64 v[0:1], v[47:48], v[0:1]
	s_waitcnt vmcnt(60) lgkmcnt(1)
	v_mul_f64 v[122:123], v[53:54], v[3:4]
	v_mul_f64 v[3:4], v[51:52], v[3:4]
	;; [unrolled: 3-line block ×3, first 2 shown]
	v_fma_f64 v[115:116], v[47:48], v[59:60], -v[115:116]
	v_fma_f64 v[0:1], v[49:50], v[59:60], v[0:1]
	s_clause 0x2
	buffer_load_dword v120, off, s[0:3], 0 offset:300
	buffer_load_dword v60, off, s[0:3], 0 offset:276
	;; [unrolled: 1-line block ×3, first 2 shown]
	s_waitcnt vmcnt(57)
	v_fma_f64 v[126:127], v[51:52], v[63:64], -v[122:123]
	ds_read_b128 v[47:50], v2 offset:400
	v_fma_f64 v[3:4], v[53:54], v[63:64], v[3:4]
	s_clause 0x4
	buffer_load_dword v64, off, s[0:3], 0 offset:316
	buffer_load_dword v123, off, s[0:3], 0 offset:328
	;; [unrolled: 1-line block ×5, first 2 shown]
	s_waitcnt vmcnt(56)
	v_fma_f64 v[61:62], v[55:56], v[71:72], -v[61:62]
	ds_read_b128 v[51:54], v2 offset:416
	v_fma_f64 v[71:72], v[57:58], v[71:72], v[124:125]
	v_add_f64 v[115:116], v[115:116], 0
	v_add_f64 v[0:1], v[0:1], 0
	s_waitcnt lgkmcnt(1)
	v_mul_f64 v[129:130], v[47:48], v[65:66]
	v_mul_f64 v[65:66], v[49:50], v[65:66]
	v_add_f64 v[115:116], v[115:116], v[126:127]
	v_add_f64 v[0:1], v[0:1], v[3:4]
	s_clause 0x2
	buffer_load_dword v124, off, s[0:3], 0 offset:332
	buffer_load_dword v126, off, s[0:3], 0 offset:308
	;; [unrolled: 1-line block ×3, first 2 shown]
	s_waitcnt vmcnt(58) lgkmcnt(0)
	v_mul_f64 v[3:4], v[51:52], v[67:68]
	v_mul_f64 v[67:68], v[53:54], v[67:68]
	s_waitcnt vmcnt(56)
	v_fma_f64 v[65:66], v[47:48], v[73:74], -v[65:66]
	ds_read_b128 v[55:58], v2 offset:432
	v_fma_f64 v[73:74], v[49:50], v[73:74], v[129:130]
	v_add_f64 v[61:62], v[115:116], v[61:62]
	v_add_f64 v[0:1], v[0:1], v[71:72]
	s_clause 0x2
	buffer_load_dword v72, off, s[0:3], 0 offset:348
	buffer_load_dword v71, off, s[0:3], 0 offset:344
	;; [unrolled: 1-line block ×3, first 2 shown]
	ds_read_b128 v[47:50], v2 offset:448
	s_waitcnt vmcnt(55) lgkmcnt(1)
	v_mul_f64 v[115:116], v[55:56], v[75:76]
	v_mul_f64 v[75:76], v[57:58], v[75:76]
	s_waitcnt vmcnt(54)
	v_fma_f64 v[67:68], v[51:52], v[69:70], -v[67:68]
	v_fma_f64 v[3:4], v[53:54], v[69:70], v[3:4]
	v_add_f64 v[61:62], v[61:62], v[65:66]
	v_add_f64 v[0:1], v[0:1], v[73:74]
	s_clause 0x1
	buffer_load_dword v66, off, s[0:3], 0 offset:340
	buffer_load_dword v65, off, s[0:3], 0 offset:336
	s_waitcnt vmcnt(55) lgkmcnt(0)
	v_mul_f64 v[73:74], v[49:50], v[77:78]
	ds_read_b128 v[51:54], v2 offset:464
	s_waitcnt vmcnt(53)
	v_fma_f64 v[75:76], v[55:56], v[81:82], -v[75:76]
	v_mul_f64 v[69:70], v[47:48], v[77:78]
	v_add_f64 v[61:62], v[61:62], v[67:68]
	v_fma_f64 v[67:68], v[57:58], v[81:82], v[115:116]
	v_add_f64 v[0:1], v[0:1], v[3:4]
	ds_read_b128 v[55:58], v2 offset:480
	s_waitcnt vmcnt(49) lgkmcnt(1)
	v_mul_f64 v[77:78], v[53:54], v[83:84]
	s_waitcnt vmcnt(48)
	v_fma_f64 v[73:74], v[47:48], v[79:80], -v[73:74]
	v_mul_f64 v[3:4], v[51:52], v[83:84]
	v_fma_f64 v[69:70], v[49:50], v[79:80], v[69:70]
	v_add_f64 v[61:62], v[61:62], v[75:76]
	s_waitcnt vmcnt(47) lgkmcnt(0)
	v_mul_f64 v[81:82], v[57:58], v[85:86]
	v_add_f64 v[0:1], v[0:1], v[67:68]
	s_clause 0x3
	buffer_load_dword v67, off, s[0:3], 0 offset:16
	buffer_load_dword v68, off, s[0:3], 0 offset:20
	;; [unrolled: 1-line block ×4, first 2 shown]
	s_waitcnt vmcnt(49)
	v_fma_f64 v[77:78], v[51:52], v[89:90], -v[77:78]
	ds_read_b128 v[47:50], v2 offset:496
	v_mul_f64 v[79:80], v[55:56], v[85:86]
	v_fma_f64 v[3:4], v[53:54], v[89:90], v[3:4]
	ds_read_b128 v[51:54], v2 offset:512
	v_add_f64 v[61:62], v[61:62], v[73:74]
	s_waitcnt vmcnt(44)
	v_fma_f64 v[81:82], v[55:56], v[87:88], -v[81:82]
	v_add_f64 v[0:1], v[0:1], v[69:70]
	s_waitcnt lgkmcnt(1)
	v_mul_f64 v[73:74], v[49:50], v[91:92]
	v_mul_f64 v[69:70], v[47:48], v[91:92]
	v_add_f64 v[61:62], v[61:62], v[77:78]
	v_fma_f64 v[77:78], v[57:58], v[87:88], v[79:80]
	v_add_f64 v[0:1], v[0:1], v[3:4]
	s_waitcnt vmcnt(43) lgkmcnt(0)
	v_mul_f64 v[79:80], v[53:54], v[93:94]
	s_waitcnt vmcnt(41)
	v_fma_f64 v[73:74], v[47:48], v[97:98], -v[73:74]
	ds_read_b128 v[55:58], v2 offset:528
	v_mul_f64 v[3:4], v[51:52], v[93:94]
	v_fma_f64 v[69:70], v[49:50], v[97:98], v[69:70]
	ds_read_b128 v[47:50], v2 offset:544
	v_add_f64 v[61:62], v[61:62], v[81:82]
	v_add_f64 v[0:1], v[0:1], v[77:78]
	s_waitcnt vmcnt(37) lgkmcnt(1)
	v_mul_f64 v[81:82], v[57:58], v[99:100]
	s_waitcnt vmcnt(36)
	v_fma_f64 v[79:80], v[51:52], v[95:96], -v[79:80]
	v_mul_f64 v[77:78], v[55:56], v[99:100]
	v_fma_f64 v[3:4], v[53:54], v[95:96], v[3:4]
	ds_read_b128 v[51:54], v2 offset:560
	v_add_f64 v[61:62], v[61:62], v[73:74]
	s_waitcnt vmcnt(35) lgkmcnt(1)
	v_mul_f64 v[73:74], v[49:50], v[101:102]
	v_add_f64 v[0:1], v[0:1], v[69:70]
	s_waitcnt vmcnt(33)
	v_fma_f64 v[81:82], v[55:56], v[105:106], -v[81:82]
	v_mul_f64 v[69:70], v[47:48], v[101:102]
	v_fma_f64 v[77:78], v[57:58], v[105:106], v[77:78]
	ds_read_b128 v[55:58], v2 offset:576
	v_add_f64 v[61:62], v[61:62], v[79:80]
	s_waitcnt vmcnt(29) lgkmcnt(1)
	v_mul_f64 v[79:80], v[53:54], v[107:108]
	v_add_f64 v[0:1], v[0:1], v[3:4]
	;; [unrolled: 9-line block ×4, first 2 shown]
	s_waitcnt vmcnt(20)
	v_fma_f64 v[81:82], v[55:56], v[111:112], -v[81:82]
	v_mul_f64 v[69:70], v[47:48], v[117:118]
	v_fma_f64 v[77:78], v[57:58], v[111:112], v[77:78]
	ds_read_b128 v[55:58], v2 offset:624
	v_add_f64 v[61:62], v[61:62], v[79:80]
	v_add_f64 v[0:1], v[0:1], v[3:4]
	s_waitcnt vmcnt(19) lgkmcnt(1)
	v_mul_f64 v[79:80], v[53:54], v[119:120]
	v_mul_f64 v[3:4], v[51:52], v[119:120]
	s_waitcnt vmcnt(17)
	v_fma_f64 v[73:74], v[47:48], v[59:60], -v[73:74]
	v_fma_f64 v[59:60], v[49:50], v[59:60], v[69:70]
	ds_read_b128 v[47:50], v2 offset:640
	s_waitcnt vmcnt(13) lgkmcnt(1)
	v_mul_f64 v[69:70], v[55:56], v[63:64]
	v_mul_f64 v[63:64], v[57:58], v[63:64]
	v_add_f64 v[61:62], v[61:62], v[81:82]
	v_add_f64 v[0:1], v[0:1], v[77:78]
	s_waitcnt vmcnt(12)
	v_fma_f64 v[51:52], v[51:52], v[121:122], -v[79:80]
	v_fma_f64 v[53:54], v[53:54], v[121:122], v[3:4]
	v_add_f64 v[61:62], v[61:62], v[73:74]
	v_add_f64 v[59:60], v[0:1], v[59:60]
	ds_read_b128 v[0:3], v2 offset:656
	s_waitcnt vmcnt(11) lgkmcnt(1)
	v_mul_f64 v[77:78], v[49:50], v[123:124]
	v_mul_f64 v[73:74], v[47:48], v[123:124]
	s_waitcnt vmcnt(9)
	v_fma_f64 v[55:56], v[55:56], v[125:126], -v[63:64]
	v_fma_f64 v[57:58], v[57:58], v[125:126], v[69:70]
	v_add_f64 v[51:52], v[61:62], v[51:52]
	v_add_f64 v[53:54], v[59:60], v[53:54]
	s_waitcnt vmcnt(7) lgkmcnt(0)
	v_mul_f64 v[61:62], v[2:3], v[71:72]
	s_waitcnt vmcnt(6)
	v_fma_f64 v[47:48], v[47:48], v[128:129], -v[77:78]
	v_mul_f64 v[59:60], v[0:1], v[71:72]
	v_fma_f64 v[49:50], v[49:50], v[128:129], v[73:74]
	v_add_f64 v[51:52], v[51:52], v[55:56]
	v_add_f64 v[53:54], v[53:54], v[57:58]
	s_waitcnt vmcnt(4)
	v_fma_f64 v[0:1], v[0:1], v[65:66], -v[61:62]
	v_fma_f64 v[2:3], v[2:3], v[65:66], v[59:60]
	v_add_f64 v[47:48], v[51:52], v[47:48]
	v_add_f64 v[49:50], v[53:54], v[49:50]
	;; [unrolled: 1-line block ×4, first 2 shown]
	s_waitcnt vmcnt(2)
	v_add_f64 v[0:1], v[67:68], -v[0:1]
	s_waitcnt vmcnt(0)
	v_add_f64 v[2:3], v[75:76], -v[2:3]
	buffer_store_dword v1, off, s[0:3], 0 offset:20
	buffer_store_dword v0, off, s[0:3], 0 offset:16
	;; [unrolled: 1-line block ×4, first 2 shown]
	s_cbranch_vccz .LBB84_180
; %bb.140:
	v_mov_b32_e32 v0, 0
	global_load_dword v1, v0, s[12:13] offset:76
	s_waitcnt vmcnt(0)
	v_add_nc_u32_e32 v1, -1, v1
	v_cmp_ne_u32_e32 vcc_lo, 19, v1
	s_cbranch_vccz .LBB84_142
; %bb.141:
	v_lshlrev_b32_e32 v1, 4, v1
	v_mov_b32_e32 v2, s9
	v_add_nc_u32_e32 v1, 16, v1
	s_clause 0x7
	buffer_load_dword v3, v1, s[0:3], 0 offen
	buffer_load_dword v4, v1, s[0:3], 0 offen offset:4
	buffer_load_dword v47, v1, s[0:3], 0 offen offset:8
	;; [unrolled: 1-line block ×6, first 2 shown]
	buffer_load_dword v52, v2, s[0:3], 0 offen
	s_waitcnt vmcnt(7)
	buffer_store_dword v3, v2, s[0:3], 0 offen
	s_waitcnt vmcnt(6)
	buffer_store_dword v4, v2, s[0:3], 0 offen offset:4
	s_waitcnt vmcnt(5)
	buffer_store_dword v47, v2, s[0:3], 0 offen offset:8
	;; [unrolled: 2-line block ×6, first 2 shown]
	s_waitcnt vmcnt(0)
	buffer_store_dword v52, v1, s[0:3], 0 offen
.LBB84_142:
	global_load_dword v0, v0, s[12:13] offset:72
	s_waitcnt vmcnt(0)
	v_add_nc_u32_e32 v0, -1, v0
	v_cmp_eq_u32_e32 vcc_lo, 18, v0
	s_cbranch_vccnz .LBB84_144
; %bb.143:
	v_lshlrev_b32_e32 v0, 4, v0
	v_mov_b32_e32 v1, s14
	v_add_nc_u32_e32 v0, 16, v0
	s_clause 0x7
	buffer_load_dword v2, v0, s[0:3], 0 offen
	buffer_load_dword v3, v0, s[0:3], 0 offen offset:4
	buffer_load_dword v4, v0, s[0:3], 0 offen offset:8
	;; [unrolled: 1-line block ×6, first 2 shown]
	buffer_load_dword v51, v1, s[0:3], 0 offen
	s_waitcnt vmcnt(7)
	buffer_store_dword v2, v1, s[0:3], 0 offen
	s_waitcnt vmcnt(6)
	buffer_store_dword v3, v1, s[0:3], 0 offen offset:4
	s_waitcnt vmcnt(5)
	buffer_store_dword v4, v1, s[0:3], 0 offen offset:8
	;; [unrolled: 2-line block ×6, first 2 shown]
	s_waitcnt vmcnt(0)
	buffer_store_dword v51, v0, s[0:3], 0 offen
.LBB84_144:
	v_mov_b32_e32 v0, 0
	global_load_dword v1, v0, s[12:13] offset:68
	s_waitcnt vmcnt(0)
	v_add_nc_u32_e32 v1, -1, v1
	v_cmp_eq_u32_e32 vcc_lo, 17, v1
	s_cbranch_vccnz .LBB84_146
; %bb.145:
	v_lshlrev_b32_e32 v1, 4, v1
	v_mov_b32_e32 v2, s15
	v_add_nc_u32_e32 v1, 16, v1
	s_clause 0x7
	buffer_load_dword v3, v1, s[0:3], 0 offen
	buffer_load_dword v4, v1, s[0:3], 0 offen offset:4
	buffer_load_dword v47, v1, s[0:3], 0 offen offset:8
	;; [unrolled: 1-line block ×6, first 2 shown]
	buffer_load_dword v52, v2, s[0:3], 0 offen
	s_waitcnt vmcnt(7)
	buffer_store_dword v3, v2, s[0:3], 0 offen
	s_waitcnt vmcnt(6)
	buffer_store_dword v4, v2, s[0:3], 0 offen offset:4
	s_waitcnt vmcnt(5)
	buffer_store_dword v47, v2, s[0:3], 0 offen offset:8
	s_waitcnt vmcnt(4)
	buffer_store_dword v48, v2, s[0:3], 0 offen offset:12
	s_waitcnt vmcnt(3)
	buffer_store_dword v49, v1, s[0:3], 0 offen offset:12
	s_waitcnt vmcnt(2)
	buffer_store_dword v50, v1, s[0:3], 0 offen offset:8
	s_waitcnt vmcnt(1)
	buffer_store_dword v51, v1, s[0:3], 0 offen offset:4
	s_waitcnt vmcnt(0)
	buffer_store_dword v52, v1, s[0:3], 0 offen
.LBB84_146:
	global_load_dword v0, v0, s[12:13] offset:64
	s_waitcnt vmcnt(0)
	v_add_nc_u32_e32 v0, -1, v0
	v_cmp_eq_u32_e32 vcc_lo, 16, v0
	s_cbranch_vccnz .LBB84_148
; %bb.147:
	v_lshlrev_b32_e32 v0, 4, v0
	v_mov_b32_e32 v1, s16
	v_add_nc_u32_e32 v0, 16, v0
	s_clause 0x7
	buffer_load_dword v2, v0, s[0:3], 0 offen
	buffer_load_dword v3, v0, s[0:3], 0 offen offset:4
	buffer_load_dword v4, v0, s[0:3], 0 offen offset:8
	;; [unrolled: 1-line block ×6, first 2 shown]
	buffer_load_dword v51, v1, s[0:3], 0 offen
	s_waitcnt vmcnt(7)
	buffer_store_dword v2, v1, s[0:3], 0 offen
	s_waitcnt vmcnt(6)
	buffer_store_dword v3, v1, s[0:3], 0 offen offset:4
	s_waitcnt vmcnt(5)
	buffer_store_dword v4, v1, s[0:3], 0 offen offset:8
	;; [unrolled: 2-line block ×6, first 2 shown]
	s_waitcnt vmcnt(0)
	buffer_store_dword v51, v0, s[0:3], 0 offen
.LBB84_148:
	v_mov_b32_e32 v0, 0
	global_load_dword v1, v0, s[12:13] offset:60
	s_waitcnt vmcnt(0)
	v_add_nc_u32_e32 v1, -1, v1
	v_cmp_eq_u32_e32 vcc_lo, 15, v1
	s_cbranch_vccnz .LBB84_150
; %bb.149:
	v_lshlrev_b32_e32 v1, 4, v1
	v_mov_b32_e32 v2, s17
	v_add_nc_u32_e32 v1, 16, v1
	s_clause 0x7
	buffer_load_dword v3, v1, s[0:3], 0 offen
	buffer_load_dword v4, v1, s[0:3], 0 offen offset:4
	buffer_load_dword v47, v1, s[0:3], 0 offen offset:8
	;; [unrolled: 1-line block ×6, first 2 shown]
	buffer_load_dword v52, v2, s[0:3], 0 offen
	s_waitcnt vmcnt(7)
	buffer_store_dword v3, v2, s[0:3], 0 offen
	s_waitcnt vmcnt(6)
	buffer_store_dword v4, v2, s[0:3], 0 offen offset:4
	s_waitcnt vmcnt(5)
	buffer_store_dword v47, v2, s[0:3], 0 offen offset:8
	;; [unrolled: 2-line block ×6, first 2 shown]
	s_waitcnt vmcnt(0)
	buffer_store_dword v52, v1, s[0:3], 0 offen
.LBB84_150:
	global_load_dword v0, v0, s[12:13] offset:56
	s_waitcnt vmcnt(0)
	v_add_nc_u32_e32 v0, -1, v0
	v_cmp_eq_u32_e32 vcc_lo, 14, v0
	s_cbranch_vccnz .LBB84_152
; %bb.151:
	v_lshlrev_b32_e32 v0, 4, v0
	v_mov_b32_e32 v1, s18
	v_add_nc_u32_e32 v0, 16, v0
	s_clause 0x7
	buffer_load_dword v2, v0, s[0:3], 0 offen
	buffer_load_dword v3, v0, s[0:3], 0 offen offset:4
	buffer_load_dword v4, v0, s[0:3], 0 offen offset:8
	;; [unrolled: 1-line block ×6, first 2 shown]
	buffer_load_dword v51, v1, s[0:3], 0 offen
	s_waitcnt vmcnt(7)
	buffer_store_dword v2, v1, s[0:3], 0 offen
	s_waitcnt vmcnt(6)
	buffer_store_dword v3, v1, s[0:3], 0 offen offset:4
	s_waitcnt vmcnt(5)
	buffer_store_dword v4, v1, s[0:3], 0 offen offset:8
	;; [unrolled: 2-line block ×6, first 2 shown]
	s_waitcnt vmcnt(0)
	buffer_store_dword v51, v0, s[0:3], 0 offen
.LBB84_152:
	v_mov_b32_e32 v0, 0
	global_load_dword v1, v0, s[12:13] offset:52
	s_waitcnt vmcnt(0)
	v_add_nc_u32_e32 v1, -1, v1
	v_cmp_eq_u32_e32 vcc_lo, 13, v1
	s_cbranch_vccnz .LBB84_154
; %bb.153:
	v_lshlrev_b32_e32 v1, 4, v1
	v_mov_b32_e32 v2, s19
	v_add_nc_u32_e32 v1, 16, v1
	s_clause 0x7
	buffer_load_dword v3, v1, s[0:3], 0 offen
	buffer_load_dword v4, v1, s[0:3], 0 offen offset:4
	buffer_load_dword v47, v1, s[0:3], 0 offen offset:8
	;; [unrolled: 1-line block ×6, first 2 shown]
	buffer_load_dword v52, v2, s[0:3], 0 offen
	s_waitcnt vmcnt(7)
	buffer_store_dword v3, v2, s[0:3], 0 offen
	s_waitcnt vmcnt(6)
	buffer_store_dword v4, v2, s[0:3], 0 offen offset:4
	s_waitcnt vmcnt(5)
	buffer_store_dword v47, v2, s[0:3], 0 offen offset:8
	;; [unrolled: 2-line block ×6, first 2 shown]
	s_waitcnt vmcnt(0)
	buffer_store_dword v52, v1, s[0:3], 0 offen
.LBB84_154:
	global_load_dword v0, v0, s[12:13] offset:48
	s_waitcnt vmcnt(0)
	v_add_nc_u32_e32 v0, -1, v0
	v_cmp_eq_u32_e32 vcc_lo, 12, v0
	s_cbranch_vccnz .LBB84_156
; %bb.155:
	v_lshlrev_b32_e32 v0, 4, v0
	v_mov_b32_e32 v1, s20
	v_add_nc_u32_e32 v0, 16, v0
	s_clause 0x7
	buffer_load_dword v2, v0, s[0:3], 0 offen
	buffer_load_dword v3, v0, s[0:3], 0 offen offset:4
	buffer_load_dword v4, v0, s[0:3], 0 offen offset:8
	;; [unrolled: 1-line block ×6, first 2 shown]
	buffer_load_dword v51, v1, s[0:3], 0 offen
	s_waitcnt vmcnt(7)
	buffer_store_dword v2, v1, s[0:3], 0 offen
	s_waitcnt vmcnt(6)
	buffer_store_dword v3, v1, s[0:3], 0 offen offset:4
	s_waitcnt vmcnt(5)
	buffer_store_dword v4, v1, s[0:3], 0 offen offset:8
	;; [unrolled: 2-line block ×6, first 2 shown]
	s_waitcnt vmcnt(0)
	buffer_store_dword v51, v0, s[0:3], 0 offen
.LBB84_156:
	v_mov_b32_e32 v0, 0
	global_load_dword v1, v0, s[12:13] offset:44
	s_waitcnt vmcnt(0)
	v_add_nc_u32_e32 v1, -1, v1
	v_cmp_eq_u32_e32 vcc_lo, 11, v1
	s_cbranch_vccnz .LBB84_158
; %bb.157:
	v_lshlrev_b32_e32 v1, 4, v1
	v_mov_b32_e32 v2, s21
	v_add_nc_u32_e32 v1, 16, v1
	s_clause 0x7
	buffer_load_dword v3, v1, s[0:3], 0 offen
	buffer_load_dword v4, v1, s[0:3], 0 offen offset:4
	buffer_load_dword v47, v1, s[0:3], 0 offen offset:8
	;; [unrolled: 1-line block ×6, first 2 shown]
	buffer_load_dword v52, v2, s[0:3], 0 offen
	s_waitcnt vmcnt(7)
	buffer_store_dword v3, v2, s[0:3], 0 offen
	s_waitcnt vmcnt(6)
	buffer_store_dword v4, v2, s[0:3], 0 offen offset:4
	s_waitcnt vmcnt(5)
	buffer_store_dword v47, v2, s[0:3], 0 offen offset:8
	;; [unrolled: 2-line block ×6, first 2 shown]
	s_waitcnt vmcnt(0)
	buffer_store_dword v52, v1, s[0:3], 0 offen
.LBB84_158:
	global_load_dword v0, v0, s[12:13] offset:40
	s_waitcnt vmcnt(0)
	v_add_nc_u32_e32 v0, -1, v0
	v_cmp_eq_u32_e32 vcc_lo, 10, v0
	s_cbranch_vccnz .LBB84_160
; %bb.159:
	v_lshlrev_b32_e32 v0, 4, v0
	v_mov_b32_e32 v1, s22
	v_add_nc_u32_e32 v0, 16, v0
	s_clause 0x7
	buffer_load_dword v2, v0, s[0:3], 0 offen
	buffer_load_dword v3, v0, s[0:3], 0 offen offset:4
	buffer_load_dword v4, v0, s[0:3], 0 offen offset:8
	;; [unrolled: 1-line block ×6, first 2 shown]
	buffer_load_dword v51, v1, s[0:3], 0 offen
	s_waitcnt vmcnt(7)
	buffer_store_dword v2, v1, s[0:3], 0 offen
	s_waitcnt vmcnt(6)
	buffer_store_dword v3, v1, s[0:3], 0 offen offset:4
	s_waitcnt vmcnt(5)
	buffer_store_dword v4, v1, s[0:3], 0 offen offset:8
	s_waitcnt vmcnt(4)
	buffer_store_dword v47, v1, s[0:3], 0 offen offset:12
	s_waitcnt vmcnt(3)
	buffer_store_dword v48, v0, s[0:3], 0 offen offset:12
	s_waitcnt vmcnt(2)
	buffer_store_dword v49, v0, s[0:3], 0 offen offset:8
	s_waitcnt vmcnt(1)
	buffer_store_dword v50, v0, s[0:3], 0 offen offset:4
	s_waitcnt vmcnt(0)
	buffer_store_dword v51, v0, s[0:3], 0 offen
.LBB84_160:
	v_mov_b32_e32 v0, 0
	global_load_dword v1, v0, s[12:13] offset:36
	s_waitcnt vmcnt(0)
	v_add_nc_u32_e32 v1, -1, v1
	v_cmp_eq_u32_e32 vcc_lo, 9, v1
	s_cbranch_vccnz .LBB84_162
; %bb.161:
	v_lshlrev_b32_e32 v1, 4, v1
	v_mov_b32_e32 v2, s23
	v_add_nc_u32_e32 v1, 16, v1
	s_clause 0x7
	buffer_load_dword v3, v1, s[0:3], 0 offen
	buffer_load_dword v4, v1, s[0:3], 0 offen offset:4
	buffer_load_dword v47, v1, s[0:3], 0 offen offset:8
	;; [unrolled: 1-line block ×6, first 2 shown]
	buffer_load_dword v52, v2, s[0:3], 0 offen
	s_waitcnt vmcnt(7)
	buffer_store_dword v3, v2, s[0:3], 0 offen
	s_waitcnt vmcnt(6)
	buffer_store_dword v4, v2, s[0:3], 0 offen offset:4
	s_waitcnt vmcnt(5)
	buffer_store_dword v47, v2, s[0:3], 0 offen offset:8
	;; [unrolled: 2-line block ×6, first 2 shown]
	s_waitcnt vmcnt(0)
	buffer_store_dword v52, v1, s[0:3], 0 offen
.LBB84_162:
	global_load_dword v0, v0, s[12:13] offset:32
	s_waitcnt vmcnt(0)
	v_add_nc_u32_e32 v0, -1, v0
	v_cmp_eq_u32_e32 vcc_lo, 8, v0
	s_cbranch_vccnz .LBB84_164
; %bb.163:
	v_lshlrev_b32_e32 v0, 4, v0
	v_mov_b32_e32 v1, s24
	v_add_nc_u32_e32 v0, 16, v0
	s_clause 0x7
	buffer_load_dword v2, v0, s[0:3], 0 offen
	buffer_load_dword v3, v0, s[0:3], 0 offen offset:4
	buffer_load_dword v4, v0, s[0:3], 0 offen offset:8
	buffer_load_dword v47, v0, s[0:3], 0 offen offset:12
	buffer_load_dword v48, v1, s[0:3], 0 offen offset:12
	buffer_load_dword v49, v1, s[0:3], 0 offen offset:8
	buffer_load_dword v50, v1, s[0:3], 0 offen offset:4
	buffer_load_dword v51, v1, s[0:3], 0 offen
	s_waitcnt vmcnt(7)
	buffer_store_dword v2, v1, s[0:3], 0 offen
	s_waitcnt vmcnt(6)
	buffer_store_dword v3, v1, s[0:3], 0 offen offset:4
	s_waitcnt vmcnt(5)
	buffer_store_dword v4, v1, s[0:3], 0 offen offset:8
	;; [unrolled: 2-line block ×6, first 2 shown]
	s_waitcnt vmcnt(0)
	buffer_store_dword v51, v0, s[0:3], 0 offen
.LBB84_164:
	v_mov_b32_e32 v0, 0
	global_load_dword v1, v0, s[12:13] offset:28
	s_waitcnt vmcnt(0)
	v_add_nc_u32_e32 v1, -1, v1
	v_cmp_eq_u32_e32 vcc_lo, 7, v1
	s_cbranch_vccnz .LBB84_166
; %bb.165:
	v_lshlrev_b32_e32 v1, 4, v1
	v_mov_b32_e32 v2, s25
	v_add_nc_u32_e32 v1, 16, v1
	s_clause 0x7
	buffer_load_dword v3, v1, s[0:3], 0 offen
	buffer_load_dword v4, v1, s[0:3], 0 offen offset:4
	buffer_load_dword v47, v1, s[0:3], 0 offen offset:8
	;; [unrolled: 1-line block ×6, first 2 shown]
	buffer_load_dword v52, v2, s[0:3], 0 offen
	s_waitcnt vmcnt(7)
	buffer_store_dword v3, v2, s[0:3], 0 offen
	s_waitcnt vmcnt(6)
	buffer_store_dword v4, v2, s[0:3], 0 offen offset:4
	s_waitcnt vmcnt(5)
	buffer_store_dword v47, v2, s[0:3], 0 offen offset:8
	;; [unrolled: 2-line block ×6, first 2 shown]
	s_waitcnt vmcnt(0)
	buffer_store_dword v52, v1, s[0:3], 0 offen
.LBB84_166:
	global_load_dword v0, v0, s[12:13] offset:24
	s_waitcnt vmcnt(0)
	v_add_nc_u32_e32 v0, -1, v0
	v_cmp_eq_u32_e32 vcc_lo, 6, v0
	s_cbranch_vccnz .LBB84_168
; %bb.167:
	v_lshlrev_b32_e32 v0, 4, v0
	v_mov_b32_e32 v1, s26
	v_add_nc_u32_e32 v0, 16, v0
	s_clause 0x7
	buffer_load_dword v2, v0, s[0:3], 0 offen
	buffer_load_dword v3, v0, s[0:3], 0 offen offset:4
	buffer_load_dword v4, v0, s[0:3], 0 offen offset:8
	;; [unrolled: 1-line block ×6, first 2 shown]
	buffer_load_dword v51, v1, s[0:3], 0 offen
	s_waitcnt vmcnt(7)
	buffer_store_dword v2, v1, s[0:3], 0 offen
	s_waitcnt vmcnt(6)
	buffer_store_dword v3, v1, s[0:3], 0 offen offset:4
	s_waitcnt vmcnt(5)
	buffer_store_dword v4, v1, s[0:3], 0 offen offset:8
	;; [unrolled: 2-line block ×6, first 2 shown]
	s_waitcnt vmcnt(0)
	buffer_store_dword v51, v0, s[0:3], 0 offen
.LBB84_168:
	v_mov_b32_e32 v0, 0
	global_load_dword v1, v0, s[12:13] offset:20
	s_waitcnt vmcnt(0)
	v_add_nc_u32_e32 v1, -1, v1
	v_cmp_eq_u32_e32 vcc_lo, 5, v1
	s_cbranch_vccnz .LBB84_170
; %bb.169:
	v_lshlrev_b32_e32 v1, 4, v1
	v_mov_b32_e32 v2, s27
	v_add_nc_u32_e32 v1, 16, v1
	s_clause 0x7
	buffer_load_dword v3, v1, s[0:3], 0 offen
	buffer_load_dword v4, v1, s[0:3], 0 offen offset:4
	buffer_load_dword v47, v1, s[0:3], 0 offen offset:8
	;; [unrolled: 1-line block ×6, first 2 shown]
	buffer_load_dword v52, v2, s[0:3], 0 offen
	s_waitcnt vmcnt(7)
	buffer_store_dword v3, v2, s[0:3], 0 offen
	s_waitcnt vmcnt(6)
	buffer_store_dword v4, v2, s[0:3], 0 offen offset:4
	s_waitcnt vmcnt(5)
	buffer_store_dword v47, v2, s[0:3], 0 offen offset:8
	;; [unrolled: 2-line block ×6, first 2 shown]
	s_waitcnt vmcnt(0)
	buffer_store_dword v52, v1, s[0:3], 0 offen
.LBB84_170:
	global_load_dword v0, v0, s[12:13] offset:16
	s_waitcnt vmcnt(0)
	v_add_nc_u32_e32 v0, -1, v0
	v_cmp_eq_u32_e32 vcc_lo, 4, v0
	s_cbranch_vccnz .LBB84_172
; %bb.171:
	v_lshlrev_b32_e32 v0, 4, v0
	v_mov_b32_e32 v1, s28
	v_add_nc_u32_e32 v0, 16, v0
	s_clause 0x7
	buffer_load_dword v2, v0, s[0:3], 0 offen
	buffer_load_dword v3, v0, s[0:3], 0 offen offset:4
	buffer_load_dword v4, v0, s[0:3], 0 offen offset:8
	;; [unrolled: 1-line block ×6, first 2 shown]
	buffer_load_dword v51, v1, s[0:3], 0 offen
	s_waitcnt vmcnt(7)
	buffer_store_dword v2, v1, s[0:3], 0 offen
	s_waitcnt vmcnt(6)
	buffer_store_dword v3, v1, s[0:3], 0 offen offset:4
	s_waitcnt vmcnt(5)
	buffer_store_dword v4, v1, s[0:3], 0 offen offset:8
	;; [unrolled: 2-line block ×6, first 2 shown]
	s_waitcnt vmcnt(0)
	buffer_store_dword v51, v0, s[0:3], 0 offen
.LBB84_172:
	v_mov_b32_e32 v0, 0
	global_load_dword v1, v0, s[12:13] offset:12
	s_waitcnt vmcnt(0)
	v_add_nc_u32_e32 v1, -1, v1
	v_cmp_eq_u32_e32 vcc_lo, 3, v1
	s_cbranch_vccnz .LBB84_174
; %bb.173:
	v_lshlrev_b32_e32 v1, 4, v1
	v_mov_b32_e32 v2, s29
	v_add_nc_u32_e32 v1, 16, v1
	s_clause 0x7
	buffer_load_dword v3, v1, s[0:3], 0 offen
	buffer_load_dword v4, v1, s[0:3], 0 offen offset:4
	buffer_load_dword v47, v1, s[0:3], 0 offen offset:8
	;; [unrolled: 1-line block ×6, first 2 shown]
	buffer_load_dword v52, v2, s[0:3], 0 offen
	s_waitcnt vmcnt(7)
	buffer_store_dword v3, v2, s[0:3], 0 offen
	s_waitcnt vmcnt(6)
	buffer_store_dword v4, v2, s[0:3], 0 offen offset:4
	s_waitcnt vmcnt(5)
	buffer_store_dword v47, v2, s[0:3], 0 offen offset:8
	;; [unrolled: 2-line block ×6, first 2 shown]
	s_waitcnt vmcnt(0)
	buffer_store_dword v52, v1, s[0:3], 0 offen
.LBB84_174:
	global_load_dword v0, v0, s[12:13] offset:8
	s_waitcnt vmcnt(0)
	v_add_nc_u32_e32 v0, -1, v0
	v_cmp_eq_u32_e32 vcc_lo, 2, v0
	s_cbranch_vccnz .LBB84_176
; %bb.175:
	v_lshlrev_b32_e32 v0, 4, v0
	v_mov_b32_e32 v1, s30
	v_add_nc_u32_e32 v0, 16, v0
	s_clause 0x7
	buffer_load_dword v2, v0, s[0:3], 0 offen
	buffer_load_dword v3, v0, s[0:3], 0 offen offset:4
	buffer_load_dword v4, v0, s[0:3], 0 offen offset:8
	;; [unrolled: 1-line block ×6, first 2 shown]
	buffer_load_dword v51, v1, s[0:3], 0 offen
	s_waitcnt vmcnt(7)
	buffer_store_dword v2, v1, s[0:3], 0 offen
	s_waitcnt vmcnt(6)
	buffer_store_dword v3, v1, s[0:3], 0 offen offset:4
	s_waitcnt vmcnt(5)
	buffer_store_dword v4, v1, s[0:3], 0 offen offset:8
	s_waitcnt vmcnt(4)
	buffer_store_dword v47, v1, s[0:3], 0 offen offset:12
	s_waitcnt vmcnt(3)
	buffer_store_dword v48, v0, s[0:3], 0 offen offset:12
	s_waitcnt vmcnt(2)
	buffer_store_dword v49, v0, s[0:3], 0 offen offset:8
	s_waitcnt vmcnt(1)
	buffer_store_dword v50, v0, s[0:3], 0 offen offset:4
	s_waitcnt vmcnt(0)
	buffer_store_dword v51, v0, s[0:3], 0 offen
.LBB84_176:
	v_mov_b32_e32 v0, 0
	global_load_dword v1, v0, s[12:13] offset:4
	s_waitcnt vmcnt(0)
	v_add_nc_u32_e32 v1, -1, v1
	v_cmp_eq_u32_e32 vcc_lo, 1, v1
	s_cbranch_vccnz .LBB84_178
; %bb.177:
	v_lshlrev_b32_e32 v1, 4, v1
	v_mov_b32_e32 v2, s31
	v_add_nc_u32_e32 v1, 16, v1
	s_clause 0x7
	buffer_load_dword v3, v1, s[0:3], 0 offen
	buffer_load_dword v4, v1, s[0:3], 0 offen offset:4
	buffer_load_dword v47, v1, s[0:3], 0 offen offset:8
	;; [unrolled: 1-line block ×6, first 2 shown]
	buffer_load_dword v52, v2, s[0:3], 0 offen
	s_waitcnt vmcnt(7)
	buffer_store_dword v3, v2, s[0:3], 0 offen
	s_waitcnt vmcnt(6)
	buffer_store_dword v4, v2, s[0:3], 0 offen offset:4
	s_waitcnt vmcnt(5)
	buffer_store_dword v47, v2, s[0:3], 0 offen offset:8
	s_waitcnt vmcnt(4)
	buffer_store_dword v48, v2, s[0:3], 0 offen offset:12
	s_waitcnt vmcnt(3)
	buffer_store_dword v49, v1, s[0:3], 0 offen offset:12
	s_waitcnt vmcnt(2)
	buffer_store_dword v50, v1, s[0:3], 0 offen offset:8
	s_waitcnt vmcnt(1)
	buffer_store_dword v51, v1, s[0:3], 0 offen offset:4
	s_waitcnt vmcnt(0)
	buffer_store_dword v52, v1, s[0:3], 0 offen
.LBB84_178:
	global_load_dword v0, v0, s[12:13]
	s_waitcnt vmcnt(0)
	v_add_nc_u32_e32 v0, -1, v0
	v_cmp_eq_u32_e32 vcc_lo, 0, v0
	s_cbranch_vccnz .LBB84_180
; %bb.179:
	v_lshlrev_b32_e32 v0, 4, v0
	v_add_nc_u32_e32 v0, 16, v0
	s_clause 0x7
	buffer_load_dword v1, v0, s[0:3], 0 offen
	buffer_load_dword v2, v0, s[0:3], 0 offen offset:4
	buffer_load_dword v3, v0, s[0:3], 0 offen offset:8
	buffer_load_dword v4, v0, s[0:3], 0 offen offset:12
	buffer_load_dword v47, off, s[0:3], 0 offset:28
	buffer_load_dword v48, off, s[0:3], 0 offset:24
	buffer_load_dword v49, off, s[0:3], 0 offset:20
	buffer_load_dword v50, off, s[0:3], 0 offset:16
	s_waitcnt vmcnt(7)
	buffer_store_dword v1, off, s[0:3], 0 offset:16
	s_waitcnt vmcnt(6)
	buffer_store_dword v2, off, s[0:3], 0 offset:20
	;; [unrolled: 2-line block ×4, first 2 shown]
	s_waitcnt vmcnt(3)
	buffer_store_dword v47, v0, s[0:3], 0 offen offset:12
	s_waitcnt vmcnt(2)
	buffer_store_dword v48, v0, s[0:3], 0 offen offset:8
	;; [unrolled: 2-line block ×3, first 2 shown]
	s_waitcnt vmcnt(0)
	buffer_store_dword v50, v0, s[0:3], 0 offen
.LBB84_180:
	s_clause 0x3
	buffer_load_dword v0, off, s[0:3], 0 offset:16
	buffer_load_dword v1, off, s[0:3], 0 offset:20
	;; [unrolled: 1-line block ×4, first 2 shown]
	v_mov_b32_e32 v4, s31
	s_waitcnt vmcnt(0)
	flat_store_dwordx4 v[5:6], v[0:3]
	s_clause 0x3
	buffer_load_dword v0, v4, s[0:3], 0 offen
	buffer_load_dword v1, v4, s[0:3], 0 offen offset:4
	buffer_load_dword v2, v4, s[0:3], 0 offen offset:8
	buffer_load_dword v3, v4, s[0:3], 0 offen offset:12
	v_mov_b32_e32 v4, s30
	s_waitcnt vmcnt(0)
	flat_store_dwordx4 v[7:8], v[0:3]
	s_clause 0x3
	buffer_load_dword v0, v4, s[0:3], 0 offen
	buffer_load_dword v1, v4, s[0:3], 0 offen offset:4
	buffer_load_dword v2, v4, s[0:3], 0 offen offset:8
	buffer_load_dword v3, v4, s[0:3], 0 offen offset:12
	;; [unrolled: 8-line block ×20, first 2 shown]
	s_waitcnt vmcnt(0)
	flat_store_dwordx4 v[45:46], v[0:3]
	s_endpgm
	.section	.rodata,"a",@progbits
	.p2align	6, 0x0
	.amdhsa_kernel _ZN9rocsolver6v33100L18getri_kernel_smallILi21E19rocblas_complex_numIdEPKPS3_EEvT1_iilPiilS8_bb
		.amdhsa_group_segment_fixed_size 680
		.amdhsa_private_segment_fixed_size 368
		.amdhsa_kernarg_size 60
		.amdhsa_user_sgpr_count 6
		.amdhsa_user_sgpr_private_segment_buffer 1
		.amdhsa_user_sgpr_dispatch_ptr 0
		.amdhsa_user_sgpr_queue_ptr 0
		.amdhsa_user_sgpr_kernarg_segment_ptr 1
		.amdhsa_user_sgpr_dispatch_id 0
		.amdhsa_user_sgpr_flat_scratch_init 0
		.amdhsa_user_sgpr_private_segment_size 0
		.amdhsa_wavefront_size32 1
		.amdhsa_uses_dynamic_stack 0
		.amdhsa_system_sgpr_private_segment_wavefront_offset 1
		.amdhsa_system_sgpr_workgroup_id_x 1
		.amdhsa_system_sgpr_workgroup_id_y 0
		.amdhsa_system_sgpr_workgroup_id_z 0
		.amdhsa_system_sgpr_workgroup_info 0
		.amdhsa_system_vgpr_workitem_id 0
		.amdhsa_next_free_vgpr 133
		.amdhsa_next_free_sgpr 42
		.amdhsa_reserve_vcc 1
		.amdhsa_reserve_flat_scratch 0
		.amdhsa_float_round_mode_32 0
		.amdhsa_float_round_mode_16_64 0
		.amdhsa_float_denorm_mode_32 3
		.amdhsa_float_denorm_mode_16_64 3
		.amdhsa_dx10_clamp 1
		.amdhsa_ieee_mode 1
		.amdhsa_fp16_overflow 0
		.amdhsa_workgroup_processor_mode 1
		.amdhsa_memory_ordered 1
		.amdhsa_forward_progress 1
		.amdhsa_shared_vgpr_count 0
		.amdhsa_exception_fp_ieee_invalid_op 0
		.amdhsa_exception_fp_denorm_src 0
		.amdhsa_exception_fp_ieee_div_zero 0
		.amdhsa_exception_fp_ieee_overflow 0
		.amdhsa_exception_fp_ieee_underflow 0
		.amdhsa_exception_fp_ieee_inexact 0
		.amdhsa_exception_int_div_zero 0
	.end_amdhsa_kernel
	.section	.text._ZN9rocsolver6v33100L18getri_kernel_smallILi21E19rocblas_complex_numIdEPKPS3_EEvT1_iilPiilS8_bb,"axG",@progbits,_ZN9rocsolver6v33100L18getri_kernel_smallILi21E19rocblas_complex_numIdEPKPS3_EEvT1_iilPiilS8_bb,comdat
.Lfunc_end84:
	.size	_ZN9rocsolver6v33100L18getri_kernel_smallILi21E19rocblas_complex_numIdEPKPS3_EEvT1_iilPiilS8_bb, .Lfunc_end84-_ZN9rocsolver6v33100L18getri_kernel_smallILi21E19rocblas_complex_numIdEPKPS3_EEvT1_iilPiilS8_bb
                                        ; -- End function
	.set _ZN9rocsolver6v33100L18getri_kernel_smallILi21E19rocblas_complex_numIdEPKPS3_EEvT1_iilPiilS8_bb.num_vgpr, 133
	.set _ZN9rocsolver6v33100L18getri_kernel_smallILi21E19rocblas_complex_numIdEPKPS3_EEvT1_iilPiilS8_bb.num_agpr, 0
	.set _ZN9rocsolver6v33100L18getri_kernel_smallILi21E19rocblas_complex_numIdEPKPS3_EEvT1_iilPiilS8_bb.numbered_sgpr, 42
	.set _ZN9rocsolver6v33100L18getri_kernel_smallILi21E19rocblas_complex_numIdEPKPS3_EEvT1_iilPiilS8_bb.num_named_barrier, 0
	.set _ZN9rocsolver6v33100L18getri_kernel_smallILi21E19rocblas_complex_numIdEPKPS3_EEvT1_iilPiilS8_bb.private_seg_size, 368
	.set _ZN9rocsolver6v33100L18getri_kernel_smallILi21E19rocblas_complex_numIdEPKPS3_EEvT1_iilPiilS8_bb.uses_vcc, 1
	.set _ZN9rocsolver6v33100L18getri_kernel_smallILi21E19rocblas_complex_numIdEPKPS3_EEvT1_iilPiilS8_bb.uses_flat_scratch, 0
	.set _ZN9rocsolver6v33100L18getri_kernel_smallILi21E19rocblas_complex_numIdEPKPS3_EEvT1_iilPiilS8_bb.has_dyn_sized_stack, 0
	.set _ZN9rocsolver6v33100L18getri_kernel_smallILi21E19rocblas_complex_numIdEPKPS3_EEvT1_iilPiilS8_bb.has_recursion, 0
	.set _ZN9rocsolver6v33100L18getri_kernel_smallILi21E19rocblas_complex_numIdEPKPS3_EEvT1_iilPiilS8_bb.has_indirect_call, 0
	.section	.AMDGPU.csdata,"",@progbits
; Kernel info:
; codeLenInByte = 40196
; TotalNumSgprs: 44
; NumVgprs: 133
; ScratchSize: 368
; MemoryBound: 0
; FloatMode: 240
; IeeeMode: 1
; LDSByteSize: 680 bytes/workgroup (compile time only)
; SGPRBlocks: 0
; VGPRBlocks: 16
; NumSGPRsForWavesPerEU: 44
; NumVGPRsForWavesPerEU: 133
; Occupancy: 7
; WaveLimiterHint : 1
; COMPUTE_PGM_RSRC2:SCRATCH_EN: 1
; COMPUTE_PGM_RSRC2:USER_SGPR: 6
; COMPUTE_PGM_RSRC2:TRAP_HANDLER: 0
; COMPUTE_PGM_RSRC2:TGID_X_EN: 1
; COMPUTE_PGM_RSRC2:TGID_Y_EN: 0
; COMPUTE_PGM_RSRC2:TGID_Z_EN: 0
; COMPUTE_PGM_RSRC2:TIDIG_COMP_CNT: 0
	.section	.text._ZN9rocsolver6v33100L18getri_kernel_smallILi22E19rocblas_complex_numIdEPKPS3_EEvT1_iilPiilS8_bb,"axG",@progbits,_ZN9rocsolver6v33100L18getri_kernel_smallILi22E19rocblas_complex_numIdEPKPS3_EEvT1_iilPiilS8_bb,comdat
	.globl	_ZN9rocsolver6v33100L18getri_kernel_smallILi22E19rocblas_complex_numIdEPKPS3_EEvT1_iilPiilS8_bb ; -- Begin function _ZN9rocsolver6v33100L18getri_kernel_smallILi22E19rocblas_complex_numIdEPKPS3_EEvT1_iilPiilS8_bb
	.p2align	8
	.type	_ZN9rocsolver6v33100L18getri_kernel_smallILi22E19rocblas_complex_numIdEPKPS3_EEvT1_iilPiilS8_bb,@function
_ZN9rocsolver6v33100L18getri_kernel_smallILi22E19rocblas_complex_numIdEPKPS3_EEvT1_iilPiilS8_bb: ; @_ZN9rocsolver6v33100L18getri_kernel_smallILi22E19rocblas_complex_numIdEPKPS3_EEvT1_iilPiilS8_bb
; %bb.0:
	s_add_u32 s0, s0, s7
	s_addc_u32 s1, s1, 0
	s_mov_b32 s7, exec_lo
	v_cmpx_gt_u32_e32 22, v0
	s_cbranch_execz .LBB85_102
; %bb.1:
	s_clause 0x2
	s_load_dword s16, s[4:5], 0x38
	s_load_dwordx2 s[12:13], s[4:5], 0x0
	s_load_dwordx4 s[8:11], s[4:5], 0x28
	s_waitcnt lgkmcnt(0)
	s_bitcmp1_b32 s16, 8
	s_cselect_b32 s34, -1, 0
	s_ashr_i32 s7, s6, 31
	s_lshl_b64 s[14:15], s[6:7], 3
	s_add_u32 s12, s12, s14
	s_addc_u32 s13, s13, s15
	s_load_dwordx2 s[14:15], s[12:13], 0x0
	s_bfe_u32 s12, s16, 0x10008
	s_cmp_eq_u32 s12, 0
                                        ; implicit-def: $sgpr12_sgpr13
	s_cbranch_scc1 .LBB85_3
; %bb.2:
	s_clause 0x1
	s_load_dword s12, s[4:5], 0x20
	s_load_dwordx2 s[16:17], s[4:5], 0x18
	s_mul_i32 s13, s8, s7
	s_mul_hi_u32 s18, s8, s6
	s_mul_i32 s9, s9, s6
	s_add_i32 s13, s18, s13
	s_mul_i32 s8, s8, s6
	s_add_i32 s9, s13, s9
	s_lshl_b64 s[8:9], s[8:9], 2
	s_waitcnt lgkmcnt(0)
	s_ashr_i32 s13, s12, 31
	s_add_u32 s16, s16, s8
	s_addc_u32 s17, s17, s9
	s_lshl_b64 s[8:9], s[12:13], 2
	s_add_u32 s12, s16, s8
	s_addc_u32 s13, s17, s9
.LBB85_3:
	s_clause 0x1
	s_load_dwordx2 s[8:9], s[4:5], 0x8
	s_load_dword s4, s[4:5], 0x38
	v_lshlrev_b32_e32 v55, 4, v0
	s_movk_i32 s18, 0xb0
	s_movk_i32 s19, 0xc0
	;; [unrolled: 1-line block ×11, first 2 shown]
	s_mov_b32 s33, 32
	s_mov_b32 s31, 48
	;; [unrolled: 1-line block ×3, first 2 shown]
	s_movk_i32 s29, 0x50
	s_waitcnt lgkmcnt(0)
	s_ashr_i32 s17, s8, 31
	s_mov_b32 s16, s8
	v_add3_u32 v11, s9, s9, v0
	s_lshl_b64 s[16:17], s[16:17], 4
	s_add_u32 s5, s14, s16
	s_addc_u32 s8, s15, s17
	v_add_co_u32 v5, s14, s5, v55
	v_add_co_ci_u32_e64 v6, null, s8, 0, s14
	s_mov_b32 s14, s9
	s_ashr_i32 s15, s9, 31
	v_ashrrev_i32_e32 v12, 31, v11
	flat_load_dwordx4 v[1:4], v[5:6]
	s_lshl_b64 s[14:15], s[14:15], 4
	v_add_nc_u32_e32 v13, s9, v11
	v_add_co_u32 v7, vcc_lo, v5, s14
	v_add_co_ci_u32_e64 v8, null, s15, v6, vcc_lo
	v_lshlrev_b64 v[9:10], 4, v[11:12]
	v_ashrrev_i32_e32 v14, 31, v13
	v_add_nc_u32_e32 v15, s9, v13
	s_movk_i32 s14, 0x70
	s_movk_i32 s15, 0x80
	;; [unrolled: 1-line block ×3, first 2 shown]
	v_add_co_u32 v9, vcc_lo, s5, v9
	v_add_co_ci_u32_e64 v10, null, s8, v10, vcc_lo
	v_lshlrev_b64 v[11:12], 4, v[13:14]
	v_ashrrev_i32_e32 v16, 31, v15
	v_add_nc_u32_e32 v17, s9, v15
	s_movk_i32 s17, 0xa0
	s_add_i32 s26, s14, 16
	s_add_i32 s25, s15, 16
	v_add_co_u32 v11, vcc_lo, s5, v11
	v_add_co_ci_u32_e64 v12, null, s8, v12, vcc_lo
	v_lshlrev_b64 v[13:14], 4, v[15:16]
	v_ashrrev_i32_e32 v18, 31, v17
	v_add_nc_u32_e32 v19, s9, v17
	s_add_i32 s24, s16, 16
	s_add_i32 s23, s17, 16
	s_add_i32 s22, s18, 16
	v_add_co_u32 v13, vcc_lo, s5, v13
	v_add_co_ci_u32_e64 v14, null, s8, v14, vcc_lo
	v_lshlrev_b64 v[15:16], 4, v[17:18]
	v_ashrrev_i32_e32 v20, 31, v19
	v_add_nc_u32_e32 v21, s9, v19
	s_add_i32 s21, s19, 16
	;; [unrolled: 8-line block ×4, first 2 shown]
	s_add_i32 s14, s40, 16
	s_waitcnt vmcnt(0) lgkmcnt(0)
	buffer_store_dword v4, off, s[0:3], 0 offset:28
	buffer_store_dword v3, off, s[0:3], 0 offset:24
	buffer_store_dword v2, off, s[0:3], 0 offset:20
	buffer_store_dword v1, off, s[0:3], 0 offset:16
	flat_load_dwordx4 v[1:4], v[7:8]
	v_add_co_u32 v19, vcc_lo, s5, v19
	v_add_co_ci_u32_e64 v20, null, s8, v20, vcc_lo
	v_lshlrev_b64 v[21:22], 4, v[23:24]
	v_ashrrev_i32_e32 v26, 31, v25
	v_add_nc_u32_e32 v27, s9, v25
	s_waitcnt vmcnt(0) lgkmcnt(0)
	buffer_store_dword v4, off, s[0:3], 0 offset:44
	buffer_store_dword v3, off, s[0:3], 0 offset:40
	buffer_store_dword v2, off, s[0:3], 0 offset:36
	buffer_store_dword v1, off, s[0:3], 0 offset:32
	flat_load_dwordx4 v[1:4], v[9:10]
	v_add_co_u32 v21, vcc_lo, s5, v21
	v_add_co_ci_u32_e64 v22, null, s8, v22, vcc_lo
	v_lshlrev_b64 v[23:24], 4, v[25:26]
	v_ashrrev_i32_e32 v28, 31, v27
	v_add_nc_u32_e32 v29, s9, v27
	;; [unrolled: 11-line block ×11, first 2 shown]
	s_waitcnt vmcnt(0) lgkmcnt(0)
	buffer_store_dword v4, off, s[0:3], 0 offset:204
	buffer_store_dword v3, off, s[0:3], 0 offset:200
	;; [unrolled: 1-line block ×4, first 2 shown]
	flat_load_dwordx4 v[1:4], v[29:30]
	v_add_co_u32 v41, vcc_lo, s5, v41
	v_add_co_ci_u32_e64 v42, null, s8, v42, vcc_lo
	v_lshlrev_b64 v[43:44], 4, v[45:46]
	v_ashrrev_i32_e32 v48, 31, v47
	s_waitcnt vmcnt(0) lgkmcnt(0)
	buffer_store_dword v4, off, s[0:3], 0 offset:220
	buffer_store_dword v3, off, s[0:3], 0 offset:216
	;; [unrolled: 1-line block ×4, first 2 shown]
	flat_load_dwordx4 v[1:4], v[31:32]
	v_add_co_u32 v43, vcc_lo, s5, v43
	v_add_co_ci_u32_e64 v44, null, s8, v44, vcc_lo
	v_lshlrev_b64 v[45:46], 4, v[47:48]
	v_add_nc_u32_e32 v47, s9, v47
	s_movk_i32 s9, 0x60
	s_waitcnt vmcnt(0) lgkmcnt(0)
	buffer_store_dword v4, off, s[0:3], 0 offset:236
	buffer_store_dword v3, off, s[0:3], 0 offset:232
	;; [unrolled: 1-line block ×4, first 2 shown]
	flat_load_dwordx4 v[1:4], v[33:34]
	v_add_co_u32 v45, vcc_lo, s5, v45
	v_add_co_ci_u32_e64 v46, null, s8, v46, vcc_lo
	v_ashrrev_i32_e32 v48, 31, v47
	s_add_i32 s27, s9, 16
	s_add_i32 s9, s41, 16
	s_waitcnt vmcnt(0) lgkmcnt(0)
	buffer_store_dword v4, off, s[0:3], 0 offset:252
	buffer_store_dword v3, off, s[0:3], 0 offset:248
	;; [unrolled: 1-line block ×4, first 2 shown]
	flat_load_dwordx4 v[1:4], v[35:36]
	v_lshlrev_b64 v[47:48], 4, v[47:48]
	s_waitcnt vmcnt(0) lgkmcnt(0)
	buffer_store_dword v4, off, s[0:3], 0 offset:268
	buffer_store_dword v3, off, s[0:3], 0 offset:264
	;; [unrolled: 1-line block ×4, first 2 shown]
	flat_load_dwordx4 v[1:4], v[37:38]
	v_add_co_u32 v47, vcc_lo, s5, v47
	v_add_co_ci_u32_e64 v48, null, s8, v48, vcc_lo
	s_movk_i32 s8, 0x50
	s_mov_b32 s5, -1
	s_add_i32 s28, s8, 16
	s_add_i32 s8, s42, 16
	s_bitcmp0_b32 s4, 0
	s_waitcnt vmcnt(0) lgkmcnt(0)
	buffer_store_dword v4, off, s[0:3], 0 offset:284
	buffer_store_dword v3, off, s[0:3], 0 offset:280
	buffer_store_dword v2, off, s[0:3], 0 offset:276
	buffer_store_dword v1, off, s[0:3], 0 offset:272
	flat_load_dwordx4 v[1:4], v[39:40]
	s_waitcnt vmcnt(0) lgkmcnt(0)
	buffer_store_dword v4, off, s[0:3], 0 offset:300
	buffer_store_dword v3, off, s[0:3], 0 offset:296
	buffer_store_dword v2, off, s[0:3], 0 offset:292
	buffer_store_dword v1, off, s[0:3], 0 offset:288
	flat_load_dwordx4 v[1:4], v[41:42]
	s_waitcnt vmcnt(0) lgkmcnt(0)
	buffer_store_dword v4, off, s[0:3], 0 offset:316
	buffer_store_dword v3, off, s[0:3], 0 offset:312
	buffer_store_dword v2, off, s[0:3], 0 offset:308
	buffer_store_dword v1, off, s[0:3], 0 offset:304
	flat_load_dwordx4 v[1:4], v[43:44]
	s_waitcnt vmcnt(0) lgkmcnt(0)
	buffer_store_dword v4, off, s[0:3], 0 offset:332
	buffer_store_dword v3, off, s[0:3], 0 offset:328
	buffer_store_dword v2, off, s[0:3], 0 offset:324
	buffer_store_dword v1, off, s[0:3], 0 offset:320
	flat_load_dwordx4 v[1:4], v[45:46]
	s_waitcnt vmcnt(0) lgkmcnt(0)
	buffer_store_dword v4, off, s[0:3], 0 offset:348
	buffer_store_dword v3, off, s[0:3], 0 offset:344
	buffer_store_dword v2, off, s[0:3], 0 offset:340
	buffer_store_dword v1, off, s[0:3], 0 offset:336
	flat_load_dwordx4 v[1:4], v[47:48]
	s_waitcnt vmcnt(0) lgkmcnt(0)
	buffer_store_dword v4, off, s[0:3], 0 offset:364
	buffer_store_dword v3, off, s[0:3], 0 offset:360
	;; [unrolled: 1-line block ×4, first 2 shown]
	s_cbranch_scc1 .LBB85_100
; %bb.4:
	v_cmp_eq_u32_e64 s4, 0, v0
	s_and_saveexec_b32 s5, s4
; %bb.5:
	v_mov_b32_e32 v1, 0
	ds_write_b32 v1, v1 offset:704
; %bb.6:
	s_or_b32 exec_lo, exec_lo, s5
	v_lshl_add_u32 v56, v0, 4, 16
	s_waitcnt lgkmcnt(0)
	s_waitcnt_vscnt null, 0x0
	s_barrier
	buffer_gl0_inv
	s_clause 0x3
	buffer_load_dword v1, v56, s[0:3], 0 offen
	buffer_load_dword v2, v56, s[0:3], 0 offen offset:4
	buffer_load_dword v3, v56, s[0:3], 0 offen offset:8
	;; [unrolled: 1-line block ×3, first 2 shown]
	s_waitcnt vmcnt(2)
	v_cmp_eq_f64_e32 vcc_lo, 0, v[1:2]
	s_waitcnt vmcnt(0)
	v_cmp_eq_f64_e64 s5, 0, v[3:4]
	s_and_b32 s5, vcc_lo, s5
	s_and_saveexec_b32 s35, s5
	s_cbranch_execz .LBB85_10
; %bb.7:
	v_mov_b32_e32 v1, 0
	s_mov_b32 s36, 0
	ds_read_b32 v2, v1 offset:704
	s_waitcnt lgkmcnt(0)
	v_readfirstlane_b32 s5, v2
	v_add_nc_u32_e32 v2, 1, v0
	s_cmp_eq_u32 s5, 0
	v_cmp_gt_i32_e32 vcc_lo, s5, v2
	s_cselect_b32 s37, -1, 0
	s_or_b32 s37, s37, vcc_lo
	s_and_b32 exec_lo, exec_lo, s37
	s_cbranch_execz .LBB85_10
; %bb.8:
	v_mov_b32_e32 v3, s5
.LBB85_9:                               ; =>This Inner Loop Header: Depth=1
	ds_cmpst_rtn_b32 v3, v1, v3, v2 offset:704
	s_waitcnt lgkmcnt(0)
	v_cmp_ne_u32_e32 vcc_lo, 0, v3
	v_cmp_le_i32_e64 s5, v3, v2
	s_and_b32 s5, vcc_lo, s5
	s_and_b32 s5, exec_lo, s5
	s_or_b32 s36, s5, s36
	s_andn2_b32 exec_lo, exec_lo, s36
	s_cbranch_execnz .LBB85_9
.LBB85_10:
	s_or_b32 exec_lo, exec_lo, s35
	v_mov_b32_e32 v1, 0
	s_barrier
	buffer_gl0_inv
	ds_read_b32 v2, v1 offset:704
	s_and_saveexec_b32 s5, s4
	s_cbranch_execz .LBB85_12
; %bb.11:
	s_lshl_b64 s[36:37], s[6:7], 2
	s_add_u32 s36, s10, s36
	s_addc_u32 s37, s11, s37
	s_waitcnt lgkmcnt(0)
	global_store_dword v1, v2, s[36:37]
.LBB85_12:
	s_or_b32 exec_lo, exec_lo, s5
	s_waitcnt lgkmcnt(0)
	v_cmp_ne_u32_e32 vcc_lo, 0, v2
	s_mov_b32 s5, 0
	s_cbranch_vccnz .LBB85_100
; %bb.13:
	s_clause 0x3
	buffer_load_dword v51, v56, s[0:3], 0 offen
	buffer_load_dword v52, v56, s[0:3], 0 offen offset:4
	buffer_load_dword v53, v56, s[0:3], 0 offen offset:8
	buffer_load_dword v54, v56, s[0:3], 0 offen offset:12
                                        ; implicit-def: $vgpr49_vgpr50
                                        ; implicit-def: $vgpr3_vgpr4
	s_waitcnt vmcnt(0)
	v_cmp_ngt_f64_e64 s5, |v[51:52]|, |v[53:54]|
	s_and_saveexec_b32 s35, s5
	s_xor_b32 s5, exec_lo, s35
	s_cbranch_execz .LBB85_15
; %bb.14:
	v_div_scale_f64 v[1:2], null, v[53:54], v[53:54], v[51:52]
	v_div_scale_f64 v[57:58], vcc_lo, v[51:52], v[53:54], v[51:52]
	v_rcp_f64_e32 v[3:4], v[1:2]
	v_fma_f64 v[49:50], -v[1:2], v[3:4], 1.0
	v_fma_f64 v[3:4], v[3:4], v[49:50], v[3:4]
	v_fma_f64 v[49:50], -v[1:2], v[3:4], 1.0
	v_fma_f64 v[3:4], v[3:4], v[49:50], v[3:4]
	v_mul_f64 v[49:50], v[57:58], v[3:4]
	v_fma_f64 v[1:2], -v[1:2], v[49:50], v[57:58]
	v_div_fmas_f64 v[1:2], v[1:2], v[3:4], v[49:50]
	v_div_fixup_f64 v[1:2], v[1:2], v[53:54], v[51:52]
	v_fma_f64 v[3:4], v[51:52], v[1:2], v[53:54]
	v_div_scale_f64 v[49:50], null, v[3:4], v[3:4], 1.0
	v_div_scale_f64 v[57:58], vcc_lo, 1.0, v[3:4], 1.0
	v_rcp_f64_e32 v[51:52], v[49:50]
	v_fma_f64 v[53:54], -v[49:50], v[51:52], 1.0
	v_fma_f64 v[51:52], v[51:52], v[53:54], v[51:52]
	v_fma_f64 v[53:54], -v[49:50], v[51:52], 1.0
	v_fma_f64 v[51:52], v[51:52], v[53:54], v[51:52]
	v_mul_f64 v[53:54], v[57:58], v[51:52]
	v_fma_f64 v[49:50], -v[49:50], v[53:54], v[57:58]
	v_div_fmas_f64 v[49:50], v[49:50], v[51:52], v[53:54]
                                        ; implicit-def: $vgpr51_vgpr52
                                        ; implicit-def: $vgpr53_vgpr54
	v_div_fixup_f64 v[3:4], v[49:50], v[3:4], 1.0
	v_mul_f64 v[49:50], v[1:2], v[3:4]
	v_xor_b32_e32 v4, 0x80000000, v4
	v_xor_b32_e32 v2, 0x80000000, v50
	v_mov_b32_e32 v1, v49
.LBB85_15:
	s_andn2_saveexec_b32 s5, s5
	s_cbranch_execz .LBB85_17
; %bb.16:
	v_div_scale_f64 v[1:2], null, v[51:52], v[51:52], v[53:54]
	v_div_scale_f64 v[57:58], vcc_lo, v[53:54], v[51:52], v[53:54]
	v_rcp_f64_e32 v[3:4], v[1:2]
	v_fma_f64 v[49:50], -v[1:2], v[3:4], 1.0
	v_fma_f64 v[3:4], v[3:4], v[49:50], v[3:4]
	v_fma_f64 v[49:50], -v[1:2], v[3:4], 1.0
	v_fma_f64 v[3:4], v[3:4], v[49:50], v[3:4]
	v_mul_f64 v[49:50], v[57:58], v[3:4]
	v_fma_f64 v[1:2], -v[1:2], v[49:50], v[57:58]
	v_div_fmas_f64 v[1:2], v[1:2], v[3:4], v[49:50]
	v_div_fixup_f64 v[1:2], v[1:2], v[51:52], v[53:54]
	v_fma_f64 v[3:4], v[53:54], v[1:2], v[51:52]
	v_div_scale_f64 v[49:50], null, v[3:4], v[3:4], 1.0
	v_rcp_f64_e32 v[51:52], v[49:50]
	v_fma_f64 v[53:54], -v[49:50], v[51:52], 1.0
	v_fma_f64 v[51:52], v[51:52], v[53:54], v[51:52]
	v_fma_f64 v[53:54], -v[49:50], v[51:52], 1.0
	v_fma_f64 v[51:52], v[51:52], v[53:54], v[51:52]
	v_div_scale_f64 v[53:54], vcc_lo, 1.0, v[3:4], 1.0
	v_mul_f64 v[57:58], v[53:54], v[51:52]
	v_fma_f64 v[49:50], -v[49:50], v[57:58], v[53:54]
	v_div_fmas_f64 v[49:50], v[49:50], v[51:52], v[57:58]
	v_div_fixup_f64 v[49:50], v[49:50], v[3:4], 1.0
	v_mul_f64 v[3:4], v[1:2], -v[49:50]
	v_xor_b32_e32 v2, 0x80000000, v50
	v_mov_b32_e32 v1, v49
.LBB85_17:
	s_or_b32 exec_lo, exec_lo, s5
	v_mov_b32_e32 v54, s33
	buffer_store_dword v50, v56, s[0:3], 0 offen offset:4
	buffer_store_dword v49, v56, s[0:3], 0 offen
	buffer_store_dword v4, v56, s[0:3], 0 offen offset:12
	buffer_store_dword v3, v56, s[0:3], 0 offen offset:8
	v_xor_b32_e32 v4, 0x80000000, v4
	v_add_nc_u32_e32 v49, 0x160, v55
	s_clause 0x3
	buffer_load_dword v53, v54, s[0:3], 0 offen offset:12
	buffer_load_dword v52, v54, s[0:3], 0 offen offset:8
	;; [unrolled: 1-line block ×3, first 2 shown]
	buffer_load_dword v50, v54, s[0:3], 0 offen
	ds_write_b128 v55, v[1:4]
	s_waitcnt vmcnt(0)
	ds_write_b128 v55, v[50:53] offset:352
	s_waitcnt lgkmcnt(0)
	s_waitcnt_vscnt null, 0x0
	s_barrier
	buffer_gl0_inv
	s_and_saveexec_b32 s5, s4
	s_cbranch_execz .LBB85_19
; %bb.18:
	s_clause 0x3
	buffer_load_dword v57, v56, s[0:3], 0 offen offset:8
	buffer_load_dword v58, v56, s[0:3], 0 offen offset:12
	buffer_load_dword v59, v56, s[0:3], 0 offen
	buffer_load_dword v60, v56, s[0:3], 0 offen offset:4
	ds_read_b128 v[1:4], v49
	v_mov_b32_e32 v50, 0
	ds_read_b128 v[50:53], v50 offset:16
	s_waitcnt vmcnt(2) lgkmcnt(1)
	v_mul_f64 v[61:62], v[1:2], v[57:58]
	v_mul_f64 v[57:58], v[3:4], v[57:58]
	s_waitcnt vmcnt(0)
	v_fma_f64 v[3:4], v[3:4], v[59:60], v[61:62]
	v_fma_f64 v[1:2], v[1:2], v[59:60], -v[57:58]
	v_add_f64 v[3:4], v[3:4], 0
	v_add_f64 v[1:2], v[1:2], 0
	s_waitcnt lgkmcnt(0)
	v_mul_f64 v[57:58], v[3:4], v[52:53]
	v_mul_f64 v[52:53], v[1:2], v[52:53]
	v_fma_f64 v[1:2], v[1:2], v[50:51], -v[57:58]
	v_fma_f64 v[3:4], v[3:4], v[50:51], v[52:53]
	buffer_store_dword v1, off, s[0:3], 0 offset:32
	buffer_store_dword v2, off, s[0:3], 0 offset:36
	;; [unrolled: 1-line block ×4, first 2 shown]
.LBB85_19:
	s_or_b32 exec_lo, exec_lo, s5
	v_mov_b32_e32 v4, s31
	s_waitcnt_vscnt null, 0x0
	s_barrier
	buffer_gl0_inv
	s_mov_b32 s5, exec_lo
	s_clause 0x3
	buffer_load_dword v1, v4, s[0:3], 0 offen
	buffer_load_dword v2, v4, s[0:3], 0 offen offset:4
	buffer_load_dword v3, v4, s[0:3], 0 offen offset:8
	;; [unrolled: 1-line block ×3, first 2 shown]
	s_waitcnt vmcnt(0)
	ds_write_b128 v49, v[1:4]
	s_waitcnt lgkmcnt(0)
	s_barrier
	buffer_gl0_inv
	v_cmpx_gt_u32_e32 2, v0
	s_cbranch_execz .LBB85_23
; %bb.20:
	s_clause 0x3
	buffer_load_dword v50, v56, s[0:3], 0 offen offset:8
	buffer_load_dword v51, v56, s[0:3], 0 offen offset:12
	buffer_load_dword v52, v56, s[0:3], 0 offen
	buffer_load_dword v53, v56, s[0:3], 0 offen offset:4
	ds_read_b128 v[1:4], v49
	s_waitcnt vmcnt(2) lgkmcnt(0)
	v_mul_f64 v[56:57], v[3:4], v[50:51]
	v_mul_f64 v[50:51], v[1:2], v[50:51]
	s_waitcnt vmcnt(0)
	v_fma_f64 v[1:2], v[1:2], v[52:53], -v[56:57]
	v_fma_f64 v[3:4], v[3:4], v[52:53], v[50:51]
	v_add_f64 v[1:2], v[1:2], 0
	v_add_f64 v[3:4], v[3:4], 0
	s_and_saveexec_b32 s35, s4
	s_cbranch_execz .LBB85_22
; %bb.21:
	s_clause 0x3
	buffer_load_dword v56, off, s[0:3], 0 offset:40
	buffer_load_dword v57, off, s[0:3], 0 offset:44
	;; [unrolled: 1-line block ×4, first 2 shown]
	v_mov_b32_e32 v50, 0
	ds_read_b128 v[50:53], v50 offset:368
	s_waitcnt vmcnt(2) lgkmcnt(0)
	v_mul_f64 v[60:61], v[50:51], v[56:57]
	v_mul_f64 v[56:57], v[52:53], v[56:57]
	s_waitcnt vmcnt(0)
	v_fma_f64 v[52:53], v[52:53], v[58:59], v[60:61]
	v_fma_f64 v[50:51], v[50:51], v[58:59], -v[56:57]
	v_add_f64 v[3:4], v[3:4], v[52:53]
	v_add_f64 v[1:2], v[1:2], v[50:51]
.LBB85_22:
	s_or_b32 exec_lo, exec_lo, s35
	v_mov_b32_e32 v50, 0
	ds_read_b128 v[50:53], v50 offset:32
	s_waitcnt lgkmcnt(0)
	v_mul_f64 v[56:57], v[3:4], v[52:53]
	v_mul_f64 v[52:53], v[1:2], v[52:53]
	v_fma_f64 v[1:2], v[1:2], v[50:51], -v[56:57]
	v_fma_f64 v[3:4], v[3:4], v[50:51], v[52:53]
	buffer_store_dword v2, off, s[0:3], 0 offset:52
	buffer_store_dword v1, off, s[0:3], 0 offset:48
	;; [unrolled: 1-line block ×4, first 2 shown]
.LBB85_23:
	s_or_b32 exec_lo, exec_lo, s5
	v_mov_b32_e32 v4, s30
	s_waitcnt_vscnt null, 0x0
	s_barrier
	buffer_gl0_inv
	v_add_nc_u32_e32 v50, -1, v0
	s_clause 0x3
	buffer_load_dword v1, v4, s[0:3], 0 offen
	buffer_load_dword v2, v4, s[0:3], 0 offen offset:4
	buffer_load_dword v3, v4, s[0:3], 0 offen offset:8
	;; [unrolled: 1-line block ×3, first 2 shown]
	s_mov_b32 s4, exec_lo
	s_waitcnt vmcnt(0)
	ds_write_b128 v49, v[1:4]
	s_waitcnt lgkmcnt(0)
	s_barrier
	buffer_gl0_inv
	v_cmpx_gt_u32_e32 3, v0
	s_cbranch_execz .LBB85_27
; %bb.24:
	v_mov_b32_e32 v1, 0
	v_mov_b32_e32 v3, 0
	v_add_nc_u32_e32 v51, -1, v0
	v_add_nc_u32_e32 v52, 0x160, v55
	v_mov_b32_e32 v2, 0
	v_mov_b32_e32 v4, 0
	v_add_nc_u32_e32 v53, 16, v55
	s_mov_b32 s5, 0
	.p2align	6
.LBB85_25:                              ; =>This Inner Loop Header: Depth=1
	s_clause 0x3
	buffer_load_dword v60, v53, s[0:3], 0 offen offset:8
	buffer_load_dword v61, v53, s[0:3], 0 offen offset:12
	buffer_load_dword v62, v53, s[0:3], 0 offen
	buffer_load_dword v63, v53, s[0:3], 0 offen offset:4
	ds_read_b128 v[56:59], v52
	v_add_nc_u32_e32 v51, 1, v51
	v_add_nc_u32_e32 v52, 16, v52
	;; [unrolled: 1-line block ×3, first 2 shown]
	v_cmp_lt_u32_e32 vcc_lo, 1, v51
	s_or_b32 s5, vcc_lo, s5
	s_waitcnt vmcnt(2) lgkmcnt(0)
	v_mul_f64 v[64:65], v[58:59], v[60:61]
	v_mul_f64 v[60:61], v[56:57], v[60:61]
	s_waitcnt vmcnt(0)
	v_fma_f64 v[56:57], v[56:57], v[62:63], -v[64:65]
	v_fma_f64 v[58:59], v[58:59], v[62:63], v[60:61]
	v_add_f64 v[3:4], v[3:4], v[56:57]
	v_add_f64 v[1:2], v[1:2], v[58:59]
	s_andn2_b32 exec_lo, exec_lo, s5
	s_cbranch_execnz .LBB85_25
; %bb.26:
	s_or_b32 exec_lo, exec_lo, s5
	v_mov_b32_e32 v51, 0
	ds_read_b128 v[51:54], v51 offset:48
	s_waitcnt lgkmcnt(0)
	v_mul_f64 v[56:57], v[1:2], v[53:54]
	v_mul_f64 v[53:54], v[3:4], v[53:54]
	v_fma_f64 v[3:4], v[3:4], v[51:52], -v[56:57]
	v_fma_f64 v[1:2], v[1:2], v[51:52], v[53:54]
	buffer_store_dword v4, off, s[0:3], 0 offset:68
	buffer_store_dword v3, off, s[0:3], 0 offset:64
	;; [unrolled: 1-line block ×4, first 2 shown]
.LBB85_27:
	s_or_b32 exec_lo, exec_lo, s4
	v_mov_b32_e32 v4, s29
	s_waitcnt_vscnt null, 0x0
	s_barrier
	buffer_gl0_inv
	s_mov_b32 s4, exec_lo
	s_clause 0x3
	buffer_load_dword v1, v4, s[0:3], 0 offen
	buffer_load_dword v2, v4, s[0:3], 0 offen offset:4
	buffer_load_dword v3, v4, s[0:3], 0 offen offset:8
	;; [unrolled: 1-line block ×3, first 2 shown]
	s_waitcnt vmcnt(0)
	ds_write_b128 v49, v[1:4]
	s_waitcnt lgkmcnt(0)
	s_barrier
	buffer_gl0_inv
	v_cmpx_gt_u32_e32 4, v0
	s_cbranch_execz .LBB85_31
; %bb.28:
	v_mov_b32_e32 v1, 0
	v_mov_b32_e32 v3, 0
	v_add_nc_u32_e32 v51, -1, v0
	v_add_nc_u32_e32 v52, 0x160, v55
	v_mov_b32_e32 v2, 0
	v_mov_b32_e32 v4, 0
	v_add_nc_u32_e32 v53, 16, v55
	s_mov_b32 s5, 0
	.p2align	6
.LBB85_29:                              ; =>This Inner Loop Header: Depth=1
	s_clause 0x3
	buffer_load_dword v60, v53, s[0:3], 0 offen offset:8
	buffer_load_dword v61, v53, s[0:3], 0 offen offset:12
	buffer_load_dword v62, v53, s[0:3], 0 offen
	buffer_load_dword v63, v53, s[0:3], 0 offen offset:4
	ds_read_b128 v[56:59], v52
	v_add_nc_u32_e32 v51, 1, v51
	v_add_nc_u32_e32 v52, 16, v52
	;; [unrolled: 1-line block ×3, first 2 shown]
	v_cmp_lt_u32_e32 vcc_lo, 2, v51
	s_or_b32 s5, vcc_lo, s5
	s_waitcnt vmcnt(2) lgkmcnt(0)
	v_mul_f64 v[64:65], v[58:59], v[60:61]
	v_mul_f64 v[60:61], v[56:57], v[60:61]
	s_waitcnt vmcnt(0)
	v_fma_f64 v[56:57], v[56:57], v[62:63], -v[64:65]
	v_fma_f64 v[58:59], v[58:59], v[62:63], v[60:61]
	v_add_f64 v[3:4], v[3:4], v[56:57]
	v_add_f64 v[1:2], v[1:2], v[58:59]
	s_andn2_b32 exec_lo, exec_lo, s5
	s_cbranch_execnz .LBB85_29
; %bb.30:
	s_or_b32 exec_lo, exec_lo, s5
	v_mov_b32_e32 v51, 0
	ds_read_b128 v[51:54], v51 offset:64
	s_waitcnt lgkmcnt(0)
	v_mul_f64 v[56:57], v[1:2], v[53:54]
	v_mul_f64 v[53:54], v[3:4], v[53:54]
	v_fma_f64 v[3:4], v[3:4], v[51:52], -v[56:57]
	v_fma_f64 v[1:2], v[1:2], v[51:52], v[53:54]
	buffer_store_dword v4, off, s[0:3], 0 offset:84
	buffer_store_dword v3, off, s[0:3], 0 offset:80
	;; [unrolled: 1-line block ×4, first 2 shown]
.LBB85_31:
	s_or_b32 exec_lo, exec_lo, s4
	v_mov_b32_e32 v4, s28
	s_waitcnt_vscnt null, 0x0
	s_barrier
	buffer_gl0_inv
	s_mov_b32 s4, exec_lo
	s_clause 0x3
	buffer_load_dword v1, v4, s[0:3], 0 offen
	buffer_load_dword v2, v4, s[0:3], 0 offen offset:4
	buffer_load_dword v3, v4, s[0:3], 0 offen offset:8
	;; [unrolled: 1-line block ×3, first 2 shown]
	s_waitcnt vmcnt(0)
	ds_write_b128 v49, v[1:4]
	s_waitcnt lgkmcnt(0)
	s_barrier
	buffer_gl0_inv
	v_cmpx_gt_u32_e32 5, v0
	s_cbranch_execz .LBB85_35
; %bb.32:
	v_mov_b32_e32 v1, 0
	v_mov_b32_e32 v3, 0
	v_add_nc_u32_e32 v51, -1, v0
	v_add_nc_u32_e32 v52, 0x160, v55
	v_mov_b32_e32 v2, 0
	v_mov_b32_e32 v4, 0
	v_add_nc_u32_e32 v53, 16, v55
	s_mov_b32 s5, 0
	.p2align	6
.LBB85_33:                              ; =>This Inner Loop Header: Depth=1
	s_clause 0x3
	buffer_load_dword v60, v53, s[0:3], 0 offen offset:8
	buffer_load_dword v61, v53, s[0:3], 0 offen offset:12
	buffer_load_dword v62, v53, s[0:3], 0 offen
	buffer_load_dword v63, v53, s[0:3], 0 offen offset:4
	ds_read_b128 v[56:59], v52
	v_add_nc_u32_e32 v51, 1, v51
	v_add_nc_u32_e32 v52, 16, v52
	;; [unrolled: 1-line block ×3, first 2 shown]
	v_cmp_lt_u32_e32 vcc_lo, 3, v51
	s_or_b32 s5, vcc_lo, s5
	s_waitcnt vmcnt(2) lgkmcnt(0)
	v_mul_f64 v[64:65], v[58:59], v[60:61]
	v_mul_f64 v[60:61], v[56:57], v[60:61]
	s_waitcnt vmcnt(0)
	v_fma_f64 v[56:57], v[56:57], v[62:63], -v[64:65]
	v_fma_f64 v[58:59], v[58:59], v[62:63], v[60:61]
	v_add_f64 v[3:4], v[3:4], v[56:57]
	v_add_f64 v[1:2], v[1:2], v[58:59]
	s_andn2_b32 exec_lo, exec_lo, s5
	s_cbranch_execnz .LBB85_33
; %bb.34:
	s_or_b32 exec_lo, exec_lo, s5
	v_mov_b32_e32 v51, 0
	ds_read_b128 v[51:54], v51 offset:80
	s_waitcnt lgkmcnt(0)
	v_mul_f64 v[56:57], v[1:2], v[53:54]
	v_mul_f64 v[53:54], v[3:4], v[53:54]
	v_fma_f64 v[3:4], v[3:4], v[51:52], -v[56:57]
	v_fma_f64 v[1:2], v[1:2], v[51:52], v[53:54]
	buffer_store_dword v4, off, s[0:3], 0 offset:100
	buffer_store_dword v3, off, s[0:3], 0 offset:96
	;; [unrolled: 1-line block ×4, first 2 shown]
.LBB85_35:
	s_or_b32 exec_lo, exec_lo, s4
	v_mov_b32_e32 v4, s27
	s_waitcnt_vscnt null, 0x0
	s_barrier
	buffer_gl0_inv
	s_mov_b32 s4, exec_lo
	s_clause 0x3
	buffer_load_dword v1, v4, s[0:3], 0 offen
	buffer_load_dword v2, v4, s[0:3], 0 offen offset:4
	buffer_load_dword v3, v4, s[0:3], 0 offen offset:8
	;; [unrolled: 1-line block ×3, first 2 shown]
	s_waitcnt vmcnt(0)
	ds_write_b128 v49, v[1:4]
	s_waitcnt lgkmcnt(0)
	s_barrier
	buffer_gl0_inv
	v_cmpx_gt_u32_e32 6, v0
	s_cbranch_execz .LBB85_39
; %bb.36:
	v_mov_b32_e32 v1, 0
	v_mov_b32_e32 v3, 0
	v_add_nc_u32_e32 v51, -1, v0
	v_add_nc_u32_e32 v52, 0x160, v55
	v_mov_b32_e32 v2, 0
	v_mov_b32_e32 v4, 0
	v_add_nc_u32_e32 v53, 16, v55
	s_mov_b32 s5, 0
	.p2align	6
.LBB85_37:                              ; =>This Inner Loop Header: Depth=1
	s_clause 0x3
	buffer_load_dword v60, v53, s[0:3], 0 offen offset:8
	buffer_load_dword v61, v53, s[0:3], 0 offen offset:12
	buffer_load_dword v62, v53, s[0:3], 0 offen
	buffer_load_dword v63, v53, s[0:3], 0 offen offset:4
	ds_read_b128 v[56:59], v52
	v_add_nc_u32_e32 v51, 1, v51
	v_add_nc_u32_e32 v52, 16, v52
	;; [unrolled: 1-line block ×3, first 2 shown]
	v_cmp_lt_u32_e32 vcc_lo, 4, v51
	s_or_b32 s5, vcc_lo, s5
	s_waitcnt vmcnt(2) lgkmcnt(0)
	v_mul_f64 v[64:65], v[58:59], v[60:61]
	v_mul_f64 v[60:61], v[56:57], v[60:61]
	s_waitcnt vmcnt(0)
	v_fma_f64 v[56:57], v[56:57], v[62:63], -v[64:65]
	v_fma_f64 v[58:59], v[58:59], v[62:63], v[60:61]
	v_add_f64 v[3:4], v[3:4], v[56:57]
	v_add_f64 v[1:2], v[1:2], v[58:59]
	s_andn2_b32 exec_lo, exec_lo, s5
	s_cbranch_execnz .LBB85_37
; %bb.38:
	s_or_b32 exec_lo, exec_lo, s5
	v_mov_b32_e32 v51, 0
	ds_read_b128 v[51:54], v51 offset:96
	s_waitcnt lgkmcnt(0)
	v_mul_f64 v[56:57], v[1:2], v[53:54]
	v_mul_f64 v[53:54], v[3:4], v[53:54]
	v_fma_f64 v[3:4], v[3:4], v[51:52], -v[56:57]
	v_fma_f64 v[1:2], v[1:2], v[51:52], v[53:54]
	buffer_store_dword v4, off, s[0:3], 0 offset:116
	buffer_store_dword v3, off, s[0:3], 0 offset:112
	;; [unrolled: 1-line block ×4, first 2 shown]
.LBB85_39:
	s_or_b32 exec_lo, exec_lo, s4
	v_mov_b32_e32 v4, s26
	s_waitcnt_vscnt null, 0x0
	s_barrier
	buffer_gl0_inv
	s_mov_b32 s4, exec_lo
	s_clause 0x3
	buffer_load_dword v1, v4, s[0:3], 0 offen
	buffer_load_dword v2, v4, s[0:3], 0 offen offset:4
	buffer_load_dword v3, v4, s[0:3], 0 offen offset:8
	;; [unrolled: 1-line block ×3, first 2 shown]
	s_waitcnt vmcnt(0)
	ds_write_b128 v49, v[1:4]
	s_waitcnt lgkmcnt(0)
	s_barrier
	buffer_gl0_inv
	v_cmpx_gt_u32_e32 7, v0
	s_cbranch_execz .LBB85_43
; %bb.40:
	v_mov_b32_e32 v1, 0
	v_mov_b32_e32 v3, 0
	v_add_nc_u32_e32 v51, -1, v0
	v_add_nc_u32_e32 v52, 0x160, v55
	v_mov_b32_e32 v2, 0
	v_mov_b32_e32 v4, 0
	v_add_nc_u32_e32 v53, 16, v55
	s_mov_b32 s5, 0
	.p2align	6
.LBB85_41:                              ; =>This Inner Loop Header: Depth=1
	s_clause 0x3
	buffer_load_dword v60, v53, s[0:3], 0 offen offset:8
	buffer_load_dword v61, v53, s[0:3], 0 offen offset:12
	buffer_load_dword v62, v53, s[0:3], 0 offen
	buffer_load_dword v63, v53, s[0:3], 0 offen offset:4
	ds_read_b128 v[56:59], v52
	v_add_nc_u32_e32 v51, 1, v51
	v_add_nc_u32_e32 v52, 16, v52
	;; [unrolled: 1-line block ×3, first 2 shown]
	v_cmp_lt_u32_e32 vcc_lo, 5, v51
	s_or_b32 s5, vcc_lo, s5
	s_waitcnt vmcnt(2) lgkmcnt(0)
	v_mul_f64 v[64:65], v[58:59], v[60:61]
	v_mul_f64 v[60:61], v[56:57], v[60:61]
	s_waitcnt vmcnt(0)
	v_fma_f64 v[56:57], v[56:57], v[62:63], -v[64:65]
	v_fma_f64 v[58:59], v[58:59], v[62:63], v[60:61]
	v_add_f64 v[3:4], v[3:4], v[56:57]
	v_add_f64 v[1:2], v[1:2], v[58:59]
	s_andn2_b32 exec_lo, exec_lo, s5
	s_cbranch_execnz .LBB85_41
; %bb.42:
	s_or_b32 exec_lo, exec_lo, s5
	v_mov_b32_e32 v51, 0
	ds_read_b128 v[51:54], v51 offset:112
	s_waitcnt lgkmcnt(0)
	v_mul_f64 v[56:57], v[1:2], v[53:54]
	v_mul_f64 v[53:54], v[3:4], v[53:54]
	v_fma_f64 v[3:4], v[3:4], v[51:52], -v[56:57]
	v_fma_f64 v[1:2], v[1:2], v[51:52], v[53:54]
	buffer_store_dword v4, off, s[0:3], 0 offset:132
	buffer_store_dword v3, off, s[0:3], 0 offset:128
	;; [unrolled: 1-line block ×4, first 2 shown]
.LBB85_43:
	s_or_b32 exec_lo, exec_lo, s4
	v_mov_b32_e32 v4, s25
	s_waitcnt_vscnt null, 0x0
	s_barrier
	buffer_gl0_inv
	s_mov_b32 s4, exec_lo
	s_clause 0x3
	buffer_load_dword v1, v4, s[0:3], 0 offen
	buffer_load_dword v2, v4, s[0:3], 0 offen offset:4
	buffer_load_dword v3, v4, s[0:3], 0 offen offset:8
	;; [unrolled: 1-line block ×3, first 2 shown]
	s_waitcnt vmcnt(0)
	ds_write_b128 v49, v[1:4]
	s_waitcnt lgkmcnt(0)
	s_barrier
	buffer_gl0_inv
	v_cmpx_gt_u32_e32 8, v0
	s_cbranch_execz .LBB85_47
; %bb.44:
	v_mov_b32_e32 v1, 0
	v_mov_b32_e32 v3, 0
	v_add_nc_u32_e32 v51, -1, v0
	v_add_nc_u32_e32 v52, 0x160, v55
	v_mov_b32_e32 v2, 0
	v_mov_b32_e32 v4, 0
	v_add_nc_u32_e32 v53, 16, v55
	s_mov_b32 s5, 0
	.p2align	6
.LBB85_45:                              ; =>This Inner Loop Header: Depth=1
	s_clause 0x3
	buffer_load_dword v60, v53, s[0:3], 0 offen offset:8
	buffer_load_dword v61, v53, s[0:3], 0 offen offset:12
	buffer_load_dword v62, v53, s[0:3], 0 offen
	buffer_load_dword v63, v53, s[0:3], 0 offen offset:4
	ds_read_b128 v[56:59], v52
	v_add_nc_u32_e32 v51, 1, v51
	v_add_nc_u32_e32 v52, 16, v52
	v_add_nc_u32_e32 v53, 16, v53
	v_cmp_lt_u32_e32 vcc_lo, 6, v51
	s_or_b32 s5, vcc_lo, s5
	s_waitcnt vmcnt(2) lgkmcnt(0)
	v_mul_f64 v[64:65], v[58:59], v[60:61]
	v_mul_f64 v[60:61], v[56:57], v[60:61]
	s_waitcnt vmcnt(0)
	v_fma_f64 v[56:57], v[56:57], v[62:63], -v[64:65]
	v_fma_f64 v[58:59], v[58:59], v[62:63], v[60:61]
	v_add_f64 v[3:4], v[3:4], v[56:57]
	v_add_f64 v[1:2], v[1:2], v[58:59]
	s_andn2_b32 exec_lo, exec_lo, s5
	s_cbranch_execnz .LBB85_45
; %bb.46:
	s_or_b32 exec_lo, exec_lo, s5
	v_mov_b32_e32 v51, 0
	ds_read_b128 v[51:54], v51 offset:128
	s_waitcnt lgkmcnt(0)
	v_mul_f64 v[56:57], v[1:2], v[53:54]
	v_mul_f64 v[53:54], v[3:4], v[53:54]
	v_fma_f64 v[3:4], v[3:4], v[51:52], -v[56:57]
	v_fma_f64 v[1:2], v[1:2], v[51:52], v[53:54]
	buffer_store_dword v4, off, s[0:3], 0 offset:148
	buffer_store_dword v3, off, s[0:3], 0 offset:144
	;; [unrolled: 1-line block ×4, first 2 shown]
.LBB85_47:
	s_or_b32 exec_lo, exec_lo, s4
	v_mov_b32_e32 v4, s24
	s_waitcnt_vscnt null, 0x0
	s_barrier
	buffer_gl0_inv
	s_mov_b32 s4, exec_lo
	s_clause 0x3
	buffer_load_dword v1, v4, s[0:3], 0 offen
	buffer_load_dword v2, v4, s[0:3], 0 offen offset:4
	buffer_load_dword v3, v4, s[0:3], 0 offen offset:8
	;; [unrolled: 1-line block ×3, first 2 shown]
	s_waitcnt vmcnt(0)
	ds_write_b128 v49, v[1:4]
	s_waitcnt lgkmcnt(0)
	s_barrier
	buffer_gl0_inv
	v_cmpx_gt_u32_e32 9, v0
	s_cbranch_execz .LBB85_51
; %bb.48:
	v_mov_b32_e32 v1, 0
	v_mov_b32_e32 v3, 0
	v_add_nc_u32_e32 v51, -1, v0
	v_add_nc_u32_e32 v52, 0x160, v55
	v_mov_b32_e32 v2, 0
	v_mov_b32_e32 v4, 0
	v_add_nc_u32_e32 v53, 16, v55
	s_mov_b32 s5, 0
	.p2align	6
.LBB85_49:                              ; =>This Inner Loop Header: Depth=1
	s_clause 0x3
	buffer_load_dword v60, v53, s[0:3], 0 offen offset:8
	buffer_load_dword v61, v53, s[0:3], 0 offen offset:12
	buffer_load_dword v62, v53, s[0:3], 0 offen
	buffer_load_dword v63, v53, s[0:3], 0 offen offset:4
	ds_read_b128 v[56:59], v52
	v_add_nc_u32_e32 v51, 1, v51
	v_add_nc_u32_e32 v52, 16, v52
	;; [unrolled: 1-line block ×3, first 2 shown]
	v_cmp_lt_u32_e32 vcc_lo, 7, v51
	s_or_b32 s5, vcc_lo, s5
	s_waitcnt vmcnt(2) lgkmcnt(0)
	v_mul_f64 v[64:65], v[58:59], v[60:61]
	v_mul_f64 v[60:61], v[56:57], v[60:61]
	s_waitcnt vmcnt(0)
	v_fma_f64 v[56:57], v[56:57], v[62:63], -v[64:65]
	v_fma_f64 v[58:59], v[58:59], v[62:63], v[60:61]
	v_add_f64 v[3:4], v[3:4], v[56:57]
	v_add_f64 v[1:2], v[1:2], v[58:59]
	s_andn2_b32 exec_lo, exec_lo, s5
	s_cbranch_execnz .LBB85_49
; %bb.50:
	s_or_b32 exec_lo, exec_lo, s5
	v_mov_b32_e32 v51, 0
	ds_read_b128 v[51:54], v51 offset:144
	s_waitcnt lgkmcnt(0)
	v_mul_f64 v[56:57], v[1:2], v[53:54]
	v_mul_f64 v[53:54], v[3:4], v[53:54]
	v_fma_f64 v[3:4], v[3:4], v[51:52], -v[56:57]
	v_fma_f64 v[1:2], v[1:2], v[51:52], v[53:54]
	buffer_store_dword v4, off, s[0:3], 0 offset:164
	buffer_store_dword v3, off, s[0:3], 0 offset:160
	;; [unrolled: 1-line block ×4, first 2 shown]
.LBB85_51:
	s_or_b32 exec_lo, exec_lo, s4
	v_mov_b32_e32 v4, s23
	s_waitcnt_vscnt null, 0x0
	s_barrier
	buffer_gl0_inv
	s_mov_b32 s4, exec_lo
	s_clause 0x3
	buffer_load_dword v1, v4, s[0:3], 0 offen
	buffer_load_dword v2, v4, s[0:3], 0 offen offset:4
	buffer_load_dword v3, v4, s[0:3], 0 offen offset:8
	;; [unrolled: 1-line block ×3, first 2 shown]
	s_waitcnt vmcnt(0)
	ds_write_b128 v49, v[1:4]
	s_waitcnt lgkmcnt(0)
	s_barrier
	buffer_gl0_inv
	v_cmpx_gt_u32_e32 10, v0
	s_cbranch_execz .LBB85_55
; %bb.52:
	v_mov_b32_e32 v1, 0
	v_mov_b32_e32 v3, 0
	v_add_nc_u32_e32 v51, -1, v0
	v_add_nc_u32_e32 v52, 0x160, v55
	v_mov_b32_e32 v2, 0
	v_mov_b32_e32 v4, 0
	v_add_nc_u32_e32 v53, 16, v55
	s_mov_b32 s5, 0
	.p2align	6
.LBB85_53:                              ; =>This Inner Loop Header: Depth=1
	s_clause 0x3
	buffer_load_dword v60, v53, s[0:3], 0 offen offset:8
	buffer_load_dword v61, v53, s[0:3], 0 offen offset:12
	buffer_load_dword v62, v53, s[0:3], 0 offen
	buffer_load_dword v63, v53, s[0:3], 0 offen offset:4
	ds_read_b128 v[56:59], v52
	v_add_nc_u32_e32 v51, 1, v51
	v_add_nc_u32_e32 v52, 16, v52
	;; [unrolled: 1-line block ×3, first 2 shown]
	v_cmp_lt_u32_e32 vcc_lo, 8, v51
	s_or_b32 s5, vcc_lo, s5
	s_waitcnt vmcnt(2) lgkmcnt(0)
	v_mul_f64 v[64:65], v[58:59], v[60:61]
	v_mul_f64 v[60:61], v[56:57], v[60:61]
	s_waitcnt vmcnt(0)
	v_fma_f64 v[56:57], v[56:57], v[62:63], -v[64:65]
	v_fma_f64 v[58:59], v[58:59], v[62:63], v[60:61]
	v_add_f64 v[3:4], v[3:4], v[56:57]
	v_add_f64 v[1:2], v[1:2], v[58:59]
	s_andn2_b32 exec_lo, exec_lo, s5
	s_cbranch_execnz .LBB85_53
; %bb.54:
	s_or_b32 exec_lo, exec_lo, s5
	v_mov_b32_e32 v51, 0
	ds_read_b128 v[51:54], v51 offset:160
	s_waitcnt lgkmcnt(0)
	v_mul_f64 v[56:57], v[1:2], v[53:54]
	v_mul_f64 v[53:54], v[3:4], v[53:54]
	v_fma_f64 v[3:4], v[3:4], v[51:52], -v[56:57]
	v_fma_f64 v[1:2], v[1:2], v[51:52], v[53:54]
	buffer_store_dword v4, off, s[0:3], 0 offset:180
	buffer_store_dword v3, off, s[0:3], 0 offset:176
	;; [unrolled: 1-line block ×4, first 2 shown]
.LBB85_55:
	s_or_b32 exec_lo, exec_lo, s4
	v_mov_b32_e32 v4, s22
	s_waitcnt_vscnt null, 0x0
	s_barrier
	buffer_gl0_inv
	s_mov_b32 s4, exec_lo
	s_clause 0x3
	buffer_load_dword v1, v4, s[0:3], 0 offen
	buffer_load_dword v2, v4, s[0:3], 0 offen offset:4
	buffer_load_dword v3, v4, s[0:3], 0 offen offset:8
	;; [unrolled: 1-line block ×3, first 2 shown]
	s_waitcnt vmcnt(0)
	ds_write_b128 v49, v[1:4]
	s_waitcnt lgkmcnt(0)
	s_barrier
	buffer_gl0_inv
	v_cmpx_gt_u32_e32 11, v0
	s_cbranch_execz .LBB85_59
; %bb.56:
	v_mov_b32_e32 v1, 0
	v_mov_b32_e32 v3, 0
	v_add_nc_u32_e32 v51, -1, v0
	v_add_nc_u32_e32 v52, 0x160, v55
	v_mov_b32_e32 v2, 0
	v_mov_b32_e32 v4, 0
	v_add_nc_u32_e32 v53, 16, v55
	s_mov_b32 s5, 0
	.p2align	6
.LBB85_57:                              ; =>This Inner Loop Header: Depth=1
	s_clause 0x3
	buffer_load_dword v60, v53, s[0:3], 0 offen offset:8
	buffer_load_dword v61, v53, s[0:3], 0 offen offset:12
	buffer_load_dword v62, v53, s[0:3], 0 offen
	buffer_load_dword v63, v53, s[0:3], 0 offen offset:4
	ds_read_b128 v[56:59], v52
	v_add_nc_u32_e32 v51, 1, v51
	v_add_nc_u32_e32 v52, 16, v52
	;; [unrolled: 1-line block ×3, first 2 shown]
	v_cmp_lt_u32_e32 vcc_lo, 9, v51
	s_or_b32 s5, vcc_lo, s5
	s_waitcnt vmcnt(2) lgkmcnt(0)
	v_mul_f64 v[64:65], v[58:59], v[60:61]
	v_mul_f64 v[60:61], v[56:57], v[60:61]
	s_waitcnt vmcnt(0)
	v_fma_f64 v[56:57], v[56:57], v[62:63], -v[64:65]
	v_fma_f64 v[58:59], v[58:59], v[62:63], v[60:61]
	v_add_f64 v[3:4], v[3:4], v[56:57]
	v_add_f64 v[1:2], v[1:2], v[58:59]
	s_andn2_b32 exec_lo, exec_lo, s5
	s_cbranch_execnz .LBB85_57
; %bb.58:
	s_or_b32 exec_lo, exec_lo, s5
	v_mov_b32_e32 v51, 0
	ds_read_b128 v[51:54], v51 offset:176
	s_waitcnt lgkmcnt(0)
	v_mul_f64 v[56:57], v[1:2], v[53:54]
	v_mul_f64 v[53:54], v[3:4], v[53:54]
	v_fma_f64 v[3:4], v[3:4], v[51:52], -v[56:57]
	v_fma_f64 v[1:2], v[1:2], v[51:52], v[53:54]
	buffer_store_dword v4, off, s[0:3], 0 offset:196
	buffer_store_dword v3, off, s[0:3], 0 offset:192
	;; [unrolled: 1-line block ×4, first 2 shown]
.LBB85_59:
	s_or_b32 exec_lo, exec_lo, s4
	v_mov_b32_e32 v4, s21
	s_waitcnt_vscnt null, 0x0
	s_barrier
	buffer_gl0_inv
	s_mov_b32 s4, exec_lo
	s_clause 0x3
	buffer_load_dword v1, v4, s[0:3], 0 offen
	buffer_load_dword v2, v4, s[0:3], 0 offen offset:4
	buffer_load_dword v3, v4, s[0:3], 0 offen offset:8
	;; [unrolled: 1-line block ×3, first 2 shown]
	s_waitcnt vmcnt(0)
	ds_write_b128 v49, v[1:4]
	s_waitcnt lgkmcnt(0)
	s_barrier
	buffer_gl0_inv
	v_cmpx_gt_u32_e32 12, v0
	s_cbranch_execz .LBB85_63
; %bb.60:
	v_mov_b32_e32 v1, 0
	v_mov_b32_e32 v3, 0
	v_add_nc_u32_e32 v51, -1, v0
	v_add_nc_u32_e32 v52, 0x160, v55
	v_mov_b32_e32 v2, 0
	v_mov_b32_e32 v4, 0
	v_add_nc_u32_e32 v53, 16, v55
	s_mov_b32 s5, 0
	.p2align	6
.LBB85_61:                              ; =>This Inner Loop Header: Depth=1
	s_clause 0x3
	buffer_load_dword v60, v53, s[0:3], 0 offen offset:8
	buffer_load_dword v61, v53, s[0:3], 0 offen offset:12
	buffer_load_dword v62, v53, s[0:3], 0 offen
	buffer_load_dword v63, v53, s[0:3], 0 offen offset:4
	ds_read_b128 v[56:59], v52
	v_add_nc_u32_e32 v51, 1, v51
	v_add_nc_u32_e32 v52, 16, v52
	;; [unrolled: 1-line block ×3, first 2 shown]
	v_cmp_lt_u32_e32 vcc_lo, 10, v51
	s_or_b32 s5, vcc_lo, s5
	s_waitcnt vmcnt(2) lgkmcnt(0)
	v_mul_f64 v[64:65], v[58:59], v[60:61]
	v_mul_f64 v[60:61], v[56:57], v[60:61]
	s_waitcnt vmcnt(0)
	v_fma_f64 v[56:57], v[56:57], v[62:63], -v[64:65]
	v_fma_f64 v[58:59], v[58:59], v[62:63], v[60:61]
	v_add_f64 v[3:4], v[3:4], v[56:57]
	v_add_f64 v[1:2], v[1:2], v[58:59]
	s_andn2_b32 exec_lo, exec_lo, s5
	s_cbranch_execnz .LBB85_61
; %bb.62:
	s_or_b32 exec_lo, exec_lo, s5
	v_mov_b32_e32 v51, 0
	ds_read_b128 v[51:54], v51 offset:192
	s_waitcnt lgkmcnt(0)
	v_mul_f64 v[56:57], v[1:2], v[53:54]
	v_mul_f64 v[53:54], v[3:4], v[53:54]
	v_fma_f64 v[3:4], v[3:4], v[51:52], -v[56:57]
	v_fma_f64 v[1:2], v[1:2], v[51:52], v[53:54]
	buffer_store_dword v4, off, s[0:3], 0 offset:212
	buffer_store_dword v3, off, s[0:3], 0 offset:208
	;; [unrolled: 1-line block ×4, first 2 shown]
.LBB85_63:
	s_or_b32 exec_lo, exec_lo, s4
	v_mov_b32_e32 v4, s20
	s_waitcnt_vscnt null, 0x0
	s_barrier
	buffer_gl0_inv
	s_mov_b32 s4, exec_lo
	s_clause 0x3
	buffer_load_dword v1, v4, s[0:3], 0 offen
	buffer_load_dword v2, v4, s[0:3], 0 offen offset:4
	buffer_load_dword v3, v4, s[0:3], 0 offen offset:8
	;; [unrolled: 1-line block ×3, first 2 shown]
	s_waitcnt vmcnt(0)
	ds_write_b128 v49, v[1:4]
	s_waitcnt lgkmcnt(0)
	s_barrier
	buffer_gl0_inv
	v_cmpx_gt_u32_e32 13, v0
	s_cbranch_execz .LBB85_67
; %bb.64:
	v_mov_b32_e32 v1, 0
	v_mov_b32_e32 v3, 0
	v_add_nc_u32_e32 v51, -1, v0
	v_add_nc_u32_e32 v52, 0x160, v55
	v_mov_b32_e32 v2, 0
	v_mov_b32_e32 v4, 0
	v_add_nc_u32_e32 v53, 16, v55
	s_mov_b32 s5, 0
	.p2align	6
.LBB85_65:                              ; =>This Inner Loop Header: Depth=1
	s_clause 0x3
	buffer_load_dword v60, v53, s[0:3], 0 offen offset:8
	buffer_load_dword v61, v53, s[0:3], 0 offen offset:12
	buffer_load_dword v62, v53, s[0:3], 0 offen
	buffer_load_dword v63, v53, s[0:3], 0 offen offset:4
	ds_read_b128 v[56:59], v52
	v_add_nc_u32_e32 v51, 1, v51
	v_add_nc_u32_e32 v52, 16, v52
	;; [unrolled: 1-line block ×3, first 2 shown]
	v_cmp_lt_u32_e32 vcc_lo, 11, v51
	s_or_b32 s5, vcc_lo, s5
	s_waitcnt vmcnt(2) lgkmcnt(0)
	v_mul_f64 v[64:65], v[58:59], v[60:61]
	v_mul_f64 v[60:61], v[56:57], v[60:61]
	s_waitcnt vmcnt(0)
	v_fma_f64 v[56:57], v[56:57], v[62:63], -v[64:65]
	v_fma_f64 v[58:59], v[58:59], v[62:63], v[60:61]
	v_add_f64 v[3:4], v[3:4], v[56:57]
	v_add_f64 v[1:2], v[1:2], v[58:59]
	s_andn2_b32 exec_lo, exec_lo, s5
	s_cbranch_execnz .LBB85_65
; %bb.66:
	s_or_b32 exec_lo, exec_lo, s5
	v_mov_b32_e32 v51, 0
	ds_read_b128 v[51:54], v51 offset:208
	s_waitcnt lgkmcnt(0)
	v_mul_f64 v[56:57], v[1:2], v[53:54]
	v_mul_f64 v[53:54], v[3:4], v[53:54]
	v_fma_f64 v[3:4], v[3:4], v[51:52], -v[56:57]
	v_fma_f64 v[1:2], v[1:2], v[51:52], v[53:54]
	buffer_store_dword v4, off, s[0:3], 0 offset:228
	buffer_store_dword v3, off, s[0:3], 0 offset:224
	;; [unrolled: 1-line block ×4, first 2 shown]
.LBB85_67:
	s_or_b32 exec_lo, exec_lo, s4
	v_mov_b32_e32 v4, s19
	s_waitcnt_vscnt null, 0x0
	s_barrier
	buffer_gl0_inv
	s_mov_b32 s4, exec_lo
	s_clause 0x3
	buffer_load_dword v1, v4, s[0:3], 0 offen
	buffer_load_dword v2, v4, s[0:3], 0 offen offset:4
	buffer_load_dword v3, v4, s[0:3], 0 offen offset:8
	;; [unrolled: 1-line block ×3, first 2 shown]
	s_waitcnt vmcnt(0)
	ds_write_b128 v49, v[1:4]
	s_waitcnt lgkmcnt(0)
	s_barrier
	buffer_gl0_inv
	v_cmpx_gt_u32_e32 14, v0
	s_cbranch_execz .LBB85_71
; %bb.68:
	v_mov_b32_e32 v1, 0
	v_mov_b32_e32 v3, 0
	v_add_nc_u32_e32 v51, -1, v0
	v_add_nc_u32_e32 v52, 0x160, v55
	v_mov_b32_e32 v2, 0
	v_mov_b32_e32 v4, 0
	v_add_nc_u32_e32 v53, 16, v55
	s_mov_b32 s5, 0
	.p2align	6
.LBB85_69:                              ; =>This Inner Loop Header: Depth=1
	s_clause 0x3
	buffer_load_dword v60, v53, s[0:3], 0 offen offset:8
	buffer_load_dword v61, v53, s[0:3], 0 offen offset:12
	buffer_load_dword v62, v53, s[0:3], 0 offen
	buffer_load_dword v63, v53, s[0:3], 0 offen offset:4
	ds_read_b128 v[56:59], v52
	v_add_nc_u32_e32 v51, 1, v51
	v_add_nc_u32_e32 v52, 16, v52
	;; [unrolled: 1-line block ×3, first 2 shown]
	v_cmp_lt_u32_e32 vcc_lo, 12, v51
	s_or_b32 s5, vcc_lo, s5
	s_waitcnt vmcnt(2) lgkmcnt(0)
	v_mul_f64 v[64:65], v[58:59], v[60:61]
	v_mul_f64 v[60:61], v[56:57], v[60:61]
	s_waitcnt vmcnt(0)
	v_fma_f64 v[56:57], v[56:57], v[62:63], -v[64:65]
	v_fma_f64 v[58:59], v[58:59], v[62:63], v[60:61]
	v_add_f64 v[3:4], v[3:4], v[56:57]
	v_add_f64 v[1:2], v[1:2], v[58:59]
	s_andn2_b32 exec_lo, exec_lo, s5
	s_cbranch_execnz .LBB85_69
; %bb.70:
	s_or_b32 exec_lo, exec_lo, s5
	v_mov_b32_e32 v51, 0
	ds_read_b128 v[51:54], v51 offset:224
	s_waitcnt lgkmcnt(0)
	v_mul_f64 v[56:57], v[1:2], v[53:54]
	v_mul_f64 v[53:54], v[3:4], v[53:54]
	v_fma_f64 v[3:4], v[3:4], v[51:52], -v[56:57]
	v_fma_f64 v[1:2], v[1:2], v[51:52], v[53:54]
	buffer_store_dword v4, off, s[0:3], 0 offset:244
	buffer_store_dword v3, off, s[0:3], 0 offset:240
	buffer_store_dword v2, off, s[0:3], 0 offset:252
	buffer_store_dword v1, off, s[0:3], 0 offset:248
.LBB85_71:
	s_or_b32 exec_lo, exec_lo, s4
	v_mov_b32_e32 v4, s18
	s_waitcnt_vscnt null, 0x0
	s_barrier
	buffer_gl0_inv
	s_mov_b32 s4, exec_lo
	s_clause 0x3
	buffer_load_dword v1, v4, s[0:3], 0 offen
	buffer_load_dword v2, v4, s[0:3], 0 offen offset:4
	buffer_load_dword v3, v4, s[0:3], 0 offen offset:8
	;; [unrolled: 1-line block ×3, first 2 shown]
	s_waitcnt vmcnt(0)
	ds_write_b128 v49, v[1:4]
	s_waitcnt lgkmcnt(0)
	s_barrier
	buffer_gl0_inv
	v_cmpx_gt_u32_e32 15, v0
	s_cbranch_execz .LBB85_75
; %bb.72:
	v_mov_b32_e32 v1, 0
	v_mov_b32_e32 v3, 0
	v_add_nc_u32_e32 v51, -1, v0
	v_add_nc_u32_e32 v52, 0x160, v55
	v_mov_b32_e32 v2, 0
	v_mov_b32_e32 v4, 0
	v_add_nc_u32_e32 v53, 16, v55
	s_mov_b32 s5, 0
	.p2align	6
.LBB85_73:                              ; =>This Inner Loop Header: Depth=1
	s_clause 0x3
	buffer_load_dword v60, v53, s[0:3], 0 offen offset:8
	buffer_load_dword v61, v53, s[0:3], 0 offen offset:12
	buffer_load_dword v62, v53, s[0:3], 0 offen
	buffer_load_dword v63, v53, s[0:3], 0 offen offset:4
	ds_read_b128 v[56:59], v52
	v_add_nc_u32_e32 v51, 1, v51
	v_add_nc_u32_e32 v52, 16, v52
	;; [unrolled: 1-line block ×3, first 2 shown]
	v_cmp_lt_u32_e32 vcc_lo, 13, v51
	s_or_b32 s5, vcc_lo, s5
	s_waitcnt vmcnt(2) lgkmcnt(0)
	v_mul_f64 v[64:65], v[58:59], v[60:61]
	v_mul_f64 v[60:61], v[56:57], v[60:61]
	s_waitcnt vmcnt(0)
	v_fma_f64 v[56:57], v[56:57], v[62:63], -v[64:65]
	v_fma_f64 v[58:59], v[58:59], v[62:63], v[60:61]
	v_add_f64 v[3:4], v[3:4], v[56:57]
	v_add_f64 v[1:2], v[1:2], v[58:59]
	s_andn2_b32 exec_lo, exec_lo, s5
	s_cbranch_execnz .LBB85_73
; %bb.74:
	s_or_b32 exec_lo, exec_lo, s5
	v_mov_b32_e32 v51, 0
	ds_read_b128 v[51:54], v51 offset:240
	s_waitcnt lgkmcnt(0)
	v_mul_f64 v[56:57], v[1:2], v[53:54]
	v_mul_f64 v[53:54], v[3:4], v[53:54]
	v_fma_f64 v[3:4], v[3:4], v[51:52], -v[56:57]
	v_fma_f64 v[1:2], v[1:2], v[51:52], v[53:54]
	buffer_store_dword v4, off, s[0:3], 0 offset:260
	buffer_store_dword v3, off, s[0:3], 0 offset:256
	;; [unrolled: 1-line block ×4, first 2 shown]
.LBB85_75:
	s_or_b32 exec_lo, exec_lo, s4
	v_mov_b32_e32 v4, s17
	s_waitcnt_vscnt null, 0x0
	s_barrier
	buffer_gl0_inv
	s_mov_b32 s4, exec_lo
	s_clause 0x3
	buffer_load_dword v1, v4, s[0:3], 0 offen
	buffer_load_dword v2, v4, s[0:3], 0 offen offset:4
	buffer_load_dword v3, v4, s[0:3], 0 offen offset:8
	;; [unrolled: 1-line block ×3, first 2 shown]
	s_waitcnt vmcnt(0)
	ds_write_b128 v49, v[1:4]
	s_waitcnt lgkmcnt(0)
	s_barrier
	buffer_gl0_inv
	v_cmpx_gt_u32_e32 16, v0
	s_cbranch_execz .LBB85_79
; %bb.76:
	v_mov_b32_e32 v1, 0
	v_mov_b32_e32 v3, 0
	v_add_nc_u32_e32 v51, -1, v0
	v_add_nc_u32_e32 v52, 0x160, v55
	v_mov_b32_e32 v2, 0
	v_mov_b32_e32 v4, 0
	v_add_nc_u32_e32 v53, 16, v55
	s_mov_b32 s5, 0
	.p2align	6
.LBB85_77:                              ; =>This Inner Loop Header: Depth=1
	s_clause 0x3
	buffer_load_dword v60, v53, s[0:3], 0 offen offset:8
	buffer_load_dword v61, v53, s[0:3], 0 offen offset:12
	buffer_load_dword v62, v53, s[0:3], 0 offen
	buffer_load_dword v63, v53, s[0:3], 0 offen offset:4
	ds_read_b128 v[56:59], v52
	v_add_nc_u32_e32 v51, 1, v51
	v_add_nc_u32_e32 v52, 16, v52
	;; [unrolled: 1-line block ×3, first 2 shown]
	v_cmp_lt_u32_e32 vcc_lo, 14, v51
	s_or_b32 s5, vcc_lo, s5
	s_waitcnt vmcnt(2) lgkmcnt(0)
	v_mul_f64 v[64:65], v[58:59], v[60:61]
	v_mul_f64 v[60:61], v[56:57], v[60:61]
	s_waitcnt vmcnt(0)
	v_fma_f64 v[56:57], v[56:57], v[62:63], -v[64:65]
	v_fma_f64 v[58:59], v[58:59], v[62:63], v[60:61]
	v_add_f64 v[3:4], v[3:4], v[56:57]
	v_add_f64 v[1:2], v[1:2], v[58:59]
	s_andn2_b32 exec_lo, exec_lo, s5
	s_cbranch_execnz .LBB85_77
; %bb.78:
	s_or_b32 exec_lo, exec_lo, s5
	v_mov_b32_e32 v51, 0
	ds_read_b128 v[51:54], v51 offset:256
	s_waitcnt lgkmcnt(0)
	v_mul_f64 v[56:57], v[1:2], v[53:54]
	v_mul_f64 v[53:54], v[3:4], v[53:54]
	v_fma_f64 v[3:4], v[3:4], v[51:52], -v[56:57]
	v_fma_f64 v[1:2], v[1:2], v[51:52], v[53:54]
	buffer_store_dword v4, off, s[0:3], 0 offset:276
	buffer_store_dword v3, off, s[0:3], 0 offset:272
	;; [unrolled: 1-line block ×4, first 2 shown]
.LBB85_79:
	s_or_b32 exec_lo, exec_lo, s4
	v_mov_b32_e32 v4, s16
	s_waitcnt_vscnt null, 0x0
	s_barrier
	buffer_gl0_inv
	s_mov_b32 s4, exec_lo
	s_clause 0x3
	buffer_load_dword v1, v4, s[0:3], 0 offen
	buffer_load_dword v2, v4, s[0:3], 0 offen offset:4
	buffer_load_dword v3, v4, s[0:3], 0 offen offset:8
	;; [unrolled: 1-line block ×3, first 2 shown]
	s_waitcnt vmcnt(0)
	ds_write_b128 v49, v[1:4]
	s_waitcnt lgkmcnt(0)
	s_barrier
	buffer_gl0_inv
	v_cmpx_gt_u32_e32 17, v0
	s_cbranch_execz .LBB85_83
; %bb.80:
	v_mov_b32_e32 v1, 0
	v_mov_b32_e32 v3, 0
	v_add_nc_u32_e32 v51, -1, v0
	v_add_nc_u32_e32 v52, 0x160, v55
	v_mov_b32_e32 v2, 0
	v_mov_b32_e32 v4, 0
	v_add_nc_u32_e32 v53, 16, v55
	s_mov_b32 s5, 0
	.p2align	6
.LBB85_81:                              ; =>This Inner Loop Header: Depth=1
	s_clause 0x3
	buffer_load_dword v60, v53, s[0:3], 0 offen offset:8
	buffer_load_dword v61, v53, s[0:3], 0 offen offset:12
	buffer_load_dword v62, v53, s[0:3], 0 offen
	buffer_load_dword v63, v53, s[0:3], 0 offen offset:4
	ds_read_b128 v[56:59], v52
	v_add_nc_u32_e32 v51, 1, v51
	v_add_nc_u32_e32 v52, 16, v52
	;; [unrolled: 1-line block ×3, first 2 shown]
	v_cmp_lt_u32_e32 vcc_lo, 15, v51
	s_or_b32 s5, vcc_lo, s5
	s_waitcnt vmcnt(2) lgkmcnt(0)
	v_mul_f64 v[64:65], v[58:59], v[60:61]
	v_mul_f64 v[60:61], v[56:57], v[60:61]
	s_waitcnt vmcnt(0)
	v_fma_f64 v[56:57], v[56:57], v[62:63], -v[64:65]
	v_fma_f64 v[58:59], v[58:59], v[62:63], v[60:61]
	v_add_f64 v[3:4], v[3:4], v[56:57]
	v_add_f64 v[1:2], v[1:2], v[58:59]
	s_andn2_b32 exec_lo, exec_lo, s5
	s_cbranch_execnz .LBB85_81
; %bb.82:
	s_or_b32 exec_lo, exec_lo, s5
	v_mov_b32_e32 v51, 0
	ds_read_b128 v[51:54], v51 offset:272
	s_waitcnt lgkmcnt(0)
	v_mul_f64 v[56:57], v[1:2], v[53:54]
	v_mul_f64 v[53:54], v[3:4], v[53:54]
	v_fma_f64 v[3:4], v[3:4], v[51:52], -v[56:57]
	v_fma_f64 v[1:2], v[1:2], v[51:52], v[53:54]
	buffer_store_dword v4, off, s[0:3], 0 offset:292
	buffer_store_dword v3, off, s[0:3], 0 offset:288
	;; [unrolled: 1-line block ×4, first 2 shown]
.LBB85_83:
	s_or_b32 exec_lo, exec_lo, s4
	v_mov_b32_e32 v4, s15
	s_waitcnt_vscnt null, 0x0
	s_barrier
	buffer_gl0_inv
	s_mov_b32 s4, exec_lo
	s_clause 0x3
	buffer_load_dword v1, v4, s[0:3], 0 offen
	buffer_load_dword v2, v4, s[0:3], 0 offen offset:4
	buffer_load_dword v3, v4, s[0:3], 0 offen offset:8
	;; [unrolled: 1-line block ×3, first 2 shown]
	s_waitcnt vmcnt(0)
	ds_write_b128 v49, v[1:4]
	s_waitcnt lgkmcnt(0)
	s_barrier
	buffer_gl0_inv
	v_cmpx_gt_u32_e32 18, v0
	s_cbranch_execz .LBB85_87
; %bb.84:
	v_mov_b32_e32 v1, 0
	v_mov_b32_e32 v3, 0
	v_add_nc_u32_e32 v51, -1, v0
	v_add_nc_u32_e32 v52, 0x160, v55
	v_mov_b32_e32 v2, 0
	v_mov_b32_e32 v4, 0
	v_add_nc_u32_e32 v53, 16, v55
	s_mov_b32 s5, 0
	.p2align	6
.LBB85_85:                              ; =>This Inner Loop Header: Depth=1
	s_clause 0x3
	buffer_load_dword v60, v53, s[0:3], 0 offen offset:8
	buffer_load_dword v61, v53, s[0:3], 0 offen offset:12
	buffer_load_dword v62, v53, s[0:3], 0 offen
	buffer_load_dword v63, v53, s[0:3], 0 offen offset:4
	ds_read_b128 v[56:59], v52
	v_add_nc_u32_e32 v51, 1, v51
	v_add_nc_u32_e32 v52, 16, v52
	;; [unrolled: 1-line block ×3, first 2 shown]
	v_cmp_lt_u32_e32 vcc_lo, 16, v51
	s_or_b32 s5, vcc_lo, s5
	s_waitcnt vmcnt(2) lgkmcnt(0)
	v_mul_f64 v[64:65], v[58:59], v[60:61]
	v_mul_f64 v[60:61], v[56:57], v[60:61]
	s_waitcnt vmcnt(0)
	v_fma_f64 v[56:57], v[56:57], v[62:63], -v[64:65]
	v_fma_f64 v[58:59], v[58:59], v[62:63], v[60:61]
	v_add_f64 v[3:4], v[3:4], v[56:57]
	v_add_f64 v[1:2], v[1:2], v[58:59]
	s_andn2_b32 exec_lo, exec_lo, s5
	s_cbranch_execnz .LBB85_85
; %bb.86:
	s_or_b32 exec_lo, exec_lo, s5
	v_mov_b32_e32 v51, 0
	ds_read_b128 v[51:54], v51 offset:288
	s_waitcnt lgkmcnt(0)
	v_mul_f64 v[56:57], v[1:2], v[53:54]
	v_mul_f64 v[53:54], v[3:4], v[53:54]
	v_fma_f64 v[3:4], v[3:4], v[51:52], -v[56:57]
	v_fma_f64 v[1:2], v[1:2], v[51:52], v[53:54]
	buffer_store_dword v4, off, s[0:3], 0 offset:308
	buffer_store_dword v3, off, s[0:3], 0 offset:304
	;; [unrolled: 1-line block ×4, first 2 shown]
.LBB85_87:
	s_or_b32 exec_lo, exec_lo, s4
	v_mov_b32_e32 v4, s14
	s_waitcnt_vscnt null, 0x0
	s_barrier
	buffer_gl0_inv
	s_mov_b32 s4, exec_lo
	s_clause 0x3
	buffer_load_dword v1, v4, s[0:3], 0 offen
	buffer_load_dword v2, v4, s[0:3], 0 offen offset:4
	buffer_load_dword v3, v4, s[0:3], 0 offen offset:8
	;; [unrolled: 1-line block ×3, first 2 shown]
	s_waitcnt vmcnt(0)
	ds_write_b128 v49, v[1:4]
	s_waitcnt lgkmcnt(0)
	s_barrier
	buffer_gl0_inv
	v_cmpx_gt_u32_e32 19, v0
	s_cbranch_execz .LBB85_91
; %bb.88:
	v_mov_b32_e32 v1, 0
	v_mov_b32_e32 v3, 0
	v_add_nc_u32_e32 v51, -1, v0
	v_add_nc_u32_e32 v52, 0x160, v55
	v_mov_b32_e32 v2, 0
	v_mov_b32_e32 v4, 0
	v_add_nc_u32_e32 v53, 16, v55
	s_mov_b32 s5, 0
	.p2align	6
.LBB85_89:                              ; =>This Inner Loop Header: Depth=1
	s_clause 0x3
	buffer_load_dword v60, v53, s[0:3], 0 offen offset:8
	buffer_load_dword v61, v53, s[0:3], 0 offen offset:12
	buffer_load_dword v62, v53, s[0:3], 0 offen
	buffer_load_dword v63, v53, s[0:3], 0 offen offset:4
	ds_read_b128 v[56:59], v52
	v_add_nc_u32_e32 v51, 1, v51
	v_add_nc_u32_e32 v52, 16, v52
	;; [unrolled: 1-line block ×3, first 2 shown]
	v_cmp_lt_u32_e32 vcc_lo, 17, v51
	s_or_b32 s5, vcc_lo, s5
	s_waitcnt vmcnt(2) lgkmcnt(0)
	v_mul_f64 v[64:65], v[58:59], v[60:61]
	v_mul_f64 v[60:61], v[56:57], v[60:61]
	s_waitcnt vmcnt(0)
	v_fma_f64 v[56:57], v[56:57], v[62:63], -v[64:65]
	v_fma_f64 v[58:59], v[58:59], v[62:63], v[60:61]
	v_add_f64 v[3:4], v[3:4], v[56:57]
	v_add_f64 v[1:2], v[1:2], v[58:59]
	s_andn2_b32 exec_lo, exec_lo, s5
	s_cbranch_execnz .LBB85_89
; %bb.90:
	s_or_b32 exec_lo, exec_lo, s5
	v_mov_b32_e32 v51, 0
	ds_read_b128 v[51:54], v51 offset:304
	s_waitcnt lgkmcnt(0)
	v_mul_f64 v[56:57], v[1:2], v[53:54]
	v_mul_f64 v[53:54], v[3:4], v[53:54]
	v_fma_f64 v[3:4], v[3:4], v[51:52], -v[56:57]
	v_fma_f64 v[1:2], v[1:2], v[51:52], v[53:54]
	buffer_store_dword v4, off, s[0:3], 0 offset:324
	buffer_store_dword v3, off, s[0:3], 0 offset:320
	buffer_store_dword v2, off, s[0:3], 0 offset:332
	buffer_store_dword v1, off, s[0:3], 0 offset:328
.LBB85_91:
	s_or_b32 exec_lo, exec_lo, s4
	v_mov_b32_e32 v4, s9
	s_waitcnt_vscnt null, 0x0
	s_barrier
	buffer_gl0_inv
	s_mov_b32 s4, exec_lo
	s_clause 0x3
	buffer_load_dword v1, v4, s[0:3], 0 offen
	buffer_load_dword v2, v4, s[0:3], 0 offen offset:4
	buffer_load_dword v3, v4, s[0:3], 0 offen offset:8
	;; [unrolled: 1-line block ×3, first 2 shown]
	s_waitcnt vmcnt(0)
	ds_write_b128 v49, v[1:4]
	s_waitcnt lgkmcnt(0)
	s_barrier
	buffer_gl0_inv
	v_cmpx_gt_u32_e32 20, v0
	s_cbranch_execz .LBB85_95
; %bb.92:
	v_mov_b32_e32 v1, 0
	v_mov_b32_e32 v3, 0
	v_add_nc_u32_e32 v51, -1, v0
	v_add_nc_u32_e32 v52, 0x160, v55
	v_mov_b32_e32 v2, 0
	v_mov_b32_e32 v4, 0
	v_add_nc_u32_e32 v53, 16, v55
	s_mov_b32 s5, 0
	.p2align	6
.LBB85_93:                              ; =>This Inner Loop Header: Depth=1
	s_clause 0x3
	buffer_load_dword v60, v53, s[0:3], 0 offen offset:8
	buffer_load_dword v61, v53, s[0:3], 0 offen offset:12
	buffer_load_dword v62, v53, s[0:3], 0 offen
	buffer_load_dword v63, v53, s[0:3], 0 offen offset:4
	ds_read_b128 v[56:59], v52
	v_add_nc_u32_e32 v51, 1, v51
	v_add_nc_u32_e32 v52, 16, v52
	;; [unrolled: 1-line block ×3, first 2 shown]
	v_cmp_lt_u32_e32 vcc_lo, 18, v51
	s_or_b32 s5, vcc_lo, s5
	s_waitcnt vmcnt(2) lgkmcnt(0)
	v_mul_f64 v[64:65], v[58:59], v[60:61]
	v_mul_f64 v[60:61], v[56:57], v[60:61]
	s_waitcnt vmcnt(0)
	v_fma_f64 v[56:57], v[56:57], v[62:63], -v[64:65]
	v_fma_f64 v[58:59], v[58:59], v[62:63], v[60:61]
	v_add_f64 v[3:4], v[3:4], v[56:57]
	v_add_f64 v[1:2], v[1:2], v[58:59]
	s_andn2_b32 exec_lo, exec_lo, s5
	s_cbranch_execnz .LBB85_93
; %bb.94:
	s_or_b32 exec_lo, exec_lo, s5
	v_mov_b32_e32 v51, 0
	ds_read_b128 v[51:54], v51 offset:320
	s_waitcnt lgkmcnt(0)
	v_mul_f64 v[56:57], v[1:2], v[53:54]
	v_mul_f64 v[53:54], v[3:4], v[53:54]
	v_fma_f64 v[3:4], v[3:4], v[51:52], -v[56:57]
	v_fma_f64 v[1:2], v[1:2], v[51:52], v[53:54]
	buffer_store_dword v4, off, s[0:3], 0 offset:340
	buffer_store_dword v3, off, s[0:3], 0 offset:336
	;; [unrolled: 1-line block ×4, first 2 shown]
.LBB85_95:
	s_or_b32 exec_lo, exec_lo, s4
	v_mov_b32_e32 v4, s8
	s_waitcnt_vscnt null, 0x0
	s_barrier
	buffer_gl0_inv
	s_mov_b32 s4, exec_lo
	s_clause 0x3
	buffer_load_dword v1, v4, s[0:3], 0 offen
	buffer_load_dword v2, v4, s[0:3], 0 offen offset:4
	buffer_load_dword v3, v4, s[0:3], 0 offen offset:8
	;; [unrolled: 1-line block ×3, first 2 shown]
	s_waitcnt vmcnt(0)
	ds_write_b128 v49, v[1:4]
	s_waitcnt lgkmcnt(0)
	s_barrier
	buffer_gl0_inv
	v_cmpx_ne_u32_e32 21, v0
	s_cbranch_execz .LBB85_99
; %bb.96:
	v_mov_b32_e32 v1, 0
	v_mov_b32_e32 v3, 0
	;; [unrolled: 1-line block ×4, first 2 shown]
	v_add_nc_u32_e32 v51, 16, v55
	s_mov_b32 s5, 0
	.p2align	6
.LBB85_97:                              ; =>This Inner Loop Header: Depth=1
	s_clause 0x3
	buffer_load_dword v56, v51, s[0:3], 0 offen offset:8
	buffer_load_dword v57, v51, s[0:3], 0 offen offset:12
	buffer_load_dword v58, v51, s[0:3], 0 offen
	buffer_load_dword v59, v51, s[0:3], 0 offen offset:4
	ds_read_b128 v[52:55], v49
	v_add_nc_u32_e32 v50, 1, v50
	v_add_nc_u32_e32 v49, 16, v49
	;; [unrolled: 1-line block ×3, first 2 shown]
	v_cmp_lt_u32_e32 vcc_lo, 19, v50
	s_or_b32 s5, vcc_lo, s5
	s_waitcnt vmcnt(2) lgkmcnt(0)
	v_mul_f64 v[60:61], v[54:55], v[56:57]
	v_mul_f64 v[56:57], v[52:53], v[56:57]
	s_waitcnt vmcnt(0)
	v_fma_f64 v[52:53], v[52:53], v[58:59], -v[60:61]
	v_fma_f64 v[54:55], v[54:55], v[58:59], v[56:57]
	v_add_f64 v[3:4], v[3:4], v[52:53]
	v_add_f64 v[1:2], v[1:2], v[54:55]
	s_andn2_b32 exec_lo, exec_lo, s5
	s_cbranch_execnz .LBB85_97
; %bb.98:
	s_or_b32 exec_lo, exec_lo, s5
	v_mov_b32_e32 v49, 0
	ds_read_b128 v[49:52], v49 offset:336
	s_waitcnt lgkmcnt(0)
	v_mul_f64 v[53:54], v[1:2], v[51:52]
	v_mul_f64 v[51:52], v[3:4], v[51:52]
	v_fma_f64 v[3:4], v[3:4], v[49:50], -v[53:54]
	v_fma_f64 v[1:2], v[1:2], v[49:50], v[51:52]
	buffer_store_dword v4, off, s[0:3], 0 offset:356
	buffer_store_dword v3, off, s[0:3], 0 offset:352
	buffer_store_dword v2, off, s[0:3], 0 offset:364
	buffer_store_dword v1, off, s[0:3], 0 offset:360
.LBB85_99:
	s_or_b32 exec_lo, exec_lo, s4
	s_mov_b32 s5, -1
	s_waitcnt_vscnt null, 0x0
	s_barrier
	buffer_gl0_inv
.LBB85_100:
	s_and_b32 vcc_lo, exec_lo, s5
	s_cbranch_vccz .LBB85_102
; %bb.101:
	s_lshl_b64 s[4:5], s[6:7], 2
	v_mov_b32_e32 v1, 0
	s_add_u32 s4, s10, s4
	s_addc_u32 s5, s11, s5
	global_load_dword v1, v1, s[4:5]
	s_waitcnt vmcnt(0)
	v_cmp_ne_u32_e32 vcc_lo, 0, v1
	s_cbranch_vccz .LBB85_103
.LBB85_102:
	s_endpgm
.LBB85_103:
	v_lshl_add_u32 v1, v0, 4, 0x160
	s_mov_b32 s4, exec_lo
	v_cmpx_eq_u32_e32 21, v0
	s_cbranch_execz .LBB85_105
; %bb.104:
	v_mov_b32_e32 v2, s9
	s_clause 0x3
	buffer_load_dword v49, v2, s[0:3], 0 offen
	buffer_load_dword v50, v2, s[0:3], 0 offen offset:4
	buffer_load_dword v51, v2, s[0:3], 0 offen offset:8
	;; [unrolled: 1-line block ×3, first 2 shown]
	v_mov_b32_e32 v2, 0
	buffer_store_dword v2, off, s[0:3], 0 offset:336
	buffer_store_dword v2, off, s[0:3], 0 offset:340
	;; [unrolled: 1-line block ×4, first 2 shown]
	s_waitcnt vmcnt(0)
	ds_write_b128 v1, v[49:52]
.LBB85_105:
	s_or_b32 exec_lo, exec_lo, s4
	s_waitcnt lgkmcnt(0)
	s_waitcnt_vscnt null, 0x0
	s_barrier
	buffer_gl0_inv
	s_clause 0x7
	buffer_load_dword v3, off, s[0:3], 0 offset:360
	buffer_load_dword v4, off, s[0:3], 0 offset:364
	;; [unrolled: 1-line block ×8, first 2 shown]
	v_mov_b32_e32 v2, 0
	s_mov_b32 s4, exec_lo
	ds_read_b128 v[49:52], v2 offset:688
	s_waitcnt vmcnt(6) lgkmcnt(0)
	v_mul_f64 v[59:60], v[51:52], v[3:4]
	v_mul_f64 v[3:4], v[49:50], v[3:4]
	s_waitcnt vmcnt(4)
	v_fma_f64 v[49:50], v[49:50], v[53:54], -v[59:60]
	v_fma_f64 v[3:4], v[51:52], v[53:54], v[3:4]
	v_add_f64 v[49:50], v[49:50], 0
	v_add_f64 v[3:4], v[3:4], 0
	s_waitcnt vmcnt(2)
	v_add_f64 v[49:50], v[55:56], -v[49:50]
	s_waitcnt vmcnt(0)
	v_add_f64 v[3:4], v[57:58], -v[3:4]
	buffer_store_dword v49, off, s[0:3], 0 offset:336
	buffer_store_dword v50, off, s[0:3], 0 offset:340
	;; [unrolled: 1-line block ×4, first 2 shown]
	v_cmpx_lt_u32_e32 19, v0
	s_cbranch_execz .LBB85_107
; %bb.106:
	v_mov_b32_e32 v3, s14
	s_clause 0x3
	buffer_load_dword v49, v3, s[0:3], 0 offen
	buffer_load_dword v50, v3, s[0:3], 0 offen offset:4
	buffer_load_dword v51, v3, s[0:3], 0 offen offset:8
	;; [unrolled: 1-line block ×3, first 2 shown]
	buffer_store_dword v2, off, s[0:3], 0 offset:320
	buffer_store_dword v2, off, s[0:3], 0 offset:324
	;; [unrolled: 1-line block ×4, first 2 shown]
	s_waitcnt vmcnt(0)
	ds_write_b128 v1, v[49:52]
.LBB85_107:
	s_or_b32 exec_lo, exec_lo, s4
	s_waitcnt lgkmcnt(0)
	s_waitcnt_vscnt null, 0x0
	s_barrier
	buffer_gl0_inv
	s_clause 0xb
	buffer_load_dword v3, off, s[0:3], 0 offset:344
	buffer_load_dword v4, off, s[0:3], 0 offset:348
	;; [unrolled: 1-line block ×12, first 2 shown]
	ds_read_b128 v[49:52], v2 offset:672
	ds_read_b128 v[53:56], v2 offset:688
	s_mov_b32 s4, exec_lo
	s_waitcnt vmcnt(10) lgkmcnt(1)
	v_mul_f64 v[67:68], v[51:52], v[3:4]
	v_mul_f64 v[2:3], v[49:50], v[3:4]
	s_waitcnt vmcnt(8) lgkmcnt(0)
	v_mul_f64 v[69:70], v[55:56], v[57:58]
	v_mul_f64 v[57:58], v[53:54], v[57:58]
	s_waitcnt vmcnt(6)
	v_fma_f64 v[49:50], v[49:50], v[59:60], -v[67:68]
	v_fma_f64 v[2:3], v[51:52], v[59:60], v[2:3]
	s_waitcnt vmcnt(4)
	v_fma_f64 v[51:52], v[53:54], v[61:62], -v[69:70]
	v_fma_f64 v[53:54], v[55:56], v[61:62], v[57:58]
	v_add_f64 v[49:50], v[49:50], 0
	v_add_f64 v[2:3], v[2:3], 0
	;; [unrolled: 1-line block ×4, first 2 shown]
	s_waitcnt vmcnt(2)
	v_add_f64 v[49:50], v[63:64], -v[49:50]
	s_waitcnt vmcnt(0)
	v_add_f64 v[2:3], v[65:66], -v[2:3]
	buffer_store_dword v49, off, s[0:3], 0 offset:320
	buffer_store_dword v50, off, s[0:3], 0 offset:324
	;; [unrolled: 1-line block ×4, first 2 shown]
	v_cmpx_lt_u32_e32 18, v0
	s_cbranch_execz .LBB85_109
; %bb.108:
	v_mov_b32_e32 v2, s15
	s_clause 0x3
	buffer_load_dword v49, v2, s[0:3], 0 offen
	buffer_load_dword v50, v2, s[0:3], 0 offen offset:4
	buffer_load_dword v51, v2, s[0:3], 0 offen offset:8
	;; [unrolled: 1-line block ×3, first 2 shown]
	v_mov_b32_e32 v2, 0
	buffer_store_dword v2, off, s[0:3], 0 offset:304
	buffer_store_dword v2, off, s[0:3], 0 offset:308
	buffer_store_dword v2, off, s[0:3], 0 offset:312
	buffer_store_dword v2, off, s[0:3], 0 offset:316
	s_waitcnt vmcnt(0)
	ds_write_b128 v1, v[49:52]
.LBB85_109:
	s_or_b32 exec_lo, exec_lo, s4
	s_waitcnt lgkmcnt(0)
	s_waitcnt_vscnt null, 0x0
	s_barrier
	buffer_gl0_inv
	s_clause 0xf
	buffer_load_dword v3, off, s[0:3], 0 offset:328
	buffer_load_dword v4, off, s[0:3], 0 offset:332
	;; [unrolled: 1-line block ×16, first 2 shown]
	v_mov_b32_e32 v2, 0
	ds_read_b128 v[49:52], v2 offset:656
	ds_read_b128 v[53:56], v2 offset:672
	;; [unrolled: 1-line block ×3, first 2 shown]
	s_mov_b32 s4, exec_lo
	s_waitcnt vmcnt(14) lgkmcnt(2)
	v_mul_f64 v[75:76], v[51:52], v[3:4]
	v_mul_f64 v[3:4], v[49:50], v[3:4]
	s_waitcnt vmcnt(12) lgkmcnt(1)
	v_mul_f64 v[77:78], v[55:56], v[61:62]
	v_mul_f64 v[61:62], v[53:54], v[61:62]
	s_waitcnt vmcnt(10)
	v_fma_f64 v[49:50], v[49:50], v[63:64], -v[75:76]
	v_fma_f64 v[3:4], v[51:52], v[63:64], v[3:4]
	s_waitcnt vmcnt(8) lgkmcnt(0)
	v_mul_f64 v[63:64], v[59:60], v[65:66]
	s_waitcnt vmcnt(6)
	v_fma_f64 v[53:54], v[53:54], v[67:68], -v[77:78]
	v_mul_f64 v[51:52], v[57:58], v[65:66]
	v_fma_f64 v[55:56], v[55:56], v[67:68], v[61:62]
	v_add_f64 v[49:50], v[49:50], 0
	v_add_f64 v[3:4], v[3:4], 0
	s_waitcnt vmcnt(4)
	v_fma_f64 v[57:58], v[57:58], v[69:70], -v[63:64]
	v_fma_f64 v[51:52], v[59:60], v[69:70], v[51:52]
	v_add_f64 v[49:50], v[49:50], v[53:54]
	v_add_f64 v[3:4], v[3:4], v[55:56]
	;; [unrolled: 1-line block ×4, first 2 shown]
	s_waitcnt vmcnt(2)
	v_add_f64 v[49:50], v[71:72], -v[49:50]
	s_waitcnt vmcnt(0)
	v_add_f64 v[3:4], v[73:74], -v[3:4]
	buffer_store_dword v49, off, s[0:3], 0 offset:304
	buffer_store_dword v50, off, s[0:3], 0 offset:308
	;; [unrolled: 1-line block ×4, first 2 shown]
	v_cmpx_lt_u32_e32 17, v0
	s_cbranch_execz .LBB85_111
; %bb.110:
	v_mov_b32_e32 v3, s16
	s_clause 0x3
	buffer_load_dword v49, v3, s[0:3], 0 offen
	buffer_load_dword v50, v3, s[0:3], 0 offen offset:4
	buffer_load_dword v51, v3, s[0:3], 0 offen offset:8
	;; [unrolled: 1-line block ×3, first 2 shown]
	buffer_store_dword v2, off, s[0:3], 0 offset:288
	buffer_store_dword v2, off, s[0:3], 0 offset:292
	;; [unrolled: 1-line block ×4, first 2 shown]
	s_waitcnt vmcnt(0)
	ds_write_b128 v1, v[49:52]
.LBB85_111:
	s_or_b32 exec_lo, exec_lo, s4
	s_waitcnt lgkmcnt(0)
	s_waitcnt_vscnt null, 0x0
	s_barrier
	buffer_gl0_inv
	s_clause 0x13
	buffer_load_dword v3, off, s[0:3], 0 offset:312
	buffer_load_dword v4, off, s[0:3], 0 offset:316
	;; [unrolled: 1-line block ×20, first 2 shown]
	ds_read_b128 v[49:52], v2 offset:640
	ds_read_b128 v[53:56], v2 offset:656
	;; [unrolled: 1-line block ×3, first 2 shown]
	s_mov_b32 s4, exec_lo
	s_waitcnt vmcnt(18) lgkmcnt(2)
	v_mul_f64 v[79:80], v[51:52], v[3:4]
	v_mul_f64 v[3:4], v[49:50], v[3:4]
	s_waitcnt vmcnt(16) lgkmcnt(1)
	v_mul_f64 v[81:82], v[55:56], v[61:62]
	v_mul_f64 v[61:62], v[53:54], v[61:62]
	s_waitcnt vmcnt(14)
	v_fma_f64 v[79:80], v[49:50], v[63:64], -v[79:80]
	v_fma_f64 v[3:4], v[51:52], v[63:64], v[3:4]
	ds_read_b128 v[49:52], v2 offset:688
	s_waitcnt vmcnt(12) lgkmcnt(1)
	v_mul_f64 v[63:64], v[57:58], v[65:66]
	v_mul_f64 v[65:66], v[59:60], v[65:66]
	s_waitcnt vmcnt(10)
	v_fma_f64 v[53:54], v[53:54], v[67:68], -v[81:82]
	v_fma_f64 v[55:56], v[55:56], v[67:68], v[61:62]
	s_waitcnt vmcnt(8) lgkmcnt(0)
	v_mul_f64 v[67:68], v[51:52], v[69:70]
	v_add_f64 v[79:80], v[79:80], 0
	v_add_f64 v[2:3], v[3:4], 0
	v_mul_f64 v[61:62], v[49:50], v[69:70]
	s_waitcnt vmcnt(6)
	v_fma_f64 v[57:58], v[57:58], v[71:72], -v[65:66]
	v_fma_f64 v[59:60], v[59:60], v[71:72], v[63:64]
	s_waitcnt vmcnt(4)
	v_fma_f64 v[49:50], v[49:50], v[73:74], -v[67:68]
	v_add_f64 v[53:54], v[79:80], v[53:54]
	v_add_f64 v[2:3], v[2:3], v[55:56]
	v_fma_f64 v[51:52], v[51:52], v[73:74], v[61:62]
	v_add_f64 v[53:54], v[53:54], v[57:58]
	v_add_f64 v[2:3], v[2:3], v[59:60]
	;; [unrolled: 1-line block ×4, first 2 shown]
	s_waitcnt vmcnt(2)
	v_add_f64 v[49:50], v[75:76], -v[49:50]
	s_waitcnt vmcnt(0)
	v_add_f64 v[2:3], v[77:78], -v[2:3]
	buffer_store_dword v49, off, s[0:3], 0 offset:288
	buffer_store_dword v50, off, s[0:3], 0 offset:292
	buffer_store_dword v2, off, s[0:3], 0 offset:296
	buffer_store_dword v3, off, s[0:3], 0 offset:300
	v_cmpx_lt_u32_e32 16, v0
	s_cbranch_execz .LBB85_113
; %bb.112:
	v_mov_b32_e32 v2, s17
	s_clause 0x3
	buffer_load_dword v49, v2, s[0:3], 0 offen
	buffer_load_dword v50, v2, s[0:3], 0 offen offset:4
	buffer_load_dword v51, v2, s[0:3], 0 offen offset:8
	;; [unrolled: 1-line block ×3, first 2 shown]
	v_mov_b32_e32 v2, 0
	buffer_store_dword v2, off, s[0:3], 0 offset:272
	buffer_store_dword v2, off, s[0:3], 0 offset:276
	;; [unrolled: 1-line block ×4, first 2 shown]
	s_waitcnt vmcnt(0)
	ds_write_b128 v1, v[49:52]
.LBB85_113:
	s_or_b32 exec_lo, exec_lo, s4
	s_waitcnt lgkmcnt(0)
	s_waitcnt_vscnt null, 0x0
	s_barrier
	buffer_gl0_inv
	s_clause 0x17
	buffer_load_dword v3, off, s[0:3], 0 offset:296
	buffer_load_dword v4, off, s[0:3], 0 offset:300
	;; [unrolled: 1-line block ×24, first 2 shown]
	v_mov_b32_e32 v2, 0
	ds_read_b128 v[49:52], v2 offset:624
	ds_read_b128 v[53:56], v2 offset:640
	;; [unrolled: 1-line block ×3, first 2 shown]
	s_mov_b32 s4, exec_lo
	s_waitcnt vmcnt(22) lgkmcnt(2)
	v_mul_f64 v[83:84], v[51:52], v[3:4]
	v_mul_f64 v[3:4], v[49:50], v[3:4]
	s_waitcnt vmcnt(20) lgkmcnt(1)
	v_mul_f64 v[85:86], v[55:56], v[61:62]
	v_mul_f64 v[61:62], v[53:54], v[61:62]
	s_waitcnt vmcnt(18)
	v_fma_f64 v[83:84], v[49:50], v[63:64], -v[83:84]
	v_fma_f64 v[3:4], v[51:52], v[63:64], v[3:4]
	ds_read_b128 v[49:52], v2 offset:672
	s_waitcnt vmcnt(16) lgkmcnt(1)
	v_mul_f64 v[63:64], v[57:58], v[65:66]
	v_mul_f64 v[65:66], v[59:60], v[65:66]
	s_waitcnt vmcnt(14)
	v_fma_f64 v[85:86], v[53:54], v[67:68], -v[85:86]
	v_fma_f64 v[61:62], v[55:56], v[67:68], v[61:62]
	ds_read_b128 v[53:56], v2 offset:688
	s_waitcnt vmcnt(10) lgkmcnt(1)
	v_mul_f64 v[67:68], v[49:50], v[69:70]
	v_add_f64 v[83:84], v[83:84], 0
	v_add_f64 v[3:4], v[3:4], 0
	v_mul_f64 v[69:70], v[51:52], v[69:70]
	s_waitcnt vmcnt(8)
	v_fma_f64 v[57:58], v[57:58], v[75:76], -v[65:66]
	v_fma_f64 v[59:60], v[59:60], v[75:76], v[63:64]
	s_waitcnt vmcnt(7) lgkmcnt(0)
	v_mul_f64 v[63:64], v[55:56], v[71:72]
	s_waitcnt vmcnt(5)
	v_fma_f64 v[51:52], v[51:52], v[77:78], v[67:68]
	v_add_f64 v[65:66], v[83:84], v[85:86]
	v_add_f64 v[3:4], v[3:4], v[61:62]
	v_fma_f64 v[49:50], v[49:50], v[77:78], -v[69:70]
	v_mul_f64 v[61:62], v[53:54], v[71:72]
	s_waitcnt vmcnt(4)
	v_fma_f64 v[53:54], v[53:54], v[73:74], -v[63:64]
	v_add_f64 v[57:58], v[65:66], v[57:58]
	v_add_f64 v[3:4], v[3:4], v[59:60]
	v_fma_f64 v[55:56], v[55:56], v[73:74], v[61:62]
	v_add_f64 v[49:50], v[57:58], v[49:50]
	v_add_f64 v[3:4], v[3:4], v[51:52]
	;; [unrolled: 1-line block ×4, first 2 shown]
	s_waitcnt vmcnt(2)
	v_add_f64 v[49:50], v[79:80], -v[49:50]
	s_waitcnt vmcnt(0)
	v_add_f64 v[3:4], v[81:82], -v[3:4]
	buffer_store_dword v50, off, s[0:3], 0 offset:276
	buffer_store_dword v49, off, s[0:3], 0 offset:272
	;; [unrolled: 1-line block ×4, first 2 shown]
	v_cmpx_lt_u32_e32 15, v0
	s_cbranch_execz .LBB85_115
; %bb.114:
	v_mov_b32_e32 v3, s18
	s_clause 0x3
	buffer_load_dword v49, v3, s[0:3], 0 offen
	buffer_load_dword v50, v3, s[0:3], 0 offen offset:4
	buffer_load_dword v51, v3, s[0:3], 0 offen offset:8
	;; [unrolled: 1-line block ×3, first 2 shown]
	buffer_store_dword v2, off, s[0:3], 0 offset:256
	buffer_store_dword v2, off, s[0:3], 0 offset:260
	;; [unrolled: 1-line block ×4, first 2 shown]
	s_waitcnt vmcnt(0)
	ds_write_b128 v1, v[49:52]
.LBB85_115:
	s_or_b32 exec_lo, exec_lo, s4
	s_waitcnt lgkmcnt(0)
	s_waitcnt_vscnt null, 0x0
	s_barrier
	buffer_gl0_inv
	s_clause 0x1b
	buffer_load_dword v3, off, s[0:3], 0 offset:280
	buffer_load_dword v4, off, s[0:3], 0 offset:284
	;; [unrolled: 1-line block ×28, first 2 shown]
	ds_read_b128 v[49:52], v2 offset:608
	ds_read_b128 v[53:56], v2 offset:624
	;; [unrolled: 1-line block ×3, first 2 shown]
	s_mov_b32 s4, exec_lo
	s_waitcnt vmcnt(26) lgkmcnt(2)
	v_mul_f64 v[87:88], v[51:52], v[3:4]
	v_mul_f64 v[3:4], v[49:50], v[3:4]
	s_waitcnt vmcnt(24) lgkmcnt(1)
	v_mul_f64 v[89:90], v[55:56], v[61:62]
	v_mul_f64 v[61:62], v[53:54], v[61:62]
	s_waitcnt vmcnt(22)
	v_fma_f64 v[87:88], v[49:50], v[63:64], -v[87:88]
	v_fma_f64 v[3:4], v[51:52], v[63:64], v[3:4]
	ds_read_b128 v[49:52], v2 offset:656
	s_waitcnt vmcnt(20) lgkmcnt(1)
	v_mul_f64 v[63:64], v[57:58], v[65:66]
	v_mul_f64 v[65:66], v[59:60], v[65:66]
	s_waitcnt vmcnt(18)
	v_fma_f64 v[89:90], v[53:54], v[67:68], -v[89:90]
	v_fma_f64 v[61:62], v[55:56], v[67:68], v[61:62]
	ds_read_b128 v[53:56], v2 offset:672
	s_waitcnt vmcnt(14) lgkmcnt(1)
	v_mul_f64 v[67:68], v[49:50], v[69:70]
	v_add_f64 v[87:88], v[87:88], 0
	v_add_f64 v[3:4], v[3:4], 0
	v_mul_f64 v[69:70], v[51:52], v[69:70]
	s_waitcnt vmcnt(12)
	v_fma_f64 v[65:66], v[57:58], v[75:76], -v[65:66]
	v_fma_f64 v[63:64], v[59:60], v[75:76], v[63:64]
	ds_read_b128 v[57:60], v2 offset:688
	s_waitcnt vmcnt(9)
	v_fma_f64 v[51:52], v[51:52], v[77:78], v[67:68]
	v_add_f64 v[87:88], v[87:88], v[89:90]
	v_add_f64 v[3:4], v[3:4], v[61:62]
	s_waitcnt lgkmcnt(1)
	v_mul_f64 v[61:62], v[53:54], v[71:72]
	v_mul_f64 v[71:72], v[55:56], v[71:72]
	v_fma_f64 v[49:50], v[49:50], v[77:78], -v[69:70]
	s_waitcnt vmcnt(7) lgkmcnt(0)
	v_mul_f64 v[67:68], v[59:60], v[79:80]
	v_add_f64 v[65:66], v[87:88], v[65:66]
	v_add_f64 v[2:3], v[3:4], v[63:64]
	v_mul_f64 v[63:64], v[57:58], v[79:80]
	s_waitcnt vmcnt(6)
	v_fma_f64 v[53:54], v[53:54], v[73:74], -v[71:72]
	v_fma_f64 v[55:56], v[55:56], v[73:74], v[61:62]
	v_add_f64 v[49:50], v[65:66], v[49:50]
	v_add_f64 v[2:3], v[2:3], v[51:52]
	s_waitcnt vmcnt(4)
	v_fma_f64 v[51:52], v[57:58], v[81:82], -v[67:68]
	v_add_f64 v[49:50], v[49:50], v[53:54]
	v_fma_f64 v[53:54], v[59:60], v[81:82], v[63:64]
	v_add_f64 v[2:3], v[2:3], v[55:56]
	v_add_f64 v[49:50], v[49:50], v[51:52]
	;; [unrolled: 1-line block ×3, first 2 shown]
	s_waitcnt vmcnt(2)
	v_add_f64 v[49:50], v[83:84], -v[49:50]
	s_waitcnt vmcnt(0)
	v_add_f64 v[2:3], v[85:86], -v[2:3]
	buffer_store_dword v50, off, s[0:3], 0 offset:260
	buffer_store_dword v49, off, s[0:3], 0 offset:256
	;; [unrolled: 1-line block ×4, first 2 shown]
	v_cmpx_lt_u32_e32 14, v0
	s_cbranch_execz .LBB85_117
; %bb.116:
	v_mov_b32_e32 v2, s19
	s_clause 0x3
	buffer_load_dword v49, v2, s[0:3], 0 offen
	buffer_load_dword v50, v2, s[0:3], 0 offen offset:4
	buffer_load_dword v51, v2, s[0:3], 0 offen offset:8
	buffer_load_dword v52, v2, s[0:3], 0 offen offset:12
	v_mov_b32_e32 v2, 0
	buffer_store_dword v2, off, s[0:3], 0 offset:240
	buffer_store_dword v2, off, s[0:3], 0 offset:244
	;; [unrolled: 1-line block ×4, first 2 shown]
	s_waitcnt vmcnt(0)
	ds_write_b128 v1, v[49:52]
.LBB85_117:
	s_or_b32 exec_lo, exec_lo, s4
	s_waitcnt lgkmcnt(0)
	s_waitcnt_vscnt null, 0x0
	s_barrier
	buffer_gl0_inv
	s_clause 0x1f
	buffer_load_dword v3, off, s[0:3], 0 offset:264
	buffer_load_dword v4, off, s[0:3], 0 offset:268
	;; [unrolled: 1-line block ×32, first 2 shown]
	v_mov_b32_e32 v2, 0
	ds_read_b128 v[49:52], v2 offset:592
	ds_read_b128 v[53:56], v2 offset:608
	;; [unrolled: 1-line block ×3, first 2 shown]
	s_mov_b32 s4, exec_lo
	s_waitcnt vmcnt(30) lgkmcnt(2)
	v_mul_f64 v[91:92], v[51:52], v[3:4]
	v_mul_f64 v[3:4], v[49:50], v[3:4]
	s_waitcnt vmcnt(28) lgkmcnt(1)
	v_mul_f64 v[93:94], v[55:56], v[61:62]
	v_mul_f64 v[61:62], v[53:54], v[61:62]
	s_waitcnt vmcnt(26)
	v_fma_f64 v[91:92], v[49:50], v[63:64], -v[91:92]
	v_fma_f64 v[3:4], v[51:52], v[63:64], v[3:4]
	ds_read_b128 v[49:52], v2 offset:640
	s_waitcnt vmcnt(24) lgkmcnt(1)
	v_mul_f64 v[63:64], v[57:58], v[65:66]
	v_mul_f64 v[65:66], v[59:60], v[65:66]
	s_waitcnt vmcnt(22)
	v_fma_f64 v[93:94], v[53:54], v[67:68], -v[93:94]
	v_fma_f64 v[61:62], v[55:56], v[67:68], v[61:62]
	ds_read_b128 v[53:56], v2 offset:656
	s_waitcnt vmcnt(18) lgkmcnt(1)
	v_mul_f64 v[67:68], v[49:50], v[69:70]
	v_add_f64 v[91:92], v[91:92], 0
	v_add_f64 v[3:4], v[3:4], 0
	v_mul_f64 v[69:70], v[51:52], v[69:70]
	s_waitcnt vmcnt(16)
	v_fma_f64 v[65:66], v[57:58], v[75:76], -v[65:66]
	v_fma_f64 v[63:64], v[59:60], v[75:76], v[63:64]
	ds_read_b128 v[57:60], v2 offset:672
	s_waitcnt vmcnt(13)
	v_fma_f64 v[67:68], v[51:52], v[77:78], v[67:68]
	v_add_f64 v[91:92], v[91:92], v[93:94]
	v_add_f64 v[3:4], v[3:4], v[61:62]
	s_waitcnt lgkmcnt(1)
	v_mul_f64 v[61:62], v[53:54], v[71:72]
	v_mul_f64 v[71:72], v[55:56], v[71:72]
	v_fma_f64 v[69:70], v[49:50], v[77:78], -v[69:70]
	s_waitcnt vmcnt(9) lgkmcnt(0)
	v_mul_f64 v[75:76], v[59:60], v[79:80]
	ds_read_b128 v[49:52], v2 offset:688
	v_add_f64 v[65:66], v[91:92], v[65:66]
	v_add_f64 v[3:4], v[3:4], v[63:64]
	v_mul_f64 v[63:64], v[57:58], v[79:80]
	s_waitcnt vmcnt(8)
	v_fma_f64 v[53:54], v[53:54], v[73:74], -v[71:72]
	v_fma_f64 v[55:56], v[55:56], v[73:74], v[61:62]
	s_waitcnt vmcnt(5)
	v_fma_f64 v[57:58], v[57:58], v[85:86], -v[75:76]
	s_waitcnt lgkmcnt(0)
	v_mul_f64 v[61:62], v[49:50], v[81:82]
	v_add_f64 v[65:66], v[65:66], v[69:70]
	v_add_f64 v[3:4], v[3:4], v[67:68]
	v_mul_f64 v[67:68], v[51:52], v[81:82]
	v_fma_f64 v[59:60], v[59:60], v[85:86], v[63:64]
	s_waitcnt vmcnt(4)
	v_fma_f64 v[51:52], v[51:52], v[83:84], v[61:62]
	v_add_f64 v[53:54], v[65:66], v[53:54]
	v_add_f64 v[3:4], v[3:4], v[55:56]
	v_fma_f64 v[49:50], v[49:50], v[83:84], -v[67:68]
	v_add_f64 v[53:54], v[53:54], v[57:58]
	v_add_f64 v[3:4], v[3:4], v[59:60]
	;; [unrolled: 1-line block ×4, first 2 shown]
	s_waitcnt vmcnt(2)
	v_add_f64 v[49:50], v[87:88], -v[49:50]
	s_waitcnt vmcnt(0)
	v_add_f64 v[3:4], v[89:90], -v[3:4]
	buffer_store_dword v50, off, s[0:3], 0 offset:244
	buffer_store_dword v49, off, s[0:3], 0 offset:240
	;; [unrolled: 1-line block ×4, first 2 shown]
	v_cmpx_lt_u32_e32 13, v0
	s_cbranch_execz .LBB85_119
; %bb.118:
	v_mov_b32_e32 v3, s20
	s_clause 0x3
	buffer_load_dword v49, v3, s[0:3], 0 offen
	buffer_load_dword v50, v3, s[0:3], 0 offen offset:4
	buffer_load_dword v51, v3, s[0:3], 0 offen offset:8
	;; [unrolled: 1-line block ×3, first 2 shown]
	buffer_store_dword v2, off, s[0:3], 0 offset:224
	buffer_store_dword v2, off, s[0:3], 0 offset:228
	;; [unrolled: 1-line block ×4, first 2 shown]
	s_waitcnt vmcnt(0)
	ds_write_b128 v1, v[49:52]
.LBB85_119:
	s_or_b32 exec_lo, exec_lo, s4
	s_waitcnt lgkmcnt(0)
	s_waitcnt_vscnt null, 0x0
	s_barrier
	buffer_gl0_inv
	s_clause 0x23
	buffer_load_dword v3, off, s[0:3], 0 offset:248
	buffer_load_dword v4, off, s[0:3], 0 offset:252
	;; [unrolled: 1-line block ×36, first 2 shown]
	ds_read_b128 v[49:52], v2 offset:576
	ds_read_b128 v[53:56], v2 offset:592
	ds_read_b128 v[57:60], v2 offset:608
	s_mov_b32 s4, exec_lo
	s_waitcnt vmcnt(34) lgkmcnt(2)
	v_mul_f64 v[95:96], v[51:52], v[3:4]
	v_mul_f64 v[3:4], v[49:50], v[3:4]
	s_waitcnt vmcnt(32) lgkmcnt(1)
	v_mul_f64 v[97:98], v[55:56], v[61:62]
	v_mul_f64 v[61:62], v[53:54], v[61:62]
	s_waitcnt vmcnt(30)
	v_fma_f64 v[95:96], v[49:50], v[63:64], -v[95:96]
	v_fma_f64 v[3:4], v[51:52], v[63:64], v[3:4]
	ds_read_b128 v[49:52], v2 offset:624
	s_waitcnt vmcnt(28) lgkmcnt(1)
	v_mul_f64 v[63:64], v[57:58], v[65:66]
	v_mul_f64 v[65:66], v[59:60], v[65:66]
	s_waitcnt vmcnt(26)
	v_fma_f64 v[97:98], v[53:54], v[67:68], -v[97:98]
	v_fma_f64 v[61:62], v[55:56], v[67:68], v[61:62]
	ds_read_b128 v[53:56], v2 offset:640
	s_waitcnt vmcnt(22) lgkmcnt(1)
	v_mul_f64 v[67:68], v[49:50], v[69:70]
	v_add_f64 v[95:96], v[95:96], 0
	v_add_f64 v[3:4], v[3:4], 0
	v_mul_f64 v[69:70], v[51:52], v[69:70]
	s_waitcnt vmcnt(20)
	v_fma_f64 v[65:66], v[57:58], v[75:76], -v[65:66]
	v_fma_f64 v[63:64], v[59:60], v[75:76], v[63:64]
	ds_read_b128 v[57:60], v2 offset:656
	s_waitcnt vmcnt(17)
	v_fma_f64 v[67:68], v[51:52], v[77:78], v[67:68]
	v_add_f64 v[95:96], v[95:96], v[97:98]
	v_add_f64 v[3:4], v[3:4], v[61:62]
	s_waitcnt lgkmcnt(1)
	v_mul_f64 v[61:62], v[53:54], v[71:72]
	v_mul_f64 v[71:72], v[55:56], v[71:72]
	v_fma_f64 v[69:70], v[49:50], v[77:78], -v[69:70]
	s_waitcnt vmcnt(13) lgkmcnt(0)
	v_mul_f64 v[75:76], v[59:60], v[79:80]
	ds_read_b128 v[49:52], v2 offset:672
	v_add_f64 v[65:66], v[95:96], v[65:66]
	v_add_f64 v[3:4], v[3:4], v[63:64]
	v_mul_f64 v[63:64], v[57:58], v[79:80]
	s_waitcnt vmcnt(12)
	v_fma_f64 v[71:72], v[53:54], v[73:74], -v[71:72]
	v_fma_f64 v[61:62], v[55:56], v[73:74], v[61:62]
	ds_read_b128 v[53:56], v2 offset:688
	s_waitcnt vmcnt(9)
	v_fma_f64 v[57:58], v[57:58], v[85:86], -v[75:76]
	v_add_f64 v[65:66], v[65:66], v[69:70]
	v_add_f64 v[3:4], v[3:4], v[67:68]
	s_waitcnt lgkmcnt(1)
	v_mul_f64 v[69:70], v[51:52], v[81:82]
	v_mul_f64 v[67:68], v[49:50], v[81:82]
	v_fma_f64 v[59:60], v[59:60], v[85:86], v[63:64]
	s_waitcnt vmcnt(7) lgkmcnt(0)
	v_mul_f64 v[63:64], v[55:56], v[87:88]
	v_add_f64 v[65:66], v[65:66], v[71:72]
	v_add_f64 v[2:3], v[3:4], v[61:62]
	s_waitcnt vmcnt(6)
	v_fma_f64 v[49:50], v[49:50], v[83:84], -v[69:70]
	v_mul_f64 v[61:62], v[53:54], v[87:88]
	v_fma_f64 v[51:52], v[51:52], v[83:84], v[67:68]
	s_waitcnt vmcnt(4)
	v_fma_f64 v[53:54], v[53:54], v[89:90], -v[63:64]
	v_add_f64 v[57:58], v[65:66], v[57:58]
	v_add_f64 v[2:3], v[2:3], v[59:60]
	v_fma_f64 v[55:56], v[55:56], v[89:90], v[61:62]
	v_add_f64 v[49:50], v[57:58], v[49:50]
	v_add_f64 v[2:3], v[2:3], v[51:52]
	;; [unrolled: 1-line block ×4, first 2 shown]
	s_waitcnt vmcnt(2)
	v_add_f64 v[49:50], v[91:92], -v[49:50]
	s_waitcnt vmcnt(0)
	v_add_f64 v[2:3], v[93:94], -v[2:3]
	buffer_store_dword v50, off, s[0:3], 0 offset:228
	buffer_store_dword v49, off, s[0:3], 0 offset:224
	;; [unrolled: 1-line block ×4, first 2 shown]
	v_cmpx_lt_u32_e32 12, v0
	s_cbranch_execz .LBB85_121
; %bb.120:
	v_mov_b32_e32 v2, s21
	s_clause 0x3
	buffer_load_dword v49, v2, s[0:3], 0 offen
	buffer_load_dword v50, v2, s[0:3], 0 offen offset:4
	buffer_load_dword v51, v2, s[0:3], 0 offen offset:8
	;; [unrolled: 1-line block ×3, first 2 shown]
	v_mov_b32_e32 v2, 0
	buffer_store_dword v2, off, s[0:3], 0 offset:208
	buffer_store_dword v2, off, s[0:3], 0 offset:212
	;; [unrolled: 1-line block ×4, first 2 shown]
	s_waitcnt vmcnt(0)
	ds_write_b128 v1, v[49:52]
.LBB85_121:
	s_or_b32 exec_lo, exec_lo, s4
	s_waitcnt lgkmcnt(0)
	s_waitcnt_vscnt null, 0x0
	s_barrier
	buffer_gl0_inv
	s_clause 0x27
	buffer_load_dword v3, off, s[0:3], 0 offset:232
	buffer_load_dword v4, off, s[0:3], 0 offset:236
	buffer_load_dword v61, off, s[0:3], 0 offset:248
	buffer_load_dword v62, off, s[0:3], 0 offset:252
	buffer_load_dword v63, off, s[0:3], 0 offset:224
	buffer_load_dword v64, off, s[0:3], 0 offset:228
	buffer_load_dword v65, off, s[0:3], 0 offset:264
	buffer_load_dword v66, off, s[0:3], 0 offset:268
	buffer_load_dword v67, off, s[0:3], 0 offset:240
	buffer_load_dword v68, off, s[0:3], 0 offset:244
	buffer_load_dword v70, off, s[0:3], 0 offset:284
	buffer_load_dword v71, off, s[0:3], 0 offset:296
	buffer_load_dword v73, off, s[0:3], 0 offset:288
	buffer_load_dword v69, off, s[0:3], 0 offset:280
	buffer_load_dword v75, off, s[0:3], 0 offset:256
	buffer_load_dword v76, off, s[0:3], 0 offset:260
	buffer_load_dword v72, off, s[0:3], 0 offset:300
	buffer_load_dword v78, off, s[0:3], 0 offset:276
	buffer_load_dword v77, off, s[0:3], 0 offset:272
	buffer_load_dword v80, off, s[0:3], 0 offset:316
	buffer_load_dword v81, off, s[0:3], 0 offset:328
	buffer_load_dword v83, off, s[0:3], 0 offset:320
	buffer_load_dword v79, off, s[0:3], 0 offset:312
	buffer_load_dword v74, off, s[0:3], 0 offset:292
	buffer_load_dword v82, off, s[0:3], 0 offset:332
	buffer_load_dword v86, off, s[0:3], 0 offset:308
	buffer_load_dword v85, off, s[0:3], 0 offset:304
	buffer_load_dword v88, off, s[0:3], 0 offset:348
	buffer_load_dword v89, off, s[0:3], 0 offset:360
	buffer_load_dword v91, off, s[0:3], 0 offset:352
	buffer_load_dword v87, off, s[0:3], 0 offset:344
	buffer_load_dword v84, off, s[0:3], 0 offset:324
	buffer_load_dword v90, off, s[0:3], 0 offset:364
	buffer_load_dword v94, off, s[0:3], 0 offset:340
	buffer_load_dword v93, off, s[0:3], 0 offset:336
	buffer_load_dword v92, off, s[0:3], 0 offset:356
	buffer_load_dword v95, off, s[0:3], 0 offset:208
	buffer_load_dword v96, off, s[0:3], 0 offset:212
	buffer_load_dword v97, off, s[0:3], 0 offset:216
	buffer_load_dword v98, off, s[0:3], 0 offset:220
	v_mov_b32_e32 v2, 0
	ds_read_b128 v[49:52], v2 offset:560
	ds_read_b128 v[53:56], v2 offset:576
	;; [unrolled: 1-line block ×3, first 2 shown]
	s_mov_b32 s4, exec_lo
	s_waitcnt vmcnt(38) lgkmcnt(2)
	v_mul_f64 v[99:100], v[51:52], v[3:4]
	v_mul_f64 v[3:4], v[49:50], v[3:4]
	s_waitcnt vmcnt(36) lgkmcnt(1)
	v_mul_f64 v[101:102], v[55:56], v[61:62]
	v_mul_f64 v[61:62], v[53:54], v[61:62]
	s_waitcnt vmcnt(34)
	v_fma_f64 v[99:100], v[49:50], v[63:64], -v[99:100]
	v_fma_f64 v[3:4], v[51:52], v[63:64], v[3:4]
	ds_read_b128 v[49:52], v2 offset:608
	s_waitcnt vmcnt(32) lgkmcnt(1)
	v_mul_f64 v[63:64], v[57:58], v[65:66]
	v_mul_f64 v[65:66], v[59:60], v[65:66]
	s_waitcnt vmcnt(30)
	v_fma_f64 v[101:102], v[53:54], v[67:68], -v[101:102]
	v_fma_f64 v[61:62], v[55:56], v[67:68], v[61:62]
	ds_read_b128 v[53:56], v2 offset:624
	s_waitcnt vmcnt(26) lgkmcnt(1)
	v_mul_f64 v[67:68], v[49:50], v[69:70]
	v_add_f64 v[99:100], v[99:100], 0
	v_add_f64 v[3:4], v[3:4], 0
	v_mul_f64 v[69:70], v[51:52], v[69:70]
	s_waitcnt vmcnt(24)
	v_fma_f64 v[65:66], v[57:58], v[75:76], -v[65:66]
	v_fma_f64 v[63:64], v[59:60], v[75:76], v[63:64]
	ds_read_b128 v[57:60], v2 offset:640
	s_waitcnt vmcnt(21)
	v_fma_f64 v[67:68], v[51:52], v[77:78], v[67:68]
	v_add_f64 v[99:100], v[99:100], v[101:102]
	v_add_f64 v[3:4], v[3:4], v[61:62]
	s_waitcnt lgkmcnt(1)
	v_mul_f64 v[61:62], v[53:54], v[71:72]
	v_mul_f64 v[71:72], v[55:56], v[71:72]
	v_fma_f64 v[69:70], v[49:50], v[77:78], -v[69:70]
	s_waitcnt vmcnt(17) lgkmcnt(0)
	v_mul_f64 v[75:76], v[59:60], v[79:80]
	ds_read_b128 v[49:52], v2 offset:656
	v_add_f64 v[65:66], v[99:100], v[65:66]
	v_add_f64 v[3:4], v[3:4], v[63:64]
	v_mul_f64 v[63:64], v[57:58], v[79:80]
	s_waitcnt vmcnt(16)
	v_fma_f64 v[71:72], v[53:54], v[73:74], -v[71:72]
	v_fma_f64 v[61:62], v[55:56], v[73:74], v[61:62]
	ds_read_b128 v[53:56], v2 offset:672
	s_waitcnt vmcnt(13)
	v_fma_f64 v[73:74], v[57:58], v[85:86], -v[75:76]
	v_add_f64 v[65:66], v[65:66], v[69:70]
	v_add_f64 v[3:4], v[3:4], v[67:68]
	s_waitcnt lgkmcnt(1)
	v_mul_f64 v[69:70], v[51:52], v[81:82]
	v_mul_f64 v[67:68], v[49:50], v[81:82]
	v_fma_f64 v[63:64], v[59:60], v[85:86], v[63:64]
	ds_read_b128 v[57:60], v2 offset:688
	v_add_f64 v[65:66], v[65:66], v[71:72]
	v_add_f64 v[3:4], v[3:4], v[61:62]
	s_waitcnt vmcnt(9) lgkmcnt(1)
	v_mul_f64 v[71:72], v[55:56], v[87:88]
	s_waitcnt vmcnt(8)
	v_fma_f64 v[49:50], v[49:50], v[83:84], -v[69:70]
	v_mul_f64 v[61:62], v[53:54], v[87:88]
	v_fma_f64 v[51:52], v[51:52], v[83:84], v[67:68]
	s_waitcnt vmcnt(7) lgkmcnt(0)
	v_mul_f64 v[67:68], v[59:60], v[89:90]
	v_add_f64 v[65:66], v[65:66], v[73:74]
	v_add_f64 v[3:4], v[3:4], v[63:64]
	s_waitcnt vmcnt(5)
	v_fma_f64 v[53:54], v[53:54], v[93:94], -v[71:72]
	v_mul_f64 v[63:64], v[57:58], v[89:90]
	v_fma_f64 v[55:56], v[55:56], v[93:94], v[61:62]
	v_add_f64 v[49:50], v[65:66], v[49:50]
	v_add_f64 v[3:4], v[3:4], v[51:52]
	s_waitcnt vmcnt(4)
	v_fma_f64 v[51:52], v[57:58], v[91:92], -v[67:68]
	v_add_f64 v[49:50], v[49:50], v[53:54]
	v_fma_f64 v[53:54], v[59:60], v[91:92], v[63:64]
	v_add_f64 v[3:4], v[3:4], v[55:56]
	v_add_f64 v[49:50], v[49:50], v[51:52]
	;; [unrolled: 1-line block ×3, first 2 shown]
	s_waitcnt vmcnt(2)
	v_add_f64 v[49:50], v[95:96], -v[49:50]
	s_waitcnt vmcnt(0)
	v_add_f64 v[3:4], v[97:98], -v[3:4]
	buffer_store_dword v50, off, s[0:3], 0 offset:212
	buffer_store_dword v49, off, s[0:3], 0 offset:208
	;; [unrolled: 1-line block ×4, first 2 shown]
	v_cmpx_lt_u32_e32 11, v0
	s_cbranch_execz .LBB85_123
; %bb.122:
	v_mov_b32_e32 v3, s22
	s_clause 0x3
	buffer_load_dword v49, v3, s[0:3], 0 offen
	buffer_load_dword v50, v3, s[0:3], 0 offen offset:4
	buffer_load_dword v51, v3, s[0:3], 0 offen offset:8
	;; [unrolled: 1-line block ×3, first 2 shown]
	buffer_store_dword v2, off, s[0:3], 0 offset:192
	buffer_store_dword v2, off, s[0:3], 0 offset:196
	;; [unrolled: 1-line block ×4, first 2 shown]
	s_waitcnt vmcnt(0)
	ds_write_b128 v1, v[49:52]
.LBB85_123:
	s_or_b32 exec_lo, exec_lo, s4
	s_waitcnt lgkmcnt(0)
	s_waitcnt_vscnt null, 0x0
	s_barrier
	buffer_gl0_inv
	s_clause 0x2b
	buffer_load_dword v3, off, s[0:3], 0 offset:216
	buffer_load_dword v4, off, s[0:3], 0 offset:220
	;; [unrolled: 1-line block ×44, first 2 shown]
	ds_read_b128 v[49:52], v2 offset:544
	ds_read_b128 v[53:56], v2 offset:560
	;; [unrolled: 1-line block ×3, first 2 shown]
	s_mov_b32 s4, exec_lo
	s_waitcnt vmcnt(42) lgkmcnt(2)
	v_mul_f64 v[103:104], v[51:52], v[3:4]
	v_mul_f64 v[3:4], v[49:50], v[3:4]
	s_waitcnt vmcnt(40) lgkmcnt(1)
	v_mul_f64 v[105:106], v[55:56], v[61:62]
	v_mul_f64 v[61:62], v[53:54], v[61:62]
	s_waitcnt vmcnt(38)
	v_fma_f64 v[103:104], v[49:50], v[63:64], -v[103:104]
	v_fma_f64 v[3:4], v[51:52], v[63:64], v[3:4]
	ds_read_b128 v[49:52], v2 offset:592
	s_waitcnt vmcnt(36) lgkmcnt(1)
	v_mul_f64 v[63:64], v[57:58], v[65:66]
	v_mul_f64 v[65:66], v[59:60], v[65:66]
	s_waitcnt vmcnt(34)
	v_fma_f64 v[105:106], v[53:54], v[67:68], -v[105:106]
	v_fma_f64 v[61:62], v[55:56], v[67:68], v[61:62]
	ds_read_b128 v[53:56], v2 offset:608
	s_waitcnt vmcnt(30) lgkmcnt(1)
	v_mul_f64 v[67:68], v[49:50], v[69:70]
	v_add_f64 v[103:104], v[103:104], 0
	v_add_f64 v[3:4], v[3:4], 0
	v_mul_f64 v[69:70], v[51:52], v[69:70]
	s_waitcnt vmcnt(28)
	v_fma_f64 v[65:66], v[57:58], v[75:76], -v[65:66]
	v_fma_f64 v[63:64], v[59:60], v[75:76], v[63:64]
	ds_read_b128 v[57:60], v2 offset:624
	s_waitcnt vmcnt(25)
	v_fma_f64 v[67:68], v[51:52], v[77:78], v[67:68]
	v_add_f64 v[103:104], v[103:104], v[105:106]
	v_add_f64 v[3:4], v[3:4], v[61:62]
	s_waitcnt lgkmcnt(1)
	v_mul_f64 v[61:62], v[53:54], v[71:72]
	v_mul_f64 v[71:72], v[55:56], v[71:72]
	v_fma_f64 v[69:70], v[49:50], v[77:78], -v[69:70]
	s_waitcnt vmcnt(21) lgkmcnt(0)
	v_mul_f64 v[75:76], v[59:60], v[79:80]
	ds_read_b128 v[49:52], v2 offset:640
	v_add_f64 v[65:66], v[103:104], v[65:66]
	v_add_f64 v[3:4], v[3:4], v[63:64]
	v_mul_f64 v[63:64], v[57:58], v[79:80]
	s_waitcnt vmcnt(20)
	v_fma_f64 v[71:72], v[53:54], v[73:74], -v[71:72]
	v_fma_f64 v[61:62], v[55:56], v[73:74], v[61:62]
	ds_read_b128 v[53:56], v2 offset:656
	s_waitcnt vmcnt(17)
	v_fma_f64 v[73:74], v[57:58], v[85:86], -v[75:76]
	v_add_f64 v[65:66], v[65:66], v[69:70]
	v_add_f64 v[3:4], v[3:4], v[67:68]
	s_waitcnt lgkmcnt(1)
	v_mul_f64 v[69:70], v[51:52], v[81:82]
	v_mul_f64 v[67:68], v[49:50], v[81:82]
	v_fma_f64 v[63:64], v[59:60], v[85:86], v[63:64]
	ds_read_b128 v[57:60], v2 offset:672
	v_add_f64 v[65:66], v[65:66], v[71:72]
	v_add_f64 v[3:4], v[3:4], v[61:62]
	s_waitcnt vmcnt(13) lgkmcnt(1)
	v_mul_f64 v[71:72], v[55:56], v[87:88]
	s_waitcnt vmcnt(12)
	v_fma_f64 v[69:70], v[49:50], v[83:84], -v[69:70]
	v_mul_f64 v[61:62], v[53:54], v[87:88]
	v_fma_f64 v[67:68], v[51:52], v[83:84], v[67:68]
	ds_read_b128 v[49:52], v2 offset:688
	v_add_f64 v[65:66], v[65:66], v[73:74]
	v_add_f64 v[3:4], v[3:4], v[63:64]
	s_waitcnt vmcnt(11) lgkmcnt(1)
	v_mul_f64 v[73:74], v[59:60], v[89:90]
	s_waitcnt vmcnt(9)
	v_fma_f64 v[53:54], v[53:54], v[93:94], -v[71:72]
	v_mul_f64 v[63:64], v[57:58], v[89:90]
	v_fma_f64 v[55:56], v[55:56], v[93:94], v[61:62]
	s_waitcnt vmcnt(7) lgkmcnt(0)
	v_mul_f64 v[61:62], v[49:50], v[95:96]
	v_add_f64 v[65:66], v[65:66], v[69:70]
	v_add_f64 v[2:3], v[3:4], v[67:68]
	v_mul_f64 v[67:68], v[51:52], v[95:96]
	s_waitcnt vmcnt(6)
	v_fma_f64 v[57:58], v[57:58], v[91:92], -v[73:74]
	v_fma_f64 v[59:60], v[59:60], v[91:92], v[63:64]
	s_waitcnt vmcnt(4)
	v_fma_f64 v[51:52], v[51:52], v[97:98], v[61:62]
	v_add_f64 v[53:54], v[65:66], v[53:54]
	v_add_f64 v[2:3], v[2:3], v[55:56]
	v_fma_f64 v[49:50], v[49:50], v[97:98], -v[67:68]
	v_add_f64 v[53:54], v[53:54], v[57:58]
	v_add_f64 v[2:3], v[2:3], v[59:60]
	;; [unrolled: 1-line block ×4, first 2 shown]
	s_waitcnt vmcnt(2)
	v_add_f64 v[49:50], v[99:100], -v[49:50]
	s_waitcnt vmcnt(0)
	v_add_f64 v[2:3], v[101:102], -v[2:3]
	buffer_store_dword v50, off, s[0:3], 0 offset:196
	buffer_store_dword v49, off, s[0:3], 0 offset:192
	;; [unrolled: 1-line block ×4, first 2 shown]
	v_cmpx_lt_u32_e32 10, v0
	s_cbranch_execz .LBB85_125
; %bb.124:
	v_mov_b32_e32 v2, s23
	s_clause 0x3
	buffer_load_dword v49, v2, s[0:3], 0 offen
	buffer_load_dword v50, v2, s[0:3], 0 offen offset:4
	buffer_load_dword v51, v2, s[0:3], 0 offen offset:8
	;; [unrolled: 1-line block ×3, first 2 shown]
	v_mov_b32_e32 v2, 0
	buffer_store_dword v2, off, s[0:3], 0 offset:176
	buffer_store_dword v2, off, s[0:3], 0 offset:180
	;; [unrolled: 1-line block ×4, first 2 shown]
	s_waitcnt vmcnt(0)
	ds_write_b128 v1, v[49:52]
.LBB85_125:
	s_or_b32 exec_lo, exec_lo, s4
	s_waitcnt lgkmcnt(0)
	s_waitcnt_vscnt null, 0x0
	s_barrier
	buffer_gl0_inv
	s_clause 0x2f
	buffer_load_dword v3, off, s[0:3], 0 offset:200
	buffer_load_dword v4, off, s[0:3], 0 offset:204
	;; [unrolled: 1-line block ×48, first 2 shown]
	v_mov_b32_e32 v2, 0
	ds_read_b128 v[49:52], v2 offset:528
	ds_read_b128 v[53:56], v2 offset:544
	ds_read_b128 v[57:60], v2 offset:560
	s_mov_b32 s4, exec_lo
	s_waitcnt vmcnt(46) lgkmcnt(2)
	v_mul_f64 v[107:108], v[51:52], v[3:4]
	v_mul_f64 v[3:4], v[49:50], v[3:4]
	s_waitcnt vmcnt(44) lgkmcnt(1)
	v_mul_f64 v[109:110], v[55:56], v[61:62]
	v_mul_f64 v[61:62], v[53:54], v[61:62]
	s_waitcnt vmcnt(42)
	v_fma_f64 v[107:108], v[49:50], v[63:64], -v[107:108]
	v_fma_f64 v[3:4], v[51:52], v[63:64], v[3:4]
	ds_read_b128 v[49:52], v2 offset:576
	s_waitcnt vmcnt(40) lgkmcnt(1)
	v_mul_f64 v[63:64], v[57:58], v[65:66]
	v_mul_f64 v[65:66], v[59:60], v[65:66]
	s_waitcnt vmcnt(38)
	v_fma_f64 v[109:110], v[53:54], v[67:68], -v[109:110]
	v_fma_f64 v[61:62], v[55:56], v[67:68], v[61:62]
	ds_read_b128 v[53:56], v2 offset:592
	s_waitcnt vmcnt(34) lgkmcnt(1)
	v_mul_f64 v[67:68], v[49:50], v[69:70]
	v_add_f64 v[107:108], v[107:108], 0
	v_add_f64 v[3:4], v[3:4], 0
	v_mul_f64 v[69:70], v[51:52], v[69:70]
	s_waitcnt vmcnt(32)
	v_fma_f64 v[65:66], v[57:58], v[75:76], -v[65:66]
	v_fma_f64 v[63:64], v[59:60], v[75:76], v[63:64]
	ds_read_b128 v[57:60], v2 offset:608
	s_waitcnt vmcnt(29)
	v_fma_f64 v[67:68], v[51:52], v[77:78], v[67:68]
	v_add_f64 v[107:108], v[107:108], v[109:110]
	v_add_f64 v[3:4], v[3:4], v[61:62]
	s_waitcnt lgkmcnt(1)
	v_mul_f64 v[61:62], v[53:54], v[71:72]
	v_mul_f64 v[71:72], v[55:56], v[71:72]
	v_fma_f64 v[69:70], v[49:50], v[77:78], -v[69:70]
	s_waitcnt vmcnt(25) lgkmcnt(0)
	v_mul_f64 v[75:76], v[59:60], v[79:80]
	ds_read_b128 v[49:52], v2 offset:624
	v_add_f64 v[65:66], v[107:108], v[65:66]
	v_add_f64 v[3:4], v[3:4], v[63:64]
	v_mul_f64 v[63:64], v[57:58], v[79:80]
	s_waitcnt vmcnt(24)
	v_fma_f64 v[71:72], v[53:54], v[73:74], -v[71:72]
	v_fma_f64 v[61:62], v[55:56], v[73:74], v[61:62]
	ds_read_b128 v[53:56], v2 offset:640
	s_waitcnt vmcnt(21)
	v_fma_f64 v[73:74], v[57:58], v[85:86], -v[75:76]
	v_add_f64 v[65:66], v[65:66], v[69:70]
	v_add_f64 v[3:4], v[3:4], v[67:68]
	s_waitcnt lgkmcnt(1)
	v_mul_f64 v[69:70], v[51:52], v[81:82]
	v_mul_f64 v[67:68], v[49:50], v[81:82]
	v_fma_f64 v[63:64], v[59:60], v[85:86], v[63:64]
	ds_read_b128 v[57:60], v2 offset:656
	v_add_f64 v[65:66], v[65:66], v[71:72]
	v_add_f64 v[3:4], v[3:4], v[61:62]
	s_waitcnt vmcnt(17) lgkmcnt(1)
	v_mul_f64 v[71:72], v[55:56], v[87:88]
	s_waitcnt vmcnt(16)
	v_fma_f64 v[69:70], v[49:50], v[83:84], -v[69:70]
	v_mul_f64 v[61:62], v[53:54], v[87:88]
	v_fma_f64 v[67:68], v[51:52], v[83:84], v[67:68]
	ds_read_b128 v[49:52], v2 offset:672
	v_add_f64 v[65:66], v[65:66], v[73:74]
	v_add_f64 v[3:4], v[3:4], v[63:64]
	s_waitcnt vmcnt(15) lgkmcnt(1)
	v_mul_f64 v[73:74], v[59:60], v[89:90]
	s_waitcnt vmcnt(13)
	v_fma_f64 v[71:72], v[53:54], v[93:94], -v[71:72]
	;; [unrolled: 9-line block ×3, first 2 shown]
	v_mul_f64 v[67:68], v[49:50], v[95:96]
	v_fma_f64 v[59:60], v[59:60], v[91:92], v[63:64]
	s_waitcnt vmcnt(7) lgkmcnt(0)
	v_mul_f64 v[63:64], v[55:56], v[97:98]
	v_add_f64 v[65:66], v[65:66], v[71:72]
	v_add_f64 v[3:4], v[3:4], v[61:62]
	s_waitcnt vmcnt(5)
	v_fma_f64 v[49:50], v[49:50], v[101:102], -v[69:70]
	v_mul_f64 v[61:62], v[53:54], v[97:98]
	v_fma_f64 v[51:52], v[51:52], v[101:102], v[67:68]
	s_waitcnt vmcnt(4)
	v_fma_f64 v[53:54], v[53:54], v[99:100], -v[63:64]
	v_add_f64 v[57:58], v[65:66], v[57:58]
	v_add_f64 v[3:4], v[3:4], v[59:60]
	v_fma_f64 v[55:56], v[55:56], v[99:100], v[61:62]
	v_add_f64 v[49:50], v[57:58], v[49:50]
	v_add_f64 v[3:4], v[3:4], v[51:52]
	;; [unrolled: 1-line block ×4, first 2 shown]
	s_waitcnt vmcnt(2)
	v_add_f64 v[49:50], v[103:104], -v[49:50]
	s_waitcnt vmcnt(0)
	v_add_f64 v[3:4], v[105:106], -v[3:4]
	buffer_store_dword v50, off, s[0:3], 0 offset:180
	buffer_store_dword v49, off, s[0:3], 0 offset:176
	buffer_store_dword v4, off, s[0:3], 0 offset:188
	buffer_store_dword v3, off, s[0:3], 0 offset:184
	v_cmpx_lt_u32_e32 9, v0
	s_cbranch_execz .LBB85_127
; %bb.126:
	v_mov_b32_e32 v3, s24
	s_clause 0x3
	buffer_load_dword v49, v3, s[0:3], 0 offen
	buffer_load_dword v50, v3, s[0:3], 0 offen offset:4
	buffer_load_dword v51, v3, s[0:3], 0 offen offset:8
	;; [unrolled: 1-line block ×3, first 2 shown]
	buffer_store_dword v2, off, s[0:3], 0 offset:160
	buffer_store_dword v2, off, s[0:3], 0 offset:164
	;; [unrolled: 1-line block ×4, first 2 shown]
	s_waitcnt vmcnt(0)
	ds_write_b128 v1, v[49:52]
.LBB85_127:
	s_or_b32 exec_lo, exec_lo, s4
	s_waitcnt lgkmcnt(0)
	s_waitcnt_vscnt null, 0x0
	s_barrier
	buffer_gl0_inv
	s_clause 0x2f
	buffer_load_dword v3, off, s[0:3], 0 offset:184
	buffer_load_dword v4, off, s[0:3], 0 offset:188
	;; [unrolled: 1-line block ×48, first 2 shown]
	ds_read_b128 v[49:52], v2 offset:512
	s_clause 0x3
	buffer_load_dword v107, off, s[0:3], 0 offset:160
	buffer_load_dword v108, off, s[0:3], 0 offset:164
	;; [unrolled: 1-line block ×4, first 2 shown]
	ds_read_b128 v[53:56], v2 offset:528
	ds_read_b128 v[57:60], v2 offset:544
	s_mov_b32 s4, exec_lo
	s_waitcnt vmcnt(50) lgkmcnt(2)
	v_mul_f64 v[111:112], v[51:52], v[3:4]
	v_mul_f64 v[3:4], v[49:50], v[3:4]
	s_waitcnt vmcnt(48) lgkmcnt(1)
	v_mul_f64 v[113:114], v[55:56], v[61:62]
	v_mul_f64 v[61:62], v[53:54], v[61:62]
	s_waitcnt vmcnt(46)
	v_fma_f64 v[111:112], v[49:50], v[63:64], -v[111:112]
	v_fma_f64 v[3:4], v[51:52], v[63:64], v[3:4]
	s_waitcnt vmcnt(44) lgkmcnt(0)
	v_mul_f64 v[63:64], v[57:58], v[65:66]
	v_mul_f64 v[65:66], v[59:60], v[65:66]
	s_waitcnt vmcnt(42)
	v_fma_f64 v[113:114], v[53:54], v[67:68], -v[113:114]
	ds_read_b128 v[49:52], v2 offset:560
	v_fma_f64 v[61:62], v[55:56], v[67:68], v[61:62]
	ds_read_b128 v[53:56], v2 offset:576
	v_add_f64 v[111:112], v[111:112], 0
	v_add_f64 v[3:4], v[3:4], 0
	s_waitcnt vmcnt(36)
	v_fma_f64 v[63:64], v[59:60], v[75:76], v[63:64]
	s_waitcnt lgkmcnt(1)
	v_mul_f64 v[67:68], v[49:50], v[69:70]
	v_mul_f64 v[69:70], v[51:52], v[69:70]
	v_fma_f64 v[65:66], v[57:58], v[75:76], -v[65:66]
	ds_read_b128 v[57:60], v2 offset:592
	v_add_f64 v[111:112], v[111:112], v[113:114]
	v_add_f64 v[3:4], v[3:4], v[61:62]
	s_waitcnt vmcnt(35) lgkmcnt(1)
	v_mul_f64 v[61:62], v[53:54], v[71:72]
	v_mul_f64 v[71:72], v[55:56], v[71:72]
	s_waitcnt vmcnt(33)
	v_fma_f64 v[69:70], v[49:50], v[77:78], -v[69:70]
	v_fma_f64 v[67:68], v[51:52], v[77:78], v[67:68]
	ds_read_b128 v[49:52], v2 offset:608
	s_waitcnt vmcnt(29) lgkmcnt(1)
	v_mul_f64 v[75:76], v[59:60], v[79:80]
	v_add_f64 v[65:66], v[111:112], v[65:66]
	v_add_f64 v[3:4], v[3:4], v[63:64]
	v_mul_f64 v[63:64], v[57:58], v[79:80]
	s_waitcnt vmcnt(28)
	v_fma_f64 v[71:72], v[53:54], v[73:74], -v[71:72]
	v_fma_f64 v[61:62], v[55:56], v[73:74], v[61:62]
	ds_read_b128 v[53:56], v2 offset:624
	s_waitcnt vmcnt(25)
	v_fma_f64 v[73:74], v[57:58], v[85:86], -v[75:76]
	v_add_f64 v[65:66], v[65:66], v[69:70]
	v_add_f64 v[3:4], v[3:4], v[67:68]
	s_waitcnt lgkmcnt(1)
	v_mul_f64 v[69:70], v[51:52], v[81:82]
	v_mul_f64 v[67:68], v[49:50], v[81:82]
	v_fma_f64 v[63:64], v[59:60], v[85:86], v[63:64]
	ds_read_b128 v[57:60], v2 offset:640
	v_add_f64 v[65:66], v[65:66], v[71:72]
	v_add_f64 v[3:4], v[3:4], v[61:62]
	s_waitcnt vmcnt(21) lgkmcnt(1)
	v_mul_f64 v[71:72], v[55:56], v[87:88]
	s_waitcnt vmcnt(20)
	v_fma_f64 v[69:70], v[49:50], v[83:84], -v[69:70]
	v_mul_f64 v[61:62], v[53:54], v[87:88]
	v_fma_f64 v[67:68], v[51:52], v[83:84], v[67:68]
	ds_read_b128 v[49:52], v2 offset:656
	v_add_f64 v[65:66], v[65:66], v[73:74]
	v_add_f64 v[3:4], v[3:4], v[63:64]
	s_waitcnt vmcnt(19) lgkmcnt(1)
	v_mul_f64 v[73:74], v[59:60], v[89:90]
	s_waitcnt vmcnt(17)
	v_fma_f64 v[71:72], v[53:54], v[93:94], -v[71:72]
	;; [unrolled: 9-line block ×4, first 2 shown]
	v_mul_f64 v[61:62], v[53:54], v[97:98]
	v_fma_f64 v[51:52], v[51:52], v[101:102], v[67:68]
	s_waitcnt vmcnt(7) lgkmcnt(0)
	v_mul_f64 v[67:68], v[59:60], v[103:104]
	v_add_f64 v[65:66], v[65:66], v[73:74]
	v_add_f64 v[2:3], v[3:4], v[63:64]
	s_waitcnt vmcnt(6)
	v_fma_f64 v[53:54], v[53:54], v[99:100], -v[71:72]
	v_mul_f64 v[63:64], v[57:58], v[103:104]
	v_fma_f64 v[55:56], v[55:56], v[99:100], v[61:62]
	v_add_f64 v[49:50], v[65:66], v[49:50]
	v_add_f64 v[2:3], v[2:3], v[51:52]
	s_waitcnt vmcnt(4)
	v_fma_f64 v[51:52], v[57:58], v[105:106], -v[67:68]
	v_add_f64 v[49:50], v[49:50], v[53:54]
	v_fma_f64 v[53:54], v[59:60], v[105:106], v[63:64]
	v_add_f64 v[2:3], v[2:3], v[55:56]
	v_add_f64 v[49:50], v[49:50], v[51:52]
	;; [unrolled: 1-line block ×3, first 2 shown]
	s_waitcnt vmcnt(2)
	v_add_f64 v[49:50], v[107:108], -v[49:50]
	s_waitcnt vmcnt(0)
	v_add_f64 v[2:3], v[109:110], -v[2:3]
	buffer_store_dword v50, off, s[0:3], 0 offset:164
	buffer_store_dword v49, off, s[0:3], 0 offset:160
	;; [unrolled: 1-line block ×4, first 2 shown]
	v_cmpx_lt_u32_e32 8, v0
	s_cbranch_execz .LBB85_129
; %bb.128:
	v_mov_b32_e32 v2, s25
	s_clause 0x3
	buffer_load_dword v49, v2, s[0:3], 0 offen
	buffer_load_dword v50, v2, s[0:3], 0 offen offset:4
	buffer_load_dword v51, v2, s[0:3], 0 offen offset:8
	;; [unrolled: 1-line block ×3, first 2 shown]
	v_mov_b32_e32 v2, 0
	buffer_store_dword v2, off, s[0:3], 0 offset:144
	buffer_store_dword v2, off, s[0:3], 0 offset:148
	;; [unrolled: 1-line block ×4, first 2 shown]
	s_waitcnt vmcnt(0)
	ds_write_b128 v1, v[49:52]
.LBB85_129:
	s_or_b32 exec_lo, exec_lo, s4
	s_waitcnt lgkmcnt(0)
	s_waitcnt_vscnt null, 0x0
	s_barrier
	buffer_gl0_inv
	s_clause 0x33
	buffer_load_dword v3, off, s[0:3], 0 offset:168
	buffer_load_dword v4, off, s[0:3], 0 offset:172
	;; [unrolled: 1-line block ×52, first 2 shown]
	v_mov_b32_e32 v2, 0
	ds_read_b128 v[49:52], v2 offset:496
	ds_read_b128 v[53:56], v2 offset:512
	s_clause 0x3
	buffer_load_dword v113, off, s[0:3], 0 offset:144
	buffer_load_dword v114, off, s[0:3], 0 offset:148
	;; [unrolled: 1-line block ×4, first 2 shown]
	ds_read_b128 v[57:60], v2 offset:528
	s_mov_b32 s4, exec_lo
	s_waitcnt vmcnt(54) lgkmcnt(2)
	v_mul_f64 v[111:112], v[51:52], v[3:4]
	v_mul_f64 v[3:4], v[49:50], v[3:4]
	s_waitcnt vmcnt(52) lgkmcnt(1)
	v_mul_f64 v[117:118], v[55:56], v[61:62]
	v_mul_f64 v[61:62], v[53:54], v[61:62]
	s_waitcnt vmcnt(50)
	v_fma_f64 v[111:112], v[49:50], v[63:64], -v[111:112]
	v_fma_f64 v[3:4], v[51:52], v[63:64], v[3:4]
	ds_read_b128 v[49:52], v2 offset:544
	s_waitcnt vmcnt(48) lgkmcnt(1)
	v_mul_f64 v[63:64], v[57:58], v[65:66]
	v_mul_f64 v[65:66], v[59:60], v[65:66]
	s_waitcnt vmcnt(46)
	v_fma_f64 v[117:118], v[53:54], v[67:68], -v[117:118]
	v_fma_f64 v[61:62], v[55:56], v[67:68], v[61:62]
	ds_read_b128 v[53:56], v2 offset:560
	s_waitcnt vmcnt(42) lgkmcnt(1)
	v_mul_f64 v[67:68], v[49:50], v[69:70]
	v_add_f64 v[111:112], v[111:112], 0
	v_add_f64 v[3:4], v[3:4], 0
	v_mul_f64 v[69:70], v[51:52], v[69:70]
	s_waitcnt vmcnt(40)
	v_fma_f64 v[65:66], v[57:58], v[75:76], -v[65:66]
	v_fma_f64 v[63:64], v[59:60], v[75:76], v[63:64]
	ds_read_b128 v[57:60], v2 offset:576
	s_waitcnt vmcnt(37)
	v_fma_f64 v[67:68], v[51:52], v[77:78], v[67:68]
	v_add_f64 v[111:112], v[111:112], v[117:118]
	v_add_f64 v[3:4], v[3:4], v[61:62]
	s_waitcnt lgkmcnt(1)
	v_mul_f64 v[61:62], v[53:54], v[71:72]
	v_mul_f64 v[71:72], v[55:56], v[71:72]
	v_fma_f64 v[69:70], v[49:50], v[77:78], -v[69:70]
	s_waitcnt vmcnt(33) lgkmcnt(0)
	v_mul_f64 v[75:76], v[59:60], v[79:80]
	ds_read_b128 v[49:52], v2 offset:592
	v_add_f64 v[65:66], v[111:112], v[65:66]
	v_add_f64 v[3:4], v[3:4], v[63:64]
	v_mul_f64 v[63:64], v[57:58], v[79:80]
	s_waitcnt vmcnt(32)
	v_fma_f64 v[71:72], v[53:54], v[73:74], -v[71:72]
	v_fma_f64 v[61:62], v[55:56], v[73:74], v[61:62]
	ds_read_b128 v[53:56], v2 offset:608
	s_waitcnt vmcnt(29)
	v_fma_f64 v[73:74], v[57:58], v[85:86], -v[75:76]
	v_add_f64 v[65:66], v[65:66], v[69:70]
	v_add_f64 v[3:4], v[3:4], v[67:68]
	s_waitcnt lgkmcnt(1)
	v_mul_f64 v[69:70], v[51:52], v[81:82]
	v_mul_f64 v[67:68], v[49:50], v[81:82]
	v_fma_f64 v[63:64], v[59:60], v[85:86], v[63:64]
	ds_read_b128 v[57:60], v2 offset:624
	v_add_f64 v[65:66], v[65:66], v[71:72]
	v_add_f64 v[3:4], v[3:4], v[61:62]
	s_waitcnt vmcnt(25) lgkmcnt(1)
	v_mul_f64 v[71:72], v[55:56], v[87:88]
	s_waitcnt vmcnt(24)
	v_fma_f64 v[69:70], v[49:50], v[83:84], -v[69:70]
	v_mul_f64 v[61:62], v[53:54], v[87:88]
	v_fma_f64 v[67:68], v[51:52], v[83:84], v[67:68]
	ds_read_b128 v[49:52], v2 offset:640
	v_add_f64 v[65:66], v[65:66], v[73:74]
	v_add_f64 v[3:4], v[3:4], v[63:64]
	s_waitcnt vmcnt(23) lgkmcnt(1)
	v_mul_f64 v[73:74], v[59:60], v[89:90]
	s_waitcnt vmcnt(21)
	v_fma_f64 v[71:72], v[53:54], v[93:94], -v[71:72]
	;; [unrolled: 9-line block ×5, first 2 shown]
	v_mul_f64 v[63:64], v[57:58], v[103:104]
	v_fma_f64 v[55:56], v[55:56], v[99:100], v[61:62]
	s_waitcnt vmcnt(7) lgkmcnt(0)
	v_mul_f64 v[61:62], v[49:50], v[105:106]
	v_add_f64 v[65:66], v[65:66], v[69:70]
	v_add_f64 v[3:4], v[3:4], v[67:68]
	v_mul_f64 v[67:68], v[51:52], v[105:106]
	s_waitcnt vmcnt(5)
	v_fma_f64 v[57:58], v[57:58], v[109:110], -v[73:74]
	v_fma_f64 v[59:60], v[59:60], v[109:110], v[63:64]
	s_waitcnt vmcnt(4)
	v_fma_f64 v[51:52], v[51:52], v[107:108], v[61:62]
	v_add_f64 v[53:54], v[65:66], v[53:54]
	v_add_f64 v[3:4], v[3:4], v[55:56]
	v_fma_f64 v[49:50], v[49:50], v[107:108], -v[67:68]
	v_add_f64 v[53:54], v[53:54], v[57:58]
	v_add_f64 v[3:4], v[3:4], v[59:60]
	;; [unrolled: 1-line block ×4, first 2 shown]
	s_waitcnt vmcnt(2)
	v_add_f64 v[49:50], v[113:114], -v[49:50]
	s_waitcnt vmcnt(0)
	v_add_f64 v[3:4], v[115:116], -v[3:4]
	buffer_store_dword v50, off, s[0:3], 0 offset:148
	buffer_store_dword v49, off, s[0:3], 0 offset:144
	;; [unrolled: 1-line block ×4, first 2 shown]
	v_cmpx_lt_u32_e32 7, v0
	s_cbranch_execz .LBB85_131
; %bb.130:
	v_mov_b32_e32 v3, s26
	s_clause 0x3
	buffer_load_dword v49, v3, s[0:3], 0 offen
	buffer_load_dword v50, v3, s[0:3], 0 offen offset:4
	buffer_load_dword v51, v3, s[0:3], 0 offen offset:8
	;; [unrolled: 1-line block ×3, first 2 shown]
	buffer_store_dword v2, off, s[0:3], 0 offset:128
	buffer_store_dword v2, off, s[0:3], 0 offset:132
	;; [unrolled: 1-line block ×4, first 2 shown]
	s_waitcnt vmcnt(0)
	ds_write_b128 v1, v[49:52]
.LBB85_131:
	s_or_b32 exec_lo, exec_lo, s4
	s_waitcnt lgkmcnt(0)
	s_waitcnt_vscnt null, 0x0
	s_barrier
	buffer_gl0_inv
	s_clause 0x35
	buffer_load_dword v3, off, s[0:3], 0 offset:152
	buffer_load_dword v4, off, s[0:3], 0 offset:156
	;; [unrolled: 1-line block ×54, first 2 shown]
	ds_read_b128 v[49:52], v2 offset:480
	s_clause 0x1
	buffer_load_dword v114, off, s[0:3], 0 offset:356
	buffer_load_dword v113, off, s[0:3], 0 offset:352
	ds_read_b128 v[53:56], v2 offset:496
	ds_read_b128 v[57:60], v2 offset:512
	s_mov_b32 s4, exec_lo
	s_waitcnt vmcnt(54) lgkmcnt(2)
	v_mul_f64 v[115:116], v[51:52], v[3:4]
	v_mul_f64 v[3:4], v[49:50], v[3:4]
	s_waitcnt vmcnt(52) lgkmcnt(1)
	v_mul_f64 v[117:118], v[55:56], v[61:62]
	v_mul_f64 v[61:62], v[53:54], v[61:62]
	;; [unrolled: 3-line block ×3, first 2 shown]
	v_fma_f64 v[115:116], v[49:50], v[63:64], -v[115:116]
	v_fma_f64 v[3:4], v[51:52], v[63:64], v[3:4]
	s_clause 0x3
	buffer_load_dword v63, off, s[0:3], 0 offset:128
	buffer_load_dword v64, off, s[0:3], 0 offset:132
	;; [unrolled: 1-line block ×4, first 2 shown]
	s_waitcnt vmcnt(50)
	v_fma_f64 v[117:118], v[53:54], v[67:68], -v[117:118]
	ds_read_b128 v[49:52], v2 offset:528
	v_fma_f64 v[61:62], v[55:56], v[67:68], v[61:62]
	ds_read_b128 v[53:56], v2 offset:544
	s_waitcnt vmcnt(44)
	v_fma_f64 v[65:66], v[57:58], v[75:76], -v[65:66]
	v_fma_f64 v[75:76], v[59:60], v[75:76], v[121:122]
	ds_read_b128 v[57:60], v2 offset:560
	v_add_f64 v[115:116], v[115:116], 0
	v_add_f64 v[3:4], v[3:4], 0
	s_waitcnt lgkmcnt(2)
	v_mul_f64 v[67:68], v[49:50], v[69:70]
	v_mul_f64 v[69:70], v[51:52], v[69:70]
	v_add_f64 v[115:116], v[115:116], v[117:118]
	v_add_f64 v[3:4], v[3:4], v[61:62]
	s_waitcnt vmcnt(43) lgkmcnt(1)
	v_mul_f64 v[61:62], v[53:54], v[71:72]
	v_mul_f64 v[71:72], v[55:56], v[71:72]
	s_waitcnt vmcnt(41)
	v_fma_f64 v[69:70], v[49:50], v[77:78], -v[69:70]
	v_fma_f64 v[67:68], v[51:52], v[77:78], v[67:68]
	ds_read_b128 v[49:52], v2 offset:576
	s_waitcnt vmcnt(37) lgkmcnt(1)
	v_mul_f64 v[77:78], v[59:60], v[79:80]
	v_add_f64 v[65:66], v[115:116], v[65:66]
	v_add_f64 v[3:4], v[3:4], v[75:76]
	v_mul_f64 v[75:76], v[57:58], v[79:80]
	s_waitcnt vmcnt(36)
	v_fma_f64 v[71:72], v[53:54], v[73:74], -v[71:72]
	v_fma_f64 v[61:62], v[55:56], v[73:74], v[61:62]
	ds_read_b128 v[53:56], v2 offset:592
	s_waitcnt vmcnt(33)
	v_fma_f64 v[73:74], v[57:58], v[85:86], -v[77:78]
	v_add_f64 v[65:66], v[65:66], v[69:70]
	v_add_f64 v[3:4], v[3:4], v[67:68]
	s_waitcnt lgkmcnt(1)
	v_mul_f64 v[69:70], v[51:52], v[81:82]
	v_mul_f64 v[67:68], v[49:50], v[81:82]
	v_add_f64 v[65:66], v[65:66], v[71:72]
	v_fma_f64 v[71:72], v[59:60], v[85:86], v[75:76]
	v_add_f64 v[3:4], v[3:4], v[61:62]
	ds_read_b128 v[57:60], v2 offset:608
	s_waitcnt vmcnt(29) lgkmcnt(1)
	v_mul_f64 v[75:76], v[55:56], v[87:88]
	s_waitcnt vmcnt(28)
	v_fma_f64 v[69:70], v[49:50], v[83:84], -v[69:70]
	v_mul_f64 v[61:62], v[53:54], v[87:88]
	v_fma_f64 v[67:68], v[51:52], v[83:84], v[67:68]
	ds_read_b128 v[49:52], v2 offset:624
	v_add_f64 v[65:66], v[65:66], v[73:74]
	s_waitcnt vmcnt(27) lgkmcnt(1)
	v_mul_f64 v[73:74], v[59:60], v[89:90]
	v_add_f64 v[3:4], v[3:4], v[71:72]
	v_mul_f64 v[71:72], v[57:58], v[89:90]
	s_waitcnt vmcnt(25)
	v_fma_f64 v[75:76], v[53:54], v[93:94], -v[75:76]
	v_fma_f64 v[61:62], v[55:56], v[93:94], v[61:62]
	ds_read_b128 v[53:56], v2 offset:640
	v_add_f64 v[65:66], v[65:66], v[69:70]
	s_waitcnt vmcnt(21) lgkmcnt(1)
	v_mul_f64 v[69:70], v[51:52], v[95:96]
	v_add_f64 v[3:4], v[3:4], v[67:68]
	s_waitcnt vmcnt(20)
	v_fma_f64 v[73:74], v[57:58], v[91:92], -v[73:74]
	v_mul_f64 v[67:68], v[49:50], v[95:96]
	v_fma_f64 v[71:72], v[59:60], v[91:92], v[71:72]
	ds_read_b128 v[57:60], v2 offset:656
	v_add_f64 v[65:66], v[65:66], v[75:76]
	s_waitcnt vmcnt(19) lgkmcnt(1)
	v_mul_f64 v[75:76], v[55:56], v[97:98]
	v_add_f64 v[3:4], v[3:4], v[61:62]
	s_waitcnt vmcnt(17)
	v_fma_f64 v[69:70], v[49:50], v[101:102], -v[69:70]
	v_mul_f64 v[61:62], v[53:54], v[97:98]
	;; [unrolled: 9-line block ×4, first 2 shown]
	v_fma_f64 v[59:60], v[59:60], v[109:110], v[71:72]
	s_waitcnt vmcnt(7) lgkmcnt(0)
	v_mul_f64 v[71:72], v[55:56], v[111:112]
	v_add_f64 v[65:66], v[65:66], v[75:76]
	s_waitcnt vmcnt(6)
	v_fma_f64 v[49:50], v[49:50], v[107:108], -v[69:70]
	v_add_f64 v[2:3], v[3:4], v[61:62]
	v_mul_f64 v[61:62], v[53:54], v[111:112]
	v_fma_f64 v[51:52], v[51:52], v[107:108], v[67:68]
	s_waitcnt vmcnt(4)
	v_fma_f64 v[53:54], v[53:54], v[113:114], -v[71:72]
	v_add_f64 v[57:58], v[65:66], v[57:58]
	v_add_f64 v[2:3], v[2:3], v[59:60]
	v_fma_f64 v[55:56], v[55:56], v[113:114], v[61:62]
	v_add_f64 v[49:50], v[57:58], v[49:50]
	v_add_f64 v[2:3], v[2:3], v[51:52]
	;; [unrolled: 1-line block ×4, first 2 shown]
	s_waitcnt vmcnt(2)
	v_add_f64 v[49:50], v[63:64], -v[49:50]
	s_waitcnt vmcnt(0)
	v_add_f64 v[2:3], v[119:120], -v[2:3]
	buffer_store_dword v50, off, s[0:3], 0 offset:132
	buffer_store_dword v49, off, s[0:3], 0 offset:128
	;; [unrolled: 1-line block ×4, first 2 shown]
	v_cmpx_lt_u32_e32 6, v0
	s_cbranch_execz .LBB85_133
; %bb.132:
	v_mov_b32_e32 v2, s27
	s_clause 0x3
	buffer_load_dword v49, v2, s[0:3], 0 offen
	buffer_load_dword v50, v2, s[0:3], 0 offen offset:4
	buffer_load_dword v51, v2, s[0:3], 0 offen offset:8
	;; [unrolled: 1-line block ×3, first 2 shown]
	v_mov_b32_e32 v2, 0
	buffer_store_dword v2, off, s[0:3], 0 offset:112
	buffer_store_dword v2, off, s[0:3], 0 offset:116
	;; [unrolled: 1-line block ×4, first 2 shown]
	s_waitcnt vmcnt(0)
	ds_write_b128 v1, v[49:52]
.LBB85_133:
	s_or_b32 exec_lo, exec_lo, s4
	s_waitcnt lgkmcnt(0)
	s_waitcnt_vscnt null, 0x0
	s_barrier
	buffer_gl0_inv
	s_clause 0x37
	buffer_load_dword v3, off, s[0:3], 0 offset:136
	buffer_load_dword v4, off, s[0:3], 0 offset:140
	;; [unrolled: 1-line block ×56, first 2 shown]
	v_mov_b32_e32 v2, 0
	s_mov_b32 s4, exec_lo
	ds_read_b128 v[49:52], v2 offset:464
	s_clause 0x2
	buffer_load_dword v114, off, s[0:3], 0 offset:364
	buffer_load_dword v118, off, s[0:3], 0 offset:340
	;; [unrolled: 1-line block ×3, first 2 shown]
	ds_read_b128 v[53:56], v2 offset:480
	ds_read_b128 v[57:60], v2 offset:496
	buffer_load_dword v116, off, s[0:3], 0 offset:356
	s_waitcnt vmcnt(58) lgkmcnt(2)
	v_mul_f64 v[119:120], v[51:52], v[3:4]
	v_mul_f64 v[3:4], v[49:50], v[3:4]
	s_waitcnt vmcnt(56) lgkmcnt(1)
	v_mul_f64 v[121:122], v[55:56], v[61:62]
	v_mul_f64 v[61:62], v[53:54], v[61:62]
	s_waitcnt vmcnt(54)
	v_fma_f64 v[119:120], v[49:50], v[63:64], -v[119:120]
	v_fma_f64 v[3:4], v[51:52], v[63:64], v[3:4]
	s_waitcnt vmcnt(52) lgkmcnt(0)
	v_mul_f64 v[63:64], v[57:58], v[65:66]
	v_mul_f64 v[65:66], v[59:60], v[65:66]
	s_waitcnt vmcnt(50)
	v_fma_f64 v[121:122], v[53:54], v[67:68], -v[121:122]
	ds_read_b128 v[49:52], v2 offset:512
	v_fma_f64 v[61:62], v[55:56], v[67:68], v[61:62]
	s_clause 0x3
	buffer_load_dword v67, off, s[0:3], 0 offset:112
	buffer_load_dword v68, off, s[0:3], 0 offset:116
	buffer_load_dword v123, off, s[0:3], 0 offset:120
	buffer_load_dword v124, off, s[0:3], 0 offset:124
	ds_read_b128 v[53:56], v2 offset:528
	v_add_f64 v[119:120], v[119:120], 0
	v_add_f64 v[3:4], v[3:4], 0
	s_waitcnt vmcnt(48)
	v_fma_f64 v[63:64], v[59:60], v[75:76], v[63:64]
	s_waitcnt lgkmcnt(1)
	v_mul_f64 v[125:126], v[49:50], v[69:70]
	v_mul_f64 v[69:70], v[51:52], v[69:70]
	v_fma_f64 v[65:66], v[57:58], v[75:76], -v[65:66]
	ds_read_b128 v[57:60], v2 offset:544
	v_add_f64 v[119:120], v[119:120], v[121:122]
	v_add_f64 v[3:4], v[3:4], v[61:62]
	s_waitcnt vmcnt(47) lgkmcnt(1)
	v_mul_f64 v[61:62], v[53:54], v[71:72]
	v_mul_f64 v[71:72], v[55:56], v[71:72]
	s_waitcnt vmcnt(45)
	v_fma_f64 v[69:70], v[49:50], v[77:78], -v[69:70]
	v_fma_f64 v[75:76], v[51:52], v[77:78], v[125:126]
	s_waitcnt vmcnt(41) lgkmcnt(0)
	v_mul_f64 v[77:78], v[59:60], v[79:80]
	ds_read_b128 v[49:52], v2 offset:560
	v_add_f64 v[65:66], v[119:120], v[65:66]
	v_add_f64 v[3:4], v[3:4], v[63:64]
	v_mul_f64 v[63:64], v[57:58], v[79:80]
	s_waitcnt vmcnt(40)
	v_fma_f64 v[71:72], v[53:54], v[73:74], -v[71:72]
	v_fma_f64 v[61:62], v[55:56], v[73:74], v[61:62]
	ds_read_b128 v[53:56], v2 offset:576
	s_waitcnt vmcnt(39) lgkmcnt(1)
	v_mul_f64 v[73:74], v[51:52], v[81:82]
	v_add_f64 v[65:66], v[65:66], v[69:70]
	v_add_f64 v[3:4], v[3:4], v[75:76]
	s_waitcnt vmcnt(37)
	v_fma_f64 v[75:76], v[57:58], v[85:86], -v[77:78]
	v_mul_f64 v[69:70], v[49:50], v[81:82]
	v_fma_f64 v[63:64], v[59:60], v[85:86], v[63:64]
	ds_read_b128 v[57:60], v2 offset:592
	s_waitcnt vmcnt(32)
	v_fma_f64 v[73:74], v[49:50], v[83:84], -v[73:74]
	v_add_f64 v[65:66], v[65:66], v[71:72]
	v_add_f64 v[3:4], v[3:4], v[61:62]
	s_waitcnt lgkmcnt(1)
	v_mul_f64 v[71:72], v[55:56], v[87:88]
	v_mul_f64 v[61:62], v[53:54], v[87:88]
	v_fma_f64 v[69:70], v[51:52], v[83:84], v[69:70]
	ds_read_b128 v[49:52], v2 offset:608
	v_add_f64 v[65:66], v[65:66], v[75:76]
	v_add_f64 v[3:4], v[3:4], v[63:64]
	s_waitcnt vmcnt(31) lgkmcnt(1)
	v_mul_f64 v[75:76], v[59:60], v[89:90]
	s_waitcnt vmcnt(29)
	v_fma_f64 v[71:72], v[53:54], v[93:94], -v[71:72]
	v_mul_f64 v[63:64], v[57:58], v[89:90]
	v_fma_f64 v[61:62], v[55:56], v[93:94], v[61:62]
	ds_read_b128 v[53:56], v2 offset:624
	v_add_f64 v[65:66], v[65:66], v[73:74]
	v_add_f64 v[3:4], v[3:4], v[69:70]
	s_waitcnt vmcnt(25) lgkmcnt(1)
	v_mul_f64 v[73:74], v[51:52], v[95:96]
	s_waitcnt vmcnt(24)
	v_fma_f64 v[75:76], v[57:58], v[91:92], -v[75:76]
	;; [unrolled: 9-line block ×6, first 2 shown]
	v_mul_f64 v[61:62], v[53:54], v[111:112]
	v_fma_f64 v[51:52], v[51:52], v[107:108], v[69:70]
	s_waitcnt vmcnt(7) lgkmcnt(0)
	v_mul_f64 v[69:70], v[59:60], v[113:114]
	v_add_f64 v[65:66], v[65:66], v[75:76]
	v_add_f64 v[3:4], v[3:4], v[63:64]
	s_waitcnt vmcnt(5)
	v_fma_f64 v[53:54], v[53:54], v[117:118], -v[71:72]
	v_mul_f64 v[63:64], v[57:58], v[113:114]
	v_fma_f64 v[55:56], v[55:56], v[117:118], v[61:62]
	v_add_f64 v[49:50], v[65:66], v[49:50]
	v_add_f64 v[3:4], v[3:4], v[51:52]
	s_waitcnt vmcnt(4)
	v_fma_f64 v[51:52], v[57:58], v[115:116], -v[69:70]
	v_add_f64 v[49:50], v[49:50], v[53:54]
	v_fma_f64 v[53:54], v[59:60], v[115:116], v[63:64]
	v_add_f64 v[3:4], v[3:4], v[55:56]
	v_add_f64 v[49:50], v[49:50], v[51:52]
	;; [unrolled: 1-line block ×3, first 2 shown]
	s_waitcnt vmcnt(2)
	v_add_f64 v[49:50], v[67:68], -v[49:50]
	s_waitcnt vmcnt(0)
	v_add_f64 v[3:4], v[123:124], -v[3:4]
	buffer_store_dword v50, off, s[0:3], 0 offset:116
	buffer_store_dword v49, off, s[0:3], 0 offset:112
	;; [unrolled: 1-line block ×4, first 2 shown]
	v_cmpx_lt_u32_e32 5, v0
	s_cbranch_execz .LBB85_135
; %bb.134:
	v_mov_b32_e32 v3, s28
	s_clause 0x3
	buffer_load_dword v49, v3, s[0:3], 0 offen
	buffer_load_dword v50, v3, s[0:3], 0 offen offset:4
	buffer_load_dword v51, v3, s[0:3], 0 offen offset:8
	;; [unrolled: 1-line block ×3, first 2 shown]
	buffer_store_dword v2, off, s[0:3], 0 offset:96
	buffer_store_dword v2, off, s[0:3], 0 offset:100
	;; [unrolled: 1-line block ×4, first 2 shown]
	s_waitcnt vmcnt(0)
	ds_write_b128 v1, v[49:52]
.LBB85_135:
	s_or_b32 exec_lo, exec_lo, s4
	s_waitcnt lgkmcnt(0)
	s_waitcnt_vscnt null, 0x0
	s_barrier
	buffer_gl0_inv
	s_clause 0x37
	buffer_load_dword v3, off, s[0:3], 0 offset:120
	buffer_load_dword v4, off, s[0:3], 0 offset:124
	buffer_load_dword v61, off, s[0:3], 0 offset:136
	buffer_load_dword v62, off, s[0:3], 0 offset:140
	buffer_load_dword v63, off, s[0:3], 0 offset:112
	buffer_load_dword v64, off, s[0:3], 0 offset:116
	buffer_load_dword v65, off, s[0:3], 0 offset:152
	buffer_load_dword v66, off, s[0:3], 0 offset:156
	buffer_load_dword v67, off, s[0:3], 0 offset:128
	buffer_load_dword v68, off, s[0:3], 0 offset:132
	buffer_load_dword v70, off, s[0:3], 0 offset:172
	buffer_load_dword v71, off, s[0:3], 0 offset:184
	buffer_load_dword v73, off, s[0:3], 0 offset:176
	buffer_load_dword v69, off, s[0:3], 0 offset:168
	buffer_load_dword v75, off, s[0:3], 0 offset:144
	buffer_load_dword v76, off, s[0:3], 0 offset:148
	buffer_load_dword v72, off, s[0:3], 0 offset:188
	buffer_load_dword v78, off, s[0:3], 0 offset:164
	buffer_load_dword v77, off, s[0:3], 0 offset:160
	buffer_load_dword v80, off, s[0:3], 0 offset:204
	buffer_load_dword v81, off, s[0:3], 0 offset:216
	buffer_load_dword v83, off, s[0:3], 0 offset:208
	buffer_load_dword v79, off, s[0:3], 0 offset:200
	buffer_load_dword v74, off, s[0:3], 0 offset:180
	buffer_load_dword v82, off, s[0:3], 0 offset:220
	buffer_load_dword v86, off, s[0:3], 0 offset:196
	buffer_load_dword v85, off, s[0:3], 0 offset:192
	buffer_load_dword v88, off, s[0:3], 0 offset:236
	buffer_load_dword v89, off, s[0:3], 0 offset:248
	buffer_load_dword v91, off, s[0:3], 0 offset:240
	buffer_load_dword v87, off, s[0:3], 0 offset:232
	buffer_load_dword v84, off, s[0:3], 0 offset:212
	buffer_load_dword v90, off, s[0:3], 0 offset:252
	buffer_load_dword v94, off, s[0:3], 0 offset:228
	buffer_load_dword v93, off, s[0:3], 0 offset:224
	buffer_load_dword v96, off, s[0:3], 0 offset:268
	buffer_load_dword v97, off, s[0:3], 0 offset:280
	buffer_load_dword v99, off, s[0:3], 0 offset:272
	buffer_load_dword v95, off, s[0:3], 0 offset:264
	buffer_load_dword v92, off, s[0:3], 0 offset:244
	buffer_load_dword v98, off, s[0:3], 0 offset:284
	buffer_load_dword v102, off, s[0:3], 0 offset:260
	buffer_load_dword v101, off, s[0:3], 0 offset:256
	buffer_load_dword v104, off, s[0:3], 0 offset:300
	buffer_load_dword v105, off, s[0:3], 0 offset:312
	buffer_load_dword v107, off, s[0:3], 0 offset:304
	buffer_load_dword v103, off, s[0:3], 0 offset:296
	buffer_load_dword v100, off, s[0:3], 0 offset:276
	buffer_load_dword v106, off, s[0:3], 0 offset:316
	buffer_load_dword v110, off, s[0:3], 0 offset:292
	buffer_load_dword v109, off, s[0:3], 0 offset:288
	buffer_load_dword v112, off, s[0:3], 0 offset:332
	buffer_load_dword v113, off, s[0:3], 0 offset:344
	buffer_load_dword v115, off, s[0:3], 0 offset:336
	buffer_load_dword v111, off, s[0:3], 0 offset:328
	buffer_load_dword v108, off, s[0:3], 0 offset:308
	ds_read_b128 v[49:52], v2 offset:448
	s_clause 0x2
	buffer_load_dword v114, off, s[0:3], 0 offset:348
	buffer_load_dword v118, off, s[0:3], 0 offset:324
	;; [unrolled: 1-line block ×3, first 2 shown]
	ds_read_b128 v[53:56], v2 offset:464
	s_clause 0x2
	buffer_load_dword v122, off, s[0:3], 0 offset:364
	buffer_load_dword v121, off, s[0:3], 0 offset:360
	;; [unrolled: 1-line block ×3, first 2 shown]
	ds_read_b128 v[57:60], v2 offset:480
	s_mov_b32 s4, exec_lo
	s_waitcnt vmcnt(60) lgkmcnt(2)
	v_mul_f64 v[119:120], v[51:52], v[3:4]
	v_mul_f64 v[3:4], v[49:50], v[3:4]
	s_waitcnt vmcnt(58) lgkmcnt(1)
	v_mul_f64 v[123:124], v[55:56], v[61:62]
	v_mul_f64 v[61:62], v[53:54], v[61:62]
	;; [unrolled: 3-line block ×3, first 2 shown]
	v_fma_f64 v[119:120], v[49:50], v[63:64], -v[119:120]
	v_fma_f64 v[3:4], v[51:52], v[63:64], v[3:4]
	s_clause 0x1
	buffer_load_dword v64, off, s[0:3], 0 offset:356
	buffer_load_dword v63, off, s[0:3], 0 offset:352
	s_waitcnt vmcnt(54)
	v_fma_f64 v[123:124], v[53:54], v[67:68], -v[123:124]
	ds_read_b128 v[49:52], v2 offset:496
	v_fma_f64 v[61:62], v[55:56], v[67:68], v[61:62]
	ds_read_b128 v[53:56], v2 offset:512
	s_waitcnt vmcnt(48)
	v_fma_f64 v[65:66], v[57:58], v[75:76], -v[65:66]
	v_fma_f64 v[75:76], v[59:60], v[75:76], v[125:126]
	v_add_f64 v[119:120], v[119:120], 0
	v_add_f64 v[3:4], v[3:4], 0
	s_waitcnt lgkmcnt(1)
	v_mul_f64 v[67:68], v[49:50], v[69:70]
	v_mul_f64 v[69:70], v[51:52], v[69:70]
	s_waitcnt vmcnt(47) lgkmcnt(0)
	v_mul_f64 v[125:126], v[53:54], v[71:72]
	v_mul_f64 v[71:72], v[55:56], v[71:72]
	v_add_f64 v[119:120], v[119:120], v[123:124]
	v_add_f64 v[3:4], v[3:4], v[61:62]
	s_clause 0x3
	buffer_load_dword v61, off, s[0:3], 0 offset:96
	buffer_load_dword v62, off, s[0:3], 0 offset:100
	;; [unrolled: 1-line block ×4, first 2 shown]
	s_waitcnt vmcnt(49)
	v_fma_f64 v[69:70], v[49:50], v[77:78], -v[69:70]
	ds_read_b128 v[57:60], v2 offset:528
	v_fma_f64 v[67:68], v[51:52], v[77:78], v[67:68]
	ds_read_b128 v[49:52], v2 offset:544
	s_waitcnt vmcnt(44)
	v_fma_f64 v[71:72], v[53:54], v[73:74], -v[71:72]
	v_add_f64 v[65:66], v[119:120], v[65:66]
	v_add_f64 v[3:4], v[3:4], v[75:76]
	s_waitcnt lgkmcnt(1)
	v_mul_f64 v[77:78], v[59:60], v[79:80]
	v_mul_f64 v[75:76], v[57:58], v[79:80]
	v_add_f64 v[65:66], v[65:66], v[69:70]
	v_fma_f64 v[69:70], v[55:56], v[73:74], v[125:126]
	v_add_f64 v[3:4], v[3:4], v[67:68]
	s_waitcnt vmcnt(43) lgkmcnt(0)
	v_mul_f64 v[73:74], v[51:52], v[81:82]
	s_waitcnt vmcnt(41)
	v_fma_f64 v[77:78], v[57:58], v[85:86], -v[77:78]
	ds_read_b128 v[53:56], v2 offset:560
	v_mul_f64 v[67:68], v[49:50], v[81:82]
	v_add_f64 v[65:66], v[65:66], v[71:72]
	v_fma_f64 v[71:72], v[59:60], v[85:86], v[75:76]
	v_add_f64 v[3:4], v[3:4], v[69:70]
	ds_read_b128 v[57:60], v2 offset:576
	s_waitcnt vmcnt(37) lgkmcnt(1)
	v_mul_f64 v[75:76], v[55:56], v[87:88]
	s_waitcnt vmcnt(36)
	v_fma_f64 v[73:74], v[49:50], v[83:84], -v[73:74]
	v_mul_f64 v[69:70], v[53:54], v[87:88]
	v_fma_f64 v[67:68], v[51:52], v[83:84], v[67:68]
	ds_read_b128 v[49:52], v2 offset:592
	v_add_f64 v[65:66], v[65:66], v[77:78]
	s_waitcnt vmcnt(35) lgkmcnt(1)
	v_mul_f64 v[77:78], v[59:60], v[89:90]
	v_add_f64 v[3:4], v[3:4], v[71:72]
	v_mul_f64 v[71:72], v[57:58], v[89:90]
	s_waitcnt vmcnt(33)
	v_fma_f64 v[75:76], v[53:54], v[93:94], -v[75:76]
	v_fma_f64 v[69:70], v[55:56], v[93:94], v[69:70]
	ds_read_b128 v[53:56], v2 offset:608
	v_add_f64 v[65:66], v[65:66], v[73:74]
	s_waitcnt vmcnt(29) lgkmcnt(1)
	v_mul_f64 v[73:74], v[51:52], v[95:96]
	v_add_f64 v[3:4], v[3:4], v[67:68]
	s_waitcnt vmcnt(28)
	v_fma_f64 v[77:78], v[57:58], v[91:92], -v[77:78]
	v_mul_f64 v[67:68], v[49:50], v[95:96]
	v_fma_f64 v[71:72], v[59:60], v[91:92], v[71:72]
	ds_read_b128 v[57:60], v2 offset:624
	v_add_f64 v[65:66], v[65:66], v[75:76]
	s_waitcnt vmcnt(27) lgkmcnt(1)
	v_mul_f64 v[75:76], v[55:56], v[97:98]
	v_add_f64 v[3:4], v[3:4], v[69:70]
	s_waitcnt vmcnt(25)
	v_fma_f64 v[73:74], v[49:50], v[101:102], -v[73:74]
	v_mul_f64 v[69:70], v[53:54], v[97:98]
	;; [unrolled: 9-line block ×6, first 2 shown]
	v_fma_f64 v[55:56], v[55:56], v[117:118], v[69:70]
	s_waitcnt vmcnt(7) lgkmcnt(0)
	v_mul_f64 v[69:70], v[51:52], v[121:122]
	v_add_f64 v[65:66], v[65:66], v[73:74]
	s_waitcnt vmcnt(6)
	v_fma_f64 v[57:58], v[57:58], v[115:116], -v[77:78]
	v_add_f64 v[2:3], v[3:4], v[67:68]
	v_mul_f64 v[67:68], v[49:50], v[121:122]
	v_fma_f64 v[59:60], v[59:60], v[115:116], v[71:72]
	v_add_f64 v[53:54], v[65:66], v[53:54]
	v_add_f64 v[2:3], v[2:3], v[55:56]
	s_waitcnt vmcnt(4)
	v_fma_f64 v[49:50], v[49:50], v[63:64], -v[69:70]
	v_fma_f64 v[51:52], v[51:52], v[63:64], v[67:68]
	v_add_f64 v[53:54], v[53:54], v[57:58]
	v_add_f64 v[2:3], v[2:3], v[59:60]
	;; [unrolled: 1-line block ×4, first 2 shown]
	s_waitcnt vmcnt(2)
	v_add_f64 v[49:50], v[61:62], -v[49:50]
	s_waitcnt vmcnt(0)
	v_add_f64 v[2:3], v[123:124], -v[2:3]
	buffer_store_dword v50, off, s[0:3], 0 offset:100
	buffer_store_dword v49, off, s[0:3], 0 offset:96
	;; [unrolled: 1-line block ×4, first 2 shown]
	v_cmpx_lt_u32_e32 4, v0
	s_cbranch_execz .LBB85_137
; %bb.136:
	v_mov_b32_e32 v2, s29
	s_clause 0x3
	buffer_load_dword v49, v2, s[0:3], 0 offen
	buffer_load_dword v50, v2, s[0:3], 0 offen offset:4
	buffer_load_dword v51, v2, s[0:3], 0 offen offset:8
	;; [unrolled: 1-line block ×3, first 2 shown]
	v_mov_b32_e32 v2, 0
	buffer_store_dword v2, off, s[0:3], 0 offset:80
	buffer_store_dword v2, off, s[0:3], 0 offset:84
	;; [unrolled: 1-line block ×4, first 2 shown]
	s_waitcnt vmcnt(0)
	ds_write_b128 v1, v[49:52]
.LBB85_137:
	s_or_b32 exec_lo, exec_lo, s4
	s_waitcnt lgkmcnt(0)
	s_waitcnt_vscnt null, 0x0
	s_barrier
	buffer_gl0_inv
	s_clause 0x37
	buffer_load_dword v3, off, s[0:3], 0 offset:104
	buffer_load_dword v4, off, s[0:3], 0 offset:108
	;; [unrolled: 1-line block ×56, first 2 shown]
	v_mov_b32_e32 v2, 0
	s_mov_b32 s4, exec_lo
	ds_read_b128 v[49:52], v2 offset:432
	s_clause 0x2
	buffer_load_dword v114, off, s[0:3], 0 offset:332
	buffer_load_dword v118, off, s[0:3], 0 offset:308
	;; [unrolled: 1-line block ×3, first 2 shown]
	ds_read_b128 v[53:56], v2 offset:448
	s_clause 0x4
	buffer_load_dword v122, off, s[0:3], 0 offset:348
	buffer_load_dword v123, off, s[0:3], 0 offset:360
	;; [unrolled: 1-line block ×5, first 2 shown]
	ds_read_b128 v[57:60], v2 offset:464
	s_waitcnt vmcnt(62) lgkmcnt(2)
	v_mul_f64 v[119:120], v[51:52], v[3:4]
	v_mul_f64 v[3:4], v[49:50], v[3:4]
	s_waitcnt vmcnt(60) lgkmcnt(1)
	v_mul_f64 v[126:127], v[55:56], v[61:62]
	v_mul_f64 v[61:62], v[53:54], v[61:62]
	;; [unrolled: 3-line block ×3, first 2 shown]
	v_fma_f64 v[119:120], v[49:50], v[63:64], -v[119:120]
	v_fma_f64 v[3:4], v[51:52], v[63:64], v[3:4]
	s_clause 0x2
	buffer_load_dword v124, off, s[0:3], 0 offset:364
	buffer_load_dword v64, off, s[0:3], 0 offset:340
	;; [unrolled: 1-line block ×3, first 2 shown]
	s_waitcnt vmcnt(57)
	v_fma_f64 v[130:131], v[53:54], v[67:68], -v[126:127]
	ds_read_b128 v[49:52], v2 offset:480
	v_fma_f64 v[61:62], v[55:56], v[67:68], v[61:62]
	buffer_load_dword v126, off, s[0:3], 0 offset:356
	ds_read_b128 v[53:56], v2 offset:496
	s_waitcnt vmcnt(52)
	v_fma_f64 v[65:66], v[57:58], v[75:76], -v[65:66]
	v_fma_f64 v[75:76], v[59:60], v[75:76], v[128:129]
	ds_read_b128 v[57:60], v2 offset:512
	v_add_f64 v[119:120], v[119:120], 0
	v_add_f64 v[3:4], v[3:4], 0
	s_waitcnt lgkmcnt(2)
	v_mul_f64 v[67:68], v[49:50], v[69:70]
	v_mul_f64 v[69:70], v[51:52], v[69:70]
	v_add_f64 v[119:120], v[119:120], v[130:131]
	v_add_f64 v[3:4], v[3:4], v[61:62]
	s_waitcnt vmcnt(51) lgkmcnt(1)
	v_mul_f64 v[61:62], v[53:54], v[71:72]
	v_mul_f64 v[71:72], v[55:56], v[71:72]
	s_waitcnt vmcnt(49)
	v_fma_f64 v[69:70], v[49:50], v[77:78], -v[69:70]
	v_fma_f64 v[67:68], v[51:52], v[77:78], v[67:68]
	v_add_f64 v[65:66], v[119:120], v[65:66]
	v_add_f64 v[3:4], v[3:4], v[75:76]
	s_clause 0x3
	buffer_load_dword v75, off, s[0:3], 0 offset:80
	buffer_load_dword v76, off, s[0:3], 0 offset:84
	;; [unrolled: 1-line block ×4, first 2 shown]
	s_waitcnt vmcnt(49) lgkmcnt(0)
	v_mul_f64 v[119:120], v[57:58], v[79:80]
	v_mul_f64 v[79:80], v[59:60], v[79:80]
	s_waitcnt vmcnt(48)
	v_fma_f64 v[71:72], v[53:54], v[73:74], -v[71:72]
	ds_read_b128 v[49:52], v2 offset:528
	v_fma_f64 v[61:62], v[55:56], v[73:74], v[61:62]
	ds_read_b128 v[53:56], v2 offset:544
	v_add_f64 v[65:66], v[65:66], v[69:70]
	v_add_f64 v[3:4], v[3:4], v[67:68]
	s_waitcnt vmcnt(47) lgkmcnt(1)
	v_mul_f64 v[69:70], v[51:52], v[81:82]
	s_waitcnt vmcnt(45)
	v_fma_f64 v[73:74], v[57:58], v[85:86], -v[79:80]
	v_mul_f64 v[67:68], v[49:50], v[81:82]
	s_waitcnt vmcnt(41) lgkmcnt(0)
	v_mul_f64 v[79:80], v[55:56], v[87:88]
	v_add_f64 v[65:66], v[65:66], v[71:72]
	v_fma_f64 v[71:72], v[59:60], v[85:86], v[119:120]
	v_add_f64 v[3:4], v[3:4], v[61:62]
	ds_read_b128 v[57:60], v2 offset:560
	s_waitcnt vmcnt(40)
	v_fma_f64 v[69:70], v[49:50], v[83:84], -v[69:70]
	v_mul_f64 v[61:62], v[53:54], v[87:88]
	v_fma_f64 v[67:68], v[51:52], v[83:84], v[67:68]
	ds_read_b128 v[49:52], v2 offset:576
	s_waitcnt vmcnt(37)
	v_fma_f64 v[79:80], v[53:54], v[93:94], -v[79:80]
	v_add_f64 v[65:66], v[65:66], v[73:74]
	s_waitcnt lgkmcnt(1)
	v_mul_f64 v[73:74], v[59:60], v[89:90]
	v_add_f64 v[3:4], v[3:4], v[71:72]
	v_mul_f64 v[71:72], v[57:58], v[89:90]
	v_fma_f64 v[61:62], v[55:56], v[93:94], v[61:62]
	ds_read_b128 v[53:56], v2 offset:592
	v_add_f64 v[65:66], v[65:66], v[69:70]
	s_waitcnt vmcnt(33) lgkmcnt(1)
	v_mul_f64 v[69:70], v[51:52], v[95:96]
	v_add_f64 v[3:4], v[3:4], v[67:68]
	s_waitcnt vmcnt(32)
	v_fma_f64 v[73:74], v[57:58], v[91:92], -v[73:74]
	v_mul_f64 v[67:68], v[49:50], v[95:96]
	v_fma_f64 v[71:72], v[59:60], v[91:92], v[71:72]
	ds_read_b128 v[57:60], v2 offset:608
	v_add_f64 v[65:66], v[65:66], v[79:80]
	s_waitcnt vmcnt(31) lgkmcnt(1)
	v_mul_f64 v[79:80], v[55:56], v[97:98]
	v_add_f64 v[3:4], v[3:4], v[61:62]
	s_waitcnt vmcnt(29)
	v_fma_f64 v[69:70], v[49:50], v[101:102], -v[69:70]
	;; [unrolled: 9-line block ×7, first 2 shown]
	v_mul_f64 v[67:68], v[49:50], v[121:122]
	v_fma_f64 v[59:60], v[59:60], v[115:116], v[71:72]
	v_add_f64 v[65:66], v[65:66], v[79:80]
	v_add_f64 v[3:4], v[3:4], v[61:62]
	s_waitcnt vmcnt(7) lgkmcnt(0)
	v_mul_f64 v[71:72], v[55:56], v[123:124]
	v_mul_f64 v[61:62], v[53:54], v[123:124]
	s_waitcnt vmcnt(5)
	v_fma_f64 v[49:50], v[49:50], v[63:64], -v[69:70]
	v_fma_f64 v[51:52], v[51:52], v[63:64], v[67:68]
	v_add_f64 v[57:58], v[65:66], v[57:58]
	v_add_f64 v[3:4], v[3:4], v[59:60]
	s_waitcnt vmcnt(4)
	v_fma_f64 v[53:54], v[53:54], v[125:126], -v[71:72]
	v_fma_f64 v[55:56], v[55:56], v[125:126], v[61:62]
	v_add_f64 v[49:50], v[57:58], v[49:50]
	v_add_f64 v[3:4], v[3:4], v[51:52]
	;; [unrolled: 1-line block ×4, first 2 shown]
	s_waitcnt vmcnt(2)
	v_add_f64 v[49:50], v[75:76], -v[49:50]
	s_waitcnt vmcnt(0)
	v_add_f64 v[3:4], v[77:78], -v[3:4]
	buffer_store_dword v50, off, s[0:3], 0 offset:84
	buffer_store_dword v49, off, s[0:3], 0 offset:80
	;; [unrolled: 1-line block ×4, first 2 shown]
	v_cmpx_lt_u32_e32 3, v0
	s_cbranch_execz .LBB85_139
; %bb.138:
	v_mov_b32_e32 v3, s30
	s_clause 0x3
	buffer_load_dword v49, v3, s[0:3], 0 offen
	buffer_load_dword v50, v3, s[0:3], 0 offen offset:4
	buffer_load_dword v51, v3, s[0:3], 0 offen offset:8
	;; [unrolled: 1-line block ×3, first 2 shown]
	buffer_store_dword v2, off, s[0:3], 0 offset:64
	buffer_store_dword v2, off, s[0:3], 0 offset:68
	;; [unrolled: 1-line block ×4, first 2 shown]
	s_waitcnt vmcnt(0)
	ds_write_b128 v1, v[49:52]
.LBB85_139:
	s_or_b32 exec_lo, exec_lo, s4
	s_waitcnt lgkmcnt(0)
	s_waitcnt_vscnt null, 0x0
	s_barrier
	buffer_gl0_inv
	s_clause 0x37
	buffer_load_dword v3, off, s[0:3], 0 offset:88
	buffer_load_dword v4, off, s[0:3], 0 offset:92
	;; [unrolled: 1-line block ×56, first 2 shown]
	ds_read_b128 v[49:52], v2 offset:416
	s_clause 0x2
	buffer_load_dword v114, off, s[0:3], 0 offset:316
	buffer_load_dword v118, off, s[0:3], 0 offset:292
	;; [unrolled: 1-line block ×3, first 2 shown]
	ds_read_b128 v[53:56], v2 offset:432
	s_clause 0x4
	buffer_load_dword v122, off, s[0:3], 0 offset:332
	buffer_load_dword v123, off, s[0:3], 0 offset:344
	;; [unrolled: 1-line block ×5, first 2 shown]
	ds_read_b128 v[57:60], v2 offset:448
	s_mov_b32 s4, exec_lo
	s_waitcnt vmcnt(62) lgkmcnt(2)
	v_mul_f64 v[119:120], v[51:52], v[3:4]
	v_mul_f64 v[3:4], v[49:50], v[3:4]
	s_waitcnt vmcnt(60) lgkmcnt(1)
	v_mul_f64 v[126:127], v[55:56], v[61:62]
	v_mul_f64 v[61:62], v[53:54], v[61:62]
	;; [unrolled: 3-line block ×3, first 2 shown]
	v_fma_f64 v[119:120], v[49:50], v[63:64], -v[119:120]
	v_fma_f64 v[3:4], v[51:52], v[63:64], v[3:4]
	s_clause 0x2
	buffer_load_dword v124, off, s[0:3], 0 offset:348
	buffer_load_dword v64, off, s[0:3], 0 offset:324
	;; [unrolled: 1-line block ×3, first 2 shown]
	s_waitcnt vmcnt(57)
	v_fma_f64 v[130:131], v[53:54], v[67:68], -v[126:127]
	ds_read_b128 v[49:52], v2 offset:464
	v_fma_f64 v[61:62], v[55:56], v[67:68], v[61:62]
	s_clause 0x2
	buffer_load_dword v68, off, s[0:3], 0 offset:364
	buffer_load_dword v67, off, s[0:3], 0 offset:360
	;; [unrolled: 1-line block ×3, first 2 shown]
	s_waitcnt vmcnt(54)
	v_fma_f64 v[65:66], v[57:58], v[75:76], -v[65:66]
	ds_read_b128 v[53:56], v2 offset:480
	v_fma_f64 v[75:76], v[59:60], v[75:76], v[128:129]
	v_add_f64 v[119:120], v[119:120], 0
	v_add_f64 v[3:4], v[3:4], 0
	s_waitcnt lgkmcnt(1)
	v_mul_f64 v[132:133], v[49:50], v[69:70]
	v_mul_f64 v[69:70], v[51:52], v[69:70]
	s_waitcnt vmcnt(53) lgkmcnt(0)
	v_mul_f64 v[127:128], v[53:54], v[71:72]
	v_mul_f64 v[71:72], v[55:56], v[71:72]
	v_add_f64 v[119:120], v[119:120], v[130:131]
	v_add_f64 v[3:4], v[3:4], v[61:62]
	s_clause 0x1
	buffer_load_dword v62, off, s[0:3], 0 offset:356
	buffer_load_dword v61, off, s[0:3], 0 offset:352
	s_waitcnt vmcnt(53)
	v_fma_f64 v[69:70], v[49:50], v[77:78], -v[69:70]
	ds_read_b128 v[57:60], v2 offset:496
	v_fma_f64 v[77:78], v[51:52], v[77:78], v[132:133]
	ds_read_b128 v[49:52], v2 offset:512
	s_waitcnt vmcnt(48)
	v_fma_f64 v[71:72], v[53:54], v[73:74], -v[71:72]
	v_add_f64 v[65:66], v[119:120], v[65:66]
	v_add_f64 v[3:4], v[3:4], v[75:76]
	s_waitcnt lgkmcnt(1)
	v_mul_f64 v[75:76], v[57:58], v[79:80]
	v_mul_f64 v[79:80], v[59:60], v[79:80]
	s_waitcnt vmcnt(47) lgkmcnt(0)
	v_mul_f64 v[119:120], v[49:50], v[81:82]
	v_mul_f64 v[81:82], v[51:52], v[81:82]
	v_add_f64 v[65:66], v[65:66], v[69:70]
	v_fma_f64 v[69:70], v[55:56], v[73:74], v[127:128]
	v_add_f64 v[3:4], v[3:4], v[77:78]
	s_clause 0x3
	buffer_load_dword v73, off, s[0:3], 0 offset:64
	buffer_load_dword v74, off, s[0:3], 0 offset:68
	;; [unrolled: 1-line block ×4, first 2 shown]
	s_waitcnt vmcnt(49)
	v_fma_f64 v[79:80], v[57:58], v[85:86], -v[79:80]
	ds_read_b128 v[53:56], v2 offset:528
	s_waitcnt vmcnt(44)
	v_fma_f64 v[81:82], v[49:50], v[83:84], -v[81:82]
	v_add_f64 v[65:66], v[65:66], v[71:72]
	v_fma_f64 v[71:72], v[59:60], v[85:86], v[75:76]
	v_add_f64 v[3:4], v[3:4], v[69:70]
	ds_read_b128 v[57:60], v2 offset:544
	s_waitcnt lgkmcnt(1)
	v_mul_f64 v[75:76], v[55:56], v[87:88]
	v_mul_f64 v[69:70], v[53:54], v[87:88]
	v_add_f64 v[65:66], v[65:66], v[79:80]
	v_fma_f64 v[79:80], v[51:52], v[83:84], v[119:120]
	v_add_f64 v[3:4], v[3:4], v[71:72]
	s_waitcnt vmcnt(43) lgkmcnt(0)
	v_mul_f64 v[83:84], v[59:60], v[89:90]
	s_waitcnt vmcnt(41)
	v_fma_f64 v[75:76], v[53:54], v[93:94], -v[75:76]
	ds_read_b128 v[49:52], v2 offset:560
	v_mul_f64 v[71:72], v[57:58], v[89:90]
	v_fma_f64 v[69:70], v[55:56], v[93:94], v[69:70]
	ds_read_b128 v[53:56], v2 offset:576
	v_add_f64 v[65:66], v[65:66], v[81:82]
	v_add_f64 v[3:4], v[3:4], v[79:80]
	s_waitcnt vmcnt(37) lgkmcnt(1)
	v_mul_f64 v[81:82], v[51:52], v[95:96]
	s_waitcnt vmcnt(36)
	v_fma_f64 v[83:84], v[57:58], v[91:92], -v[83:84]
	v_mul_f64 v[79:80], v[49:50], v[95:96]
	v_fma_f64 v[71:72], v[59:60], v[91:92], v[71:72]
	ds_read_b128 v[57:60], v2 offset:592
	v_add_f64 v[65:66], v[65:66], v[75:76]
	s_waitcnt vmcnt(35) lgkmcnt(1)
	v_mul_f64 v[75:76], v[55:56], v[97:98]
	v_add_f64 v[3:4], v[3:4], v[69:70]
	s_waitcnt vmcnt(33)
	v_fma_f64 v[81:82], v[49:50], v[101:102], -v[81:82]
	v_mul_f64 v[69:70], v[53:54], v[97:98]
	v_fma_f64 v[79:80], v[51:52], v[101:102], v[79:80]
	ds_read_b128 v[49:52], v2 offset:608
	v_add_f64 v[65:66], v[65:66], v[83:84]
	s_waitcnt vmcnt(29) lgkmcnt(1)
	v_mul_f64 v[83:84], v[59:60], v[103:104]
	v_add_f64 v[3:4], v[3:4], v[71:72]
	;; [unrolled: 9-line block ×6, first 2 shown]
	s_waitcnt vmcnt(12)
	v_fma_f64 v[83:84], v[57:58], v[115:116], -v[83:84]
	v_mul_f64 v[79:80], v[49:50], v[121:122]
	v_fma_f64 v[71:72], v[59:60], v[115:116], v[71:72]
	ds_read_b128 v[57:60], v2 offset:688
	v_add_f64 v[65:66], v[65:66], v[75:76]
	v_add_f64 v[3:4], v[3:4], v[69:70]
	s_waitcnt vmcnt(11) lgkmcnt(1)
	v_mul_f64 v[75:76], v[55:56], v[123:124]
	v_mul_f64 v[69:70], v[53:54], v[123:124]
	s_waitcnt vmcnt(9)
	v_fma_f64 v[49:50], v[49:50], v[63:64], -v[81:82]
	v_fma_f64 v[51:52], v[51:52], v[63:64], v[79:80]
	s_waitcnt vmcnt(7) lgkmcnt(0)
	v_mul_f64 v[63:64], v[57:58], v[67:68]
	v_mul_f64 v[67:68], v[59:60], v[67:68]
	v_add_f64 v[65:66], v[65:66], v[83:84]
	v_add_f64 v[2:3], v[3:4], v[71:72]
	s_waitcnt vmcnt(6)
	v_fma_f64 v[53:54], v[53:54], v[125:126], -v[75:76]
	v_fma_f64 v[55:56], v[55:56], v[125:126], v[69:70]
	v_add_f64 v[49:50], v[65:66], v[49:50]
	v_add_f64 v[2:3], v[2:3], v[51:52]
	s_waitcnt vmcnt(4)
	v_fma_f64 v[51:52], v[57:58], v[61:62], -v[67:68]
	v_add_f64 v[49:50], v[49:50], v[53:54]
	v_fma_f64 v[53:54], v[59:60], v[61:62], v[63:64]
	v_add_f64 v[2:3], v[2:3], v[55:56]
	v_add_f64 v[49:50], v[49:50], v[51:52]
	;; [unrolled: 1-line block ×3, first 2 shown]
	s_waitcnt vmcnt(2)
	v_add_f64 v[49:50], v[73:74], -v[49:50]
	s_waitcnt vmcnt(0)
	v_add_f64 v[2:3], v[77:78], -v[2:3]
	buffer_store_dword v50, off, s[0:3], 0 offset:68
	buffer_store_dword v49, off, s[0:3], 0 offset:64
	;; [unrolled: 1-line block ×4, first 2 shown]
	v_cmpx_lt_u32_e32 2, v0
	s_cbranch_execz .LBB85_141
; %bb.140:
	v_mov_b32_e32 v2, s31
	s_clause 0x3
	buffer_load_dword v49, v2, s[0:3], 0 offen
	buffer_load_dword v50, v2, s[0:3], 0 offen offset:4
	buffer_load_dword v51, v2, s[0:3], 0 offen offset:8
	;; [unrolled: 1-line block ×3, first 2 shown]
	v_mov_b32_e32 v2, 0
	buffer_store_dword v2, off, s[0:3], 0 offset:48
	buffer_store_dword v2, off, s[0:3], 0 offset:52
	;; [unrolled: 1-line block ×4, first 2 shown]
	s_waitcnt vmcnt(0)
	ds_write_b128 v1, v[49:52]
.LBB85_141:
	s_or_b32 exec_lo, exec_lo, s4
	s_waitcnt lgkmcnt(0)
	s_waitcnt_vscnt null, 0x0
	s_barrier
	buffer_gl0_inv
	s_clause 0x37
	buffer_load_dword v3, off, s[0:3], 0 offset:72
	buffer_load_dword v4, off, s[0:3], 0 offset:76
	buffer_load_dword v61, off, s[0:3], 0 offset:88
	buffer_load_dword v62, off, s[0:3], 0 offset:92
	buffer_load_dword v63, off, s[0:3], 0 offset:64
	buffer_load_dword v64, off, s[0:3], 0 offset:68
	buffer_load_dword v65, off, s[0:3], 0 offset:104
	buffer_load_dword v66, off, s[0:3], 0 offset:108
	buffer_load_dword v67, off, s[0:3], 0 offset:80
	buffer_load_dword v68, off, s[0:3], 0 offset:84
	buffer_load_dword v70, off, s[0:3], 0 offset:124
	buffer_load_dword v71, off, s[0:3], 0 offset:136
	buffer_load_dword v73, off, s[0:3], 0 offset:128
	buffer_load_dword v69, off, s[0:3], 0 offset:120
	buffer_load_dword v75, off, s[0:3], 0 offset:96
	buffer_load_dword v76, off, s[0:3], 0 offset:100
	buffer_load_dword v72, off, s[0:3], 0 offset:140
	buffer_load_dword v78, off, s[0:3], 0 offset:116
	buffer_load_dword v77, off, s[0:3], 0 offset:112
	buffer_load_dword v80, off, s[0:3], 0 offset:156
	buffer_load_dword v81, off, s[0:3], 0 offset:168
	buffer_load_dword v83, off, s[0:3], 0 offset:160
	buffer_load_dword v79, off, s[0:3], 0 offset:152
	buffer_load_dword v74, off, s[0:3], 0 offset:132
	buffer_load_dword v82, off, s[0:3], 0 offset:172
	buffer_load_dword v86, off, s[0:3], 0 offset:148
	buffer_load_dword v85, off, s[0:3], 0 offset:144
	buffer_load_dword v88, off, s[0:3], 0 offset:188
	buffer_load_dword v89, off, s[0:3], 0 offset:200
	buffer_load_dword v91, off, s[0:3], 0 offset:192
	buffer_load_dword v87, off, s[0:3], 0 offset:184
	buffer_load_dword v84, off, s[0:3], 0 offset:164
	buffer_load_dword v90, off, s[0:3], 0 offset:204
	buffer_load_dword v94, off, s[0:3], 0 offset:180
	buffer_load_dword v93, off, s[0:3], 0 offset:176
	buffer_load_dword v96, off, s[0:3], 0 offset:220
	buffer_load_dword v97, off, s[0:3], 0 offset:232
	buffer_load_dword v99, off, s[0:3], 0 offset:224
	buffer_load_dword v95, off, s[0:3], 0 offset:216
	buffer_load_dword v92, off, s[0:3], 0 offset:196
	buffer_load_dword v98, off, s[0:3], 0 offset:236
	buffer_load_dword v102, off, s[0:3], 0 offset:212
	buffer_load_dword v101, off, s[0:3], 0 offset:208
	buffer_load_dword v104, off, s[0:3], 0 offset:252
	buffer_load_dword v105, off, s[0:3], 0 offset:264
	buffer_load_dword v107, off, s[0:3], 0 offset:256
	buffer_load_dword v103, off, s[0:3], 0 offset:248
	buffer_load_dword v100, off, s[0:3], 0 offset:228
	buffer_load_dword v106, off, s[0:3], 0 offset:268
	buffer_load_dword v110, off, s[0:3], 0 offset:244
	buffer_load_dword v109, off, s[0:3], 0 offset:240
	buffer_load_dword v112, off, s[0:3], 0 offset:284
	buffer_load_dword v113, off, s[0:3], 0 offset:296
	buffer_load_dword v115, off, s[0:3], 0 offset:288
	buffer_load_dword v111, off, s[0:3], 0 offset:280
	buffer_load_dword v108, off, s[0:3], 0 offset:260
	v_mov_b32_e32 v2, 0
	s_mov_b32 s4, exec_lo
	ds_read_b128 v[49:52], v2 offset:400
	s_clause 0x2
	buffer_load_dword v114, off, s[0:3], 0 offset:300
	buffer_load_dword v118, off, s[0:3], 0 offset:276
	;; [unrolled: 1-line block ×3, first 2 shown]
	ds_read_b128 v[53:56], v2 offset:416
	s_clause 0x4
	buffer_load_dword v122, off, s[0:3], 0 offset:316
	buffer_load_dword v123, off, s[0:3], 0 offset:328
	;; [unrolled: 1-line block ×5, first 2 shown]
	ds_read_b128 v[57:60], v2 offset:432
	s_waitcnt vmcnt(62) lgkmcnt(2)
	v_mul_f64 v[119:120], v[51:52], v[3:4]
	v_mul_f64 v[3:4], v[49:50], v[3:4]
	s_waitcnt vmcnt(60) lgkmcnt(1)
	v_mul_f64 v[126:127], v[55:56], v[61:62]
	v_mul_f64 v[61:62], v[53:54], v[61:62]
	;; [unrolled: 3-line block ×3, first 2 shown]
	v_fma_f64 v[119:120], v[49:50], v[63:64], -v[119:120]
	v_fma_f64 v[3:4], v[51:52], v[63:64], v[3:4]
	s_clause 0x2
	buffer_load_dword v124, off, s[0:3], 0 offset:332
	buffer_load_dword v64, off, s[0:3], 0 offset:308
	;; [unrolled: 1-line block ×3, first 2 shown]
	s_waitcnt vmcnt(57)
	v_fma_f64 v[130:131], v[53:54], v[67:68], -v[126:127]
	ds_read_b128 v[49:52], v2 offset:448
	v_fma_f64 v[61:62], v[55:56], v[67:68], v[61:62]
	s_clause 0x4
	buffer_load_dword v68, off, s[0:3], 0 offset:348
	buffer_load_dword v127, off, s[0:3], 0 offset:360
	;; [unrolled: 1-line block ×5, first 2 shown]
	s_waitcnt vmcnt(56)
	v_fma_f64 v[65:66], v[57:58], v[75:76], -v[65:66]
	ds_read_b128 v[53:56], v2 offset:464
	v_fma_f64 v[75:76], v[59:60], v[75:76], v[128:129]
	v_add_f64 v[119:120], v[119:120], 0
	v_add_f64 v[3:4], v[3:4], 0
	s_waitcnt lgkmcnt(1)
	v_mul_f64 v[133:134], v[49:50], v[69:70]
	v_mul_f64 v[69:70], v[51:52], v[69:70]
	v_add_f64 v[119:120], v[119:120], v[130:131]
	v_add_f64 v[3:4], v[3:4], v[61:62]
	s_clause 0x2
	buffer_load_dword v128, off, s[0:3], 0 offset:364
	buffer_load_dword v62, off, s[0:3], 0 offset:340
	;; [unrolled: 1-line block ×3, first 2 shown]
	s_waitcnt vmcnt(58) lgkmcnt(0)
	v_mul_f64 v[129:130], v[53:54], v[71:72]
	v_mul_f64 v[71:72], v[55:56], v[71:72]
	s_waitcnt vmcnt(56)
	v_fma_f64 v[69:70], v[49:50], v[77:78], -v[69:70]
	ds_read_b128 v[57:60], v2 offset:480
	v_fma_f64 v[77:78], v[51:52], v[77:78], v[133:134]
	buffer_load_dword v133, off, s[0:3], 0 offset:356
	ds_read_b128 v[49:52], v2 offset:496
	v_add_f64 v[65:66], v[119:120], v[65:66]
	v_add_f64 v[3:4], v[3:4], v[75:76]
	s_waitcnt vmcnt(53) lgkmcnt(1)
	v_mul_f64 v[75:76], v[57:58], v[79:80]
	v_mul_f64 v[79:80], v[59:60], v[79:80]
	s_waitcnt vmcnt(52)
	v_fma_f64 v[71:72], v[53:54], v[73:74], -v[71:72]
	v_add_f64 v[65:66], v[65:66], v[69:70]
	v_fma_f64 v[69:70], v[55:56], v[73:74], v[129:130]
	v_add_f64 v[3:4], v[3:4], v[77:78]
	s_waitcnt vmcnt(51) lgkmcnt(0)
	v_mul_f64 v[77:78], v[51:52], v[81:82]
	ds_read_b128 v[53:56], v2 offset:512
	s_waitcnt vmcnt(49)
	v_fma_f64 v[79:80], v[57:58], v[85:86], -v[79:80]
	v_mul_f64 v[73:74], v[49:50], v[81:82]
	v_add_f64 v[65:66], v[65:66], v[71:72]
	v_fma_f64 v[71:72], v[59:60], v[85:86], v[75:76]
	v_add_f64 v[3:4], v[3:4], v[69:70]
	s_clause 0x3
	buffer_load_dword v69, off, s[0:3], 0 offset:48
	buffer_load_dword v70, off, s[0:3], 0 offset:52
	;; [unrolled: 1-line block ×4, first 2 shown]
	s_waitcnt vmcnt(49) lgkmcnt(0)
	v_mul_f64 v[85:86], v[55:56], v[87:88]
	s_waitcnt vmcnt(48)
	v_fma_f64 v[77:78], v[49:50], v[83:84], -v[77:78]
	ds_read_b128 v[57:60], v2 offset:528
	v_mul_f64 v[81:82], v[53:54], v[87:88]
	v_fma_f64 v[73:74], v[51:52], v[83:84], v[73:74]
	ds_read_b128 v[49:52], v2 offset:544
	v_add_f64 v[65:66], v[65:66], v[79:80]
	v_add_f64 v[3:4], v[3:4], v[71:72]
	s_waitcnt vmcnt(47) lgkmcnt(1)
	v_mul_f64 v[79:80], v[59:60], v[89:90]
	s_waitcnt vmcnt(45)
	v_fma_f64 v[83:84], v[53:54], v[93:94], -v[85:86]
	v_mul_f64 v[71:72], v[57:58], v[89:90]
	v_add_f64 v[65:66], v[65:66], v[77:78]
	v_fma_f64 v[77:78], v[55:56], v[93:94], v[81:82]
	v_add_f64 v[3:4], v[3:4], v[73:74]
	s_waitcnt vmcnt(41) lgkmcnt(0)
	v_mul_f64 v[81:82], v[51:52], v[95:96]
	s_waitcnt vmcnt(40)
	v_fma_f64 v[79:80], v[57:58], v[91:92], -v[79:80]
	ds_read_b128 v[53:56], v2 offset:560
	v_mul_f64 v[73:74], v[49:50], v[95:96]
	v_fma_f64 v[71:72], v[59:60], v[91:92], v[71:72]
	ds_read_b128 v[57:60], v2 offset:576
	v_add_f64 v[65:66], v[65:66], v[83:84]
	v_add_f64 v[3:4], v[3:4], v[77:78]
	s_waitcnt vmcnt(39) lgkmcnt(1)
	v_mul_f64 v[83:84], v[55:56], v[97:98]
	s_waitcnt vmcnt(37)
	v_fma_f64 v[81:82], v[49:50], v[101:102], -v[81:82]
	v_mul_f64 v[77:78], v[53:54], v[97:98]
	v_fma_f64 v[73:74], v[51:52], v[101:102], v[73:74]
	ds_read_b128 v[49:52], v2 offset:592
	v_add_f64 v[65:66], v[65:66], v[79:80]
	s_waitcnt vmcnt(33) lgkmcnt(1)
	v_mul_f64 v[79:80], v[59:60], v[103:104]
	v_add_f64 v[3:4], v[3:4], v[71:72]
	s_waitcnt vmcnt(32)
	v_fma_f64 v[83:84], v[53:54], v[99:100], -v[83:84]
	v_mul_f64 v[71:72], v[57:58], v[103:104]
	v_fma_f64 v[77:78], v[55:56], v[99:100], v[77:78]
	ds_read_b128 v[53:56], v2 offset:608
	v_add_f64 v[65:66], v[65:66], v[81:82]
	s_waitcnt vmcnt(31) lgkmcnt(1)
	v_mul_f64 v[81:82], v[51:52], v[105:106]
	v_add_f64 v[3:4], v[3:4], v[73:74]
	;; [unrolled: 9-line block ×5, first 2 shown]
	s_waitcnt vmcnt(16)
	v_fma_f64 v[79:80], v[57:58], v[115:116], -v[79:80]
	v_mul_f64 v[73:74], v[49:50], v[121:122]
	v_fma_f64 v[71:72], v[59:60], v[115:116], v[71:72]
	ds_read_b128 v[57:60], v2 offset:672
	v_add_f64 v[65:66], v[65:66], v[83:84]
	v_add_f64 v[3:4], v[3:4], v[77:78]
	s_waitcnt vmcnt(15) lgkmcnt(1)
	v_mul_f64 v[83:84], v[55:56], v[123:124]
	v_mul_f64 v[77:78], v[53:54], v[123:124]
	s_waitcnt vmcnt(13)
	v_fma_f64 v[81:82], v[49:50], v[63:64], -v[81:82]
	v_fma_f64 v[63:64], v[51:52], v[63:64], v[73:74]
	ds_read_b128 v[49:52], v2 offset:688
	v_add_f64 v[65:66], v[65:66], v[79:80]
	v_add_f64 v[3:4], v[3:4], v[71:72]
	s_waitcnt vmcnt(9) lgkmcnt(1)
	v_mul_f64 v[71:72], v[57:58], v[67:68]
	v_mul_f64 v[67:68], v[59:60], v[67:68]
	s_waitcnt vmcnt(8)
	v_fma_f64 v[53:54], v[53:54], v[125:126], -v[83:84]
	v_fma_f64 v[55:56], v[55:56], v[125:126], v[77:78]
	v_add_f64 v[65:66], v[65:66], v[81:82]
	v_add_f64 v[3:4], v[3:4], v[63:64]
	s_waitcnt vmcnt(7) lgkmcnt(0)
	v_mul_f64 v[73:74], v[51:52], v[127:128]
	v_mul_f64 v[63:64], v[49:50], v[127:128]
	s_waitcnt vmcnt(5)
	v_fma_f64 v[57:58], v[57:58], v[61:62], -v[67:68]
	v_fma_f64 v[59:60], v[59:60], v[61:62], v[71:72]
	v_add_f64 v[53:54], v[65:66], v[53:54]
	v_add_f64 v[3:4], v[3:4], v[55:56]
	s_waitcnt vmcnt(4)
	v_fma_f64 v[49:50], v[49:50], v[132:133], -v[73:74]
	v_fma_f64 v[51:52], v[51:52], v[132:133], v[63:64]
	v_add_f64 v[53:54], v[53:54], v[57:58]
	v_add_f64 v[3:4], v[3:4], v[59:60]
	;; [unrolled: 1-line block ×4, first 2 shown]
	s_waitcnt vmcnt(2)
	v_add_f64 v[49:50], v[69:70], -v[49:50]
	s_waitcnt vmcnt(0)
	v_add_f64 v[3:4], v[75:76], -v[3:4]
	buffer_store_dword v50, off, s[0:3], 0 offset:52
	buffer_store_dword v49, off, s[0:3], 0 offset:48
	;; [unrolled: 1-line block ×4, first 2 shown]
	v_cmpx_lt_u32_e32 1, v0
	s_cbranch_execz .LBB85_143
; %bb.142:
	v_mov_b32_e32 v3, s33
	s_clause 0x3
	buffer_load_dword v49, v3, s[0:3], 0 offen
	buffer_load_dword v50, v3, s[0:3], 0 offen offset:4
	buffer_load_dword v51, v3, s[0:3], 0 offen offset:8
	;; [unrolled: 1-line block ×3, first 2 shown]
	buffer_store_dword v2, off, s[0:3], 0 offset:32
	buffer_store_dword v2, off, s[0:3], 0 offset:36
	;; [unrolled: 1-line block ×4, first 2 shown]
	s_waitcnt vmcnt(0)
	ds_write_b128 v1, v[49:52]
.LBB85_143:
	s_or_b32 exec_lo, exec_lo, s4
	s_waitcnt lgkmcnt(0)
	s_waitcnt_vscnt null, 0x0
	s_barrier
	buffer_gl0_inv
	s_clause 0x37
	buffer_load_dword v3, off, s[0:3], 0 offset:56
	buffer_load_dword v4, off, s[0:3], 0 offset:60
	;; [unrolled: 1-line block ×56, first 2 shown]
	ds_read_b128 v[49:52], v2 offset:384
	s_clause 0x2
	buffer_load_dword v114, off, s[0:3], 0 offset:284
	buffer_load_dword v118, off, s[0:3], 0 offset:260
	;; [unrolled: 1-line block ×3, first 2 shown]
	ds_read_b128 v[53:56], v2 offset:400
	s_clause 0x4
	buffer_load_dword v122, off, s[0:3], 0 offset:300
	buffer_load_dword v123, off, s[0:3], 0 offset:312
	;; [unrolled: 1-line block ×5, first 2 shown]
	ds_read_b128 v[57:60], v2 offset:416
	s_mov_b32 s4, exec_lo
	s_waitcnt vmcnt(62) lgkmcnt(2)
	v_mul_f64 v[119:120], v[51:52], v[3:4]
	v_mul_f64 v[3:4], v[49:50], v[3:4]
	s_waitcnt vmcnt(60) lgkmcnt(1)
	v_mul_f64 v[126:127], v[55:56], v[61:62]
	v_mul_f64 v[61:62], v[53:54], v[61:62]
	;; [unrolled: 3-line block ×3, first 2 shown]
	v_fma_f64 v[119:120], v[49:50], v[63:64], -v[119:120]
	v_fma_f64 v[3:4], v[51:52], v[63:64], v[3:4]
	s_clause 0x2
	buffer_load_dword v124, off, s[0:3], 0 offset:316
	buffer_load_dword v64, off, s[0:3], 0 offset:292
	;; [unrolled: 1-line block ×3, first 2 shown]
	s_waitcnt vmcnt(57)
	v_fma_f64 v[130:131], v[53:54], v[67:68], -v[126:127]
	ds_read_b128 v[49:52], v2 offset:432
	v_fma_f64 v[61:62], v[55:56], v[67:68], v[61:62]
	s_clause 0x4
	buffer_load_dword v68, off, s[0:3], 0 offset:332
	buffer_load_dword v127, off, s[0:3], 0 offset:344
	;; [unrolled: 1-line block ×5, first 2 shown]
	s_waitcnt vmcnt(56)
	v_fma_f64 v[65:66], v[57:58], v[75:76], -v[65:66]
	ds_read_b128 v[53:56], v2 offset:448
	v_fma_f64 v[75:76], v[59:60], v[75:76], v[128:129]
	v_add_f64 v[119:120], v[119:120], 0
	v_add_f64 v[3:4], v[3:4], 0
	s_waitcnt lgkmcnt(1)
	v_mul_f64 v[133:134], v[49:50], v[69:70]
	v_mul_f64 v[69:70], v[51:52], v[69:70]
	v_add_f64 v[119:120], v[119:120], v[130:131]
	v_add_f64 v[3:4], v[3:4], v[61:62]
	s_clause 0x2
	buffer_load_dword v128, off, s[0:3], 0 offset:348
	buffer_load_dword v62, off, s[0:3], 0 offset:324
	;; [unrolled: 1-line block ×3, first 2 shown]
	s_waitcnt vmcnt(58) lgkmcnt(0)
	v_mul_f64 v[129:130], v[53:54], v[71:72]
	v_mul_f64 v[71:72], v[55:56], v[71:72]
	s_waitcnt vmcnt(56)
	v_fma_f64 v[69:70], v[49:50], v[77:78], -v[69:70]
	ds_read_b128 v[57:60], v2 offset:464
	v_fma_f64 v[77:78], v[51:52], v[77:78], v[133:134]
	v_add_f64 v[65:66], v[119:120], v[65:66]
	v_add_f64 v[3:4], v[3:4], v[75:76]
	s_clause 0x2
	buffer_load_dword v76, off, s[0:3], 0 offset:364
	buffer_load_dword v75, off, s[0:3], 0 offset:360
	buffer_load_dword v133, off, s[0:3], 0 offset:340
	ds_read_b128 v[49:52], v2 offset:480
	s_waitcnt vmcnt(55) lgkmcnt(1)
	v_mul_f64 v[119:120], v[57:58], v[79:80]
	v_mul_f64 v[79:80], v[59:60], v[79:80]
	s_waitcnt vmcnt(54)
	v_fma_f64 v[71:72], v[53:54], v[73:74], -v[71:72]
	v_add_f64 v[65:66], v[65:66], v[69:70]
	v_fma_f64 v[69:70], v[55:56], v[73:74], v[129:130]
	v_add_f64 v[3:4], v[3:4], v[77:78]
	s_clause 0x1
	buffer_load_dword v74, off, s[0:3], 0 offset:356
	buffer_load_dword v73, off, s[0:3], 0 offset:352
	s_waitcnt vmcnt(55) lgkmcnt(0)
	v_mul_f64 v[77:78], v[49:50], v[81:82]
	v_mul_f64 v[81:82], v[51:52], v[81:82]
	s_waitcnt vmcnt(53)
	v_fma_f64 v[79:80], v[57:58], v[85:86], -v[79:80]
	ds_read_b128 v[53:56], v2 offset:496
	v_add_f64 v[65:66], v[65:66], v[71:72]
	v_fma_f64 v[71:72], v[59:60], v[85:86], v[119:120]
	v_add_f64 v[3:4], v[3:4], v[69:70]
	ds_read_b128 v[57:60], v2 offset:512
	s_waitcnt vmcnt(48)
	v_fma_f64 v[77:78], v[51:52], v[83:84], v[77:78]
	s_waitcnt lgkmcnt(1)
	v_mul_f64 v[85:86], v[55:56], v[87:88]
	v_fma_f64 v[81:82], v[49:50], v[83:84], -v[81:82]
	v_mul_f64 v[69:70], v[53:54], v[87:88]
	v_add_f64 v[65:66], v[65:66], v[79:80]
	s_waitcnt vmcnt(47) lgkmcnt(0)
	v_mul_f64 v[87:88], v[59:60], v[89:90]
	v_add_f64 v[3:4], v[3:4], v[71:72]
	s_clause 0x3
	buffer_load_dword v71, off, s[0:3], 0 offset:32
	buffer_load_dword v72, off, s[0:3], 0 offset:36
	buffer_load_dword v79, off, s[0:3], 0 offset:40
	buffer_load_dword v80, off, s[0:3], 0 offset:44
	ds_read_b128 v[49:52], v2 offset:528
	s_waitcnt vmcnt(49)
	v_fma_f64 v[85:86], v[53:54], v[93:94], -v[85:86]
	v_mul_f64 v[83:84], v[57:58], v[89:90]
	v_fma_f64 v[69:70], v[55:56], v[93:94], v[69:70]
	ds_read_b128 v[53:56], v2 offset:544
	v_add_f64 v[65:66], v[65:66], v[81:82]
	s_waitcnt vmcnt(44)
	v_fma_f64 v[87:88], v[57:58], v[91:92], -v[87:88]
	v_add_f64 v[3:4], v[3:4], v[77:78]
	s_waitcnt lgkmcnt(1)
	v_mul_f64 v[81:82], v[51:52], v[95:96]
	v_mul_f64 v[77:78], v[49:50], v[95:96]
	v_fma_f64 v[83:84], v[59:60], v[91:92], v[83:84]
	ds_read_b128 v[57:60], v2 offset:560
	v_add_f64 v[65:66], v[65:66], v[85:86]
	s_waitcnt vmcnt(43) lgkmcnt(1)
	v_mul_f64 v[85:86], v[55:56], v[97:98]
	v_add_f64 v[3:4], v[3:4], v[69:70]
	s_waitcnt vmcnt(41)
	v_fma_f64 v[81:82], v[49:50], v[101:102], -v[81:82]
	v_mul_f64 v[69:70], v[53:54], v[97:98]
	v_fma_f64 v[77:78], v[51:52], v[101:102], v[77:78]
	ds_read_b128 v[49:52], v2 offset:576
	v_add_f64 v[65:66], v[65:66], v[87:88]
	s_waitcnt vmcnt(37) lgkmcnt(1)
	v_mul_f64 v[87:88], v[59:60], v[103:104]
	v_add_f64 v[3:4], v[3:4], v[83:84]
	s_waitcnt vmcnt(36)
	v_fma_f64 v[85:86], v[53:54], v[99:100], -v[85:86]
	;; [unrolled: 9-line block ×6, first 2 shown]
	v_mul_f64 v[77:78], v[49:50], v[121:122]
	v_fma_f64 v[83:84], v[59:60], v[115:116], v[83:84]
	ds_read_b128 v[57:60], v2 offset:656
	v_add_f64 v[65:66], v[65:66], v[85:86]
	v_add_f64 v[3:4], v[3:4], v[69:70]
	s_waitcnt vmcnt(19) lgkmcnt(1)
	v_mul_f64 v[85:86], v[55:56], v[123:124]
	v_mul_f64 v[69:70], v[53:54], v[123:124]
	s_waitcnt vmcnt(17)
	v_fma_f64 v[81:82], v[49:50], v[63:64], -v[81:82]
	v_fma_f64 v[63:64], v[51:52], v[63:64], v[77:78]
	ds_read_b128 v[49:52], v2 offset:672
	s_waitcnt vmcnt(13) lgkmcnt(1)
	v_mul_f64 v[77:78], v[57:58], v[67:68]
	v_mul_f64 v[67:68], v[59:60], v[67:68]
	v_add_f64 v[65:66], v[65:66], v[87:88]
	v_add_f64 v[3:4], v[3:4], v[83:84]
	s_waitcnt vmcnt(12)
	v_fma_f64 v[83:84], v[53:54], v[125:126], -v[85:86]
	v_fma_f64 v[69:70], v[55:56], v[125:126], v[69:70]
	ds_read_b128 v[53:56], v2 offset:688
	v_add_f64 v[65:66], v[65:66], v[81:82]
	v_add_f64 v[3:4], v[3:4], v[63:64]
	s_waitcnt vmcnt(11) lgkmcnt(1)
	v_mul_f64 v[81:82], v[51:52], v[127:128]
	v_mul_f64 v[63:64], v[49:50], v[127:128]
	s_waitcnt vmcnt(9)
	v_fma_f64 v[57:58], v[57:58], v[61:62], -v[67:68]
	v_fma_f64 v[59:60], v[59:60], v[61:62], v[77:78]
	v_add_f64 v[65:66], v[65:66], v[83:84]
	v_add_f64 v[2:3], v[3:4], v[69:70]
	s_waitcnt vmcnt(7) lgkmcnt(0)
	v_mul_f64 v[67:68], v[55:56], v[75:76]
	s_waitcnt vmcnt(6)
	v_fma_f64 v[49:50], v[49:50], v[132:133], -v[81:82]
	v_mul_f64 v[61:62], v[53:54], v[75:76]
	v_fma_f64 v[51:52], v[51:52], v[132:133], v[63:64]
	v_add_f64 v[57:58], v[65:66], v[57:58]
	v_add_f64 v[2:3], v[2:3], v[59:60]
	s_waitcnt vmcnt(4)
	v_fma_f64 v[53:54], v[53:54], v[73:74], -v[67:68]
	v_fma_f64 v[55:56], v[55:56], v[73:74], v[61:62]
	v_add_f64 v[49:50], v[57:58], v[49:50]
	v_add_f64 v[2:3], v[2:3], v[51:52]
	;; [unrolled: 1-line block ×4, first 2 shown]
	s_waitcnt vmcnt(2)
	v_add_f64 v[49:50], v[71:72], -v[49:50]
	s_waitcnt vmcnt(0)
	v_add_f64 v[2:3], v[79:80], -v[2:3]
	buffer_store_dword v50, off, s[0:3], 0 offset:36
	buffer_store_dword v49, off, s[0:3], 0 offset:32
	;; [unrolled: 1-line block ×4, first 2 shown]
	v_cmpx_ne_u32_e32 0, v0
	s_cbranch_execz .LBB85_145
; %bb.144:
	s_clause 0x3
	buffer_load_dword v49, off, s[0:3], 0 offset:16
	buffer_load_dword v50, off, s[0:3], 0 offset:20
	;; [unrolled: 1-line block ×4, first 2 shown]
	v_mov_b32_e32 v0, 0
	buffer_store_dword v0, off, s[0:3], 0 offset:16
	buffer_store_dword v0, off, s[0:3], 0 offset:20
	buffer_store_dword v0, off, s[0:3], 0 offset:24
	buffer_store_dword v0, off, s[0:3], 0 offset:28
	s_waitcnt vmcnt(0)
	ds_write_b128 v1, v[49:52]
.LBB85_145:
	s_or_b32 exec_lo, exec_lo, s4
	s_waitcnt lgkmcnt(0)
	s_waitcnt_vscnt null, 0x0
	s_barrier
	buffer_gl0_inv
	s_clause 0x37
	buffer_load_dword v53, off, s[0:3], 0 offset:40
	buffer_load_dword v54, off, s[0:3], 0 offset:44
	;; [unrolled: 1-line block ×56, first 2 shown]
	v_mov_b32_e32 v0, 0
	s_and_b32 vcc_lo, exec_lo, s34
	ds_read_b128 v[1:4], v0 offset:368
	s_clause 0x2
	buffer_load_dword v110, off, s[0:3], 0 offset:268
	buffer_load_dword v114, off, s[0:3], 0 offset:244
	;; [unrolled: 1-line block ×3, first 2 shown]
	ds_read_b128 v[49:52], v0 offset:384
	s_clause 0x4
	buffer_load_dword v120, off, s[0:3], 0 offset:284
	buffer_load_dword v121, off, s[0:3], 0 offset:296
	buffer_load_dword v123, off, s[0:3], 0 offset:288
	buffer_load_dword v119, off, s[0:3], 0 offset:280
	buffer_load_dword v112, off, s[0:3], 0 offset:260
	s_waitcnt vmcnt(62) lgkmcnt(1)
	v_mul_f64 v[115:116], v[3:4], v[53:54]
	v_mul_f64 v[117:118], v[1:2], v[53:54]
	s_waitcnt vmcnt(60) lgkmcnt(0)
	v_mul_f64 v[124:125], v[51:52], v[57:58]
	ds_read_b128 v[53:56], v0 offset:400
	v_mul_f64 v[57:58], v[49:50], v[57:58]
	s_waitcnt vmcnt(58)
	v_fma_f64 v[115:116], v[1:2], v[59:60], -v[115:116]
	v_fma_f64 v[59:60], v[3:4], v[59:60], v[117:118]
	s_clause 0x2
	buffer_load_dword v122, off, s[0:3], 0 offset:300
	buffer_load_dword v118, off, s[0:3], 0 offset:276
	;; [unrolled: 1-line block ×3, first 2 shown]
	s_waitcnt vmcnt(59) lgkmcnt(0)
	v_mul_f64 v[126:127], v[53:54], v[61:62]
	v_mul_f64 v[61:62], v[55:56], v[61:62]
	s_waitcnt vmcnt(57)
	v_fma_f64 v[128:129], v[49:50], v[63:64], -v[124:125]
	ds_read_b128 v[1:4], v0 offset:416
	v_fma_f64 v[57:58], v[51:52], v[63:64], v[57:58]
	s_clause 0x4
	buffer_load_dword v64, off, s[0:3], 0 offset:316
	buffer_load_dword v125, off, s[0:3], 0 offset:328
	;; [unrolled: 1-line block ×5, first 2 shown]
	ds_read_b128 v[49:52], v0 offset:432
	v_add_f64 v[115:116], v[115:116], 0
	v_add_f64 v[59:60], v[59:60], 0
	s_waitcnt vmcnt(58) lgkmcnt(1)
	v_mul_f64 v[131:132], v[1:2], v[65:66]
	v_mul_f64 v[65:66], v[3:4], v[65:66]
	s_waitcnt vmcnt(56)
	v_fma_f64 v[61:62], v[53:54], v[71:72], -v[61:62]
	v_fma_f64 v[71:72], v[55:56], v[71:72], v[126:127]
	v_add_f64 v[115:116], v[115:116], v[128:129]
	v_add_f64 v[57:58], v[59:60], v[57:58]
	s_clause 0x2
	buffer_load_dword v126, off, s[0:3], 0 offset:332
	buffer_load_dword v60, off, s[0:3], 0 offset:308
	;; [unrolled: 1-line block ×3, first 2 shown]
	s_waitcnt vmcnt(58) lgkmcnt(0)
	v_mul_f64 v[127:128], v[49:50], v[67:68]
	v_mul_f64 v[67:68], v[51:52], v[67:68]
	s_waitcnt vmcnt(56)
	v_fma_f64 v[65:66], v[1:2], v[73:74], -v[65:66]
	ds_read_b128 v[53:56], v0 offset:448
	v_fma_f64 v[73:74], v[3:4], v[73:74], v[131:132]
	v_add_f64 v[61:62], v[115:116], v[61:62]
	v_add_f64 v[57:58], v[57:58], v[71:72]
	s_clause 0x4
	buffer_load_dword v72, off, s[0:3], 0 offset:348
	buffer_load_dword v115, off, s[0:3], 0 offset:360
	;; [unrolled: 1-line block ×5, first 2 shown]
	ds_read_b128 v[1:4], v0 offset:464
	s_waitcnt vmcnt(57) lgkmcnt(1)
	v_mul_f64 v[133:134], v[53:54], v[75:76]
	v_mul_f64 v[75:76], v[55:56], v[75:76]
	s_waitcnt vmcnt(56)
	v_fma_f64 v[67:68], v[49:50], v[69:70], -v[67:68]
	v_add_f64 v[61:62], v[61:62], v[65:66]
	v_fma_f64 v[65:66], v[51:52], v[69:70], v[127:128]
	v_add_f64 v[57:58], v[57:58], v[73:74]
	s_clause 0x2
	buffer_load_dword v116, off, s[0:3], 0 offset:364
	buffer_load_dword v70, off, s[0:3], 0 offset:340
	;; [unrolled: 1-line block ×3, first 2 shown]
	s_waitcnt vmcnt(58) lgkmcnt(0)
	v_mul_f64 v[73:74], v[1:2], v[77:78]
	v_mul_f64 v[77:78], v[3:4], v[77:78]
	s_waitcnt vmcnt(56)
	v_fma_f64 v[75:76], v[53:54], v[81:82], -v[75:76]
	ds_read_b128 v[49:52], v0 offset:480
	v_add_f64 v[61:62], v[61:62], v[67:68]
	v_fma_f64 v[67:68], v[55:56], v[81:82], v[133:134]
	v_add_f64 v[57:58], v[57:58], v[65:66]
	buffer_load_dword v133, off, s[0:3], 0 offset:356
	ds_read_b128 v[53:56], v0 offset:496
	s_waitcnt vmcnt(53) lgkmcnt(1)
	v_mul_f64 v[81:82], v[51:52], v[83:84]
	s_waitcnt vmcnt(52)
	v_fma_f64 v[77:78], v[1:2], v[79:80], -v[77:78]
	v_mul_f64 v[65:66], v[49:50], v[83:84]
	v_fma_f64 v[73:74], v[3:4], v[79:80], v[73:74]
	ds_read_b128 v[1:4], v0 offset:512
	v_add_f64 v[61:62], v[61:62], v[75:76]
	v_add_f64 v[57:58], v[57:58], v[67:68]
	s_waitcnt vmcnt(51) lgkmcnt(1)
	v_mul_f64 v[75:76], v[55:56], v[85:86]
	v_mul_f64 v[67:68], v[53:54], v[85:86]
	s_waitcnt vmcnt(49)
	v_fma_f64 v[79:80], v[49:50], v[89:90], -v[81:82]
	v_fma_f64 v[65:66], v[51:52], v[89:90], v[65:66]
	s_waitcnt vmcnt(45) lgkmcnt(0)
	v_mul_f64 v[83:84], v[3:4], v[91:92]
	v_mul_f64 v[81:82], v[1:2], v[91:92]
	v_add_f64 v[61:62], v[61:62], v[77:78]
	v_add_f64 v[57:58], v[57:58], v[73:74]
	s_clause 0x3
	buffer_load_dword v73, off, s[0:3], 0 offset:16
	buffer_load_dword v74, off, s[0:3], 0 offset:20
	;; [unrolled: 1-line block ×4, first 2 shown]
	s_waitcnt vmcnt(48)
	v_fma_f64 v[75:76], v[53:54], v[87:88], -v[75:76]
	ds_read_b128 v[49:52], v0 offset:528
	v_fma_f64 v[67:68], v[55:56], v[87:88], v[67:68]
	ds_read_b128 v[53:56], v0 offset:544
	s_waitcnt vmcnt(45)
	v_fma_f64 v[83:84], v[1:2], v[97:98], -v[83:84]
	v_add_f64 v[61:62], v[61:62], v[79:80]
	v_add_f64 v[57:58], v[57:58], v[65:66]
	s_waitcnt lgkmcnt(1)
	v_mul_f64 v[79:80], v[51:52], v[93:94]
	v_mul_f64 v[65:66], v[49:50], v[93:94]
	v_add_f64 v[61:62], v[61:62], v[75:76]
	v_fma_f64 v[75:76], v[3:4], v[97:98], v[81:82]
	v_add_f64 v[57:58], v[57:58], v[67:68]
	s_waitcnt vmcnt(41) lgkmcnt(0)
	v_mul_f64 v[81:82], v[55:56], v[99:100]
	s_waitcnt vmcnt(40)
	v_fma_f64 v[79:80], v[49:50], v[95:96], -v[79:80]
	ds_read_b128 v[1:4], v0 offset:560
	v_mul_f64 v[67:68], v[53:54], v[99:100]
	v_fma_f64 v[65:66], v[51:52], v[95:96], v[65:66]
	ds_read_b128 v[49:52], v0 offset:576
	v_add_f64 v[61:62], v[61:62], v[83:84]
	v_add_f64 v[57:58], v[57:58], v[75:76]
	s_waitcnt vmcnt(39) lgkmcnt(1)
	v_mul_f64 v[83:84], v[3:4], v[101:102]
	s_waitcnt vmcnt(37)
	v_fma_f64 v[81:82], v[53:54], v[105:106], -v[81:82]
	v_mul_f64 v[75:76], v[1:2], v[101:102]
	v_fma_f64 v[67:68], v[55:56], v[105:106], v[67:68]
	ds_read_b128 v[53:56], v0 offset:592
	v_add_f64 v[61:62], v[61:62], v[79:80]
	s_waitcnt vmcnt(33) lgkmcnt(1)
	v_mul_f64 v[79:80], v[51:52], v[107:108]
	v_add_f64 v[57:58], v[57:58], v[65:66]
	s_waitcnt vmcnt(32)
	v_fma_f64 v[83:84], v[1:2], v[103:104], -v[83:84]
	v_mul_f64 v[65:66], v[49:50], v[107:108]
	v_fma_f64 v[75:76], v[3:4], v[103:104], v[75:76]
	ds_read_b128 v[1:4], v0 offset:608
	v_add_f64 v[61:62], v[61:62], v[81:82]
	s_waitcnt vmcnt(31) lgkmcnt(1)
	v_mul_f64 v[81:82], v[55:56], v[109:110]
	v_add_f64 v[57:58], v[57:58], v[67:68]
	;; [unrolled: 9-line block ×3, first 2 shown]
	s_waitcnt vmcnt(24)
	v_fma_f64 v[81:82], v[53:54], v[111:112], -v[81:82]
	v_mul_f64 v[75:76], v[1:2], v[119:120]
	v_fma_f64 v[67:68], v[55:56], v[111:112], v[67:68]
	ds_read_b128 v[53:56], v0 offset:640
	v_add_f64 v[61:62], v[61:62], v[79:80]
	v_add_f64 v[57:58], v[57:58], v[65:66]
	s_waitcnt vmcnt(23) lgkmcnt(1)
	v_mul_f64 v[79:80], v[51:52], v[121:122]
	v_mul_f64 v[65:66], v[49:50], v[121:122]
	s_waitcnt vmcnt(21)
	v_fma_f64 v[83:84], v[1:2], v[117:118], -v[83:84]
	v_fma_f64 v[75:76], v[3:4], v[117:118], v[75:76]
	ds_read_b128 v[1:4], v0 offset:656
	v_add_f64 v[61:62], v[61:62], v[81:82]
	v_add_f64 v[57:58], v[57:58], v[67:68]
	s_waitcnt vmcnt(17) lgkmcnt(1)
	v_mul_f64 v[67:68], v[53:54], v[63:64]
	v_mul_f64 v[63:64], v[55:56], v[63:64]
	s_waitcnt vmcnt(16)
	v_fma_f64 v[79:80], v[49:50], v[123:124], -v[79:80]
	;; [unrolled: 9-line block ×3, first 2 shown]
	v_fma_f64 v[59:60], v[55:56], v[59:60], v[67:68]
	ds_read_b128 v[53:56], v0 offset:688
	v_add_f64 v[61:62], v[61:62], v[79:80]
	v_add_f64 v[57:58], v[57:58], v[65:66]
	s_waitcnt vmcnt(9) lgkmcnt(1)
	v_mul_f64 v[67:68], v[51:52], v[71:72]
	s_waitcnt vmcnt(8)
	v_fma_f64 v[1:2], v[1:2], v[130:131], -v[81:82]
	v_mul_f64 v[65:66], v[49:50], v[71:72]
	v_fma_f64 v[3:4], v[3:4], v[130:131], v[75:76]
	v_add_f64 v[61:62], v[61:62], v[63:64]
	v_add_f64 v[57:58], v[57:58], v[59:60]
	s_waitcnt vmcnt(7) lgkmcnt(0)
	v_mul_f64 v[63:64], v[55:56], v[115:116]
	v_mul_f64 v[59:60], v[53:54], v[115:116]
	s_waitcnt vmcnt(5)
	v_fma_f64 v[49:50], v[49:50], v[69:70], -v[67:68]
	v_fma_f64 v[51:52], v[51:52], v[69:70], v[65:66]
	v_add_f64 v[1:2], v[61:62], v[1:2]
	v_add_f64 v[3:4], v[57:58], v[3:4]
	s_waitcnt vmcnt(4)
	v_fma_f64 v[53:54], v[53:54], v[132:133], -v[63:64]
	v_add_f64 v[1:2], v[1:2], v[49:50]
	v_fma_f64 v[49:50], v[55:56], v[132:133], v[59:60]
	v_add_f64 v[3:4], v[3:4], v[51:52]
	v_add_f64 v[1:2], v[1:2], v[53:54]
	;; [unrolled: 1-line block ×3, first 2 shown]
	s_waitcnt vmcnt(2)
	v_add_f64 v[1:2], v[73:74], -v[1:2]
	s_waitcnt vmcnt(0)
	v_add_f64 v[3:4], v[77:78], -v[3:4]
	buffer_store_dword v2, off, s[0:3], 0 offset:20
	buffer_store_dword v1, off, s[0:3], 0 offset:16
	;; [unrolled: 1-line block ×4, first 2 shown]
	s_cbranch_vccz .LBB85_188
; %bb.146:
	global_load_dword v0, v0, s[12:13] offset:80
	s_waitcnt vmcnt(0)
	v_add_nc_u32_e32 v0, -1, v0
	v_cmp_ne_u32_e32 vcc_lo, 20, v0
	s_cbranch_vccz .LBB85_148
; %bb.147:
	v_lshlrev_b32_e32 v0, 4, v0
	v_mov_b32_e32 v1, s9
	v_add_nc_u32_e32 v0, 16, v0
	s_clause 0x7
	buffer_load_dword v2, v0, s[0:3], 0 offen
	buffer_load_dword v3, v0, s[0:3], 0 offen offset:4
	buffer_load_dword v4, v0, s[0:3], 0 offen offset:8
	;; [unrolled: 1-line block ×6, first 2 shown]
	buffer_load_dword v53, v1, s[0:3], 0 offen
	s_waitcnt vmcnt(7)
	buffer_store_dword v2, v1, s[0:3], 0 offen
	s_waitcnt vmcnt(6)
	buffer_store_dword v3, v1, s[0:3], 0 offen offset:4
	s_waitcnt vmcnt(5)
	buffer_store_dword v4, v1, s[0:3], 0 offen offset:8
	s_waitcnt vmcnt(4)
	buffer_store_dword v49, v1, s[0:3], 0 offen offset:12
	s_waitcnt vmcnt(3)
	buffer_store_dword v50, v0, s[0:3], 0 offen offset:12
	s_waitcnt vmcnt(2)
	buffer_store_dword v51, v0, s[0:3], 0 offen offset:8
	s_waitcnt vmcnt(1)
	buffer_store_dword v52, v0, s[0:3], 0 offen offset:4
	s_waitcnt vmcnt(0)
	buffer_store_dword v53, v0, s[0:3], 0 offen
.LBB85_148:
	v_mov_b32_e32 v0, 0
	global_load_dword v1, v0, s[12:13] offset:76
	s_waitcnt vmcnt(0)
	v_add_nc_u32_e32 v1, -1, v1
	v_cmp_eq_u32_e32 vcc_lo, 19, v1
	s_cbranch_vccnz .LBB85_150
; %bb.149:
	v_lshlrev_b32_e32 v1, 4, v1
	v_mov_b32_e32 v2, s14
	v_add_nc_u32_e32 v1, 16, v1
	s_clause 0x7
	buffer_load_dword v3, v1, s[0:3], 0 offen
	buffer_load_dword v4, v1, s[0:3], 0 offen offset:4
	buffer_load_dword v49, v1, s[0:3], 0 offen offset:8
	;; [unrolled: 1-line block ×6, first 2 shown]
	buffer_load_dword v54, v2, s[0:3], 0 offen
	s_waitcnt vmcnt(7)
	buffer_store_dword v3, v2, s[0:3], 0 offen
	s_waitcnt vmcnt(6)
	buffer_store_dword v4, v2, s[0:3], 0 offen offset:4
	s_waitcnt vmcnt(5)
	buffer_store_dword v49, v2, s[0:3], 0 offen offset:8
	;; [unrolled: 2-line block ×6, first 2 shown]
	s_waitcnt vmcnt(0)
	buffer_store_dword v54, v1, s[0:3], 0 offen
.LBB85_150:
	global_load_dword v0, v0, s[12:13] offset:72
	s_waitcnt vmcnt(0)
	v_add_nc_u32_e32 v0, -1, v0
	v_cmp_eq_u32_e32 vcc_lo, 18, v0
	s_cbranch_vccnz .LBB85_152
; %bb.151:
	v_lshlrev_b32_e32 v0, 4, v0
	v_mov_b32_e32 v1, s15
	v_add_nc_u32_e32 v0, 16, v0
	s_clause 0x7
	buffer_load_dword v2, v0, s[0:3], 0 offen
	buffer_load_dword v3, v0, s[0:3], 0 offen offset:4
	buffer_load_dword v4, v0, s[0:3], 0 offen offset:8
	;; [unrolled: 1-line block ×6, first 2 shown]
	buffer_load_dword v53, v1, s[0:3], 0 offen
	s_waitcnt vmcnt(7)
	buffer_store_dword v2, v1, s[0:3], 0 offen
	s_waitcnt vmcnt(6)
	buffer_store_dword v3, v1, s[0:3], 0 offen offset:4
	s_waitcnt vmcnt(5)
	buffer_store_dword v4, v1, s[0:3], 0 offen offset:8
	;; [unrolled: 2-line block ×6, first 2 shown]
	s_waitcnt vmcnt(0)
	buffer_store_dword v53, v0, s[0:3], 0 offen
.LBB85_152:
	v_mov_b32_e32 v0, 0
	global_load_dword v1, v0, s[12:13] offset:68
	s_waitcnt vmcnt(0)
	v_add_nc_u32_e32 v1, -1, v1
	v_cmp_eq_u32_e32 vcc_lo, 17, v1
	s_cbranch_vccnz .LBB85_154
; %bb.153:
	v_lshlrev_b32_e32 v1, 4, v1
	v_mov_b32_e32 v2, s16
	v_add_nc_u32_e32 v1, 16, v1
	s_clause 0x7
	buffer_load_dword v3, v1, s[0:3], 0 offen
	buffer_load_dword v4, v1, s[0:3], 0 offen offset:4
	buffer_load_dword v49, v1, s[0:3], 0 offen offset:8
	;; [unrolled: 1-line block ×6, first 2 shown]
	buffer_load_dword v54, v2, s[0:3], 0 offen
	s_waitcnt vmcnt(7)
	buffer_store_dword v3, v2, s[0:3], 0 offen
	s_waitcnt vmcnt(6)
	buffer_store_dword v4, v2, s[0:3], 0 offen offset:4
	s_waitcnt vmcnt(5)
	buffer_store_dword v49, v2, s[0:3], 0 offen offset:8
	s_waitcnt vmcnt(4)
	buffer_store_dword v50, v2, s[0:3], 0 offen offset:12
	s_waitcnt vmcnt(3)
	buffer_store_dword v51, v1, s[0:3], 0 offen offset:12
	s_waitcnt vmcnt(2)
	buffer_store_dword v52, v1, s[0:3], 0 offen offset:8
	s_waitcnt vmcnt(1)
	buffer_store_dword v53, v1, s[0:3], 0 offen offset:4
	s_waitcnt vmcnt(0)
	buffer_store_dword v54, v1, s[0:3], 0 offen
.LBB85_154:
	global_load_dword v0, v0, s[12:13] offset:64
	s_waitcnt vmcnt(0)
	v_add_nc_u32_e32 v0, -1, v0
	v_cmp_eq_u32_e32 vcc_lo, 16, v0
	s_cbranch_vccnz .LBB85_156
; %bb.155:
	v_lshlrev_b32_e32 v0, 4, v0
	v_mov_b32_e32 v1, s17
	v_add_nc_u32_e32 v0, 16, v0
	s_clause 0x7
	buffer_load_dword v2, v0, s[0:3], 0 offen
	buffer_load_dword v3, v0, s[0:3], 0 offen offset:4
	buffer_load_dword v4, v0, s[0:3], 0 offen offset:8
	;; [unrolled: 1-line block ×6, first 2 shown]
	buffer_load_dword v53, v1, s[0:3], 0 offen
	s_waitcnt vmcnt(7)
	buffer_store_dword v2, v1, s[0:3], 0 offen
	s_waitcnt vmcnt(6)
	buffer_store_dword v3, v1, s[0:3], 0 offen offset:4
	s_waitcnt vmcnt(5)
	buffer_store_dword v4, v1, s[0:3], 0 offen offset:8
	;; [unrolled: 2-line block ×6, first 2 shown]
	s_waitcnt vmcnt(0)
	buffer_store_dword v53, v0, s[0:3], 0 offen
.LBB85_156:
	v_mov_b32_e32 v0, 0
	global_load_dword v1, v0, s[12:13] offset:60
	s_waitcnt vmcnt(0)
	v_add_nc_u32_e32 v1, -1, v1
	v_cmp_eq_u32_e32 vcc_lo, 15, v1
	s_cbranch_vccnz .LBB85_158
; %bb.157:
	v_lshlrev_b32_e32 v1, 4, v1
	v_mov_b32_e32 v2, s18
	v_add_nc_u32_e32 v1, 16, v1
	s_clause 0x7
	buffer_load_dword v3, v1, s[0:3], 0 offen
	buffer_load_dword v4, v1, s[0:3], 0 offen offset:4
	buffer_load_dword v49, v1, s[0:3], 0 offen offset:8
	;; [unrolled: 1-line block ×6, first 2 shown]
	buffer_load_dword v54, v2, s[0:3], 0 offen
	s_waitcnt vmcnt(7)
	buffer_store_dword v3, v2, s[0:3], 0 offen
	s_waitcnt vmcnt(6)
	buffer_store_dword v4, v2, s[0:3], 0 offen offset:4
	s_waitcnt vmcnt(5)
	buffer_store_dword v49, v2, s[0:3], 0 offen offset:8
	;; [unrolled: 2-line block ×6, first 2 shown]
	s_waitcnt vmcnt(0)
	buffer_store_dword v54, v1, s[0:3], 0 offen
.LBB85_158:
	global_load_dword v0, v0, s[12:13] offset:56
	s_waitcnt vmcnt(0)
	v_add_nc_u32_e32 v0, -1, v0
	v_cmp_eq_u32_e32 vcc_lo, 14, v0
	s_cbranch_vccnz .LBB85_160
; %bb.159:
	v_lshlrev_b32_e32 v0, 4, v0
	v_mov_b32_e32 v1, s19
	v_add_nc_u32_e32 v0, 16, v0
	s_clause 0x7
	buffer_load_dword v2, v0, s[0:3], 0 offen
	buffer_load_dword v3, v0, s[0:3], 0 offen offset:4
	buffer_load_dword v4, v0, s[0:3], 0 offen offset:8
	;; [unrolled: 1-line block ×6, first 2 shown]
	buffer_load_dword v53, v1, s[0:3], 0 offen
	s_waitcnt vmcnt(7)
	buffer_store_dword v2, v1, s[0:3], 0 offen
	s_waitcnt vmcnt(6)
	buffer_store_dword v3, v1, s[0:3], 0 offen offset:4
	s_waitcnt vmcnt(5)
	buffer_store_dword v4, v1, s[0:3], 0 offen offset:8
	;; [unrolled: 2-line block ×6, first 2 shown]
	s_waitcnt vmcnt(0)
	buffer_store_dword v53, v0, s[0:3], 0 offen
.LBB85_160:
	v_mov_b32_e32 v0, 0
	global_load_dword v1, v0, s[12:13] offset:52
	s_waitcnt vmcnt(0)
	v_add_nc_u32_e32 v1, -1, v1
	v_cmp_eq_u32_e32 vcc_lo, 13, v1
	s_cbranch_vccnz .LBB85_162
; %bb.161:
	v_lshlrev_b32_e32 v1, 4, v1
	v_mov_b32_e32 v2, s20
	v_add_nc_u32_e32 v1, 16, v1
	s_clause 0x7
	buffer_load_dword v3, v1, s[0:3], 0 offen
	buffer_load_dword v4, v1, s[0:3], 0 offen offset:4
	buffer_load_dword v49, v1, s[0:3], 0 offen offset:8
	;; [unrolled: 1-line block ×6, first 2 shown]
	buffer_load_dword v54, v2, s[0:3], 0 offen
	s_waitcnt vmcnt(7)
	buffer_store_dword v3, v2, s[0:3], 0 offen
	s_waitcnt vmcnt(6)
	buffer_store_dword v4, v2, s[0:3], 0 offen offset:4
	s_waitcnt vmcnt(5)
	buffer_store_dword v49, v2, s[0:3], 0 offen offset:8
	;; [unrolled: 2-line block ×6, first 2 shown]
	s_waitcnt vmcnt(0)
	buffer_store_dword v54, v1, s[0:3], 0 offen
.LBB85_162:
	global_load_dword v0, v0, s[12:13] offset:48
	s_waitcnt vmcnt(0)
	v_add_nc_u32_e32 v0, -1, v0
	v_cmp_eq_u32_e32 vcc_lo, 12, v0
	s_cbranch_vccnz .LBB85_164
; %bb.163:
	v_lshlrev_b32_e32 v0, 4, v0
	v_mov_b32_e32 v1, s21
	v_add_nc_u32_e32 v0, 16, v0
	s_clause 0x7
	buffer_load_dword v2, v0, s[0:3], 0 offen
	buffer_load_dword v3, v0, s[0:3], 0 offen offset:4
	buffer_load_dword v4, v0, s[0:3], 0 offen offset:8
	;; [unrolled: 1-line block ×6, first 2 shown]
	buffer_load_dword v53, v1, s[0:3], 0 offen
	s_waitcnt vmcnt(7)
	buffer_store_dword v2, v1, s[0:3], 0 offen
	s_waitcnt vmcnt(6)
	buffer_store_dword v3, v1, s[0:3], 0 offen offset:4
	s_waitcnt vmcnt(5)
	buffer_store_dword v4, v1, s[0:3], 0 offen offset:8
	;; [unrolled: 2-line block ×6, first 2 shown]
	s_waitcnt vmcnt(0)
	buffer_store_dword v53, v0, s[0:3], 0 offen
.LBB85_164:
	v_mov_b32_e32 v0, 0
	global_load_dword v1, v0, s[12:13] offset:44
	s_waitcnt vmcnt(0)
	v_add_nc_u32_e32 v1, -1, v1
	v_cmp_eq_u32_e32 vcc_lo, 11, v1
	s_cbranch_vccnz .LBB85_166
; %bb.165:
	v_lshlrev_b32_e32 v1, 4, v1
	v_mov_b32_e32 v2, s22
	v_add_nc_u32_e32 v1, 16, v1
	s_clause 0x7
	buffer_load_dword v3, v1, s[0:3], 0 offen
	buffer_load_dword v4, v1, s[0:3], 0 offen offset:4
	buffer_load_dword v49, v1, s[0:3], 0 offen offset:8
	;; [unrolled: 1-line block ×6, first 2 shown]
	buffer_load_dword v54, v2, s[0:3], 0 offen
	s_waitcnt vmcnt(7)
	buffer_store_dword v3, v2, s[0:3], 0 offen
	s_waitcnt vmcnt(6)
	buffer_store_dword v4, v2, s[0:3], 0 offen offset:4
	s_waitcnt vmcnt(5)
	buffer_store_dword v49, v2, s[0:3], 0 offen offset:8
	;; [unrolled: 2-line block ×6, first 2 shown]
	s_waitcnt vmcnt(0)
	buffer_store_dword v54, v1, s[0:3], 0 offen
.LBB85_166:
	global_load_dword v0, v0, s[12:13] offset:40
	s_waitcnt vmcnt(0)
	v_add_nc_u32_e32 v0, -1, v0
	v_cmp_eq_u32_e32 vcc_lo, 10, v0
	s_cbranch_vccnz .LBB85_168
; %bb.167:
	v_lshlrev_b32_e32 v0, 4, v0
	v_mov_b32_e32 v1, s23
	v_add_nc_u32_e32 v0, 16, v0
	s_clause 0x7
	buffer_load_dword v2, v0, s[0:3], 0 offen
	buffer_load_dword v3, v0, s[0:3], 0 offen offset:4
	buffer_load_dword v4, v0, s[0:3], 0 offen offset:8
	;; [unrolled: 1-line block ×6, first 2 shown]
	buffer_load_dword v53, v1, s[0:3], 0 offen
	s_waitcnt vmcnt(7)
	buffer_store_dword v2, v1, s[0:3], 0 offen
	s_waitcnt vmcnt(6)
	buffer_store_dword v3, v1, s[0:3], 0 offen offset:4
	s_waitcnt vmcnt(5)
	buffer_store_dword v4, v1, s[0:3], 0 offen offset:8
	;; [unrolled: 2-line block ×6, first 2 shown]
	s_waitcnt vmcnt(0)
	buffer_store_dword v53, v0, s[0:3], 0 offen
.LBB85_168:
	v_mov_b32_e32 v0, 0
	global_load_dword v1, v0, s[12:13] offset:36
	s_waitcnt vmcnt(0)
	v_add_nc_u32_e32 v1, -1, v1
	v_cmp_eq_u32_e32 vcc_lo, 9, v1
	s_cbranch_vccnz .LBB85_170
; %bb.169:
	v_lshlrev_b32_e32 v1, 4, v1
	v_mov_b32_e32 v2, s24
	v_add_nc_u32_e32 v1, 16, v1
	s_clause 0x7
	buffer_load_dword v3, v1, s[0:3], 0 offen
	buffer_load_dword v4, v1, s[0:3], 0 offen offset:4
	buffer_load_dword v49, v1, s[0:3], 0 offen offset:8
	;; [unrolled: 1-line block ×6, first 2 shown]
	buffer_load_dword v54, v2, s[0:3], 0 offen
	s_waitcnt vmcnt(7)
	buffer_store_dword v3, v2, s[0:3], 0 offen
	s_waitcnt vmcnt(6)
	buffer_store_dword v4, v2, s[0:3], 0 offen offset:4
	s_waitcnt vmcnt(5)
	buffer_store_dword v49, v2, s[0:3], 0 offen offset:8
	;; [unrolled: 2-line block ×6, first 2 shown]
	s_waitcnt vmcnt(0)
	buffer_store_dword v54, v1, s[0:3], 0 offen
.LBB85_170:
	global_load_dword v0, v0, s[12:13] offset:32
	s_waitcnt vmcnt(0)
	v_add_nc_u32_e32 v0, -1, v0
	v_cmp_eq_u32_e32 vcc_lo, 8, v0
	s_cbranch_vccnz .LBB85_172
; %bb.171:
	v_lshlrev_b32_e32 v0, 4, v0
	v_mov_b32_e32 v1, s25
	v_add_nc_u32_e32 v0, 16, v0
	s_clause 0x7
	buffer_load_dword v2, v0, s[0:3], 0 offen
	buffer_load_dword v3, v0, s[0:3], 0 offen offset:4
	buffer_load_dword v4, v0, s[0:3], 0 offen offset:8
	;; [unrolled: 1-line block ×6, first 2 shown]
	buffer_load_dword v53, v1, s[0:3], 0 offen
	s_waitcnt vmcnt(7)
	buffer_store_dword v2, v1, s[0:3], 0 offen
	s_waitcnt vmcnt(6)
	buffer_store_dword v3, v1, s[0:3], 0 offen offset:4
	s_waitcnt vmcnt(5)
	buffer_store_dword v4, v1, s[0:3], 0 offen offset:8
	;; [unrolled: 2-line block ×6, first 2 shown]
	s_waitcnt vmcnt(0)
	buffer_store_dword v53, v0, s[0:3], 0 offen
.LBB85_172:
	v_mov_b32_e32 v0, 0
	global_load_dword v1, v0, s[12:13] offset:28
	s_waitcnt vmcnt(0)
	v_add_nc_u32_e32 v1, -1, v1
	v_cmp_eq_u32_e32 vcc_lo, 7, v1
	s_cbranch_vccnz .LBB85_174
; %bb.173:
	v_lshlrev_b32_e32 v1, 4, v1
	v_mov_b32_e32 v2, s26
	v_add_nc_u32_e32 v1, 16, v1
	s_clause 0x7
	buffer_load_dword v3, v1, s[0:3], 0 offen
	buffer_load_dword v4, v1, s[0:3], 0 offen offset:4
	buffer_load_dword v49, v1, s[0:3], 0 offen offset:8
	;; [unrolled: 1-line block ×6, first 2 shown]
	buffer_load_dword v54, v2, s[0:3], 0 offen
	s_waitcnt vmcnt(7)
	buffer_store_dword v3, v2, s[0:3], 0 offen
	s_waitcnt vmcnt(6)
	buffer_store_dword v4, v2, s[0:3], 0 offen offset:4
	s_waitcnt vmcnt(5)
	buffer_store_dword v49, v2, s[0:3], 0 offen offset:8
	;; [unrolled: 2-line block ×6, first 2 shown]
	s_waitcnt vmcnt(0)
	buffer_store_dword v54, v1, s[0:3], 0 offen
.LBB85_174:
	global_load_dword v0, v0, s[12:13] offset:24
	s_waitcnt vmcnt(0)
	v_add_nc_u32_e32 v0, -1, v0
	v_cmp_eq_u32_e32 vcc_lo, 6, v0
	s_cbranch_vccnz .LBB85_176
; %bb.175:
	v_lshlrev_b32_e32 v0, 4, v0
	v_mov_b32_e32 v1, s27
	v_add_nc_u32_e32 v0, 16, v0
	s_clause 0x7
	buffer_load_dword v2, v0, s[0:3], 0 offen
	buffer_load_dword v3, v0, s[0:3], 0 offen offset:4
	buffer_load_dword v4, v0, s[0:3], 0 offen offset:8
	buffer_load_dword v49, v0, s[0:3], 0 offen offset:12
	buffer_load_dword v50, v1, s[0:3], 0 offen offset:12
	buffer_load_dword v51, v1, s[0:3], 0 offen offset:8
	buffer_load_dword v52, v1, s[0:3], 0 offen offset:4
	buffer_load_dword v53, v1, s[0:3], 0 offen
	s_waitcnt vmcnt(7)
	buffer_store_dword v2, v1, s[0:3], 0 offen
	s_waitcnt vmcnt(6)
	buffer_store_dword v3, v1, s[0:3], 0 offen offset:4
	s_waitcnt vmcnt(5)
	buffer_store_dword v4, v1, s[0:3], 0 offen offset:8
	;; [unrolled: 2-line block ×6, first 2 shown]
	s_waitcnt vmcnt(0)
	buffer_store_dword v53, v0, s[0:3], 0 offen
.LBB85_176:
	v_mov_b32_e32 v0, 0
	global_load_dword v1, v0, s[12:13] offset:20
	s_waitcnt vmcnt(0)
	v_add_nc_u32_e32 v1, -1, v1
	v_cmp_eq_u32_e32 vcc_lo, 5, v1
	s_cbranch_vccnz .LBB85_178
; %bb.177:
	v_lshlrev_b32_e32 v1, 4, v1
	v_mov_b32_e32 v2, s28
	v_add_nc_u32_e32 v1, 16, v1
	s_clause 0x7
	buffer_load_dword v3, v1, s[0:3], 0 offen
	buffer_load_dword v4, v1, s[0:3], 0 offen offset:4
	buffer_load_dword v49, v1, s[0:3], 0 offen offset:8
	buffer_load_dword v50, v1, s[0:3], 0 offen offset:12
	buffer_load_dword v51, v2, s[0:3], 0 offen offset:12
	buffer_load_dword v52, v2, s[0:3], 0 offen offset:8
	buffer_load_dword v53, v2, s[0:3], 0 offen offset:4
	buffer_load_dword v54, v2, s[0:3], 0 offen
	s_waitcnt vmcnt(7)
	buffer_store_dword v3, v2, s[0:3], 0 offen
	s_waitcnt vmcnt(6)
	buffer_store_dword v4, v2, s[0:3], 0 offen offset:4
	s_waitcnt vmcnt(5)
	buffer_store_dword v49, v2, s[0:3], 0 offen offset:8
	;; [unrolled: 2-line block ×6, first 2 shown]
	s_waitcnt vmcnt(0)
	buffer_store_dword v54, v1, s[0:3], 0 offen
.LBB85_178:
	global_load_dword v0, v0, s[12:13] offset:16
	s_waitcnt vmcnt(0)
	v_add_nc_u32_e32 v0, -1, v0
	v_cmp_eq_u32_e32 vcc_lo, 4, v0
	s_cbranch_vccnz .LBB85_180
; %bb.179:
	v_lshlrev_b32_e32 v0, 4, v0
	v_mov_b32_e32 v1, s29
	v_add_nc_u32_e32 v0, 16, v0
	s_clause 0x7
	buffer_load_dword v2, v0, s[0:3], 0 offen
	buffer_load_dword v3, v0, s[0:3], 0 offen offset:4
	buffer_load_dword v4, v0, s[0:3], 0 offen offset:8
	;; [unrolled: 1-line block ×6, first 2 shown]
	buffer_load_dword v53, v1, s[0:3], 0 offen
	s_waitcnt vmcnt(7)
	buffer_store_dword v2, v1, s[0:3], 0 offen
	s_waitcnt vmcnt(6)
	buffer_store_dword v3, v1, s[0:3], 0 offen offset:4
	s_waitcnt vmcnt(5)
	buffer_store_dword v4, v1, s[0:3], 0 offen offset:8
	;; [unrolled: 2-line block ×6, first 2 shown]
	s_waitcnt vmcnt(0)
	buffer_store_dword v53, v0, s[0:3], 0 offen
.LBB85_180:
	v_mov_b32_e32 v0, 0
	global_load_dword v1, v0, s[12:13] offset:12
	s_waitcnt vmcnt(0)
	v_add_nc_u32_e32 v1, -1, v1
	v_cmp_eq_u32_e32 vcc_lo, 3, v1
	s_cbranch_vccnz .LBB85_182
; %bb.181:
	v_lshlrev_b32_e32 v1, 4, v1
	v_mov_b32_e32 v2, s30
	v_add_nc_u32_e32 v1, 16, v1
	s_clause 0x7
	buffer_load_dword v3, v1, s[0:3], 0 offen
	buffer_load_dword v4, v1, s[0:3], 0 offen offset:4
	buffer_load_dword v49, v1, s[0:3], 0 offen offset:8
	;; [unrolled: 1-line block ×6, first 2 shown]
	buffer_load_dword v54, v2, s[0:3], 0 offen
	s_waitcnt vmcnt(7)
	buffer_store_dword v3, v2, s[0:3], 0 offen
	s_waitcnt vmcnt(6)
	buffer_store_dword v4, v2, s[0:3], 0 offen offset:4
	s_waitcnt vmcnt(5)
	buffer_store_dword v49, v2, s[0:3], 0 offen offset:8
	;; [unrolled: 2-line block ×6, first 2 shown]
	s_waitcnt vmcnt(0)
	buffer_store_dword v54, v1, s[0:3], 0 offen
.LBB85_182:
	global_load_dword v0, v0, s[12:13] offset:8
	s_waitcnt vmcnt(0)
	v_add_nc_u32_e32 v0, -1, v0
	v_cmp_eq_u32_e32 vcc_lo, 2, v0
	s_cbranch_vccnz .LBB85_184
; %bb.183:
	v_lshlrev_b32_e32 v0, 4, v0
	v_mov_b32_e32 v1, s31
	v_add_nc_u32_e32 v0, 16, v0
	s_clause 0x7
	buffer_load_dword v2, v0, s[0:3], 0 offen
	buffer_load_dword v3, v0, s[0:3], 0 offen offset:4
	buffer_load_dword v4, v0, s[0:3], 0 offen offset:8
	buffer_load_dword v49, v0, s[0:3], 0 offen offset:12
	buffer_load_dword v50, v1, s[0:3], 0 offen offset:12
	buffer_load_dword v51, v1, s[0:3], 0 offen offset:8
	buffer_load_dword v52, v1, s[0:3], 0 offen offset:4
	buffer_load_dword v53, v1, s[0:3], 0 offen
	s_waitcnt vmcnt(7)
	buffer_store_dword v2, v1, s[0:3], 0 offen
	s_waitcnt vmcnt(6)
	buffer_store_dword v3, v1, s[0:3], 0 offen offset:4
	s_waitcnt vmcnt(5)
	buffer_store_dword v4, v1, s[0:3], 0 offen offset:8
	;; [unrolled: 2-line block ×6, first 2 shown]
	s_waitcnt vmcnt(0)
	buffer_store_dword v53, v0, s[0:3], 0 offen
.LBB85_184:
	v_mov_b32_e32 v0, 0
	global_load_dword v1, v0, s[12:13] offset:4
	s_waitcnt vmcnt(0)
	v_add_nc_u32_e32 v1, -1, v1
	v_cmp_eq_u32_e32 vcc_lo, 1, v1
	s_cbranch_vccnz .LBB85_186
; %bb.185:
	v_lshlrev_b32_e32 v1, 4, v1
	v_mov_b32_e32 v2, s33
	v_add_nc_u32_e32 v1, 16, v1
	s_clause 0x7
	buffer_load_dword v3, v1, s[0:3], 0 offen
	buffer_load_dword v4, v1, s[0:3], 0 offen offset:4
	buffer_load_dword v49, v1, s[0:3], 0 offen offset:8
	;; [unrolled: 1-line block ×6, first 2 shown]
	buffer_load_dword v54, v2, s[0:3], 0 offen
	s_waitcnt vmcnt(7)
	buffer_store_dword v3, v2, s[0:3], 0 offen
	s_waitcnt vmcnt(6)
	buffer_store_dword v4, v2, s[0:3], 0 offen offset:4
	s_waitcnt vmcnt(5)
	buffer_store_dword v49, v2, s[0:3], 0 offen offset:8
	;; [unrolled: 2-line block ×6, first 2 shown]
	s_waitcnt vmcnt(0)
	buffer_store_dword v54, v1, s[0:3], 0 offen
.LBB85_186:
	global_load_dword v0, v0, s[12:13]
	s_waitcnt vmcnt(0)
	v_add_nc_u32_e32 v0, -1, v0
	v_cmp_eq_u32_e32 vcc_lo, 0, v0
	s_cbranch_vccnz .LBB85_188
; %bb.187:
	v_lshlrev_b32_e32 v0, 4, v0
	v_add_nc_u32_e32 v0, 16, v0
	s_clause 0x7
	buffer_load_dword v1, v0, s[0:3], 0 offen
	buffer_load_dword v2, v0, s[0:3], 0 offen offset:4
	buffer_load_dword v3, v0, s[0:3], 0 offen offset:8
	;; [unrolled: 1-line block ×3, first 2 shown]
	buffer_load_dword v49, off, s[0:3], 0 offset:28
	buffer_load_dword v50, off, s[0:3], 0 offset:24
	;; [unrolled: 1-line block ×4, first 2 shown]
	s_waitcnt vmcnt(7)
	buffer_store_dword v1, off, s[0:3], 0 offset:16
	s_waitcnt vmcnt(6)
	buffer_store_dword v2, off, s[0:3], 0 offset:20
	;; [unrolled: 2-line block ×4, first 2 shown]
	s_waitcnt vmcnt(3)
	buffer_store_dword v49, v0, s[0:3], 0 offen offset:12
	s_waitcnt vmcnt(2)
	buffer_store_dword v50, v0, s[0:3], 0 offen offset:8
	;; [unrolled: 2-line block ×3, first 2 shown]
	s_waitcnt vmcnt(0)
	buffer_store_dword v52, v0, s[0:3], 0 offen
.LBB85_188:
	s_clause 0x3
	buffer_load_dword v0, off, s[0:3], 0 offset:16
	buffer_load_dword v1, off, s[0:3], 0 offset:20
	;; [unrolled: 1-line block ×4, first 2 shown]
	v_mov_b32_e32 v4, s33
	s_waitcnt vmcnt(0)
	flat_store_dwordx4 v[5:6], v[0:3]
	s_clause 0x3
	buffer_load_dword v0, v4, s[0:3], 0 offen
	buffer_load_dword v1, v4, s[0:3], 0 offen offset:4
	buffer_load_dword v2, v4, s[0:3], 0 offen offset:8
	buffer_load_dword v3, v4, s[0:3], 0 offen offset:12
	v_mov_b32_e32 v4, s31
	s_waitcnt vmcnt(0)
	flat_store_dwordx4 v[7:8], v[0:3]
	s_clause 0x3
	buffer_load_dword v0, v4, s[0:3], 0 offen
	buffer_load_dword v1, v4, s[0:3], 0 offen offset:4
	buffer_load_dword v2, v4, s[0:3], 0 offen offset:8
	buffer_load_dword v3, v4, s[0:3], 0 offen offset:12
	;; [unrolled: 8-line block ×21, first 2 shown]
	s_waitcnt vmcnt(0)
	flat_store_dwordx4 v[47:48], v[0:3]
	s_endpgm
	.section	.rodata,"a",@progbits
	.p2align	6, 0x0
	.amdhsa_kernel _ZN9rocsolver6v33100L18getri_kernel_smallILi22E19rocblas_complex_numIdEPKPS3_EEvT1_iilPiilS8_bb
		.amdhsa_group_segment_fixed_size 712
		.amdhsa_private_segment_fixed_size 384
		.amdhsa_kernarg_size 60
		.amdhsa_user_sgpr_count 6
		.amdhsa_user_sgpr_private_segment_buffer 1
		.amdhsa_user_sgpr_dispatch_ptr 0
		.amdhsa_user_sgpr_queue_ptr 0
		.amdhsa_user_sgpr_kernarg_segment_ptr 1
		.amdhsa_user_sgpr_dispatch_id 0
		.amdhsa_user_sgpr_flat_scratch_init 0
		.amdhsa_user_sgpr_private_segment_size 0
		.amdhsa_wavefront_size32 1
		.amdhsa_uses_dynamic_stack 0
		.amdhsa_system_sgpr_private_segment_wavefront_offset 1
		.amdhsa_system_sgpr_workgroup_id_x 1
		.amdhsa_system_sgpr_workgroup_id_y 0
		.amdhsa_system_sgpr_workgroup_id_z 0
		.amdhsa_system_sgpr_workgroup_info 0
		.amdhsa_system_vgpr_workitem_id 0
		.amdhsa_next_free_vgpr 135
		.amdhsa_next_free_sgpr 43
		.amdhsa_reserve_vcc 1
		.amdhsa_reserve_flat_scratch 0
		.amdhsa_float_round_mode_32 0
		.amdhsa_float_round_mode_16_64 0
		.amdhsa_float_denorm_mode_32 3
		.amdhsa_float_denorm_mode_16_64 3
		.amdhsa_dx10_clamp 1
		.amdhsa_ieee_mode 1
		.amdhsa_fp16_overflow 0
		.amdhsa_workgroup_processor_mode 1
		.amdhsa_memory_ordered 1
		.amdhsa_forward_progress 1
		.amdhsa_shared_vgpr_count 0
		.amdhsa_exception_fp_ieee_invalid_op 0
		.amdhsa_exception_fp_denorm_src 0
		.amdhsa_exception_fp_ieee_div_zero 0
		.amdhsa_exception_fp_ieee_overflow 0
		.amdhsa_exception_fp_ieee_underflow 0
		.amdhsa_exception_fp_ieee_inexact 0
		.amdhsa_exception_int_div_zero 0
	.end_amdhsa_kernel
	.section	.text._ZN9rocsolver6v33100L18getri_kernel_smallILi22E19rocblas_complex_numIdEPKPS3_EEvT1_iilPiilS8_bb,"axG",@progbits,_ZN9rocsolver6v33100L18getri_kernel_smallILi22E19rocblas_complex_numIdEPKPS3_EEvT1_iilPiilS8_bb,comdat
.Lfunc_end85:
	.size	_ZN9rocsolver6v33100L18getri_kernel_smallILi22E19rocblas_complex_numIdEPKPS3_EEvT1_iilPiilS8_bb, .Lfunc_end85-_ZN9rocsolver6v33100L18getri_kernel_smallILi22E19rocblas_complex_numIdEPKPS3_EEvT1_iilPiilS8_bb
                                        ; -- End function
	.set _ZN9rocsolver6v33100L18getri_kernel_smallILi22E19rocblas_complex_numIdEPKPS3_EEvT1_iilPiilS8_bb.num_vgpr, 135
	.set _ZN9rocsolver6v33100L18getri_kernel_smallILi22E19rocblas_complex_numIdEPKPS3_EEvT1_iilPiilS8_bb.num_agpr, 0
	.set _ZN9rocsolver6v33100L18getri_kernel_smallILi22E19rocblas_complex_numIdEPKPS3_EEvT1_iilPiilS8_bb.numbered_sgpr, 43
	.set _ZN9rocsolver6v33100L18getri_kernel_smallILi22E19rocblas_complex_numIdEPKPS3_EEvT1_iilPiilS8_bb.num_named_barrier, 0
	.set _ZN9rocsolver6v33100L18getri_kernel_smallILi22E19rocblas_complex_numIdEPKPS3_EEvT1_iilPiilS8_bb.private_seg_size, 384
	.set _ZN9rocsolver6v33100L18getri_kernel_smallILi22E19rocblas_complex_numIdEPKPS3_EEvT1_iilPiilS8_bb.uses_vcc, 1
	.set _ZN9rocsolver6v33100L18getri_kernel_smallILi22E19rocblas_complex_numIdEPKPS3_EEvT1_iilPiilS8_bb.uses_flat_scratch, 0
	.set _ZN9rocsolver6v33100L18getri_kernel_smallILi22E19rocblas_complex_numIdEPKPS3_EEvT1_iilPiilS8_bb.has_dyn_sized_stack, 0
	.set _ZN9rocsolver6v33100L18getri_kernel_smallILi22E19rocblas_complex_numIdEPKPS3_EEvT1_iilPiilS8_bb.has_recursion, 0
	.set _ZN9rocsolver6v33100L18getri_kernel_smallILi22E19rocblas_complex_numIdEPKPS3_EEvT1_iilPiilS8_bb.has_indirect_call, 0
	.section	.AMDGPU.csdata,"",@progbits
; Kernel info:
; codeLenInByte = 43164
; TotalNumSgprs: 45
; NumVgprs: 135
; ScratchSize: 384
; MemoryBound: 0
; FloatMode: 240
; IeeeMode: 1
; LDSByteSize: 712 bytes/workgroup (compile time only)
; SGPRBlocks: 0
; VGPRBlocks: 16
; NumSGPRsForWavesPerEU: 45
; NumVGPRsForWavesPerEU: 135
; Occupancy: 7
; WaveLimiterHint : 1
; COMPUTE_PGM_RSRC2:SCRATCH_EN: 1
; COMPUTE_PGM_RSRC2:USER_SGPR: 6
; COMPUTE_PGM_RSRC2:TRAP_HANDLER: 0
; COMPUTE_PGM_RSRC2:TGID_X_EN: 1
; COMPUTE_PGM_RSRC2:TGID_Y_EN: 0
; COMPUTE_PGM_RSRC2:TGID_Z_EN: 0
; COMPUTE_PGM_RSRC2:TIDIG_COMP_CNT: 0
	.section	.text._ZN9rocsolver6v33100L18getri_kernel_smallILi23E19rocblas_complex_numIdEPKPS3_EEvT1_iilPiilS8_bb,"axG",@progbits,_ZN9rocsolver6v33100L18getri_kernel_smallILi23E19rocblas_complex_numIdEPKPS3_EEvT1_iilPiilS8_bb,comdat
	.globl	_ZN9rocsolver6v33100L18getri_kernel_smallILi23E19rocblas_complex_numIdEPKPS3_EEvT1_iilPiilS8_bb ; -- Begin function _ZN9rocsolver6v33100L18getri_kernel_smallILi23E19rocblas_complex_numIdEPKPS3_EEvT1_iilPiilS8_bb
	.p2align	8
	.type	_ZN9rocsolver6v33100L18getri_kernel_smallILi23E19rocblas_complex_numIdEPKPS3_EEvT1_iilPiilS8_bb,@function
_ZN9rocsolver6v33100L18getri_kernel_smallILi23E19rocblas_complex_numIdEPKPS3_EEvT1_iilPiilS8_bb: ; @_ZN9rocsolver6v33100L18getri_kernel_smallILi23E19rocblas_complex_numIdEPKPS3_EEvT1_iilPiilS8_bb
; %bb.0:
	s_add_u32 s0, s0, s7
	s_addc_u32 s1, s1, 0
	s_mov_b32 s7, exec_lo
	v_cmpx_gt_u32_e32 23, v0
	s_cbranch_execz .LBB86_106
; %bb.1:
	s_clause 0x2
	s_load_dword s16, s[4:5], 0x38
	s_load_dwordx2 s[12:13], s[4:5], 0x0
	s_load_dwordx4 s[8:11], s[4:5], 0x28
	s_waitcnt lgkmcnt(0)
	s_bitcmp1_b32 s16, 8
	s_cselect_b32 s35, -1, 0
	s_ashr_i32 s7, s6, 31
	s_lshl_b64 s[14:15], s[6:7], 3
	s_add_u32 s12, s12, s14
	s_addc_u32 s13, s13, s15
	s_load_dwordx2 s[14:15], s[12:13], 0x0
	s_bfe_u32 s12, s16, 0x10008
	s_cmp_eq_u32 s12, 0
                                        ; implicit-def: $sgpr12_sgpr13
	s_cbranch_scc1 .LBB86_3
; %bb.2:
	s_clause 0x1
	s_load_dword s12, s[4:5], 0x20
	s_load_dwordx2 s[16:17], s[4:5], 0x18
	s_mul_i32 s13, s8, s7
	s_mul_hi_u32 s18, s8, s6
	s_mul_i32 s9, s9, s6
	s_add_i32 s13, s18, s13
	s_mul_i32 s8, s8, s6
	s_add_i32 s9, s13, s9
	s_lshl_b64 s[8:9], s[8:9], 2
	s_waitcnt lgkmcnt(0)
	s_ashr_i32 s13, s12, 31
	s_add_u32 s16, s16, s8
	s_addc_u32 s17, s17, s9
	s_lshl_b64 s[8:9], s[12:13], 2
	s_add_u32 s12, s16, s8
	s_addc_u32 s13, s17, s9
.LBB86_3:
	s_clause 0x1
	s_load_dwordx2 s[8:9], s[4:5], 0x8
	s_load_dword s4, s[4:5], 0x38
	v_lshlrev_b32_e32 v57, 4, v0
	s_movk_i32 s18, 0xb0
	s_movk_i32 s19, 0xc0
	;; [unrolled: 1-line block ×12, first 2 shown]
	s_mov_b32 s34, 32
	s_mov_b32 s33, 48
	;; [unrolled: 1-line block ×3, first 2 shown]
	s_movk_i32 s30, 0x50
	s_waitcnt lgkmcnt(0)
	s_ashr_i32 s17, s8, 31
	s_mov_b32 s16, s8
	v_add3_u32 v11, s9, s9, v0
	s_lshl_b64 s[16:17], s[16:17], 4
	s_add_u32 s5, s14, s16
	s_addc_u32 s8, s15, s17
	v_add_co_u32 v5, s14, s5, v57
	v_add_co_ci_u32_e64 v6, null, s8, 0, s14
	s_mov_b32 s14, s9
	s_ashr_i32 s15, s9, 31
	v_ashrrev_i32_e32 v12, 31, v11
	flat_load_dwordx4 v[1:4], v[5:6]
	s_lshl_b64 s[14:15], s[14:15], 4
	v_add_nc_u32_e32 v13, s9, v11
	v_add_co_u32 v7, vcc_lo, v5, s14
	v_add_co_ci_u32_e64 v8, null, s15, v6, vcc_lo
	v_lshlrev_b64 v[9:10], 4, v[11:12]
	v_ashrrev_i32_e32 v14, 31, v13
	v_add_nc_u32_e32 v15, s9, v13
	s_movk_i32 s14, 0x70
	s_movk_i32 s15, 0x80
	;; [unrolled: 1-line block ×3, first 2 shown]
	v_add_co_u32 v9, vcc_lo, s5, v9
	v_add_co_ci_u32_e64 v10, null, s8, v10, vcc_lo
	v_lshlrev_b64 v[11:12], 4, v[13:14]
	v_ashrrev_i32_e32 v16, 31, v15
	v_add_nc_u32_e32 v17, s9, v15
	s_movk_i32 s17, 0xa0
	s_add_i32 s27, s14, 16
	s_add_i32 s26, s15, 16
	v_add_co_u32 v11, vcc_lo, s5, v11
	v_add_co_ci_u32_e64 v12, null, s8, v12, vcc_lo
	v_lshlrev_b64 v[13:14], 4, v[15:16]
	v_ashrrev_i32_e32 v18, 31, v17
	v_add_nc_u32_e32 v19, s9, v17
	s_add_i32 s25, s16, 16
	s_add_i32 s24, s17, 16
	s_add_i32 s23, s18, 16
	v_add_co_u32 v13, vcc_lo, s5, v13
	v_add_co_ci_u32_e64 v14, null, s8, v14, vcc_lo
	v_lshlrev_b64 v[15:16], 4, v[17:18]
	v_ashrrev_i32_e32 v20, 31, v19
	v_add_nc_u32_e32 v21, s9, v19
	s_add_i32 s22, s19, 16
	;; [unrolled: 8-line block ×4, first 2 shown]
	s_add_i32 s15, s41, 16
	s_add_i32 s14, s42, 16
	v_add_co_u32 v19, vcc_lo, s5, v19
	v_add_co_ci_u32_e64 v20, null, s8, v20, vcc_lo
	v_lshlrev_b64 v[21:22], 4, v[23:24]
	v_ashrrev_i32_e32 v26, 31, v25
	v_add_nc_u32_e32 v27, s9, v25
	s_waitcnt vmcnt(0) lgkmcnt(0)
	buffer_store_dword v4, off, s[0:3], 0 offset:28
	buffer_store_dword v3, off, s[0:3], 0 offset:24
	buffer_store_dword v2, off, s[0:3], 0 offset:20
	buffer_store_dword v1, off, s[0:3], 0 offset:16
	flat_load_dwordx4 v[1:4], v[7:8]
	v_add_co_u32 v21, vcc_lo, s5, v21
	v_add_co_ci_u32_e64 v22, null, s8, v22, vcc_lo
	v_lshlrev_b64 v[23:24], 4, v[25:26]
	v_ashrrev_i32_e32 v28, 31, v27
	v_add_nc_u32_e32 v29, s9, v27
	s_waitcnt vmcnt(0) lgkmcnt(0)
	buffer_store_dword v4, off, s[0:3], 0 offset:44
	buffer_store_dword v3, off, s[0:3], 0 offset:40
	buffer_store_dword v2, off, s[0:3], 0 offset:36
	buffer_store_dword v1, off, s[0:3], 0 offset:32
	flat_load_dwordx4 v[1:4], v[9:10]
	;; [unrolled: 11-line block ×12, first 2 shown]
	v_add_co_u32 v43, vcc_lo, s5, v43
	v_add_co_ci_u32_e64 v44, null, s8, v44, vcc_lo
	v_lshlrev_b64 v[45:46], 4, v[47:48]
	v_ashrrev_i32_e32 v50, 31, v49
	s_waitcnt vmcnt(0) lgkmcnt(0)
	buffer_store_dword v4, off, s[0:3], 0 offset:220
	buffer_store_dword v3, off, s[0:3], 0 offset:216
	buffer_store_dword v2, off, s[0:3], 0 offset:212
	buffer_store_dword v1, off, s[0:3], 0 offset:208
	flat_load_dwordx4 v[1:4], v[31:32]
	v_add_co_u32 v45, vcc_lo, s5, v45
	v_add_co_ci_u32_e64 v46, null, s8, v46, vcc_lo
	v_lshlrev_b64 v[47:48], 4, v[49:50]
	v_add_nc_u32_e32 v49, s9, v49
	s_movk_i32 s9, 0x60
	s_waitcnt vmcnt(0) lgkmcnt(0)
	buffer_store_dword v4, off, s[0:3], 0 offset:236
	buffer_store_dword v3, off, s[0:3], 0 offset:232
	;; [unrolled: 1-line block ×4, first 2 shown]
	flat_load_dwordx4 v[1:4], v[33:34]
	v_add_co_u32 v47, vcc_lo, s5, v47
	v_add_co_ci_u32_e64 v48, null, s8, v48, vcc_lo
	v_ashrrev_i32_e32 v50, 31, v49
	s_add_i32 s28, s9, 16
	s_add_i32 s9, s43, 16
	s_waitcnt vmcnt(0) lgkmcnt(0)
	buffer_store_dword v4, off, s[0:3], 0 offset:252
	buffer_store_dword v3, off, s[0:3], 0 offset:248
	;; [unrolled: 1-line block ×4, first 2 shown]
	flat_load_dwordx4 v[1:4], v[35:36]
	v_lshlrev_b64 v[49:50], 4, v[49:50]
	s_waitcnt vmcnt(0) lgkmcnt(0)
	buffer_store_dword v4, off, s[0:3], 0 offset:268
	buffer_store_dword v3, off, s[0:3], 0 offset:264
	;; [unrolled: 1-line block ×4, first 2 shown]
	flat_load_dwordx4 v[1:4], v[37:38]
	v_add_co_u32 v49, vcc_lo, s5, v49
	v_add_co_ci_u32_e64 v50, null, s8, v50, vcc_lo
	s_movk_i32 s8, 0x50
	s_mov_b32 s5, -1
	s_add_i32 s29, s8, 16
	s_add_i32 s8, s44, 16
	s_bitcmp0_b32 s4, 0
	s_waitcnt vmcnt(0) lgkmcnt(0)
	buffer_store_dword v4, off, s[0:3], 0 offset:284
	buffer_store_dword v3, off, s[0:3], 0 offset:280
	buffer_store_dword v2, off, s[0:3], 0 offset:276
	buffer_store_dword v1, off, s[0:3], 0 offset:272
	flat_load_dwordx4 v[1:4], v[39:40]
	s_waitcnt vmcnt(0) lgkmcnt(0)
	buffer_store_dword v4, off, s[0:3], 0 offset:300
	buffer_store_dword v3, off, s[0:3], 0 offset:296
	buffer_store_dword v2, off, s[0:3], 0 offset:292
	buffer_store_dword v1, off, s[0:3], 0 offset:288
	flat_load_dwordx4 v[1:4], v[41:42]
	;; [unrolled: 6-line block ×6, first 2 shown]
	s_waitcnt vmcnt(0) lgkmcnt(0)
	buffer_store_dword v4, off, s[0:3], 0 offset:380
	buffer_store_dword v3, off, s[0:3], 0 offset:376
	;; [unrolled: 1-line block ×4, first 2 shown]
	s_cbranch_scc1 .LBB86_104
; %bb.4:
	v_cmp_eq_u32_e64 s4, 0, v0
	s_and_saveexec_b32 s5, s4
; %bb.5:
	v_mov_b32_e32 v1, 0
	ds_write_b32 v1, v1 offset:736
; %bb.6:
	s_or_b32 exec_lo, exec_lo, s5
	v_lshl_add_u32 v58, v0, 4, 16
	s_waitcnt lgkmcnt(0)
	s_waitcnt_vscnt null, 0x0
	s_barrier
	buffer_gl0_inv
	s_clause 0x3
	buffer_load_dword v1, v58, s[0:3], 0 offen
	buffer_load_dword v2, v58, s[0:3], 0 offen offset:4
	buffer_load_dword v3, v58, s[0:3], 0 offen offset:8
	;; [unrolled: 1-line block ×3, first 2 shown]
	s_waitcnt vmcnt(2)
	v_cmp_eq_f64_e32 vcc_lo, 0, v[1:2]
	s_waitcnt vmcnt(0)
	v_cmp_eq_f64_e64 s5, 0, v[3:4]
	s_and_b32 s5, vcc_lo, s5
	s_and_saveexec_b32 s36, s5
	s_cbranch_execz .LBB86_10
; %bb.7:
	v_mov_b32_e32 v1, 0
	s_mov_b32 s37, 0
	ds_read_b32 v2, v1 offset:736
	s_waitcnt lgkmcnt(0)
	v_readfirstlane_b32 s5, v2
	v_add_nc_u32_e32 v2, 1, v0
	s_cmp_eq_u32 s5, 0
	v_cmp_gt_i32_e32 vcc_lo, s5, v2
	s_cselect_b32 s38, -1, 0
	s_or_b32 s38, s38, vcc_lo
	s_and_b32 exec_lo, exec_lo, s38
	s_cbranch_execz .LBB86_10
; %bb.8:
	v_mov_b32_e32 v3, s5
.LBB86_9:                               ; =>This Inner Loop Header: Depth=1
	ds_cmpst_rtn_b32 v3, v1, v3, v2 offset:736
	s_waitcnt lgkmcnt(0)
	v_cmp_ne_u32_e32 vcc_lo, 0, v3
	v_cmp_le_i32_e64 s5, v3, v2
	s_and_b32 s5, vcc_lo, s5
	s_and_b32 s5, exec_lo, s5
	s_or_b32 s37, s5, s37
	s_andn2_b32 exec_lo, exec_lo, s37
	s_cbranch_execnz .LBB86_9
.LBB86_10:
	s_or_b32 exec_lo, exec_lo, s36
	v_mov_b32_e32 v1, 0
	s_barrier
	buffer_gl0_inv
	ds_read_b32 v2, v1 offset:736
	s_and_saveexec_b32 s5, s4
	s_cbranch_execz .LBB86_12
; %bb.11:
	s_lshl_b64 s[36:37], s[6:7], 2
	s_add_u32 s36, s10, s36
	s_addc_u32 s37, s11, s37
	s_waitcnt lgkmcnt(0)
	global_store_dword v1, v2, s[36:37]
.LBB86_12:
	s_or_b32 exec_lo, exec_lo, s5
	s_waitcnt lgkmcnt(0)
	v_cmp_ne_u32_e32 vcc_lo, 0, v2
	s_mov_b32 s5, 0
	s_cbranch_vccnz .LBB86_104
; %bb.13:
	s_clause 0x3
	buffer_load_dword v53, v58, s[0:3], 0 offen
	buffer_load_dword v54, v58, s[0:3], 0 offen offset:4
	buffer_load_dword v55, v58, s[0:3], 0 offen offset:8
	;; [unrolled: 1-line block ×3, first 2 shown]
                                        ; implicit-def: $vgpr51_vgpr52
                                        ; implicit-def: $vgpr3_vgpr4
	s_waitcnt vmcnt(0)
	v_cmp_ngt_f64_e64 s5, |v[53:54]|, |v[55:56]|
	s_and_saveexec_b32 s36, s5
	s_xor_b32 s5, exec_lo, s36
	s_cbranch_execz .LBB86_15
; %bb.14:
	v_div_scale_f64 v[1:2], null, v[55:56], v[55:56], v[53:54]
	v_div_scale_f64 v[59:60], vcc_lo, v[53:54], v[55:56], v[53:54]
	v_rcp_f64_e32 v[3:4], v[1:2]
	v_fma_f64 v[51:52], -v[1:2], v[3:4], 1.0
	v_fma_f64 v[3:4], v[3:4], v[51:52], v[3:4]
	v_fma_f64 v[51:52], -v[1:2], v[3:4], 1.0
	v_fma_f64 v[3:4], v[3:4], v[51:52], v[3:4]
	v_mul_f64 v[51:52], v[59:60], v[3:4]
	v_fma_f64 v[1:2], -v[1:2], v[51:52], v[59:60]
	v_div_fmas_f64 v[1:2], v[1:2], v[3:4], v[51:52]
	v_div_fixup_f64 v[1:2], v[1:2], v[55:56], v[53:54]
	v_fma_f64 v[3:4], v[53:54], v[1:2], v[55:56]
	v_div_scale_f64 v[51:52], null, v[3:4], v[3:4], 1.0
	v_div_scale_f64 v[59:60], vcc_lo, 1.0, v[3:4], 1.0
	v_rcp_f64_e32 v[53:54], v[51:52]
	v_fma_f64 v[55:56], -v[51:52], v[53:54], 1.0
	v_fma_f64 v[53:54], v[53:54], v[55:56], v[53:54]
	v_fma_f64 v[55:56], -v[51:52], v[53:54], 1.0
	v_fma_f64 v[53:54], v[53:54], v[55:56], v[53:54]
	v_mul_f64 v[55:56], v[59:60], v[53:54]
	v_fma_f64 v[51:52], -v[51:52], v[55:56], v[59:60]
	v_div_fmas_f64 v[51:52], v[51:52], v[53:54], v[55:56]
                                        ; implicit-def: $vgpr53_vgpr54
                                        ; implicit-def: $vgpr55_vgpr56
	v_div_fixup_f64 v[3:4], v[51:52], v[3:4], 1.0
	v_mul_f64 v[51:52], v[1:2], v[3:4]
	v_xor_b32_e32 v4, 0x80000000, v4
	v_xor_b32_e32 v2, 0x80000000, v52
	v_mov_b32_e32 v1, v51
.LBB86_15:
	s_andn2_saveexec_b32 s5, s5
	s_cbranch_execz .LBB86_17
; %bb.16:
	v_div_scale_f64 v[1:2], null, v[53:54], v[53:54], v[55:56]
	v_div_scale_f64 v[59:60], vcc_lo, v[55:56], v[53:54], v[55:56]
	v_rcp_f64_e32 v[3:4], v[1:2]
	v_fma_f64 v[51:52], -v[1:2], v[3:4], 1.0
	v_fma_f64 v[3:4], v[3:4], v[51:52], v[3:4]
	v_fma_f64 v[51:52], -v[1:2], v[3:4], 1.0
	v_fma_f64 v[3:4], v[3:4], v[51:52], v[3:4]
	v_mul_f64 v[51:52], v[59:60], v[3:4]
	v_fma_f64 v[1:2], -v[1:2], v[51:52], v[59:60]
	v_div_fmas_f64 v[1:2], v[1:2], v[3:4], v[51:52]
	v_div_fixup_f64 v[1:2], v[1:2], v[53:54], v[55:56]
	v_fma_f64 v[3:4], v[55:56], v[1:2], v[53:54]
	v_div_scale_f64 v[51:52], null, v[3:4], v[3:4], 1.0
	v_rcp_f64_e32 v[53:54], v[51:52]
	v_fma_f64 v[55:56], -v[51:52], v[53:54], 1.0
	v_fma_f64 v[53:54], v[53:54], v[55:56], v[53:54]
	v_fma_f64 v[55:56], -v[51:52], v[53:54], 1.0
	v_fma_f64 v[53:54], v[53:54], v[55:56], v[53:54]
	v_div_scale_f64 v[55:56], vcc_lo, 1.0, v[3:4], 1.0
	v_mul_f64 v[59:60], v[55:56], v[53:54]
	v_fma_f64 v[51:52], -v[51:52], v[59:60], v[55:56]
	v_div_fmas_f64 v[51:52], v[51:52], v[53:54], v[59:60]
	v_div_fixup_f64 v[51:52], v[51:52], v[3:4], 1.0
	v_mul_f64 v[3:4], v[1:2], -v[51:52]
	v_xor_b32_e32 v2, 0x80000000, v52
	v_mov_b32_e32 v1, v51
.LBB86_17:
	s_or_b32 exec_lo, exec_lo, s5
	v_mov_b32_e32 v56, s34
	buffer_store_dword v52, v58, s[0:3], 0 offen offset:4
	buffer_store_dword v51, v58, s[0:3], 0 offen
	buffer_store_dword v4, v58, s[0:3], 0 offen offset:12
	buffer_store_dword v3, v58, s[0:3], 0 offen offset:8
	v_xor_b32_e32 v4, 0x80000000, v4
	v_add_nc_u32_e32 v51, 0x170, v57
	s_clause 0x3
	buffer_load_dword v55, v56, s[0:3], 0 offen offset:12
	buffer_load_dword v54, v56, s[0:3], 0 offen offset:8
	;; [unrolled: 1-line block ×3, first 2 shown]
	buffer_load_dword v52, v56, s[0:3], 0 offen
	ds_write_b128 v57, v[1:4]
	s_waitcnt vmcnt(0)
	ds_write_b128 v57, v[52:55] offset:368
	s_waitcnt lgkmcnt(0)
	s_waitcnt_vscnt null, 0x0
	s_barrier
	buffer_gl0_inv
	s_and_saveexec_b32 s5, s4
	s_cbranch_execz .LBB86_19
; %bb.18:
	s_clause 0x3
	buffer_load_dword v59, v58, s[0:3], 0 offen offset:8
	buffer_load_dword v60, v58, s[0:3], 0 offen offset:12
	buffer_load_dword v61, v58, s[0:3], 0 offen
	buffer_load_dword v62, v58, s[0:3], 0 offen offset:4
	ds_read_b128 v[1:4], v51
	v_mov_b32_e32 v52, 0
	ds_read_b128 v[52:55], v52 offset:16
	s_waitcnt vmcnt(2) lgkmcnt(1)
	v_mul_f64 v[63:64], v[1:2], v[59:60]
	v_mul_f64 v[59:60], v[3:4], v[59:60]
	s_waitcnt vmcnt(0)
	v_fma_f64 v[3:4], v[3:4], v[61:62], v[63:64]
	v_fma_f64 v[1:2], v[1:2], v[61:62], -v[59:60]
	v_add_f64 v[3:4], v[3:4], 0
	v_add_f64 v[1:2], v[1:2], 0
	s_waitcnt lgkmcnt(0)
	v_mul_f64 v[59:60], v[3:4], v[54:55]
	v_mul_f64 v[54:55], v[1:2], v[54:55]
	v_fma_f64 v[1:2], v[1:2], v[52:53], -v[59:60]
	v_fma_f64 v[3:4], v[3:4], v[52:53], v[54:55]
	buffer_store_dword v1, off, s[0:3], 0 offset:32
	buffer_store_dword v2, off, s[0:3], 0 offset:36
	;; [unrolled: 1-line block ×4, first 2 shown]
.LBB86_19:
	s_or_b32 exec_lo, exec_lo, s5
	v_mov_b32_e32 v4, s33
	s_waitcnt_vscnt null, 0x0
	s_barrier
	buffer_gl0_inv
	s_mov_b32 s5, exec_lo
	s_clause 0x3
	buffer_load_dword v1, v4, s[0:3], 0 offen
	buffer_load_dword v2, v4, s[0:3], 0 offen offset:4
	buffer_load_dword v3, v4, s[0:3], 0 offen offset:8
	;; [unrolled: 1-line block ×3, first 2 shown]
	s_waitcnt vmcnt(0)
	ds_write_b128 v51, v[1:4]
	s_waitcnt lgkmcnt(0)
	s_barrier
	buffer_gl0_inv
	v_cmpx_gt_u32_e32 2, v0
	s_cbranch_execz .LBB86_23
; %bb.20:
	s_clause 0x3
	buffer_load_dword v52, v58, s[0:3], 0 offen offset:8
	buffer_load_dword v53, v58, s[0:3], 0 offen offset:12
	buffer_load_dword v54, v58, s[0:3], 0 offen
	buffer_load_dword v55, v58, s[0:3], 0 offen offset:4
	ds_read_b128 v[1:4], v51
	s_waitcnt vmcnt(2) lgkmcnt(0)
	v_mul_f64 v[58:59], v[3:4], v[52:53]
	v_mul_f64 v[52:53], v[1:2], v[52:53]
	s_waitcnt vmcnt(0)
	v_fma_f64 v[1:2], v[1:2], v[54:55], -v[58:59]
	v_fma_f64 v[3:4], v[3:4], v[54:55], v[52:53]
	v_add_f64 v[1:2], v[1:2], 0
	v_add_f64 v[3:4], v[3:4], 0
	s_and_saveexec_b32 s36, s4
	s_cbranch_execz .LBB86_22
; %bb.21:
	s_clause 0x3
	buffer_load_dword v58, off, s[0:3], 0 offset:40
	buffer_load_dword v59, off, s[0:3], 0 offset:44
	;; [unrolled: 1-line block ×4, first 2 shown]
	v_mov_b32_e32 v52, 0
	ds_read_b128 v[52:55], v52 offset:384
	s_waitcnt vmcnt(2) lgkmcnt(0)
	v_mul_f64 v[62:63], v[52:53], v[58:59]
	v_mul_f64 v[58:59], v[54:55], v[58:59]
	s_waitcnt vmcnt(0)
	v_fma_f64 v[54:55], v[54:55], v[60:61], v[62:63]
	v_fma_f64 v[52:53], v[52:53], v[60:61], -v[58:59]
	v_add_f64 v[3:4], v[3:4], v[54:55]
	v_add_f64 v[1:2], v[1:2], v[52:53]
.LBB86_22:
	s_or_b32 exec_lo, exec_lo, s36
	v_mov_b32_e32 v52, 0
	ds_read_b128 v[52:55], v52 offset:32
	s_waitcnt lgkmcnt(0)
	v_mul_f64 v[58:59], v[3:4], v[54:55]
	v_mul_f64 v[54:55], v[1:2], v[54:55]
	v_fma_f64 v[1:2], v[1:2], v[52:53], -v[58:59]
	v_fma_f64 v[3:4], v[3:4], v[52:53], v[54:55]
	buffer_store_dword v2, off, s[0:3], 0 offset:52
	buffer_store_dword v1, off, s[0:3], 0 offset:48
	;; [unrolled: 1-line block ×4, first 2 shown]
.LBB86_23:
	s_or_b32 exec_lo, exec_lo, s5
	v_mov_b32_e32 v4, s31
	s_waitcnt_vscnt null, 0x0
	s_barrier
	buffer_gl0_inv
	v_add_nc_u32_e32 v52, -1, v0
	s_clause 0x3
	buffer_load_dword v1, v4, s[0:3], 0 offen
	buffer_load_dword v2, v4, s[0:3], 0 offen offset:4
	buffer_load_dword v3, v4, s[0:3], 0 offen offset:8
	;; [unrolled: 1-line block ×3, first 2 shown]
	s_mov_b32 s4, exec_lo
	s_waitcnt vmcnt(0)
	ds_write_b128 v51, v[1:4]
	s_waitcnt lgkmcnt(0)
	s_barrier
	buffer_gl0_inv
	v_cmpx_gt_u32_e32 3, v0
	s_cbranch_execz .LBB86_27
; %bb.24:
	v_mov_b32_e32 v1, 0
	v_mov_b32_e32 v3, 0
	v_add_nc_u32_e32 v53, -1, v0
	v_add_nc_u32_e32 v54, 0x170, v57
	v_mov_b32_e32 v2, 0
	v_mov_b32_e32 v4, 0
	v_add_nc_u32_e32 v55, 16, v57
	s_mov_b32 s5, 0
	.p2align	6
.LBB86_25:                              ; =>This Inner Loop Header: Depth=1
	s_clause 0x3
	buffer_load_dword v62, v55, s[0:3], 0 offen offset:8
	buffer_load_dword v63, v55, s[0:3], 0 offen offset:12
	buffer_load_dword v64, v55, s[0:3], 0 offen
	buffer_load_dword v65, v55, s[0:3], 0 offen offset:4
	ds_read_b128 v[58:61], v54
	v_add_nc_u32_e32 v53, 1, v53
	v_add_nc_u32_e32 v54, 16, v54
	;; [unrolled: 1-line block ×3, first 2 shown]
	v_cmp_lt_u32_e32 vcc_lo, 1, v53
	s_or_b32 s5, vcc_lo, s5
	s_waitcnt vmcnt(2) lgkmcnt(0)
	v_mul_f64 v[66:67], v[60:61], v[62:63]
	v_mul_f64 v[62:63], v[58:59], v[62:63]
	s_waitcnt vmcnt(0)
	v_fma_f64 v[58:59], v[58:59], v[64:65], -v[66:67]
	v_fma_f64 v[60:61], v[60:61], v[64:65], v[62:63]
	v_add_f64 v[3:4], v[3:4], v[58:59]
	v_add_f64 v[1:2], v[1:2], v[60:61]
	s_andn2_b32 exec_lo, exec_lo, s5
	s_cbranch_execnz .LBB86_25
; %bb.26:
	s_or_b32 exec_lo, exec_lo, s5
	v_mov_b32_e32 v53, 0
	ds_read_b128 v[53:56], v53 offset:48
	s_waitcnt lgkmcnt(0)
	v_mul_f64 v[58:59], v[1:2], v[55:56]
	v_mul_f64 v[55:56], v[3:4], v[55:56]
	v_fma_f64 v[3:4], v[3:4], v[53:54], -v[58:59]
	v_fma_f64 v[1:2], v[1:2], v[53:54], v[55:56]
	buffer_store_dword v4, off, s[0:3], 0 offset:68
	buffer_store_dword v3, off, s[0:3], 0 offset:64
	;; [unrolled: 1-line block ×4, first 2 shown]
.LBB86_27:
	s_or_b32 exec_lo, exec_lo, s4
	v_mov_b32_e32 v4, s30
	s_waitcnt_vscnt null, 0x0
	s_barrier
	buffer_gl0_inv
	s_mov_b32 s4, exec_lo
	s_clause 0x3
	buffer_load_dword v1, v4, s[0:3], 0 offen
	buffer_load_dword v2, v4, s[0:3], 0 offen offset:4
	buffer_load_dword v3, v4, s[0:3], 0 offen offset:8
	;; [unrolled: 1-line block ×3, first 2 shown]
	s_waitcnt vmcnt(0)
	ds_write_b128 v51, v[1:4]
	s_waitcnt lgkmcnt(0)
	s_barrier
	buffer_gl0_inv
	v_cmpx_gt_u32_e32 4, v0
	s_cbranch_execz .LBB86_31
; %bb.28:
	v_mov_b32_e32 v1, 0
	v_mov_b32_e32 v3, 0
	v_add_nc_u32_e32 v53, -1, v0
	v_add_nc_u32_e32 v54, 0x170, v57
	v_mov_b32_e32 v2, 0
	v_mov_b32_e32 v4, 0
	v_add_nc_u32_e32 v55, 16, v57
	s_mov_b32 s5, 0
	.p2align	6
.LBB86_29:                              ; =>This Inner Loop Header: Depth=1
	s_clause 0x3
	buffer_load_dword v62, v55, s[0:3], 0 offen offset:8
	buffer_load_dword v63, v55, s[0:3], 0 offen offset:12
	buffer_load_dword v64, v55, s[0:3], 0 offen
	buffer_load_dword v65, v55, s[0:3], 0 offen offset:4
	ds_read_b128 v[58:61], v54
	v_add_nc_u32_e32 v53, 1, v53
	v_add_nc_u32_e32 v54, 16, v54
	;; [unrolled: 1-line block ×3, first 2 shown]
	v_cmp_lt_u32_e32 vcc_lo, 2, v53
	s_or_b32 s5, vcc_lo, s5
	s_waitcnt vmcnt(2) lgkmcnt(0)
	v_mul_f64 v[66:67], v[60:61], v[62:63]
	v_mul_f64 v[62:63], v[58:59], v[62:63]
	s_waitcnt vmcnt(0)
	v_fma_f64 v[58:59], v[58:59], v[64:65], -v[66:67]
	v_fma_f64 v[60:61], v[60:61], v[64:65], v[62:63]
	v_add_f64 v[3:4], v[3:4], v[58:59]
	v_add_f64 v[1:2], v[1:2], v[60:61]
	s_andn2_b32 exec_lo, exec_lo, s5
	s_cbranch_execnz .LBB86_29
; %bb.30:
	s_or_b32 exec_lo, exec_lo, s5
	v_mov_b32_e32 v53, 0
	ds_read_b128 v[53:56], v53 offset:64
	s_waitcnt lgkmcnt(0)
	v_mul_f64 v[58:59], v[1:2], v[55:56]
	v_mul_f64 v[55:56], v[3:4], v[55:56]
	v_fma_f64 v[3:4], v[3:4], v[53:54], -v[58:59]
	v_fma_f64 v[1:2], v[1:2], v[53:54], v[55:56]
	buffer_store_dword v4, off, s[0:3], 0 offset:84
	buffer_store_dword v3, off, s[0:3], 0 offset:80
	;; [unrolled: 1-line block ×4, first 2 shown]
.LBB86_31:
	s_or_b32 exec_lo, exec_lo, s4
	v_mov_b32_e32 v4, s29
	s_waitcnt_vscnt null, 0x0
	s_barrier
	buffer_gl0_inv
	s_mov_b32 s4, exec_lo
	s_clause 0x3
	buffer_load_dword v1, v4, s[0:3], 0 offen
	buffer_load_dword v2, v4, s[0:3], 0 offen offset:4
	buffer_load_dword v3, v4, s[0:3], 0 offen offset:8
	;; [unrolled: 1-line block ×3, first 2 shown]
	s_waitcnt vmcnt(0)
	ds_write_b128 v51, v[1:4]
	s_waitcnt lgkmcnt(0)
	s_barrier
	buffer_gl0_inv
	v_cmpx_gt_u32_e32 5, v0
	s_cbranch_execz .LBB86_35
; %bb.32:
	v_mov_b32_e32 v1, 0
	v_mov_b32_e32 v3, 0
	v_add_nc_u32_e32 v53, -1, v0
	v_add_nc_u32_e32 v54, 0x170, v57
	v_mov_b32_e32 v2, 0
	v_mov_b32_e32 v4, 0
	v_add_nc_u32_e32 v55, 16, v57
	s_mov_b32 s5, 0
	.p2align	6
.LBB86_33:                              ; =>This Inner Loop Header: Depth=1
	s_clause 0x3
	buffer_load_dword v62, v55, s[0:3], 0 offen offset:8
	buffer_load_dword v63, v55, s[0:3], 0 offen offset:12
	buffer_load_dword v64, v55, s[0:3], 0 offen
	buffer_load_dword v65, v55, s[0:3], 0 offen offset:4
	ds_read_b128 v[58:61], v54
	v_add_nc_u32_e32 v53, 1, v53
	v_add_nc_u32_e32 v54, 16, v54
	;; [unrolled: 1-line block ×3, first 2 shown]
	v_cmp_lt_u32_e32 vcc_lo, 3, v53
	s_or_b32 s5, vcc_lo, s5
	s_waitcnt vmcnt(2) lgkmcnt(0)
	v_mul_f64 v[66:67], v[60:61], v[62:63]
	v_mul_f64 v[62:63], v[58:59], v[62:63]
	s_waitcnt vmcnt(0)
	v_fma_f64 v[58:59], v[58:59], v[64:65], -v[66:67]
	v_fma_f64 v[60:61], v[60:61], v[64:65], v[62:63]
	v_add_f64 v[3:4], v[3:4], v[58:59]
	v_add_f64 v[1:2], v[1:2], v[60:61]
	s_andn2_b32 exec_lo, exec_lo, s5
	s_cbranch_execnz .LBB86_33
; %bb.34:
	s_or_b32 exec_lo, exec_lo, s5
	v_mov_b32_e32 v53, 0
	ds_read_b128 v[53:56], v53 offset:80
	s_waitcnt lgkmcnt(0)
	v_mul_f64 v[58:59], v[1:2], v[55:56]
	v_mul_f64 v[55:56], v[3:4], v[55:56]
	v_fma_f64 v[3:4], v[3:4], v[53:54], -v[58:59]
	v_fma_f64 v[1:2], v[1:2], v[53:54], v[55:56]
	buffer_store_dword v4, off, s[0:3], 0 offset:100
	buffer_store_dword v3, off, s[0:3], 0 offset:96
	buffer_store_dword v2, off, s[0:3], 0 offset:108
	buffer_store_dword v1, off, s[0:3], 0 offset:104
.LBB86_35:
	s_or_b32 exec_lo, exec_lo, s4
	v_mov_b32_e32 v4, s28
	s_waitcnt_vscnt null, 0x0
	s_barrier
	buffer_gl0_inv
	s_mov_b32 s4, exec_lo
	s_clause 0x3
	buffer_load_dword v1, v4, s[0:3], 0 offen
	buffer_load_dword v2, v4, s[0:3], 0 offen offset:4
	buffer_load_dword v3, v4, s[0:3], 0 offen offset:8
	;; [unrolled: 1-line block ×3, first 2 shown]
	s_waitcnt vmcnt(0)
	ds_write_b128 v51, v[1:4]
	s_waitcnt lgkmcnt(0)
	s_barrier
	buffer_gl0_inv
	v_cmpx_gt_u32_e32 6, v0
	s_cbranch_execz .LBB86_39
; %bb.36:
	v_mov_b32_e32 v1, 0
	v_mov_b32_e32 v3, 0
	v_add_nc_u32_e32 v53, -1, v0
	v_add_nc_u32_e32 v54, 0x170, v57
	v_mov_b32_e32 v2, 0
	v_mov_b32_e32 v4, 0
	v_add_nc_u32_e32 v55, 16, v57
	s_mov_b32 s5, 0
	.p2align	6
.LBB86_37:                              ; =>This Inner Loop Header: Depth=1
	s_clause 0x3
	buffer_load_dword v62, v55, s[0:3], 0 offen offset:8
	buffer_load_dword v63, v55, s[0:3], 0 offen offset:12
	buffer_load_dword v64, v55, s[0:3], 0 offen
	buffer_load_dword v65, v55, s[0:3], 0 offen offset:4
	ds_read_b128 v[58:61], v54
	v_add_nc_u32_e32 v53, 1, v53
	v_add_nc_u32_e32 v54, 16, v54
	;; [unrolled: 1-line block ×3, first 2 shown]
	v_cmp_lt_u32_e32 vcc_lo, 4, v53
	s_or_b32 s5, vcc_lo, s5
	s_waitcnt vmcnt(2) lgkmcnt(0)
	v_mul_f64 v[66:67], v[60:61], v[62:63]
	v_mul_f64 v[62:63], v[58:59], v[62:63]
	s_waitcnt vmcnt(0)
	v_fma_f64 v[58:59], v[58:59], v[64:65], -v[66:67]
	v_fma_f64 v[60:61], v[60:61], v[64:65], v[62:63]
	v_add_f64 v[3:4], v[3:4], v[58:59]
	v_add_f64 v[1:2], v[1:2], v[60:61]
	s_andn2_b32 exec_lo, exec_lo, s5
	s_cbranch_execnz .LBB86_37
; %bb.38:
	s_or_b32 exec_lo, exec_lo, s5
	v_mov_b32_e32 v53, 0
	ds_read_b128 v[53:56], v53 offset:96
	s_waitcnt lgkmcnt(0)
	v_mul_f64 v[58:59], v[1:2], v[55:56]
	v_mul_f64 v[55:56], v[3:4], v[55:56]
	v_fma_f64 v[3:4], v[3:4], v[53:54], -v[58:59]
	v_fma_f64 v[1:2], v[1:2], v[53:54], v[55:56]
	buffer_store_dword v4, off, s[0:3], 0 offset:116
	buffer_store_dword v3, off, s[0:3], 0 offset:112
	;; [unrolled: 1-line block ×4, first 2 shown]
.LBB86_39:
	s_or_b32 exec_lo, exec_lo, s4
	v_mov_b32_e32 v4, s27
	s_waitcnt_vscnt null, 0x0
	s_barrier
	buffer_gl0_inv
	s_mov_b32 s4, exec_lo
	s_clause 0x3
	buffer_load_dword v1, v4, s[0:3], 0 offen
	buffer_load_dword v2, v4, s[0:3], 0 offen offset:4
	buffer_load_dword v3, v4, s[0:3], 0 offen offset:8
	;; [unrolled: 1-line block ×3, first 2 shown]
	s_waitcnt vmcnt(0)
	ds_write_b128 v51, v[1:4]
	s_waitcnt lgkmcnt(0)
	s_barrier
	buffer_gl0_inv
	v_cmpx_gt_u32_e32 7, v0
	s_cbranch_execz .LBB86_43
; %bb.40:
	v_mov_b32_e32 v1, 0
	v_mov_b32_e32 v3, 0
	v_add_nc_u32_e32 v53, -1, v0
	v_add_nc_u32_e32 v54, 0x170, v57
	v_mov_b32_e32 v2, 0
	v_mov_b32_e32 v4, 0
	v_add_nc_u32_e32 v55, 16, v57
	s_mov_b32 s5, 0
	.p2align	6
.LBB86_41:                              ; =>This Inner Loop Header: Depth=1
	s_clause 0x3
	buffer_load_dword v62, v55, s[0:3], 0 offen offset:8
	buffer_load_dword v63, v55, s[0:3], 0 offen offset:12
	buffer_load_dword v64, v55, s[0:3], 0 offen
	buffer_load_dword v65, v55, s[0:3], 0 offen offset:4
	ds_read_b128 v[58:61], v54
	v_add_nc_u32_e32 v53, 1, v53
	v_add_nc_u32_e32 v54, 16, v54
	;; [unrolled: 1-line block ×3, first 2 shown]
	v_cmp_lt_u32_e32 vcc_lo, 5, v53
	s_or_b32 s5, vcc_lo, s5
	s_waitcnt vmcnt(2) lgkmcnt(0)
	v_mul_f64 v[66:67], v[60:61], v[62:63]
	v_mul_f64 v[62:63], v[58:59], v[62:63]
	s_waitcnt vmcnt(0)
	v_fma_f64 v[58:59], v[58:59], v[64:65], -v[66:67]
	v_fma_f64 v[60:61], v[60:61], v[64:65], v[62:63]
	v_add_f64 v[3:4], v[3:4], v[58:59]
	v_add_f64 v[1:2], v[1:2], v[60:61]
	s_andn2_b32 exec_lo, exec_lo, s5
	s_cbranch_execnz .LBB86_41
; %bb.42:
	s_or_b32 exec_lo, exec_lo, s5
	v_mov_b32_e32 v53, 0
	ds_read_b128 v[53:56], v53 offset:112
	s_waitcnt lgkmcnt(0)
	v_mul_f64 v[58:59], v[1:2], v[55:56]
	v_mul_f64 v[55:56], v[3:4], v[55:56]
	v_fma_f64 v[3:4], v[3:4], v[53:54], -v[58:59]
	v_fma_f64 v[1:2], v[1:2], v[53:54], v[55:56]
	buffer_store_dword v4, off, s[0:3], 0 offset:132
	buffer_store_dword v3, off, s[0:3], 0 offset:128
	buffer_store_dword v2, off, s[0:3], 0 offset:140
	buffer_store_dword v1, off, s[0:3], 0 offset:136
.LBB86_43:
	s_or_b32 exec_lo, exec_lo, s4
	v_mov_b32_e32 v4, s26
	s_waitcnt_vscnt null, 0x0
	s_barrier
	buffer_gl0_inv
	s_mov_b32 s4, exec_lo
	s_clause 0x3
	buffer_load_dword v1, v4, s[0:3], 0 offen
	buffer_load_dword v2, v4, s[0:3], 0 offen offset:4
	buffer_load_dword v3, v4, s[0:3], 0 offen offset:8
	;; [unrolled: 1-line block ×3, first 2 shown]
	s_waitcnt vmcnt(0)
	ds_write_b128 v51, v[1:4]
	s_waitcnt lgkmcnt(0)
	s_barrier
	buffer_gl0_inv
	v_cmpx_gt_u32_e32 8, v0
	s_cbranch_execz .LBB86_47
; %bb.44:
	v_mov_b32_e32 v1, 0
	v_mov_b32_e32 v3, 0
	v_add_nc_u32_e32 v53, -1, v0
	v_add_nc_u32_e32 v54, 0x170, v57
	v_mov_b32_e32 v2, 0
	v_mov_b32_e32 v4, 0
	v_add_nc_u32_e32 v55, 16, v57
	s_mov_b32 s5, 0
	.p2align	6
.LBB86_45:                              ; =>This Inner Loop Header: Depth=1
	s_clause 0x3
	buffer_load_dword v62, v55, s[0:3], 0 offen offset:8
	buffer_load_dword v63, v55, s[0:3], 0 offen offset:12
	buffer_load_dword v64, v55, s[0:3], 0 offen
	buffer_load_dword v65, v55, s[0:3], 0 offen offset:4
	ds_read_b128 v[58:61], v54
	v_add_nc_u32_e32 v53, 1, v53
	v_add_nc_u32_e32 v54, 16, v54
	;; [unrolled: 1-line block ×3, first 2 shown]
	v_cmp_lt_u32_e32 vcc_lo, 6, v53
	s_or_b32 s5, vcc_lo, s5
	s_waitcnt vmcnt(2) lgkmcnt(0)
	v_mul_f64 v[66:67], v[60:61], v[62:63]
	v_mul_f64 v[62:63], v[58:59], v[62:63]
	s_waitcnt vmcnt(0)
	v_fma_f64 v[58:59], v[58:59], v[64:65], -v[66:67]
	v_fma_f64 v[60:61], v[60:61], v[64:65], v[62:63]
	v_add_f64 v[3:4], v[3:4], v[58:59]
	v_add_f64 v[1:2], v[1:2], v[60:61]
	s_andn2_b32 exec_lo, exec_lo, s5
	s_cbranch_execnz .LBB86_45
; %bb.46:
	s_or_b32 exec_lo, exec_lo, s5
	v_mov_b32_e32 v53, 0
	ds_read_b128 v[53:56], v53 offset:128
	s_waitcnt lgkmcnt(0)
	v_mul_f64 v[58:59], v[1:2], v[55:56]
	v_mul_f64 v[55:56], v[3:4], v[55:56]
	v_fma_f64 v[3:4], v[3:4], v[53:54], -v[58:59]
	v_fma_f64 v[1:2], v[1:2], v[53:54], v[55:56]
	buffer_store_dword v4, off, s[0:3], 0 offset:148
	buffer_store_dword v3, off, s[0:3], 0 offset:144
	;; [unrolled: 1-line block ×4, first 2 shown]
.LBB86_47:
	s_or_b32 exec_lo, exec_lo, s4
	v_mov_b32_e32 v4, s25
	s_waitcnt_vscnt null, 0x0
	s_barrier
	buffer_gl0_inv
	s_mov_b32 s4, exec_lo
	s_clause 0x3
	buffer_load_dword v1, v4, s[0:3], 0 offen
	buffer_load_dword v2, v4, s[0:3], 0 offen offset:4
	buffer_load_dword v3, v4, s[0:3], 0 offen offset:8
	;; [unrolled: 1-line block ×3, first 2 shown]
	s_waitcnt vmcnt(0)
	ds_write_b128 v51, v[1:4]
	s_waitcnt lgkmcnt(0)
	s_barrier
	buffer_gl0_inv
	v_cmpx_gt_u32_e32 9, v0
	s_cbranch_execz .LBB86_51
; %bb.48:
	v_mov_b32_e32 v1, 0
	v_mov_b32_e32 v3, 0
	v_add_nc_u32_e32 v53, -1, v0
	v_add_nc_u32_e32 v54, 0x170, v57
	v_mov_b32_e32 v2, 0
	v_mov_b32_e32 v4, 0
	v_add_nc_u32_e32 v55, 16, v57
	s_mov_b32 s5, 0
	.p2align	6
.LBB86_49:                              ; =>This Inner Loop Header: Depth=1
	s_clause 0x3
	buffer_load_dword v62, v55, s[0:3], 0 offen offset:8
	buffer_load_dword v63, v55, s[0:3], 0 offen offset:12
	buffer_load_dword v64, v55, s[0:3], 0 offen
	buffer_load_dword v65, v55, s[0:3], 0 offen offset:4
	ds_read_b128 v[58:61], v54
	v_add_nc_u32_e32 v53, 1, v53
	v_add_nc_u32_e32 v54, 16, v54
	;; [unrolled: 1-line block ×3, first 2 shown]
	v_cmp_lt_u32_e32 vcc_lo, 7, v53
	s_or_b32 s5, vcc_lo, s5
	s_waitcnt vmcnt(2) lgkmcnt(0)
	v_mul_f64 v[66:67], v[60:61], v[62:63]
	v_mul_f64 v[62:63], v[58:59], v[62:63]
	s_waitcnt vmcnt(0)
	v_fma_f64 v[58:59], v[58:59], v[64:65], -v[66:67]
	v_fma_f64 v[60:61], v[60:61], v[64:65], v[62:63]
	v_add_f64 v[3:4], v[3:4], v[58:59]
	v_add_f64 v[1:2], v[1:2], v[60:61]
	s_andn2_b32 exec_lo, exec_lo, s5
	s_cbranch_execnz .LBB86_49
; %bb.50:
	s_or_b32 exec_lo, exec_lo, s5
	v_mov_b32_e32 v53, 0
	ds_read_b128 v[53:56], v53 offset:144
	s_waitcnt lgkmcnt(0)
	v_mul_f64 v[58:59], v[1:2], v[55:56]
	v_mul_f64 v[55:56], v[3:4], v[55:56]
	v_fma_f64 v[3:4], v[3:4], v[53:54], -v[58:59]
	v_fma_f64 v[1:2], v[1:2], v[53:54], v[55:56]
	buffer_store_dword v4, off, s[0:3], 0 offset:164
	buffer_store_dword v3, off, s[0:3], 0 offset:160
	;; [unrolled: 1-line block ×4, first 2 shown]
.LBB86_51:
	s_or_b32 exec_lo, exec_lo, s4
	v_mov_b32_e32 v4, s24
	s_waitcnt_vscnt null, 0x0
	s_barrier
	buffer_gl0_inv
	s_mov_b32 s4, exec_lo
	s_clause 0x3
	buffer_load_dword v1, v4, s[0:3], 0 offen
	buffer_load_dword v2, v4, s[0:3], 0 offen offset:4
	buffer_load_dword v3, v4, s[0:3], 0 offen offset:8
	;; [unrolled: 1-line block ×3, first 2 shown]
	s_waitcnt vmcnt(0)
	ds_write_b128 v51, v[1:4]
	s_waitcnt lgkmcnt(0)
	s_barrier
	buffer_gl0_inv
	v_cmpx_gt_u32_e32 10, v0
	s_cbranch_execz .LBB86_55
; %bb.52:
	v_mov_b32_e32 v1, 0
	v_mov_b32_e32 v3, 0
	v_add_nc_u32_e32 v53, -1, v0
	v_add_nc_u32_e32 v54, 0x170, v57
	v_mov_b32_e32 v2, 0
	v_mov_b32_e32 v4, 0
	v_add_nc_u32_e32 v55, 16, v57
	s_mov_b32 s5, 0
	.p2align	6
.LBB86_53:                              ; =>This Inner Loop Header: Depth=1
	s_clause 0x3
	buffer_load_dword v62, v55, s[0:3], 0 offen offset:8
	buffer_load_dword v63, v55, s[0:3], 0 offen offset:12
	buffer_load_dword v64, v55, s[0:3], 0 offen
	buffer_load_dword v65, v55, s[0:3], 0 offen offset:4
	ds_read_b128 v[58:61], v54
	v_add_nc_u32_e32 v53, 1, v53
	v_add_nc_u32_e32 v54, 16, v54
	;; [unrolled: 1-line block ×3, first 2 shown]
	v_cmp_lt_u32_e32 vcc_lo, 8, v53
	s_or_b32 s5, vcc_lo, s5
	s_waitcnt vmcnt(2) lgkmcnt(0)
	v_mul_f64 v[66:67], v[60:61], v[62:63]
	v_mul_f64 v[62:63], v[58:59], v[62:63]
	s_waitcnt vmcnt(0)
	v_fma_f64 v[58:59], v[58:59], v[64:65], -v[66:67]
	v_fma_f64 v[60:61], v[60:61], v[64:65], v[62:63]
	v_add_f64 v[3:4], v[3:4], v[58:59]
	v_add_f64 v[1:2], v[1:2], v[60:61]
	s_andn2_b32 exec_lo, exec_lo, s5
	s_cbranch_execnz .LBB86_53
; %bb.54:
	s_or_b32 exec_lo, exec_lo, s5
	v_mov_b32_e32 v53, 0
	ds_read_b128 v[53:56], v53 offset:160
	s_waitcnt lgkmcnt(0)
	v_mul_f64 v[58:59], v[1:2], v[55:56]
	v_mul_f64 v[55:56], v[3:4], v[55:56]
	v_fma_f64 v[3:4], v[3:4], v[53:54], -v[58:59]
	v_fma_f64 v[1:2], v[1:2], v[53:54], v[55:56]
	buffer_store_dword v4, off, s[0:3], 0 offset:180
	buffer_store_dword v3, off, s[0:3], 0 offset:176
	;; [unrolled: 1-line block ×4, first 2 shown]
.LBB86_55:
	s_or_b32 exec_lo, exec_lo, s4
	v_mov_b32_e32 v4, s23
	s_waitcnt_vscnt null, 0x0
	s_barrier
	buffer_gl0_inv
	s_mov_b32 s4, exec_lo
	s_clause 0x3
	buffer_load_dword v1, v4, s[0:3], 0 offen
	buffer_load_dword v2, v4, s[0:3], 0 offen offset:4
	buffer_load_dword v3, v4, s[0:3], 0 offen offset:8
	buffer_load_dword v4, v4, s[0:3], 0 offen offset:12
	s_waitcnt vmcnt(0)
	ds_write_b128 v51, v[1:4]
	s_waitcnt lgkmcnt(0)
	s_barrier
	buffer_gl0_inv
	v_cmpx_gt_u32_e32 11, v0
	s_cbranch_execz .LBB86_59
; %bb.56:
	v_mov_b32_e32 v1, 0
	v_mov_b32_e32 v3, 0
	v_add_nc_u32_e32 v53, -1, v0
	v_add_nc_u32_e32 v54, 0x170, v57
	v_mov_b32_e32 v2, 0
	v_mov_b32_e32 v4, 0
	v_add_nc_u32_e32 v55, 16, v57
	s_mov_b32 s5, 0
	.p2align	6
.LBB86_57:                              ; =>This Inner Loop Header: Depth=1
	s_clause 0x3
	buffer_load_dword v62, v55, s[0:3], 0 offen offset:8
	buffer_load_dword v63, v55, s[0:3], 0 offen offset:12
	buffer_load_dword v64, v55, s[0:3], 0 offen
	buffer_load_dword v65, v55, s[0:3], 0 offen offset:4
	ds_read_b128 v[58:61], v54
	v_add_nc_u32_e32 v53, 1, v53
	v_add_nc_u32_e32 v54, 16, v54
	;; [unrolled: 1-line block ×3, first 2 shown]
	v_cmp_lt_u32_e32 vcc_lo, 9, v53
	s_or_b32 s5, vcc_lo, s5
	s_waitcnt vmcnt(2) lgkmcnt(0)
	v_mul_f64 v[66:67], v[60:61], v[62:63]
	v_mul_f64 v[62:63], v[58:59], v[62:63]
	s_waitcnt vmcnt(0)
	v_fma_f64 v[58:59], v[58:59], v[64:65], -v[66:67]
	v_fma_f64 v[60:61], v[60:61], v[64:65], v[62:63]
	v_add_f64 v[3:4], v[3:4], v[58:59]
	v_add_f64 v[1:2], v[1:2], v[60:61]
	s_andn2_b32 exec_lo, exec_lo, s5
	s_cbranch_execnz .LBB86_57
; %bb.58:
	s_or_b32 exec_lo, exec_lo, s5
	v_mov_b32_e32 v53, 0
	ds_read_b128 v[53:56], v53 offset:176
	s_waitcnt lgkmcnt(0)
	v_mul_f64 v[58:59], v[1:2], v[55:56]
	v_mul_f64 v[55:56], v[3:4], v[55:56]
	v_fma_f64 v[3:4], v[3:4], v[53:54], -v[58:59]
	v_fma_f64 v[1:2], v[1:2], v[53:54], v[55:56]
	buffer_store_dword v4, off, s[0:3], 0 offset:196
	buffer_store_dword v3, off, s[0:3], 0 offset:192
	;; [unrolled: 1-line block ×4, first 2 shown]
.LBB86_59:
	s_or_b32 exec_lo, exec_lo, s4
	v_mov_b32_e32 v4, s22
	s_waitcnt_vscnt null, 0x0
	s_barrier
	buffer_gl0_inv
	s_mov_b32 s4, exec_lo
	s_clause 0x3
	buffer_load_dword v1, v4, s[0:3], 0 offen
	buffer_load_dword v2, v4, s[0:3], 0 offen offset:4
	buffer_load_dword v3, v4, s[0:3], 0 offen offset:8
	;; [unrolled: 1-line block ×3, first 2 shown]
	s_waitcnt vmcnt(0)
	ds_write_b128 v51, v[1:4]
	s_waitcnt lgkmcnt(0)
	s_barrier
	buffer_gl0_inv
	v_cmpx_gt_u32_e32 12, v0
	s_cbranch_execz .LBB86_63
; %bb.60:
	v_mov_b32_e32 v1, 0
	v_mov_b32_e32 v3, 0
	v_add_nc_u32_e32 v53, -1, v0
	v_add_nc_u32_e32 v54, 0x170, v57
	v_mov_b32_e32 v2, 0
	v_mov_b32_e32 v4, 0
	v_add_nc_u32_e32 v55, 16, v57
	s_mov_b32 s5, 0
	.p2align	6
.LBB86_61:                              ; =>This Inner Loop Header: Depth=1
	s_clause 0x3
	buffer_load_dword v62, v55, s[0:3], 0 offen offset:8
	buffer_load_dword v63, v55, s[0:3], 0 offen offset:12
	buffer_load_dword v64, v55, s[0:3], 0 offen
	buffer_load_dword v65, v55, s[0:3], 0 offen offset:4
	ds_read_b128 v[58:61], v54
	v_add_nc_u32_e32 v53, 1, v53
	v_add_nc_u32_e32 v54, 16, v54
	v_add_nc_u32_e32 v55, 16, v55
	v_cmp_lt_u32_e32 vcc_lo, 10, v53
	s_or_b32 s5, vcc_lo, s5
	s_waitcnt vmcnt(2) lgkmcnt(0)
	v_mul_f64 v[66:67], v[60:61], v[62:63]
	v_mul_f64 v[62:63], v[58:59], v[62:63]
	s_waitcnt vmcnt(0)
	v_fma_f64 v[58:59], v[58:59], v[64:65], -v[66:67]
	v_fma_f64 v[60:61], v[60:61], v[64:65], v[62:63]
	v_add_f64 v[3:4], v[3:4], v[58:59]
	v_add_f64 v[1:2], v[1:2], v[60:61]
	s_andn2_b32 exec_lo, exec_lo, s5
	s_cbranch_execnz .LBB86_61
; %bb.62:
	s_or_b32 exec_lo, exec_lo, s5
	v_mov_b32_e32 v53, 0
	ds_read_b128 v[53:56], v53 offset:192
	s_waitcnt lgkmcnt(0)
	v_mul_f64 v[58:59], v[1:2], v[55:56]
	v_mul_f64 v[55:56], v[3:4], v[55:56]
	v_fma_f64 v[3:4], v[3:4], v[53:54], -v[58:59]
	v_fma_f64 v[1:2], v[1:2], v[53:54], v[55:56]
	buffer_store_dword v4, off, s[0:3], 0 offset:212
	buffer_store_dword v3, off, s[0:3], 0 offset:208
	;; [unrolled: 1-line block ×4, first 2 shown]
.LBB86_63:
	s_or_b32 exec_lo, exec_lo, s4
	v_mov_b32_e32 v4, s21
	s_waitcnt_vscnt null, 0x0
	s_barrier
	buffer_gl0_inv
	s_mov_b32 s4, exec_lo
	s_clause 0x3
	buffer_load_dword v1, v4, s[0:3], 0 offen
	buffer_load_dword v2, v4, s[0:3], 0 offen offset:4
	buffer_load_dword v3, v4, s[0:3], 0 offen offset:8
	;; [unrolled: 1-line block ×3, first 2 shown]
	s_waitcnt vmcnt(0)
	ds_write_b128 v51, v[1:4]
	s_waitcnt lgkmcnt(0)
	s_barrier
	buffer_gl0_inv
	v_cmpx_gt_u32_e32 13, v0
	s_cbranch_execz .LBB86_67
; %bb.64:
	v_mov_b32_e32 v1, 0
	v_mov_b32_e32 v3, 0
	v_add_nc_u32_e32 v53, -1, v0
	v_add_nc_u32_e32 v54, 0x170, v57
	v_mov_b32_e32 v2, 0
	v_mov_b32_e32 v4, 0
	v_add_nc_u32_e32 v55, 16, v57
	s_mov_b32 s5, 0
	.p2align	6
.LBB86_65:                              ; =>This Inner Loop Header: Depth=1
	s_clause 0x3
	buffer_load_dword v62, v55, s[0:3], 0 offen offset:8
	buffer_load_dword v63, v55, s[0:3], 0 offen offset:12
	buffer_load_dword v64, v55, s[0:3], 0 offen
	buffer_load_dword v65, v55, s[0:3], 0 offen offset:4
	ds_read_b128 v[58:61], v54
	v_add_nc_u32_e32 v53, 1, v53
	v_add_nc_u32_e32 v54, 16, v54
	;; [unrolled: 1-line block ×3, first 2 shown]
	v_cmp_lt_u32_e32 vcc_lo, 11, v53
	s_or_b32 s5, vcc_lo, s5
	s_waitcnt vmcnt(2) lgkmcnt(0)
	v_mul_f64 v[66:67], v[60:61], v[62:63]
	v_mul_f64 v[62:63], v[58:59], v[62:63]
	s_waitcnt vmcnt(0)
	v_fma_f64 v[58:59], v[58:59], v[64:65], -v[66:67]
	v_fma_f64 v[60:61], v[60:61], v[64:65], v[62:63]
	v_add_f64 v[3:4], v[3:4], v[58:59]
	v_add_f64 v[1:2], v[1:2], v[60:61]
	s_andn2_b32 exec_lo, exec_lo, s5
	s_cbranch_execnz .LBB86_65
; %bb.66:
	s_or_b32 exec_lo, exec_lo, s5
	v_mov_b32_e32 v53, 0
	ds_read_b128 v[53:56], v53 offset:208
	s_waitcnt lgkmcnt(0)
	v_mul_f64 v[58:59], v[1:2], v[55:56]
	v_mul_f64 v[55:56], v[3:4], v[55:56]
	v_fma_f64 v[3:4], v[3:4], v[53:54], -v[58:59]
	v_fma_f64 v[1:2], v[1:2], v[53:54], v[55:56]
	buffer_store_dword v4, off, s[0:3], 0 offset:228
	buffer_store_dword v3, off, s[0:3], 0 offset:224
	;; [unrolled: 1-line block ×4, first 2 shown]
.LBB86_67:
	s_or_b32 exec_lo, exec_lo, s4
	v_mov_b32_e32 v4, s20
	s_waitcnt_vscnt null, 0x0
	s_barrier
	buffer_gl0_inv
	s_mov_b32 s4, exec_lo
	s_clause 0x3
	buffer_load_dword v1, v4, s[0:3], 0 offen
	buffer_load_dword v2, v4, s[0:3], 0 offen offset:4
	buffer_load_dword v3, v4, s[0:3], 0 offen offset:8
	;; [unrolled: 1-line block ×3, first 2 shown]
	s_waitcnt vmcnt(0)
	ds_write_b128 v51, v[1:4]
	s_waitcnt lgkmcnt(0)
	s_barrier
	buffer_gl0_inv
	v_cmpx_gt_u32_e32 14, v0
	s_cbranch_execz .LBB86_71
; %bb.68:
	v_mov_b32_e32 v1, 0
	v_mov_b32_e32 v3, 0
	v_add_nc_u32_e32 v53, -1, v0
	v_add_nc_u32_e32 v54, 0x170, v57
	v_mov_b32_e32 v2, 0
	v_mov_b32_e32 v4, 0
	v_add_nc_u32_e32 v55, 16, v57
	s_mov_b32 s5, 0
	.p2align	6
.LBB86_69:                              ; =>This Inner Loop Header: Depth=1
	s_clause 0x3
	buffer_load_dword v62, v55, s[0:3], 0 offen offset:8
	buffer_load_dword v63, v55, s[0:3], 0 offen offset:12
	buffer_load_dword v64, v55, s[0:3], 0 offen
	buffer_load_dword v65, v55, s[0:3], 0 offen offset:4
	ds_read_b128 v[58:61], v54
	v_add_nc_u32_e32 v53, 1, v53
	v_add_nc_u32_e32 v54, 16, v54
	;; [unrolled: 1-line block ×3, first 2 shown]
	v_cmp_lt_u32_e32 vcc_lo, 12, v53
	s_or_b32 s5, vcc_lo, s5
	s_waitcnt vmcnt(2) lgkmcnt(0)
	v_mul_f64 v[66:67], v[60:61], v[62:63]
	v_mul_f64 v[62:63], v[58:59], v[62:63]
	s_waitcnt vmcnt(0)
	v_fma_f64 v[58:59], v[58:59], v[64:65], -v[66:67]
	v_fma_f64 v[60:61], v[60:61], v[64:65], v[62:63]
	v_add_f64 v[3:4], v[3:4], v[58:59]
	v_add_f64 v[1:2], v[1:2], v[60:61]
	s_andn2_b32 exec_lo, exec_lo, s5
	s_cbranch_execnz .LBB86_69
; %bb.70:
	s_or_b32 exec_lo, exec_lo, s5
	v_mov_b32_e32 v53, 0
	ds_read_b128 v[53:56], v53 offset:224
	s_waitcnt lgkmcnt(0)
	v_mul_f64 v[58:59], v[1:2], v[55:56]
	v_mul_f64 v[55:56], v[3:4], v[55:56]
	v_fma_f64 v[3:4], v[3:4], v[53:54], -v[58:59]
	v_fma_f64 v[1:2], v[1:2], v[53:54], v[55:56]
	buffer_store_dword v4, off, s[0:3], 0 offset:244
	buffer_store_dword v3, off, s[0:3], 0 offset:240
	;; [unrolled: 1-line block ×4, first 2 shown]
.LBB86_71:
	s_or_b32 exec_lo, exec_lo, s4
	v_mov_b32_e32 v4, s19
	s_waitcnt_vscnt null, 0x0
	s_barrier
	buffer_gl0_inv
	s_mov_b32 s4, exec_lo
	s_clause 0x3
	buffer_load_dword v1, v4, s[0:3], 0 offen
	buffer_load_dword v2, v4, s[0:3], 0 offen offset:4
	buffer_load_dword v3, v4, s[0:3], 0 offen offset:8
	;; [unrolled: 1-line block ×3, first 2 shown]
	s_waitcnt vmcnt(0)
	ds_write_b128 v51, v[1:4]
	s_waitcnt lgkmcnt(0)
	s_barrier
	buffer_gl0_inv
	v_cmpx_gt_u32_e32 15, v0
	s_cbranch_execz .LBB86_75
; %bb.72:
	v_mov_b32_e32 v1, 0
	v_mov_b32_e32 v3, 0
	v_add_nc_u32_e32 v53, -1, v0
	v_add_nc_u32_e32 v54, 0x170, v57
	v_mov_b32_e32 v2, 0
	v_mov_b32_e32 v4, 0
	v_add_nc_u32_e32 v55, 16, v57
	s_mov_b32 s5, 0
	.p2align	6
.LBB86_73:                              ; =>This Inner Loop Header: Depth=1
	s_clause 0x3
	buffer_load_dword v62, v55, s[0:3], 0 offen offset:8
	buffer_load_dword v63, v55, s[0:3], 0 offen offset:12
	buffer_load_dword v64, v55, s[0:3], 0 offen
	buffer_load_dword v65, v55, s[0:3], 0 offen offset:4
	ds_read_b128 v[58:61], v54
	v_add_nc_u32_e32 v53, 1, v53
	v_add_nc_u32_e32 v54, 16, v54
	;; [unrolled: 1-line block ×3, first 2 shown]
	v_cmp_lt_u32_e32 vcc_lo, 13, v53
	s_or_b32 s5, vcc_lo, s5
	s_waitcnt vmcnt(2) lgkmcnt(0)
	v_mul_f64 v[66:67], v[60:61], v[62:63]
	v_mul_f64 v[62:63], v[58:59], v[62:63]
	s_waitcnt vmcnt(0)
	v_fma_f64 v[58:59], v[58:59], v[64:65], -v[66:67]
	v_fma_f64 v[60:61], v[60:61], v[64:65], v[62:63]
	v_add_f64 v[3:4], v[3:4], v[58:59]
	v_add_f64 v[1:2], v[1:2], v[60:61]
	s_andn2_b32 exec_lo, exec_lo, s5
	s_cbranch_execnz .LBB86_73
; %bb.74:
	s_or_b32 exec_lo, exec_lo, s5
	v_mov_b32_e32 v53, 0
	ds_read_b128 v[53:56], v53 offset:240
	s_waitcnt lgkmcnt(0)
	v_mul_f64 v[58:59], v[1:2], v[55:56]
	v_mul_f64 v[55:56], v[3:4], v[55:56]
	v_fma_f64 v[3:4], v[3:4], v[53:54], -v[58:59]
	v_fma_f64 v[1:2], v[1:2], v[53:54], v[55:56]
	buffer_store_dword v4, off, s[0:3], 0 offset:260
	buffer_store_dword v3, off, s[0:3], 0 offset:256
	;; [unrolled: 1-line block ×4, first 2 shown]
.LBB86_75:
	s_or_b32 exec_lo, exec_lo, s4
	v_mov_b32_e32 v4, s18
	s_waitcnt_vscnt null, 0x0
	s_barrier
	buffer_gl0_inv
	s_mov_b32 s4, exec_lo
	s_clause 0x3
	buffer_load_dword v1, v4, s[0:3], 0 offen
	buffer_load_dword v2, v4, s[0:3], 0 offen offset:4
	buffer_load_dword v3, v4, s[0:3], 0 offen offset:8
	;; [unrolled: 1-line block ×3, first 2 shown]
	s_waitcnt vmcnt(0)
	ds_write_b128 v51, v[1:4]
	s_waitcnt lgkmcnt(0)
	s_barrier
	buffer_gl0_inv
	v_cmpx_gt_u32_e32 16, v0
	s_cbranch_execz .LBB86_79
; %bb.76:
	v_mov_b32_e32 v1, 0
	v_mov_b32_e32 v3, 0
	v_add_nc_u32_e32 v53, -1, v0
	v_add_nc_u32_e32 v54, 0x170, v57
	v_mov_b32_e32 v2, 0
	v_mov_b32_e32 v4, 0
	v_add_nc_u32_e32 v55, 16, v57
	s_mov_b32 s5, 0
	.p2align	6
.LBB86_77:                              ; =>This Inner Loop Header: Depth=1
	s_clause 0x3
	buffer_load_dword v62, v55, s[0:3], 0 offen offset:8
	buffer_load_dword v63, v55, s[0:3], 0 offen offset:12
	buffer_load_dword v64, v55, s[0:3], 0 offen
	buffer_load_dword v65, v55, s[0:3], 0 offen offset:4
	ds_read_b128 v[58:61], v54
	v_add_nc_u32_e32 v53, 1, v53
	v_add_nc_u32_e32 v54, 16, v54
	;; [unrolled: 1-line block ×3, first 2 shown]
	v_cmp_lt_u32_e32 vcc_lo, 14, v53
	s_or_b32 s5, vcc_lo, s5
	s_waitcnt vmcnt(2) lgkmcnt(0)
	v_mul_f64 v[66:67], v[60:61], v[62:63]
	v_mul_f64 v[62:63], v[58:59], v[62:63]
	s_waitcnt vmcnt(0)
	v_fma_f64 v[58:59], v[58:59], v[64:65], -v[66:67]
	v_fma_f64 v[60:61], v[60:61], v[64:65], v[62:63]
	v_add_f64 v[3:4], v[3:4], v[58:59]
	v_add_f64 v[1:2], v[1:2], v[60:61]
	s_andn2_b32 exec_lo, exec_lo, s5
	s_cbranch_execnz .LBB86_77
; %bb.78:
	s_or_b32 exec_lo, exec_lo, s5
	v_mov_b32_e32 v53, 0
	ds_read_b128 v[53:56], v53 offset:256
	s_waitcnt lgkmcnt(0)
	v_mul_f64 v[58:59], v[1:2], v[55:56]
	v_mul_f64 v[55:56], v[3:4], v[55:56]
	v_fma_f64 v[3:4], v[3:4], v[53:54], -v[58:59]
	v_fma_f64 v[1:2], v[1:2], v[53:54], v[55:56]
	buffer_store_dword v4, off, s[0:3], 0 offset:276
	buffer_store_dword v3, off, s[0:3], 0 offset:272
	;; [unrolled: 1-line block ×4, first 2 shown]
.LBB86_79:
	s_or_b32 exec_lo, exec_lo, s4
	v_mov_b32_e32 v4, s17
	s_waitcnt_vscnt null, 0x0
	s_barrier
	buffer_gl0_inv
	s_mov_b32 s4, exec_lo
	s_clause 0x3
	buffer_load_dword v1, v4, s[0:3], 0 offen
	buffer_load_dword v2, v4, s[0:3], 0 offen offset:4
	buffer_load_dword v3, v4, s[0:3], 0 offen offset:8
	;; [unrolled: 1-line block ×3, first 2 shown]
	s_waitcnt vmcnt(0)
	ds_write_b128 v51, v[1:4]
	s_waitcnt lgkmcnt(0)
	s_barrier
	buffer_gl0_inv
	v_cmpx_gt_u32_e32 17, v0
	s_cbranch_execz .LBB86_83
; %bb.80:
	v_mov_b32_e32 v1, 0
	v_mov_b32_e32 v3, 0
	v_add_nc_u32_e32 v53, -1, v0
	v_add_nc_u32_e32 v54, 0x170, v57
	v_mov_b32_e32 v2, 0
	v_mov_b32_e32 v4, 0
	v_add_nc_u32_e32 v55, 16, v57
	s_mov_b32 s5, 0
	.p2align	6
.LBB86_81:                              ; =>This Inner Loop Header: Depth=1
	s_clause 0x3
	buffer_load_dword v62, v55, s[0:3], 0 offen offset:8
	buffer_load_dword v63, v55, s[0:3], 0 offen offset:12
	buffer_load_dword v64, v55, s[0:3], 0 offen
	buffer_load_dword v65, v55, s[0:3], 0 offen offset:4
	ds_read_b128 v[58:61], v54
	v_add_nc_u32_e32 v53, 1, v53
	v_add_nc_u32_e32 v54, 16, v54
	;; [unrolled: 1-line block ×3, first 2 shown]
	v_cmp_lt_u32_e32 vcc_lo, 15, v53
	s_or_b32 s5, vcc_lo, s5
	s_waitcnt vmcnt(2) lgkmcnt(0)
	v_mul_f64 v[66:67], v[60:61], v[62:63]
	v_mul_f64 v[62:63], v[58:59], v[62:63]
	s_waitcnt vmcnt(0)
	v_fma_f64 v[58:59], v[58:59], v[64:65], -v[66:67]
	v_fma_f64 v[60:61], v[60:61], v[64:65], v[62:63]
	v_add_f64 v[3:4], v[3:4], v[58:59]
	v_add_f64 v[1:2], v[1:2], v[60:61]
	s_andn2_b32 exec_lo, exec_lo, s5
	s_cbranch_execnz .LBB86_81
; %bb.82:
	s_or_b32 exec_lo, exec_lo, s5
	v_mov_b32_e32 v53, 0
	ds_read_b128 v[53:56], v53 offset:272
	s_waitcnt lgkmcnt(0)
	v_mul_f64 v[58:59], v[1:2], v[55:56]
	v_mul_f64 v[55:56], v[3:4], v[55:56]
	v_fma_f64 v[3:4], v[3:4], v[53:54], -v[58:59]
	v_fma_f64 v[1:2], v[1:2], v[53:54], v[55:56]
	buffer_store_dword v4, off, s[0:3], 0 offset:292
	buffer_store_dword v3, off, s[0:3], 0 offset:288
	;; [unrolled: 1-line block ×4, first 2 shown]
.LBB86_83:
	s_or_b32 exec_lo, exec_lo, s4
	v_mov_b32_e32 v4, s16
	s_waitcnt_vscnt null, 0x0
	s_barrier
	buffer_gl0_inv
	s_mov_b32 s4, exec_lo
	s_clause 0x3
	buffer_load_dword v1, v4, s[0:3], 0 offen
	buffer_load_dword v2, v4, s[0:3], 0 offen offset:4
	buffer_load_dword v3, v4, s[0:3], 0 offen offset:8
	;; [unrolled: 1-line block ×3, first 2 shown]
	s_waitcnt vmcnt(0)
	ds_write_b128 v51, v[1:4]
	s_waitcnt lgkmcnt(0)
	s_barrier
	buffer_gl0_inv
	v_cmpx_gt_u32_e32 18, v0
	s_cbranch_execz .LBB86_87
; %bb.84:
	v_mov_b32_e32 v1, 0
	v_mov_b32_e32 v3, 0
	v_add_nc_u32_e32 v53, -1, v0
	v_add_nc_u32_e32 v54, 0x170, v57
	v_mov_b32_e32 v2, 0
	v_mov_b32_e32 v4, 0
	v_add_nc_u32_e32 v55, 16, v57
	s_mov_b32 s5, 0
	.p2align	6
.LBB86_85:                              ; =>This Inner Loop Header: Depth=1
	s_clause 0x3
	buffer_load_dword v62, v55, s[0:3], 0 offen offset:8
	buffer_load_dword v63, v55, s[0:3], 0 offen offset:12
	buffer_load_dword v64, v55, s[0:3], 0 offen
	buffer_load_dword v65, v55, s[0:3], 0 offen offset:4
	ds_read_b128 v[58:61], v54
	v_add_nc_u32_e32 v53, 1, v53
	v_add_nc_u32_e32 v54, 16, v54
	v_add_nc_u32_e32 v55, 16, v55
	v_cmp_lt_u32_e32 vcc_lo, 16, v53
	s_or_b32 s5, vcc_lo, s5
	s_waitcnt vmcnt(2) lgkmcnt(0)
	v_mul_f64 v[66:67], v[60:61], v[62:63]
	v_mul_f64 v[62:63], v[58:59], v[62:63]
	s_waitcnt vmcnt(0)
	v_fma_f64 v[58:59], v[58:59], v[64:65], -v[66:67]
	v_fma_f64 v[60:61], v[60:61], v[64:65], v[62:63]
	v_add_f64 v[3:4], v[3:4], v[58:59]
	v_add_f64 v[1:2], v[1:2], v[60:61]
	s_andn2_b32 exec_lo, exec_lo, s5
	s_cbranch_execnz .LBB86_85
; %bb.86:
	s_or_b32 exec_lo, exec_lo, s5
	v_mov_b32_e32 v53, 0
	ds_read_b128 v[53:56], v53 offset:288
	s_waitcnt lgkmcnt(0)
	v_mul_f64 v[58:59], v[1:2], v[55:56]
	v_mul_f64 v[55:56], v[3:4], v[55:56]
	v_fma_f64 v[3:4], v[3:4], v[53:54], -v[58:59]
	v_fma_f64 v[1:2], v[1:2], v[53:54], v[55:56]
	buffer_store_dword v4, off, s[0:3], 0 offset:308
	buffer_store_dword v3, off, s[0:3], 0 offset:304
	;; [unrolled: 1-line block ×4, first 2 shown]
.LBB86_87:
	s_or_b32 exec_lo, exec_lo, s4
	v_mov_b32_e32 v4, s15
	s_waitcnt_vscnt null, 0x0
	s_barrier
	buffer_gl0_inv
	s_mov_b32 s4, exec_lo
	s_clause 0x3
	buffer_load_dword v1, v4, s[0:3], 0 offen
	buffer_load_dword v2, v4, s[0:3], 0 offen offset:4
	buffer_load_dword v3, v4, s[0:3], 0 offen offset:8
	buffer_load_dword v4, v4, s[0:3], 0 offen offset:12
	s_waitcnt vmcnt(0)
	ds_write_b128 v51, v[1:4]
	s_waitcnt lgkmcnt(0)
	s_barrier
	buffer_gl0_inv
	v_cmpx_gt_u32_e32 19, v0
	s_cbranch_execz .LBB86_91
; %bb.88:
	v_mov_b32_e32 v1, 0
	v_mov_b32_e32 v3, 0
	v_add_nc_u32_e32 v53, -1, v0
	v_add_nc_u32_e32 v54, 0x170, v57
	v_mov_b32_e32 v2, 0
	v_mov_b32_e32 v4, 0
	v_add_nc_u32_e32 v55, 16, v57
	s_mov_b32 s5, 0
	.p2align	6
.LBB86_89:                              ; =>This Inner Loop Header: Depth=1
	s_clause 0x3
	buffer_load_dword v62, v55, s[0:3], 0 offen offset:8
	buffer_load_dword v63, v55, s[0:3], 0 offen offset:12
	buffer_load_dword v64, v55, s[0:3], 0 offen
	buffer_load_dword v65, v55, s[0:3], 0 offen offset:4
	ds_read_b128 v[58:61], v54
	v_add_nc_u32_e32 v53, 1, v53
	v_add_nc_u32_e32 v54, 16, v54
	;; [unrolled: 1-line block ×3, first 2 shown]
	v_cmp_lt_u32_e32 vcc_lo, 17, v53
	s_or_b32 s5, vcc_lo, s5
	s_waitcnt vmcnt(2) lgkmcnt(0)
	v_mul_f64 v[66:67], v[60:61], v[62:63]
	v_mul_f64 v[62:63], v[58:59], v[62:63]
	s_waitcnt vmcnt(0)
	v_fma_f64 v[58:59], v[58:59], v[64:65], -v[66:67]
	v_fma_f64 v[60:61], v[60:61], v[64:65], v[62:63]
	v_add_f64 v[3:4], v[3:4], v[58:59]
	v_add_f64 v[1:2], v[1:2], v[60:61]
	s_andn2_b32 exec_lo, exec_lo, s5
	s_cbranch_execnz .LBB86_89
; %bb.90:
	s_or_b32 exec_lo, exec_lo, s5
	v_mov_b32_e32 v53, 0
	ds_read_b128 v[53:56], v53 offset:304
	s_waitcnt lgkmcnt(0)
	v_mul_f64 v[58:59], v[1:2], v[55:56]
	v_mul_f64 v[55:56], v[3:4], v[55:56]
	v_fma_f64 v[3:4], v[3:4], v[53:54], -v[58:59]
	v_fma_f64 v[1:2], v[1:2], v[53:54], v[55:56]
	buffer_store_dword v4, off, s[0:3], 0 offset:324
	buffer_store_dword v3, off, s[0:3], 0 offset:320
	;; [unrolled: 1-line block ×4, first 2 shown]
.LBB86_91:
	s_or_b32 exec_lo, exec_lo, s4
	v_mov_b32_e32 v4, s14
	s_waitcnt_vscnt null, 0x0
	s_barrier
	buffer_gl0_inv
	s_mov_b32 s4, exec_lo
	s_clause 0x3
	buffer_load_dword v1, v4, s[0:3], 0 offen
	buffer_load_dword v2, v4, s[0:3], 0 offen offset:4
	buffer_load_dword v3, v4, s[0:3], 0 offen offset:8
	;; [unrolled: 1-line block ×3, first 2 shown]
	s_waitcnt vmcnt(0)
	ds_write_b128 v51, v[1:4]
	s_waitcnt lgkmcnt(0)
	s_barrier
	buffer_gl0_inv
	v_cmpx_gt_u32_e32 20, v0
	s_cbranch_execz .LBB86_95
; %bb.92:
	v_mov_b32_e32 v1, 0
	v_mov_b32_e32 v3, 0
	v_add_nc_u32_e32 v53, -1, v0
	v_add_nc_u32_e32 v54, 0x170, v57
	v_mov_b32_e32 v2, 0
	v_mov_b32_e32 v4, 0
	v_add_nc_u32_e32 v55, 16, v57
	s_mov_b32 s5, 0
	.p2align	6
.LBB86_93:                              ; =>This Inner Loop Header: Depth=1
	s_clause 0x3
	buffer_load_dword v62, v55, s[0:3], 0 offen offset:8
	buffer_load_dword v63, v55, s[0:3], 0 offen offset:12
	buffer_load_dword v64, v55, s[0:3], 0 offen
	buffer_load_dword v65, v55, s[0:3], 0 offen offset:4
	ds_read_b128 v[58:61], v54
	v_add_nc_u32_e32 v53, 1, v53
	v_add_nc_u32_e32 v54, 16, v54
	;; [unrolled: 1-line block ×3, first 2 shown]
	v_cmp_lt_u32_e32 vcc_lo, 18, v53
	s_or_b32 s5, vcc_lo, s5
	s_waitcnt vmcnt(2) lgkmcnt(0)
	v_mul_f64 v[66:67], v[60:61], v[62:63]
	v_mul_f64 v[62:63], v[58:59], v[62:63]
	s_waitcnt vmcnt(0)
	v_fma_f64 v[58:59], v[58:59], v[64:65], -v[66:67]
	v_fma_f64 v[60:61], v[60:61], v[64:65], v[62:63]
	v_add_f64 v[3:4], v[3:4], v[58:59]
	v_add_f64 v[1:2], v[1:2], v[60:61]
	s_andn2_b32 exec_lo, exec_lo, s5
	s_cbranch_execnz .LBB86_93
; %bb.94:
	s_or_b32 exec_lo, exec_lo, s5
	v_mov_b32_e32 v53, 0
	ds_read_b128 v[53:56], v53 offset:320
	s_waitcnt lgkmcnt(0)
	v_mul_f64 v[58:59], v[1:2], v[55:56]
	v_mul_f64 v[55:56], v[3:4], v[55:56]
	v_fma_f64 v[3:4], v[3:4], v[53:54], -v[58:59]
	v_fma_f64 v[1:2], v[1:2], v[53:54], v[55:56]
	buffer_store_dword v4, off, s[0:3], 0 offset:340
	buffer_store_dword v3, off, s[0:3], 0 offset:336
	;; [unrolled: 1-line block ×4, first 2 shown]
.LBB86_95:
	s_or_b32 exec_lo, exec_lo, s4
	v_mov_b32_e32 v4, s9
	s_waitcnt_vscnt null, 0x0
	s_barrier
	buffer_gl0_inv
	s_mov_b32 s4, exec_lo
	s_clause 0x3
	buffer_load_dword v1, v4, s[0:3], 0 offen
	buffer_load_dword v2, v4, s[0:3], 0 offen offset:4
	buffer_load_dword v3, v4, s[0:3], 0 offen offset:8
	;; [unrolled: 1-line block ×3, first 2 shown]
	s_waitcnt vmcnt(0)
	ds_write_b128 v51, v[1:4]
	s_waitcnt lgkmcnt(0)
	s_barrier
	buffer_gl0_inv
	v_cmpx_gt_u32_e32 21, v0
	s_cbranch_execz .LBB86_99
; %bb.96:
	v_mov_b32_e32 v1, 0
	v_mov_b32_e32 v3, 0
	v_add_nc_u32_e32 v53, -1, v0
	v_add_nc_u32_e32 v54, 0x170, v57
	v_mov_b32_e32 v2, 0
	v_mov_b32_e32 v4, 0
	v_add_nc_u32_e32 v55, 16, v57
	s_mov_b32 s5, 0
	.p2align	6
.LBB86_97:                              ; =>This Inner Loop Header: Depth=1
	s_clause 0x3
	buffer_load_dword v62, v55, s[0:3], 0 offen offset:8
	buffer_load_dword v63, v55, s[0:3], 0 offen offset:12
	buffer_load_dword v64, v55, s[0:3], 0 offen
	buffer_load_dword v65, v55, s[0:3], 0 offen offset:4
	ds_read_b128 v[58:61], v54
	v_add_nc_u32_e32 v53, 1, v53
	v_add_nc_u32_e32 v54, 16, v54
	;; [unrolled: 1-line block ×3, first 2 shown]
	v_cmp_lt_u32_e32 vcc_lo, 19, v53
	s_or_b32 s5, vcc_lo, s5
	s_waitcnt vmcnt(2) lgkmcnt(0)
	v_mul_f64 v[66:67], v[60:61], v[62:63]
	v_mul_f64 v[62:63], v[58:59], v[62:63]
	s_waitcnt vmcnt(0)
	v_fma_f64 v[58:59], v[58:59], v[64:65], -v[66:67]
	v_fma_f64 v[60:61], v[60:61], v[64:65], v[62:63]
	v_add_f64 v[3:4], v[3:4], v[58:59]
	v_add_f64 v[1:2], v[1:2], v[60:61]
	s_andn2_b32 exec_lo, exec_lo, s5
	s_cbranch_execnz .LBB86_97
; %bb.98:
	s_or_b32 exec_lo, exec_lo, s5
	v_mov_b32_e32 v53, 0
	ds_read_b128 v[53:56], v53 offset:336
	s_waitcnt lgkmcnt(0)
	v_mul_f64 v[58:59], v[1:2], v[55:56]
	v_mul_f64 v[55:56], v[3:4], v[55:56]
	v_fma_f64 v[3:4], v[3:4], v[53:54], -v[58:59]
	v_fma_f64 v[1:2], v[1:2], v[53:54], v[55:56]
	buffer_store_dword v4, off, s[0:3], 0 offset:356
	buffer_store_dword v3, off, s[0:3], 0 offset:352
	;; [unrolled: 1-line block ×4, first 2 shown]
.LBB86_99:
	s_or_b32 exec_lo, exec_lo, s4
	v_mov_b32_e32 v4, s8
	s_waitcnt_vscnt null, 0x0
	s_barrier
	buffer_gl0_inv
	s_mov_b32 s4, exec_lo
	s_clause 0x3
	buffer_load_dword v1, v4, s[0:3], 0 offen
	buffer_load_dword v2, v4, s[0:3], 0 offen offset:4
	buffer_load_dword v3, v4, s[0:3], 0 offen offset:8
	;; [unrolled: 1-line block ×3, first 2 shown]
	s_waitcnt vmcnt(0)
	ds_write_b128 v51, v[1:4]
	s_waitcnt lgkmcnt(0)
	s_barrier
	buffer_gl0_inv
	v_cmpx_ne_u32_e32 22, v0
	s_cbranch_execz .LBB86_103
; %bb.100:
	v_mov_b32_e32 v1, 0
	v_mov_b32_e32 v3, 0
	;; [unrolled: 1-line block ×4, first 2 shown]
	v_add_nc_u32_e32 v53, 16, v57
	s_mov_b32 s5, 0
	.p2align	6
.LBB86_101:                             ; =>This Inner Loop Header: Depth=1
	s_clause 0x3
	buffer_load_dword v58, v53, s[0:3], 0 offen offset:8
	buffer_load_dword v59, v53, s[0:3], 0 offen offset:12
	buffer_load_dword v60, v53, s[0:3], 0 offen
	buffer_load_dword v61, v53, s[0:3], 0 offen offset:4
	ds_read_b128 v[54:57], v51
	v_add_nc_u32_e32 v52, 1, v52
	v_add_nc_u32_e32 v51, 16, v51
	;; [unrolled: 1-line block ×3, first 2 shown]
	v_cmp_lt_u32_e32 vcc_lo, 20, v52
	s_or_b32 s5, vcc_lo, s5
	s_waitcnt vmcnt(2) lgkmcnt(0)
	v_mul_f64 v[62:63], v[56:57], v[58:59]
	v_mul_f64 v[58:59], v[54:55], v[58:59]
	s_waitcnt vmcnt(0)
	v_fma_f64 v[54:55], v[54:55], v[60:61], -v[62:63]
	v_fma_f64 v[56:57], v[56:57], v[60:61], v[58:59]
	v_add_f64 v[3:4], v[3:4], v[54:55]
	v_add_f64 v[1:2], v[1:2], v[56:57]
	s_andn2_b32 exec_lo, exec_lo, s5
	s_cbranch_execnz .LBB86_101
; %bb.102:
	s_or_b32 exec_lo, exec_lo, s5
	v_mov_b32_e32 v51, 0
	ds_read_b128 v[51:54], v51 offset:352
	s_waitcnt lgkmcnt(0)
	v_mul_f64 v[55:56], v[1:2], v[53:54]
	v_mul_f64 v[53:54], v[3:4], v[53:54]
	v_fma_f64 v[3:4], v[3:4], v[51:52], -v[55:56]
	v_fma_f64 v[1:2], v[1:2], v[51:52], v[53:54]
	buffer_store_dword v4, off, s[0:3], 0 offset:372
	buffer_store_dword v3, off, s[0:3], 0 offset:368
	;; [unrolled: 1-line block ×4, first 2 shown]
.LBB86_103:
	s_or_b32 exec_lo, exec_lo, s4
	s_mov_b32 s5, -1
	s_waitcnt_vscnt null, 0x0
	s_barrier
	buffer_gl0_inv
.LBB86_104:
	s_and_b32 vcc_lo, exec_lo, s5
	s_cbranch_vccz .LBB86_106
; %bb.105:
	s_lshl_b64 s[4:5], s[6:7], 2
	v_mov_b32_e32 v1, 0
	s_add_u32 s4, s10, s4
	s_addc_u32 s5, s11, s5
	global_load_dword v1, v1, s[4:5]
	s_waitcnt vmcnt(0)
	v_cmp_ne_u32_e32 vcc_lo, 0, v1
	s_cbranch_vccz .LBB86_107
.LBB86_106:
	s_endpgm
.LBB86_107:
	v_lshl_add_u32 v1, v0, 4, 0x170
	s_mov_b32 s4, exec_lo
	v_cmpx_eq_u32_e32 22, v0
	s_cbranch_execz .LBB86_109
; %bb.108:
	v_mov_b32_e32 v2, s9
	s_clause 0x3
	buffer_load_dword v51, v2, s[0:3], 0 offen
	buffer_load_dword v52, v2, s[0:3], 0 offen offset:4
	buffer_load_dword v53, v2, s[0:3], 0 offen offset:8
	;; [unrolled: 1-line block ×3, first 2 shown]
	v_mov_b32_e32 v2, 0
	buffer_store_dword v2, off, s[0:3], 0 offset:352
	buffer_store_dword v2, off, s[0:3], 0 offset:356
	;; [unrolled: 1-line block ×4, first 2 shown]
	s_waitcnt vmcnt(0)
	ds_write_b128 v1, v[51:54]
.LBB86_109:
	s_or_b32 exec_lo, exec_lo, s4
	s_waitcnt lgkmcnt(0)
	s_waitcnt_vscnt null, 0x0
	s_barrier
	buffer_gl0_inv
	s_clause 0x7
	buffer_load_dword v3, off, s[0:3], 0 offset:376
	buffer_load_dword v4, off, s[0:3], 0 offset:380
	;; [unrolled: 1-line block ×8, first 2 shown]
	v_mov_b32_e32 v2, 0
	s_mov_b32 s4, exec_lo
	ds_read_b128 v[51:54], v2 offset:720
	s_waitcnt vmcnt(6) lgkmcnt(0)
	v_mul_f64 v[61:62], v[53:54], v[3:4]
	v_mul_f64 v[3:4], v[51:52], v[3:4]
	s_waitcnt vmcnt(4)
	v_fma_f64 v[51:52], v[51:52], v[55:56], -v[61:62]
	v_fma_f64 v[3:4], v[53:54], v[55:56], v[3:4]
	v_add_f64 v[51:52], v[51:52], 0
	v_add_f64 v[3:4], v[3:4], 0
	s_waitcnt vmcnt(2)
	v_add_f64 v[51:52], v[57:58], -v[51:52]
	s_waitcnt vmcnt(0)
	v_add_f64 v[3:4], v[59:60], -v[3:4]
	buffer_store_dword v51, off, s[0:3], 0 offset:352
	buffer_store_dword v52, off, s[0:3], 0 offset:356
	;; [unrolled: 1-line block ×4, first 2 shown]
	v_cmpx_lt_u32_e32 20, v0
	s_cbranch_execz .LBB86_111
; %bb.110:
	v_mov_b32_e32 v3, s14
	s_clause 0x3
	buffer_load_dword v51, v3, s[0:3], 0 offen
	buffer_load_dword v52, v3, s[0:3], 0 offen offset:4
	buffer_load_dword v53, v3, s[0:3], 0 offen offset:8
	;; [unrolled: 1-line block ×3, first 2 shown]
	buffer_store_dword v2, off, s[0:3], 0 offset:336
	buffer_store_dword v2, off, s[0:3], 0 offset:340
	;; [unrolled: 1-line block ×4, first 2 shown]
	s_waitcnt vmcnt(0)
	ds_write_b128 v1, v[51:54]
.LBB86_111:
	s_or_b32 exec_lo, exec_lo, s4
	s_waitcnt lgkmcnt(0)
	s_waitcnt_vscnt null, 0x0
	s_barrier
	buffer_gl0_inv
	s_clause 0xb
	buffer_load_dword v3, off, s[0:3], 0 offset:360
	buffer_load_dword v4, off, s[0:3], 0 offset:364
	;; [unrolled: 1-line block ×12, first 2 shown]
	ds_read_b128 v[51:54], v2 offset:704
	ds_read_b128 v[55:58], v2 offset:720
	s_mov_b32 s4, exec_lo
	s_waitcnt vmcnt(10) lgkmcnt(1)
	v_mul_f64 v[69:70], v[53:54], v[3:4]
	v_mul_f64 v[2:3], v[51:52], v[3:4]
	s_waitcnt vmcnt(8) lgkmcnt(0)
	v_mul_f64 v[71:72], v[57:58], v[59:60]
	v_mul_f64 v[59:60], v[55:56], v[59:60]
	s_waitcnt vmcnt(6)
	v_fma_f64 v[51:52], v[51:52], v[61:62], -v[69:70]
	v_fma_f64 v[2:3], v[53:54], v[61:62], v[2:3]
	s_waitcnt vmcnt(4)
	v_fma_f64 v[53:54], v[55:56], v[63:64], -v[71:72]
	v_fma_f64 v[55:56], v[57:58], v[63:64], v[59:60]
	v_add_f64 v[51:52], v[51:52], 0
	v_add_f64 v[2:3], v[2:3], 0
	;; [unrolled: 1-line block ×4, first 2 shown]
	s_waitcnt vmcnt(2)
	v_add_f64 v[51:52], v[65:66], -v[51:52]
	s_waitcnt vmcnt(0)
	v_add_f64 v[2:3], v[67:68], -v[2:3]
	buffer_store_dword v51, off, s[0:3], 0 offset:336
	buffer_store_dword v52, off, s[0:3], 0 offset:340
	;; [unrolled: 1-line block ×4, first 2 shown]
	v_cmpx_lt_u32_e32 19, v0
	s_cbranch_execz .LBB86_113
; %bb.112:
	v_mov_b32_e32 v2, s15
	s_clause 0x3
	buffer_load_dword v51, v2, s[0:3], 0 offen
	buffer_load_dword v52, v2, s[0:3], 0 offen offset:4
	buffer_load_dword v53, v2, s[0:3], 0 offen offset:8
	;; [unrolled: 1-line block ×3, first 2 shown]
	v_mov_b32_e32 v2, 0
	buffer_store_dword v2, off, s[0:3], 0 offset:320
	buffer_store_dword v2, off, s[0:3], 0 offset:324
	;; [unrolled: 1-line block ×4, first 2 shown]
	s_waitcnt vmcnt(0)
	ds_write_b128 v1, v[51:54]
.LBB86_113:
	s_or_b32 exec_lo, exec_lo, s4
	s_waitcnt lgkmcnt(0)
	s_waitcnt_vscnt null, 0x0
	s_barrier
	buffer_gl0_inv
	s_clause 0xf
	buffer_load_dword v3, off, s[0:3], 0 offset:344
	buffer_load_dword v4, off, s[0:3], 0 offset:348
	;; [unrolled: 1-line block ×16, first 2 shown]
	v_mov_b32_e32 v2, 0
	ds_read_b128 v[51:54], v2 offset:688
	ds_read_b128 v[55:58], v2 offset:704
	;; [unrolled: 1-line block ×3, first 2 shown]
	s_mov_b32 s4, exec_lo
	s_waitcnt vmcnt(14) lgkmcnt(2)
	v_mul_f64 v[77:78], v[53:54], v[3:4]
	v_mul_f64 v[3:4], v[51:52], v[3:4]
	s_waitcnt vmcnt(12) lgkmcnt(1)
	v_mul_f64 v[79:80], v[57:58], v[63:64]
	v_mul_f64 v[63:64], v[55:56], v[63:64]
	s_waitcnt vmcnt(10)
	v_fma_f64 v[51:52], v[51:52], v[65:66], -v[77:78]
	v_fma_f64 v[3:4], v[53:54], v[65:66], v[3:4]
	s_waitcnt vmcnt(8) lgkmcnt(0)
	v_mul_f64 v[65:66], v[61:62], v[67:68]
	s_waitcnt vmcnt(6)
	v_fma_f64 v[55:56], v[55:56], v[69:70], -v[79:80]
	v_mul_f64 v[53:54], v[59:60], v[67:68]
	v_fma_f64 v[57:58], v[57:58], v[69:70], v[63:64]
	v_add_f64 v[51:52], v[51:52], 0
	v_add_f64 v[3:4], v[3:4], 0
	s_waitcnt vmcnt(4)
	v_fma_f64 v[59:60], v[59:60], v[71:72], -v[65:66]
	v_fma_f64 v[53:54], v[61:62], v[71:72], v[53:54]
	v_add_f64 v[51:52], v[51:52], v[55:56]
	v_add_f64 v[3:4], v[3:4], v[57:58]
	;; [unrolled: 1-line block ×4, first 2 shown]
	s_waitcnt vmcnt(2)
	v_add_f64 v[51:52], v[73:74], -v[51:52]
	s_waitcnt vmcnt(0)
	v_add_f64 v[3:4], v[75:76], -v[3:4]
	buffer_store_dword v51, off, s[0:3], 0 offset:320
	buffer_store_dword v52, off, s[0:3], 0 offset:324
	buffer_store_dword v3, off, s[0:3], 0 offset:328
	buffer_store_dword v4, off, s[0:3], 0 offset:332
	v_cmpx_lt_u32_e32 18, v0
	s_cbranch_execz .LBB86_115
; %bb.114:
	v_mov_b32_e32 v3, s16
	s_clause 0x3
	buffer_load_dword v51, v3, s[0:3], 0 offen
	buffer_load_dword v52, v3, s[0:3], 0 offen offset:4
	buffer_load_dword v53, v3, s[0:3], 0 offen offset:8
	;; [unrolled: 1-line block ×3, first 2 shown]
	buffer_store_dword v2, off, s[0:3], 0 offset:304
	buffer_store_dword v2, off, s[0:3], 0 offset:308
	;; [unrolled: 1-line block ×4, first 2 shown]
	s_waitcnt vmcnt(0)
	ds_write_b128 v1, v[51:54]
.LBB86_115:
	s_or_b32 exec_lo, exec_lo, s4
	s_waitcnt lgkmcnt(0)
	s_waitcnt_vscnt null, 0x0
	s_barrier
	buffer_gl0_inv
	s_clause 0x13
	buffer_load_dword v3, off, s[0:3], 0 offset:328
	buffer_load_dword v4, off, s[0:3], 0 offset:332
	;; [unrolled: 1-line block ×20, first 2 shown]
	ds_read_b128 v[51:54], v2 offset:672
	ds_read_b128 v[55:58], v2 offset:688
	;; [unrolled: 1-line block ×3, first 2 shown]
	s_mov_b32 s4, exec_lo
	s_waitcnt vmcnt(18) lgkmcnt(2)
	v_mul_f64 v[81:82], v[53:54], v[3:4]
	v_mul_f64 v[3:4], v[51:52], v[3:4]
	s_waitcnt vmcnt(16) lgkmcnt(1)
	v_mul_f64 v[83:84], v[57:58], v[63:64]
	v_mul_f64 v[63:64], v[55:56], v[63:64]
	s_waitcnt vmcnt(14)
	v_fma_f64 v[81:82], v[51:52], v[65:66], -v[81:82]
	v_fma_f64 v[3:4], v[53:54], v[65:66], v[3:4]
	ds_read_b128 v[51:54], v2 offset:720
	s_waitcnt vmcnt(12) lgkmcnt(1)
	v_mul_f64 v[65:66], v[59:60], v[67:68]
	v_mul_f64 v[67:68], v[61:62], v[67:68]
	s_waitcnt vmcnt(10)
	v_fma_f64 v[55:56], v[55:56], v[69:70], -v[83:84]
	v_fma_f64 v[57:58], v[57:58], v[69:70], v[63:64]
	s_waitcnt vmcnt(8) lgkmcnt(0)
	v_mul_f64 v[69:70], v[53:54], v[71:72]
	v_add_f64 v[81:82], v[81:82], 0
	v_add_f64 v[2:3], v[3:4], 0
	v_mul_f64 v[63:64], v[51:52], v[71:72]
	s_waitcnt vmcnt(6)
	v_fma_f64 v[59:60], v[59:60], v[73:74], -v[67:68]
	v_fma_f64 v[61:62], v[61:62], v[73:74], v[65:66]
	s_waitcnt vmcnt(4)
	v_fma_f64 v[51:52], v[51:52], v[75:76], -v[69:70]
	v_add_f64 v[55:56], v[81:82], v[55:56]
	v_add_f64 v[2:3], v[2:3], v[57:58]
	v_fma_f64 v[53:54], v[53:54], v[75:76], v[63:64]
	v_add_f64 v[55:56], v[55:56], v[59:60]
	v_add_f64 v[2:3], v[2:3], v[61:62]
	;; [unrolled: 1-line block ×4, first 2 shown]
	s_waitcnt vmcnt(2)
	v_add_f64 v[51:52], v[77:78], -v[51:52]
	s_waitcnt vmcnt(0)
	v_add_f64 v[2:3], v[79:80], -v[2:3]
	buffer_store_dword v51, off, s[0:3], 0 offset:304
	buffer_store_dword v52, off, s[0:3], 0 offset:308
	;; [unrolled: 1-line block ×4, first 2 shown]
	v_cmpx_lt_u32_e32 17, v0
	s_cbranch_execz .LBB86_117
; %bb.116:
	v_mov_b32_e32 v2, s17
	s_clause 0x3
	buffer_load_dword v51, v2, s[0:3], 0 offen
	buffer_load_dword v52, v2, s[0:3], 0 offen offset:4
	buffer_load_dword v53, v2, s[0:3], 0 offen offset:8
	;; [unrolled: 1-line block ×3, first 2 shown]
	v_mov_b32_e32 v2, 0
	buffer_store_dword v2, off, s[0:3], 0 offset:288
	buffer_store_dword v2, off, s[0:3], 0 offset:292
	;; [unrolled: 1-line block ×4, first 2 shown]
	s_waitcnt vmcnt(0)
	ds_write_b128 v1, v[51:54]
.LBB86_117:
	s_or_b32 exec_lo, exec_lo, s4
	s_waitcnt lgkmcnt(0)
	s_waitcnt_vscnt null, 0x0
	s_barrier
	buffer_gl0_inv
	s_clause 0x17
	buffer_load_dword v3, off, s[0:3], 0 offset:312
	buffer_load_dword v4, off, s[0:3], 0 offset:316
	;; [unrolled: 1-line block ×24, first 2 shown]
	v_mov_b32_e32 v2, 0
	ds_read_b128 v[51:54], v2 offset:656
	ds_read_b128 v[55:58], v2 offset:672
	;; [unrolled: 1-line block ×3, first 2 shown]
	s_mov_b32 s4, exec_lo
	s_waitcnt vmcnt(22) lgkmcnt(2)
	v_mul_f64 v[85:86], v[53:54], v[3:4]
	v_mul_f64 v[3:4], v[51:52], v[3:4]
	s_waitcnt vmcnt(20) lgkmcnt(1)
	v_mul_f64 v[87:88], v[57:58], v[63:64]
	v_mul_f64 v[63:64], v[55:56], v[63:64]
	s_waitcnt vmcnt(18)
	v_fma_f64 v[85:86], v[51:52], v[65:66], -v[85:86]
	v_fma_f64 v[3:4], v[53:54], v[65:66], v[3:4]
	ds_read_b128 v[51:54], v2 offset:704
	s_waitcnt vmcnt(16) lgkmcnt(1)
	v_mul_f64 v[65:66], v[59:60], v[67:68]
	v_mul_f64 v[67:68], v[61:62], v[67:68]
	s_waitcnt vmcnt(14)
	v_fma_f64 v[87:88], v[55:56], v[69:70], -v[87:88]
	v_fma_f64 v[63:64], v[57:58], v[69:70], v[63:64]
	ds_read_b128 v[55:58], v2 offset:720
	s_waitcnt vmcnt(10) lgkmcnt(1)
	v_mul_f64 v[69:70], v[51:52], v[71:72]
	v_add_f64 v[85:86], v[85:86], 0
	v_add_f64 v[3:4], v[3:4], 0
	v_mul_f64 v[71:72], v[53:54], v[71:72]
	s_waitcnt vmcnt(8)
	v_fma_f64 v[59:60], v[59:60], v[77:78], -v[67:68]
	v_fma_f64 v[61:62], v[61:62], v[77:78], v[65:66]
	s_waitcnt vmcnt(7) lgkmcnt(0)
	v_mul_f64 v[65:66], v[57:58], v[73:74]
	s_waitcnt vmcnt(5)
	v_fma_f64 v[53:54], v[53:54], v[79:80], v[69:70]
	v_add_f64 v[67:68], v[85:86], v[87:88]
	v_add_f64 v[3:4], v[3:4], v[63:64]
	v_fma_f64 v[51:52], v[51:52], v[79:80], -v[71:72]
	v_mul_f64 v[63:64], v[55:56], v[73:74]
	s_waitcnt vmcnt(4)
	v_fma_f64 v[55:56], v[55:56], v[75:76], -v[65:66]
	v_add_f64 v[59:60], v[67:68], v[59:60]
	v_add_f64 v[3:4], v[3:4], v[61:62]
	v_fma_f64 v[57:58], v[57:58], v[75:76], v[63:64]
	v_add_f64 v[51:52], v[59:60], v[51:52]
	v_add_f64 v[3:4], v[3:4], v[53:54]
	;; [unrolled: 1-line block ×4, first 2 shown]
	s_waitcnt vmcnt(2)
	v_add_f64 v[51:52], v[81:82], -v[51:52]
	s_waitcnt vmcnt(0)
	v_add_f64 v[3:4], v[83:84], -v[3:4]
	buffer_store_dword v52, off, s[0:3], 0 offset:292
	buffer_store_dword v51, off, s[0:3], 0 offset:288
	;; [unrolled: 1-line block ×4, first 2 shown]
	v_cmpx_lt_u32_e32 16, v0
	s_cbranch_execz .LBB86_119
; %bb.118:
	v_mov_b32_e32 v3, s18
	s_clause 0x3
	buffer_load_dword v51, v3, s[0:3], 0 offen
	buffer_load_dword v52, v3, s[0:3], 0 offen offset:4
	buffer_load_dword v53, v3, s[0:3], 0 offen offset:8
	;; [unrolled: 1-line block ×3, first 2 shown]
	buffer_store_dword v2, off, s[0:3], 0 offset:272
	buffer_store_dword v2, off, s[0:3], 0 offset:276
	;; [unrolled: 1-line block ×4, first 2 shown]
	s_waitcnt vmcnt(0)
	ds_write_b128 v1, v[51:54]
.LBB86_119:
	s_or_b32 exec_lo, exec_lo, s4
	s_waitcnt lgkmcnt(0)
	s_waitcnt_vscnt null, 0x0
	s_barrier
	buffer_gl0_inv
	s_clause 0x1b
	buffer_load_dword v3, off, s[0:3], 0 offset:296
	buffer_load_dword v4, off, s[0:3], 0 offset:300
	;; [unrolled: 1-line block ×28, first 2 shown]
	ds_read_b128 v[51:54], v2 offset:640
	ds_read_b128 v[55:58], v2 offset:656
	;; [unrolled: 1-line block ×3, first 2 shown]
	s_mov_b32 s4, exec_lo
	s_waitcnt vmcnt(26) lgkmcnt(2)
	v_mul_f64 v[89:90], v[53:54], v[3:4]
	v_mul_f64 v[3:4], v[51:52], v[3:4]
	s_waitcnt vmcnt(24) lgkmcnt(1)
	v_mul_f64 v[91:92], v[57:58], v[63:64]
	v_mul_f64 v[63:64], v[55:56], v[63:64]
	s_waitcnt vmcnt(22)
	v_fma_f64 v[89:90], v[51:52], v[65:66], -v[89:90]
	v_fma_f64 v[3:4], v[53:54], v[65:66], v[3:4]
	ds_read_b128 v[51:54], v2 offset:688
	s_waitcnt vmcnt(20) lgkmcnt(1)
	v_mul_f64 v[65:66], v[59:60], v[67:68]
	v_mul_f64 v[67:68], v[61:62], v[67:68]
	s_waitcnt vmcnt(18)
	v_fma_f64 v[91:92], v[55:56], v[69:70], -v[91:92]
	v_fma_f64 v[63:64], v[57:58], v[69:70], v[63:64]
	ds_read_b128 v[55:58], v2 offset:704
	s_waitcnt vmcnt(14) lgkmcnt(1)
	v_mul_f64 v[69:70], v[51:52], v[71:72]
	v_add_f64 v[89:90], v[89:90], 0
	v_add_f64 v[3:4], v[3:4], 0
	v_mul_f64 v[71:72], v[53:54], v[71:72]
	s_waitcnt vmcnt(12)
	v_fma_f64 v[67:68], v[59:60], v[77:78], -v[67:68]
	v_fma_f64 v[65:66], v[61:62], v[77:78], v[65:66]
	ds_read_b128 v[59:62], v2 offset:720
	s_waitcnt vmcnt(9)
	v_fma_f64 v[53:54], v[53:54], v[79:80], v[69:70]
	v_add_f64 v[89:90], v[89:90], v[91:92]
	v_add_f64 v[3:4], v[3:4], v[63:64]
	s_waitcnt lgkmcnt(1)
	v_mul_f64 v[63:64], v[55:56], v[73:74]
	v_mul_f64 v[73:74], v[57:58], v[73:74]
	v_fma_f64 v[51:52], v[51:52], v[79:80], -v[71:72]
	s_waitcnt vmcnt(7) lgkmcnt(0)
	v_mul_f64 v[69:70], v[61:62], v[81:82]
	v_add_f64 v[67:68], v[89:90], v[67:68]
	v_add_f64 v[2:3], v[3:4], v[65:66]
	v_mul_f64 v[65:66], v[59:60], v[81:82]
	s_waitcnt vmcnt(6)
	v_fma_f64 v[55:56], v[55:56], v[75:76], -v[73:74]
	v_fma_f64 v[57:58], v[57:58], v[75:76], v[63:64]
	v_add_f64 v[51:52], v[67:68], v[51:52]
	v_add_f64 v[2:3], v[2:3], v[53:54]
	s_waitcnt vmcnt(4)
	v_fma_f64 v[53:54], v[59:60], v[83:84], -v[69:70]
	v_add_f64 v[51:52], v[51:52], v[55:56]
	v_fma_f64 v[55:56], v[61:62], v[83:84], v[65:66]
	v_add_f64 v[2:3], v[2:3], v[57:58]
	v_add_f64 v[51:52], v[51:52], v[53:54]
	;; [unrolled: 1-line block ×3, first 2 shown]
	s_waitcnt vmcnt(2)
	v_add_f64 v[51:52], v[85:86], -v[51:52]
	s_waitcnt vmcnt(0)
	v_add_f64 v[2:3], v[87:88], -v[2:3]
	buffer_store_dword v52, off, s[0:3], 0 offset:276
	buffer_store_dword v51, off, s[0:3], 0 offset:272
	;; [unrolled: 1-line block ×4, first 2 shown]
	v_cmpx_lt_u32_e32 15, v0
	s_cbranch_execz .LBB86_121
; %bb.120:
	v_mov_b32_e32 v2, s19
	s_clause 0x3
	buffer_load_dword v51, v2, s[0:3], 0 offen
	buffer_load_dword v52, v2, s[0:3], 0 offen offset:4
	buffer_load_dword v53, v2, s[0:3], 0 offen offset:8
	;; [unrolled: 1-line block ×3, first 2 shown]
	v_mov_b32_e32 v2, 0
	buffer_store_dword v2, off, s[0:3], 0 offset:256
	buffer_store_dword v2, off, s[0:3], 0 offset:260
	;; [unrolled: 1-line block ×4, first 2 shown]
	s_waitcnt vmcnt(0)
	ds_write_b128 v1, v[51:54]
.LBB86_121:
	s_or_b32 exec_lo, exec_lo, s4
	s_waitcnt lgkmcnt(0)
	s_waitcnt_vscnt null, 0x0
	s_barrier
	buffer_gl0_inv
	s_clause 0x1f
	buffer_load_dword v3, off, s[0:3], 0 offset:280
	buffer_load_dword v4, off, s[0:3], 0 offset:284
	;; [unrolled: 1-line block ×32, first 2 shown]
	v_mov_b32_e32 v2, 0
	ds_read_b128 v[51:54], v2 offset:624
	ds_read_b128 v[55:58], v2 offset:640
	;; [unrolled: 1-line block ×3, first 2 shown]
	s_mov_b32 s4, exec_lo
	s_waitcnt vmcnt(30) lgkmcnt(2)
	v_mul_f64 v[93:94], v[53:54], v[3:4]
	v_mul_f64 v[3:4], v[51:52], v[3:4]
	s_waitcnt vmcnt(28) lgkmcnt(1)
	v_mul_f64 v[95:96], v[57:58], v[63:64]
	v_mul_f64 v[63:64], v[55:56], v[63:64]
	s_waitcnt vmcnt(26)
	v_fma_f64 v[93:94], v[51:52], v[65:66], -v[93:94]
	v_fma_f64 v[3:4], v[53:54], v[65:66], v[3:4]
	ds_read_b128 v[51:54], v2 offset:672
	s_waitcnt vmcnt(24) lgkmcnt(1)
	v_mul_f64 v[65:66], v[59:60], v[67:68]
	v_mul_f64 v[67:68], v[61:62], v[67:68]
	s_waitcnt vmcnt(22)
	v_fma_f64 v[95:96], v[55:56], v[69:70], -v[95:96]
	v_fma_f64 v[63:64], v[57:58], v[69:70], v[63:64]
	ds_read_b128 v[55:58], v2 offset:688
	s_waitcnt vmcnt(18) lgkmcnt(1)
	v_mul_f64 v[69:70], v[51:52], v[71:72]
	v_add_f64 v[93:94], v[93:94], 0
	v_add_f64 v[3:4], v[3:4], 0
	v_mul_f64 v[71:72], v[53:54], v[71:72]
	s_waitcnt vmcnt(16)
	v_fma_f64 v[67:68], v[59:60], v[77:78], -v[67:68]
	v_fma_f64 v[65:66], v[61:62], v[77:78], v[65:66]
	ds_read_b128 v[59:62], v2 offset:704
	s_waitcnt vmcnt(13)
	v_fma_f64 v[69:70], v[53:54], v[79:80], v[69:70]
	v_add_f64 v[93:94], v[93:94], v[95:96]
	v_add_f64 v[3:4], v[3:4], v[63:64]
	s_waitcnt lgkmcnt(1)
	v_mul_f64 v[63:64], v[55:56], v[73:74]
	v_mul_f64 v[73:74], v[57:58], v[73:74]
	v_fma_f64 v[71:72], v[51:52], v[79:80], -v[71:72]
	s_waitcnt vmcnt(9) lgkmcnt(0)
	v_mul_f64 v[77:78], v[61:62], v[81:82]
	ds_read_b128 v[51:54], v2 offset:720
	v_add_f64 v[67:68], v[93:94], v[67:68]
	v_add_f64 v[3:4], v[3:4], v[65:66]
	v_mul_f64 v[65:66], v[59:60], v[81:82]
	s_waitcnt vmcnt(8)
	v_fma_f64 v[55:56], v[55:56], v[75:76], -v[73:74]
	v_fma_f64 v[57:58], v[57:58], v[75:76], v[63:64]
	s_waitcnt vmcnt(5)
	v_fma_f64 v[59:60], v[59:60], v[87:88], -v[77:78]
	s_waitcnt lgkmcnt(0)
	v_mul_f64 v[63:64], v[51:52], v[83:84]
	v_add_f64 v[67:68], v[67:68], v[71:72]
	v_add_f64 v[3:4], v[3:4], v[69:70]
	v_mul_f64 v[69:70], v[53:54], v[83:84]
	v_fma_f64 v[61:62], v[61:62], v[87:88], v[65:66]
	s_waitcnt vmcnt(4)
	v_fma_f64 v[53:54], v[53:54], v[85:86], v[63:64]
	v_add_f64 v[55:56], v[67:68], v[55:56]
	v_add_f64 v[3:4], v[3:4], v[57:58]
	v_fma_f64 v[51:52], v[51:52], v[85:86], -v[69:70]
	v_add_f64 v[55:56], v[55:56], v[59:60]
	v_add_f64 v[3:4], v[3:4], v[61:62]
	;; [unrolled: 1-line block ×4, first 2 shown]
	s_waitcnt vmcnt(2)
	v_add_f64 v[51:52], v[89:90], -v[51:52]
	s_waitcnt vmcnt(0)
	v_add_f64 v[3:4], v[91:92], -v[3:4]
	buffer_store_dword v52, off, s[0:3], 0 offset:260
	buffer_store_dword v51, off, s[0:3], 0 offset:256
	;; [unrolled: 1-line block ×4, first 2 shown]
	v_cmpx_lt_u32_e32 14, v0
	s_cbranch_execz .LBB86_123
; %bb.122:
	v_mov_b32_e32 v3, s20
	s_clause 0x3
	buffer_load_dword v51, v3, s[0:3], 0 offen
	buffer_load_dword v52, v3, s[0:3], 0 offen offset:4
	buffer_load_dword v53, v3, s[0:3], 0 offen offset:8
	buffer_load_dword v54, v3, s[0:3], 0 offen offset:12
	buffer_store_dword v2, off, s[0:3], 0 offset:240
	buffer_store_dword v2, off, s[0:3], 0 offset:244
	;; [unrolled: 1-line block ×4, first 2 shown]
	s_waitcnt vmcnt(0)
	ds_write_b128 v1, v[51:54]
.LBB86_123:
	s_or_b32 exec_lo, exec_lo, s4
	s_waitcnt lgkmcnt(0)
	s_waitcnt_vscnt null, 0x0
	s_barrier
	buffer_gl0_inv
	s_clause 0x23
	buffer_load_dword v3, off, s[0:3], 0 offset:264
	buffer_load_dword v4, off, s[0:3], 0 offset:268
	;; [unrolled: 1-line block ×36, first 2 shown]
	ds_read_b128 v[51:54], v2 offset:608
	ds_read_b128 v[55:58], v2 offset:624
	;; [unrolled: 1-line block ×3, first 2 shown]
	s_mov_b32 s4, exec_lo
	s_waitcnt vmcnt(34) lgkmcnt(2)
	v_mul_f64 v[97:98], v[53:54], v[3:4]
	v_mul_f64 v[3:4], v[51:52], v[3:4]
	s_waitcnt vmcnt(32) lgkmcnt(1)
	v_mul_f64 v[99:100], v[57:58], v[63:64]
	v_mul_f64 v[63:64], v[55:56], v[63:64]
	s_waitcnt vmcnt(30)
	v_fma_f64 v[97:98], v[51:52], v[65:66], -v[97:98]
	v_fma_f64 v[3:4], v[53:54], v[65:66], v[3:4]
	ds_read_b128 v[51:54], v2 offset:656
	s_waitcnt vmcnt(28) lgkmcnt(1)
	v_mul_f64 v[65:66], v[59:60], v[67:68]
	v_mul_f64 v[67:68], v[61:62], v[67:68]
	s_waitcnt vmcnt(26)
	v_fma_f64 v[99:100], v[55:56], v[69:70], -v[99:100]
	v_fma_f64 v[63:64], v[57:58], v[69:70], v[63:64]
	ds_read_b128 v[55:58], v2 offset:672
	s_waitcnt vmcnt(22) lgkmcnt(1)
	v_mul_f64 v[69:70], v[51:52], v[71:72]
	v_add_f64 v[97:98], v[97:98], 0
	v_add_f64 v[3:4], v[3:4], 0
	v_mul_f64 v[71:72], v[53:54], v[71:72]
	s_waitcnt vmcnt(20)
	v_fma_f64 v[67:68], v[59:60], v[77:78], -v[67:68]
	v_fma_f64 v[65:66], v[61:62], v[77:78], v[65:66]
	ds_read_b128 v[59:62], v2 offset:688
	s_waitcnt vmcnt(17)
	v_fma_f64 v[69:70], v[53:54], v[79:80], v[69:70]
	v_add_f64 v[97:98], v[97:98], v[99:100]
	v_add_f64 v[3:4], v[3:4], v[63:64]
	s_waitcnt lgkmcnt(1)
	v_mul_f64 v[63:64], v[55:56], v[73:74]
	v_mul_f64 v[73:74], v[57:58], v[73:74]
	v_fma_f64 v[71:72], v[51:52], v[79:80], -v[71:72]
	s_waitcnt vmcnt(13) lgkmcnt(0)
	v_mul_f64 v[77:78], v[61:62], v[81:82]
	ds_read_b128 v[51:54], v2 offset:704
	v_add_f64 v[67:68], v[97:98], v[67:68]
	v_add_f64 v[3:4], v[3:4], v[65:66]
	v_mul_f64 v[65:66], v[59:60], v[81:82]
	s_waitcnt vmcnt(12)
	v_fma_f64 v[73:74], v[55:56], v[75:76], -v[73:74]
	v_fma_f64 v[63:64], v[57:58], v[75:76], v[63:64]
	ds_read_b128 v[55:58], v2 offset:720
	s_waitcnt vmcnt(9)
	v_fma_f64 v[59:60], v[59:60], v[87:88], -v[77:78]
	v_add_f64 v[67:68], v[67:68], v[71:72]
	v_add_f64 v[3:4], v[3:4], v[69:70]
	s_waitcnt lgkmcnt(1)
	v_mul_f64 v[71:72], v[53:54], v[83:84]
	v_mul_f64 v[69:70], v[51:52], v[83:84]
	v_fma_f64 v[61:62], v[61:62], v[87:88], v[65:66]
	s_waitcnt vmcnt(7) lgkmcnt(0)
	v_mul_f64 v[65:66], v[57:58], v[89:90]
	v_add_f64 v[67:68], v[67:68], v[73:74]
	v_add_f64 v[2:3], v[3:4], v[63:64]
	s_waitcnt vmcnt(6)
	v_fma_f64 v[51:52], v[51:52], v[85:86], -v[71:72]
	v_mul_f64 v[63:64], v[55:56], v[89:90]
	v_fma_f64 v[53:54], v[53:54], v[85:86], v[69:70]
	s_waitcnt vmcnt(4)
	v_fma_f64 v[55:56], v[55:56], v[91:92], -v[65:66]
	v_add_f64 v[59:60], v[67:68], v[59:60]
	v_add_f64 v[2:3], v[2:3], v[61:62]
	v_fma_f64 v[57:58], v[57:58], v[91:92], v[63:64]
	v_add_f64 v[51:52], v[59:60], v[51:52]
	v_add_f64 v[2:3], v[2:3], v[53:54]
	;; [unrolled: 1-line block ×4, first 2 shown]
	s_waitcnt vmcnt(2)
	v_add_f64 v[51:52], v[93:94], -v[51:52]
	s_waitcnt vmcnt(0)
	v_add_f64 v[2:3], v[95:96], -v[2:3]
	buffer_store_dword v52, off, s[0:3], 0 offset:244
	buffer_store_dword v51, off, s[0:3], 0 offset:240
	;; [unrolled: 1-line block ×4, first 2 shown]
	v_cmpx_lt_u32_e32 13, v0
	s_cbranch_execz .LBB86_125
; %bb.124:
	v_mov_b32_e32 v2, s21
	s_clause 0x3
	buffer_load_dword v51, v2, s[0:3], 0 offen
	buffer_load_dword v52, v2, s[0:3], 0 offen offset:4
	buffer_load_dword v53, v2, s[0:3], 0 offen offset:8
	;; [unrolled: 1-line block ×3, first 2 shown]
	v_mov_b32_e32 v2, 0
	buffer_store_dword v2, off, s[0:3], 0 offset:224
	buffer_store_dword v2, off, s[0:3], 0 offset:228
	;; [unrolled: 1-line block ×4, first 2 shown]
	s_waitcnt vmcnt(0)
	ds_write_b128 v1, v[51:54]
.LBB86_125:
	s_or_b32 exec_lo, exec_lo, s4
	s_waitcnt lgkmcnt(0)
	s_waitcnt_vscnt null, 0x0
	s_barrier
	buffer_gl0_inv
	s_clause 0x27
	buffer_load_dword v3, off, s[0:3], 0 offset:248
	buffer_load_dword v4, off, s[0:3], 0 offset:252
	;; [unrolled: 1-line block ×40, first 2 shown]
	v_mov_b32_e32 v2, 0
	ds_read_b128 v[51:54], v2 offset:592
	ds_read_b128 v[55:58], v2 offset:608
	;; [unrolled: 1-line block ×3, first 2 shown]
	s_mov_b32 s4, exec_lo
	s_waitcnt vmcnt(38) lgkmcnt(2)
	v_mul_f64 v[101:102], v[53:54], v[3:4]
	v_mul_f64 v[3:4], v[51:52], v[3:4]
	s_waitcnt vmcnt(36) lgkmcnt(1)
	v_mul_f64 v[103:104], v[57:58], v[63:64]
	v_mul_f64 v[63:64], v[55:56], v[63:64]
	s_waitcnt vmcnt(34)
	v_fma_f64 v[101:102], v[51:52], v[65:66], -v[101:102]
	v_fma_f64 v[3:4], v[53:54], v[65:66], v[3:4]
	ds_read_b128 v[51:54], v2 offset:640
	s_waitcnt vmcnt(32) lgkmcnt(1)
	v_mul_f64 v[65:66], v[59:60], v[67:68]
	v_mul_f64 v[67:68], v[61:62], v[67:68]
	s_waitcnt vmcnt(30)
	v_fma_f64 v[103:104], v[55:56], v[69:70], -v[103:104]
	v_fma_f64 v[63:64], v[57:58], v[69:70], v[63:64]
	ds_read_b128 v[55:58], v2 offset:656
	s_waitcnt vmcnt(26) lgkmcnt(1)
	v_mul_f64 v[69:70], v[51:52], v[71:72]
	v_add_f64 v[101:102], v[101:102], 0
	v_add_f64 v[3:4], v[3:4], 0
	v_mul_f64 v[71:72], v[53:54], v[71:72]
	s_waitcnt vmcnt(24)
	v_fma_f64 v[67:68], v[59:60], v[77:78], -v[67:68]
	v_fma_f64 v[65:66], v[61:62], v[77:78], v[65:66]
	ds_read_b128 v[59:62], v2 offset:672
	s_waitcnt vmcnt(21)
	v_fma_f64 v[69:70], v[53:54], v[79:80], v[69:70]
	v_add_f64 v[101:102], v[101:102], v[103:104]
	v_add_f64 v[3:4], v[3:4], v[63:64]
	s_waitcnt lgkmcnt(1)
	v_mul_f64 v[63:64], v[55:56], v[73:74]
	v_mul_f64 v[73:74], v[57:58], v[73:74]
	v_fma_f64 v[71:72], v[51:52], v[79:80], -v[71:72]
	s_waitcnt vmcnt(17) lgkmcnt(0)
	v_mul_f64 v[77:78], v[61:62], v[81:82]
	ds_read_b128 v[51:54], v2 offset:688
	v_add_f64 v[67:68], v[101:102], v[67:68]
	v_add_f64 v[3:4], v[3:4], v[65:66]
	v_mul_f64 v[65:66], v[59:60], v[81:82]
	s_waitcnt vmcnt(16)
	v_fma_f64 v[73:74], v[55:56], v[75:76], -v[73:74]
	v_fma_f64 v[63:64], v[57:58], v[75:76], v[63:64]
	ds_read_b128 v[55:58], v2 offset:704
	s_waitcnt vmcnt(13)
	v_fma_f64 v[75:76], v[59:60], v[87:88], -v[77:78]
	v_add_f64 v[67:68], v[67:68], v[71:72]
	v_add_f64 v[3:4], v[3:4], v[69:70]
	s_waitcnt lgkmcnt(1)
	v_mul_f64 v[71:72], v[53:54], v[83:84]
	v_mul_f64 v[69:70], v[51:52], v[83:84]
	v_fma_f64 v[65:66], v[61:62], v[87:88], v[65:66]
	ds_read_b128 v[59:62], v2 offset:720
	v_add_f64 v[67:68], v[67:68], v[73:74]
	v_add_f64 v[3:4], v[3:4], v[63:64]
	s_waitcnt vmcnt(9) lgkmcnt(1)
	v_mul_f64 v[73:74], v[57:58], v[89:90]
	s_waitcnt vmcnt(8)
	v_fma_f64 v[51:52], v[51:52], v[85:86], -v[71:72]
	v_mul_f64 v[63:64], v[55:56], v[89:90]
	v_fma_f64 v[53:54], v[53:54], v[85:86], v[69:70]
	s_waitcnt vmcnt(7) lgkmcnt(0)
	v_mul_f64 v[69:70], v[61:62], v[91:92]
	v_add_f64 v[67:68], v[67:68], v[75:76]
	v_add_f64 v[3:4], v[3:4], v[65:66]
	s_waitcnt vmcnt(5)
	v_fma_f64 v[55:56], v[55:56], v[95:96], -v[73:74]
	v_mul_f64 v[65:66], v[59:60], v[91:92]
	v_fma_f64 v[57:58], v[57:58], v[95:96], v[63:64]
	v_add_f64 v[51:52], v[67:68], v[51:52]
	v_add_f64 v[3:4], v[3:4], v[53:54]
	s_waitcnt vmcnt(4)
	v_fma_f64 v[53:54], v[59:60], v[93:94], -v[69:70]
	v_add_f64 v[51:52], v[51:52], v[55:56]
	v_fma_f64 v[55:56], v[61:62], v[93:94], v[65:66]
	v_add_f64 v[3:4], v[3:4], v[57:58]
	v_add_f64 v[51:52], v[51:52], v[53:54]
	;; [unrolled: 1-line block ×3, first 2 shown]
	s_waitcnt vmcnt(2)
	v_add_f64 v[51:52], v[97:98], -v[51:52]
	s_waitcnt vmcnt(0)
	v_add_f64 v[3:4], v[99:100], -v[3:4]
	buffer_store_dword v52, off, s[0:3], 0 offset:228
	buffer_store_dword v51, off, s[0:3], 0 offset:224
	;; [unrolled: 1-line block ×4, first 2 shown]
	v_cmpx_lt_u32_e32 12, v0
	s_cbranch_execz .LBB86_127
; %bb.126:
	v_mov_b32_e32 v3, s22
	s_clause 0x3
	buffer_load_dword v51, v3, s[0:3], 0 offen
	buffer_load_dword v52, v3, s[0:3], 0 offen offset:4
	buffer_load_dword v53, v3, s[0:3], 0 offen offset:8
	;; [unrolled: 1-line block ×3, first 2 shown]
	buffer_store_dword v2, off, s[0:3], 0 offset:208
	buffer_store_dword v2, off, s[0:3], 0 offset:212
	;; [unrolled: 1-line block ×4, first 2 shown]
	s_waitcnt vmcnt(0)
	ds_write_b128 v1, v[51:54]
.LBB86_127:
	s_or_b32 exec_lo, exec_lo, s4
	s_waitcnt lgkmcnt(0)
	s_waitcnt_vscnt null, 0x0
	s_barrier
	buffer_gl0_inv
	s_clause 0x2b
	buffer_load_dword v3, off, s[0:3], 0 offset:232
	buffer_load_dword v4, off, s[0:3], 0 offset:236
	;; [unrolled: 1-line block ×44, first 2 shown]
	ds_read_b128 v[51:54], v2 offset:576
	ds_read_b128 v[55:58], v2 offset:592
	;; [unrolled: 1-line block ×3, first 2 shown]
	s_mov_b32 s4, exec_lo
	s_waitcnt vmcnt(42) lgkmcnt(2)
	v_mul_f64 v[105:106], v[53:54], v[3:4]
	v_mul_f64 v[3:4], v[51:52], v[3:4]
	s_waitcnt vmcnt(40) lgkmcnt(1)
	v_mul_f64 v[107:108], v[57:58], v[63:64]
	v_mul_f64 v[63:64], v[55:56], v[63:64]
	s_waitcnt vmcnt(38)
	v_fma_f64 v[105:106], v[51:52], v[65:66], -v[105:106]
	v_fma_f64 v[3:4], v[53:54], v[65:66], v[3:4]
	ds_read_b128 v[51:54], v2 offset:624
	s_waitcnt vmcnt(36) lgkmcnt(1)
	v_mul_f64 v[65:66], v[59:60], v[67:68]
	v_mul_f64 v[67:68], v[61:62], v[67:68]
	s_waitcnt vmcnt(34)
	v_fma_f64 v[107:108], v[55:56], v[69:70], -v[107:108]
	v_fma_f64 v[63:64], v[57:58], v[69:70], v[63:64]
	ds_read_b128 v[55:58], v2 offset:640
	s_waitcnt vmcnt(30) lgkmcnt(1)
	v_mul_f64 v[69:70], v[51:52], v[71:72]
	v_add_f64 v[105:106], v[105:106], 0
	v_add_f64 v[3:4], v[3:4], 0
	v_mul_f64 v[71:72], v[53:54], v[71:72]
	s_waitcnt vmcnt(28)
	v_fma_f64 v[67:68], v[59:60], v[77:78], -v[67:68]
	v_fma_f64 v[65:66], v[61:62], v[77:78], v[65:66]
	ds_read_b128 v[59:62], v2 offset:656
	s_waitcnt vmcnt(25)
	v_fma_f64 v[69:70], v[53:54], v[79:80], v[69:70]
	v_add_f64 v[105:106], v[105:106], v[107:108]
	v_add_f64 v[3:4], v[3:4], v[63:64]
	s_waitcnt lgkmcnt(1)
	v_mul_f64 v[63:64], v[55:56], v[73:74]
	v_mul_f64 v[73:74], v[57:58], v[73:74]
	v_fma_f64 v[71:72], v[51:52], v[79:80], -v[71:72]
	s_waitcnt vmcnt(21) lgkmcnt(0)
	v_mul_f64 v[77:78], v[61:62], v[81:82]
	ds_read_b128 v[51:54], v2 offset:672
	v_add_f64 v[67:68], v[105:106], v[67:68]
	v_add_f64 v[3:4], v[3:4], v[65:66]
	v_mul_f64 v[65:66], v[59:60], v[81:82]
	s_waitcnt vmcnt(20)
	v_fma_f64 v[73:74], v[55:56], v[75:76], -v[73:74]
	v_fma_f64 v[63:64], v[57:58], v[75:76], v[63:64]
	ds_read_b128 v[55:58], v2 offset:688
	s_waitcnt vmcnt(17)
	v_fma_f64 v[75:76], v[59:60], v[87:88], -v[77:78]
	v_add_f64 v[67:68], v[67:68], v[71:72]
	v_add_f64 v[3:4], v[3:4], v[69:70]
	s_waitcnt lgkmcnt(1)
	v_mul_f64 v[71:72], v[53:54], v[83:84]
	v_mul_f64 v[69:70], v[51:52], v[83:84]
	v_fma_f64 v[65:66], v[61:62], v[87:88], v[65:66]
	ds_read_b128 v[59:62], v2 offset:704
	v_add_f64 v[67:68], v[67:68], v[73:74]
	v_add_f64 v[3:4], v[3:4], v[63:64]
	s_waitcnt vmcnt(13) lgkmcnt(1)
	v_mul_f64 v[73:74], v[57:58], v[89:90]
	s_waitcnt vmcnt(12)
	v_fma_f64 v[71:72], v[51:52], v[85:86], -v[71:72]
	v_mul_f64 v[63:64], v[55:56], v[89:90]
	v_fma_f64 v[69:70], v[53:54], v[85:86], v[69:70]
	ds_read_b128 v[51:54], v2 offset:720
	v_add_f64 v[67:68], v[67:68], v[75:76]
	v_add_f64 v[3:4], v[3:4], v[65:66]
	s_waitcnt vmcnt(11) lgkmcnt(1)
	v_mul_f64 v[75:76], v[61:62], v[91:92]
	s_waitcnt vmcnt(9)
	v_fma_f64 v[55:56], v[55:56], v[95:96], -v[73:74]
	v_mul_f64 v[65:66], v[59:60], v[91:92]
	v_fma_f64 v[57:58], v[57:58], v[95:96], v[63:64]
	s_waitcnt vmcnt(7) lgkmcnt(0)
	v_mul_f64 v[63:64], v[51:52], v[97:98]
	v_add_f64 v[67:68], v[67:68], v[71:72]
	v_add_f64 v[2:3], v[3:4], v[69:70]
	v_mul_f64 v[69:70], v[53:54], v[97:98]
	s_waitcnt vmcnt(6)
	v_fma_f64 v[59:60], v[59:60], v[93:94], -v[75:76]
	v_fma_f64 v[61:62], v[61:62], v[93:94], v[65:66]
	s_waitcnt vmcnt(4)
	v_fma_f64 v[53:54], v[53:54], v[99:100], v[63:64]
	v_add_f64 v[55:56], v[67:68], v[55:56]
	v_add_f64 v[2:3], v[2:3], v[57:58]
	v_fma_f64 v[51:52], v[51:52], v[99:100], -v[69:70]
	v_add_f64 v[55:56], v[55:56], v[59:60]
	v_add_f64 v[2:3], v[2:3], v[61:62]
	;; [unrolled: 1-line block ×4, first 2 shown]
	s_waitcnt vmcnt(2)
	v_add_f64 v[51:52], v[101:102], -v[51:52]
	s_waitcnt vmcnt(0)
	v_add_f64 v[2:3], v[103:104], -v[2:3]
	buffer_store_dword v52, off, s[0:3], 0 offset:212
	buffer_store_dword v51, off, s[0:3], 0 offset:208
	;; [unrolled: 1-line block ×4, first 2 shown]
	v_cmpx_lt_u32_e32 11, v0
	s_cbranch_execz .LBB86_129
; %bb.128:
	v_mov_b32_e32 v2, s23
	s_clause 0x3
	buffer_load_dword v51, v2, s[0:3], 0 offen
	buffer_load_dword v52, v2, s[0:3], 0 offen offset:4
	buffer_load_dword v53, v2, s[0:3], 0 offen offset:8
	;; [unrolled: 1-line block ×3, first 2 shown]
	v_mov_b32_e32 v2, 0
	buffer_store_dword v2, off, s[0:3], 0 offset:192
	buffer_store_dword v2, off, s[0:3], 0 offset:196
	;; [unrolled: 1-line block ×4, first 2 shown]
	s_waitcnt vmcnt(0)
	ds_write_b128 v1, v[51:54]
.LBB86_129:
	s_or_b32 exec_lo, exec_lo, s4
	s_waitcnt lgkmcnt(0)
	s_waitcnt_vscnt null, 0x0
	s_barrier
	buffer_gl0_inv
	s_clause 0x2f
	buffer_load_dword v3, off, s[0:3], 0 offset:216
	buffer_load_dword v4, off, s[0:3], 0 offset:220
	;; [unrolled: 1-line block ×48, first 2 shown]
	v_mov_b32_e32 v2, 0
	ds_read_b128 v[51:54], v2 offset:560
	ds_read_b128 v[55:58], v2 offset:576
	;; [unrolled: 1-line block ×3, first 2 shown]
	s_mov_b32 s4, exec_lo
	s_waitcnt vmcnt(46) lgkmcnt(2)
	v_mul_f64 v[109:110], v[53:54], v[3:4]
	v_mul_f64 v[3:4], v[51:52], v[3:4]
	s_waitcnt vmcnt(44) lgkmcnt(1)
	v_mul_f64 v[111:112], v[57:58], v[63:64]
	v_mul_f64 v[63:64], v[55:56], v[63:64]
	s_waitcnt vmcnt(42)
	v_fma_f64 v[109:110], v[51:52], v[65:66], -v[109:110]
	v_fma_f64 v[3:4], v[53:54], v[65:66], v[3:4]
	ds_read_b128 v[51:54], v2 offset:608
	s_waitcnt vmcnt(40) lgkmcnt(1)
	v_mul_f64 v[65:66], v[59:60], v[67:68]
	v_mul_f64 v[67:68], v[61:62], v[67:68]
	s_waitcnt vmcnt(38)
	v_fma_f64 v[111:112], v[55:56], v[69:70], -v[111:112]
	v_fma_f64 v[63:64], v[57:58], v[69:70], v[63:64]
	ds_read_b128 v[55:58], v2 offset:624
	s_waitcnt vmcnt(34) lgkmcnt(1)
	v_mul_f64 v[69:70], v[51:52], v[71:72]
	v_add_f64 v[109:110], v[109:110], 0
	v_add_f64 v[3:4], v[3:4], 0
	v_mul_f64 v[71:72], v[53:54], v[71:72]
	s_waitcnt vmcnt(32)
	v_fma_f64 v[67:68], v[59:60], v[77:78], -v[67:68]
	v_fma_f64 v[65:66], v[61:62], v[77:78], v[65:66]
	ds_read_b128 v[59:62], v2 offset:640
	s_waitcnt vmcnt(29)
	v_fma_f64 v[69:70], v[53:54], v[79:80], v[69:70]
	v_add_f64 v[109:110], v[109:110], v[111:112]
	v_add_f64 v[3:4], v[3:4], v[63:64]
	s_waitcnt lgkmcnt(1)
	v_mul_f64 v[63:64], v[55:56], v[73:74]
	v_mul_f64 v[73:74], v[57:58], v[73:74]
	v_fma_f64 v[71:72], v[51:52], v[79:80], -v[71:72]
	s_waitcnt vmcnt(25) lgkmcnt(0)
	v_mul_f64 v[77:78], v[61:62], v[81:82]
	ds_read_b128 v[51:54], v2 offset:656
	v_add_f64 v[67:68], v[109:110], v[67:68]
	v_add_f64 v[3:4], v[3:4], v[65:66]
	v_mul_f64 v[65:66], v[59:60], v[81:82]
	s_waitcnt vmcnt(24)
	v_fma_f64 v[73:74], v[55:56], v[75:76], -v[73:74]
	v_fma_f64 v[63:64], v[57:58], v[75:76], v[63:64]
	ds_read_b128 v[55:58], v2 offset:672
	s_waitcnt vmcnt(21)
	v_fma_f64 v[75:76], v[59:60], v[87:88], -v[77:78]
	v_add_f64 v[67:68], v[67:68], v[71:72]
	v_add_f64 v[3:4], v[3:4], v[69:70]
	s_waitcnt lgkmcnt(1)
	v_mul_f64 v[71:72], v[53:54], v[83:84]
	v_mul_f64 v[69:70], v[51:52], v[83:84]
	v_fma_f64 v[65:66], v[61:62], v[87:88], v[65:66]
	ds_read_b128 v[59:62], v2 offset:688
	v_add_f64 v[67:68], v[67:68], v[73:74]
	v_add_f64 v[3:4], v[3:4], v[63:64]
	s_waitcnt vmcnt(17) lgkmcnt(1)
	v_mul_f64 v[73:74], v[57:58], v[89:90]
	s_waitcnt vmcnt(16)
	v_fma_f64 v[71:72], v[51:52], v[85:86], -v[71:72]
	v_mul_f64 v[63:64], v[55:56], v[89:90]
	v_fma_f64 v[69:70], v[53:54], v[85:86], v[69:70]
	ds_read_b128 v[51:54], v2 offset:704
	v_add_f64 v[67:68], v[67:68], v[75:76]
	v_add_f64 v[3:4], v[3:4], v[65:66]
	s_waitcnt vmcnt(15) lgkmcnt(1)
	v_mul_f64 v[75:76], v[61:62], v[91:92]
	s_waitcnt vmcnt(13)
	v_fma_f64 v[73:74], v[55:56], v[95:96], -v[73:74]
	;; [unrolled: 9-line block ×3, first 2 shown]
	v_mul_f64 v[69:70], v[51:52], v[97:98]
	v_fma_f64 v[61:62], v[61:62], v[93:94], v[65:66]
	s_waitcnt vmcnt(7) lgkmcnt(0)
	v_mul_f64 v[65:66], v[57:58], v[99:100]
	v_add_f64 v[67:68], v[67:68], v[73:74]
	v_add_f64 v[3:4], v[3:4], v[63:64]
	s_waitcnt vmcnt(5)
	v_fma_f64 v[51:52], v[51:52], v[103:104], -v[71:72]
	v_mul_f64 v[63:64], v[55:56], v[99:100]
	v_fma_f64 v[53:54], v[53:54], v[103:104], v[69:70]
	s_waitcnt vmcnt(4)
	v_fma_f64 v[55:56], v[55:56], v[101:102], -v[65:66]
	v_add_f64 v[59:60], v[67:68], v[59:60]
	v_add_f64 v[3:4], v[3:4], v[61:62]
	v_fma_f64 v[57:58], v[57:58], v[101:102], v[63:64]
	v_add_f64 v[51:52], v[59:60], v[51:52]
	v_add_f64 v[3:4], v[3:4], v[53:54]
	;; [unrolled: 1-line block ×4, first 2 shown]
	s_waitcnt vmcnt(2)
	v_add_f64 v[51:52], v[105:106], -v[51:52]
	s_waitcnt vmcnt(0)
	v_add_f64 v[3:4], v[107:108], -v[3:4]
	buffer_store_dword v52, off, s[0:3], 0 offset:196
	buffer_store_dword v51, off, s[0:3], 0 offset:192
	;; [unrolled: 1-line block ×4, first 2 shown]
	v_cmpx_lt_u32_e32 10, v0
	s_cbranch_execz .LBB86_131
; %bb.130:
	v_mov_b32_e32 v3, s24
	s_clause 0x3
	buffer_load_dword v51, v3, s[0:3], 0 offen
	buffer_load_dword v52, v3, s[0:3], 0 offen offset:4
	buffer_load_dword v53, v3, s[0:3], 0 offen offset:8
	;; [unrolled: 1-line block ×3, first 2 shown]
	buffer_store_dword v2, off, s[0:3], 0 offset:176
	buffer_store_dword v2, off, s[0:3], 0 offset:180
	;; [unrolled: 1-line block ×4, first 2 shown]
	s_waitcnt vmcnt(0)
	ds_write_b128 v1, v[51:54]
.LBB86_131:
	s_or_b32 exec_lo, exec_lo, s4
	s_waitcnt lgkmcnt(0)
	s_waitcnt_vscnt null, 0x0
	s_barrier
	buffer_gl0_inv
	s_clause 0x2f
	buffer_load_dword v3, off, s[0:3], 0 offset:200
	buffer_load_dword v4, off, s[0:3], 0 offset:204
	;; [unrolled: 1-line block ×48, first 2 shown]
	ds_read_b128 v[51:54], v2 offset:544
	s_clause 0x3
	buffer_load_dword v109, off, s[0:3], 0 offset:176
	buffer_load_dword v110, off, s[0:3], 0 offset:180
	;; [unrolled: 1-line block ×4, first 2 shown]
	ds_read_b128 v[55:58], v2 offset:560
	ds_read_b128 v[59:62], v2 offset:576
	s_mov_b32 s4, exec_lo
	s_waitcnt vmcnt(50) lgkmcnt(2)
	v_mul_f64 v[113:114], v[53:54], v[3:4]
	v_mul_f64 v[3:4], v[51:52], v[3:4]
	s_waitcnt vmcnt(48) lgkmcnt(1)
	v_mul_f64 v[115:116], v[57:58], v[63:64]
	v_mul_f64 v[63:64], v[55:56], v[63:64]
	s_waitcnt vmcnt(46)
	v_fma_f64 v[113:114], v[51:52], v[65:66], -v[113:114]
	v_fma_f64 v[3:4], v[53:54], v[65:66], v[3:4]
	s_waitcnt vmcnt(44) lgkmcnt(0)
	v_mul_f64 v[65:66], v[59:60], v[67:68]
	v_mul_f64 v[67:68], v[61:62], v[67:68]
	s_waitcnt vmcnt(42)
	v_fma_f64 v[115:116], v[55:56], v[69:70], -v[115:116]
	ds_read_b128 v[51:54], v2 offset:592
	v_fma_f64 v[63:64], v[57:58], v[69:70], v[63:64]
	ds_read_b128 v[55:58], v2 offset:608
	v_add_f64 v[113:114], v[113:114], 0
	v_add_f64 v[3:4], v[3:4], 0
	s_waitcnt vmcnt(36)
	v_fma_f64 v[65:66], v[61:62], v[77:78], v[65:66]
	s_waitcnt lgkmcnt(1)
	v_mul_f64 v[69:70], v[51:52], v[71:72]
	v_mul_f64 v[71:72], v[53:54], v[71:72]
	v_fma_f64 v[67:68], v[59:60], v[77:78], -v[67:68]
	ds_read_b128 v[59:62], v2 offset:624
	v_add_f64 v[113:114], v[113:114], v[115:116]
	v_add_f64 v[3:4], v[3:4], v[63:64]
	s_waitcnt vmcnt(35) lgkmcnt(1)
	v_mul_f64 v[63:64], v[55:56], v[73:74]
	v_mul_f64 v[73:74], v[57:58], v[73:74]
	s_waitcnt vmcnt(33)
	v_fma_f64 v[71:72], v[51:52], v[79:80], -v[71:72]
	v_fma_f64 v[69:70], v[53:54], v[79:80], v[69:70]
	ds_read_b128 v[51:54], v2 offset:640
	s_waitcnt vmcnt(29) lgkmcnt(1)
	v_mul_f64 v[77:78], v[61:62], v[81:82]
	v_add_f64 v[67:68], v[113:114], v[67:68]
	v_add_f64 v[3:4], v[3:4], v[65:66]
	v_mul_f64 v[65:66], v[59:60], v[81:82]
	s_waitcnt vmcnt(28)
	v_fma_f64 v[73:74], v[55:56], v[75:76], -v[73:74]
	v_fma_f64 v[63:64], v[57:58], v[75:76], v[63:64]
	ds_read_b128 v[55:58], v2 offset:656
	s_waitcnt vmcnt(25)
	v_fma_f64 v[75:76], v[59:60], v[87:88], -v[77:78]
	v_add_f64 v[67:68], v[67:68], v[71:72]
	v_add_f64 v[3:4], v[3:4], v[69:70]
	s_waitcnt lgkmcnt(1)
	v_mul_f64 v[71:72], v[53:54], v[83:84]
	v_mul_f64 v[69:70], v[51:52], v[83:84]
	v_fma_f64 v[65:66], v[61:62], v[87:88], v[65:66]
	ds_read_b128 v[59:62], v2 offset:672
	v_add_f64 v[67:68], v[67:68], v[73:74]
	v_add_f64 v[3:4], v[3:4], v[63:64]
	s_waitcnt vmcnt(21) lgkmcnt(1)
	v_mul_f64 v[73:74], v[57:58], v[89:90]
	s_waitcnt vmcnt(20)
	v_fma_f64 v[71:72], v[51:52], v[85:86], -v[71:72]
	v_mul_f64 v[63:64], v[55:56], v[89:90]
	v_fma_f64 v[69:70], v[53:54], v[85:86], v[69:70]
	ds_read_b128 v[51:54], v2 offset:688
	v_add_f64 v[67:68], v[67:68], v[75:76]
	v_add_f64 v[3:4], v[3:4], v[65:66]
	s_waitcnt vmcnt(19) lgkmcnt(1)
	v_mul_f64 v[75:76], v[61:62], v[91:92]
	s_waitcnt vmcnt(17)
	v_fma_f64 v[73:74], v[55:56], v[95:96], -v[73:74]
	;; [unrolled: 9-line block ×4, first 2 shown]
	v_mul_f64 v[63:64], v[55:56], v[99:100]
	v_fma_f64 v[53:54], v[53:54], v[103:104], v[69:70]
	s_waitcnt vmcnt(7) lgkmcnt(0)
	v_mul_f64 v[69:70], v[61:62], v[105:106]
	v_add_f64 v[67:68], v[67:68], v[75:76]
	v_add_f64 v[2:3], v[3:4], v[65:66]
	s_waitcnt vmcnt(6)
	v_fma_f64 v[55:56], v[55:56], v[101:102], -v[73:74]
	v_mul_f64 v[65:66], v[59:60], v[105:106]
	v_fma_f64 v[57:58], v[57:58], v[101:102], v[63:64]
	v_add_f64 v[51:52], v[67:68], v[51:52]
	v_add_f64 v[2:3], v[2:3], v[53:54]
	s_waitcnt vmcnt(4)
	v_fma_f64 v[53:54], v[59:60], v[107:108], -v[69:70]
	v_add_f64 v[51:52], v[51:52], v[55:56]
	v_fma_f64 v[55:56], v[61:62], v[107:108], v[65:66]
	v_add_f64 v[2:3], v[2:3], v[57:58]
	v_add_f64 v[51:52], v[51:52], v[53:54]
	;; [unrolled: 1-line block ×3, first 2 shown]
	s_waitcnt vmcnt(2)
	v_add_f64 v[51:52], v[109:110], -v[51:52]
	s_waitcnt vmcnt(0)
	v_add_f64 v[2:3], v[111:112], -v[2:3]
	buffer_store_dword v52, off, s[0:3], 0 offset:180
	buffer_store_dword v51, off, s[0:3], 0 offset:176
	;; [unrolled: 1-line block ×4, first 2 shown]
	v_cmpx_lt_u32_e32 9, v0
	s_cbranch_execz .LBB86_133
; %bb.132:
	v_mov_b32_e32 v2, s25
	s_clause 0x3
	buffer_load_dword v51, v2, s[0:3], 0 offen
	buffer_load_dword v52, v2, s[0:3], 0 offen offset:4
	buffer_load_dword v53, v2, s[0:3], 0 offen offset:8
	;; [unrolled: 1-line block ×3, first 2 shown]
	v_mov_b32_e32 v2, 0
	buffer_store_dword v2, off, s[0:3], 0 offset:160
	buffer_store_dword v2, off, s[0:3], 0 offset:164
	;; [unrolled: 1-line block ×4, first 2 shown]
	s_waitcnt vmcnt(0)
	ds_write_b128 v1, v[51:54]
.LBB86_133:
	s_or_b32 exec_lo, exec_lo, s4
	s_waitcnt lgkmcnt(0)
	s_waitcnt_vscnt null, 0x0
	s_barrier
	buffer_gl0_inv
	s_clause 0x33
	buffer_load_dword v3, off, s[0:3], 0 offset:184
	buffer_load_dword v4, off, s[0:3], 0 offset:188
	;; [unrolled: 1-line block ×52, first 2 shown]
	v_mov_b32_e32 v2, 0
	ds_read_b128 v[51:54], v2 offset:528
	ds_read_b128 v[55:58], v2 offset:544
	s_clause 0x3
	buffer_load_dword v115, off, s[0:3], 0 offset:160
	buffer_load_dword v116, off, s[0:3], 0 offset:164
	;; [unrolled: 1-line block ×4, first 2 shown]
	ds_read_b128 v[59:62], v2 offset:560
	s_mov_b32 s4, exec_lo
	s_waitcnt vmcnt(54) lgkmcnt(2)
	v_mul_f64 v[113:114], v[53:54], v[3:4]
	v_mul_f64 v[3:4], v[51:52], v[3:4]
	s_waitcnt vmcnt(52) lgkmcnt(1)
	v_mul_f64 v[119:120], v[57:58], v[63:64]
	v_mul_f64 v[63:64], v[55:56], v[63:64]
	s_waitcnt vmcnt(50)
	v_fma_f64 v[113:114], v[51:52], v[65:66], -v[113:114]
	v_fma_f64 v[3:4], v[53:54], v[65:66], v[3:4]
	ds_read_b128 v[51:54], v2 offset:576
	s_waitcnt vmcnt(48) lgkmcnt(1)
	v_mul_f64 v[65:66], v[59:60], v[67:68]
	v_mul_f64 v[67:68], v[61:62], v[67:68]
	s_waitcnt vmcnt(46)
	v_fma_f64 v[119:120], v[55:56], v[69:70], -v[119:120]
	v_fma_f64 v[63:64], v[57:58], v[69:70], v[63:64]
	ds_read_b128 v[55:58], v2 offset:592
	s_waitcnt vmcnt(42) lgkmcnt(1)
	v_mul_f64 v[69:70], v[51:52], v[71:72]
	v_add_f64 v[113:114], v[113:114], 0
	v_add_f64 v[3:4], v[3:4], 0
	v_mul_f64 v[71:72], v[53:54], v[71:72]
	s_waitcnt vmcnt(40)
	v_fma_f64 v[67:68], v[59:60], v[77:78], -v[67:68]
	v_fma_f64 v[65:66], v[61:62], v[77:78], v[65:66]
	ds_read_b128 v[59:62], v2 offset:608
	s_waitcnt vmcnt(37)
	v_fma_f64 v[69:70], v[53:54], v[79:80], v[69:70]
	v_add_f64 v[113:114], v[113:114], v[119:120]
	v_add_f64 v[3:4], v[3:4], v[63:64]
	s_waitcnt lgkmcnt(1)
	v_mul_f64 v[63:64], v[55:56], v[73:74]
	v_mul_f64 v[73:74], v[57:58], v[73:74]
	v_fma_f64 v[71:72], v[51:52], v[79:80], -v[71:72]
	s_waitcnt vmcnt(33) lgkmcnt(0)
	v_mul_f64 v[77:78], v[61:62], v[81:82]
	ds_read_b128 v[51:54], v2 offset:624
	v_add_f64 v[67:68], v[113:114], v[67:68]
	v_add_f64 v[3:4], v[3:4], v[65:66]
	v_mul_f64 v[65:66], v[59:60], v[81:82]
	s_waitcnt vmcnt(32)
	v_fma_f64 v[73:74], v[55:56], v[75:76], -v[73:74]
	v_fma_f64 v[63:64], v[57:58], v[75:76], v[63:64]
	ds_read_b128 v[55:58], v2 offset:640
	s_waitcnt vmcnt(29)
	v_fma_f64 v[75:76], v[59:60], v[87:88], -v[77:78]
	v_add_f64 v[67:68], v[67:68], v[71:72]
	v_add_f64 v[3:4], v[3:4], v[69:70]
	s_waitcnt lgkmcnt(1)
	v_mul_f64 v[71:72], v[53:54], v[83:84]
	v_mul_f64 v[69:70], v[51:52], v[83:84]
	v_fma_f64 v[65:66], v[61:62], v[87:88], v[65:66]
	ds_read_b128 v[59:62], v2 offset:656
	v_add_f64 v[67:68], v[67:68], v[73:74]
	v_add_f64 v[3:4], v[3:4], v[63:64]
	s_waitcnt vmcnt(25) lgkmcnt(1)
	v_mul_f64 v[73:74], v[57:58], v[89:90]
	s_waitcnt vmcnt(24)
	v_fma_f64 v[71:72], v[51:52], v[85:86], -v[71:72]
	v_mul_f64 v[63:64], v[55:56], v[89:90]
	v_fma_f64 v[69:70], v[53:54], v[85:86], v[69:70]
	ds_read_b128 v[51:54], v2 offset:672
	v_add_f64 v[67:68], v[67:68], v[75:76]
	v_add_f64 v[3:4], v[3:4], v[65:66]
	s_waitcnt vmcnt(23) lgkmcnt(1)
	v_mul_f64 v[75:76], v[61:62], v[91:92]
	s_waitcnt vmcnt(21)
	v_fma_f64 v[73:74], v[55:56], v[95:96], -v[73:74]
	;; [unrolled: 9-line block ×5, first 2 shown]
	v_mul_f64 v[65:66], v[59:60], v[105:106]
	v_fma_f64 v[57:58], v[57:58], v[101:102], v[63:64]
	s_waitcnt vmcnt(7) lgkmcnt(0)
	v_mul_f64 v[63:64], v[51:52], v[107:108]
	v_add_f64 v[67:68], v[67:68], v[71:72]
	v_add_f64 v[3:4], v[3:4], v[69:70]
	v_mul_f64 v[69:70], v[53:54], v[107:108]
	s_waitcnt vmcnt(5)
	v_fma_f64 v[59:60], v[59:60], v[111:112], -v[75:76]
	v_fma_f64 v[61:62], v[61:62], v[111:112], v[65:66]
	s_waitcnt vmcnt(4)
	v_fma_f64 v[53:54], v[53:54], v[109:110], v[63:64]
	v_add_f64 v[55:56], v[67:68], v[55:56]
	v_add_f64 v[3:4], v[3:4], v[57:58]
	v_fma_f64 v[51:52], v[51:52], v[109:110], -v[69:70]
	v_add_f64 v[55:56], v[55:56], v[59:60]
	v_add_f64 v[3:4], v[3:4], v[61:62]
	;; [unrolled: 1-line block ×4, first 2 shown]
	s_waitcnt vmcnt(2)
	v_add_f64 v[51:52], v[115:116], -v[51:52]
	s_waitcnt vmcnt(0)
	v_add_f64 v[3:4], v[117:118], -v[3:4]
	buffer_store_dword v52, off, s[0:3], 0 offset:164
	buffer_store_dword v51, off, s[0:3], 0 offset:160
	;; [unrolled: 1-line block ×4, first 2 shown]
	v_cmpx_lt_u32_e32 8, v0
	s_cbranch_execz .LBB86_135
; %bb.134:
	v_mov_b32_e32 v3, s26
	s_clause 0x3
	buffer_load_dword v51, v3, s[0:3], 0 offen
	buffer_load_dword v52, v3, s[0:3], 0 offen offset:4
	buffer_load_dword v53, v3, s[0:3], 0 offen offset:8
	;; [unrolled: 1-line block ×3, first 2 shown]
	buffer_store_dword v2, off, s[0:3], 0 offset:144
	buffer_store_dword v2, off, s[0:3], 0 offset:148
	;; [unrolled: 1-line block ×4, first 2 shown]
	s_waitcnt vmcnt(0)
	ds_write_b128 v1, v[51:54]
.LBB86_135:
	s_or_b32 exec_lo, exec_lo, s4
	s_waitcnt lgkmcnt(0)
	s_waitcnt_vscnt null, 0x0
	s_barrier
	buffer_gl0_inv
	s_clause 0x35
	buffer_load_dword v3, off, s[0:3], 0 offset:168
	buffer_load_dword v4, off, s[0:3], 0 offset:172
	;; [unrolled: 1-line block ×54, first 2 shown]
	ds_read_b128 v[51:54], v2 offset:512
	s_clause 0x1
	buffer_load_dword v116, off, s[0:3], 0 offset:372
	buffer_load_dword v115, off, s[0:3], 0 offset:368
	ds_read_b128 v[55:58], v2 offset:528
	ds_read_b128 v[59:62], v2 offset:544
	s_mov_b32 s4, exec_lo
	s_waitcnt vmcnt(54) lgkmcnt(2)
	v_mul_f64 v[117:118], v[53:54], v[3:4]
	v_mul_f64 v[3:4], v[51:52], v[3:4]
	s_waitcnt vmcnt(52) lgkmcnt(1)
	v_mul_f64 v[119:120], v[57:58], v[63:64]
	v_mul_f64 v[63:64], v[55:56], v[63:64]
	;; [unrolled: 3-line block ×3, first 2 shown]
	v_fma_f64 v[117:118], v[51:52], v[65:66], -v[117:118]
	v_fma_f64 v[3:4], v[53:54], v[65:66], v[3:4]
	s_clause 0x3
	buffer_load_dword v65, off, s[0:3], 0 offset:144
	buffer_load_dword v66, off, s[0:3], 0 offset:148
	;; [unrolled: 1-line block ×4, first 2 shown]
	s_waitcnt vmcnt(50)
	v_fma_f64 v[119:120], v[55:56], v[69:70], -v[119:120]
	ds_read_b128 v[51:54], v2 offset:560
	v_fma_f64 v[63:64], v[57:58], v[69:70], v[63:64]
	ds_read_b128 v[55:58], v2 offset:576
	s_waitcnt vmcnt(44)
	v_fma_f64 v[67:68], v[59:60], v[77:78], -v[67:68]
	v_fma_f64 v[77:78], v[61:62], v[77:78], v[123:124]
	ds_read_b128 v[59:62], v2 offset:592
	v_add_f64 v[117:118], v[117:118], 0
	v_add_f64 v[3:4], v[3:4], 0
	s_waitcnt lgkmcnt(2)
	v_mul_f64 v[69:70], v[51:52], v[71:72]
	v_mul_f64 v[71:72], v[53:54], v[71:72]
	v_add_f64 v[117:118], v[117:118], v[119:120]
	v_add_f64 v[3:4], v[3:4], v[63:64]
	s_waitcnt vmcnt(43) lgkmcnt(1)
	v_mul_f64 v[63:64], v[55:56], v[73:74]
	v_mul_f64 v[73:74], v[57:58], v[73:74]
	s_waitcnt vmcnt(41)
	v_fma_f64 v[71:72], v[51:52], v[79:80], -v[71:72]
	v_fma_f64 v[69:70], v[53:54], v[79:80], v[69:70]
	ds_read_b128 v[51:54], v2 offset:608
	s_waitcnt vmcnt(37) lgkmcnt(1)
	v_mul_f64 v[79:80], v[61:62], v[81:82]
	v_add_f64 v[67:68], v[117:118], v[67:68]
	v_add_f64 v[3:4], v[3:4], v[77:78]
	v_mul_f64 v[77:78], v[59:60], v[81:82]
	s_waitcnt vmcnt(36)
	v_fma_f64 v[73:74], v[55:56], v[75:76], -v[73:74]
	v_fma_f64 v[63:64], v[57:58], v[75:76], v[63:64]
	ds_read_b128 v[55:58], v2 offset:624
	s_waitcnt vmcnt(33)
	v_fma_f64 v[75:76], v[59:60], v[87:88], -v[79:80]
	v_add_f64 v[67:68], v[67:68], v[71:72]
	v_add_f64 v[3:4], v[3:4], v[69:70]
	s_waitcnt lgkmcnt(1)
	v_mul_f64 v[71:72], v[53:54], v[83:84]
	v_mul_f64 v[69:70], v[51:52], v[83:84]
	v_add_f64 v[67:68], v[67:68], v[73:74]
	v_fma_f64 v[73:74], v[61:62], v[87:88], v[77:78]
	v_add_f64 v[3:4], v[3:4], v[63:64]
	ds_read_b128 v[59:62], v2 offset:640
	s_waitcnt vmcnt(29) lgkmcnt(1)
	v_mul_f64 v[77:78], v[57:58], v[89:90]
	s_waitcnt vmcnt(28)
	v_fma_f64 v[71:72], v[51:52], v[85:86], -v[71:72]
	v_mul_f64 v[63:64], v[55:56], v[89:90]
	v_fma_f64 v[69:70], v[53:54], v[85:86], v[69:70]
	ds_read_b128 v[51:54], v2 offset:656
	v_add_f64 v[67:68], v[67:68], v[75:76]
	s_waitcnt vmcnt(27) lgkmcnt(1)
	v_mul_f64 v[75:76], v[61:62], v[91:92]
	v_add_f64 v[3:4], v[3:4], v[73:74]
	v_mul_f64 v[73:74], v[59:60], v[91:92]
	s_waitcnt vmcnt(25)
	v_fma_f64 v[77:78], v[55:56], v[95:96], -v[77:78]
	v_fma_f64 v[63:64], v[57:58], v[95:96], v[63:64]
	ds_read_b128 v[55:58], v2 offset:672
	v_add_f64 v[67:68], v[67:68], v[71:72]
	s_waitcnt vmcnt(21) lgkmcnt(1)
	v_mul_f64 v[71:72], v[53:54], v[97:98]
	v_add_f64 v[3:4], v[3:4], v[69:70]
	s_waitcnt vmcnt(20)
	v_fma_f64 v[75:76], v[59:60], v[93:94], -v[75:76]
	v_mul_f64 v[69:70], v[51:52], v[97:98]
	v_fma_f64 v[73:74], v[61:62], v[93:94], v[73:74]
	ds_read_b128 v[59:62], v2 offset:688
	v_add_f64 v[67:68], v[67:68], v[77:78]
	s_waitcnt vmcnt(19) lgkmcnt(1)
	v_mul_f64 v[77:78], v[57:58], v[99:100]
	v_add_f64 v[3:4], v[3:4], v[63:64]
	s_waitcnt vmcnt(17)
	v_fma_f64 v[71:72], v[51:52], v[103:104], -v[71:72]
	v_mul_f64 v[63:64], v[55:56], v[99:100]
	;; [unrolled: 9-line block ×4, first 2 shown]
	v_fma_f64 v[61:62], v[61:62], v[111:112], v[73:74]
	s_waitcnt vmcnt(7) lgkmcnt(0)
	v_mul_f64 v[73:74], v[57:58], v[113:114]
	v_add_f64 v[67:68], v[67:68], v[77:78]
	s_waitcnt vmcnt(6)
	v_fma_f64 v[51:52], v[51:52], v[109:110], -v[71:72]
	v_add_f64 v[2:3], v[3:4], v[63:64]
	v_mul_f64 v[63:64], v[55:56], v[113:114]
	v_fma_f64 v[53:54], v[53:54], v[109:110], v[69:70]
	s_waitcnt vmcnt(4)
	v_fma_f64 v[55:56], v[55:56], v[115:116], -v[73:74]
	v_add_f64 v[59:60], v[67:68], v[59:60]
	v_add_f64 v[2:3], v[2:3], v[61:62]
	v_fma_f64 v[57:58], v[57:58], v[115:116], v[63:64]
	v_add_f64 v[51:52], v[59:60], v[51:52]
	v_add_f64 v[2:3], v[2:3], v[53:54]
	;; [unrolled: 1-line block ×4, first 2 shown]
	s_waitcnt vmcnt(2)
	v_add_f64 v[51:52], v[65:66], -v[51:52]
	s_waitcnt vmcnt(0)
	v_add_f64 v[2:3], v[121:122], -v[2:3]
	buffer_store_dword v52, off, s[0:3], 0 offset:148
	buffer_store_dword v51, off, s[0:3], 0 offset:144
	;; [unrolled: 1-line block ×4, first 2 shown]
	v_cmpx_lt_u32_e32 7, v0
	s_cbranch_execz .LBB86_137
; %bb.136:
	v_mov_b32_e32 v2, s27
	s_clause 0x3
	buffer_load_dword v51, v2, s[0:3], 0 offen
	buffer_load_dword v52, v2, s[0:3], 0 offen offset:4
	buffer_load_dword v53, v2, s[0:3], 0 offen offset:8
	;; [unrolled: 1-line block ×3, first 2 shown]
	v_mov_b32_e32 v2, 0
	buffer_store_dword v2, off, s[0:3], 0 offset:128
	buffer_store_dword v2, off, s[0:3], 0 offset:132
	;; [unrolled: 1-line block ×4, first 2 shown]
	s_waitcnt vmcnt(0)
	ds_write_b128 v1, v[51:54]
.LBB86_137:
	s_or_b32 exec_lo, exec_lo, s4
	s_waitcnt lgkmcnt(0)
	s_waitcnt_vscnt null, 0x0
	s_barrier
	buffer_gl0_inv
	s_clause 0x37
	buffer_load_dword v3, off, s[0:3], 0 offset:152
	buffer_load_dword v4, off, s[0:3], 0 offset:156
	;; [unrolled: 1-line block ×56, first 2 shown]
	v_mov_b32_e32 v2, 0
	s_mov_b32 s4, exec_lo
	ds_read_b128 v[51:54], v2 offset:496
	s_clause 0x2
	buffer_load_dword v116, off, s[0:3], 0 offset:380
	buffer_load_dword v120, off, s[0:3], 0 offset:356
	;; [unrolled: 1-line block ×3, first 2 shown]
	ds_read_b128 v[55:58], v2 offset:512
	ds_read_b128 v[59:62], v2 offset:528
	buffer_load_dword v118, off, s[0:3], 0 offset:372
	s_waitcnt vmcnt(58) lgkmcnt(2)
	v_mul_f64 v[121:122], v[53:54], v[3:4]
	v_mul_f64 v[3:4], v[51:52], v[3:4]
	s_waitcnt vmcnt(56) lgkmcnt(1)
	v_mul_f64 v[123:124], v[57:58], v[63:64]
	v_mul_f64 v[63:64], v[55:56], v[63:64]
	s_waitcnt vmcnt(54)
	v_fma_f64 v[121:122], v[51:52], v[65:66], -v[121:122]
	v_fma_f64 v[3:4], v[53:54], v[65:66], v[3:4]
	s_waitcnt vmcnt(52) lgkmcnt(0)
	v_mul_f64 v[65:66], v[59:60], v[67:68]
	v_mul_f64 v[67:68], v[61:62], v[67:68]
	s_waitcnt vmcnt(50)
	v_fma_f64 v[123:124], v[55:56], v[69:70], -v[123:124]
	ds_read_b128 v[51:54], v2 offset:544
	v_fma_f64 v[63:64], v[57:58], v[69:70], v[63:64]
	s_clause 0x3
	buffer_load_dword v69, off, s[0:3], 0 offset:128
	buffer_load_dword v70, off, s[0:3], 0 offset:132
	;; [unrolled: 1-line block ×4, first 2 shown]
	ds_read_b128 v[55:58], v2 offset:560
	v_add_f64 v[121:122], v[121:122], 0
	v_add_f64 v[3:4], v[3:4], 0
	s_waitcnt vmcnt(48)
	v_fma_f64 v[65:66], v[61:62], v[77:78], v[65:66]
	s_waitcnt lgkmcnt(1)
	v_mul_f64 v[127:128], v[51:52], v[71:72]
	v_mul_f64 v[71:72], v[53:54], v[71:72]
	v_fma_f64 v[67:68], v[59:60], v[77:78], -v[67:68]
	ds_read_b128 v[59:62], v2 offset:576
	v_add_f64 v[121:122], v[121:122], v[123:124]
	v_add_f64 v[3:4], v[3:4], v[63:64]
	s_waitcnt vmcnt(47) lgkmcnt(1)
	v_mul_f64 v[63:64], v[55:56], v[73:74]
	v_mul_f64 v[73:74], v[57:58], v[73:74]
	s_waitcnt vmcnt(45)
	v_fma_f64 v[71:72], v[51:52], v[79:80], -v[71:72]
	v_fma_f64 v[77:78], v[53:54], v[79:80], v[127:128]
	s_waitcnt vmcnt(41) lgkmcnt(0)
	v_mul_f64 v[79:80], v[61:62], v[81:82]
	ds_read_b128 v[51:54], v2 offset:592
	v_add_f64 v[67:68], v[121:122], v[67:68]
	v_add_f64 v[3:4], v[3:4], v[65:66]
	v_mul_f64 v[65:66], v[59:60], v[81:82]
	s_waitcnt vmcnt(40)
	v_fma_f64 v[73:74], v[55:56], v[75:76], -v[73:74]
	v_fma_f64 v[63:64], v[57:58], v[75:76], v[63:64]
	ds_read_b128 v[55:58], v2 offset:608
	s_waitcnt vmcnt(39) lgkmcnt(1)
	v_mul_f64 v[75:76], v[53:54], v[83:84]
	v_add_f64 v[67:68], v[67:68], v[71:72]
	v_add_f64 v[3:4], v[3:4], v[77:78]
	s_waitcnt vmcnt(37)
	v_fma_f64 v[77:78], v[59:60], v[87:88], -v[79:80]
	v_mul_f64 v[71:72], v[51:52], v[83:84]
	v_fma_f64 v[65:66], v[61:62], v[87:88], v[65:66]
	ds_read_b128 v[59:62], v2 offset:624
	s_waitcnt vmcnt(32)
	v_fma_f64 v[75:76], v[51:52], v[85:86], -v[75:76]
	v_add_f64 v[67:68], v[67:68], v[73:74]
	v_add_f64 v[3:4], v[3:4], v[63:64]
	s_waitcnt lgkmcnt(1)
	v_mul_f64 v[73:74], v[57:58], v[89:90]
	v_mul_f64 v[63:64], v[55:56], v[89:90]
	v_fma_f64 v[71:72], v[53:54], v[85:86], v[71:72]
	ds_read_b128 v[51:54], v2 offset:640
	v_add_f64 v[67:68], v[67:68], v[77:78]
	v_add_f64 v[3:4], v[3:4], v[65:66]
	s_waitcnt vmcnt(31) lgkmcnt(1)
	v_mul_f64 v[77:78], v[61:62], v[91:92]
	s_waitcnt vmcnt(29)
	v_fma_f64 v[73:74], v[55:56], v[95:96], -v[73:74]
	v_mul_f64 v[65:66], v[59:60], v[91:92]
	v_fma_f64 v[63:64], v[57:58], v[95:96], v[63:64]
	ds_read_b128 v[55:58], v2 offset:656
	v_add_f64 v[67:68], v[67:68], v[75:76]
	v_add_f64 v[3:4], v[3:4], v[71:72]
	s_waitcnt vmcnt(25) lgkmcnt(1)
	v_mul_f64 v[75:76], v[53:54], v[97:98]
	s_waitcnt vmcnt(24)
	v_fma_f64 v[77:78], v[59:60], v[93:94], -v[77:78]
	;; [unrolled: 9-line block ×6, first 2 shown]
	v_mul_f64 v[63:64], v[55:56], v[113:114]
	v_fma_f64 v[53:54], v[53:54], v[109:110], v[71:72]
	s_waitcnt vmcnt(7) lgkmcnt(0)
	v_mul_f64 v[71:72], v[61:62], v[115:116]
	v_add_f64 v[67:68], v[67:68], v[77:78]
	v_add_f64 v[3:4], v[3:4], v[65:66]
	s_waitcnt vmcnt(5)
	v_fma_f64 v[55:56], v[55:56], v[119:120], -v[73:74]
	v_mul_f64 v[65:66], v[59:60], v[115:116]
	v_fma_f64 v[57:58], v[57:58], v[119:120], v[63:64]
	v_add_f64 v[51:52], v[67:68], v[51:52]
	v_add_f64 v[3:4], v[3:4], v[53:54]
	s_waitcnt vmcnt(4)
	v_fma_f64 v[53:54], v[59:60], v[117:118], -v[71:72]
	v_add_f64 v[51:52], v[51:52], v[55:56]
	v_fma_f64 v[55:56], v[61:62], v[117:118], v[65:66]
	v_add_f64 v[3:4], v[3:4], v[57:58]
	v_add_f64 v[51:52], v[51:52], v[53:54]
	v_add_f64 v[3:4], v[3:4], v[55:56]
	s_waitcnt vmcnt(2)
	v_add_f64 v[51:52], v[69:70], -v[51:52]
	s_waitcnt vmcnt(0)
	v_add_f64 v[3:4], v[125:126], -v[3:4]
	buffer_store_dword v52, off, s[0:3], 0 offset:132
	buffer_store_dword v51, off, s[0:3], 0 offset:128
	;; [unrolled: 1-line block ×4, first 2 shown]
	v_cmpx_lt_u32_e32 6, v0
	s_cbranch_execz .LBB86_139
; %bb.138:
	v_mov_b32_e32 v3, s28
	s_clause 0x3
	buffer_load_dword v51, v3, s[0:3], 0 offen
	buffer_load_dword v52, v3, s[0:3], 0 offen offset:4
	buffer_load_dword v53, v3, s[0:3], 0 offen offset:8
	;; [unrolled: 1-line block ×3, first 2 shown]
	buffer_store_dword v2, off, s[0:3], 0 offset:112
	buffer_store_dword v2, off, s[0:3], 0 offset:116
	;; [unrolled: 1-line block ×4, first 2 shown]
	s_waitcnt vmcnt(0)
	ds_write_b128 v1, v[51:54]
.LBB86_139:
	s_or_b32 exec_lo, exec_lo, s4
	s_waitcnt lgkmcnt(0)
	s_waitcnt_vscnt null, 0x0
	s_barrier
	buffer_gl0_inv
	s_clause 0x37
	buffer_load_dword v3, off, s[0:3], 0 offset:136
	buffer_load_dword v4, off, s[0:3], 0 offset:140
	;; [unrolled: 1-line block ×56, first 2 shown]
	ds_read_b128 v[51:54], v2 offset:480
	s_clause 0x2
	buffer_load_dword v116, off, s[0:3], 0 offset:364
	buffer_load_dword v120, off, s[0:3], 0 offset:340
	;; [unrolled: 1-line block ×3, first 2 shown]
	ds_read_b128 v[55:58], v2 offset:496
	s_clause 0x2
	buffer_load_dword v124, off, s[0:3], 0 offset:380
	buffer_load_dword v123, off, s[0:3], 0 offset:376
	;; [unrolled: 1-line block ×3, first 2 shown]
	ds_read_b128 v[59:62], v2 offset:512
	s_mov_b32 s4, exec_lo
	s_waitcnt vmcnt(60) lgkmcnt(2)
	v_mul_f64 v[121:122], v[53:54], v[3:4]
	v_mul_f64 v[3:4], v[51:52], v[3:4]
	s_waitcnt vmcnt(58) lgkmcnt(1)
	v_mul_f64 v[125:126], v[57:58], v[63:64]
	v_mul_f64 v[63:64], v[55:56], v[63:64]
	;; [unrolled: 3-line block ×3, first 2 shown]
	v_fma_f64 v[121:122], v[51:52], v[65:66], -v[121:122]
	v_fma_f64 v[3:4], v[53:54], v[65:66], v[3:4]
	s_clause 0x1
	buffer_load_dword v66, off, s[0:3], 0 offset:372
	buffer_load_dword v65, off, s[0:3], 0 offset:368
	s_waitcnt vmcnt(54)
	v_fma_f64 v[125:126], v[55:56], v[69:70], -v[125:126]
	ds_read_b128 v[51:54], v2 offset:528
	v_fma_f64 v[63:64], v[57:58], v[69:70], v[63:64]
	ds_read_b128 v[55:58], v2 offset:544
	s_waitcnt vmcnt(48)
	v_fma_f64 v[67:68], v[59:60], v[77:78], -v[67:68]
	v_fma_f64 v[77:78], v[61:62], v[77:78], v[127:128]
	v_add_f64 v[121:122], v[121:122], 0
	v_add_f64 v[3:4], v[3:4], 0
	s_waitcnt lgkmcnt(1)
	v_mul_f64 v[69:70], v[51:52], v[71:72]
	v_mul_f64 v[71:72], v[53:54], v[71:72]
	s_waitcnt vmcnt(47) lgkmcnt(0)
	v_mul_f64 v[127:128], v[55:56], v[73:74]
	v_mul_f64 v[73:74], v[57:58], v[73:74]
	v_add_f64 v[121:122], v[121:122], v[125:126]
	v_add_f64 v[3:4], v[3:4], v[63:64]
	s_clause 0x3
	buffer_load_dword v63, off, s[0:3], 0 offset:112
	buffer_load_dword v64, off, s[0:3], 0 offset:116
	;; [unrolled: 1-line block ×4, first 2 shown]
	s_waitcnt vmcnt(49)
	v_fma_f64 v[71:72], v[51:52], v[79:80], -v[71:72]
	ds_read_b128 v[59:62], v2 offset:560
	v_fma_f64 v[69:70], v[53:54], v[79:80], v[69:70]
	ds_read_b128 v[51:54], v2 offset:576
	s_waitcnt vmcnt(44)
	v_fma_f64 v[73:74], v[55:56], v[75:76], -v[73:74]
	v_add_f64 v[67:68], v[121:122], v[67:68]
	v_add_f64 v[3:4], v[3:4], v[77:78]
	s_waitcnt lgkmcnt(1)
	v_mul_f64 v[79:80], v[61:62], v[81:82]
	v_mul_f64 v[77:78], v[59:60], v[81:82]
	v_add_f64 v[67:68], v[67:68], v[71:72]
	v_fma_f64 v[71:72], v[57:58], v[75:76], v[127:128]
	v_add_f64 v[3:4], v[3:4], v[69:70]
	s_waitcnt vmcnt(43) lgkmcnt(0)
	v_mul_f64 v[75:76], v[53:54], v[83:84]
	s_waitcnt vmcnt(41)
	v_fma_f64 v[79:80], v[59:60], v[87:88], -v[79:80]
	ds_read_b128 v[55:58], v2 offset:592
	v_mul_f64 v[69:70], v[51:52], v[83:84]
	v_add_f64 v[67:68], v[67:68], v[73:74]
	v_fma_f64 v[73:74], v[61:62], v[87:88], v[77:78]
	v_add_f64 v[3:4], v[3:4], v[71:72]
	ds_read_b128 v[59:62], v2 offset:608
	s_waitcnt vmcnt(37) lgkmcnt(1)
	v_mul_f64 v[77:78], v[57:58], v[89:90]
	s_waitcnt vmcnt(36)
	v_fma_f64 v[75:76], v[51:52], v[85:86], -v[75:76]
	v_mul_f64 v[71:72], v[55:56], v[89:90]
	v_fma_f64 v[69:70], v[53:54], v[85:86], v[69:70]
	ds_read_b128 v[51:54], v2 offset:624
	v_add_f64 v[67:68], v[67:68], v[79:80]
	s_waitcnt vmcnt(35) lgkmcnt(1)
	v_mul_f64 v[79:80], v[61:62], v[91:92]
	v_add_f64 v[3:4], v[3:4], v[73:74]
	v_mul_f64 v[73:74], v[59:60], v[91:92]
	s_waitcnt vmcnt(33)
	v_fma_f64 v[77:78], v[55:56], v[95:96], -v[77:78]
	v_fma_f64 v[71:72], v[57:58], v[95:96], v[71:72]
	ds_read_b128 v[55:58], v2 offset:640
	v_add_f64 v[67:68], v[67:68], v[75:76]
	s_waitcnt vmcnt(29) lgkmcnt(1)
	v_mul_f64 v[75:76], v[53:54], v[97:98]
	v_add_f64 v[3:4], v[3:4], v[69:70]
	s_waitcnt vmcnt(28)
	v_fma_f64 v[79:80], v[59:60], v[93:94], -v[79:80]
	v_mul_f64 v[69:70], v[51:52], v[97:98]
	v_fma_f64 v[73:74], v[61:62], v[93:94], v[73:74]
	ds_read_b128 v[59:62], v2 offset:656
	v_add_f64 v[67:68], v[67:68], v[77:78]
	s_waitcnt vmcnt(27) lgkmcnt(1)
	v_mul_f64 v[77:78], v[57:58], v[99:100]
	v_add_f64 v[3:4], v[3:4], v[71:72]
	s_waitcnt vmcnt(25)
	v_fma_f64 v[75:76], v[51:52], v[103:104], -v[75:76]
	v_mul_f64 v[71:72], v[55:56], v[99:100]
	;; [unrolled: 9-line block ×6, first 2 shown]
	v_fma_f64 v[57:58], v[57:58], v[119:120], v[71:72]
	s_waitcnt vmcnt(7) lgkmcnt(0)
	v_mul_f64 v[71:72], v[53:54], v[123:124]
	v_add_f64 v[67:68], v[67:68], v[75:76]
	s_waitcnt vmcnt(6)
	v_fma_f64 v[59:60], v[59:60], v[117:118], -v[79:80]
	v_add_f64 v[2:3], v[3:4], v[69:70]
	v_mul_f64 v[69:70], v[51:52], v[123:124]
	v_fma_f64 v[61:62], v[61:62], v[117:118], v[73:74]
	v_add_f64 v[55:56], v[67:68], v[55:56]
	v_add_f64 v[2:3], v[2:3], v[57:58]
	s_waitcnt vmcnt(4)
	v_fma_f64 v[51:52], v[51:52], v[65:66], -v[71:72]
	v_fma_f64 v[53:54], v[53:54], v[65:66], v[69:70]
	v_add_f64 v[55:56], v[55:56], v[59:60]
	v_add_f64 v[2:3], v[2:3], v[61:62]
	v_add_f64 v[51:52], v[55:56], v[51:52]
	v_add_f64 v[2:3], v[2:3], v[53:54]
	s_waitcnt vmcnt(2)
	v_add_f64 v[51:52], v[63:64], -v[51:52]
	s_waitcnt vmcnt(0)
	v_add_f64 v[2:3], v[125:126], -v[2:3]
	buffer_store_dword v52, off, s[0:3], 0 offset:116
	buffer_store_dword v51, off, s[0:3], 0 offset:112
	;; [unrolled: 1-line block ×4, first 2 shown]
	v_cmpx_lt_u32_e32 5, v0
	s_cbranch_execz .LBB86_141
; %bb.140:
	v_mov_b32_e32 v2, s29
	s_clause 0x3
	buffer_load_dword v51, v2, s[0:3], 0 offen
	buffer_load_dword v52, v2, s[0:3], 0 offen offset:4
	buffer_load_dword v53, v2, s[0:3], 0 offen offset:8
	;; [unrolled: 1-line block ×3, first 2 shown]
	v_mov_b32_e32 v2, 0
	buffer_store_dword v2, off, s[0:3], 0 offset:96
	buffer_store_dword v2, off, s[0:3], 0 offset:100
	;; [unrolled: 1-line block ×4, first 2 shown]
	s_waitcnt vmcnt(0)
	ds_write_b128 v1, v[51:54]
.LBB86_141:
	s_or_b32 exec_lo, exec_lo, s4
	s_waitcnt lgkmcnt(0)
	s_waitcnt_vscnt null, 0x0
	s_barrier
	buffer_gl0_inv
	s_clause 0x37
	buffer_load_dword v3, off, s[0:3], 0 offset:120
	buffer_load_dword v4, off, s[0:3], 0 offset:124
	;; [unrolled: 1-line block ×56, first 2 shown]
	v_mov_b32_e32 v2, 0
	s_mov_b32 s4, exec_lo
	ds_read_b128 v[51:54], v2 offset:464
	s_clause 0x2
	buffer_load_dword v116, off, s[0:3], 0 offset:348
	buffer_load_dword v120, off, s[0:3], 0 offset:324
	;; [unrolled: 1-line block ×3, first 2 shown]
	ds_read_b128 v[55:58], v2 offset:480
	s_clause 0x4
	buffer_load_dword v124, off, s[0:3], 0 offset:364
	buffer_load_dword v125, off, s[0:3], 0 offset:376
	;; [unrolled: 1-line block ×5, first 2 shown]
	ds_read_b128 v[59:62], v2 offset:496
	s_waitcnt vmcnt(62) lgkmcnt(2)
	v_mul_f64 v[121:122], v[53:54], v[3:4]
	v_mul_f64 v[3:4], v[51:52], v[3:4]
	s_waitcnt vmcnt(60) lgkmcnt(1)
	v_mul_f64 v[128:129], v[57:58], v[63:64]
	v_mul_f64 v[63:64], v[55:56], v[63:64]
	;; [unrolled: 3-line block ×3, first 2 shown]
	v_fma_f64 v[121:122], v[51:52], v[65:66], -v[121:122]
	v_fma_f64 v[3:4], v[53:54], v[65:66], v[3:4]
	s_clause 0x2
	buffer_load_dword v126, off, s[0:3], 0 offset:380
	buffer_load_dword v66, off, s[0:3], 0 offset:356
	;; [unrolled: 1-line block ×3, first 2 shown]
	s_waitcnt vmcnt(57)
	v_fma_f64 v[132:133], v[55:56], v[69:70], -v[128:129]
	ds_read_b128 v[51:54], v2 offset:512
	v_fma_f64 v[63:64], v[57:58], v[69:70], v[63:64]
	buffer_load_dword v128, off, s[0:3], 0 offset:372
	ds_read_b128 v[55:58], v2 offset:528
	s_waitcnt vmcnt(52)
	v_fma_f64 v[67:68], v[59:60], v[77:78], -v[67:68]
	v_fma_f64 v[77:78], v[61:62], v[77:78], v[130:131]
	ds_read_b128 v[59:62], v2 offset:544
	v_add_f64 v[121:122], v[121:122], 0
	v_add_f64 v[3:4], v[3:4], 0
	s_waitcnt lgkmcnt(2)
	v_mul_f64 v[69:70], v[51:52], v[71:72]
	v_mul_f64 v[71:72], v[53:54], v[71:72]
	v_add_f64 v[121:122], v[121:122], v[132:133]
	v_add_f64 v[3:4], v[3:4], v[63:64]
	s_waitcnt vmcnt(51) lgkmcnt(1)
	v_mul_f64 v[63:64], v[55:56], v[73:74]
	v_mul_f64 v[73:74], v[57:58], v[73:74]
	s_waitcnt vmcnt(49)
	v_fma_f64 v[71:72], v[51:52], v[79:80], -v[71:72]
	v_fma_f64 v[69:70], v[53:54], v[79:80], v[69:70]
	v_add_f64 v[67:68], v[121:122], v[67:68]
	v_add_f64 v[3:4], v[3:4], v[77:78]
	s_clause 0x3
	buffer_load_dword v77, off, s[0:3], 0 offset:96
	buffer_load_dword v78, off, s[0:3], 0 offset:100
	;; [unrolled: 1-line block ×4, first 2 shown]
	s_waitcnt vmcnt(49) lgkmcnt(0)
	v_mul_f64 v[121:122], v[59:60], v[81:82]
	v_mul_f64 v[81:82], v[61:62], v[81:82]
	s_waitcnt vmcnt(48)
	v_fma_f64 v[73:74], v[55:56], v[75:76], -v[73:74]
	ds_read_b128 v[51:54], v2 offset:560
	v_fma_f64 v[63:64], v[57:58], v[75:76], v[63:64]
	ds_read_b128 v[55:58], v2 offset:576
	v_add_f64 v[67:68], v[67:68], v[71:72]
	v_add_f64 v[3:4], v[3:4], v[69:70]
	s_waitcnt vmcnt(47) lgkmcnt(1)
	v_mul_f64 v[71:72], v[53:54], v[83:84]
	s_waitcnt vmcnt(45)
	v_fma_f64 v[75:76], v[59:60], v[87:88], -v[81:82]
	v_mul_f64 v[69:70], v[51:52], v[83:84]
	s_waitcnt vmcnt(41) lgkmcnt(0)
	v_mul_f64 v[81:82], v[57:58], v[89:90]
	v_add_f64 v[67:68], v[67:68], v[73:74]
	v_fma_f64 v[73:74], v[61:62], v[87:88], v[121:122]
	v_add_f64 v[3:4], v[3:4], v[63:64]
	ds_read_b128 v[59:62], v2 offset:592
	s_waitcnt vmcnt(40)
	v_fma_f64 v[71:72], v[51:52], v[85:86], -v[71:72]
	v_mul_f64 v[63:64], v[55:56], v[89:90]
	v_fma_f64 v[69:70], v[53:54], v[85:86], v[69:70]
	ds_read_b128 v[51:54], v2 offset:608
	s_waitcnt vmcnt(37)
	v_fma_f64 v[81:82], v[55:56], v[95:96], -v[81:82]
	v_add_f64 v[67:68], v[67:68], v[75:76]
	s_waitcnt lgkmcnt(1)
	v_mul_f64 v[75:76], v[61:62], v[91:92]
	v_add_f64 v[3:4], v[3:4], v[73:74]
	v_mul_f64 v[73:74], v[59:60], v[91:92]
	v_fma_f64 v[63:64], v[57:58], v[95:96], v[63:64]
	ds_read_b128 v[55:58], v2 offset:624
	v_add_f64 v[67:68], v[67:68], v[71:72]
	s_waitcnt vmcnt(33) lgkmcnt(1)
	v_mul_f64 v[71:72], v[53:54], v[97:98]
	v_add_f64 v[3:4], v[3:4], v[69:70]
	s_waitcnt vmcnt(32)
	v_fma_f64 v[75:76], v[59:60], v[93:94], -v[75:76]
	v_mul_f64 v[69:70], v[51:52], v[97:98]
	v_fma_f64 v[73:74], v[61:62], v[93:94], v[73:74]
	ds_read_b128 v[59:62], v2 offset:640
	v_add_f64 v[67:68], v[67:68], v[81:82]
	s_waitcnt vmcnt(31) lgkmcnt(1)
	v_mul_f64 v[81:82], v[57:58], v[99:100]
	v_add_f64 v[3:4], v[3:4], v[63:64]
	s_waitcnt vmcnt(29)
	v_fma_f64 v[71:72], v[51:52], v[103:104], -v[71:72]
	;; [unrolled: 9-line block ×7, first 2 shown]
	v_mul_f64 v[69:70], v[51:52], v[123:124]
	v_fma_f64 v[61:62], v[61:62], v[117:118], v[73:74]
	v_add_f64 v[67:68], v[67:68], v[81:82]
	v_add_f64 v[3:4], v[3:4], v[63:64]
	s_waitcnt vmcnt(7) lgkmcnt(0)
	v_mul_f64 v[73:74], v[57:58], v[125:126]
	v_mul_f64 v[63:64], v[55:56], v[125:126]
	s_waitcnt vmcnt(5)
	v_fma_f64 v[51:52], v[51:52], v[65:66], -v[71:72]
	v_fma_f64 v[53:54], v[53:54], v[65:66], v[69:70]
	v_add_f64 v[59:60], v[67:68], v[59:60]
	v_add_f64 v[3:4], v[3:4], v[61:62]
	s_waitcnt vmcnt(4)
	v_fma_f64 v[55:56], v[55:56], v[127:128], -v[73:74]
	v_fma_f64 v[57:58], v[57:58], v[127:128], v[63:64]
	v_add_f64 v[51:52], v[59:60], v[51:52]
	v_add_f64 v[3:4], v[3:4], v[53:54]
	;; [unrolled: 1-line block ×4, first 2 shown]
	s_waitcnt vmcnt(2)
	v_add_f64 v[51:52], v[77:78], -v[51:52]
	s_waitcnt vmcnt(0)
	v_add_f64 v[3:4], v[79:80], -v[3:4]
	buffer_store_dword v52, off, s[0:3], 0 offset:100
	buffer_store_dword v51, off, s[0:3], 0 offset:96
	;; [unrolled: 1-line block ×4, first 2 shown]
	v_cmpx_lt_u32_e32 4, v0
	s_cbranch_execz .LBB86_143
; %bb.142:
	v_mov_b32_e32 v3, s30
	s_clause 0x3
	buffer_load_dword v51, v3, s[0:3], 0 offen
	buffer_load_dword v52, v3, s[0:3], 0 offen offset:4
	buffer_load_dword v53, v3, s[0:3], 0 offen offset:8
	;; [unrolled: 1-line block ×3, first 2 shown]
	buffer_store_dword v2, off, s[0:3], 0 offset:80
	buffer_store_dword v2, off, s[0:3], 0 offset:84
	;; [unrolled: 1-line block ×4, first 2 shown]
	s_waitcnt vmcnt(0)
	ds_write_b128 v1, v[51:54]
.LBB86_143:
	s_or_b32 exec_lo, exec_lo, s4
	s_waitcnt lgkmcnt(0)
	s_waitcnt_vscnt null, 0x0
	s_barrier
	buffer_gl0_inv
	s_clause 0x37
	buffer_load_dword v3, off, s[0:3], 0 offset:104
	buffer_load_dword v4, off, s[0:3], 0 offset:108
	;; [unrolled: 1-line block ×56, first 2 shown]
	ds_read_b128 v[51:54], v2 offset:448
	s_clause 0x2
	buffer_load_dword v116, off, s[0:3], 0 offset:332
	buffer_load_dword v120, off, s[0:3], 0 offset:308
	buffer_load_dword v119, off, s[0:3], 0 offset:304
	ds_read_b128 v[55:58], v2 offset:464
	s_clause 0x4
	buffer_load_dword v124, off, s[0:3], 0 offset:348
	buffer_load_dword v125, off, s[0:3], 0 offset:360
	;; [unrolled: 1-line block ×5, first 2 shown]
	ds_read_b128 v[59:62], v2 offset:480
	s_mov_b32 s4, exec_lo
	s_waitcnt vmcnt(62) lgkmcnt(2)
	v_mul_f64 v[121:122], v[53:54], v[3:4]
	v_mul_f64 v[3:4], v[51:52], v[3:4]
	s_waitcnt vmcnt(60) lgkmcnt(1)
	v_mul_f64 v[128:129], v[57:58], v[63:64]
	v_mul_f64 v[63:64], v[55:56], v[63:64]
	;; [unrolled: 3-line block ×3, first 2 shown]
	v_fma_f64 v[121:122], v[51:52], v[65:66], -v[121:122]
	v_fma_f64 v[3:4], v[53:54], v[65:66], v[3:4]
	s_clause 0x2
	buffer_load_dword v126, off, s[0:3], 0 offset:364
	buffer_load_dword v66, off, s[0:3], 0 offset:340
	buffer_load_dword v65, off, s[0:3], 0 offset:336
	s_waitcnt vmcnt(57)
	v_fma_f64 v[132:133], v[55:56], v[69:70], -v[128:129]
	ds_read_b128 v[51:54], v2 offset:496
	v_fma_f64 v[63:64], v[57:58], v[69:70], v[63:64]
	s_clause 0x2
	buffer_load_dword v70, off, s[0:3], 0 offset:380
	buffer_load_dword v69, off, s[0:3], 0 offset:376
	;; [unrolled: 1-line block ×3, first 2 shown]
	s_waitcnt vmcnt(54)
	v_fma_f64 v[67:68], v[59:60], v[77:78], -v[67:68]
	ds_read_b128 v[55:58], v2 offset:512
	v_fma_f64 v[77:78], v[61:62], v[77:78], v[130:131]
	v_add_f64 v[121:122], v[121:122], 0
	v_add_f64 v[3:4], v[3:4], 0
	s_waitcnt lgkmcnt(1)
	v_mul_f64 v[134:135], v[51:52], v[71:72]
	v_mul_f64 v[71:72], v[53:54], v[71:72]
	s_waitcnt vmcnt(53) lgkmcnt(0)
	v_mul_f64 v[129:130], v[55:56], v[73:74]
	v_mul_f64 v[73:74], v[57:58], v[73:74]
	v_add_f64 v[121:122], v[121:122], v[132:133]
	v_add_f64 v[3:4], v[3:4], v[63:64]
	s_clause 0x1
	buffer_load_dword v64, off, s[0:3], 0 offset:372
	buffer_load_dword v63, off, s[0:3], 0 offset:368
	s_waitcnt vmcnt(53)
	v_fma_f64 v[71:72], v[51:52], v[79:80], -v[71:72]
	ds_read_b128 v[59:62], v2 offset:528
	v_fma_f64 v[79:80], v[53:54], v[79:80], v[134:135]
	ds_read_b128 v[51:54], v2 offset:544
	s_waitcnt vmcnt(48)
	v_fma_f64 v[73:74], v[55:56], v[75:76], -v[73:74]
	v_add_f64 v[67:68], v[121:122], v[67:68]
	v_add_f64 v[3:4], v[3:4], v[77:78]
	s_waitcnt lgkmcnt(1)
	v_mul_f64 v[77:78], v[59:60], v[81:82]
	v_mul_f64 v[81:82], v[61:62], v[81:82]
	s_waitcnt vmcnt(47) lgkmcnt(0)
	v_mul_f64 v[121:122], v[51:52], v[83:84]
	v_mul_f64 v[83:84], v[53:54], v[83:84]
	v_add_f64 v[67:68], v[67:68], v[71:72]
	v_fma_f64 v[71:72], v[57:58], v[75:76], v[129:130]
	v_add_f64 v[3:4], v[3:4], v[79:80]
	s_clause 0x3
	buffer_load_dword v75, off, s[0:3], 0 offset:80
	buffer_load_dword v76, off, s[0:3], 0 offset:84
	;; [unrolled: 1-line block ×4, first 2 shown]
	s_waitcnt vmcnt(49)
	v_fma_f64 v[81:82], v[59:60], v[87:88], -v[81:82]
	ds_read_b128 v[55:58], v2 offset:560
	s_waitcnt vmcnt(44)
	v_fma_f64 v[83:84], v[51:52], v[85:86], -v[83:84]
	v_add_f64 v[67:68], v[67:68], v[73:74]
	v_fma_f64 v[73:74], v[61:62], v[87:88], v[77:78]
	v_add_f64 v[3:4], v[3:4], v[71:72]
	ds_read_b128 v[59:62], v2 offset:576
	s_waitcnt lgkmcnt(1)
	v_mul_f64 v[77:78], v[57:58], v[89:90]
	v_mul_f64 v[71:72], v[55:56], v[89:90]
	v_add_f64 v[67:68], v[67:68], v[81:82]
	v_fma_f64 v[81:82], v[53:54], v[85:86], v[121:122]
	v_add_f64 v[3:4], v[3:4], v[73:74]
	s_waitcnt vmcnt(43) lgkmcnt(0)
	v_mul_f64 v[85:86], v[61:62], v[91:92]
	s_waitcnt vmcnt(41)
	v_fma_f64 v[77:78], v[55:56], v[95:96], -v[77:78]
	ds_read_b128 v[51:54], v2 offset:592
	v_mul_f64 v[73:74], v[59:60], v[91:92]
	v_fma_f64 v[71:72], v[57:58], v[95:96], v[71:72]
	ds_read_b128 v[55:58], v2 offset:608
	v_add_f64 v[67:68], v[67:68], v[83:84]
	v_add_f64 v[3:4], v[3:4], v[81:82]
	s_waitcnt vmcnt(37) lgkmcnt(1)
	v_mul_f64 v[83:84], v[53:54], v[97:98]
	s_waitcnt vmcnt(36)
	v_fma_f64 v[85:86], v[59:60], v[93:94], -v[85:86]
	v_mul_f64 v[81:82], v[51:52], v[97:98]
	v_fma_f64 v[73:74], v[61:62], v[93:94], v[73:74]
	ds_read_b128 v[59:62], v2 offset:624
	v_add_f64 v[67:68], v[67:68], v[77:78]
	s_waitcnt vmcnt(35) lgkmcnt(1)
	v_mul_f64 v[77:78], v[57:58], v[99:100]
	v_add_f64 v[3:4], v[3:4], v[71:72]
	s_waitcnt vmcnt(33)
	v_fma_f64 v[83:84], v[51:52], v[103:104], -v[83:84]
	v_mul_f64 v[71:72], v[55:56], v[99:100]
	v_fma_f64 v[81:82], v[53:54], v[103:104], v[81:82]
	ds_read_b128 v[51:54], v2 offset:640
	v_add_f64 v[67:68], v[67:68], v[85:86]
	s_waitcnt vmcnt(29) lgkmcnt(1)
	v_mul_f64 v[85:86], v[61:62], v[105:106]
	v_add_f64 v[3:4], v[3:4], v[73:74]
	s_waitcnt vmcnt(28)
	v_fma_f64 v[77:78], v[55:56], v[101:102], -v[77:78]
	v_mul_f64 v[73:74], v[59:60], v[105:106]
	v_fma_f64 v[71:72], v[57:58], v[101:102], v[71:72]
	ds_read_b128 v[55:58], v2 offset:656
	v_add_f64 v[67:68], v[67:68], v[83:84]
	s_waitcnt vmcnt(27) lgkmcnt(1)
	v_mul_f64 v[83:84], v[53:54], v[107:108]
	v_add_f64 v[3:4], v[3:4], v[81:82]
	s_waitcnt vmcnt(25)
	v_fma_f64 v[85:86], v[59:60], v[111:112], -v[85:86]
	v_mul_f64 v[81:82], v[51:52], v[107:108]
	v_fma_f64 v[73:74], v[61:62], v[111:112], v[73:74]
	ds_read_b128 v[59:62], v2 offset:672
	v_add_f64 v[67:68], v[67:68], v[77:78]
	s_waitcnt vmcnt(21) lgkmcnt(1)
	v_mul_f64 v[77:78], v[57:58], v[113:114]
	v_add_f64 v[3:4], v[3:4], v[71:72]
	s_waitcnt vmcnt(20)
	v_fma_f64 v[83:84], v[51:52], v[109:110], -v[83:84]
	v_mul_f64 v[71:72], v[55:56], v[113:114]
	v_fma_f64 v[81:82], v[53:54], v[109:110], v[81:82]
	ds_read_b128 v[51:54], v2 offset:688
	v_add_f64 v[67:68], v[67:68], v[85:86]
	s_waitcnt vmcnt(19) lgkmcnt(1)
	v_mul_f64 v[85:86], v[61:62], v[115:116]
	v_add_f64 v[3:4], v[3:4], v[73:74]
	s_waitcnt vmcnt(17)
	v_fma_f64 v[77:78], v[55:56], v[119:120], -v[77:78]
	v_mul_f64 v[73:74], v[59:60], v[115:116]
	v_fma_f64 v[71:72], v[57:58], v[119:120], v[71:72]
	ds_read_b128 v[55:58], v2 offset:704
	v_add_f64 v[67:68], v[67:68], v[83:84]
	s_waitcnt vmcnt(13) lgkmcnt(1)
	v_mul_f64 v[83:84], v[53:54], v[123:124]
	v_add_f64 v[3:4], v[3:4], v[81:82]
	s_waitcnt vmcnt(12)
	v_fma_f64 v[85:86], v[59:60], v[117:118], -v[85:86]
	v_mul_f64 v[81:82], v[51:52], v[123:124]
	v_fma_f64 v[73:74], v[61:62], v[117:118], v[73:74]
	ds_read_b128 v[59:62], v2 offset:720
	v_add_f64 v[67:68], v[67:68], v[77:78]
	v_add_f64 v[3:4], v[3:4], v[71:72]
	s_waitcnt vmcnt(11) lgkmcnt(1)
	v_mul_f64 v[77:78], v[57:58], v[125:126]
	v_mul_f64 v[71:72], v[55:56], v[125:126]
	s_waitcnt vmcnt(9)
	v_fma_f64 v[51:52], v[51:52], v[65:66], -v[83:84]
	v_fma_f64 v[53:54], v[53:54], v[65:66], v[81:82]
	s_waitcnt vmcnt(7) lgkmcnt(0)
	v_mul_f64 v[65:66], v[59:60], v[69:70]
	v_mul_f64 v[69:70], v[61:62], v[69:70]
	v_add_f64 v[67:68], v[67:68], v[85:86]
	v_add_f64 v[2:3], v[3:4], v[73:74]
	s_waitcnt vmcnt(6)
	v_fma_f64 v[55:56], v[55:56], v[127:128], -v[77:78]
	v_fma_f64 v[57:58], v[57:58], v[127:128], v[71:72]
	v_add_f64 v[51:52], v[67:68], v[51:52]
	v_add_f64 v[2:3], v[2:3], v[53:54]
	s_waitcnt vmcnt(4)
	v_fma_f64 v[53:54], v[59:60], v[63:64], -v[69:70]
	v_add_f64 v[51:52], v[51:52], v[55:56]
	v_fma_f64 v[55:56], v[61:62], v[63:64], v[65:66]
	v_add_f64 v[2:3], v[2:3], v[57:58]
	v_add_f64 v[51:52], v[51:52], v[53:54]
	;; [unrolled: 1-line block ×3, first 2 shown]
	s_waitcnt vmcnt(2)
	v_add_f64 v[51:52], v[75:76], -v[51:52]
	s_waitcnt vmcnt(0)
	v_add_f64 v[2:3], v[79:80], -v[2:3]
	buffer_store_dword v52, off, s[0:3], 0 offset:84
	buffer_store_dword v51, off, s[0:3], 0 offset:80
	;; [unrolled: 1-line block ×4, first 2 shown]
	v_cmpx_lt_u32_e32 3, v0
	s_cbranch_execz .LBB86_145
; %bb.144:
	v_mov_b32_e32 v2, s31
	s_clause 0x3
	buffer_load_dword v51, v2, s[0:3], 0 offen
	buffer_load_dword v52, v2, s[0:3], 0 offen offset:4
	buffer_load_dword v53, v2, s[0:3], 0 offen offset:8
	;; [unrolled: 1-line block ×3, first 2 shown]
	v_mov_b32_e32 v2, 0
	buffer_store_dword v2, off, s[0:3], 0 offset:64
	buffer_store_dword v2, off, s[0:3], 0 offset:68
	buffer_store_dword v2, off, s[0:3], 0 offset:72
	buffer_store_dword v2, off, s[0:3], 0 offset:76
	s_waitcnt vmcnt(0)
	ds_write_b128 v1, v[51:54]
.LBB86_145:
	s_or_b32 exec_lo, exec_lo, s4
	s_waitcnt lgkmcnt(0)
	s_waitcnt_vscnt null, 0x0
	s_barrier
	buffer_gl0_inv
	s_clause 0x37
	buffer_load_dword v3, off, s[0:3], 0 offset:88
	buffer_load_dword v4, off, s[0:3], 0 offset:92
	;; [unrolled: 1-line block ×56, first 2 shown]
	v_mov_b32_e32 v2, 0
	s_mov_b32 s4, exec_lo
	ds_read_b128 v[51:54], v2 offset:432
	s_clause 0x2
	buffer_load_dword v116, off, s[0:3], 0 offset:316
	buffer_load_dword v120, off, s[0:3], 0 offset:292
	;; [unrolled: 1-line block ×3, first 2 shown]
	ds_read_b128 v[55:58], v2 offset:448
	s_clause 0x4
	buffer_load_dword v124, off, s[0:3], 0 offset:332
	buffer_load_dword v125, off, s[0:3], 0 offset:344
	;; [unrolled: 1-line block ×5, first 2 shown]
	ds_read_b128 v[59:62], v2 offset:464
	s_waitcnt vmcnt(62) lgkmcnt(2)
	v_mul_f64 v[121:122], v[53:54], v[3:4]
	v_mul_f64 v[3:4], v[51:52], v[3:4]
	s_waitcnt vmcnt(60) lgkmcnt(1)
	v_mul_f64 v[128:129], v[57:58], v[63:64]
	v_mul_f64 v[63:64], v[55:56], v[63:64]
	;; [unrolled: 3-line block ×3, first 2 shown]
	v_fma_f64 v[121:122], v[51:52], v[65:66], -v[121:122]
	v_fma_f64 v[3:4], v[53:54], v[65:66], v[3:4]
	s_clause 0x2
	buffer_load_dword v126, off, s[0:3], 0 offset:348
	buffer_load_dword v66, off, s[0:3], 0 offset:324
	;; [unrolled: 1-line block ×3, first 2 shown]
	s_waitcnt vmcnt(57)
	v_fma_f64 v[132:133], v[55:56], v[69:70], -v[128:129]
	ds_read_b128 v[51:54], v2 offset:480
	v_fma_f64 v[63:64], v[57:58], v[69:70], v[63:64]
	s_clause 0x4
	buffer_load_dword v70, off, s[0:3], 0 offset:364
	buffer_load_dword v129, off, s[0:3], 0 offset:376
	;; [unrolled: 1-line block ×5, first 2 shown]
	s_waitcnt vmcnt(56)
	v_fma_f64 v[67:68], v[59:60], v[77:78], -v[67:68]
	ds_read_b128 v[55:58], v2 offset:496
	v_fma_f64 v[77:78], v[61:62], v[77:78], v[130:131]
	v_add_f64 v[121:122], v[121:122], 0
	v_add_f64 v[3:4], v[3:4], 0
	s_waitcnt lgkmcnt(1)
	v_mul_f64 v[135:136], v[51:52], v[71:72]
	v_mul_f64 v[71:72], v[53:54], v[71:72]
	v_add_f64 v[121:122], v[121:122], v[132:133]
	v_add_f64 v[3:4], v[3:4], v[63:64]
	s_clause 0x2
	buffer_load_dword v130, off, s[0:3], 0 offset:380
	buffer_load_dword v64, off, s[0:3], 0 offset:356
	;; [unrolled: 1-line block ×3, first 2 shown]
	s_waitcnt vmcnt(58) lgkmcnt(0)
	v_mul_f64 v[131:132], v[55:56], v[73:74]
	v_mul_f64 v[73:74], v[57:58], v[73:74]
	s_waitcnt vmcnt(56)
	v_fma_f64 v[71:72], v[51:52], v[79:80], -v[71:72]
	ds_read_b128 v[59:62], v2 offset:512
	v_fma_f64 v[79:80], v[53:54], v[79:80], v[135:136]
	buffer_load_dword v135, off, s[0:3], 0 offset:372
	ds_read_b128 v[51:54], v2 offset:528
	v_add_f64 v[67:68], v[121:122], v[67:68]
	v_add_f64 v[3:4], v[3:4], v[77:78]
	s_waitcnt vmcnt(53) lgkmcnt(1)
	v_mul_f64 v[77:78], v[59:60], v[81:82]
	v_mul_f64 v[81:82], v[61:62], v[81:82]
	s_waitcnt vmcnt(52)
	v_fma_f64 v[73:74], v[55:56], v[75:76], -v[73:74]
	v_add_f64 v[67:68], v[67:68], v[71:72]
	v_fma_f64 v[71:72], v[57:58], v[75:76], v[131:132]
	v_add_f64 v[3:4], v[3:4], v[79:80]
	s_waitcnt vmcnt(51) lgkmcnt(0)
	v_mul_f64 v[79:80], v[53:54], v[83:84]
	ds_read_b128 v[55:58], v2 offset:544
	s_waitcnt vmcnt(49)
	v_fma_f64 v[81:82], v[59:60], v[87:88], -v[81:82]
	v_mul_f64 v[75:76], v[51:52], v[83:84]
	v_add_f64 v[67:68], v[67:68], v[73:74]
	v_fma_f64 v[73:74], v[61:62], v[87:88], v[77:78]
	v_add_f64 v[3:4], v[3:4], v[71:72]
	s_clause 0x3
	buffer_load_dword v71, off, s[0:3], 0 offset:64
	buffer_load_dword v72, off, s[0:3], 0 offset:68
	;; [unrolled: 1-line block ×4, first 2 shown]
	s_waitcnt vmcnt(49) lgkmcnt(0)
	v_mul_f64 v[87:88], v[57:58], v[89:90]
	s_waitcnt vmcnt(48)
	v_fma_f64 v[79:80], v[51:52], v[85:86], -v[79:80]
	ds_read_b128 v[59:62], v2 offset:560
	v_mul_f64 v[83:84], v[55:56], v[89:90]
	v_fma_f64 v[75:76], v[53:54], v[85:86], v[75:76]
	ds_read_b128 v[51:54], v2 offset:576
	v_add_f64 v[67:68], v[67:68], v[81:82]
	v_add_f64 v[3:4], v[3:4], v[73:74]
	s_waitcnt vmcnt(47) lgkmcnt(1)
	v_mul_f64 v[81:82], v[61:62], v[91:92]
	s_waitcnt vmcnt(45)
	v_fma_f64 v[85:86], v[55:56], v[95:96], -v[87:88]
	v_mul_f64 v[73:74], v[59:60], v[91:92]
	v_add_f64 v[67:68], v[67:68], v[79:80]
	v_fma_f64 v[79:80], v[57:58], v[95:96], v[83:84]
	v_add_f64 v[3:4], v[3:4], v[75:76]
	s_waitcnt vmcnt(41) lgkmcnt(0)
	v_mul_f64 v[83:84], v[53:54], v[97:98]
	s_waitcnt vmcnt(40)
	v_fma_f64 v[81:82], v[59:60], v[93:94], -v[81:82]
	ds_read_b128 v[55:58], v2 offset:592
	v_mul_f64 v[75:76], v[51:52], v[97:98]
	v_fma_f64 v[73:74], v[61:62], v[93:94], v[73:74]
	ds_read_b128 v[59:62], v2 offset:608
	v_add_f64 v[67:68], v[67:68], v[85:86]
	v_add_f64 v[3:4], v[3:4], v[79:80]
	s_waitcnt vmcnt(39) lgkmcnt(1)
	v_mul_f64 v[85:86], v[57:58], v[99:100]
	s_waitcnt vmcnt(37)
	v_fma_f64 v[83:84], v[51:52], v[103:104], -v[83:84]
	v_mul_f64 v[79:80], v[55:56], v[99:100]
	v_fma_f64 v[75:76], v[53:54], v[103:104], v[75:76]
	ds_read_b128 v[51:54], v2 offset:624
	v_add_f64 v[67:68], v[67:68], v[81:82]
	s_waitcnt vmcnt(33) lgkmcnt(1)
	v_mul_f64 v[81:82], v[61:62], v[105:106]
	v_add_f64 v[3:4], v[3:4], v[73:74]
	s_waitcnt vmcnt(32)
	v_fma_f64 v[85:86], v[55:56], v[101:102], -v[85:86]
	v_mul_f64 v[73:74], v[59:60], v[105:106]
	v_fma_f64 v[79:80], v[57:58], v[101:102], v[79:80]
	ds_read_b128 v[55:58], v2 offset:640
	v_add_f64 v[67:68], v[67:68], v[83:84]
	s_waitcnt vmcnt(31) lgkmcnt(1)
	v_mul_f64 v[83:84], v[53:54], v[107:108]
	v_add_f64 v[3:4], v[3:4], v[75:76]
	;; [unrolled: 9-line block ×5, first 2 shown]
	s_waitcnt vmcnt(16)
	v_fma_f64 v[81:82], v[59:60], v[117:118], -v[81:82]
	v_mul_f64 v[75:76], v[51:52], v[123:124]
	v_fma_f64 v[73:74], v[61:62], v[117:118], v[73:74]
	ds_read_b128 v[59:62], v2 offset:704
	v_add_f64 v[67:68], v[67:68], v[85:86]
	v_add_f64 v[3:4], v[3:4], v[79:80]
	s_waitcnt vmcnt(15) lgkmcnt(1)
	v_mul_f64 v[85:86], v[57:58], v[125:126]
	v_mul_f64 v[79:80], v[55:56], v[125:126]
	s_waitcnt vmcnt(13)
	v_fma_f64 v[83:84], v[51:52], v[65:66], -v[83:84]
	v_fma_f64 v[65:66], v[53:54], v[65:66], v[75:76]
	ds_read_b128 v[51:54], v2 offset:720
	v_add_f64 v[67:68], v[67:68], v[81:82]
	v_add_f64 v[3:4], v[3:4], v[73:74]
	s_waitcnt vmcnt(9) lgkmcnt(1)
	v_mul_f64 v[73:74], v[59:60], v[69:70]
	v_mul_f64 v[69:70], v[61:62], v[69:70]
	s_waitcnt vmcnt(8)
	v_fma_f64 v[55:56], v[55:56], v[127:128], -v[85:86]
	v_fma_f64 v[57:58], v[57:58], v[127:128], v[79:80]
	v_add_f64 v[67:68], v[67:68], v[83:84]
	v_add_f64 v[3:4], v[3:4], v[65:66]
	s_waitcnt vmcnt(7) lgkmcnt(0)
	v_mul_f64 v[75:76], v[53:54], v[129:130]
	v_mul_f64 v[65:66], v[51:52], v[129:130]
	s_waitcnt vmcnt(5)
	v_fma_f64 v[59:60], v[59:60], v[63:64], -v[69:70]
	v_fma_f64 v[61:62], v[61:62], v[63:64], v[73:74]
	v_add_f64 v[55:56], v[67:68], v[55:56]
	v_add_f64 v[3:4], v[3:4], v[57:58]
	s_waitcnt vmcnt(4)
	v_fma_f64 v[51:52], v[51:52], v[134:135], -v[75:76]
	v_fma_f64 v[53:54], v[53:54], v[134:135], v[65:66]
	v_add_f64 v[55:56], v[55:56], v[59:60]
	v_add_f64 v[3:4], v[3:4], v[61:62]
	;; [unrolled: 1-line block ×4, first 2 shown]
	s_waitcnt vmcnt(2)
	v_add_f64 v[51:52], v[71:72], -v[51:52]
	s_waitcnt vmcnt(0)
	v_add_f64 v[3:4], v[77:78], -v[3:4]
	buffer_store_dword v52, off, s[0:3], 0 offset:68
	buffer_store_dword v51, off, s[0:3], 0 offset:64
	;; [unrolled: 1-line block ×4, first 2 shown]
	v_cmpx_lt_u32_e32 2, v0
	s_cbranch_execz .LBB86_147
; %bb.146:
	v_mov_b32_e32 v3, s33
	s_clause 0x3
	buffer_load_dword v51, v3, s[0:3], 0 offen
	buffer_load_dword v52, v3, s[0:3], 0 offen offset:4
	buffer_load_dword v53, v3, s[0:3], 0 offen offset:8
	;; [unrolled: 1-line block ×3, first 2 shown]
	buffer_store_dword v2, off, s[0:3], 0 offset:48
	buffer_store_dword v2, off, s[0:3], 0 offset:52
	;; [unrolled: 1-line block ×4, first 2 shown]
	s_waitcnt vmcnt(0)
	ds_write_b128 v1, v[51:54]
.LBB86_147:
	s_or_b32 exec_lo, exec_lo, s4
	s_waitcnt lgkmcnt(0)
	s_waitcnt_vscnt null, 0x0
	s_barrier
	buffer_gl0_inv
	s_clause 0x37
	buffer_load_dword v3, off, s[0:3], 0 offset:72
	buffer_load_dword v4, off, s[0:3], 0 offset:76
	;; [unrolled: 1-line block ×56, first 2 shown]
	ds_read_b128 v[51:54], v2 offset:416
	s_clause 0x2
	buffer_load_dword v116, off, s[0:3], 0 offset:300
	buffer_load_dword v120, off, s[0:3], 0 offset:276
	buffer_load_dword v119, off, s[0:3], 0 offset:272
	ds_read_b128 v[55:58], v2 offset:432
	s_clause 0x4
	buffer_load_dword v124, off, s[0:3], 0 offset:316
	buffer_load_dword v125, off, s[0:3], 0 offset:328
	;; [unrolled: 1-line block ×5, first 2 shown]
	ds_read_b128 v[59:62], v2 offset:448
	s_mov_b32 s4, exec_lo
	s_waitcnt vmcnt(62) lgkmcnt(2)
	v_mul_f64 v[121:122], v[53:54], v[3:4]
	v_mul_f64 v[3:4], v[51:52], v[3:4]
	s_waitcnt vmcnt(60) lgkmcnt(1)
	v_mul_f64 v[128:129], v[57:58], v[63:64]
	v_mul_f64 v[63:64], v[55:56], v[63:64]
	;; [unrolled: 3-line block ×3, first 2 shown]
	v_fma_f64 v[121:122], v[51:52], v[65:66], -v[121:122]
	v_fma_f64 v[3:4], v[53:54], v[65:66], v[3:4]
	s_clause 0x2
	buffer_load_dword v126, off, s[0:3], 0 offset:332
	buffer_load_dword v66, off, s[0:3], 0 offset:308
	;; [unrolled: 1-line block ×3, first 2 shown]
	s_waitcnt vmcnt(57)
	v_fma_f64 v[132:133], v[55:56], v[69:70], -v[128:129]
	ds_read_b128 v[51:54], v2 offset:464
	v_fma_f64 v[63:64], v[57:58], v[69:70], v[63:64]
	s_clause 0x4
	buffer_load_dword v70, off, s[0:3], 0 offset:348
	buffer_load_dword v129, off, s[0:3], 0 offset:360
	buffer_load_dword v134, off, s[0:3], 0 offset:352
	buffer_load_dword v69, off, s[0:3], 0 offset:344
	buffer_load_dword v128, off, s[0:3], 0 offset:324
	s_waitcnt vmcnt(56)
	v_fma_f64 v[67:68], v[59:60], v[77:78], -v[67:68]
	ds_read_b128 v[55:58], v2 offset:480
	v_fma_f64 v[77:78], v[61:62], v[77:78], v[130:131]
	v_add_f64 v[121:122], v[121:122], 0
	v_add_f64 v[3:4], v[3:4], 0
	s_waitcnt lgkmcnt(1)
	v_mul_f64 v[135:136], v[51:52], v[71:72]
	v_mul_f64 v[71:72], v[53:54], v[71:72]
	v_add_f64 v[121:122], v[121:122], v[132:133]
	v_add_f64 v[3:4], v[3:4], v[63:64]
	s_clause 0x2
	buffer_load_dword v130, off, s[0:3], 0 offset:364
	buffer_load_dword v64, off, s[0:3], 0 offset:340
	;; [unrolled: 1-line block ×3, first 2 shown]
	s_waitcnt vmcnt(58) lgkmcnt(0)
	v_mul_f64 v[131:132], v[55:56], v[73:74]
	v_mul_f64 v[73:74], v[57:58], v[73:74]
	s_waitcnt vmcnt(56)
	v_fma_f64 v[71:72], v[51:52], v[79:80], -v[71:72]
	ds_read_b128 v[59:62], v2 offset:496
	v_fma_f64 v[79:80], v[53:54], v[79:80], v[135:136]
	v_add_f64 v[67:68], v[121:122], v[67:68]
	v_add_f64 v[3:4], v[3:4], v[77:78]
	s_clause 0x2
	buffer_load_dword v78, off, s[0:3], 0 offset:380
	buffer_load_dword v77, off, s[0:3], 0 offset:376
	;; [unrolled: 1-line block ×3, first 2 shown]
	ds_read_b128 v[51:54], v2 offset:512
	s_waitcnt vmcnt(55) lgkmcnt(1)
	v_mul_f64 v[121:122], v[59:60], v[81:82]
	v_mul_f64 v[81:82], v[61:62], v[81:82]
	s_waitcnt vmcnt(54)
	v_fma_f64 v[73:74], v[55:56], v[75:76], -v[73:74]
	v_add_f64 v[67:68], v[67:68], v[71:72]
	v_fma_f64 v[71:72], v[57:58], v[75:76], v[131:132]
	v_add_f64 v[3:4], v[3:4], v[79:80]
	s_clause 0x1
	buffer_load_dword v76, off, s[0:3], 0 offset:372
	buffer_load_dword v75, off, s[0:3], 0 offset:368
	s_waitcnt vmcnt(55) lgkmcnt(0)
	v_mul_f64 v[79:80], v[51:52], v[83:84]
	v_mul_f64 v[83:84], v[53:54], v[83:84]
	s_waitcnt vmcnt(53)
	v_fma_f64 v[81:82], v[59:60], v[87:88], -v[81:82]
	ds_read_b128 v[55:58], v2 offset:528
	v_add_f64 v[67:68], v[67:68], v[73:74]
	v_fma_f64 v[73:74], v[61:62], v[87:88], v[121:122]
	v_add_f64 v[3:4], v[3:4], v[71:72]
	ds_read_b128 v[59:62], v2 offset:544
	s_waitcnt vmcnt(48)
	v_fma_f64 v[79:80], v[53:54], v[85:86], v[79:80]
	s_waitcnt lgkmcnt(1)
	v_mul_f64 v[87:88], v[57:58], v[89:90]
	v_fma_f64 v[83:84], v[51:52], v[85:86], -v[83:84]
	v_mul_f64 v[71:72], v[55:56], v[89:90]
	v_add_f64 v[67:68], v[67:68], v[81:82]
	s_waitcnt vmcnt(47) lgkmcnt(0)
	v_mul_f64 v[89:90], v[61:62], v[91:92]
	v_add_f64 v[3:4], v[3:4], v[73:74]
	s_clause 0x3
	buffer_load_dword v73, off, s[0:3], 0 offset:48
	buffer_load_dword v74, off, s[0:3], 0 offset:52
	;; [unrolled: 1-line block ×4, first 2 shown]
	ds_read_b128 v[51:54], v2 offset:560
	s_waitcnt vmcnt(49)
	v_fma_f64 v[87:88], v[55:56], v[95:96], -v[87:88]
	v_mul_f64 v[85:86], v[59:60], v[91:92]
	v_fma_f64 v[71:72], v[57:58], v[95:96], v[71:72]
	ds_read_b128 v[55:58], v2 offset:576
	v_add_f64 v[67:68], v[67:68], v[83:84]
	s_waitcnt vmcnt(44)
	v_fma_f64 v[89:90], v[59:60], v[93:94], -v[89:90]
	v_add_f64 v[3:4], v[3:4], v[79:80]
	s_waitcnt lgkmcnt(1)
	v_mul_f64 v[83:84], v[53:54], v[97:98]
	v_mul_f64 v[79:80], v[51:52], v[97:98]
	v_fma_f64 v[85:86], v[61:62], v[93:94], v[85:86]
	ds_read_b128 v[59:62], v2 offset:592
	v_add_f64 v[67:68], v[67:68], v[87:88]
	s_waitcnt vmcnt(43) lgkmcnt(1)
	v_mul_f64 v[87:88], v[57:58], v[99:100]
	v_add_f64 v[3:4], v[3:4], v[71:72]
	s_waitcnt vmcnt(41)
	v_fma_f64 v[83:84], v[51:52], v[103:104], -v[83:84]
	v_mul_f64 v[71:72], v[55:56], v[99:100]
	v_fma_f64 v[79:80], v[53:54], v[103:104], v[79:80]
	ds_read_b128 v[51:54], v2 offset:608
	v_add_f64 v[67:68], v[67:68], v[89:90]
	s_waitcnt vmcnt(37) lgkmcnt(1)
	v_mul_f64 v[89:90], v[61:62], v[105:106]
	v_add_f64 v[3:4], v[3:4], v[85:86]
	s_waitcnt vmcnt(36)
	v_fma_f64 v[87:88], v[55:56], v[101:102], -v[87:88]
	;; [unrolled: 9-line block ×6, first 2 shown]
	v_mul_f64 v[79:80], v[51:52], v[123:124]
	v_fma_f64 v[85:86], v[61:62], v[117:118], v[85:86]
	ds_read_b128 v[59:62], v2 offset:688
	v_add_f64 v[67:68], v[67:68], v[87:88]
	v_add_f64 v[3:4], v[3:4], v[71:72]
	s_waitcnt vmcnt(19) lgkmcnt(1)
	v_mul_f64 v[87:88], v[57:58], v[125:126]
	v_mul_f64 v[71:72], v[55:56], v[125:126]
	s_waitcnt vmcnt(17)
	v_fma_f64 v[83:84], v[51:52], v[65:66], -v[83:84]
	v_fma_f64 v[65:66], v[53:54], v[65:66], v[79:80]
	ds_read_b128 v[51:54], v2 offset:704
	s_waitcnt vmcnt(13) lgkmcnt(1)
	v_mul_f64 v[79:80], v[59:60], v[69:70]
	v_mul_f64 v[69:70], v[61:62], v[69:70]
	v_add_f64 v[67:68], v[67:68], v[89:90]
	v_add_f64 v[3:4], v[3:4], v[85:86]
	s_waitcnt vmcnt(12)
	v_fma_f64 v[85:86], v[55:56], v[127:128], -v[87:88]
	v_fma_f64 v[71:72], v[57:58], v[127:128], v[71:72]
	ds_read_b128 v[55:58], v2 offset:720
	v_add_f64 v[67:68], v[67:68], v[83:84]
	v_add_f64 v[3:4], v[3:4], v[65:66]
	s_waitcnt vmcnt(11) lgkmcnt(1)
	v_mul_f64 v[83:84], v[53:54], v[129:130]
	v_mul_f64 v[65:66], v[51:52], v[129:130]
	s_waitcnt vmcnt(9)
	v_fma_f64 v[59:60], v[59:60], v[63:64], -v[69:70]
	v_fma_f64 v[61:62], v[61:62], v[63:64], v[79:80]
	v_add_f64 v[67:68], v[67:68], v[85:86]
	v_add_f64 v[2:3], v[3:4], v[71:72]
	s_waitcnt vmcnt(7) lgkmcnt(0)
	v_mul_f64 v[69:70], v[57:58], v[77:78]
	s_waitcnt vmcnt(6)
	v_fma_f64 v[51:52], v[51:52], v[134:135], -v[83:84]
	v_mul_f64 v[63:64], v[55:56], v[77:78]
	v_fma_f64 v[53:54], v[53:54], v[134:135], v[65:66]
	v_add_f64 v[59:60], v[67:68], v[59:60]
	v_add_f64 v[2:3], v[2:3], v[61:62]
	s_waitcnt vmcnt(4)
	v_fma_f64 v[55:56], v[55:56], v[75:76], -v[69:70]
	v_fma_f64 v[57:58], v[57:58], v[75:76], v[63:64]
	v_add_f64 v[51:52], v[59:60], v[51:52]
	v_add_f64 v[2:3], v[2:3], v[53:54]
	;; [unrolled: 1-line block ×4, first 2 shown]
	s_waitcnt vmcnt(2)
	v_add_f64 v[51:52], v[73:74], -v[51:52]
	s_waitcnt vmcnt(0)
	v_add_f64 v[2:3], v[81:82], -v[2:3]
	buffer_store_dword v52, off, s[0:3], 0 offset:52
	buffer_store_dword v51, off, s[0:3], 0 offset:48
	;; [unrolled: 1-line block ×4, first 2 shown]
	v_cmpx_lt_u32_e32 1, v0
	s_cbranch_execz .LBB86_149
; %bb.148:
	v_mov_b32_e32 v2, s34
	s_clause 0x3
	buffer_load_dword v51, v2, s[0:3], 0 offen
	buffer_load_dword v52, v2, s[0:3], 0 offen offset:4
	buffer_load_dword v53, v2, s[0:3], 0 offen offset:8
	buffer_load_dword v54, v2, s[0:3], 0 offen offset:12
	v_mov_b32_e32 v2, 0
	buffer_store_dword v2, off, s[0:3], 0 offset:32
	buffer_store_dword v2, off, s[0:3], 0 offset:36
	;; [unrolled: 1-line block ×4, first 2 shown]
	s_waitcnt vmcnt(0)
	ds_write_b128 v1, v[51:54]
.LBB86_149:
	s_or_b32 exec_lo, exec_lo, s4
	s_waitcnt lgkmcnt(0)
	s_waitcnt_vscnt null, 0x0
	s_barrier
	buffer_gl0_inv
	s_clause 0x37
	buffer_load_dword v3, off, s[0:3], 0 offset:56
	buffer_load_dword v4, off, s[0:3], 0 offset:60
	;; [unrolled: 1-line block ×56, first 2 shown]
	v_mov_b32_e32 v2, 0
	s_mov_b32 s4, exec_lo
	ds_read_b128 v[51:54], v2 offset:400
	s_clause 0x2
	buffer_load_dword v116, off, s[0:3], 0 offset:284
	buffer_load_dword v120, off, s[0:3], 0 offset:260
	;; [unrolled: 1-line block ×3, first 2 shown]
	ds_read_b128 v[55:58], v2 offset:416
	s_clause 0x4
	buffer_load_dword v124, off, s[0:3], 0 offset:300
	buffer_load_dword v125, off, s[0:3], 0 offset:312
	;; [unrolled: 1-line block ×5, first 2 shown]
	ds_read_b128 v[59:62], v2 offset:432
	s_waitcnt vmcnt(62) lgkmcnt(2)
	v_mul_f64 v[121:122], v[53:54], v[3:4]
	v_mul_f64 v[3:4], v[51:52], v[3:4]
	s_waitcnt vmcnt(60) lgkmcnt(1)
	v_mul_f64 v[128:129], v[57:58], v[63:64]
	v_mul_f64 v[63:64], v[55:56], v[63:64]
	;; [unrolled: 3-line block ×3, first 2 shown]
	v_fma_f64 v[121:122], v[51:52], v[65:66], -v[121:122]
	v_fma_f64 v[3:4], v[53:54], v[65:66], v[3:4]
	s_clause 0x2
	buffer_load_dword v126, off, s[0:3], 0 offset:316
	buffer_load_dword v66, off, s[0:3], 0 offset:292
	;; [unrolled: 1-line block ×3, first 2 shown]
	s_waitcnt vmcnt(57)
	v_fma_f64 v[132:133], v[55:56], v[69:70], -v[128:129]
	ds_read_b128 v[51:54], v2 offset:448
	v_fma_f64 v[63:64], v[57:58], v[69:70], v[63:64]
	s_clause 0x4
	buffer_load_dword v70, off, s[0:3], 0 offset:332
	buffer_load_dword v129, off, s[0:3], 0 offset:344
	;; [unrolled: 1-line block ×5, first 2 shown]
	s_waitcnt vmcnt(56)
	v_fma_f64 v[67:68], v[59:60], v[77:78], -v[67:68]
	ds_read_b128 v[55:58], v2 offset:464
	v_fma_f64 v[77:78], v[61:62], v[77:78], v[130:131]
	v_add_f64 v[121:122], v[121:122], 0
	v_add_f64 v[3:4], v[3:4], 0
	s_waitcnt lgkmcnt(1)
	v_mul_f64 v[135:136], v[51:52], v[71:72]
	v_mul_f64 v[71:72], v[53:54], v[71:72]
	v_add_f64 v[121:122], v[121:122], v[132:133]
	v_add_f64 v[3:4], v[3:4], v[63:64]
	s_clause 0x2
	buffer_load_dword v130, off, s[0:3], 0 offset:348
	buffer_load_dword v64, off, s[0:3], 0 offset:324
	buffer_load_dword v63, off, s[0:3], 0 offset:320
	s_waitcnt vmcnt(58) lgkmcnt(0)
	v_mul_f64 v[131:132], v[55:56], v[73:74]
	v_mul_f64 v[73:74], v[57:58], v[73:74]
	s_waitcnt vmcnt(56)
	v_fma_f64 v[71:72], v[51:52], v[79:80], -v[71:72]
	ds_read_b128 v[59:62], v2 offset:480
	v_fma_f64 v[79:80], v[53:54], v[79:80], v[135:136]
	v_add_f64 v[67:68], v[121:122], v[67:68]
	v_add_f64 v[3:4], v[3:4], v[77:78]
	s_clause 0x4
	buffer_load_dword v78, off, s[0:3], 0 offset:364
	buffer_load_dword v121, off, s[0:3], 0 offset:376
	;; [unrolled: 1-line block ×5, first 2 shown]
	ds_read_b128 v[51:54], v2 offset:496
	s_waitcnt vmcnt(57) lgkmcnt(1)
	v_mul_f64 v[137:138], v[59:60], v[81:82]
	v_mul_f64 v[81:82], v[61:62], v[81:82]
	s_waitcnt vmcnt(56)
	v_fma_f64 v[73:74], v[55:56], v[75:76], -v[73:74]
	v_add_f64 v[67:68], v[67:68], v[71:72]
	v_fma_f64 v[71:72], v[57:58], v[75:76], v[131:132]
	v_add_f64 v[3:4], v[3:4], v[79:80]
	s_clause 0x2
	buffer_load_dword v122, off, s[0:3], 0 offset:380
	buffer_load_dword v76, off, s[0:3], 0 offset:356
	;; [unrolled: 1-line block ×3, first 2 shown]
	s_waitcnt vmcnt(58) lgkmcnt(0)
	v_mul_f64 v[79:80], v[51:52], v[83:84]
	v_mul_f64 v[83:84], v[53:54], v[83:84]
	s_waitcnt vmcnt(56)
	v_fma_f64 v[81:82], v[59:60], v[87:88], -v[81:82]
	ds_read_b128 v[55:58], v2 offset:512
	v_add_f64 v[67:68], v[67:68], v[73:74]
	v_fma_f64 v[73:74], v[61:62], v[87:88], v[137:138]
	v_add_f64 v[3:4], v[3:4], v[71:72]
	buffer_load_dword v137, off, s[0:3], 0 offset:372
	ds_read_b128 v[59:62], v2 offset:528
	s_waitcnt vmcnt(53) lgkmcnt(1)
	v_mul_f64 v[87:88], v[57:58], v[89:90]
	s_waitcnt vmcnt(52)
	v_fma_f64 v[83:84], v[51:52], v[85:86], -v[83:84]
	v_mul_f64 v[71:72], v[55:56], v[89:90]
	v_fma_f64 v[79:80], v[53:54], v[85:86], v[79:80]
	ds_read_b128 v[51:54], v2 offset:544
	v_add_f64 v[67:68], v[67:68], v[81:82]
	v_add_f64 v[3:4], v[3:4], v[73:74]
	s_waitcnt vmcnt(51) lgkmcnt(1)
	v_mul_f64 v[81:82], v[61:62], v[91:92]
	v_mul_f64 v[73:74], v[59:60], v[91:92]
	s_waitcnt vmcnt(49)
	v_fma_f64 v[85:86], v[55:56], v[95:96], -v[87:88]
	v_fma_f64 v[71:72], v[57:58], v[95:96], v[71:72]
	s_waitcnt vmcnt(45) lgkmcnt(0)
	v_mul_f64 v[89:90], v[53:54], v[97:98]
	v_mul_f64 v[87:88], v[51:52], v[97:98]
	v_add_f64 v[67:68], v[67:68], v[83:84]
	v_add_f64 v[3:4], v[3:4], v[79:80]
	s_clause 0x3
	buffer_load_dword v79, off, s[0:3], 0 offset:32
	buffer_load_dword v80, off, s[0:3], 0 offset:36
	;; [unrolled: 1-line block ×4, first 2 shown]
	s_waitcnt vmcnt(48)
	v_fma_f64 v[81:82], v[59:60], v[93:94], -v[81:82]
	ds_read_b128 v[55:58], v2 offset:560
	v_fma_f64 v[73:74], v[61:62], v[93:94], v[73:74]
	ds_read_b128 v[59:62], v2 offset:576
	s_waitcnt vmcnt(45)
	v_fma_f64 v[89:90], v[51:52], v[103:104], -v[89:90]
	v_add_f64 v[67:68], v[67:68], v[85:86]
	v_add_f64 v[3:4], v[3:4], v[71:72]
	s_waitcnt lgkmcnt(1)
	v_mul_f64 v[85:86], v[57:58], v[99:100]
	v_mul_f64 v[71:72], v[55:56], v[99:100]
	v_add_f64 v[67:68], v[67:68], v[81:82]
	v_fma_f64 v[81:82], v[53:54], v[103:104], v[87:88]
	v_add_f64 v[3:4], v[3:4], v[73:74]
	s_waitcnt vmcnt(41) lgkmcnt(0)
	v_mul_f64 v[87:88], v[61:62], v[105:106]
	s_waitcnt vmcnt(40)
	v_fma_f64 v[85:86], v[55:56], v[101:102], -v[85:86]
	ds_read_b128 v[51:54], v2 offset:592
	v_mul_f64 v[73:74], v[59:60], v[105:106]
	v_fma_f64 v[71:72], v[57:58], v[101:102], v[71:72]
	ds_read_b128 v[55:58], v2 offset:608
	v_add_f64 v[67:68], v[67:68], v[89:90]
	v_add_f64 v[3:4], v[3:4], v[81:82]
	s_waitcnt vmcnt(39) lgkmcnt(1)
	v_mul_f64 v[89:90], v[53:54], v[107:108]
	s_waitcnt vmcnt(37)
	v_fma_f64 v[87:88], v[59:60], v[111:112], -v[87:88]
	v_mul_f64 v[81:82], v[51:52], v[107:108]
	v_fma_f64 v[73:74], v[61:62], v[111:112], v[73:74]
	ds_read_b128 v[59:62], v2 offset:624
	v_add_f64 v[67:68], v[67:68], v[85:86]
	s_waitcnt vmcnt(33) lgkmcnt(1)
	v_mul_f64 v[85:86], v[57:58], v[113:114]
	v_add_f64 v[3:4], v[3:4], v[71:72]
	s_waitcnt vmcnt(32)
	v_fma_f64 v[89:90], v[51:52], v[109:110], -v[89:90]
	v_mul_f64 v[71:72], v[55:56], v[113:114]
	v_fma_f64 v[81:82], v[53:54], v[109:110], v[81:82]
	ds_read_b128 v[51:54], v2 offset:640
	v_add_f64 v[67:68], v[67:68], v[87:88]
	s_waitcnt vmcnt(31) lgkmcnt(1)
	v_mul_f64 v[87:88], v[61:62], v[115:116]
	v_add_f64 v[3:4], v[3:4], v[73:74]
	;; [unrolled: 9-line block ×3, first 2 shown]
	s_waitcnt vmcnt(24)
	v_fma_f64 v[87:88], v[59:60], v[117:118], -v[87:88]
	v_mul_f64 v[81:82], v[51:52], v[123:124]
	v_fma_f64 v[73:74], v[61:62], v[117:118], v[73:74]
	ds_read_b128 v[59:62], v2 offset:672
	v_add_f64 v[67:68], v[67:68], v[85:86]
	v_add_f64 v[3:4], v[3:4], v[71:72]
	s_waitcnt vmcnt(23) lgkmcnt(1)
	v_mul_f64 v[85:86], v[57:58], v[125:126]
	v_mul_f64 v[71:72], v[55:56], v[125:126]
	s_waitcnt vmcnt(21)
	v_fma_f64 v[89:90], v[51:52], v[65:66], -v[89:90]
	v_fma_f64 v[65:66], v[53:54], v[65:66], v[81:82]
	ds_read_b128 v[51:54], v2 offset:688
	v_add_f64 v[67:68], v[67:68], v[87:88]
	v_add_f64 v[3:4], v[3:4], v[73:74]
	s_waitcnt vmcnt(17) lgkmcnt(1)
	v_mul_f64 v[73:74], v[59:60], v[69:70]
	v_mul_f64 v[69:70], v[61:62], v[69:70]
	s_waitcnt vmcnt(16)
	v_fma_f64 v[81:82], v[55:56], v[127:128], -v[85:86]
	;; [unrolled: 9-line block ×3, first 2 shown]
	v_fma_f64 v[63:64], v[61:62], v[63:64], v[73:74]
	ds_read_b128 v[59:62], v2 offset:720
	v_add_f64 v[67:68], v[67:68], v[81:82]
	v_add_f64 v[3:4], v[3:4], v[71:72]
	s_waitcnt vmcnt(9) lgkmcnt(1)
	v_mul_f64 v[73:74], v[57:58], v[77:78]
	s_waitcnt vmcnt(8)
	v_fma_f64 v[51:52], v[51:52], v[134:135], -v[85:86]
	v_mul_f64 v[71:72], v[55:56], v[77:78]
	v_fma_f64 v[53:54], v[53:54], v[134:135], v[65:66]
	v_add_f64 v[67:68], v[67:68], v[69:70]
	v_add_f64 v[3:4], v[3:4], v[63:64]
	s_waitcnt vmcnt(7) lgkmcnt(0)
	v_mul_f64 v[65:66], v[61:62], v[121:122]
	v_mul_f64 v[63:64], v[59:60], v[121:122]
	s_waitcnt vmcnt(5)
	v_fma_f64 v[55:56], v[55:56], v[75:76], -v[73:74]
	v_fma_f64 v[57:58], v[57:58], v[75:76], v[71:72]
	v_add_f64 v[51:52], v[67:68], v[51:52]
	v_add_f64 v[3:4], v[3:4], v[53:54]
	s_waitcnt vmcnt(4)
	v_fma_f64 v[53:54], v[59:60], v[136:137], -v[65:66]
	v_add_f64 v[51:52], v[51:52], v[55:56]
	v_fma_f64 v[55:56], v[61:62], v[136:137], v[63:64]
	v_add_f64 v[3:4], v[3:4], v[57:58]
	v_add_f64 v[51:52], v[51:52], v[53:54]
	v_add_f64 v[3:4], v[3:4], v[55:56]
	s_waitcnt vmcnt(2)
	v_add_f64 v[51:52], v[79:80], -v[51:52]
	s_waitcnt vmcnt(0)
	v_add_f64 v[3:4], v[83:84], -v[3:4]
	buffer_store_dword v52, off, s[0:3], 0 offset:36
	buffer_store_dword v51, off, s[0:3], 0 offset:32
	buffer_store_dword v4, off, s[0:3], 0 offset:44
	buffer_store_dword v3, off, s[0:3], 0 offset:40
	v_cmpx_ne_u32_e32 0, v0
	s_cbranch_execz .LBB86_151
; %bb.150:
	s_clause 0x3
	buffer_load_dword v51, off, s[0:3], 0 offset:16
	buffer_load_dword v52, off, s[0:3], 0 offset:20
	;; [unrolled: 1-line block ×4, first 2 shown]
	buffer_store_dword v2, off, s[0:3], 0 offset:16
	buffer_store_dword v2, off, s[0:3], 0 offset:20
	buffer_store_dword v2, off, s[0:3], 0 offset:24
	buffer_store_dword v2, off, s[0:3], 0 offset:28
	s_waitcnt vmcnt(0)
	ds_write_b128 v1, v[51:54]
.LBB86_151:
	s_or_b32 exec_lo, exec_lo, s4
	s_waitcnt lgkmcnt(0)
	s_waitcnt_vscnt null, 0x0
	s_barrier
	buffer_gl0_inv
	s_clause 0x37
	buffer_load_dword v0, off, s[0:3], 0 offset:40
	buffer_load_dword v1, off, s[0:3], 0 offset:44
	;; [unrolled: 1-line block ×56, first 2 shown]
	ds_read_b128 v[51:54], v2 offset:384
	s_clause 0x2
	buffer_load_dword v114, off, s[0:3], 0 offset:268
	buffer_load_dword v118, off, s[0:3], 0 offset:244
	;; [unrolled: 1-line block ×3, first 2 shown]
	ds_read_b128 v[55:58], v2 offset:400
	s_clause 0x4
	buffer_load_dword v122, off, s[0:3], 0 offset:284
	buffer_load_dword v123, off, s[0:3], 0 offset:296
	;; [unrolled: 1-line block ×5, first 2 shown]
	ds_read_b128 v[59:62], v2 offset:416
	s_and_b32 vcc_lo, exec_lo, s35
	s_waitcnt vmcnt(62) lgkmcnt(2)
	v_mul_f64 v[119:120], v[53:54], v[0:1]
	v_mul_f64 v[0:1], v[51:52], v[0:1]
	s_waitcnt vmcnt(60) lgkmcnt(1)
	v_mul_f64 v[126:127], v[57:58], v[3:4]
	v_mul_f64 v[3:4], v[55:56], v[3:4]
	;; [unrolled: 3-line block ×3, first 2 shown]
	v_fma_f64 v[119:120], v[51:52], v[63:64], -v[119:120]
	v_fma_f64 v[0:1], v[53:54], v[63:64], v[0:1]
	s_clause 0x2
	buffer_load_dword v124, off, s[0:3], 0 offset:300
	buffer_load_dword v64, off, s[0:3], 0 offset:276
	;; [unrolled: 1-line block ×3, first 2 shown]
	s_waitcnt vmcnt(57)
	v_fma_f64 v[130:131], v[55:56], v[67:68], -v[126:127]
	ds_read_b128 v[51:54], v2 offset:432
	v_fma_f64 v[3:4], v[57:58], v[67:68], v[3:4]
	s_clause 0x4
	buffer_load_dword v68, off, s[0:3], 0 offset:316
	buffer_load_dword v127, off, s[0:3], 0 offset:328
	buffer_load_dword v132, off, s[0:3], 0 offset:320
	buffer_load_dword v67, off, s[0:3], 0 offset:312
	buffer_load_dword v126, off, s[0:3], 0 offset:292
	s_waitcnt vmcnt(56)
	v_fma_f64 v[65:66], v[59:60], v[75:76], -v[65:66]
	ds_read_b128 v[55:58], v2 offset:448
	v_fma_f64 v[75:76], v[61:62], v[75:76], v[128:129]
	v_add_f64 v[119:120], v[119:120], 0
	v_add_f64 v[0:1], v[0:1], 0
	s_waitcnt lgkmcnt(1)
	v_mul_f64 v[133:134], v[51:52], v[69:70]
	v_mul_f64 v[69:70], v[53:54], v[69:70]
	v_add_f64 v[119:120], v[119:120], v[130:131]
	v_add_f64 v[0:1], v[0:1], v[3:4]
	s_clause 0x2
	buffer_load_dword v128, off, s[0:3], 0 offset:332
	buffer_load_dword v4, off, s[0:3], 0 offset:308
	;; [unrolled: 1-line block ×3, first 2 shown]
	s_waitcnt vmcnt(58) lgkmcnt(0)
	v_mul_f64 v[129:130], v[55:56], v[71:72]
	v_mul_f64 v[71:72], v[57:58], v[71:72]
	s_waitcnt vmcnt(56)
	v_fma_f64 v[69:70], v[51:52], v[77:78], -v[69:70]
	ds_read_b128 v[59:62], v2 offset:464
	v_fma_f64 v[77:78], v[53:54], v[77:78], v[133:134]
	v_add_f64 v[65:66], v[119:120], v[65:66]
	v_add_f64 v[0:1], v[0:1], v[75:76]
	s_clause 0x4
	buffer_load_dword v76, off, s[0:3], 0 offset:348
	buffer_load_dword v119, off, s[0:3], 0 offset:360
	;; [unrolled: 1-line block ×5, first 2 shown]
	ds_read_b128 v[51:54], v2 offset:480
	s_waitcnt vmcnt(57) lgkmcnt(1)
	v_mul_f64 v[135:136], v[59:60], v[79:80]
	v_mul_f64 v[79:80], v[61:62], v[79:80]
	s_waitcnt vmcnt(56)
	v_fma_f64 v[71:72], v[55:56], v[73:74], -v[71:72]
	v_add_f64 v[65:66], v[65:66], v[69:70]
	v_fma_f64 v[69:70], v[57:58], v[73:74], v[129:130]
	v_add_f64 v[0:1], v[0:1], v[77:78]
	s_clause 0x2
	buffer_load_dword v120, off, s[0:3], 0 offset:364
	buffer_load_dword v74, off, s[0:3], 0 offset:340
	;; [unrolled: 1-line block ×3, first 2 shown]
	s_waitcnt vmcnt(58) lgkmcnt(0)
	v_mul_f64 v[77:78], v[51:52], v[81:82]
	v_mul_f64 v[81:82], v[53:54], v[81:82]
	s_waitcnt vmcnt(56)
	v_fma_f64 v[79:80], v[59:60], v[85:86], -v[79:80]
	ds_read_b128 v[55:58], v2 offset:496
	v_add_f64 v[65:66], v[65:66], v[71:72]
	v_fma_f64 v[71:72], v[61:62], v[85:86], v[135:136]
	v_add_f64 v[0:1], v[0:1], v[69:70]
	s_clause 0x2
	buffer_load_dword v70, off, s[0:3], 0 offset:380
	buffer_load_dword v69, off, s[0:3], 0 offset:376
	;; [unrolled: 1-line block ×3, first 2 shown]
	ds_read_b128 v[59:62], v2 offset:512
	s_waitcnt vmcnt(55) lgkmcnt(1)
	v_mul_f64 v[85:86], v[55:56], v[87:88]
	v_mul_f64 v[87:88], v[57:58], v[87:88]
	s_waitcnt vmcnt(54)
	v_fma_f64 v[81:82], v[51:52], v[83:84], -v[81:82]
	v_fma_f64 v[77:78], v[53:54], v[83:84], v[77:78]
	v_add_f64 v[65:66], v[65:66], v[79:80]
	v_add_f64 v[0:1], v[0:1], v[71:72]
	s_clause 0x1
	buffer_load_dword v72, off, s[0:3], 0 offset:372
	buffer_load_dword v71, off, s[0:3], 0 offset:368
	s_waitcnt vmcnt(55) lgkmcnt(0)
	v_mul_f64 v[83:84], v[61:62], v[89:90]
	ds_read_b128 v[51:54], v2 offset:528
	s_waitcnt vmcnt(53)
	v_fma_f64 v[87:88], v[55:56], v[93:94], -v[87:88]
	v_mul_f64 v[79:80], v[59:60], v[89:90]
	v_add_f64 v[65:66], v[65:66], v[81:82]
	v_fma_f64 v[81:82], v[57:58], v[93:94], v[85:86]
	v_add_f64 v[0:1], v[0:1], v[77:78]
	ds_read_b128 v[55:58], v2 offset:544
	s_waitcnt vmcnt(49) lgkmcnt(1)
	v_mul_f64 v[85:86], v[53:54], v[95:96]
	s_waitcnt vmcnt(48)
	v_fma_f64 v[83:84], v[59:60], v[91:92], -v[83:84]
	v_mul_f64 v[77:78], v[51:52], v[95:96]
	v_fma_f64 v[79:80], v[61:62], v[91:92], v[79:80]
	v_add_f64 v[65:66], v[65:66], v[87:88]
	s_waitcnt vmcnt(47) lgkmcnt(0)
	v_mul_f64 v[91:92], v[57:58], v[97:98]
	v_add_f64 v[0:1], v[0:1], v[81:82]
	s_clause 0x3
	buffer_load_dword v81, off, s[0:3], 0 offset:16
	buffer_load_dword v82, off, s[0:3], 0 offset:20
	;; [unrolled: 1-line block ×4, first 2 shown]
	s_waitcnt vmcnt(49)
	v_fma_f64 v[85:86], v[51:52], v[101:102], -v[85:86]
	ds_read_b128 v[59:62], v2 offset:560
	v_mul_f64 v[89:90], v[55:56], v[97:98]
	v_fma_f64 v[77:78], v[53:54], v[101:102], v[77:78]
	ds_read_b128 v[51:54], v2 offset:576
	v_add_f64 v[65:66], v[65:66], v[83:84]
	s_waitcnt vmcnt(44)
	v_fma_f64 v[91:92], v[55:56], v[99:100], -v[91:92]
	v_add_f64 v[0:1], v[0:1], v[79:80]
	s_waitcnt lgkmcnt(1)
	v_mul_f64 v[83:84], v[61:62], v[103:104]
	v_mul_f64 v[79:80], v[59:60], v[103:104]
	v_add_f64 v[65:66], v[65:66], v[85:86]
	v_fma_f64 v[85:86], v[57:58], v[99:100], v[89:90]
	v_add_f64 v[0:1], v[0:1], v[77:78]
	s_waitcnt vmcnt(43) lgkmcnt(0)
	v_mul_f64 v[89:90], v[53:54], v[105:106]
	s_waitcnt vmcnt(41)
	v_fma_f64 v[83:84], v[59:60], v[109:110], -v[83:84]
	ds_read_b128 v[55:58], v2 offset:592
	v_mul_f64 v[77:78], v[51:52], v[105:106]
	v_fma_f64 v[79:80], v[61:62], v[109:110], v[79:80]
	ds_read_b128 v[59:62], v2 offset:608
	v_add_f64 v[65:66], v[65:66], v[91:92]
	v_add_f64 v[0:1], v[0:1], v[85:86]
	s_waitcnt vmcnt(37) lgkmcnt(1)
	v_mul_f64 v[91:92], v[57:58], v[111:112]
	s_waitcnt vmcnt(36)
	v_fma_f64 v[89:90], v[51:52], v[107:108], -v[89:90]
	v_mul_f64 v[85:86], v[55:56], v[111:112]
	v_fma_f64 v[77:78], v[53:54], v[107:108], v[77:78]
	ds_read_b128 v[51:54], v2 offset:624
	v_add_f64 v[65:66], v[65:66], v[83:84]
	s_waitcnt vmcnt(35) lgkmcnt(1)
	v_mul_f64 v[83:84], v[61:62], v[113:114]
	v_add_f64 v[0:1], v[0:1], v[79:80]
	s_waitcnt vmcnt(33)
	v_fma_f64 v[91:92], v[55:56], v[117:118], -v[91:92]
	v_mul_f64 v[79:80], v[59:60], v[113:114]
	v_fma_f64 v[85:86], v[57:58], v[117:118], v[85:86]
	ds_read_b128 v[55:58], v2 offset:640
	v_add_f64 v[65:66], v[65:66], v[89:90]
	s_waitcnt vmcnt(29) lgkmcnt(1)
	v_mul_f64 v[89:90], v[53:54], v[121:122]
	v_add_f64 v[0:1], v[0:1], v[77:78]
	s_waitcnt vmcnt(28)
	v_fma_f64 v[83:84], v[59:60], v[115:116], -v[83:84]
	v_mul_f64 v[77:78], v[51:52], v[121:122]
	v_fma_f64 v[79:80], v[61:62], v[115:116], v[79:80]
	ds_read_b128 v[59:62], v2 offset:656
	v_add_f64 v[65:66], v[65:66], v[91:92]
	v_add_f64 v[0:1], v[0:1], v[85:86]
	s_waitcnt vmcnt(27) lgkmcnt(1)
	v_mul_f64 v[91:92], v[57:58], v[123:124]
	v_mul_f64 v[85:86], v[55:56], v[123:124]
	s_waitcnt vmcnt(25)
	v_fma_f64 v[89:90], v[51:52], v[63:64], -v[89:90]
	v_fma_f64 v[63:64], v[53:54], v[63:64], v[77:78]
	ds_read_b128 v[51:54], v2 offset:672
	s_waitcnt vmcnt(21) lgkmcnt(1)
	v_mul_f64 v[77:78], v[59:60], v[67:68]
	v_mul_f64 v[67:68], v[61:62], v[67:68]
	v_add_f64 v[65:66], v[65:66], v[83:84]
	v_add_f64 v[0:1], v[0:1], v[79:80]
	s_waitcnt vmcnt(20)
	v_fma_f64 v[79:80], v[55:56], v[125:126], -v[91:92]
	v_fma_f64 v[83:84], v[57:58], v[125:126], v[85:86]
	ds_read_b128 v[55:58], v2 offset:688
	v_add_f64 v[65:66], v[65:66], v[89:90]
	v_add_f64 v[0:1], v[0:1], v[63:64]
	s_waitcnt vmcnt(19) lgkmcnt(1)
	v_mul_f64 v[85:86], v[53:54], v[127:128]
	v_mul_f64 v[63:64], v[51:52], v[127:128]
	s_waitcnt vmcnt(17)
	v_fma_f64 v[67:68], v[59:60], v[3:4], -v[67:68]
	v_fma_f64 v[3:4], v[61:62], v[3:4], v[77:78]
	ds_read_b128 v[59:62], v2 offset:704
	v_add_f64 v[65:66], v[65:66], v[79:80]
	v_add_f64 v[0:1], v[0:1], v[83:84]
	s_waitcnt vmcnt(13) lgkmcnt(1)
	v_mul_f64 v[77:78], v[55:56], v[75:76]
	v_mul_f64 v[75:76], v[57:58], v[75:76]
	s_waitcnt vmcnt(12)
	v_fma_f64 v[51:52], v[51:52], v[132:133], -v[85:86]
	v_fma_f64 v[53:54], v[53:54], v[132:133], v[63:64]
	v_add_f64 v[65:66], v[65:66], v[67:68]
	v_add_f64 v[63:64], v[0:1], v[3:4]
	ds_read_b128 v[0:3], v2 offset:720
	s_waitcnt vmcnt(11) lgkmcnt(1)
	v_mul_f64 v[79:80], v[61:62], v[119:120]
	v_mul_f64 v[67:68], v[59:60], v[119:120]
	s_waitcnt vmcnt(9)
	v_fma_f64 v[55:56], v[55:56], v[73:74], -v[75:76]
	v_fma_f64 v[57:58], v[57:58], v[73:74], v[77:78]
	v_add_f64 v[51:52], v[65:66], v[51:52]
	v_add_f64 v[53:54], v[63:64], v[53:54]
	s_waitcnt vmcnt(7) lgkmcnt(0)
	v_mul_f64 v[65:66], v[2:3], v[69:70]
	s_waitcnt vmcnt(6)
	v_fma_f64 v[59:60], v[59:60], v[134:135], -v[79:80]
	v_mul_f64 v[63:64], v[0:1], v[69:70]
	v_add_f64 v[51:52], v[51:52], v[55:56]
	v_fma_f64 v[55:56], v[61:62], v[134:135], v[67:68]
	v_add_f64 v[53:54], v[53:54], v[57:58]
	s_waitcnt vmcnt(4)
	v_fma_f64 v[0:1], v[0:1], v[71:72], -v[65:66]
	v_fma_f64 v[2:3], v[2:3], v[71:72], v[63:64]
	v_add_f64 v[51:52], v[51:52], v[59:60]
	v_add_f64 v[53:54], v[53:54], v[55:56]
	;; [unrolled: 1-line block ×4, first 2 shown]
	s_waitcnt vmcnt(2)
	v_add_f64 v[0:1], v[81:82], -v[0:1]
	s_waitcnt vmcnt(0)
	v_add_f64 v[2:3], v[87:88], -v[2:3]
	buffer_store_dword v1, off, s[0:3], 0 offset:20
	buffer_store_dword v0, off, s[0:3], 0 offset:16
	;; [unrolled: 1-line block ×4, first 2 shown]
	s_cbranch_vccz .LBB86_196
; %bb.152:
	v_mov_b32_e32 v0, 0
	global_load_dword v1, v0, s[12:13] offset:84
	s_waitcnt vmcnt(0)
	v_add_nc_u32_e32 v1, -1, v1
	v_cmp_ne_u32_e32 vcc_lo, 21, v1
	s_cbranch_vccz .LBB86_154
; %bb.153:
	v_lshlrev_b32_e32 v1, 4, v1
	v_mov_b32_e32 v2, s9
	v_add_nc_u32_e32 v1, 16, v1
	s_clause 0x7
	buffer_load_dword v3, v1, s[0:3], 0 offen
	buffer_load_dword v4, v1, s[0:3], 0 offen offset:4
	buffer_load_dword v51, v1, s[0:3], 0 offen offset:8
	;; [unrolled: 1-line block ×6, first 2 shown]
	buffer_load_dword v56, v2, s[0:3], 0 offen
	s_waitcnt vmcnt(7)
	buffer_store_dword v3, v2, s[0:3], 0 offen
	s_waitcnt vmcnt(6)
	buffer_store_dword v4, v2, s[0:3], 0 offen offset:4
	s_waitcnt vmcnt(5)
	buffer_store_dword v51, v2, s[0:3], 0 offen offset:8
	;; [unrolled: 2-line block ×6, first 2 shown]
	s_waitcnt vmcnt(0)
	buffer_store_dword v56, v1, s[0:3], 0 offen
.LBB86_154:
	global_load_dword v0, v0, s[12:13] offset:80
	s_waitcnt vmcnt(0)
	v_add_nc_u32_e32 v0, -1, v0
	v_cmp_eq_u32_e32 vcc_lo, 20, v0
	s_cbranch_vccnz .LBB86_156
; %bb.155:
	v_lshlrev_b32_e32 v0, 4, v0
	v_mov_b32_e32 v1, s14
	v_add_nc_u32_e32 v0, 16, v0
	s_clause 0x7
	buffer_load_dword v2, v0, s[0:3], 0 offen
	buffer_load_dword v3, v0, s[0:3], 0 offen offset:4
	buffer_load_dword v4, v0, s[0:3], 0 offen offset:8
	;; [unrolled: 1-line block ×6, first 2 shown]
	buffer_load_dword v55, v1, s[0:3], 0 offen
	s_waitcnt vmcnt(7)
	buffer_store_dword v2, v1, s[0:3], 0 offen
	s_waitcnt vmcnt(6)
	buffer_store_dword v3, v1, s[0:3], 0 offen offset:4
	s_waitcnt vmcnt(5)
	buffer_store_dword v4, v1, s[0:3], 0 offen offset:8
	;; [unrolled: 2-line block ×6, first 2 shown]
	s_waitcnt vmcnt(0)
	buffer_store_dword v55, v0, s[0:3], 0 offen
.LBB86_156:
	v_mov_b32_e32 v0, 0
	global_load_dword v1, v0, s[12:13] offset:76
	s_waitcnt vmcnt(0)
	v_add_nc_u32_e32 v1, -1, v1
	v_cmp_eq_u32_e32 vcc_lo, 19, v1
	s_cbranch_vccnz .LBB86_158
; %bb.157:
	v_lshlrev_b32_e32 v1, 4, v1
	v_mov_b32_e32 v2, s15
	v_add_nc_u32_e32 v1, 16, v1
	s_clause 0x7
	buffer_load_dword v3, v1, s[0:3], 0 offen
	buffer_load_dword v4, v1, s[0:3], 0 offen offset:4
	buffer_load_dword v51, v1, s[0:3], 0 offen offset:8
	;; [unrolled: 1-line block ×6, first 2 shown]
	buffer_load_dword v56, v2, s[0:3], 0 offen
	s_waitcnt vmcnt(7)
	buffer_store_dword v3, v2, s[0:3], 0 offen
	s_waitcnt vmcnt(6)
	buffer_store_dword v4, v2, s[0:3], 0 offen offset:4
	s_waitcnt vmcnt(5)
	buffer_store_dword v51, v2, s[0:3], 0 offen offset:8
	;; [unrolled: 2-line block ×6, first 2 shown]
	s_waitcnt vmcnt(0)
	buffer_store_dword v56, v1, s[0:3], 0 offen
.LBB86_158:
	global_load_dword v0, v0, s[12:13] offset:72
	s_waitcnt vmcnt(0)
	v_add_nc_u32_e32 v0, -1, v0
	v_cmp_eq_u32_e32 vcc_lo, 18, v0
	s_cbranch_vccnz .LBB86_160
; %bb.159:
	v_lshlrev_b32_e32 v0, 4, v0
	v_mov_b32_e32 v1, s16
	v_add_nc_u32_e32 v0, 16, v0
	s_clause 0x7
	buffer_load_dword v2, v0, s[0:3], 0 offen
	buffer_load_dword v3, v0, s[0:3], 0 offen offset:4
	buffer_load_dword v4, v0, s[0:3], 0 offen offset:8
	;; [unrolled: 1-line block ×6, first 2 shown]
	buffer_load_dword v55, v1, s[0:3], 0 offen
	s_waitcnt vmcnt(7)
	buffer_store_dword v2, v1, s[0:3], 0 offen
	s_waitcnt vmcnt(6)
	buffer_store_dword v3, v1, s[0:3], 0 offen offset:4
	s_waitcnt vmcnt(5)
	buffer_store_dword v4, v1, s[0:3], 0 offen offset:8
	;; [unrolled: 2-line block ×6, first 2 shown]
	s_waitcnt vmcnt(0)
	buffer_store_dword v55, v0, s[0:3], 0 offen
.LBB86_160:
	v_mov_b32_e32 v0, 0
	global_load_dword v1, v0, s[12:13] offset:68
	s_waitcnt vmcnt(0)
	v_add_nc_u32_e32 v1, -1, v1
	v_cmp_eq_u32_e32 vcc_lo, 17, v1
	s_cbranch_vccnz .LBB86_162
; %bb.161:
	v_lshlrev_b32_e32 v1, 4, v1
	v_mov_b32_e32 v2, s17
	v_add_nc_u32_e32 v1, 16, v1
	s_clause 0x7
	buffer_load_dword v3, v1, s[0:3], 0 offen
	buffer_load_dword v4, v1, s[0:3], 0 offen offset:4
	buffer_load_dword v51, v1, s[0:3], 0 offen offset:8
	;; [unrolled: 1-line block ×6, first 2 shown]
	buffer_load_dword v56, v2, s[0:3], 0 offen
	s_waitcnt vmcnt(7)
	buffer_store_dword v3, v2, s[0:3], 0 offen
	s_waitcnt vmcnt(6)
	buffer_store_dword v4, v2, s[0:3], 0 offen offset:4
	s_waitcnt vmcnt(5)
	buffer_store_dword v51, v2, s[0:3], 0 offen offset:8
	;; [unrolled: 2-line block ×6, first 2 shown]
	s_waitcnt vmcnt(0)
	buffer_store_dword v56, v1, s[0:3], 0 offen
.LBB86_162:
	global_load_dword v0, v0, s[12:13] offset:64
	s_waitcnt vmcnt(0)
	v_add_nc_u32_e32 v0, -1, v0
	v_cmp_eq_u32_e32 vcc_lo, 16, v0
	s_cbranch_vccnz .LBB86_164
; %bb.163:
	v_lshlrev_b32_e32 v0, 4, v0
	v_mov_b32_e32 v1, s18
	v_add_nc_u32_e32 v0, 16, v0
	s_clause 0x7
	buffer_load_dword v2, v0, s[0:3], 0 offen
	buffer_load_dword v3, v0, s[0:3], 0 offen offset:4
	buffer_load_dword v4, v0, s[0:3], 0 offen offset:8
	;; [unrolled: 1-line block ×6, first 2 shown]
	buffer_load_dword v55, v1, s[0:3], 0 offen
	s_waitcnt vmcnt(7)
	buffer_store_dword v2, v1, s[0:3], 0 offen
	s_waitcnt vmcnt(6)
	buffer_store_dword v3, v1, s[0:3], 0 offen offset:4
	s_waitcnt vmcnt(5)
	buffer_store_dword v4, v1, s[0:3], 0 offen offset:8
	;; [unrolled: 2-line block ×6, first 2 shown]
	s_waitcnt vmcnt(0)
	buffer_store_dword v55, v0, s[0:3], 0 offen
.LBB86_164:
	v_mov_b32_e32 v0, 0
	global_load_dword v1, v0, s[12:13] offset:60
	s_waitcnt vmcnt(0)
	v_add_nc_u32_e32 v1, -1, v1
	v_cmp_eq_u32_e32 vcc_lo, 15, v1
	s_cbranch_vccnz .LBB86_166
; %bb.165:
	v_lshlrev_b32_e32 v1, 4, v1
	v_mov_b32_e32 v2, s19
	v_add_nc_u32_e32 v1, 16, v1
	s_clause 0x7
	buffer_load_dword v3, v1, s[0:3], 0 offen
	buffer_load_dword v4, v1, s[0:3], 0 offen offset:4
	buffer_load_dword v51, v1, s[0:3], 0 offen offset:8
	;; [unrolled: 1-line block ×6, first 2 shown]
	buffer_load_dword v56, v2, s[0:3], 0 offen
	s_waitcnt vmcnt(7)
	buffer_store_dword v3, v2, s[0:3], 0 offen
	s_waitcnt vmcnt(6)
	buffer_store_dword v4, v2, s[0:3], 0 offen offset:4
	s_waitcnt vmcnt(5)
	buffer_store_dword v51, v2, s[0:3], 0 offen offset:8
	;; [unrolled: 2-line block ×6, first 2 shown]
	s_waitcnt vmcnt(0)
	buffer_store_dword v56, v1, s[0:3], 0 offen
.LBB86_166:
	global_load_dword v0, v0, s[12:13] offset:56
	s_waitcnt vmcnt(0)
	v_add_nc_u32_e32 v0, -1, v0
	v_cmp_eq_u32_e32 vcc_lo, 14, v0
	s_cbranch_vccnz .LBB86_168
; %bb.167:
	v_lshlrev_b32_e32 v0, 4, v0
	v_mov_b32_e32 v1, s20
	v_add_nc_u32_e32 v0, 16, v0
	s_clause 0x7
	buffer_load_dword v2, v0, s[0:3], 0 offen
	buffer_load_dword v3, v0, s[0:3], 0 offen offset:4
	buffer_load_dword v4, v0, s[0:3], 0 offen offset:8
	;; [unrolled: 1-line block ×6, first 2 shown]
	buffer_load_dword v55, v1, s[0:3], 0 offen
	s_waitcnt vmcnt(7)
	buffer_store_dword v2, v1, s[0:3], 0 offen
	s_waitcnt vmcnt(6)
	buffer_store_dword v3, v1, s[0:3], 0 offen offset:4
	s_waitcnt vmcnt(5)
	buffer_store_dword v4, v1, s[0:3], 0 offen offset:8
	;; [unrolled: 2-line block ×6, first 2 shown]
	s_waitcnt vmcnt(0)
	buffer_store_dword v55, v0, s[0:3], 0 offen
.LBB86_168:
	v_mov_b32_e32 v0, 0
	global_load_dword v1, v0, s[12:13] offset:52
	s_waitcnt vmcnt(0)
	v_add_nc_u32_e32 v1, -1, v1
	v_cmp_eq_u32_e32 vcc_lo, 13, v1
	s_cbranch_vccnz .LBB86_170
; %bb.169:
	v_lshlrev_b32_e32 v1, 4, v1
	v_mov_b32_e32 v2, s21
	v_add_nc_u32_e32 v1, 16, v1
	s_clause 0x7
	buffer_load_dword v3, v1, s[0:3], 0 offen
	buffer_load_dword v4, v1, s[0:3], 0 offen offset:4
	buffer_load_dword v51, v1, s[0:3], 0 offen offset:8
	;; [unrolled: 1-line block ×6, first 2 shown]
	buffer_load_dword v56, v2, s[0:3], 0 offen
	s_waitcnt vmcnt(7)
	buffer_store_dword v3, v2, s[0:3], 0 offen
	s_waitcnt vmcnt(6)
	buffer_store_dword v4, v2, s[0:3], 0 offen offset:4
	s_waitcnt vmcnt(5)
	buffer_store_dword v51, v2, s[0:3], 0 offen offset:8
	s_waitcnt vmcnt(4)
	buffer_store_dword v52, v2, s[0:3], 0 offen offset:12
	s_waitcnt vmcnt(3)
	buffer_store_dword v53, v1, s[0:3], 0 offen offset:12
	s_waitcnt vmcnt(2)
	buffer_store_dword v54, v1, s[0:3], 0 offen offset:8
	s_waitcnt vmcnt(1)
	buffer_store_dword v55, v1, s[0:3], 0 offen offset:4
	s_waitcnt vmcnt(0)
	buffer_store_dword v56, v1, s[0:3], 0 offen
.LBB86_170:
	global_load_dword v0, v0, s[12:13] offset:48
	s_waitcnt vmcnt(0)
	v_add_nc_u32_e32 v0, -1, v0
	v_cmp_eq_u32_e32 vcc_lo, 12, v0
	s_cbranch_vccnz .LBB86_172
; %bb.171:
	v_lshlrev_b32_e32 v0, 4, v0
	v_mov_b32_e32 v1, s22
	v_add_nc_u32_e32 v0, 16, v0
	s_clause 0x7
	buffer_load_dword v2, v0, s[0:3], 0 offen
	buffer_load_dword v3, v0, s[0:3], 0 offen offset:4
	buffer_load_dword v4, v0, s[0:3], 0 offen offset:8
	;; [unrolled: 1-line block ×6, first 2 shown]
	buffer_load_dword v55, v1, s[0:3], 0 offen
	s_waitcnt vmcnt(7)
	buffer_store_dword v2, v1, s[0:3], 0 offen
	s_waitcnt vmcnt(6)
	buffer_store_dword v3, v1, s[0:3], 0 offen offset:4
	s_waitcnt vmcnt(5)
	buffer_store_dword v4, v1, s[0:3], 0 offen offset:8
	;; [unrolled: 2-line block ×6, first 2 shown]
	s_waitcnt vmcnt(0)
	buffer_store_dword v55, v0, s[0:3], 0 offen
.LBB86_172:
	v_mov_b32_e32 v0, 0
	global_load_dword v1, v0, s[12:13] offset:44
	s_waitcnt vmcnt(0)
	v_add_nc_u32_e32 v1, -1, v1
	v_cmp_eq_u32_e32 vcc_lo, 11, v1
	s_cbranch_vccnz .LBB86_174
; %bb.173:
	v_lshlrev_b32_e32 v1, 4, v1
	v_mov_b32_e32 v2, s23
	v_add_nc_u32_e32 v1, 16, v1
	s_clause 0x7
	buffer_load_dword v3, v1, s[0:3], 0 offen
	buffer_load_dword v4, v1, s[0:3], 0 offen offset:4
	buffer_load_dword v51, v1, s[0:3], 0 offen offset:8
	;; [unrolled: 1-line block ×6, first 2 shown]
	buffer_load_dword v56, v2, s[0:3], 0 offen
	s_waitcnt vmcnt(7)
	buffer_store_dword v3, v2, s[0:3], 0 offen
	s_waitcnt vmcnt(6)
	buffer_store_dword v4, v2, s[0:3], 0 offen offset:4
	s_waitcnt vmcnt(5)
	buffer_store_dword v51, v2, s[0:3], 0 offen offset:8
	;; [unrolled: 2-line block ×6, first 2 shown]
	s_waitcnt vmcnt(0)
	buffer_store_dword v56, v1, s[0:3], 0 offen
.LBB86_174:
	global_load_dword v0, v0, s[12:13] offset:40
	s_waitcnt vmcnt(0)
	v_add_nc_u32_e32 v0, -1, v0
	v_cmp_eq_u32_e32 vcc_lo, 10, v0
	s_cbranch_vccnz .LBB86_176
; %bb.175:
	v_lshlrev_b32_e32 v0, 4, v0
	v_mov_b32_e32 v1, s24
	v_add_nc_u32_e32 v0, 16, v0
	s_clause 0x7
	buffer_load_dword v2, v0, s[0:3], 0 offen
	buffer_load_dword v3, v0, s[0:3], 0 offen offset:4
	buffer_load_dword v4, v0, s[0:3], 0 offen offset:8
	;; [unrolled: 1-line block ×6, first 2 shown]
	buffer_load_dword v55, v1, s[0:3], 0 offen
	s_waitcnt vmcnt(7)
	buffer_store_dword v2, v1, s[0:3], 0 offen
	s_waitcnt vmcnt(6)
	buffer_store_dword v3, v1, s[0:3], 0 offen offset:4
	s_waitcnt vmcnt(5)
	buffer_store_dword v4, v1, s[0:3], 0 offen offset:8
	s_waitcnt vmcnt(4)
	buffer_store_dword v51, v1, s[0:3], 0 offen offset:12
	s_waitcnt vmcnt(3)
	buffer_store_dword v52, v0, s[0:3], 0 offen offset:12
	s_waitcnt vmcnt(2)
	buffer_store_dword v53, v0, s[0:3], 0 offen offset:8
	s_waitcnt vmcnt(1)
	buffer_store_dword v54, v0, s[0:3], 0 offen offset:4
	s_waitcnt vmcnt(0)
	buffer_store_dword v55, v0, s[0:3], 0 offen
.LBB86_176:
	v_mov_b32_e32 v0, 0
	global_load_dword v1, v0, s[12:13] offset:36
	s_waitcnt vmcnt(0)
	v_add_nc_u32_e32 v1, -1, v1
	v_cmp_eq_u32_e32 vcc_lo, 9, v1
	s_cbranch_vccnz .LBB86_178
; %bb.177:
	v_lshlrev_b32_e32 v1, 4, v1
	v_mov_b32_e32 v2, s25
	v_add_nc_u32_e32 v1, 16, v1
	s_clause 0x7
	buffer_load_dword v3, v1, s[0:3], 0 offen
	buffer_load_dword v4, v1, s[0:3], 0 offen offset:4
	buffer_load_dword v51, v1, s[0:3], 0 offen offset:8
	;; [unrolled: 1-line block ×6, first 2 shown]
	buffer_load_dword v56, v2, s[0:3], 0 offen
	s_waitcnt vmcnt(7)
	buffer_store_dword v3, v2, s[0:3], 0 offen
	s_waitcnt vmcnt(6)
	buffer_store_dword v4, v2, s[0:3], 0 offen offset:4
	s_waitcnt vmcnt(5)
	buffer_store_dword v51, v2, s[0:3], 0 offen offset:8
	;; [unrolled: 2-line block ×6, first 2 shown]
	s_waitcnt vmcnt(0)
	buffer_store_dword v56, v1, s[0:3], 0 offen
.LBB86_178:
	global_load_dword v0, v0, s[12:13] offset:32
	s_waitcnt vmcnt(0)
	v_add_nc_u32_e32 v0, -1, v0
	v_cmp_eq_u32_e32 vcc_lo, 8, v0
	s_cbranch_vccnz .LBB86_180
; %bb.179:
	v_lshlrev_b32_e32 v0, 4, v0
	v_mov_b32_e32 v1, s26
	v_add_nc_u32_e32 v0, 16, v0
	s_clause 0x7
	buffer_load_dword v2, v0, s[0:3], 0 offen
	buffer_load_dword v3, v0, s[0:3], 0 offen offset:4
	buffer_load_dword v4, v0, s[0:3], 0 offen offset:8
	;; [unrolled: 1-line block ×6, first 2 shown]
	buffer_load_dword v55, v1, s[0:3], 0 offen
	s_waitcnt vmcnt(7)
	buffer_store_dword v2, v1, s[0:3], 0 offen
	s_waitcnt vmcnt(6)
	buffer_store_dword v3, v1, s[0:3], 0 offen offset:4
	s_waitcnt vmcnt(5)
	buffer_store_dword v4, v1, s[0:3], 0 offen offset:8
	;; [unrolled: 2-line block ×6, first 2 shown]
	s_waitcnt vmcnt(0)
	buffer_store_dword v55, v0, s[0:3], 0 offen
.LBB86_180:
	v_mov_b32_e32 v0, 0
	global_load_dword v1, v0, s[12:13] offset:28
	s_waitcnt vmcnt(0)
	v_add_nc_u32_e32 v1, -1, v1
	v_cmp_eq_u32_e32 vcc_lo, 7, v1
	s_cbranch_vccnz .LBB86_182
; %bb.181:
	v_lshlrev_b32_e32 v1, 4, v1
	v_mov_b32_e32 v2, s27
	v_add_nc_u32_e32 v1, 16, v1
	s_clause 0x7
	buffer_load_dword v3, v1, s[0:3], 0 offen
	buffer_load_dword v4, v1, s[0:3], 0 offen offset:4
	buffer_load_dword v51, v1, s[0:3], 0 offen offset:8
	;; [unrolled: 1-line block ×6, first 2 shown]
	buffer_load_dword v56, v2, s[0:3], 0 offen
	s_waitcnt vmcnt(7)
	buffer_store_dword v3, v2, s[0:3], 0 offen
	s_waitcnt vmcnt(6)
	buffer_store_dword v4, v2, s[0:3], 0 offen offset:4
	s_waitcnt vmcnt(5)
	buffer_store_dword v51, v2, s[0:3], 0 offen offset:8
	;; [unrolled: 2-line block ×6, first 2 shown]
	s_waitcnt vmcnt(0)
	buffer_store_dword v56, v1, s[0:3], 0 offen
.LBB86_182:
	global_load_dword v0, v0, s[12:13] offset:24
	s_waitcnt vmcnt(0)
	v_add_nc_u32_e32 v0, -1, v0
	v_cmp_eq_u32_e32 vcc_lo, 6, v0
	s_cbranch_vccnz .LBB86_184
; %bb.183:
	v_lshlrev_b32_e32 v0, 4, v0
	v_mov_b32_e32 v1, s28
	v_add_nc_u32_e32 v0, 16, v0
	s_clause 0x7
	buffer_load_dword v2, v0, s[0:3], 0 offen
	buffer_load_dword v3, v0, s[0:3], 0 offen offset:4
	buffer_load_dword v4, v0, s[0:3], 0 offen offset:8
	;; [unrolled: 1-line block ×6, first 2 shown]
	buffer_load_dword v55, v1, s[0:3], 0 offen
	s_waitcnt vmcnt(7)
	buffer_store_dword v2, v1, s[0:3], 0 offen
	s_waitcnt vmcnt(6)
	buffer_store_dword v3, v1, s[0:3], 0 offen offset:4
	s_waitcnt vmcnt(5)
	buffer_store_dword v4, v1, s[0:3], 0 offen offset:8
	s_waitcnt vmcnt(4)
	buffer_store_dword v51, v1, s[0:3], 0 offen offset:12
	s_waitcnt vmcnt(3)
	buffer_store_dword v52, v0, s[0:3], 0 offen offset:12
	s_waitcnt vmcnt(2)
	buffer_store_dword v53, v0, s[0:3], 0 offen offset:8
	s_waitcnt vmcnt(1)
	buffer_store_dword v54, v0, s[0:3], 0 offen offset:4
	s_waitcnt vmcnt(0)
	buffer_store_dword v55, v0, s[0:3], 0 offen
.LBB86_184:
	v_mov_b32_e32 v0, 0
	global_load_dword v1, v0, s[12:13] offset:20
	s_waitcnt vmcnt(0)
	v_add_nc_u32_e32 v1, -1, v1
	v_cmp_eq_u32_e32 vcc_lo, 5, v1
	s_cbranch_vccnz .LBB86_186
; %bb.185:
	v_lshlrev_b32_e32 v1, 4, v1
	v_mov_b32_e32 v2, s29
	v_add_nc_u32_e32 v1, 16, v1
	s_clause 0x7
	buffer_load_dword v3, v1, s[0:3], 0 offen
	buffer_load_dword v4, v1, s[0:3], 0 offen offset:4
	buffer_load_dword v51, v1, s[0:3], 0 offen offset:8
	;; [unrolled: 1-line block ×6, first 2 shown]
	buffer_load_dword v56, v2, s[0:3], 0 offen
	s_waitcnt vmcnt(7)
	buffer_store_dword v3, v2, s[0:3], 0 offen
	s_waitcnt vmcnt(6)
	buffer_store_dword v4, v2, s[0:3], 0 offen offset:4
	s_waitcnt vmcnt(5)
	buffer_store_dword v51, v2, s[0:3], 0 offen offset:8
	;; [unrolled: 2-line block ×6, first 2 shown]
	s_waitcnt vmcnt(0)
	buffer_store_dword v56, v1, s[0:3], 0 offen
.LBB86_186:
	global_load_dword v0, v0, s[12:13] offset:16
	s_waitcnt vmcnt(0)
	v_add_nc_u32_e32 v0, -1, v0
	v_cmp_eq_u32_e32 vcc_lo, 4, v0
	s_cbranch_vccnz .LBB86_188
; %bb.187:
	v_lshlrev_b32_e32 v0, 4, v0
	v_mov_b32_e32 v1, s30
	v_add_nc_u32_e32 v0, 16, v0
	s_clause 0x7
	buffer_load_dword v2, v0, s[0:3], 0 offen
	buffer_load_dword v3, v0, s[0:3], 0 offen offset:4
	buffer_load_dword v4, v0, s[0:3], 0 offen offset:8
	;; [unrolled: 1-line block ×6, first 2 shown]
	buffer_load_dword v55, v1, s[0:3], 0 offen
	s_waitcnt vmcnt(7)
	buffer_store_dword v2, v1, s[0:3], 0 offen
	s_waitcnt vmcnt(6)
	buffer_store_dword v3, v1, s[0:3], 0 offen offset:4
	s_waitcnt vmcnt(5)
	buffer_store_dword v4, v1, s[0:3], 0 offen offset:8
	s_waitcnt vmcnt(4)
	buffer_store_dword v51, v1, s[0:3], 0 offen offset:12
	s_waitcnt vmcnt(3)
	buffer_store_dword v52, v0, s[0:3], 0 offen offset:12
	s_waitcnt vmcnt(2)
	buffer_store_dword v53, v0, s[0:3], 0 offen offset:8
	s_waitcnt vmcnt(1)
	buffer_store_dword v54, v0, s[0:3], 0 offen offset:4
	s_waitcnt vmcnt(0)
	buffer_store_dword v55, v0, s[0:3], 0 offen
.LBB86_188:
	v_mov_b32_e32 v0, 0
	global_load_dword v1, v0, s[12:13] offset:12
	s_waitcnt vmcnt(0)
	v_add_nc_u32_e32 v1, -1, v1
	v_cmp_eq_u32_e32 vcc_lo, 3, v1
	s_cbranch_vccnz .LBB86_190
; %bb.189:
	v_lshlrev_b32_e32 v1, 4, v1
	v_mov_b32_e32 v2, s31
	v_add_nc_u32_e32 v1, 16, v1
	s_clause 0x7
	buffer_load_dword v3, v1, s[0:3], 0 offen
	buffer_load_dword v4, v1, s[0:3], 0 offen offset:4
	buffer_load_dword v51, v1, s[0:3], 0 offen offset:8
	;; [unrolled: 1-line block ×6, first 2 shown]
	buffer_load_dword v56, v2, s[0:3], 0 offen
	s_waitcnt vmcnt(7)
	buffer_store_dword v3, v2, s[0:3], 0 offen
	s_waitcnt vmcnt(6)
	buffer_store_dword v4, v2, s[0:3], 0 offen offset:4
	s_waitcnt vmcnt(5)
	buffer_store_dword v51, v2, s[0:3], 0 offen offset:8
	;; [unrolled: 2-line block ×6, first 2 shown]
	s_waitcnt vmcnt(0)
	buffer_store_dword v56, v1, s[0:3], 0 offen
.LBB86_190:
	global_load_dword v0, v0, s[12:13] offset:8
	s_waitcnt vmcnt(0)
	v_add_nc_u32_e32 v0, -1, v0
	v_cmp_eq_u32_e32 vcc_lo, 2, v0
	s_cbranch_vccnz .LBB86_192
; %bb.191:
	v_lshlrev_b32_e32 v0, 4, v0
	v_mov_b32_e32 v1, s33
	v_add_nc_u32_e32 v0, 16, v0
	s_clause 0x7
	buffer_load_dword v2, v0, s[0:3], 0 offen
	buffer_load_dword v3, v0, s[0:3], 0 offen offset:4
	buffer_load_dword v4, v0, s[0:3], 0 offen offset:8
	;; [unrolled: 1-line block ×6, first 2 shown]
	buffer_load_dword v55, v1, s[0:3], 0 offen
	s_waitcnt vmcnt(7)
	buffer_store_dword v2, v1, s[0:3], 0 offen
	s_waitcnt vmcnt(6)
	buffer_store_dword v3, v1, s[0:3], 0 offen offset:4
	s_waitcnt vmcnt(5)
	buffer_store_dword v4, v1, s[0:3], 0 offen offset:8
	;; [unrolled: 2-line block ×6, first 2 shown]
	s_waitcnt vmcnt(0)
	buffer_store_dword v55, v0, s[0:3], 0 offen
.LBB86_192:
	v_mov_b32_e32 v0, 0
	global_load_dword v1, v0, s[12:13] offset:4
	s_waitcnt vmcnt(0)
	v_add_nc_u32_e32 v1, -1, v1
	v_cmp_eq_u32_e32 vcc_lo, 1, v1
	s_cbranch_vccnz .LBB86_194
; %bb.193:
	v_lshlrev_b32_e32 v1, 4, v1
	v_mov_b32_e32 v2, s34
	v_add_nc_u32_e32 v1, 16, v1
	s_clause 0x7
	buffer_load_dword v3, v1, s[0:3], 0 offen
	buffer_load_dword v4, v1, s[0:3], 0 offen offset:4
	buffer_load_dword v51, v1, s[0:3], 0 offen offset:8
	;; [unrolled: 1-line block ×6, first 2 shown]
	buffer_load_dword v56, v2, s[0:3], 0 offen
	s_waitcnt vmcnt(7)
	buffer_store_dword v3, v2, s[0:3], 0 offen
	s_waitcnt vmcnt(6)
	buffer_store_dword v4, v2, s[0:3], 0 offen offset:4
	s_waitcnt vmcnt(5)
	buffer_store_dword v51, v2, s[0:3], 0 offen offset:8
	;; [unrolled: 2-line block ×6, first 2 shown]
	s_waitcnt vmcnt(0)
	buffer_store_dword v56, v1, s[0:3], 0 offen
.LBB86_194:
	global_load_dword v0, v0, s[12:13]
	s_waitcnt vmcnt(0)
	v_add_nc_u32_e32 v0, -1, v0
	v_cmp_eq_u32_e32 vcc_lo, 0, v0
	s_cbranch_vccnz .LBB86_196
; %bb.195:
	v_lshlrev_b32_e32 v0, 4, v0
	v_add_nc_u32_e32 v0, 16, v0
	s_clause 0x7
	buffer_load_dword v1, v0, s[0:3], 0 offen
	buffer_load_dword v2, v0, s[0:3], 0 offen offset:4
	buffer_load_dword v3, v0, s[0:3], 0 offen offset:8
	buffer_load_dword v4, v0, s[0:3], 0 offen offset:12
	buffer_load_dword v51, off, s[0:3], 0 offset:28
	buffer_load_dword v52, off, s[0:3], 0 offset:24
	;; [unrolled: 1-line block ×4, first 2 shown]
	s_waitcnt vmcnt(7)
	buffer_store_dword v1, off, s[0:3], 0 offset:16
	s_waitcnt vmcnt(6)
	buffer_store_dword v2, off, s[0:3], 0 offset:20
	;; [unrolled: 2-line block ×4, first 2 shown]
	s_waitcnt vmcnt(3)
	buffer_store_dword v51, v0, s[0:3], 0 offen offset:12
	s_waitcnt vmcnt(2)
	buffer_store_dword v52, v0, s[0:3], 0 offen offset:8
	;; [unrolled: 2-line block ×3, first 2 shown]
	s_waitcnt vmcnt(0)
	buffer_store_dword v54, v0, s[0:3], 0 offen
.LBB86_196:
	s_clause 0x3
	buffer_load_dword v0, off, s[0:3], 0 offset:16
	buffer_load_dword v1, off, s[0:3], 0 offset:20
	;; [unrolled: 1-line block ×4, first 2 shown]
	v_mov_b32_e32 v4, s34
	s_waitcnt vmcnt(0)
	flat_store_dwordx4 v[5:6], v[0:3]
	s_clause 0x3
	buffer_load_dword v0, v4, s[0:3], 0 offen
	buffer_load_dword v1, v4, s[0:3], 0 offen offset:4
	buffer_load_dword v2, v4, s[0:3], 0 offen offset:8
	buffer_load_dword v3, v4, s[0:3], 0 offen offset:12
	v_mov_b32_e32 v4, s33
	s_waitcnt vmcnt(0)
	flat_store_dwordx4 v[7:8], v[0:3]
	s_clause 0x3
	buffer_load_dword v0, v4, s[0:3], 0 offen
	buffer_load_dword v1, v4, s[0:3], 0 offen offset:4
	buffer_load_dword v2, v4, s[0:3], 0 offen offset:8
	buffer_load_dword v3, v4, s[0:3], 0 offen offset:12
	;; [unrolled: 8-line block ×22, first 2 shown]
	s_waitcnt vmcnt(0)
	flat_store_dwordx4 v[49:50], v[0:3]
	s_endpgm
	.section	.rodata,"a",@progbits
	.p2align	6, 0x0
	.amdhsa_kernel _ZN9rocsolver6v33100L18getri_kernel_smallILi23E19rocblas_complex_numIdEPKPS3_EEvT1_iilPiilS8_bb
		.amdhsa_group_segment_fixed_size 744
		.amdhsa_private_segment_fixed_size 400
		.amdhsa_kernarg_size 60
		.amdhsa_user_sgpr_count 6
		.amdhsa_user_sgpr_private_segment_buffer 1
		.amdhsa_user_sgpr_dispatch_ptr 0
		.amdhsa_user_sgpr_queue_ptr 0
		.amdhsa_user_sgpr_kernarg_segment_ptr 1
		.amdhsa_user_sgpr_dispatch_id 0
		.amdhsa_user_sgpr_flat_scratch_init 0
		.amdhsa_user_sgpr_private_segment_size 0
		.amdhsa_wavefront_size32 1
		.amdhsa_uses_dynamic_stack 0
		.amdhsa_system_sgpr_private_segment_wavefront_offset 1
		.amdhsa_system_sgpr_workgroup_id_x 1
		.amdhsa_system_sgpr_workgroup_id_y 0
		.amdhsa_system_sgpr_workgroup_id_z 0
		.amdhsa_system_sgpr_workgroup_info 0
		.amdhsa_system_vgpr_workitem_id 0
		.amdhsa_next_free_vgpr 139
		.amdhsa_next_free_sgpr 45
		.amdhsa_reserve_vcc 1
		.amdhsa_reserve_flat_scratch 0
		.amdhsa_float_round_mode_32 0
		.amdhsa_float_round_mode_16_64 0
		.amdhsa_float_denorm_mode_32 3
		.amdhsa_float_denorm_mode_16_64 3
		.amdhsa_dx10_clamp 1
		.amdhsa_ieee_mode 1
		.amdhsa_fp16_overflow 0
		.amdhsa_workgroup_processor_mode 1
		.amdhsa_memory_ordered 1
		.amdhsa_forward_progress 1
		.amdhsa_shared_vgpr_count 0
		.amdhsa_exception_fp_ieee_invalid_op 0
		.amdhsa_exception_fp_denorm_src 0
		.amdhsa_exception_fp_ieee_div_zero 0
		.amdhsa_exception_fp_ieee_overflow 0
		.amdhsa_exception_fp_ieee_underflow 0
		.amdhsa_exception_fp_ieee_inexact 0
		.amdhsa_exception_int_div_zero 0
	.end_amdhsa_kernel
	.section	.text._ZN9rocsolver6v33100L18getri_kernel_smallILi23E19rocblas_complex_numIdEPKPS3_EEvT1_iilPiilS8_bb,"axG",@progbits,_ZN9rocsolver6v33100L18getri_kernel_smallILi23E19rocblas_complex_numIdEPKPS3_EEvT1_iilPiilS8_bb,comdat
.Lfunc_end86:
	.size	_ZN9rocsolver6v33100L18getri_kernel_smallILi23E19rocblas_complex_numIdEPKPS3_EEvT1_iilPiilS8_bb, .Lfunc_end86-_ZN9rocsolver6v33100L18getri_kernel_smallILi23E19rocblas_complex_numIdEPKPS3_EEvT1_iilPiilS8_bb
                                        ; -- End function
	.set _ZN9rocsolver6v33100L18getri_kernel_smallILi23E19rocblas_complex_numIdEPKPS3_EEvT1_iilPiilS8_bb.num_vgpr, 139
	.set _ZN9rocsolver6v33100L18getri_kernel_smallILi23E19rocblas_complex_numIdEPKPS3_EEvT1_iilPiilS8_bb.num_agpr, 0
	.set _ZN9rocsolver6v33100L18getri_kernel_smallILi23E19rocblas_complex_numIdEPKPS3_EEvT1_iilPiilS8_bb.numbered_sgpr, 45
	.set _ZN9rocsolver6v33100L18getri_kernel_smallILi23E19rocblas_complex_numIdEPKPS3_EEvT1_iilPiilS8_bb.num_named_barrier, 0
	.set _ZN9rocsolver6v33100L18getri_kernel_smallILi23E19rocblas_complex_numIdEPKPS3_EEvT1_iilPiilS8_bb.private_seg_size, 400
	.set _ZN9rocsolver6v33100L18getri_kernel_smallILi23E19rocblas_complex_numIdEPKPS3_EEvT1_iilPiilS8_bb.uses_vcc, 1
	.set _ZN9rocsolver6v33100L18getri_kernel_smallILi23E19rocblas_complex_numIdEPKPS3_EEvT1_iilPiilS8_bb.uses_flat_scratch, 0
	.set _ZN9rocsolver6v33100L18getri_kernel_smallILi23E19rocblas_complex_numIdEPKPS3_EEvT1_iilPiilS8_bb.has_dyn_sized_stack, 0
	.set _ZN9rocsolver6v33100L18getri_kernel_smallILi23E19rocblas_complex_numIdEPKPS3_EEvT1_iilPiilS8_bb.has_recursion, 0
	.set _ZN9rocsolver6v33100L18getri_kernel_smallILi23E19rocblas_complex_numIdEPKPS3_EEvT1_iilPiilS8_bb.has_indirect_call, 0
	.section	.AMDGPU.csdata,"",@progbits
; Kernel info:
; codeLenInByte = 46224
; TotalNumSgprs: 47
; NumVgprs: 139
; ScratchSize: 400
; MemoryBound: 0
; FloatMode: 240
; IeeeMode: 1
; LDSByteSize: 744 bytes/workgroup (compile time only)
; SGPRBlocks: 0
; VGPRBlocks: 17
; NumSGPRsForWavesPerEU: 47
; NumVGPRsForWavesPerEU: 139
; Occupancy: 7
; WaveLimiterHint : 1
; COMPUTE_PGM_RSRC2:SCRATCH_EN: 1
; COMPUTE_PGM_RSRC2:USER_SGPR: 6
; COMPUTE_PGM_RSRC2:TRAP_HANDLER: 0
; COMPUTE_PGM_RSRC2:TGID_X_EN: 1
; COMPUTE_PGM_RSRC2:TGID_Y_EN: 0
; COMPUTE_PGM_RSRC2:TGID_Z_EN: 0
; COMPUTE_PGM_RSRC2:TIDIG_COMP_CNT: 0
	.section	.text._ZN9rocsolver6v33100L18getri_kernel_smallILi24E19rocblas_complex_numIdEPKPS3_EEvT1_iilPiilS8_bb,"axG",@progbits,_ZN9rocsolver6v33100L18getri_kernel_smallILi24E19rocblas_complex_numIdEPKPS3_EEvT1_iilPiilS8_bb,comdat
	.globl	_ZN9rocsolver6v33100L18getri_kernel_smallILi24E19rocblas_complex_numIdEPKPS3_EEvT1_iilPiilS8_bb ; -- Begin function _ZN9rocsolver6v33100L18getri_kernel_smallILi24E19rocblas_complex_numIdEPKPS3_EEvT1_iilPiilS8_bb
	.p2align	8
	.type	_ZN9rocsolver6v33100L18getri_kernel_smallILi24E19rocblas_complex_numIdEPKPS3_EEvT1_iilPiilS8_bb,@function
_ZN9rocsolver6v33100L18getri_kernel_smallILi24E19rocblas_complex_numIdEPKPS3_EEvT1_iilPiilS8_bb: ; @_ZN9rocsolver6v33100L18getri_kernel_smallILi24E19rocblas_complex_numIdEPKPS3_EEvT1_iilPiilS8_bb
; %bb.0:
	s_add_u32 s0, s0, s7
	s_addc_u32 s1, s1, 0
	s_mov_b32 s7, exec_lo
	v_cmpx_gt_u32_e32 24, v0
	s_cbranch_execz .LBB87_110
; %bb.1:
	s_clause 0x2
	s_load_dword s16, s[4:5], 0x38
	s_load_dwordx2 s[12:13], s[4:5], 0x0
	s_load_dwordx4 s[8:11], s[4:5], 0x28
	s_waitcnt lgkmcnt(0)
	s_bitcmp1_b32 s16, 8
	s_cselect_b32 s36, -1, 0
	s_ashr_i32 s7, s6, 31
	s_lshl_b64 s[14:15], s[6:7], 3
	s_add_u32 s12, s12, s14
	s_addc_u32 s13, s13, s15
	s_load_dwordx2 s[14:15], s[12:13], 0x0
	s_bfe_u32 s12, s16, 0x10008
	s_cmp_eq_u32 s12, 0
                                        ; implicit-def: $sgpr12_sgpr13
	s_cbranch_scc1 .LBB87_3
; %bb.2:
	s_clause 0x1
	s_load_dword s12, s[4:5], 0x20
	s_load_dwordx2 s[16:17], s[4:5], 0x18
	s_mul_i32 s13, s8, s7
	s_mul_hi_u32 s18, s8, s6
	s_mul_i32 s9, s9, s6
	s_add_i32 s13, s18, s13
	s_mul_i32 s8, s8, s6
	s_add_i32 s9, s13, s9
	s_lshl_b64 s[8:9], s[8:9], 2
	s_waitcnt lgkmcnt(0)
	s_ashr_i32 s13, s12, 31
	s_add_u32 s16, s16, s8
	s_addc_u32 s17, s17, s9
	s_lshl_b64 s[8:9], s[12:13], 2
	s_add_u32 s12, s16, s8
	s_addc_u32 s13, s17, s9
.LBB87_3:
	s_clause 0x1
	s_load_dwordx2 s[8:9], s[4:5], 0x8
	s_load_dword s4, s[4:5], 0x38
	v_lshlrev_b32_e32 v59, 4, v0
	s_movk_i32 s18, 0xb0
	s_movk_i32 s19, 0xc0
	;; [unrolled: 1-line block ×13, first 2 shown]
	s_mov_b32 s35, 32
	s_mov_b32 s34, 48
	;; [unrolled: 1-line block ×3, first 2 shown]
	s_movk_i32 s31, 0x50
	s_waitcnt lgkmcnt(0)
	s_ashr_i32 s17, s8, 31
	s_mov_b32 s16, s8
	v_add3_u32 v11, s9, s9, v0
	s_lshl_b64 s[16:17], s[16:17], 4
	s_add_u32 s5, s14, s16
	s_addc_u32 s8, s15, s17
	v_add_co_u32 v5, s14, s5, v59
	v_add_co_ci_u32_e64 v6, null, s8, 0, s14
	s_mov_b32 s14, s9
	s_ashr_i32 s15, s9, 31
	v_ashrrev_i32_e32 v12, 31, v11
	flat_load_dwordx4 v[1:4], v[5:6]
	s_lshl_b64 s[14:15], s[14:15], 4
	v_add_nc_u32_e32 v13, s9, v11
	v_add_co_u32 v7, vcc_lo, v5, s14
	v_add_co_ci_u32_e64 v8, null, s15, v6, vcc_lo
	v_lshlrev_b64 v[9:10], 4, v[11:12]
	v_ashrrev_i32_e32 v14, 31, v13
	v_add_nc_u32_e32 v15, s9, v13
	s_movk_i32 s14, 0x70
	s_movk_i32 s15, 0x80
	;; [unrolled: 1-line block ×3, first 2 shown]
	v_add_co_u32 v9, vcc_lo, s5, v9
	v_add_co_ci_u32_e64 v10, null, s8, v10, vcc_lo
	v_lshlrev_b64 v[11:12], 4, v[13:14]
	v_ashrrev_i32_e32 v16, 31, v15
	v_add_nc_u32_e32 v17, s9, v15
	s_movk_i32 s17, 0xa0
	s_add_i32 s28, s14, 16
	s_add_i32 s27, s15, 16
	v_add_co_u32 v11, vcc_lo, s5, v11
	v_add_co_ci_u32_e64 v12, null, s8, v12, vcc_lo
	v_lshlrev_b64 v[13:14], 4, v[15:16]
	v_ashrrev_i32_e32 v18, 31, v17
	v_add_nc_u32_e32 v19, s9, v17
	s_add_i32 s26, s16, 16
	s_add_i32 s25, s17, 16
	s_add_i32 s24, s18, 16
	v_add_co_u32 v13, vcc_lo, s5, v13
	v_add_co_ci_u32_e64 v14, null, s8, v14, vcc_lo
	v_lshlrev_b64 v[15:16], 4, v[17:18]
	v_ashrrev_i32_e32 v20, 31, v19
	v_add_nc_u32_e32 v21, s9, v19
	s_add_i32 s23, s19, 16
	;; [unrolled: 8-line block ×5, first 2 shown]
	s_waitcnt vmcnt(0) lgkmcnt(0)
	buffer_store_dword v4, off, s[0:3], 0 offset:28
	buffer_store_dword v3, off, s[0:3], 0 offset:24
	buffer_store_dword v2, off, s[0:3], 0 offset:20
	buffer_store_dword v1, off, s[0:3], 0 offset:16
	flat_load_dwordx4 v[1:4], v[7:8]
	v_add_co_u32 v21, vcc_lo, s5, v21
	v_add_co_ci_u32_e64 v22, null, s8, v22, vcc_lo
	v_lshlrev_b64 v[23:24], 4, v[25:26]
	v_ashrrev_i32_e32 v28, 31, v27
	v_add_nc_u32_e32 v29, s9, v27
	s_waitcnt vmcnt(0) lgkmcnt(0)
	buffer_store_dword v4, off, s[0:3], 0 offset:44
	buffer_store_dword v3, off, s[0:3], 0 offset:40
	buffer_store_dword v2, off, s[0:3], 0 offset:36
	buffer_store_dword v1, off, s[0:3], 0 offset:32
	flat_load_dwordx4 v[1:4], v[9:10]
	v_add_co_u32 v23, vcc_lo, s5, v23
	v_add_co_ci_u32_e64 v24, null, s8, v24, vcc_lo
	v_lshlrev_b64 v[25:26], 4, v[27:28]
	v_ashrrev_i32_e32 v30, 31, v29
	v_add_nc_u32_e32 v31, s9, v29
	;; [unrolled: 11-line block ×12, first 2 shown]
	s_waitcnt vmcnt(0) lgkmcnt(0)
	buffer_store_dword v4, off, s[0:3], 0 offset:220
	buffer_store_dword v3, off, s[0:3], 0 offset:216
	buffer_store_dword v2, off, s[0:3], 0 offset:212
	buffer_store_dword v1, off, s[0:3], 0 offset:208
	flat_load_dwordx4 v[1:4], v[31:32]
	v_add_co_u32 v45, vcc_lo, s5, v45
	v_add_co_ci_u32_e64 v46, null, s8, v46, vcc_lo
	v_lshlrev_b64 v[47:48], 4, v[49:50]
	v_ashrrev_i32_e32 v52, 31, v51
	s_waitcnt vmcnt(0) lgkmcnt(0)
	buffer_store_dword v4, off, s[0:3], 0 offset:236
	buffer_store_dword v3, off, s[0:3], 0 offset:232
	;; [unrolled: 1-line block ×4, first 2 shown]
	flat_load_dwordx4 v[1:4], v[33:34]
	v_add_co_u32 v47, vcc_lo, s5, v47
	v_add_co_ci_u32_e64 v48, null, s8, v48, vcc_lo
	v_lshlrev_b64 v[49:50], 4, v[51:52]
	v_add_nc_u32_e32 v51, s9, v51
	s_movk_i32 s9, 0x60
	s_waitcnt vmcnt(0) lgkmcnt(0)
	buffer_store_dword v4, off, s[0:3], 0 offset:252
	buffer_store_dword v3, off, s[0:3], 0 offset:248
	;; [unrolled: 1-line block ×4, first 2 shown]
	flat_load_dwordx4 v[1:4], v[35:36]
	v_add_co_u32 v49, vcc_lo, s5, v49
	v_add_co_ci_u32_e64 v50, null, s8, v50, vcc_lo
	v_ashrrev_i32_e32 v52, 31, v51
	s_add_i32 s29, s9, 16
	s_add_i32 s9, s44, 16
	s_waitcnt vmcnt(0) lgkmcnt(0)
	buffer_store_dword v4, off, s[0:3], 0 offset:268
	buffer_store_dword v3, off, s[0:3], 0 offset:264
	;; [unrolled: 1-line block ×4, first 2 shown]
	flat_load_dwordx4 v[1:4], v[37:38]
	v_lshlrev_b64 v[51:52], 4, v[51:52]
	s_waitcnt vmcnt(0) lgkmcnt(0)
	buffer_store_dword v4, off, s[0:3], 0 offset:284
	buffer_store_dword v3, off, s[0:3], 0 offset:280
	;; [unrolled: 1-line block ×4, first 2 shown]
	flat_load_dwordx4 v[1:4], v[39:40]
	v_add_co_u32 v51, vcc_lo, s5, v51
	v_add_co_ci_u32_e64 v52, null, s8, v52, vcc_lo
	s_movk_i32 s8, 0x50
	s_mov_b32 s5, -1
	s_add_i32 s30, s8, 16
	s_add_i32 s8, s45, 16
	s_bitcmp0_b32 s4, 0
	s_waitcnt vmcnt(0) lgkmcnt(0)
	buffer_store_dword v4, off, s[0:3], 0 offset:300
	buffer_store_dword v3, off, s[0:3], 0 offset:296
	buffer_store_dword v2, off, s[0:3], 0 offset:292
	buffer_store_dword v1, off, s[0:3], 0 offset:288
	flat_load_dwordx4 v[1:4], v[41:42]
	s_waitcnt vmcnt(0) lgkmcnt(0)
	buffer_store_dword v4, off, s[0:3], 0 offset:316
	buffer_store_dword v3, off, s[0:3], 0 offset:312
	buffer_store_dword v2, off, s[0:3], 0 offset:308
	buffer_store_dword v1, off, s[0:3], 0 offset:304
	flat_load_dwordx4 v[1:4], v[43:44]
	;; [unrolled: 6-line block ×6, first 2 shown]
	s_waitcnt vmcnt(0) lgkmcnt(0)
	buffer_store_dword v4, off, s[0:3], 0 offset:396
	buffer_store_dword v3, off, s[0:3], 0 offset:392
	;; [unrolled: 1-line block ×4, first 2 shown]
	s_cbranch_scc1 .LBB87_108
; %bb.4:
	v_cmp_eq_u32_e64 s4, 0, v0
	s_and_saveexec_b32 s5, s4
; %bb.5:
	v_mov_b32_e32 v1, 0
	ds_write_b32 v1, v1 offset:768
; %bb.6:
	s_or_b32 exec_lo, exec_lo, s5
	v_lshl_add_u32 v60, v0, 4, 16
	s_waitcnt lgkmcnt(0)
	s_waitcnt_vscnt null, 0x0
	s_barrier
	buffer_gl0_inv
	s_clause 0x3
	buffer_load_dword v1, v60, s[0:3], 0 offen
	buffer_load_dword v2, v60, s[0:3], 0 offen offset:4
	buffer_load_dword v3, v60, s[0:3], 0 offen offset:8
	;; [unrolled: 1-line block ×3, first 2 shown]
	s_waitcnt vmcnt(2)
	v_cmp_eq_f64_e32 vcc_lo, 0, v[1:2]
	s_waitcnt vmcnt(0)
	v_cmp_eq_f64_e64 s5, 0, v[3:4]
	s_and_b32 s5, vcc_lo, s5
	s_and_saveexec_b32 s37, s5
	s_cbranch_execz .LBB87_10
; %bb.7:
	v_mov_b32_e32 v1, 0
	s_mov_b32 s38, 0
	ds_read_b32 v2, v1 offset:768
	s_waitcnt lgkmcnt(0)
	v_readfirstlane_b32 s5, v2
	v_add_nc_u32_e32 v2, 1, v0
	s_cmp_eq_u32 s5, 0
	v_cmp_gt_i32_e32 vcc_lo, s5, v2
	s_cselect_b32 s39, -1, 0
	s_or_b32 s39, s39, vcc_lo
	s_and_b32 exec_lo, exec_lo, s39
	s_cbranch_execz .LBB87_10
; %bb.8:
	v_mov_b32_e32 v3, s5
.LBB87_9:                               ; =>This Inner Loop Header: Depth=1
	ds_cmpst_rtn_b32 v3, v1, v3, v2 offset:768
	s_waitcnt lgkmcnt(0)
	v_cmp_ne_u32_e32 vcc_lo, 0, v3
	v_cmp_le_i32_e64 s5, v3, v2
	s_and_b32 s5, vcc_lo, s5
	s_and_b32 s5, exec_lo, s5
	s_or_b32 s38, s5, s38
	s_andn2_b32 exec_lo, exec_lo, s38
	s_cbranch_execnz .LBB87_9
.LBB87_10:
	s_or_b32 exec_lo, exec_lo, s37
	v_mov_b32_e32 v1, 0
	s_barrier
	buffer_gl0_inv
	ds_read_b32 v2, v1 offset:768
	s_and_saveexec_b32 s5, s4
	s_cbranch_execz .LBB87_12
; %bb.11:
	s_lshl_b64 s[38:39], s[6:7], 2
	s_add_u32 s38, s10, s38
	s_addc_u32 s39, s11, s39
	s_waitcnt lgkmcnt(0)
	global_store_dword v1, v2, s[38:39]
.LBB87_12:
	s_or_b32 exec_lo, exec_lo, s5
	s_waitcnt lgkmcnt(0)
	v_cmp_ne_u32_e32 vcc_lo, 0, v2
	s_mov_b32 s5, 0
	s_cbranch_vccnz .LBB87_108
; %bb.13:
	s_clause 0x3
	buffer_load_dword v55, v60, s[0:3], 0 offen
	buffer_load_dword v56, v60, s[0:3], 0 offen offset:4
	buffer_load_dword v57, v60, s[0:3], 0 offen offset:8
	;; [unrolled: 1-line block ×3, first 2 shown]
                                        ; implicit-def: $vgpr53_vgpr54
                                        ; implicit-def: $vgpr3_vgpr4
	s_waitcnt vmcnt(0)
	v_cmp_ngt_f64_e64 s5, |v[55:56]|, |v[57:58]|
	s_and_saveexec_b32 s37, s5
	s_xor_b32 s5, exec_lo, s37
	s_cbranch_execz .LBB87_15
; %bb.14:
	v_div_scale_f64 v[1:2], null, v[57:58], v[57:58], v[55:56]
	v_div_scale_f64 v[61:62], vcc_lo, v[55:56], v[57:58], v[55:56]
	v_rcp_f64_e32 v[3:4], v[1:2]
	v_fma_f64 v[53:54], -v[1:2], v[3:4], 1.0
	v_fma_f64 v[3:4], v[3:4], v[53:54], v[3:4]
	v_fma_f64 v[53:54], -v[1:2], v[3:4], 1.0
	v_fma_f64 v[3:4], v[3:4], v[53:54], v[3:4]
	v_mul_f64 v[53:54], v[61:62], v[3:4]
	v_fma_f64 v[1:2], -v[1:2], v[53:54], v[61:62]
	v_div_fmas_f64 v[1:2], v[1:2], v[3:4], v[53:54]
	v_div_fixup_f64 v[1:2], v[1:2], v[57:58], v[55:56]
	v_fma_f64 v[3:4], v[55:56], v[1:2], v[57:58]
	v_div_scale_f64 v[53:54], null, v[3:4], v[3:4], 1.0
	v_div_scale_f64 v[61:62], vcc_lo, 1.0, v[3:4], 1.0
	v_rcp_f64_e32 v[55:56], v[53:54]
	v_fma_f64 v[57:58], -v[53:54], v[55:56], 1.0
	v_fma_f64 v[55:56], v[55:56], v[57:58], v[55:56]
	v_fma_f64 v[57:58], -v[53:54], v[55:56], 1.0
	v_fma_f64 v[55:56], v[55:56], v[57:58], v[55:56]
	v_mul_f64 v[57:58], v[61:62], v[55:56]
	v_fma_f64 v[53:54], -v[53:54], v[57:58], v[61:62]
	v_div_fmas_f64 v[53:54], v[53:54], v[55:56], v[57:58]
                                        ; implicit-def: $vgpr55_vgpr56
                                        ; implicit-def: $vgpr57_vgpr58
	v_div_fixup_f64 v[3:4], v[53:54], v[3:4], 1.0
	v_mul_f64 v[53:54], v[1:2], v[3:4]
	v_xor_b32_e32 v4, 0x80000000, v4
	v_xor_b32_e32 v2, 0x80000000, v54
	v_mov_b32_e32 v1, v53
.LBB87_15:
	s_andn2_saveexec_b32 s5, s5
	s_cbranch_execz .LBB87_17
; %bb.16:
	v_div_scale_f64 v[1:2], null, v[55:56], v[55:56], v[57:58]
	v_div_scale_f64 v[61:62], vcc_lo, v[57:58], v[55:56], v[57:58]
	v_rcp_f64_e32 v[3:4], v[1:2]
	v_fma_f64 v[53:54], -v[1:2], v[3:4], 1.0
	v_fma_f64 v[3:4], v[3:4], v[53:54], v[3:4]
	v_fma_f64 v[53:54], -v[1:2], v[3:4], 1.0
	v_fma_f64 v[3:4], v[3:4], v[53:54], v[3:4]
	v_mul_f64 v[53:54], v[61:62], v[3:4]
	v_fma_f64 v[1:2], -v[1:2], v[53:54], v[61:62]
	v_div_fmas_f64 v[1:2], v[1:2], v[3:4], v[53:54]
	v_div_fixup_f64 v[1:2], v[1:2], v[55:56], v[57:58]
	v_fma_f64 v[3:4], v[57:58], v[1:2], v[55:56]
	v_div_scale_f64 v[53:54], null, v[3:4], v[3:4], 1.0
	v_rcp_f64_e32 v[55:56], v[53:54]
	v_fma_f64 v[57:58], -v[53:54], v[55:56], 1.0
	v_fma_f64 v[55:56], v[55:56], v[57:58], v[55:56]
	v_fma_f64 v[57:58], -v[53:54], v[55:56], 1.0
	v_fma_f64 v[55:56], v[55:56], v[57:58], v[55:56]
	v_div_scale_f64 v[57:58], vcc_lo, 1.0, v[3:4], 1.0
	v_mul_f64 v[61:62], v[57:58], v[55:56]
	v_fma_f64 v[53:54], -v[53:54], v[61:62], v[57:58]
	v_div_fmas_f64 v[53:54], v[53:54], v[55:56], v[61:62]
	v_div_fixup_f64 v[53:54], v[53:54], v[3:4], 1.0
	v_mul_f64 v[3:4], v[1:2], -v[53:54]
	v_xor_b32_e32 v2, 0x80000000, v54
	v_mov_b32_e32 v1, v53
.LBB87_17:
	s_or_b32 exec_lo, exec_lo, s5
	v_mov_b32_e32 v58, s35
	buffer_store_dword v54, v60, s[0:3], 0 offen offset:4
	buffer_store_dword v53, v60, s[0:3], 0 offen
	buffer_store_dword v4, v60, s[0:3], 0 offen offset:12
	buffer_store_dword v3, v60, s[0:3], 0 offen offset:8
	v_xor_b32_e32 v4, 0x80000000, v4
	v_add_nc_u32_e32 v53, 0x180, v59
	s_clause 0x3
	buffer_load_dword v57, v58, s[0:3], 0 offen offset:12
	buffer_load_dword v56, v58, s[0:3], 0 offen offset:8
	;; [unrolled: 1-line block ×3, first 2 shown]
	buffer_load_dword v54, v58, s[0:3], 0 offen
	ds_write_b128 v59, v[1:4]
	s_waitcnt vmcnt(0)
	ds_write_b128 v59, v[54:57] offset:384
	s_waitcnt lgkmcnt(0)
	s_waitcnt_vscnt null, 0x0
	s_barrier
	buffer_gl0_inv
	s_and_saveexec_b32 s5, s4
	s_cbranch_execz .LBB87_19
; %bb.18:
	s_clause 0x3
	buffer_load_dword v61, v60, s[0:3], 0 offen offset:8
	buffer_load_dword v62, v60, s[0:3], 0 offen offset:12
	buffer_load_dword v63, v60, s[0:3], 0 offen
	buffer_load_dword v64, v60, s[0:3], 0 offen offset:4
	ds_read_b128 v[1:4], v53
	v_mov_b32_e32 v54, 0
	ds_read_b128 v[54:57], v54 offset:16
	s_waitcnt vmcnt(2) lgkmcnt(1)
	v_mul_f64 v[65:66], v[1:2], v[61:62]
	v_mul_f64 v[61:62], v[3:4], v[61:62]
	s_waitcnt vmcnt(0)
	v_fma_f64 v[3:4], v[3:4], v[63:64], v[65:66]
	v_fma_f64 v[1:2], v[1:2], v[63:64], -v[61:62]
	v_add_f64 v[3:4], v[3:4], 0
	v_add_f64 v[1:2], v[1:2], 0
	s_waitcnt lgkmcnt(0)
	v_mul_f64 v[61:62], v[3:4], v[56:57]
	v_mul_f64 v[56:57], v[1:2], v[56:57]
	v_fma_f64 v[1:2], v[1:2], v[54:55], -v[61:62]
	v_fma_f64 v[3:4], v[3:4], v[54:55], v[56:57]
	buffer_store_dword v1, off, s[0:3], 0 offset:32
	buffer_store_dword v2, off, s[0:3], 0 offset:36
	;; [unrolled: 1-line block ×4, first 2 shown]
.LBB87_19:
	s_or_b32 exec_lo, exec_lo, s5
	v_mov_b32_e32 v4, s34
	s_waitcnt_vscnt null, 0x0
	s_barrier
	buffer_gl0_inv
	s_mov_b32 s5, exec_lo
	s_clause 0x3
	buffer_load_dword v1, v4, s[0:3], 0 offen
	buffer_load_dword v2, v4, s[0:3], 0 offen offset:4
	buffer_load_dword v3, v4, s[0:3], 0 offen offset:8
	;; [unrolled: 1-line block ×3, first 2 shown]
	s_waitcnt vmcnt(0)
	ds_write_b128 v53, v[1:4]
	s_waitcnt lgkmcnt(0)
	s_barrier
	buffer_gl0_inv
	v_cmpx_gt_u32_e32 2, v0
	s_cbranch_execz .LBB87_23
; %bb.20:
	s_clause 0x3
	buffer_load_dword v54, v60, s[0:3], 0 offen offset:8
	buffer_load_dword v55, v60, s[0:3], 0 offen offset:12
	buffer_load_dword v56, v60, s[0:3], 0 offen
	buffer_load_dword v57, v60, s[0:3], 0 offen offset:4
	ds_read_b128 v[1:4], v53
	s_waitcnt vmcnt(2) lgkmcnt(0)
	v_mul_f64 v[60:61], v[3:4], v[54:55]
	v_mul_f64 v[54:55], v[1:2], v[54:55]
	s_waitcnt vmcnt(0)
	v_fma_f64 v[1:2], v[1:2], v[56:57], -v[60:61]
	v_fma_f64 v[3:4], v[3:4], v[56:57], v[54:55]
	v_add_f64 v[1:2], v[1:2], 0
	v_add_f64 v[3:4], v[3:4], 0
	s_and_saveexec_b32 s37, s4
	s_cbranch_execz .LBB87_22
; %bb.21:
	s_clause 0x3
	buffer_load_dword v60, off, s[0:3], 0 offset:40
	buffer_load_dword v61, off, s[0:3], 0 offset:44
	buffer_load_dword v62, off, s[0:3], 0 offset:32
	buffer_load_dword v63, off, s[0:3], 0 offset:36
	v_mov_b32_e32 v54, 0
	ds_read_b128 v[54:57], v54 offset:400
	s_waitcnt vmcnt(2) lgkmcnt(0)
	v_mul_f64 v[64:65], v[54:55], v[60:61]
	v_mul_f64 v[60:61], v[56:57], v[60:61]
	s_waitcnt vmcnt(0)
	v_fma_f64 v[56:57], v[56:57], v[62:63], v[64:65]
	v_fma_f64 v[54:55], v[54:55], v[62:63], -v[60:61]
	v_add_f64 v[3:4], v[3:4], v[56:57]
	v_add_f64 v[1:2], v[1:2], v[54:55]
.LBB87_22:
	s_or_b32 exec_lo, exec_lo, s37
	v_mov_b32_e32 v54, 0
	ds_read_b128 v[54:57], v54 offset:32
	s_waitcnt lgkmcnt(0)
	v_mul_f64 v[60:61], v[3:4], v[56:57]
	v_mul_f64 v[56:57], v[1:2], v[56:57]
	v_fma_f64 v[1:2], v[1:2], v[54:55], -v[60:61]
	v_fma_f64 v[3:4], v[3:4], v[54:55], v[56:57]
	buffer_store_dword v2, off, s[0:3], 0 offset:52
	buffer_store_dword v1, off, s[0:3], 0 offset:48
	;; [unrolled: 1-line block ×4, first 2 shown]
.LBB87_23:
	s_or_b32 exec_lo, exec_lo, s5
	v_mov_b32_e32 v4, s33
	s_waitcnt_vscnt null, 0x0
	s_barrier
	buffer_gl0_inv
	v_add_nc_u32_e32 v54, -1, v0
	s_clause 0x3
	buffer_load_dword v1, v4, s[0:3], 0 offen
	buffer_load_dword v2, v4, s[0:3], 0 offen offset:4
	buffer_load_dword v3, v4, s[0:3], 0 offen offset:8
	;; [unrolled: 1-line block ×3, first 2 shown]
	s_mov_b32 s4, exec_lo
	s_waitcnt vmcnt(0)
	ds_write_b128 v53, v[1:4]
	s_waitcnt lgkmcnt(0)
	s_barrier
	buffer_gl0_inv
	v_cmpx_gt_u32_e32 3, v0
	s_cbranch_execz .LBB87_27
; %bb.24:
	v_mov_b32_e32 v1, 0
	v_mov_b32_e32 v3, 0
	v_add_nc_u32_e32 v55, -1, v0
	v_add_nc_u32_e32 v56, 0x180, v59
	v_mov_b32_e32 v2, 0
	v_mov_b32_e32 v4, 0
	v_add_nc_u32_e32 v57, 16, v59
	s_mov_b32 s5, 0
	.p2align	6
.LBB87_25:                              ; =>This Inner Loop Header: Depth=1
	s_clause 0x3
	buffer_load_dword v64, v57, s[0:3], 0 offen offset:8
	buffer_load_dword v65, v57, s[0:3], 0 offen offset:12
	buffer_load_dword v66, v57, s[0:3], 0 offen
	buffer_load_dword v67, v57, s[0:3], 0 offen offset:4
	ds_read_b128 v[60:63], v56
	v_add_nc_u32_e32 v55, 1, v55
	v_add_nc_u32_e32 v56, 16, v56
	;; [unrolled: 1-line block ×3, first 2 shown]
	v_cmp_lt_u32_e32 vcc_lo, 1, v55
	s_or_b32 s5, vcc_lo, s5
	s_waitcnt vmcnt(2) lgkmcnt(0)
	v_mul_f64 v[68:69], v[62:63], v[64:65]
	v_mul_f64 v[64:65], v[60:61], v[64:65]
	s_waitcnt vmcnt(0)
	v_fma_f64 v[60:61], v[60:61], v[66:67], -v[68:69]
	v_fma_f64 v[62:63], v[62:63], v[66:67], v[64:65]
	v_add_f64 v[3:4], v[3:4], v[60:61]
	v_add_f64 v[1:2], v[1:2], v[62:63]
	s_andn2_b32 exec_lo, exec_lo, s5
	s_cbranch_execnz .LBB87_25
; %bb.26:
	s_or_b32 exec_lo, exec_lo, s5
	v_mov_b32_e32 v55, 0
	ds_read_b128 v[55:58], v55 offset:48
	s_waitcnt lgkmcnt(0)
	v_mul_f64 v[60:61], v[1:2], v[57:58]
	v_mul_f64 v[57:58], v[3:4], v[57:58]
	v_fma_f64 v[3:4], v[3:4], v[55:56], -v[60:61]
	v_fma_f64 v[1:2], v[1:2], v[55:56], v[57:58]
	buffer_store_dword v4, off, s[0:3], 0 offset:68
	buffer_store_dword v3, off, s[0:3], 0 offset:64
	;; [unrolled: 1-line block ×4, first 2 shown]
.LBB87_27:
	s_or_b32 exec_lo, exec_lo, s4
	v_mov_b32_e32 v4, s31
	s_waitcnt_vscnt null, 0x0
	s_barrier
	buffer_gl0_inv
	s_mov_b32 s4, exec_lo
	s_clause 0x3
	buffer_load_dword v1, v4, s[0:3], 0 offen
	buffer_load_dword v2, v4, s[0:3], 0 offen offset:4
	buffer_load_dword v3, v4, s[0:3], 0 offen offset:8
	;; [unrolled: 1-line block ×3, first 2 shown]
	s_waitcnt vmcnt(0)
	ds_write_b128 v53, v[1:4]
	s_waitcnt lgkmcnt(0)
	s_barrier
	buffer_gl0_inv
	v_cmpx_gt_u32_e32 4, v0
	s_cbranch_execz .LBB87_31
; %bb.28:
	v_mov_b32_e32 v1, 0
	v_mov_b32_e32 v3, 0
	v_add_nc_u32_e32 v55, -1, v0
	v_add_nc_u32_e32 v56, 0x180, v59
	v_mov_b32_e32 v2, 0
	v_mov_b32_e32 v4, 0
	v_add_nc_u32_e32 v57, 16, v59
	s_mov_b32 s5, 0
	.p2align	6
.LBB87_29:                              ; =>This Inner Loop Header: Depth=1
	s_clause 0x3
	buffer_load_dword v64, v57, s[0:3], 0 offen offset:8
	buffer_load_dword v65, v57, s[0:3], 0 offen offset:12
	buffer_load_dword v66, v57, s[0:3], 0 offen
	buffer_load_dword v67, v57, s[0:3], 0 offen offset:4
	ds_read_b128 v[60:63], v56
	v_add_nc_u32_e32 v55, 1, v55
	v_add_nc_u32_e32 v56, 16, v56
	;; [unrolled: 1-line block ×3, first 2 shown]
	v_cmp_lt_u32_e32 vcc_lo, 2, v55
	s_or_b32 s5, vcc_lo, s5
	s_waitcnt vmcnt(2) lgkmcnt(0)
	v_mul_f64 v[68:69], v[62:63], v[64:65]
	v_mul_f64 v[64:65], v[60:61], v[64:65]
	s_waitcnt vmcnt(0)
	v_fma_f64 v[60:61], v[60:61], v[66:67], -v[68:69]
	v_fma_f64 v[62:63], v[62:63], v[66:67], v[64:65]
	v_add_f64 v[3:4], v[3:4], v[60:61]
	v_add_f64 v[1:2], v[1:2], v[62:63]
	s_andn2_b32 exec_lo, exec_lo, s5
	s_cbranch_execnz .LBB87_29
; %bb.30:
	s_or_b32 exec_lo, exec_lo, s5
	v_mov_b32_e32 v55, 0
	ds_read_b128 v[55:58], v55 offset:64
	s_waitcnt lgkmcnt(0)
	v_mul_f64 v[60:61], v[1:2], v[57:58]
	v_mul_f64 v[57:58], v[3:4], v[57:58]
	v_fma_f64 v[3:4], v[3:4], v[55:56], -v[60:61]
	v_fma_f64 v[1:2], v[1:2], v[55:56], v[57:58]
	buffer_store_dword v4, off, s[0:3], 0 offset:84
	buffer_store_dword v3, off, s[0:3], 0 offset:80
	;; [unrolled: 1-line block ×4, first 2 shown]
.LBB87_31:
	s_or_b32 exec_lo, exec_lo, s4
	v_mov_b32_e32 v4, s30
	s_waitcnt_vscnt null, 0x0
	s_barrier
	buffer_gl0_inv
	s_mov_b32 s4, exec_lo
	s_clause 0x3
	buffer_load_dword v1, v4, s[0:3], 0 offen
	buffer_load_dword v2, v4, s[0:3], 0 offen offset:4
	buffer_load_dword v3, v4, s[0:3], 0 offen offset:8
	;; [unrolled: 1-line block ×3, first 2 shown]
	s_waitcnt vmcnt(0)
	ds_write_b128 v53, v[1:4]
	s_waitcnt lgkmcnt(0)
	s_barrier
	buffer_gl0_inv
	v_cmpx_gt_u32_e32 5, v0
	s_cbranch_execz .LBB87_35
; %bb.32:
	v_mov_b32_e32 v1, 0
	v_mov_b32_e32 v3, 0
	v_add_nc_u32_e32 v55, -1, v0
	v_add_nc_u32_e32 v56, 0x180, v59
	v_mov_b32_e32 v2, 0
	v_mov_b32_e32 v4, 0
	v_add_nc_u32_e32 v57, 16, v59
	s_mov_b32 s5, 0
	.p2align	6
.LBB87_33:                              ; =>This Inner Loop Header: Depth=1
	s_clause 0x3
	buffer_load_dword v64, v57, s[0:3], 0 offen offset:8
	buffer_load_dword v65, v57, s[0:3], 0 offen offset:12
	buffer_load_dword v66, v57, s[0:3], 0 offen
	buffer_load_dword v67, v57, s[0:3], 0 offen offset:4
	ds_read_b128 v[60:63], v56
	v_add_nc_u32_e32 v55, 1, v55
	v_add_nc_u32_e32 v56, 16, v56
	;; [unrolled: 1-line block ×3, first 2 shown]
	v_cmp_lt_u32_e32 vcc_lo, 3, v55
	s_or_b32 s5, vcc_lo, s5
	s_waitcnt vmcnt(2) lgkmcnt(0)
	v_mul_f64 v[68:69], v[62:63], v[64:65]
	v_mul_f64 v[64:65], v[60:61], v[64:65]
	s_waitcnt vmcnt(0)
	v_fma_f64 v[60:61], v[60:61], v[66:67], -v[68:69]
	v_fma_f64 v[62:63], v[62:63], v[66:67], v[64:65]
	v_add_f64 v[3:4], v[3:4], v[60:61]
	v_add_f64 v[1:2], v[1:2], v[62:63]
	s_andn2_b32 exec_lo, exec_lo, s5
	s_cbranch_execnz .LBB87_33
; %bb.34:
	s_or_b32 exec_lo, exec_lo, s5
	v_mov_b32_e32 v55, 0
	ds_read_b128 v[55:58], v55 offset:80
	s_waitcnt lgkmcnt(0)
	v_mul_f64 v[60:61], v[1:2], v[57:58]
	v_mul_f64 v[57:58], v[3:4], v[57:58]
	v_fma_f64 v[3:4], v[3:4], v[55:56], -v[60:61]
	v_fma_f64 v[1:2], v[1:2], v[55:56], v[57:58]
	buffer_store_dword v4, off, s[0:3], 0 offset:100
	buffer_store_dword v3, off, s[0:3], 0 offset:96
	buffer_store_dword v2, off, s[0:3], 0 offset:108
	buffer_store_dword v1, off, s[0:3], 0 offset:104
.LBB87_35:
	s_or_b32 exec_lo, exec_lo, s4
	v_mov_b32_e32 v4, s29
	s_waitcnt_vscnt null, 0x0
	s_barrier
	buffer_gl0_inv
	s_mov_b32 s4, exec_lo
	s_clause 0x3
	buffer_load_dword v1, v4, s[0:3], 0 offen
	buffer_load_dword v2, v4, s[0:3], 0 offen offset:4
	buffer_load_dword v3, v4, s[0:3], 0 offen offset:8
	;; [unrolled: 1-line block ×3, first 2 shown]
	s_waitcnt vmcnt(0)
	ds_write_b128 v53, v[1:4]
	s_waitcnt lgkmcnt(0)
	s_barrier
	buffer_gl0_inv
	v_cmpx_gt_u32_e32 6, v0
	s_cbranch_execz .LBB87_39
; %bb.36:
	v_mov_b32_e32 v1, 0
	v_mov_b32_e32 v3, 0
	v_add_nc_u32_e32 v55, -1, v0
	v_add_nc_u32_e32 v56, 0x180, v59
	v_mov_b32_e32 v2, 0
	v_mov_b32_e32 v4, 0
	v_add_nc_u32_e32 v57, 16, v59
	s_mov_b32 s5, 0
	.p2align	6
.LBB87_37:                              ; =>This Inner Loop Header: Depth=1
	s_clause 0x3
	buffer_load_dword v64, v57, s[0:3], 0 offen offset:8
	buffer_load_dword v65, v57, s[0:3], 0 offen offset:12
	buffer_load_dword v66, v57, s[0:3], 0 offen
	buffer_load_dword v67, v57, s[0:3], 0 offen offset:4
	ds_read_b128 v[60:63], v56
	v_add_nc_u32_e32 v55, 1, v55
	v_add_nc_u32_e32 v56, 16, v56
	;; [unrolled: 1-line block ×3, first 2 shown]
	v_cmp_lt_u32_e32 vcc_lo, 4, v55
	s_or_b32 s5, vcc_lo, s5
	s_waitcnt vmcnt(2) lgkmcnt(0)
	v_mul_f64 v[68:69], v[62:63], v[64:65]
	v_mul_f64 v[64:65], v[60:61], v[64:65]
	s_waitcnt vmcnt(0)
	v_fma_f64 v[60:61], v[60:61], v[66:67], -v[68:69]
	v_fma_f64 v[62:63], v[62:63], v[66:67], v[64:65]
	v_add_f64 v[3:4], v[3:4], v[60:61]
	v_add_f64 v[1:2], v[1:2], v[62:63]
	s_andn2_b32 exec_lo, exec_lo, s5
	s_cbranch_execnz .LBB87_37
; %bb.38:
	s_or_b32 exec_lo, exec_lo, s5
	v_mov_b32_e32 v55, 0
	ds_read_b128 v[55:58], v55 offset:96
	s_waitcnt lgkmcnt(0)
	v_mul_f64 v[60:61], v[1:2], v[57:58]
	v_mul_f64 v[57:58], v[3:4], v[57:58]
	v_fma_f64 v[3:4], v[3:4], v[55:56], -v[60:61]
	v_fma_f64 v[1:2], v[1:2], v[55:56], v[57:58]
	buffer_store_dword v4, off, s[0:3], 0 offset:116
	buffer_store_dword v3, off, s[0:3], 0 offset:112
	;; [unrolled: 1-line block ×4, first 2 shown]
.LBB87_39:
	s_or_b32 exec_lo, exec_lo, s4
	v_mov_b32_e32 v4, s28
	s_waitcnt_vscnt null, 0x0
	s_barrier
	buffer_gl0_inv
	s_mov_b32 s4, exec_lo
	s_clause 0x3
	buffer_load_dword v1, v4, s[0:3], 0 offen
	buffer_load_dword v2, v4, s[0:3], 0 offen offset:4
	buffer_load_dword v3, v4, s[0:3], 0 offen offset:8
	;; [unrolled: 1-line block ×3, first 2 shown]
	s_waitcnt vmcnt(0)
	ds_write_b128 v53, v[1:4]
	s_waitcnt lgkmcnt(0)
	s_barrier
	buffer_gl0_inv
	v_cmpx_gt_u32_e32 7, v0
	s_cbranch_execz .LBB87_43
; %bb.40:
	v_mov_b32_e32 v1, 0
	v_mov_b32_e32 v3, 0
	v_add_nc_u32_e32 v55, -1, v0
	v_add_nc_u32_e32 v56, 0x180, v59
	v_mov_b32_e32 v2, 0
	v_mov_b32_e32 v4, 0
	v_add_nc_u32_e32 v57, 16, v59
	s_mov_b32 s5, 0
	.p2align	6
.LBB87_41:                              ; =>This Inner Loop Header: Depth=1
	s_clause 0x3
	buffer_load_dword v64, v57, s[0:3], 0 offen offset:8
	buffer_load_dword v65, v57, s[0:3], 0 offen offset:12
	buffer_load_dword v66, v57, s[0:3], 0 offen
	buffer_load_dword v67, v57, s[0:3], 0 offen offset:4
	ds_read_b128 v[60:63], v56
	v_add_nc_u32_e32 v55, 1, v55
	v_add_nc_u32_e32 v56, 16, v56
	;; [unrolled: 1-line block ×3, first 2 shown]
	v_cmp_lt_u32_e32 vcc_lo, 5, v55
	s_or_b32 s5, vcc_lo, s5
	s_waitcnt vmcnt(2) lgkmcnt(0)
	v_mul_f64 v[68:69], v[62:63], v[64:65]
	v_mul_f64 v[64:65], v[60:61], v[64:65]
	s_waitcnt vmcnt(0)
	v_fma_f64 v[60:61], v[60:61], v[66:67], -v[68:69]
	v_fma_f64 v[62:63], v[62:63], v[66:67], v[64:65]
	v_add_f64 v[3:4], v[3:4], v[60:61]
	v_add_f64 v[1:2], v[1:2], v[62:63]
	s_andn2_b32 exec_lo, exec_lo, s5
	s_cbranch_execnz .LBB87_41
; %bb.42:
	s_or_b32 exec_lo, exec_lo, s5
	v_mov_b32_e32 v55, 0
	ds_read_b128 v[55:58], v55 offset:112
	s_waitcnt lgkmcnt(0)
	v_mul_f64 v[60:61], v[1:2], v[57:58]
	v_mul_f64 v[57:58], v[3:4], v[57:58]
	v_fma_f64 v[3:4], v[3:4], v[55:56], -v[60:61]
	v_fma_f64 v[1:2], v[1:2], v[55:56], v[57:58]
	buffer_store_dword v4, off, s[0:3], 0 offset:132
	buffer_store_dword v3, off, s[0:3], 0 offset:128
	;; [unrolled: 1-line block ×4, first 2 shown]
.LBB87_43:
	s_or_b32 exec_lo, exec_lo, s4
	v_mov_b32_e32 v4, s27
	s_waitcnt_vscnt null, 0x0
	s_barrier
	buffer_gl0_inv
	s_mov_b32 s4, exec_lo
	s_clause 0x3
	buffer_load_dword v1, v4, s[0:3], 0 offen
	buffer_load_dword v2, v4, s[0:3], 0 offen offset:4
	buffer_load_dword v3, v4, s[0:3], 0 offen offset:8
	;; [unrolled: 1-line block ×3, first 2 shown]
	s_waitcnt vmcnt(0)
	ds_write_b128 v53, v[1:4]
	s_waitcnt lgkmcnt(0)
	s_barrier
	buffer_gl0_inv
	v_cmpx_gt_u32_e32 8, v0
	s_cbranch_execz .LBB87_47
; %bb.44:
	v_mov_b32_e32 v1, 0
	v_mov_b32_e32 v3, 0
	v_add_nc_u32_e32 v55, -1, v0
	v_add_nc_u32_e32 v56, 0x180, v59
	v_mov_b32_e32 v2, 0
	v_mov_b32_e32 v4, 0
	v_add_nc_u32_e32 v57, 16, v59
	s_mov_b32 s5, 0
	.p2align	6
.LBB87_45:                              ; =>This Inner Loop Header: Depth=1
	s_clause 0x3
	buffer_load_dword v64, v57, s[0:3], 0 offen offset:8
	buffer_load_dword v65, v57, s[0:3], 0 offen offset:12
	buffer_load_dword v66, v57, s[0:3], 0 offen
	buffer_load_dword v67, v57, s[0:3], 0 offen offset:4
	ds_read_b128 v[60:63], v56
	v_add_nc_u32_e32 v55, 1, v55
	v_add_nc_u32_e32 v56, 16, v56
	;; [unrolled: 1-line block ×3, first 2 shown]
	v_cmp_lt_u32_e32 vcc_lo, 6, v55
	s_or_b32 s5, vcc_lo, s5
	s_waitcnt vmcnt(2) lgkmcnt(0)
	v_mul_f64 v[68:69], v[62:63], v[64:65]
	v_mul_f64 v[64:65], v[60:61], v[64:65]
	s_waitcnt vmcnt(0)
	v_fma_f64 v[60:61], v[60:61], v[66:67], -v[68:69]
	v_fma_f64 v[62:63], v[62:63], v[66:67], v[64:65]
	v_add_f64 v[3:4], v[3:4], v[60:61]
	v_add_f64 v[1:2], v[1:2], v[62:63]
	s_andn2_b32 exec_lo, exec_lo, s5
	s_cbranch_execnz .LBB87_45
; %bb.46:
	s_or_b32 exec_lo, exec_lo, s5
	v_mov_b32_e32 v55, 0
	ds_read_b128 v[55:58], v55 offset:128
	s_waitcnt lgkmcnt(0)
	v_mul_f64 v[60:61], v[1:2], v[57:58]
	v_mul_f64 v[57:58], v[3:4], v[57:58]
	v_fma_f64 v[3:4], v[3:4], v[55:56], -v[60:61]
	v_fma_f64 v[1:2], v[1:2], v[55:56], v[57:58]
	buffer_store_dword v4, off, s[0:3], 0 offset:148
	buffer_store_dword v3, off, s[0:3], 0 offset:144
	;; [unrolled: 1-line block ×4, first 2 shown]
.LBB87_47:
	s_or_b32 exec_lo, exec_lo, s4
	v_mov_b32_e32 v4, s26
	s_waitcnt_vscnt null, 0x0
	s_barrier
	buffer_gl0_inv
	s_mov_b32 s4, exec_lo
	s_clause 0x3
	buffer_load_dword v1, v4, s[0:3], 0 offen
	buffer_load_dword v2, v4, s[0:3], 0 offen offset:4
	buffer_load_dword v3, v4, s[0:3], 0 offen offset:8
	;; [unrolled: 1-line block ×3, first 2 shown]
	s_waitcnt vmcnt(0)
	ds_write_b128 v53, v[1:4]
	s_waitcnt lgkmcnt(0)
	s_barrier
	buffer_gl0_inv
	v_cmpx_gt_u32_e32 9, v0
	s_cbranch_execz .LBB87_51
; %bb.48:
	v_mov_b32_e32 v1, 0
	v_mov_b32_e32 v3, 0
	v_add_nc_u32_e32 v55, -1, v0
	v_add_nc_u32_e32 v56, 0x180, v59
	v_mov_b32_e32 v2, 0
	v_mov_b32_e32 v4, 0
	v_add_nc_u32_e32 v57, 16, v59
	s_mov_b32 s5, 0
	.p2align	6
.LBB87_49:                              ; =>This Inner Loop Header: Depth=1
	s_clause 0x3
	buffer_load_dword v64, v57, s[0:3], 0 offen offset:8
	buffer_load_dword v65, v57, s[0:3], 0 offen offset:12
	buffer_load_dword v66, v57, s[0:3], 0 offen
	buffer_load_dword v67, v57, s[0:3], 0 offen offset:4
	ds_read_b128 v[60:63], v56
	v_add_nc_u32_e32 v55, 1, v55
	v_add_nc_u32_e32 v56, 16, v56
	;; [unrolled: 1-line block ×3, first 2 shown]
	v_cmp_lt_u32_e32 vcc_lo, 7, v55
	s_or_b32 s5, vcc_lo, s5
	s_waitcnt vmcnt(2) lgkmcnt(0)
	v_mul_f64 v[68:69], v[62:63], v[64:65]
	v_mul_f64 v[64:65], v[60:61], v[64:65]
	s_waitcnt vmcnt(0)
	v_fma_f64 v[60:61], v[60:61], v[66:67], -v[68:69]
	v_fma_f64 v[62:63], v[62:63], v[66:67], v[64:65]
	v_add_f64 v[3:4], v[3:4], v[60:61]
	v_add_f64 v[1:2], v[1:2], v[62:63]
	s_andn2_b32 exec_lo, exec_lo, s5
	s_cbranch_execnz .LBB87_49
; %bb.50:
	s_or_b32 exec_lo, exec_lo, s5
	v_mov_b32_e32 v55, 0
	ds_read_b128 v[55:58], v55 offset:144
	s_waitcnt lgkmcnt(0)
	v_mul_f64 v[60:61], v[1:2], v[57:58]
	v_mul_f64 v[57:58], v[3:4], v[57:58]
	v_fma_f64 v[3:4], v[3:4], v[55:56], -v[60:61]
	v_fma_f64 v[1:2], v[1:2], v[55:56], v[57:58]
	buffer_store_dword v4, off, s[0:3], 0 offset:164
	buffer_store_dword v3, off, s[0:3], 0 offset:160
	;; [unrolled: 1-line block ×4, first 2 shown]
.LBB87_51:
	s_or_b32 exec_lo, exec_lo, s4
	v_mov_b32_e32 v4, s25
	s_waitcnt_vscnt null, 0x0
	s_barrier
	buffer_gl0_inv
	s_mov_b32 s4, exec_lo
	s_clause 0x3
	buffer_load_dword v1, v4, s[0:3], 0 offen
	buffer_load_dword v2, v4, s[0:3], 0 offen offset:4
	buffer_load_dword v3, v4, s[0:3], 0 offen offset:8
	;; [unrolled: 1-line block ×3, first 2 shown]
	s_waitcnt vmcnt(0)
	ds_write_b128 v53, v[1:4]
	s_waitcnt lgkmcnt(0)
	s_barrier
	buffer_gl0_inv
	v_cmpx_gt_u32_e32 10, v0
	s_cbranch_execz .LBB87_55
; %bb.52:
	v_mov_b32_e32 v1, 0
	v_mov_b32_e32 v3, 0
	v_add_nc_u32_e32 v55, -1, v0
	v_add_nc_u32_e32 v56, 0x180, v59
	v_mov_b32_e32 v2, 0
	v_mov_b32_e32 v4, 0
	v_add_nc_u32_e32 v57, 16, v59
	s_mov_b32 s5, 0
	.p2align	6
.LBB87_53:                              ; =>This Inner Loop Header: Depth=1
	s_clause 0x3
	buffer_load_dword v64, v57, s[0:3], 0 offen offset:8
	buffer_load_dword v65, v57, s[0:3], 0 offen offset:12
	buffer_load_dword v66, v57, s[0:3], 0 offen
	buffer_load_dword v67, v57, s[0:3], 0 offen offset:4
	ds_read_b128 v[60:63], v56
	v_add_nc_u32_e32 v55, 1, v55
	v_add_nc_u32_e32 v56, 16, v56
	;; [unrolled: 1-line block ×3, first 2 shown]
	v_cmp_lt_u32_e32 vcc_lo, 8, v55
	s_or_b32 s5, vcc_lo, s5
	s_waitcnt vmcnt(2) lgkmcnt(0)
	v_mul_f64 v[68:69], v[62:63], v[64:65]
	v_mul_f64 v[64:65], v[60:61], v[64:65]
	s_waitcnt vmcnt(0)
	v_fma_f64 v[60:61], v[60:61], v[66:67], -v[68:69]
	v_fma_f64 v[62:63], v[62:63], v[66:67], v[64:65]
	v_add_f64 v[3:4], v[3:4], v[60:61]
	v_add_f64 v[1:2], v[1:2], v[62:63]
	s_andn2_b32 exec_lo, exec_lo, s5
	s_cbranch_execnz .LBB87_53
; %bb.54:
	s_or_b32 exec_lo, exec_lo, s5
	v_mov_b32_e32 v55, 0
	ds_read_b128 v[55:58], v55 offset:160
	s_waitcnt lgkmcnt(0)
	v_mul_f64 v[60:61], v[1:2], v[57:58]
	v_mul_f64 v[57:58], v[3:4], v[57:58]
	v_fma_f64 v[3:4], v[3:4], v[55:56], -v[60:61]
	v_fma_f64 v[1:2], v[1:2], v[55:56], v[57:58]
	buffer_store_dword v4, off, s[0:3], 0 offset:180
	buffer_store_dword v3, off, s[0:3], 0 offset:176
	;; [unrolled: 1-line block ×4, first 2 shown]
.LBB87_55:
	s_or_b32 exec_lo, exec_lo, s4
	v_mov_b32_e32 v4, s24
	s_waitcnt_vscnt null, 0x0
	s_barrier
	buffer_gl0_inv
	s_mov_b32 s4, exec_lo
	s_clause 0x3
	buffer_load_dword v1, v4, s[0:3], 0 offen
	buffer_load_dword v2, v4, s[0:3], 0 offen offset:4
	buffer_load_dword v3, v4, s[0:3], 0 offen offset:8
	buffer_load_dword v4, v4, s[0:3], 0 offen offset:12
	s_waitcnt vmcnt(0)
	ds_write_b128 v53, v[1:4]
	s_waitcnt lgkmcnt(0)
	s_barrier
	buffer_gl0_inv
	v_cmpx_gt_u32_e32 11, v0
	s_cbranch_execz .LBB87_59
; %bb.56:
	v_mov_b32_e32 v1, 0
	v_mov_b32_e32 v3, 0
	v_add_nc_u32_e32 v55, -1, v0
	v_add_nc_u32_e32 v56, 0x180, v59
	v_mov_b32_e32 v2, 0
	v_mov_b32_e32 v4, 0
	v_add_nc_u32_e32 v57, 16, v59
	s_mov_b32 s5, 0
	.p2align	6
.LBB87_57:                              ; =>This Inner Loop Header: Depth=1
	s_clause 0x3
	buffer_load_dword v64, v57, s[0:3], 0 offen offset:8
	buffer_load_dword v65, v57, s[0:3], 0 offen offset:12
	buffer_load_dword v66, v57, s[0:3], 0 offen
	buffer_load_dword v67, v57, s[0:3], 0 offen offset:4
	ds_read_b128 v[60:63], v56
	v_add_nc_u32_e32 v55, 1, v55
	v_add_nc_u32_e32 v56, 16, v56
	;; [unrolled: 1-line block ×3, first 2 shown]
	v_cmp_lt_u32_e32 vcc_lo, 9, v55
	s_or_b32 s5, vcc_lo, s5
	s_waitcnt vmcnt(2) lgkmcnt(0)
	v_mul_f64 v[68:69], v[62:63], v[64:65]
	v_mul_f64 v[64:65], v[60:61], v[64:65]
	s_waitcnt vmcnt(0)
	v_fma_f64 v[60:61], v[60:61], v[66:67], -v[68:69]
	v_fma_f64 v[62:63], v[62:63], v[66:67], v[64:65]
	v_add_f64 v[3:4], v[3:4], v[60:61]
	v_add_f64 v[1:2], v[1:2], v[62:63]
	s_andn2_b32 exec_lo, exec_lo, s5
	s_cbranch_execnz .LBB87_57
; %bb.58:
	s_or_b32 exec_lo, exec_lo, s5
	v_mov_b32_e32 v55, 0
	ds_read_b128 v[55:58], v55 offset:176
	s_waitcnt lgkmcnt(0)
	v_mul_f64 v[60:61], v[1:2], v[57:58]
	v_mul_f64 v[57:58], v[3:4], v[57:58]
	v_fma_f64 v[3:4], v[3:4], v[55:56], -v[60:61]
	v_fma_f64 v[1:2], v[1:2], v[55:56], v[57:58]
	buffer_store_dword v4, off, s[0:3], 0 offset:196
	buffer_store_dword v3, off, s[0:3], 0 offset:192
	;; [unrolled: 1-line block ×4, first 2 shown]
.LBB87_59:
	s_or_b32 exec_lo, exec_lo, s4
	v_mov_b32_e32 v4, s23
	s_waitcnt_vscnt null, 0x0
	s_barrier
	buffer_gl0_inv
	s_mov_b32 s4, exec_lo
	s_clause 0x3
	buffer_load_dword v1, v4, s[0:3], 0 offen
	buffer_load_dword v2, v4, s[0:3], 0 offen offset:4
	buffer_load_dword v3, v4, s[0:3], 0 offen offset:8
	;; [unrolled: 1-line block ×3, first 2 shown]
	s_waitcnt vmcnt(0)
	ds_write_b128 v53, v[1:4]
	s_waitcnt lgkmcnt(0)
	s_barrier
	buffer_gl0_inv
	v_cmpx_gt_u32_e32 12, v0
	s_cbranch_execz .LBB87_63
; %bb.60:
	v_mov_b32_e32 v1, 0
	v_mov_b32_e32 v3, 0
	v_add_nc_u32_e32 v55, -1, v0
	v_add_nc_u32_e32 v56, 0x180, v59
	v_mov_b32_e32 v2, 0
	v_mov_b32_e32 v4, 0
	v_add_nc_u32_e32 v57, 16, v59
	s_mov_b32 s5, 0
	.p2align	6
.LBB87_61:                              ; =>This Inner Loop Header: Depth=1
	s_clause 0x3
	buffer_load_dword v64, v57, s[0:3], 0 offen offset:8
	buffer_load_dword v65, v57, s[0:3], 0 offen offset:12
	buffer_load_dword v66, v57, s[0:3], 0 offen
	buffer_load_dword v67, v57, s[0:3], 0 offen offset:4
	ds_read_b128 v[60:63], v56
	v_add_nc_u32_e32 v55, 1, v55
	v_add_nc_u32_e32 v56, 16, v56
	;; [unrolled: 1-line block ×3, first 2 shown]
	v_cmp_lt_u32_e32 vcc_lo, 10, v55
	s_or_b32 s5, vcc_lo, s5
	s_waitcnt vmcnt(2) lgkmcnt(0)
	v_mul_f64 v[68:69], v[62:63], v[64:65]
	v_mul_f64 v[64:65], v[60:61], v[64:65]
	s_waitcnt vmcnt(0)
	v_fma_f64 v[60:61], v[60:61], v[66:67], -v[68:69]
	v_fma_f64 v[62:63], v[62:63], v[66:67], v[64:65]
	v_add_f64 v[3:4], v[3:4], v[60:61]
	v_add_f64 v[1:2], v[1:2], v[62:63]
	s_andn2_b32 exec_lo, exec_lo, s5
	s_cbranch_execnz .LBB87_61
; %bb.62:
	s_or_b32 exec_lo, exec_lo, s5
	v_mov_b32_e32 v55, 0
	ds_read_b128 v[55:58], v55 offset:192
	s_waitcnt lgkmcnt(0)
	v_mul_f64 v[60:61], v[1:2], v[57:58]
	v_mul_f64 v[57:58], v[3:4], v[57:58]
	v_fma_f64 v[3:4], v[3:4], v[55:56], -v[60:61]
	v_fma_f64 v[1:2], v[1:2], v[55:56], v[57:58]
	buffer_store_dword v4, off, s[0:3], 0 offset:212
	buffer_store_dword v3, off, s[0:3], 0 offset:208
	;; [unrolled: 1-line block ×4, first 2 shown]
.LBB87_63:
	s_or_b32 exec_lo, exec_lo, s4
	v_mov_b32_e32 v4, s22
	s_waitcnt_vscnt null, 0x0
	s_barrier
	buffer_gl0_inv
	s_mov_b32 s4, exec_lo
	s_clause 0x3
	buffer_load_dword v1, v4, s[0:3], 0 offen
	buffer_load_dword v2, v4, s[0:3], 0 offen offset:4
	buffer_load_dword v3, v4, s[0:3], 0 offen offset:8
	;; [unrolled: 1-line block ×3, first 2 shown]
	s_waitcnt vmcnt(0)
	ds_write_b128 v53, v[1:4]
	s_waitcnt lgkmcnt(0)
	s_barrier
	buffer_gl0_inv
	v_cmpx_gt_u32_e32 13, v0
	s_cbranch_execz .LBB87_67
; %bb.64:
	v_mov_b32_e32 v1, 0
	v_mov_b32_e32 v3, 0
	v_add_nc_u32_e32 v55, -1, v0
	v_add_nc_u32_e32 v56, 0x180, v59
	v_mov_b32_e32 v2, 0
	v_mov_b32_e32 v4, 0
	v_add_nc_u32_e32 v57, 16, v59
	s_mov_b32 s5, 0
	.p2align	6
.LBB87_65:                              ; =>This Inner Loop Header: Depth=1
	s_clause 0x3
	buffer_load_dword v64, v57, s[0:3], 0 offen offset:8
	buffer_load_dword v65, v57, s[0:3], 0 offen offset:12
	buffer_load_dword v66, v57, s[0:3], 0 offen
	buffer_load_dword v67, v57, s[0:3], 0 offen offset:4
	ds_read_b128 v[60:63], v56
	v_add_nc_u32_e32 v55, 1, v55
	v_add_nc_u32_e32 v56, 16, v56
	;; [unrolled: 1-line block ×3, first 2 shown]
	v_cmp_lt_u32_e32 vcc_lo, 11, v55
	s_or_b32 s5, vcc_lo, s5
	s_waitcnt vmcnt(2) lgkmcnt(0)
	v_mul_f64 v[68:69], v[62:63], v[64:65]
	v_mul_f64 v[64:65], v[60:61], v[64:65]
	s_waitcnt vmcnt(0)
	v_fma_f64 v[60:61], v[60:61], v[66:67], -v[68:69]
	v_fma_f64 v[62:63], v[62:63], v[66:67], v[64:65]
	v_add_f64 v[3:4], v[3:4], v[60:61]
	v_add_f64 v[1:2], v[1:2], v[62:63]
	s_andn2_b32 exec_lo, exec_lo, s5
	s_cbranch_execnz .LBB87_65
; %bb.66:
	s_or_b32 exec_lo, exec_lo, s5
	v_mov_b32_e32 v55, 0
	ds_read_b128 v[55:58], v55 offset:208
	s_waitcnt lgkmcnt(0)
	v_mul_f64 v[60:61], v[1:2], v[57:58]
	v_mul_f64 v[57:58], v[3:4], v[57:58]
	v_fma_f64 v[3:4], v[3:4], v[55:56], -v[60:61]
	v_fma_f64 v[1:2], v[1:2], v[55:56], v[57:58]
	buffer_store_dword v4, off, s[0:3], 0 offset:228
	buffer_store_dword v3, off, s[0:3], 0 offset:224
	;; [unrolled: 1-line block ×4, first 2 shown]
.LBB87_67:
	s_or_b32 exec_lo, exec_lo, s4
	v_mov_b32_e32 v4, s21
	s_waitcnt_vscnt null, 0x0
	s_barrier
	buffer_gl0_inv
	s_mov_b32 s4, exec_lo
	s_clause 0x3
	buffer_load_dword v1, v4, s[0:3], 0 offen
	buffer_load_dword v2, v4, s[0:3], 0 offen offset:4
	buffer_load_dword v3, v4, s[0:3], 0 offen offset:8
	buffer_load_dword v4, v4, s[0:3], 0 offen offset:12
	s_waitcnt vmcnt(0)
	ds_write_b128 v53, v[1:4]
	s_waitcnt lgkmcnt(0)
	s_barrier
	buffer_gl0_inv
	v_cmpx_gt_u32_e32 14, v0
	s_cbranch_execz .LBB87_71
; %bb.68:
	v_mov_b32_e32 v1, 0
	v_mov_b32_e32 v3, 0
	v_add_nc_u32_e32 v55, -1, v0
	v_add_nc_u32_e32 v56, 0x180, v59
	v_mov_b32_e32 v2, 0
	v_mov_b32_e32 v4, 0
	v_add_nc_u32_e32 v57, 16, v59
	s_mov_b32 s5, 0
	.p2align	6
.LBB87_69:                              ; =>This Inner Loop Header: Depth=1
	s_clause 0x3
	buffer_load_dword v64, v57, s[0:3], 0 offen offset:8
	buffer_load_dword v65, v57, s[0:3], 0 offen offset:12
	buffer_load_dword v66, v57, s[0:3], 0 offen
	buffer_load_dword v67, v57, s[0:3], 0 offen offset:4
	ds_read_b128 v[60:63], v56
	v_add_nc_u32_e32 v55, 1, v55
	v_add_nc_u32_e32 v56, 16, v56
	;; [unrolled: 1-line block ×3, first 2 shown]
	v_cmp_lt_u32_e32 vcc_lo, 12, v55
	s_or_b32 s5, vcc_lo, s5
	s_waitcnt vmcnt(2) lgkmcnt(0)
	v_mul_f64 v[68:69], v[62:63], v[64:65]
	v_mul_f64 v[64:65], v[60:61], v[64:65]
	s_waitcnt vmcnt(0)
	v_fma_f64 v[60:61], v[60:61], v[66:67], -v[68:69]
	v_fma_f64 v[62:63], v[62:63], v[66:67], v[64:65]
	v_add_f64 v[3:4], v[3:4], v[60:61]
	v_add_f64 v[1:2], v[1:2], v[62:63]
	s_andn2_b32 exec_lo, exec_lo, s5
	s_cbranch_execnz .LBB87_69
; %bb.70:
	s_or_b32 exec_lo, exec_lo, s5
	v_mov_b32_e32 v55, 0
	ds_read_b128 v[55:58], v55 offset:224
	s_waitcnt lgkmcnt(0)
	v_mul_f64 v[60:61], v[1:2], v[57:58]
	v_mul_f64 v[57:58], v[3:4], v[57:58]
	v_fma_f64 v[3:4], v[3:4], v[55:56], -v[60:61]
	v_fma_f64 v[1:2], v[1:2], v[55:56], v[57:58]
	buffer_store_dword v4, off, s[0:3], 0 offset:244
	buffer_store_dword v3, off, s[0:3], 0 offset:240
	;; [unrolled: 1-line block ×4, first 2 shown]
.LBB87_71:
	s_or_b32 exec_lo, exec_lo, s4
	v_mov_b32_e32 v4, s20
	s_waitcnt_vscnt null, 0x0
	s_barrier
	buffer_gl0_inv
	s_mov_b32 s4, exec_lo
	s_clause 0x3
	buffer_load_dword v1, v4, s[0:3], 0 offen
	buffer_load_dword v2, v4, s[0:3], 0 offen offset:4
	buffer_load_dword v3, v4, s[0:3], 0 offen offset:8
	;; [unrolled: 1-line block ×3, first 2 shown]
	s_waitcnt vmcnt(0)
	ds_write_b128 v53, v[1:4]
	s_waitcnt lgkmcnt(0)
	s_barrier
	buffer_gl0_inv
	v_cmpx_gt_u32_e32 15, v0
	s_cbranch_execz .LBB87_75
; %bb.72:
	v_mov_b32_e32 v1, 0
	v_mov_b32_e32 v3, 0
	v_add_nc_u32_e32 v55, -1, v0
	v_add_nc_u32_e32 v56, 0x180, v59
	v_mov_b32_e32 v2, 0
	v_mov_b32_e32 v4, 0
	v_add_nc_u32_e32 v57, 16, v59
	s_mov_b32 s5, 0
	.p2align	6
.LBB87_73:                              ; =>This Inner Loop Header: Depth=1
	s_clause 0x3
	buffer_load_dword v64, v57, s[0:3], 0 offen offset:8
	buffer_load_dword v65, v57, s[0:3], 0 offen offset:12
	buffer_load_dword v66, v57, s[0:3], 0 offen
	buffer_load_dword v67, v57, s[0:3], 0 offen offset:4
	ds_read_b128 v[60:63], v56
	v_add_nc_u32_e32 v55, 1, v55
	v_add_nc_u32_e32 v56, 16, v56
	;; [unrolled: 1-line block ×3, first 2 shown]
	v_cmp_lt_u32_e32 vcc_lo, 13, v55
	s_or_b32 s5, vcc_lo, s5
	s_waitcnt vmcnt(2) lgkmcnt(0)
	v_mul_f64 v[68:69], v[62:63], v[64:65]
	v_mul_f64 v[64:65], v[60:61], v[64:65]
	s_waitcnt vmcnt(0)
	v_fma_f64 v[60:61], v[60:61], v[66:67], -v[68:69]
	v_fma_f64 v[62:63], v[62:63], v[66:67], v[64:65]
	v_add_f64 v[3:4], v[3:4], v[60:61]
	v_add_f64 v[1:2], v[1:2], v[62:63]
	s_andn2_b32 exec_lo, exec_lo, s5
	s_cbranch_execnz .LBB87_73
; %bb.74:
	s_or_b32 exec_lo, exec_lo, s5
	v_mov_b32_e32 v55, 0
	ds_read_b128 v[55:58], v55 offset:240
	s_waitcnt lgkmcnt(0)
	v_mul_f64 v[60:61], v[1:2], v[57:58]
	v_mul_f64 v[57:58], v[3:4], v[57:58]
	v_fma_f64 v[3:4], v[3:4], v[55:56], -v[60:61]
	v_fma_f64 v[1:2], v[1:2], v[55:56], v[57:58]
	buffer_store_dword v4, off, s[0:3], 0 offset:260
	buffer_store_dword v3, off, s[0:3], 0 offset:256
	;; [unrolled: 1-line block ×4, first 2 shown]
.LBB87_75:
	s_or_b32 exec_lo, exec_lo, s4
	v_mov_b32_e32 v4, s19
	s_waitcnt_vscnt null, 0x0
	s_barrier
	buffer_gl0_inv
	s_mov_b32 s4, exec_lo
	s_clause 0x3
	buffer_load_dword v1, v4, s[0:3], 0 offen
	buffer_load_dword v2, v4, s[0:3], 0 offen offset:4
	buffer_load_dword v3, v4, s[0:3], 0 offen offset:8
	;; [unrolled: 1-line block ×3, first 2 shown]
	s_waitcnt vmcnt(0)
	ds_write_b128 v53, v[1:4]
	s_waitcnt lgkmcnt(0)
	s_barrier
	buffer_gl0_inv
	v_cmpx_gt_u32_e32 16, v0
	s_cbranch_execz .LBB87_79
; %bb.76:
	v_mov_b32_e32 v1, 0
	v_mov_b32_e32 v3, 0
	v_add_nc_u32_e32 v55, -1, v0
	v_add_nc_u32_e32 v56, 0x180, v59
	v_mov_b32_e32 v2, 0
	v_mov_b32_e32 v4, 0
	v_add_nc_u32_e32 v57, 16, v59
	s_mov_b32 s5, 0
	.p2align	6
.LBB87_77:                              ; =>This Inner Loop Header: Depth=1
	s_clause 0x3
	buffer_load_dword v64, v57, s[0:3], 0 offen offset:8
	buffer_load_dword v65, v57, s[0:3], 0 offen offset:12
	buffer_load_dword v66, v57, s[0:3], 0 offen
	buffer_load_dword v67, v57, s[0:3], 0 offen offset:4
	ds_read_b128 v[60:63], v56
	v_add_nc_u32_e32 v55, 1, v55
	v_add_nc_u32_e32 v56, 16, v56
	;; [unrolled: 1-line block ×3, first 2 shown]
	v_cmp_lt_u32_e32 vcc_lo, 14, v55
	s_or_b32 s5, vcc_lo, s5
	s_waitcnt vmcnt(2) lgkmcnt(0)
	v_mul_f64 v[68:69], v[62:63], v[64:65]
	v_mul_f64 v[64:65], v[60:61], v[64:65]
	s_waitcnt vmcnt(0)
	v_fma_f64 v[60:61], v[60:61], v[66:67], -v[68:69]
	v_fma_f64 v[62:63], v[62:63], v[66:67], v[64:65]
	v_add_f64 v[3:4], v[3:4], v[60:61]
	v_add_f64 v[1:2], v[1:2], v[62:63]
	s_andn2_b32 exec_lo, exec_lo, s5
	s_cbranch_execnz .LBB87_77
; %bb.78:
	s_or_b32 exec_lo, exec_lo, s5
	v_mov_b32_e32 v55, 0
	ds_read_b128 v[55:58], v55 offset:256
	s_waitcnt lgkmcnt(0)
	v_mul_f64 v[60:61], v[1:2], v[57:58]
	v_mul_f64 v[57:58], v[3:4], v[57:58]
	v_fma_f64 v[3:4], v[3:4], v[55:56], -v[60:61]
	v_fma_f64 v[1:2], v[1:2], v[55:56], v[57:58]
	buffer_store_dword v4, off, s[0:3], 0 offset:276
	buffer_store_dword v3, off, s[0:3], 0 offset:272
	;; [unrolled: 1-line block ×4, first 2 shown]
.LBB87_79:
	s_or_b32 exec_lo, exec_lo, s4
	v_mov_b32_e32 v4, s18
	s_waitcnt_vscnt null, 0x0
	s_barrier
	buffer_gl0_inv
	s_mov_b32 s4, exec_lo
	s_clause 0x3
	buffer_load_dword v1, v4, s[0:3], 0 offen
	buffer_load_dword v2, v4, s[0:3], 0 offen offset:4
	buffer_load_dword v3, v4, s[0:3], 0 offen offset:8
	buffer_load_dword v4, v4, s[0:3], 0 offen offset:12
	s_waitcnt vmcnt(0)
	ds_write_b128 v53, v[1:4]
	s_waitcnt lgkmcnt(0)
	s_barrier
	buffer_gl0_inv
	v_cmpx_gt_u32_e32 17, v0
	s_cbranch_execz .LBB87_83
; %bb.80:
	v_mov_b32_e32 v1, 0
	v_mov_b32_e32 v3, 0
	v_add_nc_u32_e32 v55, -1, v0
	v_add_nc_u32_e32 v56, 0x180, v59
	v_mov_b32_e32 v2, 0
	v_mov_b32_e32 v4, 0
	v_add_nc_u32_e32 v57, 16, v59
	s_mov_b32 s5, 0
	.p2align	6
.LBB87_81:                              ; =>This Inner Loop Header: Depth=1
	s_clause 0x3
	buffer_load_dword v64, v57, s[0:3], 0 offen offset:8
	buffer_load_dword v65, v57, s[0:3], 0 offen offset:12
	buffer_load_dword v66, v57, s[0:3], 0 offen
	buffer_load_dword v67, v57, s[0:3], 0 offen offset:4
	ds_read_b128 v[60:63], v56
	v_add_nc_u32_e32 v55, 1, v55
	v_add_nc_u32_e32 v56, 16, v56
	;; [unrolled: 1-line block ×3, first 2 shown]
	v_cmp_lt_u32_e32 vcc_lo, 15, v55
	s_or_b32 s5, vcc_lo, s5
	s_waitcnt vmcnt(2) lgkmcnt(0)
	v_mul_f64 v[68:69], v[62:63], v[64:65]
	v_mul_f64 v[64:65], v[60:61], v[64:65]
	s_waitcnt vmcnt(0)
	v_fma_f64 v[60:61], v[60:61], v[66:67], -v[68:69]
	v_fma_f64 v[62:63], v[62:63], v[66:67], v[64:65]
	v_add_f64 v[3:4], v[3:4], v[60:61]
	v_add_f64 v[1:2], v[1:2], v[62:63]
	s_andn2_b32 exec_lo, exec_lo, s5
	s_cbranch_execnz .LBB87_81
; %bb.82:
	s_or_b32 exec_lo, exec_lo, s5
	v_mov_b32_e32 v55, 0
	ds_read_b128 v[55:58], v55 offset:272
	s_waitcnt lgkmcnt(0)
	v_mul_f64 v[60:61], v[1:2], v[57:58]
	v_mul_f64 v[57:58], v[3:4], v[57:58]
	v_fma_f64 v[3:4], v[3:4], v[55:56], -v[60:61]
	v_fma_f64 v[1:2], v[1:2], v[55:56], v[57:58]
	buffer_store_dword v4, off, s[0:3], 0 offset:292
	buffer_store_dword v3, off, s[0:3], 0 offset:288
	;; [unrolled: 1-line block ×4, first 2 shown]
.LBB87_83:
	s_or_b32 exec_lo, exec_lo, s4
	v_mov_b32_e32 v4, s17
	s_waitcnt_vscnt null, 0x0
	s_barrier
	buffer_gl0_inv
	s_mov_b32 s4, exec_lo
	s_clause 0x3
	buffer_load_dword v1, v4, s[0:3], 0 offen
	buffer_load_dword v2, v4, s[0:3], 0 offen offset:4
	buffer_load_dword v3, v4, s[0:3], 0 offen offset:8
	;; [unrolled: 1-line block ×3, first 2 shown]
	s_waitcnt vmcnt(0)
	ds_write_b128 v53, v[1:4]
	s_waitcnt lgkmcnt(0)
	s_barrier
	buffer_gl0_inv
	v_cmpx_gt_u32_e32 18, v0
	s_cbranch_execz .LBB87_87
; %bb.84:
	v_mov_b32_e32 v1, 0
	v_mov_b32_e32 v3, 0
	v_add_nc_u32_e32 v55, -1, v0
	v_add_nc_u32_e32 v56, 0x180, v59
	v_mov_b32_e32 v2, 0
	v_mov_b32_e32 v4, 0
	v_add_nc_u32_e32 v57, 16, v59
	s_mov_b32 s5, 0
	.p2align	6
.LBB87_85:                              ; =>This Inner Loop Header: Depth=1
	s_clause 0x3
	buffer_load_dword v64, v57, s[0:3], 0 offen offset:8
	buffer_load_dword v65, v57, s[0:3], 0 offen offset:12
	buffer_load_dword v66, v57, s[0:3], 0 offen
	buffer_load_dword v67, v57, s[0:3], 0 offen offset:4
	ds_read_b128 v[60:63], v56
	v_add_nc_u32_e32 v55, 1, v55
	v_add_nc_u32_e32 v56, 16, v56
	;; [unrolled: 1-line block ×3, first 2 shown]
	v_cmp_lt_u32_e32 vcc_lo, 16, v55
	s_or_b32 s5, vcc_lo, s5
	s_waitcnt vmcnt(2) lgkmcnt(0)
	v_mul_f64 v[68:69], v[62:63], v[64:65]
	v_mul_f64 v[64:65], v[60:61], v[64:65]
	s_waitcnt vmcnt(0)
	v_fma_f64 v[60:61], v[60:61], v[66:67], -v[68:69]
	v_fma_f64 v[62:63], v[62:63], v[66:67], v[64:65]
	v_add_f64 v[3:4], v[3:4], v[60:61]
	v_add_f64 v[1:2], v[1:2], v[62:63]
	s_andn2_b32 exec_lo, exec_lo, s5
	s_cbranch_execnz .LBB87_85
; %bb.86:
	s_or_b32 exec_lo, exec_lo, s5
	v_mov_b32_e32 v55, 0
	ds_read_b128 v[55:58], v55 offset:288
	s_waitcnt lgkmcnt(0)
	v_mul_f64 v[60:61], v[1:2], v[57:58]
	v_mul_f64 v[57:58], v[3:4], v[57:58]
	v_fma_f64 v[3:4], v[3:4], v[55:56], -v[60:61]
	v_fma_f64 v[1:2], v[1:2], v[55:56], v[57:58]
	buffer_store_dword v4, off, s[0:3], 0 offset:308
	buffer_store_dword v3, off, s[0:3], 0 offset:304
	buffer_store_dword v2, off, s[0:3], 0 offset:316
	buffer_store_dword v1, off, s[0:3], 0 offset:312
.LBB87_87:
	s_or_b32 exec_lo, exec_lo, s4
	v_mov_b32_e32 v4, s16
	s_waitcnt_vscnt null, 0x0
	s_barrier
	buffer_gl0_inv
	s_mov_b32 s4, exec_lo
	s_clause 0x3
	buffer_load_dword v1, v4, s[0:3], 0 offen
	buffer_load_dword v2, v4, s[0:3], 0 offen offset:4
	buffer_load_dword v3, v4, s[0:3], 0 offen offset:8
	;; [unrolled: 1-line block ×3, first 2 shown]
	s_waitcnt vmcnt(0)
	ds_write_b128 v53, v[1:4]
	s_waitcnt lgkmcnt(0)
	s_barrier
	buffer_gl0_inv
	v_cmpx_gt_u32_e32 19, v0
	s_cbranch_execz .LBB87_91
; %bb.88:
	v_mov_b32_e32 v1, 0
	v_mov_b32_e32 v3, 0
	v_add_nc_u32_e32 v55, -1, v0
	v_add_nc_u32_e32 v56, 0x180, v59
	v_mov_b32_e32 v2, 0
	v_mov_b32_e32 v4, 0
	v_add_nc_u32_e32 v57, 16, v59
	s_mov_b32 s5, 0
	.p2align	6
.LBB87_89:                              ; =>This Inner Loop Header: Depth=1
	s_clause 0x3
	buffer_load_dword v64, v57, s[0:3], 0 offen offset:8
	buffer_load_dword v65, v57, s[0:3], 0 offen offset:12
	buffer_load_dword v66, v57, s[0:3], 0 offen
	buffer_load_dword v67, v57, s[0:3], 0 offen offset:4
	ds_read_b128 v[60:63], v56
	v_add_nc_u32_e32 v55, 1, v55
	v_add_nc_u32_e32 v56, 16, v56
	;; [unrolled: 1-line block ×3, first 2 shown]
	v_cmp_lt_u32_e32 vcc_lo, 17, v55
	s_or_b32 s5, vcc_lo, s5
	s_waitcnt vmcnt(2) lgkmcnt(0)
	v_mul_f64 v[68:69], v[62:63], v[64:65]
	v_mul_f64 v[64:65], v[60:61], v[64:65]
	s_waitcnt vmcnt(0)
	v_fma_f64 v[60:61], v[60:61], v[66:67], -v[68:69]
	v_fma_f64 v[62:63], v[62:63], v[66:67], v[64:65]
	v_add_f64 v[3:4], v[3:4], v[60:61]
	v_add_f64 v[1:2], v[1:2], v[62:63]
	s_andn2_b32 exec_lo, exec_lo, s5
	s_cbranch_execnz .LBB87_89
; %bb.90:
	s_or_b32 exec_lo, exec_lo, s5
	v_mov_b32_e32 v55, 0
	ds_read_b128 v[55:58], v55 offset:304
	s_waitcnt lgkmcnt(0)
	v_mul_f64 v[60:61], v[1:2], v[57:58]
	v_mul_f64 v[57:58], v[3:4], v[57:58]
	v_fma_f64 v[3:4], v[3:4], v[55:56], -v[60:61]
	v_fma_f64 v[1:2], v[1:2], v[55:56], v[57:58]
	buffer_store_dword v4, off, s[0:3], 0 offset:324
	buffer_store_dword v3, off, s[0:3], 0 offset:320
	;; [unrolled: 1-line block ×4, first 2 shown]
.LBB87_91:
	s_or_b32 exec_lo, exec_lo, s4
	v_mov_b32_e32 v4, s15
	s_waitcnt_vscnt null, 0x0
	s_barrier
	buffer_gl0_inv
	s_mov_b32 s4, exec_lo
	s_clause 0x3
	buffer_load_dword v1, v4, s[0:3], 0 offen
	buffer_load_dword v2, v4, s[0:3], 0 offen offset:4
	buffer_load_dword v3, v4, s[0:3], 0 offen offset:8
	;; [unrolled: 1-line block ×3, first 2 shown]
	s_waitcnt vmcnt(0)
	ds_write_b128 v53, v[1:4]
	s_waitcnt lgkmcnt(0)
	s_barrier
	buffer_gl0_inv
	v_cmpx_gt_u32_e32 20, v0
	s_cbranch_execz .LBB87_95
; %bb.92:
	v_mov_b32_e32 v1, 0
	v_mov_b32_e32 v3, 0
	v_add_nc_u32_e32 v55, -1, v0
	v_add_nc_u32_e32 v56, 0x180, v59
	v_mov_b32_e32 v2, 0
	v_mov_b32_e32 v4, 0
	v_add_nc_u32_e32 v57, 16, v59
	s_mov_b32 s5, 0
	.p2align	6
.LBB87_93:                              ; =>This Inner Loop Header: Depth=1
	s_clause 0x3
	buffer_load_dword v64, v57, s[0:3], 0 offen offset:8
	buffer_load_dword v65, v57, s[0:3], 0 offen offset:12
	buffer_load_dword v66, v57, s[0:3], 0 offen
	buffer_load_dword v67, v57, s[0:3], 0 offen offset:4
	ds_read_b128 v[60:63], v56
	v_add_nc_u32_e32 v55, 1, v55
	v_add_nc_u32_e32 v56, 16, v56
	;; [unrolled: 1-line block ×3, first 2 shown]
	v_cmp_lt_u32_e32 vcc_lo, 18, v55
	s_or_b32 s5, vcc_lo, s5
	s_waitcnt vmcnt(2) lgkmcnt(0)
	v_mul_f64 v[68:69], v[62:63], v[64:65]
	v_mul_f64 v[64:65], v[60:61], v[64:65]
	s_waitcnt vmcnt(0)
	v_fma_f64 v[60:61], v[60:61], v[66:67], -v[68:69]
	v_fma_f64 v[62:63], v[62:63], v[66:67], v[64:65]
	v_add_f64 v[3:4], v[3:4], v[60:61]
	v_add_f64 v[1:2], v[1:2], v[62:63]
	s_andn2_b32 exec_lo, exec_lo, s5
	s_cbranch_execnz .LBB87_93
; %bb.94:
	s_or_b32 exec_lo, exec_lo, s5
	v_mov_b32_e32 v55, 0
	ds_read_b128 v[55:58], v55 offset:320
	s_waitcnt lgkmcnt(0)
	v_mul_f64 v[60:61], v[1:2], v[57:58]
	v_mul_f64 v[57:58], v[3:4], v[57:58]
	v_fma_f64 v[3:4], v[3:4], v[55:56], -v[60:61]
	v_fma_f64 v[1:2], v[1:2], v[55:56], v[57:58]
	buffer_store_dword v4, off, s[0:3], 0 offset:340
	buffer_store_dword v3, off, s[0:3], 0 offset:336
	;; [unrolled: 1-line block ×4, first 2 shown]
.LBB87_95:
	s_or_b32 exec_lo, exec_lo, s4
	v_mov_b32_e32 v4, s14
	s_waitcnt_vscnt null, 0x0
	s_barrier
	buffer_gl0_inv
	s_mov_b32 s4, exec_lo
	s_clause 0x3
	buffer_load_dword v1, v4, s[0:3], 0 offen
	buffer_load_dword v2, v4, s[0:3], 0 offen offset:4
	buffer_load_dword v3, v4, s[0:3], 0 offen offset:8
	;; [unrolled: 1-line block ×3, first 2 shown]
	s_waitcnt vmcnt(0)
	ds_write_b128 v53, v[1:4]
	s_waitcnt lgkmcnt(0)
	s_barrier
	buffer_gl0_inv
	v_cmpx_gt_u32_e32 21, v0
	s_cbranch_execz .LBB87_99
; %bb.96:
	v_mov_b32_e32 v1, 0
	v_mov_b32_e32 v3, 0
	v_add_nc_u32_e32 v55, -1, v0
	v_add_nc_u32_e32 v56, 0x180, v59
	v_mov_b32_e32 v2, 0
	v_mov_b32_e32 v4, 0
	v_add_nc_u32_e32 v57, 16, v59
	s_mov_b32 s5, 0
	.p2align	6
.LBB87_97:                              ; =>This Inner Loop Header: Depth=1
	s_clause 0x3
	buffer_load_dword v64, v57, s[0:3], 0 offen offset:8
	buffer_load_dword v65, v57, s[0:3], 0 offen offset:12
	buffer_load_dword v66, v57, s[0:3], 0 offen
	buffer_load_dword v67, v57, s[0:3], 0 offen offset:4
	ds_read_b128 v[60:63], v56
	v_add_nc_u32_e32 v55, 1, v55
	v_add_nc_u32_e32 v56, 16, v56
	;; [unrolled: 1-line block ×3, first 2 shown]
	v_cmp_lt_u32_e32 vcc_lo, 19, v55
	s_or_b32 s5, vcc_lo, s5
	s_waitcnt vmcnt(2) lgkmcnt(0)
	v_mul_f64 v[68:69], v[62:63], v[64:65]
	v_mul_f64 v[64:65], v[60:61], v[64:65]
	s_waitcnt vmcnt(0)
	v_fma_f64 v[60:61], v[60:61], v[66:67], -v[68:69]
	v_fma_f64 v[62:63], v[62:63], v[66:67], v[64:65]
	v_add_f64 v[3:4], v[3:4], v[60:61]
	v_add_f64 v[1:2], v[1:2], v[62:63]
	s_andn2_b32 exec_lo, exec_lo, s5
	s_cbranch_execnz .LBB87_97
; %bb.98:
	s_or_b32 exec_lo, exec_lo, s5
	v_mov_b32_e32 v55, 0
	ds_read_b128 v[55:58], v55 offset:336
	s_waitcnt lgkmcnt(0)
	v_mul_f64 v[60:61], v[1:2], v[57:58]
	v_mul_f64 v[57:58], v[3:4], v[57:58]
	v_fma_f64 v[3:4], v[3:4], v[55:56], -v[60:61]
	v_fma_f64 v[1:2], v[1:2], v[55:56], v[57:58]
	buffer_store_dword v4, off, s[0:3], 0 offset:356
	buffer_store_dword v3, off, s[0:3], 0 offset:352
	;; [unrolled: 1-line block ×4, first 2 shown]
.LBB87_99:
	s_or_b32 exec_lo, exec_lo, s4
	v_mov_b32_e32 v4, s9
	s_waitcnt_vscnt null, 0x0
	s_barrier
	buffer_gl0_inv
	s_mov_b32 s4, exec_lo
	s_clause 0x3
	buffer_load_dword v1, v4, s[0:3], 0 offen
	buffer_load_dword v2, v4, s[0:3], 0 offen offset:4
	buffer_load_dword v3, v4, s[0:3], 0 offen offset:8
	;; [unrolled: 1-line block ×3, first 2 shown]
	s_waitcnt vmcnt(0)
	ds_write_b128 v53, v[1:4]
	s_waitcnt lgkmcnt(0)
	s_barrier
	buffer_gl0_inv
	v_cmpx_gt_u32_e32 22, v0
	s_cbranch_execz .LBB87_103
; %bb.100:
	v_mov_b32_e32 v1, 0
	v_mov_b32_e32 v3, 0
	v_add_nc_u32_e32 v55, -1, v0
	v_add_nc_u32_e32 v56, 0x180, v59
	v_mov_b32_e32 v2, 0
	v_mov_b32_e32 v4, 0
	v_add_nc_u32_e32 v57, 16, v59
	s_mov_b32 s5, 0
	.p2align	6
.LBB87_101:                             ; =>This Inner Loop Header: Depth=1
	s_clause 0x3
	buffer_load_dword v64, v57, s[0:3], 0 offen offset:8
	buffer_load_dword v65, v57, s[0:3], 0 offen offset:12
	buffer_load_dword v66, v57, s[0:3], 0 offen
	buffer_load_dword v67, v57, s[0:3], 0 offen offset:4
	ds_read_b128 v[60:63], v56
	v_add_nc_u32_e32 v55, 1, v55
	v_add_nc_u32_e32 v56, 16, v56
	v_add_nc_u32_e32 v57, 16, v57
	v_cmp_lt_u32_e32 vcc_lo, 20, v55
	s_or_b32 s5, vcc_lo, s5
	s_waitcnt vmcnt(2) lgkmcnt(0)
	v_mul_f64 v[68:69], v[62:63], v[64:65]
	v_mul_f64 v[64:65], v[60:61], v[64:65]
	s_waitcnt vmcnt(0)
	v_fma_f64 v[60:61], v[60:61], v[66:67], -v[68:69]
	v_fma_f64 v[62:63], v[62:63], v[66:67], v[64:65]
	v_add_f64 v[3:4], v[3:4], v[60:61]
	v_add_f64 v[1:2], v[1:2], v[62:63]
	s_andn2_b32 exec_lo, exec_lo, s5
	s_cbranch_execnz .LBB87_101
; %bb.102:
	s_or_b32 exec_lo, exec_lo, s5
	v_mov_b32_e32 v55, 0
	ds_read_b128 v[55:58], v55 offset:352
	s_waitcnt lgkmcnt(0)
	v_mul_f64 v[60:61], v[1:2], v[57:58]
	v_mul_f64 v[57:58], v[3:4], v[57:58]
	v_fma_f64 v[3:4], v[3:4], v[55:56], -v[60:61]
	v_fma_f64 v[1:2], v[1:2], v[55:56], v[57:58]
	buffer_store_dword v4, off, s[0:3], 0 offset:372
	buffer_store_dword v3, off, s[0:3], 0 offset:368
	;; [unrolled: 1-line block ×4, first 2 shown]
.LBB87_103:
	s_or_b32 exec_lo, exec_lo, s4
	v_mov_b32_e32 v4, s8
	s_waitcnt_vscnt null, 0x0
	s_barrier
	buffer_gl0_inv
	s_mov_b32 s4, exec_lo
	s_clause 0x3
	buffer_load_dword v1, v4, s[0:3], 0 offen
	buffer_load_dword v2, v4, s[0:3], 0 offen offset:4
	buffer_load_dword v3, v4, s[0:3], 0 offen offset:8
	;; [unrolled: 1-line block ×3, first 2 shown]
	s_waitcnt vmcnt(0)
	ds_write_b128 v53, v[1:4]
	s_waitcnt lgkmcnt(0)
	s_barrier
	buffer_gl0_inv
	v_cmpx_ne_u32_e32 23, v0
	s_cbranch_execz .LBB87_107
; %bb.104:
	v_mov_b32_e32 v1, 0
	v_mov_b32_e32 v3, 0
	;; [unrolled: 1-line block ×4, first 2 shown]
	v_add_nc_u32_e32 v55, 16, v59
	s_mov_b32 s5, 0
	.p2align	6
.LBB87_105:                             ; =>This Inner Loop Header: Depth=1
	s_clause 0x3
	buffer_load_dword v60, v55, s[0:3], 0 offen offset:8
	buffer_load_dword v61, v55, s[0:3], 0 offen offset:12
	buffer_load_dword v62, v55, s[0:3], 0 offen
	buffer_load_dword v63, v55, s[0:3], 0 offen offset:4
	ds_read_b128 v[56:59], v53
	v_add_nc_u32_e32 v54, 1, v54
	v_add_nc_u32_e32 v53, 16, v53
	;; [unrolled: 1-line block ×3, first 2 shown]
	v_cmp_lt_u32_e32 vcc_lo, 21, v54
	s_or_b32 s5, vcc_lo, s5
	s_waitcnt vmcnt(2) lgkmcnt(0)
	v_mul_f64 v[64:65], v[58:59], v[60:61]
	v_mul_f64 v[60:61], v[56:57], v[60:61]
	s_waitcnt vmcnt(0)
	v_fma_f64 v[56:57], v[56:57], v[62:63], -v[64:65]
	v_fma_f64 v[58:59], v[58:59], v[62:63], v[60:61]
	v_add_f64 v[3:4], v[3:4], v[56:57]
	v_add_f64 v[1:2], v[1:2], v[58:59]
	s_andn2_b32 exec_lo, exec_lo, s5
	s_cbranch_execnz .LBB87_105
; %bb.106:
	s_or_b32 exec_lo, exec_lo, s5
	v_mov_b32_e32 v53, 0
	ds_read_b128 v[53:56], v53 offset:368
	s_waitcnt lgkmcnt(0)
	v_mul_f64 v[57:58], v[1:2], v[55:56]
	v_mul_f64 v[55:56], v[3:4], v[55:56]
	v_fma_f64 v[3:4], v[3:4], v[53:54], -v[57:58]
	v_fma_f64 v[1:2], v[1:2], v[53:54], v[55:56]
	buffer_store_dword v4, off, s[0:3], 0 offset:388
	buffer_store_dword v3, off, s[0:3], 0 offset:384
	;; [unrolled: 1-line block ×4, first 2 shown]
.LBB87_107:
	s_or_b32 exec_lo, exec_lo, s4
	s_mov_b32 s5, -1
	s_waitcnt_vscnt null, 0x0
	s_barrier
	buffer_gl0_inv
.LBB87_108:
	s_and_b32 vcc_lo, exec_lo, s5
	s_cbranch_vccz .LBB87_110
; %bb.109:
	s_lshl_b64 s[4:5], s[6:7], 2
	v_mov_b32_e32 v1, 0
	s_add_u32 s4, s10, s4
	s_addc_u32 s5, s11, s5
	global_load_dword v1, v1, s[4:5]
	s_waitcnt vmcnt(0)
	v_cmp_ne_u32_e32 vcc_lo, 0, v1
	s_cbranch_vccz .LBB87_111
.LBB87_110:
	s_endpgm
.LBB87_111:
	v_lshl_add_u32 v1, v0, 4, 0x180
	s_mov_b32 s4, exec_lo
	v_cmpx_eq_u32_e32 23, v0
	s_cbranch_execz .LBB87_113
; %bb.112:
	v_mov_b32_e32 v2, s9
	s_clause 0x3
	buffer_load_dword v53, v2, s[0:3], 0 offen
	buffer_load_dword v54, v2, s[0:3], 0 offen offset:4
	buffer_load_dword v55, v2, s[0:3], 0 offen offset:8
	;; [unrolled: 1-line block ×3, first 2 shown]
	v_mov_b32_e32 v2, 0
	buffer_store_dword v2, off, s[0:3], 0 offset:368
	buffer_store_dword v2, off, s[0:3], 0 offset:372
	buffer_store_dword v2, off, s[0:3], 0 offset:376
	buffer_store_dword v2, off, s[0:3], 0 offset:380
	s_waitcnt vmcnt(0)
	ds_write_b128 v1, v[53:56]
.LBB87_113:
	s_or_b32 exec_lo, exec_lo, s4
	s_waitcnt lgkmcnt(0)
	s_waitcnt_vscnt null, 0x0
	s_barrier
	buffer_gl0_inv
	s_clause 0x7
	buffer_load_dword v3, off, s[0:3], 0 offset:392
	buffer_load_dword v4, off, s[0:3], 0 offset:396
	buffer_load_dword v57, off, s[0:3], 0 offset:384
	buffer_load_dword v58, off, s[0:3], 0 offset:388
	buffer_load_dword v59, off, s[0:3], 0 offset:368
	buffer_load_dword v60, off, s[0:3], 0 offset:372
	buffer_load_dword v61, off, s[0:3], 0 offset:376
	buffer_load_dword v62, off, s[0:3], 0 offset:380
	v_mov_b32_e32 v2, 0
	s_mov_b32 s4, exec_lo
	ds_read_b128 v[53:56], v2 offset:752
	s_waitcnt vmcnt(6) lgkmcnt(0)
	v_mul_f64 v[63:64], v[55:56], v[3:4]
	v_mul_f64 v[3:4], v[53:54], v[3:4]
	s_waitcnt vmcnt(4)
	v_fma_f64 v[53:54], v[53:54], v[57:58], -v[63:64]
	v_fma_f64 v[3:4], v[55:56], v[57:58], v[3:4]
	v_add_f64 v[53:54], v[53:54], 0
	v_add_f64 v[3:4], v[3:4], 0
	s_waitcnt vmcnt(2)
	v_add_f64 v[53:54], v[59:60], -v[53:54]
	s_waitcnt vmcnt(0)
	v_add_f64 v[3:4], v[61:62], -v[3:4]
	buffer_store_dword v53, off, s[0:3], 0 offset:368
	buffer_store_dword v54, off, s[0:3], 0 offset:372
	;; [unrolled: 1-line block ×4, first 2 shown]
	v_cmpx_lt_u32_e32 21, v0
	s_cbranch_execz .LBB87_115
; %bb.114:
	v_mov_b32_e32 v3, s14
	s_clause 0x3
	buffer_load_dword v53, v3, s[0:3], 0 offen
	buffer_load_dword v54, v3, s[0:3], 0 offen offset:4
	buffer_load_dword v55, v3, s[0:3], 0 offen offset:8
	;; [unrolled: 1-line block ×3, first 2 shown]
	buffer_store_dword v2, off, s[0:3], 0 offset:352
	buffer_store_dword v2, off, s[0:3], 0 offset:356
	;; [unrolled: 1-line block ×4, first 2 shown]
	s_waitcnt vmcnt(0)
	ds_write_b128 v1, v[53:56]
.LBB87_115:
	s_or_b32 exec_lo, exec_lo, s4
	s_waitcnt lgkmcnt(0)
	s_waitcnt_vscnt null, 0x0
	s_barrier
	buffer_gl0_inv
	s_clause 0xb
	buffer_load_dword v3, off, s[0:3], 0 offset:376
	buffer_load_dword v4, off, s[0:3], 0 offset:380
	;; [unrolled: 1-line block ×12, first 2 shown]
	ds_read_b128 v[53:56], v2 offset:736
	ds_read_b128 v[57:60], v2 offset:752
	s_mov_b32 s4, exec_lo
	s_waitcnt vmcnt(10) lgkmcnt(1)
	v_mul_f64 v[71:72], v[55:56], v[3:4]
	v_mul_f64 v[2:3], v[53:54], v[3:4]
	s_waitcnt vmcnt(8) lgkmcnt(0)
	v_mul_f64 v[73:74], v[59:60], v[61:62]
	v_mul_f64 v[61:62], v[57:58], v[61:62]
	s_waitcnt vmcnt(6)
	v_fma_f64 v[53:54], v[53:54], v[63:64], -v[71:72]
	v_fma_f64 v[2:3], v[55:56], v[63:64], v[2:3]
	s_waitcnt vmcnt(4)
	v_fma_f64 v[55:56], v[57:58], v[65:66], -v[73:74]
	v_fma_f64 v[57:58], v[59:60], v[65:66], v[61:62]
	v_add_f64 v[53:54], v[53:54], 0
	v_add_f64 v[2:3], v[2:3], 0
	;; [unrolled: 1-line block ×4, first 2 shown]
	s_waitcnt vmcnt(2)
	v_add_f64 v[53:54], v[67:68], -v[53:54]
	s_waitcnt vmcnt(0)
	v_add_f64 v[2:3], v[69:70], -v[2:3]
	buffer_store_dword v53, off, s[0:3], 0 offset:352
	buffer_store_dword v54, off, s[0:3], 0 offset:356
	buffer_store_dword v2, off, s[0:3], 0 offset:360
	buffer_store_dword v3, off, s[0:3], 0 offset:364
	v_cmpx_lt_u32_e32 20, v0
	s_cbranch_execz .LBB87_117
; %bb.116:
	v_mov_b32_e32 v2, s15
	s_clause 0x3
	buffer_load_dword v53, v2, s[0:3], 0 offen
	buffer_load_dword v54, v2, s[0:3], 0 offen offset:4
	buffer_load_dword v55, v2, s[0:3], 0 offen offset:8
	;; [unrolled: 1-line block ×3, first 2 shown]
	v_mov_b32_e32 v2, 0
	buffer_store_dword v2, off, s[0:3], 0 offset:336
	buffer_store_dword v2, off, s[0:3], 0 offset:340
	;; [unrolled: 1-line block ×4, first 2 shown]
	s_waitcnt vmcnt(0)
	ds_write_b128 v1, v[53:56]
.LBB87_117:
	s_or_b32 exec_lo, exec_lo, s4
	s_waitcnt lgkmcnt(0)
	s_waitcnt_vscnt null, 0x0
	s_barrier
	buffer_gl0_inv
	s_clause 0xf
	buffer_load_dword v3, off, s[0:3], 0 offset:360
	buffer_load_dword v4, off, s[0:3], 0 offset:364
	;; [unrolled: 1-line block ×16, first 2 shown]
	v_mov_b32_e32 v2, 0
	ds_read_b128 v[53:56], v2 offset:720
	ds_read_b128 v[57:60], v2 offset:736
	;; [unrolled: 1-line block ×3, first 2 shown]
	s_mov_b32 s4, exec_lo
	s_waitcnt vmcnt(14) lgkmcnt(2)
	v_mul_f64 v[79:80], v[55:56], v[3:4]
	v_mul_f64 v[3:4], v[53:54], v[3:4]
	s_waitcnt vmcnt(12) lgkmcnt(1)
	v_mul_f64 v[81:82], v[59:60], v[65:66]
	v_mul_f64 v[65:66], v[57:58], v[65:66]
	s_waitcnt vmcnt(10)
	v_fma_f64 v[53:54], v[53:54], v[67:68], -v[79:80]
	v_fma_f64 v[3:4], v[55:56], v[67:68], v[3:4]
	s_waitcnt vmcnt(8) lgkmcnt(0)
	v_mul_f64 v[67:68], v[63:64], v[69:70]
	s_waitcnt vmcnt(6)
	v_fma_f64 v[57:58], v[57:58], v[71:72], -v[81:82]
	v_mul_f64 v[55:56], v[61:62], v[69:70]
	v_fma_f64 v[59:60], v[59:60], v[71:72], v[65:66]
	v_add_f64 v[53:54], v[53:54], 0
	v_add_f64 v[3:4], v[3:4], 0
	s_waitcnt vmcnt(4)
	v_fma_f64 v[61:62], v[61:62], v[73:74], -v[67:68]
	v_fma_f64 v[55:56], v[63:64], v[73:74], v[55:56]
	v_add_f64 v[53:54], v[53:54], v[57:58]
	v_add_f64 v[3:4], v[3:4], v[59:60]
	;; [unrolled: 1-line block ×4, first 2 shown]
	s_waitcnt vmcnt(2)
	v_add_f64 v[53:54], v[75:76], -v[53:54]
	s_waitcnt vmcnt(0)
	v_add_f64 v[3:4], v[77:78], -v[3:4]
	buffer_store_dword v53, off, s[0:3], 0 offset:336
	buffer_store_dword v54, off, s[0:3], 0 offset:340
	;; [unrolled: 1-line block ×4, first 2 shown]
	v_cmpx_lt_u32_e32 19, v0
	s_cbranch_execz .LBB87_119
; %bb.118:
	v_mov_b32_e32 v3, s16
	s_clause 0x3
	buffer_load_dword v53, v3, s[0:3], 0 offen
	buffer_load_dword v54, v3, s[0:3], 0 offen offset:4
	buffer_load_dword v55, v3, s[0:3], 0 offen offset:8
	;; [unrolled: 1-line block ×3, first 2 shown]
	buffer_store_dword v2, off, s[0:3], 0 offset:320
	buffer_store_dword v2, off, s[0:3], 0 offset:324
	;; [unrolled: 1-line block ×4, first 2 shown]
	s_waitcnt vmcnt(0)
	ds_write_b128 v1, v[53:56]
.LBB87_119:
	s_or_b32 exec_lo, exec_lo, s4
	s_waitcnt lgkmcnt(0)
	s_waitcnt_vscnt null, 0x0
	s_barrier
	buffer_gl0_inv
	s_clause 0x13
	buffer_load_dword v3, off, s[0:3], 0 offset:344
	buffer_load_dword v4, off, s[0:3], 0 offset:348
	;; [unrolled: 1-line block ×20, first 2 shown]
	ds_read_b128 v[53:56], v2 offset:704
	ds_read_b128 v[57:60], v2 offset:720
	;; [unrolled: 1-line block ×3, first 2 shown]
	s_mov_b32 s4, exec_lo
	s_waitcnt vmcnt(18) lgkmcnt(2)
	v_mul_f64 v[83:84], v[55:56], v[3:4]
	v_mul_f64 v[3:4], v[53:54], v[3:4]
	s_waitcnt vmcnt(16) lgkmcnt(1)
	v_mul_f64 v[85:86], v[59:60], v[65:66]
	v_mul_f64 v[65:66], v[57:58], v[65:66]
	s_waitcnt vmcnt(14)
	v_fma_f64 v[83:84], v[53:54], v[67:68], -v[83:84]
	v_fma_f64 v[3:4], v[55:56], v[67:68], v[3:4]
	ds_read_b128 v[53:56], v2 offset:752
	s_waitcnt vmcnt(12) lgkmcnt(1)
	v_mul_f64 v[67:68], v[61:62], v[69:70]
	v_mul_f64 v[69:70], v[63:64], v[69:70]
	s_waitcnt vmcnt(10)
	v_fma_f64 v[57:58], v[57:58], v[71:72], -v[85:86]
	v_fma_f64 v[59:60], v[59:60], v[71:72], v[65:66]
	s_waitcnt vmcnt(8) lgkmcnt(0)
	v_mul_f64 v[71:72], v[55:56], v[73:74]
	v_add_f64 v[83:84], v[83:84], 0
	v_add_f64 v[2:3], v[3:4], 0
	v_mul_f64 v[65:66], v[53:54], v[73:74]
	s_waitcnt vmcnt(6)
	v_fma_f64 v[61:62], v[61:62], v[75:76], -v[69:70]
	v_fma_f64 v[63:64], v[63:64], v[75:76], v[67:68]
	s_waitcnt vmcnt(4)
	v_fma_f64 v[53:54], v[53:54], v[77:78], -v[71:72]
	v_add_f64 v[57:58], v[83:84], v[57:58]
	v_add_f64 v[2:3], v[2:3], v[59:60]
	v_fma_f64 v[55:56], v[55:56], v[77:78], v[65:66]
	v_add_f64 v[57:58], v[57:58], v[61:62]
	v_add_f64 v[2:3], v[2:3], v[63:64]
	;; [unrolled: 1-line block ×4, first 2 shown]
	s_waitcnt vmcnt(2)
	v_add_f64 v[53:54], v[79:80], -v[53:54]
	s_waitcnt vmcnt(0)
	v_add_f64 v[2:3], v[81:82], -v[2:3]
	buffer_store_dword v53, off, s[0:3], 0 offset:320
	buffer_store_dword v54, off, s[0:3], 0 offset:324
	;; [unrolled: 1-line block ×4, first 2 shown]
	v_cmpx_lt_u32_e32 18, v0
	s_cbranch_execz .LBB87_121
; %bb.120:
	v_mov_b32_e32 v2, s17
	s_clause 0x3
	buffer_load_dword v53, v2, s[0:3], 0 offen
	buffer_load_dword v54, v2, s[0:3], 0 offen offset:4
	buffer_load_dword v55, v2, s[0:3], 0 offen offset:8
	;; [unrolled: 1-line block ×3, first 2 shown]
	v_mov_b32_e32 v2, 0
	buffer_store_dword v2, off, s[0:3], 0 offset:304
	buffer_store_dword v2, off, s[0:3], 0 offset:308
	;; [unrolled: 1-line block ×4, first 2 shown]
	s_waitcnt vmcnt(0)
	ds_write_b128 v1, v[53:56]
.LBB87_121:
	s_or_b32 exec_lo, exec_lo, s4
	s_waitcnt lgkmcnt(0)
	s_waitcnt_vscnt null, 0x0
	s_barrier
	buffer_gl0_inv
	s_clause 0x17
	buffer_load_dword v3, off, s[0:3], 0 offset:328
	buffer_load_dword v4, off, s[0:3], 0 offset:332
	;; [unrolled: 1-line block ×24, first 2 shown]
	v_mov_b32_e32 v2, 0
	ds_read_b128 v[53:56], v2 offset:688
	ds_read_b128 v[57:60], v2 offset:704
	;; [unrolled: 1-line block ×3, first 2 shown]
	s_mov_b32 s4, exec_lo
	s_waitcnt vmcnt(22) lgkmcnt(2)
	v_mul_f64 v[87:88], v[55:56], v[3:4]
	v_mul_f64 v[3:4], v[53:54], v[3:4]
	s_waitcnt vmcnt(20) lgkmcnt(1)
	v_mul_f64 v[89:90], v[59:60], v[65:66]
	v_mul_f64 v[65:66], v[57:58], v[65:66]
	s_waitcnt vmcnt(18)
	v_fma_f64 v[87:88], v[53:54], v[67:68], -v[87:88]
	v_fma_f64 v[3:4], v[55:56], v[67:68], v[3:4]
	ds_read_b128 v[53:56], v2 offset:736
	s_waitcnt vmcnt(16) lgkmcnt(1)
	v_mul_f64 v[67:68], v[61:62], v[69:70]
	v_mul_f64 v[69:70], v[63:64], v[69:70]
	s_waitcnt vmcnt(14)
	v_fma_f64 v[89:90], v[57:58], v[71:72], -v[89:90]
	v_fma_f64 v[65:66], v[59:60], v[71:72], v[65:66]
	ds_read_b128 v[57:60], v2 offset:752
	s_waitcnt vmcnt(10) lgkmcnt(1)
	v_mul_f64 v[71:72], v[53:54], v[73:74]
	v_add_f64 v[87:88], v[87:88], 0
	v_add_f64 v[3:4], v[3:4], 0
	v_mul_f64 v[73:74], v[55:56], v[73:74]
	s_waitcnt vmcnt(8)
	v_fma_f64 v[61:62], v[61:62], v[79:80], -v[69:70]
	v_fma_f64 v[63:64], v[63:64], v[79:80], v[67:68]
	s_waitcnt vmcnt(7) lgkmcnt(0)
	v_mul_f64 v[67:68], v[59:60], v[75:76]
	s_waitcnt vmcnt(5)
	v_fma_f64 v[55:56], v[55:56], v[81:82], v[71:72]
	v_add_f64 v[69:70], v[87:88], v[89:90]
	v_add_f64 v[3:4], v[3:4], v[65:66]
	v_fma_f64 v[53:54], v[53:54], v[81:82], -v[73:74]
	v_mul_f64 v[65:66], v[57:58], v[75:76]
	s_waitcnt vmcnt(4)
	v_fma_f64 v[57:58], v[57:58], v[77:78], -v[67:68]
	v_add_f64 v[61:62], v[69:70], v[61:62]
	v_add_f64 v[3:4], v[3:4], v[63:64]
	v_fma_f64 v[59:60], v[59:60], v[77:78], v[65:66]
	v_add_f64 v[53:54], v[61:62], v[53:54]
	v_add_f64 v[3:4], v[3:4], v[55:56]
	;; [unrolled: 1-line block ×4, first 2 shown]
	s_waitcnt vmcnt(2)
	v_add_f64 v[53:54], v[83:84], -v[53:54]
	s_waitcnt vmcnt(0)
	v_add_f64 v[3:4], v[85:86], -v[3:4]
	buffer_store_dword v54, off, s[0:3], 0 offset:308
	buffer_store_dword v53, off, s[0:3], 0 offset:304
	;; [unrolled: 1-line block ×4, first 2 shown]
	v_cmpx_lt_u32_e32 17, v0
	s_cbranch_execz .LBB87_123
; %bb.122:
	v_mov_b32_e32 v3, s18
	s_clause 0x3
	buffer_load_dword v53, v3, s[0:3], 0 offen
	buffer_load_dword v54, v3, s[0:3], 0 offen offset:4
	buffer_load_dword v55, v3, s[0:3], 0 offen offset:8
	;; [unrolled: 1-line block ×3, first 2 shown]
	buffer_store_dword v2, off, s[0:3], 0 offset:288
	buffer_store_dword v2, off, s[0:3], 0 offset:292
	;; [unrolled: 1-line block ×4, first 2 shown]
	s_waitcnt vmcnt(0)
	ds_write_b128 v1, v[53:56]
.LBB87_123:
	s_or_b32 exec_lo, exec_lo, s4
	s_waitcnt lgkmcnt(0)
	s_waitcnt_vscnt null, 0x0
	s_barrier
	buffer_gl0_inv
	s_clause 0x1b
	buffer_load_dword v3, off, s[0:3], 0 offset:312
	buffer_load_dword v4, off, s[0:3], 0 offset:316
	buffer_load_dword v65, off, s[0:3], 0 offset:328
	buffer_load_dword v66, off, s[0:3], 0 offset:332
	buffer_load_dword v67, off, s[0:3], 0 offset:304
	buffer_load_dword v68, off, s[0:3], 0 offset:308
	buffer_load_dword v69, off, s[0:3], 0 offset:344
	buffer_load_dword v70, off, s[0:3], 0 offset:348
	buffer_load_dword v71, off, s[0:3], 0 offset:320
	buffer_load_dword v72, off, s[0:3], 0 offset:324
	buffer_load_dword v74, off, s[0:3], 0 offset:364
	buffer_load_dword v75, off, s[0:3], 0 offset:376
	buffer_load_dword v77, off, s[0:3], 0 offset:368
	buffer_load_dword v73, off, s[0:3], 0 offset:360
	buffer_load_dword v79, off, s[0:3], 0 offset:336
	buffer_load_dword v80, off, s[0:3], 0 offset:340
	buffer_load_dword v76, off, s[0:3], 0 offset:380
	buffer_load_dword v82, off, s[0:3], 0 offset:356
	buffer_load_dword v81, off, s[0:3], 0 offset:352
	buffer_load_dword v84, off, s[0:3], 0 offset:396
	buffer_load_dword v83, off, s[0:3], 0 offset:392
	buffer_load_dword v78, off, s[0:3], 0 offset:372
	buffer_load_dword v86, off, s[0:3], 0 offset:388
	buffer_load_dword v85, off, s[0:3], 0 offset:384
	buffer_load_dword v87, off, s[0:3], 0 offset:288
	buffer_load_dword v88, off, s[0:3], 0 offset:292
	buffer_load_dword v89, off, s[0:3], 0 offset:296
	buffer_load_dword v90, off, s[0:3], 0 offset:300
	ds_read_b128 v[53:56], v2 offset:672
	ds_read_b128 v[57:60], v2 offset:688
	;; [unrolled: 1-line block ×3, first 2 shown]
	s_mov_b32 s4, exec_lo
	s_waitcnt vmcnt(26) lgkmcnt(2)
	v_mul_f64 v[91:92], v[55:56], v[3:4]
	v_mul_f64 v[3:4], v[53:54], v[3:4]
	s_waitcnt vmcnt(24) lgkmcnt(1)
	v_mul_f64 v[93:94], v[59:60], v[65:66]
	v_mul_f64 v[65:66], v[57:58], v[65:66]
	s_waitcnt vmcnt(22)
	v_fma_f64 v[91:92], v[53:54], v[67:68], -v[91:92]
	v_fma_f64 v[3:4], v[55:56], v[67:68], v[3:4]
	ds_read_b128 v[53:56], v2 offset:720
	s_waitcnt vmcnt(20) lgkmcnt(1)
	v_mul_f64 v[67:68], v[61:62], v[69:70]
	v_mul_f64 v[69:70], v[63:64], v[69:70]
	s_waitcnt vmcnt(18)
	v_fma_f64 v[93:94], v[57:58], v[71:72], -v[93:94]
	v_fma_f64 v[65:66], v[59:60], v[71:72], v[65:66]
	ds_read_b128 v[57:60], v2 offset:736
	s_waitcnt vmcnt(14) lgkmcnt(1)
	v_mul_f64 v[71:72], v[53:54], v[73:74]
	v_add_f64 v[91:92], v[91:92], 0
	v_add_f64 v[3:4], v[3:4], 0
	v_mul_f64 v[73:74], v[55:56], v[73:74]
	s_waitcnt vmcnt(12)
	v_fma_f64 v[69:70], v[61:62], v[79:80], -v[69:70]
	v_fma_f64 v[67:68], v[63:64], v[79:80], v[67:68]
	ds_read_b128 v[61:64], v2 offset:752
	s_waitcnt vmcnt(9)
	v_fma_f64 v[55:56], v[55:56], v[81:82], v[71:72]
	v_add_f64 v[91:92], v[91:92], v[93:94]
	v_add_f64 v[3:4], v[3:4], v[65:66]
	s_waitcnt lgkmcnt(1)
	v_mul_f64 v[65:66], v[57:58], v[75:76]
	v_mul_f64 v[75:76], v[59:60], v[75:76]
	v_fma_f64 v[53:54], v[53:54], v[81:82], -v[73:74]
	s_waitcnt vmcnt(7) lgkmcnt(0)
	v_mul_f64 v[71:72], v[63:64], v[83:84]
	v_add_f64 v[69:70], v[91:92], v[69:70]
	v_add_f64 v[2:3], v[3:4], v[67:68]
	v_mul_f64 v[67:68], v[61:62], v[83:84]
	s_waitcnt vmcnt(6)
	v_fma_f64 v[57:58], v[57:58], v[77:78], -v[75:76]
	v_fma_f64 v[59:60], v[59:60], v[77:78], v[65:66]
	v_add_f64 v[53:54], v[69:70], v[53:54]
	v_add_f64 v[2:3], v[2:3], v[55:56]
	s_waitcnt vmcnt(4)
	v_fma_f64 v[55:56], v[61:62], v[85:86], -v[71:72]
	v_add_f64 v[53:54], v[53:54], v[57:58]
	v_fma_f64 v[57:58], v[63:64], v[85:86], v[67:68]
	v_add_f64 v[2:3], v[2:3], v[59:60]
	v_add_f64 v[53:54], v[53:54], v[55:56]
	;; [unrolled: 1-line block ×3, first 2 shown]
	s_waitcnt vmcnt(2)
	v_add_f64 v[53:54], v[87:88], -v[53:54]
	s_waitcnt vmcnt(0)
	v_add_f64 v[2:3], v[89:90], -v[2:3]
	buffer_store_dword v54, off, s[0:3], 0 offset:292
	buffer_store_dword v53, off, s[0:3], 0 offset:288
	;; [unrolled: 1-line block ×4, first 2 shown]
	v_cmpx_lt_u32_e32 16, v0
	s_cbranch_execz .LBB87_125
; %bb.124:
	v_mov_b32_e32 v2, s19
	s_clause 0x3
	buffer_load_dword v53, v2, s[0:3], 0 offen
	buffer_load_dword v54, v2, s[0:3], 0 offen offset:4
	buffer_load_dword v55, v2, s[0:3], 0 offen offset:8
	;; [unrolled: 1-line block ×3, first 2 shown]
	v_mov_b32_e32 v2, 0
	buffer_store_dword v2, off, s[0:3], 0 offset:272
	buffer_store_dword v2, off, s[0:3], 0 offset:276
	;; [unrolled: 1-line block ×4, first 2 shown]
	s_waitcnt vmcnt(0)
	ds_write_b128 v1, v[53:56]
.LBB87_125:
	s_or_b32 exec_lo, exec_lo, s4
	s_waitcnt lgkmcnt(0)
	s_waitcnt_vscnt null, 0x0
	s_barrier
	buffer_gl0_inv
	s_clause 0x1f
	buffer_load_dword v3, off, s[0:3], 0 offset:296
	buffer_load_dword v4, off, s[0:3], 0 offset:300
	;; [unrolled: 1-line block ×32, first 2 shown]
	v_mov_b32_e32 v2, 0
	ds_read_b128 v[53:56], v2 offset:656
	ds_read_b128 v[57:60], v2 offset:672
	ds_read_b128 v[61:64], v2 offset:688
	s_mov_b32 s4, exec_lo
	s_waitcnt vmcnt(30) lgkmcnt(2)
	v_mul_f64 v[95:96], v[55:56], v[3:4]
	v_mul_f64 v[3:4], v[53:54], v[3:4]
	s_waitcnt vmcnt(28) lgkmcnt(1)
	v_mul_f64 v[97:98], v[59:60], v[65:66]
	v_mul_f64 v[65:66], v[57:58], v[65:66]
	s_waitcnt vmcnt(26)
	v_fma_f64 v[95:96], v[53:54], v[67:68], -v[95:96]
	v_fma_f64 v[3:4], v[55:56], v[67:68], v[3:4]
	ds_read_b128 v[53:56], v2 offset:704
	s_waitcnt vmcnt(24) lgkmcnt(1)
	v_mul_f64 v[67:68], v[61:62], v[69:70]
	v_mul_f64 v[69:70], v[63:64], v[69:70]
	s_waitcnt vmcnt(22)
	v_fma_f64 v[97:98], v[57:58], v[71:72], -v[97:98]
	v_fma_f64 v[65:66], v[59:60], v[71:72], v[65:66]
	ds_read_b128 v[57:60], v2 offset:720
	s_waitcnt vmcnt(18) lgkmcnt(1)
	v_mul_f64 v[71:72], v[53:54], v[73:74]
	v_add_f64 v[95:96], v[95:96], 0
	v_add_f64 v[3:4], v[3:4], 0
	v_mul_f64 v[73:74], v[55:56], v[73:74]
	s_waitcnt vmcnt(16)
	v_fma_f64 v[69:70], v[61:62], v[79:80], -v[69:70]
	v_fma_f64 v[67:68], v[63:64], v[79:80], v[67:68]
	ds_read_b128 v[61:64], v2 offset:736
	s_waitcnt vmcnt(13)
	v_fma_f64 v[71:72], v[55:56], v[81:82], v[71:72]
	v_add_f64 v[95:96], v[95:96], v[97:98]
	v_add_f64 v[3:4], v[3:4], v[65:66]
	s_waitcnt lgkmcnt(1)
	v_mul_f64 v[65:66], v[57:58], v[75:76]
	v_mul_f64 v[75:76], v[59:60], v[75:76]
	v_fma_f64 v[73:74], v[53:54], v[81:82], -v[73:74]
	s_waitcnt vmcnt(9) lgkmcnt(0)
	v_mul_f64 v[79:80], v[63:64], v[83:84]
	ds_read_b128 v[53:56], v2 offset:752
	v_add_f64 v[69:70], v[95:96], v[69:70]
	v_add_f64 v[3:4], v[3:4], v[67:68]
	v_mul_f64 v[67:68], v[61:62], v[83:84]
	s_waitcnt vmcnt(8)
	v_fma_f64 v[57:58], v[57:58], v[77:78], -v[75:76]
	v_fma_f64 v[59:60], v[59:60], v[77:78], v[65:66]
	s_waitcnt vmcnt(5)
	v_fma_f64 v[61:62], v[61:62], v[89:90], -v[79:80]
	s_waitcnt lgkmcnt(0)
	v_mul_f64 v[65:66], v[53:54], v[85:86]
	v_add_f64 v[69:70], v[69:70], v[73:74]
	v_add_f64 v[3:4], v[3:4], v[71:72]
	v_mul_f64 v[71:72], v[55:56], v[85:86]
	v_fma_f64 v[63:64], v[63:64], v[89:90], v[67:68]
	s_waitcnt vmcnt(4)
	v_fma_f64 v[55:56], v[55:56], v[87:88], v[65:66]
	v_add_f64 v[57:58], v[69:70], v[57:58]
	v_add_f64 v[3:4], v[3:4], v[59:60]
	v_fma_f64 v[53:54], v[53:54], v[87:88], -v[71:72]
	v_add_f64 v[57:58], v[57:58], v[61:62]
	v_add_f64 v[3:4], v[3:4], v[63:64]
	;; [unrolled: 1-line block ×4, first 2 shown]
	s_waitcnt vmcnt(2)
	v_add_f64 v[53:54], v[91:92], -v[53:54]
	s_waitcnt vmcnt(0)
	v_add_f64 v[3:4], v[93:94], -v[3:4]
	buffer_store_dword v54, off, s[0:3], 0 offset:276
	buffer_store_dword v53, off, s[0:3], 0 offset:272
	;; [unrolled: 1-line block ×4, first 2 shown]
	v_cmpx_lt_u32_e32 15, v0
	s_cbranch_execz .LBB87_127
; %bb.126:
	v_mov_b32_e32 v3, s20
	s_clause 0x3
	buffer_load_dword v53, v3, s[0:3], 0 offen
	buffer_load_dword v54, v3, s[0:3], 0 offen offset:4
	buffer_load_dword v55, v3, s[0:3], 0 offen offset:8
	;; [unrolled: 1-line block ×3, first 2 shown]
	buffer_store_dword v2, off, s[0:3], 0 offset:256
	buffer_store_dword v2, off, s[0:3], 0 offset:260
	;; [unrolled: 1-line block ×4, first 2 shown]
	s_waitcnt vmcnt(0)
	ds_write_b128 v1, v[53:56]
.LBB87_127:
	s_or_b32 exec_lo, exec_lo, s4
	s_waitcnt lgkmcnt(0)
	s_waitcnt_vscnt null, 0x0
	s_barrier
	buffer_gl0_inv
	s_clause 0x23
	buffer_load_dword v3, off, s[0:3], 0 offset:280
	buffer_load_dword v4, off, s[0:3], 0 offset:284
	;; [unrolled: 1-line block ×36, first 2 shown]
	ds_read_b128 v[53:56], v2 offset:640
	ds_read_b128 v[57:60], v2 offset:656
	;; [unrolled: 1-line block ×3, first 2 shown]
	s_mov_b32 s4, exec_lo
	s_waitcnt vmcnt(34) lgkmcnt(2)
	v_mul_f64 v[99:100], v[55:56], v[3:4]
	v_mul_f64 v[3:4], v[53:54], v[3:4]
	s_waitcnt vmcnt(32) lgkmcnt(1)
	v_mul_f64 v[101:102], v[59:60], v[65:66]
	v_mul_f64 v[65:66], v[57:58], v[65:66]
	s_waitcnt vmcnt(30)
	v_fma_f64 v[99:100], v[53:54], v[67:68], -v[99:100]
	v_fma_f64 v[3:4], v[55:56], v[67:68], v[3:4]
	ds_read_b128 v[53:56], v2 offset:688
	s_waitcnt vmcnt(28) lgkmcnt(1)
	v_mul_f64 v[67:68], v[61:62], v[69:70]
	v_mul_f64 v[69:70], v[63:64], v[69:70]
	s_waitcnt vmcnt(26)
	v_fma_f64 v[101:102], v[57:58], v[71:72], -v[101:102]
	v_fma_f64 v[65:66], v[59:60], v[71:72], v[65:66]
	ds_read_b128 v[57:60], v2 offset:704
	s_waitcnt vmcnt(22) lgkmcnt(1)
	v_mul_f64 v[71:72], v[53:54], v[73:74]
	v_add_f64 v[99:100], v[99:100], 0
	v_add_f64 v[3:4], v[3:4], 0
	v_mul_f64 v[73:74], v[55:56], v[73:74]
	s_waitcnt vmcnt(20)
	v_fma_f64 v[69:70], v[61:62], v[79:80], -v[69:70]
	v_fma_f64 v[67:68], v[63:64], v[79:80], v[67:68]
	ds_read_b128 v[61:64], v2 offset:720
	s_waitcnt vmcnt(17)
	v_fma_f64 v[71:72], v[55:56], v[81:82], v[71:72]
	v_add_f64 v[99:100], v[99:100], v[101:102]
	v_add_f64 v[3:4], v[3:4], v[65:66]
	s_waitcnt lgkmcnt(1)
	v_mul_f64 v[65:66], v[57:58], v[75:76]
	v_mul_f64 v[75:76], v[59:60], v[75:76]
	v_fma_f64 v[73:74], v[53:54], v[81:82], -v[73:74]
	s_waitcnt vmcnt(13) lgkmcnt(0)
	v_mul_f64 v[79:80], v[63:64], v[83:84]
	ds_read_b128 v[53:56], v2 offset:736
	v_add_f64 v[69:70], v[99:100], v[69:70]
	v_add_f64 v[3:4], v[3:4], v[67:68]
	v_mul_f64 v[67:68], v[61:62], v[83:84]
	s_waitcnt vmcnt(12)
	v_fma_f64 v[75:76], v[57:58], v[77:78], -v[75:76]
	v_fma_f64 v[65:66], v[59:60], v[77:78], v[65:66]
	ds_read_b128 v[57:60], v2 offset:752
	s_waitcnt vmcnt(9)
	v_fma_f64 v[61:62], v[61:62], v[89:90], -v[79:80]
	v_add_f64 v[69:70], v[69:70], v[73:74]
	v_add_f64 v[3:4], v[3:4], v[71:72]
	s_waitcnt lgkmcnt(1)
	v_mul_f64 v[73:74], v[55:56], v[85:86]
	v_mul_f64 v[71:72], v[53:54], v[85:86]
	v_fma_f64 v[63:64], v[63:64], v[89:90], v[67:68]
	s_waitcnt vmcnt(7) lgkmcnt(0)
	v_mul_f64 v[67:68], v[59:60], v[91:92]
	v_add_f64 v[69:70], v[69:70], v[75:76]
	v_add_f64 v[2:3], v[3:4], v[65:66]
	s_waitcnt vmcnt(6)
	v_fma_f64 v[53:54], v[53:54], v[87:88], -v[73:74]
	v_mul_f64 v[65:66], v[57:58], v[91:92]
	v_fma_f64 v[55:56], v[55:56], v[87:88], v[71:72]
	s_waitcnt vmcnt(4)
	v_fma_f64 v[57:58], v[57:58], v[93:94], -v[67:68]
	v_add_f64 v[61:62], v[69:70], v[61:62]
	v_add_f64 v[2:3], v[2:3], v[63:64]
	v_fma_f64 v[59:60], v[59:60], v[93:94], v[65:66]
	v_add_f64 v[53:54], v[61:62], v[53:54]
	v_add_f64 v[2:3], v[2:3], v[55:56]
	;; [unrolled: 1-line block ×4, first 2 shown]
	s_waitcnt vmcnt(2)
	v_add_f64 v[53:54], v[95:96], -v[53:54]
	s_waitcnt vmcnt(0)
	v_add_f64 v[2:3], v[97:98], -v[2:3]
	buffer_store_dword v54, off, s[0:3], 0 offset:260
	buffer_store_dword v53, off, s[0:3], 0 offset:256
	;; [unrolled: 1-line block ×4, first 2 shown]
	v_cmpx_lt_u32_e32 14, v0
	s_cbranch_execz .LBB87_129
; %bb.128:
	v_mov_b32_e32 v2, s21
	s_clause 0x3
	buffer_load_dword v53, v2, s[0:3], 0 offen
	buffer_load_dword v54, v2, s[0:3], 0 offen offset:4
	buffer_load_dword v55, v2, s[0:3], 0 offen offset:8
	;; [unrolled: 1-line block ×3, first 2 shown]
	v_mov_b32_e32 v2, 0
	buffer_store_dword v2, off, s[0:3], 0 offset:240
	buffer_store_dword v2, off, s[0:3], 0 offset:244
	;; [unrolled: 1-line block ×4, first 2 shown]
	s_waitcnt vmcnt(0)
	ds_write_b128 v1, v[53:56]
.LBB87_129:
	s_or_b32 exec_lo, exec_lo, s4
	s_waitcnt lgkmcnt(0)
	s_waitcnt_vscnt null, 0x0
	s_barrier
	buffer_gl0_inv
	s_clause 0x27
	buffer_load_dword v3, off, s[0:3], 0 offset:264
	buffer_load_dword v4, off, s[0:3], 0 offset:268
	;; [unrolled: 1-line block ×40, first 2 shown]
	v_mov_b32_e32 v2, 0
	ds_read_b128 v[53:56], v2 offset:624
	ds_read_b128 v[57:60], v2 offset:640
	;; [unrolled: 1-line block ×3, first 2 shown]
	s_mov_b32 s4, exec_lo
	s_waitcnt vmcnt(38) lgkmcnt(2)
	v_mul_f64 v[103:104], v[55:56], v[3:4]
	v_mul_f64 v[3:4], v[53:54], v[3:4]
	s_waitcnt vmcnt(36) lgkmcnt(1)
	v_mul_f64 v[105:106], v[59:60], v[65:66]
	v_mul_f64 v[65:66], v[57:58], v[65:66]
	s_waitcnt vmcnt(34)
	v_fma_f64 v[103:104], v[53:54], v[67:68], -v[103:104]
	v_fma_f64 v[3:4], v[55:56], v[67:68], v[3:4]
	ds_read_b128 v[53:56], v2 offset:672
	s_waitcnt vmcnt(32) lgkmcnt(1)
	v_mul_f64 v[67:68], v[61:62], v[69:70]
	v_mul_f64 v[69:70], v[63:64], v[69:70]
	s_waitcnt vmcnt(30)
	v_fma_f64 v[105:106], v[57:58], v[71:72], -v[105:106]
	v_fma_f64 v[65:66], v[59:60], v[71:72], v[65:66]
	ds_read_b128 v[57:60], v2 offset:688
	s_waitcnt vmcnt(26) lgkmcnt(1)
	v_mul_f64 v[71:72], v[53:54], v[73:74]
	v_add_f64 v[103:104], v[103:104], 0
	v_add_f64 v[3:4], v[3:4], 0
	v_mul_f64 v[73:74], v[55:56], v[73:74]
	s_waitcnt vmcnt(24)
	v_fma_f64 v[69:70], v[61:62], v[79:80], -v[69:70]
	v_fma_f64 v[67:68], v[63:64], v[79:80], v[67:68]
	ds_read_b128 v[61:64], v2 offset:704
	s_waitcnt vmcnt(21)
	v_fma_f64 v[71:72], v[55:56], v[81:82], v[71:72]
	v_add_f64 v[103:104], v[103:104], v[105:106]
	v_add_f64 v[3:4], v[3:4], v[65:66]
	s_waitcnt lgkmcnt(1)
	v_mul_f64 v[65:66], v[57:58], v[75:76]
	v_mul_f64 v[75:76], v[59:60], v[75:76]
	v_fma_f64 v[73:74], v[53:54], v[81:82], -v[73:74]
	s_waitcnt vmcnt(17) lgkmcnt(0)
	v_mul_f64 v[79:80], v[63:64], v[83:84]
	ds_read_b128 v[53:56], v2 offset:720
	v_add_f64 v[69:70], v[103:104], v[69:70]
	v_add_f64 v[3:4], v[3:4], v[67:68]
	v_mul_f64 v[67:68], v[61:62], v[83:84]
	s_waitcnt vmcnt(16)
	v_fma_f64 v[75:76], v[57:58], v[77:78], -v[75:76]
	v_fma_f64 v[65:66], v[59:60], v[77:78], v[65:66]
	ds_read_b128 v[57:60], v2 offset:736
	s_waitcnt vmcnt(13)
	v_fma_f64 v[77:78], v[61:62], v[89:90], -v[79:80]
	v_add_f64 v[69:70], v[69:70], v[73:74]
	v_add_f64 v[3:4], v[3:4], v[71:72]
	s_waitcnt lgkmcnt(1)
	v_mul_f64 v[73:74], v[55:56], v[85:86]
	v_mul_f64 v[71:72], v[53:54], v[85:86]
	v_fma_f64 v[67:68], v[63:64], v[89:90], v[67:68]
	ds_read_b128 v[61:64], v2 offset:752
	v_add_f64 v[69:70], v[69:70], v[75:76]
	v_add_f64 v[3:4], v[3:4], v[65:66]
	s_waitcnt vmcnt(9) lgkmcnt(1)
	v_mul_f64 v[75:76], v[59:60], v[91:92]
	s_waitcnt vmcnt(8)
	v_fma_f64 v[53:54], v[53:54], v[87:88], -v[73:74]
	v_mul_f64 v[65:66], v[57:58], v[91:92]
	v_fma_f64 v[55:56], v[55:56], v[87:88], v[71:72]
	s_waitcnt vmcnt(7) lgkmcnt(0)
	v_mul_f64 v[71:72], v[63:64], v[93:94]
	v_add_f64 v[69:70], v[69:70], v[77:78]
	v_add_f64 v[3:4], v[3:4], v[67:68]
	s_waitcnt vmcnt(5)
	v_fma_f64 v[57:58], v[57:58], v[97:98], -v[75:76]
	v_mul_f64 v[67:68], v[61:62], v[93:94]
	v_fma_f64 v[59:60], v[59:60], v[97:98], v[65:66]
	v_add_f64 v[53:54], v[69:70], v[53:54]
	v_add_f64 v[3:4], v[3:4], v[55:56]
	s_waitcnt vmcnt(4)
	v_fma_f64 v[55:56], v[61:62], v[95:96], -v[71:72]
	v_add_f64 v[53:54], v[53:54], v[57:58]
	v_fma_f64 v[57:58], v[63:64], v[95:96], v[67:68]
	v_add_f64 v[3:4], v[3:4], v[59:60]
	v_add_f64 v[53:54], v[53:54], v[55:56]
	;; [unrolled: 1-line block ×3, first 2 shown]
	s_waitcnt vmcnt(2)
	v_add_f64 v[53:54], v[99:100], -v[53:54]
	s_waitcnt vmcnt(0)
	v_add_f64 v[3:4], v[101:102], -v[3:4]
	buffer_store_dword v54, off, s[0:3], 0 offset:244
	buffer_store_dword v53, off, s[0:3], 0 offset:240
	;; [unrolled: 1-line block ×4, first 2 shown]
	v_cmpx_lt_u32_e32 13, v0
	s_cbranch_execz .LBB87_131
; %bb.130:
	v_mov_b32_e32 v3, s22
	s_clause 0x3
	buffer_load_dword v53, v3, s[0:3], 0 offen
	buffer_load_dword v54, v3, s[0:3], 0 offen offset:4
	buffer_load_dword v55, v3, s[0:3], 0 offen offset:8
	;; [unrolled: 1-line block ×3, first 2 shown]
	buffer_store_dword v2, off, s[0:3], 0 offset:224
	buffer_store_dword v2, off, s[0:3], 0 offset:228
	;; [unrolled: 1-line block ×4, first 2 shown]
	s_waitcnt vmcnt(0)
	ds_write_b128 v1, v[53:56]
.LBB87_131:
	s_or_b32 exec_lo, exec_lo, s4
	s_waitcnt lgkmcnt(0)
	s_waitcnt_vscnt null, 0x0
	s_barrier
	buffer_gl0_inv
	s_clause 0x2b
	buffer_load_dword v3, off, s[0:3], 0 offset:248
	buffer_load_dword v4, off, s[0:3], 0 offset:252
	;; [unrolled: 1-line block ×44, first 2 shown]
	ds_read_b128 v[53:56], v2 offset:608
	ds_read_b128 v[57:60], v2 offset:624
	;; [unrolled: 1-line block ×3, first 2 shown]
	s_mov_b32 s4, exec_lo
	s_waitcnt vmcnt(42) lgkmcnt(2)
	v_mul_f64 v[107:108], v[55:56], v[3:4]
	v_mul_f64 v[3:4], v[53:54], v[3:4]
	s_waitcnt vmcnt(40) lgkmcnt(1)
	v_mul_f64 v[109:110], v[59:60], v[65:66]
	v_mul_f64 v[65:66], v[57:58], v[65:66]
	s_waitcnt vmcnt(38)
	v_fma_f64 v[107:108], v[53:54], v[67:68], -v[107:108]
	v_fma_f64 v[3:4], v[55:56], v[67:68], v[3:4]
	ds_read_b128 v[53:56], v2 offset:656
	s_waitcnt vmcnt(36) lgkmcnt(1)
	v_mul_f64 v[67:68], v[61:62], v[69:70]
	v_mul_f64 v[69:70], v[63:64], v[69:70]
	s_waitcnt vmcnt(34)
	v_fma_f64 v[109:110], v[57:58], v[71:72], -v[109:110]
	v_fma_f64 v[65:66], v[59:60], v[71:72], v[65:66]
	ds_read_b128 v[57:60], v2 offset:672
	s_waitcnt vmcnt(30) lgkmcnt(1)
	v_mul_f64 v[71:72], v[53:54], v[73:74]
	v_add_f64 v[107:108], v[107:108], 0
	v_add_f64 v[3:4], v[3:4], 0
	v_mul_f64 v[73:74], v[55:56], v[73:74]
	s_waitcnt vmcnt(28)
	v_fma_f64 v[69:70], v[61:62], v[79:80], -v[69:70]
	v_fma_f64 v[67:68], v[63:64], v[79:80], v[67:68]
	ds_read_b128 v[61:64], v2 offset:688
	s_waitcnt vmcnt(25)
	v_fma_f64 v[71:72], v[55:56], v[81:82], v[71:72]
	v_add_f64 v[107:108], v[107:108], v[109:110]
	v_add_f64 v[3:4], v[3:4], v[65:66]
	s_waitcnt lgkmcnt(1)
	v_mul_f64 v[65:66], v[57:58], v[75:76]
	v_mul_f64 v[75:76], v[59:60], v[75:76]
	v_fma_f64 v[73:74], v[53:54], v[81:82], -v[73:74]
	s_waitcnt vmcnt(21) lgkmcnt(0)
	v_mul_f64 v[79:80], v[63:64], v[83:84]
	ds_read_b128 v[53:56], v2 offset:704
	v_add_f64 v[69:70], v[107:108], v[69:70]
	v_add_f64 v[3:4], v[3:4], v[67:68]
	v_mul_f64 v[67:68], v[61:62], v[83:84]
	s_waitcnt vmcnt(20)
	v_fma_f64 v[75:76], v[57:58], v[77:78], -v[75:76]
	v_fma_f64 v[65:66], v[59:60], v[77:78], v[65:66]
	ds_read_b128 v[57:60], v2 offset:720
	s_waitcnt vmcnt(17)
	v_fma_f64 v[77:78], v[61:62], v[89:90], -v[79:80]
	v_add_f64 v[69:70], v[69:70], v[73:74]
	v_add_f64 v[3:4], v[3:4], v[71:72]
	s_waitcnt lgkmcnt(1)
	v_mul_f64 v[73:74], v[55:56], v[85:86]
	v_mul_f64 v[71:72], v[53:54], v[85:86]
	v_fma_f64 v[67:68], v[63:64], v[89:90], v[67:68]
	ds_read_b128 v[61:64], v2 offset:736
	v_add_f64 v[69:70], v[69:70], v[75:76]
	v_add_f64 v[3:4], v[3:4], v[65:66]
	s_waitcnt vmcnt(13) lgkmcnt(1)
	v_mul_f64 v[75:76], v[59:60], v[91:92]
	s_waitcnt vmcnt(12)
	v_fma_f64 v[73:74], v[53:54], v[87:88], -v[73:74]
	v_mul_f64 v[65:66], v[57:58], v[91:92]
	v_fma_f64 v[71:72], v[55:56], v[87:88], v[71:72]
	ds_read_b128 v[53:56], v2 offset:752
	v_add_f64 v[69:70], v[69:70], v[77:78]
	v_add_f64 v[3:4], v[3:4], v[67:68]
	s_waitcnt vmcnt(11) lgkmcnt(1)
	v_mul_f64 v[77:78], v[63:64], v[93:94]
	s_waitcnt vmcnt(9)
	v_fma_f64 v[57:58], v[57:58], v[97:98], -v[75:76]
	v_mul_f64 v[67:68], v[61:62], v[93:94]
	v_fma_f64 v[59:60], v[59:60], v[97:98], v[65:66]
	s_waitcnt vmcnt(7) lgkmcnt(0)
	v_mul_f64 v[65:66], v[53:54], v[99:100]
	v_add_f64 v[69:70], v[69:70], v[73:74]
	v_add_f64 v[2:3], v[3:4], v[71:72]
	v_mul_f64 v[71:72], v[55:56], v[99:100]
	s_waitcnt vmcnt(6)
	v_fma_f64 v[61:62], v[61:62], v[95:96], -v[77:78]
	v_fma_f64 v[63:64], v[63:64], v[95:96], v[67:68]
	s_waitcnt vmcnt(4)
	v_fma_f64 v[55:56], v[55:56], v[101:102], v[65:66]
	v_add_f64 v[57:58], v[69:70], v[57:58]
	v_add_f64 v[2:3], v[2:3], v[59:60]
	v_fma_f64 v[53:54], v[53:54], v[101:102], -v[71:72]
	v_add_f64 v[57:58], v[57:58], v[61:62]
	v_add_f64 v[2:3], v[2:3], v[63:64]
	;; [unrolled: 1-line block ×4, first 2 shown]
	s_waitcnt vmcnt(2)
	v_add_f64 v[53:54], v[103:104], -v[53:54]
	s_waitcnt vmcnt(0)
	v_add_f64 v[2:3], v[105:106], -v[2:3]
	buffer_store_dword v54, off, s[0:3], 0 offset:228
	buffer_store_dword v53, off, s[0:3], 0 offset:224
	;; [unrolled: 1-line block ×4, first 2 shown]
	v_cmpx_lt_u32_e32 12, v0
	s_cbranch_execz .LBB87_133
; %bb.132:
	v_mov_b32_e32 v2, s23
	s_clause 0x3
	buffer_load_dword v53, v2, s[0:3], 0 offen
	buffer_load_dword v54, v2, s[0:3], 0 offen offset:4
	buffer_load_dword v55, v2, s[0:3], 0 offen offset:8
	;; [unrolled: 1-line block ×3, first 2 shown]
	v_mov_b32_e32 v2, 0
	buffer_store_dword v2, off, s[0:3], 0 offset:208
	buffer_store_dword v2, off, s[0:3], 0 offset:212
	buffer_store_dword v2, off, s[0:3], 0 offset:216
	buffer_store_dword v2, off, s[0:3], 0 offset:220
	s_waitcnt vmcnt(0)
	ds_write_b128 v1, v[53:56]
.LBB87_133:
	s_or_b32 exec_lo, exec_lo, s4
	s_waitcnt lgkmcnt(0)
	s_waitcnt_vscnt null, 0x0
	s_barrier
	buffer_gl0_inv
	s_clause 0x2f
	buffer_load_dword v3, off, s[0:3], 0 offset:232
	buffer_load_dword v4, off, s[0:3], 0 offset:236
	;; [unrolled: 1-line block ×48, first 2 shown]
	v_mov_b32_e32 v2, 0
	ds_read_b128 v[53:56], v2 offset:592
	ds_read_b128 v[57:60], v2 offset:608
	;; [unrolled: 1-line block ×3, first 2 shown]
	s_mov_b32 s4, exec_lo
	s_waitcnt vmcnt(46) lgkmcnt(2)
	v_mul_f64 v[111:112], v[55:56], v[3:4]
	v_mul_f64 v[3:4], v[53:54], v[3:4]
	s_waitcnt vmcnt(44) lgkmcnt(1)
	v_mul_f64 v[113:114], v[59:60], v[65:66]
	v_mul_f64 v[65:66], v[57:58], v[65:66]
	s_waitcnt vmcnt(42)
	v_fma_f64 v[111:112], v[53:54], v[67:68], -v[111:112]
	v_fma_f64 v[3:4], v[55:56], v[67:68], v[3:4]
	ds_read_b128 v[53:56], v2 offset:640
	s_waitcnt vmcnt(40) lgkmcnt(1)
	v_mul_f64 v[67:68], v[61:62], v[69:70]
	v_mul_f64 v[69:70], v[63:64], v[69:70]
	s_waitcnt vmcnt(38)
	v_fma_f64 v[113:114], v[57:58], v[71:72], -v[113:114]
	v_fma_f64 v[65:66], v[59:60], v[71:72], v[65:66]
	ds_read_b128 v[57:60], v2 offset:656
	s_waitcnt vmcnt(34) lgkmcnt(1)
	v_mul_f64 v[71:72], v[53:54], v[73:74]
	v_add_f64 v[111:112], v[111:112], 0
	v_add_f64 v[3:4], v[3:4], 0
	v_mul_f64 v[73:74], v[55:56], v[73:74]
	s_waitcnt vmcnt(32)
	v_fma_f64 v[69:70], v[61:62], v[79:80], -v[69:70]
	v_fma_f64 v[67:68], v[63:64], v[79:80], v[67:68]
	ds_read_b128 v[61:64], v2 offset:672
	s_waitcnt vmcnt(29)
	v_fma_f64 v[71:72], v[55:56], v[81:82], v[71:72]
	v_add_f64 v[111:112], v[111:112], v[113:114]
	v_add_f64 v[3:4], v[3:4], v[65:66]
	s_waitcnt lgkmcnt(1)
	v_mul_f64 v[65:66], v[57:58], v[75:76]
	v_mul_f64 v[75:76], v[59:60], v[75:76]
	v_fma_f64 v[73:74], v[53:54], v[81:82], -v[73:74]
	s_waitcnt vmcnt(25) lgkmcnt(0)
	v_mul_f64 v[79:80], v[63:64], v[83:84]
	ds_read_b128 v[53:56], v2 offset:688
	v_add_f64 v[69:70], v[111:112], v[69:70]
	v_add_f64 v[3:4], v[3:4], v[67:68]
	v_mul_f64 v[67:68], v[61:62], v[83:84]
	s_waitcnt vmcnt(24)
	v_fma_f64 v[75:76], v[57:58], v[77:78], -v[75:76]
	v_fma_f64 v[65:66], v[59:60], v[77:78], v[65:66]
	ds_read_b128 v[57:60], v2 offset:704
	s_waitcnt vmcnt(21)
	v_fma_f64 v[77:78], v[61:62], v[89:90], -v[79:80]
	v_add_f64 v[69:70], v[69:70], v[73:74]
	v_add_f64 v[3:4], v[3:4], v[71:72]
	s_waitcnt lgkmcnt(1)
	v_mul_f64 v[73:74], v[55:56], v[85:86]
	v_mul_f64 v[71:72], v[53:54], v[85:86]
	v_fma_f64 v[67:68], v[63:64], v[89:90], v[67:68]
	ds_read_b128 v[61:64], v2 offset:720
	v_add_f64 v[69:70], v[69:70], v[75:76]
	v_add_f64 v[3:4], v[3:4], v[65:66]
	s_waitcnt vmcnt(17) lgkmcnt(1)
	v_mul_f64 v[75:76], v[59:60], v[91:92]
	s_waitcnt vmcnt(16)
	v_fma_f64 v[73:74], v[53:54], v[87:88], -v[73:74]
	v_mul_f64 v[65:66], v[57:58], v[91:92]
	v_fma_f64 v[71:72], v[55:56], v[87:88], v[71:72]
	ds_read_b128 v[53:56], v2 offset:736
	v_add_f64 v[69:70], v[69:70], v[77:78]
	v_add_f64 v[3:4], v[3:4], v[67:68]
	s_waitcnt vmcnt(15) lgkmcnt(1)
	v_mul_f64 v[77:78], v[63:64], v[93:94]
	s_waitcnt vmcnt(13)
	v_fma_f64 v[75:76], v[57:58], v[97:98], -v[75:76]
	;; [unrolled: 9-line block ×3, first 2 shown]
	v_mul_f64 v[71:72], v[53:54], v[99:100]
	v_fma_f64 v[63:64], v[63:64], v[95:96], v[67:68]
	s_waitcnt vmcnt(7) lgkmcnt(0)
	v_mul_f64 v[67:68], v[59:60], v[101:102]
	v_add_f64 v[69:70], v[69:70], v[75:76]
	v_add_f64 v[3:4], v[3:4], v[65:66]
	s_waitcnt vmcnt(5)
	v_fma_f64 v[53:54], v[53:54], v[105:106], -v[73:74]
	v_mul_f64 v[65:66], v[57:58], v[101:102]
	v_fma_f64 v[55:56], v[55:56], v[105:106], v[71:72]
	s_waitcnt vmcnt(4)
	v_fma_f64 v[57:58], v[57:58], v[103:104], -v[67:68]
	v_add_f64 v[61:62], v[69:70], v[61:62]
	v_add_f64 v[3:4], v[3:4], v[63:64]
	v_fma_f64 v[59:60], v[59:60], v[103:104], v[65:66]
	v_add_f64 v[53:54], v[61:62], v[53:54]
	v_add_f64 v[3:4], v[3:4], v[55:56]
	;; [unrolled: 1-line block ×4, first 2 shown]
	s_waitcnt vmcnt(2)
	v_add_f64 v[53:54], v[107:108], -v[53:54]
	s_waitcnt vmcnt(0)
	v_add_f64 v[3:4], v[109:110], -v[3:4]
	buffer_store_dword v54, off, s[0:3], 0 offset:212
	buffer_store_dword v53, off, s[0:3], 0 offset:208
	;; [unrolled: 1-line block ×4, first 2 shown]
	v_cmpx_lt_u32_e32 11, v0
	s_cbranch_execz .LBB87_135
; %bb.134:
	v_mov_b32_e32 v3, s24
	s_clause 0x3
	buffer_load_dword v53, v3, s[0:3], 0 offen
	buffer_load_dword v54, v3, s[0:3], 0 offen offset:4
	buffer_load_dword v55, v3, s[0:3], 0 offen offset:8
	;; [unrolled: 1-line block ×3, first 2 shown]
	buffer_store_dword v2, off, s[0:3], 0 offset:192
	buffer_store_dword v2, off, s[0:3], 0 offset:196
	;; [unrolled: 1-line block ×4, first 2 shown]
	s_waitcnt vmcnt(0)
	ds_write_b128 v1, v[53:56]
.LBB87_135:
	s_or_b32 exec_lo, exec_lo, s4
	s_waitcnt lgkmcnt(0)
	s_waitcnt_vscnt null, 0x0
	s_barrier
	buffer_gl0_inv
	s_clause 0x2f
	buffer_load_dword v3, off, s[0:3], 0 offset:216
	buffer_load_dword v4, off, s[0:3], 0 offset:220
	;; [unrolled: 1-line block ×48, first 2 shown]
	ds_read_b128 v[53:56], v2 offset:576
	s_clause 0x3
	buffer_load_dword v111, off, s[0:3], 0 offset:192
	buffer_load_dword v112, off, s[0:3], 0 offset:196
	;; [unrolled: 1-line block ×4, first 2 shown]
	ds_read_b128 v[57:60], v2 offset:592
	ds_read_b128 v[61:64], v2 offset:608
	s_mov_b32 s4, exec_lo
	s_waitcnt vmcnt(50) lgkmcnt(2)
	v_mul_f64 v[115:116], v[55:56], v[3:4]
	v_mul_f64 v[3:4], v[53:54], v[3:4]
	s_waitcnt vmcnt(48) lgkmcnt(1)
	v_mul_f64 v[117:118], v[59:60], v[65:66]
	v_mul_f64 v[65:66], v[57:58], v[65:66]
	s_waitcnt vmcnt(46)
	v_fma_f64 v[115:116], v[53:54], v[67:68], -v[115:116]
	v_fma_f64 v[3:4], v[55:56], v[67:68], v[3:4]
	s_waitcnt vmcnt(44) lgkmcnt(0)
	v_mul_f64 v[67:68], v[61:62], v[69:70]
	v_mul_f64 v[69:70], v[63:64], v[69:70]
	s_waitcnt vmcnt(42)
	v_fma_f64 v[117:118], v[57:58], v[71:72], -v[117:118]
	ds_read_b128 v[53:56], v2 offset:624
	v_fma_f64 v[65:66], v[59:60], v[71:72], v[65:66]
	ds_read_b128 v[57:60], v2 offset:640
	v_add_f64 v[115:116], v[115:116], 0
	v_add_f64 v[3:4], v[3:4], 0
	s_waitcnt vmcnt(36)
	v_fma_f64 v[67:68], v[63:64], v[79:80], v[67:68]
	s_waitcnt lgkmcnt(1)
	v_mul_f64 v[71:72], v[53:54], v[73:74]
	v_mul_f64 v[73:74], v[55:56], v[73:74]
	v_fma_f64 v[69:70], v[61:62], v[79:80], -v[69:70]
	ds_read_b128 v[61:64], v2 offset:656
	v_add_f64 v[115:116], v[115:116], v[117:118]
	v_add_f64 v[3:4], v[3:4], v[65:66]
	s_waitcnt vmcnt(35) lgkmcnt(1)
	v_mul_f64 v[65:66], v[57:58], v[75:76]
	v_mul_f64 v[75:76], v[59:60], v[75:76]
	s_waitcnt vmcnt(33)
	v_fma_f64 v[73:74], v[53:54], v[81:82], -v[73:74]
	v_fma_f64 v[71:72], v[55:56], v[81:82], v[71:72]
	ds_read_b128 v[53:56], v2 offset:672
	s_waitcnt vmcnt(29) lgkmcnt(1)
	v_mul_f64 v[79:80], v[63:64], v[83:84]
	v_add_f64 v[69:70], v[115:116], v[69:70]
	v_add_f64 v[3:4], v[3:4], v[67:68]
	v_mul_f64 v[67:68], v[61:62], v[83:84]
	s_waitcnt vmcnt(28)
	v_fma_f64 v[75:76], v[57:58], v[77:78], -v[75:76]
	v_fma_f64 v[65:66], v[59:60], v[77:78], v[65:66]
	ds_read_b128 v[57:60], v2 offset:688
	s_waitcnt vmcnt(25)
	v_fma_f64 v[77:78], v[61:62], v[89:90], -v[79:80]
	v_add_f64 v[69:70], v[69:70], v[73:74]
	v_add_f64 v[3:4], v[3:4], v[71:72]
	s_waitcnt lgkmcnt(1)
	v_mul_f64 v[73:74], v[55:56], v[85:86]
	v_mul_f64 v[71:72], v[53:54], v[85:86]
	v_fma_f64 v[67:68], v[63:64], v[89:90], v[67:68]
	ds_read_b128 v[61:64], v2 offset:704
	v_add_f64 v[69:70], v[69:70], v[75:76]
	v_add_f64 v[3:4], v[3:4], v[65:66]
	s_waitcnt vmcnt(21) lgkmcnt(1)
	v_mul_f64 v[75:76], v[59:60], v[91:92]
	s_waitcnt vmcnt(20)
	v_fma_f64 v[73:74], v[53:54], v[87:88], -v[73:74]
	v_mul_f64 v[65:66], v[57:58], v[91:92]
	v_fma_f64 v[71:72], v[55:56], v[87:88], v[71:72]
	ds_read_b128 v[53:56], v2 offset:720
	v_add_f64 v[69:70], v[69:70], v[77:78]
	v_add_f64 v[3:4], v[3:4], v[67:68]
	s_waitcnt vmcnt(19) lgkmcnt(1)
	v_mul_f64 v[77:78], v[63:64], v[93:94]
	s_waitcnt vmcnt(17)
	v_fma_f64 v[75:76], v[57:58], v[97:98], -v[75:76]
	;; [unrolled: 9-line block ×4, first 2 shown]
	v_mul_f64 v[65:66], v[57:58], v[101:102]
	v_fma_f64 v[55:56], v[55:56], v[105:106], v[71:72]
	s_waitcnt vmcnt(7) lgkmcnt(0)
	v_mul_f64 v[71:72], v[63:64], v[107:108]
	v_add_f64 v[69:70], v[69:70], v[77:78]
	v_add_f64 v[2:3], v[3:4], v[67:68]
	s_waitcnt vmcnt(6)
	v_fma_f64 v[57:58], v[57:58], v[103:104], -v[75:76]
	v_mul_f64 v[67:68], v[61:62], v[107:108]
	v_fma_f64 v[59:60], v[59:60], v[103:104], v[65:66]
	v_add_f64 v[53:54], v[69:70], v[53:54]
	v_add_f64 v[2:3], v[2:3], v[55:56]
	s_waitcnt vmcnt(4)
	v_fma_f64 v[55:56], v[61:62], v[109:110], -v[71:72]
	v_add_f64 v[53:54], v[53:54], v[57:58]
	v_fma_f64 v[57:58], v[63:64], v[109:110], v[67:68]
	v_add_f64 v[2:3], v[2:3], v[59:60]
	v_add_f64 v[53:54], v[53:54], v[55:56]
	;; [unrolled: 1-line block ×3, first 2 shown]
	s_waitcnt vmcnt(2)
	v_add_f64 v[53:54], v[111:112], -v[53:54]
	s_waitcnt vmcnt(0)
	v_add_f64 v[2:3], v[113:114], -v[2:3]
	buffer_store_dword v54, off, s[0:3], 0 offset:196
	buffer_store_dword v53, off, s[0:3], 0 offset:192
	;; [unrolled: 1-line block ×4, first 2 shown]
	v_cmpx_lt_u32_e32 10, v0
	s_cbranch_execz .LBB87_137
; %bb.136:
	v_mov_b32_e32 v2, s25
	s_clause 0x3
	buffer_load_dword v53, v2, s[0:3], 0 offen
	buffer_load_dword v54, v2, s[0:3], 0 offen offset:4
	buffer_load_dword v55, v2, s[0:3], 0 offen offset:8
	;; [unrolled: 1-line block ×3, first 2 shown]
	v_mov_b32_e32 v2, 0
	buffer_store_dword v2, off, s[0:3], 0 offset:176
	buffer_store_dword v2, off, s[0:3], 0 offset:180
	buffer_store_dword v2, off, s[0:3], 0 offset:184
	buffer_store_dword v2, off, s[0:3], 0 offset:188
	s_waitcnt vmcnt(0)
	ds_write_b128 v1, v[53:56]
.LBB87_137:
	s_or_b32 exec_lo, exec_lo, s4
	s_waitcnt lgkmcnt(0)
	s_waitcnt_vscnt null, 0x0
	s_barrier
	buffer_gl0_inv
	s_clause 0x33
	buffer_load_dword v3, off, s[0:3], 0 offset:200
	buffer_load_dword v4, off, s[0:3], 0 offset:204
	;; [unrolled: 1-line block ×52, first 2 shown]
	v_mov_b32_e32 v2, 0
	ds_read_b128 v[53:56], v2 offset:560
	ds_read_b128 v[57:60], v2 offset:576
	s_clause 0x3
	buffer_load_dword v117, off, s[0:3], 0 offset:176
	buffer_load_dword v118, off, s[0:3], 0 offset:180
	;; [unrolled: 1-line block ×4, first 2 shown]
	ds_read_b128 v[61:64], v2 offset:592
	s_mov_b32 s4, exec_lo
	s_waitcnt vmcnt(54) lgkmcnt(2)
	v_mul_f64 v[115:116], v[55:56], v[3:4]
	v_mul_f64 v[3:4], v[53:54], v[3:4]
	s_waitcnt vmcnt(52) lgkmcnt(1)
	v_mul_f64 v[121:122], v[59:60], v[65:66]
	v_mul_f64 v[65:66], v[57:58], v[65:66]
	s_waitcnt vmcnt(50)
	v_fma_f64 v[115:116], v[53:54], v[67:68], -v[115:116]
	v_fma_f64 v[3:4], v[55:56], v[67:68], v[3:4]
	ds_read_b128 v[53:56], v2 offset:608
	s_waitcnt vmcnt(48) lgkmcnt(1)
	v_mul_f64 v[67:68], v[61:62], v[69:70]
	v_mul_f64 v[69:70], v[63:64], v[69:70]
	s_waitcnt vmcnt(46)
	v_fma_f64 v[121:122], v[57:58], v[71:72], -v[121:122]
	v_fma_f64 v[65:66], v[59:60], v[71:72], v[65:66]
	ds_read_b128 v[57:60], v2 offset:624
	s_waitcnt vmcnt(42) lgkmcnt(1)
	v_mul_f64 v[71:72], v[53:54], v[73:74]
	v_add_f64 v[115:116], v[115:116], 0
	v_add_f64 v[3:4], v[3:4], 0
	v_mul_f64 v[73:74], v[55:56], v[73:74]
	s_waitcnt vmcnt(40)
	v_fma_f64 v[69:70], v[61:62], v[79:80], -v[69:70]
	v_fma_f64 v[67:68], v[63:64], v[79:80], v[67:68]
	ds_read_b128 v[61:64], v2 offset:640
	s_waitcnt vmcnt(37)
	v_fma_f64 v[71:72], v[55:56], v[81:82], v[71:72]
	v_add_f64 v[115:116], v[115:116], v[121:122]
	v_add_f64 v[3:4], v[3:4], v[65:66]
	s_waitcnt lgkmcnt(1)
	v_mul_f64 v[65:66], v[57:58], v[75:76]
	v_mul_f64 v[75:76], v[59:60], v[75:76]
	v_fma_f64 v[73:74], v[53:54], v[81:82], -v[73:74]
	s_waitcnt vmcnt(33) lgkmcnt(0)
	v_mul_f64 v[79:80], v[63:64], v[83:84]
	ds_read_b128 v[53:56], v2 offset:656
	v_add_f64 v[69:70], v[115:116], v[69:70]
	v_add_f64 v[3:4], v[3:4], v[67:68]
	v_mul_f64 v[67:68], v[61:62], v[83:84]
	s_waitcnt vmcnt(32)
	v_fma_f64 v[75:76], v[57:58], v[77:78], -v[75:76]
	v_fma_f64 v[65:66], v[59:60], v[77:78], v[65:66]
	ds_read_b128 v[57:60], v2 offset:672
	s_waitcnt vmcnt(29)
	v_fma_f64 v[77:78], v[61:62], v[89:90], -v[79:80]
	v_add_f64 v[69:70], v[69:70], v[73:74]
	v_add_f64 v[3:4], v[3:4], v[71:72]
	s_waitcnt lgkmcnt(1)
	v_mul_f64 v[73:74], v[55:56], v[85:86]
	v_mul_f64 v[71:72], v[53:54], v[85:86]
	v_fma_f64 v[67:68], v[63:64], v[89:90], v[67:68]
	ds_read_b128 v[61:64], v2 offset:688
	v_add_f64 v[69:70], v[69:70], v[75:76]
	v_add_f64 v[3:4], v[3:4], v[65:66]
	s_waitcnt vmcnt(25) lgkmcnt(1)
	v_mul_f64 v[75:76], v[59:60], v[91:92]
	s_waitcnt vmcnt(24)
	v_fma_f64 v[73:74], v[53:54], v[87:88], -v[73:74]
	v_mul_f64 v[65:66], v[57:58], v[91:92]
	v_fma_f64 v[71:72], v[55:56], v[87:88], v[71:72]
	ds_read_b128 v[53:56], v2 offset:704
	v_add_f64 v[69:70], v[69:70], v[77:78]
	v_add_f64 v[3:4], v[3:4], v[67:68]
	s_waitcnt vmcnt(23) lgkmcnt(1)
	v_mul_f64 v[77:78], v[63:64], v[93:94]
	s_waitcnt vmcnt(21)
	v_fma_f64 v[75:76], v[57:58], v[97:98], -v[75:76]
	;; [unrolled: 9-line block ×5, first 2 shown]
	v_mul_f64 v[67:68], v[61:62], v[107:108]
	v_fma_f64 v[59:60], v[59:60], v[103:104], v[65:66]
	s_waitcnt vmcnt(7) lgkmcnt(0)
	v_mul_f64 v[65:66], v[53:54], v[109:110]
	v_add_f64 v[69:70], v[69:70], v[73:74]
	v_add_f64 v[3:4], v[3:4], v[71:72]
	v_mul_f64 v[71:72], v[55:56], v[109:110]
	s_waitcnt vmcnt(5)
	v_fma_f64 v[61:62], v[61:62], v[113:114], -v[77:78]
	v_fma_f64 v[63:64], v[63:64], v[113:114], v[67:68]
	s_waitcnt vmcnt(4)
	v_fma_f64 v[55:56], v[55:56], v[111:112], v[65:66]
	v_add_f64 v[57:58], v[69:70], v[57:58]
	v_add_f64 v[3:4], v[3:4], v[59:60]
	v_fma_f64 v[53:54], v[53:54], v[111:112], -v[71:72]
	v_add_f64 v[57:58], v[57:58], v[61:62]
	v_add_f64 v[3:4], v[3:4], v[63:64]
	;; [unrolled: 1-line block ×4, first 2 shown]
	s_waitcnt vmcnt(2)
	v_add_f64 v[53:54], v[117:118], -v[53:54]
	s_waitcnt vmcnt(0)
	v_add_f64 v[3:4], v[119:120], -v[3:4]
	buffer_store_dword v54, off, s[0:3], 0 offset:180
	buffer_store_dword v53, off, s[0:3], 0 offset:176
	;; [unrolled: 1-line block ×4, first 2 shown]
	v_cmpx_lt_u32_e32 9, v0
	s_cbranch_execz .LBB87_139
; %bb.138:
	v_mov_b32_e32 v3, s26
	s_clause 0x3
	buffer_load_dword v53, v3, s[0:3], 0 offen
	buffer_load_dword v54, v3, s[0:3], 0 offen offset:4
	buffer_load_dword v55, v3, s[0:3], 0 offen offset:8
	;; [unrolled: 1-line block ×3, first 2 shown]
	buffer_store_dword v2, off, s[0:3], 0 offset:160
	buffer_store_dword v2, off, s[0:3], 0 offset:164
	;; [unrolled: 1-line block ×4, first 2 shown]
	s_waitcnt vmcnt(0)
	ds_write_b128 v1, v[53:56]
.LBB87_139:
	s_or_b32 exec_lo, exec_lo, s4
	s_waitcnt lgkmcnt(0)
	s_waitcnt_vscnt null, 0x0
	s_barrier
	buffer_gl0_inv
	s_clause 0x35
	buffer_load_dword v3, off, s[0:3], 0 offset:184
	buffer_load_dword v4, off, s[0:3], 0 offset:188
	;; [unrolled: 1-line block ×54, first 2 shown]
	ds_read_b128 v[53:56], v2 offset:544
	s_clause 0x1
	buffer_load_dword v118, off, s[0:3], 0 offset:388
	buffer_load_dword v117, off, s[0:3], 0 offset:384
	ds_read_b128 v[57:60], v2 offset:560
	ds_read_b128 v[61:64], v2 offset:576
	s_mov_b32 s4, exec_lo
	s_waitcnt vmcnt(54) lgkmcnt(2)
	v_mul_f64 v[119:120], v[55:56], v[3:4]
	v_mul_f64 v[3:4], v[53:54], v[3:4]
	s_waitcnt vmcnt(52) lgkmcnt(1)
	v_mul_f64 v[121:122], v[59:60], v[65:66]
	v_mul_f64 v[65:66], v[57:58], v[65:66]
	;; [unrolled: 3-line block ×3, first 2 shown]
	v_fma_f64 v[119:120], v[53:54], v[67:68], -v[119:120]
	v_fma_f64 v[3:4], v[55:56], v[67:68], v[3:4]
	s_clause 0x3
	buffer_load_dword v67, off, s[0:3], 0 offset:160
	buffer_load_dword v68, off, s[0:3], 0 offset:164
	;; [unrolled: 1-line block ×4, first 2 shown]
	s_waitcnt vmcnt(50)
	v_fma_f64 v[121:122], v[57:58], v[71:72], -v[121:122]
	ds_read_b128 v[53:56], v2 offset:592
	v_fma_f64 v[65:66], v[59:60], v[71:72], v[65:66]
	ds_read_b128 v[57:60], v2 offset:608
	s_waitcnt vmcnt(44)
	v_fma_f64 v[69:70], v[61:62], v[79:80], -v[69:70]
	v_fma_f64 v[79:80], v[63:64], v[79:80], v[125:126]
	ds_read_b128 v[61:64], v2 offset:624
	v_add_f64 v[119:120], v[119:120], 0
	v_add_f64 v[3:4], v[3:4], 0
	s_waitcnt lgkmcnt(2)
	v_mul_f64 v[71:72], v[53:54], v[73:74]
	v_mul_f64 v[73:74], v[55:56], v[73:74]
	v_add_f64 v[119:120], v[119:120], v[121:122]
	v_add_f64 v[3:4], v[3:4], v[65:66]
	s_waitcnt vmcnt(43) lgkmcnt(1)
	v_mul_f64 v[65:66], v[57:58], v[75:76]
	v_mul_f64 v[75:76], v[59:60], v[75:76]
	s_waitcnt vmcnt(41)
	v_fma_f64 v[73:74], v[53:54], v[81:82], -v[73:74]
	v_fma_f64 v[71:72], v[55:56], v[81:82], v[71:72]
	ds_read_b128 v[53:56], v2 offset:640
	s_waitcnt vmcnt(37) lgkmcnt(1)
	v_mul_f64 v[81:82], v[63:64], v[83:84]
	v_add_f64 v[69:70], v[119:120], v[69:70]
	v_add_f64 v[3:4], v[3:4], v[79:80]
	v_mul_f64 v[79:80], v[61:62], v[83:84]
	s_waitcnt vmcnt(36)
	v_fma_f64 v[75:76], v[57:58], v[77:78], -v[75:76]
	v_fma_f64 v[65:66], v[59:60], v[77:78], v[65:66]
	ds_read_b128 v[57:60], v2 offset:656
	s_waitcnt vmcnt(33)
	v_fma_f64 v[77:78], v[61:62], v[89:90], -v[81:82]
	v_add_f64 v[69:70], v[69:70], v[73:74]
	v_add_f64 v[3:4], v[3:4], v[71:72]
	s_waitcnt lgkmcnt(1)
	v_mul_f64 v[73:74], v[55:56], v[85:86]
	v_mul_f64 v[71:72], v[53:54], v[85:86]
	v_add_f64 v[69:70], v[69:70], v[75:76]
	v_fma_f64 v[75:76], v[63:64], v[89:90], v[79:80]
	v_add_f64 v[3:4], v[3:4], v[65:66]
	ds_read_b128 v[61:64], v2 offset:672
	s_waitcnt vmcnt(29) lgkmcnt(1)
	v_mul_f64 v[79:80], v[59:60], v[91:92]
	s_waitcnt vmcnt(28)
	v_fma_f64 v[73:74], v[53:54], v[87:88], -v[73:74]
	v_mul_f64 v[65:66], v[57:58], v[91:92]
	v_fma_f64 v[71:72], v[55:56], v[87:88], v[71:72]
	ds_read_b128 v[53:56], v2 offset:688
	v_add_f64 v[69:70], v[69:70], v[77:78]
	s_waitcnt vmcnt(27) lgkmcnt(1)
	v_mul_f64 v[77:78], v[63:64], v[93:94]
	v_add_f64 v[3:4], v[3:4], v[75:76]
	v_mul_f64 v[75:76], v[61:62], v[93:94]
	s_waitcnt vmcnt(25)
	v_fma_f64 v[79:80], v[57:58], v[97:98], -v[79:80]
	v_fma_f64 v[65:66], v[59:60], v[97:98], v[65:66]
	ds_read_b128 v[57:60], v2 offset:704
	v_add_f64 v[69:70], v[69:70], v[73:74]
	s_waitcnt vmcnt(21) lgkmcnt(1)
	v_mul_f64 v[73:74], v[55:56], v[99:100]
	v_add_f64 v[3:4], v[3:4], v[71:72]
	s_waitcnt vmcnt(20)
	v_fma_f64 v[77:78], v[61:62], v[95:96], -v[77:78]
	v_mul_f64 v[71:72], v[53:54], v[99:100]
	v_fma_f64 v[75:76], v[63:64], v[95:96], v[75:76]
	ds_read_b128 v[61:64], v2 offset:720
	v_add_f64 v[69:70], v[69:70], v[79:80]
	s_waitcnt vmcnt(19) lgkmcnt(1)
	v_mul_f64 v[79:80], v[59:60], v[101:102]
	v_add_f64 v[3:4], v[3:4], v[65:66]
	s_waitcnt vmcnt(17)
	v_fma_f64 v[73:74], v[53:54], v[105:106], -v[73:74]
	v_mul_f64 v[65:66], v[57:58], v[101:102]
	;; [unrolled: 9-line block ×4, first 2 shown]
	v_fma_f64 v[63:64], v[63:64], v[113:114], v[75:76]
	s_waitcnt vmcnt(7) lgkmcnt(0)
	v_mul_f64 v[75:76], v[59:60], v[115:116]
	v_add_f64 v[69:70], v[69:70], v[79:80]
	s_waitcnt vmcnt(6)
	v_fma_f64 v[53:54], v[53:54], v[111:112], -v[73:74]
	v_add_f64 v[2:3], v[3:4], v[65:66]
	v_mul_f64 v[65:66], v[57:58], v[115:116]
	v_fma_f64 v[55:56], v[55:56], v[111:112], v[71:72]
	s_waitcnt vmcnt(4)
	v_fma_f64 v[57:58], v[57:58], v[117:118], -v[75:76]
	v_add_f64 v[61:62], v[69:70], v[61:62]
	v_add_f64 v[2:3], v[2:3], v[63:64]
	v_fma_f64 v[59:60], v[59:60], v[117:118], v[65:66]
	v_add_f64 v[53:54], v[61:62], v[53:54]
	v_add_f64 v[2:3], v[2:3], v[55:56]
	;; [unrolled: 1-line block ×4, first 2 shown]
	s_waitcnt vmcnt(2)
	v_add_f64 v[53:54], v[67:68], -v[53:54]
	s_waitcnt vmcnt(0)
	v_add_f64 v[2:3], v[123:124], -v[2:3]
	buffer_store_dword v54, off, s[0:3], 0 offset:164
	buffer_store_dword v53, off, s[0:3], 0 offset:160
	;; [unrolled: 1-line block ×4, first 2 shown]
	v_cmpx_lt_u32_e32 8, v0
	s_cbranch_execz .LBB87_141
; %bb.140:
	v_mov_b32_e32 v2, s27
	s_clause 0x3
	buffer_load_dword v53, v2, s[0:3], 0 offen
	buffer_load_dword v54, v2, s[0:3], 0 offen offset:4
	buffer_load_dword v55, v2, s[0:3], 0 offen offset:8
	;; [unrolled: 1-line block ×3, first 2 shown]
	v_mov_b32_e32 v2, 0
	buffer_store_dword v2, off, s[0:3], 0 offset:144
	buffer_store_dword v2, off, s[0:3], 0 offset:148
	;; [unrolled: 1-line block ×4, first 2 shown]
	s_waitcnt vmcnt(0)
	ds_write_b128 v1, v[53:56]
.LBB87_141:
	s_or_b32 exec_lo, exec_lo, s4
	s_waitcnt lgkmcnt(0)
	s_waitcnt_vscnt null, 0x0
	s_barrier
	buffer_gl0_inv
	s_clause 0x37
	buffer_load_dword v3, off, s[0:3], 0 offset:168
	buffer_load_dword v4, off, s[0:3], 0 offset:172
	;; [unrolled: 1-line block ×56, first 2 shown]
	v_mov_b32_e32 v2, 0
	s_mov_b32 s4, exec_lo
	ds_read_b128 v[53:56], v2 offset:528
	s_clause 0x2
	buffer_load_dword v118, off, s[0:3], 0 offset:396
	buffer_load_dword v122, off, s[0:3], 0 offset:372
	;; [unrolled: 1-line block ×3, first 2 shown]
	ds_read_b128 v[57:60], v2 offset:544
	ds_read_b128 v[61:64], v2 offset:560
	buffer_load_dword v120, off, s[0:3], 0 offset:388
	s_waitcnt vmcnt(58) lgkmcnt(2)
	v_mul_f64 v[123:124], v[55:56], v[3:4]
	v_mul_f64 v[3:4], v[53:54], v[3:4]
	s_waitcnt vmcnt(56) lgkmcnt(1)
	v_mul_f64 v[125:126], v[59:60], v[65:66]
	v_mul_f64 v[65:66], v[57:58], v[65:66]
	s_waitcnt vmcnt(54)
	v_fma_f64 v[123:124], v[53:54], v[67:68], -v[123:124]
	v_fma_f64 v[3:4], v[55:56], v[67:68], v[3:4]
	s_waitcnt vmcnt(52) lgkmcnt(0)
	v_mul_f64 v[67:68], v[61:62], v[69:70]
	v_mul_f64 v[69:70], v[63:64], v[69:70]
	s_waitcnt vmcnt(50)
	v_fma_f64 v[125:126], v[57:58], v[71:72], -v[125:126]
	ds_read_b128 v[53:56], v2 offset:576
	v_fma_f64 v[65:66], v[59:60], v[71:72], v[65:66]
	s_clause 0x3
	buffer_load_dword v71, off, s[0:3], 0 offset:144
	buffer_load_dword v72, off, s[0:3], 0 offset:148
	;; [unrolled: 1-line block ×4, first 2 shown]
	ds_read_b128 v[57:60], v2 offset:592
	v_add_f64 v[123:124], v[123:124], 0
	v_add_f64 v[3:4], v[3:4], 0
	s_waitcnt vmcnt(48)
	v_fma_f64 v[67:68], v[63:64], v[79:80], v[67:68]
	s_waitcnt lgkmcnt(1)
	v_mul_f64 v[129:130], v[53:54], v[73:74]
	v_mul_f64 v[73:74], v[55:56], v[73:74]
	v_fma_f64 v[69:70], v[61:62], v[79:80], -v[69:70]
	ds_read_b128 v[61:64], v2 offset:608
	v_add_f64 v[123:124], v[123:124], v[125:126]
	v_add_f64 v[3:4], v[3:4], v[65:66]
	s_waitcnt vmcnt(47) lgkmcnt(1)
	v_mul_f64 v[65:66], v[57:58], v[75:76]
	v_mul_f64 v[75:76], v[59:60], v[75:76]
	s_waitcnt vmcnt(45)
	v_fma_f64 v[73:74], v[53:54], v[81:82], -v[73:74]
	v_fma_f64 v[79:80], v[55:56], v[81:82], v[129:130]
	s_waitcnt vmcnt(41) lgkmcnt(0)
	v_mul_f64 v[81:82], v[63:64], v[83:84]
	ds_read_b128 v[53:56], v2 offset:624
	v_add_f64 v[69:70], v[123:124], v[69:70]
	v_add_f64 v[3:4], v[3:4], v[67:68]
	v_mul_f64 v[67:68], v[61:62], v[83:84]
	s_waitcnt vmcnt(40)
	v_fma_f64 v[75:76], v[57:58], v[77:78], -v[75:76]
	v_fma_f64 v[65:66], v[59:60], v[77:78], v[65:66]
	ds_read_b128 v[57:60], v2 offset:640
	s_waitcnt vmcnt(39) lgkmcnt(1)
	v_mul_f64 v[77:78], v[55:56], v[85:86]
	v_add_f64 v[69:70], v[69:70], v[73:74]
	v_add_f64 v[3:4], v[3:4], v[79:80]
	s_waitcnt vmcnt(37)
	v_fma_f64 v[79:80], v[61:62], v[89:90], -v[81:82]
	v_mul_f64 v[73:74], v[53:54], v[85:86]
	v_fma_f64 v[67:68], v[63:64], v[89:90], v[67:68]
	ds_read_b128 v[61:64], v2 offset:656
	s_waitcnt vmcnt(32)
	v_fma_f64 v[77:78], v[53:54], v[87:88], -v[77:78]
	v_add_f64 v[69:70], v[69:70], v[75:76]
	v_add_f64 v[3:4], v[3:4], v[65:66]
	s_waitcnt lgkmcnt(1)
	v_mul_f64 v[75:76], v[59:60], v[91:92]
	v_mul_f64 v[65:66], v[57:58], v[91:92]
	v_fma_f64 v[73:74], v[55:56], v[87:88], v[73:74]
	ds_read_b128 v[53:56], v2 offset:672
	v_add_f64 v[69:70], v[69:70], v[79:80]
	v_add_f64 v[3:4], v[3:4], v[67:68]
	s_waitcnt vmcnt(31) lgkmcnt(1)
	v_mul_f64 v[79:80], v[63:64], v[93:94]
	s_waitcnt vmcnt(29)
	v_fma_f64 v[75:76], v[57:58], v[97:98], -v[75:76]
	v_mul_f64 v[67:68], v[61:62], v[93:94]
	v_fma_f64 v[65:66], v[59:60], v[97:98], v[65:66]
	ds_read_b128 v[57:60], v2 offset:688
	v_add_f64 v[69:70], v[69:70], v[77:78]
	v_add_f64 v[3:4], v[3:4], v[73:74]
	s_waitcnt vmcnt(25) lgkmcnt(1)
	v_mul_f64 v[77:78], v[55:56], v[99:100]
	s_waitcnt vmcnt(24)
	v_fma_f64 v[79:80], v[61:62], v[95:96], -v[79:80]
	v_mul_f64 v[73:74], v[53:54], v[99:100]
	v_fma_f64 v[67:68], v[63:64], v[95:96], v[67:68]
	ds_read_b128 v[61:64], v2 offset:704
	v_add_f64 v[69:70], v[69:70], v[75:76]
	v_add_f64 v[3:4], v[3:4], v[65:66]
	s_waitcnt vmcnt(23) lgkmcnt(1)
	v_mul_f64 v[75:76], v[59:60], v[101:102]
	s_waitcnt vmcnt(21)
	v_fma_f64 v[77:78], v[53:54], v[105:106], -v[77:78]
	v_mul_f64 v[65:66], v[57:58], v[101:102]
	v_fma_f64 v[73:74], v[55:56], v[105:106], v[73:74]
	ds_read_b128 v[53:56], v2 offset:720
	v_add_f64 v[69:70], v[69:70], v[79:80]
	v_add_f64 v[3:4], v[3:4], v[67:68]
	s_waitcnt vmcnt(17) lgkmcnt(1)
	v_mul_f64 v[79:80], v[63:64], v[107:108]
	s_waitcnt vmcnt(16)
	v_fma_f64 v[75:76], v[57:58], v[103:104], -v[75:76]
	v_mul_f64 v[67:68], v[61:62], v[107:108]
	v_fma_f64 v[65:66], v[59:60], v[103:104], v[65:66]
	ds_read_b128 v[57:60], v2 offset:736
	v_add_f64 v[69:70], v[69:70], v[77:78]
	v_add_f64 v[3:4], v[3:4], v[73:74]
	s_waitcnt vmcnt(15) lgkmcnt(1)
	v_mul_f64 v[77:78], v[55:56], v[109:110]
	s_waitcnt vmcnt(13)
	v_fma_f64 v[79:80], v[61:62], v[113:114], -v[79:80]
	v_mul_f64 v[73:74], v[53:54], v[109:110]
	v_fma_f64 v[67:68], v[63:64], v[113:114], v[67:68]
	ds_read_b128 v[61:64], v2 offset:752
	v_add_f64 v[69:70], v[69:70], v[75:76]
	v_add_f64 v[3:4], v[3:4], v[65:66]
	s_waitcnt vmcnt(9) lgkmcnt(1)
	v_mul_f64 v[75:76], v[59:60], v[115:116]
	s_waitcnt vmcnt(8)
	v_fma_f64 v[53:54], v[53:54], v[111:112], -v[77:78]
	v_mul_f64 v[65:66], v[57:58], v[115:116]
	v_fma_f64 v[55:56], v[55:56], v[111:112], v[73:74]
	s_waitcnt vmcnt(7) lgkmcnt(0)
	v_mul_f64 v[73:74], v[63:64], v[117:118]
	v_add_f64 v[69:70], v[69:70], v[79:80]
	v_add_f64 v[3:4], v[3:4], v[67:68]
	s_waitcnt vmcnt(5)
	v_fma_f64 v[57:58], v[57:58], v[121:122], -v[75:76]
	v_mul_f64 v[67:68], v[61:62], v[117:118]
	v_fma_f64 v[59:60], v[59:60], v[121:122], v[65:66]
	v_add_f64 v[53:54], v[69:70], v[53:54]
	v_add_f64 v[3:4], v[3:4], v[55:56]
	s_waitcnt vmcnt(4)
	v_fma_f64 v[55:56], v[61:62], v[119:120], -v[73:74]
	v_add_f64 v[53:54], v[53:54], v[57:58]
	v_fma_f64 v[57:58], v[63:64], v[119:120], v[67:68]
	v_add_f64 v[3:4], v[3:4], v[59:60]
	v_add_f64 v[53:54], v[53:54], v[55:56]
	;; [unrolled: 1-line block ×3, first 2 shown]
	s_waitcnt vmcnt(2)
	v_add_f64 v[53:54], v[71:72], -v[53:54]
	s_waitcnt vmcnt(0)
	v_add_f64 v[3:4], v[127:128], -v[3:4]
	buffer_store_dword v54, off, s[0:3], 0 offset:148
	buffer_store_dword v53, off, s[0:3], 0 offset:144
	;; [unrolled: 1-line block ×4, first 2 shown]
	v_cmpx_lt_u32_e32 7, v0
	s_cbranch_execz .LBB87_143
; %bb.142:
	v_mov_b32_e32 v3, s28
	s_clause 0x3
	buffer_load_dword v53, v3, s[0:3], 0 offen
	buffer_load_dword v54, v3, s[0:3], 0 offen offset:4
	buffer_load_dword v55, v3, s[0:3], 0 offen offset:8
	;; [unrolled: 1-line block ×3, first 2 shown]
	buffer_store_dword v2, off, s[0:3], 0 offset:128
	buffer_store_dword v2, off, s[0:3], 0 offset:132
	;; [unrolled: 1-line block ×4, first 2 shown]
	s_waitcnt vmcnt(0)
	ds_write_b128 v1, v[53:56]
.LBB87_143:
	s_or_b32 exec_lo, exec_lo, s4
	s_waitcnt lgkmcnt(0)
	s_waitcnt_vscnt null, 0x0
	s_barrier
	buffer_gl0_inv
	s_clause 0x37
	buffer_load_dword v3, off, s[0:3], 0 offset:152
	buffer_load_dword v4, off, s[0:3], 0 offset:156
	;; [unrolled: 1-line block ×56, first 2 shown]
	ds_read_b128 v[53:56], v2 offset:512
	s_clause 0x2
	buffer_load_dword v118, off, s[0:3], 0 offset:380
	buffer_load_dword v122, off, s[0:3], 0 offset:356
	;; [unrolled: 1-line block ×3, first 2 shown]
	ds_read_b128 v[57:60], v2 offset:528
	s_clause 0x2
	buffer_load_dword v126, off, s[0:3], 0 offset:396
	buffer_load_dword v125, off, s[0:3], 0 offset:392
	;; [unrolled: 1-line block ×3, first 2 shown]
	ds_read_b128 v[61:64], v2 offset:544
	s_mov_b32 s4, exec_lo
	s_waitcnt vmcnt(60) lgkmcnt(2)
	v_mul_f64 v[123:124], v[55:56], v[3:4]
	v_mul_f64 v[3:4], v[53:54], v[3:4]
	s_waitcnt vmcnt(58) lgkmcnt(1)
	v_mul_f64 v[127:128], v[59:60], v[65:66]
	v_mul_f64 v[65:66], v[57:58], v[65:66]
	;; [unrolled: 3-line block ×3, first 2 shown]
	v_fma_f64 v[123:124], v[53:54], v[67:68], -v[123:124]
	v_fma_f64 v[3:4], v[55:56], v[67:68], v[3:4]
	s_clause 0x1
	buffer_load_dword v68, off, s[0:3], 0 offset:388
	buffer_load_dword v67, off, s[0:3], 0 offset:384
	s_waitcnt vmcnt(54)
	v_fma_f64 v[127:128], v[57:58], v[71:72], -v[127:128]
	ds_read_b128 v[53:56], v2 offset:560
	v_fma_f64 v[65:66], v[59:60], v[71:72], v[65:66]
	ds_read_b128 v[57:60], v2 offset:576
	s_waitcnt vmcnt(48)
	v_fma_f64 v[69:70], v[61:62], v[79:80], -v[69:70]
	v_fma_f64 v[79:80], v[63:64], v[79:80], v[129:130]
	v_add_f64 v[123:124], v[123:124], 0
	v_add_f64 v[3:4], v[3:4], 0
	s_waitcnt lgkmcnt(1)
	v_mul_f64 v[71:72], v[53:54], v[73:74]
	v_mul_f64 v[73:74], v[55:56], v[73:74]
	s_waitcnt vmcnt(47) lgkmcnt(0)
	v_mul_f64 v[129:130], v[57:58], v[75:76]
	v_mul_f64 v[75:76], v[59:60], v[75:76]
	v_add_f64 v[123:124], v[123:124], v[127:128]
	v_add_f64 v[3:4], v[3:4], v[65:66]
	s_clause 0x3
	buffer_load_dword v65, off, s[0:3], 0 offset:128
	buffer_load_dword v66, off, s[0:3], 0 offset:132
	;; [unrolled: 1-line block ×4, first 2 shown]
	s_waitcnt vmcnt(49)
	v_fma_f64 v[73:74], v[53:54], v[81:82], -v[73:74]
	ds_read_b128 v[61:64], v2 offset:592
	v_fma_f64 v[71:72], v[55:56], v[81:82], v[71:72]
	ds_read_b128 v[53:56], v2 offset:608
	s_waitcnt vmcnt(44)
	v_fma_f64 v[75:76], v[57:58], v[77:78], -v[75:76]
	v_add_f64 v[69:70], v[123:124], v[69:70]
	v_add_f64 v[3:4], v[3:4], v[79:80]
	s_waitcnt lgkmcnt(1)
	v_mul_f64 v[81:82], v[63:64], v[83:84]
	v_mul_f64 v[79:80], v[61:62], v[83:84]
	v_add_f64 v[69:70], v[69:70], v[73:74]
	v_fma_f64 v[73:74], v[59:60], v[77:78], v[129:130]
	v_add_f64 v[3:4], v[3:4], v[71:72]
	s_waitcnt vmcnt(43) lgkmcnt(0)
	v_mul_f64 v[77:78], v[55:56], v[85:86]
	s_waitcnt vmcnt(41)
	v_fma_f64 v[81:82], v[61:62], v[89:90], -v[81:82]
	ds_read_b128 v[57:60], v2 offset:624
	v_mul_f64 v[71:72], v[53:54], v[85:86]
	v_add_f64 v[69:70], v[69:70], v[75:76]
	v_fma_f64 v[75:76], v[63:64], v[89:90], v[79:80]
	v_add_f64 v[3:4], v[3:4], v[73:74]
	ds_read_b128 v[61:64], v2 offset:640
	s_waitcnt vmcnt(37) lgkmcnt(1)
	v_mul_f64 v[79:80], v[59:60], v[91:92]
	s_waitcnt vmcnt(36)
	v_fma_f64 v[77:78], v[53:54], v[87:88], -v[77:78]
	v_mul_f64 v[73:74], v[57:58], v[91:92]
	v_fma_f64 v[71:72], v[55:56], v[87:88], v[71:72]
	ds_read_b128 v[53:56], v2 offset:656
	v_add_f64 v[69:70], v[69:70], v[81:82]
	s_waitcnt vmcnt(35) lgkmcnt(1)
	v_mul_f64 v[81:82], v[63:64], v[93:94]
	v_add_f64 v[3:4], v[3:4], v[75:76]
	v_mul_f64 v[75:76], v[61:62], v[93:94]
	s_waitcnt vmcnt(33)
	v_fma_f64 v[79:80], v[57:58], v[97:98], -v[79:80]
	v_fma_f64 v[73:74], v[59:60], v[97:98], v[73:74]
	ds_read_b128 v[57:60], v2 offset:672
	v_add_f64 v[69:70], v[69:70], v[77:78]
	s_waitcnt vmcnt(29) lgkmcnt(1)
	v_mul_f64 v[77:78], v[55:56], v[99:100]
	v_add_f64 v[3:4], v[3:4], v[71:72]
	s_waitcnt vmcnt(28)
	v_fma_f64 v[81:82], v[61:62], v[95:96], -v[81:82]
	v_mul_f64 v[71:72], v[53:54], v[99:100]
	v_fma_f64 v[75:76], v[63:64], v[95:96], v[75:76]
	ds_read_b128 v[61:64], v2 offset:688
	v_add_f64 v[69:70], v[69:70], v[79:80]
	s_waitcnt vmcnt(27) lgkmcnt(1)
	v_mul_f64 v[79:80], v[59:60], v[101:102]
	v_add_f64 v[3:4], v[3:4], v[73:74]
	s_waitcnt vmcnt(25)
	v_fma_f64 v[77:78], v[53:54], v[105:106], -v[77:78]
	v_mul_f64 v[73:74], v[57:58], v[101:102]
	v_fma_f64 v[71:72], v[55:56], v[105:106], v[71:72]
	ds_read_b128 v[53:56], v2 offset:704
	v_add_f64 v[69:70], v[69:70], v[81:82]
	s_waitcnt vmcnt(21) lgkmcnt(1)
	v_mul_f64 v[81:82], v[63:64], v[107:108]
	v_add_f64 v[3:4], v[3:4], v[75:76]
	s_waitcnt vmcnt(20)
	v_fma_f64 v[79:80], v[57:58], v[103:104], -v[79:80]
	v_mul_f64 v[75:76], v[61:62], v[107:108]
	v_fma_f64 v[73:74], v[59:60], v[103:104], v[73:74]
	ds_read_b128 v[57:60], v2 offset:720
	v_add_f64 v[69:70], v[69:70], v[77:78]
	s_waitcnt vmcnt(19) lgkmcnt(1)
	v_mul_f64 v[77:78], v[55:56], v[109:110]
	v_add_f64 v[3:4], v[3:4], v[71:72]
	s_waitcnt vmcnt(17)
	v_fma_f64 v[81:82], v[61:62], v[113:114], -v[81:82]
	v_mul_f64 v[71:72], v[53:54], v[109:110]
	v_fma_f64 v[75:76], v[63:64], v[113:114], v[75:76]
	ds_read_b128 v[61:64], v2 offset:736
	v_add_f64 v[69:70], v[69:70], v[79:80]
	s_waitcnt vmcnt(13) lgkmcnt(1)
	v_mul_f64 v[79:80], v[59:60], v[115:116]
	v_add_f64 v[3:4], v[3:4], v[73:74]
	s_waitcnt vmcnt(12)
	v_fma_f64 v[77:78], v[53:54], v[111:112], -v[77:78]
	v_mul_f64 v[73:74], v[57:58], v[115:116]
	v_fma_f64 v[71:72], v[55:56], v[111:112], v[71:72]
	ds_read_b128 v[53:56], v2 offset:752
	v_add_f64 v[69:70], v[69:70], v[81:82]
	s_waitcnt vmcnt(11) lgkmcnt(1)
	v_mul_f64 v[81:82], v[63:64], v[117:118]
	v_add_f64 v[3:4], v[3:4], v[75:76]
	s_waitcnt vmcnt(9)
	v_fma_f64 v[57:58], v[57:58], v[121:122], -v[79:80]
	v_mul_f64 v[75:76], v[61:62], v[117:118]
	v_fma_f64 v[59:60], v[59:60], v[121:122], v[73:74]
	s_waitcnt vmcnt(7) lgkmcnt(0)
	v_mul_f64 v[73:74], v[55:56], v[125:126]
	v_add_f64 v[69:70], v[69:70], v[77:78]
	s_waitcnt vmcnt(6)
	v_fma_f64 v[61:62], v[61:62], v[119:120], -v[81:82]
	v_add_f64 v[2:3], v[3:4], v[71:72]
	v_mul_f64 v[71:72], v[53:54], v[125:126]
	v_fma_f64 v[63:64], v[63:64], v[119:120], v[75:76]
	v_add_f64 v[57:58], v[69:70], v[57:58]
	v_add_f64 v[2:3], v[2:3], v[59:60]
	s_waitcnt vmcnt(4)
	v_fma_f64 v[53:54], v[53:54], v[67:68], -v[73:74]
	v_fma_f64 v[55:56], v[55:56], v[67:68], v[71:72]
	v_add_f64 v[57:58], v[57:58], v[61:62]
	v_add_f64 v[2:3], v[2:3], v[63:64]
	;; [unrolled: 1-line block ×4, first 2 shown]
	s_waitcnt vmcnt(2)
	v_add_f64 v[53:54], v[65:66], -v[53:54]
	s_waitcnt vmcnt(0)
	v_add_f64 v[2:3], v[127:128], -v[2:3]
	buffer_store_dword v54, off, s[0:3], 0 offset:132
	buffer_store_dword v53, off, s[0:3], 0 offset:128
	;; [unrolled: 1-line block ×4, first 2 shown]
	v_cmpx_lt_u32_e32 6, v0
	s_cbranch_execz .LBB87_145
; %bb.144:
	v_mov_b32_e32 v2, s29
	s_clause 0x3
	buffer_load_dword v53, v2, s[0:3], 0 offen
	buffer_load_dword v54, v2, s[0:3], 0 offen offset:4
	buffer_load_dword v55, v2, s[0:3], 0 offen offset:8
	;; [unrolled: 1-line block ×3, first 2 shown]
	v_mov_b32_e32 v2, 0
	buffer_store_dword v2, off, s[0:3], 0 offset:112
	buffer_store_dword v2, off, s[0:3], 0 offset:116
	;; [unrolled: 1-line block ×4, first 2 shown]
	s_waitcnt vmcnt(0)
	ds_write_b128 v1, v[53:56]
.LBB87_145:
	s_or_b32 exec_lo, exec_lo, s4
	s_waitcnt lgkmcnt(0)
	s_waitcnt_vscnt null, 0x0
	s_barrier
	buffer_gl0_inv
	s_clause 0x37
	buffer_load_dword v3, off, s[0:3], 0 offset:136
	buffer_load_dword v4, off, s[0:3], 0 offset:140
	;; [unrolled: 1-line block ×56, first 2 shown]
	v_mov_b32_e32 v2, 0
	s_mov_b32 s4, exec_lo
	ds_read_b128 v[53:56], v2 offset:496
	s_clause 0x2
	buffer_load_dword v118, off, s[0:3], 0 offset:364
	buffer_load_dword v122, off, s[0:3], 0 offset:340
	;; [unrolled: 1-line block ×3, first 2 shown]
	ds_read_b128 v[57:60], v2 offset:512
	s_clause 0x4
	buffer_load_dword v126, off, s[0:3], 0 offset:380
	buffer_load_dword v127, off, s[0:3], 0 offset:392
	;; [unrolled: 1-line block ×5, first 2 shown]
	ds_read_b128 v[61:64], v2 offset:528
	s_waitcnt vmcnt(62) lgkmcnt(2)
	v_mul_f64 v[123:124], v[55:56], v[3:4]
	v_mul_f64 v[3:4], v[53:54], v[3:4]
	s_waitcnt vmcnt(60) lgkmcnt(1)
	v_mul_f64 v[130:131], v[59:60], v[65:66]
	v_mul_f64 v[65:66], v[57:58], v[65:66]
	s_waitcnt vmcnt(56) lgkmcnt(0)
	v_mul_f64 v[132:133], v[61:62], v[69:70]
	v_mul_f64 v[69:70], v[63:64], v[69:70]
	v_fma_f64 v[123:124], v[53:54], v[67:68], -v[123:124]
	v_fma_f64 v[3:4], v[55:56], v[67:68], v[3:4]
	s_clause 0x2
	buffer_load_dword v128, off, s[0:3], 0 offset:396
	buffer_load_dword v68, off, s[0:3], 0 offset:372
	;; [unrolled: 1-line block ×3, first 2 shown]
	s_waitcnt vmcnt(57)
	v_fma_f64 v[134:135], v[57:58], v[71:72], -v[130:131]
	ds_read_b128 v[53:56], v2 offset:544
	v_fma_f64 v[65:66], v[59:60], v[71:72], v[65:66]
	buffer_load_dword v130, off, s[0:3], 0 offset:388
	ds_read_b128 v[57:60], v2 offset:560
	s_waitcnt vmcnt(52)
	v_fma_f64 v[69:70], v[61:62], v[79:80], -v[69:70]
	v_fma_f64 v[79:80], v[63:64], v[79:80], v[132:133]
	ds_read_b128 v[61:64], v2 offset:576
	v_add_f64 v[123:124], v[123:124], 0
	v_add_f64 v[3:4], v[3:4], 0
	s_waitcnt lgkmcnt(2)
	v_mul_f64 v[71:72], v[53:54], v[73:74]
	v_mul_f64 v[73:74], v[55:56], v[73:74]
	v_add_f64 v[123:124], v[123:124], v[134:135]
	v_add_f64 v[3:4], v[3:4], v[65:66]
	s_waitcnt vmcnt(51) lgkmcnt(1)
	v_mul_f64 v[65:66], v[57:58], v[75:76]
	v_mul_f64 v[75:76], v[59:60], v[75:76]
	s_waitcnt vmcnt(49)
	v_fma_f64 v[73:74], v[53:54], v[81:82], -v[73:74]
	v_fma_f64 v[71:72], v[55:56], v[81:82], v[71:72]
	v_add_f64 v[69:70], v[123:124], v[69:70]
	v_add_f64 v[3:4], v[3:4], v[79:80]
	s_clause 0x3
	buffer_load_dword v79, off, s[0:3], 0 offset:112
	buffer_load_dword v80, off, s[0:3], 0 offset:116
	;; [unrolled: 1-line block ×4, first 2 shown]
	s_waitcnt vmcnt(49) lgkmcnt(0)
	v_mul_f64 v[123:124], v[61:62], v[83:84]
	v_mul_f64 v[83:84], v[63:64], v[83:84]
	s_waitcnt vmcnt(48)
	v_fma_f64 v[75:76], v[57:58], v[77:78], -v[75:76]
	ds_read_b128 v[53:56], v2 offset:592
	v_fma_f64 v[65:66], v[59:60], v[77:78], v[65:66]
	ds_read_b128 v[57:60], v2 offset:608
	v_add_f64 v[69:70], v[69:70], v[73:74]
	v_add_f64 v[3:4], v[3:4], v[71:72]
	s_waitcnt vmcnt(47) lgkmcnt(1)
	v_mul_f64 v[73:74], v[55:56], v[85:86]
	s_waitcnt vmcnt(45)
	v_fma_f64 v[77:78], v[61:62], v[89:90], -v[83:84]
	v_mul_f64 v[71:72], v[53:54], v[85:86]
	s_waitcnt vmcnt(41) lgkmcnt(0)
	v_mul_f64 v[83:84], v[59:60], v[91:92]
	v_add_f64 v[69:70], v[69:70], v[75:76]
	v_fma_f64 v[75:76], v[63:64], v[89:90], v[123:124]
	v_add_f64 v[3:4], v[3:4], v[65:66]
	ds_read_b128 v[61:64], v2 offset:624
	s_waitcnt vmcnt(40)
	v_fma_f64 v[73:74], v[53:54], v[87:88], -v[73:74]
	v_mul_f64 v[65:66], v[57:58], v[91:92]
	v_fma_f64 v[71:72], v[55:56], v[87:88], v[71:72]
	ds_read_b128 v[53:56], v2 offset:640
	s_waitcnt vmcnt(37)
	v_fma_f64 v[83:84], v[57:58], v[97:98], -v[83:84]
	v_add_f64 v[69:70], v[69:70], v[77:78]
	s_waitcnt lgkmcnt(1)
	v_mul_f64 v[77:78], v[63:64], v[93:94]
	v_add_f64 v[3:4], v[3:4], v[75:76]
	v_mul_f64 v[75:76], v[61:62], v[93:94]
	v_fma_f64 v[65:66], v[59:60], v[97:98], v[65:66]
	ds_read_b128 v[57:60], v2 offset:656
	v_add_f64 v[69:70], v[69:70], v[73:74]
	s_waitcnt vmcnt(33) lgkmcnt(1)
	v_mul_f64 v[73:74], v[55:56], v[99:100]
	v_add_f64 v[3:4], v[3:4], v[71:72]
	s_waitcnt vmcnt(32)
	v_fma_f64 v[77:78], v[61:62], v[95:96], -v[77:78]
	v_mul_f64 v[71:72], v[53:54], v[99:100]
	v_fma_f64 v[75:76], v[63:64], v[95:96], v[75:76]
	ds_read_b128 v[61:64], v2 offset:672
	v_add_f64 v[69:70], v[69:70], v[83:84]
	s_waitcnt vmcnt(31) lgkmcnt(1)
	v_mul_f64 v[83:84], v[59:60], v[101:102]
	v_add_f64 v[3:4], v[3:4], v[65:66]
	s_waitcnt vmcnt(29)
	v_fma_f64 v[73:74], v[53:54], v[105:106], -v[73:74]
	;; [unrolled: 9-line block ×7, first 2 shown]
	v_mul_f64 v[71:72], v[53:54], v[125:126]
	v_fma_f64 v[63:64], v[63:64], v[119:120], v[75:76]
	v_add_f64 v[69:70], v[69:70], v[83:84]
	v_add_f64 v[3:4], v[3:4], v[65:66]
	s_waitcnt vmcnt(7) lgkmcnt(0)
	v_mul_f64 v[75:76], v[59:60], v[127:128]
	v_mul_f64 v[65:66], v[57:58], v[127:128]
	s_waitcnt vmcnt(5)
	v_fma_f64 v[53:54], v[53:54], v[67:68], -v[73:74]
	v_fma_f64 v[55:56], v[55:56], v[67:68], v[71:72]
	v_add_f64 v[61:62], v[69:70], v[61:62]
	v_add_f64 v[3:4], v[3:4], v[63:64]
	s_waitcnt vmcnt(4)
	v_fma_f64 v[57:58], v[57:58], v[129:130], -v[75:76]
	v_fma_f64 v[59:60], v[59:60], v[129:130], v[65:66]
	v_add_f64 v[53:54], v[61:62], v[53:54]
	v_add_f64 v[3:4], v[3:4], v[55:56]
	;; [unrolled: 1-line block ×4, first 2 shown]
	s_waitcnt vmcnt(2)
	v_add_f64 v[53:54], v[79:80], -v[53:54]
	s_waitcnt vmcnt(0)
	v_add_f64 v[3:4], v[81:82], -v[3:4]
	buffer_store_dword v54, off, s[0:3], 0 offset:116
	buffer_store_dword v53, off, s[0:3], 0 offset:112
	;; [unrolled: 1-line block ×4, first 2 shown]
	v_cmpx_lt_u32_e32 5, v0
	s_cbranch_execz .LBB87_147
; %bb.146:
	v_mov_b32_e32 v3, s30
	s_clause 0x3
	buffer_load_dword v53, v3, s[0:3], 0 offen
	buffer_load_dword v54, v3, s[0:3], 0 offen offset:4
	buffer_load_dword v55, v3, s[0:3], 0 offen offset:8
	;; [unrolled: 1-line block ×3, first 2 shown]
	buffer_store_dword v2, off, s[0:3], 0 offset:96
	buffer_store_dword v2, off, s[0:3], 0 offset:100
	;; [unrolled: 1-line block ×4, first 2 shown]
	s_waitcnt vmcnt(0)
	ds_write_b128 v1, v[53:56]
.LBB87_147:
	s_or_b32 exec_lo, exec_lo, s4
	s_waitcnt lgkmcnt(0)
	s_waitcnt_vscnt null, 0x0
	s_barrier
	buffer_gl0_inv
	s_clause 0x37
	buffer_load_dword v3, off, s[0:3], 0 offset:120
	buffer_load_dword v4, off, s[0:3], 0 offset:124
	;; [unrolled: 1-line block ×56, first 2 shown]
	ds_read_b128 v[53:56], v2 offset:480
	s_clause 0x2
	buffer_load_dword v118, off, s[0:3], 0 offset:348
	buffer_load_dword v122, off, s[0:3], 0 offset:324
	;; [unrolled: 1-line block ×3, first 2 shown]
	ds_read_b128 v[57:60], v2 offset:496
	s_clause 0x4
	buffer_load_dword v126, off, s[0:3], 0 offset:364
	buffer_load_dword v127, off, s[0:3], 0 offset:376
	;; [unrolled: 1-line block ×5, first 2 shown]
	ds_read_b128 v[61:64], v2 offset:512
	s_mov_b32 s4, exec_lo
	s_waitcnt vmcnt(62) lgkmcnt(2)
	v_mul_f64 v[123:124], v[55:56], v[3:4]
	v_mul_f64 v[3:4], v[53:54], v[3:4]
	s_waitcnt vmcnt(60) lgkmcnt(1)
	v_mul_f64 v[130:131], v[59:60], v[65:66]
	v_mul_f64 v[65:66], v[57:58], v[65:66]
	s_waitcnt vmcnt(56) lgkmcnt(0)
	v_mul_f64 v[132:133], v[61:62], v[69:70]
	v_mul_f64 v[69:70], v[63:64], v[69:70]
	v_fma_f64 v[123:124], v[53:54], v[67:68], -v[123:124]
	v_fma_f64 v[3:4], v[55:56], v[67:68], v[3:4]
	s_clause 0x2
	buffer_load_dword v128, off, s[0:3], 0 offset:380
	buffer_load_dword v68, off, s[0:3], 0 offset:356
	buffer_load_dword v67, off, s[0:3], 0 offset:352
	s_waitcnt vmcnt(57)
	v_fma_f64 v[134:135], v[57:58], v[71:72], -v[130:131]
	ds_read_b128 v[53:56], v2 offset:528
	v_fma_f64 v[65:66], v[59:60], v[71:72], v[65:66]
	s_clause 0x2
	buffer_load_dword v72, off, s[0:3], 0 offset:396
	buffer_load_dword v71, off, s[0:3], 0 offset:392
	;; [unrolled: 1-line block ×3, first 2 shown]
	s_waitcnt vmcnt(54)
	v_fma_f64 v[69:70], v[61:62], v[79:80], -v[69:70]
	ds_read_b128 v[57:60], v2 offset:544
	v_fma_f64 v[79:80], v[63:64], v[79:80], v[132:133]
	v_add_f64 v[123:124], v[123:124], 0
	v_add_f64 v[3:4], v[3:4], 0
	s_waitcnt lgkmcnt(1)
	v_mul_f64 v[136:137], v[53:54], v[73:74]
	v_mul_f64 v[73:74], v[55:56], v[73:74]
	s_waitcnt vmcnt(53) lgkmcnt(0)
	v_mul_f64 v[131:132], v[57:58], v[75:76]
	v_mul_f64 v[75:76], v[59:60], v[75:76]
	v_add_f64 v[123:124], v[123:124], v[134:135]
	v_add_f64 v[3:4], v[3:4], v[65:66]
	s_clause 0x1
	buffer_load_dword v66, off, s[0:3], 0 offset:388
	buffer_load_dword v65, off, s[0:3], 0 offset:384
	s_waitcnt vmcnt(53)
	v_fma_f64 v[73:74], v[53:54], v[81:82], -v[73:74]
	ds_read_b128 v[61:64], v2 offset:560
	v_fma_f64 v[81:82], v[55:56], v[81:82], v[136:137]
	ds_read_b128 v[53:56], v2 offset:576
	s_waitcnt vmcnt(48)
	v_fma_f64 v[75:76], v[57:58], v[77:78], -v[75:76]
	v_add_f64 v[69:70], v[123:124], v[69:70]
	v_add_f64 v[3:4], v[3:4], v[79:80]
	s_waitcnt lgkmcnt(1)
	v_mul_f64 v[79:80], v[61:62], v[83:84]
	v_mul_f64 v[83:84], v[63:64], v[83:84]
	s_waitcnt vmcnt(47) lgkmcnt(0)
	v_mul_f64 v[123:124], v[53:54], v[85:86]
	v_mul_f64 v[85:86], v[55:56], v[85:86]
	v_add_f64 v[69:70], v[69:70], v[73:74]
	v_fma_f64 v[73:74], v[59:60], v[77:78], v[131:132]
	v_add_f64 v[3:4], v[3:4], v[81:82]
	s_clause 0x3
	buffer_load_dword v77, off, s[0:3], 0 offset:96
	buffer_load_dword v78, off, s[0:3], 0 offset:100
	;; [unrolled: 1-line block ×4, first 2 shown]
	s_waitcnt vmcnt(49)
	v_fma_f64 v[83:84], v[61:62], v[89:90], -v[83:84]
	ds_read_b128 v[57:60], v2 offset:592
	s_waitcnt vmcnt(44)
	v_fma_f64 v[85:86], v[53:54], v[87:88], -v[85:86]
	v_add_f64 v[69:70], v[69:70], v[75:76]
	v_fma_f64 v[75:76], v[63:64], v[89:90], v[79:80]
	v_add_f64 v[3:4], v[3:4], v[73:74]
	ds_read_b128 v[61:64], v2 offset:608
	s_waitcnt lgkmcnt(1)
	v_mul_f64 v[79:80], v[59:60], v[91:92]
	v_mul_f64 v[73:74], v[57:58], v[91:92]
	v_add_f64 v[69:70], v[69:70], v[83:84]
	v_fma_f64 v[83:84], v[55:56], v[87:88], v[123:124]
	v_add_f64 v[3:4], v[3:4], v[75:76]
	s_waitcnt vmcnt(43) lgkmcnt(0)
	v_mul_f64 v[87:88], v[63:64], v[93:94]
	s_waitcnt vmcnt(41)
	v_fma_f64 v[79:80], v[57:58], v[97:98], -v[79:80]
	ds_read_b128 v[53:56], v2 offset:624
	v_mul_f64 v[75:76], v[61:62], v[93:94]
	v_fma_f64 v[73:74], v[59:60], v[97:98], v[73:74]
	ds_read_b128 v[57:60], v2 offset:640
	v_add_f64 v[69:70], v[69:70], v[85:86]
	v_add_f64 v[3:4], v[3:4], v[83:84]
	s_waitcnt vmcnt(37) lgkmcnt(1)
	v_mul_f64 v[85:86], v[55:56], v[99:100]
	s_waitcnt vmcnt(36)
	v_fma_f64 v[87:88], v[61:62], v[95:96], -v[87:88]
	v_mul_f64 v[83:84], v[53:54], v[99:100]
	v_fma_f64 v[75:76], v[63:64], v[95:96], v[75:76]
	ds_read_b128 v[61:64], v2 offset:656
	v_add_f64 v[69:70], v[69:70], v[79:80]
	s_waitcnt vmcnt(35) lgkmcnt(1)
	v_mul_f64 v[79:80], v[59:60], v[101:102]
	v_add_f64 v[3:4], v[3:4], v[73:74]
	s_waitcnt vmcnt(33)
	v_fma_f64 v[85:86], v[53:54], v[105:106], -v[85:86]
	v_mul_f64 v[73:74], v[57:58], v[101:102]
	v_fma_f64 v[83:84], v[55:56], v[105:106], v[83:84]
	ds_read_b128 v[53:56], v2 offset:672
	v_add_f64 v[69:70], v[69:70], v[87:88]
	s_waitcnt vmcnt(29) lgkmcnt(1)
	v_mul_f64 v[87:88], v[63:64], v[107:108]
	v_add_f64 v[3:4], v[3:4], v[75:76]
	;; [unrolled: 9-line block ×6, first 2 shown]
	s_waitcnt vmcnt(12)
	v_fma_f64 v[87:88], v[61:62], v[119:120], -v[87:88]
	v_mul_f64 v[83:84], v[53:54], v[125:126]
	v_fma_f64 v[75:76], v[63:64], v[119:120], v[75:76]
	ds_read_b128 v[61:64], v2 offset:752
	v_add_f64 v[69:70], v[69:70], v[79:80]
	v_add_f64 v[3:4], v[3:4], v[73:74]
	s_waitcnt vmcnt(11) lgkmcnt(1)
	v_mul_f64 v[79:80], v[59:60], v[127:128]
	v_mul_f64 v[73:74], v[57:58], v[127:128]
	s_waitcnt vmcnt(9)
	v_fma_f64 v[53:54], v[53:54], v[67:68], -v[85:86]
	v_fma_f64 v[55:56], v[55:56], v[67:68], v[83:84]
	s_waitcnt vmcnt(7) lgkmcnt(0)
	v_mul_f64 v[67:68], v[61:62], v[71:72]
	v_mul_f64 v[71:72], v[63:64], v[71:72]
	v_add_f64 v[69:70], v[69:70], v[87:88]
	v_add_f64 v[2:3], v[3:4], v[75:76]
	s_waitcnt vmcnt(6)
	v_fma_f64 v[57:58], v[57:58], v[129:130], -v[79:80]
	v_fma_f64 v[59:60], v[59:60], v[129:130], v[73:74]
	v_add_f64 v[53:54], v[69:70], v[53:54]
	v_add_f64 v[2:3], v[2:3], v[55:56]
	s_waitcnt vmcnt(4)
	v_fma_f64 v[55:56], v[61:62], v[65:66], -v[71:72]
	v_add_f64 v[53:54], v[53:54], v[57:58]
	v_fma_f64 v[57:58], v[63:64], v[65:66], v[67:68]
	v_add_f64 v[2:3], v[2:3], v[59:60]
	v_add_f64 v[53:54], v[53:54], v[55:56]
	;; [unrolled: 1-line block ×3, first 2 shown]
	s_waitcnt vmcnt(2)
	v_add_f64 v[53:54], v[77:78], -v[53:54]
	s_waitcnt vmcnt(0)
	v_add_f64 v[2:3], v[81:82], -v[2:3]
	buffer_store_dword v54, off, s[0:3], 0 offset:100
	buffer_store_dword v53, off, s[0:3], 0 offset:96
	;; [unrolled: 1-line block ×4, first 2 shown]
	v_cmpx_lt_u32_e32 4, v0
	s_cbranch_execz .LBB87_149
; %bb.148:
	v_mov_b32_e32 v2, s31
	s_clause 0x3
	buffer_load_dword v53, v2, s[0:3], 0 offen
	buffer_load_dword v54, v2, s[0:3], 0 offen offset:4
	buffer_load_dword v55, v2, s[0:3], 0 offen offset:8
	;; [unrolled: 1-line block ×3, first 2 shown]
	v_mov_b32_e32 v2, 0
	buffer_store_dword v2, off, s[0:3], 0 offset:80
	buffer_store_dword v2, off, s[0:3], 0 offset:84
	;; [unrolled: 1-line block ×4, first 2 shown]
	s_waitcnt vmcnt(0)
	ds_write_b128 v1, v[53:56]
.LBB87_149:
	s_or_b32 exec_lo, exec_lo, s4
	s_waitcnt lgkmcnt(0)
	s_waitcnt_vscnt null, 0x0
	s_barrier
	buffer_gl0_inv
	s_clause 0x37
	buffer_load_dword v3, off, s[0:3], 0 offset:104
	buffer_load_dword v4, off, s[0:3], 0 offset:108
	;; [unrolled: 1-line block ×56, first 2 shown]
	v_mov_b32_e32 v2, 0
	s_mov_b32 s4, exec_lo
	ds_read_b128 v[53:56], v2 offset:464
	s_clause 0x2
	buffer_load_dword v118, off, s[0:3], 0 offset:332
	buffer_load_dword v122, off, s[0:3], 0 offset:308
	;; [unrolled: 1-line block ×3, first 2 shown]
	ds_read_b128 v[57:60], v2 offset:480
	s_clause 0x4
	buffer_load_dword v126, off, s[0:3], 0 offset:348
	buffer_load_dword v127, off, s[0:3], 0 offset:360
	;; [unrolled: 1-line block ×5, first 2 shown]
	ds_read_b128 v[61:64], v2 offset:496
	s_waitcnt vmcnt(62) lgkmcnt(2)
	v_mul_f64 v[123:124], v[55:56], v[3:4]
	v_mul_f64 v[3:4], v[53:54], v[3:4]
	s_waitcnt vmcnt(60) lgkmcnt(1)
	v_mul_f64 v[130:131], v[59:60], v[65:66]
	v_mul_f64 v[65:66], v[57:58], v[65:66]
	;; [unrolled: 3-line block ×3, first 2 shown]
	v_fma_f64 v[123:124], v[53:54], v[67:68], -v[123:124]
	v_fma_f64 v[3:4], v[55:56], v[67:68], v[3:4]
	s_clause 0x2
	buffer_load_dword v128, off, s[0:3], 0 offset:364
	buffer_load_dword v68, off, s[0:3], 0 offset:340
	;; [unrolled: 1-line block ×3, first 2 shown]
	s_waitcnt vmcnt(57)
	v_fma_f64 v[134:135], v[57:58], v[71:72], -v[130:131]
	ds_read_b128 v[53:56], v2 offset:512
	v_fma_f64 v[65:66], v[59:60], v[71:72], v[65:66]
	s_clause 0x4
	buffer_load_dword v72, off, s[0:3], 0 offset:380
	buffer_load_dword v131, off, s[0:3], 0 offset:392
	;; [unrolled: 1-line block ×5, first 2 shown]
	s_waitcnt vmcnt(56)
	v_fma_f64 v[69:70], v[61:62], v[79:80], -v[69:70]
	ds_read_b128 v[57:60], v2 offset:528
	v_fma_f64 v[79:80], v[63:64], v[79:80], v[132:133]
	v_add_f64 v[123:124], v[123:124], 0
	v_add_f64 v[3:4], v[3:4], 0
	s_waitcnt lgkmcnt(1)
	v_mul_f64 v[137:138], v[53:54], v[73:74]
	v_mul_f64 v[73:74], v[55:56], v[73:74]
	v_add_f64 v[123:124], v[123:124], v[134:135]
	v_add_f64 v[3:4], v[3:4], v[65:66]
	s_clause 0x2
	buffer_load_dword v132, off, s[0:3], 0 offset:396
	buffer_load_dword v66, off, s[0:3], 0 offset:372
	;; [unrolled: 1-line block ×3, first 2 shown]
	s_waitcnt vmcnt(58) lgkmcnt(0)
	v_mul_f64 v[133:134], v[57:58], v[75:76]
	v_mul_f64 v[75:76], v[59:60], v[75:76]
	s_waitcnt vmcnt(56)
	v_fma_f64 v[73:74], v[53:54], v[81:82], -v[73:74]
	ds_read_b128 v[61:64], v2 offset:544
	v_fma_f64 v[81:82], v[55:56], v[81:82], v[137:138]
	buffer_load_dword v137, off, s[0:3], 0 offset:388
	ds_read_b128 v[53:56], v2 offset:560
	v_add_f64 v[69:70], v[123:124], v[69:70]
	v_add_f64 v[3:4], v[3:4], v[79:80]
	s_waitcnt vmcnt(53) lgkmcnt(1)
	v_mul_f64 v[79:80], v[61:62], v[83:84]
	v_mul_f64 v[83:84], v[63:64], v[83:84]
	s_waitcnt vmcnt(52)
	v_fma_f64 v[75:76], v[57:58], v[77:78], -v[75:76]
	v_add_f64 v[69:70], v[69:70], v[73:74]
	v_fma_f64 v[73:74], v[59:60], v[77:78], v[133:134]
	v_add_f64 v[3:4], v[3:4], v[81:82]
	s_waitcnt vmcnt(51) lgkmcnt(0)
	v_mul_f64 v[81:82], v[55:56], v[85:86]
	ds_read_b128 v[57:60], v2 offset:576
	s_waitcnt vmcnt(49)
	v_fma_f64 v[83:84], v[61:62], v[89:90], -v[83:84]
	v_mul_f64 v[77:78], v[53:54], v[85:86]
	v_add_f64 v[69:70], v[69:70], v[75:76]
	v_fma_f64 v[75:76], v[63:64], v[89:90], v[79:80]
	v_add_f64 v[3:4], v[3:4], v[73:74]
	s_clause 0x3
	buffer_load_dword v73, off, s[0:3], 0 offset:80
	buffer_load_dword v74, off, s[0:3], 0 offset:84
	buffer_load_dword v79, off, s[0:3], 0 offset:88
	buffer_load_dword v80, off, s[0:3], 0 offset:92
	s_waitcnt vmcnt(49) lgkmcnt(0)
	v_mul_f64 v[89:90], v[59:60], v[91:92]
	s_waitcnt vmcnt(48)
	v_fma_f64 v[81:82], v[53:54], v[87:88], -v[81:82]
	ds_read_b128 v[61:64], v2 offset:592
	v_mul_f64 v[85:86], v[57:58], v[91:92]
	v_fma_f64 v[77:78], v[55:56], v[87:88], v[77:78]
	ds_read_b128 v[53:56], v2 offset:608
	v_add_f64 v[69:70], v[69:70], v[83:84]
	v_add_f64 v[3:4], v[3:4], v[75:76]
	s_waitcnt vmcnt(47) lgkmcnt(1)
	v_mul_f64 v[83:84], v[63:64], v[93:94]
	s_waitcnt vmcnt(45)
	v_fma_f64 v[87:88], v[57:58], v[97:98], -v[89:90]
	v_mul_f64 v[75:76], v[61:62], v[93:94]
	v_add_f64 v[69:70], v[69:70], v[81:82]
	v_fma_f64 v[81:82], v[59:60], v[97:98], v[85:86]
	v_add_f64 v[3:4], v[3:4], v[77:78]
	s_waitcnt vmcnt(41) lgkmcnt(0)
	v_mul_f64 v[85:86], v[55:56], v[99:100]
	s_waitcnt vmcnt(40)
	v_fma_f64 v[83:84], v[61:62], v[95:96], -v[83:84]
	ds_read_b128 v[57:60], v2 offset:624
	v_mul_f64 v[77:78], v[53:54], v[99:100]
	v_fma_f64 v[75:76], v[63:64], v[95:96], v[75:76]
	ds_read_b128 v[61:64], v2 offset:640
	v_add_f64 v[69:70], v[69:70], v[87:88]
	v_add_f64 v[3:4], v[3:4], v[81:82]
	s_waitcnt vmcnt(39) lgkmcnt(1)
	v_mul_f64 v[87:88], v[59:60], v[101:102]
	s_waitcnt vmcnt(37)
	v_fma_f64 v[85:86], v[53:54], v[105:106], -v[85:86]
	v_mul_f64 v[81:82], v[57:58], v[101:102]
	v_fma_f64 v[77:78], v[55:56], v[105:106], v[77:78]
	ds_read_b128 v[53:56], v2 offset:656
	v_add_f64 v[69:70], v[69:70], v[83:84]
	s_waitcnt vmcnt(33) lgkmcnt(1)
	v_mul_f64 v[83:84], v[63:64], v[107:108]
	v_add_f64 v[3:4], v[3:4], v[75:76]
	s_waitcnt vmcnt(32)
	v_fma_f64 v[87:88], v[57:58], v[103:104], -v[87:88]
	v_mul_f64 v[75:76], v[61:62], v[107:108]
	v_fma_f64 v[81:82], v[59:60], v[103:104], v[81:82]
	ds_read_b128 v[57:60], v2 offset:672
	v_add_f64 v[69:70], v[69:70], v[85:86]
	s_waitcnt vmcnt(31) lgkmcnt(1)
	v_mul_f64 v[85:86], v[55:56], v[109:110]
	v_add_f64 v[3:4], v[3:4], v[77:78]
	;; [unrolled: 9-line block ×5, first 2 shown]
	s_waitcnt vmcnt(16)
	v_fma_f64 v[83:84], v[61:62], v[119:120], -v[83:84]
	v_mul_f64 v[77:78], v[53:54], v[125:126]
	v_fma_f64 v[75:76], v[63:64], v[119:120], v[75:76]
	ds_read_b128 v[61:64], v2 offset:736
	v_add_f64 v[69:70], v[69:70], v[87:88]
	v_add_f64 v[3:4], v[3:4], v[81:82]
	s_waitcnt vmcnt(15) lgkmcnt(1)
	v_mul_f64 v[87:88], v[59:60], v[127:128]
	v_mul_f64 v[81:82], v[57:58], v[127:128]
	s_waitcnt vmcnt(13)
	v_fma_f64 v[85:86], v[53:54], v[67:68], -v[85:86]
	v_fma_f64 v[67:68], v[55:56], v[67:68], v[77:78]
	ds_read_b128 v[53:56], v2 offset:752
	v_add_f64 v[69:70], v[69:70], v[83:84]
	v_add_f64 v[3:4], v[3:4], v[75:76]
	s_waitcnt vmcnt(9) lgkmcnt(1)
	v_mul_f64 v[75:76], v[61:62], v[71:72]
	v_mul_f64 v[71:72], v[63:64], v[71:72]
	s_waitcnt vmcnt(8)
	v_fma_f64 v[57:58], v[57:58], v[129:130], -v[87:88]
	v_fma_f64 v[59:60], v[59:60], v[129:130], v[81:82]
	v_add_f64 v[69:70], v[69:70], v[85:86]
	v_add_f64 v[3:4], v[3:4], v[67:68]
	s_waitcnt vmcnt(7) lgkmcnt(0)
	v_mul_f64 v[77:78], v[55:56], v[131:132]
	v_mul_f64 v[67:68], v[53:54], v[131:132]
	s_waitcnt vmcnt(5)
	v_fma_f64 v[61:62], v[61:62], v[65:66], -v[71:72]
	v_fma_f64 v[63:64], v[63:64], v[65:66], v[75:76]
	v_add_f64 v[57:58], v[69:70], v[57:58]
	v_add_f64 v[3:4], v[3:4], v[59:60]
	s_waitcnt vmcnt(4)
	v_fma_f64 v[53:54], v[53:54], v[136:137], -v[77:78]
	v_fma_f64 v[55:56], v[55:56], v[136:137], v[67:68]
	v_add_f64 v[57:58], v[57:58], v[61:62]
	v_add_f64 v[3:4], v[3:4], v[63:64]
	;; [unrolled: 1-line block ×4, first 2 shown]
	s_waitcnt vmcnt(2)
	v_add_f64 v[53:54], v[73:74], -v[53:54]
	s_waitcnt vmcnt(0)
	v_add_f64 v[3:4], v[79:80], -v[3:4]
	buffer_store_dword v54, off, s[0:3], 0 offset:84
	buffer_store_dword v53, off, s[0:3], 0 offset:80
	;; [unrolled: 1-line block ×4, first 2 shown]
	v_cmpx_lt_u32_e32 3, v0
	s_cbranch_execz .LBB87_151
; %bb.150:
	v_mov_b32_e32 v3, s33
	s_clause 0x3
	buffer_load_dword v53, v3, s[0:3], 0 offen
	buffer_load_dword v54, v3, s[0:3], 0 offen offset:4
	buffer_load_dword v55, v3, s[0:3], 0 offen offset:8
	;; [unrolled: 1-line block ×3, first 2 shown]
	buffer_store_dword v2, off, s[0:3], 0 offset:64
	buffer_store_dword v2, off, s[0:3], 0 offset:68
	;; [unrolled: 1-line block ×4, first 2 shown]
	s_waitcnt vmcnt(0)
	ds_write_b128 v1, v[53:56]
.LBB87_151:
	s_or_b32 exec_lo, exec_lo, s4
	s_waitcnt lgkmcnt(0)
	s_waitcnt_vscnt null, 0x0
	s_barrier
	buffer_gl0_inv
	s_clause 0x37
	buffer_load_dword v3, off, s[0:3], 0 offset:88
	buffer_load_dword v4, off, s[0:3], 0 offset:92
	;; [unrolled: 1-line block ×56, first 2 shown]
	ds_read_b128 v[53:56], v2 offset:448
	s_clause 0x2
	buffer_load_dword v118, off, s[0:3], 0 offset:316
	buffer_load_dword v122, off, s[0:3], 0 offset:292
	;; [unrolled: 1-line block ×3, first 2 shown]
	ds_read_b128 v[57:60], v2 offset:464
	s_clause 0x4
	buffer_load_dword v126, off, s[0:3], 0 offset:332
	buffer_load_dword v127, off, s[0:3], 0 offset:344
	buffer_load_dword v129, off, s[0:3], 0 offset:336
	buffer_load_dword v125, off, s[0:3], 0 offset:328
	buffer_load_dword v120, off, s[0:3], 0 offset:308
	ds_read_b128 v[61:64], v2 offset:480
	s_mov_b32 s4, exec_lo
	s_waitcnt vmcnt(62) lgkmcnt(2)
	v_mul_f64 v[123:124], v[55:56], v[3:4]
	v_mul_f64 v[3:4], v[53:54], v[3:4]
	s_waitcnt vmcnt(60) lgkmcnt(1)
	v_mul_f64 v[130:131], v[59:60], v[65:66]
	v_mul_f64 v[65:66], v[57:58], v[65:66]
	;; [unrolled: 3-line block ×3, first 2 shown]
	v_fma_f64 v[123:124], v[53:54], v[67:68], -v[123:124]
	v_fma_f64 v[3:4], v[55:56], v[67:68], v[3:4]
	s_clause 0x2
	buffer_load_dword v128, off, s[0:3], 0 offset:348
	buffer_load_dword v68, off, s[0:3], 0 offset:324
	;; [unrolled: 1-line block ×3, first 2 shown]
	s_waitcnt vmcnt(57)
	v_fma_f64 v[134:135], v[57:58], v[71:72], -v[130:131]
	ds_read_b128 v[53:56], v2 offset:496
	v_fma_f64 v[65:66], v[59:60], v[71:72], v[65:66]
	s_clause 0x4
	buffer_load_dword v72, off, s[0:3], 0 offset:364
	buffer_load_dword v131, off, s[0:3], 0 offset:376
	;; [unrolled: 1-line block ×5, first 2 shown]
	s_waitcnt vmcnt(56)
	v_fma_f64 v[69:70], v[61:62], v[79:80], -v[69:70]
	ds_read_b128 v[57:60], v2 offset:512
	v_fma_f64 v[79:80], v[63:64], v[79:80], v[132:133]
	v_add_f64 v[123:124], v[123:124], 0
	v_add_f64 v[3:4], v[3:4], 0
	s_waitcnt lgkmcnt(1)
	v_mul_f64 v[137:138], v[53:54], v[73:74]
	v_mul_f64 v[73:74], v[55:56], v[73:74]
	v_add_f64 v[123:124], v[123:124], v[134:135]
	v_add_f64 v[3:4], v[3:4], v[65:66]
	s_clause 0x2
	buffer_load_dword v132, off, s[0:3], 0 offset:380
	buffer_load_dword v66, off, s[0:3], 0 offset:356
	;; [unrolled: 1-line block ×3, first 2 shown]
	s_waitcnt vmcnt(58) lgkmcnt(0)
	v_mul_f64 v[133:134], v[57:58], v[75:76]
	v_mul_f64 v[75:76], v[59:60], v[75:76]
	s_waitcnt vmcnt(56)
	v_fma_f64 v[73:74], v[53:54], v[81:82], -v[73:74]
	ds_read_b128 v[61:64], v2 offset:528
	v_fma_f64 v[81:82], v[55:56], v[81:82], v[137:138]
	v_add_f64 v[69:70], v[123:124], v[69:70]
	v_add_f64 v[3:4], v[3:4], v[79:80]
	s_clause 0x2
	buffer_load_dword v80, off, s[0:3], 0 offset:396
	buffer_load_dword v79, off, s[0:3], 0 offset:392
	;; [unrolled: 1-line block ×3, first 2 shown]
	ds_read_b128 v[53:56], v2 offset:544
	s_waitcnt vmcnt(55) lgkmcnt(1)
	v_mul_f64 v[123:124], v[61:62], v[83:84]
	v_mul_f64 v[83:84], v[63:64], v[83:84]
	s_waitcnt vmcnt(54)
	v_fma_f64 v[75:76], v[57:58], v[77:78], -v[75:76]
	v_add_f64 v[69:70], v[69:70], v[73:74]
	v_fma_f64 v[73:74], v[59:60], v[77:78], v[133:134]
	v_add_f64 v[3:4], v[3:4], v[81:82]
	s_clause 0x1
	buffer_load_dword v78, off, s[0:3], 0 offset:388
	buffer_load_dword v77, off, s[0:3], 0 offset:384
	s_waitcnt vmcnt(55) lgkmcnt(0)
	v_mul_f64 v[81:82], v[53:54], v[85:86]
	v_mul_f64 v[85:86], v[55:56], v[85:86]
	s_waitcnt vmcnt(53)
	v_fma_f64 v[83:84], v[61:62], v[89:90], -v[83:84]
	ds_read_b128 v[57:60], v2 offset:560
	v_add_f64 v[69:70], v[69:70], v[75:76]
	v_fma_f64 v[75:76], v[63:64], v[89:90], v[123:124]
	v_add_f64 v[3:4], v[3:4], v[73:74]
	ds_read_b128 v[61:64], v2 offset:576
	s_waitcnt vmcnt(48)
	v_fma_f64 v[81:82], v[55:56], v[87:88], v[81:82]
	s_waitcnt lgkmcnt(1)
	v_mul_f64 v[89:90], v[59:60], v[91:92]
	v_fma_f64 v[85:86], v[53:54], v[87:88], -v[85:86]
	v_mul_f64 v[73:74], v[57:58], v[91:92]
	v_add_f64 v[69:70], v[69:70], v[83:84]
	s_waitcnt vmcnt(47) lgkmcnt(0)
	v_mul_f64 v[91:92], v[63:64], v[93:94]
	v_add_f64 v[3:4], v[3:4], v[75:76]
	s_clause 0x3
	buffer_load_dword v75, off, s[0:3], 0 offset:64
	buffer_load_dword v76, off, s[0:3], 0 offset:68
	;; [unrolled: 1-line block ×4, first 2 shown]
	ds_read_b128 v[53:56], v2 offset:592
	s_waitcnt vmcnt(49)
	v_fma_f64 v[89:90], v[57:58], v[97:98], -v[89:90]
	v_mul_f64 v[87:88], v[61:62], v[93:94]
	v_fma_f64 v[73:74], v[59:60], v[97:98], v[73:74]
	ds_read_b128 v[57:60], v2 offset:608
	v_add_f64 v[69:70], v[69:70], v[85:86]
	s_waitcnt vmcnt(44)
	v_fma_f64 v[91:92], v[61:62], v[95:96], -v[91:92]
	v_add_f64 v[3:4], v[3:4], v[81:82]
	s_waitcnt lgkmcnt(1)
	v_mul_f64 v[85:86], v[55:56], v[99:100]
	v_mul_f64 v[81:82], v[53:54], v[99:100]
	v_fma_f64 v[87:88], v[63:64], v[95:96], v[87:88]
	ds_read_b128 v[61:64], v2 offset:624
	v_add_f64 v[69:70], v[69:70], v[89:90]
	s_waitcnt vmcnt(43) lgkmcnt(1)
	v_mul_f64 v[89:90], v[59:60], v[101:102]
	v_add_f64 v[3:4], v[3:4], v[73:74]
	s_waitcnt vmcnt(41)
	v_fma_f64 v[85:86], v[53:54], v[105:106], -v[85:86]
	v_mul_f64 v[73:74], v[57:58], v[101:102]
	v_fma_f64 v[81:82], v[55:56], v[105:106], v[81:82]
	ds_read_b128 v[53:56], v2 offset:640
	v_add_f64 v[69:70], v[69:70], v[91:92]
	s_waitcnt vmcnt(37) lgkmcnt(1)
	v_mul_f64 v[91:92], v[63:64], v[107:108]
	v_add_f64 v[3:4], v[3:4], v[87:88]
	s_waitcnt vmcnt(36)
	v_fma_f64 v[89:90], v[57:58], v[103:104], -v[89:90]
	;; [unrolled: 9-line block ×6, first 2 shown]
	v_mul_f64 v[81:82], v[53:54], v[125:126]
	v_fma_f64 v[87:88], v[63:64], v[119:120], v[87:88]
	ds_read_b128 v[61:64], v2 offset:720
	v_add_f64 v[69:70], v[69:70], v[89:90]
	v_add_f64 v[3:4], v[3:4], v[73:74]
	s_waitcnt vmcnt(19) lgkmcnt(1)
	v_mul_f64 v[89:90], v[59:60], v[127:128]
	v_mul_f64 v[73:74], v[57:58], v[127:128]
	s_waitcnt vmcnt(17)
	v_fma_f64 v[85:86], v[53:54], v[67:68], -v[85:86]
	v_fma_f64 v[67:68], v[55:56], v[67:68], v[81:82]
	ds_read_b128 v[53:56], v2 offset:736
	s_waitcnt vmcnt(13) lgkmcnt(1)
	v_mul_f64 v[81:82], v[61:62], v[71:72]
	v_mul_f64 v[71:72], v[63:64], v[71:72]
	v_add_f64 v[69:70], v[69:70], v[91:92]
	v_add_f64 v[3:4], v[3:4], v[87:88]
	s_waitcnt vmcnt(12)
	v_fma_f64 v[87:88], v[57:58], v[129:130], -v[89:90]
	v_fma_f64 v[73:74], v[59:60], v[129:130], v[73:74]
	ds_read_b128 v[57:60], v2 offset:752
	v_add_f64 v[69:70], v[69:70], v[85:86]
	v_add_f64 v[3:4], v[3:4], v[67:68]
	s_waitcnt vmcnt(11) lgkmcnt(1)
	v_mul_f64 v[85:86], v[55:56], v[131:132]
	v_mul_f64 v[67:68], v[53:54], v[131:132]
	s_waitcnt vmcnt(9)
	v_fma_f64 v[61:62], v[61:62], v[65:66], -v[71:72]
	v_fma_f64 v[63:64], v[63:64], v[65:66], v[81:82]
	v_add_f64 v[69:70], v[69:70], v[87:88]
	v_add_f64 v[2:3], v[3:4], v[73:74]
	s_waitcnt vmcnt(7) lgkmcnt(0)
	v_mul_f64 v[71:72], v[59:60], v[79:80]
	s_waitcnt vmcnt(6)
	v_fma_f64 v[53:54], v[53:54], v[136:137], -v[85:86]
	v_mul_f64 v[65:66], v[57:58], v[79:80]
	v_fma_f64 v[55:56], v[55:56], v[136:137], v[67:68]
	v_add_f64 v[61:62], v[69:70], v[61:62]
	v_add_f64 v[2:3], v[2:3], v[63:64]
	s_waitcnt vmcnt(4)
	v_fma_f64 v[57:58], v[57:58], v[77:78], -v[71:72]
	v_fma_f64 v[59:60], v[59:60], v[77:78], v[65:66]
	v_add_f64 v[53:54], v[61:62], v[53:54]
	v_add_f64 v[2:3], v[2:3], v[55:56]
	;; [unrolled: 1-line block ×4, first 2 shown]
	s_waitcnt vmcnt(2)
	v_add_f64 v[53:54], v[75:76], -v[53:54]
	s_waitcnt vmcnt(0)
	v_add_f64 v[2:3], v[83:84], -v[2:3]
	buffer_store_dword v54, off, s[0:3], 0 offset:68
	buffer_store_dword v53, off, s[0:3], 0 offset:64
	;; [unrolled: 1-line block ×4, first 2 shown]
	v_cmpx_lt_u32_e32 2, v0
	s_cbranch_execz .LBB87_153
; %bb.152:
	v_mov_b32_e32 v2, s34
	s_clause 0x3
	buffer_load_dword v53, v2, s[0:3], 0 offen
	buffer_load_dword v54, v2, s[0:3], 0 offen offset:4
	buffer_load_dword v55, v2, s[0:3], 0 offen offset:8
	;; [unrolled: 1-line block ×3, first 2 shown]
	v_mov_b32_e32 v2, 0
	buffer_store_dword v2, off, s[0:3], 0 offset:48
	buffer_store_dword v2, off, s[0:3], 0 offset:52
	;; [unrolled: 1-line block ×4, first 2 shown]
	s_waitcnt vmcnt(0)
	ds_write_b128 v1, v[53:56]
.LBB87_153:
	s_or_b32 exec_lo, exec_lo, s4
	s_waitcnt lgkmcnt(0)
	s_waitcnt_vscnt null, 0x0
	s_barrier
	buffer_gl0_inv
	s_clause 0x37
	buffer_load_dword v3, off, s[0:3], 0 offset:72
	buffer_load_dword v4, off, s[0:3], 0 offset:76
	buffer_load_dword v65, off, s[0:3], 0 offset:88
	buffer_load_dword v66, off, s[0:3], 0 offset:92
	buffer_load_dword v67, off, s[0:3], 0 offset:64
	buffer_load_dword v68, off, s[0:3], 0 offset:68
	buffer_load_dword v69, off, s[0:3], 0 offset:104
	buffer_load_dword v70, off, s[0:3], 0 offset:108
	buffer_load_dword v71, off, s[0:3], 0 offset:80
	buffer_load_dword v72, off, s[0:3], 0 offset:84
	buffer_load_dword v74, off, s[0:3], 0 offset:124
	buffer_load_dword v75, off, s[0:3], 0 offset:136
	buffer_load_dword v77, off, s[0:3], 0 offset:128
	buffer_load_dword v73, off, s[0:3], 0 offset:120
	buffer_load_dword v79, off, s[0:3], 0 offset:96
	buffer_load_dword v80, off, s[0:3], 0 offset:100
	buffer_load_dword v76, off, s[0:3], 0 offset:140
	buffer_load_dword v82, off, s[0:3], 0 offset:116
	buffer_load_dword v81, off, s[0:3], 0 offset:112
	buffer_load_dword v84, off, s[0:3], 0 offset:156
	buffer_load_dword v85, off, s[0:3], 0 offset:168
	buffer_load_dword v87, off, s[0:3], 0 offset:160
	buffer_load_dword v83, off, s[0:3], 0 offset:152
	buffer_load_dword v78, off, s[0:3], 0 offset:132
	buffer_load_dword v86, off, s[0:3], 0 offset:172
	buffer_load_dword v90, off, s[0:3], 0 offset:148
	buffer_load_dword v89, off, s[0:3], 0 offset:144
	buffer_load_dword v92, off, s[0:3], 0 offset:188
	buffer_load_dword v93, off, s[0:3], 0 offset:200
	buffer_load_dword v95, off, s[0:3], 0 offset:192
	buffer_load_dword v91, off, s[0:3], 0 offset:184
	buffer_load_dword v88, off, s[0:3], 0 offset:164
	buffer_load_dword v94, off, s[0:3], 0 offset:204
	buffer_load_dword v98, off, s[0:3], 0 offset:180
	buffer_load_dword v97, off, s[0:3], 0 offset:176
	buffer_load_dword v100, off, s[0:3], 0 offset:220
	buffer_load_dword v101, off, s[0:3], 0 offset:232
	buffer_load_dword v103, off, s[0:3], 0 offset:224
	buffer_load_dword v99, off, s[0:3], 0 offset:216
	buffer_load_dword v96, off, s[0:3], 0 offset:196
	buffer_load_dword v102, off, s[0:3], 0 offset:236
	buffer_load_dword v106, off, s[0:3], 0 offset:212
	buffer_load_dword v105, off, s[0:3], 0 offset:208
	buffer_load_dword v108, off, s[0:3], 0 offset:252
	buffer_load_dword v109, off, s[0:3], 0 offset:264
	buffer_load_dword v111, off, s[0:3], 0 offset:256
	buffer_load_dword v107, off, s[0:3], 0 offset:248
	buffer_load_dword v104, off, s[0:3], 0 offset:228
	buffer_load_dword v110, off, s[0:3], 0 offset:268
	buffer_load_dword v114, off, s[0:3], 0 offset:244
	buffer_load_dword v113, off, s[0:3], 0 offset:240
	buffer_load_dword v116, off, s[0:3], 0 offset:284
	buffer_load_dword v117, off, s[0:3], 0 offset:296
	buffer_load_dword v119, off, s[0:3], 0 offset:288
	buffer_load_dword v115, off, s[0:3], 0 offset:280
	buffer_load_dword v112, off, s[0:3], 0 offset:260
	v_mov_b32_e32 v2, 0
	s_mov_b32 s4, exec_lo
	ds_read_b128 v[53:56], v2 offset:432
	s_clause 0x2
	buffer_load_dword v118, off, s[0:3], 0 offset:300
	buffer_load_dword v122, off, s[0:3], 0 offset:276
	;; [unrolled: 1-line block ×3, first 2 shown]
	ds_read_b128 v[57:60], v2 offset:448
	s_clause 0x4
	buffer_load_dword v126, off, s[0:3], 0 offset:316
	buffer_load_dword v127, off, s[0:3], 0 offset:328
	buffer_load_dword v129, off, s[0:3], 0 offset:320
	buffer_load_dword v125, off, s[0:3], 0 offset:312
	buffer_load_dword v120, off, s[0:3], 0 offset:292
	ds_read_b128 v[61:64], v2 offset:464
	s_waitcnt vmcnt(62) lgkmcnt(2)
	v_mul_f64 v[123:124], v[55:56], v[3:4]
	v_mul_f64 v[3:4], v[53:54], v[3:4]
	s_waitcnt vmcnt(60) lgkmcnt(1)
	v_mul_f64 v[130:131], v[59:60], v[65:66]
	v_mul_f64 v[65:66], v[57:58], v[65:66]
	s_waitcnt vmcnt(56) lgkmcnt(0)
	v_mul_f64 v[132:133], v[61:62], v[69:70]
	v_mul_f64 v[69:70], v[63:64], v[69:70]
	v_fma_f64 v[123:124], v[53:54], v[67:68], -v[123:124]
	v_fma_f64 v[3:4], v[55:56], v[67:68], v[3:4]
	s_clause 0x2
	buffer_load_dword v128, off, s[0:3], 0 offset:332
	buffer_load_dword v68, off, s[0:3], 0 offset:308
	;; [unrolled: 1-line block ×3, first 2 shown]
	s_waitcnt vmcnt(57)
	v_fma_f64 v[134:135], v[57:58], v[71:72], -v[130:131]
	ds_read_b128 v[53:56], v2 offset:480
	v_fma_f64 v[65:66], v[59:60], v[71:72], v[65:66]
	s_clause 0x4
	buffer_load_dword v72, off, s[0:3], 0 offset:348
	buffer_load_dword v131, off, s[0:3], 0 offset:360
	;; [unrolled: 1-line block ×5, first 2 shown]
	s_waitcnt vmcnt(56)
	v_fma_f64 v[69:70], v[61:62], v[79:80], -v[69:70]
	ds_read_b128 v[57:60], v2 offset:496
	v_fma_f64 v[79:80], v[63:64], v[79:80], v[132:133]
	v_add_f64 v[123:124], v[123:124], 0
	v_add_f64 v[3:4], v[3:4], 0
	s_waitcnt lgkmcnt(1)
	v_mul_f64 v[137:138], v[53:54], v[73:74]
	v_mul_f64 v[73:74], v[55:56], v[73:74]
	v_add_f64 v[123:124], v[123:124], v[134:135]
	v_add_f64 v[3:4], v[3:4], v[65:66]
	s_clause 0x2
	buffer_load_dword v132, off, s[0:3], 0 offset:364
	buffer_load_dword v66, off, s[0:3], 0 offset:340
	;; [unrolled: 1-line block ×3, first 2 shown]
	s_waitcnt vmcnt(58) lgkmcnt(0)
	v_mul_f64 v[133:134], v[57:58], v[75:76]
	v_mul_f64 v[75:76], v[59:60], v[75:76]
	s_waitcnt vmcnt(56)
	v_fma_f64 v[73:74], v[53:54], v[81:82], -v[73:74]
	ds_read_b128 v[61:64], v2 offset:512
	v_fma_f64 v[81:82], v[55:56], v[81:82], v[137:138]
	v_add_f64 v[69:70], v[123:124], v[69:70]
	v_add_f64 v[3:4], v[3:4], v[79:80]
	s_clause 0x4
	buffer_load_dword v80, off, s[0:3], 0 offset:380
	buffer_load_dword v123, off, s[0:3], 0 offset:392
	;; [unrolled: 1-line block ×5, first 2 shown]
	ds_read_b128 v[53:56], v2 offset:528
	s_waitcnt vmcnt(57) lgkmcnt(1)
	v_mul_f64 v[139:140], v[61:62], v[83:84]
	v_mul_f64 v[83:84], v[63:64], v[83:84]
	s_waitcnt vmcnt(56)
	v_fma_f64 v[75:76], v[57:58], v[77:78], -v[75:76]
	v_add_f64 v[69:70], v[69:70], v[73:74]
	v_fma_f64 v[73:74], v[59:60], v[77:78], v[133:134]
	v_add_f64 v[3:4], v[3:4], v[81:82]
	s_clause 0x2
	buffer_load_dword v124, off, s[0:3], 0 offset:396
	buffer_load_dword v78, off, s[0:3], 0 offset:372
	;; [unrolled: 1-line block ×3, first 2 shown]
	s_waitcnt vmcnt(58) lgkmcnt(0)
	v_mul_f64 v[81:82], v[53:54], v[85:86]
	v_mul_f64 v[85:86], v[55:56], v[85:86]
	s_waitcnt vmcnt(56)
	v_fma_f64 v[83:84], v[61:62], v[89:90], -v[83:84]
	ds_read_b128 v[57:60], v2 offset:544
	v_add_f64 v[69:70], v[69:70], v[75:76]
	v_fma_f64 v[75:76], v[63:64], v[89:90], v[139:140]
	v_add_f64 v[3:4], v[3:4], v[73:74]
	buffer_load_dword v139, off, s[0:3], 0 offset:388
	ds_read_b128 v[61:64], v2 offset:560
	s_waitcnt vmcnt(53) lgkmcnt(1)
	v_mul_f64 v[89:90], v[59:60], v[91:92]
	s_waitcnt vmcnt(52)
	v_fma_f64 v[85:86], v[53:54], v[87:88], -v[85:86]
	v_mul_f64 v[73:74], v[57:58], v[91:92]
	v_fma_f64 v[81:82], v[55:56], v[87:88], v[81:82]
	ds_read_b128 v[53:56], v2 offset:576
	v_add_f64 v[69:70], v[69:70], v[83:84]
	v_add_f64 v[3:4], v[3:4], v[75:76]
	s_waitcnt vmcnt(51) lgkmcnt(1)
	v_mul_f64 v[83:84], v[63:64], v[93:94]
	v_mul_f64 v[75:76], v[61:62], v[93:94]
	s_waitcnt vmcnt(49)
	v_fma_f64 v[87:88], v[57:58], v[97:98], -v[89:90]
	v_fma_f64 v[73:74], v[59:60], v[97:98], v[73:74]
	s_waitcnt vmcnt(45) lgkmcnt(0)
	v_mul_f64 v[91:92], v[55:56], v[99:100]
	v_mul_f64 v[89:90], v[53:54], v[99:100]
	v_add_f64 v[69:70], v[69:70], v[85:86]
	v_add_f64 v[3:4], v[3:4], v[81:82]
	s_clause 0x3
	buffer_load_dword v81, off, s[0:3], 0 offset:48
	buffer_load_dword v82, off, s[0:3], 0 offset:52
	buffer_load_dword v85, off, s[0:3], 0 offset:56
	buffer_load_dword v86, off, s[0:3], 0 offset:60
	s_waitcnt vmcnt(48)
	v_fma_f64 v[83:84], v[61:62], v[95:96], -v[83:84]
	ds_read_b128 v[57:60], v2 offset:592
	v_fma_f64 v[75:76], v[63:64], v[95:96], v[75:76]
	ds_read_b128 v[61:64], v2 offset:608
	s_waitcnt vmcnt(45)
	v_fma_f64 v[91:92], v[53:54], v[105:106], -v[91:92]
	v_add_f64 v[69:70], v[69:70], v[87:88]
	v_add_f64 v[3:4], v[3:4], v[73:74]
	s_waitcnt lgkmcnt(1)
	v_mul_f64 v[87:88], v[59:60], v[101:102]
	v_mul_f64 v[73:74], v[57:58], v[101:102]
	v_add_f64 v[69:70], v[69:70], v[83:84]
	v_fma_f64 v[83:84], v[55:56], v[105:106], v[89:90]
	v_add_f64 v[3:4], v[3:4], v[75:76]
	s_waitcnt vmcnt(41) lgkmcnt(0)
	v_mul_f64 v[89:90], v[63:64], v[107:108]
	s_waitcnt vmcnt(40)
	v_fma_f64 v[87:88], v[57:58], v[103:104], -v[87:88]
	ds_read_b128 v[53:56], v2 offset:624
	v_mul_f64 v[75:76], v[61:62], v[107:108]
	v_fma_f64 v[73:74], v[59:60], v[103:104], v[73:74]
	ds_read_b128 v[57:60], v2 offset:640
	v_add_f64 v[69:70], v[69:70], v[91:92]
	v_add_f64 v[3:4], v[3:4], v[83:84]
	s_waitcnt vmcnt(39) lgkmcnt(1)
	v_mul_f64 v[91:92], v[55:56], v[109:110]
	s_waitcnt vmcnt(37)
	v_fma_f64 v[89:90], v[61:62], v[113:114], -v[89:90]
	v_mul_f64 v[83:84], v[53:54], v[109:110]
	v_fma_f64 v[75:76], v[63:64], v[113:114], v[75:76]
	ds_read_b128 v[61:64], v2 offset:656
	v_add_f64 v[69:70], v[69:70], v[87:88]
	s_waitcnt vmcnt(33) lgkmcnt(1)
	v_mul_f64 v[87:88], v[59:60], v[115:116]
	v_add_f64 v[3:4], v[3:4], v[73:74]
	s_waitcnt vmcnt(32)
	v_fma_f64 v[91:92], v[53:54], v[111:112], -v[91:92]
	v_mul_f64 v[73:74], v[57:58], v[115:116]
	v_fma_f64 v[83:84], v[55:56], v[111:112], v[83:84]
	ds_read_b128 v[53:56], v2 offset:672
	v_add_f64 v[69:70], v[69:70], v[89:90]
	s_waitcnt vmcnt(31) lgkmcnt(1)
	v_mul_f64 v[89:90], v[63:64], v[117:118]
	v_add_f64 v[3:4], v[3:4], v[75:76]
	s_waitcnt vmcnt(29)
	v_fma_f64 v[87:88], v[57:58], v[121:122], -v[87:88]
	v_mul_f64 v[75:76], v[61:62], v[117:118]
	v_fma_f64 v[73:74], v[59:60], v[121:122], v[73:74]
	ds_read_b128 v[57:60], v2 offset:688
	v_add_f64 v[69:70], v[69:70], v[91:92]
	s_waitcnt vmcnt(25) lgkmcnt(1)
	v_mul_f64 v[91:92], v[55:56], v[125:126]
	v_add_f64 v[3:4], v[3:4], v[83:84]
	s_waitcnt vmcnt(24)
	v_fma_f64 v[89:90], v[61:62], v[119:120], -v[89:90]
	v_mul_f64 v[83:84], v[53:54], v[125:126]
	v_fma_f64 v[75:76], v[63:64], v[119:120], v[75:76]
	ds_read_b128 v[61:64], v2 offset:704
	v_add_f64 v[69:70], v[69:70], v[87:88]
	v_add_f64 v[3:4], v[3:4], v[73:74]
	s_waitcnt vmcnt(23) lgkmcnt(1)
	v_mul_f64 v[87:88], v[59:60], v[127:128]
	v_mul_f64 v[73:74], v[57:58], v[127:128]
	s_waitcnt vmcnt(21)
	v_fma_f64 v[91:92], v[53:54], v[67:68], -v[91:92]
	v_fma_f64 v[67:68], v[55:56], v[67:68], v[83:84]
	ds_read_b128 v[53:56], v2 offset:720
	v_add_f64 v[69:70], v[69:70], v[89:90]
	v_add_f64 v[3:4], v[3:4], v[75:76]
	s_waitcnt vmcnt(17) lgkmcnt(1)
	v_mul_f64 v[75:76], v[61:62], v[71:72]
	v_mul_f64 v[71:72], v[63:64], v[71:72]
	s_waitcnt vmcnt(16)
	v_fma_f64 v[83:84], v[57:58], v[129:130], -v[87:88]
	;; [unrolled: 9-line block ×3, first 2 shown]
	v_fma_f64 v[65:66], v[63:64], v[65:66], v[75:76]
	ds_read_b128 v[61:64], v2 offset:752
	v_add_f64 v[69:70], v[69:70], v[83:84]
	v_add_f64 v[3:4], v[3:4], v[73:74]
	s_waitcnt vmcnt(9) lgkmcnt(1)
	v_mul_f64 v[75:76], v[59:60], v[79:80]
	s_waitcnt vmcnt(8)
	v_fma_f64 v[53:54], v[53:54], v[136:137], -v[87:88]
	v_mul_f64 v[73:74], v[57:58], v[79:80]
	v_fma_f64 v[55:56], v[55:56], v[136:137], v[67:68]
	v_add_f64 v[69:70], v[69:70], v[71:72]
	v_add_f64 v[3:4], v[3:4], v[65:66]
	s_waitcnt vmcnt(7) lgkmcnt(0)
	v_mul_f64 v[67:68], v[63:64], v[123:124]
	v_mul_f64 v[65:66], v[61:62], v[123:124]
	s_waitcnt vmcnt(5)
	v_fma_f64 v[57:58], v[57:58], v[77:78], -v[75:76]
	v_fma_f64 v[59:60], v[59:60], v[77:78], v[73:74]
	v_add_f64 v[53:54], v[69:70], v[53:54]
	v_add_f64 v[3:4], v[3:4], v[55:56]
	s_waitcnt vmcnt(4)
	v_fma_f64 v[55:56], v[61:62], v[138:139], -v[67:68]
	v_add_f64 v[53:54], v[53:54], v[57:58]
	v_fma_f64 v[57:58], v[63:64], v[138:139], v[65:66]
	v_add_f64 v[3:4], v[3:4], v[59:60]
	v_add_f64 v[53:54], v[53:54], v[55:56]
	;; [unrolled: 1-line block ×3, first 2 shown]
	s_waitcnt vmcnt(2)
	v_add_f64 v[53:54], v[81:82], -v[53:54]
	s_waitcnt vmcnt(0)
	v_add_f64 v[3:4], v[85:86], -v[3:4]
	buffer_store_dword v54, off, s[0:3], 0 offset:52
	buffer_store_dword v53, off, s[0:3], 0 offset:48
	buffer_store_dword v4, off, s[0:3], 0 offset:60
	buffer_store_dword v3, off, s[0:3], 0 offset:56
	v_cmpx_lt_u32_e32 1, v0
	s_cbranch_execz .LBB87_155
; %bb.154:
	v_mov_b32_e32 v3, s35
	s_clause 0x3
	buffer_load_dword v53, v3, s[0:3], 0 offen
	buffer_load_dword v54, v3, s[0:3], 0 offen offset:4
	buffer_load_dword v55, v3, s[0:3], 0 offen offset:8
	;; [unrolled: 1-line block ×3, first 2 shown]
	buffer_store_dword v2, off, s[0:3], 0 offset:32
	buffer_store_dword v2, off, s[0:3], 0 offset:36
	;; [unrolled: 1-line block ×4, first 2 shown]
	s_waitcnt vmcnt(0)
	ds_write_b128 v1, v[53:56]
.LBB87_155:
	s_or_b32 exec_lo, exec_lo, s4
	s_waitcnt lgkmcnt(0)
	s_waitcnt_vscnt null, 0x0
	s_barrier
	buffer_gl0_inv
	s_clause 0x37
	buffer_load_dword v3, off, s[0:3], 0 offset:56
	buffer_load_dword v4, off, s[0:3], 0 offset:60
	;; [unrolled: 1-line block ×56, first 2 shown]
	ds_read_b128 v[53:56], v2 offset:416
	s_clause 0x2
	buffer_load_dword v118, off, s[0:3], 0 offset:284
	buffer_load_dword v122, off, s[0:3], 0 offset:260
	;; [unrolled: 1-line block ×3, first 2 shown]
	ds_read_b128 v[57:60], v2 offset:432
	s_clause 0x4
	buffer_load_dword v126, off, s[0:3], 0 offset:300
	buffer_load_dword v127, off, s[0:3], 0 offset:312
	;; [unrolled: 1-line block ×5, first 2 shown]
	ds_read_b128 v[61:64], v2 offset:448
	s_mov_b32 s4, exec_lo
	s_waitcnt vmcnt(62) lgkmcnt(2)
	v_mul_f64 v[123:124], v[55:56], v[3:4]
	v_mul_f64 v[3:4], v[53:54], v[3:4]
	s_waitcnt vmcnt(60) lgkmcnt(1)
	v_mul_f64 v[130:131], v[59:60], v[65:66]
	v_mul_f64 v[65:66], v[57:58], v[65:66]
	;; [unrolled: 3-line block ×3, first 2 shown]
	v_fma_f64 v[123:124], v[53:54], v[67:68], -v[123:124]
	v_fma_f64 v[3:4], v[55:56], v[67:68], v[3:4]
	s_clause 0x2
	buffer_load_dword v128, off, s[0:3], 0 offset:316
	buffer_load_dword v68, off, s[0:3], 0 offset:292
	;; [unrolled: 1-line block ×3, first 2 shown]
	s_waitcnt vmcnt(57)
	v_fma_f64 v[134:135], v[57:58], v[71:72], -v[130:131]
	ds_read_b128 v[53:56], v2 offset:464
	v_fma_f64 v[65:66], v[59:60], v[71:72], v[65:66]
	s_clause 0x4
	buffer_load_dword v72, off, s[0:3], 0 offset:332
	buffer_load_dword v131, off, s[0:3], 0 offset:344
	buffer_load_dword v136, off, s[0:3], 0 offset:336
	buffer_load_dword v71, off, s[0:3], 0 offset:328
	buffer_load_dword v130, off, s[0:3], 0 offset:308
	s_waitcnt vmcnt(56)
	v_fma_f64 v[69:70], v[61:62], v[79:80], -v[69:70]
	ds_read_b128 v[57:60], v2 offset:480
	v_fma_f64 v[79:80], v[63:64], v[79:80], v[132:133]
	v_add_f64 v[123:124], v[123:124], 0
	v_add_f64 v[3:4], v[3:4], 0
	s_waitcnt lgkmcnt(1)
	v_mul_f64 v[137:138], v[53:54], v[73:74]
	v_mul_f64 v[73:74], v[55:56], v[73:74]
	v_add_f64 v[123:124], v[123:124], v[134:135]
	v_add_f64 v[3:4], v[3:4], v[65:66]
	s_clause 0x2
	buffer_load_dword v132, off, s[0:3], 0 offset:348
	buffer_load_dword v66, off, s[0:3], 0 offset:324
	;; [unrolled: 1-line block ×3, first 2 shown]
	s_waitcnt vmcnt(58) lgkmcnt(0)
	v_mul_f64 v[133:134], v[57:58], v[75:76]
	v_mul_f64 v[75:76], v[59:60], v[75:76]
	s_waitcnt vmcnt(56)
	v_fma_f64 v[73:74], v[53:54], v[81:82], -v[73:74]
	ds_read_b128 v[61:64], v2 offset:496
	v_fma_f64 v[81:82], v[55:56], v[81:82], v[137:138]
	v_add_f64 v[69:70], v[123:124], v[69:70]
	v_add_f64 v[3:4], v[3:4], v[79:80]
	s_clause 0x4
	buffer_load_dword v80, off, s[0:3], 0 offset:364
	buffer_load_dword v123, off, s[0:3], 0 offset:376
	;; [unrolled: 1-line block ×5, first 2 shown]
	ds_read_b128 v[53:56], v2 offset:512
	s_waitcnt vmcnt(57) lgkmcnt(1)
	v_mul_f64 v[139:140], v[61:62], v[83:84]
	v_mul_f64 v[83:84], v[63:64], v[83:84]
	s_waitcnt vmcnt(56)
	v_fma_f64 v[75:76], v[57:58], v[77:78], -v[75:76]
	v_add_f64 v[69:70], v[69:70], v[73:74]
	v_fma_f64 v[73:74], v[59:60], v[77:78], v[133:134]
	v_add_f64 v[3:4], v[3:4], v[81:82]
	s_clause 0x2
	buffer_load_dword v124, off, s[0:3], 0 offset:380
	buffer_load_dword v78, off, s[0:3], 0 offset:356
	;; [unrolled: 1-line block ×3, first 2 shown]
	s_waitcnt vmcnt(58) lgkmcnt(0)
	v_mul_f64 v[81:82], v[53:54], v[85:86]
	v_mul_f64 v[85:86], v[55:56], v[85:86]
	s_waitcnt vmcnt(56)
	v_fma_f64 v[83:84], v[61:62], v[89:90], -v[83:84]
	ds_read_b128 v[57:60], v2 offset:528
	v_add_f64 v[69:70], v[69:70], v[75:76]
	v_fma_f64 v[75:76], v[63:64], v[89:90], v[139:140]
	v_add_f64 v[3:4], v[3:4], v[73:74]
	s_clause 0x2
	buffer_load_dword v74, off, s[0:3], 0 offset:396
	buffer_load_dword v73, off, s[0:3], 0 offset:392
	;; [unrolled: 1-line block ×3, first 2 shown]
	ds_read_b128 v[61:64], v2 offset:544
	s_waitcnt vmcnt(55) lgkmcnt(1)
	v_mul_f64 v[89:90], v[57:58], v[91:92]
	v_mul_f64 v[91:92], v[59:60], v[91:92]
	s_waitcnt vmcnt(54)
	v_fma_f64 v[85:86], v[53:54], v[87:88], -v[85:86]
	v_fma_f64 v[81:82], v[55:56], v[87:88], v[81:82]
	v_add_f64 v[69:70], v[69:70], v[83:84]
	v_add_f64 v[3:4], v[3:4], v[75:76]
	s_clause 0x1
	buffer_load_dword v76, off, s[0:3], 0 offset:388
	buffer_load_dword v75, off, s[0:3], 0 offset:384
	s_waitcnt vmcnt(55) lgkmcnt(0)
	v_mul_f64 v[87:88], v[63:64], v[93:94]
	ds_read_b128 v[53:56], v2 offset:560
	s_waitcnt vmcnt(53)
	v_fma_f64 v[91:92], v[57:58], v[97:98], -v[91:92]
	v_mul_f64 v[83:84], v[61:62], v[93:94]
	v_add_f64 v[69:70], v[69:70], v[85:86]
	v_fma_f64 v[85:86], v[59:60], v[97:98], v[89:90]
	v_add_f64 v[3:4], v[3:4], v[81:82]
	ds_read_b128 v[57:60], v2 offset:576
	s_waitcnt vmcnt(49) lgkmcnt(1)
	v_mul_f64 v[89:90], v[55:56], v[99:100]
	s_waitcnt vmcnt(48)
	v_fma_f64 v[87:88], v[61:62], v[95:96], -v[87:88]
	v_mul_f64 v[81:82], v[53:54], v[99:100]
	v_fma_f64 v[83:84], v[63:64], v[95:96], v[83:84]
	v_add_f64 v[69:70], v[69:70], v[91:92]
	s_waitcnt vmcnt(47) lgkmcnt(0)
	v_mul_f64 v[95:96], v[59:60], v[101:102]
	v_add_f64 v[3:4], v[3:4], v[85:86]
	s_clause 0x3
	buffer_load_dword v85, off, s[0:3], 0 offset:32
	buffer_load_dword v86, off, s[0:3], 0 offset:36
	;; [unrolled: 1-line block ×4, first 2 shown]
	s_waitcnt vmcnt(49)
	v_fma_f64 v[89:90], v[53:54], v[105:106], -v[89:90]
	ds_read_b128 v[61:64], v2 offset:592
	v_mul_f64 v[93:94], v[57:58], v[101:102]
	v_fma_f64 v[81:82], v[55:56], v[105:106], v[81:82]
	ds_read_b128 v[53:56], v2 offset:608
	v_add_f64 v[69:70], v[69:70], v[87:88]
	s_waitcnt vmcnt(44)
	v_fma_f64 v[95:96], v[57:58], v[103:104], -v[95:96]
	v_add_f64 v[3:4], v[3:4], v[83:84]
	s_waitcnt lgkmcnt(1)
	v_mul_f64 v[87:88], v[63:64], v[107:108]
	v_mul_f64 v[83:84], v[61:62], v[107:108]
	v_add_f64 v[69:70], v[69:70], v[89:90]
	v_fma_f64 v[89:90], v[59:60], v[103:104], v[93:94]
	v_add_f64 v[3:4], v[3:4], v[81:82]
	s_waitcnt vmcnt(43) lgkmcnt(0)
	v_mul_f64 v[93:94], v[55:56], v[109:110]
	s_waitcnt vmcnt(41)
	v_fma_f64 v[87:88], v[61:62], v[113:114], -v[87:88]
	ds_read_b128 v[57:60], v2 offset:624
	v_mul_f64 v[81:82], v[53:54], v[109:110]
	v_fma_f64 v[83:84], v[63:64], v[113:114], v[83:84]
	ds_read_b128 v[61:64], v2 offset:640
	v_add_f64 v[69:70], v[69:70], v[95:96]
	v_add_f64 v[3:4], v[3:4], v[89:90]
	s_waitcnt vmcnt(37) lgkmcnt(1)
	v_mul_f64 v[95:96], v[59:60], v[115:116]
	s_waitcnt vmcnt(36)
	v_fma_f64 v[93:94], v[53:54], v[111:112], -v[93:94]
	v_mul_f64 v[89:90], v[57:58], v[115:116]
	v_fma_f64 v[81:82], v[55:56], v[111:112], v[81:82]
	ds_read_b128 v[53:56], v2 offset:656
	v_add_f64 v[69:70], v[69:70], v[87:88]
	s_waitcnt vmcnt(35) lgkmcnt(1)
	v_mul_f64 v[87:88], v[63:64], v[117:118]
	v_add_f64 v[3:4], v[3:4], v[83:84]
	s_waitcnt vmcnt(33)
	v_fma_f64 v[95:96], v[57:58], v[121:122], -v[95:96]
	v_mul_f64 v[83:84], v[61:62], v[117:118]
	v_fma_f64 v[89:90], v[59:60], v[121:122], v[89:90]
	ds_read_b128 v[57:60], v2 offset:672
	v_add_f64 v[69:70], v[69:70], v[93:94]
	s_waitcnt vmcnt(29) lgkmcnt(1)
	v_mul_f64 v[93:94], v[55:56], v[125:126]
	v_add_f64 v[3:4], v[3:4], v[81:82]
	s_waitcnt vmcnt(28)
	v_fma_f64 v[87:88], v[61:62], v[119:120], -v[87:88]
	v_mul_f64 v[81:82], v[53:54], v[125:126]
	v_fma_f64 v[83:84], v[63:64], v[119:120], v[83:84]
	ds_read_b128 v[61:64], v2 offset:688
	v_add_f64 v[69:70], v[69:70], v[95:96]
	v_add_f64 v[3:4], v[3:4], v[89:90]
	s_waitcnt vmcnt(27) lgkmcnt(1)
	v_mul_f64 v[95:96], v[59:60], v[127:128]
	v_mul_f64 v[89:90], v[57:58], v[127:128]
	s_waitcnt vmcnt(25)
	v_fma_f64 v[93:94], v[53:54], v[67:68], -v[93:94]
	v_fma_f64 v[67:68], v[55:56], v[67:68], v[81:82]
	ds_read_b128 v[53:56], v2 offset:704
	s_waitcnt vmcnt(21) lgkmcnt(1)
	v_mul_f64 v[81:82], v[61:62], v[71:72]
	v_mul_f64 v[71:72], v[63:64], v[71:72]
	v_add_f64 v[69:70], v[69:70], v[87:88]
	v_add_f64 v[3:4], v[3:4], v[83:84]
	s_waitcnt vmcnt(20)
	v_fma_f64 v[83:84], v[57:58], v[129:130], -v[95:96]
	v_fma_f64 v[87:88], v[59:60], v[129:130], v[89:90]
	ds_read_b128 v[57:60], v2 offset:720
	v_add_f64 v[69:70], v[69:70], v[93:94]
	v_add_f64 v[3:4], v[3:4], v[67:68]
	s_waitcnt vmcnt(19) lgkmcnt(1)
	v_mul_f64 v[89:90], v[55:56], v[131:132]
	v_mul_f64 v[67:68], v[53:54], v[131:132]
	s_waitcnt vmcnt(17)
	v_fma_f64 v[71:72], v[61:62], v[65:66], -v[71:72]
	v_fma_f64 v[65:66], v[63:64], v[65:66], v[81:82]
	ds_read_b128 v[61:64], v2 offset:736
	v_add_f64 v[69:70], v[69:70], v[83:84]
	v_add_f64 v[3:4], v[3:4], v[87:88]
	s_waitcnt vmcnt(13) lgkmcnt(1)
	v_mul_f64 v[81:82], v[57:58], v[79:80]
	v_mul_f64 v[79:80], v[59:60], v[79:80]
	;; [unrolled: 9-line block ×3, first 2 shown]
	s_waitcnt vmcnt(9)
	v_fma_f64 v[57:58], v[57:58], v[77:78], -v[79:80]
	v_fma_f64 v[59:60], v[59:60], v[77:78], v[81:82]
	v_add_f64 v[69:70], v[69:70], v[83:84]
	v_add_f64 v[2:3], v[3:4], v[67:68]
	s_waitcnt vmcnt(7) lgkmcnt(0)
	v_mul_f64 v[67:68], v[53:54], v[73:74]
	v_mul_f64 v[73:74], v[55:56], v[73:74]
	s_waitcnt vmcnt(6)
	v_fma_f64 v[61:62], v[61:62], v[138:139], -v[71:72]
	v_fma_f64 v[63:64], v[63:64], v[138:139], v[65:66]
	v_add_f64 v[57:58], v[69:70], v[57:58]
	v_add_f64 v[2:3], v[2:3], v[59:60]
	s_waitcnt vmcnt(4)
	v_fma_f64 v[53:54], v[53:54], v[75:76], -v[73:74]
	v_fma_f64 v[55:56], v[55:56], v[75:76], v[67:68]
	v_add_f64 v[57:58], v[57:58], v[61:62]
	v_add_f64 v[2:3], v[2:3], v[63:64]
	;; [unrolled: 1-line block ×4, first 2 shown]
	s_waitcnt vmcnt(2)
	v_add_f64 v[53:54], v[85:86], -v[53:54]
	s_waitcnt vmcnt(0)
	v_add_f64 v[2:3], v[91:92], -v[2:3]
	buffer_store_dword v54, off, s[0:3], 0 offset:36
	buffer_store_dword v53, off, s[0:3], 0 offset:32
	;; [unrolled: 1-line block ×4, first 2 shown]
	v_cmpx_ne_u32_e32 0, v0
	s_cbranch_execz .LBB87_157
; %bb.156:
	s_clause 0x3
	buffer_load_dword v53, off, s[0:3], 0 offset:16
	buffer_load_dword v54, off, s[0:3], 0 offset:20
	;; [unrolled: 1-line block ×4, first 2 shown]
	v_mov_b32_e32 v0, 0
	buffer_store_dword v0, off, s[0:3], 0 offset:16
	buffer_store_dword v0, off, s[0:3], 0 offset:20
	;; [unrolled: 1-line block ×4, first 2 shown]
	s_waitcnt vmcnt(0)
	ds_write_b128 v1, v[53:56]
.LBB87_157:
	s_or_b32 exec_lo, exec_lo, s4
	s_waitcnt lgkmcnt(0)
	s_waitcnt_vscnt null, 0x0
	s_barrier
	buffer_gl0_inv
	s_clause 0x37
	buffer_load_dword v57, off, s[0:3], 0 offset:40
	buffer_load_dword v58, off, s[0:3], 0 offset:44
	;; [unrolled: 1-line block ×56, first 2 shown]
	v_mov_b32_e32 v0, 0
	s_and_b32 vcc_lo, exec_lo, s36
	ds_read_b128 v[1:4], v0 offset:400
	s_clause 0x2
	buffer_load_dword v114, off, s[0:3], 0 offset:268
	buffer_load_dword v118, off, s[0:3], 0 offset:244
	;; [unrolled: 1-line block ×3, first 2 shown]
	ds_read_b128 v[53:56], v0 offset:416
	s_clause 0x4
	buffer_load_dword v124, off, s[0:3], 0 offset:284
	buffer_load_dword v125, off, s[0:3], 0 offset:296
	;; [unrolled: 1-line block ×5, first 2 shown]
	s_waitcnt vmcnt(62) lgkmcnt(1)
	v_mul_f64 v[119:120], v[3:4], v[57:58]
	v_mul_f64 v[121:122], v[1:2], v[57:58]
	s_waitcnt vmcnt(60) lgkmcnt(0)
	v_mul_f64 v[128:129], v[55:56], v[61:62]
	ds_read_b128 v[57:60], v0 offset:432
	v_mul_f64 v[61:62], v[53:54], v[61:62]
	s_waitcnt vmcnt(58)
	v_fma_f64 v[119:120], v[1:2], v[63:64], -v[119:120]
	v_fma_f64 v[63:64], v[3:4], v[63:64], v[121:122]
	s_clause 0x2
	buffer_load_dword v126, off, s[0:3], 0 offset:300
	buffer_load_dword v122, off, s[0:3], 0 offset:276
	;; [unrolled: 1-line block ×3, first 2 shown]
	s_waitcnt vmcnt(59) lgkmcnt(0)
	v_mul_f64 v[130:131], v[57:58], v[65:66]
	v_mul_f64 v[65:66], v[59:60], v[65:66]
	s_waitcnt vmcnt(57)
	v_fma_f64 v[132:133], v[53:54], v[67:68], -v[128:129]
	ds_read_b128 v[1:4], v0 offset:448
	v_fma_f64 v[61:62], v[55:56], v[67:68], v[61:62]
	s_clause 0x4
	buffer_load_dword v68, off, s[0:3], 0 offset:316
	buffer_load_dword v129, off, s[0:3], 0 offset:328
	;; [unrolled: 1-line block ×5, first 2 shown]
	ds_read_b128 v[53:56], v0 offset:464
	v_add_f64 v[119:120], v[119:120], 0
	v_add_f64 v[63:64], v[63:64], 0
	s_waitcnt vmcnt(58) lgkmcnt(1)
	v_mul_f64 v[135:136], v[1:2], v[69:70]
	v_mul_f64 v[69:70], v[3:4], v[69:70]
	s_waitcnt vmcnt(56)
	v_fma_f64 v[65:66], v[57:58], v[75:76], -v[65:66]
	v_fma_f64 v[75:76], v[59:60], v[75:76], v[130:131]
	v_add_f64 v[119:120], v[119:120], v[132:133]
	v_add_f64 v[61:62], v[63:64], v[61:62]
	s_clause 0x2
	buffer_load_dword v130, off, s[0:3], 0 offset:332
	buffer_load_dword v64, off, s[0:3], 0 offset:308
	;; [unrolled: 1-line block ×3, first 2 shown]
	s_waitcnt vmcnt(58) lgkmcnt(0)
	v_mul_f64 v[131:132], v[53:54], v[71:72]
	v_mul_f64 v[71:72], v[55:56], v[71:72]
	s_waitcnt vmcnt(56)
	v_fma_f64 v[69:70], v[1:2], v[77:78], -v[69:70]
	ds_read_b128 v[57:60], v0 offset:480
	v_fma_f64 v[77:78], v[3:4], v[77:78], v[135:136]
	v_add_f64 v[65:66], v[119:120], v[65:66]
	v_add_f64 v[61:62], v[61:62], v[75:76]
	s_clause 0x4
	buffer_load_dword v76, off, s[0:3], 0 offset:348
	buffer_load_dword v119, off, s[0:3], 0 offset:360
	;; [unrolled: 1-line block ×5, first 2 shown]
	ds_read_b128 v[1:4], v0 offset:496
	s_waitcnt vmcnt(57) lgkmcnt(1)
	v_mul_f64 v[137:138], v[57:58], v[79:80]
	v_mul_f64 v[79:80], v[59:60], v[79:80]
	s_waitcnt vmcnt(56)
	v_fma_f64 v[71:72], v[53:54], v[73:74], -v[71:72]
	v_add_f64 v[65:66], v[65:66], v[69:70]
	v_fma_f64 v[69:70], v[55:56], v[73:74], v[131:132]
	v_add_f64 v[61:62], v[61:62], v[77:78]
	s_clause 0x2
	buffer_load_dword v120, off, s[0:3], 0 offset:364
	buffer_load_dword v74, off, s[0:3], 0 offset:340
	;; [unrolled: 1-line block ×3, first 2 shown]
	s_waitcnt vmcnt(58) lgkmcnt(0)
	v_mul_f64 v[77:78], v[1:2], v[81:82]
	v_mul_f64 v[81:82], v[3:4], v[81:82]
	s_waitcnt vmcnt(56)
	v_fma_f64 v[79:80], v[57:58], v[85:86], -v[79:80]
	ds_read_b128 v[53:56], v0 offset:512
	v_add_f64 v[65:66], v[65:66], v[71:72]
	v_fma_f64 v[71:72], v[59:60], v[85:86], v[137:138]
	v_add_f64 v[61:62], v[61:62], v[69:70]
	s_clause 0x4
	buffer_load_dword v70, off, s[0:3], 0 offset:380
	buffer_load_dword v85, off, s[0:3], 0 offset:392
	;; [unrolled: 1-line block ×5, first 2 shown]
	ds_read_b128 v[57:60], v0 offset:528
	s_waitcnt vmcnt(57) lgkmcnt(1)
	v_mul_f64 v[132:133], v[53:54], v[87:88]
	v_mul_f64 v[87:88], v[55:56], v[87:88]
	s_waitcnt vmcnt(56)
	v_fma_f64 v[81:82], v[1:2], v[83:84], -v[81:82]
	v_fma_f64 v[77:78], v[3:4], v[83:84], v[77:78]
	v_add_f64 v[65:66], v[65:66], v[79:80]
	v_add_f64 v[61:62], v[61:62], v[71:72]
	s_clause 0x2
	buffer_load_dword v86, off, s[0:3], 0 offset:396
	buffer_load_dword v72, off, s[0:3], 0 offset:372
	;; [unrolled: 1-line block ×3, first 2 shown]
	s_waitcnt vmcnt(58) lgkmcnt(0)
	v_mul_f64 v[83:84], v[59:60], v[89:90]
	ds_read_b128 v[1:4], v0 offset:544
	s_waitcnt vmcnt(56)
	v_fma_f64 v[87:88], v[53:54], v[93:94], -v[87:88]
	v_mul_f64 v[79:80], v[57:58], v[89:90]
	v_add_f64 v[65:66], v[65:66], v[81:82]
	v_fma_f64 v[81:82], v[55:56], v[93:94], v[132:133]
	v_add_f64 v[61:62], v[61:62], v[77:78]
	buffer_load_dword v132, off, s[0:3], 0 offset:388
	ds_read_b128 v[53:56], v0 offset:560
	s_waitcnt vmcnt(53) lgkmcnt(1)
	v_mul_f64 v[89:90], v[3:4], v[95:96]
	s_waitcnt vmcnt(52)
	v_fma_f64 v[83:84], v[57:58], v[91:92], -v[83:84]
	v_mul_f64 v[77:78], v[1:2], v[95:96]
	v_fma_f64 v[79:80], v[59:60], v[91:92], v[79:80]
	ds_read_b128 v[57:60], v0 offset:576
	v_add_f64 v[65:66], v[65:66], v[87:88]
	v_add_f64 v[61:62], v[61:62], v[81:82]
	s_waitcnt vmcnt(51) lgkmcnt(1)
	v_mul_f64 v[87:88], v[55:56], v[97:98]
	v_mul_f64 v[81:82], v[53:54], v[97:98]
	s_waitcnt vmcnt(49)
	v_fma_f64 v[89:90], v[1:2], v[101:102], -v[89:90]
	v_fma_f64 v[77:78], v[3:4], v[101:102], v[77:78]
	s_waitcnt vmcnt(45) lgkmcnt(0)
	v_mul_f64 v[93:94], v[59:60], v[103:104]
	v_mul_f64 v[91:92], v[57:58], v[103:104]
	v_add_f64 v[65:66], v[65:66], v[83:84]
	v_add_f64 v[61:62], v[61:62], v[79:80]
	s_clause 0x3
	buffer_load_dword v79, off, s[0:3], 0 offset:16
	buffer_load_dword v80, off, s[0:3], 0 offset:20
	;; [unrolled: 1-line block ×4, first 2 shown]
	s_waitcnt vmcnt(48)
	v_fma_f64 v[87:88], v[53:54], v[99:100], -v[87:88]
	ds_read_b128 v[1:4], v0 offset:592
	v_fma_f64 v[81:82], v[55:56], v[99:100], v[81:82]
	ds_read_b128 v[53:56], v0 offset:608
	s_waitcnt vmcnt(45)
	v_fma_f64 v[93:94], v[57:58], v[109:110], -v[93:94]
	v_add_f64 v[65:66], v[65:66], v[89:90]
	v_add_f64 v[61:62], v[61:62], v[77:78]
	s_waitcnt lgkmcnt(1)
	v_mul_f64 v[89:90], v[3:4], v[105:106]
	v_mul_f64 v[77:78], v[1:2], v[105:106]
	v_add_f64 v[65:66], v[65:66], v[87:88]
	v_fma_f64 v[87:88], v[59:60], v[109:110], v[91:92]
	v_add_f64 v[61:62], v[61:62], v[81:82]
	s_waitcnt vmcnt(41) lgkmcnt(0)
	v_mul_f64 v[91:92], v[55:56], v[111:112]
	s_waitcnt vmcnt(40)
	v_fma_f64 v[89:90], v[1:2], v[107:108], -v[89:90]
	ds_read_b128 v[57:60], v0 offset:624
	v_mul_f64 v[81:82], v[53:54], v[111:112]
	v_fma_f64 v[77:78], v[3:4], v[107:108], v[77:78]
	ds_read_b128 v[1:4], v0 offset:640
	v_add_f64 v[65:66], v[65:66], v[93:94]
	v_add_f64 v[61:62], v[61:62], v[87:88]
	s_waitcnt vmcnt(39) lgkmcnt(1)
	v_mul_f64 v[93:94], v[59:60], v[113:114]
	s_waitcnt vmcnt(37)
	v_fma_f64 v[91:92], v[53:54], v[117:118], -v[91:92]
	v_mul_f64 v[87:88], v[57:58], v[113:114]
	v_fma_f64 v[81:82], v[55:56], v[117:118], v[81:82]
	ds_read_b128 v[53:56], v0 offset:656
	v_add_f64 v[65:66], v[65:66], v[89:90]
	s_waitcnt vmcnt(33) lgkmcnt(1)
	v_mul_f64 v[89:90], v[3:4], v[123:124]
	v_add_f64 v[61:62], v[61:62], v[77:78]
	s_waitcnt vmcnt(32)
	v_fma_f64 v[93:94], v[57:58], v[115:116], -v[93:94]
	v_mul_f64 v[77:78], v[1:2], v[123:124]
	v_fma_f64 v[87:88], v[59:60], v[115:116], v[87:88]
	ds_read_b128 v[57:60], v0 offset:672
	v_add_f64 v[65:66], v[65:66], v[91:92]
	v_add_f64 v[61:62], v[61:62], v[81:82]
	s_waitcnt vmcnt(31) lgkmcnt(1)
	v_mul_f64 v[91:92], v[55:56], v[125:126]
	v_mul_f64 v[81:82], v[53:54], v[125:126]
	s_waitcnt vmcnt(29)
	v_fma_f64 v[89:90], v[1:2], v[121:122], -v[89:90]
	v_fma_f64 v[77:78], v[3:4], v[121:122], v[77:78]
	ds_read_b128 v[1:4], v0 offset:688
	v_add_f64 v[65:66], v[65:66], v[93:94]
	v_add_f64 v[61:62], v[61:62], v[87:88]
	s_waitcnt vmcnt(25) lgkmcnt(1)
	v_mul_f64 v[87:88], v[57:58], v[67:68]
	v_mul_f64 v[67:68], v[59:60], v[67:68]
	s_waitcnt vmcnt(24)
	v_fma_f64 v[91:92], v[53:54], v[127:128], -v[91:92]
	v_fma_f64 v[81:82], v[55:56], v[127:128], v[81:82]
	ds_read_b128 v[53:56], v0 offset:704
	v_add_f64 v[65:66], v[65:66], v[89:90]
	v_add_f64 v[61:62], v[61:62], v[77:78]
	s_waitcnt vmcnt(23) lgkmcnt(1)
	v_mul_f64 v[89:90], v[3:4], v[129:130]
	v_mul_f64 v[77:78], v[1:2], v[129:130]
	s_waitcnt vmcnt(21)
	v_fma_f64 v[67:68], v[57:58], v[63:64], -v[67:68]
	v_fma_f64 v[63:64], v[59:60], v[63:64], v[87:88]
	ds_read_b128 v[57:60], v0 offset:720
	v_add_f64 v[65:66], v[65:66], v[91:92]
	v_add_f64 v[61:62], v[61:62], v[81:82]
	s_waitcnt vmcnt(17) lgkmcnt(1)
	v_mul_f64 v[81:82], v[53:54], v[75:76]
	v_mul_f64 v[75:76], v[55:56], v[75:76]
	s_waitcnt vmcnt(16)
	v_fma_f64 v[87:88], v[1:2], v[134:135], -v[89:90]
	v_add_f64 v[65:66], v[65:66], v[67:68]
	v_fma_f64 v[67:68], v[3:4], v[134:135], v[77:78]
	v_add_f64 v[61:62], v[61:62], v[63:64]
	ds_read_b128 v[1:4], v0 offset:736
	s_waitcnt vmcnt(15) lgkmcnt(1)
	v_mul_f64 v[77:78], v[59:60], v[119:120]
	v_mul_f64 v[63:64], v[57:58], v[119:120]
	s_waitcnt vmcnt(13)
	v_fma_f64 v[75:76], v[53:54], v[73:74], -v[75:76]
	v_fma_f64 v[73:74], v[55:56], v[73:74], v[81:82]
	ds_read_b128 v[53:56], v0 offset:752
	v_add_f64 v[65:66], v[65:66], v[87:88]
	v_add_f64 v[61:62], v[61:62], v[67:68]
	s_waitcnt vmcnt(9) lgkmcnt(1)
	v_mul_f64 v[67:68], v[1:2], v[69:70]
	v_mul_f64 v[69:70], v[3:4], v[69:70]
	s_waitcnt vmcnt(8)
	v_fma_f64 v[57:58], v[57:58], v[136:137], -v[77:78]
	v_fma_f64 v[59:60], v[59:60], v[136:137], v[63:64]
	v_add_f64 v[65:66], v[65:66], v[75:76]
	v_add_f64 v[61:62], v[61:62], v[73:74]
	s_waitcnt vmcnt(7) lgkmcnt(0)
	v_mul_f64 v[73:74], v[55:56], v[85:86]
	v_mul_f64 v[63:64], v[53:54], v[85:86]
	s_waitcnt vmcnt(5)
	v_fma_f64 v[1:2], v[1:2], v[71:72], -v[69:70]
	v_fma_f64 v[3:4], v[3:4], v[71:72], v[67:68]
	v_add_f64 v[57:58], v[65:66], v[57:58]
	v_add_f64 v[59:60], v[61:62], v[59:60]
	s_waitcnt vmcnt(4)
	v_fma_f64 v[53:54], v[53:54], v[131:132], -v[73:74]
	v_fma_f64 v[55:56], v[55:56], v[131:132], v[63:64]
	v_add_f64 v[1:2], v[57:58], v[1:2]
	v_add_f64 v[3:4], v[59:60], v[3:4]
	v_add_f64 v[1:2], v[1:2], v[53:54]
	v_add_f64 v[3:4], v[3:4], v[55:56]
	s_waitcnt vmcnt(2)
	v_add_f64 v[1:2], v[79:80], -v[1:2]
	s_waitcnt vmcnt(0)
	v_add_f64 v[3:4], v[83:84], -v[3:4]
	buffer_store_dword v2, off, s[0:3], 0 offset:20
	buffer_store_dword v1, off, s[0:3], 0 offset:16
	;; [unrolled: 1-line block ×4, first 2 shown]
	s_cbranch_vccz .LBB87_204
; %bb.158:
	global_load_dword v0, v0, s[12:13] offset:88
	s_waitcnt vmcnt(0)
	v_add_nc_u32_e32 v0, -1, v0
	v_cmp_ne_u32_e32 vcc_lo, 22, v0
	s_cbranch_vccz .LBB87_160
; %bb.159:
	v_lshlrev_b32_e32 v0, 4, v0
	v_mov_b32_e32 v1, s9
	v_add_nc_u32_e32 v0, 16, v0
	s_clause 0x7
	buffer_load_dword v2, v0, s[0:3], 0 offen
	buffer_load_dword v3, v0, s[0:3], 0 offen offset:4
	buffer_load_dword v4, v0, s[0:3], 0 offen offset:8
	;; [unrolled: 1-line block ×6, first 2 shown]
	buffer_load_dword v57, v1, s[0:3], 0 offen
	s_waitcnt vmcnt(7)
	buffer_store_dword v2, v1, s[0:3], 0 offen
	s_waitcnt vmcnt(6)
	buffer_store_dword v3, v1, s[0:3], 0 offen offset:4
	s_waitcnt vmcnt(5)
	buffer_store_dword v4, v1, s[0:3], 0 offen offset:8
	;; [unrolled: 2-line block ×6, first 2 shown]
	s_waitcnt vmcnt(0)
	buffer_store_dword v57, v0, s[0:3], 0 offen
.LBB87_160:
	v_mov_b32_e32 v0, 0
	global_load_dword v1, v0, s[12:13] offset:84
	s_waitcnt vmcnt(0)
	v_add_nc_u32_e32 v1, -1, v1
	v_cmp_eq_u32_e32 vcc_lo, 21, v1
	s_cbranch_vccnz .LBB87_162
; %bb.161:
	v_lshlrev_b32_e32 v1, 4, v1
	v_mov_b32_e32 v2, s14
	v_add_nc_u32_e32 v1, 16, v1
	s_clause 0x7
	buffer_load_dword v3, v1, s[0:3], 0 offen
	buffer_load_dword v4, v1, s[0:3], 0 offen offset:4
	buffer_load_dword v53, v1, s[0:3], 0 offen offset:8
	;; [unrolled: 1-line block ×6, first 2 shown]
	buffer_load_dword v58, v2, s[0:3], 0 offen
	s_waitcnt vmcnt(7)
	buffer_store_dword v3, v2, s[0:3], 0 offen
	s_waitcnt vmcnt(6)
	buffer_store_dword v4, v2, s[0:3], 0 offen offset:4
	s_waitcnt vmcnt(5)
	buffer_store_dword v53, v2, s[0:3], 0 offen offset:8
	s_waitcnt vmcnt(4)
	buffer_store_dword v54, v2, s[0:3], 0 offen offset:12
	s_waitcnt vmcnt(3)
	buffer_store_dword v55, v1, s[0:3], 0 offen offset:12
	s_waitcnt vmcnt(2)
	buffer_store_dword v56, v1, s[0:3], 0 offen offset:8
	s_waitcnt vmcnt(1)
	buffer_store_dword v57, v1, s[0:3], 0 offen offset:4
	s_waitcnt vmcnt(0)
	buffer_store_dword v58, v1, s[0:3], 0 offen
.LBB87_162:
	global_load_dword v0, v0, s[12:13] offset:80
	s_waitcnt vmcnt(0)
	v_add_nc_u32_e32 v0, -1, v0
	v_cmp_eq_u32_e32 vcc_lo, 20, v0
	s_cbranch_vccnz .LBB87_164
; %bb.163:
	v_lshlrev_b32_e32 v0, 4, v0
	v_mov_b32_e32 v1, s15
	v_add_nc_u32_e32 v0, 16, v0
	s_clause 0x7
	buffer_load_dword v2, v0, s[0:3], 0 offen
	buffer_load_dword v3, v0, s[0:3], 0 offen offset:4
	buffer_load_dword v4, v0, s[0:3], 0 offen offset:8
	;; [unrolled: 1-line block ×6, first 2 shown]
	buffer_load_dword v57, v1, s[0:3], 0 offen
	s_waitcnt vmcnt(7)
	buffer_store_dword v2, v1, s[0:3], 0 offen
	s_waitcnt vmcnt(6)
	buffer_store_dword v3, v1, s[0:3], 0 offen offset:4
	s_waitcnt vmcnt(5)
	buffer_store_dword v4, v1, s[0:3], 0 offen offset:8
	;; [unrolled: 2-line block ×6, first 2 shown]
	s_waitcnt vmcnt(0)
	buffer_store_dword v57, v0, s[0:3], 0 offen
.LBB87_164:
	v_mov_b32_e32 v0, 0
	global_load_dword v1, v0, s[12:13] offset:76
	s_waitcnt vmcnt(0)
	v_add_nc_u32_e32 v1, -1, v1
	v_cmp_eq_u32_e32 vcc_lo, 19, v1
	s_cbranch_vccnz .LBB87_166
; %bb.165:
	v_lshlrev_b32_e32 v1, 4, v1
	v_mov_b32_e32 v2, s16
	v_add_nc_u32_e32 v1, 16, v1
	s_clause 0x7
	buffer_load_dword v3, v1, s[0:3], 0 offen
	buffer_load_dword v4, v1, s[0:3], 0 offen offset:4
	buffer_load_dword v53, v1, s[0:3], 0 offen offset:8
	;; [unrolled: 1-line block ×6, first 2 shown]
	buffer_load_dword v58, v2, s[0:3], 0 offen
	s_waitcnt vmcnt(7)
	buffer_store_dword v3, v2, s[0:3], 0 offen
	s_waitcnt vmcnt(6)
	buffer_store_dword v4, v2, s[0:3], 0 offen offset:4
	s_waitcnt vmcnt(5)
	buffer_store_dword v53, v2, s[0:3], 0 offen offset:8
	;; [unrolled: 2-line block ×6, first 2 shown]
	s_waitcnt vmcnt(0)
	buffer_store_dword v58, v1, s[0:3], 0 offen
.LBB87_166:
	global_load_dword v0, v0, s[12:13] offset:72
	s_waitcnt vmcnt(0)
	v_add_nc_u32_e32 v0, -1, v0
	v_cmp_eq_u32_e32 vcc_lo, 18, v0
	s_cbranch_vccnz .LBB87_168
; %bb.167:
	v_lshlrev_b32_e32 v0, 4, v0
	v_mov_b32_e32 v1, s17
	v_add_nc_u32_e32 v0, 16, v0
	s_clause 0x7
	buffer_load_dword v2, v0, s[0:3], 0 offen
	buffer_load_dword v3, v0, s[0:3], 0 offen offset:4
	buffer_load_dword v4, v0, s[0:3], 0 offen offset:8
	;; [unrolled: 1-line block ×6, first 2 shown]
	buffer_load_dword v57, v1, s[0:3], 0 offen
	s_waitcnt vmcnt(7)
	buffer_store_dword v2, v1, s[0:3], 0 offen
	s_waitcnt vmcnt(6)
	buffer_store_dword v3, v1, s[0:3], 0 offen offset:4
	s_waitcnt vmcnt(5)
	buffer_store_dword v4, v1, s[0:3], 0 offen offset:8
	;; [unrolled: 2-line block ×6, first 2 shown]
	s_waitcnt vmcnt(0)
	buffer_store_dword v57, v0, s[0:3], 0 offen
.LBB87_168:
	v_mov_b32_e32 v0, 0
	global_load_dword v1, v0, s[12:13] offset:68
	s_waitcnt vmcnt(0)
	v_add_nc_u32_e32 v1, -1, v1
	v_cmp_eq_u32_e32 vcc_lo, 17, v1
	s_cbranch_vccnz .LBB87_170
; %bb.169:
	v_lshlrev_b32_e32 v1, 4, v1
	v_mov_b32_e32 v2, s18
	v_add_nc_u32_e32 v1, 16, v1
	s_clause 0x7
	buffer_load_dword v3, v1, s[0:3], 0 offen
	buffer_load_dword v4, v1, s[0:3], 0 offen offset:4
	buffer_load_dword v53, v1, s[0:3], 0 offen offset:8
	;; [unrolled: 1-line block ×6, first 2 shown]
	buffer_load_dword v58, v2, s[0:3], 0 offen
	s_waitcnt vmcnt(7)
	buffer_store_dword v3, v2, s[0:3], 0 offen
	s_waitcnt vmcnt(6)
	buffer_store_dword v4, v2, s[0:3], 0 offen offset:4
	s_waitcnt vmcnt(5)
	buffer_store_dword v53, v2, s[0:3], 0 offen offset:8
	;; [unrolled: 2-line block ×6, first 2 shown]
	s_waitcnt vmcnt(0)
	buffer_store_dword v58, v1, s[0:3], 0 offen
.LBB87_170:
	global_load_dword v0, v0, s[12:13] offset:64
	s_waitcnt vmcnt(0)
	v_add_nc_u32_e32 v0, -1, v0
	v_cmp_eq_u32_e32 vcc_lo, 16, v0
	s_cbranch_vccnz .LBB87_172
; %bb.171:
	v_lshlrev_b32_e32 v0, 4, v0
	v_mov_b32_e32 v1, s19
	v_add_nc_u32_e32 v0, 16, v0
	s_clause 0x7
	buffer_load_dword v2, v0, s[0:3], 0 offen
	buffer_load_dword v3, v0, s[0:3], 0 offen offset:4
	buffer_load_dword v4, v0, s[0:3], 0 offen offset:8
	;; [unrolled: 1-line block ×6, first 2 shown]
	buffer_load_dword v57, v1, s[0:3], 0 offen
	s_waitcnt vmcnt(7)
	buffer_store_dword v2, v1, s[0:3], 0 offen
	s_waitcnt vmcnt(6)
	buffer_store_dword v3, v1, s[0:3], 0 offen offset:4
	s_waitcnt vmcnt(5)
	buffer_store_dword v4, v1, s[0:3], 0 offen offset:8
	;; [unrolled: 2-line block ×6, first 2 shown]
	s_waitcnt vmcnt(0)
	buffer_store_dword v57, v0, s[0:3], 0 offen
.LBB87_172:
	v_mov_b32_e32 v0, 0
	global_load_dword v1, v0, s[12:13] offset:60
	s_waitcnt vmcnt(0)
	v_add_nc_u32_e32 v1, -1, v1
	v_cmp_eq_u32_e32 vcc_lo, 15, v1
	s_cbranch_vccnz .LBB87_174
; %bb.173:
	v_lshlrev_b32_e32 v1, 4, v1
	v_mov_b32_e32 v2, s20
	v_add_nc_u32_e32 v1, 16, v1
	s_clause 0x7
	buffer_load_dword v3, v1, s[0:3], 0 offen
	buffer_load_dword v4, v1, s[0:3], 0 offen offset:4
	buffer_load_dword v53, v1, s[0:3], 0 offen offset:8
	;; [unrolled: 1-line block ×6, first 2 shown]
	buffer_load_dword v58, v2, s[0:3], 0 offen
	s_waitcnt vmcnt(7)
	buffer_store_dword v3, v2, s[0:3], 0 offen
	s_waitcnt vmcnt(6)
	buffer_store_dword v4, v2, s[0:3], 0 offen offset:4
	s_waitcnt vmcnt(5)
	buffer_store_dword v53, v2, s[0:3], 0 offen offset:8
	;; [unrolled: 2-line block ×6, first 2 shown]
	s_waitcnt vmcnt(0)
	buffer_store_dword v58, v1, s[0:3], 0 offen
.LBB87_174:
	global_load_dword v0, v0, s[12:13] offset:56
	s_waitcnt vmcnt(0)
	v_add_nc_u32_e32 v0, -1, v0
	v_cmp_eq_u32_e32 vcc_lo, 14, v0
	s_cbranch_vccnz .LBB87_176
; %bb.175:
	v_lshlrev_b32_e32 v0, 4, v0
	v_mov_b32_e32 v1, s21
	v_add_nc_u32_e32 v0, 16, v0
	s_clause 0x7
	buffer_load_dword v2, v0, s[0:3], 0 offen
	buffer_load_dword v3, v0, s[0:3], 0 offen offset:4
	buffer_load_dword v4, v0, s[0:3], 0 offen offset:8
	;; [unrolled: 1-line block ×6, first 2 shown]
	buffer_load_dword v57, v1, s[0:3], 0 offen
	s_waitcnt vmcnt(7)
	buffer_store_dword v2, v1, s[0:3], 0 offen
	s_waitcnt vmcnt(6)
	buffer_store_dword v3, v1, s[0:3], 0 offen offset:4
	s_waitcnt vmcnt(5)
	buffer_store_dword v4, v1, s[0:3], 0 offen offset:8
	s_waitcnt vmcnt(4)
	buffer_store_dword v53, v1, s[0:3], 0 offen offset:12
	s_waitcnt vmcnt(3)
	buffer_store_dword v54, v0, s[0:3], 0 offen offset:12
	s_waitcnt vmcnt(2)
	buffer_store_dword v55, v0, s[0:3], 0 offen offset:8
	s_waitcnt vmcnt(1)
	buffer_store_dword v56, v0, s[0:3], 0 offen offset:4
	s_waitcnt vmcnt(0)
	buffer_store_dword v57, v0, s[0:3], 0 offen
.LBB87_176:
	v_mov_b32_e32 v0, 0
	global_load_dword v1, v0, s[12:13] offset:52
	s_waitcnt vmcnt(0)
	v_add_nc_u32_e32 v1, -1, v1
	v_cmp_eq_u32_e32 vcc_lo, 13, v1
	s_cbranch_vccnz .LBB87_178
; %bb.177:
	v_lshlrev_b32_e32 v1, 4, v1
	v_mov_b32_e32 v2, s22
	v_add_nc_u32_e32 v1, 16, v1
	s_clause 0x7
	buffer_load_dword v3, v1, s[0:3], 0 offen
	buffer_load_dword v4, v1, s[0:3], 0 offen offset:4
	buffer_load_dword v53, v1, s[0:3], 0 offen offset:8
	;; [unrolled: 1-line block ×6, first 2 shown]
	buffer_load_dword v58, v2, s[0:3], 0 offen
	s_waitcnt vmcnt(7)
	buffer_store_dword v3, v2, s[0:3], 0 offen
	s_waitcnt vmcnt(6)
	buffer_store_dword v4, v2, s[0:3], 0 offen offset:4
	s_waitcnt vmcnt(5)
	buffer_store_dword v53, v2, s[0:3], 0 offen offset:8
	;; [unrolled: 2-line block ×6, first 2 shown]
	s_waitcnt vmcnt(0)
	buffer_store_dword v58, v1, s[0:3], 0 offen
.LBB87_178:
	global_load_dword v0, v0, s[12:13] offset:48
	s_waitcnt vmcnt(0)
	v_add_nc_u32_e32 v0, -1, v0
	v_cmp_eq_u32_e32 vcc_lo, 12, v0
	s_cbranch_vccnz .LBB87_180
; %bb.179:
	v_lshlrev_b32_e32 v0, 4, v0
	v_mov_b32_e32 v1, s23
	v_add_nc_u32_e32 v0, 16, v0
	s_clause 0x7
	buffer_load_dword v2, v0, s[0:3], 0 offen
	buffer_load_dword v3, v0, s[0:3], 0 offen offset:4
	buffer_load_dword v4, v0, s[0:3], 0 offen offset:8
	;; [unrolled: 1-line block ×6, first 2 shown]
	buffer_load_dword v57, v1, s[0:3], 0 offen
	s_waitcnt vmcnt(7)
	buffer_store_dword v2, v1, s[0:3], 0 offen
	s_waitcnt vmcnt(6)
	buffer_store_dword v3, v1, s[0:3], 0 offen offset:4
	s_waitcnt vmcnt(5)
	buffer_store_dword v4, v1, s[0:3], 0 offen offset:8
	;; [unrolled: 2-line block ×6, first 2 shown]
	s_waitcnt vmcnt(0)
	buffer_store_dword v57, v0, s[0:3], 0 offen
.LBB87_180:
	v_mov_b32_e32 v0, 0
	global_load_dword v1, v0, s[12:13] offset:44
	s_waitcnt vmcnt(0)
	v_add_nc_u32_e32 v1, -1, v1
	v_cmp_eq_u32_e32 vcc_lo, 11, v1
	s_cbranch_vccnz .LBB87_182
; %bb.181:
	v_lshlrev_b32_e32 v1, 4, v1
	v_mov_b32_e32 v2, s24
	v_add_nc_u32_e32 v1, 16, v1
	s_clause 0x7
	buffer_load_dword v3, v1, s[0:3], 0 offen
	buffer_load_dword v4, v1, s[0:3], 0 offen offset:4
	buffer_load_dword v53, v1, s[0:3], 0 offen offset:8
	;; [unrolled: 1-line block ×6, first 2 shown]
	buffer_load_dword v58, v2, s[0:3], 0 offen
	s_waitcnt vmcnt(7)
	buffer_store_dword v3, v2, s[0:3], 0 offen
	s_waitcnt vmcnt(6)
	buffer_store_dword v4, v2, s[0:3], 0 offen offset:4
	s_waitcnt vmcnt(5)
	buffer_store_dword v53, v2, s[0:3], 0 offen offset:8
	;; [unrolled: 2-line block ×6, first 2 shown]
	s_waitcnt vmcnt(0)
	buffer_store_dword v58, v1, s[0:3], 0 offen
.LBB87_182:
	global_load_dword v0, v0, s[12:13] offset:40
	s_waitcnt vmcnt(0)
	v_add_nc_u32_e32 v0, -1, v0
	v_cmp_eq_u32_e32 vcc_lo, 10, v0
	s_cbranch_vccnz .LBB87_184
; %bb.183:
	v_lshlrev_b32_e32 v0, 4, v0
	v_mov_b32_e32 v1, s25
	v_add_nc_u32_e32 v0, 16, v0
	s_clause 0x7
	buffer_load_dword v2, v0, s[0:3], 0 offen
	buffer_load_dword v3, v0, s[0:3], 0 offen offset:4
	buffer_load_dword v4, v0, s[0:3], 0 offen offset:8
	;; [unrolled: 1-line block ×6, first 2 shown]
	buffer_load_dword v57, v1, s[0:3], 0 offen
	s_waitcnt vmcnt(7)
	buffer_store_dword v2, v1, s[0:3], 0 offen
	s_waitcnt vmcnt(6)
	buffer_store_dword v3, v1, s[0:3], 0 offen offset:4
	s_waitcnt vmcnt(5)
	buffer_store_dword v4, v1, s[0:3], 0 offen offset:8
	;; [unrolled: 2-line block ×6, first 2 shown]
	s_waitcnt vmcnt(0)
	buffer_store_dword v57, v0, s[0:3], 0 offen
.LBB87_184:
	v_mov_b32_e32 v0, 0
	global_load_dword v1, v0, s[12:13] offset:36
	s_waitcnt vmcnt(0)
	v_add_nc_u32_e32 v1, -1, v1
	v_cmp_eq_u32_e32 vcc_lo, 9, v1
	s_cbranch_vccnz .LBB87_186
; %bb.185:
	v_lshlrev_b32_e32 v1, 4, v1
	v_mov_b32_e32 v2, s26
	v_add_nc_u32_e32 v1, 16, v1
	s_clause 0x7
	buffer_load_dword v3, v1, s[0:3], 0 offen
	buffer_load_dword v4, v1, s[0:3], 0 offen offset:4
	buffer_load_dword v53, v1, s[0:3], 0 offen offset:8
	buffer_load_dword v54, v1, s[0:3], 0 offen offset:12
	buffer_load_dword v55, v2, s[0:3], 0 offen offset:12
	buffer_load_dword v56, v2, s[0:3], 0 offen offset:8
	buffer_load_dword v57, v2, s[0:3], 0 offen offset:4
	buffer_load_dword v58, v2, s[0:3], 0 offen
	s_waitcnt vmcnt(7)
	buffer_store_dword v3, v2, s[0:3], 0 offen
	s_waitcnt vmcnt(6)
	buffer_store_dword v4, v2, s[0:3], 0 offen offset:4
	s_waitcnt vmcnt(5)
	buffer_store_dword v53, v2, s[0:3], 0 offen offset:8
	;; [unrolled: 2-line block ×6, first 2 shown]
	s_waitcnt vmcnt(0)
	buffer_store_dword v58, v1, s[0:3], 0 offen
.LBB87_186:
	global_load_dword v0, v0, s[12:13] offset:32
	s_waitcnt vmcnt(0)
	v_add_nc_u32_e32 v0, -1, v0
	v_cmp_eq_u32_e32 vcc_lo, 8, v0
	s_cbranch_vccnz .LBB87_188
; %bb.187:
	v_lshlrev_b32_e32 v0, 4, v0
	v_mov_b32_e32 v1, s27
	v_add_nc_u32_e32 v0, 16, v0
	s_clause 0x7
	buffer_load_dword v2, v0, s[0:3], 0 offen
	buffer_load_dword v3, v0, s[0:3], 0 offen offset:4
	buffer_load_dword v4, v0, s[0:3], 0 offen offset:8
	;; [unrolled: 1-line block ×6, first 2 shown]
	buffer_load_dword v57, v1, s[0:3], 0 offen
	s_waitcnt vmcnt(7)
	buffer_store_dword v2, v1, s[0:3], 0 offen
	s_waitcnt vmcnt(6)
	buffer_store_dword v3, v1, s[0:3], 0 offen offset:4
	s_waitcnt vmcnt(5)
	buffer_store_dword v4, v1, s[0:3], 0 offen offset:8
	;; [unrolled: 2-line block ×6, first 2 shown]
	s_waitcnt vmcnt(0)
	buffer_store_dword v57, v0, s[0:3], 0 offen
.LBB87_188:
	v_mov_b32_e32 v0, 0
	global_load_dword v1, v0, s[12:13] offset:28
	s_waitcnt vmcnt(0)
	v_add_nc_u32_e32 v1, -1, v1
	v_cmp_eq_u32_e32 vcc_lo, 7, v1
	s_cbranch_vccnz .LBB87_190
; %bb.189:
	v_lshlrev_b32_e32 v1, 4, v1
	v_mov_b32_e32 v2, s28
	v_add_nc_u32_e32 v1, 16, v1
	s_clause 0x7
	buffer_load_dword v3, v1, s[0:3], 0 offen
	buffer_load_dword v4, v1, s[0:3], 0 offen offset:4
	buffer_load_dword v53, v1, s[0:3], 0 offen offset:8
	;; [unrolled: 1-line block ×6, first 2 shown]
	buffer_load_dword v58, v2, s[0:3], 0 offen
	s_waitcnt vmcnt(7)
	buffer_store_dword v3, v2, s[0:3], 0 offen
	s_waitcnt vmcnt(6)
	buffer_store_dword v4, v2, s[0:3], 0 offen offset:4
	s_waitcnt vmcnt(5)
	buffer_store_dword v53, v2, s[0:3], 0 offen offset:8
	;; [unrolled: 2-line block ×6, first 2 shown]
	s_waitcnt vmcnt(0)
	buffer_store_dword v58, v1, s[0:3], 0 offen
.LBB87_190:
	global_load_dword v0, v0, s[12:13] offset:24
	s_waitcnt vmcnt(0)
	v_add_nc_u32_e32 v0, -1, v0
	v_cmp_eq_u32_e32 vcc_lo, 6, v0
	s_cbranch_vccnz .LBB87_192
; %bb.191:
	v_lshlrev_b32_e32 v0, 4, v0
	v_mov_b32_e32 v1, s29
	v_add_nc_u32_e32 v0, 16, v0
	s_clause 0x7
	buffer_load_dword v2, v0, s[0:3], 0 offen
	buffer_load_dword v3, v0, s[0:3], 0 offen offset:4
	buffer_load_dword v4, v0, s[0:3], 0 offen offset:8
	;; [unrolled: 1-line block ×6, first 2 shown]
	buffer_load_dword v57, v1, s[0:3], 0 offen
	s_waitcnt vmcnt(7)
	buffer_store_dword v2, v1, s[0:3], 0 offen
	s_waitcnt vmcnt(6)
	buffer_store_dword v3, v1, s[0:3], 0 offen offset:4
	s_waitcnt vmcnt(5)
	buffer_store_dword v4, v1, s[0:3], 0 offen offset:8
	;; [unrolled: 2-line block ×6, first 2 shown]
	s_waitcnt vmcnt(0)
	buffer_store_dword v57, v0, s[0:3], 0 offen
.LBB87_192:
	v_mov_b32_e32 v0, 0
	global_load_dword v1, v0, s[12:13] offset:20
	s_waitcnt vmcnt(0)
	v_add_nc_u32_e32 v1, -1, v1
	v_cmp_eq_u32_e32 vcc_lo, 5, v1
	s_cbranch_vccnz .LBB87_194
; %bb.193:
	v_lshlrev_b32_e32 v1, 4, v1
	v_mov_b32_e32 v2, s30
	v_add_nc_u32_e32 v1, 16, v1
	s_clause 0x7
	buffer_load_dword v3, v1, s[0:3], 0 offen
	buffer_load_dword v4, v1, s[0:3], 0 offen offset:4
	buffer_load_dword v53, v1, s[0:3], 0 offen offset:8
	;; [unrolled: 1-line block ×6, first 2 shown]
	buffer_load_dword v58, v2, s[0:3], 0 offen
	s_waitcnt vmcnt(7)
	buffer_store_dword v3, v2, s[0:3], 0 offen
	s_waitcnt vmcnt(6)
	buffer_store_dword v4, v2, s[0:3], 0 offen offset:4
	s_waitcnt vmcnt(5)
	buffer_store_dword v53, v2, s[0:3], 0 offen offset:8
	;; [unrolled: 2-line block ×6, first 2 shown]
	s_waitcnt vmcnt(0)
	buffer_store_dword v58, v1, s[0:3], 0 offen
.LBB87_194:
	global_load_dword v0, v0, s[12:13] offset:16
	s_waitcnt vmcnt(0)
	v_add_nc_u32_e32 v0, -1, v0
	v_cmp_eq_u32_e32 vcc_lo, 4, v0
	s_cbranch_vccnz .LBB87_196
; %bb.195:
	v_lshlrev_b32_e32 v0, 4, v0
	v_mov_b32_e32 v1, s31
	v_add_nc_u32_e32 v0, 16, v0
	s_clause 0x7
	buffer_load_dword v2, v0, s[0:3], 0 offen
	buffer_load_dword v3, v0, s[0:3], 0 offen offset:4
	buffer_load_dword v4, v0, s[0:3], 0 offen offset:8
	;; [unrolled: 1-line block ×6, first 2 shown]
	buffer_load_dword v57, v1, s[0:3], 0 offen
	s_waitcnt vmcnt(7)
	buffer_store_dword v2, v1, s[0:3], 0 offen
	s_waitcnt vmcnt(6)
	buffer_store_dword v3, v1, s[0:3], 0 offen offset:4
	s_waitcnt vmcnt(5)
	buffer_store_dword v4, v1, s[0:3], 0 offen offset:8
	;; [unrolled: 2-line block ×6, first 2 shown]
	s_waitcnt vmcnt(0)
	buffer_store_dword v57, v0, s[0:3], 0 offen
.LBB87_196:
	v_mov_b32_e32 v0, 0
	global_load_dword v1, v0, s[12:13] offset:12
	s_waitcnt vmcnt(0)
	v_add_nc_u32_e32 v1, -1, v1
	v_cmp_eq_u32_e32 vcc_lo, 3, v1
	s_cbranch_vccnz .LBB87_198
; %bb.197:
	v_lshlrev_b32_e32 v1, 4, v1
	v_mov_b32_e32 v2, s33
	v_add_nc_u32_e32 v1, 16, v1
	s_clause 0x7
	buffer_load_dword v3, v1, s[0:3], 0 offen
	buffer_load_dword v4, v1, s[0:3], 0 offen offset:4
	buffer_load_dword v53, v1, s[0:3], 0 offen offset:8
	;; [unrolled: 1-line block ×6, first 2 shown]
	buffer_load_dword v58, v2, s[0:3], 0 offen
	s_waitcnt vmcnt(7)
	buffer_store_dword v3, v2, s[0:3], 0 offen
	s_waitcnt vmcnt(6)
	buffer_store_dword v4, v2, s[0:3], 0 offen offset:4
	s_waitcnt vmcnt(5)
	buffer_store_dword v53, v2, s[0:3], 0 offen offset:8
	s_waitcnt vmcnt(4)
	buffer_store_dword v54, v2, s[0:3], 0 offen offset:12
	s_waitcnt vmcnt(3)
	buffer_store_dword v55, v1, s[0:3], 0 offen offset:12
	s_waitcnt vmcnt(2)
	buffer_store_dword v56, v1, s[0:3], 0 offen offset:8
	s_waitcnt vmcnt(1)
	buffer_store_dword v57, v1, s[0:3], 0 offen offset:4
	s_waitcnt vmcnt(0)
	buffer_store_dword v58, v1, s[0:3], 0 offen
.LBB87_198:
	global_load_dword v0, v0, s[12:13] offset:8
	s_waitcnt vmcnt(0)
	v_add_nc_u32_e32 v0, -1, v0
	v_cmp_eq_u32_e32 vcc_lo, 2, v0
	s_cbranch_vccnz .LBB87_200
; %bb.199:
	v_lshlrev_b32_e32 v0, 4, v0
	v_mov_b32_e32 v1, s34
	v_add_nc_u32_e32 v0, 16, v0
	s_clause 0x7
	buffer_load_dword v2, v0, s[0:3], 0 offen
	buffer_load_dword v3, v0, s[0:3], 0 offen offset:4
	buffer_load_dword v4, v0, s[0:3], 0 offen offset:8
	;; [unrolled: 1-line block ×6, first 2 shown]
	buffer_load_dword v57, v1, s[0:3], 0 offen
	s_waitcnt vmcnt(7)
	buffer_store_dword v2, v1, s[0:3], 0 offen
	s_waitcnt vmcnt(6)
	buffer_store_dword v3, v1, s[0:3], 0 offen offset:4
	s_waitcnt vmcnt(5)
	buffer_store_dword v4, v1, s[0:3], 0 offen offset:8
	;; [unrolled: 2-line block ×6, first 2 shown]
	s_waitcnt vmcnt(0)
	buffer_store_dword v57, v0, s[0:3], 0 offen
.LBB87_200:
	v_mov_b32_e32 v0, 0
	global_load_dword v1, v0, s[12:13] offset:4
	s_waitcnt vmcnt(0)
	v_add_nc_u32_e32 v1, -1, v1
	v_cmp_eq_u32_e32 vcc_lo, 1, v1
	s_cbranch_vccnz .LBB87_202
; %bb.201:
	v_lshlrev_b32_e32 v1, 4, v1
	v_mov_b32_e32 v2, s35
	v_add_nc_u32_e32 v1, 16, v1
	s_clause 0x7
	buffer_load_dword v3, v1, s[0:3], 0 offen
	buffer_load_dword v4, v1, s[0:3], 0 offen offset:4
	buffer_load_dword v53, v1, s[0:3], 0 offen offset:8
	;; [unrolled: 1-line block ×6, first 2 shown]
	buffer_load_dword v58, v2, s[0:3], 0 offen
	s_waitcnt vmcnt(7)
	buffer_store_dword v3, v2, s[0:3], 0 offen
	s_waitcnt vmcnt(6)
	buffer_store_dword v4, v2, s[0:3], 0 offen offset:4
	s_waitcnt vmcnt(5)
	buffer_store_dword v53, v2, s[0:3], 0 offen offset:8
	;; [unrolled: 2-line block ×6, first 2 shown]
	s_waitcnt vmcnt(0)
	buffer_store_dword v58, v1, s[0:3], 0 offen
.LBB87_202:
	global_load_dword v0, v0, s[12:13]
	s_waitcnt vmcnt(0)
	v_add_nc_u32_e32 v0, -1, v0
	v_cmp_eq_u32_e32 vcc_lo, 0, v0
	s_cbranch_vccnz .LBB87_204
; %bb.203:
	v_lshlrev_b32_e32 v0, 4, v0
	v_add_nc_u32_e32 v0, 16, v0
	s_clause 0x7
	buffer_load_dword v1, v0, s[0:3], 0 offen
	buffer_load_dword v2, v0, s[0:3], 0 offen offset:4
	buffer_load_dword v3, v0, s[0:3], 0 offen offset:8
	;; [unrolled: 1-line block ×3, first 2 shown]
	buffer_load_dword v53, off, s[0:3], 0 offset:28
	buffer_load_dword v54, off, s[0:3], 0 offset:24
	;; [unrolled: 1-line block ×4, first 2 shown]
	s_waitcnt vmcnt(7)
	buffer_store_dword v1, off, s[0:3], 0 offset:16
	s_waitcnt vmcnt(6)
	buffer_store_dword v2, off, s[0:3], 0 offset:20
	;; [unrolled: 2-line block ×4, first 2 shown]
	s_waitcnt vmcnt(3)
	buffer_store_dword v53, v0, s[0:3], 0 offen offset:12
	s_waitcnt vmcnt(2)
	buffer_store_dword v54, v0, s[0:3], 0 offen offset:8
	;; [unrolled: 2-line block ×3, first 2 shown]
	s_waitcnt vmcnt(0)
	buffer_store_dword v56, v0, s[0:3], 0 offen
.LBB87_204:
	s_clause 0x3
	buffer_load_dword v0, off, s[0:3], 0 offset:16
	buffer_load_dword v1, off, s[0:3], 0 offset:20
	;; [unrolled: 1-line block ×4, first 2 shown]
	v_mov_b32_e32 v4, s35
	s_waitcnt vmcnt(0)
	flat_store_dwordx4 v[5:6], v[0:3]
	s_clause 0x3
	buffer_load_dword v0, v4, s[0:3], 0 offen
	buffer_load_dword v1, v4, s[0:3], 0 offen offset:4
	buffer_load_dword v2, v4, s[0:3], 0 offen offset:8
	buffer_load_dword v3, v4, s[0:3], 0 offen offset:12
	v_mov_b32_e32 v4, s34
	s_waitcnt vmcnt(0)
	flat_store_dwordx4 v[7:8], v[0:3]
	s_clause 0x3
	buffer_load_dword v0, v4, s[0:3], 0 offen
	buffer_load_dword v1, v4, s[0:3], 0 offen offset:4
	buffer_load_dword v2, v4, s[0:3], 0 offen offset:8
	buffer_load_dword v3, v4, s[0:3], 0 offen offset:12
	;; [unrolled: 8-line block ×23, first 2 shown]
	s_waitcnt vmcnt(0)
	flat_store_dwordx4 v[51:52], v[0:3]
	s_endpgm
	.section	.rodata,"a",@progbits
	.p2align	6, 0x0
	.amdhsa_kernel _ZN9rocsolver6v33100L18getri_kernel_smallILi24E19rocblas_complex_numIdEPKPS3_EEvT1_iilPiilS8_bb
		.amdhsa_group_segment_fixed_size 776
		.amdhsa_private_segment_fixed_size 416
		.amdhsa_kernarg_size 60
		.amdhsa_user_sgpr_count 6
		.amdhsa_user_sgpr_private_segment_buffer 1
		.amdhsa_user_sgpr_dispatch_ptr 0
		.amdhsa_user_sgpr_queue_ptr 0
		.amdhsa_user_sgpr_kernarg_segment_ptr 1
		.amdhsa_user_sgpr_dispatch_id 0
		.amdhsa_user_sgpr_flat_scratch_init 0
		.amdhsa_user_sgpr_private_segment_size 0
		.amdhsa_wavefront_size32 1
		.amdhsa_uses_dynamic_stack 0
		.amdhsa_system_sgpr_private_segment_wavefront_offset 1
		.amdhsa_system_sgpr_workgroup_id_x 1
		.amdhsa_system_sgpr_workgroup_id_y 0
		.amdhsa_system_sgpr_workgroup_id_z 0
		.amdhsa_system_sgpr_workgroup_info 0
		.amdhsa_system_vgpr_workitem_id 0
		.amdhsa_next_free_vgpr 141
		.amdhsa_next_free_sgpr 46
		.amdhsa_reserve_vcc 1
		.amdhsa_reserve_flat_scratch 0
		.amdhsa_float_round_mode_32 0
		.amdhsa_float_round_mode_16_64 0
		.amdhsa_float_denorm_mode_32 3
		.amdhsa_float_denorm_mode_16_64 3
		.amdhsa_dx10_clamp 1
		.amdhsa_ieee_mode 1
		.amdhsa_fp16_overflow 0
		.amdhsa_workgroup_processor_mode 1
		.amdhsa_memory_ordered 1
		.amdhsa_forward_progress 1
		.amdhsa_shared_vgpr_count 0
		.amdhsa_exception_fp_ieee_invalid_op 0
		.amdhsa_exception_fp_denorm_src 0
		.amdhsa_exception_fp_ieee_div_zero 0
		.amdhsa_exception_fp_ieee_overflow 0
		.amdhsa_exception_fp_ieee_underflow 0
		.amdhsa_exception_fp_ieee_inexact 0
		.amdhsa_exception_int_div_zero 0
	.end_amdhsa_kernel
	.section	.text._ZN9rocsolver6v33100L18getri_kernel_smallILi24E19rocblas_complex_numIdEPKPS3_EEvT1_iilPiilS8_bb,"axG",@progbits,_ZN9rocsolver6v33100L18getri_kernel_smallILi24E19rocblas_complex_numIdEPKPS3_EEvT1_iilPiilS8_bb,comdat
.Lfunc_end87:
	.size	_ZN9rocsolver6v33100L18getri_kernel_smallILi24E19rocblas_complex_numIdEPKPS3_EEvT1_iilPiilS8_bb, .Lfunc_end87-_ZN9rocsolver6v33100L18getri_kernel_smallILi24E19rocblas_complex_numIdEPKPS3_EEvT1_iilPiilS8_bb
                                        ; -- End function
	.set _ZN9rocsolver6v33100L18getri_kernel_smallILi24E19rocblas_complex_numIdEPKPS3_EEvT1_iilPiilS8_bb.num_vgpr, 141
	.set _ZN9rocsolver6v33100L18getri_kernel_smallILi24E19rocblas_complex_numIdEPKPS3_EEvT1_iilPiilS8_bb.num_agpr, 0
	.set _ZN9rocsolver6v33100L18getri_kernel_smallILi24E19rocblas_complex_numIdEPKPS3_EEvT1_iilPiilS8_bb.numbered_sgpr, 46
	.set _ZN9rocsolver6v33100L18getri_kernel_smallILi24E19rocblas_complex_numIdEPKPS3_EEvT1_iilPiilS8_bb.num_named_barrier, 0
	.set _ZN9rocsolver6v33100L18getri_kernel_smallILi24E19rocblas_complex_numIdEPKPS3_EEvT1_iilPiilS8_bb.private_seg_size, 416
	.set _ZN9rocsolver6v33100L18getri_kernel_smallILi24E19rocblas_complex_numIdEPKPS3_EEvT1_iilPiilS8_bb.uses_vcc, 1
	.set _ZN9rocsolver6v33100L18getri_kernel_smallILi24E19rocblas_complex_numIdEPKPS3_EEvT1_iilPiilS8_bb.uses_flat_scratch, 0
	.set _ZN9rocsolver6v33100L18getri_kernel_smallILi24E19rocblas_complex_numIdEPKPS3_EEvT1_iilPiilS8_bb.has_dyn_sized_stack, 0
	.set _ZN9rocsolver6v33100L18getri_kernel_smallILi24E19rocblas_complex_numIdEPKPS3_EEvT1_iilPiilS8_bb.has_recursion, 0
	.set _ZN9rocsolver6v33100L18getri_kernel_smallILi24E19rocblas_complex_numIdEPKPS3_EEvT1_iilPiilS8_bb.has_indirect_call, 0
	.section	.AMDGPU.csdata,"",@progbits
; Kernel info:
; codeLenInByte = 49392
; TotalNumSgprs: 48
; NumVgprs: 141
; ScratchSize: 416
; MemoryBound: 0
; FloatMode: 240
; IeeeMode: 1
; LDSByteSize: 776 bytes/workgroup (compile time only)
; SGPRBlocks: 0
; VGPRBlocks: 17
; NumSGPRsForWavesPerEU: 48
; NumVGPRsForWavesPerEU: 141
; Occupancy: 7
; WaveLimiterHint : 1
; COMPUTE_PGM_RSRC2:SCRATCH_EN: 1
; COMPUTE_PGM_RSRC2:USER_SGPR: 6
; COMPUTE_PGM_RSRC2:TRAP_HANDLER: 0
; COMPUTE_PGM_RSRC2:TGID_X_EN: 1
; COMPUTE_PGM_RSRC2:TGID_Y_EN: 0
; COMPUTE_PGM_RSRC2:TGID_Z_EN: 0
; COMPUTE_PGM_RSRC2:TIDIG_COMP_CNT: 0
	.section	.text._ZN9rocsolver6v33100L18getri_kernel_smallILi25E19rocblas_complex_numIdEPKPS3_EEvT1_iilPiilS8_bb,"axG",@progbits,_ZN9rocsolver6v33100L18getri_kernel_smallILi25E19rocblas_complex_numIdEPKPS3_EEvT1_iilPiilS8_bb,comdat
	.globl	_ZN9rocsolver6v33100L18getri_kernel_smallILi25E19rocblas_complex_numIdEPKPS3_EEvT1_iilPiilS8_bb ; -- Begin function _ZN9rocsolver6v33100L18getri_kernel_smallILi25E19rocblas_complex_numIdEPKPS3_EEvT1_iilPiilS8_bb
	.p2align	8
	.type	_ZN9rocsolver6v33100L18getri_kernel_smallILi25E19rocblas_complex_numIdEPKPS3_EEvT1_iilPiilS8_bb,@function
_ZN9rocsolver6v33100L18getri_kernel_smallILi25E19rocblas_complex_numIdEPKPS3_EEvT1_iilPiilS8_bb: ; @_ZN9rocsolver6v33100L18getri_kernel_smallILi25E19rocblas_complex_numIdEPKPS3_EEvT1_iilPiilS8_bb
; %bb.0:
	s_add_u32 s0, s0, s7
	s_addc_u32 s1, s1, 0
	s_mov_b32 s7, exec_lo
	v_cmpx_gt_u32_e32 25, v0
	s_cbranch_execz .LBB88_114
; %bb.1:
	s_clause 0x2
	s_load_dword s16, s[4:5], 0x38
	s_load_dwordx2 s[12:13], s[4:5], 0x0
	s_load_dwordx4 s[8:11], s[4:5], 0x28
	s_waitcnt lgkmcnt(0)
	s_bitcmp1_b32 s16, 8
	s_cselect_b32 s37, -1, 0
	s_ashr_i32 s7, s6, 31
	s_lshl_b64 s[14:15], s[6:7], 3
	s_add_u32 s12, s12, s14
	s_addc_u32 s13, s13, s15
	s_load_dwordx2 s[14:15], s[12:13], 0x0
	s_bfe_u32 s12, s16, 0x10008
	s_cmp_eq_u32 s12, 0
                                        ; implicit-def: $sgpr12_sgpr13
	s_cbranch_scc1 .LBB88_3
; %bb.2:
	s_clause 0x1
	s_load_dword s12, s[4:5], 0x20
	s_load_dwordx2 s[16:17], s[4:5], 0x18
	s_mul_i32 s13, s8, s7
	s_mul_hi_u32 s18, s8, s6
	s_mul_i32 s9, s9, s6
	s_add_i32 s13, s18, s13
	s_mul_i32 s8, s8, s6
	s_add_i32 s9, s13, s9
	s_lshl_b64 s[8:9], s[8:9], 2
	s_waitcnt lgkmcnt(0)
	s_ashr_i32 s13, s12, 31
	s_add_u32 s16, s16, s8
	s_addc_u32 s17, s17, s9
	s_lshl_b64 s[8:9], s[12:13], 2
	s_add_u32 s12, s16, s8
	s_addc_u32 s13, s17, s9
.LBB88_3:
	s_clause 0x1
	s_load_dwordx2 s[8:9], s[4:5], 0x8
	s_load_dword s4, s[4:5], 0x38
	v_lshlrev_b32_e32 v61, 4, v0
	s_movk_i32 s18, 0xb0
	s_movk_i32 s19, 0xc0
	;; [unrolled: 1-line block ×14, first 2 shown]
	s_mov_b32 s36, 32
	s_mov_b32 s35, 48
	;; [unrolled: 1-line block ×3, first 2 shown]
	s_waitcnt lgkmcnt(0)
	s_ashr_i32 s17, s8, 31
	s_mov_b32 s16, s8
	v_add3_u32 v11, s9, s9, v0
	s_lshl_b64 s[16:17], s[16:17], 4
	s_movk_i32 s33, 0x50
	s_add_u32 s5, s14, s16
	s_addc_u32 s8, s15, s17
	v_add_co_u32 v5, s14, s5, v61
	v_add_co_ci_u32_e64 v6, null, s8, 0, s14
	s_mov_b32 s14, s9
	s_ashr_i32 s15, s9, 31
	v_ashrrev_i32_e32 v12, 31, v11
	flat_load_dwordx4 v[1:4], v[5:6]
	s_lshl_b64 s[14:15], s[14:15], 4
	v_add_nc_u32_e32 v13, s9, v11
	v_add_co_u32 v7, vcc_lo, v5, s14
	v_add_co_ci_u32_e64 v8, null, s15, v6, vcc_lo
	v_lshlrev_b64 v[9:10], 4, v[11:12]
	v_ashrrev_i32_e32 v14, 31, v13
	v_add_nc_u32_e32 v15, s9, v13
	s_movk_i32 s14, 0x70
	s_movk_i32 s15, 0x80
	;; [unrolled: 1-line block ×3, first 2 shown]
	v_add_co_u32 v9, vcc_lo, s5, v9
	v_add_co_ci_u32_e64 v10, null, s8, v10, vcc_lo
	v_lshlrev_b64 v[11:12], 4, v[13:14]
	v_ashrrev_i32_e32 v16, 31, v15
	v_add_nc_u32_e32 v17, s9, v15
	s_movk_i32 s17, 0xa0
	s_add_i32 s29, s14, 16
	s_add_i32 s28, s15, 16
	v_add_co_u32 v11, vcc_lo, s5, v11
	v_add_co_ci_u32_e64 v12, null, s8, v12, vcc_lo
	v_lshlrev_b64 v[13:14], 4, v[15:16]
	v_ashrrev_i32_e32 v18, 31, v17
	v_add_nc_u32_e32 v19, s9, v17
	s_add_i32 s27, s16, 16
	s_add_i32 s26, s17, 16
	s_add_i32 s25, s18, 16
	v_add_co_u32 v13, vcc_lo, s5, v13
	v_add_co_ci_u32_e64 v14, null, s8, v14, vcc_lo
	v_lshlrev_b64 v[15:16], 4, v[17:18]
	v_ashrrev_i32_e32 v20, 31, v19
	v_add_nc_u32_e32 v21, s9, v19
	s_add_i32 s24, s19, 16
	;; [unrolled: 8-line block ×5, first 2 shown]
	s_add_i32 s14, s45, 16
	s_waitcnt vmcnt(0) lgkmcnt(0)
	buffer_store_dword v4, off, s[0:3], 0 offset:28
	buffer_store_dword v3, off, s[0:3], 0 offset:24
	buffer_store_dword v2, off, s[0:3], 0 offset:20
	buffer_store_dword v1, off, s[0:3], 0 offset:16
	flat_load_dwordx4 v[1:4], v[7:8]
	v_add_co_u32 v21, vcc_lo, s5, v21
	v_add_co_ci_u32_e64 v22, null, s8, v22, vcc_lo
	v_lshlrev_b64 v[23:24], 4, v[25:26]
	v_ashrrev_i32_e32 v28, 31, v27
	v_add_nc_u32_e32 v29, s9, v27
	s_waitcnt vmcnt(0) lgkmcnt(0)
	buffer_store_dword v4, off, s[0:3], 0 offset:44
	buffer_store_dword v3, off, s[0:3], 0 offset:40
	buffer_store_dword v2, off, s[0:3], 0 offset:36
	buffer_store_dword v1, off, s[0:3], 0 offset:32
	flat_load_dwordx4 v[1:4], v[9:10]
	v_add_co_u32 v23, vcc_lo, s5, v23
	v_add_co_ci_u32_e64 v24, null, s8, v24, vcc_lo
	v_lshlrev_b64 v[25:26], 4, v[27:28]
	v_ashrrev_i32_e32 v30, 31, v29
	v_add_nc_u32_e32 v31, s9, v29
	;; [unrolled: 11-line block ×13, first 2 shown]
	s_waitcnt vmcnt(0) lgkmcnt(0)
	buffer_store_dword v4, off, s[0:3], 0 offset:236
	buffer_store_dword v3, off, s[0:3], 0 offset:232
	buffer_store_dword v2, off, s[0:3], 0 offset:228
	buffer_store_dword v1, off, s[0:3], 0 offset:224
	flat_load_dwordx4 v[1:4], v[33:34]
	v_add_co_u32 v47, vcc_lo, s5, v47
	v_add_co_ci_u32_e64 v48, null, s8, v48, vcc_lo
	v_lshlrev_b64 v[49:50], 4, v[51:52]
	v_ashrrev_i32_e32 v54, 31, v53
	s_waitcnt vmcnt(0) lgkmcnt(0)
	buffer_store_dword v4, off, s[0:3], 0 offset:252
	buffer_store_dword v3, off, s[0:3], 0 offset:248
	;; [unrolled: 1-line block ×4, first 2 shown]
	flat_load_dwordx4 v[1:4], v[35:36]
	v_add_co_u32 v49, vcc_lo, s5, v49
	v_add_co_ci_u32_e64 v50, null, s8, v50, vcc_lo
	v_lshlrev_b64 v[51:52], 4, v[53:54]
	v_add_nc_u32_e32 v53, s9, v53
	s_movk_i32 s9, 0x60
	s_waitcnt vmcnt(0) lgkmcnt(0)
	buffer_store_dword v4, off, s[0:3], 0 offset:268
	buffer_store_dword v3, off, s[0:3], 0 offset:264
	;; [unrolled: 1-line block ×4, first 2 shown]
	flat_load_dwordx4 v[1:4], v[37:38]
	v_add_co_u32 v51, vcc_lo, s5, v51
	v_add_co_ci_u32_e64 v52, null, s8, v52, vcc_lo
	v_ashrrev_i32_e32 v54, 31, v53
	s_add_i32 s30, s9, 16
	s_add_i32 s9, s46, 16
	s_waitcnt vmcnt(0) lgkmcnt(0)
	buffer_store_dword v4, off, s[0:3], 0 offset:284
	buffer_store_dword v3, off, s[0:3], 0 offset:280
	buffer_store_dword v2, off, s[0:3], 0 offset:276
	buffer_store_dword v1, off, s[0:3], 0 offset:272
	flat_load_dwordx4 v[1:4], v[39:40]
	v_lshlrev_b64 v[53:54], 4, v[53:54]
	s_waitcnt vmcnt(0) lgkmcnt(0)
	buffer_store_dword v4, off, s[0:3], 0 offset:300
	buffer_store_dword v3, off, s[0:3], 0 offset:296
	;; [unrolled: 1-line block ×4, first 2 shown]
	flat_load_dwordx4 v[1:4], v[41:42]
	v_add_co_u32 v53, vcc_lo, s5, v53
	v_add_co_ci_u32_e64 v54, null, s8, v54, vcc_lo
	s_movk_i32 s8, 0x50
	s_mov_b32 s5, -1
	s_add_i32 s31, s8, 16
	s_add_i32 s8, s47, 16
	s_bitcmp0_b32 s4, 0
	s_waitcnt vmcnt(0) lgkmcnt(0)
	buffer_store_dword v4, off, s[0:3], 0 offset:316
	buffer_store_dword v3, off, s[0:3], 0 offset:312
	buffer_store_dword v2, off, s[0:3], 0 offset:308
	buffer_store_dword v1, off, s[0:3], 0 offset:304
	flat_load_dwordx4 v[1:4], v[43:44]
	s_waitcnt vmcnt(0) lgkmcnt(0)
	buffer_store_dword v4, off, s[0:3], 0 offset:332
	buffer_store_dword v3, off, s[0:3], 0 offset:328
	buffer_store_dword v2, off, s[0:3], 0 offset:324
	buffer_store_dword v1, off, s[0:3], 0 offset:320
	flat_load_dwordx4 v[1:4], v[45:46]
	;; [unrolled: 6-line block ×6, first 2 shown]
	s_waitcnt vmcnt(0) lgkmcnt(0)
	buffer_store_dword v4, off, s[0:3], 0 offset:412
	buffer_store_dword v3, off, s[0:3], 0 offset:408
	;; [unrolled: 1-line block ×4, first 2 shown]
	s_cbranch_scc1 .LBB88_112
; %bb.4:
	v_cmp_eq_u32_e64 s4, 0, v0
	s_and_saveexec_b32 s5, s4
; %bb.5:
	v_mov_b32_e32 v1, 0
	ds_write_b32 v1, v1 offset:800
; %bb.6:
	s_or_b32 exec_lo, exec_lo, s5
	v_lshl_add_u32 v62, v0, 4, 16
	s_waitcnt lgkmcnt(0)
	s_waitcnt_vscnt null, 0x0
	s_barrier
	buffer_gl0_inv
	s_clause 0x3
	buffer_load_dword v1, v62, s[0:3], 0 offen
	buffer_load_dword v2, v62, s[0:3], 0 offen offset:4
	buffer_load_dword v3, v62, s[0:3], 0 offen offset:8
	;; [unrolled: 1-line block ×3, first 2 shown]
	s_waitcnt vmcnt(2)
	v_cmp_eq_f64_e32 vcc_lo, 0, v[1:2]
	s_waitcnt vmcnt(0)
	v_cmp_eq_f64_e64 s5, 0, v[3:4]
	s_and_b32 s5, vcc_lo, s5
	s_and_saveexec_b32 s38, s5
	s_cbranch_execz .LBB88_10
; %bb.7:
	v_mov_b32_e32 v1, 0
	s_mov_b32 s39, 0
	ds_read_b32 v2, v1 offset:800
	s_waitcnt lgkmcnt(0)
	v_readfirstlane_b32 s5, v2
	v_add_nc_u32_e32 v2, 1, v0
	s_cmp_eq_u32 s5, 0
	v_cmp_gt_i32_e32 vcc_lo, s5, v2
	s_cselect_b32 s40, -1, 0
	s_or_b32 s40, s40, vcc_lo
	s_and_b32 exec_lo, exec_lo, s40
	s_cbranch_execz .LBB88_10
; %bb.8:
	v_mov_b32_e32 v3, s5
.LBB88_9:                               ; =>This Inner Loop Header: Depth=1
	ds_cmpst_rtn_b32 v3, v1, v3, v2 offset:800
	s_waitcnt lgkmcnt(0)
	v_cmp_ne_u32_e32 vcc_lo, 0, v3
	v_cmp_le_i32_e64 s5, v3, v2
	s_and_b32 s5, vcc_lo, s5
	s_and_b32 s5, exec_lo, s5
	s_or_b32 s39, s5, s39
	s_andn2_b32 exec_lo, exec_lo, s39
	s_cbranch_execnz .LBB88_9
.LBB88_10:
	s_or_b32 exec_lo, exec_lo, s38
	v_mov_b32_e32 v1, 0
	s_barrier
	buffer_gl0_inv
	ds_read_b32 v2, v1 offset:800
	s_and_saveexec_b32 s5, s4
	s_cbranch_execz .LBB88_12
; %bb.11:
	s_lshl_b64 s[38:39], s[6:7], 2
	s_add_u32 s38, s10, s38
	s_addc_u32 s39, s11, s39
	s_waitcnt lgkmcnt(0)
	global_store_dword v1, v2, s[38:39]
.LBB88_12:
	s_or_b32 exec_lo, exec_lo, s5
	s_waitcnt lgkmcnt(0)
	v_cmp_ne_u32_e32 vcc_lo, 0, v2
	s_mov_b32 s5, 0
	s_cbranch_vccnz .LBB88_112
; %bb.13:
	s_clause 0x3
	buffer_load_dword v57, v62, s[0:3], 0 offen
	buffer_load_dword v58, v62, s[0:3], 0 offen offset:4
	buffer_load_dword v59, v62, s[0:3], 0 offen offset:8
	;; [unrolled: 1-line block ×3, first 2 shown]
                                        ; implicit-def: $vgpr55_vgpr56
                                        ; implicit-def: $vgpr3_vgpr4
	s_waitcnt vmcnt(0)
	v_cmp_ngt_f64_e64 s5, |v[57:58]|, |v[59:60]|
	s_and_saveexec_b32 s38, s5
	s_xor_b32 s5, exec_lo, s38
	s_cbranch_execz .LBB88_15
; %bb.14:
	v_div_scale_f64 v[1:2], null, v[59:60], v[59:60], v[57:58]
	v_div_scale_f64 v[63:64], vcc_lo, v[57:58], v[59:60], v[57:58]
	v_rcp_f64_e32 v[3:4], v[1:2]
	v_fma_f64 v[55:56], -v[1:2], v[3:4], 1.0
	v_fma_f64 v[3:4], v[3:4], v[55:56], v[3:4]
	v_fma_f64 v[55:56], -v[1:2], v[3:4], 1.0
	v_fma_f64 v[3:4], v[3:4], v[55:56], v[3:4]
	v_mul_f64 v[55:56], v[63:64], v[3:4]
	v_fma_f64 v[1:2], -v[1:2], v[55:56], v[63:64]
	v_div_fmas_f64 v[1:2], v[1:2], v[3:4], v[55:56]
	v_div_fixup_f64 v[1:2], v[1:2], v[59:60], v[57:58]
	v_fma_f64 v[3:4], v[57:58], v[1:2], v[59:60]
	v_div_scale_f64 v[55:56], null, v[3:4], v[3:4], 1.0
	v_div_scale_f64 v[63:64], vcc_lo, 1.0, v[3:4], 1.0
	v_rcp_f64_e32 v[57:58], v[55:56]
	v_fma_f64 v[59:60], -v[55:56], v[57:58], 1.0
	v_fma_f64 v[57:58], v[57:58], v[59:60], v[57:58]
	v_fma_f64 v[59:60], -v[55:56], v[57:58], 1.0
	v_fma_f64 v[57:58], v[57:58], v[59:60], v[57:58]
	v_mul_f64 v[59:60], v[63:64], v[57:58]
	v_fma_f64 v[55:56], -v[55:56], v[59:60], v[63:64]
	v_div_fmas_f64 v[55:56], v[55:56], v[57:58], v[59:60]
                                        ; implicit-def: $vgpr57_vgpr58
                                        ; implicit-def: $vgpr59_vgpr60
	v_div_fixup_f64 v[3:4], v[55:56], v[3:4], 1.0
	v_mul_f64 v[55:56], v[1:2], v[3:4]
	v_xor_b32_e32 v4, 0x80000000, v4
	v_xor_b32_e32 v2, 0x80000000, v56
	v_mov_b32_e32 v1, v55
.LBB88_15:
	s_andn2_saveexec_b32 s5, s5
	s_cbranch_execz .LBB88_17
; %bb.16:
	v_div_scale_f64 v[1:2], null, v[57:58], v[57:58], v[59:60]
	v_div_scale_f64 v[63:64], vcc_lo, v[59:60], v[57:58], v[59:60]
	v_rcp_f64_e32 v[3:4], v[1:2]
	v_fma_f64 v[55:56], -v[1:2], v[3:4], 1.0
	v_fma_f64 v[3:4], v[3:4], v[55:56], v[3:4]
	v_fma_f64 v[55:56], -v[1:2], v[3:4], 1.0
	v_fma_f64 v[3:4], v[3:4], v[55:56], v[3:4]
	v_mul_f64 v[55:56], v[63:64], v[3:4]
	v_fma_f64 v[1:2], -v[1:2], v[55:56], v[63:64]
	v_div_fmas_f64 v[1:2], v[1:2], v[3:4], v[55:56]
	v_div_fixup_f64 v[1:2], v[1:2], v[57:58], v[59:60]
	v_fma_f64 v[3:4], v[59:60], v[1:2], v[57:58]
	v_div_scale_f64 v[55:56], null, v[3:4], v[3:4], 1.0
	v_rcp_f64_e32 v[57:58], v[55:56]
	v_fma_f64 v[59:60], -v[55:56], v[57:58], 1.0
	v_fma_f64 v[57:58], v[57:58], v[59:60], v[57:58]
	v_fma_f64 v[59:60], -v[55:56], v[57:58], 1.0
	v_fma_f64 v[57:58], v[57:58], v[59:60], v[57:58]
	v_div_scale_f64 v[59:60], vcc_lo, 1.0, v[3:4], 1.0
	v_mul_f64 v[63:64], v[59:60], v[57:58]
	v_fma_f64 v[55:56], -v[55:56], v[63:64], v[59:60]
	v_div_fmas_f64 v[55:56], v[55:56], v[57:58], v[63:64]
	v_div_fixup_f64 v[55:56], v[55:56], v[3:4], 1.0
	v_mul_f64 v[3:4], v[1:2], -v[55:56]
	v_xor_b32_e32 v2, 0x80000000, v56
	v_mov_b32_e32 v1, v55
.LBB88_17:
	s_or_b32 exec_lo, exec_lo, s5
	v_mov_b32_e32 v60, s36
	buffer_store_dword v56, v62, s[0:3], 0 offen offset:4
	buffer_store_dword v55, v62, s[0:3], 0 offen
	buffer_store_dword v4, v62, s[0:3], 0 offen offset:12
	buffer_store_dword v3, v62, s[0:3], 0 offen offset:8
	v_xor_b32_e32 v4, 0x80000000, v4
	v_add_nc_u32_e32 v55, 0x190, v61
	s_clause 0x3
	buffer_load_dword v59, v60, s[0:3], 0 offen offset:12
	buffer_load_dword v58, v60, s[0:3], 0 offen offset:8
	;; [unrolled: 1-line block ×3, first 2 shown]
	buffer_load_dword v56, v60, s[0:3], 0 offen
	ds_write_b128 v61, v[1:4]
	s_waitcnt vmcnt(0)
	ds_write_b128 v61, v[56:59] offset:400
	s_waitcnt lgkmcnt(0)
	s_waitcnt_vscnt null, 0x0
	s_barrier
	buffer_gl0_inv
	s_and_saveexec_b32 s5, s4
	s_cbranch_execz .LBB88_19
; %bb.18:
	s_clause 0x3
	buffer_load_dword v63, v62, s[0:3], 0 offen offset:8
	buffer_load_dword v64, v62, s[0:3], 0 offen offset:12
	buffer_load_dword v65, v62, s[0:3], 0 offen
	buffer_load_dword v66, v62, s[0:3], 0 offen offset:4
	ds_read_b128 v[1:4], v55
	v_mov_b32_e32 v56, 0
	ds_read_b128 v[56:59], v56 offset:16
	s_waitcnt vmcnt(2) lgkmcnt(1)
	v_mul_f64 v[67:68], v[1:2], v[63:64]
	v_mul_f64 v[63:64], v[3:4], v[63:64]
	s_waitcnt vmcnt(0)
	v_fma_f64 v[3:4], v[3:4], v[65:66], v[67:68]
	v_fma_f64 v[1:2], v[1:2], v[65:66], -v[63:64]
	v_add_f64 v[3:4], v[3:4], 0
	v_add_f64 v[1:2], v[1:2], 0
	s_waitcnt lgkmcnt(0)
	v_mul_f64 v[63:64], v[3:4], v[58:59]
	v_mul_f64 v[58:59], v[1:2], v[58:59]
	v_fma_f64 v[1:2], v[1:2], v[56:57], -v[63:64]
	v_fma_f64 v[3:4], v[3:4], v[56:57], v[58:59]
	buffer_store_dword v1, off, s[0:3], 0 offset:32
	buffer_store_dword v2, off, s[0:3], 0 offset:36
	;; [unrolled: 1-line block ×4, first 2 shown]
.LBB88_19:
	s_or_b32 exec_lo, exec_lo, s5
	v_mov_b32_e32 v4, s35
	s_waitcnt_vscnt null, 0x0
	s_barrier
	buffer_gl0_inv
	s_mov_b32 s5, exec_lo
	s_clause 0x3
	buffer_load_dword v1, v4, s[0:3], 0 offen
	buffer_load_dword v2, v4, s[0:3], 0 offen offset:4
	buffer_load_dword v3, v4, s[0:3], 0 offen offset:8
	;; [unrolled: 1-line block ×3, first 2 shown]
	s_waitcnt vmcnt(0)
	ds_write_b128 v55, v[1:4]
	s_waitcnt lgkmcnt(0)
	s_barrier
	buffer_gl0_inv
	v_cmpx_gt_u32_e32 2, v0
	s_cbranch_execz .LBB88_23
; %bb.20:
	s_clause 0x3
	buffer_load_dword v56, v62, s[0:3], 0 offen offset:8
	buffer_load_dword v57, v62, s[0:3], 0 offen offset:12
	buffer_load_dword v58, v62, s[0:3], 0 offen
	buffer_load_dword v59, v62, s[0:3], 0 offen offset:4
	ds_read_b128 v[1:4], v55
	s_waitcnt vmcnt(2) lgkmcnt(0)
	v_mul_f64 v[62:63], v[3:4], v[56:57]
	v_mul_f64 v[56:57], v[1:2], v[56:57]
	s_waitcnt vmcnt(0)
	v_fma_f64 v[1:2], v[1:2], v[58:59], -v[62:63]
	v_fma_f64 v[3:4], v[3:4], v[58:59], v[56:57]
	v_add_f64 v[1:2], v[1:2], 0
	v_add_f64 v[3:4], v[3:4], 0
	s_and_saveexec_b32 s38, s4
	s_cbranch_execz .LBB88_22
; %bb.21:
	s_clause 0x3
	buffer_load_dword v62, off, s[0:3], 0 offset:40
	buffer_load_dword v63, off, s[0:3], 0 offset:44
	;; [unrolled: 1-line block ×4, first 2 shown]
	v_mov_b32_e32 v56, 0
	ds_read_b128 v[56:59], v56 offset:416
	s_waitcnt vmcnt(2) lgkmcnt(0)
	v_mul_f64 v[66:67], v[56:57], v[62:63]
	v_mul_f64 v[62:63], v[58:59], v[62:63]
	s_waitcnt vmcnt(0)
	v_fma_f64 v[58:59], v[58:59], v[64:65], v[66:67]
	v_fma_f64 v[56:57], v[56:57], v[64:65], -v[62:63]
	v_add_f64 v[3:4], v[3:4], v[58:59]
	v_add_f64 v[1:2], v[1:2], v[56:57]
.LBB88_22:
	s_or_b32 exec_lo, exec_lo, s38
	v_mov_b32_e32 v56, 0
	ds_read_b128 v[56:59], v56 offset:32
	s_waitcnt lgkmcnt(0)
	v_mul_f64 v[62:63], v[3:4], v[58:59]
	v_mul_f64 v[58:59], v[1:2], v[58:59]
	v_fma_f64 v[1:2], v[1:2], v[56:57], -v[62:63]
	v_fma_f64 v[3:4], v[3:4], v[56:57], v[58:59]
	buffer_store_dword v2, off, s[0:3], 0 offset:52
	buffer_store_dword v1, off, s[0:3], 0 offset:48
	;; [unrolled: 1-line block ×4, first 2 shown]
.LBB88_23:
	s_or_b32 exec_lo, exec_lo, s5
	v_mov_b32_e32 v4, s34
	s_waitcnt_vscnt null, 0x0
	s_barrier
	buffer_gl0_inv
	v_add_nc_u32_e32 v56, -1, v0
	s_clause 0x3
	buffer_load_dword v1, v4, s[0:3], 0 offen
	buffer_load_dword v2, v4, s[0:3], 0 offen offset:4
	buffer_load_dword v3, v4, s[0:3], 0 offen offset:8
	buffer_load_dword v4, v4, s[0:3], 0 offen offset:12
	s_mov_b32 s4, exec_lo
	s_waitcnt vmcnt(0)
	ds_write_b128 v55, v[1:4]
	s_waitcnt lgkmcnt(0)
	s_barrier
	buffer_gl0_inv
	v_cmpx_gt_u32_e32 3, v0
	s_cbranch_execz .LBB88_27
; %bb.24:
	v_mov_b32_e32 v1, 0
	v_mov_b32_e32 v3, 0
	v_add_nc_u32_e32 v57, -1, v0
	v_add_nc_u32_e32 v58, 0x190, v61
	v_mov_b32_e32 v2, 0
	v_mov_b32_e32 v4, 0
	v_add_nc_u32_e32 v59, 16, v61
	s_mov_b32 s5, 0
	.p2align	6
.LBB88_25:                              ; =>This Inner Loop Header: Depth=1
	s_clause 0x3
	buffer_load_dword v66, v59, s[0:3], 0 offen offset:8
	buffer_load_dword v67, v59, s[0:3], 0 offen offset:12
	buffer_load_dword v68, v59, s[0:3], 0 offen
	buffer_load_dword v69, v59, s[0:3], 0 offen offset:4
	ds_read_b128 v[62:65], v58
	v_add_nc_u32_e32 v57, 1, v57
	v_add_nc_u32_e32 v58, 16, v58
	;; [unrolled: 1-line block ×3, first 2 shown]
	v_cmp_lt_u32_e32 vcc_lo, 1, v57
	s_or_b32 s5, vcc_lo, s5
	s_waitcnt vmcnt(2) lgkmcnt(0)
	v_mul_f64 v[70:71], v[64:65], v[66:67]
	v_mul_f64 v[66:67], v[62:63], v[66:67]
	s_waitcnt vmcnt(0)
	v_fma_f64 v[62:63], v[62:63], v[68:69], -v[70:71]
	v_fma_f64 v[64:65], v[64:65], v[68:69], v[66:67]
	v_add_f64 v[3:4], v[3:4], v[62:63]
	v_add_f64 v[1:2], v[1:2], v[64:65]
	s_andn2_b32 exec_lo, exec_lo, s5
	s_cbranch_execnz .LBB88_25
; %bb.26:
	s_or_b32 exec_lo, exec_lo, s5
	v_mov_b32_e32 v57, 0
	ds_read_b128 v[57:60], v57 offset:48
	s_waitcnt lgkmcnt(0)
	v_mul_f64 v[62:63], v[1:2], v[59:60]
	v_mul_f64 v[59:60], v[3:4], v[59:60]
	v_fma_f64 v[3:4], v[3:4], v[57:58], -v[62:63]
	v_fma_f64 v[1:2], v[1:2], v[57:58], v[59:60]
	buffer_store_dword v4, off, s[0:3], 0 offset:68
	buffer_store_dword v3, off, s[0:3], 0 offset:64
	;; [unrolled: 1-line block ×4, first 2 shown]
.LBB88_27:
	s_or_b32 exec_lo, exec_lo, s4
	v_mov_b32_e32 v4, s33
	s_waitcnt_vscnt null, 0x0
	s_barrier
	buffer_gl0_inv
	s_mov_b32 s4, exec_lo
	s_clause 0x3
	buffer_load_dword v1, v4, s[0:3], 0 offen
	buffer_load_dword v2, v4, s[0:3], 0 offen offset:4
	buffer_load_dword v3, v4, s[0:3], 0 offen offset:8
	;; [unrolled: 1-line block ×3, first 2 shown]
	s_waitcnt vmcnt(0)
	ds_write_b128 v55, v[1:4]
	s_waitcnt lgkmcnt(0)
	s_barrier
	buffer_gl0_inv
	v_cmpx_gt_u32_e32 4, v0
	s_cbranch_execz .LBB88_31
; %bb.28:
	v_mov_b32_e32 v1, 0
	v_mov_b32_e32 v3, 0
	v_add_nc_u32_e32 v57, -1, v0
	v_add_nc_u32_e32 v58, 0x190, v61
	v_mov_b32_e32 v2, 0
	v_mov_b32_e32 v4, 0
	v_add_nc_u32_e32 v59, 16, v61
	s_mov_b32 s5, 0
	.p2align	6
.LBB88_29:                              ; =>This Inner Loop Header: Depth=1
	s_clause 0x3
	buffer_load_dword v66, v59, s[0:3], 0 offen offset:8
	buffer_load_dword v67, v59, s[0:3], 0 offen offset:12
	buffer_load_dword v68, v59, s[0:3], 0 offen
	buffer_load_dword v69, v59, s[0:3], 0 offen offset:4
	ds_read_b128 v[62:65], v58
	v_add_nc_u32_e32 v57, 1, v57
	v_add_nc_u32_e32 v58, 16, v58
	;; [unrolled: 1-line block ×3, first 2 shown]
	v_cmp_lt_u32_e32 vcc_lo, 2, v57
	s_or_b32 s5, vcc_lo, s5
	s_waitcnt vmcnt(2) lgkmcnt(0)
	v_mul_f64 v[70:71], v[64:65], v[66:67]
	v_mul_f64 v[66:67], v[62:63], v[66:67]
	s_waitcnt vmcnt(0)
	v_fma_f64 v[62:63], v[62:63], v[68:69], -v[70:71]
	v_fma_f64 v[64:65], v[64:65], v[68:69], v[66:67]
	v_add_f64 v[3:4], v[3:4], v[62:63]
	v_add_f64 v[1:2], v[1:2], v[64:65]
	s_andn2_b32 exec_lo, exec_lo, s5
	s_cbranch_execnz .LBB88_29
; %bb.30:
	s_or_b32 exec_lo, exec_lo, s5
	v_mov_b32_e32 v57, 0
	ds_read_b128 v[57:60], v57 offset:64
	s_waitcnt lgkmcnt(0)
	v_mul_f64 v[62:63], v[1:2], v[59:60]
	v_mul_f64 v[59:60], v[3:4], v[59:60]
	v_fma_f64 v[3:4], v[3:4], v[57:58], -v[62:63]
	v_fma_f64 v[1:2], v[1:2], v[57:58], v[59:60]
	buffer_store_dword v4, off, s[0:3], 0 offset:84
	buffer_store_dword v3, off, s[0:3], 0 offset:80
	;; [unrolled: 1-line block ×4, first 2 shown]
.LBB88_31:
	s_or_b32 exec_lo, exec_lo, s4
	v_mov_b32_e32 v4, s31
	s_waitcnt_vscnt null, 0x0
	s_barrier
	buffer_gl0_inv
	s_mov_b32 s4, exec_lo
	s_clause 0x3
	buffer_load_dword v1, v4, s[0:3], 0 offen
	buffer_load_dword v2, v4, s[0:3], 0 offen offset:4
	buffer_load_dword v3, v4, s[0:3], 0 offen offset:8
	;; [unrolled: 1-line block ×3, first 2 shown]
	s_waitcnt vmcnt(0)
	ds_write_b128 v55, v[1:4]
	s_waitcnt lgkmcnt(0)
	s_barrier
	buffer_gl0_inv
	v_cmpx_gt_u32_e32 5, v0
	s_cbranch_execz .LBB88_35
; %bb.32:
	v_mov_b32_e32 v1, 0
	v_mov_b32_e32 v3, 0
	v_add_nc_u32_e32 v57, -1, v0
	v_add_nc_u32_e32 v58, 0x190, v61
	v_mov_b32_e32 v2, 0
	v_mov_b32_e32 v4, 0
	v_add_nc_u32_e32 v59, 16, v61
	s_mov_b32 s5, 0
	.p2align	6
.LBB88_33:                              ; =>This Inner Loop Header: Depth=1
	s_clause 0x3
	buffer_load_dword v66, v59, s[0:3], 0 offen offset:8
	buffer_load_dword v67, v59, s[0:3], 0 offen offset:12
	buffer_load_dword v68, v59, s[0:3], 0 offen
	buffer_load_dword v69, v59, s[0:3], 0 offen offset:4
	ds_read_b128 v[62:65], v58
	v_add_nc_u32_e32 v57, 1, v57
	v_add_nc_u32_e32 v58, 16, v58
	;; [unrolled: 1-line block ×3, first 2 shown]
	v_cmp_lt_u32_e32 vcc_lo, 3, v57
	s_or_b32 s5, vcc_lo, s5
	s_waitcnt vmcnt(2) lgkmcnt(0)
	v_mul_f64 v[70:71], v[64:65], v[66:67]
	v_mul_f64 v[66:67], v[62:63], v[66:67]
	s_waitcnt vmcnt(0)
	v_fma_f64 v[62:63], v[62:63], v[68:69], -v[70:71]
	v_fma_f64 v[64:65], v[64:65], v[68:69], v[66:67]
	v_add_f64 v[3:4], v[3:4], v[62:63]
	v_add_f64 v[1:2], v[1:2], v[64:65]
	s_andn2_b32 exec_lo, exec_lo, s5
	s_cbranch_execnz .LBB88_33
; %bb.34:
	s_or_b32 exec_lo, exec_lo, s5
	v_mov_b32_e32 v57, 0
	ds_read_b128 v[57:60], v57 offset:80
	s_waitcnt lgkmcnt(0)
	v_mul_f64 v[62:63], v[1:2], v[59:60]
	v_mul_f64 v[59:60], v[3:4], v[59:60]
	v_fma_f64 v[3:4], v[3:4], v[57:58], -v[62:63]
	v_fma_f64 v[1:2], v[1:2], v[57:58], v[59:60]
	buffer_store_dword v4, off, s[0:3], 0 offset:100
	buffer_store_dword v3, off, s[0:3], 0 offset:96
	;; [unrolled: 1-line block ×4, first 2 shown]
.LBB88_35:
	s_or_b32 exec_lo, exec_lo, s4
	v_mov_b32_e32 v4, s30
	s_waitcnt_vscnt null, 0x0
	s_barrier
	buffer_gl0_inv
	s_mov_b32 s4, exec_lo
	s_clause 0x3
	buffer_load_dword v1, v4, s[0:3], 0 offen
	buffer_load_dword v2, v4, s[0:3], 0 offen offset:4
	buffer_load_dword v3, v4, s[0:3], 0 offen offset:8
	;; [unrolled: 1-line block ×3, first 2 shown]
	s_waitcnt vmcnt(0)
	ds_write_b128 v55, v[1:4]
	s_waitcnt lgkmcnt(0)
	s_barrier
	buffer_gl0_inv
	v_cmpx_gt_u32_e32 6, v0
	s_cbranch_execz .LBB88_39
; %bb.36:
	v_mov_b32_e32 v1, 0
	v_mov_b32_e32 v3, 0
	v_add_nc_u32_e32 v57, -1, v0
	v_add_nc_u32_e32 v58, 0x190, v61
	v_mov_b32_e32 v2, 0
	v_mov_b32_e32 v4, 0
	v_add_nc_u32_e32 v59, 16, v61
	s_mov_b32 s5, 0
	.p2align	6
.LBB88_37:                              ; =>This Inner Loop Header: Depth=1
	s_clause 0x3
	buffer_load_dword v66, v59, s[0:3], 0 offen offset:8
	buffer_load_dword v67, v59, s[0:3], 0 offen offset:12
	buffer_load_dword v68, v59, s[0:3], 0 offen
	buffer_load_dword v69, v59, s[0:3], 0 offen offset:4
	ds_read_b128 v[62:65], v58
	v_add_nc_u32_e32 v57, 1, v57
	v_add_nc_u32_e32 v58, 16, v58
	;; [unrolled: 1-line block ×3, first 2 shown]
	v_cmp_lt_u32_e32 vcc_lo, 4, v57
	s_or_b32 s5, vcc_lo, s5
	s_waitcnt vmcnt(2) lgkmcnt(0)
	v_mul_f64 v[70:71], v[64:65], v[66:67]
	v_mul_f64 v[66:67], v[62:63], v[66:67]
	s_waitcnt vmcnt(0)
	v_fma_f64 v[62:63], v[62:63], v[68:69], -v[70:71]
	v_fma_f64 v[64:65], v[64:65], v[68:69], v[66:67]
	v_add_f64 v[3:4], v[3:4], v[62:63]
	v_add_f64 v[1:2], v[1:2], v[64:65]
	s_andn2_b32 exec_lo, exec_lo, s5
	s_cbranch_execnz .LBB88_37
; %bb.38:
	s_or_b32 exec_lo, exec_lo, s5
	v_mov_b32_e32 v57, 0
	ds_read_b128 v[57:60], v57 offset:96
	s_waitcnt lgkmcnt(0)
	v_mul_f64 v[62:63], v[1:2], v[59:60]
	v_mul_f64 v[59:60], v[3:4], v[59:60]
	v_fma_f64 v[3:4], v[3:4], v[57:58], -v[62:63]
	v_fma_f64 v[1:2], v[1:2], v[57:58], v[59:60]
	buffer_store_dword v4, off, s[0:3], 0 offset:116
	buffer_store_dword v3, off, s[0:3], 0 offset:112
	;; [unrolled: 1-line block ×4, first 2 shown]
.LBB88_39:
	s_or_b32 exec_lo, exec_lo, s4
	v_mov_b32_e32 v4, s29
	s_waitcnt_vscnt null, 0x0
	s_barrier
	buffer_gl0_inv
	s_mov_b32 s4, exec_lo
	s_clause 0x3
	buffer_load_dword v1, v4, s[0:3], 0 offen
	buffer_load_dword v2, v4, s[0:3], 0 offen offset:4
	buffer_load_dword v3, v4, s[0:3], 0 offen offset:8
	;; [unrolled: 1-line block ×3, first 2 shown]
	s_waitcnt vmcnt(0)
	ds_write_b128 v55, v[1:4]
	s_waitcnt lgkmcnt(0)
	s_barrier
	buffer_gl0_inv
	v_cmpx_gt_u32_e32 7, v0
	s_cbranch_execz .LBB88_43
; %bb.40:
	v_mov_b32_e32 v1, 0
	v_mov_b32_e32 v3, 0
	v_add_nc_u32_e32 v57, -1, v0
	v_add_nc_u32_e32 v58, 0x190, v61
	v_mov_b32_e32 v2, 0
	v_mov_b32_e32 v4, 0
	v_add_nc_u32_e32 v59, 16, v61
	s_mov_b32 s5, 0
	.p2align	6
.LBB88_41:                              ; =>This Inner Loop Header: Depth=1
	s_clause 0x3
	buffer_load_dword v66, v59, s[0:3], 0 offen offset:8
	buffer_load_dword v67, v59, s[0:3], 0 offen offset:12
	buffer_load_dword v68, v59, s[0:3], 0 offen
	buffer_load_dword v69, v59, s[0:3], 0 offen offset:4
	ds_read_b128 v[62:65], v58
	v_add_nc_u32_e32 v57, 1, v57
	v_add_nc_u32_e32 v58, 16, v58
	v_add_nc_u32_e32 v59, 16, v59
	v_cmp_lt_u32_e32 vcc_lo, 5, v57
	s_or_b32 s5, vcc_lo, s5
	s_waitcnt vmcnt(2) lgkmcnt(0)
	v_mul_f64 v[70:71], v[64:65], v[66:67]
	v_mul_f64 v[66:67], v[62:63], v[66:67]
	s_waitcnt vmcnt(0)
	v_fma_f64 v[62:63], v[62:63], v[68:69], -v[70:71]
	v_fma_f64 v[64:65], v[64:65], v[68:69], v[66:67]
	v_add_f64 v[3:4], v[3:4], v[62:63]
	v_add_f64 v[1:2], v[1:2], v[64:65]
	s_andn2_b32 exec_lo, exec_lo, s5
	s_cbranch_execnz .LBB88_41
; %bb.42:
	s_or_b32 exec_lo, exec_lo, s5
	v_mov_b32_e32 v57, 0
	ds_read_b128 v[57:60], v57 offset:112
	s_waitcnt lgkmcnt(0)
	v_mul_f64 v[62:63], v[1:2], v[59:60]
	v_mul_f64 v[59:60], v[3:4], v[59:60]
	v_fma_f64 v[3:4], v[3:4], v[57:58], -v[62:63]
	v_fma_f64 v[1:2], v[1:2], v[57:58], v[59:60]
	buffer_store_dword v4, off, s[0:3], 0 offset:132
	buffer_store_dword v3, off, s[0:3], 0 offset:128
	;; [unrolled: 1-line block ×4, first 2 shown]
.LBB88_43:
	s_or_b32 exec_lo, exec_lo, s4
	v_mov_b32_e32 v4, s28
	s_waitcnt_vscnt null, 0x0
	s_barrier
	buffer_gl0_inv
	s_mov_b32 s4, exec_lo
	s_clause 0x3
	buffer_load_dword v1, v4, s[0:3], 0 offen
	buffer_load_dword v2, v4, s[0:3], 0 offen offset:4
	buffer_load_dword v3, v4, s[0:3], 0 offen offset:8
	;; [unrolled: 1-line block ×3, first 2 shown]
	s_waitcnt vmcnt(0)
	ds_write_b128 v55, v[1:4]
	s_waitcnt lgkmcnt(0)
	s_barrier
	buffer_gl0_inv
	v_cmpx_gt_u32_e32 8, v0
	s_cbranch_execz .LBB88_47
; %bb.44:
	v_mov_b32_e32 v1, 0
	v_mov_b32_e32 v3, 0
	v_add_nc_u32_e32 v57, -1, v0
	v_add_nc_u32_e32 v58, 0x190, v61
	v_mov_b32_e32 v2, 0
	v_mov_b32_e32 v4, 0
	v_add_nc_u32_e32 v59, 16, v61
	s_mov_b32 s5, 0
	.p2align	6
.LBB88_45:                              ; =>This Inner Loop Header: Depth=1
	s_clause 0x3
	buffer_load_dword v66, v59, s[0:3], 0 offen offset:8
	buffer_load_dword v67, v59, s[0:3], 0 offen offset:12
	buffer_load_dword v68, v59, s[0:3], 0 offen
	buffer_load_dword v69, v59, s[0:3], 0 offen offset:4
	ds_read_b128 v[62:65], v58
	v_add_nc_u32_e32 v57, 1, v57
	v_add_nc_u32_e32 v58, 16, v58
	;; [unrolled: 1-line block ×3, first 2 shown]
	v_cmp_lt_u32_e32 vcc_lo, 6, v57
	s_or_b32 s5, vcc_lo, s5
	s_waitcnt vmcnt(2) lgkmcnt(0)
	v_mul_f64 v[70:71], v[64:65], v[66:67]
	v_mul_f64 v[66:67], v[62:63], v[66:67]
	s_waitcnt vmcnt(0)
	v_fma_f64 v[62:63], v[62:63], v[68:69], -v[70:71]
	v_fma_f64 v[64:65], v[64:65], v[68:69], v[66:67]
	v_add_f64 v[3:4], v[3:4], v[62:63]
	v_add_f64 v[1:2], v[1:2], v[64:65]
	s_andn2_b32 exec_lo, exec_lo, s5
	s_cbranch_execnz .LBB88_45
; %bb.46:
	s_or_b32 exec_lo, exec_lo, s5
	v_mov_b32_e32 v57, 0
	ds_read_b128 v[57:60], v57 offset:128
	s_waitcnt lgkmcnt(0)
	v_mul_f64 v[62:63], v[1:2], v[59:60]
	v_mul_f64 v[59:60], v[3:4], v[59:60]
	v_fma_f64 v[3:4], v[3:4], v[57:58], -v[62:63]
	v_fma_f64 v[1:2], v[1:2], v[57:58], v[59:60]
	buffer_store_dword v4, off, s[0:3], 0 offset:148
	buffer_store_dword v3, off, s[0:3], 0 offset:144
	;; [unrolled: 1-line block ×4, first 2 shown]
.LBB88_47:
	s_or_b32 exec_lo, exec_lo, s4
	v_mov_b32_e32 v4, s27
	s_waitcnt_vscnt null, 0x0
	s_barrier
	buffer_gl0_inv
	s_mov_b32 s4, exec_lo
	s_clause 0x3
	buffer_load_dword v1, v4, s[0:3], 0 offen
	buffer_load_dword v2, v4, s[0:3], 0 offen offset:4
	buffer_load_dword v3, v4, s[0:3], 0 offen offset:8
	;; [unrolled: 1-line block ×3, first 2 shown]
	s_waitcnt vmcnt(0)
	ds_write_b128 v55, v[1:4]
	s_waitcnt lgkmcnt(0)
	s_barrier
	buffer_gl0_inv
	v_cmpx_gt_u32_e32 9, v0
	s_cbranch_execz .LBB88_51
; %bb.48:
	v_mov_b32_e32 v1, 0
	v_mov_b32_e32 v3, 0
	v_add_nc_u32_e32 v57, -1, v0
	v_add_nc_u32_e32 v58, 0x190, v61
	v_mov_b32_e32 v2, 0
	v_mov_b32_e32 v4, 0
	v_add_nc_u32_e32 v59, 16, v61
	s_mov_b32 s5, 0
	.p2align	6
.LBB88_49:                              ; =>This Inner Loop Header: Depth=1
	s_clause 0x3
	buffer_load_dword v66, v59, s[0:3], 0 offen offset:8
	buffer_load_dword v67, v59, s[0:3], 0 offen offset:12
	buffer_load_dword v68, v59, s[0:3], 0 offen
	buffer_load_dword v69, v59, s[0:3], 0 offen offset:4
	ds_read_b128 v[62:65], v58
	v_add_nc_u32_e32 v57, 1, v57
	v_add_nc_u32_e32 v58, 16, v58
	;; [unrolled: 1-line block ×3, first 2 shown]
	v_cmp_lt_u32_e32 vcc_lo, 7, v57
	s_or_b32 s5, vcc_lo, s5
	s_waitcnt vmcnt(2) lgkmcnt(0)
	v_mul_f64 v[70:71], v[64:65], v[66:67]
	v_mul_f64 v[66:67], v[62:63], v[66:67]
	s_waitcnt vmcnt(0)
	v_fma_f64 v[62:63], v[62:63], v[68:69], -v[70:71]
	v_fma_f64 v[64:65], v[64:65], v[68:69], v[66:67]
	v_add_f64 v[3:4], v[3:4], v[62:63]
	v_add_f64 v[1:2], v[1:2], v[64:65]
	s_andn2_b32 exec_lo, exec_lo, s5
	s_cbranch_execnz .LBB88_49
; %bb.50:
	s_or_b32 exec_lo, exec_lo, s5
	v_mov_b32_e32 v57, 0
	ds_read_b128 v[57:60], v57 offset:144
	s_waitcnt lgkmcnt(0)
	v_mul_f64 v[62:63], v[1:2], v[59:60]
	v_mul_f64 v[59:60], v[3:4], v[59:60]
	v_fma_f64 v[3:4], v[3:4], v[57:58], -v[62:63]
	v_fma_f64 v[1:2], v[1:2], v[57:58], v[59:60]
	buffer_store_dword v4, off, s[0:3], 0 offset:164
	buffer_store_dword v3, off, s[0:3], 0 offset:160
	;; [unrolled: 1-line block ×4, first 2 shown]
.LBB88_51:
	s_or_b32 exec_lo, exec_lo, s4
	v_mov_b32_e32 v4, s26
	s_waitcnt_vscnt null, 0x0
	s_barrier
	buffer_gl0_inv
	s_mov_b32 s4, exec_lo
	s_clause 0x3
	buffer_load_dword v1, v4, s[0:3], 0 offen
	buffer_load_dword v2, v4, s[0:3], 0 offen offset:4
	buffer_load_dword v3, v4, s[0:3], 0 offen offset:8
	;; [unrolled: 1-line block ×3, first 2 shown]
	s_waitcnt vmcnt(0)
	ds_write_b128 v55, v[1:4]
	s_waitcnt lgkmcnt(0)
	s_barrier
	buffer_gl0_inv
	v_cmpx_gt_u32_e32 10, v0
	s_cbranch_execz .LBB88_55
; %bb.52:
	v_mov_b32_e32 v1, 0
	v_mov_b32_e32 v3, 0
	v_add_nc_u32_e32 v57, -1, v0
	v_add_nc_u32_e32 v58, 0x190, v61
	v_mov_b32_e32 v2, 0
	v_mov_b32_e32 v4, 0
	v_add_nc_u32_e32 v59, 16, v61
	s_mov_b32 s5, 0
	.p2align	6
.LBB88_53:                              ; =>This Inner Loop Header: Depth=1
	s_clause 0x3
	buffer_load_dword v66, v59, s[0:3], 0 offen offset:8
	buffer_load_dword v67, v59, s[0:3], 0 offen offset:12
	buffer_load_dword v68, v59, s[0:3], 0 offen
	buffer_load_dword v69, v59, s[0:3], 0 offen offset:4
	ds_read_b128 v[62:65], v58
	v_add_nc_u32_e32 v57, 1, v57
	v_add_nc_u32_e32 v58, 16, v58
	v_add_nc_u32_e32 v59, 16, v59
	v_cmp_lt_u32_e32 vcc_lo, 8, v57
	s_or_b32 s5, vcc_lo, s5
	s_waitcnt vmcnt(2) lgkmcnt(0)
	v_mul_f64 v[70:71], v[64:65], v[66:67]
	v_mul_f64 v[66:67], v[62:63], v[66:67]
	s_waitcnt vmcnt(0)
	v_fma_f64 v[62:63], v[62:63], v[68:69], -v[70:71]
	v_fma_f64 v[64:65], v[64:65], v[68:69], v[66:67]
	v_add_f64 v[3:4], v[3:4], v[62:63]
	v_add_f64 v[1:2], v[1:2], v[64:65]
	s_andn2_b32 exec_lo, exec_lo, s5
	s_cbranch_execnz .LBB88_53
; %bb.54:
	s_or_b32 exec_lo, exec_lo, s5
	v_mov_b32_e32 v57, 0
	ds_read_b128 v[57:60], v57 offset:160
	s_waitcnt lgkmcnt(0)
	v_mul_f64 v[62:63], v[1:2], v[59:60]
	v_mul_f64 v[59:60], v[3:4], v[59:60]
	v_fma_f64 v[3:4], v[3:4], v[57:58], -v[62:63]
	v_fma_f64 v[1:2], v[1:2], v[57:58], v[59:60]
	buffer_store_dword v4, off, s[0:3], 0 offset:180
	buffer_store_dword v3, off, s[0:3], 0 offset:176
	;; [unrolled: 1-line block ×4, first 2 shown]
.LBB88_55:
	s_or_b32 exec_lo, exec_lo, s4
	v_mov_b32_e32 v4, s25
	s_waitcnt_vscnt null, 0x0
	s_barrier
	buffer_gl0_inv
	s_mov_b32 s4, exec_lo
	s_clause 0x3
	buffer_load_dword v1, v4, s[0:3], 0 offen
	buffer_load_dword v2, v4, s[0:3], 0 offen offset:4
	buffer_load_dword v3, v4, s[0:3], 0 offen offset:8
	;; [unrolled: 1-line block ×3, first 2 shown]
	s_waitcnt vmcnt(0)
	ds_write_b128 v55, v[1:4]
	s_waitcnt lgkmcnt(0)
	s_barrier
	buffer_gl0_inv
	v_cmpx_gt_u32_e32 11, v0
	s_cbranch_execz .LBB88_59
; %bb.56:
	v_mov_b32_e32 v1, 0
	v_mov_b32_e32 v3, 0
	v_add_nc_u32_e32 v57, -1, v0
	v_add_nc_u32_e32 v58, 0x190, v61
	v_mov_b32_e32 v2, 0
	v_mov_b32_e32 v4, 0
	v_add_nc_u32_e32 v59, 16, v61
	s_mov_b32 s5, 0
	.p2align	6
.LBB88_57:                              ; =>This Inner Loop Header: Depth=1
	s_clause 0x3
	buffer_load_dword v66, v59, s[0:3], 0 offen offset:8
	buffer_load_dword v67, v59, s[0:3], 0 offen offset:12
	buffer_load_dword v68, v59, s[0:3], 0 offen
	buffer_load_dword v69, v59, s[0:3], 0 offen offset:4
	ds_read_b128 v[62:65], v58
	v_add_nc_u32_e32 v57, 1, v57
	v_add_nc_u32_e32 v58, 16, v58
	;; [unrolled: 1-line block ×3, first 2 shown]
	v_cmp_lt_u32_e32 vcc_lo, 9, v57
	s_or_b32 s5, vcc_lo, s5
	s_waitcnt vmcnt(2) lgkmcnt(0)
	v_mul_f64 v[70:71], v[64:65], v[66:67]
	v_mul_f64 v[66:67], v[62:63], v[66:67]
	s_waitcnt vmcnt(0)
	v_fma_f64 v[62:63], v[62:63], v[68:69], -v[70:71]
	v_fma_f64 v[64:65], v[64:65], v[68:69], v[66:67]
	v_add_f64 v[3:4], v[3:4], v[62:63]
	v_add_f64 v[1:2], v[1:2], v[64:65]
	s_andn2_b32 exec_lo, exec_lo, s5
	s_cbranch_execnz .LBB88_57
; %bb.58:
	s_or_b32 exec_lo, exec_lo, s5
	v_mov_b32_e32 v57, 0
	ds_read_b128 v[57:60], v57 offset:176
	s_waitcnt lgkmcnt(0)
	v_mul_f64 v[62:63], v[1:2], v[59:60]
	v_mul_f64 v[59:60], v[3:4], v[59:60]
	v_fma_f64 v[3:4], v[3:4], v[57:58], -v[62:63]
	v_fma_f64 v[1:2], v[1:2], v[57:58], v[59:60]
	buffer_store_dword v4, off, s[0:3], 0 offset:196
	buffer_store_dword v3, off, s[0:3], 0 offset:192
	;; [unrolled: 1-line block ×4, first 2 shown]
.LBB88_59:
	s_or_b32 exec_lo, exec_lo, s4
	v_mov_b32_e32 v4, s24
	s_waitcnt_vscnt null, 0x0
	s_barrier
	buffer_gl0_inv
	s_mov_b32 s4, exec_lo
	s_clause 0x3
	buffer_load_dword v1, v4, s[0:3], 0 offen
	buffer_load_dword v2, v4, s[0:3], 0 offen offset:4
	buffer_load_dword v3, v4, s[0:3], 0 offen offset:8
	;; [unrolled: 1-line block ×3, first 2 shown]
	s_waitcnt vmcnt(0)
	ds_write_b128 v55, v[1:4]
	s_waitcnt lgkmcnt(0)
	s_barrier
	buffer_gl0_inv
	v_cmpx_gt_u32_e32 12, v0
	s_cbranch_execz .LBB88_63
; %bb.60:
	v_mov_b32_e32 v1, 0
	v_mov_b32_e32 v3, 0
	v_add_nc_u32_e32 v57, -1, v0
	v_add_nc_u32_e32 v58, 0x190, v61
	v_mov_b32_e32 v2, 0
	v_mov_b32_e32 v4, 0
	v_add_nc_u32_e32 v59, 16, v61
	s_mov_b32 s5, 0
	.p2align	6
.LBB88_61:                              ; =>This Inner Loop Header: Depth=1
	s_clause 0x3
	buffer_load_dword v66, v59, s[0:3], 0 offen offset:8
	buffer_load_dword v67, v59, s[0:3], 0 offen offset:12
	buffer_load_dword v68, v59, s[0:3], 0 offen
	buffer_load_dword v69, v59, s[0:3], 0 offen offset:4
	ds_read_b128 v[62:65], v58
	v_add_nc_u32_e32 v57, 1, v57
	v_add_nc_u32_e32 v58, 16, v58
	;; [unrolled: 1-line block ×3, first 2 shown]
	v_cmp_lt_u32_e32 vcc_lo, 10, v57
	s_or_b32 s5, vcc_lo, s5
	s_waitcnt vmcnt(2) lgkmcnt(0)
	v_mul_f64 v[70:71], v[64:65], v[66:67]
	v_mul_f64 v[66:67], v[62:63], v[66:67]
	s_waitcnt vmcnt(0)
	v_fma_f64 v[62:63], v[62:63], v[68:69], -v[70:71]
	v_fma_f64 v[64:65], v[64:65], v[68:69], v[66:67]
	v_add_f64 v[3:4], v[3:4], v[62:63]
	v_add_f64 v[1:2], v[1:2], v[64:65]
	s_andn2_b32 exec_lo, exec_lo, s5
	s_cbranch_execnz .LBB88_61
; %bb.62:
	s_or_b32 exec_lo, exec_lo, s5
	v_mov_b32_e32 v57, 0
	ds_read_b128 v[57:60], v57 offset:192
	s_waitcnt lgkmcnt(0)
	v_mul_f64 v[62:63], v[1:2], v[59:60]
	v_mul_f64 v[59:60], v[3:4], v[59:60]
	v_fma_f64 v[3:4], v[3:4], v[57:58], -v[62:63]
	v_fma_f64 v[1:2], v[1:2], v[57:58], v[59:60]
	buffer_store_dword v4, off, s[0:3], 0 offset:212
	buffer_store_dword v3, off, s[0:3], 0 offset:208
	;; [unrolled: 1-line block ×4, first 2 shown]
.LBB88_63:
	s_or_b32 exec_lo, exec_lo, s4
	v_mov_b32_e32 v4, s23
	s_waitcnt_vscnt null, 0x0
	s_barrier
	buffer_gl0_inv
	s_mov_b32 s4, exec_lo
	s_clause 0x3
	buffer_load_dword v1, v4, s[0:3], 0 offen
	buffer_load_dword v2, v4, s[0:3], 0 offen offset:4
	buffer_load_dword v3, v4, s[0:3], 0 offen offset:8
	;; [unrolled: 1-line block ×3, first 2 shown]
	s_waitcnt vmcnt(0)
	ds_write_b128 v55, v[1:4]
	s_waitcnt lgkmcnt(0)
	s_barrier
	buffer_gl0_inv
	v_cmpx_gt_u32_e32 13, v0
	s_cbranch_execz .LBB88_67
; %bb.64:
	v_mov_b32_e32 v1, 0
	v_mov_b32_e32 v3, 0
	v_add_nc_u32_e32 v57, -1, v0
	v_add_nc_u32_e32 v58, 0x190, v61
	v_mov_b32_e32 v2, 0
	v_mov_b32_e32 v4, 0
	v_add_nc_u32_e32 v59, 16, v61
	s_mov_b32 s5, 0
	.p2align	6
.LBB88_65:                              ; =>This Inner Loop Header: Depth=1
	s_clause 0x3
	buffer_load_dword v66, v59, s[0:3], 0 offen offset:8
	buffer_load_dword v67, v59, s[0:3], 0 offen offset:12
	buffer_load_dword v68, v59, s[0:3], 0 offen
	buffer_load_dword v69, v59, s[0:3], 0 offen offset:4
	ds_read_b128 v[62:65], v58
	v_add_nc_u32_e32 v57, 1, v57
	v_add_nc_u32_e32 v58, 16, v58
	;; [unrolled: 1-line block ×3, first 2 shown]
	v_cmp_lt_u32_e32 vcc_lo, 11, v57
	s_or_b32 s5, vcc_lo, s5
	s_waitcnt vmcnt(2) lgkmcnt(0)
	v_mul_f64 v[70:71], v[64:65], v[66:67]
	v_mul_f64 v[66:67], v[62:63], v[66:67]
	s_waitcnt vmcnt(0)
	v_fma_f64 v[62:63], v[62:63], v[68:69], -v[70:71]
	v_fma_f64 v[64:65], v[64:65], v[68:69], v[66:67]
	v_add_f64 v[3:4], v[3:4], v[62:63]
	v_add_f64 v[1:2], v[1:2], v[64:65]
	s_andn2_b32 exec_lo, exec_lo, s5
	s_cbranch_execnz .LBB88_65
; %bb.66:
	s_or_b32 exec_lo, exec_lo, s5
	v_mov_b32_e32 v57, 0
	ds_read_b128 v[57:60], v57 offset:208
	s_waitcnt lgkmcnt(0)
	v_mul_f64 v[62:63], v[1:2], v[59:60]
	v_mul_f64 v[59:60], v[3:4], v[59:60]
	v_fma_f64 v[3:4], v[3:4], v[57:58], -v[62:63]
	v_fma_f64 v[1:2], v[1:2], v[57:58], v[59:60]
	buffer_store_dword v4, off, s[0:3], 0 offset:228
	buffer_store_dword v3, off, s[0:3], 0 offset:224
	;; [unrolled: 1-line block ×4, first 2 shown]
.LBB88_67:
	s_or_b32 exec_lo, exec_lo, s4
	v_mov_b32_e32 v4, s22
	s_waitcnt_vscnt null, 0x0
	s_barrier
	buffer_gl0_inv
	s_mov_b32 s4, exec_lo
	s_clause 0x3
	buffer_load_dword v1, v4, s[0:3], 0 offen
	buffer_load_dword v2, v4, s[0:3], 0 offen offset:4
	buffer_load_dword v3, v4, s[0:3], 0 offen offset:8
	;; [unrolled: 1-line block ×3, first 2 shown]
	s_waitcnt vmcnt(0)
	ds_write_b128 v55, v[1:4]
	s_waitcnt lgkmcnt(0)
	s_barrier
	buffer_gl0_inv
	v_cmpx_gt_u32_e32 14, v0
	s_cbranch_execz .LBB88_71
; %bb.68:
	v_mov_b32_e32 v1, 0
	v_mov_b32_e32 v3, 0
	v_add_nc_u32_e32 v57, -1, v0
	v_add_nc_u32_e32 v58, 0x190, v61
	v_mov_b32_e32 v2, 0
	v_mov_b32_e32 v4, 0
	v_add_nc_u32_e32 v59, 16, v61
	s_mov_b32 s5, 0
	.p2align	6
.LBB88_69:                              ; =>This Inner Loop Header: Depth=1
	s_clause 0x3
	buffer_load_dword v66, v59, s[0:3], 0 offen offset:8
	buffer_load_dword v67, v59, s[0:3], 0 offen offset:12
	buffer_load_dword v68, v59, s[0:3], 0 offen
	buffer_load_dword v69, v59, s[0:3], 0 offen offset:4
	ds_read_b128 v[62:65], v58
	v_add_nc_u32_e32 v57, 1, v57
	v_add_nc_u32_e32 v58, 16, v58
	;; [unrolled: 1-line block ×3, first 2 shown]
	v_cmp_lt_u32_e32 vcc_lo, 12, v57
	s_or_b32 s5, vcc_lo, s5
	s_waitcnt vmcnt(2) lgkmcnt(0)
	v_mul_f64 v[70:71], v[64:65], v[66:67]
	v_mul_f64 v[66:67], v[62:63], v[66:67]
	s_waitcnt vmcnt(0)
	v_fma_f64 v[62:63], v[62:63], v[68:69], -v[70:71]
	v_fma_f64 v[64:65], v[64:65], v[68:69], v[66:67]
	v_add_f64 v[3:4], v[3:4], v[62:63]
	v_add_f64 v[1:2], v[1:2], v[64:65]
	s_andn2_b32 exec_lo, exec_lo, s5
	s_cbranch_execnz .LBB88_69
; %bb.70:
	s_or_b32 exec_lo, exec_lo, s5
	v_mov_b32_e32 v57, 0
	ds_read_b128 v[57:60], v57 offset:224
	s_waitcnt lgkmcnt(0)
	v_mul_f64 v[62:63], v[1:2], v[59:60]
	v_mul_f64 v[59:60], v[3:4], v[59:60]
	v_fma_f64 v[3:4], v[3:4], v[57:58], -v[62:63]
	v_fma_f64 v[1:2], v[1:2], v[57:58], v[59:60]
	buffer_store_dword v4, off, s[0:3], 0 offset:244
	buffer_store_dword v3, off, s[0:3], 0 offset:240
	;; [unrolled: 1-line block ×4, first 2 shown]
.LBB88_71:
	s_or_b32 exec_lo, exec_lo, s4
	v_mov_b32_e32 v4, s21
	s_waitcnt_vscnt null, 0x0
	s_barrier
	buffer_gl0_inv
	s_mov_b32 s4, exec_lo
	s_clause 0x3
	buffer_load_dword v1, v4, s[0:3], 0 offen
	buffer_load_dword v2, v4, s[0:3], 0 offen offset:4
	buffer_load_dword v3, v4, s[0:3], 0 offen offset:8
	;; [unrolled: 1-line block ×3, first 2 shown]
	s_waitcnt vmcnt(0)
	ds_write_b128 v55, v[1:4]
	s_waitcnt lgkmcnt(0)
	s_barrier
	buffer_gl0_inv
	v_cmpx_gt_u32_e32 15, v0
	s_cbranch_execz .LBB88_75
; %bb.72:
	v_mov_b32_e32 v1, 0
	v_mov_b32_e32 v3, 0
	v_add_nc_u32_e32 v57, -1, v0
	v_add_nc_u32_e32 v58, 0x190, v61
	v_mov_b32_e32 v2, 0
	v_mov_b32_e32 v4, 0
	v_add_nc_u32_e32 v59, 16, v61
	s_mov_b32 s5, 0
	.p2align	6
.LBB88_73:                              ; =>This Inner Loop Header: Depth=1
	s_clause 0x3
	buffer_load_dword v66, v59, s[0:3], 0 offen offset:8
	buffer_load_dword v67, v59, s[0:3], 0 offen offset:12
	buffer_load_dword v68, v59, s[0:3], 0 offen
	buffer_load_dword v69, v59, s[0:3], 0 offen offset:4
	ds_read_b128 v[62:65], v58
	v_add_nc_u32_e32 v57, 1, v57
	v_add_nc_u32_e32 v58, 16, v58
	v_add_nc_u32_e32 v59, 16, v59
	v_cmp_lt_u32_e32 vcc_lo, 13, v57
	s_or_b32 s5, vcc_lo, s5
	s_waitcnt vmcnt(2) lgkmcnt(0)
	v_mul_f64 v[70:71], v[64:65], v[66:67]
	v_mul_f64 v[66:67], v[62:63], v[66:67]
	s_waitcnt vmcnt(0)
	v_fma_f64 v[62:63], v[62:63], v[68:69], -v[70:71]
	v_fma_f64 v[64:65], v[64:65], v[68:69], v[66:67]
	v_add_f64 v[3:4], v[3:4], v[62:63]
	v_add_f64 v[1:2], v[1:2], v[64:65]
	s_andn2_b32 exec_lo, exec_lo, s5
	s_cbranch_execnz .LBB88_73
; %bb.74:
	s_or_b32 exec_lo, exec_lo, s5
	v_mov_b32_e32 v57, 0
	ds_read_b128 v[57:60], v57 offset:240
	s_waitcnt lgkmcnt(0)
	v_mul_f64 v[62:63], v[1:2], v[59:60]
	v_mul_f64 v[59:60], v[3:4], v[59:60]
	v_fma_f64 v[3:4], v[3:4], v[57:58], -v[62:63]
	v_fma_f64 v[1:2], v[1:2], v[57:58], v[59:60]
	buffer_store_dword v4, off, s[0:3], 0 offset:260
	buffer_store_dword v3, off, s[0:3], 0 offset:256
	;; [unrolled: 1-line block ×4, first 2 shown]
.LBB88_75:
	s_or_b32 exec_lo, exec_lo, s4
	v_mov_b32_e32 v4, s20
	s_waitcnt_vscnt null, 0x0
	s_barrier
	buffer_gl0_inv
	s_mov_b32 s4, exec_lo
	s_clause 0x3
	buffer_load_dword v1, v4, s[0:3], 0 offen
	buffer_load_dword v2, v4, s[0:3], 0 offen offset:4
	buffer_load_dword v3, v4, s[0:3], 0 offen offset:8
	;; [unrolled: 1-line block ×3, first 2 shown]
	s_waitcnt vmcnt(0)
	ds_write_b128 v55, v[1:4]
	s_waitcnt lgkmcnt(0)
	s_barrier
	buffer_gl0_inv
	v_cmpx_gt_u32_e32 16, v0
	s_cbranch_execz .LBB88_79
; %bb.76:
	v_mov_b32_e32 v1, 0
	v_mov_b32_e32 v3, 0
	v_add_nc_u32_e32 v57, -1, v0
	v_add_nc_u32_e32 v58, 0x190, v61
	v_mov_b32_e32 v2, 0
	v_mov_b32_e32 v4, 0
	v_add_nc_u32_e32 v59, 16, v61
	s_mov_b32 s5, 0
	.p2align	6
.LBB88_77:                              ; =>This Inner Loop Header: Depth=1
	s_clause 0x3
	buffer_load_dword v66, v59, s[0:3], 0 offen offset:8
	buffer_load_dword v67, v59, s[0:3], 0 offen offset:12
	buffer_load_dword v68, v59, s[0:3], 0 offen
	buffer_load_dword v69, v59, s[0:3], 0 offen offset:4
	ds_read_b128 v[62:65], v58
	v_add_nc_u32_e32 v57, 1, v57
	v_add_nc_u32_e32 v58, 16, v58
	;; [unrolled: 1-line block ×3, first 2 shown]
	v_cmp_lt_u32_e32 vcc_lo, 14, v57
	s_or_b32 s5, vcc_lo, s5
	s_waitcnt vmcnt(2) lgkmcnt(0)
	v_mul_f64 v[70:71], v[64:65], v[66:67]
	v_mul_f64 v[66:67], v[62:63], v[66:67]
	s_waitcnt vmcnt(0)
	v_fma_f64 v[62:63], v[62:63], v[68:69], -v[70:71]
	v_fma_f64 v[64:65], v[64:65], v[68:69], v[66:67]
	v_add_f64 v[3:4], v[3:4], v[62:63]
	v_add_f64 v[1:2], v[1:2], v[64:65]
	s_andn2_b32 exec_lo, exec_lo, s5
	s_cbranch_execnz .LBB88_77
; %bb.78:
	s_or_b32 exec_lo, exec_lo, s5
	v_mov_b32_e32 v57, 0
	ds_read_b128 v[57:60], v57 offset:256
	s_waitcnt lgkmcnt(0)
	v_mul_f64 v[62:63], v[1:2], v[59:60]
	v_mul_f64 v[59:60], v[3:4], v[59:60]
	v_fma_f64 v[3:4], v[3:4], v[57:58], -v[62:63]
	v_fma_f64 v[1:2], v[1:2], v[57:58], v[59:60]
	buffer_store_dword v4, off, s[0:3], 0 offset:276
	buffer_store_dword v3, off, s[0:3], 0 offset:272
	buffer_store_dword v2, off, s[0:3], 0 offset:284
	buffer_store_dword v1, off, s[0:3], 0 offset:280
.LBB88_79:
	s_or_b32 exec_lo, exec_lo, s4
	v_mov_b32_e32 v4, s19
	s_waitcnt_vscnt null, 0x0
	s_barrier
	buffer_gl0_inv
	s_mov_b32 s4, exec_lo
	s_clause 0x3
	buffer_load_dword v1, v4, s[0:3], 0 offen
	buffer_load_dword v2, v4, s[0:3], 0 offen offset:4
	buffer_load_dword v3, v4, s[0:3], 0 offen offset:8
	;; [unrolled: 1-line block ×3, first 2 shown]
	s_waitcnt vmcnt(0)
	ds_write_b128 v55, v[1:4]
	s_waitcnt lgkmcnt(0)
	s_barrier
	buffer_gl0_inv
	v_cmpx_gt_u32_e32 17, v0
	s_cbranch_execz .LBB88_83
; %bb.80:
	v_mov_b32_e32 v1, 0
	v_mov_b32_e32 v3, 0
	v_add_nc_u32_e32 v57, -1, v0
	v_add_nc_u32_e32 v58, 0x190, v61
	v_mov_b32_e32 v2, 0
	v_mov_b32_e32 v4, 0
	v_add_nc_u32_e32 v59, 16, v61
	s_mov_b32 s5, 0
	.p2align	6
.LBB88_81:                              ; =>This Inner Loop Header: Depth=1
	s_clause 0x3
	buffer_load_dword v66, v59, s[0:3], 0 offen offset:8
	buffer_load_dword v67, v59, s[0:3], 0 offen offset:12
	buffer_load_dword v68, v59, s[0:3], 0 offen
	buffer_load_dword v69, v59, s[0:3], 0 offen offset:4
	ds_read_b128 v[62:65], v58
	v_add_nc_u32_e32 v57, 1, v57
	v_add_nc_u32_e32 v58, 16, v58
	;; [unrolled: 1-line block ×3, first 2 shown]
	v_cmp_lt_u32_e32 vcc_lo, 15, v57
	s_or_b32 s5, vcc_lo, s5
	s_waitcnt vmcnt(2) lgkmcnt(0)
	v_mul_f64 v[70:71], v[64:65], v[66:67]
	v_mul_f64 v[66:67], v[62:63], v[66:67]
	s_waitcnt vmcnt(0)
	v_fma_f64 v[62:63], v[62:63], v[68:69], -v[70:71]
	v_fma_f64 v[64:65], v[64:65], v[68:69], v[66:67]
	v_add_f64 v[3:4], v[3:4], v[62:63]
	v_add_f64 v[1:2], v[1:2], v[64:65]
	s_andn2_b32 exec_lo, exec_lo, s5
	s_cbranch_execnz .LBB88_81
; %bb.82:
	s_or_b32 exec_lo, exec_lo, s5
	v_mov_b32_e32 v57, 0
	ds_read_b128 v[57:60], v57 offset:272
	s_waitcnt lgkmcnt(0)
	v_mul_f64 v[62:63], v[1:2], v[59:60]
	v_mul_f64 v[59:60], v[3:4], v[59:60]
	v_fma_f64 v[3:4], v[3:4], v[57:58], -v[62:63]
	v_fma_f64 v[1:2], v[1:2], v[57:58], v[59:60]
	buffer_store_dword v4, off, s[0:3], 0 offset:292
	buffer_store_dword v3, off, s[0:3], 0 offset:288
	;; [unrolled: 1-line block ×4, first 2 shown]
.LBB88_83:
	s_or_b32 exec_lo, exec_lo, s4
	v_mov_b32_e32 v4, s18
	s_waitcnt_vscnt null, 0x0
	s_barrier
	buffer_gl0_inv
	s_mov_b32 s4, exec_lo
	s_clause 0x3
	buffer_load_dword v1, v4, s[0:3], 0 offen
	buffer_load_dword v2, v4, s[0:3], 0 offen offset:4
	buffer_load_dword v3, v4, s[0:3], 0 offen offset:8
	;; [unrolled: 1-line block ×3, first 2 shown]
	s_waitcnt vmcnt(0)
	ds_write_b128 v55, v[1:4]
	s_waitcnt lgkmcnt(0)
	s_barrier
	buffer_gl0_inv
	v_cmpx_gt_u32_e32 18, v0
	s_cbranch_execz .LBB88_87
; %bb.84:
	v_mov_b32_e32 v1, 0
	v_mov_b32_e32 v3, 0
	v_add_nc_u32_e32 v57, -1, v0
	v_add_nc_u32_e32 v58, 0x190, v61
	v_mov_b32_e32 v2, 0
	v_mov_b32_e32 v4, 0
	v_add_nc_u32_e32 v59, 16, v61
	s_mov_b32 s5, 0
	.p2align	6
.LBB88_85:                              ; =>This Inner Loop Header: Depth=1
	s_clause 0x3
	buffer_load_dword v66, v59, s[0:3], 0 offen offset:8
	buffer_load_dword v67, v59, s[0:3], 0 offen offset:12
	buffer_load_dword v68, v59, s[0:3], 0 offen
	buffer_load_dword v69, v59, s[0:3], 0 offen offset:4
	ds_read_b128 v[62:65], v58
	v_add_nc_u32_e32 v57, 1, v57
	v_add_nc_u32_e32 v58, 16, v58
	;; [unrolled: 1-line block ×3, first 2 shown]
	v_cmp_lt_u32_e32 vcc_lo, 16, v57
	s_or_b32 s5, vcc_lo, s5
	s_waitcnt vmcnt(2) lgkmcnt(0)
	v_mul_f64 v[70:71], v[64:65], v[66:67]
	v_mul_f64 v[66:67], v[62:63], v[66:67]
	s_waitcnt vmcnt(0)
	v_fma_f64 v[62:63], v[62:63], v[68:69], -v[70:71]
	v_fma_f64 v[64:65], v[64:65], v[68:69], v[66:67]
	v_add_f64 v[3:4], v[3:4], v[62:63]
	v_add_f64 v[1:2], v[1:2], v[64:65]
	s_andn2_b32 exec_lo, exec_lo, s5
	s_cbranch_execnz .LBB88_85
; %bb.86:
	s_or_b32 exec_lo, exec_lo, s5
	v_mov_b32_e32 v57, 0
	ds_read_b128 v[57:60], v57 offset:288
	s_waitcnt lgkmcnt(0)
	v_mul_f64 v[62:63], v[1:2], v[59:60]
	v_mul_f64 v[59:60], v[3:4], v[59:60]
	v_fma_f64 v[3:4], v[3:4], v[57:58], -v[62:63]
	v_fma_f64 v[1:2], v[1:2], v[57:58], v[59:60]
	buffer_store_dword v4, off, s[0:3], 0 offset:308
	buffer_store_dword v3, off, s[0:3], 0 offset:304
	;; [unrolled: 1-line block ×4, first 2 shown]
.LBB88_87:
	s_or_b32 exec_lo, exec_lo, s4
	v_mov_b32_e32 v4, s17
	s_waitcnt_vscnt null, 0x0
	s_barrier
	buffer_gl0_inv
	s_mov_b32 s4, exec_lo
	s_clause 0x3
	buffer_load_dword v1, v4, s[0:3], 0 offen
	buffer_load_dword v2, v4, s[0:3], 0 offen offset:4
	buffer_load_dword v3, v4, s[0:3], 0 offen offset:8
	;; [unrolled: 1-line block ×3, first 2 shown]
	s_waitcnt vmcnt(0)
	ds_write_b128 v55, v[1:4]
	s_waitcnt lgkmcnt(0)
	s_barrier
	buffer_gl0_inv
	v_cmpx_gt_u32_e32 19, v0
	s_cbranch_execz .LBB88_91
; %bb.88:
	v_mov_b32_e32 v1, 0
	v_mov_b32_e32 v3, 0
	v_add_nc_u32_e32 v57, -1, v0
	v_add_nc_u32_e32 v58, 0x190, v61
	v_mov_b32_e32 v2, 0
	v_mov_b32_e32 v4, 0
	v_add_nc_u32_e32 v59, 16, v61
	s_mov_b32 s5, 0
	.p2align	6
.LBB88_89:                              ; =>This Inner Loop Header: Depth=1
	s_clause 0x3
	buffer_load_dword v66, v59, s[0:3], 0 offen offset:8
	buffer_load_dword v67, v59, s[0:3], 0 offen offset:12
	buffer_load_dword v68, v59, s[0:3], 0 offen
	buffer_load_dword v69, v59, s[0:3], 0 offen offset:4
	ds_read_b128 v[62:65], v58
	v_add_nc_u32_e32 v57, 1, v57
	v_add_nc_u32_e32 v58, 16, v58
	;; [unrolled: 1-line block ×3, first 2 shown]
	v_cmp_lt_u32_e32 vcc_lo, 17, v57
	s_or_b32 s5, vcc_lo, s5
	s_waitcnt vmcnt(2) lgkmcnt(0)
	v_mul_f64 v[70:71], v[64:65], v[66:67]
	v_mul_f64 v[66:67], v[62:63], v[66:67]
	s_waitcnt vmcnt(0)
	v_fma_f64 v[62:63], v[62:63], v[68:69], -v[70:71]
	v_fma_f64 v[64:65], v[64:65], v[68:69], v[66:67]
	v_add_f64 v[3:4], v[3:4], v[62:63]
	v_add_f64 v[1:2], v[1:2], v[64:65]
	s_andn2_b32 exec_lo, exec_lo, s5
	s_cbranch_execnz .LBB88_89
; %bb.90:
	s_or_b32 exec_lo, exec_lo, s5
	v_mov_b32_e32 v57, 0
	ds_read_b128 v[57:60], v57 offset:304
	s_waitcnt lgkmcnt(0)
	v_mul_f64 v[62:63], v[1:2], v[59:60]
	v_mul_f64 v[59:60], v[3:4], v[59:60]
	v_fma_f64 v[3:4], v[3:4], v[57:58], -v[62:63]
	v_fma_f64 v[1:2], v[1:2], v[57:58], v[59:60]
	buffer_store_dword v4, off, s[0:3], 0 offset:324
	buffer_store_dword v3, off, s[0:3], 0 offset:320
	;; [unrolled: 1-line block ×4, first 2 shown]
.LBB88_91:
	s_or_b32 exec_lo, exec_lo, s4
	v_mov_b32_e32 v4, s16
	s_waitcnt_vscnt null, 0x0
	s_barrier
	buffer_gl0_inv
	s_mov_b32 s4, exec_lo
	s_clause 0x3
	buffer_load_dword v1, v4, s[0:3], 0 offen
	buffer_load_dword v2, v4, s[0:3], 0 offen offset:4
	buffer_load_dword v3, v4, s[0:3], 0 offen offset:8
	;; [unrolled: 1-line block ×3, first 2 shown]
	s_waitcnt vmcnt(0)
	ds_write_b128 v55, v[1:4]
	s_waitcnt lgkmcnt(0)
	s_barrier
	buffer_gl0_inv
	v_cmpx_gt_u32_e32 20, v0
	s_cbranch_execz .LBB88_95
; %bb.92:
	v_mov_b32_e32 v1, 0
	v_mov_b32_e32 v3, 0
	v_add_nc_u32_e32 v57, -1, v0
	v_add_nc_u32_e32 v58, 0x190, v61
	v_mov_b32_e32 v2, 0
	v_mov_b32_e32 v4, 0
	v_add_nc_u32_e32 v59, 16, v61
	s_mov_b32 s5, 0
	.p2align	6
.LBB88_93:                              ; =>This Inner Loop Header: Depth=1
	s_clause 0x3
	buffer_load_dword v66, v59, s[0:3], 0 offen offset:8
	buffer_load_dword v67, v59, s[0:3], 0 offen offset:12
	buffer_load_dword v68, v59, s[0:3], 0 offen
	buffer_load_dword v69, v59, s[0:3], 0 offen offset:4
	ds_read_b128 v[62:65], v58
	v_add_nc_u32_e32 v57, 1, v57
	v_add_nc_u32_e32 v58, 16, v58
	;; [unrolled: 1-line block ×3, first 2 shown]
	v_cmp_lt_u32_e32 vcc_lo, 18, v57
	s_or_b32 s5, vcc_lo, s5
	s_waitcnt vmcnt(2) lgkmcnt(0)
	v_mul_f64 v[70:71], v[64:65], v[66:67]
	v_mul_f64 v[66:67], v[62:63], v[66:67]
	s_waitcnt vmcnt(0)
	v_fma_f64 v[62:63], v[62:63], v[68:69], -v[70:71]
	v_fma_f64 v[64:65], v[64:65], v[68:69], v[66:67]
	v_add_f64 v[3:4], v[3:4], v[62:63]
	v_add_f64 v[1:2], v[1:2], v[64:65]
	s_andn2_b32 exec_lo, exec_lo, s5
	s_cbranch_execnz .LBB88_93
; %bb.94:
	s_or_b32 exec_lo, exec_lo, s5
	v_mov_b32_e32 v57, 0
	ds_read_b128 v[57:60], v57 offset:320
	s_waitcnt lgkmcnt(0)
	v_mul_f64 v[62:63], v[1:2], v[59:60]
	v_mul_f64 v[59:60], v[3:4], v[59:60]
	v_fma_f64 v[3:4], v[3:4], v[57:58], -v[62:63]
	v_fma_f64 v[1:2], v[1:2], v[57:58], v[59:60]
	buffer_store_dword v4, off, s[0:3], 0 offset:340
	buffer_store_dword v3, off, s[0:3], 0 offset:336
	;; [unrolled: 1-line block ×4, first 2 shown]
.LBB88_95:
	s_or_b32 exec_lo, exec_lo, s4
	v_mov_b32_e32 v4, s15
	s_waitcnt_vscnt null, 0x0
	s_barrier
	buffer_gl0_inv
	s_mov_b32 s4, exec_lo
	s_clause 0x3
	buffer_load_dword v1, v4, s[0:3], 0 offen
	buffer_load_dword v2, v4, s[0:3], 0 offen offset:4
	buffer_load_dword v3, v4, s[0:3], 0 offen offset:8
	;; [unrolled: 1-line block ×3, first 2 shown]
	s_waitcnt vmcnt(0)
	ds_write_b128 v55, v[1:4]
	s_waitcnt lgkmcnt(0)
	s_barrier
	buffer_gl0_inv
	v_cmpx_gt_u32_e32 21, v0
	s_cbranch_execz .LBB88_99
; %bb.96:
	v_mov_b32_e32 v1, 0
	v_mov_b32_e32 v3, 0
	v_add_nc_u32_e32 v57, -1, v0
	v_add_nc_u32_e32 v58, 0x190, v61
	v_mov_b32_e32 v2, 0
	v_mov_b32_e32 v4, 0
	v_add_nc_u32_e32 v59, 16, v61
	s_mov_b32 s5, 0
	.p2align	6
.LBB88_97:                              ; =>This Inner Loop Header: Depth=1
	s_clause 0x3
	buffer_load_dword v66, v59, s[0:3], 0 offen offset:8
	buffer_load_dword v67, v59, s[0:3], 0 offen offset:12
	buffer_load_dword v68, v59, s[0:3], 0 offen
	buffer_load_dword v69, v59, s[0:3], 0 offen offset:4
	ds_read_b128 v[62:65], v58
	v_add_nc_u32_e32 v57, 1, v57
	v_add_nc_u32_e32 v58, 16, v58
	;; [unrolled: 1-line block ×3, first 2 shown]
	v_cmp_lt_u32_e32 vcc_lo, 19, v57
	s_or_b32 s5, vcc_lo, s5
	s_waitcnt vmcnt(2) lgkmcnt(0)
	v_mul_f64 v[70:71], v[64:65], v[66:67]
	v_mul_f64 v[66:67], v[62:63], v[66:67]
	s_waitcnt vmcnt(0)
	v_fma_f64 v[62:63], v[62:63], v[68:69], -v[70:71]
	v_fma_f64 v[64:65], v[64:65], v[68:69], v[66:67]
	v_add_f64 v[3:4], v[3:4], v[62:63]
	v_add_f64 v[1:2], v[1:2], v[64:65]
	s_andn2_b32 exec_lo, exec_lo, s5
	s_cbranch_execnz .LBB88_97
; %bb.98:
	s_or_b32 exec_lo, exec_lo, s5
	v_mov_b32_e32 v57, 0
	ds_read_b128 v[57:60], v57 offset:336
	s_waitcnt lgkmcnt(0)
	v_mul_f64 v[62:63], v[1:2], v[59:60]
	v_mul_f64 v[59:60], v[3:4], v[59:60]
	v_fma_f64 v[3:4], v[3:4], v[57:58], -v[62:63]
	v_fma_f64 v[1:2], v[1:2], v[57:58], v[59:60]
	buffer_store_dword v4, off, s[0:3], 0 offset:356
	buffer_store_dword v3, off, s[0:3], 0 offset:352
	;; [unrolled: 1-line block ×4, first 2 shown]
.LBB88_99:
	s_or_b32 exec_lo, exec_lo, s4
	v_mov_b32_e32 v4, s14
	s_waitcnt_vscnt null, 0x0
	s_barrier
	buffer_gl0_inv
	s_mov_b32 s4, exec_lo
	s_clause 0x3
	buffer_load_dword v1, v4, s[0:3], 0 offen
	buffer_load_dword v2, v4, s[0:3], 0 offen offset:4
	buffer_load_dword v3, v4, s[0:3], 0 offen offset:8
	;; [unrolled: 1-line block ×3, first 2 shown]
	s_waitcnt vmcnt(0)
	ds_write_b128 v55, v[1:4]
	s_waitcnt lgkmcnt(0)
	s_barrier
	buffer_gl0_inv
	v_cmpx_gt_u32_e32 22, v0
	s_cbranch_execz .LBB88_103
; %bb.100:
	v_mov_b32_e32 v1, 0
	v_mov_b32_e32 v3, 0
	v_add_nc_u32_e32 v57, -1, v0
	v_add_nc_u32_e32 v58, 0x190, v61
	v_mov_b32_e32 v2, 0
	v_mov_b32_e32 v4, 0
	v_add_nc_u32_e32 v59, 16, v61
	s_mov_b32 s5, 0
	.p2align	6
.LBB88_101:                             ; =>This Inner Loop Header: Depth=1
	s_clause 0x3
	buffer_load_dword v66, v59, s[0:3], 0 offen offset:8
	buffer_load_dword v67, v59, s[0:3], 0 offen offset:12
	buffer_load_dword v68, v59, s[0:3], 0 offen
	buffer_load_dword v69, v59, s[0:3], 0 offen offset:4
	ds_read_b128 v[62:65], v58
	v_add_nc_u32_e32 v57, 1, v57
	v_add_nc_u32_e32 v58, 16, v58
	;; [unrolled: 1-line block ×3, first 2 shown]
	v_cmp_lt_u32_e32 vcc_lo, 20, v57
	s_or_b32 s5, vcc_lo, s5
	s_waitcnt vmcnt(2) lgkmcnt(0)
	v_mul_f64 v[70:71], v[64:65], v[66:67]
	v_mul_f64 v[66:67], v[62:63], v[66:67]
	s_waitcnt vmcnt(0)
	v_fma_f64 v[62:63], v[62:63], v[68:69], -v[70:71]
	v_fma_f64 v[64:65], v[64:65], v[68:69], v[66:67]
	v_add_f64 v[3:4], v[3:4], v[62:63]
	v_add_f64 v[1:2], v[1:2], v[64:65]
	s_andn2_b32 exec_lo, exec_lo, s5
	s_cbranch_execnz .LBB88_101
; %bb.102:
	s_or_b32 exec_lo, exec_lo, s5
	v_mov_b32_e32 v57, 0
	ds_read_b128 v[57:60], v57 offset:352
	s_waitcnt lgkmcnt(0)
	v_mul_f64 v[62:63], v[1:2], v[59:60]
	v_mul_f64 v[59:60], v[3:4], v[59:60]
	v_fma_f64 v[3:4], v[3:4], v[57:58], -v[62:63]
	v_fma_f64 v[1:2], v[1:2], v[57:58], v[59:60]
	buffer_store_dword v4, off, s[0:3], 0 offset:372
	buffer_store_dword v3, off, s[0:3], 0 offset:368
	;; [unrolled: 1-line block ×4, first 2 shown]
.LBB88_103:
	s_or_b32 exec_lo, exec_lo, s4
	v_mov_b32_e32 v4, s9
	s_waitcnt_vscnt null, 0x0
	s_barrier
	buffer_gl0_inv
	s_mov_b32 s4, exec_lo
	s_clause 0x3
	buffer_load_dword v1, v4, s[0:3], 0 offen
	buffer_load_dword v2, v4, s[0:3], 0 offen offset:4
	buffer_load_dword v3, v4, s[0:3], 0 offen offset:8
	buffer_load_dword v4, v4, s[0:3], 0 offen offset:12
	s_waitcnt vmcnt(0)
	ds_write_b128 v55, v[1:4]
	s_waitcnt lgkmcnt(0)
	s_barrier
	buffer_gl0_inv
	v_cmpx_gt_u32_e32 23, v0
	s_cbranch_execz .LBB88_107
; %bb.104:
	v_mov_b32_e32 v1, 0
	v_mov_b32_e32 v3, 0
	v_add_nc_u32_e32 v57, -1, v0
	v_add_nc_u32_e32 v58, 0x190, v61
	v_mov_b32_e32 v2, 0
	v_mov_b32_e32 v4, 0
	v_add_nc_u32_e32 v59, 16, v61
	s_mov_b32 s5, 0
	.p2align	6
.LBB88_105:                             ; =>This Inner Loop Header: Depth=1
	s_clause 0x3
	buffer_load_dword v66, v59, s[0:3], 0 offen offset:8
	buffer_load_dword v67, v59, s[0:3], 0 offen offset:12
	buffer_load_dword v68, v59, s[0:3], 0 offen
	buffer_load_dword v69, v59, s[0:3], 0 offen offset:4
	ds_read_b128 v[62:65], v58
	v_add_nc_u32_e32 v57, 1, v57
	v_add_nc_u32_e32 v58, 16, v58
	;; [unrolled: 1-line block ×3, first 2 shown]
	v_cmp_lt_u32_e32 vcc_lo, 21, v57
	s_or_b32 s5, vcc_lo, s5
	s_waitcnt vmcnt(2) lgkmcnt(0)
	v_mul_f64 v[70:71], v[64:65], v[66:67]
	v_mul_f64 v[66:67], v[62:63], v[66:67]
	s_waitcnt vmcnt(0)
	v_fma_f64 v[62:63], v[62:63], v[68:69], -v[70:71]
	v_fma_f64 v[64:65], v[64:65], v[68:69], v[66:67]
	v_add_f64 v[3:4], v[3:4], v[62:63]
	v_add_f64 v[1:2], v[1:2], v[64:65]
	s_andn2_b32 exec_lo, exec_lo, s5
	s_cbranch_execnz .LBB88_105
; %bb.106:
	s_or_b32 exec_lo, exec_lo, s5
	v_mov_b32_e32 v57, 0
	ds_read_b128 v[57:60], v57 offset:368
	s_waitcnt lgkmcnt(0)
	v_mul_f64 v[62:63], v[1:2], v[59:60]
	v_mul_f64 v[59:60], v[3:4], v[59:60]
	v_fma_f64 v[3:4], v[3:4], v[57:58], -v[62:63]
	v_fma_f64 v[1:2], v[1:2], v[57:58], v[59:60]
	buffer_store_dword v4, off, s[0:3], 0 offset:388
	buffer_store_dword v3, off, s[0:3], 0 offset:384
	;; [unrolled: 1-line block ×4, first 2 shown]
.LBB88_107:
	s_or_b32 exec_lo, exec_lo, s4
	v_mov_b32_e32 v4, s8
	s_waitcnt_vscnt null, 0x0
	s_barrier
	buffer_gl0_inv
	s_mov_b32 s4, exec_lo
	s_clause 0x3
	buffer_load_dword v1, v4, s[0:3], 0 offen
	buffer_load_dword v2, v4, s[0:3], 0 offen offset:4
	buffer_load_dword v3, v4, s[0:3], 0 offen offset:8
	;; [unrolled: 1-line block ×3, first 2 shown]
	s_waitcnt vmcnt(0)
	ds_write_b128 v55, v[1:4]
	s_waitcnt lgkmcnt(0)
	s_barrier
	buffer_gl0_inv
	v_cmpx_ne_u32_e32 24, v0
	s_cbranch_execz .LBB88_111
; %bb.108:
	v_mov_b32_e32 v1, 0
	v_mov_b32_e32 v3, 0
	;; [unrolled: 1-line block ×4, first 2 shown]
	v_add_nc_u32_e32 v57, 16, v61
	s_mov_b32 s5, 0
	.p2align	6
.LBB88_109:                             ; =>This Inner Loop Header: Depth=1
	s_clause 0x3
	buffer_load_dword v62, v57, s[0:3], 0 offen offset:8
	buffer_load_dword v63, v57, s[0:3], 0 offen offset:12
	buffer_load_dword v64, v57, s[0:3], 0 offen
	buffer_load_dword v65, v57, s[0:3], 0 offen offset:4
	ds_read_b128 v[58:61], v55
	v_add_nc_u32_e32 v56, 1, v56
	v_add_nc_u32_e32 v55, 16, v55
	;; [unrolled: 1-line block ×3, first 2 shown]
	v_cmp_lt_u32_e32 vcc_lo, 22, v56
	s_or_b32 s5, vcc_lo, s5
	s_waitcnt vmcnt(2) lgkmcnt(0)
	v_mul_f64 v[66:67], v[60:61], v[62:63]
	v_mul_f64 v[62:63], v[58:59], v[62:63]
	s_waitcnt vmcnt(0)
	v_fma_f64 v[58:59], v[58:59], v[64:65], -v[66:67]
	v_fma_f64 v[60:61], v[60:61], v[64:65], v[62:63]
	v_add_f64 v[3:4], v[3:4], v[58:59]
	v_add_f64 v[1:2], v[1:2], v[60:61]
	s_andn2_b32 exec_lo, exec_lo, s5
	s_cbranch_execnz .LBB88_109
; %bb.110:
	s_or_b32 exec_lo, exec_lo, s5
	v_mov_b32_e32 v55, 0
	ds_read_b128 v[55:58], v55 offset:384
	s_waitcnt lgkmcnt(0)
	v_mul_f64 v[59:60], v[1:2], v[57:58]
	v_mul_f64 v[57:58], v[3:4], v[57:58]
	v_fma_f64 v[3:4], v[3:4], v[55:56], -v[59:60]
	v_fma_f64 v[1:2], v[1:2], v[55:56], v[57:58]
	buffer_store_dword v4, off, s[0:3], 0 offset:404
	buffer_store_dword v3, off, s[0:3], 0 offset:400
	;; [unrolled: 1-line block ×4, first 2 shown]
.LBB88_111:
	s_or_b32 exec_lo, exec_lo, s4
	s_mov_b32 s5, -1
	s_waitcnt_vscnt null, 0x0
	s_barrier
	buffer_gl0_inv
.LBB88_112:
	s_and_b32 vcc_lo, exec_lo, s5
	s_cbranch_vccz .LBB88_114
; %bb.113:
	s_lshl_b64 s[4:5], s[6:7], 2
	v_mov_b32_e32 v1, 0
	s_add_u32 s4, s10, s4
	s_addc_u32 s5, s11, s5
	global_load_dword v1, v1, s[4:5]
	s_waitcnt vmcnt(0)
	v_cmp_ne_u32_e32 vcc_lo, 0, v1
	s_cbranch_vccz .LBB88_115
.LBB88_114:
	s_endpgm
.LBB88_115:
	v_lshl_add_u32 v1, v0, 4, 0x190
	s_mov_b32 s4, exec_lo
	v_cmpx_eq_u32_e32 24, v0
	s_cbranch_execz .LBB88_117
; %bb.116:
	v_mov_b32_e32 v2, s9
	s_clause 0x3
	buffer_load_dword v55, v2, s[0:3], 0 offen
	buffer_load_dword v56, v2, s[0:3], 0 offen offset:4
	buffer_load_dword v57, v2, s[0:3], 0 offen offset:8
	;; [unrolled: 1-line block ×3, first 2 shown]
	v_mov_b32_e32 v2, 0
	buffer_store_dword v2, off, s[0:3], 0 offset:384
	buffer_store_dword v2, off, s[0:3], 0 offset:388
	;; [unrolled: 1-line block ×4, first 2 shown]
	s_waitcnt vmcnt(0)
	ds_write_b128 v1, v[55:58]
.LBB88_117:
	s_or_b32 exec_lo, exec_lo, s4
	s_waitcnt lgkmcnt(0)
	s_waitcnt_vscnt null, 0x0
	s_barrier
	buffer_gl0_inv
	s_clause 0x7
	buffer_load_dword v3, off, s[0:3], 0 offset:408
	buffer_load_dword v4, off, s[0:3], 0 offset:412
	;; [unrolled: 1-line block ×8, first 2 shown]
	v_mov_b32_e32 v2, 0
	s_mov_b32 s4, exec_lo
	ds_read_b128 v[55:58], v2 offset:784
	s_waitcnt vmcnt(6) lgkmcnt(0)
	v_mul_f64 v[65:66], v[57:58], v[3:4]
	v_mul_f64 v[3:4], v[55:56], v[3:4]
	s_waitcnt vmcnt(4)
	v_fma_f64 v[55:56], v[55:56], v[59:60], -v[65:66]
	v_fma_f64 v[3:4], v[57:58], v[59:60], v[3:4]
	v_add_f64 v[55:56], v[55:56], 0
	v_add_f64 v[3:4], v[3:4], 0
	s_waitcnt vmcnt(2)
	v_add_f64 v[55:56], v[61:62], -v[55:56]
	s_waitcnt vmcnt(0)
	v_add_f64 v[3:4], v[63:64], -v[3:4]
	buffer_store_dword v55, off, s[0:3], 0 offset:384
	buffer_store_dword v56, off, s[0:3], 0 offset:388
	;; [unrolled: 1-line block ×4, first 2 shown]
	v_cmpx_lt_u32_e32 22, v0
	s_cbranch_execz .LBB88_119
; %bb.118:
	v_mov_b32_e32 v3, s14
	s_clause 0x3
	buffer_load_dword v55, v3, s[0:3], 0 offen
	buffer_load_dword v56, v3, s[0:3], 0 offen offset:4
	buffer_load_dword v57, v3, s[0:3], 0 offen offset:8
	;; [unrolled: 1-line block ×3, first 2 shown]
	buffer_store_dword v2, off, s[0:3], 0 offset:368
	buffer_store_dword v2, off, s[0:3], 0 offset:372
	;; [unrolled: 1-line block ×4, first 2 shown]
	s_waitcnt vmcnt(0)
	ds_write_b128 v1, v[55:58]
.LBB88_119:
	s_or_b32 exec_lo, exec_lo, s4
	s_waitcnt lgkmcnt(0)
	s_waitcnt_vscnt null, 0x0
	s_barrier
	buffer_gl0_inv
	s_clause 0xb
	buffer_load_dword v3, off, s[0:3], 0 offset:392
	buffer_load_dword v4, off, s[0:3], 0 offset:396
	;; [unrolled: 1-line block ×12, first 2 shown]
	ds_read_b128 v[55:58], v2 offset:768
	ds_read_b128 v[59:62], v2 offset:784
	s_mov_b32 s4, exec_lo
	s_waitcnt vmcnt(10) lgkmcnt(1)
	v_mul_f64 v[73:74], v[57:58], v[3:4]
	v_mul_f64 v[2:3], v[55:56], v[3:4]
	s_waitcnt vmcnt(8) lgkmcnt(0)
	v_mul_f64 v[75:76], v[61:62], v[63:64]
	v_mul_f64 v[63:64], v[59:60], v[63:64]
	s_waitcnt vmcnt(6)
	v_fma_f64 v[55:56], v[55:56], v[65:66], -v[73:74]
	v_fma_f64 v[2:3], v[57:58], v[65:66], v[2:3]
	s_waitcnt vmcnt(4)
	v_fma_f64 v[57:58], v[59:60], v[67:68], -v[75:76]
	v_fma_f64 v[59:60], v[61:62], v[67:68], v[63:64]
	v_add_f64 v[55:56], v[55:56], 0
	v_add_f64 v[2:3], v[2:3], 0
	;; [unrolled: 1-line block ×4, first 2 shown]
	s_waitcnt vmcnt(2)
	v_add_f64 v[55:56], v[69:70], -v[55:56]
	s_waitcnt vmcnt(0)
	v_add_f64 v[2:3], v[71:72], -v[2:3]
	buffer_store_dword v55, off, s[0:3], 0 offset:368
	buffer_store_dword v56, off, s[0:3], 0 offset:372
	;; [unrolled: 1-line block ×4, first 2 shown]
	v_cmpx_lt_u32_e32 21, v0
	s_cbranch_execz .LBB88_121
; %bb.120:
	v_mov_b32_e32 v2, s15
	s_clause 0x3
	buffer_load_dword v55, v2, s[0:3], 0 offen
	buffer_load_dword v56, v2, s[0:3], 0 offen offset:4
	buffer_load_dword v57, v2, s[0:3], 0 offen offset:8
	;; [unrolled: 1-line block ×3, first 2 shown]
	v_mov_b32_e32 v2, 0
	buffer_store_dword v2, off, s[0:3], 0 offset:352
	buffer_store_dword v2, off, s[0:3], 0 offset:356
	buffer_store_dword v2, off, s[0:3], 0 offset:360
	buffer_store_dword v2, off, s[0:3], 0 offset:364
	s_waitcnt vmcnt(0)
	ds_write_b128 v1, v[55:58]
.LBB88_121:
	s_or_b32 exec_lo, exec_lo, s4
	s_waitcnt lgkmcnt(0)
	s_waitcnt_vscnt null, 0x0
	s_barrier
	buffer_gl0_inv
	s_clause 0xf
	buffer_load_dword v3, off, s[0:3], 0 offset:376
	buffer_load_dword v4, off, s[0:3], 0 offset:380
	buffer_load_dword v67, off, s[0:3], 0 offset:392
	buffer_load_dword v68, off, s[0:3], 0 offset:396
	buffer_load_dword v69, off, s[0:3], 0 offset:368
	buffer_load_dword v70, off, s[0:3], 0 offset:372
	buffer_load_dword v71, off, s[0:3], 0 offset:408
	buffer_load_dword v72, off, s[0:3], 0 offset:412
	buffer_load_dword v73, off, s[0:3], 0 offset:384
	buffer_load_dword v74, off, s[0:3], 0 offset:388
	buffer_load_dword v75, off, s[0:3], 0 offset:400
	buffer_load_dword v76, off, s[0:3], 0 offset:404
	buffer_load_dword v77, off, s[0:3], 0 offset:352
	buffer_load_dword v78, off, s[0:3], 0 offset:356
	buffer_load_dword v79, off, s[0:3], 0 offset:360
	buffer_load_dword v80, off, s[0:3], 0 offset:364
	v_mov_b32_e32 v2, 0
	ds_read_b128 v[55:58], v2 offset:752
	ds_read_b128 v[59:62], v2 offset:768
	;; [unrolled: 1-line block ×3, first 2 shown]
	s_mov_b32 s4, exec_lo
	s_waitcnt vmcnt(14) lgkmcnt(2)
	v_mul_f64 v[81:82], v[57:58], v[3:4]
	v_mul_f64 v[3:4], v[55:56], v[3:4]
	s_waitcnt vmcnt(12) lgkmcnt(1)
	v_mul_f64 v[83:84], v[61:62], v[67:68]
	v_mul_f64 v[67:68], v[59:60], v[67:68]
	s_waitcnt vmcnt(10)
	v_fma_f64 v[55:56], v[55:56], v[69:70], -v[81:82]
	v_fma_f64 v[3:4], v[57:58], v[69:70], v[3:4]
	s_waitcnt vmcnt(8) lgkmcnt(0)
	v_mul_f64 v[69:70], v[65:66], v[71:72]
	s_waitcnt vmcnt(6)
	v_fma_f64 v[59:60], v[59:60], v[73:74], -v[83:84]
	v_mul_f64 v[57:58], v[63:64], v[71:72]
	v_fma_f64 v[61:62], v[61:62], v[73:74], v[67:68]
	v_add_f64 v[55:56], v[55:56], 0
	v_add_f64 v[3:4], v[3:4], 0
	s_waitcnt vmcnt(4)
	v_fma_f64 v[63:64], v[63:64], v[75:76], -v[69:70]
	v_fma_f64 v[57:58], v[65:66], v[75:76], v[57:58]
	v_add_f64 v[55:56], v[55:56], v[59:60]
	v_add_f64 v[3:4], v[3:4], v[61:62]
	;; [unrolled: 1-line block ×4, first 2 shown]
	s_waitcnt vmcnt(2)
	v_add_f64 v[55:56], v[77:78], -v[55:56]
	s_waitcnt vmcnt(0)
	v_add_f64 v[3:4], v[79:80], -v[3:4]
	buffer_store_dword v55, off, s[0:3], 0 offset:352
	buffer_store_dword v56, off, s[0:3], 0 offset:356
	;; [unrolled: 1-line block ×4, first 2 shown]
	v_cmpx_lt_u32_e32 20, v0
	s_cbranch_execz .LBB88_123
; %bb.122:
	v_mov_b32_e32 v3, s16
	s_clause 0x3
	buffer_load_dword v55, v3, s[0:3], 0 offen
	buffer_load_dword v56, v3, s[0:3], 0 offen offset:4
	buffer_load_dword v57, v3, s[0:3], 0 offen offset:8
	;; [unrolled: 1-line block ×3, first 2 shown]
	buffer_store_dword v2, off, s[0:3], 0 offset:336
	buffer_store_dword v2, off, s[0:3], 0 offset:340
	;; [unrolled: 1-line block ×4, first 2 shown]
	s_waitcnt vmcnt(0)
	ds_write_b128 v1, v[55:58]
.LBB88_123:
	s_or_b32 exec_lo, exec_lo, s4
	s_waitcnt lgkmcnt(0)
	s_waitcnt_vscnt null, 0x0
	s_barrier
	buffer_gl0_inv
	s_clause 0x13
	buffer_load_dword v3, off, s[0:3], 0 offset:360
	buffer_load_dword v4, off, s[0:3], 0 offset:364
	;; [unrolled: 1-line block ×20, first 2 shown]
	ds_read_b128 v[55:58], v2 offset:736
	ds_read_b128 v[59:62], v2 offset:752
	;; [unrolled: 1-line block ×3, first 2 shown]
	s_mov_b32 s4, exec_lo
	s_waitcnt vmcnt(18) lgkmcnt(2)
	v_mul_f64 v[85:86], v[57:58], v[3:4]
	v_mul_f64 v[3:4], v[55:56], v[3:4]
	s_waitcnt vmcnt(16) lgkmcnt(1)
	v_mul_f64 v[87:88], v[61:62], v[67:68]
	v_mul_f64 v[67:68], v[59:60], v[67:68]
	s_waitcnt vmcnt(14)
	v_fma_f64 v[85:86], v[55:56], v[69:70], -v[85:86]
	v_fma_f64 v[3:4], v[57:58], v[69:70], v[3:4]
	ds_read_b128 v[55:58], v2 offset:784
	s_waitcnt vmcnt(12) lgkmcnt(1)
	v_mul_f64 v[69:70], v[63:64], v[71:72]
	v_mul_f64 v[71:72], v[65:66], v[71:72]
	s_waitcnt vmcnt(10)
	v_fma_f64 v[59:60], v[59:60], v[73:74], -v[87:88]
	v_fma_f64 v[61:62], v[61:62], v[73:74], v[67:68]
	s_waitcnt vmcnt(8) lgkmcnt(0)
	v_mul_f64 v[73:74], v[57:58], v[75:76]
	v_add_f64 v[85:86], v[85:86], 0
	v_add_f64 v[2:3], v[3:4], 0
	v_mul_f64 v[67:68], v[55:56], v[75:76]
	s_waitcnt vmcnt(6)
	v_fma_f64 v[63:64], v[63:64], v[77:78], -v[71:72]
	v_fma_f64 v[65:66], v[65:66], v[77:78], v[69:70]
	s_waitcnt vmcnt(4)
	v_fma_f64 v[55:56], v[55:56], v[79:80], -v[73:74]
	v_add_f64 v[59:60], v[85:86], v[59:60]
	v_add_f64 v[2:3], v[2:3], v[61:62]
	v_fma_f64 v[57:58], v[57:58], v[79:80], v[67:68]
	v_add_f64 v[59:60], v[59:60], v[63:64]
	v_add_f64 v[2:3], v[2:3], v[65:66]
	;; [unrolled: 1-line block ×4, first 2 shown]
	s_waitcnt vmcnt(2)
	v_add_f64 v[55:56], v[81:82], -v[55:56]
	s_waitcnt vmcnt(0)
	v_add_f64 v[2:3], v[83:84], -v[2:3]
	buffer_store_dword v55, off, s[0:3], 0 offset:336
	buffer_store_dword v56, off, s[0:3], 0 offset:340
	;; [unrolled: 1-line block ×4, first 2 shown]
	v_cmpx_lt_u32_e32 19, v0
	s_cbranch_execz .LBB88_125
; %bb.124:
	v_mov_b32_e32 v2, s17
	s_clause 0x3
	buffer_load_dword v55, v2, s[0:3], 0 offen
	buffer_load_dword v56, v2, s[0:3], 0 offen offset:4
	buffer_load_dword v57, v2, s[0:3], 0 offen offset:8
	;; [unrolled: 1-line block ×3, first 2 shown]
	v_mov_b32_e32 v2, 0
	buffer_store_dword v2, off, s[0:3], 0 offset:320
	buffer_store_dword v2, off, s[0:3], 0 offset:324
	;; [unrolled: 1-line block ×4, first 2 shown]
	s_waitcnt vmcnt(0)
	ds_write_b128 v1, v[55:58]
.LBB88_125:
	s_or_b32 exec_lo, exec_lo, s4
	s_waitcnt lgkmcnt(0)
	s_waitcnt_vscnt null, 0x0
	s_barrier
	buffer_gl0_inv
	s_clause 0x17
	buffer_load_dword v3, off, s[0:3], 0 offset:344
	buffer_load_dword v4, off, s[0:3], 0 offset:348
	buffer_load_dword v67, off, s[0:3], 0 offset:360
	buffer_load_dword v68, off, s[0:3], 0 offset:364
	buffer_load_dword v69, off, s[0:3], 0 offset:336
	buffer_load_dword v70, off, s[0:3], 0 offset:340
	buffer_load_dword v71, off, s[0:3], 0 offset:376
	buffer_load_dword v72, off, s[0:3], 0 offset:380
	buffer_load_dword v73, off, s[0:3], 0 offset:352
	buffer_load_dword v74, off, s[0:3], 0 offset:356
	buffer_load_dword v76, off, s[0:3], 0 offset:396
	buffer_load_dword v77, off, s[0:3], 0 offset:408
	buffer_load_dword v79, off, s[0:3], 0 offset:400
	buffer_load_dword v75, off, s[0:3], 0 offset:392
	buffer_load_dword v81, off, s[0:3], 0 offset:368
	buffer_load_dword v82, off, s[0:3], 0 offset:372
	buffer_load_dword v78, off, s[0:3], 0 offset:412
	buffer_load_dword v84, off, s[0:3], 0 offset:388
	buffer_load_dword v83, off, s[0:3], 0 offset:384
	buffer_load_dword v80, off, s[0:3], 0 offset:404
	buffer_load_dword v85, off, s[0:3], 0 offset:320
	buffer_load_dword v86, off, s[0:3], 0 offset:324
	buffer_load_dword v87, off, s[0:3], 0 offset:328
	buffer_load_dword v88, off, s[0:3], 0 offset:332
	v_mov_b32_e32 v2, 0
	ds_read_b128 v[55:58], v2 offset:720
	ds_read_b128 v[59:62], v2 offset:736
	;; [unrolled: 1-line block ×3, first 2 shown]
	s_mov_b32 s4, exec_lo
	s_waitcnt vmcnt(22) lgkmcnt(2)
	v_mul_f64 v[89:90], v[57:58], v[3:4]
	v_mul_f64 v[3:4], v[55:56], v[3:4]
	s_waitcnt vmcnt(20) lgkmcnt(1)
	v_mul_f64 v[91:92], v[61:62], v[67:68]
	v_mul_f64 v[67:68], v[59:60], v[67:68]
	s_waitcnt vmcnt(18)
	v_fma_f64 v[89:90], v[55:56], v[69:70], -v[89:90]
	v_fma_f64 v[3:4], v[57:58], v[69:70], v[3:4]
	ds_read_b128 v[55:58], v2 offset:768
	s_waitcnt vmcnt(16) lgkmcnt(1)
	v_mul_f64 v[69:70], v[63:64], v[71:72]
	v_mul_f64 v[71:72], v[65:66], v[71:72]
	s_waitcnt vmcnt(14)
	v_fma_f64 v[91:92], v[59:60], v[73:74], -v[91:92]
	v_fma_f64 v[67:68], v[61:62], v[73:74], v[67:68]
	ds_read_b128 v[59:62], v2 offset:784
	s_waitcnt vmcnt(10) lgkmcnt(1)
	v_mul_f64 v[73:74], v[55:56], v[75:76]
	v_add_f64 v[89:90], v[89:90], 0
	v_add_f64 v[3:4], v[3:4], 0
	v_mul_f64 v[75:76], v[57:58], v[75:76]
	s_waitcnt vmcnt(8)
	v_fma_f64 v[63:64], v[63:64], v[81:82], -v[71:72]
	v_fma_f64 v[65:66], v[65:66], v[81:82], v[69:70]
	s_waitcnt vmcnt(7) lgkmcnt(0)
	v_mul_f64 v[69:70], v[61:62], v[77:78]
	s_waitcnt vmcnt(5)
	v_fma_f64 v[57:58], v[57:58], v[83:84], v[73:74]
	v_add_f64 v[71:72], v[89:90], v[91:92]
	v_add_f64 v[3:4], v[3:4], v[67:68]
	v_fma_f64 v[55:56], v[55:56], v[83:84], -v[75:76]
	v_mul_f64 v[67:68], v[59:60], v[77:78]
	s_waitcnt vmcnt(4)
	v_fma_f64 v[59:60], v[59:60], v[79:80], -v[69:70]
	v_add_f64 v[63:64], v[71:72], v[63:64]
	v_add_f64 v[3:4], v[3:4], v[65:66]
	v_fma_f64 v[61:62], v[61:62], v[79:80], v[67:68]
	v_add_f64 v[55:56], v[63:64], v[55:56]
	v_add_f64 v[3:4], v[3:4], v[57:58]
	v_add_f64 v[55:56], v[55:56], v[59:60]
	v_add_f64 v[3:4], v[3:4], v[61:62]
	s_waitcnt vmcnt(2)
	v_add_f64 v[55:56], v[85:86], -v[55:56]
	s_waitcnt vmcnt(0)
	v_add_f64 v[3:4], v[87:88], -v[3:4]
	buffer_store_dword v56, off, s[0:3], 0 offset:324
	buffer_store_dword v55, off, s[0:3], 0 offset:320
	;; [unrolled: 1-line block ×4, first 2 shown]
	v_cmpx_lt_u32_e32 18, v0
	s_cbranch_execz .LBB88_127
; %bb.126:
	v_mov_b32_e32 v3, s18
	s_clause 0x3
	buffer_load_dword v55, v3, s[0:3], 0 offen
	buffer_load_dword v56, v3, s[0:3], 0 offen offset:4
	buffer_load_dword v57, v3, s[0:3], 0 offen offset:8
	;; [unrolled: 1-line block ×3, first 2 shown]
	buffer_store_dword v2, off, s[0:3], 0 offset:304
	buffer_store_dword v2, off, s[0:3], 0 offset:308
	;; [unrolled: 1-line block ×4, first 2 shown]
	s_waitcnt vmcnt(0)
	ds_write_b128 v1, v[55:58]
.LBB88_127:
	s_or_b32 exec_lo, exec_lo, s4
	s_waitcnt lgkmcnt(0)
	s_waitcnt_vscnt null, 0x0
	s_barrier
	buffer_gl0_inv
	s_clause 0x1b
	buffer_load_dword v3, off, s[0:3], 0 offset:328
	buffer_load_dword v4, off, s[0:3], 0 offset:332
	;; [unrolled: 1-line block ×28, first 2 shown]
	ds_read_b128 v[55:58], v2 offset:704
	ds_read_b128 v[59:62], v2 offset:720
	;; [unrolled: 1-line block ×3, first 2 shown]
	s_mov_b32 s4, exec_lo
	s_waitcnt vmcnt(26) lgkmcnt(2)
	v_mul_f64 v[93:94], v[57:58], v[3:4]
	v_mul_f64 v[3:4], v[55:56], v[3:4]
	s_waitcnt vmcnt(24) lgkmcnt(1)
	v_mul_f64 v[95:96], v[61:62], v[67:68]
	v_mul_f64 v[67:68], v[59:60], v[67:68]
	s_waitcnt vmcnt(22)
	v_fma_f64 v[93:94], v[55:56], v[69:70], -v[93:94]
	v_fma_f64 v[3:4], v[57:58], v[69:70], v[3:4]
	ds_read_b128 v[55:58], v2 offset:752
	s_waitcnt vmcnt(20) lgkmcnt(1)
	v_mul_f64 v[69:70], v[63:64], v[71:72]
	v_mul_f64 v[71:72], v[65:66], v[71:72]
	s_waitcnt vmcnt(18)
	v_fma_f64 v[95:96], v[59:60], v[73:74], -v[95:96]
	v_fma_f64 v[67:68], v[61:62], v[73:74], v[67:68]
	ds_read_b128 v[59:62], v2 offset:768
	s_waitcnt vmcnt(14) lgkmcnt(1)
	v_mul_f64 v[73:74], v[55:56], v[75:76]
	v_add_f64 v[93:94], v[93:94], 0
	v_add_f64 v[3:4], v[3:4], 0
	v_mul_f64 v[75:76], v[57:58], v[75:76]
	s_waitcnt vmcnt(12)
	v_fma_f64 v[71:72], v[63:64], v[81:82], -v[71:72]
	v_fma_f64 v[69:70], v[65:66], v[81:82], v[69:70]
	ds_read_b128 v[63:66], v2 offset:784
	s_waitcnt vmcnt(9)
	v_fma_f64 v[57:58], v[57:58], v[83:84], v[73:74]
	v_add_f64 v[93:94], v[93:94], v[95:96]
	v_add_f64 v[3:4], v[3:4], v[67:68]
	s_waitcnt lgkmcnt(1)
	v_mul_f64 v[67:68], v[59:60], v[77:78]
	v_mul_f64 v[77:78], v[61:62], v[77:78]
	v_fma_f64 v[55:56], v[55:56], v[83:84], -v[75:76]
	s_waitcnt vmcnt(7) lgkmcnt(0)
	v_mul_f64 v[73:74], v[65:66], v[85:86]
	v_add_f64 v[71:72], v[93:94], v[71:72]
	v_add_f64 v[2:3], v[3:4], v[69:70]
	v_mul_f64 v[69:70], v[63:64], v[85:86]
	s_waitcnt vmcnt(6)
	v_fma_f64 v[59:60], v[59:60], v[79:80], -v[77:78]
	v_fma_f64 v[61:62], v[61:62], v[79:80], v[67:68]
	v_add_f64 v[55:56], v[71:72], v[55:56]
	v_add_f64 v[2:3], v[2:3], v[57:58]
	s_waitcnt vmcnt(4)
	v_fma_f64 v[57:58], v[63:64], v[87:88], -v[73:74]
	v_add_f64 v[55:56], v[55:56], v[59:60]
	v_fma_f64 v[59:60], v[65:66], v[87:88], v[69:70]
	v_add_f64 v[2:3], v[2:3], v[61:62]
	v_add_f64 v[55:56], v[55:56], v[57:58]
	;; [unrolled: 1-line block ×3, first 2 shown]
	s_waitcnt vmcnt(2)
	v_add_f64 v[55:56], v[89:90], -v[55:56]
	s_waitcnt vmcnt(0)
	v_add_f64 v[2:3], v[91:92], -v[2:3]
	buffer_store_dword v56, off, s[0:3], 0 offset:308
	buffer_store_dword v55, off, s[0:3], 0 offset:304
	;; [unrolled: 1-line block ×4, first 2 shown]
	v_cmpx_lt_u32_e32 17, v0
	s_cbranch_execz .LBB88_129
; %bb.128:
	v_mov_b32_e32 v2, s19
	s_clause 0x3
	buffer_load_dword v55, v2, s[0:3], 0 offen
	buffer_load_dword v56, v2, s[0:3], 0 offen offset:4
	buffer_load_dword v57, v2, s[0:3], 0 offen offset:8
	;; [unrolled: 1-line block ×3, first 2 shown]
	v_mov_b32_e32 v2, 0
	buffer_store_dword v2, off, s[0:3], 0 offset:288
	buffer_store_dword v2, off, s[0:3], 0 offset:292
	;; [unrolled: 1-line block ×4, first 2 shown]
	s_waitcnt vmcnt(0)
	ds_write_b128 v1, v[55:58]
.LBB88_129:
	s_or_b32 exec_lo, exec_lo, s4
	s_waitcnt lgkmcnt(0)
	s_waitcnt_vscnt null, 0x0
	s_barrier
	buffer_gl0_inv
	s_clause 0x1f
	buffer_load_dword v3, off, s[0:3], 0 offset:312
	buffer_load_dword v4, off, s[0:3], 0 offset:316
	buffer_load_dword v67, off, s[0:3], 0 offset:328
	buffer_load_dword v68, off, s[0:3], 0 offset:332
	buffer_load_dword v69, off, s[0:3], 0 offset:304
	buffer_load_dword v70, off, s[0:3], 0 offset:308
	buffer_load_dword v71, off, s[0:3], 0 offset:344
	buffer_load_dword v72, off, s[0:3], 0 offset:348
	buffer_load_dword v73, off, s[0:3], 0 offset:320
	buffer_load_dword v74, off, s[0:3], 0 offset:324
	buffer_load_dword v76, off, s[0:3], 0 offset:364
	buffer_load_dword v77, off, s[0:3], 0 offset:376
	buffer_load_dword v79, off, s[0:3], 0 offset:368
	buffer_load_dword v75, off, s[0:3], 0 offset:360
	buffer_load_dword v81, off, s[0:3], 0 offset:336
	buffer_load_dword v82, off, s[0:3], 0 offset:340
	buffer_load_dword v78, off, s[0:3], 0 offset:380
	buffer_load_dword v84, off, s[0:3], 0 offset:356
	buffer_load_dword v83, off, s[0:3], 0 offset:352
	buffer_load_dword v86, off, s[0:3], 0 offset:396
	buffer_load_dword v87, off, s[0:3], 0 offset:408
	buffer_load_dword v89, off, s[0:3], 0 offset:400
	buffer_load_dword v85, off, s[0:3], 0 offset:392
	buffer_load_dword v80, off, s[0:3], 0 offset:372
	buffer_load_dword v88, off, s[0:3], 0 offset:412
	buffer_load_dword v92, off, s[0:3], 0 offset:388
	buffer_load_dword v91, off, s[0:3], 0 offset:384
	buffer_load_dword v90, off, s[0:3], 0 offset:404
	buffer_load_dword v93, off, s[0:3], 0 offset:288
	buffer_load_dword v94, off, s[0:3], 0 offset:292
	buffer_load_dword v95, off, s[0:3], 0 offset:296
	buffer_load_dword v96, off, s[0:3], 0 offset:300
	v_mov_b32_e32 v2, 0
	ds_read_b128 v[55:58], v2 offset:688
	ds_read_b128 v[59:62], v2 offset:704
	;; [unrolled: 1-line block ×3, first 2 shown]
	s_mov_b32 s4, exec_lo
	s_waitcnt vmcnt(30) lgkmcnt(2)
	v_mul_f64 v[97:98], v[57:58], v[3:4]
	v_mul_f64 v[3:4], v[55:56], v[3:4]
	s_waitcnt vmcnt(28) lgkmcnt(1)
	v_mul_f64 v[99:100], v[61:62], v[67:68]
	v_mul_f64 v[67:68], v[59:60], v[67:68]
	s_waitcnt vmcnt(26)
	v_fma_f64 v[97:98], v[55:56], v[69:70], -v[97:98]
	v_fma_f64 v[3:4], v[57:58], v[69:70], v[3:4]
	ds_read_b128 v[55:58], v2 offset:736
	s_waitcnt vmcnt(24) lgkmcnt(1)
	v_mul_f64 v[69:70], v[63:64], v[71:72]
	v_mul_f64 v[71:72], v[65:66], v[71:72]
	s_waitcnt vmcnt(22)
	v_fma_f64 v[99:100], v[59:60], v[73:74], -v[99:100]
	v_fma_f64 v[67:68], v[61:62], v[73:74], v[67:68]
	ds_read_b128 v[59:62], v2 offset:752
	s_waitcnt vmcnt(18) lgkmcnt(1)
	v_mul_f64 v[73:74], v[55:56], v[75:76]
	v_add_f64 v[97:98], v[97:98], 0
	v_add_f64 v[3:4], v[3:4], 0
	v_mul_f64 v[75:76], v[57:58], v[75:76]
	s_waitcnt vmcnt(16)
	v_fma_f64 v[71:72], v[63:64], v[81:82], -v[71:72]
	v_fma_f64 v[69:70], v[65:66], v[81:82], v[69:70]
	ds_read_b128 v[63:66], v2 offset:768
	s_waitcnt vmcnt(13)
	v_fma_f64 v[73:74], v[57:58], v[83:84], v[73:74]
	v_add_f64 v[97:98], v[97:98], v[99:100]
	v_add_f64 v[3:4], v[3:4], v[67:68]
	s_waitcnt lgkmcnt(1)
	v_mul_f64 v[67:68], v[59:60], v[77:78]
	v_mul_f64 v[77:78], v[61:62], v[77:78]
	v_fma_f64 v[75:76], v[55:56], v[83:84], -v[75:76]
	s_waitcnt vmcnt(9) lgkmcnt(0)
	v_mul_f64 v[81:82], v[65:66], v[85:86]
	ds_read_b128 v[55:58], v2 offset:784
	v_add_f64 v[71:72], v[97:98], v[71:72]
	v_add_f64 v[3:4], v[3:4], v[69:70]
	v_mul_f64 v[69:70], v[63:64], v[85:86]
	s_waitcnt vmcnt(8)
	v_fma_f64 v[59:60], v[59:60], v[79:80], -v[77:78]
	v_fma_f64 v[61:62], v[61:62], v[79:80], v[67:68]
	s_waitcnt vmcnt(5)
	v_fma_f64 v[63:64], v[63:64], v[91:92], -v[81:82]
	s_waitcnt lgkmcnt(0)
	v_mul_f64 v[67:68], v[55:56], v[87:88]
	v_add_f64 v[71:72], v[71:72], v[75:76]
	v_add_f64 v[3:4], v[3:4], v[73:74]
	v_mul_f64 v[73:74], v[57:58], v[87:88]
	v_fma_f64 v[65:66], v[65:66], v[91:92], v[69:70]
	s_waitcnt vmcnt(4)
	v_fma_f64 v[57:58], v[57:58], v[89:90], v[67:68]
	v_add_f64 v[59:60], v[71:72], v[59:60]
	v_add_f64 v[3:4], v[3:4], v[61:62]
	v_fma_f64 v[55:56], v[55:56], v[89:90], -v[73:74]
	v_add_f64 v[59:60], v[59:60], v[63:64]
	v_add_f64 v[3:4], v[3:4], v[65:66]
	;; [unrolled: 1-line block ×4, first 2 shown]
	s_waitcnt vmcnt(2)
	v_add_f64 v[55:56], v[93:94], -v[55:56]
	s_waitcnt vmcnt(0)
	v_add_f64 v[3:4], v[95:96], -v[3:4]
	buffer_store_dword v56, off, s[0:3], 0 offset:292
	buffer_store_dword v55, off, s[0:3], 0 offset:288
	;; [unrolled: 1-line block ×4, first 2 shown]
	v_cmpx_lt_u32_e32 16, v0
	s_cbranch_execz .LBB88_131
; %bb.130:
	v_mov_b32_e32 v3, s20
	s_clause 0x3
	buffer_load_dword v55, v3, s[0:3], 0 offen
	buffer_load_dword v56, v3, s[0:3], 0 offen offset:4
	buffer_load_dword v57, v3, s[0:3], 0 offen offset:8
	;; [unrolled: 1-line block ×3, first 2 shown]
	buffer_store_dword v2, off, s[0:3], 0 offset:272
	buffer_store_dword v2, off, s[0:3], 0 offset:276
	;; [unrolled: 1-line block ×4, first 2 shown]
	s_waitcnt vmcnt(0)
	ds_write_b128 v1, v[55:58]
.LBB88_131:
	s_or_b32 exec_lo, exec_lo, s4
	s_waitcnt lgkmcnt(0)
	s_waitcnt_vscnt null, 0x0
	s_barrier
	buffer_gl0_inv
	s_clause 0x23
	buffer_load_dword v3, off, s[0:3], 0 offset:296
	buffer_load_dword v4, off, s[0:3], 0 offset:300
	;; [unrolled: 1-line block ×36, first 2 shown]
	ds_read_b128 v[55:58], v2 offset:672
	ds_read_b128 v[59:62], v2 offset:688
	;; [unrolled: 1-line block ×3, first 2 shown]
	s_mov_b32 s4, exec_lo
	s_waitcnt vmcnt(34) lgkmcnt(2)
	v_mul_f64 v[101:102], v[57:58], v[3:4]
	v_mul_f64 v[3:4], v[55:56], v[3:4]
	s_waitcnt vmcnt(32) lgkmcnt(1)
	v_mul_f64 v[103:104], v[61:62], v[67:68]
	v_mul_f64 v[67:68], v[59:60], v[67:68]
	s_waitcnt vmcnt(30)
	v_fma_f64 v[101:102], v[55:56], v[69:70], -v[101:102]
	v_fma_f64 v[3:4], v[57:58], v[69:70], v[3:4]
	ds_read_b128 v[55:58], v2 offset:720
	s_waitcnt vmcnt(28) lgkmcnt(1)
	v_mul_f64 v[69:70], v[63:64], v[71:72]
	v_mul_f64 v[71:72], v[65:66], v[71:72]
	s_waitcnt vmcnt(26)
	v_fma_f64 v[103:104], v[59:60], v[73:74], -v[103:104]
	v_fma_f64 v[67:68], v[61:62], v[73:74], v[67:68]
	ds_read_b128 v[59:62], v2 offset:736
	s_waitcnt vmcnt(22) lgkmcnt(1)
	v_mul_f64 v[73:74], v[55:56], v[75:76]
	v_add_f64 v[101:102], v[101:102], 0
	v_add_f64 v[3:4], v[3:4], 0
	v_mul_f64 v[75:76], v[57:58], v[75:76]
	s_waitcnt vmcnt(20)
	v_fma_f64 v[71:72], v[63:64], v[81:82], -v[71:72]
	v_fma_f64 v[69:70], v[65:66], v[81:82], v[69:70]
	ds_read_b128 v[63:66], v2 offset:752
	s_waitcnt vmcnt(17)
	v_fma_f64 v[73:74], v[57:58], v[83:84], v[73:74]
	v_add_f64 v[101:102], v[101:102], v[103:104]
	v_add_f64 v[3:4], v[3:4], v[67:68]
	s_waitcnt lgkmcnt(1)
	v_mul_f64 v[67:68], v[59:60], v[77:78]
	v_mul_f64 v[77:78], v[61:62], v[77:78]
	v_fma_f64 v[75:76], v[55:56], v[83:84], -v[75:76]
	s_waitcnt vmcnt(13) lgkmcnt(0)
	v_mul_f64 v[81:82], v[65:66], v[85:86]
	ds_read_b128 v[55:58], v2 offset:768
	v_add_f64 v[71:72], v[101:102], v[71:72]
	v_add_f64 v[3:4], v[3:4], v[69:70]
	v_mul_f64 v[69:70], v[63:64], v[85:86]
	s_waitcnt vmcnt(12)
	v_fma_f64 v[77:78], v[59:60], v[79:80], -v[77:78]
	v_fma_f64 v[67:68], v[61:62], v[79:80], v[67:68]
	ds_read_b128 v[59:62], v2 offset:784
	s_waitcnt vmcnt(9)
	v_fma_f64 v[63:64], v[63:64], v[91:92], -v[81:82]
	v_add_f64 v[71:72], v[71:72], v[75:76]
	v_add_f64 v[3:4], v[3:4], v[73:74]
	s_waitcnt lgkmcnt(1)
	v_mul_f64 v[75:76], v[57:58], v[87:88]
	v_mul_f64 v[73:74], v[55:56], v[87:88]
	v_fma_f64 v[65:66], v[65:66], v[91:92], v[69:70]
	s_waitcnt vmcnt(7) lgkmcnt(0)
	v_mul_f64 v[69:70], v[61:62], v[93:94]
	v_add_f64 v[71:72], v[71:72], v[77:78]
	v_add_f64 v[2:3], v[3:4], v[67:68]
	s_waitcnt vmcnt(6)
	v_fma_f64 v[55:56], v[55:56], v[89:90], -v[75:76]
	v_mul_f64 v[67:68], v[59:60], v[93:94]
	v_fma_f64 v[57:58], v[57:58], v[89:90], v[73:74]
	s_waitcnt vmcnt(4)
	v_fma_f64 v[59:60], v[59:60], v[95:96], -v[69:70]
	v_add_f64 v[63:64], v[71:72], v[63:64]
	v_add_f64 v[2:3], v[2:3], v[65:66]
	v_fma_f64 v[61:62], v[61:62], v[95:96], v[67:68]
	v_add_f64 v[55:56], v[63:64], v[55:56]
	v_add_f64 v[2:3], v[2:3], v[57:58]
	;; [unrolled: 1-line block ×4, first 2 shown]
	s_waitcnt vmcnt(2)
	v_add_f64 v[55:56], v[97:98], -v[55:56]
	s_waitcnt vmcnt(0)
	v_add_f64 v[2:3], v[99:100], -v[2:3]
	buffer_store_dword v56, off, s[0:3], 0 offset:276
	buffer_store_dword v55, off, s[0:3], 0 offset:272
	;; [unrolled: 1-line block ×4, first 2 shown]
	v_cmpx_lt_u32_e32 15, v0
	s_cbranch_execz .LBB88_133
; %bb.132:
	v_mov_b32_e32 v2, s21
	s_clause 0x3
	buffer_load_dword v55, v2, s[0:3], 0 offen
	buffer_load_dword v56, v2, s[0:3], 0 offen offset:4
	buffer_load_dword v57, v2, s[0:3], 0 offen offset:8
	;; [unrolled: 1-line block ×3, first 2 shown]
	v_mov_b32_e32 v2, 0
	buffer_store_dword v2, off, s[0:3], 0 offset:256
	buffer_store_dword v2, off, s[0:3], 0 offset:260
	;; [unrolled: 1-line block ×4, first 2 shown]
	s_waitcnt vmcnt(0)
	ds_write_b128 v1, v[55:58]
.LBB88_133:
	s_or_b32 exec_lo, exec_lo, s4
	s_waitcnt lgkmcnt(0)
	s_waitcnt_vscnt null, 0x0
	s_barrier
	buffer_gl0_inv
	s_clause 0x27
	buffer_load_dword v3, off, s[0:3], 0 offset:280
	buffer_load_dword v4, off, s[0:3], 0 offset:284
	;; [unrolled: 1-line block ×40, first 2 shown]
	v_mov_b32_e32 v2, 0
	ds_read_b128 v[55:58], v2 offset:656
	ds_read_b128 v[59:62], v2 offset:672
	;; [unrolled: 1-line block ×3, first 2 shown]
	s_mov_b32 s4, exec_lo
	s_waitcnt vmcnt(38) lgkmcnt(2)
	v_mul_f64 v[105:106], v[57:58], v[3:4]
	v_mul_f64 v[3:4], v[55:56], v[3:4]
	s_waitcnt vmcnt(36) lgkmcnt(1)
	v_mul_f64 v[107:108], v[61:62], v[67:68]
	v_mul_f64 v[67:68], v[59:60], v[67:68]
	s_waitcnt vmcnt(34)
	v_fma_f64 v[105:106], v[55:56], v[69:70], -v[105:106]
	v_fma_f64 v[3:4], v[57:58], v[69:70], v[3:4]
	ds_read_b128 v[55:58], v2 offset:704
	s_waitcnt vmcnt(32) lgkmcnt(1)
	v_mul_f64 v[69:70], v[63:64], v[71:72]
	v_mul_f64 v[71:72], v[65:66], v[71:72]
	s_waitcnt vmcnt(30)
	v_fma_f64 v[107:108], v[59:60], v[73:74], -v[107:108]
	v_fma_f64 v[67:68], v[61:62], v[73:74], v[67:68]
	ds_read_b128 v[59:62], v2 offset:720
	s_waitcnt vmcnt(26) lgkmcnt(1)
	v_mul_f64 v[73:74], v[55:56], v[75:76]
	v_add_f64 v[105:106], v[105:106], 0
	v_add_f64 v[3:4], v[3:4], 0
	v_mul_f64 v[75:76], v[57:58], v[75:76]
	s_waitcnt vmcnt(24)
	v_fma_f64 v[71:72], v[63:64], v[81:82], -v[71:72]
	v_fma_f64 v[69:70], v[65:66], v[81:82], v[69:70]
	ds_read_b128 v[63:66], v2 offset:736
	s_waitcnt vmcnt(21)
	v_fma_f64 v[73:74], v[57:58], v[83:84], v[73:74]
	v_add_f64 v[105:106], v[105:106], v[107:108]
	v_add_f64 v[3:4], v[3:4], v[67:68]
	s_waitcnt lgkmcnt(1)
	v_mul_f64 v[67:68], v[59:60], v[77:78]
	v_mul_f64 v[77:78], v[61:62], v[77:78]
	v_fma_f64 v[75:76], v[55:56], v[83:84], -v[75:76]
	s_waitcnt vmcnt(17) lgkmcnt(0)
	v_mul_f64 v[81:82], v[65:66], v[85:86]
	ds_read_b128 v[55:58], v2 offset:752
	v_add_f64 v[71:72], v[105:106], v[71:72]
	v_add_f64 v[3:4], v[3:4], v[69:70]
	v_mul_f64 v[69:70], v[63:64], v[85:86]
	s_waitcnt vmcnt(16)
	v_fma_f64 v[77:78], v[59:60], v[79:80], -v[77:78]
	v_fma_f64 v[67:68], v[61:62], v[79:80], v[67:68]
	ds_read_b128 v[59:62], v2 offset:768
	s_waitcnt vmcnt(13)
	v_fma_f64 v[79:80], v[63:64], v[91:92], -v[81:82]
	v_add_f64 v[71:72], v[71:72], v[75:76]
	v_add_f64 v[3:4], v[3:4], v[73:74]
	s_waitcnt lgkmcnt(1)
	v_mul_f64 v[75:76], v[57:58], v[87:88]
	v_mul_f64 v[73:74], v[55:56], v[87:88]
	v_fma_f64 v[69:70], v[65:66], v[91:92], v[69:70]
	ds_read_b128 v[63:66], v2 offset:784
	v_add_f64 v[71:72], v[71:72], v[77:78]
	v_add_f64 v[3:4], v[3:4], v[67:68]
	s_waitcnt vmcnt(9) lgkmcnt(1)
	v_mul_f64 v[77:78], v[61:62], v[93:94]
	s_waitcnt vmcnt(8)
	v_fma_f64 v[55:56], v[55:56], v[89:90], -v[75:76]
	v_mul_f64 v[67:68], v[59:60], v[93:94]
	v_fma_f64 v[57:58], v[57:58], v[89:90], v[73:74]
	s_waitcnt vmcnt(7) lgkmcnt(0)
	v_mul_f64 v[73:74], v[65:66], v[95:96]
	v_add_f64 v[71:72], v[71:72], v[79:80]
	v_add_f64 v[3:4], v[3:4], v[69:70]
	s_waitcnt vmcnt(5)
	v_fma_f64 v[59:60], v[59:60], v[99:100], -v[77:78]
	v_mul_f64 v[69:70], v[63:64], v[95:96]
	v_fma_f64 v[61:62], v[61:62], v[99:100], v[67:68]
	v_add_f64 v[55:56], v[71:72], v[55:56]
	v_add_f64 v[3:4], v[3:4], v[57:58]
	s_waitcnt vmcnt(4)
	v_fma_f64 v[57:58], v[63:64], v[97:98], -v[73:74]
	v_add_f64 v[55:56], v[55:56], v[59:60]
	v_fma_f64 v[59:60], v[65:66], v[97:98], v[69:70]
	v_add_f64 v[3:4], v[3:4], v[61:62]
	v_add_f64 v[55:56], v[55:56], v[57:58]
	v_add_f64 v[3:4], v[3:4], v[59:60]
	s_waitcnt vmcnt(2)
	v_add_f64 v[55:56], v[101:102], -v[55:56]
	s_waitcnt vmcnt(0)
	v_add_f64 v[3:4], v[103:104], -v[3:4]
	buffer_store_dword v56, off, s[0:3], 0 offset:260
	buffer_store_dword v55, off, s[0:3], 0 offset:256
	;; [unrolled: 1-line block ×4, first 2 shown]
	v_cmpx_lt_u32_e32 14, v0
	s_cbranch_execz .LBB88_135
; %bb.134:
	v_mov_b32_e32 v3, s22
	s_clause 0x3
	buffer_load_dword v55, v3, s[0:3], 0 offen
	buffer_load_dword v56, v3, s[0:3], 0 offen offset:4
	buffer_load_dword v57, v3, s[0:3], 0 offen offset:8
	;; [unrolled: 1-line block ×3, first 2 shown]
	buffer_store_dword v2, off, s[0:3], 0 offset:240
	buffer_store_dword v2, off, s[0:3], 0 offset:244
	;; [unrolled: 1-line block ×4, first 2 shown]
	s_waitcnt vmcnt(0)
	ds_write_b128 v1, v[55:58]
.LBB88_135:
	s_or_b32 exec_lo, exec_lo, s4
	s_waitcnt lgkmcnt(0)
	s_waitcnt_vscnt null, 0x0
	s_barrier
	buffer_gl0_inv
	s_clause 0x2b
	buffer_load_dword v3, off, s[0:3], 0 offset:264
	buffer_load_dword v4, off, s[0:3], 0 offset:268
	;; [unrolled: 1-line block ×44, first 2 shown]
	ds_read_b128 v[55:58], v2 offset:640
	ds_read_b128 v[59:62], v2 offset:656
	ds_read_b128 v[63:66], v2 offset:672
	s_mov_b32 s4, exec_lo
	s_waitcnt vmcnt(42) lgkmcnt(2)
	v_mul_f64 v[109:110], v[57:58], v[3:4]
	v_mul_f64 v[3:4], v[55:56], v[3:4]
	s_waitcnt vmcnt(40) lgkmcnt(1)
	v_mul_f64 v[111:112], v[61:62], v[67:68]
	v_mul_f64 v[67:68], v[59:60], v[67:68]
	s_waitcnt vmcnt(38)
	v_fma_f64 v[109:110], v[55:56], v[69:70], -v[109:110]
	v_fma_f64 v[3:4], v[57:58], v[69:70], v[3:4]
	ds_read_b128 v[55:58], v2 offset:688
	s_waitcnt vmcnt(36) lgkmcnt(1)
	v_mul_f64 v[69:70], v[63:64], v[71:72]
	v_mul_f64 v[71:72], v[65:66], v[71:72]
	s_waitcnt vmcnt(34)
	v_fma_f64 v[111:112], v[59:60], v[73:74], -v[111:112]
	v_fma_f64 v[67:68], v[61:62], v[73:74], v[67:68]
	ds_read_b128 v[59:62], v2 offset:704
	s_waitcnt vmcnt(30) lgkmcnt(1)
	v_mul_f64 v[73:74], v[55:56], v[75:76]
	v_add_f64 v[109:110], v[109:110], 0
	v_add_f64 v[3:4], v[3:4], 0
	v_mul_f64 v[75:76], v[57:58], v[75:76]
	s_waitcnt vmcnt(28)
	v_fma_f64 v[71:72], v[63:64], v[81:82], -v[71:72]
	v_fma_f64 v[69:70], v[65:66], v[81:82], v[69:70]
	ds_read_b128 v[63:66], v2 offset:720
	s_waitcnt vmcnt(25)
	v_fma_f64 v[73:74], v[57:58], v[83:84], v[73:74]
	v_add_f64 v[109:110], v[109:110], v[111:112]
	v_add_f64 v[3:4], v[3:4], v[67:68]
	s_waitcnt lgkmcnt(1)
	v_mul_f64 v[67:68], v[59:60], v[77:78]
	v_mul_f64 v[77:78], v[61:62], v[77:78]
	v_fma_f64 v[75:76], v[55:56], v[83:84], -v[75:76]
	s_waitcnt vmcnt(21) lgkmcnt(0)
	v_mul_f64 v[81:82], v[65:66], v[85:86]
	ds_read_b128 v[55:58], v2 offset:736
	v_add_f64 v[71:72], v[109:110], v[71:72]
	v_add_f64 v[3:4], v[3:4], v[69:70]
	v_mul_f64 v[69:70], v[63:64], v[85:86]
	s_waitcnt vmcnt(20)
	v_fma_f64 v[77:78], v[59:60], v[79:80], -v[77:78]
	v_fma_f64 v[67:68], v[61:62], v[79:80], v[67:68]
	ds_read_b128 v[59:62], v2 offset:752
	s_waitcnt vmcnt(17)
	v_fma_f64 v[79:80], v[63:64], v[91:92], -v[81:82]
	v_add_f64 v[71:72], v[71:72], v[75:76]
	v_add_f64 v[3:4], v[3:4], v[73:74]
	s_waitcnt lgkmcnt(1)
	v_mul_f64 v[75:76], v[57:58], v[87:88]
	v_mul_f64 v[73:74], v[55:56], v[87:88]
	v_fma_f64 v[69:70], v[65:66], v[91:92], v[69:70]
	ds_read_b128 v[63:66], v2 offset:768
	v_add_f64 v[71:72], v[71:72], v[77:78]
	v_add_f64 v[3:4], v[3:4], v[67:68]
	s_waitcnt vmcnt(13) lgkmcnt(1)
	v_mul_f64 v[77:78], v[61:62], v[93:94]
	s_waitcnt vmcnt(12)
	v_fma_f64 v[75:76], v[55:56], v[89:90], -v[75:76]
	v_mul_f64 v[67:68], v[59:60], v[93:94]
	v_fma_f64 v[73:74], v[57:58], v[89:90], v[73:74]
	ds_read_b128 v[55:58], v2 offset:784
	v_add_f64 v[71:72], v[71:72], v[79:80]
	v_add_f64 v[3:4], v[3:4], v[69:70]
	s_waitcnt vmcnt(11) lgkmcnt(1)
	v_mul_f64 v[79:80], v[65:66], v[95:96]
	s_waitcnt vmcnt(9)
	v_fma_f64 v[59:60], v[59:60], v[99:100], -v[77:78]
	v_mul_f64 v[69:70], v[63:64], v[95:96]
	v_fma_f64 v[61:62], v[61:62], v[99:100], v[67:68]
	s_waitcnt vmcnt(7) lgkmcnt(0)
	v_mul_f64 v[67:68], v[55:56], v[101:102]
	v_add_f64 v[71:72], v[71:72], v[75:76]
	v_add_f64 v[2:3], v[3:4], v[73:74]
	v_mul_f64 v[73:74], v[57:58], v[101:102]
	s_waitcnt vmcnt(6)
	v_fma_f64 v[63:64], v[63:64], v[97:98], -v[79:80]
	v_fma_f64 v[65:66], v[65:66], v[97:98], v[69:70]
	s_waitcnt vmcnt(4)
	v_fma_f64 v[57:58], v[57:58], v[103:104], v[67:68]
	v_add_f64 v[59:60], v[71:72], v[59:60]
	v_add_f64 v[2:3], v[2:3], v[61:62]
	v_fma_f64 v[55:56], v[55:56], v[103:104], -v[73:74]
	v_add_f64 v[59:60], v[59:60], v[63:64]
	v_add_f64 v[2:3], v[2:3], v[65:66]
	;; [unrolled: 1-line block ×4, first 2 shown]
	s_waitcnt vmcnt(2)
	v_add_f64 v[55:56], v[105:106], -v[55:56]
	s_waitcnt vmcnt(0)
	v_add_f64 v[2:3], v[107:108], -v[2:3]
	buffer_store_dword v56, off, s[0:3], 0 offset:244
	buffer_store_dword v55, off, s[0:3], 0 offset:240
	;; [unrolled: 1-line block ×4, first 2 shown]
	v_cmpx_lt_u32_e32 13, v0
	s_cbranch_execz .LBB88_137
; %bb.136:
	v_mov_b32_e32 v2, s23
	s_clause 0x3
	buffer_load_dword v55, v2, s[0:3], 0 offen
	buffer_load_dword v56, v2, s[0:3], 0 offen offset:4
	buffer_load_dword v57, v2, s[0:3], 0 offen offset:8
	;; [unrolled: 1-line block ×3, first 2 shown]
	v_mov_b32_e32 v2, 0
	buffer_store_dword v2, off, s[0:3], 0 offset:224
	buffer_store_dword v2, off, s[0:3], 0 offset:228
	;; [unrolled: 1-line block ×4, first 2 shown]
	s_waitcnt vmcnt(0)
	ds_write_b128 v1, v[55:58]
.LBB88_137:
	s_or_b32 exec_lo, exec_lo, s4
	s_waitcnt lgkmcnt(0)
	s_waitcnt_vscnt null, 0x0
	s_barrier
	buffer_gl0_inv
	s_clause 0x2f
	buffer_load_dword v3, off, s[0:3], 0 offset:248
	buffer_load_dword v4, off, s[0:3], 0 offset:252
	;; [unrolled: 1-line block ×48, first 2 shown]
	v_mov_b32_e32 v2, 0
	ds_read_b128 v[55:58], v2 offset:624
	ds_read_b128 v[59:62], v2 offset:640
	;; [unrolled: 1-line block ×3, first 2 shown]
	s_mov_b32 s4, exec_lo
	s_waitcnt vmcnt(46) lgkmcnt(2)
	v_mul_f64 v[113:114], v[57:58], v[3:4]
	v_mul_f64 v[3:4], v[55:56], v[3:4]
	s_waitcnt vmcnt(44) lgkmcnt(1)
	v_mul_f64 v[115:116], v[61:62], v[67:68]
	v_mul_f64 v[67:68], v[59:60], v[67:68]
	s_waitcnt vmcnt(42)
	v_fma_f64 v[113:114], v[55:56], v[69:70], -v[113:114]
	v_fma_f64 v[3:4], v[57:58], v[69:70], v[3:4]
	ds_read_b128 v[55:58], v2 offset:672
	s_waitcnt vmcnt(40) lgkmcnt(1)
	v_mul_f64 v[69:70], v[63:64], v[71:72]
	v_mul_f64 v[71:72], v[65:66], v[71:72]
	s_waitcnt vmcnt(38)
	v_fma_f64 v[115:116], v[59:60], v[73:74], -v[115:116]
	v_fma_f64 v[67:68], v[61:62], v[73:74], v[67:68]
	ds_read_b128 v[59:62], v2 offset:688
	s_waitcnt vmcnt(34) lgkmcnt(1)
	v_mul_f64 v[73:74], v[55:56], v[75:76]
	v_add_f64 v[113:114], v[113:114], 0
	v_add_f64 v[3:4], v[3:4], 0
	v_mul_f64 v[75:76], v[57:58], v[75:76]
	s_waitcnt vmcnt(32)
	v_fma_f64 v[71:72], v[63:64], v[81:82], -v[71:72]
	v_fma_f64 v[69:70], v[65:66], v[81:82], v[69:70]
	ds_read_b128 v[63:66], v2 offset:704
	s_waitcnt vmcnt(29)
	v_fma_f64 v[73:74], v[57:58], v[83:84], v[73:74]
	v_add_f64 v[113:114], v[113:114], v[115:116]
	v_add_f64 v[3:4], v[3:4], v[67:68]
	s_waitcnt lgkmcnt(1)
	v_mul_f64 v[67:68], v[59:60], v[77:78]
	v_mul_f64 v[77:78], v[61:62], v[77:78]
	v_fma_f64 v[75:76], v[55:56], v[83:84], -v[75:76]
	s_waitcnt vmcnt(25) lgkmcnt(0)
	v_mul_f64 v[81:82], v[65:66], v[85:86]
	ds_read_b128 v[55:58], v2 offset:720
	v_add_f64 v[71:72], v[113:114], v[71:72]
	v_add_f64 v[3:4], v[3:4], v[69:70]
	v_mul_f64 v[69:70], v[63:64], v[85:86]
	s_waitcnt vmcnt(24)
	v_fma_f64 v[77:78], v[59:60], v[79:80], -v[77:78]
	v_fma_f64 v[67:68], v[61:62], v[79:80], v[67:68]
	ds_read_b128 v[59:62], v2 offset:736
	s_waitcnt vmcnt(21)
	v_fma_f64 v[79:80], v[63:64], v[91:92], -v[81:82]
	v_add_f64 v[71:72], v[71:72], v[75:76]
	v_add_f64 v[3:4], v[3:4], v[73:74]
	s_waitcnt lgkmcnt(1)
	v_mul_f64 v[75:76], v[57:58], v[87:88]
	v_mul_f64 v[73:74], v[55:56], v[87:88]
	v_fma_f64 v[69:70], v[65:66], v[91:92], v[69:70]
	ds_read_b128 v[63:66], v2 offset:752
	v_add_f64 v[71:72], v[71:72], v[77:78]
	v_add_f64 v[3:4], v[3:4], v[67:68]
	s_waitcnt vmcnt(17) lgkmcnt(1)
	v_mul_f64 v[77:78], v[61:62], v[93:94]
	s_waitcnt vmcnt(16)
	v_fma_f64 v[75:76], v[55:56], v[89:90], -v[75:76]
	v_mul_f64 v[67:68], v[59:60], v[93:94]
	v_fma_f64 v[73:74], v[57:58], v[89:90], v[73:74]
	ds_read_b128 v[55:58], v2 offset:768
	v_add_f64 v[71:72], v[71:72], v[79:80]
	v_add_f64 v[3:4], v[3:4], v[69:70]
	s_waitcnt vmcnt(15) lgkmcnt(1)
	v_mul_f64 v[79:80], v[65:66], v[95:96]
	s_waitcnt vmcnt(13)
	v_fma_f64 v[77:78], v[59:60], v[99:100], -v[77:78]
	;; [unrolled: 9-line block ×3, first 2 shown]
	v_mul_f64 v[73:74], v[55:56], v[101:102]
	v_fma_f64 v[65:66], v[65:66], v[97:98], v[69:70]
	s_waitcnt vmcnt(7) lgkmcnt(0)
	v_mul_f64 v[69:70], v[61:62], v[103:104]
	v_add_f64 v[71:72], v[71:72], v[77:78]
	v_add_f64 v[3:4], v[3:4], v[67:68]
	s_waitcnt vmcnt(5)
	v_fma_f64 v[55:56], v[55:56], v[107:108], -v[75:76]
	v_mul_f64 v[67:68], v[59:60], v[103:104]
	v_fma_f64 v[57:58], v[57:58], v[107:108], v[73:74]
	s_waitcnt vmcnt(4)
	v_fma_f64 v[59:60], v[59:60], v[105:106], -v[69:70]
	v_add_f64 v[63:64], v[71:72], v[63:64]
	v_add_f64 v[3:4], v[3:4], v[65:66]
	v_fma_f64 v[61:62], v[61:62], v[105:106], v[67:68]
	v_add_f64 v[55:56], v[63:64], v[55:56]
	v_add_f64 v[3:4], v[3:4], v[57:58]
	v_add_f64 v[55:56], v[55:56], v[59:60]
	v_add_f64 v[3:4], v[3:4], v[61:62]
	s_waitcnt vmcnt(2)
	v_add_f64 v[55:56], v[109:110], -v[55:56]
	s_waitcnt vmcnt(0)
	v_add_f64 v[3:4], v[111:112], -v[3:4]
	buffer_store_dword v56, off, s[0:3], 0 offset:228
	buffer_store_dword v55, off, s[0:3], 0 offset:224
	;; [unrolled: 1-line block ×4, first 2 shown]
	v_cmpx_lt_u32_e32 12, v0
	s_cbranch_execz .LBB88_139
; %bb.138:
	v_mov_b32_e32 v3, s24
	s_clause 0x3
	buffer_load_dword v55, v3, s[0:3], 0 offen
	buffer_load_dword v56, v3, s[0:3], 0 offen offset:4
	buffer_load_dword v57, v3, s[0:3], 0 offen offset:8
	;; [unrolled: 1-line block ×3, first 2 shown]
	buffer_store_dword v2, off, s[0:3], 0 offset:208
	buffer_store_dword v2, off, s[0:3], 0 offset:212
	;; [unrolled: 1-line block ×4, first 2 shown]
	s_waitcnt vmcnt(0)
	ds_write_b128 v1, v[55:58]
.LBB88_139:
	s_or_b32 exec_lo, exec_lo, s4
	s_waitcnt lgkmcnt(0)
	s_waitcnt_vscnt null, 0x0
	s_barrier
	buffer_gl0_inv
	s_clause 0x2f
	buffer_load_dword v3, off, s[0:3], 0 offset:232
	buffer_load_dword v4, off, s[0:3], 0 offset:236
	;; [unrolled: 1-line block ×48, first 2 shown]
	ds_read_b128 v[55:58], v2 offset:608
	s_clause 0x3
	buffer_load_dword v113, off, s[0:3], 0 offset:208
	buffer_load_dword v114, off, s[0:3], 0 offset:212
	;; [unrolled: 1-line block ×4, first 2 shown]
	ds_read_b128 v[59:62], v2 offset:624
	ds_read_b128 v[63:66], v2 offset:640
	s_mov_b32 s4, exec_lo
	s_waitcnt vmcnt(50) lgkmcnt(2)
	v_mul_f64 v[117:118], v[57:58], v[3:4]
	v_mul_f64 v[3:4], v[55:56], v[3:4]
	s_waitcnt vmcnt(48) lgkmcnt(1)
	v_mul_f64 v[119:120], v[61:62], v[67:68]
	v_mul_f64 v[67:68], v[59:60], v[67:68]
	s_waitcnt vmcnt(46)
	v_fma_f64 v[117:118], v[55:56], v[69:70], -v[117:118]
	v_fma_f64 v[3:4], v[57:58], v[69:70], v[3:4]
	s_waitcnt vmcnt(44) lgkmcnt(0)
	v_mul_f64 v[69:70], v[63:64], v[71:72]
	v_mul_f64 v[71:72], v[65:66], v[71:72]
	s_waitcnt vmcnt(42)
	v_fma_f64 v[119:120], v[59:60], v[73:74], -v[119:120]
	ds_read_b128 v[55:58], v2 offset:656
	v_fma_f64 v[67:68], v[61:62], v[73:74], v[67:68]
	ds_read_b128 v[59:62], v2 offset:672
	v_add_f64 v[117:118], v[117:118], 0
	v_add_f64 v[3:4], v[3:4], 0
	s_waitcnt vmcnt(36)
	v_fma_f64 v[69:70], v[65:66], v[81:82], v[69:70]
	s_waitcnt lgkmcnt(1)
	v_mul_f64 v[73:74], v[55:56], v[75:76]
	v_mul_f64 v[75:76], v[57:58], v[75:76]
	v_fma_f64 v[71:72], v[63:64], v[81:82], -v[71:72]
	ds_read_b128 v[63:66], v2 offset:688
	v_add_f64 v[117:118], v[117:118], v[119:120]
	v_add_f64 v[3:4], v[3:4], v[67:68]
	s_waitcnt vmcnt(35) lgkmcnt(1)
	v_mul_f64 v[67:68], v[59:60], v[77:78]
	v_mul_f64 v[77:78], v[61:62], v[77:78]
	s_waitcnt vmcnt(33)
	v_fma_f64 v[75:76], v[55:56], v[83:84], -v[75:76]
	v_fma_f64 v[73:74], v[57:58], v[83:84], v[73:74]
	ds_read_b128 v[55:58], v2 offset:704
	s_waitcnt vmcnt(29) lgkmcnt(1)
	v_mul_f64 v[81:82], v[65:66], v[85:86]
	v_add_f64 v[71:72], v[117:118], v[71:72]
	v_add_f64 v[3:4], v[3:4], v[69:70]
	v_mul_f64 v[69:70], v[63:64], v[85:86]
	s_waitcnt vmcnt(28)
	v_fma_f64 v[77:78], v[59:60], v[79:80], -v[77:78]
	v_fma_f64 v[67:68], v[61:62], v[79:80], v[67:68]
	ds_read_b128 v[59:62], v2 offset:720
	s_waitcnt vmcnt(25)
	v_fma_f64 v[79:80], v[63:64], v[91:92], -v[81:82]
	v_add_f64 v[71:72], v[71:72], v[75:76]
	v_add_f64 v[3:4], v[3:4], v[73:74]
	s_waitcnt lgkmcnt(1)
	v_mul_f64 v[75:76], v[57:58], v[87:88]
	v_mul_f64 v[73:74], v[55:56], v[87:88]
	v_fma_f64 v[69:70], v[65:66], v[91:92], v[69:70]
	ds_read_b128 v[63:66], v2 offset:736
	v_add_f64 v[71:72], v[71:72], v[77:78]
	v_add_f64 v[3:4], v[3:4], v[67:68]
	s_waitcnt vmcnt(21) lgkmcnt(1)
	v_mul_f64 v[77:78], v[61:62], v[93:94]
	s_waitcnt vmcnt(20)
	v_fma_f64 v[75:76], v[55:56], v[89:90], -v[75:76]
	v_mul_f64 v[67:68], v[59:60], v[93:94]
	v_fma_f64 v[73:74], v[57:58], v[89:90], v[73:74]
	ds_read_b128 v[55:58], v2 offset:752
	v_add_f64 v[71:72], v[71:72], v[79:80]
	v_add_f64 v[3:4], v[3:4], v[69:70]
	s_waitcnt vmcnt(19) lgkmcnt(1)
	v_mul_f64 v[79:80], v[65:66], v[95:96]
	s_waitcnt vmcnt(17)
	v_fma_f64 v[77:78], v[59:60], v[99:100], -v[77:78]
	;; [unrolled: 9-line block ×4, first 2 shown]
	v_mul_f64 v[67:68], v[59:60], v[103:104]
	v_fma_f64 v[57:58], v[57:58], v[107:108], v[73:74]
	s_waitcnt vmcnt(7) lgkmcnt(0)
	v_mul_f64 v[73:74], v[65:66], v[109:110]
	v_add_f64 v[71:72], v[71:72], v[79:80]
	v_add_f64 v[2:3], v[3:4], v[69:70]
	s_waitcnt vmcnt(6)
	v_fma_f64 v[59:60], v[59:60], v[105:106], -v[77:78]
	v_mul_f64 v[69:70], v[63:64], v[109:110]
	v_fma_f64 v[61:62], v[61:62], v[105:106], v[67:68]
	v_add_f64 v[55:56], v[71:72], v[55:56]
	v_add_f64 v[2:3], v[2:3], v[57:58]
	s_waitcnt vmcnt(4)
	v_fma_f64 v[57:58], v[63:64], v[111:112], -v[73:74]
	v_add_f64 v[55:56], v[55:56], v[59:60]
	v_fma_f64 v[59:60], v[65:66], v[111:112], v[69:70]
	v_add_f64 v[2:3], v[2:3], v[61:62]
	v_add_f64 v[55:56], v[55:56], v[57:58]
	;; [unrolled: 1-line block ×3, first 2 shown]
	s_waitcnt vmcnt(2)
	v_add_f64 v[55:56], v[113:114], -v[55:56]
	s_waitcnt vmcnt(0)
	v_add_f64 v[2:3], v[115:116], -v[2:3]
	buffer_store_dword v56, off, s[0:3], 0 offset:212
	buffer_store_dword v55, off, s[0:3], 0 offset:208
	;; [unrolled: 1-line block ×4, first 2 shown]
	v_cmpx_lt_u32_e32 11, v0
	s_cbranch_execz .LBB88_141
; %bb.140:
	v_mov_b32_e32 v2, s25
	s_clause 0x3
	buffer_load_dword v55, v2, s[0:3], 0 offen
	buffer_load_dword v56, v2, s[0:3], 0 offen offset:4
	buffer_load_dword v57, v2, s[0:3], 0 offen offset:8
	;; [unrolled: 1-line block ×3, first 2 shown]
	v_mov_b32_e32 v2, 0
	buffer_store_dword v2, off, s[0:3], 0 offset:192
	buffer_store_dword v2, off, s[0:3], 0 offset:196
	buffer_store_dword v2, off, s[0:3], 0 offset:200
	buffer_store_dword v2, off, s[0:3], 0 offset:204
	s_waitcnt vmcnt(0)
	ds_write_b128 v1, v[55:58]
.LBB88_141:
	s_or_b32 exec_lo, exec_lo, s4
	s_waitcnt lgkmcnt(0)
	s_waitcnt_vscnt null, 0x0
	s_barrier
	buffer_gl0_inv
	s_clause 0x33
	buffer_load_dword v3, off, s[0:3], 0 offset:216
	buffer_load_dword v4, off, s[0:3], 0 offset:220
	;; [unrolled: 1-line block ×52, first 2 shown]
	v_mov_b32_e32 v2, 0
	ds_read_b128 v[55:58], v2 offset:592
	ds_read_b128 v[59:62], v2 offset:608
	s_clause 0x3
	buffer_load_dword v119, off, s[0:3], 0 offset:192
	buffer_load_dword v120, off, s[0:3], 0 offset:196
	buffer_load_dword v121, off, s[0:3], 0 offset:200
	buffer_load_dword v122, off, s[0:3], 0 offset:204
	ds_read_b128 v[63:66], v2 offset:624
	s_mov_b32 s4, exec_lo
	s_waitcnt vmcnt(54) lgkmcnt(2)
	v_mul_f64 v[117:118], v[57:58], v[3:4]
	v_mul_f64 v[3:4], v[55:56], v[3:4]
	s_waitcnt vmcnt(52) lgkmcnt(1)
	v_mul_f64 v[123:124], v[61:62], v[67:68]
	v_mul_f64 v[67:68], v[59:60], v[67:68]
	s_waitcnt vmcnt(50)
	v_fma_f64 v[117:118], v[55:56], v[69:70], -v[117:118]
	v_fma_f64 v[3:4], v[57:58], v[69:70], v[3:4]
	ds_read_b128 v[55:58], v2 offset:640
	s_waitcnt vmcnt(48) lgkmcnt(1)
	v_mul_f64 v[69:70], v[63:64], v[71:72]
	v_mul_f64 v[71:72], v[65:66], v[71:72]
	s_waitcnt vmcnt(46)
	v_fma_f64 v[123:124], v[59:60], v[73:74], -v[123:124]
	v_fma_f64 v[67:68], v[61:62], v[73:74], v[67:68]
	ds_read_b128 v[59:62], v2 offset:656
	s_waitcnt vmcnt(42) lgkmcnt(1)
	v_mul_f64 v[73:74], v[55:56], v[75:76]
	v_add_f64 v[117:118], v[117:118], 0
	v_add_f64 v[3:4], v[3:4], 0
	v_mul_f64 v[75:76], v[57:58], v[75:76]
	s_waitcnt vmcnt(40)
	v_fma_f64 v[71:72], v[63:64], v[81:82], -v[71:72]
	v_fma_f64 v[69:70], v[65:66], v[81:82], v[69:70]
	ds_read_b128 v[63:66], v2 offset:672
	s_waitcnt vmcnt(37)
	v_fma_f64 v[73:74], v[57:58], v[83:84], v[73:74]
	v_add_f64 v[117:118], v[117:118], v[123:124]
	v_add_f64 v[3:4], v[3:4], v[67:68]
	s_waitcnt lgkmcnt(1)
	v_mul_f64 v[67:68], v[59:60], v[77:78]
	v_mul_f64 v[77:78], v[61:62], v[77:78]
	v_fma_f64 v[75:76], v[55:56], v[83:84], -v[75:76]
	s_waitcnt vmcnt(33) lgkmcnt(0)
	v_mul_f64 v[81:82], v[65:66], v[85:86]
	ds_read_b128 v[55:58], v2 offset:688
	v_add_f64 v[71:72], v[117:118], v[71:72]
	v_add_f64 v[3:4], v[3:4], v[69:70]
	v_mul_f64 v[69:70], v[63:64], v[85:86]
	s_waitcnt vmcnt(32)
	v_fma_f64 v[77:78], v[59:60], v[79:80], -v[77:78]
	v_fma_f64 v[67:68], v[61:62], v[79:80], v[67:68]
	ds_read_b128 v[59:62], v2 offset:704
	s_waitcnt vmcnt(29)
	v_fma_f64 v[79:80], v[63:64], v[91:92], -v[81:82]
	v_add_f64 v[71:72], v[71:72], v[75:76]
	v_add_f64 v[3:4], v[3:4], v[73:74]
	s_waitcnt lgkmcnt(1)
	v_mul_f64 v[75:76], v[57:58], v[87:88]
	v_mul_f64 v[73:74], v[55:56], v[87:88]
	v_fma_f64 v[69:70], v[65:66], v[91:92], v[69:70]
	ds_read_b128 v[63:66], v2 offset:720
	v_add_f64 v[71:72], v[71:72], v[77:78]
	v_add_f64 v[3:4], v[3:4], v[67:68]
	s_waitcnt vmcnt(25) lgkmcnt(1)
	v_mul_f64 v[77:78], v[61:62], v[93:94]
	s_waitcnt vmcnt(24)
	v_fma_f64 v[75:76], v[55:56], v[89:90], -v[75:76]
	v_mul_f64 v[67:68], v[59:60], v[93:94]
	v_fma_f64 v[73:74], v[57:58], v[89:90], v[73:74]
	ds_read_b128 v[55:58], v2 offset:736
	v_add_f64 v[71:72], v[71:72], v[79:80]
	v_add_f64 v[3:4], v[3:4], v[69:70]
	s_waitcnt vmcnt(23) lgkmcnt(1)
	v_mul_f64 v[79:80], v[65:66], v[95:96]
	s_waitcnt vmcnt(21)
	v_fma_f64 v[77:78], v[59:60], v[99:100], -v[77:78]
	;; [unrolled: 9-line block ×5, first 2 shown]
	v_mul_f64 v[69:70], v[63:64], v[109:110]
	v_fma_f64 v[61:62], v[61:62], v[105:106], v[67:68]
	s_waitcnt vmcnt(7) lgkmcnt(0)
	v_mul_f64 v[67:68], v[55:56], v[111:112]
	v_add_f64 v[71:72], v[71:72], v[75:76]
	v_add_f64 v[3:4], v[3:4], v[73:74]
	v_mul_f64 v[73:74], v[57:58], v[111:112]
	s_waitcnt vmcnt(5)
	v_fma_f64 v[63:64], v[63:64], v[115:116], -v[79:80]
	v_fma_f64 v[65:66], v[65:66], v[115:116], v[69:70]
	s_waitcnt vmcnt(4)
	v_fma_f64 v[57:58], v[57:58], v[113:114], v[67:68]
	v_add_f64 v[59:60], v[71:72], v[59:60]
	v_add_f64 v[3:4], v[3:4], v[61:62]
	v_fma_f64 v[55:56], v[55:56], v[113:114], -v[73:74]
	v_add_f64 v[59:60], v[59:60], v[63:64]
	v_add_f64 v[3:4], v[3:4], v[65:66]
	;; [unrolled: 1-line block ×4, first 2 shown]
	s_waitcnt vmcnt(2)
	v_add_f64 v[55:56], v[119:120], -v[55:56]
	s_waitcnt vmcnt(0)
	v_add_f64 v[3:4], v[121:122], -v[3:4]
	buffer_store_dword v56, off, s[0:3], 0 offset:196
	buffer_store_dword v55, off, s[0:3], 0 offset:192
	;; [unrolled: 1-line block ×4, first 2 shown]
	v_cmpx_lt_u32_e32 10, v0
	s_cbranch_execz .LBB88_143
; %bb.142:
	v_mov_b32_e32 v3, s26
	s_clause 0x3
	buffer_load_dword v55, v3, s[0:3], 0 offen
	buffer_load_dword v56, v3, s[0:3], 0 offen offset:4
	buffer_load_dword v57, v3, s[0:3], 0 offen offset:8
	;; [unrolled: 1-line block ×3, first 2 shown]
	buffer_store_dword v2, off, s[0:3], 0 offset:176
	buffer_store_dword v2, off, s[0:3], 0 offset:180
	;; [unrolled: 1-line block ×4, first 2 shown]
	s_waitcnt vmcnt(0)
	ds_write_b128 v1, v[55:58]
.LBB88_143:
	s_or_b32 exec_lo, exec_lo, s4
	s_waitcnt lgkmcnt(0)
	s_waitcnt_vscnt null, 0x0
	s_barrier
	buffer_gl0_inv
	s_clause 0x35
	buffer_load_dword v3, off, s[0:3], 0 offset:200
	buffer_load_dword v4, off, s[0:3], 0 offset:204
	;; [unrolled: 1-line block ×54, first 2 shown]
	ds_read_b128 v[55:58], v2 offset:576
	s_clause 0x1
	buffer_load_dword v120, off, s[0:3], 0 offset:404
	buffer_load_dword v119, off, s[0:3], 0 offset:400
	ds_read_b128 v[59:62], v2 offset:592
	ds_read_b128 v[63:66], v2 offset:608
	s_mov_b32 s4, exec_lo
	s_waitcnt vmcnt(54) lgkmcnt(2)
	v_mul_f64 v[121:122], v[57:58], v[3:4]
	v_mul_f64 v[3:4], v[55:56], v[3:4]
	s_waitcnt vmcnt(52) lgkmcnt(1)
	v_mul_f64 v[123:124], v[61:62], v[67:68]
	v_mul_f64 v[67:68], v[59:60], v[67:68]
	s_waitcnt vmcnt(48) lgkmcnt(0)
	v_mul_f64 v[127:128], v[63:64], v[71:72]
	v_mul_f64 v[71:72], v[65:66], v[71:72]
	v_fma_f64 v[121:122], v[55:56], v[69:70], -v[121:122]
	v_fma_f64 v[3:4], v[57:58], v[69:70], v[3:4]
	s_clause 0x3
	buffer_load_dword v69, off, s[0:3], 0 offset:176
	buffer_load_dword v70, off, s[0:3], 0 offset:180
	;; [unrolled: 1-line block ×4, first 2 shown]
	s_waitcnt vmcnt(50)
	v_fma_f64 v[123:124], v[59:60], v[73:74], -v[123:124]
	ds_read_b128 v[55:58], v2 offset:624
	v_fma_f64 v[67:68], v[61:62], v[73:74], v[67:68]
	ds_read_b128 v[59:62], v2 offset:640
	s_waitcnt vmcnt(44)
	v_fma_f64 v[71:72], v[63:64], v[81:82], -v[71:72]
	v_fma_f64 v[81:82], v[65:66], v[81:82], v[127:128]
	ds_read_b128 v[63:66], v2 offset:656
	v_add_f64 v[121:122], v[121:122], 0
	v_add_f64 v[3:4], v[3:4], 0
	s_waitcnt lgkmcnt(2)
	v_mul_f64 v[73:74], v[55:56], v[75:76]
	v_mul_f64 v[75:76], v[57:58], v[75:76]
	v_add_f64 v[121:122], v[121:122], v[123:124]
	v_add_f64 v[3:4], v[3:4], v[67:68]
	s_waitcnt vmcnt(43) lgkmcnt(1)
	v_mul_f64 v[67:68], v[59:60], v[77:78]
	v_mul_f64 v[77:78], v[61:62], v[77:78]
	s_waitcnt vmcnt(41)
	v_fma_f64 v[75:76], v[55:56], v[83:84], -v[75:76]
	v_fma_f64 v[73:74], v[57:58], v[83:84], v[73:74]
	ds_read_b128 v[55:58], v2 offset:672
	s_waitcnt vmcnt(37) lgkmcnt(1)
	v_mul_f64 v[83:84], v[65:66], v[85:86]
	v_add_f64 v[71:72], v[121:122], v[71:72]
	v_add_f64 v[3:4], v[3:4], v[81:82]
	v_mul_f64 v[81:82], v[63:64], v[85:86]
	s_waitcnt vmcnt(36)
	v_fma_f64 v[77:78], v[59:60], v[79:80], -v[77:78]
	v_fma_f64 v[67:68], v[61:62], v[79:80], v[67:68]
	ds_read_b128 v[59:62], v2 offset:688
	s_waitcnt vmcnt(33)
	v_fma_f64 v[79:80], v[63:64], v[91:92], -v[83:84]
	v_add_f64 v[71:72], v[71:72], v[75:76]
	v_add_f64 v[3:4], v[3:4], v[73:74]
	s_waitcnt lgkmcnt(1)
	v_mul_f64 v[75:76], v[57:58], v[87:88]
	v_mul_f64 v[73:74], v[55:56], v[87:88]
	v_add_f64 v[71:72], v[71:72], v[77:78]
	v_fma_f64 v[77:78], v[65:66], v[91:92], v[81:82]
	v_add_f64 v[3:4], v[3:4], v[67:68]
	ds_read_b128 v[63:66], v2 offset:704
	s_waitcnt vmcnt(29) lgkmcnt(1)
	v_mul_f64 v[81:82], v[61:62], v[93:94]
	s_waitcnt vmcnt(28)
	v_fma_f64 v[75:76], v[55:56], v[89:90], -v[75:76]
	v_mul_f64 v[67:68], v[59:60], v[93:94]
	v_fma_f64 v[73:74], v[57:58], v[89:90], v[73:74]
	ds_read_b128 v[55:58], v2 offset:720
	v_add_f64 v[71:72], v[71:72], v[79:80]
	s_waitcnt vmcnt(27) lgkmcnt(1)
	v_mul_f64 v[79:80], v[65:66], v[95:96]
	v_add_f64 v[3:4], v[3:4], v[77:78]
	v_mul_f64 v[77:78], v[63:64], v[95:96]
	s_waitcnt vmcnt(25)
	v_fma_f64 v[81:82], v[59:60], v[99:100], -v[81:82]
	v_fma_f64 v[67:68], v[61:62], v[99:100], v[67:68]
	ds_read_b128 v[59:62], v2 offset:736
	v_add_f64 v[71:72], v[71:72], v[75:76]
	s_waitcnt vmcnt(21) lgkmcnt(1)
	v_mul_f64 v[75:76], v[57:58], v[101:102]
	v_add_f64 v[3:4], v[3:4], v[73:74]
	s_waitcnt vmcnt(20)
	v_fma_f64 v[79:80], v[63:64], v[97:98], -v[79:80]
	v_mul_f64 v[73:74], v[55:56], v[101:102]
	v_fma_f64 v[77:78], v[65:66], v[97:98], v[77:78]
	ds_read_b128 v[63:66], v2 offset:752
	v_add_f64 v[71:72], v[71:72], v[81:82]
	s_waitcnt vmcnt(19) lgkmcnt(1)
	v_mul_f64 v[81:82], v[61:62], v[103:104]
	v_add_f64 v[3:4], v[3:4], v[67:68]
	s_waitcnt vmcnt(17)
	v_fma_f64 v[75:76], v[55:56], v[107:108], -v[75:76]
	v_mul_f64 v[67:68], v[59:60], v[103:104]
	;; [unrolled: 9-line block ×4, first 2 shown]
	v_fma_f64 v[65:66], v[65:66], v[115:116], v[77:78]
	s_waitcnt vmcnt(7) lgkmcnt(0)
	v_mul_f64 v[77:78], v[61:62], v[117:118]
	v_add_f64 v[71:72], v[71:72], v[81:82]
	s_waitcnt vmcnt(6)
	v_fma_f64 v[55:56], v[55:56], v[113:114], -v[75:76]
	v_add_f64 v[2:3], v[3:4], v[67:68]
	v_mul_f64 v[67:68], v[59:60], v[117:118]
	v_fma_f64 v[57:58], v[57:58], v[113:114], v[73:74]
	s_waitcnt vmcnt(4)
	v_fma_f64 v[59:60], v[59:60], v[119:120], -v[77:78]
	v_add_f64 v[63:64], v[71:72], v[63:64]
	v_add_f64 v[2:3], v[2:3], v[65:66]
	v_fma_f64 v[61:62], v[61:62], v[119:120], v[67:68]
	v_add_f64 v[55:56], v[63:64], v[55:56]
	v_add_f64 v[2:3], v[2:3], v[57:58]
	;; [unrolled: 1-line block ×4, first 2 shown]
	s_waitcnt vmcnt(2)
	v_add_f64 v[55:56], v[69:70], -v[55:56]
	s_waitcnt vmcnt(0)
	v_add_f64 v[2:3], v[125:126], -v[2:3]
	buffer_store_dword v56, off, s[0:3], 0 offset:180
	buffer_store_dword v55, off, s[0:3], 0 offset:176
	;; [unrolled: 1-line block ×4, first 2 shown]
	v_cmpx_lt_u32_e32 9, v0
	s_cbranch_execz .LBB88_145
; %bb.144:
	v_mov_b32_e32 v2, s27
	s_clause 0x3
	buffer_load_dword v55, v2, s[0:3], 0 offen
	buffer_load_dword v56, v2, s[0:3], 0 offen offset:4
	buffer_load_dword v57, v2, s[0:3], 0 offen offset:8
	buffer_load_dword v58, v2, s[0:3], 0 offen offset:12
	v_mov_b32_e32 v2, 0
	buffer_store_dword v2, off, s[0:3], 0 offset:160
	buffer_store_dword v2, off, s[0:3], 0 offset:164
	;; [unrolled: 1-line block ×4, first 2 shown]
	s_waitcnt vmcnt(0)
	ds_write_b128 v1, v[55:58]
.LBB88_145:
	s_or_b32 exec_lo, exec_lo, s4
	s_waitcnt lgkmcnt(0)
	s_waitcnt_vscnt null, 0x0
	s_barrier
	buffer_gl0_inv
	s_clause 0x37
	buffer_load_dword v3, off, s[0:3], 0 offset:184
	buffer_load_dword v4, off, s[0:3], 0 offset:188
	;; [unrolled: 1-line block ×56, first 2 shown]
	v_mov_b32_e32 v2, 0
	s_mov_b32 s4, exec_lo
	ds_read_b128 v[55:58], v2 offset:560
	s_clause 0x2
	buffer_load_dword v120, off, s[0:3], 0 offset:412
	buffer_load_dword v124, off, s[0:3], 0 offset:388
	;; [unrolled: 1-line block ×3, first 2 shown]
	ds_read_b128 v[59:62], v2 offset:576
	ds_read_b128 v[63:66], v2 offset:592
	buffer_load_dword v122, off, s[0:3], 0 offset:404
	s_waitcnt vmcnt(58) lgkmcnt(2)
	v_mul_f64 v[125:126], v[57:58], v[3:4]
	v_mul_f64 v[3:4], v[55:56], v[3:4]
	s_waitcnt vmcnt(56) lgkmcnt(1)
	v_mul_f64 v[127:128], v[61:62], v[67:68]
	v_mul_f64 v[67:68], v[59:60], v[67:68]
	s_waitcnt vmcnt(54)
	v_fma_f64 v[125:126], v[55:56], v[69:70], -v[125:126]
	v_fma_f64 v[3:4], v[57:58], v[69:70], v[3:4]
	s_waitcnt vmcnt(52) lgkmcnt(0)
	v_mul_f64 v[69:70], v[63:64], v[71:72]
	v_mul_f64 v[71:72], v[65:66], v[71:72]
	s_waitcnt vmcnt(50)
	v_fma_f64 v[127:128], v[59:60], v[73:74], -v[127:128]
	ds_read_b128 v[55:58], v2 offset:608
	v_fma_f64 v[67:68], v[61:62], v[73:74], v[67:68]
	s_clause 0x3
	buffer_load_dword v73, off, s[0:3], 0 offset:160
	buffer_load_dword v74, off, s[0:3], 0 offset:164
	;; [unrolled: 1-line block ×4, first 2 shown]
	ds_read_b128 v[59:62], v2 offset:624
	v_add_f64 v[125:126], v[125:126], 0
	v_add_f64 v[3:4], v[3:4], 0
	s_waitcnt vmcnt(48)
	v_fma_f64 v[69:70], v[65:66], v[81:82], v[69:70]
	s_waitcnt lgkmcnt(1)
	v_mul_f64 v[131:132], v[55:56], v[75:76]
	v_mul_f64 v[75:76], v[57:58], v[75:76]
	v_fma_f64 v[71:72], v[63:64], v[81:82], -v[71:72]
	ds_read_b128 v[63:66], v2 offset:640
	v_add_f64 v[125:126], v[125:126], v[127:128]
	v_add_f64 v[3:4], v[3:4], v[67:68]
	s_waitcnt vmcnt(47) lgkmcnt(1)
	v_mul_f64 v[67:68], v[59:60], v[77:78]
	v_mul_f64 v[77:78], v[61:62], v[77:78]
	s_waitcnt vmcnt(45)
	v_fma_f64 v[75:76], v[55:56], v[83:84], -v[75:76]
	v_fma_f64 v[81:82], v[57:58], v[83:84], v[131:132]
	s_waitcnt vmcnt(41) lgkmcnt(0)
	v_mul_f64 v[83:84], v[65:66], v[85:86]
	ds_read_b128 v[55:58], v2 offset:656
	v_add_f64 v[71:72], v[125:126], v[71:72]
	v_add_f64 v[3:4], v[3:4], v[69:70]
	v_mul_f64 v[69:70], v[63:64], v[85:86]
	s_waitcnt vmcnt(40)
	v_fma_f64 v[77:78], v[59:60], v[79:80], -v[77:78]
	v_fma_f64 v[67:68], v[61:62], v[79:80], v[67:68]
	ds_read_b128 v[59:62], v2 offset:672
	s_waitcnt vmcnt(39) lgkmcnt(1)
	v_mul_f64 v[79:80], v[57:58], v[87:88]
	v_add_f64 v[71:72], v[71:72], v[75:76]
	v_add_f64 v[3:4], v[3:4], v[81:82]
	s_waitcnt vmcnt(37)
	v_fma_f64 v[81:82], v[63:64], v[91:92], -v[83:84]
	v_mul_f64 v[75:76], v[55:56], v[87:88]
	v_fma_f64 v[69:70], v[65:66], v[91:92], v[69:70]
	ds_read_b128 v[63:66], v2 offset:688
	s_waitcnt vmcnt(32)
	v_fma_f64 v[79:80], v[55:56], v[89:90], -v[79:80]
	v_add_f64 v[71:72], v[71:72], v[77:78]
	v_add_f64 v[3:4], v[3:4], v[67:68]
	s_waitcnt lgkmcnt(1)
	v_mul_f64 v[77:78], v[61:62], v[93:94]
	v_mul_f64 v[67:68], v[59:60], v[93:94]
	v_fma_f64 v[75:76], v[57:58], v[89:90], v[75:76]
	ds_read_b128 v[55:58], v2 offset:704
	v_add_f64 v[71:72], v[71:72], v[81:82]
	v_add_f64 v[3:4], v[3:4], v[69:70]
	s_waitcnt vmcnt(31) lgkmcnt(1)
	v_mul_f64 v[81:82], v[65:66], v[95:96]
	s_waitcnt vmcnt(29)
	v_fma_f64 v[77:78], v[59:60], v[99:100], -v[77:78]
	v_mul_f64 v[69:70], v[63:64], v[95:96]
	v_fma_f64 v[67:68], v[61:62], v[99:100], v[67:68]
	ds_read_b128 v[59:62], v2 offset:720
	v_add_f64 v[71:72], v[71:72], v[79:80]
	v_add_f64 v[3:4], v[3:4], v[75:76]
	s_waitcnt vmcnt(25) lgkmcnt(1)
	v_mul_f64 v[79:80], v[57:58], v[101:102]
	s_waitcnt vmcnt(24)
	v_fma_f64 v[81:82], v[63:64], v[97:98], -v[81:82]
	;; [unrolled: 9-line block ×6, first 2 shown]
	v_mul_f64 v[67:68], v[59:60], v[117:118]
	v_fma_f64 v[57:58], v[57:58], v[113:114], v[75:76]
	s_waitcnt vmcnt(7) lgkmcnt(0)
	v_mul_f64 v[75:76], v[65:66], v[119:120]
	v_add_f64 v[71:72], v[71:72], v[81:82]
	v_add_f64 v[3:4], v[3:4], v[69:70]
	s_waitcnt vmcnt(5)
	v_fma_f64 v[59:60], v[59:60], v[123:124], -v[77:78]
	v_mul_f64 v[69:70], v[63:64], v[119:120]
	v_fma_f64 v[61:62], v[61:62], v[123:124], v[67:68]
	v_add_f64 v[55:56], v[71:72], v[55:56]
	v_add_f64 v[3:4], v[3:4], v[57:58]
	s_waitcnt vmcnt(4)
	v_fma_f64 v[57:58], v[63:64], v[121:122], -v[75:76]
	v_add_f64 v[55:56], v[55:56], v[59:60]
	v_fma_f64 v[59:60], v[65:66], v[121:122], v[69:70]
	v_add_f64 v[3:4], v[3:4], v[61:62]
	v_add_f64 v[55:56], v[55:56], v[57:58]
	v_add_f64 v[3:4], v[3:4], v[59:60]
	s_waitcnt vmcnt(2)
	v_add_f64 v[55:56], v[73:74], -v[55:56]
	s_waitcnt vmcnt(0)
	v_add_f64 v[3:4], v[129:130], -v[3:4]
	buffer_store_dword v56, off, s[0:3], 0 offset:164
	buffer_store_dword v55, off, s[0:3], 0 offset:160
	;; [unrolled: 1-line block ×4, first 2 shown]
	v_cmpx_lt_u32_e32 8, v0
	s_cbranch_execz .LBB88_147
; %bb.146:
	v_mov_b32_e32 v3, s28
	s_clause 0x3
	buffer_load_dword v55, v3, s[0:3], 0 offen
	buffer_load_dword v56, v3, s[0:3], 0 offen offset:4
	buffer_load_dword v57, v3, s[0:3], 0 offen offset:8
	;; [unrolled: 1-line block ×3, first 2 shown]
	buffer_store_dword v2, off, s[0:3], 0 offset:144
	buffer_store_dword v2, off, s[0:3], 0 offset:148
	;; [unrolled: 1-line block ×4, first 2 shown]
	s_waitcnt vmcnt(0)
	ds_write_b128 v1, v[55:58]
.LBB88_147:
	s_or_b32 exec_lo, exec_lo, s4
	s_waitcnt lgkmcnt(0)
	s_waitcnt_vscnt null, 0x0
	s_barrier
	buffer_gl0_inv
	s_clause 0x37
	buffer_load_dword v3, off, s[0:3], 0 offset:168
	buffer_load_dword v4, off, s[0:3], 0 offset:172
	buffer_load_dword v67, off, s[0:3], 0 offset:184
	buffer_load_dword v68, off, s[0:3], 0 offset:188
	buffer_load_dword v69, off, s[0:3], 0 offset:160
	buffer_load_dword v70, off, s[0:3], 0 offset:164
	buffer_load_dword v71, off, s[0:3], 0 offset:200
	buffer_load_dword v72, off, s[0:3], 0 offset:204
	buffer_load_dword v73, off, s[0:3], 0 offset:176
	buffer_load_dword v74, off, s[0:3], 0 offset:180
	buffer_load_dword v76, off, s[0:3], 0 offset:220
	buffer_load_dword v77, off, s[0:3], 0 offset:232
	buffer_load_dword v79, off, s[0:3], 0 offset:224
	buffer_load_dword v75, off, s[0:3], 0 offset:216
	buffer_load_dword v81, off, s[0:3], 0 offset:192
	buffer_load_dword v82, off, s[0:3], 0 offset:196
	buffer_load_dword v78, off, s[0:3], 0 offset:236
	buffer_load_dword v84, off, s[0:3], 0 offset:212
	buffer_load_dword v83, off, s[0:3], 0 offset:208
	buffer_load_dword v86, off, s[0:3], 0 offset:252
	buffer_load_dword v87, off, s[0:3], 0 offset:264
	buffer_load_dword v89, off, s[0:3], 0 offset:256
	buffer_load_dword v85, off, s[0:3], 0 offset:248
	buffer_load_dword v80, off, s[0:3], 0 offset:228
	buffer_load_dword v88, off, s[0:3], 0 offset:268
	buffer_load_dword v92, off, s[0:3], 0 offset:244
	buffer_load_dword v91, off, s[0:3], 0 offset:240
	buffer_load_dword v94, off, s[0:3], 0 offset:284
	buffer_load_dword v95, off, s[0:3], 0 offset:296
	buffer_load_dword v97, off, s[0:3], 0 offset:288
	buffer_load_dword v93, off, s[0:3], 0 offset:280
	buffer_load_dword v90, off, s[0:3], 0 offset:260
	buffer_load_dword v96, off, s[0:3], 0 offset:300
	buffer_load_dword v100, off, s[0:3], 0 offset:276
	buffer_load_dword v99, off, s[0:3], 0 offset:272
	buffer_load_dword v102, off, s[0:3], 0 offset:316
	buffer_load_dword v103, off, s[0:3], 0 offset:328
	buffer_load_dword v105, off, s[0:3], 0 offset:320
	buffer_load_dword v101, off, s[0:3], 0 offset:312
	buffer_load_dword v98, off, s[0:3], 0 offset:292
	buffer_load_dword v104, off, s[0:3], 0 offset:332
	buffer_load_dword v108, off, s[0:3], 0 offset:308
	buffer_load_dword v107, off, s[0:3], 0 offset:304
	buffer_load_dword v110, off, s[0:3], 0 offset:348
	buffer_load_dword v111, off, s[0:3], 0 offset:360
	buffer_load_dword v113, off, s[0:3], 0 offset:352
	buffer_load_dword v109, off, s[0:3], 0 offset:344
	buffer_load_dword v106, off, s[0:3], 0 offset:324
	buffer_load_dword v112, off, s[0:3], 0 offset:364
	buffer_load_dword v116, off, s[0:3], 0 offset:340
	buffer_load_dword v115, off, s[0:3], 0 offset:336
	buffer_load_dword v118, off, s[0:3], 0 offset:380
	buffer_load_dword v119, off, s[0:3], 0 offset:392
	buffer_load_dword v121, off, s[0:3], 0 offset:384
	buffer_load_dword v117, off, s[0:3], 0 offset:376
	buffer_load_dword v114, off, s[0:3], 0 offset:356
	ds_read_b128 v[55:58], v2 offset:544
	s_clause 0x2
	buffer_load_dword v120, off, s[0:3], 0 offset:396
	buffer_load_dword v124, off, s[0:3], 0 offset:372
	;; [unrolled: 1-line block ×3, first 2 shown]
	ds_read_b128 v[59:62], v2 offset:560
	s_clause 0x2
	buffer_load_dword v128, off, s[0:3], 0 offset:412
	buffer_load_dword v127, off, s[0:3], 0 offset:408
	;; [unrolled: 1-line block ×3, first 2 shown]
	ds_read_b128 v[63:66], v2 offset:576
	s_mov_b32 s4, exec_lo
	s_waitcnt vmcnt(60) lgkmcnt(2)
	v_mul_f64 v[125:126], v[57:58], v[3:4]
	v_mul_f64 v[3:4], v[55:56], v[3:4]
	s_waitcnt vmcnt(58) lgkmcnt(1)
	v_mul_f64 v[129:130], v[61:62], v[67:68]
	v_mul_f64 v[67:68], v[59:60], v[67:68]
	s_waitcnt vmcnt(54) lgkmcnt(0)
	v_mul_f64 v[131:132], v[63:64], v[71:72]
	v_mul_f64 v[71:72], v[65:66], v[71:72]
	v_fma_f64 v[125:126], v[55:56], v[69:70], -v[125:126]
	v_fma_f64 v[3:4], v[57:58], v[69:70], v[3:4]
	s_clause 0x1
	buffer_load_dword v70, off, s[0:3], 0 offset:404
	buffer_load_dword v69, off, s[0:3], 0 offset:400
	s_waitcnt vmcnt(54)
	v_fma_f64 v[129:130], v[59:60], v[73:74], -v[129:130]
	ds_read_b128 v[55:58], v2 offset:592
	v_fma_f64 v[67:68], v[61:62], v[73:74], v[67:68]
	ds_read_b128 v[59:62], v2 offset:608
	s_waitcnt vmcnt(48)
	v_fma_f64 v[71:72], v[63:64], v[81:82], -v[71:72]
	v_fma_f64 v[81:82], v[65:66], v[81:82], v[131:132]
	v_add_f64 v[125:126], v[125:126], 0
	v_add_f64 v[3:4], v[3:4], 0
	s_waitcnt lgkmcnt(1)
	v_mul_f64 v[73:74], v[55:56], v[75:76]
	v_mul_f64 v[75:76], v[57:58], v[75:76]
	s_waitcnt vmcnt(47) lgkmcnt(0)
	v_mul_f64 v[131:132], v[59:60], v[77:78]
	v_mul_f64 v[77:78], v[61:62], v[77:78]
	v_add_f64 v[125:126], v[125:126], v[129:130]
	v_add_f64 v[3:4], v[3:4], v[67:68]
	s_clause 0x3
	buffer_load_dword v67, off, s[0:3], 0 offset:144
	buffer_load_dword v68, off, s[0:3], 0 offset:148
	;; [unrolled: 1-line block ×4, first 2 shown]
	s_waitcnt vmcnt(49)
	v_fma_f64 v[75:76], v[55:56], v[83:84], -v[75:76]
	ds_read_b128 v[63:66], v2 offset:624
	v_fma_f64 v[73:74], v[57:58], v[83:84], v[73:74]
	ds_read_b128 v[55:58], v2 offset:640
	s_waitcnt vmcnt(44)
	v_fma_f64 v[77:78], v[59:60], v[79:80], -v[77:78]
	v_add_f64 v[71:72], v[125:126], v[71:72]
	v_add_f64 v[3:4], v[3:4], v[81:82]
	s_waitcnt lgkmcnt(1)
	v_mul_f64 v[83:84], v[65:66], v[85:86]
	v_mul_f64 v[81:82], v[63:64], v[85:86]
	v_add_f64 v[71:72], v[71:72], v[75:76]
	v_fma_f64 v[75:76], v[61:62], v[79:80], v[131:132]
	v_add_f64 v[3:4], v[3:4], v[73:74]
	s_waitcnt vmcnt(43) lgkmcnt(0)
	v_mul_f64 v[79:80], v[57:58], v[87:88]
	s_waitcnt vmcnt(41)
	v_fma_f64 v[83:84], v[63:64], v[91:92], -v[83:84]
	ds_read_b128 v[59:62], v2 offset:656
	v_mul_f64 v[73:74], v[55:56], v[87:88]
	v_add_f64 v[71:72], v[71:72], v[77:78]
	v_fma_f64 v[77:78], v[65:66], v[91:92], v[81:82]
	v_add_f64 v[3:4], v[3:4], v[75:76]
	ds_read_b128 v[63:66], v2 offset:672
	s_waitcnt vmcnt(37) lgkmcnt(1)
	v_mul_f64 v[81:82], v[61:62], v[93:94]
	s_waitcnt vmcnt(36)
	v_fma_f64 v[79:80], v[55:56], v[89:90], -v[79:80]
	v_mul_f64 v[75:76], v[59:60], v[93:94]
	v_fma_f64 v[73:74], v[57:58], v[89:90], v[73:74]
	ds_read_b128 v[55:58], v2 offset:688
	v_add_f64 v[71:72], v[71:72], v[83:84]
	s_waitcnt vmcnt(35) lgkmcnt(1)
	v_mul_f64 v[83:84], v[65:66], v[95:96]
	v_add_f64 v[3:4], v[3:4], v[77:78]
	v_mul_f64 v[77:78], v[63:64], v[95:96]
	s_waitcnt vmcnt(33)
	v_fma_f64 v[81:82], v[59:60], v[99:100], -v[81:82]
	v_fma_f64 v[75:76], v[61:62], v[99:100], v[75:76]
	ds_read_b128 v[59:62], v2 offset:704
	v_add_f64 v[71:72], v[71:72], v[79:80]
	s_waitcnt vmcnt(29) lgkmcnt(1)
	v_mul_f64 v[79:80], v[57:58], v[101:102]
	v_add_f64 v[3:4], v[3:4], v[73:74]
	s_waitcnt vmcnt(28)
	v_fma_f64 v[83:84], v[63:64], v[97:98], -v[83:84]
	v_mul_f64 v[73:74], v[55:56], v[101:102]
	v_fma_f64 v[77:78], v[65:66], v[97:98], v[77:78]
	ds_read_b128 v[63:66], v2 offset:720
	v_add_f64 v[71:72], v[71:72], v[81:82]
	s_waitcnt vmcnt(27) lgkmcnt(1)
	v_mul_f64 v[81:82], v[61:62], v[103:104]
	v_add_f64 v[3:4], v[3:4], v[75:76]
	s_waitcnt vmcnt(25)
	v_fma_f64 v[79:80], v[55:56], v[107:108], -v[79:80]
	v_mul_f64 v[75:76], v[59:60], v[103:104]
	v_fma_f64 v[73:74], v[57:58], v[107:108], v[73:74]
	ds_read_b128 v[55:58], v2 offset:736
	v_add_f64 v[71:72], v[71:72], v[83:84]
	s_waitcnt vmcnt(21) lgkmcnt(1)
	v_mul_f64 v[83:84], v[65:66], v[109:110]
	v_add_f64 v[3:4], v[3:4], v[77:78]
	s_waitcnt vmcnt(20)
	v_fma_f64 v[81:82], v[59:60], v[105:106], -v[81:82]
	v_mul_f64 v[77:78], v[63:64], v[109:110]
	v_fma_f64 v[75:76], v[61:62], v[105:106], v[75:76]
	ds_read_b128 v[59:62], v2 offset:752
	v_add_f64 v[71:72], v[71:72], v[79:80]
	s_waitcnt vmcnt(19) lgkmcnt(1)
	v_mul_f64 v[79:80], v[57:58], v[111:112]
	v_add_f64 v[3:4], v[3:4], v[73:74]
	s_waitcnt vmcnt(17)
	v_fma_f64 v[83:84], v[63:64], v[115:116], -v[83:84]
	v_mul_f64 v[73:74], v[55:56], v[111:112]
	v_fma_f64 v[77:78], v[65:66], v[115:116], v[77:78]
	ds_read_b128 v[63:66], v2 offset:768
	v_add_f64 v[71:72], v[71:72], v[81:82]
	s_waitcnt vmcnt(13) lgkmcnt(1)
	v_mul_f64 v[81:82], v[61:62], v[117:118]
	v_add_f64 v[3:4], v[3:4], v[75:76]
	s_waitcnt vmcnt(12)
	v_fma_f64 v[79:80], v[55:56], v[113:114], -v[79:80]
	v_mul_f64 v[75:76], v[59:60], v[117:118]
	v_fma_f64 v[73:74], v[57:58], v[113:114], v[73:74]
	ds_read_b128 v[55:58], v2 offset:784
	v_add_f64 v[71:72], v[71:72], v[83:84]
	s_waitcnt vmcnt(11) lgkmcnt(1)
	v_mul_f64 v[83:84], v[65:66], v[119:120]
	v_add_f64 v[3:4], v[3:4], v[77:78]
	s_waitcnt vmcnt(9)
	v_fma_f64 v[59:60], v[59:60], v[123:124], -v[81:82]
	v_mul_f64 v[77:78], v[63:64], v[119:120]
	v_fma_f64 v[61:62], v[61:62], v[123:124], v[75:76]
	s_waitcnt vmcnt(7) lgkmcnt(0)
	v_mul_f64 v[75:76], v[57:58], v[127:128]
	v_add_f64 v[71:72], v[71:72], v[79:80]
	s_waitcnt vmcnt(6)
	v_fma_f64 v[63:64], v[63:64], v[121:122], -v[83:84]
	v_add_f64 v[2:3], v[3:4], v[73:74]
	v_mul_f64 v[73:74], v[55:56], v[127:128]
	v_fma_f64 v[65:66], v[65:66], v[121:122], v[77:78]
	v_add_f64 v[59:60], v[71:72], v[59:60]
	v_add_f64 v[2:3], v[2:3], v[61:62]
	s_waitcnt vmcnt(4)
	v_fma_f64 v[55:56], v[55:56], v[69:70], -v[75:76]
	v_fma_f64 v[57:58], v[57:58], v[69:70], v[73:74]
	v_add_f64 v[59:60], v[59:60], v[63:64]
	v_add_f64 v[2:3], v[2:3], v[65:66]
	;; [unrolled: 1-line block ×4, first 2 shown]
	s_waitcnt vmcnt(2)
	v_add_f64 v[55:56], v[67:68], -v[55:56]
	s_waitcnt vmcnt(0)
	v_add_f64 v[2:3], v[129:130], -v[2:3]
	buffer_store_dword v56, off, s[0:3], 0 offset:148
	buffer_store_dword v55, off, s[0:3], 0 offset:144
	;; [unrolled: 1-line block ×4, first 2 shown]
	v_cmpx_lt_u32_e32 7, v0
	s_cbranch_execz .LBB88_149
; %bb.148:
	v_mov_b32_e32 v2, s29
	s_clause 0x3
	buffer_load_dword v55, v2, s[0:3], 0 offen
	buffer_load_dword v56, v2, s[0:3], 0 offen offset:4
	buffer_load_dword v57, v2, s[0:3], 0 offen offset:8
	;; [unrolled: 1-line block ×3, first 2 shown]
	v_mov_b32_e32 v2, 0
	buffer_store_dword v2, off, s[0:3], 0 offset:128
	buffer_store_dword v2, off, s[0:3], 0 offset:132
	;; [unrolled: 1-line block ×4, first 2 shown]
	s_waitcnt vmcnt(0)
	ds_write_b128 v1, v[55:58]
.LBB88_149:
	s_or_b32 exec_lo, exec_lo, s4
	s_waitcnt lgkmcnt(0)
	s_waitcnt_vscnt null, 0x0
	s_barrier
	buffer_gl0_inv
	s_clause 0x37
	buffer_load_dword v3, off, s[0:3], 0 offset:152
	buffer_load_dword v4, off, s[0:3], 0 offset:156
	;; [unrolled: 1-line block ×56, first 2 shown]
	v_mov_b32_e32 v2, 0
	s_mov_b32 s4, exec_lo
	ds_read_b128 v[55:58], v2 offset:528
	s_clause 0x2
	buffer_load_dword v120, off, s[0:3], 0 offset:380
	buffer_load_dword v124, off, s[0:3], 0 offset:356
	;; [unrolled: 1-line block ×3, first 2 shown]
	ds_read_b128 v[59:62], v2 offset:544
	s_clause 0x4
	buffer_load_dword v128, off, s[0:3], 0 offset:396
	buffer_load_dword v129, off, s[0:3], 0 offset:408
	;; [unrolled: 1-line block ×5, first 2 shown]
	ds_read_b128 v[63:66], v2 offset:560
	s_waitcnt vmcnt(62) lgkmcnt(2)
	v_mul_f64 v[125:126], v[57:58], v[3:4]
	v_mul_f64 v[3:4], v[55:56], v[3:4]
	s_waitcnt vmcnt(60) lgkmcnt(1)
	v_mul_f64 v[132:133], v[61:62], v[67:68]
	v_mul_f64 v[67:68], v[59:60], v[67:68]
	;; [unrolled: 3-line block ×3, first 2 shown]
	v_fma_f64 v[125:126], v[55:56], v[69:70], -v[125:126]
	v_fma_f64 v[3:4], v[57:58], v[69:70], v[3:4]
	s_clause 0x2
	buffer_load_dword v130, off, s[0:3], 0 offset:412
	buffer_load_dword v70, off, s[0:3], 0 offset:388
	;; [unrolled: 1-line block ×3, first 2 shown]
	s_waitcnt vmcnt(57)
	v_fma_f64 v[136:137], v[59:60], v[73:74], -v[132:133]
	ds_read_b128 v[55:58], v2 offset:576
	v_fma_f64 v[67:68], v[61:62], v[73:74], v[67:68]
	buffer_load_dword v132, off, s[0:3], 0 offset:404
	ds_read_b128 v[59:62], v2 offset:592
	s_waitcnt vmcnt(52)
	v_fma_f64 v[71:72], v[63:64], v[81:82], -v[71:72]
	v_fma_f64 v[81:82], v[65:66], v[81:82], v[134:135]
	ds_read_b128 v[63:66], v2 offset:608
	v_add_f64 v[125:126], v[125:126], 0
	v_add_f64 v[3:4], v[3:4], 0
	s_waitcnt lgkmcnt(2)
	v_mul_f64 v[73:74], v[55:56], v[75:76]
	v_mul_f64 v[75:76], v[57:58], v[75:76]
	v_add_f64 v[125:126], v[125:126], v[136:137]
	v_add_f64 v[3:4], v[3:4], v[67:68]
	s_waitcnt vmcnt(51) lgkmcnt(1)
	v_mul_f64 v[67:68], v[59:60], v[77:78]
	v_mul_f64 v[77:78], v[61:62], v[77:78]
	s_waitcnt vmcnt(49)
	v_fma_f64 v[75:76], v[55:56], v[83:84], -v[75:76]
	v_fma_f64 v[73:74], v[57:58], v[83:84], v[73:74]
	v_add_f64 v[71:72], v[125:126], v[71:72]
	v_add_f64 v[3:4], v[3:4], v[81:82]
	s_clause 0x3
	buffer_load_dword v81, off, s[0:3], 0 offset:128
	buffer_load_dword v82, off, s[0:3], 0 offset:132
	buffer_load_dword v83, off, s[0:3], 0 offset:136
	buffer_load_dword v84, off, s[0:3], 0 offset:140
	s_waitcnt vmcnt(49) lgkmcnt(0)
	v_mul_f64 v[125:126], v[63:64], v[85:86]
	v_mul_f64 v[85:86], v[65:66], v[85:86]
	s_waitcnt vmcnt(48)
	v_fma_f64 v[77:78], v[59:60], v[79:80], -v[77:78]
	ds_read_b128 v[55:58], v2 offset:624
	v_fma_f64 v[67:68], v[61:62], v[79:80], v[67:68]
	ds_read_b128 v[59:62], v2 offset:640
	v_add_f64 v[71:72], v[71:72], v[75:76]
	v_add_f64 v[3:4], v[3:4], v[73:74]
	s_waitcnt vmcnt(47) lgkmcnt(1)
	v_mul_f64 v[75:76], v[57:58], v[87:88]
	s_waitcnt vmcnt(45)
	v_fma_f64 v[79:80], v[63:64], v[91:92], -v[85:86]
	v_mul_f64 v[73:74], v[55:56], v[87:88]
	s_waitcnt vmcnt(41) lgkmcnt(0)
	v_mul_f64 v[85:86], v[61:62], v[93:94]
	v_add_f64 v[71:72], v[71:72], v[77:78]
	v_fma_f64 v[77:78], v[65:66], v[91:92], v[125:126]
	v_add_f64 v[3:4], v[3:4], v[67:68]
	ds_read_b128 v[63:66], v2 offset:656
	s_waitcnt vmcnt(40)
	v_fma_f64 v[75:76], v[55:56], v[89:90], -v[75:76]
	v_mul_f64 v[67:68], v[59:60], v[93:94]
	v_fma_f64 v[73:74], v[57:58], v[89:90], v[73:74]
	ds_read_b128 v[55:58], v2 offset:672
	s_waitcnt vmcnt(37)
	v_fma_f64 v[85:86], v[59:60], v[99:100], -v[85:86]
	v_add_f64 v[71:72], v[71:72], v[79:80]
	s_waitcnt lgkmcnt(1)
	v_mul_f64 v[79:80], v[65:66], v[95:96]
	v_add_f64 v[3:4], v[3:4], v[77:78]
	v_mul_f64 v[77:78], v[63:64], v[95:96]
	v_fma_f64 v[67:68], v[61:62], v[99:100], v[67:68]
	ds_read_b128 v[59:62], v2 offset:688
	v_add_f64 v[71:72], v[71:72], v[75:76]
	s_waitcnt vmcnt(33) lgkmcnt(1)
	v_mul_f64 v[75:76], v[57:58], v[101:102]
	v_add_f64 v[3:4], v[3:4], v[73:74]
	s_waitcnt vmcnt(32)
	v_fma_f64 v[79:80], v[63:64], v[97:98], -v[79:80]
	v_mul_f64 v[73:74], v[55:56], v[101:102]
	v_fma_f64 v[77:78], v[65:66], v[97:98], v[77:78]
	ds_read_b128 v[63:66], v2 offset:704
	v_add_f64 v[71:72], v[71:72], v[85:86]
	s_waitcnt vmcnt(31) lgkmcnt(1)
	v_mul_f64 v[85:86], v[61:62], v[103:104]
	v_add_f64 v[3:4], v[3:4], v[67:68]
	s_waitcnt vmcnt(29)
	v_fma_f64 v[75:76], v[55:56], v[107:108], -v[75:76]
	;; [unrolled: 9-line block ×7, first 2 shown]
	v_mul_f64 v[73:74], v[55:56], v[127:128]
	v_fma_f64 v[65:66], v[65:66], v[121:122], v[77:78]
	v_add_f64 v[71:72], v[71:72], v[85:86]
	v_add_f64 v[3:4], v[3:4], v[67:68]
	s_waitcnt vmcnt(7) lgkmcnt(0)
	v_mul_f64 v[77:78], v[61:62], v[129:130]
	v_mul_f64 v[67:68], v[59:60], v[129:130]
	s_waitcnt vmcnt(5)
	v_fma_f64 v[55:56], v[55:56], v[69:70], -v[75:76]
	v_fma_f64 v[57:58], v[57:58], v[69:70], v[73:74]
	v_add_f64 v[63:64], v[71:72], v[63:64]
	v_add_f64 v[3:4], v[3:4], v[65:66]
	s_waitcnt vmcnt(4)
	v_fma_f64 v[59:60], v[59:60], v[131:132], -v[77:78]
	v_fma_f64 v[61:62], v[61:62], v[131:132], v[67:68]
	v_add_f64 v[55:56], v[63:64], v[55:56]
	v_add_f64 v[3:4], v[3:4], v[57:58]
	;; [unrolled: 1-line block ×4, first 2 shown]
	s_waitcnt vmcnt(2)
	v_add_f64 v[55:56], v[81:82], -v[55:56]
	s_waitcnt vmcnt(0)
	v_add_f64 v[3:4], v[83:84], -v[3:4]
	buffer_store_dword v56, off, s[0:3], 0 offset:132
	buffer_store_dword v55, off, s[0:3], 0 offset:128
	buffer_store_dword v4, off, s[0:3], 0 offset:140
	buffer_store_dword v3, off, s[0:3], 0 offset:136
	v_cmpx_lt_u32_e32 6, v0
	s_cbranch_execz .LBB88_151
; %bb.150:
	v_mov_b32_e32 v3, s30
	s_clause 0x3
	buffer_load_dword v55, v3, s[0:3], 0 offen
	buffer_load_dword v56, v3, s[0:3], 0 offen offset:4
	buffer_load_dword v57, v3, s[0:3], 0 offen offset:8
	;; [unrolled: 1-line block ×3, first 2 shown]
	buffer_store_dword v2, off, s[0:3], 0 offset:112
	buffer_store_dword v2, off, s[0:3], 0 offset:116
	;; [unrolled: 1-line block ×4, first 2 shown]
	s_waitcnt vmcnt(0)
	ds_write_b128 v1, v[55:58]
.LBB88_151:
	s_or_b32 exec_lo, exec_lo, s4
	s_waitcnt lgkmcnt(0)
	s_waitcnt_vscnt null, 0x0
	s_barrier
	buffer_gl0_inv
	s_clause 0x37
	buffer_load_dword v3, off, s[0:3], 0 offset:136
	buffer_load_dword v4, off, s[0:3], 0 offset:140
	;; [unrolled: 1-line block ×56, first 2 shown]
	ds_read_b128 v[55:58], v2 offset:512
	s_clause 0x2
	buffer_load_dword v120, off, s[0:3], 0 offset:364
	buffer_load_dword v124, off, s[0:3], 0 offset:340
	;; [unrolled: 1-line block ×3, first 2 shown]
	ds_read_b128 v[59:62], v2 offset:528
	s_clause 0x4
	buffer_load_dword v128, off, s[0:3], 0 offset:380
	buffer_load_dword v129, off, s[0:3], 0 offset:392
	;; [unrolled: 1-line block ×5, first 2 shown]
	ds_read_b128 v[63:66], v2 offset:544
	s_mov_b32 s4, exec_lo
	s_waitcnt vmcnt(62) lgkmcnt(2)
	v_mul_f64 v[125:126], v[57:58], v[3:4]
	v_mul_f64 v[3:4], v[55:56], v[3:4]
	s_waitcnt vmcnt(60) lgkmcnt(1)
	v_mul_f64 v[132:133], v[61:62], v[67:68]
	v_mul_f64 v[67:68], v[59:60], v[67:68]
	;; [unrolled: 3-line block ×3, first 2 shown]
	v_fma_f64 v[125:126], v[55:56], v[69:70], -v[125:126]
	v_fma_f64 v[3:4], v[57:58], v[69:70], v[3:4]
	s_clause 0x2
	buffer_load_dword v130, off, s[0:3], 0 offset:396
	buffer_load_dword v70, off, s[0:3], 0 offset:372
	buffer_load_dword v69, off, s[0:3], 0 offset:368
	s_waitcnt vmcnt(57)
	v_fma_f64 v[136:137], v[59:60], v[73:74], -v[132:133]
	ds_read_b128 v[55:58], v2 offset:560
	v_fma_f64 v[67:68], v[61:62], v[73:74], v[67:68]
	s_clause 0x2
	buffer_load_dword v74, off, s[0:3], 0 offset:412
	buffer_load_dword v73, off, s[0:3], 0 offset:408
	;; [unrolled: 1-line block ×3, first 2 shown]
	s_waitcnt vmcnt(54)
	v_fma_f64 v[71:72], v[63:64], v[81:82], -v[71:72]
	ds_read_b128 v[59:62], v2 offset:576
	v_fma_f64 v[81:82], v[65:66], v[81:82], v[134:135]
	v_add_f64 v[125:126], v[125:126], 0
	v_add_f64 v[3:4], v[3:4], 0
	s_waitcnt lgkmcnt(1)
	v_mul_f64 v[138:139], v[55:56], v[75:76]
	v_mul_f64 v[75:76], v[57:58], v[75:76]
	s_waitcnt vmcnt(53) lgkmcnt(0)
	v_mul_f64 v[133:134], v[59:60], v[77:78]
	v_mul_f64 v[77:78], v[61:62], v[77:78]
	v_add_f64 v[125:126], v[125:126], v[136:137]
	v_add_f64 v[3:4], v[3:4], v[67:68]
	s_clause 0x1
	buffer_load_dword v68, off, s[0:3], 0 offset:404
	buffer_load_dword v67, off, s[0:3], 0 offset:400
	s_waitcnt vmcnt(53)
	v_fma_f64 v[75:76], v[55:56], v[83:84], -v[75:76]
	ds_read_b128 v[63:66], v2 offset:592
	v_fma_f64 v[83:84], v[57:58], v[83:84], v[138:139]
	ds_read_b128 v[55:58], v2 offset:608
	s_waitcnt vmcnt(48)
	v_fma_f64 v[77:78], v[59:60], v[79:80], -v[77:78]
	v_add_f64 v[71:72], v[125:126], v[71:72]
	v_add_f64 v[3:4], v[3:4], v[81:82]
	s_waitcnt lgkmcnt(1)
	v_mul_f64 v[81:82], v[63:64], v[85:86]
	v_mul_f64 v[85:86], v[65:66], v[85:86]
	s_waitcnt vmcnt(47) lgkmcnt(0)
	v_mul_f64 v[125:126], v[55:56], v[87:88]
	v_mul_f64 v[87:88], v[57:58], v[87:88]
	v_add_f64 v[71:72], v[71:72], v[75:76]
	v_fma_f64 v[75:76], v[61:62], v[79:80], v[133:134]
	v_add_f64 v[3:4], v[3:4], v[83:84]
	s_clause 0x3
	buffer_load_dword v79, off, s[0:3], 0 offset:112
	buffer_load_dword v80, off, s[0:3], 0 offset:116
	;; [unrolled: 1-line block ×4, first 2 shown]
	s_waitcnt vmcnt(49)
	v_fma_f64 v[85:86], v[63:64], v[91:92], -v[85:86]
	ds_read_b128 v[59:62], v2 offset:624
	s_waitcnt vmcnt(44)
	v_fma_f64 v[87:88], v[55:56], v[89:90], -v[87:88]
	v_add_f64 v[71:72], v[71:72], v[77:78]
	v_fma_f64 v[77:78], v[65:66], v[91:92], v[81:82]
	v_add_f64 v[3:4], v[3:4], v[75:76]
	ds_read_b128 v[63:66], v2 offset:640
	s_waitcnt lgkmcnt(1)
	v_mul_f64 v[81:82], v[61:62], v[93:94]
	v_mul_f64 v[75:76], v[59:60], v[93:94]
	v_add_f64 v[71:72], v[71:72], v[85:86]
	v_fma_f64 v[85:86], v[57:58], v[89:90], v[125:126]
	v_add_f64 v[3:4], v[3:4], v[77:78]
	s_waitcnt vmcnt(43) lgkmcnt(0)
	v_mul_f64 v[89:90], v[65:66], v[95:96]
	s_waitcnt vmcnt(41)
	v_fma_f64 v[81:82], v[59:60], v[99:100], -v[81:82]
	ds_read_b128 v[55:58], v2 offset:656
	v_mul_f64 v[77:78], v[63:64], v[95:96]
	v_fma_f64 v[75:76], v[61:62], v[99:100], v[75:76]
	ds_read_b128 v[59:62], v2 offset:672
	v_add_f64 v[71:72], v[71:72], v[87:88]
	v_add_f64 v[3:4], v[3:4], v[85:86]
	s_waitcnt vmcnt(37) lgkmcnt(1)
	v_mul_f64 v[87:88], v[57:58], v[101:102]
	s_waitcnt vmcnt(36)
	v_fma_f64 v[89:90], v[63:64], v[97:98], -v[89:90]
	v_mul_f64 v[85:86], v[55:56], v[101:102]
	v_fma_f64 v[77:78], v[65:66], v[97:98], v[77:78]
	ds_read_b128 v[63:66], v2 offset:688
	v_add_f64 v[71:72], v[71:72], v[81:82]
	s_waitcnt vmcnt(35) lgkmcnt(1)
	v_mul_f64 v[81:82], v[61:62], v[103:104]
	v_add_f64 v[3:4], v[3:4], v[75:76]
	s_waitcnt vmcnt(33)
	v_fma_f64 v[87:88], v[55:56], v[107:108], -v[87:88]
	v_mul_f64 v[75:76], v[59:60], v[103:104]
	v_fma_f64 v[85:86], v[57:58], v[107:108], v[85:86]
	ds_read_b128 v[55:58], v2 offset:704
	v_add_f64 v[71:72], v[71:72], v[89:90]
	s_waitcnt vmcnt(29) lgkmcnt(1)
	v_mul_f64 v[89:90], v[65:66], v[109:110]
	v_add_f64 v[3:4], v[3:4], v[77:78]
	;; [unrolled: 9-line block ×6, first 2 shown]
	s_waitcnt vmcnt(12)
	v_fma_f64 v[89:90], v[63:64], v[121:122], -v[89:90]
	v_mul_f64 v[85:86], v[55:56], v[127:128]
	v_fma_f64 v[77:78], v[65:66], v[121:122], v[77:78]
	ds_read_b128 v[63:66], v2 offset:784
	v_add_f64 v[71:72], v[71:72], v[81:82]
	v_add_f64 v[3:4], v[3:4], v[75:76]
	s_waitcnt vmcnt(11) lgkmcnt(1)
	v_mul_f64 v[81:82], v[61:62], v[129:130]
	v_mul_f64 v[75:76], v[59:60], v[129:130]
	s_waitcnt vmcnt(9)
	v_fma_f64 v[55:56], v[55:56], v[69:70], -v[87:88]
	v_fma_f64 v[57:58], v[57:58], v[69:70], v[85:86]
	s_waitcnt vmcnt(7) lgkmcnt(0)
	v_mul_f64 v[69:70], v[63:64], v[73:74]
	v_mul_f64 v[73:74], v[65:66], v[73:74]
	v_add_f64 v[71:72], v[71:72], v[89:90]
	v_add_f64 v[2:3], v[3:4], v[77:78]
	s_waitcnt vmcnt(6)
	v_fma_f64 v[59:60], v[59:60], v[131:132], -v[81:82]
	v_fma_f64 v[61:62], v[61:62], v[131:132], v[75:76]
	v_add_f64 v[55:56], v[71:72], v[55:56]
	v_add_f64 v[2:3], v[2:3], v[57:58]
	s_waitcnt vmcnt(4)
	v_fma_f64 v[57:58], v[63:64], v[67:68], -v[73:74]
	v_add_f64 v[55:56], v[55:56], v[59:60]
	v_fma_f64 v[59:60], v[65:66], v[67:68], v[69:70]
	v_add_f64 v[2:3], v[2:3], v[61:62]
	v_add_f64 v[55:56], v[55:56], v[57:58]
	;; [unrolled: 1-line block ×3, first 2 shown]
	s_waitcnt vmcnt(2)
	v_add_f64 v[55:56], v[79:80], -v[55:56]
	s_waitcnt vmcnt(0)
	v_add_f64 v[2:3], v[83:84], -v[2:3]
	buffer_store_dword v56, off, s[0:3], 0 offset:116
	buffer_store_dword v55, off, s[0:3], 0 offset:112
	;; [unrolled: 1-line block ×4, first 2 shown]
	v_cmpx_lt_u32_e32 5, v0
	s_cbranch_execz .LBB88_153
; %bb.152:
	v_mov_b32_e32 v2, s31
	s_clause 0x3
	buffer_load_dword v55, v2, s[0:3], 0 offen
	buffer_load_dword v56, v2, s[0:3], 0 offen offset:4
	buffer_load_dword v57, v2, s[0:3], 0 offen offset:8
	;; [unrolled: 1-line block ×3, first 2 shown]
	v_mov_b32_e32 v2, 0
	buffer_store_dword v2, off, s[0:3], 0 offset:96
	buffer_store_dword v2, off, s[0:3], 0 offset:100
	;; [unrolled: 1-line block ×4, first 2 shown]
	s_waitcnt vmcnt(0)
	ds_write_b128 v1, v[55:58]
.LBB88_153:
	s_or_b32 exec_lo, exec_lo, s4
	s_waitcnt lgkmcnt(0)
	s_waitcnt_vscnt null, 0x0
	s_barrier
	buffer_gl0_inv
	s_clause 0x37
	buffer_load_dword v3, off, s[0:3], 0 offset:120
	buffer_load_dword v4, off, s[0:3], 0 offset:124
	;; [unrolled: 1-line block ×56, first 2 shown]
	v_mov_b32_e32 v2, 0
	s_mov_b32 s4, exec_lo
	ds_read_b128 v[55:58], v2 offset:496
	s_clause 0x2
	buffer_load_dword v120, off, s[0:3], 0 offset:348
	buffer_load_dword v124, off, s[0:3], 0 offset:324
	;; [unrolled: 1-line block ×3, first 2 shown]
	ds_read_b128 v[59:62], v2 offset:512
	s_clause 0x4
	buffer_load_dword v128, off, s[0:3], 0 offset:364
	buffer_load_dword v129, off, s[0:3], 0 offset:376
	;; [unrolled: 1-line block ×5, first 2 shown]
	ds_read_b128 v[63:66], v2 offset:528
	s_waitcnt vmcnt(62) lgkmcnt(2)
	v_mul_f64 v[125:126], v[57:58], v[3:4]
	v_mul_f64 v[3:4], v[55:56], v[3:4]
	s_waitcnt vmcnt(60) lgkmcnt(1)
	v_mul_f64 v[132:133], v[61:62], v[67:68]
	v_mul_f64 v[67:68], v[59:60], v[67:68]
	;; [unrolled: 3-line block ×3, first 2 shown]
	v_fma_f64 v[125:126], v[55:56], v[69:70], -v[125:126]
	v_fma_f64 v[3:4], v[57:58], v[69:70], v[3:4]
	s_clause 0x2
	buffer_load_dword v130, off, s[0:3], 0 offset:380
	buffer_load_dword v70, off, s[0:3], 0 offset:356
	buffer_load_dword v69, off, s[0:3], 0 offset:352
	s_waitcnt vmcnt(57)
	v_fma_f64 v[136:137], v[59:60], v[73:74], -v[132:133]
	ds_read_b128 v[55:58], v2 offset:544
	v_fma_f64 v[67:68], v[61:62], v[73:74], v[67:68]
	s_clause 0x4
	buffer_load_dword v74, off, s[0:3], 0 offset:396
	buffer_load_dword v133, off, s[0:3], 0 offset:408
	;; [unrolled: 1-line block ×5, first 2 shown]
	s_waitcnt vmcnt(56)
	v_fma_f64 v[71:72], v[63:64], v[81:82], -v[71:72]
	ds_read_b128 v[59:62], v2 offset:560
	v_fma_f64 v[81:82], v[65:66], v[81:82], v[134:135]
	v_add_f64 v[125:126], v[125:126], 0
	v_add_f64 v[3:4], v[3:4], 0
	s_waitcnt lgkmcnt(1)
	v_mul_f64 v[139:140], v[55:56], v[75:76]
	v_mul_f64 v[75:76], v[57:58], v[75:76]
	v_add_f64 v[125:126], v[125:126], v[136:137]
	v_add_f64 v[3:4], v[3:4], v[67:68]
	s_clause 0x2
	buffer_load_dword v134, off, s[0:3], 0 offset:412
	buffer_load_dword v68, off, s[0:3], 0 offset:388
	;; [unrolled: 1-line block ×3, first 2 shown]
	s_waitcnt vmcnt(58) lgkmcnt(0)
	v_mul_f64 v[135:136], v[59:60], v[77:78]
	v_mul_f64 v[77:78], v[61:62], v[77:78]
	s_waitcnt vmcnt(56)
	v_fma_f64 v[75:76], v[55:56], v[83:84], -v[75:76]
	ds_read_b128 v[63:66], v2 offset:576
	v_fma_f64 v[83:84], v[57:58], v[83:84], v[139:140]
	buffer_load_dword v139, off, s[0:3], 0 offset:404
	ds_read_b128 v[55:58], v2 offset:592
	v_add_f64 v[71:72], v[125:126], v[71:72]
	v_add_f64 v[3:4], v[3:4], v[81:82]
	s_waitcnt vmcnt(53) lgkmcnt(1)
	v_mul_f64 v[81:82], v[63:64], v[85:86]
	v_mul_f64 v[85:86], v[65:66], v[85:86]
	s_waitcnt vmcnt(52)
	v_fma_f64 v[77:78], v[59:60], v[79:80], -v[77:78]
	v_add_f64 v[71:72], v[71:72], v[75:76]
	v_fma_f64 v[75:76], v[61:62], v[79:80], v[135:136]
	v_add_f64 v[3:4], v[3:4], v[83:84]
	s_waitcnt vmcnt(51) lgkmcnt(0)
	v_mul_f64 v[83:84], v[57:58], v[87:88]
	ds_read_b128 v[59:62], v2 offset:608
	s_waitcnt vmcnt(49)
	v_fma_f64 v[85:86], v[63:64], v[91:92], -v[85:86]
	v_mul_f64 v[79:80], v[55:56], v[87:88]
	v_add_f64 v[71:72], v[71:72], v[77:78]
	v_fma_f64 v[77:78], v[65:66], v[91:92], v[81:82]
	v_add_f64 v[3:4], v[3:4], v[75:76]
	s_clause 0x3
	buffer_load_dword v75, off, s[0:3], 0 offset:96
	buffer_load_dword v76, off, s[0:3], 0 offset:100
	;; [unrolled: 1-line block ×4, first 2 shown]
	s_waitcnt vmcnt(49) lgkmcnt(0)
	v_mul_f64 v[91:92], v[61:62], v[93:94]
	s_waitcnt vmcnt(48)
	v_fma_f64 v[83:84], v[55:56], v[89:90], -v[83:84]
	ds_read_b128 v[63:66], v2 offset:624
	v_mul_f64 v[87:88], v[59:60], v[93:94]
	v_fma_f64 v[79:80], v[57:58], v[89:90], v[79:80]
	ds_read_b128 v[55:58], v2 offset:640
	v_add_f64 v[71:72], v[71:72], v[85:86]
	v_add_f64 v[3:4], v[3:4], v[77:78]
	s_waitcnt vmcnt(47) lgkmcnt(1)
	v_mul_f64 v[85:86], v[65:66], v[95:96]
	s_waitcnt vmcnt(45)
	v_fma_f64 v[89:90], v[59:60], v[99:100], -v[91:92]
	v_mul_f64 v[77:78], v[63:64], v[95:96]
	v_add_f64 v[71:72], v[71:72], v[83:84]
	v_fma_f64 v[83:84], v[61:62], v[99:100], v[87:88]
	v_add_f64 v[3:4], v[3:4], v[79:80]
	s_waitcnt vmcnt(41) lgkmcnt(0)
	v_mul_f64 v[87:88], v[57:58], v[101:102]
	s_waitcnt vmcnt(40)
	v_fma_f64 v[85:86], v[63:64], v[97:98], -v[85:86]
	ds_read_b128 v[59:62], v2 offset:656
	v_mul_f64 v[79:80], v[55:56], v[101:102]
	v_fma_f64 v[77:78], v[65:66], v[97:98], v[77:78]
	ds_read_b128 v[63:66], v2 offset:672
	v_add_f64 v[71:72], v[71:72], v[89:90]
	v_add_f64 v[3:4], v[3:4], v[83:84]
	s_waitcnt vmcnt(39) lgkmcnt(1)
	v_mul_f64 v[89:90], v[61:62], v[103:104]
	s_waitcnt vmcnt(37)
	v_fma_f64 v[87:88], v[55:56], v[107:108], -v[87:88]
	v_mul_f64 v[83:84], v[59:60], v[103:104]
	v_fma_f64 v[79:80], v[57:58], v[107:108], v[79:80]
	ds_read_b128 v[55:58], v2 offset:688
	v_add_f64 v[71:72], v[71:72], v[85:86]
	s_waitcnt vmcnt(33) lgkmcnt(1)
	v_mul_f64 v[85:86], v[65:66], v[109:110]
	v_add_f64 v[3:4], v[3:4], v[77:78]
	s_waitcnt vmcnt(32)
	v_fma_f64 v[89:90], v[59:60], v[105:106], -v[89:90]
	v_mul_f64 v[77:78], v[63:64], v[109:110]
	v_fma_f64 v[83:84], v[61:62], v[105:106], v[83:84]
	ds_read_b128 v[59:62], v2 offset:704
	v_add_f64 v[71:72], v[71:72], v[87:88]
	s_waitcnt vmcnt(31) lgkmcnt(1)
	v_mul_f64 v[87:88], v[57:58], v[111:112]
	v_add_f64 v[3:4], v[3:4], v[79:80]
	;; [unrolled: 9-line block ×5, first 2 shown]
	s_waitcnt vmcnt(16)
	v_fma_f64 v[85:86], v[63:64], v[121:122], -v[85:86]
	v_mul_f64 v[79:80], v[55:56], v[127:128]
	v_fma_f64 v[77:78], v[65:66], v[121:122], v[77:78]
	ds_read_b128 v[63:66], v2 offset:768
	v_add_f64 v[71:72], v[71:72], v[89:90]
	v_add_f64 v[3:4], v[3:4], v[83:84]
	s_waitcnt vmcnt(15) lgkmcnt(1)
	v_mul_f64 v[89:90], v[61:62], v[129:130]
	v_mul_f64 v[83:84], v[59:60], v[129:130]
	s_waitcnt vmcnt(13)
	v_fma_f64 v[87:88], v[55:56], v[69:70], -v[87:88]
	v_fma_f64 v[69:70], v[57:58], v[69:70], v[79:80]
	ds_read_b128 v[55:58], v2 offset:784
	v_add_f64 v[71:72], v[71:72], v[85:86]
	v_add_f64 v[3:4], v[3:4], v[77:78]
	s_waitcnt vmcnt(9) lgkmcnt(1)
	v_mul_f64 v[77:78], v[63:64], v[73:74]
	v_mul_f64 v[73:74], v[65:66], v[73:74]
	s_waitcnt vmcnt(8)
	v_fma_f64 v[59:60], v[59:60], v[131:132], -v[89:90]
	v_fma_f64 v[61:62], v[61:62], v[131:132], v[83:84]
	v_add_f64 v[71:72], v[71:72], v[87:88]
	v_add_f64 v[3:4], v[3:4], v[69:70]
	s_waitcnt vmcnt(7) lgkmcnt(0)
	v_mul_f64 v[79:80], v[57:58], v[133:134]
	v_mul_f64 v[69:70], v[55:56], v[133:134]
	s_waitcnt vmcnt(5)
	v_fma_f64 v[63:64], v[63:64], v[67:68], -v[73:74]
	v_fma_f64 v[65:66], v[65:66], v[67:68], v[77:78]
	v_add_f64 v[59:60], v[71:72], v[59:60]
	v_add_f64 v[3:4], v[3:4], v[61:62]
	s_waitcnt vmcnt(4)
	v_fma_f64 v[55:56], v[55:56], v[138:139], -v[79:80]
	v_fma_f64 v[57:58], v[57:58], v[138:139], v[69:70]
	v_add_f64 v[59:60], v[59:60], v[63:64]
	v_add_f64 v[3:4], v[3:4], v[65:66]
	v_add_f64 v[55:56], v[59:60], v[55:56]
	v_add_f64 v[3:4], v[3:4], v[57:58]
	s_waitcnt vmcnt(2)
	v_add_f64 v[55:56], v[75:76], -v[55:56]
	s_waitcnt vmcnt(0)
	v_add_f64 v[3:4], v[81:82], -v[3:4]
	buffer_store_dword v56, off, s[0:3], 0 offset:100
	buffer_store_dword v55, off, s[0:3], 0 offset:96
	;; [unrolled: 1-line block ×4, first 2 shown]
	v_cmpx_lt_u32_e32 4, v0
	s_cbranch_execz .LBB88_155
; %bb.154:
	v_mov_b32_e32 v3, s33
	s_clause 0x3
	buffer_load_dword v55, v3, s[0:3], 0 offen
	buffer_load_dword v56, v3, s[0:3], 0 offen offset:4
	buffer_load_dword v57, v3, s[0:3], 0 offen offset:8
	;; [unrolled: 1-line block ×3, first 2 shown]
	buffer_store_dword v2, off, s[0:3], 0 offset:80
	buffer_store_dword v2, off, s[0:3], 0 offset:84
	;; [unrolled: 1-line block ×4, first 2 shown]
	s_waitcnt vmcnt(0)
	ds_write_b128 v1, v[55:58]
.LBB88_155:
	s_or_b32 exec_lo, exec_lo, s4
	s_waitcnt lgkmcnt(0)
	s_waitcnt_vscnt null, 0x0
	s_barrier
	buffer_gl0_inv
	s_clause 0x37
	buffer_load_dword v3, off, s[0:3], 0 offset:104
	buffer_load_dword v4, off, s[0:3], 0 offset:108
	;; [unrolled: 1-line block ×56, first 2 shown]
	ds_read_b128 v[55:58], v2 offset:480
	s_clause 0x2
	buffer_load_dword v120, off, s[0:3], 0 offset:332
	buffer_load_dword v124, off, s[0:3], 0 offset:308
	;; [unrolled: 1-line block ×3, first 2 shown]
	ds_read_b128 v[59:62], v2 offset:496
	s_clause 0x4
	buffer_load_dword v128, off, s[0:3], 0 offset:348
	buffer_load_dword v129, off, s[0:3], 0 offset:360
	;; [unrolled: 1-line block ×5, first 2 shown]
	ds_read_b128 v[63:66], v2 offset:512
	s_mov_b32 s4, exec_lo
	s_waitcnt vmcnt(62) lgkmcnt(2)
	v_mul_f64 v[125:126], v[57:58], v[3:4]
	v_mul_f64 v[3:4], v[55:56], v[3:4]
	s_waitcnt vmcnt(60) lgkmcnt(1)
	v_mul_f64 v[132:133], v[61:62], v[67:68]
	v_mul_f64 v[67:68], v[59:60], v[67:68]
	;; [unrolled: 3-line block ×3, first 2 shown]
	v_fma_f64 v[125:126], v[55:56], v[69:70], -v[125:126]
	v_fma_f64 v[3:4], v[57:58], v[69:70], v[3:4]
	s_clause 0x2
	buffer_load_dword v130, off, s[0:3], 0 offset:364
	buffer_load_dword v70, off, s[0:3], 0 offset:340
	;; [unrolled: 1-line block ×3, first 2 shown]
	s_waitcnt vmcnt(57)
	v_fma_f64 v[136:137], v[59:60], v[73:74], -v[132:133]
	ds_read_b128 v[55:58], v2 offset:528
	v_fma_f64 v[67:68], v[61:62], v[73:74], v[67:68]
	s_clause 0x4
	buffer_load_dword v74, off, s[0:3], 0 offset:380
	buffer_load_dword v133, off, s[0:3], 0 offset:392
	;; [unrolled: 1-line block ×5, first 2 shown]
	s_waitcnt vmcnt(56)
	v_fma_f64 v[71:72], v[63:64], v[81:82], -v[71:72]
	ds_read_b128 v[59:62], v2 offset:544
	v_fma_f64 v[81:82], v[65:66], v[81:82], v[134:135]
	v_add_f64 v[125:126], v[125:126], 0
	v_add_f64 v[3:4], v[3:4], 0
	s_waitcnt lgkmcnt(1)
	v_mul_f64 v[139:140], v[55:56], v[75:76]
	v_mul_f64 v[75:76], v[57:58], v[75:76]
	v_add_f64 v[125:126], v[125:126], v[136:137]
	v_add_f64 v[3:4], v[3:4], v[67:68]
	s_clause 0x2
	buffer_load_dword v134, off, s[0:3], 0 offset:396
	buffer_load_dword v68, off, s[0:3], 0 offset:372
	;; [unrolled: 1-line block ×3, first 2 shown]
	s_waitcnt vmcnt(58) lgkmcnt(0)
	v_mul_f64 v[135:136], v[59:60], v[77:78]
	v_mul_f64 v[77:78], v[61:62], v[77:78]
	s_waitcnt vmcnt(56)
	v_fma_f64 v[75:76], v[55:56], v[83:84], -v[75:76]
	ds_read_b128 v[63:66], v2 offset:560
	v_fma_f64 v[83:84], v[57:58], v[83:84], v[139:140]
	v_add_f64 v[71:72], v[125:126], v[71:72]
	v_add_f64 v[3:4], v[3:4], v[81:82]
	s_clause 0x2
	buffer_load_dword v82, off, s[0:3], 0 offset:412
	buffer_load_dword v81, off, s[0:3], 0 offset:408
	;; [unrolled: 1-line block ×3, first 2 shown]
	ds_read_b128 v[55:58], v2 offset:576
	s_waitcnt vmcnt(55) lgkmcnt(1)
	v_mul_f64 v[125:126], v[63:64], v[85:86]
	v_mul_f64 v[85:86], v[65:66], v[85:86]
	s_waitcnt vmcnt(54)
	v_fma_f64 v[77:78], v[59:60], v[79:80], -v[77:78]
	v_add_f64 v[71:72], v[71:72], v[75:76]
	v_fma_f64 v[75:76], v[61:62], v[79:80], v[135:136]
	v_add_f64 v[3:4], v[3:4], v[83:84]
	s_clause 0x1
	buffer_load_dword v80, off, s[0:3], 0 offset:404
	buffer_load_dword v79, off, s[0:3], 0 offset:400
	s_waitcnt vmcnt(55) lgkmcnt(0)
	v_mul_f64 v[83:84], v[55:56], v[87:88]
	v_mul_f64 v[87:88], v[57:58], v[87:88]
	s_waitcnt vmcnt(53)
	v_fma_f64 v[85:86], v[63:64], v[91:92], -v[85:86]
	ds_read_b128 v[59:62], v2 offset:592
	v_add_f64 v[71:72], v[71:72], v[77:78]
	v_fma_f64 v[77:78], v[65:66], v[91:92], v[125:126]
	v_add_f64 v[3:4], v[3:4], v[75:76]
	ds_read_b128 v[63:66], v2 offset:608
	s_waitcnt vmcnt(48)
	v_fma_f64 v[83:84], v[57:58], v[89:90], v[83:84]
	s_waitcnt lgkmcnt(1)
	v_mul_f64 v[91:92], v[61:62], v[93:94]
	v_fma_f64 v[87:88], v[55:56], v[89:90], -v[87:88]
	v_mul_f64 v[75:76], v[59:60], v[93:94]
	v_add_f64 v[71:72], v[71:72], v[85:86]
	s_waitcnt vmcnt(47) lgkmcnt(0)
	v_mul_f64 v[93:94], v[65:66], v[95:96]
	v_add_f64 v[3:4], v[3:4], v[77:78]
	s_clause 0x3
	buffer_load_dword v77, off, s[0:3], 0 offset:80
	buffer_load_dword v78, off, s[0:3], 0 offset:84
	;; [unrolled: 1-line block ×4, first 2 shown]
	ds_read_b128 v[55:58], v2 offset:624
	s_waitcnt vmcnt(49)
	v_fma_f64 v[91:92], v[59:60], v[99:100], -v[91:92]
	v_mul_f64 v[89:90], v[63:64], v[95:96]
	v_fma_f64 v[75:76], v[61:62], v[99:100], v[75:76]
	ds_read_b128 v[59:62], v2 offset:640
	v_add_f64 v[71:72], v[71:72], v[87:88]
	s_waitcnt vmcnt(44)
	v_fma_f64 v[93:94], v[63:64], v[97:98], -v[93:94]
	v_add_f64 v[3:4], v[3:4], v[83:84]
	s_waitcnt lgkmcnt(1)
	v_mul_f64 v[87:88], v[57:58], v[101:102]
	v_mul_f64 v[83:84], v[55:56], v[101:102]
	v_fma_f64 v[89:90], v[65:66], v[97:98], v[89:90]
	ds_read_b128 v[63:66], v2 offset:656
	v_add_f64 v[71:72], v[71:72], v[91:92]
	s_waitcnt vmcnt(43) lgkmcnt(1)
	v_mul_f64 v[91:92], v[61:62], v[103:104]
	v_add_f64 v[3:4], v[3:4], v[75:76]
	s_waitcnt vmcnt(41)
	v_fma_f64 v[87:88], v[55:56], v[107:108], -v[87:88]
	v_mul_f64 v[75:76], v[59:60], v[103:104]
	v_fma_f64 v[83:84], v[57:58], v[107:108], v[83:84]
	ds_read_b128 v[55:58], v2 offset:672
	v_add_f64 v[71:72], v[71:72], v[93:94]
	s_waitcnt vmcnt(37) lgkmcnt(1)
	v_mul_f64 v[93:94], v[65:66], v[109:110]
	v_add_f64 v[3:4], v[3:4], v[89:90]
	s_waitcnt vmcnt(36)
	v_fma_f64 v[91:92], v[59:60], v[105:106], -v[91:92]
	;; [unrolled: 9-line block ×6, first 2 shown]
	v_mul_f64 v[83:84], v[55:56], v[127:128]
	v_fma_f64 v[89:90], v[65:66], v[121:122], v[89:90]
	ds_read_b128 v[63:66], v2 offset:752
	v_add_f64 v[71:72], v[71:72], v[91:92]
	v_add_f64 v[3:4], v[3:4], v[75:76]
	s_waitcnt vmcnt(19) lgkmcnt(1)
	v_mul_f64 v[91:92], v[61:62], v[129:130]
	v_mul_f64 v[75:76], v[59:60], v[129:130]
	s_waitcnt vmcnt(17)
	v_fma_f64 v[87:88], v[55:56], v[69:70], -v[87:88]
	v_fma_f64 v[69:70], v[57:58], v[69:70], v[83:84]
	ds_read_b128 v[55:58], v2 offset:768
	s_waitcnt vmcnt(13) lgkmcnt(1)
	v_mul_f64 v[83:84], v[63:64], v[73:74]
	v_mul_f64 v[73:74], v[65:66], v[73:74]
	v_add_f64 v[71:72], v[71:72], v[93:94]
	v_add_f64 v[3:4], v[3:4], v[89:90]
	s_waitcnt vmcnt(12)
	v_fma_f64 v[89:90], v[59:60], v[131:132], -v[91:92]
	v_fma_f64 v[75:76], v[61:62], v[131:132], v[75:76]
	ds_read_b128 v[59:62], v2 offset:784
	v_add_f64 v[71:72], v[71:72], v[87:88]
	v_add_f64 v[3:4], v[3:4], v[69:70]
	s_waitcnt vmcnt(11) lgkmcnt(1)
	v_mul_f64 v[87:88], v[57:58], v[133:134]
	v_mul_f64 v[69:70], v[55:56], v[133:134]
	s_waitcnt vmcnt(9)
	v_fma_f64 v[63:64], v[63:64], v[67:68], -v[73:74]
	v_fma_f64 v[65:66], v[65:66], v[67:68], v[83:84]
	v_add_f64 v[71:72], v[71:72], v[89:90]
	v_add_f64 v[2:3], v[3:4], v[75:76]
	s_waitcnt vmcnt(7) lgkmcnt(0)
	v_mul_f64 v[73:74], v[61:62], v[81:82]
	s_waitcnt vmcnt(6)
	v_fma_f64 v[55:56], v[55:56], v[138:139], -v[87:88]
	v_mul_f64 v[67:68], v[59:60], v[81:82]
	v_fma_f64 v[57:58], v[57:58], v[138:139], v[69:70]
	v_add_f64 v[63:64], v[71:72], v[63:64]
	v_add_f64 v[2:3], v[2:3], v[65:66]
	s_waitcnt vmcnt(4)
	v_fma_f64 v[59:60], v[59:60], v[79:80], -v[73:74]
	v_fma_f64 v[61:62], v[61:62], v[79:80], v[67:68]
	v_add_f64 v[55:56], v[63:64], v[55:56]
	v_add_f64 v[2:3], v[2:3], v[57:58]
	;; [unrolled: 1-line block ×4, first 2 shown]
	s_waitcnt vmcnt(2)
	v_add_f64 v[55:56], v[77:78], -v[55:56]
	s_waitcnt vmcnt(0)
	v_add_f64 v[2:3], v[85:86], -v[2:3]
	buffer_store_dword v56, off, s[0:3], 0 offset:84
	buffer_store_dword v55, off, s[0:3], 0 offset:80
	;; [unrolled: 1-line block ×4, first 2 shown]
	v_cmpx_lt_u32_e32 3, v0
	s_cbranch_execz .LBB88_157
; %bb.156:
	v_mov_b32_e32 v2, s34
	s_clause 0x3
	buffer_load_dword v55, v2, s[0:3], 0 offen
	buffer_load_dword v56, v2, s[0:3], 0 offen offset:4
	buffer_load_dword v57, v2, s[0:3], 0 offen offset:8
	;; [unrolled: 1-line block ×3, first 2 shown]
	v_mov_b32_e32 v2, 0
	buffer_store_dword v2, off, s[0:3], 0 offset:64
	buffer_store_dword v2, off, s[0:3], 0 offset:68
	;; [unrolled: 1-line block ×4, first 2 shown]
	s_waitcnt vmcnt(0)
	ds_write_b128 v1, v[55:58]
.LBB88_157:
	s_or_b32 exec_lo, exec_lo, s4
	s_waitcnt lgkmcnt(0)
	s_waitcnt_vscnt null, 0x0
	s_barrier
	buffer_gl0_inv
	s_clause 0x37
	buffer_load_dword v3, off, s[0:3], 0 offset:88
	buffer_load_dword v4, off, s[0:3], 0 offset:92
	;; [unrolled: 1-line block ×56, first 2 shown]
	v_mov_b32_e32 v2, 0
	s_mov_b32 s4, exec_lo
	ds_read_b128 v[55:58], v2 offset:464
	s_clause 0x2
	buffer_load_dword v120, off, s[0:3], 0 offset:316
	buffer_load_dword v124, off, s[0:3], 0 offset:292
	;; [unrolled: 1-line block ×3, first 2 shown]
	ds_read_b128 v[59:62], v2 offset:480
	s_clause 0x4
	buffer_load_dword v128, off, s[0:3], 0 offset:332
	buffer_load_dword v129, off, s[0:3], 0 offset:344
	buffer_load_dword v131, off, s[0:3], 0 offset:336
	buffer_load_dword v127, off, s[0:3], 0 offset:328
	buffer_load_dword v122, off, s[0:3], 0 offset:308
	ds_read_b128 v[63:66], v2 offset:496
	s_waitcnt vmcnt(62) lgkmcnt(2)
	v_mul_f64 v[125:126], v[57:58], v[3:4]
	v_mul_f64 v[3:4], v[55:56], v[3:4]
	s_waitcnt vmcnt(60) lgkmcnt(1)
	v_mul_f64 v[132:133], v[61:62], v[67:68]
	v_mul_f64 v[67:68], v[59:60], v[67:68]
	;; [unrolled: 3-line block ×3, first 2 shown]
	v_fma_f64 v[125:126], v[55:56], v[69:70], -v[125:126]
	v_fma_f64 v[3:4], v[57:58], v[69:70], v[3:4]
	s_clause 0x2
	buffer_load_dword v130, off, s[0:3], 0 offset:348
	buffer_load_dword v70, off, s[0:3], 0 offset:324
	;; [unrolled: 1-line block ×3, first 2 shown]
	s_waitcnt vmcnt(57)
	v_fma_f64 v[136:137], v[59:60], v[73:74], -v[132:133]
	ds_read_b128 v[55:58], v2 offset:512
	v_fma_f64 v[67:68], v[61:62], v[73:74], v[67:68]
	s_clause 0x4
	buffer_load_dword v74, off, s[0:3], 0 offset:364
	buffer_load_dword v133, off, s[0:3], 0 offset:376
	;; [unrolled: 1-line block ×5, first 2 shown]
	s_waitcnt vmcnt(56)
	v_fma_f64 v[71:72], v[63:64], v[81:82], -v[71:72]
	ds_read_b128 v[59:62], v2 offset:528
	v_fma_f64 v[81:82], v[65:66], v[81:82], v[134:135]
	v_add_f64 v[125:126], v[125:126], 0
	v_add_f64 v[3:4], v[3:4], 0
	s_waitcnt lgkmcnt(1)
	v_mul_f64 v[139:140], v[55:56], v[75:76]
	v_mul_f64 v[75:76], v[57:58], v[75:76]
	v_add_f64 v[125:126], v[125:126], v[136:137]
	v_add_f64 v[3:4], v[3:4], v[67:68]
	s_clause 0x2
	buffer_load_dword v134, off, s[0:3], 0 offset:380
	buffer_load_dword v68, off, s[0:3], 0 offset:356
	;; [unrolled: 1-line block ×3, first 2 shown]
	s_waitcnt vmcnt(58) lgkmcnt(0)
	v_mul_f64 v[135:136], v[59:60], v[77:78]
	v_mul_f64 v[77:78], v[61:62], v[77:78]
	s_waitcnt vmcnt(56)
	v_fma_f64 v[75:76], v[55:56], v[83:84], -v[75:76]
	ds_read_b128 v[63:66], v2 offset:544
	v_fma_f64 v[83:84], v[57:58], v[83:84], v[139:140]
	v_add_f64 v[71:72], v[125:126], v[71:72]
	v_add_f64 v[3:4], v[3:4], v[81:82]
	s_clause 0x4
	buffer_load_dword v82, off, s[0:3], 0 offset:396
	buffer_load_dword v125, off, s[0:3], 0 offset:408
	;; [unrolled: 1-line block ×5, first 2 shown]
	ds_read_b128 v[55:58], v2 offset:560
	s_waitcnt vmcnt(57) lgkmcnt(1)
	v_mul_f64 v[141:142], v[63:64], v[85:86]
	v_mul_f64 v[85:86], v[65:66], v[85:86]
	s_waitcnt vmcnt(56)
	v_fma_f64 v[77:78], v[59:60], v[79:80], -v[77:78]
	v_add_f64 v[71:72], v[71:72], v[75:76]
	v_fma_f64 v[75:76], v[61:62], v[79:80], v[135:136]
	v_add_f64 v[3:4], v[3:4], v[83:84]
	s_clause 0x2
	buffer_load_dword v126, off, s[0:3], 0 offset:412
	buffer_load_dword v80, off, s[0:3], 0 offset:388
	;; [unrolled: 1-line block ×3, first 2 shown]
	s_waitcnt vmcnt(58) lgkmcnt(0)
	v_mul_f64 v[83:84], v[55:56], v[87:88]
	v_mul_f64 v[87:88], v[57:58], v[87:88]
	s_waitcnt vmcnt(56)
	v_fma_f64 v[85:86], v[63:64], v[91:92], -v[85:86]
	ds_read_b128 v[59:62], v2 offset:576
	v_add_f64 v[71:72], v[71:72], v[77:78]
	v_fma_f64 v[77:78], v[65:66], v[91:92], v[141:142]
	v_add_f64 v[3:4], v[3:4], v[75:76]
	buffer_load_dword v141, off, s[0:3], 0 offset:404
	ds_read_b128 v[63:66], v2 offset:592
	s_waitcnt vmcnt(53) lgkmcnt(1)
	v_mul_f64 v[91:92], v[61:62], v[93:94]
	s_waitcnt vmcnt(52)
	v_fma_f64 v[87:88], v[55:56], v[89:90], -v[87:88]
	v_mul_f64 v[75:76], v[59:60], v[93:94]
	v_fma_f64 v[83:84], v[57:58], v[89:90], v[83:84]
	ds_read_b128 v[55:58], v2 offset:608
	v_add_f64 v[71:72], v[71:72], v[85:86]
	v_add_f64 v[3:4], v[3:4], v[77:78]
	s_waitcnt vmcnt(51) lgkmcnt(1)
	v_mul_f64 v[85:86], v[65:66], v[95:96]
	v_mul_f64 v[77:78], v[63:64], v[95:96]
	s_waitcnt vmcnt(49)
	v_fma_f64 v[89:90], v[59:60], v[99:100], -v[91:92]
	v_fma_f64 v[75:76], v[61:62], v[99:100], v[75:76]
	s_waitcnt vmcnt(45) lgkmcnt(0)
	v_mul_f64 v[93:94], v[57:58], v[101:102]
	v_mul_f64 v[91:92], v[55:56], v[101:102]
	v_add_f64 v[71:72], v[71:72], v[87:88]
	v_add_f64 v[3:4], v[3:4], v[83:84]
	s_clause 0x3
	buffer_load_dword v83, off, s[0:3], 0 offset:64
	buffer_load_dword v84, off, s[0:3], 0 offset:68
	buffer_load_dword v87, off, s[0:3], 0 offset:72
	buffer_load_dword v88, off, s[0:3], 0 offset:76
	s_waitcnt vmcnt(48)
	v_fma_f64 v[85:86], v[63:64], v[97:98], -v[85:86]
	ds_read_b128 v[59:62], v2 offset:624
	v_fma_f64 v[77:78], v[65:66], v[97:98], v[77:78]
	ds_read_b128 v[63:66], v2 offset:640
	s_waitcnt vmcnt(45)
	v_fma_f64 v[93:94], v[55:56], v[107:108], -v[93:94]
	v_add_f64 v[71:72], v[71:72], v[89:90]
	v_add_f64 v[3:4], v[3:4], v[75:76]
	s_waitcnt lgkmcnt(1)
	v_mul_f64 v[89:90], v[61:62], v[103:104]
	v_mul_f64 v[75:76], v[59:60], v[103:104]
	v_add_f64 v[71:72], v[71:72], v[85:86]
	v_fma_f64 v[85:86], v[57:58], v[107:108], v[91:92]
	v_add_f64 v[3:4], v[3:4], v[77:78]
	s_waitcnt vmcnt(41) lgkmcnt(0)
	v_mul_f64 v[91:92], v[65:66], v[109:110]
	s_waitcnt vmcnt(40)
	v_fma_f64 v[89:90], v[59:60], v[105:106], -v[89:90]
	ds_read_b128 v[55:58], v2 offset:656
	v_mul_f64 v[77:78], v[63:64], v[109:110]
	v_fma_f64 v[75:76], v[61:62], v[105:106], v[75:76]
	ds_read_b128 v[59:62], v2 offset:672
	v_add_f64 v[71:72], v[71:72], v[93:94]
	v_add_f64 v[3:4], v[3:4], v[85:86]
	s_waitcnt vmcnt(39) lgkmcnt(1)
	v_mul_f64 v[93:94], v[57:58], v[111:112]
	s_waitcnt vmcnt(37)
	v_fma_f64 v[91:92], v[63:64], v[115:116], -v[91:92]
	v_mul_f64 v[85:86], v[55:56], v[111:112]
	v_fma_f64 v[77:78], v[65:66], v[115:116], v[77:78]
	ds_read_b128 v[63:66], v2 offset:688
	v_add_f64 v[71:72], v[71:72], v[89:90]
	s_waitcnt vmcnt(33) lgkmcnt(1)
	v_mul_f64 v[89:90], v[61:62], v[117:118]
	v_add_f64 v[3:4], v[3:4], v[75:76]
	s_waitcnt vmcnt(32)
	v_fma_f64 v[93:94], v[55:56], v[113:114], -v[93:94]
	v_mul_f64 v[75:76], v[59:60], v[117:118]
	v_fma_f64 v[85:86], v[57:58], v[113:114], v[85:86]
	ds_read_b128 v[55:58], v2 offset:704
	v_add_f64 v[71:72], v[71:72], v[91:92]
	s_waitcnt vmcnt(31) lgkmcnt(1)
	v_mul_f64 v[91:92], v[65:66], v[119:120]
	v_add_f64 v[3:4], v[3:4], v[77:78]
	;; [unrolled: 9-line block ×3, first 2 shown]
	s_waitcnt vmcnt(24)
	v_fma_f64 v[91:92], v[63:64], v[121:122], -v[91:92]
	v_mul_f64 v[85:86], v[55:56], v[127:128]
	v_fma_f64 v[77:78], v[65:66], v[121:122], v[77:78]
	ds_read_b128 v[63:66], v2 offset:736
	v_add_f64 v[71:72], v[71:72], v[89:90]
	v_add_f64 v[3:4], v[3:4], v[75:76]
	s_waitcnt vmcnt(23) lgkmcnt(1)
	v_mul_f64 v[89:90], v[61:62], v[129:130]
	v_mul_f64 v[75:76], v[59:60], v[129:130]
	s_waitcnt vmcnt(21)
	v_fma_f64 v[93:94], v[55:56], v[69:70], -v[93:94]
	v_fma_f64 v[69:70], v[57:58], v[69:70], v[85:86]
	ds_read_b128 v[55:58], v2 offset:752
	v_add_f64 v[71:72], v[71:72], v[91:92]
	v_add_f64 v[3:4], v[3:4], v[77:78]
	s_waitcnt vmcnt(17) lgkmcnt(1)
	v_mul_f64 v[77:78], v[63:64], v[73:74]
	v_mul_f64 v[73:74], v[65:66], v[73:74]
	s_waitcnt vmcnt(16)
	v_fma_f64 v[85:86], v[59:60], v[131:132], -v[89:90]
	;; [unrolled: 9-line block ×3, first 2 shown]
	v_fma_f64 v[67:68], v[65:66], v[67:68], v[77:78]
	ds_read_b128 v[63:66], v2 offset:784
	v_add_f64 v[71:72], v[71:72], v[85:86]
	v_add_f64 v[3:4], v[3:4], v[75:76]
	s_waitcnt vmcnt(9) lgkmcnt(1)
	v_mul_f64 v[77:78], v[61:62], v[81:82]
	s_waitcnt vmcnt(8)
	v_fma_f64 v[55:56], v[55:56], v[138:139], -v[89:90]
	v_mul_f64 v[75:76], v[59:60], v[81:82]
	v_fma_f64 v[57:58], v[57:58], v[138:139], v[69:70]
	v_add_f64 v[71:72], v[71:72], v[73:74]
	v_add_f64 v[3:4], v[3:4], v[67:68]
	s_waitcnt vmcnt(7) lgkmcnt(0)
	v_mul_f64 v[69:70], v[65:66], v[125:126]
	v_mul_f64 v[67:68], v[63:64], v[125:126]
	s_waitcnt vmcnt(5)
	v_fma_f64 v[59:60], v[59:60], v[79:80], -v[77:78]
	v_fma_f64 v[61:62], v[61:62], v[79:80], v[75:76]
	v_add_f64 v[55:56], v[71:72], v[55:56]
	v_add_f64 v[3:4], v[3:4], v[57:58]
	s_waitcnt vmcnt(4)
	v_fma_f64 v[57:58], v[63:64], v[140:141], -v[69:70]
	v_add_f64 v[55:56], v[55:56], v[59:60]
	v_fma_f64 v[59:60], v[65:66], v[140:141], v[67:68]
	v_add_f64 v[3:4], v[3:4], v[61:62]
	v_add_f64 v[55:56], v[55:56], v[57:58]
	;; [unrolled: 1-line block ×3, first 2 shown]
	s_waitcnt vmcnt(2)
	v_add_f64 v[55:56], v[83:84], -v[55:56]
	s_waitcnt vmcnt(0)
	v_add_f64 v[3:4], v[87:88], -v[3:4]
	buffer_store_dword v56, off, s[0:3], 0 offset:68
	buffer_store_dword v55, off, s[0:3], 0 offset:64
	;; [unrolled: 1-line block ×4, first 2 shown]
	v_cmpx_lt_u32_e32 2, v0
	s_cbranch_execz .LBB88_159
; %bb.158:
	v_mov_b32_e32 v3, s35
	s_clause 0x3
	buffer_load_dword v55, v3, s[0:3], 0 offen
	buffer_load_dword v56, v3, s[0:3], 0 offen offset:4
	buffer_load_dword v57, v3, s[0:3], 0 offen offset:8
	;; [unrolled: 1-line block ×3, first 2 shown]
	buffer_store_dword v2, off, s[0:3], 0 offset:48
	buffer_store_dword v2, off, s[0:3], 0 offset:52
	;; [unrolled: 1-line block ×4, first 2 shown]
	s_waitcnt vmcnt(0)
	ds_write_b128 v1, v[55:58]
.LBB88_159:
	s_or_b32 exec_lo, exec_lo, s4
	s_waitcnt lgkmcnt(0)
	s_waitcnt_vscnt null, 0x0
	s_barrier
	buffer_gl0_inv
	s_clause 0x37
	buffer_load_dword v3, off, s[0:3], 0 offset:72
	buffer_load_dword v4, off, s[0:3], 0 offset:76
	;; [unrolled: 1-line block ×56, first 2 shown]
	ds_read_b128 v[55:58], v2 offset:448
	s_clause 0x2
	buffer_load_dword v120, off, s[0:3], 0 offset:300
	buffer_load_dword v124, off, s[0:3], 0 offset:276
	;; [unrolled: 1-line block ×3, first 2 shown]
	ds_read_b128 v[59:62], v2 offset:464
	s_clause 0x4
	buffer_load_dword v128, off, s[0:3], 0 offset:316
	buffer_load_dword v129, off, s[0:3], 0 offset:328
	buffer_load_dword v131, off, s[0:3], 0 offset:320
	buffer_load_dword v127, off, s[0:3], 0 offset:312
	buffer_load_dword v122, off, s[0:3], 0 offset:292
	ds_read_b128 v[63:66], v2 offset:480
	s_mov_b32 s4, exec_lo
	s_waitcnt vmcnt(62) lgkmcnt(2)
	v_mul_f64 v[125:126], v[57:58], v[3:4]
	v_mul_f64 v[3:4], v[55:56], v[3:4]
	s_waitcnt vmcnt(60) lgkmcnt(1)
	v_mul_f64 v[132:133], v[61:62], v[67:68]
	v_mul_f64 v[67:68], v[59:60], v[67:68]
	;; [unrolled: 3-line block ×3, first 2 shown]
	v_fma_f64 v[125:126], v[55:56], v[69:70], -v[125:126]
	v_fma_f64 v[3:4], v[57:58], v[69:70], v[3:4]
	s_clause 0x2
	buffer_load_dword v130, off, s[0:3], 0 offset:332
	buffer_load_dword v70, off, s[0:3], 0 offset:308
	;; [unrolled: 1-line block ×3, first 2 shown]
	s_waitcnt vmcnt(57)
	v_fma_f64 v[136:137], v[59:60], v[73:74], -v[132:133]
	ds_read_b128 v[55:58], v2 offset:496
	v_fma_f64 v[67:68], v[61:62], v[73:74], v[67:68]
	s_clause 0x4
	buffer_load_dword v74, off, s[0:3], 0 offset:348
	buffer_load_dword v133, off, s[0:3], 0 offset:360
	;; [unrolled: 1-line block ×5, first 2 shown]
	s_waitcnt vmcnt(56)
	v_fma_f64 v[71:72], v[63:64], v[81:82], -v[71:72]
	ds_read_b128 v[59:62], v2 offset:512
	v_fma_f64 v[81:82], v[65:66], v[81:82], v[134:135]
	v_add_f64 v[125:126], v[125:126], 0
	v_add_f64 v[3:4], v[3:4], 0
	s_waitcnt lgkmcnt(1)
	v_mul_f64 v[139:140], v[55:56], v[75:76]
	v_mul_f64 v[75:76], v[57:58], v[75:76]
	v_add_f64 v[125:126], v[125:126], v[136:137]
	v_add_f64 v[3:4], v[3:4], v[67:68]
	s_clause 0x2
	buffer_load_dword v134, off, s[0:3], 0 offset:364
	buffer_load_dword v68, off, s[0:3], 0 offset:340
	;; [unrolled: 1-line block ×3, first 2 shown]
	s_waitcnt vmcnt(58) lgkmcnt(0)
	v_mul_f64 v[135:136], v[59:60], v[77:78]
	v_mul_f64 v[77:78], v[61:62], v[77:78]
	s_waitcnt vmcnt(56)
	v_fma_f64 v[75:76], v[55:56], v[83:84], -v[75:76]
	ds_read_b128 v[63:66], v2 offset:528
	v_fma_f64 v[83:84], v[57:58], v[83:84], v[139:140]
	v_add_f64 v[71:72], v[125:126], v[71:72]
	v_add_f64 v[3:4], v[3:4], v[81:82]
	s_clause 0x4
	buffer_load_dword v82, off, s[0:3], 0 offset:380
	buffer_load_dword v125, off, s[0:3], 0 offset:392
	;; [unrolled: 1-line block ×5, first 2 shown]
	ds_read_b128 v[55:58], v2 offset:544
	s_waitcnt vmcnt(57) lgkmcnt(1)
	v_mul_f64 v[141:142], v[63:64], v[85:86]
	v_mul_f64 v[85:86], v[65:66], v[85:86]
	s_waitcnt vmcnt(56)
	v_fma_f64 v[77:78], v[59:60], v[79:80], -v[77:78]
	v_add_f64 v[71:72], v[71:72], v[75:76]
	v_fma_f64 v[75:76], v[61:62], v[79:80], v[135:136]
	v_add_f64 v[3:4], v[3:4], v[83:84]
	s_clause 0x2
	buffer_load_dword v126, off, s[0:3], 0 offset:396
	buffer_load_dword v80, off, s[0:3], 0 offset:372
	;; [unrolled: 1-line block ×3, first 2 shown]
	s_waitcnt vmcnt(58) lgkmcnt(0)
	v_mul_f64 v[83:84], v[55:56], v[87:88]
	v_mul_f64 v[87:88], v[57:58], v[87:88]
	s_waitcnt vmcnt(56)
	v_fma_f64 v[85:86], v[63:64], v[91:92], -v[85:86]
	ds_read_b128 v[59:62], v2 offset:560
	v_add_f64 v[71:72], v[71:72], v[77:78]
	v_fma_f64 v[77:78], v[65:66], v[91:92], v[141:142]
	v_add_f64 v[3:4], v[3:4], v[75:76]
	s_clause 0x2
	buffer_load_dword v76, off, s[0:3], 0 offset:412
	buffer_load_dword v75, off, s[0:3], 0 offset:408
	;; [unrolled: 1-line block ×3, first 2 shown]
	ds_read_b128 v[63:66], v2 offset:576
	s_waitcnt vmcnt(55) lgkmcnt(1)
	v_mul_f64 v[91:92], v[59:60], v[93:94]
	v_mul_f64 v[93:94], v[61:62], v[93:94]
	s_waitcnt vmcnt(54)
	v_fma_f64 v[87:88], v[55:56], v[89:90], -v[87:88]
	v_fma_f64 v[83:84], v[57:58], v[89:90], v[83:84]
	v_add_f64 v[71:72], v[71:72], v[85:86]
	v_add_f64 v[3:4], v[3:4], v[77:78]
	s_clause 0x1
	buffer_load_dword v78, off, s[0:3], 0 offset:404
	buffer_load_dword v77, off, s[0:3], 0 offset:400
	s_waitcnt vmcnt(55) lgkmcnt(0)
	v_mul_f64 v[89:90], v[65:66], v[95:96]
	ds_read_b128 v[55:58], v2 offset:592
	s_waitcnt vmcnt(53)
	v_fma_f64 v[93:94], v[59:60], v[99:100], -v[93:94]
	v_mul_f64 v[85:86], v[63:64], v[95:96]
	v_add_f64 v[71:72], v[71:72], v[87:88]
	v_fma_f64 v[87:88], v[61:62], v[99:100], v[91:92]
	v_add_f64 v[3:4], v[3:4], v[83:84]
	ds_read_b128 v[59:62], v2 offset:608
	s_waitcnt vmcnt(49) lgkmcnt(1)
	v_mul_f64 v[91:92], v[57:58], v[101:102]
	s_waitcnt vmcnt(48)
	v_fma_f64 v[89:90], v[63:64], v[97:98], -v[89:90]
	v_mul_f64 v[83:84], v[55:56], v[101:102]
	v_fma_f64 v[85:86], v[65:66], v[97:98], v[85:86]
	v_add_f64 v[71:72], v[71:72], v[93:94]
	s_waitcnt vmcnt(47) lgkmcnt(0)
	v_mul_f64 v[97:98], v[61:62], v[103:104]
	v_add_f64 v[3:4], v[3:4], v[87:88]
	s_clause 0x3
	buffer_load_dword v87, off, s[0:3], 0 offset:48
	buffer_load_dword v88, off, s[0:3], 0 offset:52
	;; [unrolled: 1-line block ×4, first 2 shown]
	s_waitcnt vmcnt(49)
	v_fma_f64 v[91:92], v[55:56], v[107:108], -v[91:92]
	ds_read_b128 v[63:66], v2 offset:624
	v_mul_f64 v[95:96], v[59:60], v[103:104]
	v_fma_f64 v[83:84], v[57:58], v[107:108], v[83:84]
	ds_read_b128 v[55:58], v2 offset:640
	v_add_f64 v[71:72], v[71:72], v[89:90]
	s_waitcnt vmcnt(44)
	v_fma_f64 v[97:98], v[59:60], v[105:106], -v[97:98]
	v_add_f64 v[3:4], v[3:4], v[85:86]
	s_waitcnt lgkmcnt(1)
	v_mul_f64 v[89:90], v[65:66], v[109:110]
	v_mul_f64 v[85:86], v[63:64], v[109:110]
	v_add_f64 v[71:72], v[71:72], v[91:92]
	v_fma_f64 v[91:92], v[61:62], v[105:106], v[95:96]
	v_add_f64 v[3:4], v[3:4], v[83:84]
	s_waitcnt vmcnt(43) lgkmcnt(0)
	v_mul_f64 v[95:96], v[57:58], v[111:112]
	s_waitcnt vmcnt(41)
	v_fma_f64 v[89:90], v[63:64], v[115:116], -v[89:90]
	ds_read_b128 v[59:62], v2 offset:656
	v_mul_f64 v[83:84], v[55:56], v[111:112]
	v_fma_f64 v[85:86], v[65:66], v[115:116], v[85:86]
	ds_read_b128 v[63:66], v2 offset:672
	v_add_f64 v[71:72], v[71:72], v[97:98]
	v_add_f64 v[3:4], v[3:4], v[91:92]
	s_waitcnt vmcnt(37) lgkmcnt(1)
	v_mul_f64 v[97:98], v[61:62], v[117:118]
	s_waitcnt vmcnt(36)
	v_fma_f64 v[95:96], v[55:56], v[113:114], -v[95:96]
	v_mul_f64 v[91:92], v[59:60], v[117:118]
	v_fma_f64 v[83:84], v[57:58], v[113:114], v[83:84]
	ds_read_b128 v[55:58], v2 offset:688
	v_add_f64 v[71:72], v[71:72], v[89:90]
	s_waitcnt vmcnt(35) lgkmcnt(1)
	v_mul_f64 v[89:90], v[65:66], v[119:120]
	v_add_f64 v[3:4], v[3:4], v[85:86]
	s_waitcnt vmcnt(33)
	v_fma_f64 v[97:98], v[59:60], v[123:124], -v[97:98]
	v_mul_f64 v[85:86], v[63:64], v[119:120]
	v_fma_f64 v[91:92], v[61:62], v[123:124], v[91:92]
	ds_read_b128 v[59:62], v2 offset:704
	v_add_f64 v[71:72], v[71:72], v[95:96]
	s_waitcnt vmcnt(29) lgkmcnt(1)
	v_mul_f64 v[95:96], v[57:58], v[127:128]
	v_add_f64 v[3:4], v[3:4], v[83:84]
	s_waitcnt vmcnt(28)
	v_fma_f64 v[89:90], v[63:64], v[121:122], -v[89:90]
	v_mul_f64 v[83:84], v[55:56], v[127:128]
	v_fma_f64 v[85:86], v[65:66], v[121:122], v[85:86]
	ds_read_b128 v[63:66], v2 offset:720
	v_add_f64 v[71:72], v[71:72], v[97:98]
	v_add_f64 v[3:4], v[3:4], v[91:92]
	s_waitcnt vmcnt(27) lgkmcnt(1)
	v_mul_f64 v[97:98], v[61:62], v[129:130]
	v_mul_f64 v[91:92], v[59:60], v[129:130]
	s_waitcnt vmcnt(25)
	v_fma_f64 v[95:96], v[55:56], v[69:70], -v[95:96]
	v_fma_f64 v[69:70], v[57:58], v[69:70], v[83:84]
	ds_read_b128 v[55:58], v2 offset:736
	s_waitcnt vmcnt(21) lgkmcnt(1)
	v_mul_f64 v[83:84], v[63:64], v[73:74]
	v_mul_f64 v[73:74], v[65:66], v[73:74]
	v_add_f64 v[71:72], v[71:72], v[89:90]
	v_add_f64 v[3:4], v[3:4], v[85:86]
	s_waitcnt vmcnt(20)
	v_fma_f64 v[85:86], v[59:60], v[131:132], -v[97:98]
	v_fma_f64 v[89:90], v[61:62], v[131:132], v[91:92]
	ds_read_b128 v[59:62], v2 offset:752
	v_add_f64 v[71:72], v[71:72], v[95:96]
	v_add_f64 v[3:4], v[3:4], v[69:70]
	s_waitcnt vmcnt(19) lgkmcnt(1)
	v_mul_f64 v[91:92], v[57:58], v[133:134]
	v_mul_f64 v[69:70], v[55:56], v[133:134]
	s_waitcnt vmcnt(17)
	v_fma_f64 v[73:74], v[63:64], v[67:68], -v[73:74]
	v_fma_f64 v[67:68], v[65:66], v[67:68], v[83:84]
	ds_read_b128 v[63:66], v2 offset:768
	v_add_f64 v[71:72], v[71:72], v[85:86]
	v_add_f64 v[3:4], v[3:4], v[89:90]
	s_waitcnt vmcnt(13) lgkmcnt(1)
	v_mul_f64 v[83:84], v[59:60], v[81:82]
	v_mul_f64 v[81:82], v[61:62], v[81:82]
	;; [unrolled: 9-line block ×3, first 2 shown]
	s_waitcnt vmcnt(9)
	v_fma_f64 v[59:60], v[59:60], v[79:80], -v[81:82]
	v_fma_f64 v[61:62], v[61:62], v[79:80], v[83:84]
	v_add_f64 v[71:72], v[71:72], v[85:86]
	v_add_f64 v[2:3], v[3:4], v[69:70]
	s_waitcnt vmcnt(7) lgkmcnt(0)
	v_mul_f64 v[69:70], v[55:56], v[75:76]
	v_mul_f64 v[75:76], v[57:58], v[75:76]
	s_waitcnt vmcnt(6)
	v_fma_f64 v[63:64], v[63:64], v[140:141], -v[73:74]
	v_fma_f64 v[65:66], v[65:66], v[140:141], v[67:68]
	v_add_f64 v[59:60], v[71:72], v[59:60]
	v_add_f64 v[2:3], v[2:3], v[61:62]
	s_waitcnt vmcnt(4)
	v_fma_f64 v[55:56], v[55:56], v[77:78], -v[75:76]
	v_fma_f64 v[57:58], v[57:58], v[77:78], v[69:70]
	v_add_f64 v[59:60], v[59:60], v[63:64]
	v_add_f64 v[2:3], v[2:3], v[65:66]
	;; [unrolled: 1-line block ×4, first 2 shown]
	s_waitcnt vmcnt(2)
	v_add_f64 v[55:56], v[87:88], -v[55:56]
	s_waitcnt vmcnt(0)
	v_add_f64 v[2:3], v[93:94], -v[2:3]
	buffer_store_dword v56, off, s[0:3], 0 offset:52
	buffer_store_dword v55, off, s[0:3], 0 offset:48
	;; [unrolled: 1-line block ×4, first 2 shown]
	v_cmpx_lt_u32_e32 1, v0
	s_cbranch_execz .LBB88_161
; %bb.160:
	v_mov_b32_e32 v2, s36
	s_clause 0x3
	buffer_load_dword v55, v2, s[0:3], 0 offen
	buffer_load_dword v56, v2, s[0:3], 0 offen offset:4
	buffer_load_dword v57, v2, s[0:3], 0 offen offset:8
	;; [unrolled: 1-line block ×3, first 2 shown]
	v_mov_b32_e32 v2, 0
	buffer_store_dword v2, off, s[0:3], 0 offset:32
	buffer_store_dword v2, off, s[0:3], 0 offset:36
	;; [unrolled: 1-line block ×4, first 2 shown]
	s_waitcnt vmcnt(0)
	ds_write_b128 v1, v[55:58]
.LBB88_161:
	s_or_b32 exec_lo, exec_lo, s4
	s_waitcnt lgkmcnt(0)
	s_waitcnt_vscnt null, 0x0
	s_barrier
	buffer_gl0_inv
	s_clause 0x37
	buffer_load_dword v3, off, s[0:3], 0 offset:56
	buffer_load_dword v4, off, s[0:3], 0 offset:60
	buffer_load_dword v67, off, s[0:3], 0 offset:72
	buffer_load_dword v68, off, s[0:3], 0 offset:76
	buffer_load_dword v69, off, s[0:3], 0 offset:48
	buffer_load_dword v70, off, s[0:3], 0 offset:52
	buffer_load_dword v71, off, s[0:3], 0 offset:88
	buffer_load_dword v72, off, s[0:3], 0 offset:92
	buffer_load_dword v73, off, s[0:3], 0 offset:64
	buffer_load_dword v74, off, s[0:3], 0 offset:68
	buffer_load_dword v76, off, s[0:3], 0 offset:108
	buffer_load_dword v77, off, s[0:3], 0 offset:120
	buffer_load_dword v79, off, s[0:3], 0 offset:112
	buffer_load_dword v75, off, s[0:3], 0 offset:104
	buffer_load_dword v81, off, s[0:3], 0 offset:80
	buffer_load_dword v82, off, s[0:3], 0 offset:84
	buffer_load_dword v78, off, s[0:3], 0 offset:124
	buffer_load_dword v84, off, s[0:3], 0 offset:100
	buffer_load_dword v83, off, s[0:3], 0 offset:96
	buffer_load_dword v86, off, s[0:3], 0 offset:140
	buffer_load_dword v87, off, s[0:3], 0 offset:152
	buffer_load_dword v89, off, s[0:3], 0 offset:144
	buffer_load_dword v85, off, s[0:3], 0 offset:136
	buffer_load_dword v80, off, s[0:3], 0 offset:116
	buffer_load_dword v88, off, s[0:3], 0 offset:156
	buffer_load_dword v92, off, s[0:3], 0 offset:132
	buffer_load_dword v91, off, s[0:3], 0 offset:128
	buffer_load_dword v94, off, s[0:3], 0 offset:172
	buffer_load_dword v95, off, s[0:3], 0 offset:184
	buffer_load_dword v97, off, s[0:3], 0 offset:176
	buffer_load_dword v93, off, s[0:3], 0 offset:168
	buffer_load_dword v90, off, s[0:3], 0 offset:148
	buffer_load_dword v96, off, s[0:3], 0 offset:188
	buffer_load_dword v100, off, s[0:3], 0 offset:164
	buffer_load_dword v99, off, s[0:3], 0 offset:160
	buffer_load_dword v102, off, s[0:3], 0 offset:204
	buffer_load_dword v103, off, s[0:3], 0 offset:216
	buffer_load_dword v105, off, s[0:3], 0 offset:208
	buffer_load_dword v101, off, s[0:3], 0 offset:200
	buffer_load_dword v98, off, s[0:3], 0 offset:180
	buffer_load_dword v104, off, s[0:3], 0 offset:220
	buffer_load_dword v108, off, s[0:3], 0 offset:196
	buffer_load_dword v107, off, s[0:3], 0 offset:192
	buffer_load_dword v110, off, s[0:3], 0 offset:236
	buffer_load_dword v111, off, s[0:3], 0 offset:248
	buffer_load_dword v113, off, s[0:3], 0 offset:240
	buffer_load_dword v109, off, s[0:3], 0 offset:232
	buffer_load_dword v106, off, s[0:3], 0 offset:212
	buffer_load_dword v112, off, s[0:3], 0 offset:252
	buffer_load_dword v116, off, s[0:3], 0 offset:228
	buffer_load_dword v115, off, s[0:3], 0 offset:224
	buffer_load_dword v118, off, s[0:3], 0 offset:268
	buffer_load_dword v119, off, s[0:3], 0 offset:280
	buffer_load_dword v121, off, s[0:3], 0 offset:272
	buffer_load_dword v117, off, s[0:3], 0 offset:264
	buffer_load_dword v114, off, s[0:3], 0 offset:244
	v_mov_b32_e32 v2, 0
	s_mov_b32 s4, exec_lo
	ds_read_b128 v[55:58], v2 offset:432
	s_clause 0x2
	buffer_load_dword v120, off, s[0:3], 0 offset:284
	buffer_load_dword v124, off, s[0:3], 0 offset:260
	buffer_load_dword v123, off, s[0:3], 0 offset:256
	ds_read_b128 v[59:62], v2 offset:448
	s_clause 0x4
	buffer_load_dword v128, off, s[0:3], 0 offset:300
	buffer_load_dword v129, off, s[0:3], 0 offset:312
	buffer_load_dword v131, off, s[0:3], 0 offset:304
	buffer_load_dword v127, off, s[0:3], 0 offset:296
	buffer_load_dword v122, off, s[0:3], 0 offset:276
	ds_read_b128 v[63:66], v2 offset:464
	s_waitcnt vmcnt(62) lgkmcnt(2)
	v_mul_f64 v[125:126], v[57:58], v[3:4]
	v_mul_f64 v[3:4], v[55:56], v[3:4]
	s_waitcnt vmcnt(60) lgkmcnt(1)
	v_mul_f64 v[132:133], v[61:62], v[67:68]
	v_mul_f64 v[67:68], v[59:60], v[67:68]
	;; [unrolled: 3-line block ×3, first 2 shown]
	v_fma_f64 v[125:126], v[55:56], v[69:70], -v[125:126]
	v_fma_f64 v[3:4], v[57:58], v[69:70], v[3:4]
	s_clause 0x2
	buffer_load_dword v130, off, s[0:3], 0 offset:316
	buffer_load_dword v70, off, s[0:3], 0 offset:292
	;; [unrolled: 1-line block ×3, first 2 shown]
	s_waitcnt vmcnt(57)
	v_fma_f64 v[136:137], v[59:60], v[73:74], -v[132:133]
	ds_read_b128 v[55:58], v2 offset:480
	v_fma_f64 v[67:68], v[61:62], v[73:74], v[67:68]
	s_clause 0x4
	buffer_load_dword v74, off, s[0:3], 0 offset:332
	buffer_load_dword v133, off, s[0:3], 0 offset:344
	;; [unrolled: 1-line block ×5, first 2 shown]
	s_waitcnt vmcnt(56)
	v_fma_f64 v[71:72], v[63:64], v[81:82], -v[71:72]
	ds_read_b128 v[59:62], v2 offset:496
	v_fma_f64 v[81:82], v[65:66], v[81:82], v[134:135]
	v_add_f64 v[125:126], v[125:126], 0
	v_add_f64 v[3:4], v[3:4], 0
	s_waitcnt lgkmcnt(1)
	v_mul_f64 v[139:140], v[55:56], v[75:76]
	v_mul_f64 v[75:76], v[57:58], v[75:76]
	v_add_f64 v[125:126], v[125:126], v[136:137]
	v_add_f64 v[3:4], v[3:4], v[67:68]
	s_clause 0x2
	buffer_load_dword v134, off, s[0:3], 0 offset:348
	buffer_load_dword v68, off, s[0:3], 0 offset:324
	;; [unrolled: 1-line block ×3, first 2 shown]
	s_waitcnt vmcnt(58) lgkmcnt(0)
	v_mul_f64 v[135:136], v[59:60], v[77:78]
	v_mul_f64 v[77:78], v[61:62], v[77:78]
	s_waitcnt vmcnt(56)
	v_fma_f64 v[75:76], v[55:56], v[83:84], -v[75:76]
	ds_read_b128 v[63:66], v2 offset:512
	v_fma_f64 v[83:84], v[57:58], v[83:84], v[139:140]
	v_add_f64 v[71:72], v[125:126], v[71:72]
	v_add_f64 v[3:4], v[3:4], v[81:82]
	s_clause 0x4
	buffer_load_dword v82, off, s[0:3], 0 offset:364
	buffer_load_dword v125, off, s[0:3], 0 offset:376
	;; [unrolled: 1-line block ×5, first 2 shown]
	ds_read_b128 v[55:58], v2 offset:528
	s_waitcnt vmcnt(57) lgkmcnt(1)
	v_mul_f64 v[141:142], v[63:64], v[85:86]
	v_mul_f64 v[85:86], v[65:66], v[85:86]
	s_waitcnt vmcnt(56)
	v_fma_f64 v[77:78], v[59:60], v[79:80], -v[77:78]
	v_add_f64 v[71:72], v[71:72], v[75:76]
	v_fma_f64 v[75:76], v[61:62], v[79:80], v[135:136]
	v_add_f64 v[3:4], v[3:4], v[83:84]
	s_clause 0x2
	buffer_load_dword v126, off, s[0:3], 0 offset:380
	buffer_load_dword v80, off, s[0:3], 0 offset:356
	;; [unrolled: 1-line block ×3, first 2 shown]
	s_waitcnt vmcnt(58) lgkmcnt(0)
	v_mul_f64 v[83:84], v[55:56], v[87:88]
	v_mul_f64 v[87:88], v[57:58], v[87:88]
	s_waitcnt vmcnt(56)
	v_fma_f64 v[85:86], v[63:64], v[91:92], -v[85:86]
	ds_read_b128 v[59:62], v2 offset:544
	v_add_f64 v[71:72], v[71:72], v[77:78]
	v_fma_f64 v[77:78], v[65:66], v[91:92], v[141:142]
	v_add_f64 v[3:4], v[3:4], v[75:76]
	s_clause 0x4
	buffer_load_dword v76, off, s[0:3], 0 offset:396
	buffer_load_dword v91, off, s[0:3], 0 offset:408
	;; [unrolled: 1-line block ×5, first 2 shown]
	ds_read_b128 v[63:66], v2 offset:560
	s_waitcnt vmcnt(57) lgkmcnt(1)
	v_mul_f64 v[136:137], v[59:60], v[93:94]
	v_mul_f64 v[93:94], v[61:62], v[93:94]
	s_waitcnt vmcnt(56)
	v_fma_f64 v[87:88], v[55:56], v[89:90], -v[87:88]
	v_fma_f64 v[83:84], v[57:58], v[89:90], v[83:84]
	v_add_f64 v[71:72], v[71:72], v[85:86]
	v_add_f64 v[3:4], v[3:4], v[77:78]
	s_clause 0x2
	buffer_load_dword v92, off, s[0:3], 0 offset:412
	buffer_load_dword v78, off, s[0:3], 0 offset:388
	;; [unrolled: 1-line block ×3, first 2 shown]
	s_waitcnt vmcnt(58) lgkmcnt(0)
	v_mul_f64 v[89:90], v[65:66], v[95:96]
	ds_read_b128 v[55:58], v2 offset:576
	s_waitcnt vmcnt(56)
	v_fma_f64 v[93:94], v[59:60], v[99:100], -v[93:94]
	v_mul_f64 v[85:86], v[63:64], v[95:96]
	v_add_f64 v[71:72], v[71:72], v[87:88]
	v_fma_f64 v[87:88], v[61:62], v[99:100], v[136:137]
	v_add_f64 v[3:4], v[3:4], v[83:84]
	buffer_load_dword v136, off, s[0:3], 0 offset:404
	ds_read_b128 v[59:62], v2 offset:592
	s_waitcnt vmcnt(53) lgkmcnt(1)
	v_mul_f64 v[95:96], v[57:58], v[101:102]
	s_waitcnt vmcnt(52)
	v_fma_f64 v[89:90], v[63:64], v[97:98], -v[89:90]
	v_mul_f64 v[83:84], v[55:56], v[101:102]
	v_fma_f64 v[85:86], v[65:66], v[97:98], v[85:86]
	ds_read_b128 v[63:66], v2 offset:608
	v_add_f64 v[71:72], v[71:72], v[93:94]
	v_add_f64 v[3:4], v[3:4], v[87:88]
	s_waitcnt vmcnt(51) lgkmcnt(1)
	v_mul_f64 v[93:94], v[61:62], v[103:104]
	v_mul_f64 v[87:88], v[59:60], v[103:104]
	s_waitcnt vmcnt(49)
	v_fma_f64 v[95:96], v[55:56], v[107:108], -v[95:96]
	v_fma_f64 v[83:84], v[57:58], v[107:108], v[83:84]
	s_waitcnt vmcnt(45) lgkmcnt(0)
	v_mul_f64 v[99:100], v[65:66], v[109:110]
	v_mul_f64 v[97:98], v[63:64], v[109:110]
	v_add_f64 v[71:72], v[71:72], v[89:90]
	v_add_f64 v[3:4], v[3:4], v[85:86]
	s_clause 0x3
	buffer_load_dword v85, off, s[0:3], 0 offset:32
	buffer_load_dword v86, off, s[0:3], 0 offset:36
	;; [unrolled: 1-line block ×4, first 2 shown]
	s_waitcnt vmcnt(48)
	v_fma_f64 v[93:94], v[59:60], v[105:106], -v[93:94]
	ds_read_b128 v[55:58], v2 offset:624
	v_fma_f64 v[87:88], v[61:62], v[105:106], v[87:88]
	ds_read_b128 v[59:62], v2 offset:640
	s_waitcnt vmcnt(45)
	v_fma_f64 v[99:100], v[63:64], v[115:116], -v[99:100]
	v_add_f64 v[71:72], v[71:72], v[95:96]
	v_add_f64 v[3:4], v[3:4], v[83:84]
	s_waitcnt lgkmcnt(1)
	v_mul_f64 v[95:96], v[57:58], v[111:112]
	v_mul_f64 v[83:84], v[55:56], v[111:112]
	v_add_f64 v[71:72], v[71:72], v[93:94]
	v_fma_f64 v[93:94], v[65:66], v[115:116], v[97:98]
	v_add_f64 v[3:4], v[3:4], v[87:88]
	s_waitcnt vmcnt(41) lgkmcnt(0)
	v_mul_f64 v[97:98], v[61:62], v[117:118]
	s_waitcnt vmcnt(40)
	v_fma_f64 v[95:96], v[55:56], v[113:114], -v[95:96]
	ds_read_b128 v[63:66], v2 offset:656
	v_mul_f64 v[87:88], v[59:60], v[117:118]
	v_fma_f64 v[83:84], v[57:58], v[113:114], v[83:84]
	ds_read_b128 v[55:58], v2 offset:672
	v_add_f64 v[71:72], v[71:72], v[99:100]
	v_add_f64 v[3:4], v[3:4], v[93:94]
	s_waitcnt vmcnt(39) lgkmcnt(1)
	v_mul_f64 v[99:100], v[65:66], v[119:120]
	s_waitcnt vmcnt(37)
	v_fma_f64 v[97:98], v[59:60], v[123:124], -v[97:98]
	v_mul_f64 v[93:94], v[63:64], v[119:120]
	v_fma_f64 v[87:88], v[61:62], v[123:124], v[87:88]
	ds_read_b128 v[59:62], v2 offset:688
	v_add_f64 v[71:72], v[71:72], v[95:96]
	s_waitcnt vmcnt(33) lgkmcnt(1)
	v_mul_f64 v[95:96], v[57:58], v[127:128]
	v_add_f64 v[3:4], v[3:4], v[83:84]
	s_waitcnt vmcnt(32)
	v_fma_f64 v[99:100], v[63:64], v[121:122], -v[99:100]
	v_mul_f64 v[83:84], v[55:56], v[127:128]
	v_fma_f64 v[93:94], v[65:66], v[121:122], v[93:94]
	ds_read_b128 v[63:66], v2 offset:704
	v_add_f64 v[71:72], v[71:72], v[97:98]
	v_add_f64 v[3:4], v[3:4], v[87:88]
	s_waitcnt vmcnt(31) lgkmcnt(1)
	v_mul_f64 v[97:98], v[61:62], v[129:130]
	v_mul_f64 v[87:88], v[59:60], v[129:130]
	s_waitcnt vmcnt(29)
	v_fma_f64 v[95:96], v[55:56], v[69:70], -v[95:96]
	v_fma_f64 v[69:70], v[57:58], v[69:70], v[83:84]
	ds_read_b128 v[55:58], v2 offset:720
	s_waitcnt vmcnt(25) lgkmcnt(1)
	v_mul_f64 v[83:84], v[63:64], v[73:74]
	v_mul_f64 v[73:74], v[65:66], v[73:74]
	v_add_f64 v[71:72], v[71:72], v[99:100]
	v_add_f64 v[3:4], v[3:4], v[93:94]
	s_waitcnt vmcnt(24)
	v_fma_f64 v[93:94], v[59:60], v[131:132], -v[97:98]
	v_fma_f64 v[87:88], v[61:62], v[131:132], v[87:88]
	ds_read_b128 v[59:62], v2 offset:736
	v_add_f64 v[71:72], v[71:72], v[95:96]
	v_add_f64 v[3:4], v[3:4], v[69:70]
	s_waitcnt vmcnt(23) lgkmcnt(1)
	v_mul_f64 v[95:96], v[57:58], v[133:134]
	v_mul_f64 v[69:70], v[55:56], v[133:134]
	s_waitcnt vmcnt(21)
	v_fma_f64 v[73:74], v[63:64], v[67:68], -v[73:74]
	v_fma_f64 v[67:68], v[65:66], v[67:68], v[83:84]
	ds_read_b128 v[63:66], v2 offset:752
	v_add_f64 v[71:72], v[71:72], v[93:94]
	v_add_f64 v[3:4], v[3:4], v[87:88]
	s_waitcnt vmcnt(17) lgkmcnt(1)
	v_mul_f64 v[83:84], v[59:60], v[81:82]
	v_mul_f64 v[81:82], v[61:62], v[81:82]
	;; [unrolled: 9-line block ×4, first 2 shown]
	s_waitcnt vmcnt(8)
	v_fma_f64 v[63:64], v[63:64], v[140:141], -v[73:74]
	v_fma_f64 v[65:66], v[65:66], v[140:141], v[67:68]
	v_add_f64 v[71:72], v[71:72], v[81:82]
	v_add_f64 v[3:4], v[3:4], v[79:80]
	s_waitcnt vmcnt(7) lgkmcnt(0)
	v_mul_f64 v[73:74], v[61:62], v[91:92]
	v_mul_f64 v[67:68], v[59:60], v[91:92]
	s_waitcnt vmcnt(5)
	v_fma_f64 v[55:56], v[55:56], v[77:78], -v[75:76]
	v_fma_f64 v[57:58], v[57:58], v[77:78], v[69:70]
	v_add_f64 v[63:64], v[71:72], v[63:64]
	v_add_f64 v[3:4], v[3:4], v[65:66]
	s_waitcnt vmcnt(4)
	v_fma_f64 v[59:60], v[59:60], v[135:136], -v[73:74]
	v_fma_f64 v[61:62], v[61:62], v[135:136], v[67:68]
	v_add_f64 v[55:56], v[63:64], v[55:56]
	v_add_f64 v[3:4], v[3:4], v[57:58]
	;; [unrolled: 1-line block ×4, first 2 shown]
	s_waitcnt vmcnt(2)
	v_add_f64 v[55:56], v[85:86], -v[55:56]
	s_waitcnt vmcnt(0)
	v_add_f64 v[3:4], v[89:90], -v[3:4]
	buffer_store_dword v56, off, s[0:3], 0 offset:36
	buffer_store_dword v55, off, s[0:3], 0 offset:32
	;; [unrolled: 1-line block ×4, first 2 shown]
	v_cmpx_ne_u32_e32 0, v0
	s_cbranch_execz .LBB88_163
; %bb.162:
	s_clause 0x3
	buffer_load_dword v55, off, s[0:3], 0 offset:16
	buffer_load_dword v56, off, s[0:3], 0 offset:20
	;; [unrolled: 1-line block ×4, first 2 shown]
	buffer_store_dword v2, off, s[0:3], 0 offset:16
	buffer_store_dword v2, off, s[0:3], 0 offset:20
	;; [unrolled: 1-line block ×4, first 2 shown]
	s_waitcnt vmcnt(0)
	ds_write_b128 v1, v[55:58]
.LBB88_163:
	s_or_b32 exec_lo, exec_lo, s4
	s_waitcnt lgkmcnt(0)
	s_waitcnt_vscnt null, 0x0
	s_barrier
	buffer_gl0_inv
	s_clause 0x37
	buffer_load_dword v0, off, s[0:3], 0 offset:40
	buffer_load_dword v1, off, s[0:3], 0 offset:44
	;; [unrolled: 1-line block ×56, first 2 shown]
	ds_read_b128 v[55:58], v2 offset:416
	s_clause 0x2
	buffer_load_dword v118, off, s[0:3], 0 offset:268
	buffer_load_dword v122, off, s[0:3], 0 offset:244
	buffer_load_dword v121, off, s[0:3], 0 offset:240
	ds_read_b128 v[59:62], v2 offset:432
	s_clause 0x4
	buffer_load_dword v126, off, s[0:3], 0 offset:284
	buffer_load_dword v127, off, s[0:3], 0 offset:296
	;; [unrolled: 1-line block ×5, first 2 shown]
	ds_read_b128 v[63:66], v2 offset:448
	s_and_b32 vcc_lo, exec_lo, s37
	s_waitcnt vmcnt(62) lgkmcnt(2)
	v_mul_f64 v[123:124], v[57:58], v[0:1]
	v_mul_f64 v[0:1], v[55:56], v[0:1]
	s_waitcnt vmcnt(60) lgkmcnt(1)
	v_mul_f64 v[130:131], v[61:62], v[3:4]
	v_mul_f64 v[3:4], v[59:60], v[3:4]
	;; [unrolled: 3-line block ×3, first 2 shown]
	v_fma_f64 v[123:124], v[55:56], v[67:68], -v[123:124]
	v_fma_f64 v[0:1], v[57:58], v[67:68], v[0:1]
	s_clause 0x2
	buffer_load_dword v128, off, s[0:3], 0 offset:300
	buffer_load_dword v68, off, s[0:3], 0 offset:276
	buffer_load_dword v67, off, s[0:3], 0 offset:272
	s_waitcnt vmcnt(57)
	v_fma_f64 v[134:135], v[59:60], v[71:72], -v[130:131]
	ds_read_b128 v[55:58], v2 offset:464
	v_fma_f64 v[3:4], v[61:62], v[71:72], v[3:4]
	s_clause 0x4
	buffer_load_dword v72, off, s[0:3], 0 offset:316
	buffer_load_dword v131, off, s[0:3], 0 offset:328
	;; [unrolled: 1-line block ×5, first 2 shown]
	s_waitcnt vmcnt(56)
	v_fma_f64 v[69:70], v[63:64], v[79:80], -v[69:70]
	ds_read_b128 v[59:62], v2 offset:480
	v_fma_f64 v[79:80], v[65:66], v[79:80], v[132:133]
	v_add_f64 v[123:124], v[123:124], 0
	v_add_f64 v[0:1], v[0:1], 0
	s_waitcnt lgkmcnt(1)
	v_mul_f64 v[137:138], v[55:56], v[73:74]
	v_mul_f64 v[73:74], v[57:58], v[73:74]
	v_add_f64 v[123:124], v[123:124], v[134:135]
	v_add_f64 v[0:1], v[0:1], v[3:4]
	s_clause 0x2
	buffer_load_dword v132, off, s[0:3], 0 offset:332
	buffer_load_dword v4, off, s[0:3], 0 offset:308
	;; [unrolled: 1-line block ×3, first 2 shown]
	s_waitcnt vmcnt(58) lgkmcnt(0)
	v_mul_f64 v[133:134], v[59:60], v[75:76]
	v_mul_f64 v[75:76], v[61:62], v[75:76]
	s_waitcnt vmcnt(56)
	v_fma_f64 v[73:74], v[55:56], v[81:82], -v[73:74]
	ds_read_b128 v[63:66], v2 offset:496
	v_fma_f64 v[81:82], v[57:58], v[81:82], v[137:138]
	v_add_f64 v[69:70], v[123:124], v[69:70]
	v_add_f64 v[0:1], v[0:1], v[79:80]
	s_clause 0x4
	buffer_load_dword v80, off, s[0:3], 0 offset:348
	buffer_load_dword v123, off, s[0:3], 0 offset:360
	;; [unrolled: 1-line block ×5, first 2 shown]
	ds_read_b128 v[55:58], v2 offset:512
	s_waitcnt vmcnt(57) lgkmcnt(1)
	v_mul_f64 v[139:140], v[63:64], v[83:84]
	v_mul_f64 v[83:84], v[65:66], v[83:84]
	s_waitcnt vmcnt(56)
	v_fma_f64 v[75:76], v[59:60], v[77:78], -v[75:76]
	v_add_f64 v[69:70], v[69:70], v[73:74]
	v_fma_f64 v[73:74], v[61:62], v[77:78], v[133:134]
	v_add_f64 v[0:1], v[0:1], v[81:82]
	s_clause 0x2
	buffer_load_dword v124, off, s[0:3], 0 offset:364
	buffer_load_dword v78, off, s[0:3], 0 offset:340
	;; [unrolled: 1-line block ×3, first 2 shown]
	s_waitcnt vmcnt(58) lgkmcnt(0)
	v_mul_f64 v[81:82], v[55:56], v[85:86]
	v_mul_f64 v[85:86], v[57:58], v[85:86]
	s_waitcnt vmcnt(56)
	v_fma_f64 v[83:84], v[63:64], v[89:90], -v[83:84]
	ds_read_b128 v[59:62], v2 offset:528
	v_add_f64 v[69:70], v[69:70], v[75:76]
	v_fma_f64 v[75:76], v[65:66], v[89:90], v[139:140]
	v_add_f64 v[0:1], v[0:1], v[73:74]
	s_clause 0x4
	buffer_load_dword v74, off, s[0:3], 0 offset:380
	buffer_load_dword v89, off, s[0:3], 0 offset:392
	;; [unrolled: 1-line block ×5, first 2 shown]
	ds_read_b128 v[63:66], v2 offset:544
	s_waitcnt vmcnt(57) lgkmcnt(1)
	v_mul_f64 v[134:135], v[59:60], v[91:92]
	v_mul_f64 v[91:92], v[61:62], v[91:92]
	s_waitcnt vmcnt(56)
	v_fma_f64 v[85:86], v[55:56], v[87:88], -v[85:86]
	v_fma_f64 v[81:82], v[57:58], v[87:88], v[81:82]
	v_add_f64 v[69:70], v[69:70], v[83:84]
	v_add_f64 v[0:1], v[0:1], v[75:76]
	s_clause 0x2
	buffer_load_dword v90, off, s[0:3], 0 offset:396
	buffer_load_dword v76, off, s[0:3], 0 offset:372
	;; [unrolled: 1-line block ×3, first 2 shown]
	s_waitcnt vmcnt(58) lgkmcnt(0)
	v_mul_f64 v[87:88], v[65:66], v[93:94]
	ds_read_b128 v[55:58], v2 offset:560
	s_waitcnt vmcnt(56)
	v_fma_f64 v[91:92], v[59:60], v[97:98], -v[91:92]
	v_mul_f64 v[83:84], v[63:64], v[93:94]
	v_add_f64 v[69:70], v[69:70], v[85:86]
	v_fma_f64 v[85:86], v[61:62], v[97:98], v[134:135]
	v_add_f64 v[0:1], v[0:1], v[81:82]
	s_clause 0x2
	buffer_load_dword v82, off, s[0:3], 0 offset:412
	buffer_load_dword v81, off, s[0:3], 0 offset:408
	;; [unrolled: 1-line block ×3, first 2 shown]
	s_waitcnt vmcnt(55) lgkmcnt(0)
	v_mul_f64 v[97:98], v[57:58], v[99:100]
	s_waitcnt vmcnt(54)
	v_fma_f64 v[87:88], v[63:64], v[95:96], -v[87:88]
	ds_read_b128 v[59:62], v2 offset:576
	v_mul_f64 v[93:94], v[55:56], v[99:100]
	v_fma_f64 v[83:84], v[65:66], v[95:96], v[83:84]
	v_add_f64 v[69:70], v[69:70], v[91:92]
	v_add_f64 v[0:1], v[0:1], v[85:86]
	s_clause 0x1
	buffer_load_dword v86, off, s[0:3], 0 offset:404
	buffer_load_dword v85, off, s[0:3], 0 offset:400
	s_waitcnt vmcnt(55) lgkmcnt(0)
	v_mul_f64 v[95:96], v[61:62], v[101:102]
	s_waitcnt vmcnt(53)
	v_fma_f64 v[97:98], v[55:56], v[105:106], -v[97:98]
	ds_read_b128 v[63:66], v2 offset:592
	v_mul_f64 v[91:92], v[59:60], v[101:102]
	v_add_f64 v[69:70], v[69:70], v[87:88]
	v_fma_f64 v[87:88], v[57:58], v[105:106], v[93:94]
	v_add_f64 v[0:1], v[0:1], v[83:84]
	ds_read_b128 v[55:58], v2 offset:608
	s_waitcnt vmcnt(49) lgkmcnt(1)
	v_mul_f64 v[93:94], v[65:66], v[107:108]
	s_waitcnt vmcnt(48)
	v_fma_f64 v[95:96], v[59:60], v[103:104], -v[95:96]
	v_mul_f64 v[83:84], v[63:64], v[107:108]
	v_fma_f64 v[91:92], v[61:62], v[103:104], v[91:92]
	v_add_f64 v[69:70], v[69:70], v[97:98]
	s_waitcnt vmcnt(47) lgkmcnt(0)
	v_mul_f64 v[101:102], v[57:58], v[109:110]
	v_add_f64 v[0:1], v[0:1], v[87:88]
	s_clause 0x3
	buffer_load_dword v87, off, s[0:3], 0 offset:16
	buffer_load_dword v88, off, s[0:3], 0 offset:20
	;; [unrolled: 1-line block ×4, first 2 shown]
	s_waitcnt vmcnt(49)
	v_fma_f64 v[93:94], v[63:64], v[113:114], -v[93:94]
	ds_read_b128 v[59:62], v2 offset:624
	v_mul_f64 v[99:100], v[55:56], v[109:110]
	v_fma_f64 v[83:84], v[65:66], v[113:114], v[83:84]
	ds_read_b128 v[63:66], v2 offset:640
	v_add_f64 v[69:70], v[69:70], v[95:96]
	s_waitcnt vmcnt(44)
	v_fma_f64 v[101:102], v[55:56], v[111:112], -v[101:102]
	v_add_f64 v[0:1], v[0:1], v[91:92]
	s_waitcnt lgkmcnt(1)
	v_mul_f64 v[95:96], v[61:62], v[115:116]
	v_mul_f64 v[91:92], v[59:60], v[115:116]
	v_add_f64 v[69:70], v[69:70], v[93:94]
	v_fma_f64 v[93:94], v[57:58], v[111:112], v[99:100]
	v_add_f64 v[0:1], v[0:1], v[83:84]
	s_waitcnt vmcnt(43) lgkmcnt(0)
	v_mul_f64 v[99:100], v[65:66], v[117:118]
	s_waitcnt vmcnt(41)
	v_fma_f64 v[95:96], v[59:60], v[121:122], -v[95:96]
	ds_read_b128 v[55:58], v2 offset:656
	v_mul_f64 v[83:84], v[63:64], v[117:118]
	v_fma_f64 v[91:92], v[61:62], v[121:122], v[91:92]
	ds_read_b128 v[59:62], v2 offset:672
	v_add_f64 v[69:70], v[69:70], v[101:102]
	v_add_f64 v[0:1], v[0:1], v[93:94]
	s_waitcnt vmcnt(37) lgkmcnt(1)
	v_mul_f64 v[101:102], v[57:58], v[125:126]
	s_waitcnt vmcnt(36)
	v_fma_f64 v[99:100], v[63:64], v[119:120], -v[99:100]
	v_mul_f64 v[93:94], v[55:56], v[125:126]
	v_fma_f64 v[83:84], v[65:66], v[119:120], v[83:84]
	ds_read_b128 v[63:66], v2 offset:688
	v_add_f64 v[69:70], v[69:70], v[95:96]
	v_add_f64 v[0:1], v[0:1], v[91:92]
	s_waitcnt vmcnt(35) lgkmcnt(1)
	v_mul_f64 v[95:96], v[61:62], v[127:128]
	v_mul_f64 v[91:92], v[59:60], v[127:128]
	s_waitcnt vmcnt(33)
	v_fma_f64 v[101:102], v[55:56], v[67:68], -v[101:102]
	v_fma_f64 v[67:68], v[57:58], v[67:68], v[93:94]
	ds_read_b128 v[55:58], v2 offset:704
	v_add_f64 v[69:70], v[69:70], v[99:100]
	v_add_f64 v[0:1], v[0:1], v[83:84]
	s_waitcnt vmcnt(29) lgkmcnt(1)
	v_mul_f64 v[83:84], v[63:64], v[71:72]
	v_mul_f64 v[71:72], v[65:66], v[71:72]
	s_waitcnt vmcnt(28)
	v_fma_f64 v[93:94], v[59:60], v[129:130], -v[95:96]
	;; [unrolled: 9-line block ×6, first 2 shown]
	v_fma_f64 v[65:66], v[65:66], v[138:139], v[3:4]
	v_add_f64 v[69:70], v[69:70], v[79:80]
	v_add_f64 v[71:72], v[0:1], v[77:78]
	ds_read_b128 v[0:3], v2 offset:784
	s_waitcnt vmcnt(11) lgkmcnt(1)
	v_mul_f64 v[79:80], v[61:62], v[89:90]
	v_mul_f64 v[77:78], v[59:60], v[89:90]
	s_waitcnt vmcnt(9)
	v_fma_f64 v[55:56], v[55:56], v[75:76], -v[73:74]
	v_fma_f64 v[57:58], v[57:58], v[75:76], v[67:68]
	v_add_f64 v[63:64], v[69:70], v[63:64]
	v_add_f64 v[65:66], v[71:72], v[65:66]
	s_waitcnt vmcnt(7) lgkmcnt(0)
	v_mul_f64 v[69:70], v[2:3], v[81:82]
	s_waitcnt vmcnt(6)
	v_fma_f64 v[59:60], v[59:60], v[133:134], -v[79:80]
	v_mul_f64 v[67:68], v[0:1], v[81:82]
	v_fma_f64 v[61:62], v[61:62], v[133:134], v[77:78]
	v_add_f64 v[55:56], v[63:64], v[55:56]
	v_add_f64 v[57:58], v[65:66], v[57:58]
	s_waitcnt vmcnt(4)
	v_fma_f64 v[0:1], v[0:1], v[85:86], -v[69:70]
	v_fma_f64 v[2:3], v[2:3], v[85:86], v[67:68]
	v_add_f64 v[55:56], v[55:56], v[59:60]
	v_add_f64 v[57:58], v[57:58], v[61:62]
	;; [unrolled: 1-line block ×4, first 2 shown]
	s_waitcnt vmcnt(2)
	v_add_f64 v[0:1], v[87:88], -v[0:1]
	s_waitcnt vmcnt(0)
	v_add_f64 v[2:3], v[97:98], -v[2:3]
	buffer_store_dword v1, off, s[0:3], 0 offset:20
	buffer_store_dword v0, off, s[0:3], 0 offset:16
	;; [unrolled: 1-line block ×4, first 2 shown]
	s_cbranch_vccz .LBB88_212
; %bb.164:
	v_mov_b32_e32 v0, 0
	global_load_dword v1, v0, s[12:13] offset:92
	s_waitcnt vmcnt(0)
	v_add_nc_u32_e32 v1, -1, v1
	v_cmp_ne_u32_e32 vcc_lo, 23, v1
	s_cbranch_vccz .LBB88_166
; %bb.165:
	v_lshlrev_b32_e32 v1, 4, v1
	v_mov_b32_e32 v2, s9
	v_add_nc_u32_e32 v1, 16, v1
	s_clause 0x7
	buffer_load_dword v3, v1, s[0:3], 0 offen
	buffer_load_dword v4, v1, s[0:3], 0 offen offset:4
	buffer_load_dword v55, v1, s[0:3], 0 offen offset:8
	;; [unrolled: 1-line block ×6, first 2 shown]
	buffer_load_dword v60, v2, s[0:3], 0 offen
	s_waitcnt vmcnt(7)
	buffer_store_dword v3, v2, s[0:3], 0 offen
	s_waitcnt vmcnt(6)
	buffer_store_dword v4, v2, s[0:3], 0 offen offset:4
	s_waitcnt vmcnt(5)
	buffer_store_dword v55, v2, s[0:3], 0 offen offset:8
	;; [unrolled: 2-line block ×6, first 2 shown]
	s_waitcnt vmcnt(0)
	buffer_store_dword v60, v1, s[0:3], 0 offen
.LBB88_166:
	global_load_dword v0, v0, s[12:13] offset:88
	s_waitcnt vmcnt(0)
	v_add_nc_u32_e32 v0, -1, v0
	v_cmp_eq_u32_e32 vcc_lo, 22, v0
	s_cbranch_vccnz .LBB88_168
; %bb.167:
	v_lshlrev_b32_e32 v0, 4, v0
	v_mov_b32_e32 v1, s14
	v_add_nc_u32_e32 v0, 16, v0
	s_clause 0x7
	buffer_load_dword v2, v0, s[0:3], 0 offen
	buffer_load_dword v3, v0, s[0:3], 0 offen offset:4
	buffer_load_dword v4, v0, s[0:3], 0 offen offset:8
	buffer_load_dword v55, v0, s[0:3], 0 offen offset:12
	buffer_load_dword v56, v1, s[0:3], 0 offen offset:12
	buffer_load_dword v57, v1, s[0:3], 0 offen offset:8
	buffer_load_dword v58, v1, s[0:3], 0 offen offset:4
	buffer_load_dword v59, v1, s[0:3], 0 offen
	s_waitcnt vmcnt(7)
	buffer_store_dword v2, v1, s[0:3], 0 offen
	s_waitcnt vmcnt(6)
	buffer_store_dword v3, v1, s[0:3], 0 offen offset:4
	s_waitcnt vmcnt(5)
	buffer_store_dword v4, v1, s[0:3], 0 offen offset:8
	;; [unrolled: 2-line block ×6, first 2 shown]
	s_waitcnt vmcnt(0)
	buffer_store_dword v59, v0, s[0:3], 0 offen
.LBB88_168:
	v_mov_b32_e32 v0, 0
	global_load_dword v1, v0, s[12:13] offset:84
	s_waitcnt vmcnt(0)
	v_add_nc_u32_e32 v1, -1, v1
	v_cmp_eq_u32_e32 vcc_lo, 21, v1
	s_cbranch_vccnz .LBB88_170
; %bb.169:
	v_lshlrev_b32_e32 v1, 4, v1
	v_mov_b32_e32 v2, s15
	v_add_nc_u32_e32 v1, 16, v1
	s_clause 0x7
	buffer_load_dword v3, v1, s[0:3], 0 offen
	buffer_load_dword v4, v1, s[0:3], 0 offen offset:4
	buffer_load_dword v55, v1, s[0:3], 0 offen offset:8
	buffer_load_dword v56, v1, s[0:3], 0 offen offset:12
	buffer_load_dword v57, v2, s[0:3], 0 offen offset:12
	buffer_load_dword v58, v2, s[0:3], 0 offen offset:8
	buffer_load_dword v59, v2, s[0:3], 0 offen offset:4
	buffer_load_dword v60, v2, s[0:3], 0 offen
	s_waitcnt vmcnt(7)
	buffer_store_dword v3, v2, s[0:3], 0 offen
	s_waitcnt vmcnt(6)
	buffer_store_dword v4, v2, s[0:3], 0 offen offset:4
	s_waitcnt vmcnt(5)
	buffer_store_dword v55, v2, s[0:3], 0 offen offset:8
	;; [unrolled: 2-line block ×6, first 2 shown]
	s_waitcnt vmcnt(0)
	buffer_store_dword v60, v1, s[0:3], 0 offen
.LBB88_170:
	global_load_dword v0, v0, s[12:13] offset:80
	s_waitcnt vmcnt(0)
	v_add_nc_u32_e32 v0, -1, v0
	v_cmp_eq_u32_e32 vcc_lo, 20, v0
	s_cbranch_vccnz .LBB88_172
; %bb.171:
	v_lshlrev_b32_e32 v0, 4, v0
	v_mov_b32_e32 v1, s16
	v_add_nc_u32_e32 v0, 16, v0
	s_clause 0x7
	buffer_load_dword v2, v0, s[0:3], 0 offen
	buffer_load_dword v3, v0, s[0:3], 0 offen offset:4
	buffer_load_dword v4, v0, s[0:3], 0 offen offset:8
	;; [unrolled: 1-line block ×6, first 2 shown]
	buffer_load_dword v59, v1, s[0:3], 0 offen
	s_waitcnt vmcnt(7)
	buffer_store_dword v2, v1, s[0:3], 0 offen
	s_waitcnt vmcnt(6)
	buffer_store_dword v3, v1, s[0:3], 0 offen offset:4
	s_waitcnt vmcnt(5)
	buffer_store_dword v4, v1, s[0:3], 0 offen offset:8
	;; [unrolled: 2-line block ×6, first 2 shown]
	s_waitcnt vmcnt(0)
	buffer_store_dword v59, v0, s[0:3], 0 offen
.LBB88_172:
	v_mov_b32_e32 v0, 0
	global_load_dword v1, v0, s[12:13] offset:76
	s_waitcnt vmcnt(0)
	v_add_nc_u32_e32 v1, -1, v1
	v_cmp_eq_u32_e32 vcc_lo, 19, v1
	s_cbranch_vccnz .LBB88_174
; %bb.173:
	v_lshlrev_b32_e32 v1, 4, v1
	v_mov_b32_e32 v2, s17
	v_add_nc_u32_e32 v1, 16, v1
	s_clause 0x7
	buffer_load_dword v3, v1, s[0:3], 0 offen
	buffer_load_dword v4, v1, s[0:3], 0 offen offset:4
	buffer_load_dword v55, v1, s[0:3], 0 offen offset:8
	;; [unrolled: 1-line block ×6, first 2 shown]
	buffer_load_dword v60, v2, s[0:3], 0 offen
	s_waitcnt vmcnt(7)
	buffer_store_dword v3, v2, s[0:3], 0 offen
	s_waitcnt vmcnt(6)
	buffer_store_dword v4, v2, s[0:3], 0 offen offset:4
	s_waitcnt vmcnt(5)
	buffer_store_dword v55, v2, s[0:3], 0 offen offset:8
	;; [unrolled: 2-line block ×6, first 2 shown]
	s_waitcnt vmcnt(0)
	buffer_store_dword v60, v1, s[0:3], 0 offen
.LBB88_174:
	global_load_dword v0, v0, s[12:13] offset:72
	s_waitcnt vmcnt(0)
	v_add_nc_u32_e32 v0, -1, v0
	v_cmp_eq_u32_e32 vcc_lo, 18, v0
	s_cbranch_vccnz .LBB88_176
; %bb.175:
	v_lshlrev_b32_e32 v0, 4, v0
	v_mov_b32_e32 v1, s18
	v_add_nc_u32_e32 v0, 16, v0
	s_clause 0x7
	buffer_load_dword v2, v0, s[0:3], 0 offen
	buffer_load_dword v3, v0, s[0:3], 0 offen offset:4
	buffer_load_dword v4, v0, s[0:3], 0 offen offset:8
	;; [unrolled: 1-line block ×6, first 2 shown]
	buffer_load_dword v59, v1, s[0:3], 0 offen
	s_waitcnt vmcnt(7)
	buffer_store_dword v2, v1, s[0:3], 0 offen
	s_waitcnt vmcnt(6)
	buffer_store_dword v3, v1, s[0:3], 0 offen offset:4
	s_waitcnt vmcnt(5)
	buffer_store_dword v4, v1, s[0:3], 0 offen offset:8
	;; [unrolled: 2-line block ×6, first 2 shown]
	s_waitcnt vmcnt(0)
	buffer_store_dword v59, v0, s[0:3], 0 offen
.LBB88_176:
	v_mov_b32_e32 v0, 0
	global_load_dword v1, v0, s[12:13] offset:68
	s_waitcnt vmcnt(0)
	v_add_nc_u32_e32 v1, -1, v1
	v_cmp_eq_u32_e32 vcc_lo, 17, v1
	s_cbranch_vccnz .LBB88_178
; %bb.177:
	v_lshlrev_b32_e32 v1, 4, v1
	v_mov_b32_e32 v2, s19
	v_add_nc_u32_e32 v1, 16, v1
	s_clause 0x7
	buffer_load_dword v3, v1, s[0:3], 0 offen
	buffer_load_dword v4, v1, s[0:3], 0 offen offset:4
	buffer_load_dword v55, v1, s[0:3], 0 offen offset:8
	;; [unrolled: 1-line block ×6, first 2 shown]
	buffer_load_dword v60, v2, s[0:3], 0 offen
	s_waitcnt vmcnt(7)
	buffer_store_dword v3, v2, s[0:3], 0 offen
	s_waitcnt vmcnt(6)
	buffer_store_dword v4, v2, s[0:3], 0 offen offset:4
	s_waitcnt vmcnt(5)
	buffer_store_dword v55, v2, s[0:3], 0 offen offset:8
	;; [unrolled: 2-line block ×6, first 2 shown]
	s_waitcnt vmcnt(0)
	buffer_store_dword v60, v1, s[0:3], 0 offen
.LBB88_178:
	global_load_dword v0, v0, s[12:13] offset:64
	s_waitcnt vmcnt(0)
	v_add_nc_u32_e32 v0, -1, v0
	v_cmp_eq_u32_e32 vcc_lo, 16, v0
	s_cbranch_vccnz .LBB88_180
; %bb.179:
	v_lshlrev_b32_e32 v0, 4, v0
	v_mov_b32_e32 v1, s20
	v_add_nc_u32_e32 v0, 16, v0
	s_clause 0x7
	buffer_load_dword v2, v0, s[0:3], 0 offen
	buffer_load_dword v3, v0, s[0:3], 0 offen offset:4
	buffer_load_dword v4, v0, s[0:3], 0 offen offset:8
	;; [unrolled: 1-line block ×6, first 2 shown]
	buffer_load_dword v59, v1, s[0:3], 0 offen
	s_waitcnt vmcnt(7)
	buffer_store_dword v2, v1, s[0:3], 0 offen
	s_waitcnt vmcnt(6)
	buffer_store_dword v3, v1, s[0:3], 0 offen offset:4
	s_waitcnt vmcnt(5)
	buffer_store_dword v4, v1, s[0:3], 0 offen offset:8
	;; [unrolled: 2-line block ×6, first 2 shown]
	s_waitcnt vmcnt(0)
	buffer_store_dword v59, v0, s[0:3], 0 offen
.LBB88_180:
	v_mov_b32_e32 v0, 0
	global_load_dword v1, v0, s[12:13] offset:60
	s_waitcnt vmcnt(0)
	v_add_nc_u32_e32 v1, -1, v1
	v_cmp_eq_u32_e32 vcc_lo, 15, v1
	s_cbranch_vccnz .LBB88_182
; %bb.181:
	v_lshlrev_b32_e32 v1, 4, v1
	v_mov_b32_e32 v2, s21
	v_add_nc_u32_e32 v1, 16, v1
	s_clause 0x7
	buffer_load_dword v3, v1, s[0:3], 0 offen
	buffer_load_dword v4, v1, s[0:3], 0 offen offset:4
	buffer_load_dword v55, v1, s[0:3], 0 offen offset:8
	buffer_load_dword v56, v1, s[0:3], 0 offen offset:12
	buffer_load_dword v57, v2, s[0:3], 0 offen offset:12
	buffer_load_dword v58, v2, s[0:3], 0 offen offset:8
	buffer_load_dword v59, v2, s[0:3], 0 offen offset:4
	buffer_load_dword v60, v2, s[0:3], 0 offen
	s_waitcnt vmcnt(7)
	buffer_store_dword v3, v2, s[0:3], 0 offen
	s_waitcnt vmcnt(6)
	buffer_store_dword v4, v2, s[0:3], 0 offen offset:4
	s_waitcnt vmcnt(5)
	buffer_store_dword v55, v2, s[0:3], 0 offen offset:8
	;; [unrolled: 2-line block ×6, first 2 shown]
	s_waitcnt vmcnt(0)
	buffer_store_dword v60, v1, s[0:3], 0 offen
.LBB88_182:
	global_load_dword v0, v0, s[12:13] offset:56
	s_waitcnt vmcnt(0)
	v_add_nc_u32_e32 v0, -1, v0
	v_cmp_eq_u32_e32 vcc_lo, 14, v0
	s_cbranch_vccnz .LBB88_184
; %bb.183:
	v_lshlrev_b32_e32 v0, 4, v0
	v_mov_b32_e32 v1, s22
	v_add_nc_u32_e32 v0, 16, v0
	s_clause 0x7
	buffer_load_dword v2, v0, s[0:3], 0 offen
	buffer_load_dword v3, v0, s[0:3], 0 offen offset:4
	buffer_load_dword v4, v0, s[0:3], 0 offen offset:8
	;; [unrolled: 1-line block ×6, first 2 shown]
	buffer_load_dword v59, v1, s[0:3], 0 offen
	s_waitcnt vmcnt(7)
	buffer_store_dword v2, v1, s[0:3], 0 offen
	s_waitcnt vmcnt(6)
	buffer_store_dword v3, v1, s[0:3], 0 offen offset:4
	s_waitcnt vmcnt(5)
	buffer_store_dword v4, v1, s[0:3], 0 offen offset:8
	;; [unrolled: 2-line block ×6, first 2 shown]
	s_waitcnt vmcnt(0)
	buffer_store_dword v59, v0, s[0:3], 0 offen
.LBB88_184:
	v_mov_b32_e32 v0, 0
	global_load_dword v1, v0, s[12:13] offset:52
	s_waitcnt vmcnt(0)
	v_add_nc_u32_e32 v1, -1, v1
	v_cmp_eq_u32_e32 vcc_lo, 13, v1
	s_cbranch_vccnz .LBB88_186
; %bb.185:
	v_lshlrev_b32_e32 v1, 4, v1
	v_mov_b32_e32 v2, s23
	v_add_nc_u32_e32 v1, 16, v1
	s_clause 0x7
	buffer_load_dword v3, v1, s[0:3], 0 offen
	buffer_load_dword v4, v1, s[0:3], 0 offen offset:4
	buffer_load_dword v55, v1, s[0:3], 0 offen offset:8
	;; [unrolled: 1-line block ×6, first 2 shown]
	buffer_load_dword v60, v2, s[0:3], 0 offen
	s_waitcnt vmcnt(7)
	buffer_store_dword v3, v2, s[0:3], 0 offen
	s_waitcnt vmcnt(6)
	buffer_store_dword v4, v2, s[0:3], 0 offen offset:4
	s_waitcnt vmcnt(5)
	buffer_store_dword v55, v2, s[0:3], 0 offen offset:8
	;; [unrolled: 2-line block ×6, first 2 shown]
	s_waitcnt vmcnt(0)
	buffer_store_dword v60, v1, s[0:3], 0 offen
.LBB88_186:
	global_load_dword v0, v0, s[12:13] offset:48
	s_waitcnt vmcnt(0)
	v_add_nc_u32_e32 v0, -1, v0
	v_cmp_eq_u32_e32 vcc_lo, 12, v0
	s_cbranch_vccnz .LBB88_188
; %bb.187:
	v_lshlrev_b32_e32 v0, 4, v0
	v_mov_b32_e32 v1, s24
	v_add_nc_u32_e32 v0, 16, v0
	s_clause 0x7
	buffer_load_dword v2, v0, s[0:3], 0 offen
	buffer_load_dword v3, v0, s[0:3], 0 offen offset:4
	buffer_load_dword v4, v0, s[0:3], 0 offen offset:8
	;; [unrolled: 1-line block ×6, first 2 shown]
	buffer_load_dword v59, v1, s[0:3], 0 offen
	s_waitcnt vmcnt(7)
	buffer_store_dword v2, v1, s[0:3], 0 offen
	s_waitcnt vmcnt(6)
	buffer_store_dword v3, v1, s[0:3], 0 offen offset:4
	s_waitcnt vmcnt(5)
	buffer_store_dword v4, v1, s[0:3], 0 offen offset:8
	s_waitcnt vmcnt(4)
	buffer_store_dword v55, v1, s[0:3], 0 offen offset:12
	s_waitcnt vmcnt(3)
	buffer_store_dword v56, v0, s[0:3], 0 offen offset:12
	s_waitcnt vmcnt(2)
	buffer_store_dword v57, v0, s[0:3], 0 offen offset:8
	s_waitcnt vmcnt(1)
	buffer_store_dword v58, v0, s[0:3], 0 offen offset:4
	s_waitcnt vmcnt(0)
	buffer_store_dword v59, v0, s[0:3], 0 offen
.LBB88_188:
	v_mov_b32_e32 v0, 0
	global_load_dword v1, v0, s[12:13] offset:44
	s_waitcnt vmcnt(0)
	v_add_nc_u32_e32 v1, -1, v1
	v_cmp_eq_u32_e32 vcc_lo, 11, v1
	s_cbranch_vccnz .LBB88_190
; %bb.189:
	v_lshlrev_b32_e32 v1, 4, v1
	v_mov_b32_e32 v2, s25
	v_add_nc_u32_e32 v1, 16, v1
	s_clause 0x7
	buffer_load_dword v3, v1, s[0:3], 0 offen
	buffer_load_dword v4, v1, s[0:3], 0 offen offset:4
	buffer_load_dword v55, v1, s[0:3], 0 offen offset:8
	;; [unrolled: 1-line block ×6, first 2 shown]
	buffer_load_dword v60, v2, s[0:3], 0 offen
	s_waitcnt vmcnt(7)
	buffer_store_dword v3, v2, s[0:3], 0 offen
	s_waitcnt vmcnt(6)
	buffer_store_dword v4, v2, s[0:3], 0 offen offset:4
	s_waitcnt vmcnt(5)
	buffer_store_dword v55, v2, s[0:3], 0 offen offset:8
	;; [unrolled: 2-line block ×6, first 2 shown]
	s_waitcnt vmcnt(0)
	buffer_store_dword v60, v1, s[0:3], 0 offen
.LBB88_190:
	global_load_dword v0, v0, s[12:13] offset:40
	s_waitcnt vmcnt(0)
	v_add_nc_u32_e32 v0, -1, v0
	v_cmp_eq_u32_e32 vcc_lo, 10, v0
	s_cbranch_vccnz .LBB88_192
; %bb.191:
	v_lshlrev_b32_e32 v0, 4, v0
	v_mov_b32_e32 v1, s26
	v_add_nc_u32_e32 v0, 16, v0
	s_clause 0x7
	buffer_load_dword v2, v0, s[0:3], 0 offen
	buffer_load_dword v3, v0, s[0:3], 0 offen offset:4
	buffer_load_dword v4, v0, s[0:3], 0 offen offset:8
	;; [unrolled: 1-line block ×6, first 2 shown]
	buffer_load_dword v59, v1, s[0:3], 0 offen
	s_waitcnt vmcnt(7)
	buffer_store_dword v2, v1, s[0:3], 0 offen
	s_waitcnt vmcnt(6)
	buffer_store_dword v3, v1, s[0:3], 0 offen offset:4
	s_waitcnt vmcnt(5)
	buffer_store_dword v4, v1, s[0:3], 0 offen offset:8
	;; [unrolled: 2-line block ×6, first 2 shown]
	s_waitcnt vmcnt(0)
	buffer_store_dword v59, v0, s[0:3], 0 offen
.LBB88_192:
	v_mov_b32_e32 v0, 0
	global_load_dword v1, v0, s[12:13] offset:36
	s_waitcnt vmcnt(0)
	v_add_nc_u32_e32 v1, -1, v1
	v_cmp_eq_u32_e32 vcc_lo, 9, v1
	s_cbranch_vccnz .LBB88_194
; %bb.193:
	v_lshlrev_b32_e32 v1, 4, v1
	v_mov_b32_e32 v2, s27
	v_add_nc_u32_e32 v1, 16, v1
	s_clause 0x7
	buffer_load_dword v3, v1, s[0:3], 0 offen
	buffer_load_dword v4, v1, s[0:3], 0 offen offset:4
	buffer_load_dword v55, v1, s[0:3], 0 offen offset:8
	;; [unrolled: 1-line block ×6, first 2 shown]
	buffer_load_dword v60, v2, s[0:3], 0 offen
	s_waitcnt vmcnt(7)
	buffer_store_dword v3, v2, s[0:3], 0 offen
	s_waitcnt vmcnt(6)
	buffer_store_dword v4, v2, s[0:3], 0 offen offset:4
	s_waitcnt vmcnt(5)
	buffer_store_dword v55, v2, s[0:3], 0 offen offset:8
	;; [unrolled: 2-line block ×6, first 2 shown]
	s_waitcnt vmcnt(0)
	buffer_store_dword v60, v1, s[0:3], 0 offen
.LBB88_194:
	global_load_dword v0, v0, s[12:13] offset:32
	s_waitcnt vmcnt(0)
	v_add_nc_u32_e32 v0, -1, v0
	v_cmp_eq_u32_e32 vcc_lo, 8, v0
	s_cbranch_vccnz .LBB88_196
; %bb.195:
	v_lshlrev_b32_e32 v0, 4, v0
	v_mov_b32_e32 v1, s28
	v_add_nc_u32_e32 v0, 16, v0
	s_clause 0x7
	buffer_load_dword v2, v0, s[0:3], 0 offen
	buffer_load_dword v3, v0, s[0:3], 0 offen offset:4
	buffer_load_dword v4, v0, s[0:3], 0 offen offset:8
	;; [unrolled: 1-line block ×6, first 2 shown]
	buffer_load_dword v59, v1, s[0:3], 0 offen
	s_waitcnt vmcnt(7)
	buffer_store_dword v2, v1, s[0:3], 0 offen
	s_waitcnt vmcnt(6)
	buffer_store_dword v3, v1, s[0:3], 0 offen offset:4
	s_waitcnt vmcnt(5)
	buffer_store_dword v4, v1, s[0:3], 0 offen offset:8
	;; [unrolled: 2-line block ×6, first 2 shown]
	s_waitcnt vmcnt(0)
	buffer_store_dword v59, v0, s[0:3], 0 offen
.LBB88_196:
	v_mov_b32_e32 v0, 0
	global_load_dword v1, v0, s[12:13] offset:28
	s_waitcnt vmcnt(0)
	v_add_nc_u32_e32 v1, -1, v1
	v_cmp_eq_u32_e32 vcc_lo, 7, v1
	s_cbranch_vccnz .LBB88_198
; %bb.197:
	v_lshlrev_b32_e32 v1, 4, v1
	v_mov_b32_e32 v2, s29
	v_add_nc_u32_e32 v1, 16, v1
	s_clause 0x7
	buffer_load_dword v3, v1, s[0:3], 0 offen
	buffer_load_dword v4, v1, s[0:3], 0 offen offset:4
	buffer_load_dword v55, v1, s[0:3], 0 offen offset:8
	buffer_load_dword v56, v1, s[0:3], 0 offen offset:12
	buffer_load_dword v57, v2, s[0:3], 0 offen offset:12
	buffer_load_dword v58, v2, s[0:3], 0 offen offset:8
	buffer_load_dword v59, v2, s[0:3], 0 offen offset:4
	buffer_load_dword v60, v2, s[0:3], 0 offen
	s_waitcnt vmcnt(7)
	buffer_store_dword v3, v2, s[0:3], 0 offen
	s_waitcnt vmcnt(6)
	buffer_store_dword v4, v2, s[0:3], 0 offen offset:4
	s_waitcnt vmcnt(5)
	buffer_store_dword v55, v2, s[0:3], 0 offen offset:8
	;; [unrolled: 2-line block ×6, first 2 shown]
	s_waitcnt vmcnt(0)
	buffer_store_dword v60, v1, s[0:3], 0 offen
.LBB88_198:
	global_load_dword v0, v0, s[12:13] offset:24
	s_waitcnt vmcnt(0)
	v_add_nc_u32_e32 v0, -1, v0
	v_cmp_eq_u32_e32 vcc_lo, 6, v0
	s_cbranch_vccnz .LBB88_200
; %bb.199:
	v_lshlrev_b32_e32 v0, 4, v0
	v_mov_b32_e32 v1, s30
	v_add_nc_u32_e32 v0, 16, v0
	s_clause 0x7
	buffer_load_dword v2, v0, s[0:3], 0 offen
	buffer_load_dword v3, v0, s[0:3], 0 offen offset:4
	buffer_load_dword v4, v0, s[0:3], 0 offen offset:8
	;; [unrolled: 1-line block ×6, first 2 shown]
	buffer_load_dword v59, v1, s[0:3], 0 offen
	s_waitcnt vmcnt(7)
	buffer_store_dword v2, v1, s[0:3], 0 offen
	s_waitcnt vmcnt(6)
	buffer_store_dword v3, v1, s[0:3], 0 offen offset:4
	s_waitcnt vmcnt(5)
	buffer_store_dword v4, v1, s[0:3], 0 offen offset:8
	;; [unrolled: 2-line block ×6, first 2 shown]
	s_waitcnt vmcnt(0)
	buffer_store_dword v59, v0, s[0:3], 0 offen
.LBB88_200:
	v_mov_b32_e32 v0, 0
	global_load_dword v1, v0, s[12:13] offset:20
	s_waitcnt vmcnt(0)
	v_add_nc_u32_e32 v1, -1, v1
	v_cmp_eq_u32_e32 vcc_lo, 5, v1
	s_cbranch_vccnz .LBB88_202
; %bb.201:
	v_lshlrev_b32_e32 v1, 4, v1
	v_mov_b32_e32 v2, s31
	v_add_nc_u32_e32 v1, 16, v1
	s_clause 0x7
	buffer_load_dword v3, v1, s[0:3], 0 offen
	buffer_load_dword v4, v1, s[0:3], 0 offen offset:4
	buffer_load_dword v55, v1, s[0:3], 0 offen offset:8
	;; [unrolled: 1-line block ×6, first 2 shown]
	buffer_load_dword v60, v2, s[0:3], 0 offen
	s_waitcnt vmcnt(7)
	buffer_store_dword v3, v2, s[0:3], 0 offen
	s_waitcnt vmcnt(6)
	buffer_store_dword v4, v2, s[0:3], 0 offen offset:4
	s_waitcnt vmcnt(5)
	buffer_store_dword v55, v2, s[0:3], 0 offen offset:8
	;; [unrolled: 2-line block ×6, first 2 shown]
	s_waitcnt vmcnt(0)
	buffer_store_dword v60, v1, s[0:3], 0 offen
.LBB88_202:
	global_load_dword v0, v0, s[12:13] offset:16
	s_waitcnt vmcnt(0)
	v_add_nc_u32_e32 v0, -1, v0
	v_cmp_eq_u32_e32 vcc_lo, 4, v0
	s_cbranch_vccnz .LBB88_204
; %bb.203:
	v_lshlrev_b32_e32 v0, 4, v0
	v_mov_b32_e32 v1, s33
	v_add_nc_u32_e32 v0, 16, v0
	s_clause 0x7
	buffer_load_dword v2, v0, s[0:3], 0 offen
	buffer_load_dword v3, v0, s[0:3], 0 offen offset:4
	buffer_load_dword v4, v0, s[0:3], 0 offen offset:8
	;; [unrolled: 1-line block ×6, first 2 shown]
	buffer_load_dword v59, v1, s[0:3], 0 offen
	s_waitcnt vmcnt(7)
	buffer_store_dword v2, v1, s[0:3], 0 offen
	s_waitcnt vmcnt(6)
	buffer_store_dword v3, v1, s[0:3], 0 offen offset:4
	s_waitcnt vmcnt(5)
	buffer_store_dword v4, v1, s[0:3], 0 offen offset:8
	;; [unrolled: 2-line block ×6, first 2 shown]
	s_waitcnt vmcnt(0)
	buffer_store_dword v59, v0, s[0:3], 0 offen
.LBB88_204:
	v_mov_b32_e32 v0, 0
	global_load_dword v1, v0, s[12:13] offset:12
	s_waitcnt vmcnt(0)
	v_add_nc_u32_e32 v1, -1, v1
	v_cmp_eq_u32_e32 vcc_lo, 3, v1
	s_cbranch_vccnz .LBB88_206
; %bb.205:
	v_lshlrev_b32_e32 v1, 4, v1
	v_mov_b32_e32 v2, s34
	v_add_nc_u32_e32 v1, 16, v1
	s_clause 0x7
	buffer_load_dword v3, v1, s[0:3], 0 offen
	buffer_load_dword v4, v1, s[0:3], 0 offen offset:4
	buffer_load_dword v55, v1, s[0:3], 0 offen offset:8
	;; [unrolled: 1-line block ×6, first 2 shown]
	buffer_load_dword v60, v2, s[0:3], 0 offen
	s_waitcnt vmcnt(7)
	buffer_store_dword v3, v2, s[0:3], 0 offen
	s_waitcnt vmcnt(6)
	buffer_store_dword v4, v2, s[0:3], 0 offen offset:4
	s_waitcnt vmcnt(5)
	buffer_store_dword v55, v2, s[0:3], 0 offen offset:8
	;; [unrolled: 2-line block ×6, first 2 shown]
	s_waitcnt vmcnt(0)
	buffer_store_dword v60, v1, s[0:3], 0 offen
.LBB88_206:
	global_load_dword v0, v0, s[12:13] offset:8
	s_waitcnt vmcnt(0)
	v_add_nc_u32_e32 v0, -1, v0
	v_cmp_eq_u32_e32 vcc_lo, 2, v0
	s_cbranch_vccnz .LBB88_208
; %bb.207:
	v_lshlrev_b32_e32 v0, 4, v0
	v_mov_b32_e32 v1, s35
	v_add_nc_u32_e32 v0, 16, v0
	s_clause 0x7
	buffer_load_dword v2, v0, s[0:3], 0 offen
	buffer_load_dword v3, v0, s[0:3], 0 offen offset:4
	buffer_load_dword v4, v0, s[0:3], 0 offen offset:8
	;; [unrolled: 1-line block ×6, first 2 shown]
	buffer_load_dword v59, v1, s[0:3], 0 offen
	s_waitcnt vmcnt(7)
	buffer_store_dword v2, v1, s[0:3], 0 offen
	s_waitcnt vmcnt(6)
	buffer_store_dword v3, v1, s[0:3], 0 offen offset:4
	s_waitcnt vmcnt(5)
	buffer_store_dword v4, v1, s[0:3], 0 offen offset:8
	;; [unrolled: 2-line block ×6, first 2 shown]
	s_waitcnt vmcnt(0)
	buffer_store_dword v59, v0, s[0:3], 0 offen
.LBB88_208:
	v_mov_b32_e32 v0, 0
	global_load_dword v1, v0, s[12:13] offset:4
	s_waitcnt vmcnt(0)
	v_add_nc_u32_e32 v1, -1, v1
	v_cmp_eq_u32_e32 vcc_lo, 1, v1
	s_cbranch_vccnz .LBB88_210
; %bb.209:
	v_lshlrev_b32_e32 v1, 4, v1
	v_mov_b32_e32 v2, s36
	v_add_nc_u32_e32 v1, 16, v1
	s_clause 0x7
	buffer_load_dword v3, v1, s[0:3], 0 offen
	buffer_load_dword v4, v1, s[0:3], 0 offen offset:4
	buffer_load_dword v55, v1, s[0:3], 0 offen offset:8
	;; [unrolled: 1-line block ×6, first 2 shown]
	buffer_load_dword v60, v2, s[0:3], 0 offen
	s_waitcnt vmcnt(7)
	buffer_store_dword v3, v2, s[0:3], 0 offen
	s_waitcnt vmcnt(6)
	buffer_store_dword v4, v2, s[0:3], 0 offen offset:4
	s_waitcnt vmcnt(5)
	buffer_store_dword v55, v2, s[0:3], 0 offen offset:8
	;; [unrolled: 2-line block ×6, first 2 shown]
	s_waitcnt vmcnt(0)
	buffer_store_dword v60, v1, s[0:3], 0 offen
.LBB88_210:
	global_load_dword v0, v0, s[12:13]
	s_waitcnt vmcnt(0)
	v_add_nc_u32_e32 v0, -1, v0
	v_cmp_eq_u32_e32 vcc_lo, 0, v0
	s_cbranch_vccnz .LBB88_212
; %bb.211:
	v_lshlrev_b32_e32 v0, 4, v0
	v_add_nc_u32_e32 v0, 16, v0
	s_clause 0x7
	buffer_load_dword v1, v0, s[0:3], 0 offen
	buffer_load_dword v2, v0, s[0:3], 0 offen offset:4
	buffer_load_dword v3, v0, s[0:3], 0 offen offset:8
	;; [unrolled: 1-line block ×3, first 2 shown]
	buffer_load_dword v55, off, s[0:3], 0 offset:28
	buffer_load_dword v56, off, s[0:3], 0 offset:24
	buffer_load_dword v57, off, s[0:3], 0 offset:20
	buffer_load_dword v58, off, s[0:3], 0 offset:16
	s_waitcnt vmcnt(7)
	buffer_store_dword v1, off, s[0:3], 0 offset:16
	s_waitcnt vmcnt(6)
	buffer_store_dword v2, off, s[0:3], 0 offset:20
	;; [unrolled: 2-line block ×4, first 2 shown]
	s_waitcnt vmcnt(3)
	buffer_store_dword v55, v0, s[0:3], 0 offen offset:12
	s_waitcnt vmcnt(2)
	buffer_store_dword v56, v0, s[0:3], 0 offen offset:8
	;; [unrolled: 2-line block ×3, first 2 shown]
	s_waitcnt vmcnt(0)
	buffer_store_dword v58, v0, s[0:3], 0 offen
.LBB88_212:
	s_clause 0x3
	buffer_load_dword v0, off, s[0:3], 0 offset:16
	buffer_load_dword v1, off, s[0:3], 0 offset:20
	;; [unrolled: 1-line block ×4, first 2 shown]
	v_mov_b32_e32 v4, s36
	s_waitcnt vmcnt(0)
	flat_store_dwordx4 v[5:6], v[0:3]
	s_clause 0x3
	buffer_load_dword v0, v4, s[0:3], 0 offen
	buffer_load_dword v1, v4, s[0:3], 0 offen offset:4
	buffer_load_dword v2, v4, s[0:3], 0 offen offset:8
	buffer_load_dword v3, v4, s[0:3], 0 offen offset:12
	v_mov_b32_e32 v4, s35
	s_waitcnt vmcnt(0)
	flat_store_dwordx4 v[7:8], v[0:3]
	s_clause 0x3
	buffer_load_dword v0, v4, s[0:3], 0 offen
	buffer_load_dword v1, v4, s[0:3], 0 offen offset:4
	buffer_load_dword v2, v4, s[0:3], 0 offen offset:8
	buffer_load_dword v3, v4, s[0:3], 0 offen offset:12
	;; [unrolled: 8-line block ×24, first 2 shown]
	s_waitcnt vmcnt(0)
	flat_store_dwordx4 v[53:54], v[0:3]
	s_endpgm
	.section	.rodata,"a",@progbits
	.p2align	6, 0x0
	.amdhsa_kernel _ZN9rocsolver6v33100L18getri_kernel_smallILi25E19rocblas_complex_numIdEPKPS3_EEvT1_iilPiilS8_bb
		.amdhsa_group_segment_fixed_size 808
		.amdhsa_private_segment_fixed_size 432
		.amdhsa_kernarg_size 60
		.amdhsa_user_sgpr_count 6
		.amdhsa_user_sgpr_private_segment_buffer 1
		.amdhsa_user_sgpr_dispatch_ptr 0
		.amdhsa_user_sgpr_queue_ptr 0
		.amdhsa_user_sgpr_kernarg_segment_ptr 1
		.amdhsa_user_sgpr_dispatch_id 0
		.amdhsa_user_sgpr_flat_scratch_init 0
		.amdhsa_user_sgpr_private_segment_size 0
		.amdhsa_wavefront_size32 1
		.amdhsa_uses_dynamic_stack 0
		.amdhsa_system_sgpr_private_segment_wavefront_offset 1
		.amdhsa_system_sgpr_workgroup_id_x 1
		.amdhsa_system_sgpr_workgroup_id_y 0
		.amdhsa_system_sgpr_workgroup_id_z 0
		.amdhsa_system_sgpr_workgroup_info 0
		.amdhsa_system_vgpr_workitem_id 0
		.amdhsa_next_free_vgpr 143
		.amdhsa_next_free_sgpr 48
		.amdhsa_reserve_vcc 1
		.amdhsa_reserve_flat_scratch 0
		.amdhsa_float_round_mode_32 0
		.amdhsa_float_round_mode_16_64 0
		.amdhsa_float_denorm_mode_32 3
		.amdhsa_float_denorm_mode_16_64 3
		.amdhsa_dx10_clamp 1
		.amdhsa_ieee_mode 1
		.amdhsa_fp16_overflow 0
		.amdhsa_workgroup_processor_mode 1
		.amdhsa_memory_ordered 1
		.amdhsa_forward_progress 1
		.amdhsa_shared_vgpr_count 0
		.amdhsa_exception_fp_ieee_invalid_op 0
		.amdhsa_exception_fp_denorm_src 0
		.amdhsa_exception_fp_ieee_div_zero 0
		.amdhsa_exception_fp_ieee_overflow 0
		.amdhsa_exception_fp_ieee_underflow 0
		.amdhsa_exception_fp_ieee_inexact 0
		.amdhsa_exception_int_div_zero 0
	.end_amdhsa_kernel
	.section	.text._ZN9rocsolver6v33100L18getri_kernel_smallILi25E19rocblas_complex_numIdEPKPS3_EEvT1_iilPiilS8_bb,"axG",@progbits,_ZN9rocsolver6v33100L18getri_kernel_smallILi25E19rocblas_complex_numIdEPKPS3_EEvT1_iilPiilS8_bb,comdat
.Lfunc_end88:
	.size	_ZN9rocsolver6v33100L18getri_kernel_smallILi25E19rocblas_complex_numIdEPKPS3_EEvT1_iilPiilS8_bb, .Lfunc_end88-_ZN9rocsolver6v33100L18getri_kernel_smallILi25E19rocblas_complex_numIdEPKPS3_EEvT1_iilPiilS8_bb
                                        ; -- End function
	.set _ZN9rocsolver6v33100L18getri_kernel_smallILi25E19rocblas_complex_numIdEPKPS3_EEvT1_iilPiilS8_bb.num_vgpr, 143
	.set _ZN9rocsolver6v33100L18getri_kernel_smallILi25E19rocblas_complex_numIdEPKPS3_EEvT1_iilPiilS8_bb.num_agpr, 0
	.set _ZN9rocsolver6v33100L18getri_kernel_smallILi25E19rocblas_complex_numIdEPKPS3_EEvT1_iilPiilS8_bb.numbered_sgpr, 48
	.set _ZN9rocsolver6v33100L18getri_kernel_smallILi25E19rocblas_complex_numIdEPKPS3_EEvT1_iilPiilS8_bb.num_named_barrier, 0
	.set _ZN9rocsolver6v33100L18getri_kernel_smallILi25E19rocblas_complex_numIdEPKPS3_EEvT1_iilPiilS8_bb.private_seg_size, 432
	.set _ZN9rocsolver6v33100L18getri_kernel_smallILi25E19rocblas_complex_numIdEPKPS3_EEvT1_iilPiilS8_bb.uses_vcc, 1
	.set _ZN9rocsolver6v33100L18getri_kernel_smallILi25E19rocblas_complex_numIdEPKPS3_EEvT1_iilPiilS8_bb.uses_flat_scratch, 0
	.set _ZN9rocsolver6v33100L18getri_kernel_smallILi25E19rocblas_complex_numIdEPKPS3_EEvT1_iilPiilS8_bb.has_dyn_sized_stack, 0
	.set _ZN9rocsolver6v33100L18getri_kernel_smallILi25E19rocblas_complex_numIdEPKPS3_EEvT1_iilPiilS8_bb.has_recursion, 0
	.set _ZN9rocsolver6v33100L18getri_kernel_smallILi25E19rocblas_complex_numIdEPKPS3_EEvT1_iilPiilS8_bb.has_indirect_call, 0
	.section	.AMDGPU.csdata,"",@progbits
; Kernel info:
; codeLenInByte = 52716
; TotalNumSgprs: 50
; NumVgprs: 143
; ScratchSize: 432
; MemoryBound: 0
; FloatMode: 240
; IeeeMode: 1
; LDSByteSize: 808 bytes/workgroup (compile time only)
; SGPRBlocks: 0
; VGPRBlocks: 17
; NumSGPRsForWavesPerEU: 50
; NumVGPRsForWavesPerEU: 143
; Occupancy: 7
; WaveLimiterHint : 1
; COMPUTE_PGM_RSRC2:SCRATCH_EN: 1
; COMPUTE_PGM_RSRC2:USER_SGPR: 6
; COMPUTE_PGM_RSRC2:TRAP_HANDLER: 0
; COMPUTE_PGM_RSRC2:TGID_X_EN: 1
; COMPUTE_PGM_RSRC2:TGID_Y_EN: 0
; COMPUTE_PGM_RSRC2:TGID_Z_EN: 0
; COMPUTE_PGM_RSRC2:TIDIG_COMP_CNT: 0
	.section	.text._ZN9rocsolver6v33100L18getri_kernel_smallILi26E19rocblas_complex_numIdEPKPS3_EEvT1_iilPiilS8_bb,"axG",@progbits,_ZN9rocsolver6v33100L18getri_kernel_smallILi26E19rocblas_complex_numIdEPKPS3_EEvT1_iilPiilS8_bb,comdat
	.globl	_ZN9rocsolver6v33100L18getri_kernel_smallILi26E19rocblas_complex_numIdEPKPS3_EEvT1_iilPiilS8_bb ; -- Begin function _ZN9rocsolver6v33100L18getri_kernel_smallILi26E19rocblas_complex_numIdEPKPS3_EEvT1_iilPiilS8_bb
	.p2align	8
	.type	_ZN9rocsolver6v33100L18getri_kernel_smallILi26E19rocblas_complex_numIdEPKPS3_EEvT1_iilPiilS8_bb,@function
_ZN9rocsolver6v33100L18getri_kernel_smallILi26E19rocblas_complex_numIdEPKPS3_EEvT1_iilPiilS8_bb: ; @_ZN9rocsolver6v33100L18getri_kernel_smallILi26E19rocblas_complex_numIdEPKPS3_EEvT1_iilPiilS8_bb
; %bb.0:
	s_add_u32 s0, s0, s7
	s_addc_u32 s1, s1, 0
	s_mov_b32 s7, exec_lo
	v_cmpx_gt_u32_e32 26, v0
	s_cbranch_execz .LBB89_118
; %bb.1:
	s_clause 0x2
	s_load_dword s16, s[4:5], 0x38
	s_load_dwordx2 s[12:13], s[4:5], 0x0
	s_load_dwordx4 s[8:11], s[4:5], 0x28
	s_waitcnt lgkmcnt(0)
	s_bitcmp1_b32 s16, 8
	s_cselect_b32 s38, -1, 0
	s_ashr_i32 s7, s6, 31
	s_lshl_b64 s[14:15], s[6:7], 3
	s_add_u32 s12, s12, s14
	s_addc_u32 s13, s13, s15
	s_load_dwordx2 s[14:15], s[12:13], 0x0
	s_bfe_u32 s12, s16, 0x10008
	s_cmp_eq_u32 s12, 0
                                        ; implicit-def: $sgpr12_sgpr13
	s_cbranch_scc1 .LBB89_3
; %bb.2:
	s_clause 0x1
	s_load_dword s12, s[4:5], 0x20
	s_load_dwordx2 s[16:17], s[4:5], 0x18
	s_mul_i32 s13, s8, s7
	s_mul_hi_u32 s18, s8, s6
	s_mul_i32 s9, s9, s6
	s_add_i32 s13, s18, s13
	s_mul_i32 s8, s8, s6
	s_add_i32 s9, s13, s9
	s_lshl_b64 s[8:9], s[8:9], 2
	s_waitcnt lgkmcnt(0)
	s_ashr_i32 s13, s12, 31
	s_add_u32 s16, s16, s8
	s_addc_u32 s17, s17, s9
	s_lshl_b64 s[8:9], s[12:13], 2
	s_add_u32 s12, s16, s8
	s_addc_u32 s13, s17, s9
.LBB89_3:
	s_clause 0x1
	s_load_dwordx2 s[8:9], s[4:5], 0x8
	s_load_dword s4, s[4:5], 0x38
	v_lshlrev_b32_e32 v63, 4, v0
	s_movk_i32 s18, 0xb0
	s_movk_i32 s19, 0xc0
	;; [unrolled: 1-line block ×15, first 2 shown]
	s_mov_b32 s37, 32
	s_mov_b32 s36, 48
	s_waitcnt lgkmcnt(0)
	s_ashr_i32 s17, s8, 31
	s_mov_b32 s16, s8
	v_add3_u32 v11, s9, s9, v0
	s_lshl_b64 s[16:17], s[16:17], 4
	s_mov_b32 s35, 64
	s_add_u32 s5, s14, s16
	s_addc_u32 s8, s15, s17
	v_add_co_u32 v5, s14, s5, v63
	v_add_co_ci_u32_e64 v6, null, s8, 0, s14
	s_mov_b32 s14, s9
	s_ashr_i32 s15, s9, 31
	v_ashrrev_i32_e32 v12, 31, v11
	flat_load_dwordx4 v[1:4], v[5:6]
	s_lshl_b64 s[14:15], s[14:15], 4
	v_add_nc_u32_e32 v13, s9, v11
	v_add_co_u32 v7, vcc_lo, v5, s14
	v_add_co_ci_u32_e64 v8, null, s15, v6, vcc_lo
	v_lshlrev_b64 v[9:10], 4, v[11:12]
	v_ashrrev_i32_e32 v14, 31, v13
	v_add_nc_u32_e32 v15, s9, v13
	s_movk_i32 s14, 0x70
	s_movk_i32 s15, 0x80
	;; [unrolled: 1-line block ×3, first 2 shown]
	v_add_co_u32 v9, vcc_lo, s5, v9
	v_add_co_ci_u32_e64 v10, null, s8, v10, vcc_lo
	v_lshlrev_b64 v[11:12], 4, v[13:14]
	v_ashrrev_i32_e32 v16, 31, v15
	v_add_nc_u32_e32 v17, s9, v15
	s_movk_i32 s17, 0xa0
	s_add_i32 s30, s14, 16
	s_add_i32 s29, s15, 16
	v_add_co_u32 v11, vcc_lo, s5, v11
	v_add_co_ci_u32_e64 v12, null, s8, v12, vcc_lo
	v_lshlrev_b64 v[13:14], 4, v[15:16]
	v_ashrrev_i32_e32 v18, 31, v17
	v_add_nc_u32_e32 v19, s9, v17
	s_add_i32 s28, s16, 16
	s_add_i32 s27, s17, 16
	s_add_i32 s26, s18, 16
	v_add_co_u32 v13, vcc_lo, s5, v13
	v_add_co_ci_u32_e64 v14, null, s8, v14, vcc_lo
	v_lshlrev_b64 v[15:16], 4, v[17:18]
	v_ashrrev_i32_e32 v20, 31, v19
	v_add_nc_u32_e32 v21, s9, v19
	s_add_i32 s25, s19, 16
	;; [unrolled: 8-line block ×5, first 2 shown]
	s_add_i32 s15, s45, 16
	s_add_i32 s14, s46, 16
	v_add_co_u32 v21, vcc_lo, s5, v21
	v_add_co_ci_u32_e64 v22, null, s8, v22, vcc_lo
	v_lshlrev_b64 v[23:24], 4, v[25:26]
	v_ashrrev_i32_e32 v28, 31, v27
	v_add_nc_u32_e32 v29, s9, v27
	s_movk_i32 s34, 0x50
	s_waitcnt vmcnt(0) lgkmcnt(0)
	buffer_store_dword v4, off, s[0:3], 0 offset:28
	buffer_store_dword v3, off, s[0:3], 0 offset:24
	buffer_store_dword v2, off, s[0:3], 0 offset:20
	buffer_store_dword v1, off, s[0:3], 0 offset:16
	flat_load_dwordx4 v[1:4], v[7:8]
	v_add_co_u32 v23, vcc_lo, s5, v23
	v_add_co_ci_u32_e64 v24, null, s8, v24, vcc_lo
	v_lshlrev_b64 v[25:26], 4, v[27:28]
	v_ashrrev_i32_e32 v30, 31, v29
	v_add_nc_u32_e32 v31, s9, v29
	s_waitcnt vmcnt(0) lgkmcnt(0)
	buffer_store_dword v4, off, s[0:3], 0 offset:44
	buffer_store_dword v3, off, s[0:3], 0 offset:40
	buffer_store_dword v2, off, s[0:3], 0 offset:36
	buffer_store_dword v1, off, s[0:3], 0 offset:32
	flat_load_dwordx4 v[1:4], v[9:10]
	v_add_co_u32 v25, vcc_lo, s5, v25
	v_add_co_ci_u32_e64 v26, null, s8, v26, vcc_lo
	v_lshlrev_b64 v[27:28], 4, v[29:30]
	v_ashrrev_i32_e32 v32, 31, v31
	v_add_nc_u32_e32 v33, s9, v31
	;; [unrolled: 11-line block ×13, first 2 shown]
	s_waitcnt vmcnt(0) lgkmcnt(0)
	buffer_store_dword v4, off, s[0:3], 0 offset:236
	buffer_store_dword v3, off, s[0:3], 0 offset:232
	;; [unrolled: 1-line block ×4, first 2 shown]
	flat_load_dwordx4 v[1:4], v[33:34]
	v_add_co_u32 v49, vcc_lo, s5, v49
	v_add_co_ci_u32_e64 v50, null, s8, v50, vcc_lo
	v_lshlrev_b64 v[51:52], 4, v[53:54]
	v_ashrrev_i32_e32 v56, 31, v55
	s_waitcnt vmcnt(0) lgkmcnt(0)
	buffer_store_dword v4, off, s[0:3], 0 offset:252
	buffer_store_dword v3, off, s[0:3], 0 offset:248
	;; [unrolled: 1-line block ×4, first 2 shown]
	flat_load_dwordx4 v[1:4], v[35:36]
	v_add_co_u32 v51, vcc_lo, s5, v51
	v_add_co_ci_u32_e64 v52, null, s8, v52, vcc_lo
	v_lshlrev_b64 v[53:54], 4, v[55:56]
	v_add_nc_u32_e32 v55, s9, v55
	s_movk_i32 s9, 0x60
	s_waitcnt vmcnt(0) lgkmcnt(0)
	buffer_store_dword v4, off, s[0:3], 0 offset:268
	buffer_store_dword v3, off, s[0:3], 0 offset:264
	buffer_store_dword v2, off, s[0:3], 0 offset:260
	buffer_store_dword v1, off, s[0:3], 0 offset:256
	flat_load_dwordx4 v[1:4], v[37:38]
	v_add_co_u32 v53, vcc_lo, s5, v53
	v_add_co_ci_u32_e64 v54, null, s8, v54, vcc_lo
	v_ashrrev_i32_e32 v56, 31, v55
	s_add_i32 s31, s9, 16
	s_add_i32 s9, s47, 16
	s_waitcnt vmcnt(0) lgkmcnt(0)
	buffer_store_dword v4, off, s[0:3], 0 offset:284
	buffer_store_dword v3, off, s[0:3], 0 offset:280
	;; [unrolled: 1-line block ×4, first 2 shown]
	flat_load_dwordx4 v[1:4], v[39:40]
	v_lshlrev_b64 v[55:56], 4, v[55:56]
	s_waitcnt vmcnt(0) lgkmcnt(0)
	buffer_store_dword v4, off, s[0:3], 0 offset:300
	buffer_store_dword v3, off, s[0:3], 0 offset:296
	;; [unrolled: 1-line block ×4, first 2 shown]
	flat_load_dwordx4 v[1:4], v[41:42]
	v_add_co_u32 v55, vcc_lo, s5, v55
	v_add_co_ci_u32_e64 v56, null, s8, v56, vcc_lo
	s_movk_i32 s8, 0x50
	s_mov_b32 s5, -1
	s_add_i32 s33, s8, 16
	s_add_i32 s8, s48, 16
	s_bitcmp0_b32 s4, 0
	s_waitcnt vmcnt(0) lgkmcnt(0)
	buffer_store_dword v4, off, s[0:3], 0 offset:316
	buffer_store_dword v3, off, s[0:3], 0 offset:312
	buffer_store_dword v2, off, s[0:3], 0 offset:308
	buffer_store_dword v1, off, s[0:3], 0 offset:304
	flat_load_dwordx4 v[1:4], v[43:44]
	s_waitcnt vmcnt(0) lgkmcnt(0)
	buffer_store_dword v4, off, s[0:3], 0 offset:332
	buffer_store_dword v3, off, s[0:3], 0 offset:328
	buffer_store_dword v2, off, s[0:3], 0 offset:324
	buffer_store_dword v1, off, s[0:3], 0 offset:320
	flat_load_dwordx4 v[1:4], v[45:46]
	;; [unrolled: 6-line block ×7, first 2 shown]
	s_waitcnt vmcnt(0) lgkmcnt(0)
	buffer_store_dword v4, off, s[0:3], 0 offset:428
	buffer_store_dword v3, off, s[0:3], 0 offset:424
	;; [unrolled: 1-line block ×4, first 2 shown]
	s_cbranch_scc1 .LBB89_116
; %bb.4:
	v_cmp_eq_u32_e64 s4, 0, v0
	s_and_saveexec_b32 s5, s4
; %bb.5:
	v_mov_b32_e32 v1, 0
	ds_write_b32 v1, v1 offset:832
; %bb.6:
	s_or_b32 exec_lo, exec_lo, s5
	v_lshl_add_u32 v64, v0, 4, 16
	s_waitcnt lgkmcnt(0)
	s_waitcnt_vscnt null, 0x0
	s_barrier
	buffer_gl0_inv
	s_clause 0x3
	buffer_load_dword v1, v64, s[0:3], 0 offen
	buffer_load_dword v2, v64, s[0:3], 0 offen offset:4
	buffer_load_dword v3, v64, s[0:3], 0 offen offset:8
	;; [unrolled: 1-line block ×3, first 2 shown]
	s_waitcnt vmcnt(2)
	v_cmp_eq_f64_e32 vcc_lo, 0, v[1:2]
	s_waitcnt vmcnt(0)
	v_cmp_eq_f64_e64 s5, 0, v[3:4]
	s_and_b32 s5, vcc_lo, s5
	s_and_saveexec_b32 s39, s5
	s_cbranch_execz .LBB89_10
; %bb.7:
	v_mov_b32_e32 v1, 0
	s_mov_b32 s40, 0
	ds_read_b32 v2, v1 offset:832
	s_waitcnt lgkmcnt(0)
	v_readfirstlane_b32 s5, v2
	v_add_nc_u32_e32 v2, 1, v0
	s_cmp_eq_u32 s5, 0
	v_cmp_gt_i32_e32 vcc_lo, s5, v2
	s_cselect_b32 s41, -1, 0
	s_or_b32 s41, s41, vcc_lo
	s_and_b32 exec_lo, exec_lo, s41
	s_cbranch_execz .LBB89_10
; %bb.8:
	v_mov_b32_e32 v3, s5
.LBB89_9:                               ; =>This Inner Loop Header: Depth=1
	ds_cmpst_rtn_b32 v3, v1, v3, v2 offset:832
	s_waitcnt lgkmcnt(0)
	v_cmp_ne_u32_e32 vcc_lo, 0, v3
	v_cmp_le_i32_e64 s5, v3, v2
	s_and_b32 s5, vcc_lo, s5
	s_and_b32 s5, exec_lo, s5
	s_or_b32 s40, s5, s40
	s_andn2_b32 exec_lo, exec_lo, s40
	s_cbranch_execnz .LBB89_9
.LBB89_10:
	s_or_b32 exec_lo, exec_lo, s39
	v_mov_b32_e32 v1, 0
	s_barrier
	buffer_gl0_inv
	ds_read_b32 v2, v1 offset:832
	s_and_saveexec_b32 s5, s4
	s_cbranch_execz .LBB89_12
; %bb.11:
	s_lshl_b64 s[40:41], s[6:7], 2
	s_add_u32 s40, s10, s40
	s_addc_u32 s41, s11, s41
	s_waitcnt lgkmcnt(0)
	global_store_dword v1, v2, s[40:41]
.LBB89_12:
	s_or_b32 exec_lo, exec_lo, s5
	s_waitcnt lgkmcnt(0)
	v_cmp_ne_u32_e32 vcc_lo, 0, v2
	s_mov_b32 s5, 0
	s_cbranch_vccnz .LBB89_116
; %bb.13:
	s_clause 0x3
	buffer_load_dword v59, v64, s[0:3], 0 offen
	buffer_load_dword v60, v64, s[0:3], 0 offen offset:4
	buffer_load_dword v61, v64, s[0:3], 0 offen offset:8
	;; [unrolled: 1-line block ×3, first 2 shown]
                                        ; implicit-def: $vgpr57_vgpr58
                                        ; implicit-def: $vgpr3_vgpr4
	s_waitcnt vmcnt(0)
	v_cmp_ngt_f64_e64 s5, |v[59:60]|, |v[61:62]|
	s_and_saveexec_b32 s39, s5
	s_xor_b32 s5, exec_lo, s39
	s_cbranch_execz .LBB89_15
; %bb.14:
	v_div_scale_f64 v[1:2], null, v[61:62], v[61:62], v[59:60]
	v_div_scale_f64 v[65:66], vcc_lo, v[59:60], v[61:62], v[59:60]
	v_rcp_f64_e32 v[3:4], v[1:2]
	v_fma_f64 v[57:58], -v[1:2], v[3:4], 1.0
	v_fma_f64 v[3:4], v[3:4], v[57:58], v[3:4]
	v_fma_f64 v[57:58], -v[1:2], v[3:4], 1.0
	v_fma_f64 v[3:4], v[3:4], v[57:58], v[3:4]
	v_mul_f64 v[57:58], v[65:66], v[3:4]
	v_fma_f64 v[1:2], -v[1:2], v[57:58], v[65:66]
	v_div_fmas_f64 v[1:2], v[1:2], v[3:4], v[57:58]
	v_div_fixup_f64 v[1:2], v[1:2], v[61:62], v[59:60]
	v_fma_f64 v[3:4], v[59:60], v[1:2], v[61:62]
	v_div_scale_f64 v[57:58], null, v[3:4], v[3:4], 1.0
	v_div_scale_f64 v[65:66], vcc_lo, 1.0, v[3:4], 1.0
	v_rcp_f64_e32 v[59:60], v[57:58]
	v_fma_f64 v[61:62], -v[57:58], v[59:60], 1.0
	v_fma_f64 v[59:60], v[59:60], v[61:62], v[59:60]
	v_fma_f64 v[61:62], -v[57:58], v[59:60], 1.0
	v_fma_f64 v[59:60], v[59:60], v[61:62], v[59:60]
	v_mul_f64 v[61:62], v[65:66], v[59:60]
	v_fma_f64 v[57:58], -v[57:58], v[61:62], v[65:66]
	v_div_fmas_f64 v[57:58], v[57:58], v[59:60], v[61:62]
                                        ; implicit-def: $vgpr59_vgpr60
                                        ; implicit-def: $vgpr61_vgpr62
	v_div_fixup_f64 v[3:4], v[57:58], v[3:4], 1.0
	v_mul_f64 v[57:58], v[1:2], v[3:4]
	v_xor_b32_e32 v4, 0x80000000, v4
	v_xor_b32_e32 v2, 0x80000000, v58
	v_mov_b32_e32 v1, v57
.LBB89_15:
	s_andn2_saveexec_b32 s5, s5
	s_cbranch_execz .LBB89_17
; %bb.16:
	v_div_scale_f64 v[1:2], null, v[59:60], v[59:60], v[61:62]
	v_div_scale_f64 v[65:66], vcc_lo, v[61:62], v[59:60], v[61:62]
	v_rcp_f64_e32 v[3:4], v[1:2]
	v_fma_f64 v[57:58], -v[1:2], v[3:4], 1.0
	v_fma_f64 v[3:4], v[3:4], v[57:58], v[3:4]
	v_fma_f64 v[57:58], -v[1:2], v[3:4], 1.0
	v_fma_f64 v[3:4], v[3:4], v[57:58], v[3:4]
	v_mul_f64 v[57:58], v[65:66], v[3:4]
	v_fma_f64 v[1:2], -v[1:2], v[57:58], v[65:66]
	v_div_fmas_f64 v[1:2], v[1:2], v[3:4], v[57:58]
	v_div_fixup_f64 v[1:2], v[1:2], v[59:60], v[61:62]
	v_fma_f64 v[3:4], v[61:62], v[1:2], v[59:60]
	v_div_scale_f64 v[57:58], null, v[3:4], v[3:4], 1.0
	v_rcp_f64_e32 v[59:60], v[57:58]
	v_fma_f64 v[61:62], -v[57:58], v[59:60], 1.0
	v_fma_f64 v[59:60], v[59:60], v[61:62], v[59:60]
	v_fma_f64 v[61:62], -v[57:58], v[59:60], 1.0
	v_fma_f64 v[59:60], v[59:60], v[61:62], v[59:60]
	v_div_scale_f64 v[61:62], vcc_lo, 1.0, v[3:4], 1.0
	v_mul_f64 v[65:66], v[61:62], v[59:60]
	v_fma_f64 v[57:58], -v[57:58], v[65:66], v[61:62]
	v_div_fmas_f64 v[57:58], v[57:58], v[59:60], v[65:66]
	v_div_fixup_f64 v[57:58], v[57:58], v[3:4], 1.0
	v_mul_f64 v[3:4], v[1:2], -v[57:58]
	v_xor_b32_e32 v2, 0x80000000, v58
	v_mov_b32_e32 v1, v57
.LBB89_17:
	s_or_b32 exec_lo, exec_lo, s5
	v_mov_b32_e32 v62, s37
	buffer_store_dword v58, v64, s[0:3], 0 offen offset:4
	buffer_store_dword v57, v64, s[0:3], 0 offen
	buffer_store_dword v4, v64, s[0:3], 0 offen offset:12
	buffer_store_dword v3, v64, s[0:3], 0 offen offset:8
	v_xor_b32_e32 v4, 0x80000000, v4
	v_add_nc_u32_e32 v57, 0x1a0, v63
	s_clause 0x3
	buffer_load_dword v61, v62, s[0:3], 0 offen offset:12
	buffer_load_dword v60, v62, s[0:3], 0 offen offset:8
	;; [unrolled: 1-line block ×3, first 2 shown]
	buffer_load_dword v58, v62, s[0:3], 0 offen
	ds_write_b128 v63, v[1:4]
	s_waitcnt vmcnt(0)
	ds_write_b128 v63, v[58:61] offset:416
	s_waitcnt lgkmcnt(0)
	s_waitcnt_vscnt null, 0x0
	s_barrier
	buffer_gl0_inv
	s_and_saveexec_b32 s5, s4
	s_cbranch_execz .LBB89_19
; %bb.18:
	s_clause 0x3
	buffer_load_dword v65, v64, s[0:3], 0 offen offset:8
	buffer_load_dword v66, v64, s[0:3], 0 offen offset:12
	buffer_load_dword v67, v64, s[0:3], 0 offen
	buffer_load_dword v68, v64, s[0:3], 0 offen offset:4
	ds_read_b128 v[1:4], v57
	v_mov_b32_e32 v58, 0
	ds_read_b128 v[58:61], v58 offset:16
	s_waitcnt vmcnt(2) lgkmcnt(1)
	v_mul_f64 v[69:70], v[1:2], v[65:66]
	v_mul_f64 v[65:66], v[3:4], v[65:66]
	s_waitcnt vmcnt(0)
	v_fma_f64 v[3:4], v[3:4], v[67:68], v[69:70]
	v_fma_f64 v[1:2], v[1:2], v[67:68], -v[65:66]
	v_add_f64 v[3:4], v[3:4], 0
	v_add_f64 v[1:2], v[1:2], 0
	s_waitcnt lgkmcnt(0)
	v_mul_f64 v[65:66], v[3:4], v[60:61]
	v_mul_f64 v[60:61], v[1:2], v[60:61]
	v_fma_f64 v[1:2], v[1:2], v[58:59], -v[65:66]
	v_fma_f64 v[3:4], v[3:4], v[58:59], v[60:61]
	buffer_store_dword v1, off, s[0:3], 0 offset:32
	buffer_store_dword v2, off, s[0:3], 0 offset:36
	;; [unrolled: 1-line block ×4, first 2 shown]
.LBB89_19:
	s_or_b32 exec_lo, exec_lo, s5
	v_mov_b32_e32 v4, s36
	s_waitcnt_vscnt null, 0x0
	s_barrier
	buffer_gl0_inv
	s_mov_b32 s5, exec_lo
	s_clause 0x3
	buffer_load_dword v1, v4, s[0:3], 0 offen
	buffer_load_dword v2, v4, s[0:3], 0 offen offset:4
	buffer_load_dword v3, v4, s[0:3], 0 offen offset:8
	;; [unrolled: 1-line block ×3, first 2 shown]
	s_waitcnt vmcnt(0)
	ds_write_b128 v57, v[1:4]
	s_waitcnt lgkmcnt(0)
	s_barrier
	buffer_gl0_inv
	v_cmpx_gt_u32_e32 2, v0
	s_cbranch_execz .LBB89_23
; %bb.20:
	s_clause 0x3
	buffer_load_dword v58, v64, s[0:3], 0 offen offset:8
	buffer_load_dword v59, v64, s[0:3], 0 offen offset:12
	buffer_load_dword v60, v64, s[0:3], 0 offen
	buffer_load_dword v61, v64, s[0:3], 0 offen offset:4
	ds_read_b128 v[1:4], v57
	s_waitcnt vmcnt(2) lgkmcnt(0)
	v_mul_f64 v[64:65], v[3:4], v[58:59]
	v_mul_f64 v[58:59], v[1:2], v[58:59]
	s_waitcnt vmcnt(0)
	v_fma_f64 v[1:2], v[1:2], v[60:61], -v[64:65]
	v_fma_f64 v[3:4], v[3:4], v[60:61], v[58:59]
	v_add_f64 v[1:2], v[1:2], 0
	v_add_f64 v[3:4], v[3:4], 0
	s_and_saveexec_b32 s39, s4
	s_cbranch_execz .LBB89_22
; %bb.21:
	s_clause 0x3
	buffer_load_dword v64, off, s[0:3], 0 offset:40
	buffer_load_dword v65, off, s[0:3], 0 offset:44
	;; [unrolled: 1-line block ×4, first 2 shown]
	v_mov_b32_e32 v58, 0
	ds_read_b128 v[58:61], v58 offset:432
	s_waitcnt vmcnt(2) lgkmcnt(0)
	v_mul_f64 v[68:69], v[58:59], v[64:65]
	v_mul_f64 v[64:65], v[60:61], v[64:65]
	s_waitcnt vmcnt(0)
	v_fma_f64 v[60:61], v[60:61], v[66:67], v[68:69]
	v_fma_f64 v[58:59], v[58:59], v[66:67], -v[64:65]
	v_add_f64 v[3:4], v[3:4], v[60:61]
	v_add_f64 v[1:2], v[1:2], v[58:59]
.LBB89_22:
	s_or_b32 exec_lo, exec_lo, s39
	v_mov_b32_e32 v58, 0
	ds_read_b128 v[58:61], v58 offset:32
	s_waitcnt lgkmcnt(0)
	v_mul_f64 v[64:65], v[3:4], v[60:61]
	v_mul_f64 v[60:61], v[1:2], v[60:61]
	v_fma_f64 v[1:2], v[1:2], v[58:59], -v[64:65]
	v_fma_f64 v[3:4], v[3:4], v[58:59], v[60:61]
	buffer_store_dword v2, off, s[0:3], 0 offset:52
	buffer_store_dword v1, off, s[0:3], 0 offset:48
	;; [unrolled: 1-line block ×4, first 2 shown]
.LBB89_23:
	s_or_b32 exec_lo, exec_lo, s5
	v_mov_b32_e32 v4, s35
	s_waitcnt_vscnt null, 0x0
	s_barrier
	buffer_gl0_inv
	v_add_nc_u32_e32 v58, -1, v0
	s_clause 0x3
	buffer_load_dword v1, v4, s[0:3], 0 offen
	buffer_load_dword v2, v4, s[0:3], 0 offen offset:4
	buffer_load_dword v3, v4, s[0:3], 0 offen offset:8
	buffer_load_dword v4, v4, s[0:3], 0 offen offset:12
	s_mov_b32 s4, exec_lo
	s_waitcnt vmcnt(0)
	ds_write_b128 v57, v[1:4]
	s_waitcnt lgkmcnt(0)
	s_barrier
	buffer_gl0_inv
	v_cmpx_gt_u32_e32 3, v0
	s_cbranch_execz .LBB89_27
; %bb.24:
	v_mov_b32_e32 v1, 0
	v_mov_b32_e32 v3, 0
	v_add_nc_u32_e32 v59, -1, v0
	v_add_nc_u32_e32 v60, 0x1a0, v63
	v_mov_b32_e32 v2, 0
	v_mov_b32_e32 v4, 0
	v_add_nc_u32_e32 v61, 16, v63
	s_mov_b32 s5, 0
	.p2align	6
.LBB89_25:                              ; =>This Inner Loop Header: Depth=1
	s_clause 0x3
	buffer_load_dword v68, v61, s[0:3], 0 offen offset:8
	buffer_load_dword v69, v61, s[0:3], 0 offen offset:12
	buffer_load_dword v70, v61, s[0:3], 0 offen
	buffer_load_dword v71, v61, s[0:3], 0 offen offset:4
	ds_read_b128 v[64:67], v60
	v_add_nc_u32_e32 v59, 1, v59
	v_add_nc_u32_e32 v60, 16, v60
	;; [unrolled: 1-line block ×3, first 2 shown]
	v_cmp_lt_u32_e32 vcc_lo, 1, v59
	s_or_b32 s5, vcc_lo, s5
	s_waitcnt vmcnt(2) lgkmcnt(0)
	v_mul_f64 v[72:73], v[66:67], v[68:69]
	v_mul_f64 v[68:69], v[64:65], v[68:69]
	s_waitcnt vmcnt(0)
	v_fma_f64 v[64:65], v[64:65], v[70:71], -v[72:73]
	v_fma_f64 v[66:67], v[66:67], v[70:71], v[68:69]
	v_add_f64 v[3:4], v[3:4], v[64:65]
	v_add_f64 v[1:2], v[1:2], v[66:67]
	s_andn2_b32 exec_lo, exec_lo, s5
	s_cbranch_execnz .LBB89_25
; %bb.26:
	s_or_b32 exec_lo, exec_lo, s5
	v_mov_b32_e32 v59, 0
	ds_read_b128 v[59:62], v59 offset:48
	s_waitcnt lgkmcnt(0)
	v_mul_f64 v[64:65], v[1:2], v[61:62]
	v_mul_f64 v[61:62], v[3:4], v[61:62]
	v_fma_f64 v[3:4], v[3:4], v[59:60], -v[64:65]
	v_fma_f64 v[1:2], v[1:2], v[59:60], v[61:62]
	buffer_store_dword v4, off, s[0:3], 0 offset:68
	buffer_store_dword v3, off, s[0:3], 0 offset:64
	;; [unrolled: 1-line block ×4, first 2 shown]
.LBB89_27:
	s_or_b32 exec_lo, exec_lo, s4
	v_mov_b32_e32 v4, s34
	s_waitcnt_vscnt null, 0x0
	s_barrier
	buffer_gl0_inv
	s_mov_b32 s4, exec_lo
	s_clause 0x3
	buffer_load_dword v1, v4, s[0:3], 0 offen
	buffer_load_dword v2, v4, s[0:3], 0 offen offset:4
	buffer_load_dword v3, v4, s[0:3], 0 offen offset:8
	;; [unrolled: 1-line block ×3, first 2 shown]
	s_waitcnt vmcnt(0)
	ds_write_b128 v57, v[1:4]
	s_waitcnt lgkmcnt(0)
	s_barrier
	buffer_gl0_inv
	v_cmpx_gt_u32_e32 4, v0
	s_cbranch_execz .LBB89_31
; %bb.28:
	v_mov_b32_e32 v1, 0
	v_mov_b32_e32 v3, 0
	v_add_nc_u32_e32 v59, -1, v0
	v_add_nc_u32_e32 v60, 0x1a0, v63
	v_mov_b32_e32 v2, 0
	v_mov_b32_e32 v4, 0
	v_add_nc_u32_e32 v61, 16, v63
	s_mov_b32 s5, 0
	.p2align	6
.LBB89_29:                              ; =>This Inner Loop Header: Depth=1
	s_clause 0x3
	buffer_load_dword v68, v61, s[0:3], 0 offen offset:8
	buffer_load_dword v69, v61, s[0:3], 0 offen offset:12
	buffer_load_dword v70, v61, s[0:3], 0 offen
	buffer_load_dword v71, v61, s[0:3], 0 offen offset:4
	ds_read_b128 v[64:67], v60
	v_add_nc_u32_e32 v59, 1, v59
	v_add_nc_u32_e32 v60, 16, v60
	v_add_nc_u32_e32 v61, 16, v61
	v_cmp_lt_u32_e32 vcc_lo, 2, v59
	s_or_b32 s5, vcc_lo, s5
	s_waitcnt vmcnt(2) lgkmcnt(0)
	v_mul_f64 v[72:73], v[66:67], v[68:69]
	v_mul_f64 v[68:69], v[64:65], v[68:69]
	s_waitcnt vmcnt(0)
	v_fma_f64 v[64:65], v[64:65], v[70:71], -v[72:73]
	v_fma_f64 v[66:67], v[66:67], v[70:71], v[68:69]
	v_add_f64 v[3:4], v[3:4], v[64:65]
	v_add_f64 v[1:2], v[1:2], v[66:67]
	s_andn2_b32 exec_lo, exec_lo, s5
	s_cbranch_execnz .LBB89_29
; %bb.30:
	s_or_b32 exec_lo, exec_lo, s5
	v_mov_b32_e32 v59, 0
	ds_read_b128 v[59:62], v59 offset:64
	s_waitcnt lgkmcnt(0)
	v_mul_f64 v[64:65], v[1:2], v[61:62]
	v_mul_f64 v[61:62], v[3:4], v[61:62]
	v_fma_f64 v[3:4], v[3:4], v[59:60], -v[64:65]
	v_fma_f64 v[1:2], v[1:2], v[59:60], v[61:62]
	buffer_store_dword v4, off, s[0:3], 0 offset:84
	buffer_store_dword v3, off, s[0:3], 0 offset:80
	buffer_store_dword v2, off, s[0:3], 0 offset:92
	buffer_store_dword v1, off, s[0:3], 0 offset:88
.LBB89_31:
	s_or_b32 exec_lo, exec_lo, s4
	v_mov_b32_e32 v4, s33
	s_waitcnt_vscnt null, 0x0
	s_barrier
	buffer_gl0_inv
	s_mov_b32 s4, exec_lo
	s_clause 0x3
	buffer_load_dword v1, v4, s[0:3], 0 offen
	buffer_load_dword v2, v4, s[0:3], 0 offen offset:4
	buffer_load_dword v3, v4, s[0:3], 0 offen offset:8
	buffer_load_dword v4, v4, s[0:3], 0 offen offset:12
	s_waitcnt vmcnt(0)
	ds_write_b128 v57, v[1:4]
	s_waitcnt lgkmcnt(0)
	s_barrier
	buffer_gl0_inv
	v_cmpx_gt_u32_e32 5, v0
	s_cbranch_execz .LBB89_35
; %bb.32:
	v_mov_b32_e32 v1, 0
	v_mov_b32_e32 v3, 0
	v_add_nc_u32_e32 v59, -1, v0
	v_add_nc_u32_e32 v60, 0x1a0, v63
	v_mov_b32_e32 v2, 0
	v_mov_b32_e32 v4, 0
	v_add_nc_u32_e32 v61, 16, v63
	s_mov_b32 s5, 0
	.p2align	6
.LBB89_33:                              ; =>This Inner Loop Header: Depth=1
	s_clause 0x3
	buffer_load_dword v68, v61, s[0:3], 0 offen offset:8
	buffer_load_dword v69, v61, s[0:3], 0 offen offset:12
	buffer_load_dword v70, v61, s[0:3], 0 offen
	buffer_load_dword v71, v61, s[0:3], 0 offen offset:4
	ds_read_b128 v[64:67], v60
	v_add_nc_u32_e32 v59, 1, v59
	v_add_nc_u32_e32 v60, 16, v60
	;; [unrolled: 1-line block ×3, first 2 shown]
	v_cmp_lt_u32_e32 vcc_lo, 3, v59
	s_or_b32 s5, vcc_lo, s5
	s_waitcnt vmcnt(2) lgkmcnt(0)
	v_mul_f64 v[72:73], v[66:67], v[68:69]
	v_mul_f64 v[68:69], v[64:65], v[68:69]
	s_waitcnt vmcnt(0)
	v_fma_f64 v[64:65], v[64:65], v[70:71], -v[72:73]
	v_fma_f64 v[66:67], v[66:67], v[70:71], v[68:69]
	v_add_f64 v[3:4], v[3:4], v[64:65]
	v_add_f64 v[1:2], v[1:2], v[66:67]
	s_andn2_b32 exec_lo, exec_lo, s5
	s_cbranch_execnz .LBB89_33
; %bb.34:
	s_or_b32 exec_lo, exec_lo, s5
	v_mov_b32_e32 v59, 0
	ds_read_b128 v[59:62], v59 offset:80
	s_waitcnt lgkmcnt(0)
	v_mul_f64 v[64:65], v[1:2], v[61:62]
	v_mul_f64 v[61:62], v[3:4], v[61:62]
	v_fma_f64 v[3:4], v[3:4], v[59:60], -v[64:65]
	v_fma_f64 v[1:2], v[1:2], v[59:60], v[61:62]
	buffer_store_dword v4, off, s[0:3], 0 offset:100
	buffer_store_dword v3, off, s[0:3], 0 offset:96
	;; [unrolled: 1-line block ×4, first 2 shown]
.LBB89_35:
	s_or_b32 exec_lo, exec_lo, s4
	v_mov_b32_e32 v4, s31
	s_waitcnt_vscnt null, 0x0
	s_barrier
	buffer_gl0_inv
	s_mov_b32 s4, exec_lo
	s_clause 0x3
	buffer_load_dword v1, v4, s[0:3], 0 offen
	buffer_load_dword v2, v4, s[0:3], 0 offen offset:4
	buffer_load_dword v3, v4, s[0:3], 0 offen offset:8
	;; [unrolled: 1-line block ×3, first 2 shown]
	s_waitcnt vmcnt(0)
	ds_write_b128 v57, v[1:4]
	s_waitcnt lgkmcnt(0)
	s_barrier
	buffer_gl0_inv
	v_cmpx_gt_u32_e32 6, v0
	s_cbranch_execz .LBB89_39
; %bb.36:
	v_mov_b32_e32 v1, 0
	v_mov_b32_e32 v3, 0
	v_add_nc_u32_e32 v59, -1, v0
	v_add_nc_u32_e32 v60, 0x1a0, v63
	v_mov_b32_e32 v2, 0
	v_mov_b32_e32 v4, 0
	v_add_nc_u32_e32 v61, 16, v63
	s_mov_b32 s5, 0
	.p2align	6
.LBB89_37:                              ; =>This Inner Loop Header: Depth=1
	s_clause 0x3
	buffer_load_dword v68, v61, s[0:3], 0 offen offset:8
	buffer_load_dword v69, v61, s[0:3], 0 offen offset:12
	buffer_load_dword v70, v61, s[0:3], 0 offen
	buffer_load_dword v71, v61, s[0:3], 0 offen offset:4
	ds_read_b128 v[64:67], v60
	v_add_nc_u32_e32 v59, 1, v59
	v_add_nc_u32_e32 v60, 16, v60
	;; [unrolled: 1-line block ×3, first 2 shown]
	v_cmp_lt_u32_e32 vcc_lo, 4, v59
	s_or_b32 s5, vcc_lo, s5
	s_waitcnt vmcnt(2) lgkmcnt(0)
	v_mul_f64 v[72:73], v[66:67], v[68:69]
	v_mul_f64 v[68:69], v[64:65], v[68:69]
	s_waitcnt vmcnt(0)
	v_fma_f64 v[64:65], v[64:65], v[70:71], -v[72:73]
	v_fma_f64 v[66:67], v[66:67], v[70:71], v[68:69]
	v_add_f64 v[3:4], v[3:4], v[64:65]
	v_add_f64 v[1:2], v[1:2], v[66:67]
	s_andn2_b32 exec_lo, exec_lo, s5
	s_cbranch_execnz .LBB89_37
; %bb.38:
	s_or_b32 exec_lo, exec_lo, s5
	v_mov_b32_e32 v59, 0
	ds_read_b128 v[59:62], v59 offset:96
	s_waitcnt lgkmcnt(0)
	v_mul_f64 v[64:65], v[1:2], v[61:62]
	v_mul_f64 v[61:62], v[3:4], v[61:62]
	v_fma_f64 v[3:4], v[3:4], v[59:60], -v[64:65]
	v_fma_f64 v[1:2], v[1:2], v[59:60], v[61:62]
	buffer_store_dword v4, off, s[0:3], 0 offset:116
	buffer_store_dword v3, off, s[0:3], 0 offset:112
	;; [unrolled: 1-line block ×4, first 2 shown]
.LBB89_39:
	s_or_b32 exec_lo, exec_lo, s4
	v_mov_b32_e32 v4, s30
	s_waitcnt_vscnt null, 0x0
	s_barrier
	buffer_gl0_inv
	s_mov_b32 s4, exec_lo
	s_clause 0x3
	buffer_load_dword v1, v4, s[0:3], 0 offen
	buffer_load_dword v2, v4, s[0:3], 0 offen offset:4
	buffer_load_dword v3, v4, s[0:3], 0 offen offset:8
	;; [unrolled: 1-line block ×3, first 2 shown]
	s_waitcnt vmcnt(0)
	ds_write_b128 v57, v[1:4]
	s_waitcnt lgkmcnt(0)
	s_barrier
	buffer_gl0_inv
	v_cmpx_gt_u32_e32 7, v0
	s_cbranch_execz .LBB89_43
; %bb.40:
	v_mov_b32_e32 v1, 0
	v_mov_b32_e32 v3, 0
	v_add_nc_u32_e32 v59, -1, v0
	v_add_nc_u32_e32 v60, 0x1a0, v63
	v_mov_b32_e32 v2, 0
	v_mov_b32_e32 v4, 0
	v_add_nc_u32_e32 v61, 16, v63
	s_mov_b32 s5, 0
	.p2align	6
.LBB89_41:                              ; =>This Inner Loop Header: Depth=1
	s_clause 0x3
	buffer_load_dword v68, v61, s[0:3], 0 offen offset:8
	buffer_load_dword v69, v61, s[0:3], 0 offen offset:12
	buffer_load_dword v70, v61, s[0:3], 0 offen
	buffer_load_dword v71, v61, s[0:3], 0 offen offset:4
	ds_read_b128 v[64:67], v60
	v_add_nc_u32_e32 v59, 1, v59
	v_add_nc_u32_e32 v60, 16, v60
	;; [unrolled: 1-line block ×3, first 2 shown]
	v_cmp_lt_u32_e32 vcc_lo, 5, v59
	s_or_b32 s5, vcc_lo, s5
	s_waitcnt vmcnt(2) lgkmcnt(0)
	v_mul_f64 v[72:73], v[66:67], v[68:69]
	v_mul_f64 v[68:69], v[64:65], v[68:69]
	s_waitcnt vmcnt(0)
	v_fma_f64 v[64:65], v[64:65], v[70:71], -v[72:73]
	v_fma_f64 v[66:67], v[66:67], v[70:71], v[68:69]
	v_add_f64 v[3:4], v[3:4], v[64:65]
	v_add_f64 v[1:2], v[1:2], v[66:67]
	s_andn2_b32 exec_lo, exec_lo, s5
	s_cbranch_execnz .LBB89_41
; %bb.42:
	s_or_b32 exec_lo, exec_lo, s5
	v_mov_b32_e32 v59, 0
	ds_read_b128 v[59:62], v59 offset:112
	s_waitcnt lgkmcnt(0)
	v_mul_f64 v[64:65], v[1:2], v[61:62]
	v_mul_f64 v[61:62], v[3:4], v[61:62]
	v_fma_f64 v[3:4], v[3:4], v[59:60], -v[64:65]
	v_fma_f64 v[1:2], v[1:2], v[59:60], v[61:62]
	buffer_store_dword v4, off, s[0:3], 0 offset:132
	buffer_store_dword v3, off, s[0:3], 0 offset:128
	;; [unrolled: 1-line block ×4, first 2 shown]
.LBB89_43:
	s_or_b32 exec_lo, exec_lo, s4
	v_mov_b32_e32 v4, s29
	s_waitcnt_vscnt null, 0x0
	s_barrier
	buffer_gl0_inv
	s_mov_b32 s4, exec_lo
	s_clause 0x3
	buffer_load_dword v1, v4, s[0:3], 0 offen
	buffer_load_dword v2, v4, s[0:3], 0 offen offset:4
	buffer_load_dword v3, v4, s[0:3], 0 offen offset:8
	;; [unrolled: 1-line block ×3, first 2 shown]
	s_waitcnt vmcnt(0)
	ds_write_b128 v57, v[1:4]
	s_waitcnt lgkmcnt(0)
	s_barrier
	buffer_gl0_inv
	v_cmpx_gt_u32_e32 8, v0
	s_cbranch_execz .LBB89_47
; %bb.44:
	v_mov_b32_e32 v1, 0
	v_mov_b32_e32 v3, 0
	v_add_nc_u32_e32 v59, -1, v0
	v_add_nc_u32_e32 v60, 0x1a0, v63
	v_mov_b32_e32 v2, 0
	v_mov_b32_e32 v4, 0
	v_add_nc_u32_e32 v61, 16, v63
	s_mov_b32 s5, 0
	.p2align	6
.LBB89_45:                              ; =>This Inner Loop Header: Depth=1
	s_clause 0x3
	buffer_load_dword v68, v61, s[0:3], 0 offen offset:8
	buffer_load_dword v69, v61, s[0:3], 0 offen offset:12
	buffer_load_dword v70, v61, s[0:3], 0 offen
	buffer_load_dword v71, v61, s[0:3], 0 offen offset:4
	ds_read_b128 v[64:67], v60
	v_add_nc_u32_e32 v59, 1, v59
	v_add_nc_u32_e32 v60, 16, v60
	;; [unrolled: 1-line block ×3, first 2 shown]
	v_cmp_lt_u32_e32 vcc_lo, 6, v59
	s_or_b32 s5, vcc_lo, s5
	s_waitcnt vmcnt(2) lgkmcnt(0)
	v_mul_f64 v[72:73], v[66:67], v[68:69]
	v_mul_f64 v[68:69], v[64:65], v[68:69]
	s_waitcnt vmcnt(0)
	v_fma_f64 v[64:65], v[64:65], v[70:71], -v[72:73]
	v_fma_f64 v[66:67], v[66:67], v[70:71], v[68:69]
	v_add_f64 v[3:4], v[3:4], v[64:65]
	v_add_f64 v[1:2], v[1:2], v[66:67]
	s_andn2_b32 exec_lo, exec_lo, s5
	s_cbranch_execnz .LBB89_45
; %bb.46:
	s_or_b32 exec_lo, exec_lo, s5
	v_mov_b32_e32 v59, 0
	ds_read_b128 v[59:62], v59 offset:128
	s_waitcnt lgkmcnt(0)
	v_mul_f64 v[64:65], v[1:2], v[61:62]
	v_mul_f64 v[61:62], v[3:4], v[61:62]
	v_fma_f64 v[3:4], v[3:4], v[59:60], -v[64:65]
	v_fma_f64 v[1:2], v[1:2], v[59:60], v[61:62]
	buffer_store_dword v4, off, s[0:3], 0 offset:148
	buffer_store_dword v3, off, s[0:3], 0 offset:144
	;; [unrolled: 1-line block ×4, first 2 shown]
.LBB89_47:
	s_or_b32 exec_lo, exec_lo, s4
	v_mov_b32_e32 v4, s28
	s_waitcnt_vscnt null, 0x0
	s_barrier
	buffer_gl0_inv
	s_mov_b32 s4, exec_lo
	s_clause 0x3
	buffer_load_dword v1, v4, s[0:3], 0 offen
	buffer_load_dword v2, v4, s[0:3], 0 offen offset:4
	buffer_load_dword v3, v4, s[0:3], 0 offen offset:8
	;; [unrolled: 1-line block ×3, first 2 shown]
	s_waitcnt vmcnt(0)
	ds_write_b128 v57, v[1:4]
	s_waitcnt lgkmcnt(0)
	s_barrier
	buffer_gl0_inv
	v_cmpx_gt_u32_e32 9, v0
	s_cbranch_execz .LBB89_51
; %bb.48:
	v_mov_b32_e32 v1, 0
	v_mov_b32_e32 v3, 0
	v_add_nc_u32_e32 v59, -1, v0
	v_add_nc_u32_e32 v60, 0x1a0, v63
	v_mov_b32_e32 v2, 0
	v_mov_b32_e32 v4, 0
	v_add_nc_u32_e32 v61, 16, v63
	s_mov_b32 s5, 0
	.p2align	6
.LBB89_49:                              ; =>This Inner Loop Header: Depth=1
	s_clause 0x3
	buffer_load_dword v68, v61, s[0:3], 0 offen offset:8
	buffer_load_dword v69, v61, s[0:3], 0 offen offset:12
	buffer_load_dword v70, v61, s[0:3], 0 offen
	buffer_load_dword v71, v61, s[0:3], 0 offen offset:4
	ds_read_b128 v[64:67], v60
	v_add_nc_u32_e32 v59, 1, v59
	v_add_nc_u32_e32 v60, 16, v60
	;; [unrolled: 1-line block ×3, first 2 shown]
	v_cmp_lt_u32_e32 vcc_lo, 7, v59
	s_or_b32 s5, vcc_lo, s5
	s_waitcnt vmcnt(2) lgkmcnt(0)
	v_mul_f64 v[72:73], v[66:67], v[68:69]
	v_mul_f64 v[68:69], v[64:65], v[68:69]
	s_waitcnt vmcnt(0)
	v_fma_f64 v[64:65], v[64:65], v[70:71], -v[72:73]
	v_fma_f64 v[66:67], v[66:67], v[70:71], v[68:69]
	v_add_f64 v[3:4], v[3:4], v[64:65]
	v_add_f64 v[1:2], v[1:2], v[66:67]
	s_andn2_b32 exec_lo, exec_lo, s5
	s_cbranch_execnz .LBB89_49
; %bb.50:
	s_or_b32 exec_lo, exec_lo, s5
	v_mov_b32_e32 v59, 0
	ds_read_b128 v[59:62], v59 offset:144
	s_waitcnt lgkmcnt(0)
	v_mul_f64 v[64:65], v[1:2], v[61:62]
	v_mul_f64 v[61:62], v[3:4], v[61:62]
	v_fma_f64 v[3:4], v[3:4], v[59:60], -v[64:65]
	v_fma_f64 v[1:2], v[1:2], v[59:60], v[61:62]
	buffer_store_dword v4, off, s[0:3], 0 offset:164
	buffer_store_dword v3, off, s[0:3], 0 offset:160
	;; [unrolled: 1-line block ×4, first 2 shown]
.LBB89_51:
	s_or_b32 exec_lo, exec_lo, s4
	v_mov_b32_e32 v4, s27
	s_waitcnt_vscnt null, 0x0
	s_barrier
	buffer_gl0_inv
	s_mov_b32 s4, exec_lo
	s_clause 0x3
	buffer_load_dword v1, v4, s[0:3], 0 offen
	buffer_load_dword v2, v4, s[0:3], 0 offen offset:4
	buffer_load_dword v3, v4, s[0:3], 0 offen offset:8
	;; [unrolled: 1-line block ×3, first 2 shown]
	s_waitcnt vmcnt(0)
	ds_write_b128 v57, v[1:4]
	s_waitcnt lgkmcnt(0)
	s_barrier
	buffer_gl0_inv
	v_cmpx_gt_u32_e32 10, v0
	s_cbranch_execz .LBB89_55
; %bb.52:
	v_mov_b32_e32 v1, 0
	v_mov_b32_e32 v3, 0
	v_add_nc_u32_e32 v59, -1, v0
	v_add_nc_u32_e32 v60, 0x1a0, v63
	v_mov_b32_e32 v2, 0
	v_mov_b32_e32 v4, 0
	v_add_nc_u32_e32 v61, 16, v63
	s_mov_b32 s5, 0
	.p2align	6
.LBB89_53:                              ; =>This Inner Loop Header: Depth=1
	s_clause 0x3
	buffer_load_dword v68, v61, s[0:3], 0 offen offset:8
	buffer_load_dword v69, v61, s[0:3], 0 offen offset:12
	buffer_load_dword v70, v61, s[0:3], 0 offen
	buffer_load_dword v71, v61, s[0:3], 0 offen offset:4
	ds_read_b128 v[64:67], v60
	v_add_nc_u32_e32 v59, 1, v59
	v_add_nc_u32_e32 v60, 16, v60
	;; [unrolled: 1-line block ×3, first 2 shown]
	v_cmp_lt_u32_e32 vcc_lo, 8, v59
	s_or_b32 s5, vcc_lo, s5
	s_waitcnt vmcnt(2) lgkmcnt(0)
	v_mul_f64 v[72:73], v[66:67], v[68:69]
	v_mul_f64 v[68:69], v[64:65], v[68:69]
	s_waitcnt vmcnt(0)
	v_fma_f64 v[64:65], v[64:65], v[70:71], -v[72:73]
	v_fma_f64 v[66:67], v[66:67], v[70:71], v[68:69]
	v_add_f64 v[3:4], v[3:4], v[64:65]
	v_add_f64 v[1:2], v[1:2], v[66:67]
	s_andn2_b32 exec_lo, exec_lo, s5
	s_cbranch_execnz .LBB89_53
; %bb.54:
	s_or_b32 exec_lo, exec_lo, s5
	v_mov_b32_e32 v59, 0
	ds_read_b128 v[59:62], v59 offset:160
	s_waitcnt lgkmcnt(0)
	v_mul_f64 v[64:65], v[1:2], v[61:62]
	v_mul_f64 v[61:62], v[3:4], v[61:62]
	v_fma_f64 v[3:4], v[3:4], v[59:60], -v[64:65]
	v_fma_f64 v[1:2], v[1:2], v[59:60], v[61:62]
	buffer_store_dword v4, off, s[0:3], 0 offset:180
	buffer_store_dword v3, off, s[0:3], 0 offset:176
	;; [unrolled: 1-line block ×4, first 2 shown]
.LBB89_55:
	s_or_b32 exec_lo, exec_lo, s4
	v_mov_b32_e32 v4, s26
	s_waitcnt_vscnt null, 0x0
	s_barrier
	buffer_gl0_inv
	s_mov_b32 s4, exec_lo
	s_clause 0x3
	buffer_load_dword v1, v4, s[0:3], 0 offen
	buffer_load_dword v2, v4, s[0:3], 0 offen offset:4
	buffer_load_dword v3, v4, s[0:3], 0 offen offset:8
	;; [unrolled: 1-line block ×3, first 2 shown]
	s_waitcnt vmcnt(0)
	ds_write_b128 v57, v[1:4]
	s_waitcnt lgkmcnt(0)
	s_barrier
	buffer_gl0_inv
	v_cmpx_gt_u32_e32 11, v0
	s_cbranch_execz .LBB89_59
; %bb.56:
	v_mov_b32_e32 v1, 0
	v_mov_b32_e32 v3, 0
	v_add_nc_u32_e32 v59, -1, v0
	v_add_nc_u32_e32 v60, 0x1a0, v63
	v_mov_b32_e32 v2, 0
	v_mov_b32_e32 v4, 0
	v_add_nc_u32_e32 v61, 16, v63
	s_mov_b32 s5, 0
	.p2align	6
.LBB89_57:                              ; =>This Inner Loop Header: Depth=1
	s_clause 0x3
	buffer_load_dword v68, v61, s[0:3], 0 offen offset:8
	buffer_load_dword v69, v61, s[0:3], 0 offen offset:12
	buffer_load_dword v70, v61, s[0:3], 0 offen
	buffer_load_dword v71, v61, s[0:3], 0 offen offset:4
	ds_read_b128 v[64:67], v60
	v_add_nc_u32_e32 v59, 1, v59
	v_add_nc_u32_e32 v60, 16, v60
	;; [unrolled: 1-line block ×3, first 2 shown]
	v_cmp_lt_u32_e32 vcc_lo, 9, v59
	s_or_b32 s5, vcc_lo, s5
	s_waitcnt vmcnt(2) lgkmcnt(0)
	v_mul_f64 v[72:73], v[66:67], v[68:69]
	v_mul_f64 v[68:69], v[64:65], v[68:69]
	s_waitcnt vmcnt(0)
	v_fma_f64 v[64:65], v[64:65], v[70:71], -v[72:73]
	v_fma_f64 v[66:67], v[66:67], v[70:71], v[68:69]
	v_add_f64 v[3:4], v[3:4], v[64:65]
	v_add_f64 v[1:2], v[1:2], v[66:67]
	s_andn2_b32 exec_lo, exec_lo, s5
	s_cbranch_execnz .LBB89_57
; %bb.58:
	s_or_b32 exec_lo, exec_lo, s5
	v_mov_b32_e32 v59, 0
	ds_read_b128 v[59:62], v59 offset:176
	s_waitcnt lgkmcnt(0)
	v_mul_f64 v[64:65], v[1:2], v[61:62]
	v_mul_f64 v[61:62], v[3:4], v[61:62]
	v_fma_f64 v[3:4], v[3:4], v[59:60], -v[64:65]
	v_fma_f64 v[1:2], v[1:2], v[59:60], v[61:62]
	buffer_store_dword v4, off, s[0:3], 0 offset:196
	buffer_store_dword v3, off, s[0:3], 0 offset:192
	;; [unrolled: 1-line block ×4, first 2 shown]
.LBB89_59:
	s_or_b32 exec_lo, exec_lo, s4
	v_mov_b32_e32 v4, s25
	s_waitcnt_vscnt null, 0x0
	s_barrier
	buffer_gl0_inv
	s_mov_b32 s4, exec_lo
	s_clause 0x3
	buffer_load_dword v1, v4, s[0:3], 0 offen
	buffer_load_dword v2, v4, s[0:3], 0 offen offset:4
	buffer_load_dword v3, v4, s[0:3], 0 offen offset:8
	;; [unrolled: 1-line block ×3, first 2 shown]
	s_waitcnt vmcnt(0)
	ds_write_b128 v57, v[1:4]
	s_waitcnt lgkmcnt(0)
	s_barrier
	buffer_gl0_inv
	v_cmpx_gt_u32_e32 12, v0
	s_cbranch_execz .LBB89_63
; %bb.60:
	v_mov_b32_e32 v1, 0
	v_mov_b32_e32 v3, 0
	v_add_nc_u32_e32 v59, -1, v0
	v_add_nc_u32_e32 v60, 0x1a0, v63
	v_mov_b32_e32 v2, 0
	v_mov_b32_e32 v4, 0
	v_add_nc_u32_e32 v61, 16, v63
	s_mov_b32 s5, 0
	.p2align	6
.LBB89_61:                              ; =>This Inner Loop Header: Depth=1
	s_clause 0x3
	buffer_load_dword v68, v61, s[0:3], 0 offen offset:8
	buffer_load_dword v69, v61, s[0:3], 0 offen offset:12
	buffer_load_dword v70, v61, s[0:3], 0 offen
	buffer_load_dword v71, v61, s[0:3], 0 offen offset:4
	ds_read_b128 v[64:67], v60
	v_add_nc_u32_e32 v59, 1, v59
	v_add_nc_u32_e32 v60, 16, v60
	;; [unrolled: 1-line block ×3, first 2 shown]
	v_cmp_lt_u32_e32 vcc_lo, 10, v59
	s_or_b32 s5, vcc_lo, s5
	s_waitcnt vmcnt(2) lgkmcnt(0)
	v_mul_f64 v[72:73], v[66:67], v[68:69]
	v_mul_f64 v[68:69], v[64:65], v[68:69]
	s_waitcnt vmcnt(0)
	v_fma_f64 v[64:65], v[64:65], v[70:71], -v[72:73]
	v_fma_f64 v[66:67], v[66:67], v[70:71], v[68:69]
	v_add_f64 v[3:4], v[3:4], v[64:65]
	v_add_f64 v[1:2], v[1:2], v[66:67]
	s_andn2_b32 exec_lo, exec_lo, s5
	s_cbranch_execnz .LBB89_61
; %bb.62:
	s_or_b32 exec_lo, exec_lo, s5
	v_mov_b32_e32 v59, 0
	ds_read_b128 v[59:62], v59 offset:192
	s_waitcnt lgkmcnt(0)
	v_mul_f64 v[64:65], v[1:2], v[61:62]
	v_mul_f64 v[61:62], v[3:4], v[61:62]
	v_fma_f64 v[3:4], v[3:4], v[59:60], -v[64:65]
	v_fma_f64 v[1:2], v[1:2], v[59:60], v[61:62]
	buffer_store_dword v4, off, s[0:3], 0 offset:212
	buffer_store_dword v3, off, s[0:3], 0 offset:208
	;; [unrolled: 1-line block ×4, first 2 shown]
.LBB89_63:
	s_or_b32 exec_lo, exec_lo, s4
	v_mov_b32_e32 v4, s24
	s_waitcnt_vscnt null, 0x0
	s_barrier
	buffer_gl0_inv
	s_mov_b32 s4, exec_lo
	s_clause 0x3
	buffer_load_dword v1, v4, s[0:3], 0 offen
	buffer_load_dword v2, v4, s[0:3], 0 offen offset:4
	buffer_load_dword v3, v4, s[0:3], 0 offen offset:8
	;; [unrolled: 1-line block ×3, first 2 shown]
	s_waitcnt vmcnt(0)
	ds_write_b128 v57, v[1:4]
	s_waitcnt lgkmcnt(0)
	s_barrier
	buffer_gl0_inv
	v_cmpx_gt_u32_e32 13, v0
	s_cbranch_execz .LBB89_67
; %bb.64:
	v_mov_b32_e32 v1, 0
	v_mov_b32_e32 v3, 0
	v_add_nc_u32_e32 v59, -1, v0
	v_add_nc_u32_e32 v60, 0x1a0, v63
	v_mov_b32_e32 v2, 0
	v_mov_b32_e32 v4, 0
	v_add_nc_u32_e32 v61, 16, v63
	s_mov_b32 s5, 0
	.p2align	6
.LBB89_65:                              ; =>This Inner Loop Header: Depth=1
	s_clause 0x3
	buffer_load_dword v68, v61, s[0:3], 0 offen offset:8
	buffer_load_dword v69, v61, s[0:3], 0 offen offset:12
	buffer_load_dword v70, v61, s[0:3], 0 offen
	buffer_load_dword v71, v61, s[0:3], 0 offen offset:4
	ds_read_b128 v[64:67], v60
	v_add_nc_u32_e32 v59, 1, v59
	v_add_nc_u32_e32 v60, 16, v60
	v_add_nc_u32_e32 v61, 16, v61
	v_cmp_lt_u32_e32 vcc_lo, 11, v59
	s_or_b32 s5, vcc_lo, s5
	s_waitcnt vmcnt(2) lgkmcnt(0)
	v_mul_f64 v[72:73], v[66:67], v[68:69]
	v_mul_f64 v[68:69], v[64:65], v[68:69]
	s_waitcnt vmcnt(0)
	v_fma_f64 v[64:65], v[64:65], v[70:71], -v[72:73]
	v_fma_f64 v[66:67], v[66:67], v[70:71], v[68:69]
	v_add_f64 v[3:4], v[3:4], v[64:65]
	v_add_f64 v[1:2], v[1:2], v[66:67]
	s_andn2_b32 exec_lo, exec_lo, s5
	s_cbranch_execnz .LBB89_65
; %bb.66:
	s_or_b32 exec_lo, exec_lo, s5
	v_mov_b32_e32 v59, 0
	ds_read_b128 v[59:62], v59 offset:208
	s_waitcnt lgkmcnt(0)
	v_mul_f64 v[64:65], v[1:2], v[61:62]
	v_mul_f64 v[61:62], v[3:4], v[61:62]
	v_fma_f64 v[3:4], v[3:4], v[59:60], -v[64:65]
	v_fma_f64 v[1:2], v[1:2], v[59:60], v[61:62]
	buffer_store_dword v4, off, s[0:3], 0 offset:228
	buffer_store_dword v3, off, s[0:3], 0 offset:224
	;; [unrolled: 1-line block ×4, first 2 shown]
.LBB89_67:
	s_or_b32 exec_lo, exec_lo, s4
	v_mov_b32_e32 v4, s23
	s_waitcnt_vscnt null, 0x0
	s_barrier
	buffer_gl0_inv
	s_mov_b32 s4, exec_lo
	s_clause 0x3
	buffer_load_dword v1, v4, s[0:3], 0 offen
	buffer_load_dword v2, v4, s[0:3], 0 offen offset:4
	buffer_load_dword v3, v4, s[0:3], 0 offen offset:8
	;; [unrolled: 1-line block ×3, first 2 shown]
	s_waitcnt vmcnt(0)
	ds_write_b128 v57, v[1:4]
	s_waitcnt lgkmcnt(0)
	s_barrier
	buffer_gl0_inv
	v_cmpx_gt_u32_e32 14, v0
	s_cbranch_execz .LBB89_71
; %bb.68:
	v_mov_b32_e32 v1, 0
	v_mov_b32_e32 v3, 0
	v_add_nc_u32_e32 v59, -1, v0
	v_add_nc_u32_e32 v60, 0x1a0, v63
	v_mov_b32_e32 v2, 0
	v_mov_b32_e32 v4, 0
	v_add_nc_u32_e32 v61, 16, v63
	s_mov_b32 s5, 0
	.p2align	6
.LBB89_69:                              ; =>This Inner Loop Header: Depth=1
	s_clause 0x3
	buffer_load_dword v68, v61, s[0:3], 0 offen offset:8
	buffer_load_dword v69, v61, s[0:3], 0 offen offset:12
	buffer_load_dword v70, v61, s[0:3], 0 offen
	buffer_load_dword v71, v61, s[0:3], 0 offen offset:4
	ds_read_b128 v[64:67], v60
	v_add_nc_u32_e32 v59, 1, v59
	v_add_nc_u32_e32 v60, 16, v60
	;; [unrolled: 1-line block ×3, first 2 shown]
	v_cmp_lt_u32_e32 vcc_lo, 12, v59
	s_or_b32 s5, vcc_lo, s5
	s_waitcnt vmcnt(2) lgkmcnt(0)
	v_mul_f64 v[72:73], v[66:67], v[68:69]
	v_mul_f64 v[68:69], v[64:65], v[68:69]
	s_waitcnt vmcnt(0)
	v_fma_f64 v[64:65], v[64:65], v[70:71], -v[72:73]
	v_fma_f64 v[66:67], v[66:67], v[70:71], v[68:69]
	v_add_f64 v[3:4], v[3:4], v[64:65]
	v_add_f64 v[1:2], v[1:2], v[66:67]
	s_andn2_b32 exec_lo, exec_lo, s5
	s_cbranch_execnz .LBB89_69
; %bb.70:
	s_or_b32 exec_lo, exec_lo, s5
	v_mov_b32_e32 v59, 0
	ds_read_b128 v[59:62], v59 offset:224
	s_waitcnt lgkmcnt(0)
	v_mul_f64 v[64:65], v[1:2], v[61:62]
	v_mul_f64 v[61:62], v[3:4], v[61:62]
	v_fma_f64 v[3:4], v[3:4], v[59:60], -v[64:65]
	v_fma_f64 v[1:2], v[1:2], v[59:60], v[61:62]
	buffer_store_dword v4, off, s[0:3], 0 offset:244
	buffer_store_dword v3, off, s[0:3], 0 offset:240
	;; [unrolled: 1-line block ×4, first 2 shown]
.LBB89_71:
	s_or_b32 exec_lo, exec_lo, s4
	v_mov_b32_e32 v4, s22
	s_waitcnt_vscnt null, 0x0
	s_barrier
	buffer_gl0_inv
	s_mov_b32 s4, exec_lo
	s_clause 0x3
	buffer_load_dword v1, v4, s[0:3], 0 offen
	buffer_load_dword v2, v4, s[0:3], 0 offen offset:4
	buffer_load_dword v3, v4, s[0:3], 0 offen offset:8
	;; [unrolled: 1-line block ×3, first 2 shown]
	s_waitcnt vmcnt(0)
	ds_write_b128 v57, v[1:4]
	s_waitcnt lgkmcnt(0)
	s_barrier
	buffer_gl0_inv
	v_cmpx_gt_u32_e32 15, v0
	s_cbranch_execz .LBB89_75
; %bb.72:
	v_mov_b32_e32 v1, 0
	v_mov_b32_e32 v3, 0
	v_add_nc_u32_e32 v59, -1, v0
	v_add_nc_u32_e32 v60, 0x1a0, v63
	v_mov_b32_e32 v2, 0
	v_mov_b32_e32 v4, 0
	v_add_nc_u32_e32 v61, 16, v63
	s_mov_b32 s5, 0
	.p2align	6
.LBB89_73:                              ; =>This Inner Loop Header: Depth=1
	s_clause 0x3
	buffer_load_dword v68, v61, s[0:3], 0 offen offset:8
	buffer_load_dword v69, v61, s[0:3], 0 offen offset:12
	buffer_load_dword v70, v61, s[0:3], 0 offen
	buffer_load_dword v71, v61, s[0:3], 0 offen offset:4
	ds_read_b128 v[64:67], v60
	v_add_nc_u32_e32 v59, 1, v59
	v_add_nc_u32_e32 v60, 16, v60
	;; [unrolled: 1-line block ×3, first 2 shown]
	v_cmp_lt_u32_e32 vcc_lo, 13, v59
	s_or_b32 s5, vcc_lo, s5
	s_waitcnt vmcnt(2) lgkmcnt(0)
	v_mul_f64 v[72:73], v[66:67], v[68:69]
	v_mul_f64 v[68:69], v[64:65], v[68:69]
	s_waitcnt vmcnt(0)
	v_fma_f64 v[64:65], v[64:65], v[70:71], -v[72:73]
	v_fma_f64 v[66:67], v[66:67], v[70:71], v[68:69]
	v_add_f64 v[3:4], v[3:4], v[64:65]
	v_add_f64 v[1:2], v[1:2], v[66:67]
	s_andn2_b32 exec_lo, exec_lo, s5
	s_cbranch_execnz .LBB89_73
; %bb.74:
	s_or_b32 exec_lo, exec_lo, s5
	v_mov_b32_e32 v59, 0
	ds_read_b128 v[59:62], v59 offset:240
	s_waitcnt lgkmcnt(0)
	v_mul_f64 v[64:65], v[1:2], v[61:62]
	v_mul_f64 v[61:62], v[3:4], v[61:62]
	v_fma_f64 v[3:4], v[3:4], v[59:60], -v[64:65]
	v_fma_f64 v[1:2], v[1:2], v[59:60], v[61:62]
	buffer_store_dword v4, off, s[0:3], 0 offset:260
	buffer_store_dword v3, off, s[0:3], 0 offset:256
	;; [unrolled: 1-line block ×4, first 2 shown]
.LBB89_75:
	s_or_b32 exec_lo, exec_lo, s4
	v_mov_b32_e32 v4, s21
	s_waitcnt_vscnt null, 0x0
	s_barrier
	buffer_gl0_inv
	s_mov_b32 s4, exec_lo
	s_clause 0x3
	buffer_load_dword v1, v4, s[0:3], 0 offen
	buffer_load_dword v2, v4, s[0:3], 0 offen offset:4
	buffer_load_dword v3, v4, s[0:3], 0 offen offset:8
	;; [unrolled: 1-line block ×3, first 2 shown]
	s_waitcnt vmcnt(0)
	ds_write_b128 v57, v[1:4]
	s_waitcnt lgkmcnt(0)
	s_barrier
	buffer_gl0_inv
	v_cmpx_gt_u32_e32 16, v0
	s_cbranch_execz .LBB89_79
; %bb.76:
	v_mov_b32_e32 v1, 0
	v_mov_b32_e32 v3, 0
	v_add_nc_u32_e32 v59, -1, v0
	v_add_nc_u32_e32 v60, 0x1a0, v63
	v_mov_b32_e32 v2, 0
	v_mov_b32_e32 v4, 0
	v_add_nc_u32_e32 v61, 16, v63
	s_mov_b32 s5, 0
	.p2align	6
.LBB89_77:                              ; =>This Inner Loop Header: Depth=1
	s_clause 0x3
	buffer_load_dword v68, v61, s[0:3], 0 offen offset:8
	buffer_load_dword v69, v61, s[0:3], 0 offen offset:12
	buffer_load_dword v70, v61, s[0:3], 0 offen
	buffer_load_dword v71, v61, s[0:3], 0 offen offset:4
	ds_read_b128 v[64:67], v60
	v_add_nc_u32_e32 v59, 1, v59
	v_add_nc_u32_e32 v60, 16, v60
	;; [unrolled: 1-line block ×3, first 2 shown]
	v_cmp_lt_u32_e32 vcc_lo, 14, v59
	s_or_b32 s5, vcc_lo, s5
	s_waitcnt vmcnt(2) lgkmcnt(0)
	v_mul_f64 v[72:73], v[66:67], v[68:69]
	v_mul_f64 v[68:69], v[64:65], v[68:69]
	s_waitcnt vmcnt(0)
	v_fma_f64 v[64:65], v[64:65], v[70:71], -v[72:73]
	v_fma_f64 v[66:67], v[66:67], v[70:71], v[68:69]
	v_add_f64 v[3:4], v[3:4], v[64:65]
	v_add_f64 v[1:2], v[1:2], v[66:67]
	s_andn2_b32 exec_lo, exec_lo, s5
	s_cbranch_execnz .LBB89_77
; %bb.78:
	s_or_b32 exec_lo, exec_lo, s5
	v_mov_b32_e32 v59, 0
	ds_read_b128 v[59:62], v59 offset:256
	s_waitcnt lgkmcnt(0)
	v_mul_f64 v[64:65], v[1:2], v[61:62]
	v_mul_f64 v[61:62], v[3:4], v[61:62]
	v_fma_f64 v[3:4], v[3:4], v[59:60], -v[64:65]
	v_fma_f64 v[1:2], v[1:2], v[59:60], v[61:62]
	buffer_store_dword v4, off, s[0:3], 0 offset:276
	buffer_store_dword v3, off, s[0:3], 0 offset:272
	;; [unrolled: 1-line block ×4, first 2 shown]
.LBB89_79:
	s_or_b32 exec_lo, exec_lo, s4
	v_mov_b32_e32 v4, s20
	s_waitcnt_vscnt null, 0x0
	s_barrier
	buffer_gl0_inv
	s_mov_b32 s4, exec_lo
	s_clause 0x3
	buffer_load_dword v1, v4, s[0:3], 0 offen
	buffer_load_dword v2, v4, s[0:3], 0 offen offset:4
	buffer_load_dword v3, v4, s[0:3], 0 offen offset:8
	;; [unrolled: 1-line block ×3, first 2 shown]
	s_waitcnt vmcnt(0)
	ds_write_b128 v57, v[1:4]
	s_waitcnt lgkmcnt(0)
	s_barrier
	buffer_gl0_inv
	v_cmpx_gt_u32_e32 17, v0
	s_cbranch_execz .LBB89_83
; %bb.80:
	v_mov_b32_e32 v1, 0
	v_mov_b32_e32 v3, 0
	v_add_nc_u32_e32 v59, -1, v0
	v_add_nc_u32_e32 v60, 0x1a0, v63
	v_mov_b32_e32 v2, 0
	v_mov_b32_e32 v4, 0
	v_add_nc_u32_e32 v61, 16, v63
	s_mov_b32 s5, 0
	.p2align	6
.LBB89_81:                              ; =>This Inner Loop Header: Depth=1
	s_clause 0x3
	buffer_load_dword v68, v61, s[0:3], 0 offen offset:8
	buffer_load_dword v69, v61, s[0:3], 0 offen offset:12
	buffer_load_dword v70, v61, s[0:3], 0 offen
	buffer_load_dword v71, v61, s[0:3], 0 offen offset:4
	ds_read_b128 v[64:67], v60
	v_add_nc_u32_e32 v59, 1, v59
	v_add_nc_u32_e32 v60, 16, v60
	;; [unrolled: 1-line block ×3, first 2 shown]
	v_cmp_lt_u32_e32 vcc_lo, 15, v59
	s_or_b32 s5, vcc_lo, s5
	s_waitcnt vmcnt(2) lgkmcnt(0)
	v_mul_f64 v[72:73], v[66:67], v[68:69]
	v_mul_f64 v[68:69], v[64:65], v[68:69]
	s_waitcnt vmcnt(0)
	v_fma_f64 v[64:65], v[64:65], v[70:71], -v[72:73]
	v_fma_f64 v[66:67], v[66:67], v[70:71], v[68:69]
	v_add_f64 v[3:4], v[3:4], v[64:65]
	v_add_f64 v[1:2], v[1:2], v[66:67]
	s_andn2_b32 exec_lo, exec_lo, s5
	s_cbranch_execnz .LBB89_81
; %bb.82:
	s_or_b32 exec_lo, exec_lo, s5
	v_mov_b32_e32 v59, 0
	ds_read_b128 v[59:62], v59 offset:272
	s_waitcnt lgkmcnt(0)
	v_mul_f64 v[64:65], v[1:2], v[61:62]
	v_mul_f64 v[61:62], v[3:4], v[61:62]
	v_fma_f64 v[3:4], v[3:4], v[59:60], -v[64:65]
	v_fma_f64 v[1:2], v[1:2], v[59:60], v[61:62]
	buffer_store_dword v4, off, s[0:3], 0 offset:292
	buffer_store_dword v3, off, s[0:3], 0 offset:288
	;; [unrolled: 1-line block ×4, first 2 shown]
.LBB89_83:
	s_or_b32 exec_lo, exec_lo, s4
	v_mov_b32_e32 v4, s19
	s_waitcnt_vscnt null, 0x0
	s_barrier
	buffer_gl0_inv
	s_mov_b32 s4, exec_lo
	s_clause 0x3
	buffer_load_dword v1, v4, s[0:3], 0 offen
	buffer_load_dword v2, v4, s[0:3], 0 offen offset:4
	buffer_load_dword v3, v4, s[0:3], 0 offen offset:8
	buffer_load_dword v4, v4, s[0:3], 0 offen offset:12
	s_waitcnt vmcnt(0)
	ds_write_b128 v57, v[1:4]
	s_waitcnt lgkmcnt(0)
	s_barrier
	buffer_gl0_inv
	v_cmpx_gt_u32_e32 18, v0
	s_cbranch_execz .LBB89_87
; %bb.84:
	v_mov_b32_e32 v1, 0
	v_mov_b32_e32 v3, 0
	v_add_nc_u32_e32 v59, -1, v0
	v_add_nc_u32_e32 v60, 0x1a0, v63
	v_mov_b32_e32 v2, 0
	v_mov_b32_e32 v4, 0
	v_add_nc_u32_e32 v61, 16, v63
	s_mov_b32 s5, 0
	.p2align	6
.LBB89_85:                              ; =>This Inner Loop Header: Depth=1
	s_clause 0x3
	buffer_load_dword v68, v61, s[0:3], 0 offen offset:8
	buffer_load_dword v69, v61, s[0:3], 0 offen offset:12
	buffer_load_dword v70, v61, s[0:3], 0 offen
	buffer_load_dword v71, v61, s[0:3], 0 offen offset:4
	ds_read_b128 v[64:67], v60
	v_add_nc_u32_e32 v59, 1, v59
	v_add_nc_u32_e32 v60, 16, v60
	;; [unrolled: 1-line block ×3, first 2 shown]
	v_cmp_lt_u32_e32 vcc_lo, 16, v59
	s_or_b32 s5, vcc_lo, s5
	s_waitcnt vmcnt(2) lgkmcnt(0)
	v_mul_f64 v[72:73], v[66:67], v[68:69]
	v_mul_f64 v[68:69], v[64:65], v[68:69]
	s_waitcnt vmcnt(0)
	v_fma_f64 v[64:65], v[64:65], v[70:71], -v[72:73]
	v_fma_f64 v[66:67], v[66:67], v[70:71], v[68:69]
	v_add_f64 v[3:4], v[3:4], v[64:65]
	v_add_f64 v[1:2], v[1:2], v[66:67]
	s_andn2_b32 exec_lo, exec_lo, s5
	s_cbranch_execnz .LBB89_85
; %bb.86:
	s_or_b32 exec_lo, exec_lo, s5
	v_mov_b32_e32 v59, 0
	ds_read_b128 v[59:62], v59 offset:288
	s_waitcnt lgkmcnt(0)
	v_mul_f64 v[64:65], v[1:2], v[61:62]
	v_mul_f64 v[61:62], v[3:4], v[61:62]
	v_fma_f64 v[3:4], v[3:4], v[59:60], -v[64:65]
	v_fma_f64 v[1:2], v[1:2], v[59:60], v[61:62]
	buffer_store_dword v4, off, s[0:3], 0 offset:308
	buffer_store_dword v3, off, s[0:3], 0 offset:304
	buffer_store_dword v2, off, s[0:3], 0 offset:316
	buffer_store_dword v1, off, s[0:3], 0 offset:312
.LBB89_87:
	s_or_b32 exec_lo, exec_lo, s4
	v_mov_b32_e32 v4, s18
	s_waitcnt_vscnt null, 0x0
	s_barrier
	buffer_gl0_inv
	s_mov_b32 s4, exec_lo
	s_clause 0x3
	buffer_load_dword v1, v4, s[0:3], 0 offen
	buffer_load_dword v2, v4, s[0:3], 0 offen offset:4
	buffer_load_dword v3, v4, s[0:3], 0 offen offset:8
	;; [unrolled: 1-line block ×3, first 2 shown]
	s_waitcnt vmcnt(0)
	ds_write_b128 v57, v[1:4]
	s_waitcnt lgkmcnt(0)
	s_barrier
	buffer_gl0_inv
	v_cmpx_gt_u32_e32 19, v0
	s_cbranch_execz .LBB89_91
; %bb.88:
	v_mov_b32_e32 v1, 0
	v_mov_b32_e32 v3, 0
	v_add_nc_u32_e32 v59, -1, v0
	v_add_nc_u32_e32 v60, 0x1a0, v63
	v_mov_b32_e32 v2, 0
	v_mov_b32_e32 v4, 0
	v_add_nc_u32_e32 v61, 16, v63
	s_mov_b32 s5, 0
	.p2align	6
.LBB89_89:                              ; =>This Inner Loop Header: Depth=1
	s_clause 0x3
	buffer_load_dword v68, v61, s[0:3], 0 offen offset:8
	buffer_load_dword v69, v61, s[0:3], 0 offen offset:12
	buffer_load_dword v70, v61, s[0:3], 0 offen
	buffer_load_dword v71, v61, s[0:3], 0 offen offset:4
	ds_read_b128 v[64:67], v60
	v_add_nc_u32_e32 v59, 1, v59
	v_add_nc_u32_e32 v60, 16, v60
	;; [unrolled: 1-line block ×3, first 2 shown]
	v_cmp_lt_u32_e32 vcc_lo, 17, v59
	s_or_b32 s5, vcc_lo, s5
	s_waitcnt vmcnt(2) lgkmcnt(0)
	v_mul_f64 v[72:73], v[66:67], v[68:69]
	v_mul_f64 v[68:69], v[64:65], v[68:69]
	s_waitcnt vmcnt(0)
	v_fma_f64 v[64:65], v[64:65], v[70:71], -v[72:73]
	v_fma_f64 v[66:67], v[66:67], v[70:71], v[68:69]
	v_add_f64 v[3:4], v[3:4], v[64:65]
	v_add_f64 v[1:2], v[1:2], v[66:67]
	s_andn2_b32 exec_lo, exec_lo, s5
	s_cbranch_execnz .LBB89_89
; %bb.90:
	s_or_b32 exec_lo, exec_lo, s5
	v_mov_b32_e32 v59, 0
	ds_read_b128 v[59:62], v59 offset:304
	s_waitcnt lgkmcnt(0)
	v_mul_f64 v[64:65], v[1:2], v[61:62]
	v_mul_f64 v[61:62], v[3:4], v[61:62]
	v_fma_f64 v[3:4], v[3:4], v[59:60], -v[64:65]
	v_fma_f64 v[1:2], v[1:2], v[59:60], v[61:62]
	buffer_store_dword v4, off, s[0:3], 0 offset:324
	buffer_store_dword v3, off, s[0:3], 0 offset:320
	;; [unrolled: 1-line block ×4, first 2 shown]
.LBB89_91:
	s_or_b32 exec_lo, exec_lo, s4
	v_mov_b32_e32 v4, s17
	s_waitcnt_vscnt null, 0x0
	s_barrier
	buffer_gl0_inv
	s_mov_b32 s4, exec_lo
	s_clause 0x3
	buffer_load_dword v1, v4, s[0:3], 0 offen
	buffer_load_dword v2, v4, s[0:3], 0 offen offset:4
	buffer_load_dword v3, v4, s[0:3], 0 offen offset:8
	buffer_load_dword v4, v4, s[0:3], 0 offen offset:12
	s_waitcnt vmcnt(0)
	ds_write_b128 v57, v[1:4]
	s_waitcnt lgkmcnt(0)
	s_barrier
	buffer_gl0_inv
	v_cmpx_gt_u32_e32 20, v0
	s_cbranch_execz .LBB89_95
; %bb.92:
	v_mov_b32_e32 v1, 0
	v_mov_b32_e32 v3, 0
	v_add_nc_u32_e32 v59, -1, v0
	v_add_nc_u32_e32 v60, 0x1a0, v63
	v_mov_b32_e32 v2, 0
	v_mov_b32_e32 v4, 0
	v_add_nc_u32_e32 v61, 16, v63
	s_mov_b32 s5, 0
	.p2align	6
.LBB89_93:                              ; =>This Inner Loop Header: Depth=1
	s_clause 0x3
	buffer_load_dword v68, v61, s[0:3], 0 offen offset:8
	buffer_load_dword v69, v61, s[0:3], 0 offen offset:12
	buffer_load_dword v70, v61, s[0:3], 0 offen
	buffer_load_dword v71, v61, s[0:3], 0 offen offset:4
	ds_read_b128 v[64:67], v60
	v_add_nc_u32_e32 v59, 1, v59
	v_add_nc_u32_e32 v60, 16, v60
	v_add_nc_u32_e32 v61, 16, v61
	v_cmp_lt_u32_e32 vcc_lo, 18, v59
	s_or_b32 s5, vcc_lo, s5
	s_waitcnt vmcnt(2) lgkmcnt(0)
	v_mul_f64 v[72:73], v[66:67], v[68:69]
	v_mul_f64 v[68:69], v[64:65], v[68:69]
	s_waitcnt vmcnt(0)
	v_fma_f64 v[64:65], v[64:65], v[70:71], -v[72:73]
	v_fma_f64 v[66:67], v[66:67], v[70:71], v[68:69]
	v_add_f64 v[3:4], v[3:4], v[64:65]
	v_add_f64 v[1:2], v[1:2], v[66:67]
	s_andn2_b32 exec_lo, exec_lo, s5
	s_cbranch_execnz .LBB89_93
; %bb.94:
	s_or_b32 exec_lo, exec_lo, s5
	v_mov_b32_e32 v59, 0
	ds_read_b128 v[59:62], v59 offset:320
	s_waitcnt lgkmcnt(0)
	v_mul_f64 v[64:65], v[1:2], v[61:62]
	v_mul_f64 v[61:62], v[3:4], v[61:62]
	v_fma_f64 v[3:4], v[3:4], v[59:60], -v[64:65]
	v_fma_f64 v[1:2], v[1:2], v[59:60], v[61:62]
	buffer_store_dword v4, off, s[0:3], 0 offset:340
	buffer_store_dword v3, off, s[0:3], 0 offset:336
	;; [unrolled: 1-line block ×4, first 2 shown]
.LBB89_95:
	s_or_b32 exec_lo, exec_lo, s4
	v_mov_b32_e32 v4, s16
	s_waitcnt_vscnt null, 0x0
	s_barrier
	buffer_gl0_inv
	s_mov_b32 s4, exec_lo
	s_clause 0x3
	buffer_load_dword v1, v4, s[0:3], 0 offen
	buffer_load_dword v2, v4, s[0:3], 0 offen offset:4
	buffer_load_dword v3, v4, s[0:3], 0 offen offset:8
	;; [unrolled: 1-line block ×3, first 2 shown]
	s_waitcnt vmcnt(0)
	ds_write_b128 v57, v[1:4]
	s_waitcnt lgkmcnt(0)
	s_barrier
	buffer_gl0_inv
	v_cmpx_gt_u32_e32 21, v0
	s_cbranch_execz .LBB89_99
; %bb.96:
	v_mov_b32_e32 v1, 0
	v_mov_b32_e32 v3, 0
	v_add_nc_u32_e32 v59, -1, v0
	v_add_nc_u32_e32 v60, 0x1a0, v63
	v_mov_b32_e32 v2, 0
	v_mov_b32_e32 v4, 0
	v_add_nc_u32_e32 v61, 16, v63
	s_mov_b32 s5, 0
	.p2align	6
.LBB89_97:                              ; =>This Inner Loop Header: Depth=1
	s_clause 0x3
	buffer_load_dword v68, v61, s[0:3], 0 offen offset:8
	buffer_load_dword v69, v61, s[0:3], 0 offen offset:12
	buffer_load_dword v70, v61, s[0:3], 0 offen
	buffer_load_dword v71, v61, s[0:3], 0 offen offset:4
	ds_read_b128 v[64:67], v60
	v_add_nc_u32_e32 v59, 1, v59
	v_add_nc_u32_e32 v60, 16, v60
	;; [unrolled: 1-line block ×3, first 2 shown]
	v_cmp_lt_u32_e32 vcc_lo, 19, v59
	s_or_b32 s5, vcc_lo, s5
	s_waitcnt vmcnt(2) lgkmcnt(0)
	v_mul_f64 v[72:73], v[66:67], v[68:69]
	v_mul_f64 v[68:69], v[64:65], v[68:69]
	s_waitcnt vmcnt(0)
	v_fma_f64 v[64:65], v[64:65], v[70:71], -v[72:73]
	v_fma_f64 v[66:67], v[66:67], v[70:71], v[68:69]
	v_add_f64 v[3:4], v[3:4], v[64:65]
	v_add_f64 v[1:2], v[1:2], v[66:67]
	s_andn2_b32 exec_lo, exec_lo, s5
	s_cbranch_execnz .LBB89_97
; %bb.98:
	s_or_b32 exec_lo, exec_lo, s5
	v_mov_b32_e32 v59, 0
	ds_read_b128 v[59:62], v59 offset:336
	s_waitcnt lgkmcnt(0)
	v_mul_f64 v[64:65], v[1:2], v[61:62]
	v_mul_f64 v[61:62], v[3:4], v[61:62]
	v_fma_f64 v[3:4], v[3:4], v[59:60], -v[64:65]
	v_fma_f64 v[1:2], v[1:2], v[59:60], v[61:62]
	buffer_store_dword v4, off, s[0:3], 0 offset:356
	buffer_store_dword v3, off, s[0:3], 0 offset:352
	;; [unrolled: 1-line block ×4, first 2 shown]
.LBB89_99:
	s_or_b32 exec_lo, exec_lo, s4
	v_mov_b32_e32 v4, s15
	s_waitcnt_vscnt null, 0x0
	s_barrier
	buffer_gl0_inv
	s_mov_b32 s4, exec_lo
	s_clause 0x3
	buffer_load_dword v1, v4, s[0:3], 0 offen
	buffer_load_dword v2, v4, s[0:3], 0 offen offset:4
	buffer_load_dword v3, v4, s[0:3], 0 offen offset:8
	;; [unrolled: 1-line block ×3, first 2 shown]
	s_waitcnt vmcnt(0)
	ds_write_b128 v57, v[1:4]
	s_waitcnt lgkmcnt(0)
	s_barrier
	buffer_gl0_inv
	v_cmpx_gt_u32_e32 22, v0
	s_cbranch_execz .LBB89_103
; %bb.100:
	v_mov_b32_e32 v1, 0
	v_mov_b32_e32 v3, 0
	v_add_nc_u32_e32 v59, -1, v0
	v_add_nc_u32_e32 v60, 0x1a0, v63
	v_mov_b32_e32 v2, 0
	v_mov_b32_e32 v4, 0
	v_add_nc_u32_e32 v61, 16, v63
	s_mov_b32 s5, 0
	.p2align	6
.LBB89_101:                             ; =>This Inner Loop Header: Depth=1
	s_clause 0x3
	buffer_load_dword v68, v61, s[0:3], 0 offen offset:8
	buffer_load_dword v69, v61, s[0:3], 0 offen offset:12
	buffer_load_dword v70, v61, s[0:3], 0 offen
	buffer_load_dword v71, v61, s[0:3], 0 offen offset:4
	ds_read_b128 v[64:67], v60
	v_add_nc_u32_e32 v59, 1, v59
	v_add_nc_u32_e32 v60, 16, v60
	;; [unrolled: 1-line block ×3, first 2 shown]
	v_cmp_lt_u32_e32 vcc_lo, 20, v59
	s_or_b32 s5, vcc_lo, s5
	s_waitcnt vmcnt(2) lgkmcnt(0)
	v_mul_f64 v[72:73], v[66:67], v[68:69]
	v_mul_f64 v[68:69], v[64:65], v[68:69]
	s_waitcnt vmcnt(0)
	v_fma_f64 v[64:65], v[64:65], v[70:71], -v[72:73]
	v_fma_f64 v[66:67], v[66:67], v[70:71], v[68:69]
	v_add_f64 v[3:4], v[3:4], v[64:65]
	v_add_f64 v[1:2], v[1:2], v[66:67]
	s_andn2_b32 exec_lo, exec_lo, s5
	s_cbranch_execnz .LBB89_101
; %bb.102:
	s_or_b32 exec_lo, exec_lo, s5
	v_mov_b32_e32 v59, 0
	ds_read_b128 v[59:62], v59 offset:352
	s_waitcnt lgkmcnt(0)
	v_mul_f64 v[64:65], v[1:2], v[61:62]
	v_mul_f64 v[61:62], v[3:4], v[61:62]
	v_fma_f64 v[3:4], v[3:4], v[59:60], -v[64:65]
	v_fma_f64 v[1:2], v[1:2], v[59:60], v[61:62]
	buffer_store_dword v4, off, s[0:3], 0 offset:372
	buffer_store_dword v3, off, s[0:3], 0 offset:368
	;; [unrolled: 1-line block ×4, first 2 shown]
.LBB89_103:
	s_or_b32 exec_lo, exec_lo, s4
	v_mov_b32_e32 v4, s14
	s_waitcnt_vscnt null, 0x0
	s_barrier
	buffer_gl0_inv
	s_mov_b32 s4, exec_lo
	s_clause 0x3
	buffer_load_dword v1, v4, s[0:3], 0 offen
	buffer_load_dword v2, v4, s[0:3], 0 offen offset:4
	buffer_load_dword v3, v4, s[0:3], 0 offen offset:8
	;; [unrolled: 1-line block ×3, first 2 shown]
	s_waitcnt vmcnt(0)
	ds_write_b128 v57, v[1:4]
	s_waitcnt lgkmcnt(0)
	s_barrier
	buffer_gl0_inv
	v_cmpx_gt_u32_e32 23, v0
	s_cbranch_execz .LBB89_107
; %bb.104:
	v_mov_b32_e32 v1, 0
	v_mov_b32_e32 v3, 0
	v_add_nc_u32_e32 v59, -1, v0
	v_add_nc_u32_e32 v60, 0x1a0, v63
	v_mov_b32_e32 v2, 0
	v_mov_b32_e32 v4, 0
	v_add_nc_u32_e32 v61, 16, v63
	s_mov_b32 s5, 0
	.p2align	6
.LBB89_105:                             ; =>This Inner Loop Header: Depth=1
	s_clause 0x3
	buffer_load_dword v68, v61, s[0:3], 0 offen offset:8
	buffer_load_dword v69, v61, s[0:3], 0 offen offset:12
	buffer_load_dword v70, v61, s[0:3], 0 offen
	buffer_load_dword v71, v61, s[0:3], 0 offen offset:4
	ds_read_b128 v[64:67], v60
	v_add_nc_u32_e32 v59, 1, v59
	v_add_nc_u32_e32 v60, 16, v60
	;; [unrolled: 1-line block ×3, first 2 shown]
	v_cmp_lt_u32_e32 vcc_lo, 21, v59
	s_or_b32 s5, vcc_lo, s5
	s_waitcnt vmcnt(2) lgkmcnt(0)
	v_mul_f64 v[72:73], v[66:67], v[68:69]
	v_mul_f64 v[68:69], v[64:65], v[68:69]
	s_waitcnt vmcnt(0)
	v_fma_f64 v[64:65], v[64:65], v[70:71], -v[72:73]
	v_fma_f64 v[66:67], v[66:67], v[70:71], v[68:69]
	v_add_f64 v[3:4], v[3:4], v[64:65]
	v_add_f64 v[1:2], v[1:2], v[66:67]
	s_andn2_b32 exec_lo, exec_lo, s5
	s_cbranch_execnz .LBB89_105
; %bb.106:
	s_or_b32 exec_lo, exec_lo, s5
	v_mov_b32_e32 v59, 0
	ds_read_b128 v[59:62], v59 offset:368
	s_waitcnt lgkmcnt(0)
	v_mul_f64 v[64:65], v[1:2], v[61:62]
	v_mul_f64 v[61:62], v[3:4], v[61:62]
	v_fma_f64 v[3:4], v[3:4], v[59:60], -v[64:65]
	v_fma_f64 v[1:2], v[1:2], v[59:60], v[61:62]
	buffer_store_dword v4, off, s[0:3], 0 offset:388
	buffer_store_dword v3, off, s[0:3], 0 offset:384
	;; [unrolled: 1-line block ×4, first 2 shown]
.LBB89_107:
	s_or_b32 exec_lo, exec_lo, s4
	v_mov_b32_e32 v4, s9
	s_waitcnt_vscnt null, 0x0
	s_barrier
	buffer_gl0_inv
	s_mov_b32 s4, exec_lo
	s_clause 0x3
	buffer_load_dword v1, v4, s[0:3], 0 offen
	buffer_load_dword v2, v4, s[0:3], 0 offen offset:4
	buffer_load_dword v3, v4, s[0:3], 0 offen offset:8
	;; [unrolled: 1-line block ×3, first 2 shown]
	s_waitcnt vmcnt(0)
	ds_write_b128 v57, v[1:4]
	s_waitcnt lgkmcnt(0)
	s_barrier
	buffer_gl0_inv
	v_cmpx_gt_u32_e32 24, v0
	s_cbranch_execz .LBB89_111
; %bb.108:
	v_mov_b32_e32 v1, 0
	v_mov_b32_e32 v3, 0
	v_add_nc_u32_e32 v59, -1, v0
	v_add_nc_u32_e32 v60, 0x1a0, v63
	v_mov_b32_e32 v2, 0
	v_mov_b32_e32 v4, 0
	v_add_nc_u32_e32 v61, 16, v63
	s_mov_b32 s5, 0
	.p2align	6
.LBB89_109:                             ; =>This Inner Loop Header: Depth=1
	s_clause 0x3
	buffer_load_dword v68, v61, s[0:3], 0 offen offset:8
	buffer_load_dword v69, v61, s[0:3], 0 offen offset:12
	buffer_load_dword v70, v61, s[0:3], 0 offen
	buffer_load_dword v71, v61, s[0:3], 0 offen offset:4
	ds_read_b128 v[64:67], v60
	v_add_nc_u32_e32 v59, 1, v59
	v_add_nc_u32_e32 v60, 16, v60
	;; [unrolled: 1-line block ×3, first 2 shown]
	v_cmp_lt_u32_e32 vcc_lo, 22, v59
	s_or_b32 s5, vcc_lo, s5
	s_waitcnt vmcnt(2) lgkmcnt(0)
	v_mul_f64 v[72:73], v[66:67], v[68:69]
	v_mul_f64 v[68:69], v[64:65], v[68:69]
	s_waitcnt vmcnt(0)
	v_fma_f64 v[64:65], v[64:65], v[70:71], -v[72:73]
	v_fma_f64 v[66:67], v[66:67], v[70:71], v[68:69]
	v_add_f64 v[3:4], v[3:4], v[64:65]
	v_add_f64 v[1:2], v[1:2], v[66:67]
	s_andn2_b32 exec_lo, exec_lo, s5
	s_cbranch_execnz .LBB89_109
; %bb.110:
	s_or_b32 exec_lo, exec_lo, s5
	v_mov_b32_e32 v59, 0
	ds_read_b128 v[59:62], v59 offset:384
	s_waitcnt lgkmcnt(0)
	v_mul_f64 v[64:65], v[1:2], v[61:62]
	v_mul_f64 v[61:62], v[3:4], v[61:62]
	v_fma_f64 v[3:4], v[3:4], v[59:60], -v[64:65]
	v_fma_f64 v[1:2], v[1:2], v[59:60], v[61:62]
	buffer_store_dword v4, off, s[0:3], 0 offset:404
	buffer_store_dword v3, off, s[0:3], 0 offset:400
	;; [unrolled: 1-line block ×4, first 2 shown]
.LBB89_111:
	s_or_b32 exec_lo, exec_lo, s4
	v_mov_b32_e32 v4, s8
	s_waitcnt_vscnt null, 0x0
	s_barrier
	buffer_gl0_inv
	s_mov_b32 s4, exec_lo
	s_clause 0x3
	buffer_load_dword v1, v4, s[0:3], 0 offen
	buffer_load_dword v2, v4, s[0:3], 0 offen offset:4
	buffer_load_dword v3, v4, s[0:3], 0 offen offset:8
	;; [unrolled: 1-line block ×3, first 2 shown]
	s_waitcnt vmcnt(0)
	ds_write_b128 v57, v[1:4]
	s_waitcnt lgkmcnt(0)
	s_barrier
	buffer_gl0_inv
	v_cmpx_ne_u32_e32 25, v0
	s_cbranch_execz .LBB89_115
; %bb.112:
	v_mov_b32_e32 v1, 0
	v_mov_b32_e32 v3, 0
	;; [unrolled: 1-line block ×4, first 2 shown]
	v_add_nc_u32_e32 v59, 16, v63
	s_mov_b32 s5, 0
	.p2align	6
.LBB89_113:                             ; =>This Inner Loop Header: Depth=1
	s_clause 0x3
	buffer_load_dword v64, v59, s[0:3], 0 offen offset:8
	buffer_load_dword v65, v59, s[0:3], 0 offen offset:12
	buffer_load_dword v66, v59, s[0:3], 0 offen
	buffer_load_dword v67, v59, s[0:3], 0 offen offset:4
	ds_read_b128 v[60:63], v57
	v_add_nc_u32_e32 v58, 1, v58
	v_add_nc_u32_e32 v57, 16, v57
	;; [unrolled: 1-line block ×3, first 2 shown]
	v_cmp_lt_u32_e32 vcc_lo, 23, v58
	s_or_b32 s5, vcc_lo, s5
	s_waitcnt vmcnt(2) lgkmcnt(0)
	v_mul_f64 v[68:69], v[62:63], v[64:65]
	v_mul_f64 v[64:65], v[60:61], v[64:65]
	s_waitcnt vmcnt(0)
	v_fma_f64 v[60:61], v[60:61], v[66:67], -v[68:69]
	v_fma_f64 v[62:63], v[62:63], v[66:67], v[64:65]
	v_add_f64 v[3:4], v[3:4], v[60:61]
	v_add_f64 v[1:2], v[1:2], v[62:63]
	s_andn2_b32 exec_lo, exec_lo, s5
	s_cbranch_execnz .LBB89_113
; %bb.114:
	s_or_b32 exec_lo, exec_lo, s5
	v_mov_b32_e32 v57, 0
	ds_read_b128 v[57:60], v57 offset:400
	s_waitcnt lgkmcnt(0)
	v_mul_f64 v[61:62], v[1:2], v[59:60]
	v_mul_f64 v[59:60], v[3:4], v[59:60]
	v_fma_f64 v[3:4], v[3:4], v[57:58], -v[61:62]
	v_fma_f64 v[1:2], v[1:2], v[57:58], v[59:60]
	buffer_store_dword v4, off, s[0:3], 0 offset:420
	buffer_store_dword v3, off, s[0:3], 0 offset:416
	;; [unrolled: 1-line block ×4, first 2 shown]
.LBB89_115:
	s_or_b32 exec_lo, exec_lo, s4
	s_mov_b32 s5, -1
	s_waitcnt_vscnt null, 0x0
	s_barrier
	buffer_gl0_inv
.LBB89_116:
	s_and_b32 vcc_lo, exec_lo, s5
	s_cbranch_vccz .LBB89_118
; %bb.117:
	s_lshl_b64 s[4:5], s[6:7], 2
	v_mov_b32_e32 v1, 0
	s_add_u32 s4, s10, s4
	s_addc_u32 s5, s11, s5
	global_load_dword v1, v1, s[4:5]
	s_waitcnt vmcnt(0)
	v_cmp_ne_u32_e32 vcc_lo, 0, v1
	s_cbranch_vccz .LBB89_119
.LBB89_118:
	s_endpgm
.LBB89_119:
	v_lshl_add_u32 v1, v0, 4, 0x1a0
	s_mov_b32 s4, exec_lo
	v_cmpx_eq_u32_e32 25, v0
	s_cbranch_execz .LBB89_121
; %bb.120:
	v_mov_b32_e32 v2, s9
	s_clause 0x3
	buffer_load_dword v57, v2, s[0:3], 0 offen
	buffer_load_dword v58, v2, s[0:3], 0 offen offset:4
	buffer_load_dword v59, v2, s[0:3], 0 offen offset:8
	;; [unrolled: 1-line block ×3, first 2 shown]
	v_mov_b32_e32 v2, 0
	buffer_store_dword v2, off, s[0:3], 0 offset:400
	buffer_store_dword v2, off, s[0:3], 0 offset:404
	;; [unrolled: 1-line block ×4, first 2 shown]
	s_waitcnt vmcnt(0)
	ds_write_b128 v1, v[57:60]
.LBB89_121:
	s_or_b32 exec_lo, exec_lo, s4
	s_waitcnt lgkmcnt(0)
	s_waitcnt_vscnt null, 0x0
	s_barrier
	buffer_gl0_inv
	s_clause 0x7
	buffer_load_dword v3, off, s[0:3], 0 offset:424
	buffer_load_dword v4, off, s[0:3], 0 offset:428
	;; [unrolled: 1-line block ×8, first 2 shown]
	v_mov_b32_e32 v2, 0
	s_mov_b32 s4, exec_lo
	ds_read_b128 v[57:60], v2 offset:816
	s_waitcnt vmcnt(6) lgkmcnt(0)
	v_mul_f64 v[67:68], v[59:60], v[3:4]
	v_mul_f64 v[3:4], v[57:58], v[3:4]
	s_waitcnt vmcnt(4)
	v_fma_f64 v[57:58], v[57:58], v[61:62], -v[67:68]
	v_fma_f64 v[3:4], v[59:60], v[61:62], v[3:4]
	v_add_f64 v[57:58], v[57:58], 0
	v_add_f64 v[3:4], v[3:4], 0
	s_waitcnt vmcnt(2)
	v_add_f64 v[57:58], v[63:64], -v[57:58]
	s_waitcnt vmcnt(0)
	v_add_f64 v[3:4], v[65:66], -v[3:4]
	buffer_store_dword v57, off, s[0:3], 0 offset:400
	buffer_store_dword v58, off, s[0:3], 0 offset:404
	;; [unrolled: 1-line block ×4, first 2 shown]
	v_cmpx_lt_u32_e32 23, v0
	s_cbranch_execz .LBB89_123
; %bb.122:
	v_mov_b32_e32 v3, s14
	s_clause 0x3
	buffer_load_dword v57, v3, s[0:3], 0 offen
	buffer_load_dword v58, v3, s[0:3], 0 offen offset:4
	buffer_load_dword v59, v3, s[0:3], 0 offen offset:8
	buffer_load_dword v60, v3, s[0:3], 0 offen offset:12
	buffer_store_dword v2, off, s[0:3], 0 offset:384
	buffer_store_dword v2, off, s[0:3], 0 offset:388
	;; [unrolled: 1-line block ×4, first 2 shown]
	s_waitcnt vmcnt(0)
	ds_write_b128 v1, v[57:60]
.LBB89_123:
	s_or_b32 exec_lo, exec_lo, s4
	s_waitcnt lgkmcnt(0)
	s_waitcnt_vscnt null, 0x0
	s_barrier
	buffer_gl0_inv
	s_clause 0xb
	buffer_load_dword v3, off, s[0:3], 0 offset:408
	buffer_load_dword v4, off, s[0:3], 0 offset:412
	;; [unrolled: 1-line block ×12, first 2 shown]
	ds_read_b128 v[57:60], v2 offset:800
	ds_read_b128 v[61:64], v2 offset:816
	s_mov_b32 s4, exec_lo
	s_waitcnt vmcnt(10) lgkmcnt(1)
	v_mul_f64 v[75:76], v[59:60], v[3:4]
	v_mul_f64 v[2:3], v[57:58], v[3:4]
	s_waitcnt vmcnt(8) lgkmcnt(0)
	v_mul_f64 v[77:78], v[63:64], v[65:66]
	v_mul_f64 v[65:66], v[61:62], v[65:66]
	s_waitcnt vmcnt(6)
	v_fma_f64 v[57:58], v[57:58], v[67:68], -v[75:76]
	v_fma_f64 v[2:3], v[59:60], v[67:68], v[2:3]
	s_waitcnt vmcnt(4)
	v_fma_f64 v[59:60], v[61:62], v[69:70], -v[77:78]
	v_fma_f64 v[61:62], v[63:64], v[69:70], v[65:66]
	v_add_f64 v[57:58], v[57:58], 0
	v_add_f64 v[2:3], v[2:3], 0
	;; [unrolled: 1-line block ×4, first 2 shown]
	s_waitcnt vmcnt(2)
	v_add_f64 v[57:58], v[71:72], -v[57:58]
	s_waitcnt vmcnt(0)
	v_add_f64 v[2:3], v[73:74], -v[2:3]
	buffer_store_dword v57, off, s[0:3], 0 offset:384
	buffer_store_dword v58, off, s[0:3], 0 offset:388
	;; [unrolled: 1-line block ×4, first 2 shown]
	v_cmpx_lt_u32_e32 22, v0
	s_cbranch_execz .LBB89_125
; %bb.124:
	v_mov_b32_e32 v2, s15
	s_clause 0x3
	buffer_load_dword v57, v2, s[0:3], 0 offen
	buffer_load_dword v58, v2, s[0:3], 0 offen offset:4
	buffer_load_dword v59, v2, s[0:3], 0 offen offset:8
	;; [unrolled: 1-line block ×3, first 2 shown]
	v_mov_b32_e32 v2, 0
	buffer_store_dword v2, off, s[0:3], 0 offset:368
	buffer_store_dword v2, off, s[0:3], 0 offset:372
	;; [unrolled: 1-line block ×4, first 2 shown]
	s_waitcnt vmcnt(0)
	ds_write_b128 v1, v[57:60]
.LBB89_125:
	s_or_b32 exec_lo, exec_lo, s4
	s_waitcnt lgkmcnt(0)
	s_waitcnt_vscnt null, 0x0
	s_barrier
	buffer_gl0_inv
	s_clause 0xf
	buffer_load_dword v3, off, s[0:3], 0 offset:392
	buffer_load_dword v4, off, s[0:3], 0 offset:396
	buffer_load_dword v69, off, s[0:3], 0 offset:408
	buffer_load_dword v70, off, s[0:3], 0 offset:412
	buffer_load_dword v71, off, s[0:3], 0 offset:384
	buffer_load_dword v72, off, s[0:3], 0 offset:388
	buffer_load_dword v73, off, s[0:3], 0 offset:424
	buffer_load_dword v74, off, s[0:3], 0 offset:428
	buffer_load_dword v75, off, s[0:3], 0 offset:400
	buffer_load_dword v76, off, s[0:3], 0 offset:404
	buffer_load_dword v77, off, s[0:3], 0 offset:416
	buffer_load_dword v78, off, s[0:3], 0 offset:420
	buffer_load_dword v79, off, s[0:3], 0 offset:368
	buffer_load_dword v80, off, s[0:3], 0 offset:372
	buffer_load_dword v81, off, s[0:3], 0 offset:376
	buffer_load_dword v82, off, s[0:3], 0 offset:380
	v_mov_b32_e32 v2, 0
	ds_read_b128 v[57:60], v2 offset:784
	ds_read_b128 v[61:64], v2 offset:800
	ds_read_b128 v[65:68], v2 offset:816
	s_mov_b32 s4, exec_lo
	s_waitcnt vmcnt(14) lgkmcnt(2)
	v_mul_f64 v[83:84], v[59:60], v[3:4]
	v_mul_f64 v[3:4], v[57:58], v[3:4]
	s_waitcnt vmcnt(12) lgkmcnt(1)
	v_mul_f64 v[85:86], v[63:64], v[69:70]
	v_mul_f64 v[69:70], v[61:62], v[69:70]
	s_waitcnt vmcnt(10)
	v_fma_f64 v[57:58], v[57:58], v[71:72], -v[83:84]
	v_fma_f64 v[3:4], v[59:60], v[71:72], v[3:4]
	s_waitcnt vmcnt(8) lgkmcnt(0)
	v_mul_f64 v[71:72], v[67:68], v[73:74]
	s_waitcnt vmcnt(6)
	v_fma_f64 v[61:62], v[61:62], v[75:76], -v[85:86]
	v_mul_f64 v[59:60], v[65:66], v[73:74]
	v_fma_f64 v[63:64], v[63:64], v[75:76], v[69:70]
	v_add_f64 v[57:58], v[57:58], 0
	v_add_f64 v[3:4], v[3:4], 0
	s_waitcnt vmcnt(4)
	v_fma_f64 v[65:66], v[65:66], v[77:78], -v[71:72]
	v_fma_f64 v[59:60], v[67:68], v[77:78], v[59:60]
	v_add_f64 v[57:58], v[57:58], v[61:62]
	v_add_f64 v[3:4], v[3:4], v[63:64]
	v_add_f64 v[57:58], v[57:58], v[65:66]
	v_add_f64 v[3:4], v[3:4], v[59:60]
	s_waitcnt vmcnt(2)
	v_add_f64 v[57:58], v[79:80], -v[57:58]
	s_waitcnt vmcnt(0)
	v_add_f64 v[3:4], v[81:82], -v[3:4]
	buffer_store_dword v57, off, s[0:3], 0 offset:368
	buffer_store_dword v58, off, s[0:3], 0 offset:372
	;; [unrolled: 1-line block ×4, first 2 shown]
	v_cmpx_lt_u32_e32 21, v0
	s_cbranch_execz .LBB89_127
; %bb.126:
	v_mov_b32_e32 v3, s16
	s_clause 0x3
	buffer_load_dword v57, v3, s[0:3], 0 offen
	buffer_load_dword v58, v3, s[0:3], 0 offen offset:4
	buffer_load_dword v59, v3, s[0:3], 0 offen offset:8
	;; [unrolled: 1-line block ×3, first 2 shown]
	buffer_store_dword v2, off, s[0:3], 0 offset:352
	buffer_store_dword v2, off, s[0:3], 0 offset:356
	;; [unrolled: 1-line block ×4, first 2 shown]
	s_waitcnt vmcnt(0)
	ds_write_b128 v1, v[57:60]
.LBB89_127:
	s_or_b32 exec_lo, exec_lo, s4
	s_waitcnt lgkmcnt(0)
	s_waitcnt_vscnt null, 0x0
	s_barrier
	buffer_gl0_inv
	s_clause 0x13
	buffer_load_dword v3, off, s[0:3], 0 offset:376
	buffer_load_dword v4, off, s[0:3], 0 offset:380
	;; [unrolled: 1-line block ×20, first 2 shown]
	ds_read_b128 v[57:60], v2 offset:768
	ds_read_b128 v[61:64], v2 offset:784
	;; [unrolled: 1-line block ×3, first 2 shown]
	s_mov_b32 s4, exec_lo
	s_waitcnt vmcnt(18) lgkmcnt(2)
	v_mul_f64 v[87:88], v[59:60], v[3:4]
	v_mul_f64 v[3:4], v[57:58], v[3:4]
	s_waitcnt vmcnt(16) lgkmcnt(1)
	v_mul_f64 v[89:90], v[63:64], v[69:70]
	v_mul_f64 v[69:70], v[61:62], v[69:70]
	s_waitcnt vmcnt(14)
	v_fma_f64 v[87:88], v[57:58], v[71:72], -v[87:88]
	v_fma_f64 v[3:4], v[59:60], v[71:72], v[3:4]
	ds_read_b128 v[57:60], v2 offset:816
	s_waitcnt vmcnt(12) lgkmcnt(1)
	v_mul_f64 v[71:72], v[65:66], v[73:74]
	v_mul_f64 v[73:74], v[67:68], v[73:74]
	s_waitcnt vmcnt(10)
	v_fma_f64 v[61:62], v[61:62], v[75:76], -v[89:90]
	v_fma_f64 v[63:64], v[63:64], v[75:76], v[69:70]
	s_waitcnt vmcnt(8) lgkmcnt(0)
	v_mul_f64 v[75:76], v[59:60], v[77:78]
	v_add_f64 v[87:88], v[87:88], 0
	v_add_f64 v[2:3], v[3:4], 0
	v_mul_f64 v[69:70], v[57:58], v[77:78]
	s_waitcnt vmcnt(6)
	v_fma_f64 v[65:66], v[65:66], v[79:80], -v[73:74]
	v_fma_f64 v[67:68], v[67:68], v[79:80], v[71:72]
	s_waitcnt vmcnt(4)
	v_fma_f64 v[57:58], v[57:58], v[81:82], -v[75:76]
	v_add_f64 v[61:62], v[87:88], v[61:62]
	v_add_f64 v[2:3], v[2:3], v[63:64]
	v_fma_f64 v[59:60], v[59:60], v[81:82], v[69:70]
	v_add_f64 v[61:62], v[61:62], v[65:66]
	v_add_f64 v[2:3], v[2:3], v[67:68]
	;; [unrolled: 1-line block ×4, first 2 shown]
	s_waitcnt vmcnt(2)
	v_add_f64 v[57:58], v[83:84], -v[57:58]
	s_waitcnt vmcnt(0)
	v_add_f64 v[2:3], v[85:86], -v[2:3]
	buffer_store_dword v57, off, s[0:3], 0 offset:352
	buffer_store_dword v58, off, s[0:3], 0 offset:356
	;; [unrolled: 1-line block ×4, first 2 shown]
	v_cmpx_lt_u32_e32 20, v0
	s_cbranch_execz .LBB89_129
; %bb.128:
	v_mov_b32_e32 v2, s17
	s_clause 0x3
	buffer_load_dword v57, v2, s[0:3], 0 offen
	buffer_load_dword v58, v2, s[0:3], 0 offen offset:4
	buffer_load_dword v59, v2, s[0:3], 0 offen offset:8
	;; [unrolled: 1-line block ×3, first 2 shown]
	v_mov_b32_e32 v2, 0
	buffer_store_dword v2, off, s[0:3], 0 offset:336
	buffer_store_dword v2, off, s[0:3], 0 offset:340
	;; [unrolled: 1-line block ×4, first 2 shown]
	s_waitcnt vmcnt(0)
	ds_write_b128 v1, v[57:60]
.LBB89_129:
	s_or_b32 exec_lo, exec_lo, s4
	s_waitcnt lgkmcnt(0)
	s_waitcnt_vscnt null, 0x0
	s_barrier
	buffer_gl0_inv
	s_clause 0x17
	buffer_load_dword v3, off, s[0:3], 0 offset:360
	buffer_load_dword v4, off, s[0:3], 0 offset:364
	buffer_load_dword v69, off, s[0:3], 0 offset:376
	buffer_load_dword v70, off, s[0:3], 0 offset:380
	buffer_load_dword v71, off, s[0:3], 0 offset:352
	buffer_load_dword v72, off, s[0:3], 0 offset:356
	buffer_load_dword v73, off, s[0:3], 0 offset:392
	buffer_load_dword v74, off, s[0:3], 0 offset:396
	buffer_load_dword v75, off, s[0:3], 0 offset:368
	buffer_load_dword v76, off, s[0:3], 0 offset:372
	buffer_load_dword v78, off, s[0:3], 0 offset:412
	buffer_load_dword v79, off, s[0:3], 0 offset:424
	buffer_load_dword v81, off, s[0:3], 0 offset:416
	buffer_load_dword v77, off, s[0:3], 0 offset:408
	buffer_load_dword v83, off, s[0:3], 0 offset:384
	buffer_load_dword v84, off, s[0:3], 0 offset:388
	buffer_load_dword v80, off, s[0:3], 0 offset:428
	buffer_load_dword v86, off, s[0:3], 0 offset:404
	buffer_load_dword v85, off, s[0:3], 0 offset:400
	buffer_load_dword v82, off, s[0:3], 0 offset:420
	buffer_load_dword v87, off, s[0:3], 0 offset:336
	buffer_load_dword v88, off, s[0:3], 0 offset:340
	buffer_load_dword v89, off, s[0:3], 0 offset:344
	buffer_load_dword v90, off, s[0:3], 0 offset:348
	v_mov_b32_e32 v2, 0
	ds_read_b128 v[57:60], v2 offset:752
	ds_read_b128 v[61:64], v2 offset:768
	ds_read_b128 v[65:68], v2 offset:784
	s_mov_b32 s4, exec_lo
	s_waitcnt vmcnt(22) lgkmcnt(2)
	v_mul_f64 v[91:92], v[59:60], v[3:4]
	v_mul_f64 v[3:4], v[57:58], v[3:4]
	s_waitcnt vmcnt(20) lgkmcnt(1)
	v_mul_f64 v[93:94], v[63:64], v[69:70]
	v_mul_f64 v[69:70], v[61:62], v[69:70]
	s_waitcnt vmcnt(18)
	v_fma_f64 v[91:92], v[57:58], v[71:72], -v[91:92]
	v_fma_f64 v[3:4], v[59:60], v[71:72], v[3:4]
	ds_read_b128 v[57:60], v2 offset:800
	s_waitcnt vmcnt(16) lgkmcnt(1)
	v_mul_f64 v[71:72], v[65:66], v[73:74]
	v_mul_f64 v[73:74], v[67:68], v[73:74]
	s_waitcnt vmcnt(14)
	v_fma_f64 v[93:94], v[61:62], v[75:76], -v[93:94]
	v_fma_f64 v[69:70], v[63:64], v[75:76], v[69:70]
	ds_read_b128 v[61:64], v2 offset:816
	s_waitcnt vmcnt(10) lgkmcnt(1)
	v_mul_f64 v[75:76], v[57:58], v[77:78]
	v_add_f64 v[91:92], v[91:92], 0
	v_add_f64 v[3:4], v[3:4], 0
	v_mul_f64 v[77:78], v[59:60], v[77:78]
	s_waitcnt vmcnt(8)
	v_fma_f64 v[65:66], v[65:66], v[83:84], -v[73:74]
	v_fma_f64 v[67:68], v[67:68], v[83:84], v[71:72]
	s_waitcnt vmcnt(7) lgkmcnt(0)
	v_mul_f64 v[71:72], v[63:64], v[79:80]
	s_waitcnt vmcnt(5)
	v_fma_f64 v[59:60], v[59:60], v[85:86], v[75:76]
	v_add_f64 v[73:74], v[91:92], v[93:94]
	v_add_f64 v[3:4], v[3:4], v[69:70]
	v_fma_f64 v[57:58], v[57:58], v[85:86], -v[77:78]
	v_mul_f64 v[69:70], v[61:62], v[79:80]
	s_waitcnt vmcnt(4)
	v_fma_f64 v[61:62], v[61:62], v[81:82], -v[71:72]
	v_add_f64 v[65:66], v[73:74], v[65:66]
	v_add_f64 v[3:4], v[3:4], v[67:68]
	v_fma_f64 v[63:64], v[63:64], v[81:82], v[69:70]
	v_add_f64 v[57:58], v[65:66], v[57:58]
	v_add_f64 v[3:4], v[3:4], v[59:60]
	;; [unrolled: 1-line block ×4, first 2 shown]
	s_waitcnt vmcnt(2)
	v_add_f64 v[57:58], v[87:88], -v[57:58]
	s_waitcnt vmcnt(0)
	v_add_f64 v[3:4], v[89:90], -v[3:4]
	buffer_store_dword v58, off, s[0:3], 0 offset:340
	buffer_store_dword v57, off, s[0:3], 0 offset:336
	;; [unrolled: 1-line block ×4, first 2 shown]
	v_cmpx_lt_u32_e32 19, v0
	s_cbranch_execz .LBB89_131
; %bb.130:
	v_mov_b32_e32 v3, s18
	s_clause 0x3
	buffer_load_dword v57, v3, s[0:3], 0 offen
	buffer_load_dword v58, v3, s[0:3], 0 offen offset:4
	buffer_load_dword v59, v3, s[0:3], 0 offen offset:8
	;; [unrolled: 1-line block ×3, first 2 shown]
	buffer_store_dword v2, off, s[0:3], 0 offset:320
	buffer_store_dword v2, off, s[0:3], 0 offset:324
	;; [unrolled: 1-line block ×4, first 2 shown]
	s_waitcnt vmcnt(0)
	ds_write_b128 v1, v[57:60]
.LBB89_131:
	s_or_b32 exec_lo, exec_lo, s4
	s_waitcnt lgkmcnt(0)
	s_waitcnt_vscnt null, 0x0
	s_barrier
	buffer_gl0_inv
	s_clause 0x1b
	buffer_load_dword v3, off, s[0:3], 0 offset:344
	buffer_load_dword v4, off, s[0:3], 0 offset:348
	;; [unrolled: 1-line block ×28, first 2 shown]
	ds_read_b128 v[57:60], v2 offset:736
	ds_read_b128 v[61:64], v2 offset:752
	;; [unrolled: 1-line block ×3, first 2 shown]
	s_mov_b32 s4, exec_lo
	s_waitcnt vmcnt(26) lgkmcnt(2)
	v_mul_f64 v[95:96], v[59:60], v[3:4]
	v_mul_f64 v[3:4], v[57:58], v[3:4]
	s_waitcnt vmcnt(24) lgkmcnt(1)
	v_mul_f64 v[97:98], v[63:64], v[69:70]
	v_mul_f64 v[69:70], v[61:62], v[69:70]
	s_waitcnt vmcnt(22)
	v_fma_f64 v[95:96], v[57:58], v[71:72], -v[95:96]
	v_fma_f64 v[3:4], v[59:60], v[71:72], v[3:4]
	ds_read_b128 v[57:60], v2 offset:784
	s_waitcnt vmcnt(20) lgkmcnt(1)
	v_mul_f64 v[71:72], v[65:66], v[73:74]
	v_mul_f64 v[73:74], v[67:68], v[73:74]
	s_waitcnt vmcnt(18)
	v_fma_f64 v[97:98], v[61:62], v[75:76], -v[97:98]
	v_fma_f64 v[69:70], v[63:64], v[75:76], v[69:70]
	ds_read_b128 v[61:64], v2 offset:800
	s_waitcnt vmcnt(14) lgkmcnt(1)
	v_mul_f64 v[75:76], v[57:58], v[77:78]
	v_add_f64 v[95:96], v[95:96], 0
	v_add_f64 v[3:4], v[3:4], 0
	v_mul_f64 v[77:78], v[59:60], v[77:78]
	s_waitcnt vmcnt(12)
	v_fma_f64 v[73:74], v[65:66], v[83:84], -v[73:74]
	v_fma_f64 v[71:72], v[67:68], v[83:84], v[71:72]
	ds_read_b128 v[65:68], v2 offset:816
	s_waitcnt vmcnt(9)
	v_fma_f64 v[59:60], v[59:60], v[85:86], v[75:76]
	v_add_f64 v[95:96], v[95:96], v[97:98]
	v_add_f64 v[3:4], v[3:4], v[69:70]
	s_waitcnt lgkmcnt(1)
	v_mul_f64 v[69:70], v[61:62], v[79:80]
	v_mul_f64 v[79:80], v[63:64], v[79:80]
	v_fma_f64 v[57:58], v[57:58], v[85:86], -v[77:78]
	s_waitcnt vmcnt(7) lgkmcnt(0)
	v_mul_f64 v[75:76], v[67:68], v[87:88]
	v_add_f64 v[73:74], v[95:96], v[73:74]
	v_add_f64 v[2:3], v[3:4], v[71:72]
	v_mul_f64 v[71:72], v[65:66], v[87:88]
	s_waitcnt vmcnt(6)
	v_fma_f64 v[61:62], v[61:62], v[81:82], -v[79:80]
	v_fma_f64 v[63:64], v[63:64], v[81:82], v[69:70]
	v_add_f64 v[57:58], v[73:74], v[57:58]
	v_add_f64 v[2:3], v[2:3], v[59:60]
	s_waitcnt vmcnt(4)
	v_fma_f64 v[59:60], v[65:66], v[89:90], -v[75:76]
	v_add_f64 v[57:58], v[57:58], v[61:62]
	v_fma_f64 v[61:62], v[67:68], v[89:90], v[71:72]
	v_add_f64 v[2:3], v[2:3], v[63:64]
	v_add_f64 v[57:58], v[57:58], v[59:60]
	;; [unrolled: 1-line block ×3, first 2 shown]
	s_waitcnt vmcnt(2)
	v_add_f64 v[57:58], v[91:92], -v[57:58]
	s_waitcnt vmcnt(0)
	v_add_f64 v[2:3], v[93:94], -v[2:3]
	buffer_store_dword v58, off, s[0:3], 0 offset:324
	buffer_store_dword v57, off, s[0:3], 0 offset:320
	;; [unrolled: 1-line block ×4, first 2 shown]
	v_cmpx_lt_u32_e32 18, v0
	s_cbranch_execz .LBB89_133
; %bb.132:
	v_mov_b32_e32 v2, s19
	s_clause 0x3
	buffer_load_dword v57, v2, s[0:3], 0 offen
	buffer_load_dword v58, v2, s[0:3], 0 offen offset:4
	buffer_load_dword v59, v2, s[0:3], 0 offen offset:8
	;; [unrolled: 1-line block ×3, first 2 shown]
	v_mov_b32_e32 v2, 0
	buffer_store_dword v2, off, s[0:3], 0 offset:304
	buffer_store_dword v2, off, s[0:3], 0 offset:308
	;; [unrolled: 1-line block ×4, first 2 shown]
	s_waitcnt vmcnt(0)
	ds_write_b128 v1, v[57:60]
.LBB89_133:
	s_or_b32 exec_lo, exec_lo, s4
	s_waitcnt lgkmcnt(0)
	s_waitcnt_vscnt null, 0x0
	s_barrier
	buffer_gl0_inv
	s_clause 0x1f
	buffer_load_dword v3, off, s[0:3], 0 offset:328
	buffer_load_dword v4, off, s[0:3], 0 offset:332
	buffer_load_dword v69, off, s[0:3], 0 offset:344
	buffer_load_dword v70, off, s[0:3], 0 offset:348
	buffer_load_dword v71, off, s[0:3], 0 offset:320
	buffer_load_dword v72, off, s[0:3], 0 offset:324
	buffer_load_dword v73, off, s[0:3], 0 offset:360
	buffer_load_dword v74, off, s[0:3], 0 offset:364
	buffer_load_dword v75, off, s[0:3], 0 offset:336
	buffer_load_dword v76, off, s[0:3], 0 offset:340
	buffer_load_dword v78, off, s[0:3], 0 offset:380
	buffer_load_dword v79, off, s[0:3], 0 offset:392
	buffer_load_dword v81, off, s[0:3], 0 offset:384
	buffer_load_dword v77, off, s[0:3], 0 offset:376
	buffer_load_dword v83, off, s[0:3], 0 offset:352
	buffer_load_dword v84, off, s[0:3], 0 offset:356
	buffer_load_dword v80, off, s[0:3], 0 offset:396
	buffer_load_dword v86, off, s[0:3], 0 offset:372
	buffer_load_dword v85, off, s[0:3], 0 offset:368
	buffer_load_dword v88, off, s[0:3], 0 offset:412
	buffer_load_dword v89, off, s[0:3], 0 offset:424
	buffer_load_dword v91, off, s[0:3], 0 offset:416
	buffer_load_dword v87, off, s[0:3], 0 offset:408
	buffer_load_dword v82, off, s[0:3], 0 offset:388
	buffer_load_dword v90, off, s[0:3], 0 offset:428
	buffer_load_dword v94, off, s[0:3], 0 offset:404
	buffer_load_dword v93, off, s[0:3], 0 offset:400
	buffer_load_dword v92, off, s[0:3], 0 offset:420
	buffer_load_dword v95, off, s[0:3], 0 offset:304
	buffer_load_dword v96, off, s[0:3], 0 offset:308
	buffer_load_dword v97, off, s[0:3], 0 offset:312
	buffer_load_dword v98, off, s[0:3], 0 offset:316
	v_mov_b32_e32 v2, 0
	ds_read_b128 v[57:60], v2 offset:720
	ds_read_b128 v[61:64], v2 offset:736
	;; [unrolled: 1-line block ×3, first 2 shown]
	s_mov_b32 s4, exec_lo
	s_waitcnt vmcnt(30) lgkmcnt(2)
	v_mul_f64 v[99:100], v[59:60], v[3:4]
	v_mul_f64 v[3:4], v[57:58], v[3:4]
	s_waitcnt vmcnt(28) lgkmcnt(1)
	v_mul_f64 v[101:102], v[63:64], v[69:70]
	v_mul_f64 v[69:70], v[61:62], v[69:70]
	s_waitcnt vmcnt(26)
	v_fma_f64 v[99:100], v[57:58], v[71:72], -v[99:100]
	v_fma_f64 v[3:4], v[59:60], v[71:72], v[3:4]
	ds_read_b128 v[57:60], v2 offset:768
	s_waitcnt vmcnt(24) lgkmcnt(1)
	v_mul_f64 v[71:72], v[65:66], v[73:74]
	v_mul_f64 v[73:74], v[67:68], v[73:74]
	s_waitcnt vmcnt(22)
	v_fma_f64 v[101:102], v[61:62], v[75:76], -v[101:102]
	v_fma_f64 v[69:70], v[63:64], v[75:76], v[69:70]
	ds_read_b128 v[61:64], v2 offset:784
	s_waitcnt vmcnt(18) lgkmcnt(1)
	v_mul_f64 v[75:76], v[57:58], v[77:78]
	v_add_f64 v[99:100], v[99:100], 0
	v_add_f64 v[3:4], v[3:4], 0
	v_mul_f64 v[77:78], v[59:60], v[77:78]
	s_waitcnt vmcnt(16)
	v_fma_f64 v[73:74], v[65:66], v[83:84], -v[73:74]
	v_fma_f64 v[71:72], v[67:68], v[83:84], v[71:72]
	ds_read_b128 v[65:68], v2 offset:800
	s_waitcnt vmcnt(13)
	v_fma_f64 v[75:76], v[59:60], v[85:86], v[75:76]
	v_add_f64 v[99:100], v[99:100], v[101:102]
	v_add_f64 v[3:4], v[3:4], v[69:70]
	s_waitcnt lgkmcnt(1)
	v_mul_f64 v[69:70], v[61:62], v[79:80]
	v_mul_f64 v[79:80], v[63:64], v[79:80]
	v_fma_f64 v[77:78], v[57:58], v[85:86], -v[77:78]
	s_waitcnt vmcnt(9) lgkmcnt(0)
	v_mul_f64 v[83:84], v[67:68], v[87:88]
	ds_read_b128 v[57:60], v2 offset:816
	v_add_f64 v[73:74], v[99:100], v[73:74]
	v_add_f64 v[3:4], v[3:4], v[71:72]
	v_mul_f64 v[71:72], v[65:66], v[87:88]
	s_waitcnt vmcnt(8)
	v_fma_f64 v[61:62], v[61:62], v[81:82], -v[79:80]
	v_fma_f64 v[63:64], v[63:64], v[81:82], v[69:70]
	s_waitcnt vmcnt(5)
	v_fma_f64 v[65:66], v[65:66], v[93:94], -v[83:84]
	s_waitcnt lgkmcnt(0)
	v_mul_f64 v[69:70], v[57:58], v[89:90]
	v_add_f64 v[73:74], v[73:74], v[77:78]
	v_add_f64 v[3:4], v[3:4], v[75:76]
	v_mul_f64 v[75:76], v[59:60], v[89:90]
	v_fma_f64 v[67:68], v[67:68], v[93:94], v[71:72]
	s_waitcnt vmcnt(4)
	v_fma_f64 v[59:60], v[59:60], v[91:92], v[69:70]
	v_add_f64 v[61:62], v[73:74], v[61:62]
	v_add_f64 v[3:4], v[3:4], v[63:64]
	v_fma_f64 v[57:58], v[57:58], v[91:92], -v[75:76]
	v_add_f64 v[61:62], v[61:62], v[65:66]
	v_add_f64 v[3:4], v[3:4], v[67:68]
	;; [unrolled: 1-line block ×4, first 2 shown]
	s_waitcnt vmcnt(2)
	v_add_f64 v[57:58], v[95:96], -v[57:58]
	s_waitcnt vmcnt(0)
	v_add_f64 v[3:4], v[97:98], -v[3:4]
	buffer_store_dword v58, off, s[0:3], 0 offset:308
	buffer_store_dword v57, off, s[0:3], 0 offset:304
	;; [unrolled: 1-line block ×4, first 2 shown]
	v_cmpx_lt_u32_e32 17, v0
	s_cbranch_execz .LBB89_135
; %bb.134:
	v_mov_b32_e32 v3, s20
	s_clause 0x3
	buffer_load_dword v57, v3, s[0:3], 0 offen
	buffer_load_dword v58, v3, s[0:3], 0 offen offset:4
	buffer_load_dword v59, v3, s[0:3], 0 offen offset:8
	;; [unrolled: 1-line block ×3, first 2 shown]
	buffer_store_dword v2, off, s[0:3], 0 offset:288
	buffer_store_dword v2, off, s[0:3], 0 offset:292
	;; [unrolled: 1-line block ×4, first 2 shown]
	s_waitcnt vmcnt(0)
	ds_write_b128 v1, v[57:60]
.LBB89_135:
	s_or_b32 exec_lo, exec_lo, s4
	s_waitcnt lgkmcnt(0)
	s_waitcnt_vscnt null, 0x0
	s_barrier
	buffer_gl0_inv
	s_clause 0x23
	buffer_load_dword v3, off, s[0:3], 0 offset:312
	buffer_load_dword v4, off, s[0:3], 0 offset:316
	;; [unrolled: 1-line block ×36, first 2 shown]
	ds_read_b128 v[57:60], v2 offset:704
	ds_read_b128 v[61:64], v2 offset:720
	;; [unrolled: 1-line block ×3, first 2 shown]
	s_mov_b32 s4, exec_lo
	s_waitcnt vmcnt(34) lgkmcnt(2)
	v_mul_f64 v[103:104], v[59:60], v[3:4]
	v_mul_f64 v[3:4], v[57:58], v[3:4]
	s_waitcnt vmcnt(32) lgkmcnt(1)
	v_mul_f64 v[105:106], v[63:64], v[69:70]
	v_mul_f64 v[69:70], v[61:62], v[69:70]
	s_waitcnt vmcnt(30)
	v_fma_f64 v[103:104], v[57:58], v[71:72], -v[103:104]
	v_fma_f64 v[3:4], v[59:60], v[71:72], v[3:4]
	ds_read_b128 v[57:60], v2 offset:752
	s_waitcnt vmcnt(28) lgkmcnt(1)
	v_mul_f64 v[71:72], v[65:66], v[73:74]
	v_mul_f64 v[73:74], v[67:68], v[73:74]
	s_waitcnt vmcnt(26)
	v_fma_f64 v[105:106], v[61:62], v[75:76], -v[105:106]
	v_fma_f64 v[69:70], v[63:64], v[75:76], v[69:70]
	ds_read_b128 v[61:64], v2 offset:768
	s_waitcnt vmcnt(22) lgkmcnt(1)
	v_mul_f64 v[75:76], v[57:58], v[77:78]
	v_add_f64 v[103:104], v[103:104], 0
	v_add_f64 v[3:4], v[3:4], 0
	v_mul_f64 v[77:78], v[59:60], v[77:78]
	s_waitcnt vmcnt(20)
	v_fma_f64 v[73:74], v[65:66], v[83:84], -v[73:74]
	v_fma_f64 v[71:72], v[67:68], v[83:84], v[71:72]
	ds_read_b128 v[65:68], v2 offset:784
	s_waitcnt vmcnt(17)
	v_fma_f64 v[75:76], v[59:60], v[85:86], v[75:76]
	v_add_f64 v[103:104], v[103:104], v[105:106]
	v_add_f64 v[3:4], v[3:4], v[69:70]
	s_waitcnt lgkmcnt(1)
	v_mul_f64 v[69:70], v[61:62], v[79:80]
	v_mul_f64 v[79:80], v[63:64], v[79:80]
	v_fma_f64 v[77:78], v[57:58], v[85:86], -v[77:78]
	s_waitcnt vmcnt(13) lgkmcnt(0)
	v_mul_f64 v[83:84], v[67:68], v[87:88]
	ds_read_b128 v[57:60], v2 offset:800
	v_add_f64 v[73:74], v[103:104], v[73:74]
	v_add_f64 v[3:4], v[3:4], v[71:72]
	v_mul_f64 v[71:72], v[65:66], v[87:88]
	s_waitcnt vmcnt(12)
	v_fma_f64 v[79:80], v[61:62], v[81:82], -v[79:80]
	v_fma_f64 v[69:70], v[63:64], v[81:82], v[69:70]
	ds_read_b128 v[61:64], v2 offset:816
	s_waitcnt vmcnt(9)
	v_fma_f64 v[65:66], v[65:66], v[93:94], -v[83:84]
	v_add_f64 v[73:74], v[73:74], v[77:78]
	v_add_f64 v[3:4], v[3:4], v[75:76]
	s_waitcnt lgkmcnt(1)
	v_mul_f64 v[77:78], v[59:60], v[89:90]
	v_mul_f64 v[75:76], v[57:58], v[89:90]
	v_fma_f64 v[67:68], v[67:68], v[93:94], v[71:72]
	s_waitcnt vmcnt(7) lgkmcnt(0)
	v_mul_f64 v[71:72], v[63:64], v[95:96]
	v_add_f64 v[73:74], v[73:74], v[79:80]
	v_add_f64 v[2:3], v[3:4], v[69:70]
	s_waitcnt vmcnt(6)
	v_fma_f64 v[57:58], v[57:58], v[91:92], -v[77:78]
	v_mul_f64 v[69:70], v[61:62], v[95:96]
	v_fma_f64 v[59:60], v[59:60], v[91:92], v[75:76]
	s_waitcnt vmcnt(4)
	v_fma_f64 v[61:62], v[61:62], v[97:98], -v[71:72]
	v_add_f64 v[65:66], v[73:74], v[65:66]
	v_add_f64 v[2:3], v[2:3], v[67:68]
	v_fma_f64 v[63:64], v[63:64], v[97:98], v[69:70]
	v_add_f64 v[57:58], v[65:66], v[57:58]
	v_add_f64 v[2:3], v[2:3], v[59:60]
	;; [unrolled: 1-line block ×4, first 2 shown]
	s_waitcnt vmcnt(2)
	v_add_f64 v[57:58], v[99:100], -v[57:58]
	s_waitcnt vmcnt(0)
	v_add_f64 v[2:3], v[101:102], -v[2:3]
	buffer_store_dword v58, off, s[0:3], 0 offset:292
	buffer_store_dword v57, off, s[0:3], 0 offset:288
	;; [unrolled: 1-line block ×4, first 2 shown]
	v_cmpx_lt_u32_e32 16, v0
	s_cbranch_execz .LBB89_137
; %bb.136:
	v_mov_b32_e32 v2, s21
	s_clause 0x3
	buffer_load_dword v57, v2, s[0:3], 0 offen
	buffer_load_dword v58, v2, s[0:3], 0 offen offset:4
	buffer_load_dword v59, v2, s[0:3], 0 offen offset:8
	;; [unrolled: 1-line block ×3, first 2 shown]
	v_mov_b32_e32 v2, 0
	buffer_store_dword v2, off, s[0:3], 0 offset:272
	buffer_store_dword v2, off, s[0:3], 0 offset:276
	;; [unrolled: 1-line block ×4, first 2 shown]
	s_waitcnt vmcnt(0)
	ds_write_b128 v1, v[57:60]
.LBB89_137:
	s_or_b32 exec_lo, exec_lo, s4
	s_waitcnt lgkmcnt(0)
	s_waitcnt_vscnt null, 0x0
	s_barrier
	buffer_gl0_inv
	s_clause 0x27
	buffer_load_dword v3, off, s[0:3], 0 offset:296
	buffer_load_dword v4, off, s[0:3], 0 offset:300
	;; [unrolled: 1-line block ×40, first 2 shown]
	v_mov_b32_e32 v2, 0
	ds_read_b128 v[57:60], v2 offset:688
	ds_read_b128 v[61:64], v2 offset:704
	;; [unrolled: 1-line block ×3, first 2 shown]
	s_mov_b32 s4, exec_lo
	s_waitcnt vmcnt(38) lgkmcnt(2)
	v_mul_f64 v[107:108], v[59:60], v[3:4]
	v_mul_f64 v[3:4], v[57:58], v[3:4]
	s_waitcnt vmcnt(36) lgkmcnt(1)
	v_mul_f64 v[109:110], v[63:64], v[69:70]
	v_mul_f64 v[69:70], v[61:62], v[69:70]
	s_waitcnt vmcnt(34)
	v_fma_f64 v[107:108], v[57:58], v[71:72], -v[107:108]
	v_fma_f64 v[3:4], v[59:60], v[71:72], v[3:4]
	ds_read_b128 v[57:60], v2 offset:736
	s_waitcnt vmcnt(32) lgkmcnt(1)
	v_mul_f64 v[71:72], v[65:66], v[73:74]
	v_mul_f64 v[73:74], v[67:68], v[73:74]
	s_waitcnt vmcnt(30)
	v_fma_f64 v[109:110], v[61:62], v[75:76], -v[109:110]
	v_fma_f64 v[69:70], v[63:64], v[75:76], v[69:70]
	ds_read_b128 v[61:64], v2 offset:752
	s_waitcnt vmcnt(26) lgkmcnt(1)
	v_mul_f64 v[75:76], v[57:58], v[77:78]
	v_add_f64 v[107:108], v[107:108], 0
	v_add_f64 v[3:4], v[3:4], 0
	v_mul_f64 v[77:78], v[59:60], v[77:78]
	s_waitcnt vmcnt(24)
	v_fma_f64 v[73:74], v[65:66], v[83:84], -v[73:74]
	v_fma_f64 v[71:72], v[67:68], v[83:84], v[71:72]
	ds_read_b128 v[65:68], v2 offset:768
	s_waitcnt vmcnt(21)
	v_fma_f64 v[75:76], v[59:60], v[85:86], v[75:76]
	v_add_f64 v[107:108], v[107:108], v[109:110]
	v_add_f64 v[3:4], v[3:4], v[69:70]
	s_waitcnt lgkmcnt(1)
	v_mul_f64 v[69:70], v[61:62], v[79:80]
	v_mul_f64 v[79:80], v[63:64], v[79:80]
	v_fma_f64 v[77:78], v[57:58], v[85:86], -v[77:78]
	s_waitcnt vmcnt(17) lgkmcnt(0)
	v_mul_f64 v[83:84], v[67:68], v[87:88]
	ds_read_b128 v[57:60], v2 offset:784
	v_add_f64 v[73:74], v[107:108], v[73:74]
	v_add_f64 v[3:4], v[3:4], v[71:72]
	v_mul_f64 v[71:72], v[65:66], v[87:88]
	s_waitcnt vmcnt(16)
	v_fma_f64 v[79:80], v[61:62], v[81:82], -v[79:80]
	v_fma_f64 v[69:70], v[63:64], v[81:82], v[69:70]
	ds_read_b128 v[61:64], v2 offset:800
	s_waitcnt vmcnt(13)
	v_fma_f64 v[81:82], v[65:66], v[93:94], -v[83:84]
	v_add_f64 v[73:74], v[73:74], v[77:78]
	v_add_f64 v[3:4], v[3:4], v[75:76]
	s_waitcnt lgkmcnt(1)
	v_mul_f64 v[77:78], v[59:60], v[89:90]
	v_mul_f64 v[75:76], v[57:58], v[89:90]
	v_fma_f64 v[71:72], v[67:68], v[93:94], v[71:72]
	ds_read_b128 v[65:68], v2 offset:816
	v_add_f64 v[73:74], v[73:74], v[79:80]
	v_add_f64 v[3:4], v[3:4], v[69:70]
	s_waitcnt vmcnt(9) lgkmcnt(1)
	v_mul_f64 v[79:80], v[63:64], v[95:96]
	s_waitcnt vmcnt(8)
	v_fma_f64 v[57:58], v[57:58], v[91:92], -v[77:78]
	v_mul_f64 v[69:70], v[61:62], v[95:96]
	v_fma_f64 v[59:60], v[59:60], v[91:92], v[75:76]
	s_waitcnt vmcnt(7) lgkmcnt(0)
	v_mul_f64 v[75:76], v[67:68], v[97:98]
	v_add_f64 v[73:74], v[73:74], v[81:82]
	v_add_f64 v[3:4], v[3:4], v[71:72]
	s_waitcnt vmcnt(5)
	v_fma_f64 v[61:62], v[61:62], v[101:102], -v[79:80]
	v_mul_f64 v[71:72], v[65:66], v[97:98]
	v_fma_f64 v[63:64], v[63:64], v[101:102], v[69:70]
	v_add_f64 v[57:58], v[73:74], v[57:58]
	v_add_f64 v[3:4], v[3:4], v[59:60]
	s_waitcnt vmcnt(4)
	v_fma_f64 v[59:60], v[65:66], v[99:100], -v[75:76]
	v_add_f64 v[57:58], v[57:58], v[61:62]
	v_fma_f64 v[61:62], v[67:68], v[99:100], v[71:72]
	v_add_f64 v[3:4], v[3:4], v[63:64]
	v_add_f64 v[57:58], v[57:58], v[59:60]
	v_add_f64 v[3:4], v[3:4], v[61:62]
	s_waitcnt vmcnt(2)
	v_add_f64 v[57:58], v[103:104], -v[57:58]
	s_waitcnt vmcnt(0)
	v_add_f64 v[3:4], v[105:106], -v[3:4]
	buffer_store_dword v58, off, s[0:3], 0 offset:276
	buffer_store_dword v57, off, s[0:3], 0 offset:272
	;; [unrolled: 1-line block ×4, first 2 shown]
	v_cmpx_lt_u32_e32 15, v0
	s_cbranch_execz .LBB89_139
; %bb.138:
	v_mov_b32_e32 v3, s22
	s_clause 0x3
	buffer_load_dword v57, v3, s[0:3], 0 offen
	buffer_load_dword v58, v3, s[0:3], 0 offen offset:4
	buffer_load_dword v59, v3, s[0:3], 0 offen offset:8
	;; [unrolled: 1-line block ×3, first 2 shown]
	buffer_store_dword v2, off, s[0:3], 0 offset:256
	buffer_store_dword v2, off, s[0:3], 0 offset:260
	;; [unrolled: 1-line block ×4, first 2 shown]
	s_waitcnt vmcnt(0)
	ds_write_b128 v1, v[57:60]
.LBB89_139:
	s_or_b32 exec_lo, exec_lo, s4
	s_waitcnt lgkmcnt(0)
	s_waitcnt_vscnt null, 0x0
	s_barrier
	buffer_gl0_inv
	s_clause 0x2b
	buffer_load_dword v3, off, s[0:3], 0 offset:280
	buffer_load_dword v4, off, s[0:3], 0 offset:284
	buffer_load_dword v69, off, s[0:3], 0 offset:296
	buffer_load_dword v70, off, s[0:3], 0 offset:300
	buffer_load_dword v71, off, s[0:3], 0 offset:272
	buffer_load_dword v72, off, s[0:3], 0 offset:276
	buffer_load_dword v73, off, s[0:3], 0 offset:312
	buffer_load_dword v74, off, s[0:3], 0 offset:316
	buffer_load_dword v75, off, s[0:3], 0 offset:288
	buffer_load_dword v76, off, s[0:3], 0 offset:292
	buffer_load_dword v78, off, s[0:3], 0 offset:332
	buffer_load_dword v79, off, s[0:3], 0 offset:344
	buffer_load_dword v81, off, s[0:3], 0 offset:336
	buffer_load_dword v77, off, s[0:3], 0 offset:328
	buffer_load_dword v83, off, s[0:3], 0 offset:304
	buffer_load_dword v84, off, s[0:3], 0 offset:308
	buffer_load_dword v80, off, s[0:3], 0 offset:348
	buffer_load_dword v86, off, s[0:3], 0 offset:324
	buffer_load_dword v85, off, s[0:3], 0 offset:320
	buffer_load_dword v88, off, s[0:3], 0 offset:364
	buffer_load_dword v89, off, s[0:3], 0 offset:376
	buffer_load_dword v91, off, s[0:3], 0 offset:368
	buffer_load_dword v87, off, s[0:3], 0 offset:360
	buffer_load_dword v82, off, s[0:3], 0 offset:340
	buffer_load_dword v90, off, s[0:3], 0 offset:380
	buffer_load_dword v94, off, s[0:3], 0 offset:356
	buffer_load_dword v93, off, s[0:3], 0 offset:352
	buffer_load_dword v96, off, s[0:3], 0 offset:396
	buffer_load_dword v97, off, s[0:3], 0 offset:408
	buffer_load_dword v99, off, s[0:3], 0 offset:400
	buffer_load_dword v95, off, s[0:3], 0 offset:392
	buffer_load_dword v92, off, s[0:3], 0 offset:372
	buffer_load_dword v98, off, s[0:3], 0 offset:412
	buffer_load_dword v102, off, s[0:3], 0 offset:388
	buffer_load_dword v101, off, s[0:3], 0 offset:384
	buffer_load_dword v104, off, s[0:3], 0 offset:428
	buffer_load_dword v103, off, s[0:3], 0 offset:424
	buffer_load_dword v100, off, s[0:3], 0 offset:404
	buffer_load_dword v106, off, s[0:3], 0 offset:420
	buffer_load_dword v105, off, s[0:3], 0 offset:416
	buffer_load_dword v107, off, s[0:3], 0 offset:256
	buffer_load_dword v108, off, s[0:3], 0 offset:260
	buffer_load_dword v109, off, s[0:3], 0 offset:264
	buffer_load_dword v110, off, s[0:3], 0 offset:268
	ds_read_b128 v[57:60], v2 offset:672
	ds_read_b128 v[61:64], v2 offset:688
	;; [unrolled: 1-line block ×3, first 2 shown]
	s_mov_b32 s4, exec_lo
	s_waitcnt vmcnt(42) lgkmcnt(2)
	v_mul_f64 v[111:112], v[59:60], v[3:4]
	v_mul_f64 v[3:4], v[57:58], v[3:4]
	s_waitcnt vmcnt(40) lgkmcnt(1)
	v_mul_f64 v[113:114], v[63:64], v[69:70]
	v_mul_f64 v[69:70], v[61:62], v[69:70]
	s_waitcnt vmcnt(38)
	v_fma_f64 v[111:112], v[57:58], v[71:72], -v[111:112]
	v_fma_f64 v[3:4], v[59:60], v[71:72], v[3:4]
	ds_read_b128 v[57:60], v2 offset:720
	s_waitcnt vmcnt(36) lgkmcnt(1)
	v_mul_f64 v[71:72], v[65:66], v[73:74]
	v_mul_f64 v[73:74], v[67:68], v[73:74]
	s_waitcnt vmcnt(34)
	v_fma_f64 v[113:114], v[61:62], v[75:76], -v[113:114]
	v_fma_f64 v[69:70], v[63:64], v[75:76], v[69:70]
	ds_read_b128 v[61:64], v2 offset:736
	s_waitcnt vmcnt(30) lgkmcnt(1)
	v_mul_f64 v[75:76], v[57:58], v[77:78]
	v_add_f64 v[111:112], v[111:112], 0
	v_add_f64 v[3:4], v[3:4], 0
	v_mul_f64 v[77:78], v[59:60], v[77:78]
	s_waitcnt vmcnt(28)
	v_fma_f64 v[73:74], v[65:66], v[83:84], -v[73:74]
	v_fma_f64 v[71:72], v[67:68], v[83:84], v[71:72]
	ds_read_b128 v[65:68], v2 offset:752
	s_waitcnt vmcnt(25)
	v_fma_f64 v[75:76], v[59:60], v[85:86], v[75:76]
	v_add_f64 v[111:112], v[111:112], v[113:114]
	v_add_f64 v[3:4], v[3:4], v[69:70]
	s_waitcnt lgkmcnt(1)
	v_mul_f64 v[69:70], v[61:62], v[79:80]
	v_mul_f64 v[79:80], v[63:64], v[79:80]
	v_fma_f64 v[77:78], v[57:58], v[85:86], -v[77:78]
	s_waitcnt vmcnt(21) lgkmcnt(0)
	v_mul_f64 v[83:84], v[67:68], v[87:88]
	ds_read_b128 v[57:60], v2 offset:768
	v_add_f64 v[73:74], v[111:112], v[73:74]
	v_add_f64 v[3:4], v[3:4], v[71:72]
	v_mul_f64 v[71:72], v[65:66], v[87:88]
	s_waitcnt vmcnt(20)
	v_fma_f64 v[79:80], v[61:62], v[81:82], -v[79:80]
	v_fma_f64 v[69:70], v[63:64], v[81:82], v[69:70]
	ds_read_b128 v[61:64], v2 offset:784
	s_waitcnt vmcnt(17)
	v_fma_f64 v[81:82], v[65:66], v[93:94], -v[83:84]
	v_add_f64 v[73:74], v[73:74], v[77:78]
	v_add_f64 v[3:4], v[3:4], v[75:76]
	s_waitcnt lgkmcnt(1)
	v_mul_f64 v[77:78], v[59:60], v[89:90]
	v_mul_f64 v[75:76], v[57:58], v[89:90]
	v_fma_f64 v[71:72], v[67:68], v[93:94], v[71:72]
	ds_read_b128 v[65:68], v2 offset:800
	v_add_f64 v[73:74], v[73:74], v[79:80]
	v_add_f64 v[3:4], v[3:4], v[69:70]
	s_waitcnt vmcnt(13) lgkmcnt(1)
	v_mul_f64 v[79:80], v[63:64], v[95:96]
	s_waitcnt vmcnt(12)
	v_fma_f64 v[77:78], v[57:58], v[91:92], -v[77:78]
	v_mul_f64 v[69:70], v[61:62], v[95:96]
	v_fma_f64 v[75:76], v[59:60], v[91:92], v[75:76]
	ds_read_b128 v[57:60], v2 offset:816
	v_add_f64 v[73:74], v[73:74], v[81:82]
	v_add_f64 v[3:4], v[3:4], v[71:72]
	s_waitcnt vmcnt(11) lgkmcnt(1)
	v_mul_f64 v[81:82], v[67:68], v[97:98]
	s_waitcnt vmcnt(9)
	v_fma_f64 v[61:62], v[61:62], v[101:102], -v[79:80]
	v_mul_f64 v[71:72], v[65:66], v[97:98]
	v_fma_f64 v[63:64], v[63:64], v[101:102], v[69:70]
	s_waitcnt vmcnt(7) lgkmcnt(0)
	v_mul_f64 v[69:70], v[57:58], v[103:104]
	v_add_f64 v[73:74], v[73:74], v[77:78]
	v_add_f64 v[2:3], v[3:4], v[75:76]
	v_mul_f64 v[75:76], v[59:60], v[103:104]
	s_waitcnt vmcnt(6)
	v_fma_f64 v[65:66], v[65:66], v[99:100], -v[81:82]
	v_fma_f64 v[67:68], v[67:68], v[99:100], v[71:72]
	s_waitcnt vmcnt(4)
	v_fma_f64 v[59:60], v[59:60], v[105:106], v[69:70]
	v_add_f64 v[61:62], v[73:74], v[61:62]
	v_add_f64 v[2:3], v[2:3], v[63:64]
	v_fma_f64 v[57:58], v[57:58], v[105:106], -v[75:76]
	v_add_f64 v[61:62], v[61:62], v[65:66]
	v_add_f64 v[2:3], v[2:3], v[67:68]
	;; [unrolled: 1-line block ×4, first 2 shown]
	s_waitcnt vmcnt(2)
	v_add_f64 v[57:58], v[107:108], -v[57:58]
	s_waitcnt vmcnt(0)
	v_add_f64 v[2:3], v[109:110], -v[2:3]
	buffer_store_dword v58, off, s[0:3], 0 offset:260
	buffer_store_dword v57, off, s[0:3], 0 offset:256
	;; [unrolled: 1-line block ×4, first 2 shown]
	v_cmpx_lt_u32_e32 14, v0
	s_cbranch_execz .LBB89_141
; %bb.140:
	v_mov_b32_e32 v2, s23
	s_clause 0x3
	buffer_load_dword v57, v2, s[0:3], 0 offen
	buffer_load_dword v58, v2, s[0:3], 0 offen offset:4
	buffer_load_dword v59, v2, s[0:3], 0 offen offset:8
	;; [unrolled: 1-line block ×3, first 2 shown]
	v_mov_b32_e32 v2, 0
	buffer_store_dword v2, off, s[0:3], 0 offset:240
	buffer_store_dword v2, off, s[0:3], 0 offset:244
	;; [unrolled: 1-line block ×4, first 2 shown]
	s_waitcnt vmcnt(0)
	ds_write_b128 v1, v[57:60]
.LBB89_141:
	s_or_b32 exec_lo, exec_lo, s4
	s_waitcnt lgkmcnt(0)
	s_waitcnt_vscnt null, 0x0
	s_barrier
	buffer_gl0_inv
	s_clause 0x2f
	buffer_load_dword v3, off, s[0:3], 0 offset:264
	buffer_load_dword v4, off, s[0:3], 0 offset:268
	;; [unrolled: 1-line block ×48, first 2 shown]
	v_mov_b32_e32 v2, 0
	ds_read_b128 v[57:60], v2 offset:656
	ds_read_b128 v[61:64], v2 offset:672
	;; [unrolled: 1-line block ×3, first 2 shown]
	s_mov_b32 s4, exec_lo
	s_waitcnt vmcnt(46) lgkmcnt(2)
	v_mul_f64 v[115:116], v[59:60], v[3:4]
	v_mul_f64 v[3:4], v[57:58], v[3:4]
	s_waitcnt vmcnt(44) lgkmcnt(1)
	v_mul_f64 v[117:118], v[63:64], v[69:70]
	v_mul_f64 v[69:70], v[61:62], v[69:70]
	s_waitcnt vmcnt(42)
	v_fma_f64 v[115:116], v[57:58], v[71:72], -v[115:116]
	v_fma_f64 v[3:4], v[59:60], v[71:72], v[3:4]
	ds_read_b128 v[57:60], v2 offset:704
	s_waitcnt vmcnt(40) lgkmcnt(1)
	v_mul_f64 v[71:72], v[65:66], v[73:74]
	v_mul_f64 v[73:74], v[67:68], v[73:74]
	s_waitcnt vmcnt(38)
	v_fma_f64 v[117:118], v[61:62], v[75:76], -v[117:118]
	v_fma_f64 v[69:70], v[63:64], v[75:76], v[69:70]
	ds_read_b128 v[61:64], v2 offset:720
	s_waitcnt vmcnt(34) lgkmcnt(1)
	v_mul_f64 v[75:76], v[57:58], v[77:78]
	v_add_f64 v[115:116], v[115:116], 0
	v_add_f64 v[3:4], v[3:4], 0
	v_mul_f64 v[77:78], v[59:60], v[77:78]
	s_waitcnt vmcnt(32)
	v_fma_f64 v[73:74], v[65:66], v[83:84], -v[73:74]
	v_fma_f64 v[71:72], v[67:68], v[83:84], v[71:72]
	ds_read_b128 v[65:68], v2 offset:736
	s_waitcnt vmcnt(29)
	v_fma_f64 v[75:76], v[59:60], v[85:86], v[75:76]
	v_add_f64 v[115:116], v[115:116], v[117:118]
	v_add_f64 v[3:4], v[3:4], v[69:70]
	s_waitcnt lgkmcnt(1)
	v_mul_f64 v[69:70], v[61:62], v[79:80]
	v_mul_f64 v[79:80], v[63:64], v[79:80]
	v_fma_f64 v[77:78], v[57:58], v[85:86], -v[77:78]
	s_waitcnt vmcnt(25) lgkmcnt(0)
	v_mul_f64 v[83:84], v[67:68], v[87:88]
	ds_read_b128 v[57:60], v2 offset:752
	v_add_f64 v[73:74], v[115:116], v[73:74]
	v_add_f64 v[3:4], v[3:4], v[71:72]
	v_mul_f64 v[71:72], v[65:66], v[87:88]
	s_waitcnt vmcnt(24)
	v_fma_f64 v[79:80], v[61:62], v[81:82], -v[79:80]
	v_fma_f64 v[69:70], v[63:64], v[81:82], v[69:70]
	ds_read_b128 v[61:64], v2 offset:768
	s_waitcnt vmcnt(21)
	v_fma_f64 v[81:82], v[65:66], v[93:94], -v[83:84]
	v_add_f64 v[73:74], v[73:74], v[77:78]
	v_add_f64 v[3:4], v[3:4], v[75:76]
	s_waitcnt lgkmcnt(1)
	v_mul_f64 v[77:78], v[59:60], v[89:90]
	v_mul_f64 v[75:76], v[57:58], v[89:90]
	v_fma_f64 v[71:72], v[67:68], v[93:94], v[71:72]
	ds_read_b128 v[65:68], v2 offset:784
	v_add_f64 v[73:74], v[73:74], v[79:80]
	v_add_f64 v[3:4], v[3:4], v[69:70]
	s_waitcnt vmcnt(17) lgkmcnt(1)
	v_mul_f64 v[79:80], v[63:64], v[95:96]
	s_waitcnt vmcnt(16)
	v_fma_f64 v[77:78], v[57:58], v[91:92], -v[77:78]
	v_mul_f64 v[69:70], v[61:62], v[95:96]
	v_fma_f64 v[75:76], v[59:60], v[91:92], v[75:76]
	ds_read_b128 v[57:60], v2 offset:800
	v_add_f64 v[73:74], v[73:74], v[81:82]
	v_add_f64 v[3:4], v[3:4], v[71:72]
	s_waitcnt vmcnt(15) lgkmcnt(1)
	v_mul_f64 v[81:82], v[67:68], v[97:98]
	s_waitcnt vmcnt(13)
	v_fma_f64 v[79:80], v[61:62], v[101:102], -v[79:80]
	;; [unrolled: 9-line block ×3, first 2 shown]
	v_mul_f64 v[75:76], v[57:58], v[103:104]
	v_fma_f64 v[67:68], v[67:68], v[99:100], v[71:72]
	s_waitcnt vmcnt(7) lgkmcnt(0)
	v_mul_f64 v[71:72], v[63:64], v[105:106]
	v_add_f64 v[73:74], v[73:74], v[79:80]
	v_add_f64 v[3:4], v[3:4], v[69:70]
	s_waitcnt vmcnt(5)
	v_fma_f64 v[57:58], v[57:58], v[109:110], -v[77:78]
	v_mul_f64 v[69:70], v[61:62], v[105:106]
	v_fma_f64 v[59:60], v[59:60], v[109:110], v[75:76]
	s_waitcnt vmcnt(4)
	v_fma_f64 v[61:62], v[61:62], v[107:108], -v[71:72]
	v_add_f64 v[65:66], v[73:74], v[65:66]
	v_add_f64 v[3:4], v[3:4], v[67:68]
	v_fma_f64 v[63:64], v[63:64], v[107:108], v[69:70]
	v_add_f64 v[57:58], v[65:66], v[57:58]
	v_add_f64 v[3:4], v[3:4], v[59:60]
	;; [unrolled: 1-line block ×4, first 2 shown]
	s_waitcnt vmcnt(2)
	v_add_f64 v[57:58], v[111:112], -v[57:58]
	s_waitcnt vmcnt(0)
	v_add_f64 v[3:4], v[113:114], -v[3:4]
	buffer_store_dword v58, off, s[0:3], 0 offset:244
	buffer_store_dword v57, off, s[0:3], 0 offset:240
	;; [unrolled: 1-line block ×4, first 2 shown]
	v_cmpx_lt_u32_e32 13, v0
	s_cbranch_execz .LBB89_143
; %bb.142:
	v_mov_b32_e32 v3, s24
	s_clause 0x3
	buffer_load_dword v57, v3, s[0:3], 0 offen
	buffer_load_dword v58, v3, s[0:3], 0 offen offset:4
	buffer_load_dword v59, v3, s[0:3], 0 offen offset:8
	;; [unrolled: 1-line block ×3, first 2 shown]
	buffer_store_dword v2, off, s[0:3], 0 offset:224
	buffer_store_dword v2, off, s[0:3], 0 offset:228
	buffer_store_dword v2, off, s[0:3], 0 offset:232
	buffer_store_dword v2, off, s[0:3], 0 offset:236
	s_waitcnt vmcnt(0)
	ds_write_b128 v1, v[57:60]
.LBB89_143:
	s_or_b32 exec_lo, exec_lo, s4
	s_waitcnt lgkmcnt(0)
	s_waitcnt_vscnt null, 0x0
	s_barrier
	buffer_gl0_inv
	s_clause 0x2f
	buffer_load_dword v3, off, s[0:3], 0 offset:248
	buffer_load_dword v4, off, s[0:3], 0 offset:252
	;; [unrolled: 1-line block ×48, first 2 shown]
	ds_read_b128 v[57:60], v2 offset:640
	s_clause 0x3
	buffer_load_dword v115, off, s[0:3], 0 offset:224
	buffer_load_dword v116, off, s[0:3], 0 offset:228
	;; [unrolled: 1-line block ×4, first 2 shown]
	ds_read_b128 v[61:64], v2 offset:656
	ds_read_b128 v[65:68], v2 offset:672
	s_mov_b32 s4, exec_lo
	s_waitcnt vmcnt(50) lgkmcnt(2)
	v_mul_f64 v[119:120], v[59:60], v[3:4]
	v_mul_f64 v[3:4], v[57:58], v[3:4]
	s_waitcnt vmcnt(48) lgkmcnt(1)
	v_mul_f64 v[121:122], v[63:64], v[69:70]
	v_mul_f64 v[69:70], v[61:62], v[69:70]
	s_waitcnt vmcnt(46)
	v_fma_f64 v[119:120], v[57:58], v[71:72], -v[119:120]
	v_fma_f64 v[3:4], v[59:60], v[71:72], v[3:4]
	s_waitcnt vmcnt(44) lgkmcnt(0)
	v_mul_f64 v[71:72], v[65:66], v[73:74]
	v_mul_f64 v[73:74], v[67:68], v[73:74]
	s_waitcnt vmcnt(42)
	v_fma_f64 v[121:122], v[61:62], v[75:76], -v[121:122]
	ds_read_b128 v[57:60], v2 offset:688
	v_fma_f64 v[69:70], v[63:64], v[75:76], v[69:70]
	ds_read_b128 v[61:64], v2 offset:704
	v_add_f64 v[119:120], v[119:120], 0
	v_add_f64 v[3:4], v[3:4], 0
	s_waitcnt vmcnt(36)
	v_fma_f64 v[71:72], v[67:68], v[83:84], v[71:72]
	s_waitcnt lgkmcnt(1)
	v_mul_f64 v[75:76], v[57:58], v[77:78]
	v_mul_f64 v[77:78], v[59:60], v[77:78]
	v_fma_f64 v[73:74], v[65:66], v[83:84], -v[73:74]
	ds_read_b128 v[65:68], v2 offset:720
	v_add_f64 v[119:120], v[119:120], v[121:122]
	v_add_f64 v[3:4], v[3:4], v[69:70]
	s_waitcnt vmcnt(35) lgkmcnt(1)
	v_mul_f64 v[69:70], v[61:62], v[79:80]
	v_mul_f64 v[79:80], v[63:64], v[79:80]
	s_waitcnt vmcnt(33)
	v_fma_f64 v[77:78], v[57:58], v[85:86], -v[77:78]
	v_fma_f64 v[75:76], v[59:60], v[85:86], v[75:76]
	ds_read_b128 v[57:60], v2 offset:736
	s_waitcnt vmcnt(29) lgkmcnt(1)
	v_mul_f64 v[83:84], v[67:68], v[87:88]
	v_add_f64 v[73:74], v[119:120], v[73:74]
	v_add_f64 v[3:4], v[3:4], v[71:72]
	v_mul_f64 v[71:72], v[65:66], v[87:88]
	s_waitcnt vmcnt(28)
	v_fma_f64 v[79:80], v[61:62], v[81:82], -v[79:80]
	v_fma_f64 v[69:70], v[63:64], v[81:82], v[69:70]
	ds_read_b128 v[61:64], v2 offset:752
	s_waitcnt vmcnt(25)
	v_fma_f64 v[81:82], v[65:66], v[93:94], -v[83:84]
	v_add_f64 v[73:74], v[73:74], v[77:78]
	v_add_f64 v[3:4], v[3:4], v[75:76]
	s_waitcnt lgkmcnt(1)
	v_mul_f64 v[77:78], v[59:60], v[89:90]
	v_mul_f64 v[75:76], v[57:58], v[89:90]
	v_fma_f64 v[71:72], v[67:68], v[93:94], v[71:72]
	ds_read_b128 v[65:68], v2 offset:768
	v_add_f64 v[73:74], v[73:74], v[79:80]
	v_add_f64 v[3:4], v[3:4], v[69:70]
	s_waitcnt vmcnt(21) lgkmcnt(1)
	v_mul_f64 v[79:80], v[63:64], v[95:96]
	s_waitcnt vmcnt(20)
	v_fma_f64 v[77:78], v[57:58], v[91:92], -v[77:78]
	v_mul_f64 v[69:70], v[61:62], v[95:96]
	v_fma_f64 v[75:76], v[59:60], v[91:92], v[75:76]
	ds_read_b128 v[57:60], v2 offset:784
	v_add_f64 v[73:74], v[73:74], v[81:82]
	v_add_f64 v[3:4], v[3:4], v[71:72]
	s_waitcnt vmcnt(19) lgkmcnt(1)
	v_mul_f64 v[81:82], v[67:68], v[97:98]
	s_waitcnt vmcnt(17)
	v_fma_f64 v[79:80], v[61:62], v[101:102], -v[79:80]
	v_mul_f64 v[71:72], v[65:66], v[97:98]
	v_fma_f64 v[69:70], v[63:64], v[101:102], v[69:70]
	ds_read_b128 v[61:64], v2 offset:800
	v_add_f64 v[73:74], v[73:74], v[77:78]
	v_add_f64 v[3:4], v[3:4], v[75:76]
	s_waitcnt vmcnt(13) lgkmcnt(1)
	v_mul_f64 v[77:78], v[59:60], v[103:104]
	s_waitcnt vmcnt(12)
	v_fma_f64 v[81:82], v[65:66], v[99:100], -v[81:82]
	v_mul_f64 v[75:76], v[57:58], v[103:104]
	v_fma_f64 v[71:72], v[67:68], v[99:100], v[71:72]
	ds_read_b128 v[65:68], v2 offset:816
	v_add_f64 v[73:74], v[73:74], v[79:80]
	v_add_f64 v[3:4], v[3:4], v[69:70]
	s_waitcnt vmcnt(11) lgkmcnt(1)
	v_mul_f64 v[79:80], v[63:64], v[105:106]
	s_waitcnt vmcnt(9)
	v_fma_f64 v[57:58], v[57:58], v[109:110], -v[77:78]
	v_mul_f64 v[69:70], v[61:62], v[105:106]
	v_fma_f64 v[59:60], v[59:60], v[109:110], v[75:76]
	s_waitcnt vmcnt(7) lgkmcnt(0)
	v_mul_f64 v[75:76], v[67:68], v[111:112]
	v_add_f64 v[73:74], v[73:74], v[81:82]
	v_add_f64 v[2:3], v[3:4], v[71:72]
	s_waitcnt vmcnt(6)
	v_fma_f64 v[61:62], v[61:62], v[107:108], -v[79:80]
	v_mul_f64 v[71:72], v[65:66], v[111:112]
	v_fma_f64 v[63:64], v[63:64], v[107:108], v[69:70]
	v_add_f64 v[57:58], v[73:74], v[57:58]
	v_add_f64 v[2:3], v[2:3], v[59:60]
	s_waitcnt vmcnt(4)
	v_fma_f64 v[59:60], v[65:66], v[113:114], -v[75:76]
	v_add_f64 v[57:58], v[57:58], v[61:62]
	v_fma_f64 v[61:62], v[67:68], v[113:114], v[71:72]
	v_add_f64 v[2:3], v[2:3], v[63:64]
	v_add_f64 v[57:58], v[57:58], v[59:60]
	;; [unrolled: 1-line block ×3, first 2 shown]
	s_waitcnt vmcnt(2)
	v_add_f64 v[57:58], v[115:116], -v[57:58]
	s_waitcnt vmcnt(0)
	v_add_f64 v[2:3], v[117:118], -v[2:3]
	buffer_store_dword v58, off, s[0:3], 0 offset:228
	buffer_store_dword v57, off, s[0:3], 0 offset:224
	;; [unrolled: 1-line block ×4, first 2 shown]
	v_cmpx_lt_u32_e32 12, v0
	s_cbranch_execz .LBB89_145
; %bb.144:
	v_mov_b32_e32 v2, s25
	s_clause 0x3
	buffer_load_dword v57, v2, s[0:3], 0 offen
	buffer_load_dword v58, v2, s[0:3], 0 offen offset:4
	buffer_load_dword v59, v2, s[0:3], 0 offen offset:8
	;; [unrolled: 1-line block ×3, first 2 shown]
	v_mov_b32_e32 v2, 0
	buffer_store_dword v2, off, s[0:3], 0 offset:208
	buffer_store_dword v2, off, s[0:3], 0 offset:212
	;; [unrolled: 1-line block ×4, first 2 shown]
	s_waitcnt vmcnt(0)
	ds_write_b128 v1, v[57:60]
.LBB89_145:
	s_or_b32 exec_lo, exec_lo, s4
	s_waitcnt lgkmcnt(0)
	s_waitcnt_vscnt null, 0x0
	s_barrier
	buffer_gl0_inv
	s_clause 0x33
	buffer_load_dword v3, off, s[0:3], 0 offset:232
	buffer_load_dword v4, off, s[0:3], 0 offset:236
	;; [unrolled: 1-line block ×52, first 2 shown]
	v_mov_b32_e32 v2, 0
	ds_read_b128 v[57:60], v2 offset:624
	ds_read_b128 v[61:64], v2 offset:640
	s_clause 0x3
	buffer_load_dword v121, off, s[0:3], 0 offset:208
	buffer_load_dword v122, off, s[0:3], 0 offset:212
	;; [unrolled: 1-line block ×4, first 2 shown]
	ds_read_b128 v[65:68], v2 offset:656
	s_mov_b32 s4, exec_lo
	s_waitcnt vmcnt(54) lgkmcnt(2)
	v_mul_f64 v[119:120], v[59:60], v[3:4]
	v_mul_f64 v[3:4], v[57:58], v[3:4]
	s_waitcnt vmcnt(52) lgkmcnt(1)
	v_mul_f64 v[125:126], v[63:64], v[69:70]
	v_mul_f64 v[69:70], v[61:62], v[69:70]
	s_waitcnt vmcnt(50)
	v_fma_f64 v[119:120], v[57:58], v[71:72], -v[119:120]
	v_fma_f64 v[3:4], v[59:60], v[71:72], v[3:4]
	ds_read_b128 v[57:60], v2 offset:672
	s_waitcnt vmcnt(48) lgkmcnt(1)
	v_mul_f64 v[71:72], v[65:66], v[73:74]
	v_mul_f64 v[73:74], v[67:68], v[73:74]
	s_waitcnt vmcnt(46)
	v_fma_f64 v[125:126], v[61:62], v[75:76], -v[125:126]
	v_fma_f64 v[69:70], v[63:64], v[75:76], v[69:70]
	ds_read_b128 v[61:64], v2 offset:688
	s_waitcnt vmcnt(42) lgkmcnt(1)
	v_mul_f64 v[75:76], v[57:58], v[77:78]
	v_add_f64 v[119:120], v[119:120], 0
	v_add_f64 v[3:4], v[3:4], 0
	v_mul_f64 v[77:78], v[59:60], v[77:78]
	s_waitcnt vmcnt(40)
	v_fma_f64 v[73:74], v[65:66], v[83:84], -v[73:74]
	v_fma_f64 v[71:72], v[67:68], v[83:84], v[71:72]
	ds_read_b128 v[65:68], v2 offset:704
	s_waitcnt vmcnt(37)
	v_fma_f64 v[75:76], v[59:60], v[85:86], v[75:76]
	v_add_f64 v[119:120], v[119:120], v[125:126]
	v_add_f64 v[3:4], v[3:4], v[69:70]
	s_waitcnt lgkmcnt(1)
	v_mul_f64 v[69:70], v[61:62], v[79:80]
	v_mul_f64 v[79:80], v[63:64], v[79:80]
	v_fma_f64 v[77:78], v[57:58], v[85:86], -v[77:78]
	s_waitcnt vmcnt(33) lgkmcnt(0)
	v_mul_f64 v[83:84], v[67:68], v[87:88]
	ds_read_b128 v[57:60], v2 offset:720
	v_add_f64 v[73:74], v[119:120], v[73:74]
	v_add_f64 v[3:4], v[3:4], v[71:72]
	v_mul_f64 v[71:72], v[65:66], v[87:88]
	s_waitcnt vmcnt(32)
	v_fma_f64 v[79:80], v[61:62], v[81:82], -v[79:80]
	v_fma_f64 v[69:70], v[63:64], v[81:82], v[69:70]
	ds_read_b128 v[61:64], v2 offset:736
	s_waitcnt vmcnt(29)
	v_fma_f64 v[81:82], v[65:66], v[93:94], -v[83:84]
	v_add_f64 v[73:74], v[73:74], v[77:78]
	v_add_f64 v[3:4], v[3:4], v[75:76]
	s_waitcnt lgkmcnt(1)
	v_mul_f64 v[77:78], v[59:60], v[89:90]
	v_mul_f64 v[75:76], v[57:58], v[89:90]
	v_fma_f64 v[71:72], v[67:68], v[93:94], v[71:72]
	ds_read_b128 v[65:68], v2 offset:752
	v_add_f64 v[73:74], v[73:74], v[79:80]
	v_add_f64 v[3:4], v[3:4], v[69:70]
	s_waitcnt vmcnt(25) lgkmcnt(1)
	v_mul_f64 v[79:80], v[63:64], v[95:96]
	s_waitcnt vmcnt(24)
	v_fma_f64 v[77:78], v[57:58], v[91:92], -v[77:78]
	v_mul_f64 v[69:70], v[61:62], v[95:96]
	v_fma_f64 v[75:76], v[59:60], v[91:92], v[75:76]
	ds_read_b128 v[57:60], v2 offset:768
	v_add_f64 v[73:74], v[73:74], v[81:82]
	v_add_f64 v[3:4], v[3:4], v[71:72]
	s_waitcnt vmcnt(23) lgkmcnt(1)
	v_mul_f64 v[81:82], v[67:68], v[97:98]
	s_waitcnt vmcnt(21)
	v_fma_f64 v[79:80], v[61:62], v[101:102], -v[79:80]
	;; [unrolled: 9-line block ×5, first 2 shown]
	v_mul_f64 v[71:72], v[65:66], v[111:112]
	v_fma_f64 v[63:64], v[63:64], v[107:108], v[69:70]
	s_waitcnt vmcnt(7) lgkmcnt(0)
	v_mul_f64 v[69:70], v[57:58], v[113:114]
	v_add_f64 v[73:74], v[73:74], v[77:78]
	v_add_f64 v[3:4], v[3:4], v[75:76]
	v_mul_f64 v[75:76], v[59:60], v[113:114]
	s_waitcnt vmcnt(5)
	v_fma_f64 v[65:66], v[65:66], v[117:118], -v[81:82]
	v_fma_f64 v[67:68], v[67:68], v[117:118], v[71:72]
	s_waitcnt vmcnt(4)
	v_fma_f64 v[59:60], v[59:60], v[115:116], v[69:70]
	v_add_f64 v[61:62], v[73:74], v[61:62]
	v_add_f64 v[3:4], v[3:4], v[63:64]
	v_fma_f64 v[57:58], v[57:58], v[115:116], -v[75:76]
	v_add_f64 v[61:62], v[61:62], v[65:66]
	v_add_f64 v[3:4], v[3:4], v[67:68]
	;; [unrolled: 1-line block ×4, first 2 shown]
	s_waitcnt vmcnt(2)
	v_add_f64 v[57:58], v[121:122], -v[57:58]
	s_waitcnt vmcnt(0)
	v_add_f64 v[3:4], v[123:124], -v[3:4]
	buffer_store_dword v58, off, s[0:3], 0 offset:212
	buffer_store_dword v57, off, s[0:3], 0 offset:208
	buffer_store_dword v4, off, s[0:3], 0 offset:220
	buffer_store_dword v3, off, s[0:3], 0 offset:216
	v_cmpx_lt_u32_e32 11, v0
	s_cbranch_execz .LBB89_147
; %bb.146:
	v_mov_b32_e32 v3, s26
	s_clause 0x3
	buffer_load_dword v57, v3, s[0:3], 0 offen
	buffer_load_dword v58, v3, s[0:3], 0 offen offset:4
	buffer_load_dword v59, v3, s[0:3], 0 offen offset:8
	;; [unrolled: 1-line block ×3, first 2 shown]
	buffer_store_dword v2, off, s[0:3], 0 offset:192
	buffer_store_dword v2, off, s[0:3], 0 offset:196
	;; [unrolled: 1-line block ×4, first 2 shown]
	s_waitcnt vmcnt(0)
	ds_write_b128 v1, v[57:60]
.LBB89_147:
	s_or_b32 exec_lo, exec_lo, s4
	s_waitcnt lgkmcnt(0)
	s_waitcnt_vscnt null, 0x0
	s_barrier
	buffer_gl0_inv
	s_clause 0x35
	buffer_load_dword v3, off, s[0:3], 0 offset:216
	buffer_load_dword v4, off, s[0:3], 0 offset:220
	;; [unrolled: 1-line block ×54, first 2 shown]
	ds_read_b128 v[57:60], v2 offset:608
	s_clause 0x1
	buffer_load_dword v122, off, s[0:3], 0 offset:420
	buffer_load_dword v121, off, s[0:3], 0 offset:416
	ds_read_b128 v[61:64], v2 offset:624
	ds_read_b128 v[65:68], v2 offset:640
	s_mov_b32 s4, exec_lo
	s_waitcnt vmcnt(54) lgkmcnt(2)
	v_mul_f64 v[123:124], v[59:60], v[3:4]
	v_mul_f64 v[3:4], v[57:58], v[3:4]
	s_waitcnt vmcnt(52) lgkmcnt(1)
	v_mul_f64 v[125:126], v[63:64], v[69:70]
	v_mul_f64 v[69:70], v[61:62], v[69:70]
	;; [unrolled: 3-line block ×3, first 2 shown]
	v_fma_f64 v[123:124], v[57:58], v[71:72], -v[123:124]
	v_fma_f64 v[3:4], v[59:60], v[71:72], v[3:4]
	s_clause 0x3
	buffer_load_dword v71, off, s[0:3], 0 offset:192
	buffer_load_dword v72, off, s[0:3], 0 offset:196
	buffer_load_dword v127, off, s[0:3], 0 offset:200
	buffer_load_dword v128, off, s[0:3], 0 offset:204
	s_waitcnt vmcnt(50)
	v_fma_f64 v[125:126], v[61:62], v[75:76], -v[125:126]
	ds_read_b128 v[57:60], v2 offset:656
	v_fma_f64 v[69:70], v[63:64], v[75:76], v[69:70]
	ds_read_b128 v[61:64], v2 offset:672
	s_waitcnt vmcnt(44)
	v_fma_f64 v[73:74], v[65:66], v[83:84], -v[73:74]
	v_fma_f64 v[83:84], v[67:68], v[83:84], v[129:130]
	ds_read_b128 v[65:68], v2 offset:688
	v_add_f64 v[123:124], v[123:124], 0
	v_add_f64 v[3:4], v[3:4], 0
	s_waitcnt lgkmcnt(2)
	v_mul_f64 v[75:76], v[57:58], v[77:78]
	v_mul_f64 v[77:78], v[59:60], v[77:78]
	v_add_f64 v[123:124], v[123:124], v[125:126]
	v_add_f64 v[3:4], v[3:4], v[69:70]
	s_waitcnt vmcnt(43) lgkmcnt(1)
	v_mul_f64 v[69:70], v[61:62], v[79:80]
	v_mul_f64 v[79:80], v[63:64], v[79:80]
	s_waitcnt vmcnt(41)
	v_fma_f64 v[77:78], v[57:58], v[85:86], -v[77:78]
	v_fma_f64 v[75:76], v[59:60], v[85:86], v[75:76]
	ds_read_b128 v[57:60], v2 offset:704
	s_waitcnt vmcnt(37) lgkmcnt(1)
	v_mul_f64 v[85:86], v[67:68], v[87:88]
	v_add_f64 v[73:74], v[123:124], v[73:74]
	v_add_f64 v[3:4], v[3:4], v[83:84]
	v_mul_f64 v[83:84], v[65:66], v[87:88]
	s_waitcnt vmcnt(36)
	v_fma_f64 v[79:80], v[61:62], v[81:82], -v[79:80]
	v_fma_f64 v[69:70], v[63:64], v[81:82], v[69:70]
	ds_read_b128 v[61:64], v2 offset:720
	s_waitcnt vmcnt(33)
	v_fma_f64 v[81:82], v[65:66], v[93:94], -v[85:86]
	v_add_f64 v[73:74], v[73:74], v[77:78]
	v_add_f64 v[3:4], v[3:4], v[75:76]
	s_waitcnt lgkmcnt(1)
	v_mul_f64 v[77:78], v[59:60], v[89:90]
	v_mul_f64 v[75:76], v[57:58], v[89:90]
	v_add_f64 v[73:74], v[73:74], v[79:80]
	v_fma_f64 v[79:80], v[67:68], v[93:94], v[83:84]
	v_add_f64 v[3:4], v[3:4], v[69:70]
	ds_read_b128 v[65:68], v2 offset:736
	s_waitcnt vmcnt(29) lgkmcnt(1)
	v_mul_f64 v[83:84], v[63:64], v[95:96]
	s_waitcnt vmcnt(28)
	v_fma_f64 v[77:78], v[57:58], v[91:92], -v[77:78]
	v_mul_f64 v[69:70], v[61:62], v[95:96]
	v_fma_f64 v[75:76], v[59:60], v[91:92], v[75:76]
	ds_read_b128 v[57:60], v2 offset:752
	v_add_f64 v[73:74], v[73:74], v[81:82]
	s_waitcnt vmcnt(27) lgkmcnt(1)
	v_mul_f64 v[81:82], v[67:68], v[97:98]
	v_add_f64 v[3:4], v[3:4], v[79:80]
	v_mul_f64 v[79:80], v[65:66], v[97:98]
	s_waitcnt vmcnt(25)
	v_fma_f64 v[83:84], v[61:62], v[101:102], -v[83:84]
	v_fma_f64 v[69:70], v[63:64], v[101:102], v[69:70]
	ds_read_b128 v[61:64], v2 offset:768
	v_add_f64 v[73:74], v[73:74], v[77:78]
	s_waitcnt vmcnt(21) lgkmcnt(1)
	v_mul_f64 v[77:78], v[59:60], v[103:104]
	v_add_f64 v[3:4], v[3:4], v[75:76]
	s_waitcnt vmcnt(20)
	v_fma_f64 v[81:82], v[65:66], v[99:100], -v[81:82]
	v_mul_f64 v[75:76], v[57:58], v[103:104]
	v_fma_f64 v[79:80], v[67:68], v[99:100], v[79:80]
	ds_read_b128 v[65:68], v2 offset:784
	v_add_f64 v[73:74], v[73:74], v[83:84]
	s_waitcnt vmcnt(19) lgkmcnt(1)
	v_mul_f64 v[83:84], v[63:64], v[105:106]
	v_add_f64 v[3:4], v[3:4], v[69:70]
	s_waitcnt vmcnt(17)
	v_fma_f64 v[77:78], v[57:58], v[109:110], -v[77:78]
	v_mul_f64 v[69:70], v[61:62], v[105:106]
	;; [unrolled: 9-line block ×4, first 2 shown]
	v_fma_f64 v[67:68], v[67:68], v[117:118], v[79:80]
	s_waitcnt vmcnt(7) lgkmcnt(0)
	v_mul_f64 v[79:80], v[63:64], v[119:120]
	v_add_f64 v[73:74], v[73:74], v[83:84]
	s_waitcnt vmcnt(6)
	v_fma_f64 v[57:58], v[57:58], v[115:116], -v[77:78]
	v_add_f64 v[2:3], v[3:4], v[69:70]
	v_mul_f64 v[69:70], v[61:62], v[119:120]
	v_fma_f64 v[59:60], v[59:60], v[115:116], v[75:76]
	s_waitcnt vmcnt(4)
	v_fma_f64 v[61:62], v[61:62], v[121:122], -v[79:80]
	v_add_f64 v[65:66], v[73:74], v[65:66]
	v_add_f64 v[2:3], v[2:3], v[67:68]
	v_fma_f64 v[63:64], v[63:64], v[121:122], v[69:70]
	v_add_f64 v[57:58], v[65:66], v[57:58]
	v_add_f64 v[2:3], v[2:3], v[59:60]
	;; [unrolled: 1-line block ×4, first 2 shown]
	s_waitcnt vmcnt(2)
	v_add_f64 v[57:58], v[71:72], -v[57:58]
	s_waitcnt vmcnt(0)
	v_add_f64 v[2:3], v[127:128], -v[2:3]
	buffer_store_dword v58, off, s[0:3], 0 offset:196
	buffer_store_dword v57, off, s[0:3], 0 offset:192
	;; [unrolled: 1-line block ×4, first 2 shown]
	v_cmpx_lt_u32_e32 10, v0
	s_cbranch_execz .LBB89_149
; %bb.148:
	v_mov_b32_e32 v2, s27
	s_clause 0x3
	buffer_load_dword v57, v2, s[0:3], 0 offen
	buffer_load_dword v58, v2, s[0:3], 0 offen offset:4
	buffer_load_dword v59, v2, s[0:3], 0 offen offset:8
	;; [unrolled: 1-line block ×3, first 2 shown]
	v_mov_b32_e32 v2, 0
	buffer_store_dword v2, off, s[0:3], 0 offset:176
	buffer_store_dword v2, off, s[0:3], 0 offset:180
	;; [unrolled: 1-line block ×4, first 2 shown]
	s_waitcnt vmcnt(0)
	ds_write_b128 v1, v[57:60]
.LBB89_149:
	s_or_b32 exec_lo, exec_lo, s4
	s_waitcnt lgkmcnt(0)
	s_waitcnt_vscnt null, 0x0
	s_barrier
	buffer_gl0_inv
	s_clause 0x37
	buffer_load_dword v3, off, s[0:3], 0 offset:200
	buffer_load_dword v4, off, s[0:3], 0 offset:204
	;; [unrolled: 1-line block ×56, first 2 shown]
	v_mov_b32_e32 v2, 0
	s_mov_b32 s4, exec_lo
	ds_read_b128 v[57:60], v2 offset:592
	s_clause 0x2
	buffer_load_dword v122, off, s[0:3], 0 offset:428
	buffer_load_dword v126, off, s[0:3], 0 offset:404
	;; [unrolled: 1-line block ×3, first 2 shown]
	ds_read_b128 v[61:64], v2 offset:608
	ds_read_b128 v[65:68], v2 offset:624
	buffer_load_dword v124, off, s[0:3], 0 offset:420
	s_waitcnt vmcnt(58) lgkmcnt(2)
	v_mul_f64 v[127:128], v[59:60], v[3:4]
	v_mul_f64 v[3:4], v[57:58], v[3:4]
	s_waitcnt vmcnt(56) lgkmcnt(1)
	v_mul_f64 v[129:130], v[63:64], v[69:70]
	v_mul_f64 v[69:70], v[61:62], v[69:70]
	s_waitcnt vmcnt(54)
	v_fma_f64 v[127:128], v[57:58], v[71:72], -v[127:128]
	v_fma_f64 v[3:4], v[59:60], v[71:72], v[3:4]
	s_waitcnt vmcnt(52) lgkmcnt(0)
	v_mul_f64 v[71:72], v[65:66], v[73:74]
	v_mul_f64 v[73:74], v[67:68], v[73:74]
	s_waitcnt vmcnt(50)
	v_fma_f64 v[129:130], v[61:62], v[75:76], -v[129:130]
	ds_read_b128 v[57:60], v2 offset:640
	v_fma_f64 v[69:70], v[63:64], v[75:76], v[69:70]
	s_clause 0x3
	buffer_load_dword v75, off, s[0:3], 0 offset:176
	buffer_load_dword v76, off, s[0:3], 0 offset:180
	;; [unrolled: 1-line block ×4, first 2 shown]
	ds_read_b128 v[61:64], v2 offset:656
	v_add_f64 v[127:128], v[127:128], 0
	v_add_f64 v[3:4], v[3:4], 0
	s_waitcnt vmcnt(48)
	v_fma_f64 v[71:72], v[67:68], v[83:84], v[71:72]
	s_waitcnt lgkmcnt(1)
	v_mul_f64 v[133:134], v[57:58], v[77:78]
	v_mul_f64 v[77:78], v[59:60], v[77:78]
	v_fma_f64 v[73:74], v[65:66], v[83:84], -v[73:74]
	ds_read_b128 v[65:68], v2 offset:672
	v_add_f64 v[127:128], v[127:128], v[129:130]
	v_add_f64 v[3:4], v[3:4], v[69:70]
	s_waitcnt vmcnt(47) lgkmcnt(1)
	v_mul_f64 v[69:70], v[61:62], v[79:80]
	v_mul_f64 v[79:80], v[63:64], v[79:80]
	s_waitcnt vmcnt(45)
	v_fma_f64 v[77:78], v[57:58], v[85:86], -v[77:78]
	v_fma_f64 v[83:84], v[59:60], v[85:86], v[133:134]
	s_waitcnt vmcnt(41) lgkmcnt(0)
	v_mul_f64 v[85:86], v[67:68], v[87:88]
	ds_read_b128 v[57:60], v2 offset:688
	v_add_f64 v[73:74], v[127:128], v[73:74]
	v_add_f64 v[3:4], v[3:4], v[71:72]
	v_mul_f64 v[71:72], v[65:66], v[87:88]
	s_waitcnt vmcnt(40)
	v_fma_f64 v[79:80], v[61:62], v[81:82], -v[79:80]
	v_fma_f64 v[69:70], v[63:64], v[81:82], v[69:70]
	ds_read_b128 v[61:64], v2 offset:704
	s_waitcnt vmcnt(39) lgkmcnt(1)
	v_mul_f64 v[81:82], v[59:60], v[89:90]
	v_add_f64 v[73:74], v[73:74], v[77:78]
	v_add_f64 v[3:4], v[3:4], v[83:84]
	s_waitcnt vmcnt(37)
	v_fma_f64 v[83:84], v[65:66], v[93:94], -v[85:86]
	v_mul_f64 v[77:78], v[57:58], v[89:90]
	v_fma_f64 v[71:72], v[67:68], v[93:94], v[71:72]
	ds_read_b128 v[65:68], v2 offset:720
	s_waitcnt vmcnt(32)
	v_fma_f64 v[81:82], v[57:58], v[91:92], -v[81:82]
	v_add_f64 v[73:74], v[73:74], v[79:80]
	v_add_f64 v[3:4], v[3:4], v[69:70]
	s_waitcnt lgkmcnt(1)
	v_mul_f64 v[79:80], v[63:64], v[95:96]
	v_mul_f64 v[69:70], v[61:62], v[95:96]
	v_fma_f64 v[77:78], v[59:60], v[91:92], v[77:78]
	ds_read_b128 v[57:60], v2 offset:736
	v_add_f64 v[73:74], v[73:74], v[83:84]
	v_add_f64 v[3:4], v[3:4], v[71:72]
	s_waitcnt vmcnt(31) lgkmcnt(1)
	v_mul_f64 v[83:84], v[67:68], v[97:98]
	s_waitcnt vmcnt(29)
	v_fma_f64 v[79:80], v[61:62], v[101:102], -v[79:80]
	v_mul_f64 v[71:72], v[65:66], v[97:98]
	v_fma_f64 v[69:70], v[63:64], v[101:102], v[69:70]
	ds_read_b128 v[61:64], v2 offset:752
	v_add_f64 v[73:74], v[73:74], v[81:82]
	v_add_f64 v[3:4], v[3:4], v[77:78]
	s_waitcnt vmcnt(25) lgkmcnt(1)
	v_mul_f64 v[81:82], v[59:60], v[103:104]
	s_waitcnt vmcnt(24)
	v_fma_f64 v[83:84], v[65:66], v[99:100], -v[83:84]
	;; [unrolled: 9-line block ×6, first 2 shown]
	v_mul_f64 v[69:70], v[61:62], v[119:120]
	v_fma_f64 v[59:60], v[59:60], v[115:116], v[77:78]
	s_waitcnt vmcnt(7) lgkmcnt(0)
	v_mul_f64 v[77:78], v[67:68], v[121:122]
	v_add_f64 v[73:74], v[73:74], v[83:84]
	v_add_f64 v[3:4], v[3:4], v[71:72]
	s_waitcnt vmcnt(5)
	v_fma_f64 v[61:62], v[61:62], v[125:126], -v[79:80]
	v_mul_f64 v[71:72], v[65:66], v[121:122]
	v_fma_f64 v[63:64], v[63:64], v[125:126], v[69:70]
	v_add_f64 v[57:58], v[73:74], v[57:58]
	v_add_f64 v[3:4], v[3:4], v[59:60]
	s_waitcnt vmcnt(4)
	v_fma_f64 v[59:60], v[65:66], v[123:124], -v[77:78]
	v_add_f64 v[57:58], v[57:58], v[61:62]
	v_fma_f64 v[61:62], v[67:68], v[123:124], v[71:72]
	v_add_f64 v[3:4], v[3:4], v[63:64]
	v_add_f64 v[57:58], v[57:58], v[59:60]
	;; [unrolled: 1-line block ×3, first 2 shown]
	s_waitcnt vmcnt(2)
	v_add_f64 v[57:58], v[75:76], -v[57:58]
	s_waitcnt vmcnt(0)
	v_add_f64 v[3:4], v[131:132], -v[3:4]
	buffer_store_dword v58, off, s[0:3], 0 offset:180
	buffer_store_dword v57, off, s[0:3], 0 offset:176
	;; [unrolled: 1-line block ×4, first 2 shown]
	v_cmpx_lt_u32_e32 9, v0
	s_cbranch_execz .LBB89_151
; %bb.150:
	v_mov_b32_e32 v3, s28
	s_clause 0x3
	buffer_load_dword v57, v3, s[0:3], 0 offen
	buffer_load_dword v58, v3, s[0:3], 0 offen offset:4
	buffer_load_dword v59, v3, s[0:3], 0 offen offset:8
	;; [unrolled: 1-line block ×3, first 2 shown]
	buffer_store_dword v2, off, s[0:3], 0 offset:160
	buffer_store_dword v2, off, s[0:3], 0 offset:164
	buffer_store_dword v2, off, s[0:3], 0 offset:168
	buffer_store_dword v2, off, s[0:3], 0 offset:172
	s_waitcnt vmcnt(0)
	ds_write_b128 v1, v[57:60]
.LBB89_151:
	s_or_b32 exec_lo, exec_lo, s4
	s_waitcnt lgkmcnt(0)
	s_waitcnt_vscnt null, 0x0
	s_barrier
	buffer_gl0_inv
	s_clause 0x37
	buffer_load_dword v3, off, s[0:3], 0 offset:184
	buffer_load_dword v4, off, s[0:3], 0 offset:188
	;; [unrolled: 1-line block ×56, first 2 shown]
	ds_read_b128 v[57:60], v2 offset:576
	s_clause 0x2
	buffer_load_dword v122, off, s[0:3], 0 offset:412
	buffer_load_dword v126, off, s[0:3], 0 offset:388
	;; [unrolled: 1-line block ×3, first 2 shown]
	ds_read_b128 v[61:64], v2 offset:592
	s_clause 0x2
	buffer_load_dword v130, off, s[0:3], 0 offset:428
	buffer_load_dword v129, off, s[0:3], 0 offset:424
	;; [unrolled: 1-line block ×3, first 2 shown]
	ds_read_b128 v[65:68], v2 offset:608
	s_mov_b32 s4, exec_lo
	s_waitcnt vmcnt(60) lgkmcnt(2)
	v_mul_f64 v[127:128], v[59:60], v[3:4]
	v_mul_f64 v[3:4], v[57:58], v[3:4]
	s_waitcnt vmcnt(58) lgkmcnt(1)
	v_mul_f64 v[131:132], v[63:64], v[69:70]
	v_mul_f64 v[69:70], v[61:62], v[69:70]
	;; [unrolled: 3-line block ×3, first 2 shown]
	v_fma_f64 v[127:128], v[57:58], v[71:72], -v[127:128]
	v_fma_f64 v[3:4], v[59:60], v[71:72], v[3:4]
	s_clause 0x1
	buffer_load_dword v72, off, s[0:3], 0 offset:420
	buffer_load_dword v71, off, s[0:3], 0 offset:416
	s_waitcnt vmcnt(54)
	v_fma_f64 v[131:132], v[61:62], v[75:76], -v[131:132]
	ds_read_b128 v[57:60], v2 offset:624
	v_fma_f64 v[69:70], v[63:64], v[75:76], v[69:70]
	ds_read_b128 v[61:64], v2 offset:640
	s_waitcnt vmcnt(48)
	v_fma_f64 v[73:74], v[65:66], v[83:84], -v[73:74]
	v_fma_f64 v[83:84], v[67:68], v[83:84], v[133:134]
	v_add_f64 v[127:128], v[127:128], 0
	v_add_f64 v[3:4], v[3:4], 0
	s_waitcnt lgkmcnt(1)
	v_mul_f64 v[75:76], v[57:58], v[77:78]
	v_mul_f64 v[77:78], v[59:60], v[77:78]
	s_waitcnt vmcnt(47) lgkmcnt(0)
	v_mul_f64 v[133:134], v[61:62], v[79:80]
	v_mul_f64 v[79:80], v[63:64], v[79:80]
	v_add_f64 v[127:128], v[127:128], v[131:132]
	v_add_f64 v[3:4], v[3:4], v[69:70]
	s_clause 0x3
	buffer_load_dword v69, off, s[0:3], 0 offset:160
	buffer_load_dword v70, off, s[0:3], 0 offset:164
	;; [unrolled: 1-line block ×4, first 2 shown]
	s_waitcnt vmcnt(49)
	v_fma_f64 v[77:78], v[57:58], v[85:86], -v[77:78]
	ds_read_b128 v[65:68], v2 offset:656
	v_fma_f64 v[75:76], v[59:60], v[85:86], v[75:76]
	ds_read_b128 v[57:60], v2 offset:672
	s_waitcnt vmcnt(44)
	v_fma_f64 v[79:80], v[61:62], v[81:82], -v[79:80]
	v_add_f64 v[73:74], v[127:128], v[73:74]
	v_add_f64 v[3:4], v[3:4], v[83:84]
	s_waitcnt lgkmcnt(1)
	v_mul_f64 v[85:86], v[67:68], v[87:88]
	v_mul_f64 v[83:84], v[65:66], v[87:88]
	v_add_f64 v[73:74], v[73:74], v[77:78]
	v_fma_f64 v[77:78], v[63:64], v[81:82], v[133:134]
	v_add_f64 v[3:4], v[3:4], v[75:76]
	s_waitcnt vmcnt(43) lgkmcnt(0)
	v_mul_f64 v[81:82], v[59:60], v[89:90]
	s_waitcnt vmcnt(41)
	v_fma_f64 v[85:86], v[65:66], v[93:94], -v[85:86]
	ds_read_b128 v[61:64], v2 offset:688
	v_mul_f64 v[75:76], v[57:58], v[89:90]
	v_add_f64 v[73:74], v[73:74], v[79:80]
	v_fma_f64 v[79:80], v[67:68], v[93:94], v[83:84]
	v_add_f64 v[3:4], v[3:4], v[77:78]
	ds_read_b128 v[65:68], v2 offset:704
	s_waitcnt vmcnt(37) lgkmcnt(1)
	v_mul_f64 v[83:84], v[63:64], v[95:96]
	s_waitcnt vmcnt(36)
	v_fma_f64 v[81:82], v[57:58], v[91:92], -v[81:82]
	v_mul_f64 v[77:78], v[61:62], v[95:96]
	v_fma_f64 v[75:76], v[59:60], v[91:92], v[75:76]
	ds_read_b128 v[57:60], v2 offset:720
	v_add_f64 v[73:74], v[73:74], v[85:86]
	s_waitcnt vmcnt(35) lgkmcnt(1)
	v_mul_f64 v[85:86], v[67:68], v[97:98]
	v_add_f64 v[3:4], v[3:4], v[79:80]
	v_mul_f64 v[79:80], v[65:66], v[97:98]
	s_waitcnt vmcnt(33)
	v_fma_f64 v[83:84], v[61:62], v[101:102], -v[83:84]
	v_fma_f64 v[77:78], v[63:64], v[101:102], v[77:78]
	ds_read_b128 v[61:64], v2 offset:736
	v_add_f64 v[73:74], v[73:74], v[81:82]
	s_waitcnt vmcnt(29) lgkmcnt(1)
	v_mul_f64 v[81:82], v[59:60], v[103:104]
	v_add_f64 v[3:4], v[3:4], v[75:76]
	s_waitcnt vmcnt(28)
	v_fma_f64 v[85:86], v[65:66], v[99:100], -v[85:86]
	v_mul_f64 v[75:76], v[57:58], v[103:104]
	v_fma_f64 v[79:80], v[67:68], v[99:100], v[79:80]
	ds_read_b128 v[65:68], v2 offset:752
	v_add_f64 v[73:74], v[73:74], v[83:84]
	s_waitcnt vmcnt(27) lgkmcnt(1)
	v_mul_f64 v[83:84], v[63:64], v[105:106]
	v_add_f64 v[3:4], v[3:4], v[77:78]
	s_waitcnt vmcnt(25)
	v_fma_f64 v[81:82], v[57:58], v[109:110], -v[81:82]
	v_mul_f64 v[77:78], v[61:62], v[105:106]
	;; [unrolled: 9-line block ×6, first 2 shown]
	v_fma_f64 v[63:64], v[63:64], v[125:126], v[77:78]
	s_waitcnt vmcnt(7) lgkmcnt(0)
	v_mul_f64 v[77:78], v[59:60], v[129:130]
	v_add_f64 v[73:74], v[73:74], v[81:82]
	s_waitcnt vmcnt(6)
	v_fma_f64 v[65:66], v[65:66], v[123:124], -v[85:86]
	v_add_f64 v[2:3], v[3:4], v[75:76]
	v_mul_f64 v[75:76], v[57:58], v[129:130]
	v_fma_f64 v[67:68], v[67:68], v[123:124], v[79:80]
	v_add_f64 v[61:62], v[73:74], v[61:62]
	v_add_f64 v[2:3], v[2:3], v[63:64]
	s_waitcnt vmcnt(4)
	v_fma_f64 v[57:58], v[57:58], v[71:72], -v[77:78]
	v_fma_f64 v[59:60], v[59:60], v[71:72], v[75:76]
	v_add_f64 v[61:62], v[61:62], v[65:66]
	v_add_f64 v[2:3], v[2:3], v[67:68]
	;; [unrolled: 1-line block ×4, first 2 shown]
	s_waitcnt vmcnt(2)
	v_add_f64 v[57:58], v[69:70], -v[57:58]
	s_waitcnt vmcnt(0)
	v_add_f64 v[2:3], v[131:132], -v[2:3]
	buffer_store_dword v58, off, s[0:3], 0 offset:164
	buffer_store_dword v57, off, s[0:3], 0 offset:160
	;; [unrolled: 1-line block ×4, first 2 shown]
	v_cmpx_lt_u32_e32 8, v0
	s_cbranch_execz .LBB89_153
; %bb.152:
	v_mov_b32_e32 v2, s29
	s_clause 0x3
	buffer_load_dword v57, v2, s[0:3], 0 offen
	buffer_load_dword v58, v2, s[0:3], 0 offen offset:4
	buffer_load_dword v59, v2, s[0:3], 0 offen offset:8
	;; [unrolled: 1-line block ×3, first 2 shown]
	v_mov_b32_e32 v2, 0
	buffer_store_dword v2, off, s[0:3], 0 offset:144
	buffer_store_dword v2, off, s[0:3], 0 offset:148
	;; [unrolled: 1-line block ×4, first 2 shown]
	s_waitcnt vmcnt(0)
	ds_write_b128 v1, v[57:60]
.LBB89_153:
	s_or_b32 exec_lo, exec_lo, s4
	s_waitcnt lgkmcnt(0)
	s_waitcnt_vscnt null, 0x0
	s_barrier
	buffer_gl0_inv
	s_clause 0x37
	buffer_load_dword v3, off, s[0:3], 0 offset:168
	buffer_load_dword v4, off, s[0:3], 0 offset:172
	;; [unrolled: 1-line block ×56, first 2 shown]
	v_mov_b32_e32 v2, 0
	s_mov_b32 s4, exec_lo
	ds_read_b128 v[57:60], v2 offset:560
	s_clause 0x2
	buffer_load_dword v122, off, s[0:3], 0 offset:396
	buffer_load_dword v126, off, s[0:3], 0 offset:372
	;; [unrolled: 1-line block ×3, first 2 shown]
	ds_read_b128 v[61:64], v2 offset:576
	s_clause 0x4
	buffer_load_dword v130, off, s[0:3], 0 offset:412
	buffer_load_dword v131, off, s[0:3], 0 offset:424
	;; [unrolled: 1-line block ×5, first 2 shown]
	ds_read_b128 v[65:68], v2 offset:592
	s_waitcnt vmcnt(62) lgkmcnt(2)
	v_mul_f64 v[127:128], v[59:60], v[3:4]
	v_mul_f64 v[3:4], v[57:58], v[3:4]
	s_waitcnt vmcnt(60) lgkmcnt(1)
	v_mul_f64 v[134:135], v[63:64], v[69:70]
	v_mul_f64 v[69:70], v[61:62], v[69:70]
	;; [unrolled: 3-line block ×3, first 2 shown]
	v_fma_f64 v[127:128], v[57:58], v[71:72], -v[127:128]
	v_fma_f64 v[3:4], v[59:60], v[71:72], v[3:4]
	s_clause 0x2
	buffer_load_dword v132, off, s[0:3], 0 offset:428
	buffer_load_dword v72, off, s[0:3], 0 offset:404
	;; [unrolled: 1-line block ×3, first 2 shown]
	s_waitcnt vmcnt(57)
	v_fma_f64 v[138:139], v[61:62], v[75:76], -v[134:135]
	ds_read_b128 v[57:60], v2 offset:608
	v_fma_f64 v[69:70], v[63:64], v[75:76], v[69:70]
	buffer_load_dword v134, off, s[0:3], 0 offset:420
	ds_read_b128 v[61:64], v2 offset:624
	s_waitcnt vmcnt(52)
	v_fma_f64 v[73:74], v[65:66], v[83:84], -v[73:74]
	v_fma_f64 v[83:84], v[67:68], v[83:84], v[136:137]
	ds_read_b128 v[65:68], v2 offset:640
	v_add_f64 v[127:128], v[127:128], 0
	v_add_f64 v[3:4], v[3:4], 0
	s_waitcnt lgkmcnt(2)
	v_mul_f64 v[75:76], v[57:58], v[77:78]
	v_mul_f64 v[77:78], v[59:60], v[77:78]
	v_add_f64 v[127:128], v[127:128], v[138:139]
	v_add_f64 v[3:4], v[3:4], v[69:70]
	s_waitcnt vmcnt(51) lgkmcnt(1)
	v_mul_f64 v[69:70], v[61:62], v[79:80]
	v_mul_f64 v[79:80], v[63:64], v[79:80]
	s_waitcnt vmcnt(49)
	v_fma_f64 v[77:78], v[57:58], v[85:86], -v[77:78]
	v_fma_f64 v[75:76], v[59:60], v[85:86], v[75:76]
	v_add_f64 v[73:74], v[127:128], v[73:74]
	v_add_f64 v[3:4], v[3:4], v[83:84]
	s_clause 0x3
	buffer_load_dword v83, off, s[0:3], 0 offset:144
	buffer_load_dword v84, off, s[0:3], 0 offset:148
	;; [unrolled: 1-line block ×4, first 2 shown]
	s_waitcnt vmcnt(49) lgkmcnt(0)
	v_mul_f64 v[127:128], v[65:66], v[87:88]
	v_mul_f64 v[87:88], v[67:68], v[87:88]
	s_waitcnt vmcnt(48)
	v_fma_f64 v[79:80], v[61:62], v[81:82], -v[79:80]
	ds_read_b128 v[57:60], v2 offset:656
	v_fma_f64 v[69:70], v[63:64], v[81:82], v[69:70]
	ds_read_b128 v[61:64], v2 offset:672
	v_add_f64 v[73:74], v[73:74], v[77:78]
	v_add_f64 v[3:4], v[3:4], v[75:76]
	s_waitcnt vmcnt(47) lgkmcnt(1)
	v_mul_f64 v[77:78], v[59:60], v[89:90]
	s_waitcnt vmcnt(45)
	v_fma_f64 v[81:82], v[65:66], v[93:94], -v[87:88]
	v_mul_f64 v[75:76], v[57:58], v[89:90]
	s_waitcnt vmcnt(41) lgkmcnt(0)
	v_mul_f64 v[87:88], v[63:64], v[95:96]
	v_add_f64 v[73:74], v[73:74], v[79:80]
	v_fma_f64 v[79:80], v[67:68], v[93:94], v[127:128]
	v_add_f64 v[3:4], v[3:4], v[69:70]
	ds_read_b128 v[65:68], v2 offset:688
	s_waitcnt vmcnt(40)
	v_fma_f64 v[77:78], v[57:58], v[91:92], -v[77:78]
	v_mul_f64 v[69:70], v[61:62], v[95:96]
	v_fma_f64 v[75:76], v[59:60], v[91:92], v[75:76]
	ds_read_b128 v[57:60], v2 offset:704
	s_waitcnt vmcnt(37)
	v_fma_f64 v[87:88], v[61:62], v[101:102], -v[87:88]
	v_add_f64 v[73:74], v[73:74], v[81:82]
	s_waitcnt lgkmcnt(1)
	v_mul_f64 v[81:82], v[67:68], v[97:98]
	v_add_f64 v[3:4], v[3:4], v[79:80]
	v_mul_f64 v[79:80], v[65:66], v[97:98]
	v_fma_f64 v[69:70], v[63:64], v[101:102], v[69:70]
	ds_read_b128 v[61:64], v2 offset:720
	v_add_f64 v[73:74], v[73:74], v[77:78]
	s_waitcnt vmcnt(33) lgkmcnt(1)
	v_mul_f64 v[77:78], v[59:60], v[103:104]
	v_add_f64 v[3:4], v[3:4], v[75:76]
	s_waitcnt vmcnt(32)
	v_fma_f64 v[81:82], v[65:66], v[99:100], -v[81:82]
	v_mul_f64 v[75:76], v[57:58], v[103:104]
	v_fma_f64 v[79:80], v[67:68], v[99:100], v[79:80]
	ds_read_b128 v[65:68], v2 offset:736
	v_add_f64 v[73:74], v[73:74], v[87:88]
	s_waitcnt vmcnt(31) lgkmcnt(1)
	v_mul_f64 v[87:88], v[63:64], v[105:106]
	v_add_f64 v[3:4], v[3:4], v[69:70]
	s_waitcnt vmcnt(29)
	v_fma_f64 v[77:78], v[57:58], v[109:110], -v[77:78]
	;; [unrolled: 9-line block ×7, first 2 shown]
	v_mul_f64 v[75:76], v[57:58], v[129:130]
	v_fma_f64 v[67:68], v[67:68], v[123:124], v[79:80]
	v_add_f64 v[73:74], v[73:74], v[87:88]
	v_add_f64 v[3:4], v[3:4], v[69:70]
	s_waitcnt vmcnt(7) lgkmcnt(0)
	v_mul_f64 v[79:80], v[63:64], v[131:132]
	v_mul_f64 v[69:70], v[61:62], v[131:132]
	s_waitcnt vmcnt(5)
	v_fma_f64 v[57:58], v[57:58], v[71:72], -v[77:78]
	v_fma_f64 v[59:60], v[59:60], v[71:72], v[75:76]
	v_add_f64 v[65:66], v[73:74], v[65:66]
	v_add_f64 v[3:4], v[3:4], v[67:68]
	s_waitcnt vmcnt(4)
	v_fma_f64 v[61:62], v[61:62], v[133:134], -v[79:80]
	v_fma_f64 v[63:64], v[63:64], v[133:134], v[69:70]
	v_add_f64 v[57:58], v[65:66], v[57:58]
	v_add_f64 v[3:4], v[3:4], v[59:60]
	;; [unrolled: 1-line block ×4, first 2 shown]
	s_waitcnt vmcnt(2)
	v_add_f64 v[57:58], v[83:84], -v[57:58]
	s_waitcnt vmcnt(0)
	v_add_f64 v[3:4], v[85:86], -v[3:4]
	buffer_store_dword v58, off, s[0:3], 0 offset:148
	buffer_store_dword v57, off, s[0:3], 0 offset:144
	;; [unrolled: 1-line block ×4, first 2 shown]
	v_cmpx_lt_u32_e32 7, v0
	s_cbranch_execz .LBB89_155
; %bb.154:
	v_mov_b32_e32 v3, s30
	s_clause 0x3
	buffer_load_dword v57, v3, s[0:3], 0 offen
	buffer_load_dword v58, v3, s[0:3], 0 offen offset:4
	buffer_load_dword v59, v3, s[0:3], 0 offen offset:8
	;; [unrolled: 1-line block ×3, first 2 shown]
	buffer_store_dword v2, off, s[0:3], 0 offset:128
	buffer_store_dword v2, off, s[0:3], 0 offset:132
	;; [unrolled: 1-line block ×4, first 2 shown]
	s_waitcnt vmcnt(0)
	ds_write_b128 v1, v[57:60]
.LBB89_155:
	s_or_b32 exec_lo, exec_lo, s4
	s_waitcnt lgkmcnt(0)
	s_waitcnt_vscnt null, 0x0
	s_barrier
	buffer_gl0_inv
	s_clause 0x37
	buffer_load_dword v3, off, s[0:3], 0 offset:152
	buffer_load_dword v4, off, s[0:3], 0 offset:156
	;; [unrolled: 1-line block ×56, first 2 shown]
	ds_read_b128 v[57:60], v2 offset:544
	s_clause 0x2
	buffer_load_dword v122, off, s[0:3], 0 offset:380
	buffer_load_dword v126, off, s[0:3], 0 offset:356
	buffer_load_dword v125, off, s[0:3], 0 offset:352
	ds_read_b128 v[61:64], v2 offset:560
	s_clause 0x4
	buffer_load_dword v130, off, s[0:3], 0 offset:396
	buffer_load_dword v131, off, s[0:3], 0 offset:408
	;; [unrolled: 1-line block ×5, first 2 shown]
	ds_read_b128 v[65:68], v2 offset:576
	s_mov_b32 s4, exec_lo
	s_waitcnt vmcnt(62) lgkmcnt(2)
	v_mul_f64 v[127:128], v[59:60], v[3:4]
	v_mul_f64 v[3:4], v[57:58], v[3:4]
	s_waitcnt vmcnt(60) lgkmcnt(1)
	v_mul_f64 v[134:135], v[63:64], v[69:70]
	v_mul_f64 v[69:70], v[61:62], v[69:70]
	;; [unrolled: 3-line block ×3, first 2 shown]
	v_fma_f64 v[127:128], v[57:58], v[71:72], -v[127:128]
	v_fma_f64 v[3:4], v[59:60], v[71:72], v[3:4]
	s_clause 0x2
	buffer_load_dword v132, off, s[0:3], 0 offset:412
	buffer_load_dword v72, off, s[0:3], 0 offset:388
	;; [unrolled: 1-line block ×3, first 2 shown]
	s_waitcnt vmcnt(57)
	v_fma_f64 v[138:139], v[61:62], v[75:76], -v[134:135]
	ds_read_b128 v[57:60], v2 offset:592
	v_fma_f64 v[69:70], v[63:64], v[75:76], v[69:70]
	s_clause 0x2
	buffer_load_dword v76, off, s[0:3], 0 offset:428
	buffer_load_dword v75, off, s[0:3], 0 offset:424
	;; [unrolled: 1-line block ×3, first 2 shown]
	s_waitcnt vmcnt(54)
	v_fma_f64 v[73:74], v[65:66], v[83:84], -v[73:74]
	ds_read_b128 v[61:64], v2 offset:608
	v_fma_f64 v[83:84], v[67:68], v[83:84], v[136:137]
	v_add_f64 v[127:128], v[127:128], 0
	v_add_f64 v[3:4], v[3:4], 0
	s_waitcnt lgkmcnt(1)
	v_mul_f64 v[140:141], v[57:58], v[77:78]
	v_mul_f64 v[77:78], v[59:60], v[77:78]
	s_waitcnt vmcnt(53) lgkmcnt(0)
	v_mul_f64 v[135:136], v[61:62], v[79:80]
	v_mul_f64 v[79:80], v[63:64], v[79:80]
	v_add_f64 v[127:128], v[127:128], v[138:139]
	v_add_f64 v[3:4], v[3:4], v[69:70]
	s_clause 0x1
	buffer_load_dword v70, off, s[0:3], 0 offset:420
	buffer_load_dword v69, off, s[0:3], 0 offset:416
	s_waitcnt vmcnt(53)
	v_fma_f64 v[77:78], v[57:58], v[85:86], -v[77:78]
	ds_read_b128 v[65:68], v2 offset:624
	v_fma_f64 v[85:86], v[59:60], v[85:86], v[140:141]
	ds_read_b128 v[57:60], v2 offset:640
	s_waitcnt vmcnt(48)
	v_fma_f64 v[79:80], v[61:62], v[81:82], -v[79:80]
	v_add_f64 v[73:74], v[127:128], v[73:74]
	v_add_f64 v[3:4], v[3:4], v[83:84]
	s_waitcnt lgkmcnt(1)
	v_mul_f64 v[83:84], v[65:66], v[87:88]
	v_mul_f64 v[87:88], v[67:68], v[87:88]
	s_waitcnt vmcnt(47) lgkmcnt(0)
	v_mul_f64 v[127:128], v[57:58], v[89:90]
	v_mul_f64 v[89:90], v[59:60], v[89:90]
	v_add_f64 v[73:74], v[73:74], v[77:78]
	v_fma_f64 v[77:78], v[63:64], v[81:82], v[135:136]
	v_add_f64 v[3:4], v[3:4], v[85:86]
	s_clause 0x3
	buffer_load_dword v81, off, s[0:3], 0 offset:128
	buffer_load_dword v82, off, s[0:3], 0 offset:132
	;; [unrolled: 1-line block ×4, first 2 shown]
	s_waitcnt vmcnt(49)
	v_fma_f64 v[87:88], v[65:66], v[93:94], -v[87:88]
	ds_read_b128 v[61:64], v2 offset:656
	s_waitcnt vmcnt(44)
	v_fma_f64 v[89:90], v[57:58], v[91:92], -v[89:90]
	v_add_f64 v[73:74], v[73:74], v[79:80]
	v_fma_f64 v[79:80], v[67:68], v[93:94], v[83:84]
	v_add_f64 v[3:4], v[3:4], v[77:78]
	ds_read_b128 v[65:68], v2 offset:672
	s_waitcnt lgkmcnt(1)
	v_mul_f64 v[83:84], v[63:64], v[95:96]
	v_mul_f64 v[77:78], v[61:62], v[95:96]
	v_add_f64 v[73:74], v[73:74], v[87:88]
	v_fma_f64 v[87:88], v[59:60], v[91:92], v[127:128]
	v_add_f64 v[3:4], v[3:4], v[79:80]
	s_waitcnt vmcnt(43) lgkmcnt(0)
	v_mul_f64 v[91:92], v[67:68], v[97:98]
	s_waitcnt vmcnt(41)
	v_fma_f64 v[83:84], v[61:62], v[101:102], -v[83:84]
	ds_read_b128 v[57:60], v2 offset:688
	v_mul_f64 v[79:80], v[65:66], v[97:98]
	v_fma_f64 v[77:78], v[63:64], v[101:102], v[77:78]
	ds_read_b128 v[61:64], v2 offset:704
	v_add_f64 v[73:74], v[73:74], v[89:90]
	v_add_f64 v[3:4], v[3:4], v[87:88]
	s_waitcnt vmcnt(37) lgkmcnt(1)
	v_mul_f64 v[89:90], v[59:60], v[103:104]
	s_waitcnt vmcnt(36)
	v_fma_f64 v[91:92], v[65:66], v[99:100], -v[91:92]
	v_mul_f64 v[87:88], v[57:58], v[103:104]
	v_fma_f64 v[79:80], v[67:68], v[99:100], v[79:80]
	ds_read_b128 v[65:68], v2 offset:720
	v_add_f64 v[73:74], v[73:74], v[83:84]
	s_waitcnt vmcnt(35) lgkmcnt(1)
	v_mul_f64 v[83:84], v[63:64], v[105:106]
	v_add_f64 v[3:4], v[3:4], v[77:78]
	s_waitcnt vmcnt(33)
	v_fma_f64 v[89:90], v[57:58], v[109:110], -v[89:90]
	v_mul_f64 v[77:78], v[61:62], v[105:106]
	v_fma_f64 v[87:88], v[59:60], v[109:110], v[87:88]
	ds_read_b128 v[57:60], v2 offset:736
	v_add_f64 v[73:74], v[73:74], v[91:92]
	s_waitcnt vmcnt(29) lgkmcnt(1)
	v_mul_f64 v[91:92], v[67:68], v[111:112]
	v_add_f64 v[3:4], v[3:4], v[79:80]
	s_waitcnt vmcnt(28)
	v_fma_f64 v[83:84], v[61:62], v[107:108], -v[83:84]
	v_mul_f64 v[79:80], v[65:66], v[111:112]
	v_fma_f64 v[77:78], v[63:64], v[107:108], v[77:78]
	ds_read_b128 v[61:64], v2 offset:752
	v_add_f64 v[73:74], v[73:74], v[89:90]
	s_waitcnt vmcnt(27) lgkmcnt(1)
	v_mul_f64 v[89:90], v[59:60], v[113:114]
	v_add_f64 v[3:4], v[3:4], v[87:88]
	s_waitcnt vmcnt(25)
	v_fma_f64 v[91:92], v[65:66], v[117:118], -v[91:92]
	v_mul_f64 v[87:88], v[57:58], v[113:114]
	v_fma_f64 v[79:80], v[67:68], v[117:118], v[79:80]
	ds_read_b128 v[65:68], v2 offset:768
	v_add_f64 v[73:74], v[73:74], v[83:84]
	s_waitcnt vmcnt(21) lgkmcnt(1)
	v_mul_f64 v[83:84], v[63:64], v[119:120]
	v_add_f64 v[3:4], v[3:4], v[77:78]
	s_waitcnt vmcnt(20)
	v_fma_f64 v[89:90], v[57:58], v[115:116], -v[89:90]
	v_mul_f64 v[77:78], v[61:62], v[119:120]
	v_fma_f64 v[87:88], v[59:60], v[115:116], v[87:88]
	ds_read_b128 v[57:60], v2 offset:784
	v_add_f64 v[73:74], v[73:74], v[91:92]
	s_waitcnt vmcnt(19) lgkmcnt(1)
	v_mul_f64 v[91:92], v[67:68], v[121:122]
	v_add_f64 v[3:4], v[3:4], v[79:80]
	s_waitcnt vmcnt(17)
	v_fma_f64 v[83:84], v[61:62], v[125:126], -v[83:84]
	v_mul_f64 v[79:80], v[65:66], v[121:122]
	v_fma_f64 v[77:78], v[63:64], v[125:126], v[77:78]
	ds_read_b128 v[61:64], v2 offset:800
	v_add_f64 v[73:74], v[73:74], v[89:90]
	s_waitcnt vmcnt(13) lgkmcnt(1)
	v_mul_f64 v[89:90], v[59:60], v[129:130]
	v_add_f64 v[3:4], v[3:4], v[87:88]
	s_waitcnt vmcnt(12)
	v_fma_f64 v[91:92], v[65:66], v[123:124], -v[91:92]
	v_mul_f64 v[87:88], v[57:58], v[129:130]
	v_fma_f64 v[79:80], v[67:68], v[123:124], v[79:80]
	ds_read_b128 v[65:68], v2 offset:816
	v_add_f64 v[73:74], v[73:74], v[83:84]
	v_add_f64 v[3:4], v[3:4], v[77:78]
	s_waitcnt vmcnt(11) lgkmcnt(1)
	v_mul_f64 v[83:84], v[63:64], v[131:132]
	v_mul_f64 v[77:78], v[61:62], v[131:132]
	s_waitcnt vmcnt(9)
	v_fma_f64 v[57:58], v[57:58], v[71:72], -v[89:90]
	v_fma_f64 v[59:60], v[59:60], v[71:72], v[87:88]
	s_waitcnt vmcnt(7) lgkmcnt(0)
	v_mul_f64 v[71:72], v[65:66], v[75:76]
	v_mul_f64 v[75:76], v[67:68], v[75:76]
	v_add_f64 v[73:74], v[73:74], v[91:92]
	v_add_f64 v[2:3], v[3:4], v[79:80]
	s_waitcnt vmcnt(6)
	v_fma_f64 v[61:62], v[61:62], v[133:134], -v[83:84]
	v_fma_f64 v[63:64], v[63:64], v[133:134], v[77:78]
	v_add_f64 v[57:58], v[73:74], v[57:58]
	v_add_f64 v[2:3], v[2:3], v[59:60]
	s_waitcnt vmcnt(4)
	v_fma_f64 v[59:60], v[65:66], v[69:70], -v[75:76]
	v_add_f64 v[57:58], v[57:58], v[61:62]
	v_fma_f64 v[61:62], v[67:68], v[69:70], v[71:72]
	v_add_f64 v[2:3], v[2:3], v[63:64]
	v_add_f64 v[57:58], v[57:58], v[59:60]
	;; [unrolled: 1-line block ×3, first 2 shown]
	s_waitcnt vmcnt(2)
	v_add_f64 v[57:58], v[81:82], -v[57:58]
	s_waitcnt vmcnt(0)
	v_add_f64 v[2:3], v[85:86], -v[2:3]
	buffer_store_dword v58, off, s[0:3], 0 offset:132
	buffer_store_dword v57, off, s[0:3], 0 offset:128
	;; [unrolled: 1-line block ×4, first 2 shown]
	v_cmpx_lt_u32_e32 6, v0
	s_cbranch_execz .LBB89_157
; %bb.156:
	v_mov_b32_e32 v2, s31
	s_clause 0x3
	buffer_load_dword v57, v2, s[0:3], 0 offen
	buffer_load_dword v58, v2, s[0:3], 0 offen offset:4
	buffer_load_dword v59, v2, s[0:3], 0 offen offset:8
	;; [unrolled: 1-line block ×3, first 2 shown]
	v_mov_b32_e32 v2, 0
	buffer_store_dword v2, off, s[0:3], 0 offset:112
	buffer_store_dword v2, off, s[0:3], 0 offset:116
	;; [unrolled: 1-line block ×4, first 2 shown]
	s_waitcnt vmcnt(0)
	ds_write_b128 v1, v[57:60]
.LBB89_157:
	s_or_b32 exec_lo, exec_lo, s4
	s_waitcnt lgkmcnt(0)
	s_waitcnt_vscnt null, 0x0
	s_barrier
	buffer_gl0_inv
	s_clause 0x37
	buffer_load_dword v3, off, s[0:3], 0 offset:136
	buffer_load_dword v4, off, s[0:3], 0 offset:140
	buffer_load_dword v69, off, s[0:3], 0 offset:152
	buffer_load_dword v70, off, s[0:3], 0 offset:156
	buffer_load_dword v71, off, s[0:3], 0 offset:128
	buffer_load_dword v72, off, s[0:3], 0 offset:132
	buffer_load_dword v73, off, s[0:3], 0 offset:168
	buffer_load_dword v74, off, s[0:3], 0 offset:172
	buffer_load_dword v75, off, s[0:3], 0 offset:144
	buffer_load_dword v76, off, s[0:3], 0 offset:148
	buffer_load_dword v78, off, s[0:3], 0 offset:188
	buffer_load_dword v79, off, s[0:3], 0 offset:200
	buffer_load_dword v81, off, s[0:3], 0 offset:192
	buffer_load_dword v77, off, s[0:3], 0 offset:184
	buffer_load_dword v83, off, s[0:3], 0 offset:160
	buffer_load_dword v84, off, s[0:3], 0 offset:164
	buffer_load_dword v80, off, s[0:3], 0 offset:204
	buffer_load_dword v86, off, s[0:3], 0 offset:180
	buffer_load_dword v85, off, s[0:3], 0 offset:176
	buffer_load_dword v88, off, s[0:3], 0 offset:220
	buffer_load_dword v89, off, s[0:3], 0 offset:232
	buffer_load_dword v91, off, s[0:3], 0 offset:224
	buffer_load_dword v87, off, s[0:3], 0 offset:216
	buffer_load_dword v82, off, s[0:3], 0 offset:196
	buffer_load_dword v90, off, s[0:3], 0 offset:236
	buffer_load_dword v94, off, s[0:3], 0 offset:212
	buffer_load_dword v93, off, s[0:3], 0 offset:208
	buffer_load_dword v96, off, s[0:3], 0 offset:252
	buffer_load_dword v97, off, s[0:3], 0 offset:264
	buffer_load_dword v99, off, s[0:3], 0 offset:256
	buffer_load_dword v95, off, s[0:3], 0 offset:248
	buffer_load_dword v92, off, s[0:3], 0 offset:228
	buffer_load_dword v98, off, s[0:3], 0 offset:268
	buffer_load_dword v102, off, s[0:3], 0 offset:244
	buffer_load_dword v101, off, s[0:3], 0 offset:240
	buffer_load_dword v104, off, s[0:3], 0 offset:284
	buffer_load_dword v105, off, s[0:3], 0 offset:296
	buffer_load_dword v107, off, s[0:3], 0 offset:288
	buffer_load_dword v103, off, s[0:3], 0 offset:280
	buffer_load_dword v100, off, s[0:3], 0 offset:260
	buffer_load_dword v106, off, s[0:3], 0 offset:300
	buffer_load_dword v110, off, s[0:3], 0 offset:276
	buffer_load_dword v109, off, s[0:3], 0 offset:272
	buffer_load_dword v112, off, s[0:3], 0 offset:316
	buffer_load_dword v113, off, s[0:3], 0 offset:328
	buffer_load_dword v115, off, s[0:3], 0 offset:320
	buffer_load_dword v111, off, s[0:3], 0 offset:312
	buffer_load_dword v108, off, s[0:3], 0 offset:292
	buffer_load_dword v114, off, s[0:3], 0 offset:332
	buffer_load_dword v118, off, s[0:3], 0 offset:308
	buffer_load_dword v117, off, s[0:3], 0 offset:304
	buffer_load_dword v120, off, s[0:3], 0 offset:348
	buffer_load_dword v121, off, s[0:3], 0 offset:360
	buffer_load_dword v123, off, s[0:3], 0 offset:352
	buffer_load_dword v119, off, s[0:3], 0 offset:344
	buffer_load_dword v116, off, s[0:3], 0 offset:324
	v_mov_b32_e32 v2, 0
	s_mov_b32 s4, exec_lo
	ds_read_b128 v[57:60], v2 offset:528
	s_clause 0x2
	buffer_load_dword v122, off, s[0:3], 0 offset:364
	buffer_load_dword v126, off, s[0:3], 0 offset:340
	;; [unrolled: 1-line block ×3, first 2 shown]
	ds_read_b128 v[61:64], v2 offset:544
	s_clause 0x4
	buffer_load_dword v130, off, s[0:3], 0 offset:380
	buffer_load_dword v131, off, s[0:3], 0 offset:392
	;; [unrolled: 1-line block ×5, first 2 shown]
	ds_read_b128 v[65:68], v2 offset:560
	s_waitcnt vmcnt(62) lgkmcnt(2)
	v_mul_f64 v[127:128], v[59:60], v[3:4]
	v_mul_f64 v[3:4], v[57:58], v[3:4]
	s_waitcnt vmcnt(60) lgkmcnt(1)
	v_mul_f64 v[134:135], v[63:64], v[69:70]
	v_mul_f64 v[69:70], v[61:62], v[69:70]
	;; [unrolled: 3-line block ×3, first 2 shown]
	v_fma_f64 v[127:128], v[57:58], v[71:72], -v[127:128]
	v_fma_f64 v[3:4], v[59:60], v[71:72], v[3:4]
	s_clause 0x2
	buffer_load_dword v132, off, s[0:3], 0 offset:396
	buffer_load_dword v72, off, s[0:3], 0 offset:372
	;; [unrolled: 1-line block ×3, first 2 shown]
	s_waitcnt vmcnt(57)
	v_fma_f64 v[138:139], v[61:62], v[75:76], -v[134:135]
	ds_read_b128 v[57:60], v2 offset:576
	v_fma_f64 v[69:70], v[63:64], v[75:76], v[69:70]
	s_clause 0x4
	buffer_load_dword v76, off, s[0:3], 0 offset:412
	buffer_load_dword v135, off, s[0:3], 0 offset:424
	;; [unrolled: 1-line block ×5, first 2 shown]
	s_waitcnt vmcnt(56)
	v_fma_f64 v[73:74], v[65:66], v[83:84], -v[73:74]
	ds_read_b128 v[61:64], v2 offset:592
	v_fma_f64 v[83:84], v[67:68], v[83:84], v[136:137]
	v_add_f64 v[127:128], v[127:128], 0
	v_add_f64 v[3:4], v[3:4], 0
	s_waitcnt lgkmcnt(1)
	v_mul_f64 v[141:142], v[57:58], v[77:78]
	v_mul_f64 v[77:78], v[59:60], v[77:78]
	v_add_f64 v[127:128], v[127:128], v[138:139]
	v_add_f64 v[3:4], v[3:4], v[69:70]
	s_clause 0x2
	buffer_load_dword v136, off, s[0:3], 0 offset:428
	buffer_load_dword v70, off, s[0:3], 0 offset:404
	;; [unrolled: 1-line block ×3, first 2 shown]
	s_waitcnt vmcnt(58) lgkmcnt(0)
	v_mul_f64 v[137:138], v[61:62], v[79:80]
	v_mul_f64 v[79:80], v[63:64], v[79:80]
	s_waitcnt vmcnt(56)
	v_fma_f64 v[77:78], v[57:58], v[85:86], -v[77:78]
	ds_read_b128 v[65:68], v2 offset:608
	v_fma_f64 v[85:86], v[59:60], v[85:86], v[141:142]
	buffer_load_dword v141, off, s[0:3], 0 offset:420
	ds_read_b128 v[57:60], v2 offset:624
	v_add_f64 v[73:74], v[127:128], v[73:74]
	v_add_f64 v[3:4], v[3:4], v[83:84]
	s_waitcnt vmcnt(53) lgkmcnt(1)
	v_mul_f64 v[83:84], v[65:66], v[87:88]
	v_mul_f64 v[87:88], v[67:68], v[87:88]
	s_waitcnt vmcnt(52)
	v_fma_f64 v[79:80], v[61:62], v[81:82], -v[79:80]
	v_add_f64 v[73:74], v[73:74], v[77:78]
	v_fma_f64 v[77:78], v[63:64], v[81:82], v[137:138]
	v_add_f64 v[3:4], v[3:4], v[85:86]
	s_waitcnt vmcnt(51) lgkmcnt(0)
	v_mul_f64 v[85:86], v[59:60], v[89:90]
	ds_read_b128 v[61:64], v2 offset:640
	s_waitcnt vmcnt(49)
	v_fma_f64 v[87:88], v[65:66], v[93:94], -v[87:88]
	v_mul_f64 v[81:82], v[57:58], v[89:90]
	v_add_f64 v[73:74], v[73:74], v[79:80]
	v_fma_f64 v[79:80], v[67:68], v[93:94], v[83:84]
	v_add_f64 v[3:4], v[3:4], v[77:78]
	s_clause 0x3
	buffer_load_dword v77, off, s[0:3], 0 offset:112
	buffer_load_dword v78, off, s[0:3], 0 offset:116
	;; [unrolled: 1-line block ×4, first 2 shown]
	s_waitcnt vmcnt(49) lgkmcnt(0)
	v_mul_f64 v[93:94], v[63:64], v[95:96]
	s_waitcnt vmcnt(48)
	v_fma_f64 v[85:86], v[57:58], v[91:92], -v[85:86]
	ds_read_b128 v[65:68], v2 offset:656
	v_mul_f64 v[89:90], v[61:62], v[95:96]
	v_fma_f64 v[81:82], v[59:60], v[91:92], v[81:82]
	ds_read_b128 v[57:60], v2 offset:672
	v_add_f64 v[73:74], v[73:74], v[87:88]
	v_add_f64 v[3:4], v[3:4], v[79:80]
	s_waitcnt vmcnt(47) lgkmcnt(1)
	v_mul_f64 v[87:88], v[67:68], v[97:98]
	s_waitcnt vmcnt(45)
	v_fma_f64 v[91:92], v[61:62], v[101:102], -v[93:94]
	v_mul_f64 v[79:80], v[65:66], v[97:98]
	v_add_f64 v[73:74], v[73:74], v[85:86]
	v_fma_f64 v[85:86], v[63:64], v[101:102], v[89:90]
	v_add_f64 v[3:4], v[3:4], v[81:82]
	s_waitcnt vmcnt(41) lgkmcnt(0)
	v_mul_f64 v[89:90], v[59:60], v[103:104]
	s_waitcnt vmcnt(40)
	v_fma_f64 v[87:88], v[65:66], v[99:100], -v[87:88]
	ds_read_b128 v[61:64], v2 offset:688
	v_mul_f64 v[81:82], v[57:58], v[103:104]
	v_fma_f64 v[79:80], v[67:68], v[99:100], v[79:80]
	ds_read_b128 v[65:68], v2 offset:704
	v_add_f64 v[73:74], v[73:74], v[91:92]
	v_add_f64 v[3:4], v[3:4], v[85:86]
	s_waitcnt vmcnt(39) lgkmcnt(1)
	v_mul_f64 v[91:92], v[63:64], v[105:106]
	s_waitcnt vmcnt(37)
	v_fma_f64 v[89:90], v[57:58], v[109:110], -v[89:90]
	v_mul_f64 v[85:86], v[61:62], v[105:106]
	v_fma_f64 v[81:82], v[59:60], v[109:110], v[81:82]
	ds_read_b128 v[57:60], v2 offset:720
	v_add_f64 v[73:74], v[73:74], v[87:88]
	s_waitcnt vmcnt(33) lgkmcnt(1)
	v_mul_f64 v[87:88], v[67:68], v[111:112]
	v_add_f64 v[3:4], v[3:4], v[79:80]
	s_waitcnt vmcnt(32)
	v_fma_f64 v[91:92], v[61:62], v[107:108], -v[91:92]
	v_mul_f64 v[79:80], v[65:66], v[111:112]
	v_fma_f64 v[85:86], v[63:64], v[107:108], v[85:86]
	ds_read_b128 v[61:64], v2 offset:736
	v_add_f64 v[73:74], v[73:74], v[89:90]
	s_waitcnt vmcnt(31) lgkmcnt(1)
	v_mul_f64 v[89:90], v[59:60], v[113:114]
	v_add_f64 v[3:4], v[3:4], v[81:82]
	;; [unrolled: 9-line block ×5, first 2 shown]
	s_waitcnt vmcnt(16)
	v_fma_f64 v[87:88], v[65:66], v[123:124], -v[87:88]
	v_mul_f64 v[81:82], v[57:58], v[129:130]
	v_fma_f64 v[79:80], v[67:68], v[123:124], v[79:80]
	ds_read_b128 v[65:68], v2 offset:800
	v_add_f64 v[73:74], v[73:74], v[91:92]
	v_add_f64 v[3:4], v[3:4], v[85:86]
	s_waitcnt vmcnt(15) lgkmcnt(1)
	v_mul_f64 v[91:92], v[63:64], v[131:132]
	v_mul_f64 v[85:86], v[61:62], v[131:132]
	s_waitcnt vmcnt(13)
	v_fma_f64 v[89:90], v[57:58], v[71:72], -v[89:90]
	v_fma_f64 v[71:72], v[59:60], v[71:72], v[81:82]
	ds_read_b128 v[57:60], v2 offset:816
	v_add_f64 v[73:74], v[73:74], v[87:88]
	v_add_f64 v[3:4], v[3:4], v[79:80]
	s_waitcnt vmcnt(9) lgkmcnt(1)
	v_mul_f64 v[79:80], v[65:66], v[75:76]
	v_mul_f64 v[75:76], v[67:68], v[75:76]
	s_waitcnt vmcnt(8)
	v_fma_f64 v[61:62], v[61:62], v[133:134], -v[91:92]
	v_fma_f64 v[63:64], v[63:64], v[133:134], v[85:86]
	v_add_f64 v[73:74], v[73:74], v[89:90]
	v_add_f64 v[3:4], v[3:4], v[71:72]
	s_waitcnt vmcnt(7) lgkmcnt(0)
	v_mul_f64 v[81:82], v[59:60], v[135:136]
	v_mul_f64 v[71:72], v[57:58], v[135:136]
	s_waitcnt vmcnt(5)
	v_fma_f64 v[65:66], v[65:66], v[69:70], -v[75:76]
	v_fma_f64 v[67:68], v[67:68], v[69:70], v[79:80]
	v_add_f64 v[61:62], v[73:74], v[61:62]
	v_add_f64 v[3:4], v[3:4], v[63:64]
	s_waitcnt vmcnt(4)
	v_fma_f64 v[57:58], v[57:58], v[140:141], -v[81:82]
	v_fma_f64 v[59:60], v[59:60], v[140:141], v[71:72]
	v_add_f64 v[61:62], v[61:62], v[65:66]
	v_add_f64 v[3:4], v[3:4], v[67:68]
	;; [unrolled: 1-line block ×4, first 2 shown]
	s_waitcnt vmcnt(2)
	v_add_f64 v[57:58], v[77:78], -v[57:58]
	s_waitcnt vmcnt(0)
	v_add_f64 v[3:4], v[83:84], -v[3:4]
	buffer_store_dword v58, off, s[0:3], 0 offset:116
	buffer_store_dword v57, off, s[0:3], 0 offset:112
	;; [unrolled: 1-line block ×4, first 2 shown]
	v_cmpx_lt_u32_e32 5, v0
	s_cbranch_execz .LBB89_159
; %bb.158:
	v_mov_b32_e32 v3, s33
	s_clause 0x3
	buffer_load_dword v57, v3, s[0:3], 0 offen
	buffer_load_dword v58, v3, s[0:3], 0 offen offset:4
	buffer_load_dword v59, v3, s[0:3], 0 offen offset:8
	;; [unrolled: 1-line block ×3, first 2 shown]
	buffer_store_dword v2, off, s[0:3], 0 offset:96
	buffer_store_dword v2, off, s[0:3], 0 offset:100
	;; [unrolled: 1-line block ×4, first 2 shown]
	s_waitcnt vmcnt(0)
	ds_write_b128 v1, v[57:60]
.LBB89_159:
	s_or_b32 exec_lo, exec_lo, s4
	s_waitcnt lgkmcnt(0)
	s_waitcnt_vscnt null, 0x0
	s_barrier
	buffer_gl0_inv
	s_clause 0x37
	buffer_load_dword v3, off, s[0:3], 0 offset:120
	buffer_load_dword v4, off, s[0:3], 0 offset:124
	;; [unrolled: 1-line block ×56, first 2 shown]
	ds_read_b128 v[57:60], v2 offset:512
	s_clause 0x2
	buffer_load_dword v122, off, s[0:3], 0 offset:348
	buffer_load_dword v126, off, s[0:3], 0 offset:324
	;; [unrolled: 1-line block ×3, first 2 shown]
	ds_read_b128 v[61:64], v2 offset:528
	s_clause 0x4
	buffer_load_dword v130, off, s[0:3], 0 offset:364
	buffer_load_dword v131, off, s[0:3], 0 offset:376
	;; [unrolled: 1-line block ×5, first 2 shown]
	ds_read_b128 v[65:68], v2 offset:544
	s_mov_b32 s4, exec_lo
	s_waitcnt vmcnt(62) lgkmcnt(2)
	v_mul_f64 v[127:128], v[59:60], v[3:4]
	v_mul_f64 v[3:4], v[57:58], v[3:4]
	s_waitcnt vmcnt(60) lgkmcnt(1)
	v_mul_f64 v[134:135], v[63:64], v[69:70]
	v_mul_f64 v[69:70], v[61:62], v[69:70]
	;; [unrolled: 3-line block ×3, first 2 shown]
	v_fma_f64 v[127:128], v[57:58], v[71:72], -v[127:128]
	v_fma_f64 v[3:4], v[59:60], v[71:72], v[3:4]
	s_clause 0x2
	buffer_load_dword v132, off, s[0:3], 0 offset:380
	buffer_load_dword v72, off, s[0:3], 0 offset:356
	;; [unrolled: 1-line block ×3, first 2 shown]
	s_waitcnt vmcnt(57)
	v_fma_f64 v[138:139], v[61:62], v[75:76], -v[134:135]
	ds_read_b128 v[57:60], v2 offset:560
	v_fma_f64 v[69:70], v[63:64], v[75:76], v[69:70]
	s_clause 0x4
	buffer_load_dword v76, off, s[0:3], 0 offset:396
	buffer_load_dword v135, off, s[0:3], 0 offset:408
	;; [unrolled: 1-line block ×5, first 2 shown]
	s_waitcnt vmcnt(56)
	v_fma_f64 v[73:74], v[65:66], v[83:84], -v[73:74]
	ds_read_b128 v[61:64], v2 offset:576
	v_fma_f64 v[83:84], v[67:68], v[83:84], v[136:137]
	v_add_f64 v[127:128], v[127:128], 0
	v_add_f64 v[3:4], v[3:4], 0
	s_waitcnt lgkmcnt(1)
	v_mul_f64 v[141:142], v[57:58], v[77:78]
	v_mul_f64 v[77:78], v[59:60], v[77:78]
	v_add_f64 v[127:128], v[127:128], v[138:139]
	v_add_f64 v[3:4], v[3:4], v[69:70]
	s_clause 0x2
	buffer_load_dword v136, off, s[0:3], 0 offset:412
	buffer_load_dword v70, off, s[0:3], 0 offset:388
	;; [unrolled: 1-line block ×3, first 2 shown]
	s_waitcnt vmcnt(58) lgkmcnt(0)
	v_mul_f64 v[137:138], v[61:62], v[79:80]
	v_mul_f64 v[79:80], v[63:64], v[79:80]
	s_waitcnt vmcnt(56)
	v_fma_f64 v[77:78], v[57:58], v[85:86], -v[77:78]
	ds_read_b128 v[65:68], v2 offset:592
	v_fma_f64 v[85:86], v[59:60], v[85:86], v[141:142]
	v_add_f64 v[73:74], v[127:128], v[73:74]
	v_add_f64 v[3:4], v[3:4], v[83:84]
	s_clause 0x2
	buffer_load_dword v84, off, s[0:3], 0 offset:428
	buffer_load_dword v83, off, s[0:3], 0 offset:424
	;; [unrolled: 1-line block ×3, first 2 shown]
	ds_read_b128 v[57:60], v2 offset:608
	s_waitcnt vmcnt(55) lgkmcnt(1)
	v_mul_f64 v[127:128], v[65:66], v[87:88]
	v_mul_f64 v[87:88], v[67:68], v[87:88]
	s_waitcnt vmcnt(54)
	v_fma_f64 v[79:80], v[61:62], v[81:82], -v[79:80]
	v_add_f64 v[73:74], v[73:74], v[77:78]
	v_fma_f64 v[77:78], v[63:64], v[81:82], v[137:138]
	v_add_f64 v[3:4], v[3:4], v[85:86]
	s_clause 0x1
	buffer_load_dword v82, off, s[0:3], 0 offset:420
	buffer_load_dword v81, off, s[0:3], 0 offset:416
	s_waitcnt vmcnt(55) lgkmcnt(0)
	v_mul_f64 v[85:86], v[57:58], v[89:90]
	v_mul_f64 v[89:90], v[59:60], v[89:90]
	s_waitcnt vmcnt(53)
	v_fma_f64 v[87:88], v[65:66], v[93:94], -v[87:88]
	ds_read_b128 v[61:64], v2 offset:624
	v_add_f64 v[73:74], v[73:74], v[79:80]
	v_fma_f64 v[79:80], v[67:68], v[93:94], v[127:128]
	v_add_f64 v[3:4], v[3:4], v[77:78]
	ds_read_b128 v[65:68], v2 offset:640
	s_waitcnt vmcnt(48)
	v_fma_f64 v[85:86], v[59:60], v[91:92], v[85:86]
	s_waitcnt lgkmcnt(1)
	v_mul_f64 v[93:94], v[63:64], v[95:96]
	v_fma_f64 v[89:90], v[57:58], v[91:92], -v[89:90]
	v_mul_f64 v[77:78], v[61:62], v[95:96]
	v_add_f64 v[73:74], v[73:74], v[87:88]
	s_waitcnt vmcnt(47) lgkmcnt(0)
	v_mul_f64 v[95:96], v[67:68], v[97:98]
	v_add_f64 v[3:4], v[3:4], v[79:80]
	s_clause 0x3
	buffer_load_dword v79, off, s[0:3], 0 offset:96
	buffer_load_dword v80, off, s[0:3], 0 offset:100
	;; [unrolled: 1-line block ×4, first 2 shown]
	ds_read_b128 v[57:60], v2 offset:656
	s_waitcnt vmcnt(49)
	v_fma_f64 v[93:94], v[61:62], v[101:102], -v[93:94]
	v_mul_f64 v[91:92], v[65:66], v[97:98]
	v_fma_f64 v[77:78], v[63:64], v[101:102], v[77:78]
	ds_read_b128 v[61:64], v2 offset:672
	v_add_f64 v[73:74], v[73:74], v[89:90]
	s_waitcnt vmcnt(44)
	v_fma_f64 v[95:96], v[65:66], v[99:100], -v[95:96]
	v_add_f64 v[3:4], v[3:4], v[85:86]
	s_waitcnt lgkmcnt(1)
	v_mul_f64 v[89:90], v[59:60], v[103:104]
	v_mul_f64 v[85:86], v[57:58], v[103:104]
	v_fma_f64 v[91:92], v[67:68], v[99:100], v[91:92]
	ds_read_b128 v[65:68], v2 offset:688
	v_add_f64 v[73:74], v[73:74], v[93:94]
	s_waitcnt vmcnt(43) lgkmcnt(1)
	v_mul_f64 v[93:94], v[63:64], v[105:106]
	v_add_f64 v[3:4], v[3:4], v[77:78]
	s_waitcnt vmcnt(41)
	v_fma_f64 v[89:90], v[57:58], v[109:110], -v[89:90]
	v_mul_f64 v[77:78], v[61:62], v[105:106]
	v_fma_f64 v[85:86], v[59:60], v[109:110], v[85:86]
	ds_read_b128 v[57:60], v2 offset:704
	v_add_f64 v[73:74], v[73:74], v[95:96]
	s_waitcnt vmcnt(37) lgkmcnt(1)
	v_mul_f64 v[95:96], v[67:68], v[111:112]
	v_add_f64 v[3:4], v[3:4], v[91:92]
	s_waitcnt vmcnt(36)
	v_fma_f64 v[93:94], v[61:62], v[107:108], -v[93:94]
	;; [unrolled: 9-line block ×6, first 2 shown]
	v_mul_f64 v[85:86], v[57:58], v[129:130]
	v_fma_f64 v[91:92], v[67:68], v[123:124], v[91:92]
	ds_read_b128 v[65:68], v2 offset:784
	v_add_f64 v[73:74], v[73:74], v[93:94]
	v_add_f64 v[3:4], v[3:4], v[77:78]
	s_waitcnt vmcnt(19) lgkmcnt(1)
	v_mul_f64 v[93:94], v[63:64], v[131:132]
	v_mul_f64 v[77:78], v[61:62], v[131:132]
	s_waitcnt vmcnt(17)
	v_fma_f64 v[89:90], v[57:58], v[71:72], -v[89:90]
	v_fma_f64 v[71:72], v[59:60], v[71:72], v[85:86]
	ds_read_b128 v[57:60], v2 offset:800
	s_waitcnt vmcnt(13) lgkmcnt(1)
	v_mul_f64 v[85:86], v[65:66], v[75:76]
	v_mul_f64 v[75:76], v[67:68], v[75:76]
	v_add_f64 v[73:74], v[73:74], v[95:96]
	v_add_f64 v[3:4], v[3:4], v[91:92]
	s_waitcnt vmcnt(12)
	v_fma_f64 v[91:92], v[61:62], v[133:134], -v[93:94]
	v_fma_f64 v[77:78], v[63:64], v[133:134], v[77:78]
	ds_read_b128 v[61:64], v2 offset:816
	v_add_f64 v[73:74], v[73:74], v[89:90]
	v_add_f64 v[3:4], v[3:4], v[71:72]
	s_waitcnt vmcnt(11) lgkmcnt(1)
	v_mul_f64 v[89:90], v[59:60], v[135:136]
	v_mul_f64 v[71:72], v[57:58], v[135:136]
	s_waitcnt vmcnt(9)
	v_fma_f64 v[65:66], v[65:66], v[69:70], -v[75:76]
	v_fma_f64 v[67:68], v[67:68], v[69:70], v[85:86]
	v_add_f64 v[73:74], v[73:74], v[91:92]
	v_add_f64 v[2:3], v[3:4], v[77:78]
	s_waitcnt vmcnt(7) lgkmcnt(0)
	v_mul_f64 v[75:76], v[63:64], v[83:84]
	s_waitcnt vmcnt(6)
	v_fma_f64 v[57:58], v[57:58], v[140:141], -v[89:90]
	v_mul_f64 v[69:70], v[61:62], v[83:84]
	v_fma_f64 v[59:60], v[59:60], v[140:141], v[71:72]
	v_add_f64 v[65:66], v[73:74], v[65:66]
	v_add_f64 v[2:3], v[2:3], v[67:68]
	s_waitcnt vmcnt(4)
	v_fma_f64 v[61:62], v[61:62], v[81:82], -v[75:76]
	v_fma_f64 v[63:64], v[63:64], v[81:82], v[69:70]
	v_add_f64 v[57:58], v[65:66], v[57:58]
	v_add_f64 v[2:3], v[2:3], v[59:60]
	;; [unrolled: 1-line block ×4, first 2 shown]
	s_waitcnt vmcnt(2)
	v_add_f64 v[57:58], v[79:80], -v[57:58]
	s_waitcnt vmcnt(0)
	v_add_f64 v[2:3], v[87:88], -v[2:3]
	buffer_store_dword v58, off, s[0:3], 0 offset:100
	buffer_store_dword v57, off, s[0:3], 0 offset:96
	;; [unrolled: 1-line block ×4, first 2 shown]
	v_cmpx_lt_u32_e32 4, v0
	s_cbranch_execz .LBB89_161
; %bb.160:
	v_mov_b32_e32 v2, s34
	s_clause 0x3
	buffer_load_dword v57, v2, s[0:3], 0 offen
	buffer_load_dword v58, v2, s[0:3], 0 offen offset:4
	buffer_load_dword v59, v2, s[0:3], 0 offen offset:8
	buffer_load_dword v60, v2, s[0:3], 0 offen offset:12
	v_mov_b32_e32 v2, 0
	buffer_store_dword v2, off, s[0:3], 0 offset:80
	buffer_store_dword v2, off, s[0:3], 0 offset:84
	;; [unrolled: 1-line block ×4, first 2 shown]
	s_waitcnt vmcnt(0)
	ds_write_b128 v1, v[57:60]
.LBB89_161:
	s_or_b32 exec_lo, exec_lo, s4
	s_waitcnt lgkmcnt(0)
	s_waitcnt_vscnt null, 0x0
	s_barrier
	buffer_gl0_inv
	s_clause 0x37
	buffer_load_dword v3, off, s[0:3], 0 offset:104
	buffer_load_dword v4, off, s[0:3], 0 offset:108
	;; [unrolled: 1-line block ×56, first 2 shown]
	v_mov_b32_e32 v2, 0
	s_mov_b32 s4, exec_lo
	ds_read_b128 v[57:60], v2 offset:496
	s_clause 0x2
	buffer_load_dword v122, off, s[0:3], 0 offset:332
	buffer_load_dword v126, off, s[0:3], 0 offset:308
	;; [unrolled: 1-line block ×3, first 2 shown]
	ds_read_b128 v[61:64], v2 offset:512
	s_clause 0x4
	buffer_load_dword v130, off, s[0:3], 0 offset:348
	buffer_load_dword v131, off, s[0:3], 0 offset:360
	buffer_load_dword v133, off, s[0:3], 0 offset:352
	buffer_load_dword v129, off, s[0:3], 0 offset:344
	buffer_load_dword v124, off, s[0:3], 0 offset:324
	ds_read_b128 v[65:68], v2 offset:528
	s_waitcnt vmcnt(62) lgkmcnt(2)
	v_mul_f64 v[127:128], v[59:60], v[3:4]
	v_mul_f64 v[3:4], v[57:58], v[3:4]
	s_waitcnt vmcnt(60) lgkmcnt(1)
	v_mul_f64 v[134:135], v[63:64], v[69:70]
	v_mul_f64 v[69:70], v[61:62], v[69:70]
	;; [unrolled: 3-line block ×3, first 2 shown]
	v_fma_f64 v[127:128], v[57:58], v[71:72], -v[127:128]
	v_fma_f64 v[3:4], v[59:60], v[71:72], v[3:4]
	s_clause 0x2
	buffer_load_dword v132, off, s[0:3], 0 offset:364
	buffer_load_dword v72, off, s[0:3], 0 offset:340
	buffer_load_dword v71, off, s[0:3], 0 offset:336
	s_waitcnt vmcnt(57)
	v_fma_f64 v[138:139], v[61:62], v[75:76], -v[134:135]
	ds_read_b128 v[57:60], v2 offset:544
	v_fma_f64 v[69:70], v[63:64], v[75:76], v[69:70]
	s_clause 0x4
	buffer_load_dword v76, off, s[0:3], 0 offset:380
	buffer_load_dword v135, off, s[0:3], 0 offset:392
	;; [unrolled: 1-line block ×5, first 2 shown]
	s_waitcnt vmcnt(56)
	v_fma_f64 v[73:74], v[65:66], v[83:84], -v[73:74]
	ds_read_b128 v[61:64], v2 offset:560
	v_fma_f64 v[83:84], v[67:68], v[83:84], v[136:137]
	v_add_f64 v[127:128], v[127:128], 0
	v_add_f64 v[3:4], v[3:4], 0
	s_waitcnt lgkmcnt(1)
	v_mul_f64 v[141:142], v[57:58], v[77:78]
	v_mul_f64 v[77:78], v[59:60], v[77:78]
	v_add_f64 v[127:128], v[127:128], v[138:139]
	v_add_f64 v[3:4], v[3:4], v[69:70]
	s_clause 0x2
	buffer_load_dword v136, off, s[0:3], 0 offset:396
	buffer_load_dword v70, off, s[0:3], 0 offset:372
	;; [unrolled: 1-line block ×3, first 2 shown]
	s_waitcnt vmcnt(58) lgkmcnt(0)
	v_mul_f64 v[137:138], v[61:62], v[79:80]
	v_mul_f64 v[79:80], v[63:64], v[79:80]
	s_waitcnt vmcnt(56)
	v_fma_f64 v[77:78], v[57:58], v[85:86], -v[77:78]
	ds_read_b128 v[65:68], v2 offset:576
	v_fma_f64 v[85:86], v[59:60], v[85:86], v[141:142]
	v_add_f64 v[73:74], v[127:128], v[73:74]
	v_add_f64 v[3:4], v[3:4], v[83:84]
	s_clause 0x4
	buffer_load_dword v84, off, s[0:3], 0 offset:412
	buffer_load_dword v127, off, s[0:3], 0 offset:424
	;; [unrolled: 1-line block ×5, first 2 shown]
	ds_read_b128 v[57:60], v2 offset:592
	s_waitcnt vmcnt(57) lgkmcnt(1)
	v_mul_f64 v[143:144], v[65:66], v[87:88]
	v_mul_f64 v[87:88], v[67:68], v[87:88]
	s_waitcnt vmcnt(56)
	v_fma_f64 v[79:80], v[61:62], v[81:82], -v[79:80]
	v_add_f64 v[73:74], v[73:74], v[77:78]
	v_fma_f64 v[77:78], v[63:64], v[81:82], v[137:138]
	v_add_f64 v[3:4], v[3:4], v[85:86]
	s_clause 0x2
	buffer_load_dword v128, off, s[0:3], 0 offset:428
	buffer_load_dword v82, off, s[0:3], 0 offset:404
	;; [unrolled: 1-line block ×3, first 2 shown]
	s_waitcnt vmcnt(58) lgkmcnt(0)
	v_mul_f64 v[85:86], v[57:58], v[89:90]
	v_mul_f64 v[89:90], v[59:60], v[89:90]
	s_waitcnt vmcnt(56)
	v_fma_f64 v[87:88], v[65:66], v[93:94], -v[87:88]
	ds_read_b128 v[61:64], v2 offset:608
	v_add_f64 v[73:74], v[73:74], v[79:80]
	v_fma_f64 v[79:80], v[67:68], v[93:94], v[143:144]
	v_add_f64 v[3:4], v[3:4], v[77:78]
	buffer_load_dword v143, off, s[0:3], 0 offset:420
	ds_read_b128 v[65:68], v2 offset:624
	s_waitcnt vmcnt(53) lgkmcnt(1)
	v_mul_f64 v[93:94], v[63:64], v[95:96]
	s_waitcnt vmcnt(52)
	v_fma_f64 v[89:90], v[57:58], v[91:92], -v[89:90]
	v_mul_f64 v[77:78], v[61:62], v[95:96]
	v_fma_f64 v[85:86], v[59:60], v[91:92], v[85:86]
	ds_read_b128 v[57:60], v2 offset:640
	v_add_f64 v[73:74], v[73:74], v[87:88]
	v_add_f64 v[3:4], v[3:4], v[79:80]
	s_waitcnt vmcnt(51) lgkmcnt(1)
	v_mul_f64 v[87:88], v[67:68], v[97:98]
	v_mul_f64 v[79:80], v[65:66], v[97:98]
	s_waitcnt vmcnt(49)
	v_fma_f64 v[91:92], v[61:62], v[101:102], -v[93:94]
	v_fma_f64 v[77:78], v[63:64], v[101:102], v[77:78]
	s_waitcnt vmcnt(45) lgkmcnt(0)
	v_mul_f64 v[95:96], v[59:60], v[103:104]
	v_mul_f64 v[93:94], v[57:58], v[103:104]
	v_add_f64 v[73:74], v[73:74], v[89:90]
	v_add_f64 v[3:4], v[3:4], v[85:86]
	s_clause 0x3
	buffer_load_dword v85, off, s[0:3], 0 offset:80
	buffer_load_dword v86, off, s[0:3], 0 offset:84
	buffer_load_dword v89, off, s[0:3], 0 offset:88
	buffer_load_dword v90, off, s[0:3], 0 offset:92
	s_waitcnt vmcnt(48)
	v_fma_f64 v[87:88], v[65:66], v[99:100], -v[87:88]
	ds_read_b128 v[61:64], v2 offset:656
	v_fma_f64 v[79:80], v[67:68], v[99:100], v[79:80]
	ds_read_b128 v[65:68], v2 offset:672
	s_waitcnt vmcnt(45)
	v_fma_f64 v[95:96], v[57:58], v[109:110], -v[95:96]
	v_add_f64 v[73:74], v[73:74], v[91:92]
	v_add_f64 v[3:4], v[3:4], v[77:78]
	s_waitcnt lgkmcnt(1)
	v_mul_f64 v[91:92], v[63:64], v[105:106]
	v_mul_f64 v[77:78], v[61:62], v[105:106]
	v_add_f64 v[73:74], v[73:74], v[87:88]
	v_fma_f64 v[87:88], v[59:60], v[109:110], v[93:94]
	v_add_f64 v[3:4], v[3:4], v[79:80]
	s_waitcnt vmcnt(41) lgkmcnt(0)
	v_mul_f64 v[93:94], v[67:68], v[111:112]
	s_waitcnt vmcnt(40)
	v_fma_f64 v[91:92], v[61:62], v[107:108], -v[91:92]
	ds_read_b128 v[57:60], v2 offset:688
	v_mul_f64 v[79:80], v[65:66], v[111:112]
	v_fma_f64 v[77:78], v[63:64], v[107:108], v[77:78]
	ds_read_b128 v[61:64], v2 offset:704
	v_add_f64 v[73:74], v[73:74], v[95:96]
	v_add_f64 v[3:4], v[3:4], v[87:88]
	s_waitcnt vmcnt(39) lgkmcnt(1)
	v_mul_f64 v[95:96], v[59:60], v[113:114]
	s_waitcnt vmcnt(37)
	v_fma_f64 v[93:94], v[65:66], v[117:118], -v[93:94]
	v_mul_f64 v[87:88], v[57:58], v[113:114]
	v_fma_f64 v[79:80], v[67:68], v[117:118], v[79:80]
	ds_read_b128 v[65:68], v2 offset:720
	v_add_f64 v[73:74], v[73:74], v[91:92]
	s_waitcnt vmcnt(33) lgkmcnt(1)
	v_mul_f64 v[91:92], v[63:64], v[119:120]
	v_add_f64 v[3:4], v[3:4], v[77:78]
	s_waitcnt vmcnt(32)
	v_fma_f64 v[95:96], v[57:58], v[115:116], -v[95:96]
	v_mul_f64 v[77:78], v[61:62], v[119:120]
	v_fma_f64 v[87:88], v[59:60], v[115:116], v[87:88]
	ds_read_b128 v[57:60], v2 offset:736
	v_add_f64 v[73:74], v[73:74], v[93:94]
	s_waitcnt vmcnt(31) lgkmcnt(1)
	v_mul_f64 v[93:94], v[67:68], v[121:122]
	v_add_f64 v[3:4], v[3:4], v[79:80]
	;; [unrolled: 9-line block ×3, first 2 shown]
	s_waitcnt vmcnt(24)
	v_fma_f64 v[93:94], v[65:66], v[123:124], -v[93:94]
	v_mul_f64 v[87:88], v[57:58], v[129:130]
	v_fma_f64 v[79:80], v[67:68], v[123:124], v[79:80]
	ds_read_b128 v[65:68], v2 offset:768
	v_add_f64 v[73:74], v[73:74], v[91:92]
	v_add_f64 v[3:4], v[3:4], v[77:78]
	s_waitcnt vmcnt(23) lgkmcnt(1)
	v_mul_f64 v[91:92], v[63:64], v[131:132]
	v_mul_f64 v[77:78], v[61:62], v[131:132]
	s_waitcnt vmcnt(21)
	v_fma_f64 v[95:96], v[57:58], v[71:72], -v[95:96]
	v_fma_f64 v[71:72], v[59:60], v[71:72], v[87:88]
	ds_read_b128 v[57:60], v2 offset:784
	v_add_f64 v[73:74], v[73:74], v[93:94]
	v_add_f64 v[3:4], v[3:4], v[79:80]
	s_waitcnt vmcnt(17) lgkmcnt(1)
	v_mul_f64 v[79:80], v[65:66], v[75:76]
	v_mul_f64 v[75:76], v[67:68], v[75:76]
	s_waitcnt vmcnt(16)
	v_fma_f64 v[87:88], v[61:62], v[133:134], -v[91:92]
	;; [unrolled: 9-line block ×3, first 2 shown]
	v_fma_f64 v[69:70], v[67:68], v[69:70], v[79:80]
	ds_read_b128 v[65:68], v2 offset:816
	v_add_f64 v[73:74], v[73:74], v[87:88]
	v_add_f64 v[3:4], v[3:4], v[77:78]
	s_waitcnt vmcnt(9) lgkmcnt(1)
	v_mul_f64 v[79:80], v[63:64], v[83:84]
	s_waitcnt vmcnt(8)
	v_fma_f64 v[57:58], v[57:58], v[140:141], -v[91:92]
	v_mul_f64 v[77:78], v[61:62], v[83:84]
	v_fma_f64 v[59:60], v[59:60], v[140:141], v[71:72]
	v_add_f64 v[73:74], v[73:74], v[75:76]
	v_add_f64 v[3:4], v[3:4], v[69:70]
	s_waitcnt vmcnt(7) lgkmcnt(0)
	v_mul_f64 v[71:72], v[67:68], v[127:128]
	v_mul_f64 v[69:70], v[65:66], v[127:128]
	s_waitcnt vmcnt(5)
	v_fma_f64 v[61:62], v[61:62], v[81:82], -v[79:80]
	v_fma_f64 v[63:64], v[63:64], v[81:82], v[77:78]
	v_add_f64 v[57:58], v[73:74], v[57:58]
	v_add_f64 v[3:4], v[3:4], v[59:60]
	s_waitcnt vmcnt(4)
	v_fma_f64 v[59:60], v[65:66], v[142:143], -v[71:72]
	v_add_f64 v[57:58], v[57:58], v[61:62]
	v_fma_f64 v[61:62], v[67:68], v[142:143], v[69:70]
	v_add_f64 v[3:4], v[3:4], v[63:64]
	v_add_f64 v[57:58], v[57:58], v[59:60]
	;; [unrolled: 1-line block ×3, first 2 shown]
	s_waitcnt vmcnt(2)
	v_add_f64 v[57:58], v[85:86], -v[57:58]
	s_waitcnt vmcnt(0)
	v_add_f64 v[3:4], v[89:90], -v[3:4]
	buffer_store_dword v58, off, s[0:3], 0 offset:84
	buffer_store_dword v57, off, s[0:3], 0 offset:80
	;; [unrolled: 1-line block ×4, first 2 shown]
	v_cmpx_lt_u32_e32 3, v0
	s_cbranch_execz .LBB89_163
; %bb.162:
	v_mov_b32_e32 v3, s35
	s_clause 0x3
	buffer_load_dword v57, v3, s[0:3], 0 offen
	buffer_load_dword v58, v3, s[0:3], 0 offen offset:4
	buffer_load_dword v59, v3, s[0:3], 0 offen offset:8
	;; [unrolled: 1-line block ×3, first 2 shown]
	buffer_store_dword v2, off, s[0:3], 0 offset:64
	buffer_store_dword v2, off, s[0:3], 0 offset:68
	;; [unrolled: 1-line block ×4, first 2 shown]
	s_waitcnt vmcnt(0)
	ds_write_b128 v1, v[57:60]
.LBB89_163:
	s_or_b32 exec_lo, exec_lo, s4
	s_waitcnt lgkmcnt(0)
	s_waitcnt_vscnt null, 0x0
	s_barrier
	buffer_gl0_inv
	s_clause 0x37
	buffer_load_dword v3, off, s[0:3], 0 offset:88
	buffer_load_dword v4, off, s[0:3], 0 offset:92
	;; [unrolled: 1-line block ×56, first 2 shown]
	ds_read_b128 v[57:60], v2 offset:480
	s_clause 0x2
	buffer_load_dword v122, off, s[0:3], 0 offset:316
	buffer_load_dword v126, off, s[0:3], 0 offset:292
	;; [unrolled: 1-line block ×3, first 2 shown]
	ds_read_b128 v[61:64], v2 offset:496
	s_clause 0x4
	buffer_load_dword v130, off, s[0:3], 0 offset:332
	buffer_load_dword v131, off, s[0:3], 0 offset:344
	;; [unrolled: 1-line block ×5, first 2 shown]
	ds_read_b128 v[65:68], v2 offset:512
	s_mov_b32 s4, exec_lo
	s_waitcnt vmcnt(62) lgkmcnt(2)
	v_mul_f64 v[127:128], v[59:60], v[3:4]
	v_mul_f64 v[3:4], v[57:58], v[3:4]
	s_waitcnt vmcnt(60) lgkmcnt(1)
	v_mul_f64 v[134:135], v[63:64], v[69:70]
	v_mul_f64 v[69:70], v[61:62], v[69:70]
	;; [unrolled: 3-line block ×3, first 2 shown]
	v_fma_f64 v[127:128], v[57:58], v[71:72], -v[127:128]
	v_fma_f64 v[3:4], v[59:60], v[71:72], v[3:4]
	s_clause 0x2
	buffer_load_dword v132, off, s[0:3], 0 offset:348
	buffer_load_dword v72, off, s[0:3], 0 offset:324
	buffer_load_dword v71, off, s[0:3], 0 offset:320
	s_waitcnt vmcnt(57)
	v_fma_f64 v[138:139], v[61:62], v[75:76], -v[134:135]
	ds_read_b128 v[57:60], v2 offset:528
	v_fma_f64 v[69:70], v[63:64], v[75:76], v[69:70]
	s_clause 0x4
	buffer_load_dword v76, off, s[0:3], 0 offset:364
	buffer_load_dword v135, off, s[0:3], 0 offset:376
	;; [unrolled: 1-line block ×5, first 2 shown]
	s_waitcnt vmcnt(56)
	v_fma_f64 v[73:74], v[65:66], v[83:84], -v[73:74]
	ds_read_b128 v[61:64], v2 offset:544
	v_fma_f64 v[83:84], v[67:68], v[83:84], v[136:137]
	v_add_f64 v[127:128], v[127:128], 0
	v_add_f64 v[3:4], v[3:4], 0
	s_waitcnt lgkmcnt(1)
	v_mul_f64 v[141:142], v[57:58], v[77:78]
	v_mul_f64 v[77:78], v[59:60], v[77:78]
	v_add_f64 v[127:128], v[127:128], v[138:139]
	v_add_f64 v[3:4], v[3:4], v[69:70]
	s_clause 0x2
	buffer_load_dword v136, off, s[0:3], 0 offset:380
	buffer_load_dword v70, off, s[0:3], 0 offset:356
	;; [unrolled: 1-line block ×3, first 2 shown]
	s_waitcnt vmcnt(58) lgkmcnt(0)
	v_mul_f64 v[137:138], v[61:62], v[79:80]
	v_mul_f64 v[79:80], v[63:64], v[79:80]
	s_waitcnt vmcnt(56)
	v_fma_f64 v[77:78], v[57:58], v[85:86], -v[77:78]
	ds_read_b128 v[65:68], v2 offset:560
	v_fma_f64 v[85:86], v[59:60], v[85:86], v[141:142]
	v_add_f64 v[73:74], v[127:128], v[73:74]
	v_add_f64 v[3:4], v[3:4], v[83:84]
	s_clause 0x4
	buffer_load_dword v84, off, s[0:3], 0 offset:396
	buffer_load_dword v127, off, s[0:3], 0 offset:408
	;; [unrolled: 1-line block ×5, first 2 shown]
	ds_read_b128 v[57:60], v2 offset:576
	s_waitcnt vmcnt(57) lgkmcnt(1)
	v_mul_f64 v[143:144], v[65:66], v[87:88]
	v_mul_f64 v[87:88], v[67:68], v[87:88]
	s_waitcnt vmcnt(56)
	v_fma_f64 v[79:80], v[61:62], v[81:82], -v[79:80]
	v_add_f64 v[73:74], v[73:74], v[77:78]
	v_fma_f64 v[77:78], v[63:64], v[81:82], v[137:138]
	v_add_f64 v[3:4], v[3:4], v[85:86]
	s_clause 0x2
	buffer_load_dword v128, off, s[0:3], 0 offset:412
	buffer_load_dword v82, off, s[0:3], 0 offset:388
	;; [unrolled: 1-line block ×3, first 2 shown]
	s_waitcnt vmcnt(58) lgkmcnt(0)
	v_mul_f64 v[85:86], v[57:58], v[89:90]
	v_mul_f64 v[89:90], v[59:60], v[89:90]
	s_waitcnt vmcnt(56)
	v_fma_f64 v[87:88], v[65:66], v[93:94], -v[87:88]
	ds_read_b128 v[61:64], v2 offset:592
	v_add_f64 v[73:74], v[73:74], v[79:80]
	v_fma_f64 v[79:80], v[67:68], v[93:94], v[143:144]
	v_add_f64 v[3:4], v[3:4], v[77:78]
	s_clause 0x2
	buffer_load_dword v78, off, s[0:3], 0 offset:428
	buffer_load_dword v77, off, s[0:3], 0 offset:424
	;; [unrolled: 1-line block ×3, first 2 shown]
	ds_read_b128 v[65:68], v2 offset:608
	s_waitcnt vmcnt(55) lgkmcnt(1)
	v_mul_f64 v[93:94], v[61:62], v[95:96]
	v_mul_f64 v[95:96], v[63:64], v[95:96]
	s_waitcnt vmcnt(54)
	v_fma_f64 v[89:90], v[57:58], v[91:92], -v[89:90]
	v_fma_f64 v[85:86], v[59:60], v[91:92], v[85:86]
	v_add_f64 v[73:74], v[73:74], v[87:88]
	v_add_f64 v[3:4], v[3:4], v[79:80]
	s_clause 0x1
	buffer_load_dword v80, off, s[0:3], 0 offset:420
	buffer_load_dword v79, off, s[0:3], 0 offset:416
	s_waitcnt vmcnt(55) lgkmcnt(0)
	v_mul_f64 v[91:92], v[67:68], v[97:98]
	ds_read_b128 v[57:60], v2 offset:624
	s_waitcnt vmcnt(53)
	v_fma_f64 v[95:96], v[61:62], v[101:102], -v[95:96]
	v_mul_f64 v[87:88], v[65:66], v[97:98]
	v_add_f64 v[73:74], v[73:74], v[89:90]
	v_fma_f64 v[89:90], v[63:64], v[101:102], v[93:94]
	v_add_f64 v[3:4], v[3:4], v[85:86]
	ds_read_b128 v[61:64], v2 offset:640
	s_waitcnt vmcnt(49) lgkmcnt(1)
	v_mul_f64 v[93:94], v[59:60], v[103:104]
	s_waitcnt vmcnt(48)
	v_fma_f64 v[91:92], v[65:66], v[99:100], -v[91:92]
	v_mul_f64 v[85:86], v[57:58], v[103:104]
	v_fma_f64 v[87:88], v[67:68], v[99:100], v[87:88]
	v_add_f64 v[73:74], v[73:74], v[95:96]
	s_waitcnt vmcnt(47) lgkmcnt(0)
	v_mul_f64 v[99:100], v[63:64], v[105:106]
	v_add_f64 v[3:4], v[3:4], v[89:90]
	s_clause 0x3
	buffer_load_dword v89, off, s[0:3], 0 offset:64
	buffer_load_dword v90, off, s[0:3], 0 offset:68
	;; [unrolled: 1-line block ×4, first 2 shown]
	s_waitcnt vmcnt(49)
	v_fma_f64 v[93:94], v[57:58], v[109:110], -v[93:94]
	ds_read_b128 v[65:68], v2 offset:656
	v_mul_f64 v[97:98], v[61:62], v[105:106]
	v_fma_f64 v[85:86], v[59:60], v[109:110], v[85:86]
	ds_read_b128 v[57:60], v2 offset:672
	v_add_f64 v[73:74], v[73:74], v[91:92]
	s_waitcnt vmcnt(44)
	v_fma_f64 v[99:100], v[61:62], v[107:108], -v[99:100]
	v_add_f64 v[3:4], v[3:4], v[87:88]
	s_waitcnt lgkmcnt(1)
	v_mul_f64 v[91:92], v[67:68], v[111:112]
	v_mul_f64 v[87:88], v[65:66], v[111:112]
	v_add_f64 v[73:74], v[73:74], v[93:94]
	v_fma_f64 v[93:94], v[63:64], v[107:108], v[97:98]
	v_add_f64 v[3:4], v[3:4], v[85:86]
	s_waitcnt vmcnt(43) lgkmcnt(0)
	v_mul_f64 v[97:98], v[59:60], v[113:114]
	s_waitcnt vmcnt(41)
	v_fma_f64 v[91:92], v[65:66], v[117:118], -v[91:92]
	ds_read_b128 v[61:64], v2 offset:688
	v_mul_f64 v[85:86], v[57:58], v[113:114]
	v_fma_f64 v[87:88], v[67:68], v[117:118], v[87:88]
	ds_read_b128 v[65:68], v2 offset:704
	v_add_f64 v[73:74], v[73:74], v[99:100]
	v_add_f64 v[3:4], v[3:4], v[93:94]
	s_waitcnt vmcnt(37) lgkmcnt(1)
	v_mul_f64 v[99:100], v[63:64], v[119:120]
	s_waitcnt vmcnt(36)
	v_fma_f64 v[97:98], v[57:58], v[115:116], -v[97:98]
	v_mul_f64 v[93:94], v[61:62], v[119:120]
	v_fma_f64 v[85:86], v[59:60], v[115:116], v[85:86]
	ds_read_b128 v[57:60], v2 offset:720
	v_add_f64 v[73:74], v[73:74], v[91:92]
	s_waitcnt vmcnt(35) lgkmcnt(1)
	v_mul_f64 v[91:92], v[67:68], v[121:122]
	v_add_f64 v[3:4], v[3:4], v[87:88]
	s_waitcnt vmcnt(33)
	v_fma_f64 v[99:100], v[61:62], v[125:126], -v[99:100]
	v_mul_f64 v[87:88], v[65:66], v[121:122]
	v_fma_f64 v[93:94], v[63:64], v[125:126], v[93:94]
	ds_read_b128 v[61:64], v2 offset:736
	v_add_f64 v[73:74], v[73:74], v[97:98]
	s_waitcnt vmcnt(29) lgkmcnt(1)
	v_mul_f64 v[97:98], v[59:60], v[129:130]
	v_add_f64 v[3:4], v[3:4], v[85:86]
	s_waitcnt vmcnt(28)
	v_fma_f64 v[91:92], v[65:66], v[123:124], -v[91:92]
	v_mul_f64 v[85:86], v[57:58], v[129:130]
	v_fma_f64 v[87:88], v[67:68], v[123:124], v[87:88]
	ds_read_b128 v[65:68], v2 offset:752
	v_add_f64 v[73:74], v[73:74], v[99:100]
	v_add_f64 v[3:4], v[3:4], v[93:94]
	s_waitcnt vmcnt(27) lgkmcnt(1)
	v_mul_f64 v[99:100], v[63:64], v[131:132]
	v_mul_f64 v[93:94], v[61:62], v[131:132]
	s_waitcnt vmcnt(25)
	v_fma_f64 v[97:98], v[57:58], v[71:72], -v[97:98]
	v_fma_f64 v[71:72], v[59:60], v[71:72], v[85:86]
	ds_read_b128 v[57:60], v2 offset:768
	s_waitcnt vmcnt(21) lgkmcnt(1)
	v_mul_f64 v[85:86], v[65:66], v[75:76]
	v_mul_f64 v[75:76], v[67:68], v[75:76]
	v_add_f64 v[73:74], v[73:74], v[91:92]
	v_add_f64 v[3:4], v[3:4], v[87:88]
	s_waitcnt vmcnt(20)
	v_fma_f64 v[87:88], v[61:62], v[133:134], -v[99:100]
	v_fma_f64 v[91:92], v[63:64], v[133:134], v[93:94]
	ds_read_b128 v[61:64], v2 offset:784
	v_add_f64 v[73:74], v[73:74], v[97:98]
	v_add_f64 v[3:4], v[3:4], v[71:72]
	s_waitcnt vmcnt(19) lgkmcnt(1)
	v_mul_f64 v[93:94], v[59:60], v[135:136]
	v_mul_f64 v[71:72], v[57:58], v[135:136]
	s_waitcnt vmcnt(17)
	v_fma_f64 v[75:76], v[65:66], v[69:70], -v[75:76]
	v_fma_f64 v[69:70], v[67:68], v[69:70], v[85:86]
	ds_read_b128 v[65:68], v2 offset:800
	v_add_f64 v[73:74], v[73:74], v[87:88]
	v_add_f64 v[3:4], v[3:4], v[91:92]
	s_waitcnt vmcnt(13) lgkmcnt(1)
	v_mul_f64 v[85:86], v[61:62], v[83:84]
	v_mul_f64 v[83:84], v[63:64], v[83:84]
	;; [unrolled: 9-line block ×3, first 2 shown]
	s_waitcnt vmcnt(9)
	v_fma_f64 v[61:62], v[61:62], v[81:82], -v[83:84]
	v_fma_f64 v[63:64], v[63:64], v[81:82], v[85:86]
	v_add_f64 v[73:74], v[73:74], v[87:88]
	v_add_f64 v[2:3], v[3:4], v[71:72]
	s_waitcnt vmcnt(7) lgkmcnt(0)
	v_mul_f64 v[71:72], v[57:58], v[77:78]
	v_mul_f64 v[77:78], v[59:60], v[77:78]
	s_waitcnt vmcnt(6)
	v_fma_f64 v[65:66], v[65:66], v[142:143], -v[75:76]
	v_fma_f64 v[67:68], v[67:68], v[142:143], v[69:70]
	v_add_f64 v[61:62], v[73:74], v[61:62]
	v_add_f64 v[2:3], v[2:3], v[63:64]
	s_waitcnt vmcnt(4)
	v_fma_f64 v[57:58], v[57:58], v[79:80], -v[77:78]
	v_fma_f64 v[59:60], v[59:60], v[79:80], v[71:72]
	v_add_f64 v[61:62], v[61:62], v[65:66]
	v_add_f64 v[2:3], v[2:3], v[67:68]
	;; [unrolled: 1-line block ×4, first 2 shown]
	s_waitcnt vmcnt(2)
	v_add_f64 v[57:58], v[89:90], -v[57:58]
	s_waitcnt vmcnt(0)
	v_add_f64 v[2:3], v[95:96], -v[2:3]
	buffer_store_dword v58, off, s[0:3], 0 offset:68
	buffer_store_dword v57, off, s[0:3], 0 offset:64
	;; [unrolled: 1-line block ×4, first 2 shown]
	v_cmpx_lt_u32_e32 2, v0
	s_cbranch_execz .LBB89_165
; %bb.164:
	v_mov_b32_e32 v2, s36
	s_clause 0x3
	buffer_load_dword v57, v2, s[0:3], 0 offen
	buffer_load_dword v58, v2, s[0:3], 0 offen offset:4
	buffer_load_dword v59, v2, s[0:3], 0 offen offset:8
	buffer_load_dword v60, v2, s[0:3], 0 offen offset:12
	v_mov_b32_e32 v2, 0
	buffer_store_dword v2, off, s[0:3], 0 offset:48
	buffer_store_dword v2, off, s[0:3], 0 offset:52
	;; [unrolled: 1-line block ×4, first 2 shown]
	s_waitcnt vmcnt(0)
	ds_write_b128 v1, v[57:60]
.LBB89_165:
	s_or_b32 exec_lo, exec_lo, s4
	s_waitcnt lgkmcnt(0)
	s_waitcnt_vscnt null, 0x0
	s_barrier
	buffer_gl0_inv
	s_clause 0x37
	buffer_load_dword v3, off, s[0:3], 0 offset:72
	buffer_load_dword v4, off, s[0:3], 0 offset:76
	;; [unrolled: 1-line block ×56, first 2 shown]
	v_mov_b32_e32 v2, 0
	s_mov_b32 s4, exec_lo
	ds_read_b128 v[57:60], v2 offset:464
	s_clause 0x2
	buffer_load_dword v122, off, s[0:3], 0 offset:300
	buffer_load_dword v126, off, s[0:3], 0 offset:276
	buffer_load_dword v125, off, s[0:3], 0 offset:272
	ds_read_b128 v[61:64], v2 offset:480
	s_clause 0x4
	buffer_load_dword v130, off, s[0:3], 0 offset:316
	buffer_load_dword v131, off, s[0:3], 0 offset:328
	;; [unrolled: 1-line block ×5, first 2 shown]
	ds_read_b128 v[65:68], v2 offset:496
	s_waitcnt vmcnt(62) lgkmcnt(2)
	v_mul_f64 v[127:128], v[59:60], v[3:4]
	v_mul_f64 v[3:4], v[57:58], v[3:4]
	s_waitcnt vmcnt(60) lgkmcnt(1)
	v_mul_f64 v[134:135], v[63:64], v[69:70]
	v_mul_f64 v[69:70], v[61:62], v[69:70]
	;; [unrolled: 3-line block ×3, first 2 shown]
	v_fma_f64 v[127:128], v[57:58], v[71:72], -v[127:128]
	v_fma_f64 v[3:4], v[59:60], v[71:72], v[3:4]
	s_clause 0x2
	buffer_load_dword v132, off, s[0:3], 0 offset:332
	buffer_load_dword v72, off, s[0:3], 0 offset:308
	;; [unrolled: 1-line block ×3, first 2 shown]
	s_waitcnt vmcnt(57)
	v_fma_f64 v[138:139], v[61:62], v[75:76], -v[134:135]
	ds_read_b128 v[57:60], v2 offset:512
	v_fma_f64 v[69:70], v[63:64], v[75:76], v[69:70]
	s_clause 0x4
	buffer_load_dword v76, off, s[0:3], 0 offset:348
	buffer_load_dword v135, off, s[0:3], 0 offset:360
	buffer_load_dword v140, off, s[0:3], 0 offset:352
	buffer_load_dword v75, off, s[0:3], 0 offset:344
	buffer_load_dword v134, off, s[0:3], 0 offset:324
	s_waitcnt vmcnt(56)
	v_fma_f64 v[73:74], v[65:66], v[83:84], -v[73:74]
	ds_read_b128 v[61:64], v2 offset:528
	v_fma_f64 v[83:84], v[67:68], v[83:84], v[136:137]
	v_add_f64 v[127:128], v[127:128], 0
	v_add_f64 v[3:4], v[3:4], 0
	s_waitcnt lgkmcnt(1)
	v_mul_f64 v[141:142], v[57:58], v[77:78]
	v_mul_f64 v[77:78], v[59:60], v[77:78]
	v_add_f64 v[127:128], v[127:128], v[138:139]
	v_add_f64 v[3:4], v[3:4], v[69:70]
	s_clause 0x2
	buffer_load_dword v136, off, s[0:3], 0 offset:364
	buffer_load_dword v70, off, s[0:3], 0 offset:340
	;; [unrolled: 1-line block ×3, first 2 shown]
	s_waitcnt vmcnt(58) lgkmcnt(0)
	v_mul_f64 v[137:138], v[61:62], v[79:80]
	v_mul_f64 v[79:80], v[63:64], v[79:80]
	s_waitcnt vmcnt(56)
	v_fma_f64 v[77:78], v[57:58], v[85:86], -v[77:78]
	ds_read_b128 v[65:68], v2 offset:544
	v_fma_f64 v[85:86], v[59:60], v[85:86], v[141:142]
	v_add_f64 v[73:74], v[127:128], v[73:74]
	v_add_f64 v[3:4], v[3:4], v[83:84]
	s_clause 0x4
	buffer_load_dword v84, off, s[0:3], 0 offset:380
	buffer_load_dword v127, off, s[0:3], 0 offset:392
	;; [unrolled: 1-line block ×5, first 2 shown]
	ds_read_b128 v[57:60], v2 offset:560
	s_waitcnt vmcnt(57) lgkmcnt(1)
	v_mul_f64 v[143:144], v[65:66], v[87:88]
	v_mul_f64 v[87:88], v[67:68], v[87:88]
	s_waitcnt vmcnt(56)
	v_fma_f64 v[79:80], v[61:62], v[81:82], -v[79:80]
	v_add_f64 v[73:74], v[73:74], v[77:78]
	v_fma_f64 v[77:78], v[63:64], v[81:82], v[137:138]
	v_add_f64 v[3:4], v[3:4], v[85:86]
	s_clause 0x2
	buffer_load_dword v128, off, s[0:3], 0 offset:396
	buffer_load_dword v82, off, s[0:3], 0 offset:372
	;; [unrolled: 1-line block ×3, first 2 shown]
	s_waitcnt vmcnt(58) lgkmcnt(0)
	v_mul_f64 v[85:86], v[57:58], v[89:90]
	v_mul_f64 v[89:90], v[59:60], v[89:90]
	s_waitcnt vmcnt(56)
	v_fma_f64 v[87:88], v[65:66], v[93:94], -v[87:88]
	ds_read_b128 v[61:64], v2 offset:576
	v_add_f64 v[73:74], v[73:74], v[79:80]
	v_fma_f64 v[79:80], v[67:68], v[93:94], v[143:144]
	v_add_f64 v[3:4], v[3:4], v[77:78]
	s_clause 0x4
	buffer_load_dword v78, off, s[0:3], 0 offset:412
	buffer_load_dword v93, off, s[0:3], 0 offset:424
	;; [unrolled: 1-line block ×5, first 2 shown]
	ds_read_b128 v[65:68], v2 offset:592
	s_waitcnt vmcnt(57) lgkmcnt(1)
	v_mul_f64 v[138:139], v[61:62], v[95:96]
	v_mul_f64 v[95:96], v[63:64], v[95:96]
	s_waitcnt vmcnt(56)
	v_fma_f64 v[89:90], v[57:58], v[91:92], -v[89:90]
	v_fma_f64 v[85:86], v[59:60], v[91:92], v[85:86]
	v_add_f64 v[73:74], v[73:74], v[87:88]
	v_add_f64 v[3:4], v[3:4], v[79:80]
	s_clause 0x2
	buffer_load_dword v94, off, s[0:3], 0 offset:428
	buffer_load_dword v80, off, s[0:3], 0 offset:404
	;; [unrolled: 1-line block ×3, first 2 shown]
	s_waitcnt vmcnt(58) lgkmcnt(0)
	v_mul_f64 v[91:92], v[67:68], v[97:98]
	ds_read_b128 v[57:60], v2 offset:608
	s_waitcnt vmcnt(56)
	v_fma_f64 v[95:96], v[61:62], v[101:102], -v[95:96]
	v_mul_f64 v[87:88], v[65:66], v[97:98]
	v_add_f64 v[73:74], v[73:74], v[89:90]
	v_fma_f64 v[89:90], v[63:64], v[101:102], v[138:139]
	v_add_f64 v[3:4], v[3:4], v[85:86]
	buffer_load_dword v138, off, s[0:3], 0 offset:420
	ds_read_b128 v[61:64], v2 offset:624
	s_waitcnt vmcnt(53) lgkmcnt(1)
	v_mul_f64 v[97:98], v[59:60], v[103:104]
	s_waitcnt vmcnt(52)
	v_fma_f64 v[91:92], v[65:66], v[99:100], -v[91:92]
	v_mul_f64 v[85:86], v[57:58], v[103:104]
	v_fma_f64 v[87:88], v[67:68], v[99:100], v[87:88]
	ds_read_b128 v[65:68], v2 offset:640
	v_add_f64 v[73:74], v[73:74], v[95:96]
	v_add_f64 v[3:4], v[3:4], v[89:90]
	s_waitcnt vmcnt(51) lgkmcnt(1)
	v_mul_f64 v[95:96], v[63:64], v[105:106]
	v_mul_f64 v[89:90], v[61:62], v[105:106]
	s_waitcnt vmcnt(49)
	v_fma_f64 v[97:98], v[57:58], v[109:110], -v[97:98]
	v_fma_f64 v[85:86], v[59:60], v[109:110], v[85:86]
	s_waitcnt vmcnt(45) lgkmcnt(0)
	v_mul_f64 v[101:102], v[67:68], v[111:112]
	v_mul_f64 v[99:100], v[65:66], v[111:112]
	v_add_f64 v[73:74], v[73:74], v[91:92]
	v_add_f64 v[3:4], v[3:4], v[87:88]
	s_clause 0x3
	buffer_load_dword v87, off, s[0:3], 0 offset:48
	buffer_load_dword v88, off, s[0:3], 0 offset:52
	;; [unrolled: 1-line block ×4, first 2 shown]
	s_waitcnt vmcnt(48)
	v_fma_f64 v[95:96], v[61:62], v[107:108], -v[95:96]
	ds_read_b128 v[57:60], v2 offset:656
	v_fma_f64 v[89:90], v[63:64], v[107:108], v[89:90]
	ds_read_b128 v[61:64], v2 offset:672
	s_waitcnt vmcnt(45)
	v_fma_f64 v[101:102], v[65:66], v[117:118], -v[101:102]
	v_add_f64 v[73:74], v[73:74], v[97:98]
	v_add_f64 v[3:4], v[3:4], v[85:86]
	s_waitcnt lgkmcnt(1)
	v_mul_f64 v[97:98], v[59:60], v[113:114]
	v_mul_f64 v[85:86], v[57:58], v[113:114]
	v_add_f64 v[73:74], v[73:74], v[95:96]
	v_fma_f64 v[95:96], v[67:68], v[117:118], v[99:100]
	v_add_f64 v[3:4], v[3:4], v[89:90]
	s_waitcnt vmcnt(41) lgkmcnt(0)
	v_mul_f64 v[99:100], v[63:64], v[119:120]
	s_waitcnt vmcnt(40)
	v_fma_f64 v[97:98], v[57:58], v[115:116], -v[97:98]
	ds_read_b128 v[65:68], v2 offset:688
	v_mul_f64 v[89:90], v[61:62], v[119:120]
	v_fma_f64 v[85:86], v[59:60], v[115:116], v[85:86]
	ds_read_b128 v[57:60], v2 offset:704
	v_add_f64 v[73:74], v[73:74], v[101:102]
	v_add_f64 v[3:4], v[3:4], v[95:96]
	s_waitcnt vmcnt(39) lgkmcnt(1)
	v_mul_f64 v[101:102], v[67:68], v[121:122]
	s_waitcnt vmcnt(37)
	v_fma_f64 v[99:100], v[61:62], v[125:126], -v[99:100]
	v_mul_f64 v[95:96], v[65:66], v[121:122]
	v_fma_f64 v[89:90], v[63:64], v[125:126], v[89:90]
	ds_read_b128 v[61:64], v2 offset:720
	v_add_f64 v[73:74], v[73:74], v[97:98]
	s_waitcnt vmcnt(33) lgkmcnt(1)
	v_mul_f64 v[97:98], v[59:60], v[129:130]
	v_add_f64 v[3:4], v[3:4], v[85:86]
	s_waitcnt vmcnt(32)
	v_fma_f64 v[101:102], v[65:66], v[123:124], -v[101:102]
	v_mul_f64 v[85:86], v[57:58], v[129:130]
	v_fma_f64 v[95:96], v[67:68], v[123:124], v[95:96]
	ds_read_b128 v[65:68], v2 offset:736
	v_add_f64 v[73:74], v[73:74], v[99:100]
	v_add_f64 v[3:4], v[3:4], v[89:90]
	s_waitcnt vmcnt(31) lgkmcnt(1)
	v_mul_f64 v[99:100], v[63:64], v[131:132]
	v_mul_f64 v[89:90], v[61:62], v[131:132]
	s_waitcnt vmcnt(29)
	v_fma_f64 v[97:98], v[57:58], v[71:72], -v[97:98]
	v_fma_f64 v[71:72], v[59:60], v[71:72], v[85:86]
	ds_read_b128 v[57:60], v2 offset:752
	s_waitcnt vmcnt(25) lgkmcnt(1)
	v_mul_f64 v[85:86], v[65:66], v[75:76]
	v_mul_f64 v[75:76], v[67:68], v[75:76]
	v_add_f64 v[73:74], v[73:74], v[101:102]
	v_add_f64 v[3:4], v[3:4], v[95:96]
	s_waitcnt vmcnt(24)
	v_fma_f64 v[95:96], v[61:62], v[133:134], -v[99:100]
	v_fma_f64 v[89:90], v[63:64], v[133:134], v[89:90]
	ds_read_b128 v[61:64], v2 offset:768
	v_add_f64 v[73:74], v[73:74], v[97:98]
	v_add_f64 v[3:4], v[3:4], v[71:72]
	s_waitcnt vmcnt(23) lgkmcnt(1)
	v_mul_f64 v[97:98], v[59:60], v[135:136]
	v_mul_f64 v[71:72], v[57:58], v[135:136]
	s_waitcnt vmcnt(21)
	v_fma_f64 v[75:76], v[65:66], v[69:70], -v[75:76]
	v_fma_f64 v[69:70], v[67:68], v[69:70], v[85:86]
	ds_read_b128 v[65:68], v2 offset:784
	v_add_f64 v[73:74], v[73:74], v[95:96]
	v_add_f64 v[3:4], v[3:4], v[89:90]
	s_waitcnt vmcnt(17) lgkmcnt(1)
	v_mul_f64 v[85:86], v[61:62], v[83:84]
	v_mul_f64 v[83:84], v[63:64], v[83:84]
	;; [unrolled: 9-line block ×4, first 2 shown]
	s_waitcnt vmcnt(8)
	v_fma_f64 v[65:66], v[65:66], v[142:143], -v[75:76]
	v_fma_f64 v[67:68], v[67:68], v[142:143], v[69:70]
	v_add_f64 v[73:74], v[73:74], v[83:84]
	v_add_f64 v[3:4], v[3:4], v[81:82]
	s_waitcnt vmcnt(7) lgkmcnt(0)
	v_mul_f64 v[75:76], v[63:64], v[93:94]
	v_mul_f64 v[69:70], v[61:62], v[93:94]
	s_waitcnt vmcnt(5)
	v_fma_f64 v[57:58], v[57:58], v[79:80], -v[77:78]
	v_fma_f64 v[59:60], v[59:60], v[79:80], v[71:72]
	v_add_f64 v[65:66], v[73:74], v[65:66]
	v_add_f64 v[3:4], v[3:4], v[67:68]
	s_waitcnt vmcnt(4)
	v_fma_f64 v[61:62], v[61:62], v[137:138], -v[75:76]
	v_fma_f64 v[63:64], v[63:64], v[137:138], v[69:70]
	v_add_f64 v[57:58], v[65:66], v[57:58]
	v_add_f64 v[3:4], v[3:4], v[59:60]
	;; [unrolled: 1-line block ×4, first 2 shown]
	s_waitcnt vmcnt(2)
	v_add_f64 v[57:58], v[87:88], -v[57:58]
	s_waitcnt vmcnt(0)
	v_add_f64 v[3:4], v[91:92], -v[3:4]
	buffer_store_dword v58, off, s[0:3], 0 offset:52
	buffer_store_dword v57, off, s[0:3], 0 offset:48
	;; [unrolled: 1-line block ×4, first 2 shown]
	v_cmpx_lt_u32_e32 1, v0
	s_cbranch_execz .LBB89_167
; %bb.166:
	v_mov_b32_e32 v3, s37
	s_clause 0x3
	buffer_load_dword v57, v3, s[0:3], 0 offen
	buffer_load_dword v58, v3, s[0:3], 0 offen offset:4
	buffer_load_dword v59, v3, s[0:3], 0 offen offset:8
	;; [unrolled: 1-line block ×3, first 2 shown]
	buffer_store_dword v2, off, s[0:3], 0 offset:32
	buffer_store_dword v2, off, s[0:3], 0 offset:36
	;; [unrolled: 1-line block ×4, first 2 shown]
	s_waitcnt vmcnt(0)
	ds_write_b128 v1, v[57:60]
.LBB89_167:
	s_or_b32 exec_lo, exec_lo, s4
	s_waitcnt lgkmcnt(0)
	s_waitcnt_vscnt null, 0x0
	s_barrier
	buffer_gl0_inv
	s_clause 0x37
	buffer_load_dword v3, off, s[0:3], 0 offset:56
	buffer_load_dword v4, off, s[0:3], 0 offset:60
	buffer_load_dword v69, off, s[0:3], 0 offset:72
	buffer_load_dword v70, off, s[0:3], 0 offset:76
	buffer_load_dword v71, off, s[0:3], 0 offset:48
	buffer_load_dword v72, off, s[0:3], 0 offset:52
	buffer_load_dword v73, off, s[0:3], 0 offset:88
	buffer_load_dword v74, off, s[0:3], 0 offset:92
	buffer_load_dword v75, off, s[0:3], 0 offset:64
	buffer_load_dword v76, off, s[0:3], 0 offset:68
	buffer_load_dword v78, off, s[0:3], 0 offset:108
	buffer_load_dword v79, off, s[0:3], 0 offset:120
	buffer_load_dword v81, off, s[0:3], 0 offset:112
	buffer_load_dword v77, off, s[0:3], 0 offset:104
	buffer_load_dword v83, off, s[0:3], 0 offset:80
	buffer_load_dword v84, off, s[0:3], 0 offset:84
	buffer_load_dword v80, off, s[0:3], 0 offset:124
	buffer_load_dword v86, off, s[0:3], 0 offset:100
	buffer_load_dword v85, off, s[0:3], 0 offset:96
	buffer_load_dword v88, off, s[0:3], 0 offset:140
	buffer_load_dword v89, off, s[0:3], 0 offset:152
	buffer_load_dword v91, off, s[0:3], 0 offset:144
	buffer_load_dword v87, off, s[0:3], 0 offset:136
	buffer_load_dword v82, off, s[0:3], 0 offset:116
	buffer_load_dword v90, off, s[0:3], 0 offset:156
	buffer_load_dword v94, off, s[0:3], 0 offset:132
	buffer_load_dword v93, off, s[0:3], 0 offset:128
	buffer_load_dword v96, off, s[0:3], 0 offset:172
	buffer_load_dword v97, off, s[0:3], 0 offset:184
	buffer_load_dword v99, off, s[0:3], 0 offset:176
	buffer_load_dword v95, off, s[0:3], 0 offset:168
	buffer_load_dword v92, off, s[0:3], 0 offset:148
	buffer_load_dword v98, off, s[0:3], 0 offset:188
	buffer_load_dword v102, off, s[0:3], 0 offset:164
	buffer_load_dword v101, off, s[0:3], 0 offset:160
	buffer_load_dword v104, off, s[0:3], 0 offset:204
	buffer_load_dword v105, off, s[0:3], 0 offset:216
	buffer_load_dword v107, off, s[0:3], 0 offset:208
	buffer_load_dword v103, off, s[0:3], 0 offset:200
	buffer_load_dword v100, off, s[0:3], 0 offset:180
	buffer_load_dword v106, off, s[0:3], 0 offset:220
	buffer_load_dword v110, off, s[0:3], 0 offset:196
	buffer_load_dword v109, off, s[0:3], 0 offset:192
	buffer_load_dword v112, off, s[0:3], 0 offset:236
	buffer_load_dword v113, off, s[0:3], 0 offset:248
	buffer_load_dword v115, off, s[0:3], 0 offset:240
	buffer_load_dword v111, off, s[0:3], 0 offset:232
	buffer_load_dword v108, off, s[0:3], 0 offset:212
	buffer_load_dword v114, off, s[0:3], 0 offset:252
	buffer_load_dword v118, off, s[0:3], 0 offset:228
	buffer_load_dword v117, off, s[0:3], 0 offset:224
	buffer_load_dword v120, off, s[0:3], 0 offset:268
	buffer_load_dword v121, off, s[0:3], 0 offset:280
	buffer_load_dword v123, off, s[0:3], 0 offset:272
	buffer_load_dword v119, off, s[0:3], 0 offset:264
	buffer_load_dword v116, off, s[0:3], 0 offset:244
	ds_read_b128 v[57:60], v2 offset:448
	s_clause 0x2
	buffer_load_dword v122, off, s[0:3], 0 offset:284
	buffer_load_dword v126, off, s[0:3], 0 offset:260
	;; [unrolled: 1-line block ×3, first 2 shown]
	ds_read_b128 v[61:64], v2 offset:464
	s_clause 0x4
	buffer_load_dword v130, off, s[0:3], 0 offset:300
	buffer_load_dword v131, off, s[0:3], 0 offset:312
	;; [unrolled: 1-line block ×5, first 2 shown]
	ds_read_b128 v[65:68], v2 offset:480
	s_mov_b32 s4, exec_lo
	s_waitcnt vmcnt(62) lgkmcnt(2)
	v_mul_f64 v[127:128], v[59:60], v[3:4]
	v_mul_f64 v[3:4], v[57:58], v[3:4]
	s_waitcnt vmcnt(60) lgkmcnt(1)
	v_mul_f64 v[134:135], v[63:64], v[69:70]
	v_mul_f64 v[69:70], v[61:62], v[69:70]
	;; [unrolled: 3-line block ×3, first 2 shown]
	v_fma_f64 v[127:128], v[57:58], v[71:72], -v[127:128]
	v_fma_f64 v[3:4], v[59:60], v[71:72], v[3:4]
	s_clause 0x2
	buffer_load_dword v132, off, s[0:3], 0 offset:316
	buffer_load_dword v72, off, s[0:3], 0 offset:292
	;; [unrolled: 1-line block ×3, first 2 shown]
	s_waitcnt vmcnt(57)
	v_fma_f64 v[138:139], v[61:62], v[75:76], -v[134:135]
	ds_read_b128 v[57:60], v2 offset:496
	v_fma_f64 v[69:70], v[63:64], v[75:76], v[69:70]
	s_clause 0x4
	buffer_load_dword v76, off, s[0:3], 0 offset:332
	buffer_load_dword v135, off, s[0:3], 0 offset:344
	;; [unrolled: 1-line block ×5, first 2 shown]
	s_waitcnt vmcnt(56)
	v_fma_f64 v[73:74], v[65:66], v[83:84], -v[73:74]
	ds_read_b128 v[61:64], v2 offset:512
	v_fma_f64 v[83:84], v[67:68], v[83:84], v[136:137]
	v_add_f64 v[127:128], v[127:128], 0
	v_add_f64 v[3:4], v[3:4], 0
	s_waitcnt lgkmcnt(1)
	v_mul_f64 v[141:142], v[57:58], v[77:78]
	v_mul_f64 v[77:78], v[59:60], v[77:78]
	v_add_f64 v[127:128], v[127:128], v[138:139]
	v_add_f64 v[3:4], v[3:4], v[69:70]
	s_clause 0x2
	buffer_load_dword v136, off, s[0:3], 0 offset:348
	buffer_load_dword v70, off, s[0:3], 0 offset:324
	;; [unrolled: 1-line block ×3, first 2 shown]
	s_waitcnt vmcnt(58) lgkmcnt(0)
	v_mul_f64 v[137:138], v[61:62], v[79:80]
	v_mul_f64 v[79:80], v[63:64], v[79:80]
	s_waitcnt vmcnt(56)
	v_fma_f64 v[77:78], v[57:58], v[85:86], -v[77:78]
	ds_read_b128 v[65:68], v2 offset:528
	v_fma_f64 v[85:86], v[59:60], v[85:86], v[141:142]
	v_add_f64 v[73:74], v[127:128], v[73:74]
	v_add_f64 v[3:4], v[3:4], v[83:84]
	s_clause 0x4
	buffer_load_dword v84, off, s[0:3], 0 offset:364
	buffer_load_dword v127, off, s[0:3], 0 offset:376
	;; [unrolled: 1-line block ×5, first 2 shown]
	ds_read_b128 v[57:60], v2 offset:544
	s_waitcnt vmcnt(57) lgkmcnt(1)
	v_mul_f64 v[143:144], v[65:66], v[87:88]
	v_mul_f64 v[87:88], v[67:68], v[87:88]
	s_waitcnt vmcnt(56)
	v_fma_f64 v[79:80], v[61:62], v[81:82], -v[79:80]
	v_add_f64 v[73:74], v[73:74], v[77:78]
	v_fma_f64 v[77:78], v[63:64], v[81:82], v[137:138]
	v_add_f64 v[3:4], v[3:4], v[85:86]
	s_clause 0x2
	buffer_load_dword v128, off, s[0:3], 0 offset:380
	buffer_load_dword v82, off, s[0:3], 0 offset:356
	;; [unrolled: 1-line block ×3, first 2 shown]
	s_waitcnt vmcnt(58) lgkmcnt(0)
	v_mul_f64 v[85:86], v[57:58], v[89:90]
	v_mul_f64 v[89:90], v[59:60], v[89:90]
	s_waitcnt vmcnt(56)
	v_fma_f64 v[87:88], v[65:66], v[93:94], -v[87:88]
	ds_read_b128 v[61:64], v2 offset:560
	v_add_f64 v[73:74], v[73:74], v[79:80]
	v_fma_f64 v[79:80], v[67:68], v[93:94], v[143:144]
	v_add_f64 v[3:4], v[3:4], v[77:78]
	s_clause 0x4
	buffer_load_dword v78, off, s[0:3], 0 offset:396
	buffer_load_dword v93, off, s[0:3], 0 offset:408
	;; [unrolled: 1-line block ×5, first 2 shown]
	ds_read_b128 v[65:68], v2 offset:576
	s_waitcnt vmcnt(57) lgkmcnt(1)
	v_mul_f64 v[138:139], v[61:62], v[95:96]
	v_mul_f64 v[95:96], v[63:64], v[95:96]
	s_waitcnt vmcnt(56)
	v_fma_f64 v[89:90], v[57:58], v[91:92], -v[89:90]
	v_fma_f64 v[85:86], v[59:60], v[91:92], v[85:86]
	v_add_f64 v[73:74], v[73:74], v[87:88]
	v_add_f64 v[3:4], v[3:4], v[79:80]
	s_clause 0x2
	buffer_load_dword v94, off, s[0:3], 0 offset:412
	buffer_load_dword v80, off, s[0:3], 0 offset:388
	;; [unrolled: 1-line block ×3, first 2 shown]
	s_waitcnt vmcnt(58) lgkmcnt(0)
	v_mul_f64 v[91:92], v[67:68], v[97:98]
	ds_read_b128 v[57:60], v2 offset:592
	s_waitcnt vmcnt(56)
	v_fma_f64 v[95:96], v[61:62], v[101:102], -v[95:96]
	v_mul_f64 v[87:88], v[65:66], v[97:98]
	v_add_f64 v[73:74], v[73:74], v[89:90]
	v_fma_f64 v[89:90], v[63:64], v[101:102], v[138:139]
	v_add_f64 v[3:4], v[3:4], v[85:86]
	s_clause 0x2
	buffer_load_dword v86, off, s[0:3], 0 offset:428
	buffer_load_dword v85, off, s[0:3], 0 offset:424
	;; [unrolled: 1-line block ×3, first 2 shown]
	s_waitcnt vmcnt(55) lgkmcnt(0)
	v_mul_f64 v[101:102], v[59:60], v[103:104]
	s_waitcnt vmcnt(54)
	v_fma_f64 v[91:92], v[65:66], v[99:100], -v[91:92]
	ds_read_b128 v[61:64], v2 offset:608
	v_mul_f64 v[97:98], v[57:58], v[103:104]
	v_fma_f64 v[87:88], v[67:68], v[99:100], v[87:88]
	v_add_f64 v[73:74], v[73:74], v[95:96]
	v_add_f64 v[3:4], v[3:4], v[89:90]
	s_clause 0x1
	buffer_load_dword v90, off, s[0:3], 0 offset:420
	buffer_load_dword v89, off, s[0:3], 0 offset:416
	s_waitcnt vmcnt(55) lgkmcnt(0)
	v_mul_f64 v[99:100], v[63:64], v[105:106]
	s_waitcnt vmcnt(53)
	v_fma_f64 v[101:102], v[57:58], v[109:110], -v[101:102]
	ds_read_b128 v[65:68], v2 offset:624
	v_mul_f64 v[95:96], v[61:62], v[105:106]
	v_add_f64 v[73:74], v[73:74], v[91:92]
	v_fma_f64 v[91:92], v[59:60], v[109:110], v[97:98]
	v_add_f64 v[3:4], v[3:4], v[87:88]
	ds_read_b128 v[57:60], v2 offset:640
	s_waitcnt vmcnt(49) lgkmcnt(1)
	v_mul_f64 v[97:98], v[67:68], v[111:112]
	s_waitcnt vmcnt(48)
	v_fma_f64 v[99:100], v[61:62], v[107:108], -v[99:100]
	v_mul_f64 v[87:88], v[65:66], v[111:112]
	v_fma_f64 v[95:96], v[63:64], v[107:108], v[95:96]
	v_add_f64 v[73:74], v[73:74], v[101:102]
	s_waitcnt vmcnt(47) lgkmcnt(0)
	v_mul_f64 v[105:106], v[59:60], v[113:114]
	v_add_f64 v[3:4], v[3:4], v[91:92]
	s_clause 0x3
	buffer_load_dword v91, off, s[0:3], 0 offset:32
	buffer_load_dword v92, off, s[0:3], 0 offset:36
	;; [unrolled: 1-line block ×4, first 2 shown]
	s_waitcnt vmcnt(49)
	v_fma_f64 v[97:98], v[65:66], v[117:118], -v[97:98]
	ds_read_b128 v[61:64], v2 offset:656
	v_mul_f64 v[103:104], v[57:58], v[113:114]
	v_fma_f64 v[87:88], v[67:68], v[117:118], v[87:88]
	ds_read_b128 v[65:68], v2 offset:672
	v_add_f64 v[73:74], v[73:74], v[99:100]
	s_waitcnt vmcnt(44)
	v_fma_f64 v[105:106], v[57:58], v[115:116], -v[105:106]
	v_add_f64 v[3:4], v[3:4], v[95:96]
	s_waitcnt lgkmcnt(1)
	v_mul_f64 v[99:100], v[63:64], v[119:120]
	v_mul_f64 v[95:96], v[61:62], v[119:120]
	v_add_f64 v[73:74], v[73:74], v[97:98]
	v_fma_f64 v[97:98], v[59:60], v[115:116], v[103:104]
	v_add_f64 v[3:4], v[3:4], v[87:88]
	s_waitcnt vmcnt(43) lgkmcnt(0)
	v_mul_f64 v[103:104], v[67:68], v[121:122]
	s_waitcnt vmcnt(41)
	v_fma_f64 v[99:100], v[61:62], v[125:126], -v[99:100]
	ds_read_b128 v[57:60], v2 offset:688
	v_mul_f64 v[87:88], v[65:66], v[121:122]
	v_fma_f64 v[95:96], v[63:64], v[125:126], v[95:96]
	ds_read_b128 v[61:64], v2 offset:704
	v_add_f64 v[73:74], v[73:74], v[105:106]
	v_add_f64 v[3:4], v[3:4], v[97:98]
	s_waitcnt vmcnt(37) lgkmcnt(1)
	v_mul_f64 v[105:106], v[59:60], v[129:130]
	s_waitcnt vmcnt(36)
	v_fma_f64 v[103:104], v[65:66], v[123:124], -v[103:104]
	v_mul_f64 v[97:98], v[57:58], v[129:130]
	v_fma_f64 v[87:88], v[67:68], v[123:124], v[87:88]
	ds_read_b128 v[65:68], v2 offset:720
	v_add_f64 v[73:74], v[73:74], v[99:100]
	v_add_f64 v[3:4], v[3:4], v[95:96]
	s_waitcnt vmcnt(35) lgkmcnt(1)
	v_mul_f64 v[99:100], v[63:64], v[131:132]
	v_mul_f64 v[95:96], v[61:62], v[131:132]
	s_waitcnt vmcnt(33)
	v_fma_f64 v[105:106], v[57:58], v[71:72], -v[105:106]
	v_fma_f64 v[71:72], v[59:60], v[71:72], v[97:98]
	ds_read_b128 v[57:60], v2 offset:736
	v_add_f64 v[73:74], v[73:74], v[103:104]
	v_add_f64 v[3:4], v[3:4], v[87:88]
	s_waitcnt vmcnt(29) lgkmcnt(1)
	v_mul_f64 v[87:88], v[65:66], v[75:76]
	v_mul_f64 v[75:76], v[67:68], v[75:76]
	s_waitcnt vmcnt(28)
	v_fma_f64 v[97:98], v[61:62], v[133:134], -v[99:100]
	;; [unrolled: 9-line block ×7, first 2 shown]
	v_fma_f64 v[59:60], v[59:60], v[79:80], v[71:72]
	v_add_f64 v[73:74], v[73:74], v[75:76]
	v_add_f64 v[2:3], v[3:4], v[69:70]
	s_waitcnt vmcnt(7) lgkmcnt(0)
	v_mul_f64 v[71:72], v[67:68], v[85:86]
	s_waitcnt vmcnt(6)
	v_fma_f64 v[61:62], v[61:62], v[137:138], -v[83:84]
	v_mul_f64 v[69:70], v[65:66], v[85:86]
	v_fma_f64 v[63:64], v[63:64], v[137:138], v[81:82]
	v_add_f64 v[57:58], v[73:74], v[57:58]
	v_add_f64 v[2:3], v[2:3], v[59:60]
	s_waitcnt vmcnt(4)
	v_fma_f64 v[59:60], v[65:66], v[89:90], -v[71:72]
	v_add_f64 v[57:58], v[57:58], v[61:62]
	v_fma_f64 v[61:62], v[67:68], v[89:90], v[69:70]
	v_add_f64 v[2:3], v[2:3], v[63:64]
	v_add_f64 v[57:58], v[57:58], v[59:60]
	;; [unrolled: 1-line block ×3, first 2 shown]
	s_waitcnt vmcnt(2)
	v_add_f64 v[57:58], v[91:92], -v[57:58]
	s_waitcnt vmcnt(0)
	v_add_f64 v[2:3], v[101:102], -v[2:3]
	buffer_store_dword v58, off, s[0:3], 0 offset:36
	buffer_store_dword v57, off, s[0:3], 0 offset:32
	;; [unrolled: 1-line block ×4, first 2 shown]
	v_cmpx_ne_u32_e32 0, v0
	s_cbranch_execz .LBB89_169
; %bb.168:
	s_clause 0x3
	buffer_load_dword v57, off, s[0:3], 0 offset:16
	buffer_load_dword v58, off, s[0:3], 0 offset:20
	buffer_load_dword v59, off, s[0:3], 0 offset:24
	buffer_load_dword v60, off, s[0:3], 0 offset:28
	v_mov_b32_e32 v0, 0
	buffer_store_dword v0, off, s[0:3], 0 offset:16
	buffer_store_dword v0, off, s[0:3], 0 offset:20
	buffer_store_dword v0, off, s[0:3], 0 offset:24
	buffer_store_dword v0, off, s[0:3], 0 offset:28
	s_waitcnt vmcnt(0)
	ds_write_b128 v1, v[57:60]
.LBB89_169:
	s_or_b32 exec_lo, exec_lo, s4
	s_waitcnt lgkmcnt(0)
	s_waitcnt_vscnt null, 0x0
	s_barrier
	buffer_gl0_inv
	s_clause 0x37
	buffer_load_dword v61, off, s[0:3], 0 offset:40
	buffer_load_dword v62, off, s[0:3], 0 offset:44
	;; [unrolled: 1-line block ×56, first 2 shown]
	v_mov_b32_e32 v0, 0
	s_and_b32 vcc_lo, exec_lo, s38
	ds_read_b128 v[1:4], v0 offset:432
	s_clause 0x2
	buffer_load_dword v118, off, s[0:3], 0 offset:268
	buffer_load_dword v122, off, s[0:3], 0 offset:244
	;; [unrolled: 1-line block ×3, first 2 shown]
	ds_read_b128 v[57:60], v0 offset:448
	s_clause 0x4
	buffer_load_dword v128, off, s[0:3], 0 offset:284
	buffer_load_dword v129, off, s[0:3], 0 offset:296
	;; [unrolled: 1-line block ×5, first 2 shown]
	s_waitcnt vmcnt(62) lgkmcnt(1)
	v_mul_f64 v[123:124], v[3:4], v[61:62]
	v_mul_f64 v[125:126], v[1:2], v[61:62]
	s_waitcnt vmcnt(60) lgkmcnt(0)
	v_mul_f64 v[132:133], v[59:60], v[65:66]
	ds_read_b128 v[61:64], v0 offset:464
	v_mul_f64 v[65:66], v[57:58], v[65:66]
	s_waitcnt vmcnt(58)
	v_fma_f64 v[123:124], v[1:2], v[67:68], -v[123:124]
	v_fma_f64 v[67:68], v[3:4], v[67:68], v[125:126]
	s_clause 0x2
	buffer_load_dword v130, off, s[0:3], 0 offset:300
	buffer_load_dword v126, off, s[0:3], 0 offset:276
	;; [unrolled: 1-line block ×3, first 2 shown]
	s_waitcnt vmcnt(59) lgkmcnt(0)
	v_mul_f64 v[134:135], v[61:62], v[69:70]
	v_mul_f64 v[69:70], v[63:64], v[69:70]
	s_waitcnt vmcnt(57)
	v_fma_f64 v[136:137], v[57:58], v[71:72], -v[132:133]
	ds_read_b128 v[1:4], v0 offset:480
	v_fma_f64 v[65:66], v[59:60], v[71:72], v[65:66]
	s_clause 0x4
	buffer_load_dword v72, off, s[0:3], 0 offset:316
	buffer_load_dword v133, off, s[0:3], 0 offset:328
	;; [unrolled: 1-line block ×5, first 2 shown]
	ds_read_b128 v[57:60], v0 offset:496
	v_add_f64 v[123:124], v[123:124], 0
	v_add_f64 v[67:68], v[67:68], 0
	s_waitcnt vmcnt(58) lgkmcnt(1)
	v_mul_f64 v[139:140], v[1:2], v[73:74]
	v_mul_f64 v[73:74], v[3:4], v[73:74]
	s_waitcnt vmcnt(56)
	v_fma_f64 v[69:70], v[61:62], v[79:80], -v[69:70]
	v_fma_f64 v[79:80], v[63:64], v[79:80], v[134:135]
	v_add_f64 v[123:124], v[123:124], v[136:137]
	v_add_f64 v[65:66], v[67:68], v[65:66]
	s_clause 0x2
	buffer_load_dword v134, off, s[0:3], 0 offset:332
	buffer_load_dword v68, off, s[0:3], 0 offset:308
	;; [unrolled: 1-line block ×3, first 2 shown]
	s_waitcnt vmcnt(58) lgkmcnt(0)
	v_mul_f64 v[135:136], v[57:58], v[75:76]
	v_mul_f64 v[75:76], v[59:60], v[75:76]
	s_waitcnt vmcnt(56)
	v_fma_f64 v[73:74], v[1:2], v[81:82], -v[73:74]
	ds_read_b128 v[61:64], v0 offset:512
	v_fma_f64 v[81:82], v[3:4], v[81:82], v[139:140]
	v_add_f64 v[69:70], v[123:124], v[69:70]
	v_add_f64 v[65:66], v[65:66], v[79:80]
	s_clause 0x4
	buffer_load_dword v80, off, s[0:3], 0 offset:348
	buffer_load_dword v123, off, s[0:3], 0 offset:360
	;; [unrolled: 1-line block ×5, first 2 shown]
	ds_read_b128 v[1:4], v0 offset:528
	s_waitcnt vmcnt(57) lgkmcnt(1)
	v_mul_f64 v[141:142], v[61:62], v[83:84]
	v_mul_f64 v[83:84], v[63:64], v[83:84]
	s_waitcnt vmcnt(56)
	v_fma_f64 v[75:76], v[57:58], v[77:78], -v[75:76]
	v_add_f64 v[69:70], v[69:70], v[73:74]
	v_fma_f64 v[73:74], v[59:60], v[77:78], v[135:136]
	v_add_f64 v[65:66], v[65:66], v[81:82]
	s_clause 0x2
	buffer_load_dword v124, off, s[0:3], 0 offset:364
	buffer_load_dword v78, off, s[0:3], 0 offset:340
	buffer_load_dword v77, off, s[0:3], 0 offset:336
	s_waitcnt vmcnt(58) lgkmcnt(0)
	v_mul_f64 v[81:82], v[1:2], v[85:86]
	v_mul_f64 v[85:86], v[3:4], v[85:86]
	s_waitcnt vmcnt(56)
	v_fma_f64 v[83:84], v[61:62], v[89:90], -v[83:84]
	ds_read_b128 v[57:60], v0 offset:544
	v_add_f64 v[69:70], v[69:70], v[75:76]
	v_fma_f64 v[75:76], v[63:64], v[89:90], v[141:142]
	v_add_f64 v[65:66], v[65:66], v[73:74]
	s_clause 0x4
	buffer_load_dword v74, off, s[0:3], 0 offset:380
	buffer_load_dword v89, off, s[0:3], 0 offset:392
	;; [unrolled: 1-line block ×5, first 2 shown]
	ds_read_b128 v[61:64], v0 offset:560
	s_waitcnt vmcnt(57) lgkmcnt(1)
	v_mul_f64 v[136:137], v[57:58], v[91:92]
	v_mul_f64 v[91:92], v[59:60], v[91:92]
	s_waitcnt vmcnt(56)
	v_fma_f64 v[85:86], v[1:2], v[87:88], -v[85:86]
	v_fma_f64 v[81:82], v[3:4], v[87:88], v[81:82]
	v_add_f64 v[69:70], v[69:70], v[83:84]
	v_add_f64 v[65:66], v[65:66], v[75:76]
	s_clause 0x2
	buffer_load_dword v90, off, s[0:3], 0 offset:396
	buffer_load_dword v76, off, s[0:3], 0 offset:372
	;; [unrolled: 1-line block ×3, first 2 shown]
	s_waitcnt vmcnt(58) lgkmcnt(0)
	v_mul_f64 v[87:88], v[63:64], v[93:94]
	ds_read_b128 v[1:4], v0 offset:576
	s_waitcnt vmcnt(56)
	v_fma_f64 v[91:92], v[57:58], v[97:98], -v[91:92]
	v_mul_f64 v[83:84], v[61:62], v[93:94]
	v_add_f64 v[69:70], v[69:70], v[85:86]
	v_fma_f64 v[85:86], v[59:60], v[97:98], v[136:137]
	v_add_f64 v[65:66], v[65:66], v[81:82]
	s_clause 0x4
	buffer_load_dword v82, off, s[0:3], 0 offset:412
	buffer_load_dword v93, off, s[0:3], 0 offset:424
	;; [unrolled: 1-line block ×5, first 2 shown]
	s_waitcnt vmcnt(57) lgkmcnt(0)
	v_mul_f64 v[142:143], v[1:2], v[99:100]
	v_mul_f64 v[98:99], v[3:4], v[99:100]
	s_waitcnt vmcnt(56)
	v_fma_f64 v[87:88], v[61:62], v[95:96], -v[87:88]
	ds_read_b128 v[57:60], v0 offset:592
	v_fma_f64 v[83:84], v[63:64], v[95:96], v[83:84]
	v_add_f64 v[69:70], v[69:70], v[91:92]
	v_add_f64 v[65:66], v[65:66], v[85:86]
	s_clause 0x2
	buffer_load_dword v94, off, s[0:3], 0 offset:428
	buffer_load_dword v86, off, s[0:3], 0 offset:404
	;; [unrolled: 1-line block ×3, first 2 shown]
	ds_read_b128 v[61:64], v0 offset:608
	s_waitcnt vmcnt(58) lgkmcnt(1)
	v_mul_f64 v[95:96], v[59:60], v[101:102]
	s_waitcnt vmcnt(56)
	v_fma_f64 v[99:100], v[1:2], v[105:106], -v[98:99]
	v_mul_f64 v[91:92], v[57:58], v[101:102]
	buffer_load_dword v98, off, s[0:3], 0 offset:420
	v_add_f64 v[69:70], v[69:70], v[87:88]
	v_fma_f64 v[87:88], v[3:4], v[105:106], v[142:143]
	v_add_f64 v[65:66], v[65:66], v[83:84]
	ds_read_b128 v[1:4], v0 offset:624
	s_waitcnt vmcnt(53) lgkmcnt(1)
	v_mul_f64 v[101:102], v[63:64], v[107:108]
	s_waitcnt vmcnt(52)
	v_fma_f64 v[95:96], v[57:58], v[103:104], -v[95:96]
	v_mul_f64 v[83:84], v[61:62], v[107:108]
	v_fma_f64 v[91:92], v[59:60], v[103:104], v[91:92]
	ds_read_b128 v[57:60], v0 offset:640
	v_add_f64 v[69:70], v[69:70], v[99:100]
	s_waitcnt vmcnt(51) lgkmcnt(1)
	v_mul_f64 v[99:100], v[3:4], v[109:110]
	v_add_f64 v[65:66], v[65:66], v[87:88]
	v_mul_f64 v[87:88], v[1:2], v[109:110]
	s_waitcnt vmcnt(49)
	v_fma_f64 v[101:102], v[61:62], v[113:114], -v[101:102]
	v_fma_f64 v[83:84], v[63:64], v[113:114], v[83:84]
	s_waitcnt vmcnt(45) lgkmcnt(0)
	v_mul_f64 v[105:106], v[59:60], v[115:116]
	v_mul_f64 v[103:104], v[57:58], v[115:116]
	v_add_f64 v[69:70], v[69:70], v[95:96]
	s_waitcnt vmcnt(44)
	v_fma_f64 v[99:100], v[1:2], v[111:112], -v[99:100]
	v_add_f64 v[65:66], v[65:66], v[91:92]
	s_clause 0x3
	buffer_load_dword v91, off, s[0:3], 0 offset:16
	buffer_load_dword v92, off, s[0:3], 0 offset:20
	;; [unrolled: 1-line block ×4, first 2 shown]
	ds_read_b128 v[61:64], v0 offset:656
	v_fma_f64 v[87:88], v[3:4], v[111:112], v[87:88]
	ds_read_b128 v[1:4], v0 offset:672
	s_waitcnt vmcnt(45)
	v_fma_f64 v[105:106], v[57:58], v[121:122], -v[105:106]
	v_add_f64 v[69:70], v[69:70], v[101:102]
	v_add_f64 v[65:66], v[65:66], v[83:84]
	s_waitcnt lgkmcnt(1)
	v_mul_f64 v[101:102], v[63:64], v[117:118]
	v_mul_f64 v[83:84], v[61:62], v[117:118]
	v_add_f64 v[69:70], v[69:70], v[99:100]
	v_fma_f64 v[99:100], v[59:60], v[121:122], v[103:104]
	v_add_f64 v[65:66], v[65:66], v[87:88]
	s_waitcnt vmcnt(41) lgkmcnt(0)
	v_mul_f64 v[103:104], v[3:4], v[127:128]
	s_waitcnt vmcnt(40)
	v_fma_f64 v[101:102], v[61:62], v[119:120], -v[101:102]
	ds_read_b128 v[57:60], v0 offset:688
	v_mul_f64 v[87:88], v[1:2], v[127:128]
	v_fma_f64 v[83:84], v[63:64], v[119:120], v[83:84]
	ds_read_b128 v[61:64], v0 offset:704
	v_add_f64 v[69:70], v[69:70], v[105:106]
	v_add_f64 v[65:66], v[65:66], v[99:100]
	s_waitcnt vmcnt(39) lgkmcnt(1)
	v_mul_f64 v[105:106], v[59:60], v[129:130]
	v_mul_f64 v[99:100], v[57:58], v[129:130]
	s_waitcnt vmcnt(37)
	v_fma_f64 v[103:104], v[1:2], v[125:126], -v[103:104]
	v_fma_f64 v[87:88], v[3:4], v[125:126], v[87:88]
	ds_read_b128 v[1:4], v0 offset:720
	v_add_f64 v[69:70], v[69:70], v[101:102]
	v_add_f64 v[65:66], v[65:66], v[83:84]
	s_waitcnt vmcnt(33) lgkmcnt(1)
	v_mul_f64 v[83:84], v[61:62], v[71:72]
	v_mul_f64 v[71:72], v[63:64], v[71:72]
	s_waitcnt vmcnt(32)
	v_fma_f64 v[101:102], v[57:58], v[131:132], -v[105:106]
	;; [unrolled: 9-line block ×4, first 2 shown]
	v_add_f64 v[69:70], v[69:70], v[71:72]
	v_fma_f64 v[71:72], v[3:4], v[138:139], v[87:88]
	v_add_f64 v[65:66], v[65:66], v[67:68]
	ds_read_b128 v[1:4], v0 offset:768
	s_waitcnt vmcnt(23) lgkmcnt(1)
	v_mul_f64 v[87:88], v[63:64], v[123:124]
	v_mul_f64 v[67:68], v[61:62], v[123:124]
	s_waitcnt vmcnt(21)
	v_fma_f64 v[79:80], v[57:58], v[77:78], -v[79:80]
	v_fma_f64 v[77:78], v[59:60], v[77:78], v[83:84]
	ds_read_b128 v[57:60], v0 offset:784
	v_add_f64 v[69:70], v[69:70], v[99:100]
	v_add_f64 v[65:66], v[65:66], v[71:72]
	s_waitcnt vmcnt(17) lgkmcnt(1)
	v_mul_f64 v[71:72], v[1:2], v[73:74]
	v_mul_f64 v[73:74], v[3:4], v[73:74]
	s_waitcnt vmcnt(16)
	v_fma_f64 v[83:84], v[61:62], v[140:141], -v[87:88]
	v_fma_f64 v[67:68], v[63:64], v[140:141], v[67:68]
	ds_read_b128 v[61:64], v0 offset:800
	v_add_f64 v[69:70], v[69:70], v[79:80]
	v_add_f64 v[65:66], v[65:66], v[77:78]
	;; [unrolled: 9-line block ×3, first 2 shown]
	s_waitcnt vmcnt(9) lgkmcnt(1)
	v_mul_f64 v[75:76], v[63:64], v[81:82]
	s_waitcnt vmcnt(8)
	v_fma_f64 v[57:58], v[57:58], v[135:136], -v[79:80]
	v_mul_f64 v[67:68], v[61:62], v[81:82]
	v_fma_f64 v[59:60], v[59:60], v[135:136], v[77:78]
	v_add_f64 v[69:70], v[69:70], v[73:74]
	v_add_f64 v[65:66], v[65:66], v[71:72]
	s_waitcnt vmcnt(7) lgkmcnt(0)
	v_mul_f64 v[73:74], v[3:4], v[93:94]
	v_mul_f64 v[71:72], v[1:2], v[93:94]
	s_waitcnt vmcnt(5)
	v_fma_f64 v[61:62], v[61:62], v[85:86], -v[75:76]
	v_fma_f64 v[63:64], v[63:64], v[85:86], v[67:68]
	v_add_f64 v[57:58], v[69:70], v[57:58]
	v_add_f64 v[59:60], v[65:66], v[59:60]
	s_waitcnt vmcnt(4)
	v_fma_f64 v[1:2], v[1:2], v[97:98], -v[73:74]
	v_fma_f64 v[3:4], v[3:4], v[97:98], v[71:72]
	v_add_f64 v[57:58], v[57:58], v[61:62]
	v_add_f64 v[59:60], v[59:60], v[63:64]
	;; [unrolled: 1-line block ×4, first 2 shown]
	s_waitcnt vmcnt(2)
	v_add_f64 v[1:2], v[91:92], -v[1:2]
	s_waitcnt vmcnt(0)
	v_add_f64 v[3:4], v[95:96], -v[3:4]
	buffer_store_dword v2, off, s[0:3], 0 offset:20
	buffer_store_dword v1, off, s[0:3], 0 offset:16
	;; [unrolled: 1-line block ×4, first 2 shown]
	s_cbranch_vccz .LBB89_220
; %bb.170:
	global_load_dword v0, v0, s[12:13] offset:96
	s_waitcnt vmcnt(0)
	v_add_nc_u32_e32 v0, -1, v0
	v_cmp_ne_u32_e32 vcc_lo, 24, v0
	s_cbranch_vccz .LBB89_172
; %bb.171:
	v_lshlrev_b32_e32 v0, 4, v0
	v_mov_b32_e32 v1, s9
	v_add_nc_u32_e32 v0, 16, v0
	s_clause 0x7
	buffer_load_dword v2, v0, s[0:3], 0 offen
	buffer_load_dword v3, v0, s[0:3], 0 offen offset:4
	buffer_load_dword v4, v0, s[0:3], 0 offen offset:8
	;; [unrolled: 1-line block ×6, first 2 shown]
	buffer_load_dword v61, v1, s[0:3], 0 offen
	s_waitcnt vmcnt(7)
	buffer_store_dword v2, v1, s[0:3], 0 offen
	s_waitcnt vmcnt(6)
	buffer_store_dword v3, v1, s[0:3], 0 offen offset:4
	s_waitcnt vmcnt(5)
	buffer_store_dword v4, v1, s[0:3], 0 offen offset:8
	;; [unrolled: 2-line block ×6, first 2 shown]
	s_waitcnt vmcnt(0)
	buffer_store_dword v61, v0, s[0:3], 0 offen
.LBB89_172:
	v_mov_b32_e32 v0, 0
	global_load_dword v1, v0, s[12:13] offset:92
	s_waitcnt vmcnt(0)
	v_add_nc_u32_e32 v1, -1, v1
	v_cmp_eq_u32_e32 vcc_lo, 23, v1
	s_cbranch_vccnz .LBB89_174
; %bb.173:
	v_lshlrev_b32_e32 v1, 4, v1
	v_mov_b32_e32 v2, s14
	v_add_nc_u32_e32 v1, 16, v1
	s_clause 0x7
	buffer_load_dword v3, v1, s[0:3], 0 offen
	buffer_load_dword v4, v1, s[0:3], 0 offen offset:4
	buffer_load_dword v57, v1, s[0:3], 0 offen offset:8
	buffer_load_dword v58, v1, s[0:3], 0 offen offset:12
	buffer_load_dword v59, v2, s[0:3], 0 offen offset:12
	buffer_load_dword v60, v2, s[0:3], 0 offen offset:8
	buffer_load_dword v61, v2, s[0:3], 0 offen offset:4
	buffer_load_dword v62, v2, s[0:3], 0 offen
	s_waitcnt vmcnt(7)
	buffer_store_dword v3, v2, s[0:3], 0 offen
	s_waitcnt vmcnt(6)
	buffer_store_dword v4, v2, s[0:3], 0 offen offset:4
	s_waitcnt vmcnt(5)
	buffer_store_dword v57, v2, s[0:3], 0 offen offset:8
	;; [unrolled: 2-line block ×6, first 2 shown]
	s_waitcnt vmcnt(0)
	buffer_store_dword v62, v1, s[0:3], 0 offen
.LBB89_174:
	global_load_dword v0, v0, s[12:13] offset:88
	s_waitcnt vmcnt(0)
	v_add_nc_u32_e32 v0, -1, v0
	v_cmp_eq_u32_e32 vcc_lo, 22, v0
	s_cbranch_vccnz .LBB89_176
; %bb.175:
	v_lshlrev_b32_e32 v0, 4, v0
	v_mov_b32_e32 v1, s15
	v_add_nc_u32_e32 v0, 16, v0
	s_clause 0x7
	buffer_load_dword v2, v0, s[0:3], 0 offen
	buffer_load_dword v3, v0, s[0:3], 0 offen offset:4
	buffer_load_dword v4, v0, s[0:3], 0 offen offset:8
	;; [unrolled: 1-line block ×6, first 2 shown]
	buffer_load_dword v61, v1, s[0:3], 0 offen
	s_waitcnt vmcnt(7)
	buffer_store_dword v2, v1, s[0:3], 0 offen
	s_waitcnt vmcnt(6)
	buffer_store_dword v3, v1, s[0:3], 0 offen offset:4
	s_waitcnt vmcnt(5)
	buffer_store_dword v4, v1, s[0:3], 0 offen offset:8
	;; [unrolled: 2-line block ×6, first 2 shown]
	s_waitcnt vmcnt(0)
	buffer_store_dword v61, v0, s[0:3], 0 offen
.LBB89_176:
	v_mov_b32_e32 v0, 0
	global_load_dword v1, v0, s[12:13] offset:84
	s_waitcnt vmcnt(0)
	v_add_nc_u32_e32 v1, -1, v1
	v_cmp_eq_u32_e32 vcc_lo, 21, v1
	s_cbranch_vccnz .LBB89_178
; %bb.177:
	v_lshlrev_b32_e32 v1, 4, v1
	v_mov_b32_e32 v2, s16
	v_add_nc_u32_e32 v1, 16, v1
	s_clause 0x7
	buffer_load_dword v3, v1, s[0:3], 0 offen
	buffer_load_dword v4, v1, s[0:3], 0 offen offset:4
	buffer_load_dword v57, v1, s[0:3], 0 offen offset:8
	;; [unrolled: 1-line block ×6, first 2 shown]
	buffer_load_dword v62, v2, s[0:3], 0 offen
	s_waitcnt vmcnt(7)
	buffer_store_dword v3, v2, s[0:3], 0 offen
	s_waitcnt vmcnt(6)
	buffer_store_dword v4, v2, s[0:3], 0 offen offset:4
	s_waitcnt vmcnt(5)
	buffer_store_dword v57, v2, s[0:3], 0 offen offset:8
	;; [unrolled: 2-line block ×6, first 2 shown]
	s_waitcnt vmcnt(0)
	buffer_store_dword v62, v1, s[0:3], 0 offen
.LBB89_178:
	global_load_dword v0, v0, s[12:13] offset:80
	s_waitcnt vmcnt(0)
	v_add_nc_u32_e32 v0, -1, v0
	v_cmp_eq_u32_e32 vcc_lo, 20, v0
	s_cbranch_vccnz .LBB89_180
; %bb.179:
	v_lshlrev_b32_e32 v0, 4, v0
	v_mov_b32_e32 v1, s17
	v_add_nc_u32_e32 v0, 16, v0
	s_clause 0x7
	buffer_load_dword v2, v0, s[0:3], 0 offen
	buffer_load_dword v3, v0, s[0:3], 0 offen offset:4
	buffer_load_dword v4, v0, s[0:3], 0 offen offset:8
	;; [unrolled: 1-line block ×6, first 2 shown]
	buffer_load_dword v61, v1, s[0:3], 0 offen
	s_waitcnt vmcnt(7)
	buffer_store_dword v2, v1, s[0:3], 0 offen
	s_waitcnt vmcnt(6)
	buffer_store_dword v3, v1, s[0:3], 0 offen offset:4
	s_waitcnt vmcnt(5)
	buffer_store_dword v4, v1, s[0:3], 0 offen offset:8
	;; [unrolled: 2-line block ×6, first 2 shown]
	s_waitcnt vmcnt(0)
	buffer_store_dword v61, v0, s[0:3], 0 offen
.LBB89_180:
	v_mov_b32_e32 v0, 0
	global_load_dword v1, v0, s[12:13] offset:76
	s_waitcnt vmcnt(0)
	v_add_nc_u32_e32 v1, -1, v1
	v_cmp_eq_u32_e32 vcc_lo, 19, v1
	s_cbranch_vccnz .LBB89_182
; %bb.181:
	v_lshlrev_b32_e32 v1, 4, v1
	v_mov_b32_e32 v2, s18
	v_add_nc_u32_e32 v1, 16, v1
	s_clause 0x7
	buffer_load_dword v3, v1, s[0:3], 0 offen
	buffer_load_dword v4, v1, s[0:3], 0 offen offset:4
	buffer_load_dword v57, v1, s[0:3], 0 offen offset:8
	;; [unrolled: 1-line block ×6, first 2 shown]
	buffer_load_dword v62, v2, s[0:3], 0 offen
	s_waitcnt vmcnt(7)
	buffer_store_dword v3, v2, s[0:3], 0 offen
	s_waitcnt vmcnt(6)
	buffer_store_dword v4, v2, s[0:3], 0 offen offset:4
	s_waitcnt vmcnt(5)
	buffer_store_dword v57, v2, s[0:3], 0 offen offset:8
	;; [unrolled: 2-line block ×6, first 2 shown]
	s_waitcnt vmcnt(0)
	buffer_store_dword v62, v1, s[0:3], 0 offen
.LBB89_182:
	global_load_dword v0, v0, s[12:13] offset:72
	s_waitcnt vmcnt(0)
	v_add_nc_u32_e32 v0, -1, v0
	v_cmp_eq_u32_e32 vcc_lo, 18, v0
	s_cbranch_vccnz .LBB89_184
; %bb.183:
	v_lshlrev_b32_e32 v0, 4, v0
	v_mov_b32_e32 v1, s19
	v_add_nc_u32_e32 v0, 16, v0
	s_clause 0x7
	buffer_load_dword v2, v0, s[0:3], 0 offen
	buffer_load_dword v3, v0, s[0:3], 0 offen offset:4
	buffer_load_dword v4, v0, s[0:3], 0 offen offset:8
	;; [unrolled: 1-line block ×6, first 2 shown]
	buffer_load_dword v61, v1, s[0:3], 0 offen
	s_waitcnt vmcnt(7)
	buffer_store_dword v2, v1, s[0:3], 0 offen
	s_waitcnt vmcnt(6)
	buffer_store_dword v3, v1, s[0:3], 0 offen offset:4
	s_waitcnt vmcnt(5)
	buffer_store_dword v4, v1, s[0:3], 0 offen offset:8
	;; [unrolled: 2-line block ×6, first 2 shown]
	s_waitcnt vmcnt(0)
	buffer_store_dword v61, v0, s[0:3], 0 offen
.LBB89_184:
	v_mov_b32_e32 v0, 0
	global_load_dword v1, v0, s[12:13] offset:68
	s_waitcnt vmcnt(0)
	v_add_nc_u32_e32 v1, -1, v1
	v_cmp_eq_u32_e32 vcc_lo, 17, v1
	s_cbranch_vccnz .LBB89_186
; %bb.185:
	v_lshlrev_b32_e32 v1, 4, v1
	v_mov_b32_e32 v2, s20
	v_add_nc_u32_e32 v1, 16, v1
	s_clause 0x7
	buffer_load_dword v3, v1, s[0:3], 0 offen
	buffer_load_dword v4, v1, s[0:3], 0 offen offset:4
	buffer_load_dword v57, v1, s[0:3], 0 offen offset:8
	buffer_load_dword v58, v1, s[0:3], 0 offen offset:12
	buffer_load_dword v59, v2, s[0:3], 0 offen offset:12
	buffer_load_dword v60, v2, s[0:3], 0 offen offset:8
	buffer_load_dword v61, v2, s[0:3], 0 offen offset:4
	buffer_load_dword v62, v2, s[0:3], 0 offen
	s_waitcnt vmcnt(7)
	buffer_store_dword v3, v2, s[0:3], 0 offen
	s_waitcnt vmcnt(6)
	buffer_store_dword v4, v2, s[0:3], 0 offen offset:4
	s_waitcnt vmcnt(5)
	buffer_store_dword v57, v2, s[0:3], 0 offen offset:8
	;; [unrolled: 2-line block ×6, first 2 shown]
	s_waitcnt vmcnt(0)
	buffer_store_dword v62, v1, s[0:3], 0 offen
.LBB89_186:
	global_load_dword v0, v0, s[12:13] offset:64
	s_waitcnt vmcnt(0)
	v_add_nc_u32_e32 v0, -1, v0
	v_cmp_eq_u32_e32 vcc_lo, 16, v0
	s_cbranch_vccnz .LBB89_188
; %bb.187:
	v_lshlrev_b32_e32 v0, 4, v0
	v_mov_b32_e32 v1, s21
	v_add_nc_u32_e32 v0, 16, v0
	s_clause 0x7
	buffer_load_dword v2, v0, s[0:3], 0 offen
	buffer_load_dword v3, v0, s[0:3], 0 offen offset:4
	buffer_load_dword v4, v0, s[0:3], 0 offen offset:8
	buffer_load_dword v57, v0, s[0:3], 0 offen offset:12
	buffer_load_dword v58, v1, s[0:3], 0 offen offset:12
	buffer_load_dword v59, v1, s[0:3], 0 offen offset:8
	buffer_load_dword v60, v1, s[0:3], 0 offen offset:4
	buffer_load_dword v61, v1, s[0:3], 0 offen
	s_waitcnt vmcnt(7)
	buffer_store_dword v2, v1, s[0:3], 0 offen
	s_waitcnt vmcnt(6)
	buffer_store_dword v3, v1, s[0:3], 0 offen offset:4
	s_waitcnt vmcnt(5)
	buffer_store_dword v4, v1, s[0:3], 0 offen offset:8
	;; [unrolled: 2-line block ×6, first 2 shown]
	s_waitcnt vmcnt(0)
	buffer_store_dword v61, v0, s[0:3], 0 offen
.LBB89_188:
	v_mov_b32_e32 v0, 0
	global_load_dword v1, v0, s[12:13] offset:60
	s_waitcnt vmcnt(0)
	v_add_nc_u32_e32 v1, -1, v1
	v_cmp_eq_u32_e32 vcc_lo, 15, v1
	s_cbranch_vccnz .LBB89_190
; %bb.189:
	v_lshlrev_b32_e32 v1, 4, v1
	v_mov_b32_e32 v2, s22
	v_add_nc_u32_e32 v1, 16, v1
	s_clause 0x7
	buffer_load_dword v3, v1, s[0:3], 0 offen
	buffer_load_dword v4, v1, s[0:3], 0 offen offset:4
	buffer_load_dword v57, v1, s[0:3], 0 offen offset:8
	;; [unrolled: 1-line block ×6, first 2 shown]
	buffer_load_dword v62, v2, s[0:3], 0 offen
	s_waitcnt vmcnt(7)
	buffer_store_dword v3, v2, s[0:3], 0 offen
	s_waitcnt vmcnt(6)
	buffer_store_dword v4, v2, s[0:3], 0 offen offset:4
	s_waitcnt vmcnt(5)
	buffer_store_dword v57, v2, s[0:3], 0 offen offset:8
	;; [unrolled: 2-line block ×6, first 2 shown]
	s_waitcnt vmcnt(0)
	buffer_store_dword v62, v1, s[0:3], 0 offen
.LBB89_190:
	global_load_dword v0, v0, s[12:13] offset:56
	s_waitcnt vmcnt(0)
	v_add_nc_u32_e32 v0, -1, v0
	v_cmp_eq_u32_e32 vcc_lo, 14, v0
	s_cbranch_vccnz .LBB89_192
; %bb.191:
	v_lshlrev_b32_e32 v0, 4, v0
	v_mov_b32_e32 v1, s23
	v_add_nc_u32_e32 v0, 16, v0
	s_clause 0x7
	buffer_load_dword v2, v0, s[0:3], 0 offen
	buffer_load_dword v3, v0, s[0:3], 0 offen offset:4
	buffer_load_dword v4, v0, s[0:3], 0 offen offset:8
	;; [unrolled: 1-line block ×6, first 2 shown]
	buffer_load_dword v61, v1, s[0:3], 0 offen
	s_waitcnt vmcnt(7)
	buffer_store_dword v2, v1, s[0:3], 0 offen
	s_waitcnt vmcnt(6)
	buffer_store_dword v3, v1, s[0:3], 0 offen offset:4
	s_waitcnt vmcnt(5)
	buffer_store_dword v4, v1, s[0:3], 0 offen offset:8
	;; [unrolled: 2-line block ×6, first 2 shown]
	s_waitcnt vmcnt(0)
	buffer_store_dword v61, v0, s[0:3], 0 offen
.LBB89_192:
	v_mov_b32_e32 v0, 0
	global_load_dword v1, v0, s[12:13] offset:52
	s_waitcnt vmcnt(0)
	v_add_nc_u32_e32 v1, -1, v1
	v_cmp_eq_u32_e32 vcc_lo, 13, v1
	s_cbranch_vccnz .LBB89_194
; %bb.193:
	v_lshlrev_b32_e32 v1, 4, v1
	v_mov_b32_e32 v2, s24
	v_add_nc_u32_e32 v1, 16, v1
	s_clause 0x7
	buffer_load_dword v3, v1, s[0:3], 0 offen
	buffer_load_dword v4, v1, s[0:3], 0 offen offset:4
	buffer_load_dword v57, v1, s[0:3], 0 offen offset:8
	;; [unrolled: 1-line block ×6, first 2 shown]
	buffer_load_dword v62, v2, s[0:3], 0 offen
	s_waitcnt vmcnt(7)
	buffer_store_dword v3, v2, s[0:3], 0 offen
	s_waitcnt vmcnt(6)
	buffer_store_dword v4, v2, s[0:3], 0 offen offset:4
	s_waitcnt vmcnt(5)
	buffer_store_dword v57, v2, s[0:3], 0 offen offset:8
	;; [unrolled: 2-line block ×6, first 2 shown]
	s_waitcnt vmcnt(0)
	buffer_store_dword v62, v1, s[0:3], 0 offen
.LBB89_194:
	global_load_dword v0, v0, s[12:13] offset:48
	s_waitcnt vmcnt(0)
	v_add_nc_u32_e32 v0, -1, v0
	v_cmp_eq_u32_e32 vcc_lo, 12, v0
	s_cbranch_vccnz .LBB89_196
; %bb.195:
	v_lshlrev_b32_e32 v0, 4, v0
	v_mov_b32_e32 v1, s25
	v_add_nc_u32_e32 v0, 16, v0
	s_clause 0x7
	buffer_load_dword v2, v0, s[0:3], 0 offen
	buffer_load_dword v3, v0, s[0:3], 0 offen offset:4
	buffer_load_dword v4, v0, s[0:3], 0 offen offset:8
	;; [unrolled: 1-line block ×6, first 2 shown]
	buffer_load_dword v61, v1, s[0:3], 0 offen
	s_waitcnt vmcnt(7)
	buffer_store_dword v2, v1, s[0:3], 0 offen
	s_waitcnt vmcnt(6)
	buffer_store_dword v3, v1, s[0:3], 0 offen offset:4
	s_waitcnt vmcnt(5)
	buffer_store_dword v4, v1, s[0:3], 0 offen offset:8
	;; [unrolled: 2-line block ×6, first 2 shown]
	s_waitcnt vmcnt(0)
	buffer_store_dword v61, v0, s[0:3], 0 offen
.LBB89_196:
	v_mov_b32_e32 v0, 0
	global_load_dword v1, v0, s[12:13] offset:44
	s_waitcnt vmcnt(0)
	v_add_nc_u32_e32 v1, -1, v1
	v_cmp_eq_u32_e32 vcc_lo, 11, v1
	s_cbranch_vccnz .LBB89_198
; %bb.197:
	v_lshlrev_b32_e32 v1, 4, v1
	v_mov_b32_e32 v2, s26
	v_add_nc_u32_e32 v1, 16, v1
	s_clause 0x7
	buffer_load_dword v3, v1, s[0:3], 0 offen
	buffer_load_dword v4, v1, s[0:3], 0 offen offset:4
	buffer_load_dword v57, v1, s[0:3], 0 offen offset:8
	;; [unrolled: 1-line block ×6, first 2 shown]
	buffer_load_dword v62, v2, s[0:3], 0 offen
	s_waitcnt vmcnt(7)
	buffer_store_dword v3, v2, s[0:3], 0 offen
	s_waitcnt vmcnt(6)
	buffer_store_dword v4, v2, s[0:3], 0 offen offset:4
	s_waitcnt vmcnt(5)
	buffer_store_dword v57, v2, s[0:3], 0 offen offset:8
	;; [unrolled: 2-line block ×6, first 2 shown]
	s_waitcnt vmcnt(0)
	buffer_store_dword v62, v1, s[0:3], 0 offen
.LBB89_198:
	global_load_dword v0, v0, s[12:13] offset:40
	s_waitcnt vmcnt(0)
	v_add_nc_u32_e32 v0, -1, v0
	v_cmp_eq_u32_e32 vcc_lo, 10, v0
	s_cbranch_vccnz .LBB89_200
; %bb.199:
	v_lshlrev_b32_e32 v0, 4, v0
	v_mov_b32_e32 v1, s27
	v_add_nc_u32_e32 v0, 16, v0
	s_clause 0x7
	buffer_load_dword v2, v0, s[0:3], 0 offen
	buffer_load_dword v3, v0, s[0:3], 0 offen offset:4
	buffer_load_dword v4, v0, s[0:3], 0 offen offset:8
	;; [unrolled: 1-line block ×6, first 2 shown]
	buffer_load_dword v61, v1, s[0:3], 0 offen
	s_waitcnt vmcnt(7)
	buffer_store_dword v2, v1, s[0:3], 0 offen
	s_waitcnt vmcnt(6)
	buffer_store_dword v3, v1, s[0:3], 0 offen offset:4
	s_waitcnt vmcnt(5)
	buffer_store_dword v4, v1, s[0:3], 0 offen offset:8
	;; [unrolled: 2-line block ×6, first 2 shown]
	s_waitcnt vmcnt(0)
	buffer_store_dword v61, v0, s[0:3], 0 offen
.LBB89_200:
	v_mov_b32_e32 v0, 0
	global_load_dword v1, v0, s[12:13] offset:36
	s_waitcnt vmcnt(0)
	v_add_nc_u32_e32 v1, -1, v1
	v_cmp_eq_u32_e32 vcc_lo, 9, v1
	s_cbranch_vccnz .LBB89_202
; %bb.201:
	v_lshlrev_b32_e32 v1, 4, v1
	v_mov_b32_e32 v2, s28
	v_add_nc_u32_e32 v1, 16, v1
	s_clause 0x7
	buffer_load_dword v3, v1, s[0:3], 0 offen
	buffer_load_dword v4, v1, s[0:3], 0 offen offset:4
	buffer_load_dword v57, v1, s[0:3], 0 offen offset:8
	;; [unrolled: 1-line block ×6, first 2 shown]
	buffer_load_dword v62, v2, s[0:3], 0 offen
	s_waitcnt vmcnt(7)
	buffer_store_dword v3, v2, s[0:3], 0 offen
	s_waitcnt vmcnt(6)
	buffer_store_dword v4, v2, s[0:3], 0 offen offset:4
	s_waitcnt vmcnt(5)
	buffer_store_dword v57, v2, s[0:3], 0 offen offset:8
	;; [unrolled: 2-line block ×6, first 2 shown]
	s_waitcnt vmcnt(0)
	buffer_store_dword v62, v1, s[0:3], 0 offen
.LBB89_202:
	global_load_dword v0, v0, s[12:13] offset:32
	s_waitcnt vmcnt(0)
	v_add_nc_u32_e32 v0, -1, v0
	v_cmp_eq_u32_e32 vcc_lo, 8, v0
	s_cbranch_vccnz .LBB89_204
; %bb.203:
	v_lshlrev_b32_e32 v0, 4, v0
	v_mov_b32_e32 v1, s29
	v_add_nc_u32_e32 v0, 16, v0
	s_clause 0x7
	buffer_load_dword v2, v0, s[0:3], 0 offen
	buffer_load_dword v3, v0, s[0:3], 0 offen offset:4
	buffer_load_dword v4, v0, s[0:3], 0 offen offset:8
	;; [unrolled: 1-line block ×6, first 2 shown]
	buffer_load_dword v61, v1, s[0:3], 0 offen
	s_waitcnt vmcnt(7)
	buffer_store_dword v2, v1, s[0:3], 0 offen
	s_waitcnt vmcnt(6)
	buffer_store_dword v3, v1, s[0:3], 0 offen offset:4
	s_waitcnt vmcnt(5)
	buffer_store_dword v4, v1, s[0:3], 0 offen offset:8
	;; [unrolled: 2-line block ×6, first 2 shown]
	s_waitcnt vmcnt(0)
	buffer_store_dword v61, v0, s[0:3], 0 offen
.LBB89_204:
	v_mov_b32_e32 v0, 0
	global_load_dword v1, v0, s[12:13] offset:28
	s_waitcnt vmcnt(0)
	v_add_nc_u32_e32 v1, -1, v1
	v_cmp_eq_u32_e32 vcc_lo, 7, v1
	s_cbranch_vccnz .LBB89_206
; %bb.205:
	v_lshlrev_b32_e32 v1, 4, v1
	v_mov_b32_e32 v2, s30
	v_add_nc_u32_e32 v1, 16, v1
	s_clause 0x7
	buffer_load_dword v3, v1, s[0:3], 0 offen
	buffer_load_dword v4, v1, s[0:3], 0 offen offset:4
	buffer_load_dword v57, v1, s[0:3], 0 offen offset:8
	buffer_load_dword v58, v1, s[0:3], 0 offen offset:12
	buffer_load_dword v59, v2, s[0:3], 0 offen offset:12
	buffer_load_dword v60, v2, s[0:3], 0 offen offset:8
	buffer_load_dword v61, v2, s[0:3], 0 offen offset:4
	buffer_load_dword v62, v2, s[0:3], 0 offen
	s_waitcnt vmcnt(7)
	buffer_store_dword v3, v2, s[0:3], 0 offen
	s_waitcnt vmcnt(6)
	buffer_store_dword v4, v2, s[0:3], 0 offen offset:4
	s_waitcnt vmcnt(5)
	buffer_store_dword v57, v2, s[0:3], 0 offen offset:8
	;; [unrolled: 2-line block ×6, first 2 shown]
	s_waitcnt vmcnt(0)
	buffer_store_dword v62, v1, s[0:3], 0 offen
.LBB89_206:
	global_load_dword v0, v0, s[12:13] offset:24
	s_waitcnt vmcnt(0)
	v_add_nc_u32_e32 v0, -1, v0
	v_cmp_eq_u32_e32 vcc_lo, 6, v0
	s_cbranch_vccnz .LBB89_208
; %bb.207:
	v_lshlrev_b32_e32 v0, 4, v0
	v_mov_b32_e32 v1, s31
	v_add_nc_u32_e32 v0, 16, v0
	s_clause 0x7
	buffer_load_dword v2, v0, s[0:3], 0 offen
	buffer_load_dword v3, v0, s[0:3], 0 offen offset:4
	buffer_load_dword v4, v0, s[0:3], 0 offen offset:8
	;; [unrolled: 1-line block ×6, first 2 shown]
	buffer_load_dword v61, v1, s[0:3], 0 offen
	s_waitcnt vmcnt(7)
	buffer_store_dword v2, v1, s[0:3], 0 offen
	s_waitcnt vmcnt(6)
	buffer_store_dword v3, v1, s[0:3], 0 offen offset:4
	s_waitcnt vmcnt(5)
	buffer_store_dword v4, v1, s[0:3], 0 offen offset:8
	;; [unrolled: 2-line block ×6, first 2 shown]
	s_waitcnt vmcnt(0)
	buffer_store_dword v61, v0, s[0:3], 0 offen
.LBB89_208:
	v_mov_b32_e32 v0, 0
	global_load_dword v1, v0, s[12:13] offset:20
	s_waitcnt vmcnt(0)
	v_add_nc_u32_e32 v1, -1, v1
	v_cmp_eq_u32_e32 vcc_lo, 5, v1
	s_cbranch_vccnz .LBB89_210
; %bb.209:
	v_lshlrev_b32_e32 v1, 4, v1
	v_mov_b32_e32 v2, s33
	v_add_nc_u32_e32 v1, 16, v1
	s_clause 0x7
	buffer_load_dword v3, v1, s[0:3], 0 offen
	buffer_load_dword v4, v1, s[0:3], 0 offen offset:4
	buffer_load_dword v57, v1, s[0:3], 0 offen offset:8
	;; [unrolled: 1-line block ×6, first 2 shown]
	buffer_load_dword v62, v2, s[0:3], 0 offen
	s_waitcnt vmcnt(7)
	buffer_store_dword v3, v2, s[0:3], 0 offen
	s_waitcnt vmcnt(6)
	buffer_store_dword v4, v2, s[0:3], 0 offen offset:4
	s_waitcnt vmcnt(5)
	buffer_store_dword v57, v2, s[0:3], 0 offen offset:8
	;; [unrolled: 2-line block ×6, first 2 shown]
	s_waitcnt vmcnt(0)
	buffer_store_dword v62, v1, s[0:3], 0 offen
.LBB89_210:
	global_load_dword v0, v0, s[12:13] offset:16
	s_waitcnt vmcnt(0)
	v_add_nc_u32_e32 v0, -1, v0
	v_cmp_eq_u32_e32 vcc_lo, 4, v0
	s_cbranch_vccnz .LBB89_212
; %bb.211:
	v_lshlrev_b32_e32 v0, 4, v0
	v_mov_b32_e32 v1, s34
	v_add_nc_u32_e32 v0, 16, v0
	s_clause 0x7
	buffer_load_dword v2, v0, s[0:3], 0 offen
	buffer_load_dword v3, v0, s[0:3], 0 offen offset:4
	buffer_load_dword v4, v0, s[0:3], 0 offen offset:8
	;; [unrolled: 1-line block ×6, first 2 shown]
	buffer_load_dword v61, v1, s[0:3], 0 offen
	s_waitcnt vmcnt(7)
	buffer_store_dword v2, v1, s[0:3], 0 offen
	s_waitcnt vmcnt(6)
	buffer_store_dword v3, v1, s[0:3], 0 offen offset:4
	s_waitcnt vmcnt(5)
	buffer_store_dword v4, v1, s[0:3], 0 offen offset:8
	;; [unrolled: 2-line block ×6, first 2 shown]
	s_waitcnt vmcnt(0)
	buffer_store_dword v61, v0, s[0:3], 0 offen
.LBB89_212:
	v_mov_b32_e32 v0, 0
	global_load_dword v1, v0, s[12:13] offset:12
	s_waitcnt vmcnt(0)
	v_add_nc_u32_e32 v1, -1, v1
	v_cmp_eq_u32_e32 vcc_lo, 3, v1
	s_cbranch_vccnz .LBB89_214
; %bb.213:
	v_lshlrev_b32_e32 v1, 4, v1
	v_mov_b32_e32 v2, s35
	v_add_nc_u32_e32 v1, 16, v1
	s_clause 0x7
	buffer_load_dword v3, v1, s[0:3], 0 offen
	buffer_load_dword v4, v1, s[0:3], 0 offen offset:4
	buffer_load_dword v57, v1, s[0:3], 0 offen offset:8
	;; [unrolled: 1-line block ×6, first 2 shown]
	buffer_load_dword v62, v2, s[0:3], 0 offen
	s_waitcnt vmcnt(7)
	buffer_store_dword v3, v2, s[0:3], 0 offen
	s_waitcnt vmcnt(6)
	buffer_store_dword v4, v2, s[0:3], 0 offen offset:4
	s_waitcnt vmcnt(5)
	buffer_store_dword v57, v2, s[0:3], 0 offen offset:8
	;; [unrolled: 2-line block ×6, first 2 shown]
	s_waitcnt vmcnt(0)
	buffer_store_dword v62, v1, s[0:3], 0 offen
.LBB89_214:
	global_load_dword v0, v0, s[12:13] offset:8
	s_waitcnt vmcnt(0)
	v_add_nc_u32_e32 v0, -1, v0
	v_cmp_eq_u32_e32 vcc_lo, 2, v0
	s_cbranch_vccnz .LBB89_216
; %bb.215:
	v_lshlrev_b32_e32 v0, 4, v0
	v_mov_b32_e32 v1, s36
	v_add_nc_u32_e32 v0, 16, v0
	s_clause 0x7
	buffer_load_dword v2, v0, s[0:3], 0 offen
	buffer_load_dword v3, v0, s[0:3], 0 offen offset:4
	buffer_load_dword v4, v0, s[0:3], 0 offen offset:8
	;; [unrolled: 1-line block ×6, first 2 shown]
	buffer_load_dword v61, v1, s[0:3], 0 offen
	s_waitcnt vmcnt(7)
	buffer_store_dword v2, v1, s[0:3], 0 offen
	s_waitcnt vmcnt(6)
	buffer_store_dword v3, v1, s[0:3], 0 offen offset:4
	s_waitcnt vmcnt(5)
	buffer_store_dword v4, v1, s[0:3], 0 offen offset:8
	s_waitcnt vmcnt(4)
	buffer_store_dword v57, v1, s[0:3], 0 offen offset:12
	s_waitcnt vmcnt(3)
	buffer_store_dword v58, v0, s[0:3], 0 offen offset:12
	s_waitcnt vmcnt(2)
	buffer_store_dword v59, v0, s[0:3], 0 offen offset:8
	s_waitcnt vmcnt(1)
	buffer_store_dword v60, v0, s[0:3], 0 offen offset:4
	s_waitcnt vmcnt(0)
	buffer_store_dword v61, v0, s[0:3], 0 offen
.LBB89_216:
	v_mov_b32_e32 v0, 0
	global_load_dword v1, v0, s[12:13] offset:4
	s_waitcnt vmcnt(0)
	v_add_nc_u32_e32 v1, -1, v1
	v_cmp_eq_u32_e32 vcc_lo, 1, v1
	s_cbranch_vccnz .LBB89_218
; %bb.217:
	v_lshlrev_b32_e32 v1, 4, v1
	v_mov_b32_e32 v2, s37
	v_add_nc_u32_e32 v1, 16, v1
	s_clause 0x7
	buffer_load_dword v3, v1, s[0:3], 0 offen
	buffer_load_dword v4, v1, s[0:3], 0 offen offset:4
	buffer_load_dword v57, v1, s[0:3], 0 offen offset:8
	;; [unrolled: 1-line block ×6, first 2 shown]
	buffer_load_dword v62, v2, s[0:3], 0 offen
	s_waitcnt vmcnt(7)
	buffer_store_dword v3, v2, s[0:3], 0 offen
	s_waitcnt vmcnt(6)
	buffer_store_dword v4, v2, s[0:3], 0 offen offset:4
	s_waitcnt vmcnt(5)
	buffer_store_dword v57, v2, s[0:3], 0 offen offset:8
	;; [unrolled: 2-line block ×6, first 2 shown]
	s_waitcnt vmcnt(0)
	buffer_store_dword v62, v1, s[0:3], 0 offen
.LBB89_218:
	global_load_dword v0, v0, s[12:13]
	s_waitcnt vmcnt(0)
	v_add_nc_u32_e32 v0, -1, v0
	v_cmp_eq_u32_e32 vcc_lo, 0, v0
	s_cbranch_vccnz .LBB89_220
; %bb.219:
	v_lshlrev_b32_e32 v0, 4, v0
	v_add_nc_u32_e32 v0, 16, v0
	s_clause 0x7
	buffer_load_dword v1, v0, s[0:3], 0 offen
	buffer_load_dword v2, v0, s[0:3], 0 offen offset:4
	buffer_load_dword v3, v0, s[0:3], 0 offen offset:8
	;; [unrolled: 1-line block ×3, first 2 shown]
	buffer_load_dword v57, off, s[0:3], 0 offset:28
	buffer_load_dword v58, off, s[0:3], 0 offset:24
	;; [unrolled: 1-line block ×4, first 2 shown]
	s_waitcnt vmcnt(7)
	buffer_store_dword v1, off, s[0:3], 0 offset:16
	s_waitcnt vmcnt(6)
	buffer_store_dword v2, off, s[0:3], 0 offset:20
	;; [unrolled: 2-line block ×4, first 2 shown]
	s_waitcnt vmcnt(3)
	buffer_store_dword v57, v0, s[0:3], 0 offen offset:12
	s_waitcnt vmcnt(2)
	buffer_store_dword v58, v0, s[0:3], 0 offen offset:8
	;; [unrolled: 2-line block ×3, first 2 shown]
	s_waitcnt vmcnt(0)
	buffer_store_dword v60, v0, s[0:3], 0 offen
.LBB89_220:
	s_clause 0x3
	buffer_load_dword v0, off, s[0:3], 0 offset:16
	buffer_load_dword v1, off, s[0:3], 0 offset:20
	;; [unrolled: 1-line block ×4, first 2 shown]
	v_mov_b32_e32 v4, s37
	s_waitcnt vmcnt(0)
	flat_store_dwordx4 v[5:6], v[0:3]
	s_clause 0x3
	buffer_load_dword v0, v4, s[0:3], 0 offen
	buffer_load_dword v1, v4, s[0:3], 0 offen offset:4
	buffer_load_dword v2, v4, s[0:3], 0 offen offset:8
	buffer_load_dword v3, v4, s[0:3], 0 offen offset:12
	v_mov_b32_e32 v4, s36
	s_waitcnt vmcnt(0)
	flat_store_dwordx4 v[7:8], v[0:3]
	s_clause 0x3
	buffer_load_dword v0, v4, s[0:3], 0 offen
	buffer_load_dword v1, v4, s[0:3], 0 offen offset:4
	buffer_load_dword v2, v4, s[0:3], 0 offen offset:8
	buffer_load_dword v3, v4, s[0:3], 0 offen offset:12
	;; [unrolled: 8-line block ×25, first 2 shown]
	s_waitcnt vmcnt(0)
	flat_store_dwordx4 v[55:56], v[0:3]
	s_endpgm
	.section	.rodata,"a",@progbits
	.p2align	6, 0x0
	.amdhsa_kernel _ZN9rocsolver6v33100L18getri_kernel_smallILi26E19rocblas_complex_numIdEPKPS3_EEvT1_iilPiilS8_bb
		.amdhsa_group_segment_fixed_size 840
		.amdhsa_private_segment_fixed_size 448
		.amdhsa_kernarg_size 60
		.amdhsa_user_sgpr_count 6
		.amdhsa_user_sgpr_private_segment_buffer 1
		.amdhsa_user_sgpr_dispatch_ptr 0
		.amdhsa_user_sgpr_queue_ptr 0
		.amdhsa_user_sgpr_kernarg_segment_ptr 1
		.amdhsa_user_sgpr_dispatch_id 0
		.amdhsa_user_sgpr_flat_scratch_init 0
		.amdhsa_user_sgpr_private_segment_size 0
		.amdhsa_wavefront_size32 1
		.amdhsa_uses_dynamic_stack 0
		.amdhsa_system_sgpr_private_segment_wavefront_offset 1
		.amdhsa_system_sgpr_workgroup_id_x 1
		.amdhsa_system_sgpr_workgroup_id_y 0
		.amdhsa_system_sgpr_workgroup_id_z 0
		.amdhsa_system_sgpr_workgroup_info 0
		.amdhsa_system_vgpr_workitem_id 0
		.amdhsa_next_free_vgpr 145
		.amdhsa_next_free_sgpr 49
		.amdhsa_reserve_vcc 1
		.amdhsa_reserve_flat_scratch 0
		.amdhsa_float_round_mode_32 0
		.amdhsa_float_round_mode_16_64 0
		.amdhsa_float_denorm_mode_32 3
		.amdhsa_float_denorm_mode_16_64 3
		.amdhsa_dx10_clamp 1
		.amdhsa_ieee_mode 1
		.amdhsa_fp16_overflow 0
		.amdhsa_workgroup_processor_mode 1
		.amdhsa_memory_ordered 1
		.amdhsa_forward_progress 1
		.amdhsa_shared_vgpr_count 0
		.amdhsa_exception_fp_ieee_invalid_op 0
		.amdhsa_exception_fp_denorm_src 0
		.amdhsa_exception_fp_ieee_div_zero 0
		.amdhsa_exception_fp_ieee_overflow 0
		.amdhsa_exception_fp_ieee_underflow 0
		.amdhsa_exception_fp_ieee_inexact 0
		.amdhsa_exception_int_div_zero 0
	.end_amdhsa_kernel
	.section	.text._ZN9rocsolver6v33100L18getri_kernel_smallILi26E19rocblas_complex_numIdEPKPS3_EEvT1_iilPiilS8_bb,"axG",@progbits,_ZN9rocsolver6v33100L18getri_kernel_smallILi26E19rocblas_complex_numIdEPKPS3_EEvT1_iilPiilS8_bb,comdat
.Lfunc_end89:
	.size	_ZN9rocsolver6v33100L18getri_kernel_smallILi26E19rocblas_complex_numIdEPKPS3_EEvT1_iilPiilS8_bb, .Lfunc_end89-_ZN9rocsolver6v33100L18getri_kernel_smallILi26E19rocblas_complex_numIdEPKPS3_EEvT1_iilPiilS8_bb
                                        ; -- End function
	.set _ZN9rocsolver6v33100L18getri_kernel_smallILi26E19rocblas_complex_numIdEPKPS3_EEvT1_iilPiilS8_bb.num_vgpr, 145
	.set _ZN9rocsolver6v33100L18getri_kernel_smallILi26E19rocblas_complex_numIdEPKPS3_EEvT1_iilPiilS8_bb.num_agpr, 0
	.set _ZN9rocsolver6v33100L18getri_kernel_smallILi26E19rocblas_complex_numIdEPKPS3_EEvT1_iilPiilS8_bb.numbered_sgpr, 49
	.set _ZN9rocsolver6v33100L18getri_kernel_smallILi26E19rocblas_complex_numIdEPKPS3_EEvT1_iilPiilS8_bb.num_named_barrier, 0
	.set _ZN9rocsolver6v33100L18getri_kernel_smallILi26E19rocblas_complex_numIdEPKPS3_EEvT1_iilPiilS8_bb.private_seg_size, 448
	.set _ZN9rocsolver6v33100L18getri_kernel_smallILi26E19rocblas_complex_numIdEPKPS3_EEvT1_iilPiilS8_bb.uses_vcc, 1
	.set _ZN9rocsolver6v33100L18getri_kernel_smallILi26E19rocblas_complex_numIdEPKPS3_EEvT1_iilPiilS8_bb.uses_flat_scratch, 0
	.set _ZN9rocsolver6v33100L18getri_kernel_smallILi26E19rocblas_complex_numIdEPKPS3_EEvT1_iilPiilS8_bb.has_dyn_sized_stack, 0
	.set _ZN9rocsolver6v33100L18getri_kernel_smallILi26E19rocblas_complex_numIdEPKPS3_EEvT1_iilPiilS8_bb.has_recursion, 0
	.set _ZN9rocsolver6v33100L18getri_kernel_smallILi26E19rocblas_complex_numIdEPKPS3_EEvT1_iilPiilS8_bb.has_indirect_call, 0
	.section	.AMDGPU.csdata,"",@progbits
; Kernel info:
; codeLenInByte = 56084
; TotalNumSgprs: 51
; NumVgprs: 145
; ScratchSize: 448
; MemoryBound: 0
; FloatMode: 240
; IeeeMode: 1
; LDSByteSize: 840 bytes/workgroup (compile time only)
; SGPRBlocks: 0
; VGPRBlocks: 18
; NumSGPRsForWavesPerEU: 51
; NumVGPRsForWavesPerEU: 145
; Occupancy: 6
; WaveLimiterHint : 1
; COMPUTE_PGM_RSRC2:SCRATCH_EN: 1
; COMPUTE_PGM_RSRC2:USER_SGPR: 6
; COMPUTE_PGM_RSRC2:TRAP_HANDLER: 0
; COMPUTE_PGM_RSRC2:TGID_X_EN: 1
; COMPUTE_PGM_RSRC2:TGID_Y_EN: 0
; COMPUTE_PGM_RSRC2:TGID_Z_EN: 0
; COMPUTE_PGM_RSRC2:TIDIG_COMP_CNT: 0
	.section	.text._ZN9rocsolver6v33100L18getri_kernel_smallILi27E19rocblas_complex_numIdEPKPS3_EEvT1_iilPiilS8_bb,"axG",@progbits,_ZN9rocsolver6v33100L18getri_kernel_smallILi27E19rocblas_complex_numIdEPKPS3_EEvT1_iilPiilS8_bb,comdat
	.globl	_ZN9rocsolver6v33100L18getri_kernel_smallILi27E19rocblas_complex_numIdEPKPS3_EEvT1_iilPiilS8_bb ; -- Begin function _ZN9rocsolver6v33100L18getri_kernel_smallILi27E19rocblas_complex_numIdEPKPS3_EEvT1_iilPiilS8_bb
	.p2align	8
	.type	_ZN9rocsolver6v33100L18getri_kernel_smallILi27E19rocblas_complex_numIdEPKPS3_EEvT1_iilPiilS8_bb,@function
_ZN9rocsolver6v33100L18getri_kernel_smallILi27E19rocblas_complex_numIdEPKPS3_EEvT1_iilPiilS8_bb: ; @_ZN9rocsolver6v33100L18getri_kernel_smallILi27E19rocblas_complex_numIdEPKPS3_EEvT1_iilPiilS8_bb
; %bb.0:
	s_add_u32 s0, s0, s7
	s_addc_u32 s1, s1, 0
	s_mov_b32 s7, exec_lo
	v_cmpx_gt_u32_e32 27, v0
	s_cbranch_execz .LBB90_122
; %bb.1:
	s_clause 0x2
	s_load_dword s16, s[4:5], 0x38
	s_load_dwordx2 s[12:13], s[4:5], 0x0
	s_load_dwordx4 s[8:11], s[4:5], 0x28
	s_waitcnt lgkmcnt(0)
	s_bitcmp1_b32 s16, 8
	s_cselect_b32 s39, -1, 0
	s_ashr_i32 s7, s6, 31
	s_lshl_b64 s[14:15], s[6:7], 3
	s_add_u32 s12, s12, s14
	s_addc_u32 s13, s13, s15
	s_load_dwordx2 s[14:15], s[12:13], 0x0
	s_bfe_u32 s12, s16, 0x10008
	s_cmp_eq_u32 s12, 0
                                        ; implicit-def: $sgpr12_sgpr13
	s_cbranch_scc1 .LBB90_3
; %bb.2:
	s_clause 0x1
	s_load_dword s12, s[4:5], 0x20
	s_load_dwordx2 s[16:17], s[4:5], 0x18
	s_mul_i32 s13, s8, s7
	s_mul_hi_u32 s18, s8, s6
	s_mul_i32 s9, s9, s6
	s_add_i32 s13, s18, s13
	s_mul_i32 s8, s8, s6
	s_add_i32 s9, s13, s9
	s_lshl_b64 s[8:9], s[8:9], 2
	s_waitcnt lgkmcnt(0)
	s_ashr_i32 s13, s12, 31
	s_add_u32 s16, s16, s8
	s_addc_u32 s17, s17, s9
	s_lshl_b64 s[8:9], s[12:13], 2
	s_add_u32 s12, s16, s8
	s_addc_u32 s13, s17, s9
.LBB90_3:
	s_clause 0x1
	s_load_dwordx2 s[8:9], s[4:5], 0x8
	s_load_dword s40, s[4:5], 0x38
	v_lshlrev_b32_e32 v65, 4, v0
	s_movk_i32 s16, 0xa0
	s_movk_i32 s17, 0xb0
	s_movk_i32 s18, 0xc0
	s_movk_i32 s19, 0xd0
	s_movk_i32 s20, 0xe0
	s_movk_i32 s21, 0xf0
	s_movk_i32 s22, 0x100
	s_movk_i32 s41, 0x110
	s_movk_i32 s42, 0x120
	s_movk_i32 s43, 0x130
	s_movk_i32 s44, 0x140
	s_movk_i32 s45, 0x150
	s_movk_i32 s46, 0x160
	s_movk_i32 s47, 0x170
	s_movk_i32 s48, 0x180
	s_movk_i32 s49, 0x190
	s_movk_i32 s50, 0x1a0
	s_waitcnt lgkmcnt(0)
	s_ashr_i32 s5, s8, 31
	s_mov_b32 s4, s8
	v_add3_u32 v7, s9, s9, v0
	s_lshl_b64 s[4:5], s[4:5], 4
	s_mov_b32 s38, 32
	s_add_u32 s8, s14, s4
	s_addc_u32 s14, s15, s5
	v_add_co_u32 v5, s4, s8, v65
	v_add_co_ci_u32_e64 v6, null, s14, 0, s4
	s_mov_b32 s4, s9
	s_ashr_i32 s5, s9, 31
	v_ashrrev_i32_e32 v8, 31, v7
	flat_load_dwordx4 v[1:4], v[5:6]
	s_lshl_b64 s[4:5], s[4:5], 4
	s_movk_i32 s15, 0x90
	v_add_co_u32 v57, vcc_lo, v5, s4
	v_add_co_ci_u32_e64 v58, null, s5, v6, vcc_lo
	v_lshlrev_b64 v[8:9], 4, v[7:8]
	v_add_nc_u32_e32 v7, s9, v7
	s_movk_i32 s4, 0x50
	s_add_i32 s29, s15, 16
	s_add_i32 s34, s4, 16
	;; [unrolled: 1-line block ×3, first 2 shown]
	v_add_co_u32 v55, vcc_lo, s8, v8
	v_add_co_ci_u32_e64 v56, null, s14, v9, vcc_lo
	v_ashrrev_i32_e32 v8, 31, v7
	s_add_i32 s27, s17, 16
	s_add_i32 s26, s18, 16
	;; [unrolled: 1-line block ×4, first 2 shown]
	v_lshlrev_b64 v[8:9], 4, v[7:8]
	v_add_nc_u32_e32 v7, s9, v7
	s_add_i32 s23, s21, 16
	s_add_i32 s22, s22, 16
	s_add_i32 s21, s41, 16
	s_add_i32 s20, s42, 16
	v_add_co_u32 v53, vcc_lo, s8, v8
	v_add_co_ci_u32_e64 v54, null, s14, v9, vcc_lo
	v_ashrrev_i32_e32 v8, 31, v7
	s_add_i32 s19, s43, 16
	s_add_i32 s18, s44, 16
	;; [unrolled: 1-line block ×4, first 2 shown]
	v_lshlrev_b64 v[8:9], 4, v[7:8]
	v_add_nc_u32_e32 v7, s9, v7
	s_add_i32 s15, s47, 16
	s_mov_b32 s5, -1
	s_mov_b32 s37, 48
	s_mov_b32 s36, 64
	v_add_co_u32 v51, vcc_lo, s8, v8
	v_add_co_ci_u32_e64 v52, null, s14, v9, vcc_lo
	v_ashrrev_i32_e32 v8, 31, v7
	s_movk_i32 s35, 0x50
	s_waitcnt vmcnt(0) lgkmcnt(0)
	buffer_store_dword v4, off, s[0:3], 0 offset:28
	buffer_store_dword v3, off, s[0:3], 0 offset:24
	buffer_store_dword v2, off, s[0:3], 0 offset:20
	buffer_store_dword v1, off, s[0:3], 0 offset:16
	flat_load_dwordx4 v[1:4], v[57:58]
	v_lshlrev_b64 v[8:9], 4, v[7:8]
	v_add_nc_u32_e32 v7, s9, v7
	s_waitcnt vmcnt(0) lgkmcnt(0)
	buffer_store_dword v4, off, s[0:3], 0 offset:44
	buffer_store_dword v3, off, s[0:3], 0 offset:40
	buffer_store_dword v2, off, s[0:3], 0 offset:36
	buffer_store_dword v1, off, s[0:3], 0 offset:32
	flat_load_dwordx4 v[1:4], v[55:56]
	v_add_co_u32 v49, vcc_lo, s8, v8
	v_add_co_ci_u32_e64 v50, null, s14, v9, vcc_lo
	v_ashrrev_i32_e32 v8, 31, v7
	s_waitcnt vmcnt(0) lgkmcnt(0)
	buffer_store_dword v4, off, s[0:3], 0 offset:60
	buffer_store_dword v3, off, s[0:3], 0 offset:56
	buffer_store_dword v2, off, s[0:3], 0 offset:52
	buffer_store_dword v1, off, s[0:3], 0 offset:48
	flat_load_dwordx4 v[1:4], v[53:54]
	v_lshlrev_b64 v[8:9], 4, v[7:8]
	v_add_nc_u32_e32 v7, s9, v7
	s_waitcnt vmcnt(0) lgkmcnt(0)
	buffer_store_dword v4, off, s[0:3], 0 offset:76
	buffer_store_dword v3, off, s[0:3], 0 offset:72
	buffer_store_dword v2, off, s[0:3], 0 offset:68
	buffer_store_dword v1, off, s[0:3], 0 offset:64
	flat_load_dwordx4 v[1:4], v[51:52]
	v_add_co_u32 v47, vcc_lo, s8, v8
	v_add_co_ci_u32_e64 v48, null, s14, v9, vcc_lo
	v_ashrrev_i32_e32 v8, 31, v7
	s_waitcnt vmcnt(0) lgkmcnt(0)
	buffer_store_dword v4, off, s[0:3], 0 offset:92
	buffer_store_dword v3, off, s[0:3], 0 offset:88
	buffer_store_dword v2, off, s[0:3], 0 offset:84
	buffer_store_dword v1, off, s[0:3], 0 offset:80
	flat_load_dwordx4 v[1:4], v[49:50]
	v_lshlrev_b64 v[8:9], 4, v[7:8]
	v_add_nc_u32_e32 v7, s9, v7
	s_waitcnt vmcnt(0) lgkmcnt(0)
	buffer_store_dword v4, off, s[0:3], 0 offset:108
	buffer_store_dword v3, off, s[0:3], 0 offset:104
	buffer_store_dword v2, off, s[0:3], 0 offset:100
	buffer_store_dword v1, off, s[0:3], 0 offset:96
	flat_load_dwordx4 v[1:4], v[47:48]
	v_add_co_u32 v45, vcc_lo, s8, v8
	v_add_co_ci_u32_e64 v46, null, s14, v9, vcc_lo
	v_ashrrev_i32_e32 v8, 31, v7
	s_waitcnt vmcnt(0) lgkmcnt(0)
	buffer_store_dword v4, off, s[0:3], 0 offset:124
	buffer_store_dword v3, off, s[0:3], 0 offset:120
	;; [unrolled: 1-line block ×4, first 2 shown]
	flat_load_dwordx4 v[1:4], v[45:46]
	v_lshlrev_b64 v[8:9], 4, v[7:8]
	v_add_nc_u32_e32 v7, s9, v7
	s_waitcnt vmcnt(0) lgkmcnt(0)
	buffer_store_dword v4, off, s[0:3], 0 offset:140
	buffer_store_dword v3, off, s[0:3], 0 offset:136
	;; [unrolled: 1-line block ×4, first 2 shown]
	v_add_co_u32 v43, vcc_lo, s8, v8
	v_add_co_ci_u32_e64 v44, null, s14, v9, vcc_lo
	v_ashrrev_i32_e32 v8, 31, v7
	flat_load_dwordx4 v[1:4], v[43:44]
	s_waitcnt vmcnt(0) lgkmcnt(0)
	buffer_store_dword v4, off, s[0:3], 0 offset:156
	buffer_store_dword v3, off, s[0:3], 0 offset:152
	buffer_store_dword v2, off, s[0:3], 0 offset:148
	buffer_store_dword v1, off, s[0:3], 0 offset:144
	v_lshlrev_b64 v[8:9], 4, v[7:8]
	v_add_nc_u32_e32 v7, s9, v7
	v_add_co_u32 v41, vcc_lo, s8, v8
	v_add_co_ci_u32_e64 v42, null, s14, v9, vcc_lo
	v_ashrrev_i32_e32 v8, 31, v7
	flat_load_dwordx4 v[1:4], v[41:42]
	s_waitcnt vmcnt(0) lgkmcnt(0)
	buffer_store_dword v4, off, s[0:3], 0 offset:172
	buffer_store_dword v3, off, s[0:3], 0 offset:168
	buffer_store_dword v2, off, s[0:3], 0 offset:164
	buffer_store_dword v1, off, s[0:3], 0 offset:160
	v_lshlrev_b64 v[8:9], 4, v[7:8]
	v_add_nc_u32_e32 v7, s9, v7
	;; [unrolled: 11-line block ×15, first 2 shown]
	v_add_co_u32 v13, vcc_lo, s8, v8
	v_add_co_ci_u32_e64 v14, null, s14, v9, vcc_lo
	v_ashrrev_i32_e32 v8, 31, v7
	v_add_nc_u32_e32 v11, s9, v7
	flat_load_dwordx4 v[1:4], v[13:14]
	s_waitcnt vmcnt(0) lgkmcnt(0)
	buffer_store_dword v4, off, s[0:3], 0 offset:396
	buffer_store_dword v3, off, s[0:3], 0 offset:392
	;; [unrolled: 1-line block ×4, first 2 shown]
	v_lshlrev_b64 v[9:10], 4, v[7:8]
	v_ashrrev_i32_e32 v12, 31, v11
	v_add_co_u32 v9, vcc_lo, s8, v9
	v_add_co_ci_u32_e64 v10, null, s14, v10, vcc_lo
	v_lshlrev_b64 v[7:8], 4, v[11:12]
	v_add_nc_u32_e32 v11, s9, v11
	s_movk_i32 s9, 0x70
	flat_load_dwordx4 v[1:4], v[9:10]
	s_add_i32 s31, s9, 16
	s_add_i32 s9, s49, 16
	v_add_co_u32 v7, vcc_lo, s8, v7
	v_add_co_ci_u32_e64 v8, null, s14, v8, vcc_lo
	v_ashrrev_i32_e32 v12, 31, v11
	s_waitcnt vmcnt(0) lgkmcnt(0)
	buffer_store_dword v4, off, s[0:3], 0 offset:412
	buffer_store_dword v3, off, s[0:3], 0 offset:408
	;; [unrolled: 1-line block ×4, first 2 shown]
	flat_load_dwordx4 v[1:4], v[7:8]
	v_lshlrev_b64 v[11:12], 4, v[11:12]
	s_waitcnt vmcnt(0) lgkmcnt(0)
	buffer_store_dword v4, off, s[0:3], 0 offset:428
	buffer_store_dword v3, off, s[0:3], 0 offset:424
	;; [unrolled: 1-line block ×4, first 2 shown]
	v_add_co_u32 v11, vcc_lo, s8, v11
	v_add_co_ci_u32_e64 v12, null, s14, v12, vcc_lo
	s_movk_i32 s8, 0x60
	s_movk_i32 s14, 0x80
	s_add_i32 s33, s8, 16
	flat_load_dwordx4 v[1:4], v[11:12]
	s_add_i32 s30, s14, 16
	s_add_i32 s14, s48, 16
	;; [unrolled: 1-line block ×3, first 2 shown]
	s_bitcmp0_b32 s40, 0
	s_waitcnt vmcnt(0) lgkmcnt(0)
	buffer_store_dword v4, off, s[0:3], 0 offset:444
	buffer_store_dword v3, off, s[0:3], 0 offset:440
	;; [unrolled: 1-line block ×4, first 2 shown]
	s_cbranch_scc1 .LBB90_120
; %bb.4:
	v_cmp_eq_u32_e64 s4, 0, v0
	s_and_saveexec_b32 s5, s4
; %bb.5:
	v_mov_b32_e32 v1, 0
	ds_write_b32 v1, v1 offset:864
; %bb.6:
	s_or_b32 exec_lo, exec_lo, s5
	v_lshl_add_u32 v66, v0, 4, 16
	s_waitcnt lgkmcnt(0)
	s_waitcnt_vscnt null, 0x0
	s_barrier
	buffer_gl0_inv
	s_clause 0x3
	buffer_load_dword v1, v66, s[0:3], 0 offen
	buffer_load_dword v2, v66, s[0:3], 0 offen offset:4
	buffer_load_dword v3, v66, s[0:3], 0 offen offset:8
	;; [unrolled: 1-line block ×3, first 2 shown]
	s_waitcnt vmcnt(2)
	v_cmp_eq_f64_e32 vcc_lo, 0, v[1:2]
	s_waitcnt vmcnt(0)
	v_cmp_eq_f64_e64 s5, 0, v[3:4]
	s_and_b32 s5, vcc_lo, s5
	s_and_saveexec_b32 s40, s5
	s_cbranch_execz .LBB90_10
; %bb.7:
	v_mov_b32_e32 v1, 0
	s_mov_b32 s41, 0
	ds_read_b32 v2, v1 offset:864
	s_waitcnt lgkmcnt(0)
	v_readfirstlane_b32 s5, v2
	v_add_nc_u32_e32 v2, 1, v0
	s_cmp_eq_u32 s5, 0
	v_cmp_gt_i32_e32 vcc_lo, s5, v2
	s_cselect_b32 s42, -1, 0
	s_or_b32 s42, s42, vcc_lo
	s_and_b32 exec_lo, exec_lo, s42
	s_cbranch_execz .LBB90_10
; %bb.8:
	v_mov_b32_e32 v3, s5
.LBB90_9:                               ; =>This Inner Loop Header: Depth=1
	ds_cmpst_rtn_b32 v3, v1, v3, v2 offset:864
	s_waitcnt lgkmcnt(0)
	v_cmp_ne_u32_e32 vcc_lo, 0, v3
	v_cmp_le_i32_e64 s5, v3, v2
	s_and_b32 s5, vcc_lo, s5
	s_and_b32 s5, exec_lo, s5
	s_or_b32 s41, s5, s41
	s_andn2_b32 exec_lo, exec_lo, s41
	s_cbranch_execnz .LBB90_9
.LBB90_10:
	s_or_b32 exec_lo, exec_lo, s40
	v_mov_b32_e32 v1, 0
	s_barrier
	buffer_gl0_inv
	ds_read_b32 v2, v1 offset:864
	s_and_saveexec_b32 s5, s4
	s_cbranch_execz .LBB90_12
; %bb.11:
	s_lshl_b64 s[40:41], s[6:7], 2
	s_add_u32 s40, s10, s40
	s_addc_u32 s41, s11, s41
	s_waitcnt lgkmcnt(0)
	global_store_dword v1, v2, s[40:41]
.LBB90_12:
	s_or_b32 exec_lo, exec_lo, s5
	s_waitcnt lgkmcnt(0)
	v_cmp_ne_u32_e32 vcc_lo, 0, v2
	s_mov_b32 s5, 0
	s_cbranch_vccnz .LBB90_120
; %bb.13:
	s_clause 0x3
	buffer_load_dword v61, v66, s[0:3], 0 offen
	buffer_load_dword v62, v66, s[0:3], 0 offen offset:4
	buffer_load_dword v63, v66, s[0:3], 0 offen offset:8
	;; [unrolled: 1-line block ×3, first 2 shown]
                                        ; implicit-def: $vgpr59_vgpr60
                                        ; implicit-def: $vgpr3_vgpr4
	s_waitcnt vmcnt(0)
	v_cmp_ngt_f64_e64 s5, |v[61:62]|, |v[63:64]|
	s_and_saveexec_b32 s40, s5
	s_xor_b32 s5, exec_lo, s40
	s_cbranch_execz .LBB90_15
; %bb.14:
	v_div_scale_f64 v[1:2], null, v[63:64], v[63:64], v[61:62]
	v_div_scale_f64 v[67:68], vcc_lo, v[61:62], v[63:64], v[61:62]
	v_rcp_f64_e32 v[3:4], v[1:2]
	v_fma_f64 v[59:60], -v[1:2], v[3:4], 1.0
	v_fma_f64 v[3:4], v[3:4], v[59:60], v[3:4]
	v_fma_f64 v[59:60], -v[1:2], v[3:4], 1.0
	v_fma_f64 v[3:4], v[3:4], v[59:60], v[3:4]
	v_mul_f64 v[59:60], v[67:68], v[3:4]
	v_fma_f64 v[1:2], -v[1:2], v[59:60], v[67:68]
	v_div_fmas_f64 v[1:2], v[1:2], v[3:4], v[59:60]
	v_div_fixup_f64 v[1:2], v[1:2], v[63:64], v[61:62]
	v_fma_f64 v[3:4], v[61:62], v[1:2], v[63:64]
	v_div_scale_f64 v[59:60], null, v[3:4], v[3:4], 1.0
	v_div_scale_f64 v[67:68], vcc_lo, 1.0, v[3:4], 1.0
	v_rcp_f64_e32 v[61:62], v[59:60]
	v_fma_f64 v[63:64], -v[59:60], v[61:62], 1.0
	v_fma_f64 v[61:62], v[61:62], v[63:64], v[61:62]
	v_fma_f64 v[63:64], -v[59:60], v[61:62], 1.0
	v_fma_f64 v[61:62], v[61:62], v[63:64], v[61:62]
	v_mul_f64 v[63:64], v[67:68], v[61:62]
	v_fma_f64 v[59:60], -v[59:60], v[63:64], v[67:68]
	v_div_fmas_f64 v[59:60], v[59:60], v[61:62], v[63:64]
                                        ; implicit-def: $vgpr61_vgpr62
                                        ; implicit-def: $vgpr63_vgpr64
	v_div_fixup_f64 v[3:4], v[59:60], v[3:4], 1.0
	v_mul_f64 v[59:60], v[1:2], v[3:4]
	v_xor_b32_e32 v4, 0x80000000, v4
	v_xor_b32_e32 v2, 0x80000000, v60
	v_mov_b32_e32 v1, v59
.LBB90_15:
	s_andn2_saveexec_b32 s5, s5
	s_cbranch_execz .LBB90_17
; %bb.16:
	v_div_scale_f64 v[1:2], null, v[61:62], v[61:62], v[63:64]
	v_div_scale_f64 v[67:68], vcc_lo, v[63:64], v[61:62], v[63:64]
	v_rcp_f64_e32 v[3:4], v[1:2]
	v_fma_f64 v[59:60], -v[1:2], v[3:4], 1.0
	v_fma_f64 v[3:4], v[3:4], v[59:60], v[3:4]
	v_fma_f64 v[59:60], -v[1:2], v[3:4], 1.0
	v_fma_f64 v[3:4], v[3:4], v[59:60], v[3:4]
	v_mul_f64 v[59:60], v[67:68], v[3:4]
	v_fma_f64 v[1:2], -v[1:2], v[59:60], v[67:68]
	v_div_fmas_f64 v[1:2], v[1:2], v[3:4], v[59:60]
	v_div_fixup_f64 v[1:2], v[1:2], v[61:62], v[63:64]
	v_fma_f64 v[3:4], v[63:64], v[1:2], v[61:62]
	v_div_scale_f64 v[59:60], null, v[3:4], v[3:4], 1.0
	v_rcp_f64_e32 v[61:62], v[59:60]
	v_fma_f64 v[63:64], -v[59:60], v[61:62], 1.0
	v_fma_f64 v[61:62], v[61:62], v[63:64], v[61:62]
	v_fma_f64 v[63:64], -v[59:60], v[61:62], 1.0
	v_fma_f64 v[61:62], v[61:62], v[63:64], v[61:62]
	v_div_scale_f64 v[63:64], vcc_lo, 1.0, v[3:4], 1.0
	v_mul_f64 v[67:68], v[63:64], v[61:62]
	v_fma_f64 v[59:60], -v[59:60], v[67:68], v[63:64]
	v_div_fmas_f64 v[59:60], v[59:60], v[61:62], v[67:68]
	v_div_fixup_f64 v[59:60], v[59:60], v[3:4], 1.0
	v_mul_f64 v[3:4], v[1:2], -v[59:60]
	v_xor_b32_e32 v2, 0x80000000, v60
	v_mov_b32_e32 v1, v59
.LBB90_17:
	s_or_b32 exec_lo, exec_lo, s5
	v_mov_b32_e32 v64, s38
	buffer_store_dword v60, v66, s[0:3], 0 offen offset:4
	buffer_store_dword v59, v66, s[0:3], 0 offen
	buffer_store_dword v4, v66, s[0:3], 0 offen offset:12
	buffer_store_dword v3, v66, s[0:3], 0 offen offset:8
	v_xor_b32_e32 v4, 0x80000000, v4
	v_add_nc_u32_e32 v59, 0x1b0, v65
	s_clause 0x3
	buffer_load_dword v63, v64, s[0:3], 0 offen offset:12
	buffer_load_dword v62, v64, s[0:3], 0 offen offset:8
	;; [unrolled: 1-line block ×3, first 2 shown]
	buffer_load_dword v60, v64, s[0:3], 0 offen
	ds_write_b128 v65, v[1:4]
	s_waitcnt vmcnt(0)
	ds_write_b128 v65, v[60:63] offset:432
	s_waitcnt lgkmcnt(0)
	s_waitcnt_vscnt null, 0x0
	s_barrier
	buffer_gl0_inv
	s_and_saveexec_b32 s5, s4
	s_cbranch_execz .LBB90_19
; %bb.18:
	s_clause 0x3
	buffer_load_dword v67, v66, s[0:3], 0 offen offset:8
	buffer_load_dword v68, v66, s[0:3], 0 offen offset:12
	buffer_load_dword v69, v66, s[0:3], 0 offen
	buffer_load_dword v70, v66, s[0:3], 0 offen offset:4
	ds_read_b128 v[1:4], v59
	v_mov_b32_e32 v60, 0
	ds_read_b128 v[60:63], v60 offset:16
	s_waitcnt vmcnt(2) lgkmcnt(1)
	v_mul_f64 v[71:72], v[1:2], v[67:68]
	v_mul_f64 v[67:68], v[3:4], v[67:68]
	s_waitcnt vmcnt(0)
	v_fma_f64 v[3:4], v[3:4], v[69:70], v[71:72]
	v_fma_f64 v[1:2], v[1:2], v[69:70], -v[67:68]
	v_add_f64 v[3:4], v[3:4], 0
	v_add_f64 v[1:2], v[1:2], 0
	s_waitcnt lgkmcnt(0)
	v_mul_f64 v[67:68], v[3:4], v[62:63]
	v_mul_f64 v[62:63], v[1:2], v[62:63]
	v_fma_f64 v[1:2], v[1:2], v[60:61], -v[67:68]
	v_fma_f64 v[3:4], v[3:4], v[60:61], v[62:63]
	buffer_store_dword v1, off, s[0:3], 0 offset:32
	buffer_store_dword v2, off, s[0:3], 0 offset:36
	;; [unrolled: 1-line block ×4, first 2 shown]
.LBB90_19:
	s_or_b32 exec_lo, exec_lo, s5
	v_mov_b32_e32 v4, s37
	s_waitcnt_vscnt null, 0x0
	s_barrier
	buffer_gl0_inv
	s_mov_b32 s5, exec_lo
	s_clause 0x3
	buffer_load_dword v1, v4, s[0:3], 0 offen
	buffer_load_dword v2, v4, s[0:3], 0 offen offset:4
	buffer_load_dword v3, v4, s[0:3], 0 offen offset:8
	;; [unrolled: 1-line block ×3, first 2 shown]
	s_waitcnt vmcnt(0)
	ds_write_b128 v59, v[1:4]
	s_waitcnt lgkmcnt(0)
	s_barrier
	buffer_gl0_inv
	v_cmpx_gt_u32_e32 2, v0
	s_cbranch_execz .LBB90_23
; %bb.20:
	s_clause 0x3
	buffer_load_dword v60, v66, s[0:3], 0 offen offset:8
	buffer_load_dword v61, v66, s[0:3], 0 offen offset:12
	buffer_load_dword v62, v66, s[0:3], 0 offen
	buffer_load_dword v63, v66, s[0:3], 0 offen offset:4
	ds_read_b128 v[1:4], v59
	s_waitcnt vmcnt(2) lgkmcnt(0)
	v_mul_f64 v[66:67], v[3:4], v[60:61]
	v_mul_f64 v[60:61], v[1:2], v[60:61]
	s_waitcnt vmcnt(0)
	v_fma_f64 v[1:2], v[1:2], v[62:63], -v[66:67]
	v_fma_f64 v[3:4], v[3:4], v[62:63], v[60:61]
	v_add_f64 v[1:2], v[1:2], 0
	v_add_f64 v[3:4], v[3:4], 0
	s_and_saveexec_b32 s40, s4
	s_cbranch_execz .LBB90_22
; %bb.21:
	s_clause 0x3
	buffer_load_dword v66, off, s[0:3], 0 offset:40
	buffer_load_dword v67, off, s[0:3], 0 offset:44
	;; [unrolled: 1-line block ×4, first 2 shown]
	v_mov_b32_e32 v60, 0
	ds_read_b128 v[60:63], v60 offset:448
	s_waitcnt vmcnt(2) lgkmcnt(0)
	v_mul_f64 v[70:71], v[60:61], v[66:67]
	v_mul_f64 v[66:67], v[62:63], v[66:67]
	s_waitcnt vmcnt(0)
	v_fma_f64 v[62:63], v[62:63], v[68:69], v[70:71]
	v_fma_f64 v[60:61], v[60:61], v[68:69], -v[66:67]
	v_add_f64 v[3:4], v[3:4], v[62:63]
	v_add_f64 v[1:2], v[1:2], v[60:61]
.LBB90_22:
	s_or_b32 exec_lo, exec_lo, s40
	v_mov_b32_e32 v60, 0
	ds_read_b128 v[60:63], v60 offset:32
	s_waitcnt lgkmcnt(0)
	v_mul_f64 v[66:67], v[3:4], v[62:63]
	v_mul_f64 v[62:63], v[1:2], v[62:63]
	v_fma_f64 v[1:2], v[1:2], v[60:61], -v[66:67]
	v_fma_f64 v[3:4], v[3:4], v[60:61], v[62:63]
	buffer_store_dword v2, off, s[0:3], 0 offset:52
	buffer_store_dword v1, off, s[0:3], 0 offset:48
	buffer_store_dword v4, off, s[0:3], 0 offset:60
	buffer_store_dword v3, off, s[0:3], 0 offset:56
.LBB90_23:
	s_or_b32 exec_lo, exec_lo, s5
	v_mov_b32_e32 v4, s36
	s_waitcnt_vscnt null, 0x0
	s_barrier
	buffer_gl0_inv
	v_add_nc_u32_e32 v60, -1, v0
	s_clause 0x3
	buffer_load_dword v1, v4, s[0:3], 0 offen
	buffer_load_dword v2, v4, s[0:3], 0 offen offset:4
	buffer_load_dword v3, v4, s[0:3], 0 offen offset:8
	;; [unrolled: 1-line block ×3, first 2 shown]
	s_mov_b32 s4, exec_lo
	s_waitcnt vmcnt(0)
	ds_write_b128 v59, v[1:4]
	s_waitcnt lgkmcnt(0)
	s_barrier
	buffer_gl0_inv
	v_cmpx_gt_u32_e32 3, v0
	s_cbranch_execz .LBB90_27
; %bb.24:
	v_mov_b32_e32 v1, 0
	v_mov_b32_e32 v3, 0
	v_add_nc_u32_e32 v61, -1, v0
	v_add_nc_u32_e32 v62, 0x1b0, v65
	v_mov_b32_e32 v2, 0
	v_mov_b32_e32 v4, 0
	v_add_nc_u32_e32 v63, 16, v65
	s_mov_b32 s5, 0
	.p2align	6
.LBB90_25:                              ; =>This Inner Loop Header: Depth=1
	s_clause 0x3
	buffer_load_dword v70, v63, s[0:3], 0 offen offset:8
	buffer_load_dword v71, v63, s[0:3], 0 offen offset:12
	buffer_load_dword v72, v63, s[0:3], 0 offen
	buffer_load_dword v73, v63, s[0:3], 0 offen offset:4
	ds_read_b128 v[66:69], v62
	v_add_nc_u32_e32 v61, 1, v61
	v_add_nc_u32_e32 v62, 16, v62
	v_add_nc_u32_e32 v63, 16, v63
	v_cmp_lt_u32_e32 vcc_lo, 1, v61
	s_or_b32 s5, vcc_lo, s5
	s_waitcnt vmcnt(2) lgkmcnt(0)
	v_mul_f64 v[74:75], v[68:69], v[70:71]
	v_mul_f64 v[70:71], v[66:67], v[70:71]
	s_waitcnt vmcnt(0)
	v_fma_f64 v[66:67], v[66:67], v[72:73], -v[74:75]
	v_fma_f64 v[68:69], v[68:69], v[72:73], v[70:71]
	v_add_f64 v[3:4], v[3:4], v[66:67]
	v_add_f64 v[1:2], v[1:2], v[68:69]
	s_andn2_b32 exec_lo, exec_lo, s5
	s_cbranch_execnz .LBB90_25
; %bb.26:
	s_or_b32 exec_lo, exec_lo, s5
	v_mov_b32_e32 v61, 0
	ds_read_b128 v[61:64], v61 offset:48
	s_waitcnt lgkmcnt(0)
	v_mul_f64 v[66:67], v[1:2], v[63:64]
	v_mul_f64 v[63:64], v[3:4], v[63:64]
	v_fma_f64 v[3:4], v[3:4], v[61:62], -v[66:67]
	v_fma_f64 v[1:2], v[1:2], v[61:62], v[63:64]
	buffer_store_dword v4, off, s[0:3], 0 offset:68
	buffer_store_dword v3, off, s[0:3], 0 offset:64
	buffer_store_dword v2, off, s[0:3], 0 offset:76
	buffer_store_dword v1, off, s[0:3], 0 offset:72
.LBB90_27:
	s_or_b32 exec_lo, exec_lo, s4
	v_mov_b32_e32 v4, s35
	s_waitcnt_vscnt null, 0x0
	s_barrier
	buffer_gl0_inv
	s_mov_b32 s4, exec_lo
	s_clause 0x3
	buffer_load_dword v1, v4, s[0:3], 0 offen
	buffer_load_dword v2, v4, s[0:3], 0 offen offset:4
	buffer_load_dword v3, v4, s[0:3], 0 offen offset:8
	buffer_load_dword v4, v4, s[0:3], 0 offen offset:12
	s_waitcnt vmcnt(0)
	ds_write_b128 v59, v[1:4]
	s_waitcnt lgkmcnt(0)
	s_barrier
	buffer_gl0_inv
	v_cmpx_gt_u32_e32 4, v0
	s_cbranch_execz .LBB90_31
; %bb.28:
	v_mov_b32_e32 v1, 0
	v_mov_b32_e32 v3, 0
	v_add_nc_u32_e32 v61, -1, v0
	v_add_nc_u32_e32 v62, 0x1b0, v65
	v_mov_b32_e32 v2, 0
	v_mov_b32_e32 v4, 0
	v_add_nc_u32_e32 v63, 16, v65
	s_mov_b32 s5, 0
	.p2align	6
.LBB90_29:                              ; =>This Inner Loop Header: Depth=1
	s_clause 0x3
	buffer_load_dword v70, v63, s[0:3], 0 offen offset:8
	buffer_load_dword v71, v63, s[0:3], 0 offen offset:12
	buffer_load_dword v72, v63, s[0:3], 0 offen
	buffer_load_dword v73, v63, s[0:3], 0 offen offset:4
	ds_read_b128 v[66:69], v62
	v_add_nc_u32_e32 v61, 1, v61
	v_add_nc_u32_e32 v62, 16, v62
	;; [unrolled: 1-line block ×3, first 2 shown]
	v_cmp_lt_u32_e32 vcc_lo, 2, v61
	s_or_b32 s5, vcc_lo, s5
	s_waitcnt vmcnt(2) lgkmcnt(0)
	v_mul_f64 v[74:75], v[68:69], v[70:71]
	v_mul_f64 v[70:71], v[66:67], v[70:71]
	s_waitcnt vmcnt(0)
	v_fma_f64 v[66:67], v[66:67], v[72:73], -v[74:75]
	v_fma_f64 v[68:69], v[68:69], v[72:73], v[70:71]
	v_add_f64 v[3:4], v[3:4], v[66:67]
	v_add_f64 v[1:2], v[1:2], v[68:69]
	s_andn2_b32 exec_lo, exec_lo, s5
	s_cbranch_execnz .LBB90_29
; %bb.30:
	s_or_b32 exec_lo, exec_lo, s5
	v_mov_b32_e32 v61, 0
	ds_read_b128 v[61:64], v61 offset:64
	s_waitcnt lgkmcnt(0)
	v_mul_f64 v[66:67], v[1:2], v[63:64]
	v_mul_f64 v[63:64], v[3:4], v[63:64]
	v_fma_f64 v[3:4], v[3:4], v[61:62], -v[66:67]
	v_fma_f64 v[1:2], v[1:2], v[61:62], v[63:64]
	buffer_store_dword v4, off, s[0:3], 0 offset:84
	buffer_store_dword v3, off, s[0:3], 0 offset:80
	;; [unrolled: 1-line block ×4, first 2 shown]
.LBB90_31:
	s_or_b32 exec_lo, exec_lo, s4
	v_mov_b32_e32 v4, s34
	s_waitcnt_vscnt null, 0x0
	s_barrier
	buffer_gl0_inv
	s_mov_b32 s4, exec_lo
	s_clause 0x3
	buffer_load_dword v1, v4, s[0:3], 0 offen
	buffer_load_dword v2, v4, s[0:3], 0 offen offset:4
	buffer_load_dword v3, v4, s[0:3], 0 offen offset:8
	;; [unrolled: 1-line block ×3, first 2 shown]
	s_waitcnt vmcnt(0)
	ds_write_b128 v59, v[1:4]
	s_waitcnt lgkmcnt(0)
	s_barrier
	buffer_gl0_inv
	v_cmpx_gt_u32_e32 5, v0
	s_cbranch_execz .LBB90_35
; %bb.32:
	v_mov_b32_e32 v1, 0
	v_mov_b32_e32 v3, 0
	v_add_nc_u32_e32 v61, -1, v0
	v_add_nc_u32_e32 v62, 0x1b0, v65
	v_mov_b32_e32 v2, 0
	v_mov_b32_e32 v4, 0
	v_add_nc_u32_e32 v63, 16, v65
	s_mov_b32 s5, 0
	.p2align	6
.LBB90_33:                              ; =>This Inner Loop Header: Depth=1
	s_clause 0x3
	buffer_load_dword v70, v63, s[0:3], 0 offen offset:8
	buffer_load_dword v71, v63, s[0:3], 0 offen offset:12
	buffer_load_dword v72, v63, s[0:3], 0 offen
	buffer_load_dword v73, v63, s[0:3], 0 offen offset:4
	ds_read_b128 v[66:69], v62
	v_add_nc_u32_e32 v61, 1, v61
	v_add_nc_u32_e32 v62, 16, v62
	;; [unrolled: 1-line block ×3, first 2 shown]
	v_cmp_lt_u32_e32 vcc_lo, 3, v61
	s_or_b32 s5, vcc_lo, s5
	s_waitcnt vmcnt(2) lgkmcnt(0)
	v_mul_f64 v[74:75], v[68:69], v[70:71]
	v_mul_f64 v[70:71], v[66:67], v[70:71]
	s_waitcnt vmcnt(0)
	v_fma_f64 v[66:67], v[66:67], v[72:73], -v[74:75]
	v_fma_f64 v[68:69], v[68:69], v[72:73], v[70:71]
	v_add_f64 v[3:4], v[3:4], v[66:67]
	v_add_f64 v[1:2], v[1:2], v[68:69]
	s_andn2_b32 exec_lo, exec_lo, s5
	s_cbranch_execnz .LBB90_33
; %bb.34:
	s_or_b32 exec_lo, exec_lo, s5
	v_mov_b32_e32 v61, 0
	ds_read_b128 v[61:64], v61 offset:80
	s_waitcnt lgkmcnt(0)
	v_mul_f64 v[66:67], v[1:2], v[63:64]
	v_mul_f64 v[63:64], v[3:4], v[63:64]
	v_fma_f64 v[3:4], v[3:4], v[61:62], -v[66:67]
	v_fma_f64 v[1:2], v[1:2], v[61:62], v[63:64]
	buffer_store_dword v4, off, s[0:3], 0 offset:100
	buffer_store_dword v3, off, s[0:3], 0 offset:96
	;; [unrolled: 1-line block ×4, first 2 shown]
.LBB90_35:
	s_or_b32 exec_lo, exec_lo, s4
	v_mov_b32_e32 v4, s33
	s_waitcnt_vscnt null, 0x0
	s_barrier
	buffer_gl0_inv
	s_mov_b32 s4, exec_lo
	s_clause 0x3
	buffer_load_dword v1, v4, s[0:3], 0 offen
	buffer_load_dword v2, v4, s[0:3], 0 offen offset:4
	buffer_load_dword v3, v4, s[0:3], 0 offen offset:8
	;; [unrolled: 1-line block ×3, first 2 shown]
	s_waitcnt vmcnt(0)
	ds_write_b128 v59, v[1:4]
	s_waitcnt lgkmcnt(0)
	s_barrier
	buffer_gl0_inv
	v_cmpx_gt_u32_e32 6, v0
	s_cbranch_execz .LBB90_39
; %bb.36:
	v_mov_b32_e32 v1, 0
	v_mov_b32_e32 v3, 0
	v_add_nc_u32_e32 v61, -1, v0
	v_add_nc_u32_e32 v62, 0x1b0, v65
	v_mov_b32_e32 v2, 0
	v_mov_b32_e32 v4, 0
	v_add_nc_u32_e32 v63, 16, v65
	s_mov_b32 s5, 0
	.p2align	6
.LBB90_37:                              ; =>This Inner Loop Header: Depth=1
	s_clause 0x3
	buffer_load_dword v70, v63, s[0:3], 0 offen offset:8
	buffer_load_dword v71, v63, s[0:3], 0 offen offset:12
	buffer_load_dword v72, v63, s[0:3], 0 offen
	buffer_load_dword v73, v63, s[0:3], 0 offen offset:4
	ds_read_b128 v[66:69], v62
	v_add_nc_u32_e32 v61, 1, v61
	v_add_nc_u32_e32 v62, 16, v62
	;; [unrolled: 1-line block ×3, first 2 shown]
	v_cmp_lt_u32_e32 vcc_lo, 4, v61
	s_or_b32 s5, vcc_lo, s5
	s_waitcnt vmcnt(2) lgkmcnt(0)
	v_mul_f64 v[74:75], v[68:69], v[70:71]
	v_mul_f64 v[70:71], v[66:67], v[70:71]
	s_waitcnt vmcnt(0)
	v_fma_f64 v[66:67], v[66:67], v[72:73], -v[74:75]
	v_fma_f64 v[68:69], v[68:69], v[72:73], v[70:71]
	v_add_f64 v[3:4], v[3:4], v[66:67]
	v_add_f64 v[1:2], v[1:2], v[68:69]
	s_andn2_b32 exec_lo, exec_lo, s5
	s_cbranch_execnz .LBB90_37
; %bb.38:
	s_or_b32 exec_lo, exec_lo, s5
	v_mov_b32_e32 v61, 0
	ds_read_b128 v[61:64], v61 offset:96
	s_waitcnt lgkmcnt(0)
	v_mul_f64 v[66:67], v[1:2], v[63:64]
	v_mul_f64 v[63:64], v[3:4], v[63:64]
	v_fma_f64 v[3:4], v[3:4], v[61:62], -v[66:67]
	v_fma_f64 v[1:2], v[1:2], v[61:62], v[63:64]
	buffer_store_dword v4, off, s[0:3], 0 offset:116
	buffer_store_dword v3, off, s[0:3], 0 offset:112
	;; [unrolled: 1-line block ×4, first 2 shown]
.LBB90_39:
	s_or_b32 exec_lo, exec_lo, s4
	v_mov_b32_e32 v4, s31
	s_waitcnt_vscnt null, 0x0
	s_barrier
	buffer_gl0_inv
	s_mov_b32 s4, exec_lo
	s_clause 0x3
	buffer_load_dword v1, v4, s[0:3], 0 offen
	buffer_load_dword v2, v4, s[0:3], 0 offen offset:4
	buffer_load_dword v3, v4, s[0:3], 0 offen offset:8
	;; [unrolled: 1-line block ×3, first 2 shown]
	s_waitcnt vmcnt(0)
	ds_write_b128 v59, v[1:4]
	s_waitcnt lgkmcnt(0)
	s_barrier
	buffer_gl0_inv
	v_cmpx_gt_u32_e32 7, v0
	s_cbranch_execz .LBB90_43
; %bb.40:
	v_mov_b32_e32 v1, 0
	v_mov_b32_e32 v3, 0
	v_add_nc_u32_e32 v61, -1, v0
	v_add_nc_u32_e32 v62, 0x1b0, v65
	v_mov_b32_e32 v2, 0
	v_mov_b32_e32 v4, 0
	v_add_nc_u32_e32 v63, 16, v65
	s_mov_b32 s5, 0
	.p2align	6
.LBB90_41:                              ; =>This Inner Loop Header: Depth=1
	s_clause 0x3
	buffer_load_dword v70, v63, s[0:3], 0 offen offset:8
	buffer_load_dword v71, v63, s[0:3], 0 offen offset:12
	buffer_load_dword v72, v63, s[0:3], 0 offen
	buffer_load_dword v73, v63, s[0:3], 0 offen offset:4
	ds_read_b128 v[66:69], v62
	v_add_nc_u32_e32 v61, 1, v61
	v_add_nc_u32_e32 v62, 16, v62
	;; [unrolled: 1-line block ×3, first 2 shown]
	v_cmp_lt_u32_e32 vcc_lo, 5, v61
	s_or_b32 s5, vcc_lo, s5
	s_waitcnt vmcnt(2) lgkmcnt(0)
	v_mul_f64 v[74:75], v[68:69], v[70:71]
	v_mul_f64 v[70:71], v[66:67], v[70:71]
	s_waitcnt vmcnt(0)
	v_fma_f64 v[66:67], v[66:67], v[72:73], -v[74:75]
	v_fma_f64 v[68:69], v[68:69], v[72:73], v[70:71]
	v_add_f64 v[3:4], v[3:4], v[66:67]
	v_add_f64 v[1:2], v[1:2], v[68:69]
	s_andn2_b32 exec_lo, exec_lo, s5
	s_cbranch_execnz .LBB90_41
; %bb.42:
	s_or_b32 exec_lo, exec_lo, s5
	v_mov_b32_e32 v61, 0
	ds_read_b128 v[61:64], v61 offset:112
	s_waitcnt lgkmcnt(0)
	v_mul_f64 v[66:67], v[1:2], v[63:64]
	v_mul_f64 v[63:64], v[3:4], v[63:64]
	v_fma_f64 v[3:4], v[3:4], v[61:62], -v[66:67]
	v_fma_f64 v[1:2], v[1:2], v[61:62], v[63:64]
	buffer_store_dword v4, off, s[0:3], 0 offset:132
	buffer_store_dword v3, off, s[0:3], 0 offset:128
	;; [unrolled: 1-line block ×4, first 2 shown]
.LBB90_43:
	s_or_b32 exec_lo, exec_lo, s4
	v_mov_b32_e32 v4, s30
	s_waitcnt_vscnt null, 0x0
	s_barrier
	buffer_gl0_inv
	s_mov_b32 s4, exec_lo
	s_clause 0x3
	buffer_load_dword v1, v4, s[0:3], 0 offen
	buffer_load_dword v2, v4, s[0:3], 0 offen offset:4
	buffer_load_dword v3, v4, s[0:3], 0 offen offset:8
	;; [unrolled: 1-line block ×3, first 2 shown]
	s_waitcnt vmcnt(0)
	ds_write_b128 v59, v[1:4]
	s_waitcnt lgkmcnt(0)
	s_barrier
	buffer_gl0_inv
	v_cmpx_gt_u32_e32 8, v0
	s_cbranch_execz .LBB90_47
; %bb.44:
	v_mov_b32_e32 v1, 0
	v_mov_b32_e32 v3, 0
	v_add_nc_u32_e32 v61, -1, v0
	v_add_nc_u32_e32 v62, 0x1b0, v65
	v_mov_b32_e32 v2, 0
	v_mov_b32_e32 v4, 0
	v_add_nc_u32_e32 v63, 16, v65
	s_mov_b32 s5, 0
	.p2align	6
.LBB90_45:                              ; =>This Inner Loop Header: Depth=1
	s_clause 0x3
	buffer_load_dword v70, v63, s[0:3], 0 offen offset:8
	buffer_load_dword v71, v63, s[0:3], 0 offen offset:12
	buffer_load_dword v72, v63, s[0:3], 0 offen
	buffer_load_dword v73, v63, s[0:3], 0 offen offset:4
	ds_read_b128 v[66:69], v62
	v_add_nc_u32_e32 v61, 1, v61
	v_add_nc_u32_e32 v62, 16, v62
	;; [unrolled: 1-line block ×3, first 2 shown]
	v_cmp_lt_u32_e32 vcc_lo, 6, v61
	s_or_b32 s5, vcc_lo, s5
	s_waitcnt vmcnt(2) lgkmcnt(0)
	v_mul_f64 v[74:75], v[68:69], v[70:71]
	v_mul_f64 v[70:71], v[66:67], v[70:71]
	s_waitcnt vmcnt(0)
	v_fma_f64 v[66:67], v[66:67], v[72:73], -v[74:75]
	v_fma_f64 v[68:69], v[68:69], v[72:73], v[70:71]
	v_add_f64 v[3:4], v[3:4], v[66:67]
	v_add_f64 v[1:2], v[1:2], v[68:69]
	s_andn2_b32 exec_lo, exec_lo, s5
	s_cbranch_execnz .LBB90_45
; %bb.46:
	s_or_b32 exec_lo, exec_lo, s5
	v_mov_b32_e32 v61, 0
	ds_read_b128 v[61:64], v61 offset:128
	s_waitcnt lgkmcnt(0)
	v_mul_f64 v[66:67], v[1:2], v[63:64]
	v_mul_f64 v[63:64], v[3:4], v[63:64]
	v_fma_f64 v[3:4], v[3:4], v[61:62], -v[66:67]
	v_fma_f64 v[1:2], v[1:2], v[61:62], v[63:64]
	buffer_store_dword v4, off, s[0:3], 0 offset:148
	buffer_store_dword v3, off, s[0:3], 0 offset:144
	;; [unrolled: 1-line block ×4, first 2 shown]
.LBB90_47:
	s_or_b32 exec_lo, exec_lo, s4
	v_mov_b32_e32 v4, s29
	s_waitcnt_vscnt null, 0x0
	s_barrier
	buffer_gl0_inv
	s_mov_b32 s4, exec_lo
	s_clause 0x3
	buffer_load_dword v1, v4, s[0:3], 0 offen
	buffer_load_dword v2, v4, s[0:3], 0 offen offset:4
	buffer_load_dword v3, v4, s[0:3], 0 offen offset:8
	;; [unrolled: 1-line block ×3, first 2 shown]
	s_waitcnt vmcnt(0)
	ds_write_b128 v59, v[1:4]
	s_waitcnt lgkmcnt(0)
	s_barrier
	buffer_gl0_inv
	v_cmpx_gt_u32_e32 9, v0
	s_cbranch_execz .LBB90_51
; %bb.48:
	v_mov_b32_e32 v1, 0
	v_mov_b32_e32 v3, 0
	v_add_nc_u32_e32 v61, -1, v0
	v_add_nc_u32_e32 v62, 0x1b0, v65
	v_mov_b32_e32 v2, 0
	v_mov_b32_e32 v4, 0
	v_add_nc_u32_e32 v63, 16, v65
	s_mov_b32 s5, 0
	.p2align	6
.LBB90_49:                              ; =>This Inner Loop Header: Depth=1
	s_clause 0x3
	buffer_load_dword v70, v63, s[0:3], 0 offen offset:8
	buffer_load_dword v71, v63, s[0:3], 0 offen offset:12
	buffer_load_dword v72, v63, s[0:3], 0 offen
	buffer_load_dword v73, v63, s[0:3], 0 offen offset:4
	ds_read_b128 v[66:69], v62
	v_add_nc_u32_e32 v61, 1, v61
	v_add_nc_u32_e32 v62, 16, v62
	;; [unrolled: 1-line block ×3, first 2 shown]
	v_cmp_lt_u32_e32 vcc_lo, 7, v61
	s_or_b32 s5, vcc_lo, s5
	s_waitcnt vmcnt(2) lgkmcnt(0)
	v_mul_f64 v[74:75], v[68:69], v[70:71]
	v_mul_f64 v[70:71], v[66:67], v[70:71]
	s_waitcnt vmcnt(0)
	v_fma_f64 v[66:67], v[66:67], v[72:73], -v[74:75]
	v_fma_f64 v[68:69], v[68:69], v[72:73], v[70:71]
	v_add_f64 v[3:4], v[3:4], v[66:67]
	v_add_f64 v[1:2], v[1:2], v[68:69]
	s_andn2_b32 exec_lo, exec_lo, s5
	s_cbranch_execnz .LBB90_49
; %bb.50:
	s_or_b32 exec_lo, exec_lo, s5
	v_mov_b32_e32 v61, 0
	ds_read_b128 v[61:64], v61 offset:144
	s_waitcnt lgkmcnt(0)
	v_mul_f64 v[66:67], v[1:2], v[63:64]
	v_mul_f64 v[63:64], v[3:4], v[63:64]
	v_fma_f64 v[3:4], v[3:4], v[61:62], -v[66:67]
	v_fma_f64 v[1:2], v[1:2], v[61:62], v[63:64]
	buffer_store_dword v4, off, s[0:3], 0 offset:164
	buffer_store_dword v3, off, s[0:3], 0 offset:160
	;; [unrolled: 1-line block ×4, first 2 shown]
.LBB90_51:
	s_or_b32 exec_lo, exec_lo, s4
	v_mov_b32_e32 v4, s28
	s_waitcnt_vscnt null, 0x0
	s_barrier
	buffer_gl0_inv
	s_mov_b32 s4, exec_lo
	s_clause 0x3
	buffer_load_dword v1, v4, s[0:3], 0 offen
	buffer_load_dword v2, v4, s[0:3], 0 offen offset:4
	buffer_load_dword v3, v4, s[0:3], 0 offen offset:8
	;; [unrolled: 1-line block ×3, first 2 shown]
	s_waitcnt vmcnt(0)
	ds_write_b128 v59, v[1:4]
	s_waitcnt lgkmcnt(0)
	s_barrier
	buffer_gl0_inv
	v_cmpx_gt_u32_e32 10, v0
	s_cbranch_execz .LBB90_55
; %bb.52:
	v_mov_b32_e32 v1, 0
	v_mov_b32_e32 v3, 0
	v_add_nc_u32_e32 v61, -1, v0
	v_add_nc_u32_e32 v62, 0x1b0, v65
	v_mov_b32_e32 v2, 0
	v_mov_b32_e32 v4, 0
	v_add_nc_u32_e32 v63, 16, v65
	s_mov_b32 s5, 0
	.p2align	6
.LBB90_53:                              ; =>This Inner Loop Header: Depth=1
	s_clause 0x3
	buffer_load_dword v70, v63, s[0:3], 0 offen offset:8
	buffer_load_dword v71, v63, s[0:3], 0 offen offset:12
	buffer_load_dword v72, v63, s[0:3], 0 offen
	buffer_load_dword v73, v63, s[0:3], 0 offen offset:4
	ds_read_b128 v[66:69], v62
	v_add_nc_u32_e32 v61, 1, v61
	v_add_nc_u32_e32 v62, 16, v62
	;; [unrolled: 1-line block ×3, first 2 shown]
	v_cmp_lt_u32_e32 vcc_lo, 8, v61
	s_or_b32 s5, vcc_lo, s5
	s_waitcnt vmcnt(2) lgkmcnt(0)
	v_mul_f64 v[74:75], v[68:69], v[70:71]
	v_mul_f64 v[70:71], v[66:67], v[70:71]
	s_waitcnt vmcnt(0)
	v_fma_f64 v[66:67], v[66:67], v[72:73], -v[74:75]
	v_fma_f64 v[68:69], v[68:69], v[72:73], v[70:71]
	v_add_f64 v[3:4], v[3:4], v[66:67]
	v_add_f64 v[1:2], v[1:2], v[68:69]
	s_andn2_b32 exec_lo, exec_lo, s5
	s_cbranch_execnz .LBB90_53
; %bb.54:
	s_or_b32 exec_lo, exec_lo, s5
	v_mov_b32_e32 v61, 0
	ds_read_b128 v[61:64], v61 offset:160
	s_waitcnt lgkmcnt(0)
	v_mul_f64 v[66:67], v[1:2], v[63:64]
	v_mul_f64 v[63:64], v[3:4], v[63:64]
	v_fma_f64 v[3:4], v[3:4], v[61:62], -v[66:67]
	v_fma_f64 v[1:2], v[1:2], v[61:62], v[63:64]
	buffer_store_dword v4, off, s[0:3], 0 offset:180
	buffer_store_dword v3, off, s[0:3], 0 offset:176
	;; [unrolled: 1-line block ×4, first 2 shown]
.LBB90_55:
	s_or_b32 exec_lo, exec_lo, s4
	v_mov_b32_e32 v4, s27
	s_waitcnt_vscnt null, 0x0
	s_barrier
	buffer_gl0_inv
	s_mov_b32 s4, exec_lo
	s_clause 0x3
	buffer_load_dword v1, v4, s[0:3], 0 offen
	buffer_load_dword v2, v4, s[0:3], 0 offen offset:4
	buffer_load_dword v3, v4, s[0:3], 0 offen offset:8
	;; [unrolled: 1-line block ×3, first 2 shown]
	s_waitcnt vmcnt(0)
	ds_write_b128 v59, v[1:4]
	s_waitcnt lgkmcnt(0)
	s_barrier
	buffer_gl0_inv
	v_cmpx_gt_u32_e32 11, v0
	s_cbranch_execz .LBB90_59
; %bb.56:
	v_mov_b32_e32 v1, 0
	v_mov_b32_e32 v3, 0
	v_add_nc_u32_e32 v61, -1, v0
	v_add_nc_u32_e32 v62, 0x1b0, v65
	v_mov_b32_e32 v2, 0
	v_mov_b32_e32 v4, 0
	v_add_nc_u32_e32 v63, 16, v65
	s_mov_b32 s5, 0
	.p2align	6
.LBB90_57:                              ; =>This Inner Loop Header: Depth=1
	s_clause 0x3
	buffer_load_dword v70, v63, s[0:3], 0 offen offset:8
	buffer_load_dword v71, v63, s[0:3], 0 offen offset:12
	buffer_load_dword v72, v63, s[0:3], 0 offen
	buffer_load_dword v73, v63, s[0:3], 0 offen offset:4
	ds_read_b128 v[66:69], v62
	v_add_nc_u32_e32 v61, 1, v61
	v_add_nc_u32_e32 v62, 16, v62
	;; [unrolled: 1-line block ×3, first 2 shown]
	v_cmp_lt_u32_e32 vcc_lo, 9, v61
	s_or_b32 s5, vcc_lo, s5
	s_waitcnt vmcnt(2) lgkmcnt(0)
	v_mul_f64 v[74:75], v[68:69], v[70:71]
	v_mul_f64 v[70:71], v[66:67], v[70:71]
	s_waitcnt vmcnt(0)
	v_fma_f64 v[66:67], v[66:67], v[72:73], -v[74:75]
	v_fma_f64 v[68:69], v[68:69], v[72:73], v[70:71]
	v_add_f64 v[3:4], v[3:4], v[66:67]
	v_add_f64 v[1:2], v[1:2], v[68:69]
	s_andn2_b32 exec_lo, exec_lo, s5
	s_cbranch_execnz .LBB90_57
; %bb.58:
	s_or_b32 exec_lo, exec_lo, s5
	v_mov_b32_e32 v61, 0
	ds_read_b128 v[61:64], v61 offset:176
	s_waitcnt lgkmcnt(0)
	v_mul_f64 v[66:67], v[1:2], v[63:64]
	v_mul_f64 v[63:64], v[3:4], v[63:64]
	v_fma_f64 v[3:4], v[3:4], v[61:62], -v[66:67]
	v_fma_f64 v[1:2], v[1:2], v[61:62], v[63:64]
	buffer_store_dword v4, off, s[0:3], 0 offset:196
	buffer_store_dword v3, off, s[0:3], 0 offset:192
	;; [unrolled: 1-line block ×4, first 2 shown]
.LBB90_59:
	s_or_b32 exec_lo, exec_lo, s4
	v_mov_b32_e32 v4, s26
	s_waitcnt_vscnt null, 0x0
	s_barrier
	buffer_gl0_inv
	s_mov_b32 s4, exec_lo
	s_clause 0x3
	buffer_load_dword v1, v4, s[0:3], 0 offen
	buffer_load_dword v2, v4, s[0:3], 0 offen offset:4
	buffer_load_dword v3, v4, s[0:3], 0 offen offset:8
	buffer_load_dword v4, v4, s[0:3], 0 offen offset:12
	s_waitcnt vmcnt(0)
	ds_write_b128 v59, v[1:4]
	s_waitcnt lgkmcnt(0)
	s_barrier
	buffer_gl0_inv
	v_cmpx_gt_u32_e32 12, v0
	s_cbranch_execz .LBB90_63
; %bb.60:
	v_mov_b32_e32 v1, 0
	v_mov_b32_e32 v3, 0
	v_add_nc_u32_e32 v61, -1, v0
	v_add_nc_u32_e32 v62, 0x1b0, v65
	v_mov_b32_e32 v2, 0
	v_mov_b32_e32 v4, 0
	v_add_nc_u32_e32 v63, 16, v65
	s_mov_b32 s5, 0
	.p2align	6
.LBB90_61:                              ; =>This Inner Loop Header: Depth=1
	s_clause 0x3
	buffer_load_dword v70, v63, s[0:3], 0 offen offset:8
	buffer_load_dword v71, v63, s[0:3], 0 offen offset:12
	buffer_load_dword v72, v63, s[0:3], 0 offen
	buffer_load_dword v73, v63, s[0:3], 0 offen offset:4
	ds_read_b128 v[66:69], v62
	v_add_nc_u32_e32 v61, 1, v61
	v_add_nc_u32_e32 v62, 16, v62
	;; [unrolled: 1-line block ×3, first 2 shown]
	v_cmp_lt_u32_e32 vcc_lo, 10, v61
	s_or_b32 s5, vcc_lo, s5
	s_waitcnt vmcnt(2) lgkmcnt(0)
	v_mul_f64 v[74:75], v[68:69], v[70:71]
	v_mul_f64 v[70:71], v[66:67], v[70:71]
	s_waitcnt vmcnt(0)
	v_fma_f64 v[66:67], v[66:67], v[72:73], -v[74:75]
	v_fma_f64 v[68:69], v[68:69], v[72:73], v[70:71]
	v_add_f64 v[3:4], v[3:4], v[66:67]
	v_add_f64 v[1:2], v[1:2], v[68:69]
	s_andn2_b32 exec_lo, exec_lo, s5
	s_cbranch_execnz .LBB90_61
; %bb.62:
	s_or_b32 exec_lo, exec_lo, s5
	v_mov_b32_e32 v61, 0
	ds_read_b128 v[61:64], v61 offset:192
	s_waitcnt lgkmcnt(0)
	v_mul_f64 v[66:67], v[1:2], v[63:64]
	v_mul_f64 v[63:64], v[3:4], v[63:64]
	v_fma_f64 v[3:4], v[3:4], v[61:62], -v[66:67]
	v_fma_f64 v[1:2], v[1:2], v[61:62], v[63:64]
	buffer_store_dword v4, off, s[0:3], 0 offset:212
	buffer_store_dword v3, off, s[0:3], 0 offset:208
	;; [unrolled: 1-line block ×4, first 2 shown]
.LBB90_63:
	s_or_b32 exec_lo, exec_lo, s4
	v_mov_b32_e32 v4, s25
	s_waitcnt_vscnt null, 0x0
	s_barrier
	buffer_gl0_inv
	s_mov_b32 s4, exec_lo
	s_clause 0x3
	buffer_load_dword v1, v4, s[0:3], 0 offen
	buffer_load_dword v2, v4, s[0:3], 0 offen offset:4
	buffer_load_dword v3, v4, s[0:3], 0 offen offset:8
	;; [unrolled: 1-line block ×3, first 2 shown]
	s_waitcnt vmcnt(0)
	ds_write_b128 v59, v[1:4]
	s_waitcnt lgkmcnt(0)
	s_barrier
	buffer_gl0_inv
	v_cmpx_gt_u32_e32 13, v0
	s_cbranch_execz .LBB90_67
; %bb.64:
	v_mov_b32_e32 v1, 0
	v_mov_b32_e32 v3, 0
	v_add_nc_u32_e32 v61, -1, v0
	v_add_nc_u32_e32 v62, 0x1b0, v65
	v_mov_b32_e32 v2, 0
	v_mov_b32_e32 v4, 0
	v_add_nc_u32_e32 v63, 16, v65
	s_mov_b32 s5, 0
	.p2align	6
.LBB90_65:                              ; =>This Inner Loop Header: Depth=1
	s_clause 0x3
	buffer_load_dword v70, v63, s[0:3], 0 offen offset:8
	buffer_load_dword v71, v63, s[0:3], 0 offen offset:12
	buffer_load_dword v72, v63, s[0:3], 0 offen
	buffer_load_dword v73, v63, s[0:3], 0 offen offset:4
	ds_read_b128 v[66:69], v62
	v_add_nc_u32_e32 v61, 1, v61
	v_add_nc_u32_e32 v62, 16, v62
	;; [unrolled: 1-line block ×3, first 2 shown]
	v_cmp_lt_u32_e32 vcc_lo, 11, v61
	s_or_b32 s5, vcc_lo, s5
	s_waitcnt vmcnt(2) lgkmcnt(0)
	v_mul_f64 v[74:75], v[68:69], v[70:71]
	v_mul_f64 v[70:71], v[66:67], v[70:71]
	s_waitcnt vmcnt(0)
	v_fma_f64 v[66:67], v[66:67], v[72:73], -v[74:75]
	v_fma_f64 v[68:69], v[68:69], v[72:73], v[70:71]
	v_add_f64 v[3:4], v[3:4], v[66:67]
	v_add_f64 v[1:2], v[1:2], v[68:69]
	s_andn2_b32 exec_lo, exec_lo, s5
	s_cbranch_execnz .LBB90_65
; %bb.66:
	s_or_b32 exec_lo, exec_lo, s5
	v_mov_b32_e32 v61, 0
	ds_read_b128 v[61:64], v61 offset:208
	s_waitcnt lgkmcnt(0)
	v_mul_f64 v[66:67], v[1:2], v[63:64]
	v_mul_f64 v[63:64], v[3:4], v[63:64]
	v_fma_f64 v[3:4], v[3:4], v[61:62], -v[66:67]
	v_fma_f64 v[1:2], v[1:2], v[61:62], v[63:64]
	buffer_store_dword v4, off, s[0:3], 0 offset:228
	buffer_store_dword v3, off, s[0:3], 0 offset:224
	;; [unrolled: 1-line block ×4, first 2 shown]
.LBB90_67:
	s_or_b32 exec_lo, exec_lo, s4
	v_mov_b32_e32 v4, s24
	s_waitcnt_vscnt null, 0x0
	s_barrier
	buffer_gl0_inv
	s_mov_b32 s4, exec_lo
	s_clause 0x3
	buffer_load_dword v1, v4, s[0:3], 0 offen
	buffer_load_dword v2, v4, s[0:3], 0 offen offset:4
	buffer_load_dword v3, v4, s[0:3], 0 offen offset:8
	;; [unrolled: 1-line block ×3, first 2 shown]
	s_waitcnt vmcnt(0)
	ds_write_b128 v59, v[1:4]
	s_waitcnt lgkmcnt(0)
	s_barrier
	buffer_gl0_inv
	v_cmpx_gt_u32_e32 14, v0
	s_cbranch_execz .LBB90_71
; %bb.68:
	v_mov_b32_e32 v1, 0
	v_mov_b32_e32 v3, 0
	v_add_nc_u32_e32 v61, -1, v0
	v_add_nc_u32_e32 v62, 0x1b0, v65
	v_mov_b32_e32 v2, 0
	v_mov_b32_e32 v4, 0
	v_add_nc_u32_e32 v63, 16, v65
	s_mov_b32 s5, 0
	.p2align	6
.LBB90_69:                              ; =>This Inner Loop Header: Depth=1
	s_clause 0x3
	buffer_load_dword v70, v63, s[0:3], 0 offen offset:8
	buffer_load_dword v71, v63, s[0:3], 0 offen offset:12
	buffer_load_dword v72, v63, s[0:3], 0 offen
	buffer_load_dword v73, v63, s[0:3], 0 offen offset:4
	ds_read_b128 v[66:69], v62
	v_add_nc_u32_e32 v61, 1, v61
	v_add_nc_u32_e32 v62, 16, v62
	v_add_nc_u32_e32 v63, 16, v63
	v_cmp_lt_u32_e32 vcc_lo, 12, v61
	s_or_b32 s5, vcc_lo, s5
	s_waitcnt vmcnt(2) lgkmcnt(0)
	v_mul_f64 v[74:75], v[68:69], v[70:71]
	v_mul_f64 v[70:71], v[66:67], v[70:71]
	s_waitcnt vmcnt(0)
	v_fma_f64 v[66:67], v[66:67], v[72:73], -v[74:75]
	v_fma_f64 v[68:69], v[68:69], v[72:73], v[70:71]
	v_add_f64 v[3:4], v[3:4], v[66:67]
	v_add_f64 v[1:2], v[1:2], v[68:69]
	s_andn2_b32 exec_lo, exec_lo, s5
	s_cbranch_execnz .LBB90_69
; %bb.70:
	s_or_b32 exec_lo, exec_lo, s5
	v_mov_b32_e32 v61, 0
	ds_read_b128 v[61:64], v61 offset:224
	s_waitcnt lgkmcnt(0)
	v_mul_f64 v[66:67], v[1:2], v[63:64]
	v_mul_f64 v[63:64], v[3:4], v[63:64]
	v_fma_f64 v[3:4], v[3:4], v[61:62], -v[66:67]
	v_fma_f64 v[1:2], v[1:2], v[61:62], v[63:64]
	buffer_store_dword v4, off, s[0:3], 0 offset:244
	buffer_store_dword v3, off, s[0:3], 0 offset:240
	;; [unrolled: 1-line block ×4, first 2 shown]
.LBB90_71:
	s_or_b32 exec_lo, exec_lo, s4
	v_mov_b32_e32 v4, s23
	s_waitcnt_vscnt null, 0x0
	s_barrier
	buffer_gl0_inv
	s_mov_b32 s4, exec_lo
	s_clause 0x3
	buffer_load_dword v1, v4, s[0:3], 0 offen
	buffer_load_dword v2, v4, s[0:3], 0 offen offset:4
	buffer_load_dword v3, v4, s[0:3], 0 offen offset:8
	;; [unrolled: 1-line block ×3, first 2 shown]
	s_waitcnt vmcnt(0)
	ds_write_b128 v59, v[1:4]
	s_waitcnt lgkmcnt(0)
	s_barrier
	buffer_gl0_inv
	v_cmpx_gt_u32_e32 15, v0
	s_cbranch_execz .LBB90_75
; %bb.72:
	v_mov_b32_e32 v1, 0
	v_mov_b32_e32 v3, 0
	v_add_nc_u32_e32 v61, -1, v0
	v_add_nc_u32_e32 v62, 0x1b0, v65
	v_mov_b32_e32 v2, 0
	v_mov_b32_e32 v4, 0
	v_add_nc_u32_e32 v63, 16, v65
	s_mov_b32 s5, 0
	.p2align	6
.LBB90_73:                              ; =>This Inner Loop Header: Depth=1
	s_clause 0x3
	buffer_load_dword v70, v63, s[0:3], 0 offen offset:8
	buffer_load_dword v71, v63, s[0:3], 0 offen offset:12
	buffer_load_dword v72, v63, s[0:3], 0 offen
	buffer_load_dword v73, v63, s[0:3], 0 offen offset:4
	ds_read_b128 v[66:69], v62
	v_add_nc_u32_e32 v61, 1, v61
	v_add_nc_u32_e32 v62, 16, v62
	;; [unrolled: 1-line block ×3, first 2 shown]
	v_cmp_lt_u32_e32 vcc_lo, 13, v61
	s_or_b32 s5, vcc_lo, s5
	s_waitcnt vmcnt(2) lgkmcnt(0)
	v_mul_f64 v[74:75], v[68:69], v[70:71]
	v_mul_f64 v[70:71], v[66:67], v[70:71]
	s_waitcnt vmcnt(0)
	v_fma_f64 v[66:67], v[66:67], v[72:73], -v[74:75]
	v_fma_f64 v[68:69], v[68:69], v[72:73], v[70:71]
	v_add_f64 v[3:4], v[3:4], v[66:67]
	v_add_f64 v[1:2], v[1:2], v[68:69]
	s_andn2_b32 exec_lo, exec_lo, s5
	s_cbranch_execnz .LBB90_73
; %bb.74:
	s_or_b32 exec_lo, exec_lo, s5
	v_mov_b32_e32 v61, 0
	ds_read_b128 v[61:64], v61 offset:240
	s_waitcnt lgkmcnt(0)
	v_mul_f64 v[66:67], v[1:2], v[63:64]
	v_mul_f64 v[63:64], v[3:4], v[63:64]
	v_fma_f64 v[3:4], v[3:4], v[61:62], -v[66:67]
	v_fma_f64 v[1:2], v[1:2], v[61:62], v[63:64]
	buffer_store_dword v4, off, s[0:3], 0 offset:260
	buffer_store_dword v3, off, s[0:3], 0 offset:256
	buffer_store_dword v2, off, s[0:3], 0 offset:268
	buffer_store_dword v1, off, s[0:3], 0 offset:264
.LBB90_75:
	s_or_b32 exec_lo, exec_lo, s4
	v_mov_b32_e32 v4, s22
	s_waitcnt_vscnt null, 0x0
	s_barrier
	buffer_gl0_inv
	s_mov_b32 s4, exec_lo
	s_clause 0x3
	buffer_load_dword v1, v4, s[0:3], 0 offen
	buffer_load_dword v2, v4, s[0:3], 0 offen offset:4
	buffer_load_dword v3, v4, s[0:3], 0 offen offset:8
	;; [unrolled: 1-line block ×3, first 2 shown]
	s_waitcnt vmcnt(0)
	ds_write_b128 v59, v[1:4]
	s_waitcnt lgkmcnt(0)
	s_barrier
	buffer_gl0_inv
	v_cmpx_gt_u32_e32 16, v0
	s_cbranch_execz .LBB90_79
; %bb.76:
	v_mov_b32_e32 v1, 0
	v_mov_b32_e32 v3, 0
	v_add_nc_u32_e32 v61, -1, v0
	v_add_nc_u32_e32 v62, 0x1b0, v65
	v_mov_b32_e32 v2, 0
	v_mov_b32_e32 v4, 0
	v_add_nc_u32_e32 v63, 16, v65
	s_mov_b32 s5, 0
	.p2align	6
.LBB90_77:                              ; =>This Inner Loop Header: Depth=1
	s_clause 0x3
	buffer_load_dword v70, v63, s[0:3], 0 offen offset:8
	buffer_load_dword v71, v63, s[0:3], 0 offen offset:12
	buffer_load_dword v72, v63, s[0:3], 0 offen
	buffer_load_dword v73, v63, s[0:3], 0 offen offset:4
	ds_read_b128 v[66:69], v62
	v_add_nc_u32_e32 v61, 1, v61
	v_add_nc_u32_e32 v62, 16, v62
	;; [unrolled: 1-line block ×3, first 2 shown]
	v_cmp_lt_u32_e32 vcc_lo, 14, v61
	s_or_b32 s5, vcc_lo, s5
	s_waitcnt vmcnt(2) lgkmcnt(0)
	v_mul_f64 v[74:75], v[68:69], v[70:71]
	v_mul_f64 v[70:71], v[66:67], v[70:71]
	s_waitcnt vmcnt(0)
	v_fma_f64 v[66:67], v[66:67], v[72:73], -v[74:75]
	v_fma_f64 v[68:69], v[68:69], v[72:73], v[70:71]
	v_add_f64 v[3:4], v[3:4], v[66:67]
	v_add_f64 v[1:2], v[1:2], v[68:69]
	s_andn2_b32 exec_lo, exec_lo, s5
	s_cbranch_execnz .LBB90_77
; %bb.78:
	s_or_b32 exec_lo, exec_lo, s5
	v_mov_b32_e32 v61, 0
	ds_read_b128 v[61:64], v61 offset:256
	s_waitcnt lgkmcnt(0)
	v_mul_f64 v[66:67], v[1:2], v[63:64]
	v_mul_f64 v[63:64], v[3:4], v[63:64]
	v_fma_f64 v[3:4], v[3:4], v[61:62], -v[66:67]
	v_fma_f64 v[1:2], v[1:2], v[61:62], v[63:64]
	buffer_store_dword v4, off, s[0:3], 0 offset:276
	buffer_store_dword v3, off, s[0:3], 0 offset:272
	;; [unrolled: 1-line block ×4, first 2 shown]
.LBB90_79:
	s_or_b32 exec_lo, exec_lo, s4
	v_mov_b32_e32 v4, s21
	s_waitcnt_vscnt null, 0x0
	s_barrier
	buffer_gl0_inv
	s_mov_b32 s4, exec_lo
	s_clause 0x3
	buffer_load_dword v1, v4, s[0:3], 0 offen
	buffer_load_dword v2, v4, s[0:3], 0 offen offset:4
	buffer_load_dword v3, v4, s[0:3], 0 offen offset:8
	;; [unrolled: 1-line block ×3, first 2 shown]
	s_waitcnt vmcnt(0)
	ds_write_b128 v59, v[1:4]
	s_waitcnt lgkmcnt(0)
	s_barrier
	buffer_gl0_inv
	v_cmpx_gt_u32_e32 17, v0
	s_cbranch_execz .LBB90_83
; %bb.80:
	v_mov_b32_e32 v1, 0
	v_mov_b32_e32 v3, 0
	v_add_nc_u32_e32 v61, -1, v0
	v_add_nc_u32_e32 v62, 0x1b0, v65
	v_mov_b32_e32 v2, 0
	v_mov_b32_e32 v4, 0
	v_add_nc_u32_e32 v63, 16, v65
	s_mov_b32 s5, 0
	.p2align	6
.LBB90_81:                              ; =>This Inner Loop Header: Depth=1
	s_clause 0x3
	buffer_load_dword v70, v63, s[0:3], 0 offen offset:8
	buffer_load_dword v71, v63, s[0:3], 0 offen offset:12
	buffer_load_dword v72, v63, s[0:3], 0 offen
	buffer_load_dword v73, v63, s[0:3], 0 offen offset:4
	ds_read_b128 v[66:69], v62
	v_add_nc_u32_e32 v61, 1, v61
	v_add_nc_u32_e32 v62, 16, v62
	;; [unrolled: 1-line block ×3, first 2 shown]
	v_cmp_lt_u32_e32 vcc_lo, 15, v61
	s_or_b32 s5, vcc_lo, s5
	s_waitcnt vmcnt(2) lgkmcnt(0)
	v_mul_f64 v[74:75], v[68:69], v[70:71]
	v_mul_f64 v[70:71], v[66:67], v[70:71]
	s_waitcnt vmcnt(0)
	v_fma_f64 v[66:67], v[66:67], v[72:73], -v[74:75]
	v_fma_f64 v[68:69], v[68:69], v[72:73], v[70:71]
	v_add_f64 v[3:4], v[3:4], v[66:67]
	v_add_f64 v[1:2], v[1:2], v[68:69]
	s_andn2_b32 exec_lo, exec_lo, s5
	s_cbranch_execnz .LBB90_81
; %bb.82:
	s_or_b32 exec_lo, exec_lo, s5
	v_mov_b32_e32 v61, 0
	ds_read_b128 v[61:64], v61 offset:272
	s_waitcnt lgkmcnt(0)
	v_mul_f64 v[66:67], v[1:2], v[63:64]
	v_mul_f64 v[63:64], v[3:4], v[63:64]
	v_fma_f64 v[3:4], v[3:4], v[61:62], -v[66:67]
	v_fma_f64 v[1:2], v[1:2], v[61:62], v[63:64]
	buffer_store_dword v4, off, s[0:3], 0 offset:292
	buffer_store_dword v3, off, s[0:3], 0 offset:288
	;; [unrolled: 1-line block ×4, first 2 shown]
.LBB90_83:
	s_or_b32 exec_lo, exec_lo, s4
	v_mov_b32_e32 v4, s20
	s_waitcnt_vscnt null, 0x0
	s_barrier
	buffer_gl0_inv
	s_mov_b32 s4, exec_lo
	s_clause 0x3
	buffer_load_dword v1, v4, s[0:3], 0 offen
	buffer_load_dword v2, v4, s[0:3], 0 offen offset:4
	buffer_load_dword v3, v4, s[0:3], 0 offen offset:8
	;; [unrolled: 1-line block ×3, first 2 shown]
	s_waitcnt vmcnt(0)
	ds_write_b128 v59, v[1:4]
	s_waitcnt lgkmcnt(0)
	s_barrier
	buffer_gl0_inv
	v_cmpx_gt_u32_e32 18, v0
	s_cbranch_execz .LBB90_87
; %bb.84:
	v_mov_b32_e32 v1, 0
	v_mov_b32_e32 v3, 0
	v_add_nc_u32_e32 v61, -1, v0
	v_add_nc_u32_e32 v62, 0x1b0, v65
	v_mov_b32_e32 v2, 0
	v_mov_b32_e32 v4, 0
	v_add_nc_u32_e32 v63, 16, v65
	s_mov_b32 s5, 0
	.p2align	6
.LBB90_85:                              ; =>This Inner Loop Header: Depth=1
	s_clause 0x3
	buffer_load_dword v70, v63, s[0:3], 0 offen offset:8
	buffer_load_dword v71, v63, s[0:3], 0 offen offset:12
	buffer_load_dword v72, v63, s[0:3], 0 offen
	buffer_load_dword v73, v63, s[0:3], 0 offen offset:4
	ds_read_b128 v[66:69], v62
	v_add_nc_u32_e32 v61, 1, v61
	v_add_nc_u32_e32 v62, 16, v62
	;; [unrolled: 1-line block ×3, first 2 shown]
	v_cmp_lt_u32_e32 vcc_lo, 16, v61
	s_or_b32 s5, vcc_lo, s5
	s_waitcnt vmcnt(2) lgkmcnt(0)
	v_mul_f64 v[74:75], v[68:69], v[70:71]
	v_mul_f64 v[70:71], v[66:67], v[70:71]
	s_waitcnt vmcnt(0)
	v_fma_f64 v[66:67], v[66:67], v[72:73], -v[74:75]
	v_fma_f64 v[68:69], v[68:69], v[72:73], v[70:71]
	v_add_f64 v[3:4], v[3:4], v[66:67]
	v_add_f64 v[1:2], v[1:2], v[68:69]
	s_andn2_b32 exec_lo, exec_lo, s5
	s_cbranch_execnz .LBB90_85
; %bb.86:
	s_or_b32 exec_lo, exec_lo, s5
	v_mov_b32_e32 v61, 0
	ds_read_b128 v[61:64], v61 offset:288
	s_waitcnt lgkmcnt(0)
	v_mul_f64 v[66:67], v[1:2], v[63:64]
	v_mul_f64 v[63:64], v[3:4], v[63:64]
	v_fma_f64 v[3:4], v[3:4], v[61:62], -v[66:67]
	v_fma_f64 v[1:2], v[1:2], v[61:62], v[63:64]
	buffer_store_dword v4, off, s[0:3], 0 offset:308
	buffer_store_dword v3, off, s[0:3], 0 offset:304
	;; [unrolled: 1-line block ×4, first 2 shown]
.LBB90_87:
	s_or_b32 exec_lo, exec_lo, s4
	v_mov_b32_e32 v4, s19
	s_waitcnt_vscnt null, 0x0
	s_barrier
	buffer_gl0_inv
	s_mov_b32 s4, exec_lo
	s_clause 0x3
	buffer_load_dword v1, v4, s[0:3], 0 offen
	buffer_load_dword v2, v4, s[0:3], 0 offen offset:4
	buffer_load_dword v3, v4, s[0:3], 0 offen offset:8
	;; [unrolled: 1-line block ×3, first 2 shown]
	s_waitcnt vmcnt(0)
	ds_write_b128 v59, v[1:4]
	s_waitcnt lgkmcnt(0)
	s_barrier
	buffer_gl0_inv
	v_cmpx_gt_u32_e32 19, v0
	s_cbranch_execz .LBB90_91
; %bb.88:
	v_mov_b32_e32 v1, 0
	v_mov_b32_e32 v3, 0
	v_add_nc_u32_e32 v61, -1, v0
	v_add_nc_u32_e32 v62, 0x1b0, v65
	v_mov_b32_e32 v2, 0
	v_mov_b32_e32 v4, 0
	v_add_nc_u32_e32 v63, 16, v65
	s_mov_b32 s5, 0
	.p2align	6
.LBB90_89:                              ; =>This Inner Loop Header: Depth=1
	s_clause 0x3
	buffer_load_dword v70, v63, s[0:3], 0 offen offset:8
	buffer_load_dword v71, v63, s[0:3], 0 offen offset:12
	buffer_load_dword v72, v63, s[0:3], 0 offen
	buffer_load_dword v73, v63, s[0:3], 0 offen offset:4
	ds_read_b128 v[66:69], v62
	v_add_nc_u32_e32 v61, 1, v61
	v_add_nc_u32_e32 v62, 16, v62
	;; [unrolled: 1-line block ×3, first 2 shown]
	v_cmp_lt_u32_e32 vcc_lo, 17, v61
	s_or_b32 s5, vcc_lo, s5
	s_waitcnt vmcnt(2) lgkmcnt(0)
	v_mul_f64 v[74:75], v[68:69], v[70:71]
	v_mul_f64 v[70:71], v[66:67], v[70:71]
	s_waitcnt vmcnt(0)
	v_fma_f64 v[66:67], v[66:67], v[72:73], -v[74:75]
	v_fma_f64 v[68:69], v[68:69], v[72:73], v[70:71]
	v_add_f64 v[3:4], v[3:4], v[66:67]
	v_add_f64 v[1:2], v[1:2], v[68:69]
	s_andn2_b32 exec_lo, exec_lo, s5
	s_cbranch_execnz .LBB90_89
; %bb.90:
	s_or_b32 exec_lo, exec_lo, s5
	v_mov_b32_e32 v61, 0
	ds_read_b128 v[61:64], v61 offset:304
	s_waitcnt lgkmcnt(0)
	v_mul_f64 v[66:67], v[1:2], v[63:64]
	v_mul_f64 v[63:64], v[3:4], v[63:64]
	v_fma_f64 v[3:4], v[3:4], v[61:62], -v[66:67]
	v_fma_f64 v[1:2], v[1:2], v[61:62], v[63:64]
	buffer_store_dword v4, off, s[0:3], 0 offset:324
	buffer_store_dword v3, off, s[0:3], 0 offset:320
	buffer_store_dword v2, off, s[0:3], 0 offset:332
	buffer_store_dword v1, off, s[0:3], 0 offset:328
.LBB90_91:
	s_or_b32 exec_lo, exec_lo, s4
	v_mov_b32_e32 v4, s18
	s_waitcnt_vscnt null, 0x0
	s_barrier
	buffer_gl0_inv
	s_mov_b32 s4, exec_lo
	s_clause 0x3
	buffer_load_dword v1, v4, s[0:3], 0 offen
	buffer_load_dword v2, v4, s[0:3], 0 offen offset:4
	buffer_load_dword v3, v4, s[0:3], 0 offen offset:8
	;; [unrolled: 1-line block ×3, first 2 shown]
	s_waitcnt vmcnt(0)
	ds_write_b128 v59, v[1:4]
	s_waitcnt lgkmcnt(0)
	s_barrier
	buffer_gl0_inv
	v_cmpx_gt_u32_e32 20, v0
	s_cbranch_execz .LBB90_95
; %bb.92:
	v_mov_b32_e32 v1, 0
	v_mov_b32_e32 v3, 0
	v_add_nc_u32_e32 v61, -1, v0
	v_add_nc_u32_e32 v62, 0x1b0, v65
	v_mov_b32_e32 v2, 0
	v_mov_b32_e32 v4, 0
	v_add_nc_u32_e32 v63, 16, v65
	s_mov_b32 s5, 0
	.p2align	6
.LBB90_93:                              ; =>This Inner Loop Header: Depth=1
	s_clause 0x3
	buffer_load_dword v70, v63, s[0:3], 0 offen offset:8
	buffer_load_dword v71, v63, s[0:3], 0 offen offset:12
	buffer_load_dword v72, v63, s[0:3], 0 offen
	buffer_load_dword v73, v63, s[0:3], 0 offen offset:4
	ds_read_b128 v[66:69], v62
	v_add_nc_u32_e32 v61, 1, v61
	v_add_nc_u32_e32 v62, 16, v62
	;; [unrolled: 1-line block ×3, first 2 shown]
	v_cmp_lt_u32_e32 vcc_lo, 18, v61
	s_or_b32 s5, vcc_lo, s5
	s_waitcnt vmcnt(2) lgkmcnt(0)
	v_mul_f64 v[74:75], v[68:69], v[70:71]
	v_mul_f64 v[70:71], v[66:67], v[70:71]
	s_waitcnt vmcnt(0)
	v_fma_f64 v[66:67], v[66:67], v[72:73], -v[74:75]
	v_fma_f64 v[68:69], v[68:69], v[72:73], v[70:71]
	v_add_f64 v[3:4], v[3:4], v[66:67]
	v_add_f64 v[1:2], v[1:2], v[68:69]
	s_andn2_b32 exec_lo, exec_lo, s5
	s_cbranch_execnz .LBB90_93
; %bb.94:
	s_or_b32 exec_lo, exec_lo, s5
	v_mov_b32_e32 v61, 0
	ds_read_b128 v[61:64], v61 offset:320
	s_waitcnt lgkmcnt(0)
	v_mul_f64 v[66:67], v[1:2], v[63:64]
	v_mul_f64 v[63:64], v[3:4], v[63:64]
	v_fma_f64 v[3:4], v[3:4], v[61:62], -v[66:67]
	v_fma_f64 v[1:2], v[1:2], v[61:62], v[63:64]
	buffer_store_dword v4, off, s[0:3], 0 offset:340
	buffer_store_dword v3, off, s[0:3], 0 offset:336
	buffer_store_dword v2, off, s[0:3], 0 offset:348
	buffer_store_dword v1, off, s[0:3], 0 offset:344
.LBB90_95:
	s_or_b32 exec_lo, exec_lo, s4
	v_mov_b32_e32 v4, s17
	s_waitcnt_vscnt null, 0x0
	s_barrier
	buffer_gl0_inv
	s_mov_b32 s4, exec_lo
	s_clause 0x3
	buffer_load_dword v1, v4, s[0:3], 0 offen
	buffer_load_dword v2, v4, s[0:3], 0 offen offset:4
	buffer_load_dword v3, v4, s[0:3], 0 offen offset:8
	;; [unrolled: 1-line block ×3, first 2 shown]
	s_waitcnt vmcnt(0)
	ds_write_b128 v59, v[1:4]
	s_waitcnt lgkmcnt(0)
	s_barrier
	buffer_gl0_inv
	v_cmpx_gt_u32_e32 21, v0
	s_cbranch_execz .LBB90_99
; %bb.96:
	v_mov_b32_e32 v1, 0
	v_mov_b32_e32 v3, 0
	v_add_nc_u32_e32 v61, -1, v0
	v_add_nc_u32_e32 v62, 0x1b0, v65
	v_mov_b32_e32 v2, 0
	v_mov_b32_e32 v4, 0
	v_add_nc_u32_e32 v63, 16, v65
	s_mov_b32 s5, 0
	.p2align	6
.LBB90_97:                              ; =>This Inner Loop Header: Depth=1
	s_clause 0x3
	buffer_load_dword v70, v63, s[0:3], 0 offen offset:8
	buffer_load_dword v71, v63, s[0:3], 0 offen offset:12
	buffer_load_dword v72, v63, s[0:3], 0 offen
	buffer_load_dword v73, v63, s[0:3], 0 offen offset:4
	ds_read_b128 v[66:69], v62
	v_add_nc_u32_e32 v61, 1, v61
	v_add_nc_u32_e32 v62, 16, v62
	;; [unrolled: 1-line block ×3, first 2 shown]
	v_cmp_lt_u32_e32 vcc_lo, 19, v61
	s_or_b32 s5, vcc_lo, s5
	s_waitcnt vmcnt(2) lgkmcnt(0)
	v_mul_f64 v[74:75], v[68:69], v[70:71]
	v_mul_f64 v[70:71], v[66:67], v[70:71]
	s_waitcnt vmcnt(0)
	v_fma_f64 v[66:67], v[66:67], v[72:73], -v[74:75]
	v_fma_f64 v[68:69], v[68:69], v[72:73], v[70:71]
	v_add_f64 v[3:4], v[3:4], v[66:67]
	v_add_f64 v[1:2], v[1:2], v[68:69]
	s_andn2_b32 exec_lo, exec_lo, s5
	s_cbranch_execnz .LBB90_97
; %bb.98:
	s_or_b32 exec_lo, exec_lo, s5
	v_mov_b32_e32 v61, 0
	ds_read_b128 v[61:64], v61 offset:336
	s_waitcnt lgkmcnt(0)
	v_mul_f64 v[66:67], v[1:2], v[63:64]
	v_mul_f64 v[63:64], v[3:4], v[63:64]
	v_fma_f64 v[3:4], v[3:4], v[61:62], -v[66:67]
	v_fma_f64 v[1:2], v[1:2], v[61:62], v[63:64]
	buffer_store_dword v4, off, s[0:3], 0 offset:356
	buffer_store_dword v3, off, s[0:3], 0 offset:352
	;; [unrolled: 1-line block ×4, first 2 shown]
.LBB90_99:
	s_or_b32 exec_lo, exec_lo, s4
	v_mov_b32_e32 v4, s16
	s_waitcnt_vscnt null, 0x0
	s_barrier
	buffer_gl0_inv
	s_mov_b32 s4, exec_lo
	s_clause 0x3
	buffer_load_dword v1, v4, s[0:3], 0 offen
	buffer_load_dword v2, v4, s[0:3], 0 offen offset:4
	buffer_load_dword v3, v4, s[0:3], 0 offen offset:8
	;; [unrolled: 1-line block ×3, first 2 shown]
	s_waitcnt vmcnt(0)
	ds_write_b128 v59, v[1:4]
	s_waitcnt lgkmcnt(0)
	s_barrier
	buffer_gl0_inv
	v_cmpx_gt_u32_e32 22, v0
	s_cbranch_execz .LBB90_103
; %bb.100:
	v_mov_b32_e32 v1, 0
	v_mov_b32_e32 v3, 0
	v_add_nc_u32_e32 v61, -1, v0
	v_add_nc_u32_e32 v62, 0x1b0, v65
	v_mov_b32_e32 v2, 0
	v_mov_b32_e32 v4, 0
	v_add_nc_u32_e32 v63, 16, v65
	s_mov_b32 s5, 0
	.p2align	6
.LBB90_101:                             ; =>This Inner Loop Header: Depth=1
	s_clause 0x3
	buffer_load_dword v70, v63, s[0:3], 0 offen offset:8
	buffer_load_dword v71, v63, s[0:3], 0 offen offset:12
	buffer_load_dword v72, v63, s[0:3], 0 offen
	buffer_load_dword v73, v63, s[0:3], 0 offen offset:4
	ds_read_b128 v[66:69], v62
	v_add_nc_u32_e32 v61, 1, v61
	v_add_nc_u32_e32 v62, 16, v62
	;; [unrolled: 1-line block ×3, first 2 shown]
	v_cmp_lt_u32_e32 vcc_lo, 20, v61
	s_or_b32 s5, vcc_lo, s5
	s_waitcnt vmcnt(2) lgkmcnt(0)
	v_mul_f64 v[74:75], v[68:69], v[70:71]
	v_mul_f64 v[70:71], v[66:67], v[70:71]
	s_waitcnt vmcnt(0)
	v_fma_f64 v[66:67], v[66:67], v[72:73], -v[74:75]
	v_fma_f64 v[68:69], v[68:69], v[72:73], v[70:71]
	v_add_f64 v[3:4], v[3:4], v[66:67]
	v_add_f64 v[1:2], v[1:2], v[68:69]
	s_andn2_b32 exec_lo, exec_lo, s5
	s_cbranch_execnz .LBB90_101
; %bb.102:
	s_or_b32 exec_lo, exec_lo, s5
	v_mov_b32_e32 v61, 0
	ds_read_b128 v[61:64], v61 offset:352
	s_waitcnt lgkmcnt(0)
	v_mul_f64 v[66:67], v[1:2], v[63:64]
	v_mul_f64 v[63:64], v[3:4], v[63:64]
	v_fma_f64 v[3:4], v[3:4], v[61:62], -v[66:67]
	v_fma_f64 v[1:2], v[1:2], v[61:62], v[63:64]
	buffer_store_dword v4, off, s[0:3], 0 offset:372
	buffer_store_dword v3, off, s[0:3], 0 offset:368
	;; [unrolled: 1-line block ×4, first 2 shown]
.LBB90_103:
	s_or_b32 exec_lo, exec_lo, s4
	v_mov_b32_e32 v4, s15
	s_waitcnt_vscnt null, 0x0
	s_barrier
	buffer_gl0_inv
	s_mov_b32 s4, exec_lo
	s_clause 0x3
	buffer_load_dword v1, v4, s[0:3], 0 offen
	buffer_load_dword v2, v4, s[0:3], 0 offen offset:4
	buffer_load_dword v3, v4, s[0:3], 0 offen offset:8
	;; [unrolled: 1-line block ×3, first 2 shown]
	s_waitcnt vmcnt(0)
	ds_write_b128 v59, v[1:4]
	s_waitcnt lgkmcnt(0)
	s_barrier
	buffer_gl0_inv
	v_cmpx_gt_u32_e32 23, v0
	s_cbranch_execz .LBB90_107
; %bb.104:
	v_mov_b32_e32 v1, 0
	v_mov_b32_e32 v3, 0
	v_add_nc_u32_e32 v61, -1, v0
	v_add_nc_u32_e32 v62, 0x1b0, v65
	v_mov_b32_e32 v2, 0
	v_mov_b32_e32 v4, 0
	v_add_nc_u32_e32 v63, 16, v65
	s_mov_b32 s5, 0
	.p2align	6
.LBB90_105:                             ; =>This Inner Loop Header: Depth=1
	s_clause 0x3
	buffer_load_dword v70, v63, s[0:3], 0 offen offset:8
	buffer_load_dword v71, v63, s[0:3], 0 offen offset:12
	buffer_load_dword v72, v63, s[0:3], 0 offen
	buffer_load_dword v73, v63, s[0:3], 0 offen offset:4
	ds_read_b128 v[66:69], v62
	v_add_nc_u32_e32 v61, 1, v61
	v_add_nc_u32_e32 v62, 16, v62
	v_add_nc_u32_e32 v63, 16, v63
	v_cmp_lt_u32_e32 vcc_lo, 21, v61
	s_or_b32 s5, vcc_lo, s5
	s_waitcnt vmcnt(2) lgkmcnt(0)
	v_mul_f64 v[74:75], v[68:69], v[70:71]
	v_mul_f64 v[70:71], v[66:67], v[70:71]
	s_waitcnt vmcnt(0)
	v_fma_f64 v[66:67], v[66:67], v[72:73], -v[74:75]
	v_fma_f64 v[68:69], v[68:69], v[72:73], v[70:71]
	v_add_f64 v[3:4], v[3:4], v[66:67]
	v_add_f64 v[1:2], v[1:2], v[68:69]
	s_andn2_b32 exec_lo, exec_lo, s5
	s_cbranch_execnz .LBB90_105
; %bb.106:
	s_or_b32 exec_lo, exec_lo, s5
	v_mov_b32_e32 v61, 0
	ds_read_b128 v[61:64], v61 offset:368
	s_waitcnt lgkmcnt(0)
	v_mul_f64 v[66:67], v[1:2], v[63:64]
	v_mul_f64 v[63:64], v[3:4], v[63:64]
	v_fma_f64 v[3:4], v[3:4], v[61:62], -v[66:67]
	v_fma_f64 v[1:2], v[1:2], v[61:62], v[63:64]
	buffer_store_dword v4, off, s[0:3], 0 offset:388
	buffer_store_dword v3, off, s[0:3], 0 offset:384
	;; [unrolled: 1-line block ×4, first 2 shown]
.LBB90_107:
	s_or_b32 exec_lo, exec_lo, s4
	v_mov_b32_e32 v4, s14
	s_waitcnt_vscnt null, 0x0
	s_barrier
	buffer_gl0_inv
	s_mov_b32 s4, exec_lo
	s_clause 0x3
	buffer_load_dword v1, v4, s[0:3], 0 offen
	buffer_load_dword v2, v4, s[0:3], 0 offen offset:4
	buffer_load_dword v3, v4, s[0:3], 0 offen offset:8
	;; [unrolled: 1-line block ×3, first 2 shown]
	s_waitcnt vmcnt(0)
	ds_write_b128 v59, v[1:4]
	s_waitcnt lgkmcnt(0)
	s_barrier
	buffer_gl0_inv
	v_cmpx_gt_u32_e32 24, v0
	s_cbranch_execz .LBB90_111
; %bb.108:
	v_mov_b32_e32 v1, 0
	v_mov_b32_e32 v3, 0
	v_add_nc_u32_e32 v61, -1, v0
	v_add_nc_u32_e32 v62, 0x1b0, v65
	v_mov_b32_e32 v2, 0
	v_mov_b32_e32 v4, 0
	v_add_nc_u32_e32 v63, 16, v65
	s_mov_b32 s5, 0
	.p2align	6
.LBB90_109:                             ; =>This Inner Loop Header: Depth=1
	s_clause 0x3
	buffer_load_dword v70, v63, s[0:3], 0 offen offset:8
	buffer_load_dword v71, v63, s[0:3], 0 offen offset:12
	buffer_load_dword v72, v63, s[0:3], 0 offen
	buffer_load_dword v73, v63, s[0:3], 0 offen offset:4
	ds_read_b128 v[66:69], v62
	v_add_nc_u32_e32 v61, 1, v61
	v_add_nc_u32_e32 v62, 16, v62
	;; [unrolled: 1-line block ×3, first 2 shown]
	v_cmp_lt_u32_e32 vcc_lo, 22, v61
	s_or_b32 s5, vcc_lo, s5
	s_waitcnt vmcnt(2) lgkmcnt(0)
	v_mul_f64 v[74:75], v[68:69], v[70:71]
	v_mul_f64 v[70:71], v[66:67], v[70:71]
	s_waitcnt vmcnt(0)
	v_fma_f64 v[66:67], v[66:67], v[72:73], -v[74:75]
	v_fma_f64 v[68:69], v[68:69], v[72:73], v[70:71]
	v_add_f64 v[3:4], v[3:4], v[66:67]
	v_add_f64 v[1:2], v[1:2], v[68:69]
	s_andn2_b32 exec_lo, exec_lo, s5
	s_cbranch_execnz .LBB90_109
; %bb.110:
	s_or_b32 exec_lo, exec_lo, s5
	v_mov_b32_e32 v61, 0
	ds_read_b128 v[61:64], v61 offset:384
	s_waitcnt lgkmcnt(0)
	v_mul_f64 v[66:67], v[1:2], v[63:64]
	v_mul_f64 v[63:64], v[3:4], v[63:64]
	v_fma_f64 v[3:4], v[3:4], v[61:62], -v[66:67]
	v_fma_f64 v[1:2], v[1:2], v[61:62], v[63:64]
	buffer_store_dword v4, off, s[0:3], 0 offset:404
	buffer_store_dword v3, off, s[0:3], 0 offset:400
	;; [unrolled: 1-line block ×4, first 2 shown]
.LBB90_111:
	s_or_b32 exec_lo, exec_lo, s4
	v_mov_b32_e32 v4, s9
	s_waitcnt_vscnt null, 0x0
	s_barrier
	buffer_gl0_inv
	s_mov_b32 s4, exec_lo
	s_clause 0x3
	buffer_load_dword v1, v4, s[0:3], 0 offen
	buffer_load_dword v2, v4, s[0:3], 0 offen offset:4
	buffer_load_dword v3, v4, s[0:3], 0 offen offset:8
	;; [unrolled: 1-line block ×3, first 2 shown]
	s_waitcnt vmcnt(0)
	ds_write_b128 v59, v[1:4]
	s_waitcnt lgkmcnt(0)
	s_barrier
	buffer_gl0_inv
	v_cmpx_gt_u32_e32 25, v0
	s_cbranch_execz .LBB90_115
; %bb.112:
	v_mov_b32_e32 v1, 0
	v_mov_b32_e32 v3, 0
	v_add_nc_u32_e32 v61, -1, v0
	v_add_nc_u32_e32 v62, 0x1b0, v65
	v_mov_b32_e32 v2, 0
	v_mov_b32_e32 v4, 0
	v_add_nc_u32_e32 v63, 16, v65
	s_mov_b32 s5, 0
	.p2align	6
.LBB90_113:                             ; =>This Inner Loop Header: Depth=1
	s_clause 0x3
	buffer_load_dword v70, v63, s[0:3], 0 offen offset:8
	buffer_load_dword v71, v63, s[0:3], 0 offen offset:12
	buffer_load_dword v72, v63, s[0:3], 0 offen
	buffer_load_dword v73, v63, s[0:3], 0 offen offset:4
	ds_read_b128 v[66:69], v62
	v_add_nc_u32_e32 v61, 1, v61
	v_add_nc_u32_e32 v62, 16, v62
	;; [unrolled: 1-line block ×3, first 2 shown]
	v_cmp_lt_u32_e32 vcc_lo, 23, v61
	s_or_b32 s5, vcc_lo, s5
	s_waitcnt vmcnt(2) lgkmcnt(0)
	v_mul_f64 v[74:75], v[68:69], v[70:71]
	v_mul_f64 v[70:71], v[66:67], v[70:71]
	s_waitcnt vmcnt(0)
	v_fma_f64 v[66:67], v[66:67], v[72:73], -v[74:75]
	v_fma_f64 v[68:69], v[68:69], v[72:73], v[70:71]
	v_add_f64 v[3:4], v[3:4], v[66:67]
	v_add_f64 v[1:2], v[1:2], v[68:69]
	s_andn2_b32 exec_lo, exec_lo, s5
	s_cbranch_execnz .LBB90_113
; %bb.114:
	s_or_b32 exec_lo, exec_lo, s5
	v_mov_b32_e32 v61, 0
	ds_read_b128 v[61:64], v61 offset:400
	s_waitcnt lgkmcnt(0)
	v_mul_f64 v[66:67], v[1:2], v[63:64]
	v_mul_f64 v[63:64], v[3:4], v[63:64]
	v_fma_f64 v[3:4], v[3:4], v[61:62], -v[66:67]
	v_fma_f64 v[1:2], v[1:2], v[61:62], v[63:64]
	buffer_store_dword v4, off, s[0:3], 0 offset:420
	buffer_store_dword v3, off, s[0:3], 0 offset:416
	;; [unrolled: 1-line block ×4, first 2 shown]
.LBB90_115:
	s_or_b32 exec_lo, exec_lo, s4
	v_mov_b32_e32 v4, s8
	s_waitcnt_vscnt null, 0x0
	s_barrier
	buffer_gl0_inv
	s_mov_b32 s4, exec_lo
	s_clause 0x3
	buffer_load_dword v1, v4, s[0:3], 0 offen
	buffer_load_dword v2, v4, s[0:3], 0 offen offset:4
	buffer_load_dword v3, v4, s[0:3], 0 offen offset:8
	;; [unrolled: 1-line block ×3, first 2 shown]
	s_waitcnt vmcnt(0)
	ds_write_b128 v59, v[1:4]
	s_waitcnt lgkmcnt(0)
	s_barrier
	buffer_gl0_inv
	v_cmpx_ne_u32_e32 26, v0
	s_cbranch_execz .LBB90_119
; %bb.116:
	v_mov_b32_e32 v1, 0
	v_mov_b32_e32 v3, 0
	;; [unrolled: 1-line block ×4, first 2 shown]
	v_add_nc_u32_e32 v61, 16, v65
	s_mov_b32 s5, 0
	.p2align	6
.LBB90_117:                             ; =>This Inner Loop Header: Depth=1
	s_clause 0x3
	buffer_load_dword v66, v61, s[0:3], 0 offen offset:8
	buffer_load_dword v67, v61, s[0:3], 0 offen offset:12
	buffer_load_dword v68, v61, s[0:3], 0 offen
	buffer_load_dword v69, v61, s[0:3], 0 offen offset:4
	ds_read_b128 v[62:65], v59
	v_add_nc_u32_e32 v60, 1, v60
	v_add_nc_u32_e32 v59, 16, v59
	;; [unrolled: 1-line block ×3, first 2 shown]
	v_cmp_lt_u32_e32 vcc_lo, 24, v60
	s_or_b32 s5, vcc_lo, s5
	s_waitcnt vmcnt(2) lgkmcnt(0)
	v_mul_f64 v[70:71], v[64:65], v[66:67]
	v_mul_f64 v[66:67], v[62:63], v[66:67]
	s_waitcnt vmcnt(0)
	v_fma_f64 v[62:63], v[62:63], v[68:69], -v[70:71]
	v_fma_f64 v[64:65], v[64:65], v[68:69], v[66:67]
	v_add_f64 v[3:4], v[3:4], v[62:63]
	v_add_f64 v[1:2], v[1:2], v[64:65]
	s_andn2_b32 exec_lo, exec_lo, s5
	s_cbranch_execnz .LBB90_117
; %bb.118:
	s_or_b32 exec_lo, exec_lo, s5
	v_mov_b32_e32 v59, 0
	ds_read_b128 v[59:62], v59 offset:416
	s_waitcnt lgkmcnt(0)
	v_mul_f64 v[63:64], v[1:2], v[61:62]
	v_mul_f64 v[61:62], v[3:4], v[61:62]
	v_fma_f64 v[3:4], v[3:4], v[59:60], -v[63:64]
	v_fma_f64 v[1:2], v[1:2], v[59:60], v[61:62]
	buffer_store_dword v4, off, s[0:3], 0 offset:436
	buffer_store_dword v3, off, s[0:3], 0 offset:432
	;; [unrolled: 1-line block ×4, first 2 shown]
.LBB90_119:
	s_or_b32 exec_lo, exec_lo, s4
	s_mov_b32 s5, -1
	s_waitcnt_vscnt null, 0x0
	s_barrier
	buffer_gl0_inv
.LBB90_120:
	s_and_b32 vcc_lo, exec_lo, s5
	s_cbranch_vccz .LBB90_122
; %bb.121:
	s_lshl_b64 s[4:5], s[6:7], 2
	v_mov_b32_e32 v1, 0
	s_add_u32 s4, s10, s4
	s_addc_u32 s5, s11, s5
	global_load_dword v1, v1, s[4:5]
	s_waitcnt vmcnt(0)
	v_cmp_ne_u32_e32 vcc_lo, 0, v1
	s_cbranch_vccz .LBB90_123
.LBB90_122:
	s_endpgm
.LBB90_123:
	v_lshl_add_u32 v1, v0, 4, 0x1b0
	s_mov_b32 s4, exec_lo
	v_cmpx_eq_u32_e32 26, v0
	s_cbranch_execz .LBB90_125
; %bb.124:
	v_mov_b32_e32 v2, s9
	s_clause 0x3
	buffer_load_dword v59, v2, s[0:3], 0 offen
	buffer_load_dword v60, v2, s[0:3], 0 offen offset:4
	buffer_load_dword v61, v2, s[0:3], 0 offen offset:8
	;; [unrolled: 1-line block ×3, first 2 shown]
	v_mov_b32_e32 v2, 0
	buffer_store_dword v2, off, s[0:3], 0 offset:416
	buffer_store_dword v2, off, s[0:3], 0 offset:420
	;; [unrolled: 1-line block ×4, first 2 shown]
	s_waitcnt vmcnt(0)
	ds_write_b128 v1, v[59:62]
.LBB90_125:
	s_or_b32 exec_lo, exec_lo, s4
	s_waitcnt lgkmcnt(0)
	s_waitcnt_vscnt null, 0x0
	s_barrier
	buffer_gl0_inv
	s_clause 0x7
	buffer_load_dword v3, off, s[0:3], 0 offset:440
	buffer_load_dword v4, off, s[0:3], 0 offset:444
	;; [unrolled: 1-line block ×8, first 2 shown]
	v_mov_b32_e32 v2, 0
	s_mov_b32 s4, exec_lo
	ds_read_b128 v[59:62], v2 offset:848
	s_waitcnt vmcnt(6) lgkmcnt(0)
	v_mul_f64 v[69:70], v[61:62], v[3:4]
	v_mul_f64 v[3:4], v[59:60], v[3:4]
	s_waitcnt vmcnt(4)
	v_fma_f64 v[59:60], v[59:60], v[63:64], -v[69:70]
	v_fma_f64 v[3:4], v[61:62], v[63:64], v[3:4]
	v_add_f64 v[59:60], v[59:60], 0
	v_add_f64 v[3:4], v[3:4], 0
	s_waitcnt vmcnt(2)
	v_add_f64 v[59:60], v[65:66], -v[59:60]
	s_waitcnt vmcnt(0)
	v_add_f64 v[3:4], v[67:68], -v[3:4]
	buffer_store_dword v59, off, s[0:3], 0 offset:416
	buffer_store_dword v60, off, s[0:3], 0 offset:420
	;; [unrolled: 1-line block ×4, first 2 shown]
	v_cmpx_lt_u32_e32 24, v0
	s_cbranch_execz .LBB90_127
; %bb.126:
	v_mov_b32_e32 v3, s14
	s_clause 0x3
	buffer_load_dword v59, v3, s[0:3], 0 offen
	buffer_load_dword v60, v3, s[0:3], 0 offen offset:4
	buffer_load_dword v61, v3, s[0:3], 0 offen offset:8
	;; [unrolled: 1-line block ×3, first 2 shown]
	buffer_store_dword v2, off, s[0:3], 0 offset:400
	buffer_store_dword v2, off, s[0:3], 0 offset:404
	;; [unrolled: 1-line block ×4, first 2 shown]
	s_waitcnt vmcnt(0)
	ds_write_b128 v1, v[59:62]
.LBB90_127:
	s_or_b32 exec_lo, exec_lo, s4
	s_waitcnt lgkmcnt(0)
	s_waitcnt_vscnt null, 0x0
	s_barrier
	buffer_gl0_inv
	s_clause 0xb
	buffer_load_dword v3, off, s[0:3], 0 offset:424
	buffer_load_dword v4, off, s[0:3], 0 offset:428
	;; [unrolled: 1-line block ×12, first 2 shown]
	ds_read_b128 v[59:62], v2 offset:832
	ds_read_b128 v[63:66], v2 offset:848
	s_mov_b32 s4, exec_lo
	s_waitcnt vmcnt(10) lgkmcnt(1)
	v_mul_f64 v[77:78], v[61:62], v[3:4]
	v_mul_f64 v[2:3], v[59:60], v[3:4]
	s_waitcnt vmcnt(8) lgkmcnt(0)
	v_mul_f64 v[79:80], v[65:66], v[67:68]
	v_mul_f64 v[67:68], v[63:64], v[67:68]
	s_waitcnt vmcnt(6)
	v_fma_f64 v[59:60], v[59:60], v[69:70], -v[77:78]
	v_fma_f64 v[2:3], v[61:62], v[69:70], v[2:3]
	s_waitcnt vmcnt(4)
	v_fma_f64 v[61:62], v[63:64], v[71:72], -v[79:80]
	v_fma_f64 v[63:64], v[65:66], v[71:72], v[67:68]
	v_add_f64 v[59:60], v[59:60], 0
	v_add_f64 v[2:3], v[2:3], 0
	;; [unrolled: 1-line block ×4, first 2 shown]
	s_waitcnt vmcnt(2)
	v_add_f64 v[59:60], v[73:74], -v[59:60]
	s_waitcnt vmcnt(0)
	v_add_f64 v[2:3], v[75:76], -v[2:3]
	buffer_store_dword v59, off, s[0:3], 0 offset:400
	buffer_store_dword v60, off, s[0:3], 0 offset:404
	;; [unrolled: 1-line block ×4, first 2 shown]
	v_cmpx_lt_u32_e32 23, v0
	s_cbranch_execz .LBB90_129
; %bb.128:
	v_mov_b32_e32 v2, s15
	s_clause 0x3
	buffer_load_dword v59, v2, s[0:3], 0 offen
	buffer_load_dword v60, v2, s[0:3], 0 offen offset:4
	buffer_load_dword v61, v2, s[0:3], 0 offen offset:8
	;; [unrolled: 1-line block ×3, first 2 shown]
	v_mov_b32_e32 v2, 0
	buffer_store_dword v2, off, s[0:3], 0 offset:384
	buffer_store_dword v2, off, s[0:3], 0 offset:388
	;; [unrolled: 1-line block ×4, first 2 shown]
	s_waitcnt vmcnt(0)
	ds_write_b128 v1, v[59:62]
.LBB90_129:
	s_or_b32 exec_lo, exec_lo, s4
	s_waitcnt lgkmcnt(0)
	s_waitcnt_vscnt null, 0x0
	s_barrier
	buffer_gl0_inv
	s_clause 0xf
	buffer_load_dword v3, off, s[0:3], 0 offset:408
	buffer_load_dword v4, off, s[0:3], 0 offset:412
	;; [unrolled: 1-line block ×16, first 2 shown]
	v_mov_b32_e32 v2, 0
	ds_read_b128 v[59:62], v2 offset:816
	ds_read_b128 v[63:66], v2 offset:832
	;; [unrolled: 1-line block ×3, first 2 shown]
	s_mov_b32 s4, exec_lo
	s_waitcnt vmcnt(14) lgkmcnt(2)
	v_mul_f64 v[85:86], v[61:62], v[3:4]
	v_mul_f64 v[3:4], v[59:60], v[3:4]
	s_waitcnt vmcnt(12) lgkmcnt(1)
	v_mul_f64 v[87:88], v[65:66], v[71:72]
	v_mul_f64 v[71:72], v[63:64], v[71:72]
	s_waitcnt vmcnt(10)
	v_fma_f64 v[59:60], v[59:60], v[73:74], -v[85:86]
	v_fma_f64 v[3:4], v[61:62], v[73:74], v[3:4]
	s_waitcnt vmcnt(8) lgkmcnt(0)
	v_mul_f64 v[73:74], v[69:70], v[75:76]
	s_waitcnt vmcnt(6)
	v_fma_f64 v[63:64], v[63:64], v[77:78], -v[87:88]
	v_mul_f64 v[61:62], v[67:68], v[75:76]
	v_fma_f64 v[65:66], v[65:66], v[77:78], v[71:72]
	v_add_f64 v[59:60], v[59:60], 0
	v_add_f64 v[3:4], v[3:4], 0
	s_waitcnt vmcnt(4)
	v_fma_f64 v[67:68], v[67:68], v[79:80], -v[73:74]
	v_fma_f64 v[61:62], v[69:70], v[79:80], v[61:62]
	v_add_f64 v[59:60], v[59:60], v[63:64]
	v_add_f64 v[3:4], v[3:4], v[65:66]
	;; [unrolled: 1-line block ×4, first 2 shown]
	s_waitcnt vmcnt(2)
	v_add_f64 v[59:60], v[81:82], -v[59:60]
	s_waitcnt vmcnt(0)
	v_add_f64 v[3:4], v[83:84], -v[3:4]
	buffer_store_dword v59, off, s[0:3], 0 offset:384
	buffer_store_dword v60, off, s[0:3], 0 offset:388
	;; [unrolled: 1-line block ×4, first 2 shown]
	v_cmpx_lt_u32_e32 22, v0
	s_cbranch_execz .LBB90_131
; %bb.130:
	v_mov_b32_e32 v3, s16
	s_clause 0x3
	buffer_load_dword v59, v3, s[0:3], 0 offen
	buffer_load_dword v60, v3, s[0:3], 0 offen offset:4
	buffer_load_dword v61, v3, s[0:3], 0 offen offset:8
	;; [unrolled: 1-line block ×3, first 2 shown]
	buffer_store_dword v2, off, s[0:3], 0 offset:368
	buffer_store_dword v2, off, s[0:3], 0 offset:372
	;; [unrolled: 1-line block ×4, first 2 shown]
	s_waitcnt vmcnt(0)
	ds_write_b128 v1, v[59:62]
.LBB90_131:
	s_or_b32 exec_lo, exec_lo, s4
	s_waitcnt lgkmcnt(0)
	s_waitcnt_vscnt null, 0x0
	s_barrier
	buffer_gl0_inv
	s_clause 0x13
	buffer_load_dword v3, off, s[0:3], 0 offset:392
	buffer_load_dword v4, off, s[0:3], 0 offset:396
	;; [unrolled: 1-line block ×20, first 2 shown]
	ds_read_b128 v[59:62], v2 offset:800
	ds_read_b128 v[63:66], v2 offset:816
	;; [unrolled: 1-line block ×3, first 2 shown]
	s_mov_b32 s4, exec_lo
	s_waitcnt vmcnt(18) lgkmcnt(2)
	v_mul_f64 v[89:90], v[61:62], v[3:4]
	v_mul_f64 v[3:4], v[59:60], v[3:4]
	s_waitcnt vmcnt(16) lgkmcnt(1)
	v_mul_f64 v[91:92], v[65:66], v[71:72]
	v_mul_f64 v[71:72], v[63:64], v[71:72]
	s_waitcnt vmcnt(14)
	v_fma_f64 v[89:90], v[59:60], v[73:74], -v[89:90]
	v_fma_f64 v[3:4], v[61:62], v[73:74], v[3:4]
	ds_read_b128 v[59:62], v2 offset:848
	s_waitcnt vmcnt(12) lgkmcnt(1)
	v_mul_f64 v[73:74], v[67:68], v[75:76]
	v_mul_f64 v[75:76], v[69:70], v[75:76]
	s_waitcnt vmcnt(10)
	v_fma_f64 v[63:64], v[63:64], v[77:78], -v[91:92]
	v_fma_f64 v[65:66], v[65:66], v[77:78], v[71:72]
	s_waitcnt vmcnt(8) lgkmcnt(0)
	v_mul_f64 v[77:78], v[61:62], v[79:80]
	v_add_f64 v[89:90], v[89:90], 0
	v_add_f64 v[2:3], v[3:4], 0
	v_mul_f64 v[71:72], v[59:60], v[79:80]
	s_waitcnt vmcnt(6)
	v_fma_f64 v[67:68], v[67:68], v[81:82], -v[75:76]
	v_fma_f64 v[69:70], v[69:70], v[81:82], v[73:74]
	s_waitcnt vmcnt(4)
	v_fma_f64 v[59:60], v[59:60], v[83:84], -v[77:78]
	v_add_f64 v[63:64], v[89:90], v[63:64]
	v_add_f64 v[2:3], v[2:3], v[65:66]
	v_fma_f64 v[61:62], v[61:62], v[83:84], v[71:72]
	v_add_f64 v[63:64], v[63:64], v[67:68]
	v_add_f64 v[2:3], v[2:3], v[69:70]
	v_add_f64 v[59:60], v[63:64], v[59:60]
	v_add_f64 v[2:3], v[2:3], v[61:62]
	s_waitcnt vmcnt(2)
	v_add_f64 v[59:60], v[85:86], -v[59:60]
	s_waitcnt vmcnt(0)
	v_add_f64 v[2:3], v[87:88], -v[2:3]
	buffer_store_dword v59, off, s[0:3], 0 offset:368
	buffer_store_dword v60, off, s[0:3], 0 offset:372
	;; [unrolled: 1-line block ×4, first 2 shown]
	v_cmpx_lt_u32_e32 21, v0
	s_cbranch_execz .LBB90_133
; %bb.132:
	v_mov_b32_e32 v2, s17
	s_clause 0x3
	buffer_load_dword v59, v2, s[0:3], 0 offen
	buffer_load_dword v60, v2, s[0:3], 0 offen offset:4
	buffer_load_dword v61, v2, s[0:3], 0 offen offset:8
	;; [unrolled: 1-line block ×3, first 2 shown]
	v_mov_b32_e32 v2, 0
	buffer_store_dword v2, off, s[0:3], 0 offset:352
	buffer_store_dword v2, off, s[0:3], 0 offset:356
	;; [unrolled: 1-line block ×4, first 2 shown]
	s_waitcnt vmcnt(0)
	ds_write_b128 v1, v[59:62]
.LBB90_133:
	s_or_b32 exec_lo, exec_lo, s4
	s_waitcnt lgkmcnt(0)
	s_waitcnt_vscnt null, 0x0
	s_barrier
	buffer_gl0_inv
	s_clause 0x17
	buffer_load_dword v3, off, s[0:3], 0 offset:376
	buffer_load_dword v4, off, s[0:3], 0 offset:380
	;; [unrolled: 1-line block ×24, first 2 shown]
	v_mov_b32_e32 v2, 0
	ds_read_b128 v[59:62], v2 offset:784
	ds_read_b128 v[63:66], v2 offset:800
	;; [unrolled: 1-line block ×3, first 2 shown]
	s_mov_b32 s4, exec_lo
	s_waitcnt vmcnt(22) lgkmcnt(2)
	v_mul_f64 v[93:94], v[61:62], v[3:4]
	v_mul_f64 v[3:4], v[59:60], v[3:4]
	s_waitcnt vmcnt(20) lgkmcnt(1)
	v_mul_f64 v[95:96], v[65:66], v[71:72]
	v_mul_f64 v[71:72], v[63:64], v[71:72]
	s_waitcnt vmcnt(18)
	v_fma_f64 v[93:94], v[59:60], v[73:74], -v[93:94]
	v_fma_f64 v[3:4], v[61:62], v[73:74], v[3:4]
	ds_read_b128 v[59:62], v2 offset:832
	s_waitcnt vmcnt(16) lgkmcnt(1)
	v_mul_f64 v[73:74], v[67:68], v[75:76]
	v_mul_f64 v[75:76], v[69:70], v[75:76]
	s_waitcnt vmcnt(14)
	v_fma_f64 v[95:96], v[63:64], v[77:78], -v[95:96]
	v_fma_f64 v[71:72], v[65:66], v[77:78], v[71:72]
	ds_read_b128 v[63:66], v2 offset:848
	s_waitcnt vmcnt(10) lgkmcnt(1)
	v_mul_f64 v[77:78], v[59:60], v[79:80]
	v_add_f64 v[93:94], v[93:94], 0
	v_add_f64 v[3:4], v[3:4], 0
	v_mul_f64 v[79:80], v[61:62], v[79:80]
	s_waitcnt vmcnt(8)
	v_fma_f64 v[67:68], v[67:68], v[85:86], -v[75:76]
	v_fma_f64 v[69:70], v[69:70], v[85:86], v[73:74]
	s_waitcnt vmcnt(7) lgkmcnt(0)
	v_mul_f64 v[73:74], v[65:66], v[81:82]
	s_waitcnt vmcnt(5)
	v_fma_f64 v[61:62], v[61:62], v[87:88], v[77:78]
	v_add_f64 v[75:76], v[93:94], v[95:96]
	v_add_f64 v[3:4], v[3:4], v[71:72]
	v_fma_f64 v[59:60], v[59:60], v[87:88], -v[79:80]
	v_mul_f64 v[71:72], v[63:64], v[81:82]
	s_waitcnt vmcnt(4)
	v_fma_f64 v[63:64], v[63:64], v[83:84], -v[73:74]
	v_add_f64 v[67:68], v[75:76], v[67:68]
	v_add_f64 v[3:4], v[3:4], v[69:70]
	v_fma_f64 v[65:66], v[65:66], v[83:84], v[71:72]
	v_add_f64 v[59:60], v[67:68], v[59:60]
	v_add_f64 v[3:4], v[3:4], v[61:62]
	;; [unrolled: 1-line block ×4, first 2 shown]
	s_waitcnt vmcnt(2)
	v_add_f64 v[59:60], v[89:90], -v[59:60]
	s_waitcnt vmcnt(0)
	v_add_f64 v[3:4], v[91:92], -v[3:4]
	buffer_store_dword v60, off, s[0:3], 0 offset:356
	buffer_store_dword v59, off, s[0:3], 0 offset:352
	;; [unrolled: 1-line block ×4, first 2 shown]
	v_cmpx_lt_u32_e32 20, v0
	s_cbranch_execz .LBB90_135
; %bb.134:
	v_mov_b32_e32 v3, s18
	s_clause 0x3
	buffer_load_dword v59, v3, s[0:3], 0 offen
	buffer_load_dword v60, v3, s[0:3], 0 offen offset:4
	buffer_load_dword v61, v3, s[0:3], 0 offen offset:8
	;; [unrolled: 1-line block ×3, first 2 shown]
	buffer_store_dword v2, off, s[0:3], 0 offset:336
	buffer_store_dword v2, off, s[0:3], 0 offset:340
	;; [unrolled: 1-line block ×4, first 2 shown]
	s_waitcnt vmcnt(0)
	ds_write_b128 v1, v[59:62]
.LBB90_135:
	s_or_b32 exec_lo, exec_lo, s4
	s_waitcnt lgkmcnt(0)
	s_waitcnt_vscnt null, 0x0
	s_barrier
	buffer_gl0_inv
	s_clause 0x1b
	buffer_load_dword v3, off, s[0:3], 0 offset:360
	buffer_load_dword v4, off, s[0:3], 0 offset:364
	;; [unrolled: 1-line block ×28, first 2 shown]
	ds_read_b128 v[59:62], v2 offset:768
	ds_read_b128 v[63:66], v2 offset:784
	;; [unrolled: 1-line block ×3, first 2 shown]
	s_mov_b32 s4, exec_lo
	s_waitcnt vmcnt(26) lgkmcnt(2)
	v_mul_f64 v[97:98], v[61:62], v[3:4]
	v_mul_f64 v[3:4], v[59:60], v[3:4]
	s_waitcnt vmcnt(24) lgkmcnt(1)
	v_mul_f64 v[99:100], v[65:66], v[71:72]
	v_mul_f64 v[71:72], v[63:64], v[71:72]
	s_waitcnt vmcnt(22)
	v_fma_f64 v[97:98], v[59:60], v[73:74], -v[97:98]
	v_fma_f64 v[3:4], v[61:62], v[73:74], v[3:4]
	ds_read_b128 v[59:62], v2 offset:816
	s_waitcnt vmcnt(20) lgkmcnt(1)
	v_mul_f64 v[73:74], v[67:68], v[75:76]
	v_mul_f64 v[75:76], v[69:70], v[75:76]
	s_waitcnt vmcnt(18)
	v_fma_f64 v[99:100], v[63:64], v[77:78], -v[99:100]
	v_fma_f64 v[71:72], v[65:66], v[77:78], v[71:72]
	ds_read_b128 v[63:66], v2 offset:832
	s_waitcnt vmcnt(14) lgkmcnt(1)
	v_mul_f64 v[77:78], v[59:60], v[79:80]
	v_add_f64 v[97:98], v[97:98], 0
	v_add_f64 v[3:4], v[3:4], 0
	v_mul_f64 v[79:80], v[61:62], v[79:80]
	s_waitcnt vmcnt(12)
	v_fma_f64 v[75:76], v[67:68], v[85:86], -v[75:76]
	v_fma_f64 v[73:74], v[69:70], v[85:86], v[73:74]
	ds_read_b128 v[67:70], v2 offset:848
	s_waitcnt vmcnt(9)
	v_fma_f64 v[61:62], v[61:62], v[87:88], v[77:78]
	v_add_f64 v[97:98], v[97:98], v[99:100]
	v_add_f64 v[3:4], v[3:4], v[71:72]
	s_waitcnt lgkmcnt(1)
	v_mul_f64 v[71:72], v[63:64], v[81:82]
	v_mul_f64 v[81:82], v[65:66], v[81:82]
	v_fma_f64 v[59:60], v[59:60], v[87:88], -v[79:80]
	s_waitcnt vmcnt(7) lgkmcnt(0)
	v_mul_f64 v[77:78], v[69:70], v[89:90]
	v_add_f64 v[75:76], v[97:98], v[75:76]
	v_add_f64 v[2:3], v[3:4], v[73:74]
	v_mul_f64 v[73:74], v[67:68], v[89:90]
	s_waitcnt vmcnt(6)
	v_fma_f64 v[63:64], v[63:64], v[83:84], -v[81:82]
	v_fma_f64 v[65:66], v[65:66], v[83:84], v[71:72]
	v_add_f64 v[59:60], v[75:76], v[59:60]
	v_add_f64 v[2:3], v[2:3], v[61:62]
	s_waitcnt vmcnt(4)
	v_fma_f64 v[61:62], v[67:68], v[91:92], -v[77:78]
	v_add_f64 v[59:60], v[59:60], v[63:64]
	v_fma_f64 v[63:64], v[69:70], v[91:92], v[73:74]
	v_add_f64 v[2:3], v[2:3], v[65:66]
	v_add_f64 v[59:60], v[59:60], v[61:62]
	;; [unrolled: 1-line block ×3, first 2 shown]
	s_waitcnt vmcnt(2)
	v_add_f64 v[59:60], v[93:94], -v[59:60]
	s_waitcnt vmcnt(0)
	v_add_f64 v[2:3], v[95:96], -v[2:3]
	buffer_store_dword v60, off, s[0:3], 0 offset:340
	buffer_store_dword v59, off, s[0:3], 0 offset:336
	;; [unrolled: 1-line block ×4, first 2 shown]
	v_cmpx_lt_u32_e32 19, v0
	s_cbranch_execz .LBB90_137
; %bb.136:
	v_mov_b32_e32 v2, s19
	s_clause 0x3
	buffer_load_dword v59, v2, s[0:3], 0 offen
	buffer_load_dword v60, v2, s[0:3], 0 offen offset:4
	buffer_load_dword v61, v2, s[0:3], 0 offen offset:8
	;; [unrolled: 1-line block ×3, first 2 shown]
	v_mov_b32_e32 v2, 0
	buffer_store_dword v2, off, s[0:3], 0 offset:320
	buffer_store_dword v2, off, s[0:3], 0 offset:324
	;; [unrolled: 1-line block ×4, first 2 shown]
	s_waitcnt vmcnt(0)
	ds_write_b128 v1, v[59:62]
.LBB90_137:
	s_or_b32 exec_lo, exec_lo, s4
	s_waitcnt lgkmcnt(0)
	s_waitcnt_vscnt null, 0x0
	s_barrier
	buffer_gl0_inv
	s_clause 0x1f
	buffer_load_dword v3, off, s[0:3], 0 offset:344
	buffer_load_dword v4, off, s[0:3], 0 offset:348
	;; [unrolled: 1-line block ×32, first 2 shown]
	v_mov_b32_e32 v2, 0
	ds_read_b128 v[59:62], v2 offset:752
	ds_read_b128 v[63:66], v2 offset:768
	;; [unrolled: 1-line block ×3, first 2 shown]
	s_mov_b32 s4, exec_lo
	s_waitcnt vmcnt(30) lgkmcnt(2)
	v_mul_f64 v[101:102], v[61:62], v[3:4]
	v_mul_f64 v[3:4], v[59:60], v[3:4]
	s_waitcnt vmcnt(28) lgkmcnt(1)
	v_mul_f64 v[103:104], v[65:66], v[71:72]
	v_mul_f64 v[71:72], v[63:64], v[71:72]
	s_waitcnt vmcnt(26)
	v_fma_f64 v[101:102], v[59:60], v[73:74], -v[101:102]
	v_fma_f64 v[3:4], v[61:62], v[73:74], v[3:4]
	ds_read_b128 v[59:62], v2 offset:800
	s_waitcnt vmcnt(24) lgkmcnt(1)
	v_mul_f64 v[73:74], v[67:68], v[75:76]
	v_mul_f64 v[75:76], v[69:70], v[75:76]
	s_waitcnt vmcnt(22)
	v_fma_f64 v[103:104], v[63:64], v[77:78], -v[103:104]
	v_fma_f64 v[71:72], v[65:66], v[77:78], v[71:72]
	ds_read_b128 v[63:66], v2 offset:816
	s_waitcnt vmcnt(18) lgkmcnt(1)
	v_mul_f64 v[77:78], v[59:60], v[79:80]
	v_add_f64 v[101:102], v[101:102], 0
	v_add_f64 v[3:4], v[3:4], 0
	v_mul_f64 v[79:80], v[61:62], v[79:80]
	s_waitcnt vmcnt(16)
	v_fma_f64 v[75:76], v[67:68], v[85:86], -v[75:76]
	v_fma_f64 v[73:74], v[69:70], v[85:86], v[73:74]
	ds_read_b128 v[67:70], v2 offset:832
	s_waitcnt vmcnt(13)
	v_fma_f64 v[77:78], v[61:62], v[87:88], v[77:78]
	v_add_f64 v[101:102], v[101:102], v[103:104]
	v_add_f64 v[3:4], v[3:4], v[71:72]
	s_waitcnt lgkmcnt(1)
	v_mul_f64 v[71:72], v[63:64], v[81:82]
	v_mul_f64 v[81:82], v[65:66], v[81:82]
	v_fma_f64 v[79:80], v[59:60], v[87:88], -v[79:80]
	s_waitcnt vmcnt(9) lgkmcnt(0)
	v_mul_f64 v[85:86], v[69:70], v[89:90]
	ds_read_b128 v[59:62], v2 offset:848
	v_add_f64 v[75:76], v[101:102], v[75:76]
	v_add_f64 v[3:4], v[3:4], v[73:74]
	v_mul_f64 v[73:74], v[67:68], v[89:90]
	s_waitcnt vmcnt(8)
	v_fma_f64 v[63:64], v[63:64], v[83:84], -v[81:82]
	v_fma_f64 v[65:66], v[65:66], v[83:84], v[71:72]
	s_waitcnt vmcnt(5)
	v_fma_f64 v[67:68], v[67:68], v[95:96], -v[85:86]
	s_waitcnt lgkmcnt(0)
	v_mul_f64 v[71:72], v[59:60], v[91:92]
	v_add_f64 v[75:76], v[75:76], v[79:80]
	v_add_f64 v[3:4], v[3:4], v[77:78]
	v_mul_f64 v[77:78], v[61:62], v[91:92]
	v_fma_f64 v[69:70], v[69:70], v[95:96], v[73:74]
	s_waitcnt vmcnt(4)
	v_fma_f64 v[61:62], v[61:62], v[93:94], v[71:72]
	v_add_f64 v[63:64], v[75:76], v[63:64]
	v_add_f64 v[3:4], v[3:4], v[65:66]
	v_fma_f64 v[59:60], v[59:60], v[93:94], -v[77:78]
	v_add_f64 v[63:64], v[63:64], v[67:68]
	v_add_f64 v[3:4], v[3:4], v[69:70]
	;; [unrolled: 1-line block ×4, first 2 shown]
	s_waitcnt vmcnt(2)
	v_add_f64 v[59:60], v[97:98], -v[59:60]
	s_waitcnt vmcnt(0)
	v_add_f64 v[3:4], v[99:100], -v[3:4]
	buffer_store_dword v60, off, s[0:3], 0 offset:324
	buffer_store_dword v59, off, s[0:3], 0 offset:320
	;; [unrolled: 1-line block ×4, first 2 shown]
	v_cmpx_lt_u32_e32 18, v0
	s_cbranch_execz .LBB90_139
; %bb.138:
	v_mov_b32_e32 v3, s20
	s_clause 0x3
	buffer_load_dword v59, v3, s[0:3], 0 offen
	buffer_load_dword v60, v3, s[0:3], 0 offen offset:4
	buffer_load_dword v61, v3, s[0:3], 0 offen offset:8
	;; [unrolled: 1-line block ×3, first 2 shown]
	buffer_store_dword v2, off, s[0:3], 0 offset:304
	buffer_store_dword v2, off, s[0:3], 0 offset:308
	buffer_store_dword v2, off, s[0:3], 0 offset:312
	buffer_store_dword v2, off, s[0:3], 0 offset:316
	s_waitcnt vmcnt(0)
	ds_write_b128 v1, v[59:62]
.LBB90_139:
	s_or_b32 exec_lo, exec_lo, s4
	s_waitcnt lgkmcnt(0)
	s_waitcnt_vscnt null, 0x0
	s_barrier
	buffer_gl0_inv
	s_clause 0x23
	buffer_load_dword v3, off, s[0:3], 0 offset:328
	buffer_load_dword v4, off, s[0:3], 0 offset:332
	;; [unrolled: 1-line block ×36, first 2 shown]
	ds_read_b128 v[59:62], v2 offset:736
	ds_read_b128 v[63:66], v2 offset:752
	;; [unrolled: 1-line block ×3, first 2 shown]
	s_mov_b32 s4, exec_lo
	s_waitcnt vmcnt(34) lgkmcnt(2)
	v_mul_f64 v[105:106], v[61:62], v[3:4]
	v_mul_f64 v[3:4], v[59:60], v[3:4]
	s_waitcnt vmcnt(32) lgkmcnt(1)
	v_mul_f64 v[107:108], v[65:66], v[71:72]
	v_mul_f64 v[71:72], v[63:64], v[71:72]
	s_waitcnt vmcnt(30)
	v_fma_f64 v[105:106], v[59:60], v[73:74], -v[105:106]
	v_fma_f64 v[3:4], v[61:62], v[73:74], v[3:4]
	ds_read_b128 v[59:62], v2 offset:784
	s_waitcnt vmcnt(28) lgkmcnt(1)
	v_mul_f64 v[73:74], v[67:68], v[75:76]
	v_mul_f64 v[75:76], v[69:70], v[75:76]
	s_waitcnt vmcnt(26)
	v_fma_f64 v[107:108], v[63:64], v[77:78], -v[107:108]
	v_fma_f64 v[71:72], v[65:66], v[77:78], v[71:72]
	ds_read_b128 v[63:66], v2 offset:800
	s_waitcnt vmcnt(22) lgkmcnt(1)
	v_mul_f64 v[77:78], v[59:60], v[79:80]
	v_add_f64 v[105:106], v[105:106], 0
	v_add_f64 v[3:4], v[3:4], 0
	v_mul_f64 v[79:80], v[61:62], v[79:80]
	s_waitcnt vmcnt(20)
	v_fma_f64 v[75:76], v[67:68], v[85:86], -v[75:76]
	v_fma_f64 v[73:74], v[69:70], v[85:86], v[73:74]
	ds_read_b128 v[67:70], v2 offset:816
	s_waitcnt vmcnt(17)
	v_fma_f64 v[77:78], v[61:62], v[87:88], v[77:78]
	v_add_f64 v[105:106], v[105:106], v[107:108]
	v_add_f64 v[3:4], v[3:4], v[71:72]
	s_waitcnt lgkmcnt(1)
	v_mul_f64 v[71:72], v[63:64], v[81:82]
	v_mul_f64 v[81:82], v[65:66], v[81:82]
	v_fma_f64 v[79:80], v[59:60], v[87:88], -v[79:80]
	s_waitcnt vmcnt(13) lgkmcnt(0)
	v_mul_f64 v[85:86], v[69:70], v[89:90]
	ds_read_b128 v[59:62], v2 offset:832
	v_add_f64 v[75:76], v[105:106], v[75:76]
	v_add_f64 v[3:4], v[3:4], v[73:74]
	v_mul_f64 v[73:74], v[67:68], v[89:90]
	s_waitcnt vmcnt(12)
	v_fma_f64 v[81:82], v[63:64], v[83:84], -v[81:82]
	v_fma_f64 v[71:72], v[65:66], v[83:84], v[71:72]
	ds_read_b128 v[63:66], v2 offset:848
	s_waitcnt vmcnt(9)
	v_fma_f64 v[67:68], v[67:68], v[95:96], -v[85:86]
	v_add_f64 v[75:76], v[75:76], v[79:80]
	v_add_f64 v[3:4], v[3:4], v[77:78]
	s_waitcnt lgkmcnt(1)
	v_mul_f64 v[79:80], v[61:62], v[91:92]
	v_mul_f64 v[77:78], v[59:60], v[91:92]
	v_fma_f64 v[69:70], v[69:70], v[95:96], v[73:74]
	s_waitcnt vmcnt(7) lgkmcnt(0)
	v_mul_f64 v[73:74], v[65:66], v[97:98]
	v_add_f64 v[75:76], v[75:76], v[81:82]
	v_add_f64 v[2:3], v[3:4], v[71:72]
	s_waitcnt vmcnt(6)
	v_fma_f64 v[59:60], v[59:60], v[93:94], -v[79:80]
	v_mul_f64 v[71:72], v[63:64], v[97:98]
	v_fma_f64 v[61:62], v[61:62], v[93:94], v[77:78]
	s_waitcnt vmcnt(4)
	v_fma_f64 v[63:64], v[63:64], v[99:100], -v[73:74]
	v_add_f64 v[67:68], v[75:76], v[67:68]
	v_add_f64 v[2:3], v[2:3], v[69:70]
	v_fma_f64 v[65:66], v[65:66], v[99:100], v[71:72]
	v_add_f64 v[59:60], v[67:68], v[59:60]
	v_add_f64 v[2:3], v[2:3], v[61:62]
	;; [unrolled: 1-line block ×4, first 2 shown]
	s_waitcnt vmcnt(2)
	v_add_f64 v[59:60], v[101:102], -v[59:60]
	s_waitcnt vmcnt(0)
	v_add_f64 v[2:3], v[103:104], -v[2:3]
	buffer_store_dword v60, off, s[0:3], 0 offset:308
	buffer_store_dword v59, off, s[0:3], 0 offset:304
	;; [unrolled: 1-line block ×4, first 2 shown]
	v_cmpx_lt_u32_e32 17, v0
	s_cbranch_execz .LBB90_141
; %bb.140:
	v_mov_b32_e32 v2, s21
	s_clause 0x3
	buffer_load_dword v59, v2, s[0:3], 0 offen
	buffer_load_dword v60, v2, s[0:3], 0 offen offset:4
	buffer_load_dword v61, v2, s[0:3], 0 offen offset:8
	;; [unrolled: 1-line block ×3, first 2 shown]
	v_mov_b32_e32 v2, 0
	buffer_store_dword v2, off, s[0:3], 0 offset:288
	buffer_store_dword v2, off, s[0:3], 0 offset:292
	;; [unrolled: 1-line block ×4, first 2 shown]
	s_waitcnt vmcnt(0)
	ds_write_b128 v1, v[59:62]
.LBB90_141:
	s_or_b32 exec_lo, exec_lo, s4
	s_waitcnt lgkmcnt(0)
	s_waitcnt_vscnt null, 0x0
	s_barrier
	buffer_gl0_inv
	s_clause 0x27
	buffer_load_dword v3, off, s[0:3], 0 offset:312
	buffer_load_dword v4, off, s[0:3], 0 offset:316
	;; [unrolled: 1-line block ×40, first 2 shown]
	v_mov_b32_e32 v2, 0
	ds_read_b128 v[59:62], v2 offset:720
	ds_read_b128 v[63:66], v2 offset:736
	;; [unrolled: 1-line block ×3, first 2 shown]
	s_mov_b32 s4, exec_lo
	s_waitcnt vmcnt(38) lgkmcnt(2)
	v_mul_f64 v[109:110], v[61:62], v[3:4]
	v_mul_f64 v[3:4], v[59:60], v[3:4]
	s_waitcnt vmcnt(36) lgkmcnt(1)
	v_mul_f64 v[111:112], v[65:66], v[71:72]
	v_mul_f64 v[71:72], v[63:64], v[71:72]
	s_waitcnt vmcnt(34)
	v_fma_f64 v[109:110], v[59:60], v[73:74], -v[109:110]
	v_fma_f64 v[3:4], v[61:62], v[73:74], v[3:4]
	ds_read_b128 v[59:62], v2 offset:768
	s_waitcnt vmcnt(32) lgkmcnt(1)
	v_mul_f64 v[73:74], v[67:68], v[75:76]
	v_mul_f64 v[75:76], v[69:70], v[75:76]
	s_waitcnt vmcnt(30)
	v_fma_f64 v[111:112], v[63:64], v[77:78], -v[111:112]
	v_fma_f64 v[71:72], v[65:66], v[77:78], v[71:72]
	ds_read_b128 v[63:66], v2 offset:784
	s_waitcnt vmcnt(26) lgkmcnt(1)
	v_mul_f64 v[77:78], v[59:60], v[79:80]
	v_add_f64 v[109:110], v[109:110], 0
	v_add_f64 v[3:4], v[3:4], 0
	v_mul_f64 v[79:80], v[61:62], v[79:80]
	s_waitcnt vmcnt(24)
	v_fma_f64 v[75:76], v[67:68], v[85:86], -v[75:76]
	v_fma_f64 v[73:74], v[69:70], v[85:86], v[73:74]
	ds_read_b128 v[67:70], v2 offset:800
	s_waitcnt vmcnt(21)
	v_fma_f64 v[77:78], v[61:62], v[87:88], v[77:78]
	v_add_f64 v[109:110], v[109:110], v[111:112]
	v_add_f64 v[3:4], v[3:4], v[71:72]
	s_waitcnt lgkmcnt(1)
	v_mul_f64 v[71:72], v[63:64], v[81:82]
	v_mul_f64 v[81:82], v[65:66], v[81:82]
	v_fma_f64 v[79:80], v[59:60], v[87:88], -v[79:80]
	s_waitcnt vmcnt(17) lgkmcnt(0)
	v_mul_f64 v[85:86], v[69:70], v[89:90]
	ds_read_b128 v[59:62], v2 offset:816
	v_add_f64 v[75:76], v[109:110], v[75:76]
	v_add_f64 v[3:4], v[3:4], v[73:74]
	v_mul_f64 v[73:74], v[67:68], v[89:90]
	s_waitcnt vmcnt(16)
	v_fma_f64 v[81:82], v[63:64], v[83:84], -v[81:82]
	v_fma_f64 v[71:72], v[65:66], v[83:84], v[71:72]
	ds_read_b128 v[63:66], v2 offset:832
	s_waitcnt vmcnt(13)
	v_fma_f64 v[83:84], v[67:68], v[95:96], -v[85:86]
	v_add_f64 v[75:76], v[75:76], v[79:80]
	v_add_f64 v[3:4], v[3:4], v[77:78]
	s_waitcnt lgkmcnt(1)
	v_mul_f64 v[79:80], v[61:62], v[91:92]
	v_mul_f64 v[77:78], v[59:60], v[91:92]
	v_fma_f64 v[73:74], v[69:70], v[95:96], v[73:74]
	ds_read_b128 v[67:70], v2 offset:848
	v_add_f64 v[75:76], v[75:76], v[81:82]
	v_add_f64 v[3:4], v[3:4], v[71:72]
	s_waitcnt vmcnt(9) lgkmcnt(1)
	v_mul_f64 v[81:82], v[65:66], v[97:98]
	s_waitcnt vmcnt(8)
	v_fma_f64 v[59:60], v[59:60], v[93:94], -v[79:80]
	v_mul_f64 v[71:72], v[63:64], v[97:98]
	v_fma_f64 v[61:62], v[61:62], v[93:94], v[77:78]
	s_waitcnt vmcnt(7) lgkmcnt(0)
	v_mul_f64 v[77:78], v[69:70], v[99:100]
	v_add_f64 v[75:76], v[75:76], v[83:84]
	v_add_f64 v[3:4], v[3:4], v[73:74]
	s_waitcnt vmcnt(5)
	v_fma_f64 v[63:64], v[63:64], v[103:104], -v[81:82]
	v_mul_f64 v[73:74], v[67:68], v[99:100]
	v_fma_f64 v[65:66], v[65:66], v[103:104], v[71:72]
	v_add_f64 v[59:60], v[75:76], v[59:60]
	v_add_f64 v[3:4], v[3:4], v[61:62]
	s_waitcnt vmcnt(4)
	v_fma_f64 v[61:62], v[67:68], v[101:102], -v[77:78]
	v_add_f64 v[59:60], v[59:60], v[63:64]
	v_fma_f64 v[63:64], v[69:70], v[101:102], v[73:74]
	v_add_f64 v[3:4], v[3:4], v[65:66]
	v_add_f64 v[59:60], v[59:60], v[61:62]
	v_add_f64 v[3:4], v[3:4], v[63:64]
	s_waitcnt vmcnt(2)
	v_add_f64 v[59:60], v[105:106], -v[59:60]
	s_waitcnt vmcnt(0)
	v_add_f64 v[3:4], v[107:108], -v[3:4]
	buffer_store_dword v60, off, s[0:3], 0 offset:292
	buffer_store_dword v59, off, s[0:3], 0 offset:288
	;; [unrolled: 1-line block ×4, first 2 shown]
	v_cmpx_lt_u32_e32 16, v0
	s_cbranch_execz .LBB90_143
; %bb.142:
	v_mov_b32_e32 v3, s22
	s_clause 0x3
	buffer_load_dword v59, v3, s[0:3], 0 offen
	buffer_load_dword v60, v3, s[0:3], 0 offen offset:4
	buffer_load_dword v61, v3, s[0:3], 0 offen offset:8
	;; [unrolled: 1-line block ×3, first 2 shown]
	buffer_store_dword v2, off, s[0:3], 0 offset:272
	buffer_store_dword v2, off, s[0:3], 0 offset:276
	buffer_store_dword v2, off, s[0:3], 0 offset:280
	buffer_store_dword v2, off, s[0:3], 0 offset:284
	s_waitcnt vmcnt(0)
	ds_write_b128 v1, v[59:62]
.LBB90_143:
	s_or_b32 exec_lo, exec_lo, s4
	s_waitcnt lgkmcnt(0)
	s_waitcnt_vscnt null, 0x0
	s_barrier
	buffer_gl0_inv
	s_clause 0x2b
	buffer_load_dword v3, off, s[0:3], 0 offset:296
	buffer_load_dword v4, off, s[0:3], 0 offset:300
	;; [unrolled: 1-line block ×44, first 2 shown]
	ds_read_b128 v[59:62], v2 offset:704
	ds_read_b128 v[63:66], v2 offset:720
	;; [unrolled: 1-line block ×3, first 2 shown]
	s_mov_b32 s4, exec_lo
	s_waitcnt vmcnt(42) lgkmcnt(2)
	v_mul_f64 v[113:114], v[61:62], v[3:4]
	v_mul_f64 v[3:4], v[59:60], v[3:4]
	s_waitcnt vmcnt(40) lgkmcnt(1)
	v_mul_f64 v[115:116], v[65:66], v[71:72]
	v_mul_f64 v[71:72], v[63:64], v[71:72]
	s_waitcnt vmcnt(38)
	v_fma_f64 v[113:114], v[59:60], v[73:74], -v[113:114]
	v_fma_f64 v[3:4], v[61:62], v[73:74], v[3:4]
	ds_read_b128 v[59:62], v2 offset:752
	s_waitcnt vmcnt(36) lgkmcnt(1)
	v_mul_f64 v[73:74], v[67:68], v[75:76]
	v_mul_f64 v[75:76], v[69:70], v[75:76]
	s_waitcnt vmcnt(34)
	v_fma_f64 v[115:116], v[63:64], v[77:78], -v[115:116]
	v_fma_f64 v[71:72], v[65:66], v[77:78], v[71:72]
	ds_read_b128 v[63:66], v2 offset:768
	s_waitcnt vmcnt(30) lgkmcnt(1)
	v_mul_f64 v[77:78], v[59:60], v[79:80]
	v_add_f64 v[113:114], v[113:114], 0
	v_add_f64 v[3:4], v[3:4], 0
	v_mul_f64 v[79:80], v[61:62], v[79:80]
	s_waitcnt vmcnt(28)
	v_fma_f64 v[75:76], v[67:68], v[85:86], -v[75:76]
	v_fma_f64 v[73:74], v[69:70], v[85:86], v[73:74]
	ds_read_b128 v[67:70], v2 offset:784
	s_waitcnt vmcnt(25)
	v_fma_f64 v[77:78], v[61:62], v[87:88], v[77:78]
	v_add_f64 v[113:114], v[113:114], v[115:116]
	v_add_f64 v[3:4], v[3:4], v[71:72]
	s_waitcnt lgkmcnt(1)
	v_mul_f64 v[71:72], v[63:64], v[81:82]
	v_mul_f64 v[81:82], v[65:66], v[81:82]
	v_fma_f64 v[79:80], v[59:60], v[87:88], -v[79:80]
	s_waitcnt vmcnt(21) lgkmcnt(0)
	v_mul_f64 v[85:86], v[69:70], v[89:90]
	ds_read_b128 v[59:62], v2 offset:800
	v_add_f64 v[75:76], v[113:114], v[75:76]
	v_add_f64 v[3:4], v[3:4], v[73:74]
	v_mul_f64 v[73:74], v[67:68], v[89:90]
	s_waitcnt vmcnt(20)
	v_fma_f64 v[81:82], v[63:64], v[83:84], -v[81:82]
	v_fma_f64 v[71:72], v[65:66], v[83:84], v[71:72]
	ds_read_b128 v[63:66], v2 offset:816
	s_waitcnt vmcnt(17)
	v_fma_f64 v[83:84], v[67:68], v[95:96], -v[85:86]
	v_add_f64 v[75:76], v[75:76], v[79:80]
	v_add_f64 v[3:4], v[3:4], v[77:78]
	s_waitcnt lgkmcnt(1)
	v_mul_f64 v[79:80], v[61:62], v[91:92]
	v_mul_f64 v[77:78], v[59:60], v[91:92]
	v_fma_f64 v[73:74], v[69:70], v[95:96], v[73:74]
	ds_read_b128 v[67:70], v2 offset:832
	v_add_f64 v[75:76], v[75:76], v[81:82]
	v_add_f64 v[3:4], v[3:4], v[71:72]
	s_waitcnt vmcnt(13) lgkmcnt(1)
	v_mul_f64 v[81:82], v[65:66], v[97:98]
	s_waitcnt vmcnt(12)
	v_fma_f64 v[79:80], v[59:60], v[93:94], -v[79:80]
	v_mul_f64 v[71:72], v[63:64], v[97:98]
	v_fma_f64 v[77:78], v[61:62], v[93:94], v[77:78]
	ds_read_b128 v[59:62], v2 offset:848
	v_add_f64 v[75:76], v[75:76], v[83:84]
	v_add_f64 v[3:4], v[3:4], v[73:74]
	s_waitcnt vmcnt(11) lgkmcnt(1)
	v_mul_f64 v[83:84], v[69:70], v[99:100]
	s_waitcnt vmcnt(9)
	v_fma_f64 v[63:64], v[63:64], v[103:104], -v[81:82]
	v_mul_f64 v[73:74], v[67:68], v[99:100]
	v_fma_f64 v[65:66], v[65:66], v[103:104], v[71:72]
	s_waitcnt vmcnt(7) lgkmcnt(0)
	v_mul_f64 v[71:72], v[59:60], v[105:106]
	v_add_f64 v[75:76], v[75:76], v[79:80]
	v_add_f64 v[2:3], v[3:4], v[77:78]
	v_mul_f64 v[77:78], v[61:62], v[105:106]
	s_waitcnt vmcnt(6)
	v_fma_f64 v[67:68], v[67:68], v[101:102], -v[83:84]
	v_fma_f64 v[69:70], v[69:70], v[101:102], v[73:74]
	s_waitcnt vmcnt(4)
	v_fma_f64 v[61:62], v[61:62], v[107:108], v[71:72]
	v_add_f64 v[63:64], v[75:76], v[63:64]
	v_add_f64 v[2:3], v[2:3], v[65:66]
	v_fma_f64 v[59:60], v[59:60], v[107:108], -v[77:78]
	v_add_f64 v[63:64], v[63:64], v[67:68]
	v_add_f64 v[2:3], v[2:3], v[69:70]
	;; [unrolled: 1-line block ×4, first 2 shown]
	s_waitcnt vmcnt(2)
	v_add_f64 v[59:60], v[109:110], -v[59:60]
	s_waitcnt vmcnt(0)
	v_add_f64 v[2:3], v[111:112], -v[2:3]
	buffer_store_dword v60, off, s[0:3], 0 offset:276
	buffer_store_dword v59, off, s[0:3], 0 offset:272
	;; [unrolled: 1-line block ×4, first 2 shown]
	v_cmpx_lt_u32_e32 15, v0
	s_cbranch_execz .LBB90_145
; %bb.144:
	v_mov_b32_e32 v2, s23
	s_clause 0x3
	buffer_load_dword v59, v2, s[0:3], 0 offen
	buffer_load_dword v60, v2, s[0:3], 0 offen offset:4
	buffer_load_dword v61, v2, s[0:3], 0 offen offset:8
	;; [unrolled: 1-line block ×3, first 2 shown]
	v_mov_b32_e32 v2, 0
	buffer_store_dword v2, off, s[0:3], 0 offset:256
	buffer_store_dword v2, off, s[0:3], 0 offset:260
	;; [unrolled: 1-line block ×4, first 2 shown]
	s_waitcnt vmcnt(0)
	ds_write_b128 v1, v[59:62]
.LBB90_145:
	s_or_b32 exec_lo, exec_lo, s4
	s_waitcnt lgkmcnt(0)
	s_waitcnt_vscnt null, 0x0
	s_barrier
	buffer_gl0_inv
	s_clause 0x2f
	buffer_load_dword v3, off, s[0:3], 0 offset:280
	buffer_load_dword v4, off, s[0:3], 0 offset:284
	;; [unrolled: 1-line block ×48, first 2 shown]
	v_mov_b32_e32 v2, 0
	ds_read_b128 v[59:62], v2 offset:688
	ds_read_b128 v[63:66], v2 offset:704
	;; [unrolled: 1-line block ×3, first 2 shown]
	s_mov_b32 s4, exec_lo
	s_waitcnt vmcnt(46) lgkmcnt(2)
	v_mul_f64 v[117:118], v[61:62], v[3:4]
	v_mul_f64 v[3:4], v[59:60], v[3:4]
	s_waitcnt vmcnt(44) lgkmcnt(1)
	v_mul_f64 v[119:120], v[65:66], v[71:72]
	v_mul_f64 v[71:72], v[63:64], v[71:72]
	s_waitcnt vmcnt(42)
	v_fma_f64 v[117:118], v[59:60], v[73:74], -v[117:118]
	v_fma_f64 v[3:4], v[61:62], v[73:74], v[3:4]
	ds_read_b128 v[59:62], v2 offset:736
	s_waitcnt vmcnt(40) lgkmcnt(1)
	v_mul_f64 v[73:74], v[67:68], v[75:76]
	v_mul_f64 v[75:76], v[69:70], v[75:76]
	s_waitcnt vmcnt(38)
	v_fma_f64 v[119:120], v[63:64], v[77:78], -v[119:120]
	v_fma_f64 v[71:72], v[65:66], v[77:78], v[71:72]
	ds_read_b128 v[63:66], v2 offset:752
	s_waitcnt vmcnt(34) lgkmcnt(1)
	v_mul_f64 v[77:78], v[59:60], v[79:80]
	v_add_f64 v[117:118], v[117:118], 0
	v_add_f64 v[3:4], v[3:4], 0
	v_mul_f64 v[79:80], v[61:62], v[79:80]
	s_waitcnt vmcnt(32)
	v_fma_f64 v[75:76], v[67:68], v[85:86], -v[75:76]
	v_fma_f64 v[73:74], v[69:70], v[85:86], v[73:74]
	ds_read_b128 v[67:70], v2 offset:768
	s_waitcnt vmcnt(29)
	v_fma_f64 v[77:78], v[61:62], v[87:88], v[77:78]
	v_add_f64 v[117:118], v[117:118], v[119:120]
	v_add_f64 v[3:4], v[3:4], v[71:72]
	s_waitcnt lgkmcnt(1)
	v_mul_f64 v[71:72], v[63:64], v[81:82]
	v_mul_f64 v[81:82], v[65:66], v[81:82]
	v_fma_f64 v[79:80], v[59:60], v[87:88], -v[79:80]
	s_waitcnt vmcnt(25) lgkmcnt(0)
	v_mul_f64 v[85:86], v[69:70], v[89:90]
	ds_read_b128 v[59:62], v2 offset:784
	v_add_f64 v[75:76], v[117:118], v[75:76]
	v_add_f64 v[3:4], v[3:4], v[73:74]
	v_mul_f64 v[73:74], v[67:68], v[89:90]
	s_waitcnt vmcnt(24)
	v_fma_f64 v[81:82], v[63:64], v[83:84], -v[81:82]
	v_fma_f64 v[71:72], v[65:66], v[83:84], v[71:72]
	ds_read_b128 v[63:66], v2 offset:800
	s_waitcnt vmcnt(21)
	v_fma_f64 v[83:84], v[67:68], v[95:96], -v[85:86]
	v_add_f64 v[75:76], v[75:76], v[79:80]
	v_add_f64 v[3:4], v[3:4], v[77:78]
	s_waitcnt lgkmcnt(1)
	v_mul_f64 v[79:80], v[61:62], v[91:92]
	v_mul_f64 v[77:78], v[59:60], v[91:92]
	v_fma_f64 v[73:74], v[69:70], v[95:96], v[73:74]
	ds_read_b128 v[67:70], v2 offset:816
	v_add_f64 v[75:76], v[75:76], v[81:82]
	v_add_f64 v[3:4], v[3:4], v[71:72]
	s_waitcnt vmcnt(17) lgkmcnt(1)
	v_mul_f64 v[81:82], v[65:66], v[97:98]
	s_waitcnt vmcnt(16)
	v_fma_f64 v[79:80], v[59:60], v[93:94], -v[79:80]
	v_mul_f64 v[71:72], v[63:64], v[97:98]
	v_fma_f64 v[77:78], v[61:62], v[93:94], v[77:78]
	ds_read_b128 v[59:62], v2 offset:832
	v_add_f64 v[75:76], v[75:76], v[83:84]
	v_add_f64 v[3:4], v[3:4], v[73:74]
	s_waitcnt vmcnt(15) lgkmcnt(1)
	v_mul_f64 v[83:84], v[69:70], v[99:100]
	s_waitcnt vmcnt(13)
	v_fma_f64 v[81:82], v[63:64], v[103:104], -v[81:82]
	;; [unrolled: 9-line block ×3, first 2 shown]
	v_mul_f64 v[77:78], v[59:60], v[105:106]
	v_fma_f64 v[69:70], v[69:70], v[101:102], v[73:74]
	s_waitcnt vmcnt(7) lgkmcnt(0)
	v_mul_f64 v[73:74], v[65:66], v[107:108]
	v_add_f64 v[75:76], v[75:76], v[81:82]
	v_add_f64 v[3:4], v[3:4], v[71:72]
	s_waitcnt vmcnt(5)
	v_fma_f64 v[59:60], v[59:60], v[111:112], -v[79:80]
	v_mul_f64 v[71:72], v[63:64], v[107:108]
	v_fma_f64 v[61:62], v[61:62], v[111:112], v[77:78]
	s_waitcnt vmcnt(4)
	v_fma_f64 v[63:64], v[63:64], v[109:110], -v[73:74]
	v_add_f64 v[67:68], v[75:76], v[67:68]
	v_add_f64 v[3:4], v[3:4], v[69:70]
	v_fma_f64 v[65:66], v[65:66], v[109:110], v[71:72]
	v_add_f64 v[59:60], v[67:68], v[59:60]
	v_add_f64 v[3:4], v[3:4], v[61:62]
	;; [unrolled: 1-line block ×4, first 2 shown]
	s_waitcnt vmcnt(2)
	v_add_f64 v[59:60], v[113:114], -v[59:60]
	s_waitcnt vmcnt(0)
	v_add_f64 v[3:4], v[115:116], -v[3:4]
	buffer_store_dword v60, off, s[0:3], 0 offset:260
	buffer_store_dword v59, off, s[0:3], 0 offset:256
	;; [unrolled: 1-line block ×4, first 2 shown]
	v_cmpx_lt_u32_e32 14, v0
	s_cbranch_execz .LBB90_147
; %bb.146:
	v_mov_b32_e32 v3, s24
	s_clause 0x3
	buffer_load_dword v59, v3, s[0:3], 0 offen
	buffer_load_dword v60, v3, s[0:3], 0 offen offset:4
	buffer_load_dword v61, v3, s[0:3], 0 offen offset:8
	;; [unrolled: 1-line block ×3, first 2 shown]
	buffer_store_dword v2, off, s[0:3], 0 offset:240
	buffer_store_dword v2, off, s[0:3], 0 offset:244
	;; [unrolled: 1-line block ×4, first 2 shown]
	s_waitcnt vmcnt(0)
	ds_write_b128 v1, v[59:62]
.LBB90_147:
	s_or_b32 exec_lo, exec_lo, s4
	s_waitcnt lgkmcnt(0)
	s_waitcnt_vscnt null, 0x0
	s_barrier
	buffer_gl0_inv
	s_clause 0x2f
	buffer_load_dword v3, off, s[0:3], 0 offset:264
	buffer_load_dword v4, off, s[0:3], 0 offset:268
	;; [unrolled: 1-line block ×48, first 2 shown]
	ds_read_b128 v[59:62], v2 offset:672
	s_clause 0x3
	buffer_load_dword v117, off, s[0:3], 0 offset:240
	buffer_load_dword v118, off, s[0:3], 0 offset:244
	;; [unrolled: 1-line block ×4, first 2 shown]
	ds_read_b128 v[63:66], v2 offset:688
	ds_read_b128 v[67:70], v2 offset:704
	s_mov_b32 s4, exec_lo
	s_waitcnt vmcnt(50) lgkmcnt(2)
	v_mul_f64 v[121:122], v[61:62], v[3:4]
	v_mul_f64 v[3:4], v[59:60], v[3:4]
	s_waitcnt vmcnt(48) lgkmcnt(1)
	v_mul_f64 v[123:124], v[65:66], v[71:72]
	v_mul_f64 v[71:72], v[63:64], v[71:72]
	s_waitcnt vmcnt(46)
	v_fma_f64 v[121:122], v[59:60], v[73:74], -v[121:122]
	v_fma_f64 v[3:4], v[61:62], v[73:74], v[3:4]
	s_waitcnt vmcnt(44) lgkmcnt(0)
	v_mul_f64 v[73:74], v[67:68], v[75:76]
	v_mul_f64 v[75:76], v[69:70], v[75:76]
	s_waitcnt vmcnt(42)
	v_fma_f64 v[123:124], v[63:64], v[77:78], -v[123:124]
	ds_read_b128 v[59:62], v2 offset:720
	v_fma_f64 v[71:72], v[65:66], v[77:78], v[71:72]
	ds_read_b128 v[63:66], v2 offset:736
	v_add_f64 v[121:122], v[121:122], 0
	v_add_f64 v[3:4], v[3:4], 0
	s_waitcnt vmcnt(36)
	v_fma_f64 v[73:74], v[69:70], v[85:86], v[73:74]
	s_waitcnt lgkmcnt(1)
	v_mul_f64 v[77:78], v[59:60], v[79:80]
	v_mul_f64 v[79:80], v[61:62], v[79:80]
	v_fma_f64 v[75:76], v[67:68], v[85:86], -v[75:76]
	ds_read_b128 v[67:70], v2 offset:752
	v_add_f64 v[121:122], v[121:122], v[123:124]
	v_add_f64 v[3:4], v[3:4], v[71:72]
	s_waitcnt vmcnt(35) lgkmcnt(1)
	v_mul_f64 v[71:72], v[63:64], v[81:82]
	v_mul_f64 v[81:82], v[65:66], v[81:82]
	s_waitcnt vmcnt(33)
	v_fma_f64 v[79:80], v[59:60], v[87:88], -v[79:80]
	v_fma_f64 v[77:78], v[61:62], v[87:88], v[77:78]
	ds_read_b128 v[59:62], v2 offset:768
	s_waitcnt vmcnt(29) lgkmcnt(1)
	v_mul_f64 v[85:86], v[69:70], v[89:90]
	v_add_f64 v[75:76], v[121:122], v[75:76]
	v_add_f64 v[3:4], v[3:4], v[73:74]
	v_mul_f64 v[73:74], v[67:68], v[89:90]
	s_waitcnt vmcnt(28)
	v_fma_f64 v[81:82], v[63:64], v[83:84], -v[81:82]
	v_fma_f64 v[71:72], v[65:66], v[83:84], v[71:72]
	ds_read_b128 v[63:66], v2 offset:784
	s_waitcnt vmcnt(25)
	v_fma_f64 v[83:84], v[67:68], v[95:96], -v[85:86]
	v_add_f64 v[75:76], v[75:76], v[79:80]
	v_add_f64 v[3:4], v[3:4], v[77:78]
	s_waitcnt lgkmcnt(1)
	v_mul_f64 v[79:80], v[61:62], v[91:92]
	v_mul_f64 v[77:78], v[59:60], v[91:92]
	v_fma_f64 v[73:74], v[69:70], v[95:96], v[73:74]
	ds_read_b128 v[67:70], v2 offset:800
	v_add_f64 v[75:76], v[75:76], v[81:82]
	v_add_f64 v[3:4], v[3:4], v[71:72]
	s_waitcnt vmcnt(21) lgkmcnt(1)
	v_mul_f64 v[81:82], v[65:66], v[97:98]
	s_waitcnt vmcnt(20)
	v_fma_f64 v[79:80], v[59:60], v[93:94], -v[79:80]
	v_mul_f64 v[71:72], v[63:64], v[97:98]
	v_fma_f64 v[77:78], v[61:62], v[93:94], v[77:78]
	ds_read_b128 v[59:62], v2 offset:816
	v_add_f64 v[75:76], v[75:76], v[83:84]
	v_add_f64 v[3:4], v[3:4], v[73:74]
	s_waitcnt vmcnt(19) lgkmcnt(1)
	v_mul_f64 v[83:84], v[69:70], v[99:100]
	s_waitcnt vmcnt(17)
	v_fma_f64 v[81:82], v[63:64], v[103:104], -v[81:82]
	;; [unrolled: 9-line block ×4, first 2 shown]
	v_mul_f64 v[71:72], v[63:64], v[107:108]
	v_fma_f64 v[61:62], v[61:62], v[111:112], v[77:78]
	s_waitcnt vmcnt(7) lgkmcnt(0)
	v_mul_f64 v[77:78], v[69:70], v[113:114]
	v_add_f64 v[75:76], v[75:76], v[83:84]
	v_add_f64 v[2:3], v[3:4], v[73:74]
	s_waitcnt vmcnt(6)
	v_fma_f64 v[63:64], v[63:64], v[109:110], -v[81:82]
	v_mul_f64 v[73:74], v[67:68], v[113:114]
	v_fma_f64 v[65:66], v[65:66], v[109:110], v[71:72]
	v_add_f64 v[59:60], v[75:76], v[59:60]
	v_add_f64 v[2:3], v[2:3], v[61:62]
	s_waitcnt vmcnt(4)
	v_fma_f64 v[61:62], v[67:68], v[115:116], -v[77:78]
	v_add_f64 v[59:60], v[59:60], v[63:64]
	v_fma_f64 v[63:64], v[69:70], v[115:116], v[73:74]
	v_add_f64 v[2:3], v[2:3], v[65:66]
	v_add_f64 v[59:60], v[59:60], v[61:62]
	;; [unrolled: 1-line block ×3, first 2 shown]
	s_waitcnt vmcnt(2)
	v_add_f64 v[59:60], v[117:118], -v[59:60]
	s_waitcnt vmcnt(0)
	v_add_f64 v[2:3], v[119:120], -v[2:3]
	buffer_store_dword v60, off, s[0:3], 0 offset:244
	buffer_store_dword v59, off, s[0:3], 0 offset:240
	;; [unrolled: 1-line block ×4, first 2 shown]
	v_cmpx_lt_u32_e32 13, v0
	s_cbranch_execz .LBB90_149
; %bb.148:
	v_mov_b32_e32 v2, s25
	s_clause 0x3
	buffer_load_dword v59, v2, s[0:3], 0 offen
	buffer_load_dword v60, v2, s[0:3], 0 offen offset:4
	buffer_load_dword v61, v2, s[0:3], 0 offen offset:8
	;; [unrolled: 1-line block ×3, first 2 shown]
	v_mov_b32_e32 v2, 0
	buffer_store_dword v2, off, s[0:3], 0 offset:224
	buffer_store_dword v2, off, s[0:3], 0 offset:228
	;; [unrolled: 1-line block ×4, first 2 shown]
	s_waitcnt vmcnt(0)
	ds_write_b128 v1, v[59:62]
.LBB90_149:
	s_or_b32 exec_lo, exec_lo, s4
	s_waitcnt lgkmcnt(0)
	s_waitcnt_vscnt null, 0x0
	s_barrier
	buffer_gl0_inv
	s_clause 0x33
	buffer_load_dword v3, off, s[0:3], 0 offset:248
	buffer_load_dword v4, off, s[0:3], 0 offset:252
	;; [unrolled: 1-line block ×52, first 2 shown]
	v_mov_b32_e32 v2, 0
	ds_read_b128 v[59:62], v2 offset:656
	ds_read_b128 v[63:66], v2 offset:672
	s_clause 0x3
	buffer_load_dword v123, off, s[0:3], 0 offset:224
	buffer_load_dword v124, off, s[0:3], 0 offset:228
	;; [unrolled: 1-line block ×4, first 2 shown]
	ds_read_b128 v[67:70], v2 offset:688
	s_mov_b32 s4, exec_lo
	s_waitcnt vmcnt(54) lgkmcnt(2)
	v_mul_f64 v[121:122], v[61:62], v[3:4]
	v_mul_f64 v[3:4], v[59:60], v[3:4]
	s_waitcnt vmcnt(52) lgkmcnt(1)
	v_mul_f64 v[127:128], v[65:66], v[71:72]
	v_mul_f64 v[71:72], v[63:64], v[71:72]
	s_waitcnt vmcnt(50)
	v_fma_f64 v[121:122], v[59:60], v[73:74], -v[121:122]
	v_fma_f64 v[3:4], v[61:62], v[73:74], v[3:4]
	ds_read_b128 v[59:62], v2 offset:704
	s_waitcnt vmcnt(48) lgkmcnt(1)
	v_mul_f64 v[73:74], v[67:68], v[75:76]
	v_mul_f64 v[75:76], v[69:70], v[75:76]
	s_waitcnt vmcnt(46)
	v_fma_f64 v[127:128], v[63:64], v[77:78], -v[127:128]
	v_fma_f64 v[71:72], v[65:66], v[77:78], v[71:72]
	ds_read_b128 v[63:66], v2 offset:720
	s_waitcnt vmcnt(42) lgkmcnt(1)
	v_mul_f64 v[77:78], v[59:60], v[79:80]
	v_add_f64 v[121:122], v[121:122], 0
	v_add_f64 v[3:4], v[3:4], 0
	v_mul_f64 v[79:80], v[61:62], v[79:80]
	s_waitcnt vmcnt(40)
	v_fma_f64 v[75:76], v[67:68], v[85:86], -v[75:76]
	v_fma_f64 v[73:74], v[69:70], v[85:86], v[73:74]
	ds_read_b128 v[67:70], v2 offset:736
	s_waitcnt vmcnt(37)
	v_fma_f64 v[77:78], v[61:62], v[87:88], v[77:78]
	v_add_f64 v[121:122], v[121:122], v[127:128]
	v_add_f64 v[3:4], v[3:4], v[71:72]
	s_waitcnt lgkmcnt(1)
	v_mul_f64 v[71:72], v[63:64], v[81:82]
	v_mul_f64 v[81:82], v[65:66], v[81:82]
	v_fma_f64 v[79:80], v[59:60], v[87:88], -v[79:80]
	s_waitcnt vmcnt(33) lgkmcnt(0)
	v_mul_f64 v[85:86], v[69:70], v[89:90]
	ds_read_b128 v[59:62], v2 offset:752
	v_add_f64 v[75:76], v[121:122], v[75:76]
	v_add_f64 v[3:4], v[3:4], v[73:74]
	v_mul_f64 v[73:74], v[67:68], v[89:90]
	s_waitcnt vmcnt(32)
	v_fma_f64 v[81:82], v[63:64], v[83:84], -v[81:82]
	v_fma_f64 v[71:72], v[65:66], v[83:84], v[71:72]
	ds_read_b128 v[63:66], v2 offset:768
	s_waitcnt vmcnt(29)
	v_fma_f64 v[83:84], v[67:68], v[95:96], -v[85:86]
	v_add_f64 v[75:76], v[75:76], v[79:80]
	v_add_f64 v[3:4], v[3:4], v[77:78]
	s_waitcnt lgkmcnt(1)
	v_mul_f64 v[79:80], v[61:62], v[91:92]
	v_mul_f64 v[77:78], v[59:60], v[91:92]
	v_fma_f64 v[73:74], v[69:70], v[95:96], v[73:74]
	ds_read_b128 v[67:70], v2 offset:784
	v_add_f64 v[75:76], v[75:76], v[81:82]
	v_add_f64 v[3:4], v[3:4], v[71:72]
	s_waitcnt vmcnt(25) lgkmcnt(1)
	v_mul_f64 v[81:82], v[65:66], v[97:98]
	s_waitcnt vmcnt(24)
	v_fma_f64 v[79:80], v[59:60], v[93:94], -v[79:80]
	v_mul_f64 v[71:72], v[63:64], v[97:98]
	v_fma_f64 v[77:78], v[61:62], v[93:94], v[77:78]
	ds_read_b128 v[59:62], v2 offset:800
	v_add_f64 v[75:76], v[75:76], v[83:84]
	v_add_f64 v[3:4], v[3:4], v[73:74]
	s_waitcnt vmcnt(23) lgkmcnt(1)
	v_mul_f64 v[83:84], v[69:70], v[99:100]
	s_waitcnt vmcnt(21)
	v_fma_f64 v[81:82], v[63:64], v[103:104], -v[81:82]
	;; [unrolled: 9-line block ×5, first 2 shown]
	v_mul_f64 v[73:74], v[67:68], v[113:114]
	v_fma_f64 v[65:66], v[65:66], v[109:110], v[71:72]
	s_waitcnt vmcnt(7) lgkmcnt(0)
	v_mul_f64 v[71:72], v[59:60], v[115:116]
	v_add_f64 v[75:76], v[75:76], v[79:80]
	v_add_f64 v[3:4], v[3:4], v[77:78]
	v_mul_f64 v[77:78], v[61:62], v[115:116]
	s_waitcnt vmcnt(5)
	v_fma_f64 v[67:68], v[67:68], v[119:120], -v[83:84]
	v_fma_f64 v[69:70], v[69:70], v[119:120], v[73:74]
	s_waitcnt vmcnt(4)
	v_fma_f64 v[61:62], v[61:62], v[117:118], v[71:72]
	v_add_f64 v[63:64], v[75:76], v[63:64]
	v_add_f64 v[3:4], v[3:4], v[65:66]
	v_fma_f64 v[59:60], v[59:60], v[117:118], -v[77:78]
	v_add_f64 v[63:64], v[63:64], v[67:68]
	v_add_f64 v[3:4], v[3:4], v[69:70]
	;; [unrolled: 1-line block ×4, first 2 shown]
	s_waitcnt vmcnt(2)
	v_add_f64 v[59:60], v[123:124], -v[59:60]
	s_waitcnt vmcnt(0)
	v_add_f64 v[3:4], v[125:126], -v[3:4]
	buffer_store_dword v60, off, s[0:3], 0 offset:228
	buffer_store_dword v59, off, s[0:3], 0 offset:224
	;; [unrolled: 1-line block ×4, first 2 shown]
	v_cmpx_lt_u32_e32 12, v0
	s_cbranch_execz .LBB90_151
; %bb.150:
	v_mov_b32_e32 v3, s26
	s_clause 0x3
	buffer_load_dword v59, v3, s[0:3], 0 offen
	buffer_load_dword v60, v3, s[0:3], 0 offen offset:4
	buffer_load_dword v61, v3, s[0:3], 0 offen offset:8
	;; [unrolled: 1-line block ×3, first 2 shown]
	buffer_store_dword v2, off, s[0:3], 0 offset:208
	buffer_store_dword v2, off, s[0:3], 0 offset:212
	;; [unrolled: 1-line block ×4, first 2 shown]
	s_waitcnt vmcnt(0)
	ds_write_b128 v1, v[59:62]
.LBB90_151:
	s_or_b32 exec_lo, exec_lo, s4
	s_waitcnt lgkmcnt(0)
	s_waitcnt_vscnt null, 0x0
	s_barrier
	buffer_gl0_inv
	s_clause 0x35
	buffer_load_dword v3, off, s[0:3], 0 offset:232
	buffer_load_dword v4, off, s[0:3], 0 offset:236
	;; [unrolled: 1-line block ×54, first 2 shown]
	ds_read_b128 v[59:62], v2 offset:640
	s_clause 0x1
	buffer_load_dword v124, off, s[0:3], 0 offset:436
	buffer_load_dword v123, off, s[0:3], 0 offset:432
	ds_read_b128 v[63:66], v2 offset:656
	ds_read_b128 v[67:70], v2 offset:672
	s_mov_b32 s4, exec_lo
	s_waitcnt vmcnt(54) lgkmcnt(2)
	v_mul_f64 v[125:126], v[61:62], v[3:4]
	v_mul_f64 v[3:4], v[59:60], v[3:4]
	s_waitcnt vmcnt(52) lgkmcnt(1)
	v_mul_f64 v[127:128], v[65:66], v[71:72]
	v_mul_f64 v[71:72], v[63:64], v[71:72]
	;; [unrolled: 3-line block ×3, first 2 shown]
	v_fma_f64 v[125:126], v[59:60], v[73:74], -v[125:126]
	v_fma_f64 v[3:4], v[61:62], v[73:74], v[3:4]
	s_clause 0x3
	buffer_load_dword v73, off, s[0:3], 0 offset:208
	buffer_load_dword v74, off, s[0:3], 0 offset:212
	;; [unrolled: 1-line block ×4, first 2 shown]
	s_waitcnt vmcnt(50)
	v_fma_f64 v[127:128], v[63:64], v[77:78], -v[127:128]
	ds_read_b128 v[59:62], v2 offset:688
	v_fma_f64 v[71:72], v[65:66], v[77:78], v[71:72]
	ds_read_b128 v[63:66], v2 offset:704
	s_waitcnt vmcnt(44)
	v_fma_f64 v[75:76], v[67:68], v[85:86], -v[75:76]
	v_fma_f64 v[85:86], v[69:70], v[85:86], v[131:132]
	ds_read_b128 v[67:70], v2 offset:720
	v_add_f64 v[125:126], v[125:126], 0
	v_add_f64 v[3:4], v[3:4], 0
	s_waitcnt lgkmcnt(2)
	v_mul_f64 v[77:78], v[59:60], v[79:80]
	v_mul_f64 v[79:80], v[61:62], v[79:80]
	v_add_f64 v[125:126], v[125:126], v[127:128]
	v_add_f64 v[3:4], v[3:4], v[71:72]
	s_waitcnt vmcnt(43) lgkmcnt(1)
	v_mul_f64 v[71:72], v[63:64], v[81:82]
	v_mul_f64 v[81:82], v[65:66], v[81:82]
	s_waitcnt vmcnt(41)
	v_fma_f64 v[79:80], v[59:60], v[87:88], -v[79:80]
	v_fma_f64 v[77:78], v[61:62], v[87:88], v[77:78]
	ds_read_b128 v[59:62], v2 offset:736
	s_waitcnt vmcnt(37) lgkmcnt(1)
	v_mul_f64 v[87:88], v[69:70], v[89:90]
	v_add_f64 v[75:76], v[125:126], v[75:76]
	v_add_f64 v[3:4], v[3:4], v[85:86]
	v_mul_f64 v[85:86], v[67:68], v[89:90]
	s_waitcnt vmcnt(36)
	v_fma_f64 v[81:82], v[63:64], v[83:84], -v[81:82]
	v_fma_f64 v[71:72], v[65:66], v[83:84], v[71:72]
	ds_read_b128 v[63:66], v2 offset:752
	s_waitcnt vmcnt(33)
	v_fma_f64 v[83:84], v[67:68], v[95:96], -v[87:88]
	v_add_f64 v[75:76], v[75:76], v[79:80]
	v_add_f64 v[3:4], v[3:4], v[77:78]
	s_waitcnt lgkmcnt(1)
	v_mul_f64 v[79:80], v[61:62], v[91:92]
	v_mul_f64 v[77:78], v[59:60], v[91:92]
	v_add_f64 v[75:76], v[75:76], v[81:82]
	v_fma_f64 v[81:82], v[69:70], v[95:96], v[85:86]
	v_add_f64 v[3:4], v[3:4], v[71:72]
	ds_read_b128 v[67:70], v2 offset:768
	s_waitcnt vmcnt(29) lgkmcnt(1)
	v_mul_f64 v[85:86], v[65:66], v[97:98]
	s_waitcnt vmcnt(28)
	v_fma_f64 v[79:80], v[59:60], v[93:94], -v[79:80]
	v_mul_f64 v[71:72], v[63:64], v[97:98]
	v_fma_f64 v[77:78], v[61:62], v[93:94], v[77:78]
	ds_read_b128 v[59:62], v2 offset:784
	v_add_f64 v[75:76], v[75:76], v[83:84]
	s_waitcnt vmcnt(27) lgkmcnt(1)
	v_mul_f64 v[83:84], v[69:70], v[99:100]
	v_add_f64 v[3:4], v[3:4], v[81:82]
	v_mul_f64 v[81:82], v[67:68], v[99:100]
	s_waitcnt vmcnt(25)
	v_fma_f64 v[85:86], v[63:64], v[103:104], -v[85:86]
	v_fma_f64 v[71:72], v[65:66], v[103:104], v[71:72]
	ds_read_b128 v[63:66], v2 offset:800
	v_add_f64 v[75:76], v[75:76], v[79:80]
	s_waitcnt vmcnt(21) lgkmcnt(1)
	v_mul_f64 v[79:80], v[61:62], v[105:106]
	v_add_f64 v[3:4], v[3:4], v[77:78]
	s_waitcnt vmcnt(20)
	v_fma_f64 v[83:84], v[67:68], v[101:102], -v[83:84]
	v_mul_f64 v[77:78], v[59:60], v[105:106]
	v_fma_f64 v[81:82], v[69:70], v[101:102], v[81:82]
	ds_read_b128 v[67:70], v2 offset:816
	v_add_f64 v[75:76], v[75:76], v[85:86]
	s_waitcnt vmcnt(19) lgkmcnt(1)
	v_mul_f64 v[85:86], v[65:66], v[107:108]
	v_add_f64 v[3:4], v[3:4], v[71:72]
	s_waitcnt vmcnt(17)
	v_fma_f64 v[79:80], v[59:60], v[111:112], -v[79:80]
	v_mul_f64 v[71:72], v[63:64], v[107:108]
	;; [unrolled: 9-line block ×4, first 2 shown]
	v_fma_f64 v[69:70], v[69:70], v[119:120], v[81:82]
	s_waitcnt vmcnt(7) lgkmcnt(0)
	v_mul_f64 v[81:82], v[65:66], v[121:122]
	v_add_f64 v[75:76], v[75:76], v[85:86]
	s_waitcnt vmcnt(6)
	v_fma_f64 v[59:60], v[59:60], v[117:118], -v[79:80]
	v_add_f64 v[2:3], v[3:4], v[71:72]
	v_mul_f64 v[71:72], v[63:64], v[121:122]
	v_fma_f64 v[61:62], v[61:62], v[117:118], v[77:78]
	s_waitcnt vmcnt(4)
	v_fma_f64 v[63:64], v[63:64], v[123:124], -v[81:82]
	v_add_f64 v[67:68], v[75:76], v[67:68]
	v_add_f64 v[2:3], v[2:3], v[69:70]
	v_fma_f64 v[65:66], v[65:66], v[123:124], v[71:72]
	v_add_f64 v[59:60], v[67:68], v[59:60]
	v_add_f64 v[2:3], v[2:3], v[61:62]
	;; [unrolled: 1-line block ×4, first 2 shown]
	s_waitcnt vmcnt(2)
	v_add_f64 v[59:60], v[73:74], -v[59:60]
	s_waitcnt vmcnt(0)
	v_add_f64 v[2:3], v[129:130], -v[2:3]
	buffer_store_dword v60, off, s[0:3], 0 offset:212
	buffer_store_dword v59, off, s[0:3], 0 offset:208
	;; [unrolled: 1-line block ×4, first 2 shown]
	v_cmpx_lt_u32_e32 11, v0
	s_cbranch_execz .LBB90_153
; %bb.152:
	v_mov_b32_e32 v2, s27
	s_clause 0x3
	buffer_load_dword v59, v2, s[0:3], 0 offen
	buffer_load_dword v60, v2, s[0:3], 0 offen offset:4
	buffer_load_dword v61, v2, s[0:3], 0 offen offset:8
	;; [unrolled: 1-line block ×3, first 2 shown]
	v_mov_b32_e32 v2, 0
	buffer_store_dword v2, off, s[0:3], 0 offset:192
	buffer_store_dword v2, off, s[0:3], 0 offset:196
	;; [unrolled: 1-line block ×4, first 2 shown]
	s_waitcnt vmcnt(0)
	ds_write_b128 v1, v[59:62]
.LBB90_153:
	s_or_b32 exec_lo, exec_lo, s4
	s_waitcnt lgkmcnt(0)
	s_waitcnt_vscnt null, 0x0
	s_barrier
	buffer_gl0_inv
	s_clause 0x37
	buffer_load_dword v3, off, s[0:3], 0 offset:216
	buffer_load_dword v4, off, s[0:3], 0 offset:220
	;; [unrolled: 1-line block ×56, first 2 shown]
	v_mov_b32_e32 v2, 0
	s_mov_b32 s4, exec_lo
	ds_read_b128 v[59:62], v2 offset:624
	s_clause 0x2
	buffer_load_dword v124, off, s[0:3], 0 offset:444
	buffer_load_dword v128, off, s[0:3], 0 offset:420
	;; [unrolled: 1-line block ×3, first 2 shown]
	ds_read_b128 v[63:66], v2 offset:640
	ds_read_b128 v[67:70], v2 offset:656
	buffer_load_dword v126, off, s[0:3], 0 offset:436
	s_waitcnt vmcnt(58) lgkmcnt(2)
	v_mul_f64 v[129:130], v[61:62], v[3:4]
	v_mul_f64 v[3:4], v[59:60], v[3:4]
	s_waitcnt vmcnt(56) lgkmcnt(1)
	v_mul_f64 v[131:132], v[65:66], v[71:72]
	v_mul_f64 v[71:72], v[63:64], v[71:72]
	s_waitcnt vmcnt(54)
	v_fma_f64 v[129:130], v[59:60], v[73:74], -v[129:130]
	v_fma_f64 v[3:4], v[61:62], v[73:74], v[3:4]
	s_waitcnt vmcnt(52) lgkmcnt(0)
	v_mul_f64 v[73:74], v[67:68], v[75:76]
	v_mul_f64 v[75:76], v[69:70], v[75:76]
	s_waitcnt vmcnt(50)
	v_fma_f64 v[131:132], v[63:64], v[77:78], -v[131:132]
	ds_read_b128 v[59:62], v2 offset:672
	v_fma_f64 v[71:72], v[65:66], v[77:78], v[71:72]
	s_clause 0x3
	buffer_load_dword v77, off, s[0:3], 0 offset:192
	buffer_load_dword v78, off, s[0:3], 0 offset:196
	;; [unrolled: 1-line block ×4, first 2 shown]
	ds_read_b128 v[63:66], v2 offset:688
	v_add_f64 v[129:130], v[129:130], 0
	v_add_f64 v[3:4], v[3:4], 0
	s_waitcnt vmcnt(48)
	v_fma_f64 v[73:74], v[69:70], v[85:86], v[73:74]
	s_waitcnt lgkmcnt(1)
	v_mul_f64 v[135:136], v[59:60], v[79:80]
	v_mul_f64 v[79:80], v[61:62], v[79:80]
	v_fma_f64 v[75:76], v[67:68], v[85:86], -v[75:76]
	ds_read_b128 v[67:70], v2 offset:704
	v_add_f64 v[129:130], v[129:130], v[131:132]
	v_add_f64 v[3:4], v[3:4], v[71:72]
	s_waitcnt vmcnt(47) lgkmcnt(1)
	v_mul_f64 v[71:72], v[63:64], v[81:82]
	v_mul_f64 v[81:82], v[65:66], v[81:82]
	s_waitcnt vmcnt(45)
	v_fma_f64 v[79:80], v[59:60], v[87:88], -v[79:80]
	v_fma_f64 v[85:86], v[61:62], v[87:88], v[135:136]
	s_waitcnt vmcnt(41) lgkmcnt(0)
	v_mul_f64 v[87:88], v[69:70], v[89:90]
	ds_read_b128 v[59:62], v2 offset:720
	v_add_f64 v[75:76], v[129:130], v[75:76]
	v_add_f64 v[3:4], v[3:4], v[73:74]
	v_mul_f64 v[73:74], v[67:68], v[89:90]
	s_waitcnt vmcnt(40)
	v_fma_f64 v[81:82], v[63:64], v[83:84], -v[81:82]
	v_fma_f64 v[71:72], v[65:66], v[83:84], v[71:72]
	ds_read_b128 v[63:66], v2 offset:736
	s_waitcnt vmcnt(39) lgkmcnt(1)
	v_mul_f64 v[83:84], v[61:62], v[91:92]
	v_add_f64 v[75:76], v[75:76], v[79:80]
	v_add_f64 v[3:4], v[3:4], v[85:86]
	s_waitcnt vmcnt(37)
	v_fma_f64 v[85:86], v[67:68], v[95:96], -v[87:88]
	v_mul_f64 v[79:80], v[59:60], v[91:92]
	v_fma_f64 v[73:74], v[69:70], v[95:96], v[73:74]
	ds_read_b128 v[67:70], v2 offset:752
	s_waitcnt vmcnt(32)
	v_fma_f64 v[83:84], v[59:60], v[93:94], -v[83:84]
	v_add_f64 v[75:76], v[75:76], v[81:82]
	v_add_f64 v[3:4], v[3:4], v[71:72]
	s_waitcnt lgkmcnt(1)
	v_mul_f64 v[81:82], v[65:66], v[97:98]
	v_mul_f64 v[71:72], v[63:64], v[97:98]
	v_fma_f64 v[79:80], v[61:62], v[93:94], v[79:80]
	ds_read_b128 v[59:62], v2 offset:768
	v_add_f64 v[75:76], v[75:76], v[85:86]
	v_add_f64 v[3:4], v[3:4], v[73:74]
	s_waitcnt vmcnt(31) lgkmcnt(1)
	v_mul_f64 v[85:86], v[69:70], v[99:100]
	s_waitcnt vmcnt(29)
	v_fma_f64 v[81:82], v[63:64], v[103:104], -v[81:82]
	v_mul_f64 v[73:74], v[67:68], v[99:100]
	v_fma_f64 v[71:72], v[65:66], v[103:104], v[71:72]
	ds_read_b128 v[63:66], v2 offset:784
	v_add_f64 v[75:76], v[75:76], v[83:84]
	v_add_f64 v[3:4], v[3:4], v[79:80]
	s_waitcnt vmcnt(25) lgkmcnt(1)
	v_mul_f64 v[83:84], v[61:62], v[105:106]
	s_waitcnt vmcnt(24)
	v_fma_f64 v[85:86], v[67:68], v[101:102], -v[85:86]
	;; [unrolled: 9-line block ×6, first 2 shown]
	v_mul_f64 v[71:72], v[63:64], v[121:122]
	v_fma_f64 v[61:62], v[61:62], v[117:118], v[79:80]
	s_waitcnt vmcnt(7) lgkmcnt(0)
	v_mul_f64 v[79:80], v[69:70], v[123:124]
	v_add_f64 v[75:76], v[75:76], v[85:86]
	v_add_f64 v[3:4], v[3:4], v[73:74]
	s_waitcnt vmcnt(5)
	v_fma_f64 v[63:64], v[63:64], v[127:128], -v[81:82]
	v_mul_f64 v[73:74], v[67:68], v[123:124]
	v_fma_f64 v[65:66], v[65:66], v[127:128], v[71:72]
	v_add_f64 v[59:60], v[75:76], v[59:60]
	v_add_f64 v[3:4], v[3:4], v[61:62]
	s_waitcnt vmcnt(4)
	v_fma_f64 v[61:62], v[67:68], v[125:126], -v[79:80]
	v_add_f64 v[59:60], v[59:60], v[63:64]
	v_fma_f64 v[63:64], v[69:70], v[125:126], v[73:74]
	v_add_f64 v[3:4], v[3:4], v[65:66]
	v_add_f64 v[59:60], v[59:60], v[61:62]
	;; [unrolled: 1-line block ×3, first 2 shown]
	s_waitcnt vmcnt(2)
	v_add_f64 v[59:60], v[77:78], -v[59:60]
	s_waitcnt vmcnt(0)
	v_add_f64 v[3:4], v[133:134], -v[3:4]
	buffer_store_dword v60, off, s[0:3], 0 offset:196
	buffer_store_dword v59, off, s[0:3], 0 offset:192
	;; [unrolled: 1-line block ×4, first 2 shown]
	v_cmpx_lt_u32_e32 10, v0
	s_cbranch_execz .LBB90_155
; %bb.154:
	v_mov_b32_e32 v3, s28
	s_clause 0x3
	buffer_load_dword v59, v3, s[0:3], 0 offen
	buffer_load_dword v60, v3, s[0:3], 0 offen offset:4
	buffer_load_dword v61, v3, s[0:3], 0 offen offset:8
	buffer_load_dword v62, v3, s[0:3], 0 offen offset:12
	buffer_store_dword v2, off, s[0:3], 0 offset:176
	buffer_store_dword v2, off, s[0:3], 0 offset:180
	;; [unrolled: 1-line block ×4, first 2 shown]
	s_waitcnt vmcnt(0)
	ds_write_b128 v1, v[59:62]
.LBB90_155:
	s_or_b32 exec_lo, exec_lo, s4
	s_waitcnt lgkmcnt(0)
	s_waitcnt_vscnt null, 0x0
	s_barrier
	buffer_gl0_inv
	s_clause 0x37
	buffer_load_dword v3, off, s[0:3], 0 offset:200
	buffer_load_dword v4, off, s[0:3], 0 offset:204
	;; [unrolled: 1-line block ×56, first 2 shown]
	ds_read_b128 v[59:62], v2 offset:608
	s_clause 0x2
	buffer_load_dword v124, off, s[0:3], 0 offset:428
	buffer_load_dword v128, off, s[0:3], 0 offset:404
	;; [unrolled: 1-line block ×3, first 2 shown]
	ds_read_b128 v[63:66], v2 offset:624
	s_clause 0x2
	buffer_load_dword v132, off, s[0:3], 0 offset:444
	buffer_load_dword v131, off, s[0:3], 0 offset:440
	;; [unrolled: 1-line block ×3, first 2 shown]
	ds_read_b128 v[67:70], v2 offset:640
	s_mov_b32 s4, exec_lo
	s_waitcnt vmcnt(60) lgkmcnt(2)
	v_mul_f64 v[129:130], v[61:62], v[3:4]
	v_mul_f64 v[3:4], v[59:60], v[3:4]
	s_waitcnt vmcnt(58) lgkmcnt(1)
	v_mul_f64 v[133:134], v[65:66], v[71:72]
	v_mul_f64 v[71:72], v[63:64], v[71:72]
	;; [unrolled: 3-line block ×3, first 2 shown]
	v_fma_f64 v[129:130], v[59:60], v[73:74], -v[129:130]
	v_fma_f64 v[3:4], v[61:62], v[73:74], v[3:4]
	s_clause 0x1
	buffer_load_dword v74, off, s[0:3], 0 offset:436
	buffer_load_dword v73, off, s[0:3], 0 offset:432
	s_waitcnt vmcnt(54)
	v_fma_f64 v[133:134], v[63:64], v[77:78], -v[133:134]
	ds_read_b128 v[59:62], v2 offset:656
	v_fma_f64 v[71:72], v[65:66], v[77:78], v[71:72]
	ds_read_b128 v[63:66], v2 offset:672
	s_waitcnt vmcnt(48)
	v_fma_f64 v[75:76], v[67:68], v[85:86], -v[75:76]
	v_fma_f64 v[85:86], v[69:70], v[85:86], v[135:136]
	v_add_f64 v[129:130], v[129:130], 0
	v_add_f64 v[3:4], v[3:4], 0
	s_waitcnt lgkmcnt(1)
	v_mul_f64 v[77:78], v[59:60], v[79:80]
	v_mul_f64 v[79:80], v[61:62], v[79:80]
	s_waitcnt vmcnt(47) lgkmcnt(0)
	v_mul_f64 v[135:136], v[63:64], v[81:82]
	v_mul_f64 v[81:82], v[65:66], v[81:82]
	v_add_f64 v[129:130], v[129:130], v[133:134]
	v_add_f64 v[3:4], v[3:4], v[71:72]
	s_clause 0x3
	buffer_load_dword v71, off, s[0:3], 0 offset:176
	buffer_load_dword v72, off, s[0:3], 0 offset:180
	buffer_load_dword v133, off, s[0:3], 0 offset:184
	buffer_load_dword v134, off, s[0:3], 0 offset:188
	s_waitcnt vmcnt(49)
	v_fma_f64 v[79:80], v[59:60], v[87:88], -v[79:80]
	ds_read_b128 v[67:70], v2 offset:688
	v_fma_f64 v[77:78], v[61:62], v[87:88], v[77:78]
	ds_read_b128 v[59:62], v2 offset:704
	s_waitcnt vmcnt(44)
	v_fma_f64 v[81:82], v[63:64], v[83:84], -v[81:82]
	v_add_f64 v[75:76], v[129:130], v[75:76]
	v_add_f64 v[3:4], v[3:4], v[85:86]
	s_waitcnt lgkmcnt(1)
	v_mul_f64 v[87:88], v[69:70], v[89:90]
	v_mul_f64 v[85:86], v[67:68], v[89:90]
	v_add_f64 v[75:76], v[75:76], v[79:80]
	v_fma_f64 v[79:80], v[65:66], v[83:84], v[135:136]
	v_add_f64 v[3:4], v[3:4], v[77:78]
	s_waitcnt vmcnt(43) lgkmcnt(0)
	v_mul_f64 v[83:84], v[61:62], v[91:92]
	s_waitcnt vmcnt(41)
	v_fma_f64 v[87:88], v[67:68], v[95:96], -v[87:88]
	ds_read_b128 v[63:66], v2 offset:720
	v_mul_f64 v[77:78], v[59:60], v[91:92]
	v_add_f64 v[75:76], v[75:76], v[81:82]
	v_fma_f64 v[81:82], v[69:70], v[95:96], v[85:86]
	v_add_f64 v[3:4], v[3:4], v[79:80]
	ds_read_b128 v[67:70], v2 offset:736
	s_waitcnt vmcnt(37) lgkmcnt(1)
	v_mul_f64 v[85:86], v[65:66], v[97:98]
	s_waitcnt vmcnt(36)
	v_fma_f64 v[83:84], v[59:60], v[93:94], -v[83:84]
	v_mul_f64 v[79:80], v[63:64], v[97:98]
	v_fma_f64 v[77:78], v[61:62], v[93:94], v[77:78]
	ds_read_b128 v[59:62], v2 offset:752
	v_add_f64 v[75:76], v[75:76], v[87:88]
	s_waitcnt vmcnt(35) lgkmcnt(1)
	v_mul_f64 v[87:88], v[69:70], v[99:100]
	v_add_f64 v[3:4], v[3:4], v[81:82]
	v_mul_f64 v[81:82], v[67:68], v[99:100]
	s_waitcnt vmcnt(33)
	v_fma_f64 v[85:86], v[63:64], v[103:104], -v[85:86]
	v_fma_f64 v[79:80], v[65:66], v[103:104], v[79:80]
	ds_read_b128 v[63:66], v2 offset:768
	v_add_f64 v[75:76], v[75:76], v[83:84]
	s_waitcnt vmcnt(29) lgkmcnt(1)
	v_mul_f64 v[83:84], v[61:62], v[105:106]
	v_add_f64 v[3:4], v[3:4], v[77:78]
	s_waitcnt vmcnt(28)
	v_fma_f64 v[87:88], v[67:68], v[101:102], -v[87:88]
	v_mul_f64 v[77:78], v[59:60], v[105:106]
	v_fma_f64 v[81:82], v[69:70], v[101:102], v[81:82]
	ds_read_b128 v[67:70], v2 offset:784
	v_add_f64 v[75:76], v[75:76], v[85:86]
	s_waitcnt vmcnt(27) lgkmcnt(1)
	v_mul_f64 v[85:86], v[65:66], v[107:108]
	v_add_f64 v[3:4], v[3:4], v[79:80]
	s_waitcnt vmcnt(25)
	v_fma_f64 v[83:84], v[59:60], v[111:112], -v[83:84]
	v_mul_f64 v[79:80], v[63:64], v[107:108]
	;; [unrolled: 9-line block ×6, first 2 shown]
	v_fma_f64 v[65:66], v[65:66], v[127:128], v[79:80]
	s_waitcnt vmcnt(7) lgkmcnt(0)
	v_mul_f64 v[79:80], v[61:62], v[131:132]
	v_add_f64 v[75:76], v[75:76], v[83:84]
	s_waitcnt vmcnt(6)
	v_fma_f64 v[67:68], v[67:68], v[125:126], -v[87:88]
	v_add_f64 v[2:3], v[3:4], v[77:78]
	v_mul_f64 v[77:78], v[59:60], v[131:132]
	v_fma_f64 v[69:70], v[69:70], v[125:126], v[81:82]
	v_add_f64 v[63:64], v[75:76], v[63:64]
	v_add_f64 v[2:3], v[2:3], v[65:66]
	s_waitcnt vmcnt(4)
	v_fma_f64 v[59:60], v[59:60], v[73:74], -v[79:80]
	v_fma_f64 v[61:62], v[61:62], v[73:74], v[77:78]
	v_add_f64 v[63:64], v[63:64], v[67:68]
	v_add_f64 v[2:3], v[2:3], v[69:70]
	;; [unrolled: 1-line block ×4, first 2 shown]
	s_waitcnt vmcnt(2)
	v_add_f64 v[59:60], v[71:72], -v[59:60]
	s_waitcnt vmcnt(0)
	v_add_f64 v[2:3], v[133:134], -v[2:3]
	buffer_store_dword v60, off, s[0:3], 0 offset:180
	buffer_store_dword v59, off, s[0:3], 0 offset:176
	;; [unrolled: 1-line block ×4, first 2 shown]
	v_cmpx_lt_u32_e32 9, v0
	s_cbranch_execz .LBB90_157
; %bb.156:
	v_mov_b32_e32 v2, s29
	s_clause 0x3
	buffer_load_dword v59, v2, s[0:3], 0 offen
	buffer_load_dword v60, v2, s[0:3], 0 offen offset:4
	buffer_load_dword v61, v2, s[0:3], 0 offen offset:8
	;; [unrolled: 1-line block ×3, first 2 shown]
	v_mov_b32_e32 v2, 0
	buffer_store_dword v2, off, s[0:3], 0 offset:160
	buffer_store_dword v2, off, s[0:3], 0 offset:164
	buffer_store_dword v2, off, s[0:3], 0 offset:168
	buffer_store_dword v2, off, s[0:3], 0 offset:172
	s_waitcnt vmcnt(0)
	ds_write_b128 v1, v[59:62]
.LBB90_157:
	s_or_b32 exec_lo, exec_lo, s4
	s_waitcnt lgkmcnt(0)
	s_waitcnt_vscnt null, 0x0
	s_barrier
	buffer_gl0_inv
	s_clause 0x37
	buffer_load_dword v3, off, s[0:3], 0 offset:184
	buffer_load_dword v4, off, s[0:3], 0 offset:188
	;; [unrolled: 1-line block ×56, first 2 shown]
	v_mov_b32_e32 v2, 0
	s_mov_b32 s4, exec_lo
	ds_read_b128 v[59:62], v2 offset:592
	s_clause 0x2
	buffer_load_dword v124, off, s[0:3], 0 offset:412
	buffer_load_dword v128, off, s[0:3], 0 offset:388
	;; [unrolled: 1-line block ×3, first 2 shown]
	ds_read_b128 v[63:66], v2 offset:608
	s_clause 0x4
	buffer_load_dword v132, off, s[0:3], 0 offset:428
	buffer_load_dword v133, off, s[0:3], 0 offset:440
	;; [unrolled: 1-line block ×5, first 2 shown]
	ds_read_b128 v[67:70], v2 offset:624
	s_waitcnt vmcnt(62) lgkmcnt(2)
	v_mul_f64 v[129:130], v[61:62], v[3:4]
	v_mul_f64 v[3:4], v[59:60], v[3:4]
	s_waitcnt vmcnt(60) lgkmcnt(1)
	v_mul_f64 v[136:137], v[65:66], v[71:72]
	v_mul_f64 v[71:72], v[63:64], v[71:72]
	;; [unrolled: 3-line block ×3, first 2 shown]
	v_fma_f64 v[129:130], v[59:60], v[73:74], -v[129:130]
	v_fma_f64 v[3:4], v[61:62], v[73:74], v[3:4]
	s_clause 0x2
	buffer_load_dword v134, off, s[0:3], 0 offset:444
	buffer_load_dword v74, off, s[0:3], 0 offset:420
	;; [unrolled: 1-line block ×3, first 2 shown]
	s_waitcnt vmcnt(57)
	v_fma_f64 v[140:141], v[63:64], v[77:78], -v[136:137]
	ds_read_b128 v[59:62], v2 offset:640
	v_fma_f64 v[71:72], v[65:66], v[77:78], v[71:72]
	buffer_load_dword v136, off, s[0:3], 0 offset:436
	ds_read_b128 v[63:66], v2 offset:656
	s_waitcnt vmcnt(52)
	v_fma_f64 v[75:76], v[67:68], v[85:86], -v[75:76]
	v_fma_f64 v[85:86], v[69:70], v[85:86], v[138:139]
	ds_read_b128 v[67:70], v2 offset:672
	v_add_f64 v[129:130], v[129:130], 0
	v_add_f64 v[3:4], v[3:4], 0
	s_waitcnt lgkmcnt(2)
	v_mul_f64 v[77:78], v[59:60], v[79:80]
	v_mul_f64 v[79:80], v[61:62], v[79:80]
	v_add_f64 v[129:130], v[129:130], v[140:141]
	v_add_f64 v[3:4], v[3:4], v[71:72]
	s_waitcnt vmcnt(51) lgkmcnt(1)
	v_mul_f64 v[71:72], v[63:64], v[81:82]
	v_mul_f64 v[81:82], v[65:66], v[81:82]
	s_waitcnt vmcnt(49)
	v_fma_f64 v[79:80], v[59:60], v[87:88], -v[79:80]
	v_fma_f64 v[77:78], v[61:62], v[87:88], v[77:78]
	v_add_f64 v[75:76], v[129:130], v[75:76]
	v_add_f64 v[3:4], v[3:4], v[85:86]
	s_clause 0x3
	buffer_load_dword v85, off, s[0:3], 0 offset:160
	buffer_load_dword v86, off, s[0:3], 0 offset:164
	;; [unrolled: 1-line block ×4, first 2 shown]
	s_waitcnt vmcnt(49) lgkmcnt(0)
	v_mul_f64 v[129:130], v[67:68], v[89:90]
	v_mul_f64 v[89:90], v[69:70], v[89:90]
	s_waitcnt vmcnt(48)
	v_fma_f64 v[81:82], v[63:64], v[83:84], -v[81:82]
	ds_read_b128 v[59:62], v2 offset:688
	v_fma_f64 v[71:72], v[65:66], v[83:84], v[71:72]
	ds_read_b128 v[63:66], v2 offset:704
	v_add_f64 v[75:76], v[75:76], v[79:80]
	v_add_f64 v[3:4], v[3:4], v[77:78]
	s_waitcnt vmcnt(47) lgkmcnt(1)
	v_mul_f64 v[79:80], v[61:62], v[91:92]
	s_waitcnt vmcnt(45)
	v_fma_f64 v[83:84], v[67:68], v[95:96], -v[89:90]
	v_mul_f64 v[77:78], v[59:60], v[91:92]
	s_waitcnt vmcnt(41) lgkmcnt(0)
	v_mul_f64 v[89:90], v[65:66], v[97:98]
	v_add_f64 v[75:76], v[75:76], v[81:82]
	v_fma_f64 v[81:82], v[69:70], v[95:96], v[129:130]
	v_add_f64 v[3:4], v[3:4], v[71:72]
	ds_read_b128 v[67:70], v2 offset:720
	s_waitcnt vmcnt(40)
	v_fma_f64 v[79:80], v[59:60], v[93:94], -v[79:80]
	v_mul_f64 v[71:72], v[63:64], v[97:98]
	v_fma_f64 v[77:78], v[61:62], v[93:94], v[77:78]
	ds_read_b128 v[59:62], v2 offset:736
	s_waitcnt vmcnt(37)
	v_fma_f64 v[89:90], v[63:64], v[103:104], -v[89:90]
	v_add_f64 v[75:76], v[75:76], v[83:84]
	s_waitcnt lgkmcnt(1)
	v_mul_f64 v[83:84], v[69:70], v[99:100]
	v_add_f64 v[3:4], v[3:4], v[81:82]
	v_mul_f64 v[81:82], v[67:68], v[99:100]
	v_fma_f64 v[71:72], v[65:66], v[103:104], v[71:72]
	ds_read_b128 v[63:66], v2 offset:752
	v_add_f64 v[75:76], v[75:76], v[79:80]
	s_waitcnt vmcnt(33) lgkmcnt(1)
	v_mul_f64 v[79:80], v[61:62], v[105:106]
	v_add_f64 v[3:4], v[3:4], v[77:78]
	s_waitcnt vmcnt(32)
	v_fma_f64 v[83:84], v[67:68], v[101:102], -v[83:84]
	v_mul_f64 v[77:78], v[59:60], v[105:106]
	v_fma_f64 v[81:82], v[69:70], v[101:102], v[81:82]
	ds_read_b128 v[67:70], v2 offset:768
	v_add_f64 v[75:76], v[75:76], v[89:90]
	s_waitcnt vmcnt(31) lgkmcnt(1)
	v_mul_f64 v[89:90], v[65:66], v[107:108]
	v_add_f64 v[3:4], v[3:4], v[71:72]
	s_waitcnt vmcnt(29)
	v_fma_f64 v[79:80], v[59:60], v[111:112], -v[79:80]
	v_mul_f64 v[71:72], v[63:64], v[107:108]
	v_fma_f64 v[77:78], v[61:62], v[111:112], v[77:78]
	ds_read_b128 v[59:62], v2 offset:784
	v_add_f64 v[75:76], v[75:76], v[83:84]
	s_waitcnt vmcnt(25) lgkmcnt(1)
	v_mul_f64 v[83:84], v[69:70], v[113:114]
	v_add_f64 v[3:4], v[3:4], v[81:82]
	s_waitcnt vmcnt(24)
	v_fma_f64 v[89:90], v[63:64], v[109:110], -v[89:90]
	v_mul_f64 v[81:82], v[67:68], v[113:114]
	v_fma_f64 v[71:72], v[65:66], v[109:110], v[71:72]
	ds_read_b128 v[63:66], v2 offset:800
	v_add_f64 v[75:76], v[75:76], v[79:80]
	s_waitcnt vmcnt(23) lgkmcnt(1)
	v_mul_f64 v[79:80], v[61:62], v[115:116]
	v_add_f64 v[3:4], v[3:4], v[77:78]
	s_waitcnt vmcnt(21)
	v_fma_f64 v[83:84], v[67:68], v[119:120], -v[83:84]
	v_mul_f64 v[77:78], v[59:60], v[115:116]
	v_fma_f64 v[81:82], v[69:70], v[119:120], v[81:82]
	ds_read_b128 v[67:70], v2 offset:816
	v_add_f64 v[75:76], v[75:76], v[89:90]
	s_waitcnt vmcnt(17) lgkmcnt(1)
	v_mul_f64 v[89:90], v[65:66], v[121:122]
	v_add_f64 v[3:4], v[3:4], v[71:72]
	s_waitcnt vmcnt(16)
	v_fma_f64 v[79:80], v[59:60], v[117:118], -v[79:80]
	v_mul_f64 v[71:72], v[63:64], v[121:122]
	v_fma_f64 v[77:78], v[61:62], v[117:118], v[77:78]
	ds_read_b128 v[59:62], v2 offset:832
	v_add_f64 v[75:76], v[75:76], v[83:84]
	s_waitcnt vmcnt(15) lgkmcnt(1)
	v_mul_f64 v[83:84], v[69:70], v[123:124]
	v_add_f64 v[3:4], v[3:4], v[81:82]
	s_waitcnt vmcnt(13)
	v_fma_f64 v[89:90], v[63:64], v[127:128], -v[89:90]
	v_mul_f64 v[81:82], v[67:68], v[123:124]
	v_fma_f64 v[71:72], v[65:66], v[127:128], v[71:72]
	ds_read_b128 v[63:66], v2 offset:848
	v_add_f64 v[75:76], v[75:76], v[79:80]
	s_waitcnt vmcnt(9) lgkmcnt(1)
	v_mul_f64 v[79:80], v[61:62], v[131:132]
	v_add_f64 v[3:4], v[3:4], v[77:78]
	s_waitcnt vmcnt(8)
	v_fma_f64 v[67:68], v[67:68], v[125:126], -v[83:84]
	v_mul_f64 v[77:78], v[59:60], v[131:132]
	v_fma_f64 v[69:70], v[69:70], v[125:126], v[81:82]
	v_add_f64 v[75:76], v[75:76], v[89:90]
	v_add_f64 v[3:4], v[3:4], v[71:72]
	s_waitcnt vmcnt(7) lgkmcnt(0)
	v_mul_f64 v[81:82], v[65:66], v[133:134]
	v_mul_f64 v[71:72], v[63:64], v[133:134]
	s_waitcnt vmcnt(5)
	v_fma_f64 v[59:60], v[59:60], v[73:74], -v[79:80]
	v_fma_f64 v[61:62], v[61:62], v[73:74], v[77:78]
	v_add_f64 v[67:68], v[75:76], v[67:68]
	v_add_f64 v[3:4], v[3:4], v[69:70]
	s_waitcnt vmcnt(4)
	v_fma_f64 v[63:64], v[63:64], v[135:136], -v[81:82]
	v_fma_f64 v[65:66], v[65:66], v[135:136], v[71:72]
	v_add_f64 v[59:60], v[67:68], v[59:60]
	v_add_f64 v[3:4], v[3:4], v[61:62]
	;; [unrolled: 1-line block ×4, first 2 shown]
	s_waitcnt vmcnt(2)
	v_add_f64 v[59:60], v[85:86], -v[59:60]
	s_waitcnt vmcnt(0)
	v_add_f64 v[3:4], v[87:88], -v[3:4]
	buffer_store_dword v60, off, s[0:3], 0 offset:164
	buffer_store_dword v59, off, s[0:3], 0 offset:160
	;; [unrolled: 1-line block ×4, first 2 shown]
	v_cmpx_lt_u32_e32 8, v0
	s_cbranch_execz .LBB90_159
; %bb.158:
	v_mov_b32_e32 v3, s30
	s_clause 0x3
	buffer_load_dword v59, v3, s[0:3], 0 offen
	buffer_load_dword v60, v3, s[0:3], 0 offen offset:4
	buffer_load_dword v61, v3, s[0:3], 0 offen offset:8
	;; [unrolled: 1-line block ×3, first 2 shown]
	buffer_store_dword v2, off, s[0:3], 0 offset:144
	buffer_store_dword v2, off, s[0:3], 0 offset:148
	;; [unrolled: 1-line block ×4, first 2 shown]
	s_waitcnt vmcnt(0)
	ds_write_b128 v1, v[59:62]
.LBB90_159:
	s_or_b32 exec_lo, exec_lo, s4
	s_waitcnt lgkmcnt(0)
	s_waitcnt_vscnt null, 0x0
	s_barrier
	buffer_gl0_inv
	s_clause 0x35
	buffer_load_dword v3, off, s[0:3], 0 offset:168
	buffer_load_dword v4, off, s[0:3], 0 offset:172
	;; [unrolled: 1-line block ×54, first 2 shown]
	ds_read_b128 v[59:62], v2 offset:576
	s_clause 0x3
	buffer_load_dword v123, off, s[0:3], 0 offset:392
	buffer_load_dword v124, off, s[0:3], 0 offset:396
	;; [unrolled: 1-line block ×4, first 2 shown]
	ds_read_b128 v[63:66], v2 offset:592
	s_clause 0x3
	buffer_load_dword v130, off, s[0:3], 0 offset:412
	buffer_load_dword v129, off, s[0:3], 0 offset:408
	;; [unrolled: 1-line block ×4, first 2 shown]
	ds_read_b128 v[67:70], v2 offset:608
	s_mov_b32 s4, exec_lo
	s_waitcnt vmcnt(60) lgkmcnt(2)
	v_mul_f64 v[127:128], v[61:62], v[3:4]
	v_mul_f64 v[3:4], v[59:60], v[3:4]
	s_waitcnt vmcnt(58) lgkmcnt(1)
	v_mul_f64 v[133:134], v[65:66], v[71:72]
	v_mul_f64 v[71:72], v[63:64], v[71:72]
	;; [unrolled: 3-line block ×3, first 2 shown]
	v_fma_f64 v[127:128], v[59:60], v[73:74], -v[127:128]
	v_fma_f64 v[3:4], v[61:62], v[73:74], v[3:4]
	s_clause 0x3
	buffer_load_dword v73, off, s[0:3], 0 offset:424
	buffer_load_dword v74, off, s[0:3], 0 offset:428
	;; [unrolled: 1-line block ×4, first 2 shown]
	s_waitcnt vmcnt(56)
	v_fma_f64 v[133:134], v[63:64], v[77:78], -v[133:134]
	ds_read_b128 v[59:62], v2 offset:624
	v_fma_f64 v[71:72], v[65:66], v[77:78], v[71:72]
	s_clause 0x3
	buffer_load_dword v78, off, s[0:3], 0 offset:444
	buffer_load_dword v77, off, s[0:3], 0 offset:440
	;; [unrolled: 1-line block ×4, first 2 shown]
	s_waitcnt vmcnt(56)
	v_fma_f64 v[75:76], v[67:68], v[81:82], -v[75:76]
	ds_read_b128 v[63:66], v2 offset:640
	v_fma_f64 v[81:82], v[69:70], v[81:82], v[137:138]
	v_add_f64 v[127:128], v[127:128], 0
	v_add_f64 v[3:4], v[3:4], 0
	s_waitcnt lgkmcnt(1)
	v_mul_f64 v[141:142], v[59:60], v[79:80]
	v_mul_f64 v[79:80], v[61:62], v[79:80]
	v_add_f64 v[127:128], v[127:128], v[133:134]
	v_add_f64 v[3:4], v[3:4], v[71:72]
	s_clause 0x1
	buffer_load_dword v72, off, s[0:3], 0 offset:436
	buffer_load_dword v71, off, s[0:3], 0 offset:432
	s_waitcnt vmcnt(56) lgkmcnt(0)
	v_mul_f64 v[133:134], v[63:64], v[83:84]
	v_mul_f64 v[83:84], v[65:66], v[83:84]
	s_waitcnt vmcnt(54)
	v_fma_f64 v[79:80], v[59:60], v[85:86], -v[79:80]
	ds_read_b128 v[67:70], v2 offset:656
	v_fma_f64 v[85:86], v[61:62], v[85:86], v[141:142]
	ds_read_b128 v[59:62], v2 offset:672
	v_add_f64 v[75:76], v[127:128], v[75:76]
	v_add_f64 v[3:4], v[3:4], v[81:82]
	s_waitcnt vmcnt(52) lgkmcnt(1)
	v_mul_f64 v[81:82], v[67:68], v[87:88]
	v_mul_f64 v[87:88], v[69:70], v[87:88]
	s_waitcnt vmcnt(50)
	v_fma_f64 v[83:84], v[63:64], v[89:90], -v[83:84]
	s_waitcnt vmcnt(48) lgkmcnt(0)
	v_mul_f64 v[127:128], v[59:60], v[91:92]
	v_mul_f64 v[91:92], v[61:62], v[91:92]
	v_add_f64 v[75:76], v[75:76], v[79:80]
	v_fma_f64 v[79:80], v[65:66], v[89:90], v[133:134]
	v_add_f64 v[3:4], v[3:4], v[85:86]
	s_clause 0x3
	buffer_load_dword v85, off, s[0:3], 0 offset:144
	buffer_load_dword v86, off, s[0:3], 0 offset:148
	buffer_load_dword v89, off, s[0:3], 0 offset:152
	buffer_load_dword v90, off, s[0:3], 0 offset:156
	ds_read_b128 v[63:66], v2 offset:688
	s_waitcnt vmcnt(50)
	v_fma_f64 v[87:88], v[67:68], v[93:94], -v[87:88]
	v_fma_f64 v[81:82], v[69:70], v[93:94], v[81:82]
	ds_read_b128 v[67:70], v2 offset:704
	s_waitcnt vmcnt(46)
	v_fma_f64 v[91:92], v[59:60], v[97:98], -v[91:92]
	v_add_f64 v[75:76], v[75:76], v[83:84]
	v_add_f64 v[3:4], v[3:4], v[79:80]
	s_waitcnt lgkmcnt(1)
	v_mul_f64 v[83:84], v[65:66], v[95:96]
	v_mul_f64 v[79:80], v[63:64], v[95:96]
	s_waitcnt vmcnt(44) lgkmcnt(0)
	v_mul_f64 v[93:94], v[69:70], v[99:100]
	v_add_f64 v[75:76], v[75:76], v[87:88]
	v_fma_f64 v[87:88], v[61:62], v[97:98], v[127:128]
	v_add_f64 v[3:4], v[3:4], v[81:82]
	s_waitcnt vmcnt(42)
	v_fma_f64 v[83:84], v[63:64], v[101:102], -v[83:84]
	ds_read_b128 v[59:62], v2 offset:720
	v_mul_f64 v[81:82], v[67:68], v[99:100]
	v_fma_f64 v[79:80], v[65:66], v[101:102], v[79:80]
	ds_read_b128 v[63:66], v2 offset:736
	s_waitcnt vmcnt(38)
	v_fma_f64 v[93:94], v[67:68], v[105:106], -v[93:94]
	v_add_f64 v[75:76], v[75:76], v[91:92]
	v_add_f64 v[3:4], v[3:4], v[87:88]
	s_waitcnt lgkmcnt(1)
	v_mul_f64 v[91:92], v[61:62], v[103:104]
	v_mul_f64 v[87:88], v[59:60], v[103:104]
	v_fma_f64 v[81:82], v[69:70], v[105:106], v[81:82]
	ds_read_b128 v[67:70], v2 offset:752
	v_add_f64 v[75:76], v[75:76], v[83:84]
	s_waitcnt vmcnt(36) lgkmcnt(1)
	v_mul_f64 v[83:84], v[65:66], v[107:108]
	v_add_f64 v[3:4], v[3:4], v[79:80]
	s_waitcnt vmcnt(34)
	v_fma_f64 v[91:92], v[59:60], v[109:110], -v[91:92]
	v_mul_f64 v[79:80], v[63:64], v[107:108]
	v_fma_f64 v[87:88], v[61:62], v[109:110], v[87:88]
	ds_read_b128 v[59:62], v2 offset:768
	v_add_f64 v[75:76], v[75:76], v[93:94]
	s_waitcnt vmcnt(32) lgkmcnt(1)
	v_mul_f64 v[93:94], v[69:70], v[111:112]
	v_add_f64 v[3:4], v[3:4], v[81:82]
	s_waitcnt vmcnt(30)
	v_fma_f64 v[83:84], v[63:64], v[113:114], -v[83:84]
	;; [unrolled: 9-line block ×6, first 2 shown]
	v_mul_f64 v[87:88], v[59:60], v[129:130]
	v_fma_f64 v[81:82], v[69:70], v[131:132], v[81:82]
	ds_read_b128 v[67:70], v2 offset:848
	v_add_f64 v[75:76], v[75:76], v[83:84]
	v_add_f64 v[3:4], v[3:4], v[79:80]
	s_waitcnt vmcnt(12) lgkmcnt(1)
	v_mul_f64 v[79:80], v[63:64], v[73:74]
	v_mul_f64 v[73:74], v[65:66], v[73:74]
	s_waitcnt vmcnt(10)
	v_fma_f64 v[59:60], v[59:60], v[135:136], -v[91:92]
	v_fma_f64 v[61:62], v[61:62], v[135:136], v[87:88]
	v_add_f64 v[75:76], v[75:76], v[93:94]
	v_add_f64 v[2:3], v[3:4], v[81:82]
	s_waitcnt vmcnt(8) lgkmcnt(0)
	v_mul_f64 v[81:82], v[67:68], v[77:78]
	v_mul_f64 v[77:78], v[69:70], v[77:78]
	s_waitcnt vmcnt(6)
	v_fma_f64 v[65:66], v[65:66], v[139:140], v[79:80]
	v_fma_f64 v[63:64], v[63:64], v[139:140], -v[73:74]
	v_add_f64 v[59:60], v[75:76], v[59:60]
	v_add_f64 v[2:3], v[2:3], v[61:62]
	s_waitcnt vmcnt(4)
	v_fma_f64 v[61:62], v[67:68], v[71:72], -v[77:78]
	v_add_f64 v[59:60], v[59:60], v[63:64]
	v_fma_f64 v[63:64], v[69:70], v[71:72], v[81:82]
	v_add_f64 v[2:3], v[2:3], v[65:66]
	v_add_f64 v[59:60], v[59:60], v[61:62]
	;; [unrolled: 1-line block ×3, first 2 shown]
	s_waitcnt vmcnt(2)
	v_add_f64 v[59:60], v[85:86], -v[59:60]
	s_waitcnt vmcnt(0)
	v_add_f64 v[2:3], v[89:90], -v[2:3]
	buffer_store_dword v60, off, s[0:3], 0 offset:148
	buffer_store_dword v59, off, s[0:3], 0 offset:144
	;; [unrolled: 1-line block ×4, first 2 shown]
	v_cmpx_lt_u32_e32 7, v0
	s_cbranch_execz .LBB90_161
; %bb.160:
	v_mov_b32_e32 v2, s31
	s_clause 0x3
	buffer_load_dword v59, v2, s[0:3], 0 offen
	buffer_load_dword v60, v2, s[0:3], 0 offen offset:4
	buffer_load_dword v61, v2, s[0:3], 0 offen offset:8
	;; [unrolled: 1-line block ×3, first 2 shown]
	v_mov_b32_e32 v2, 0
	buffer_store_dword v2, off, s[0:3], 0 offset:128
	buffer_store_dword v2, off, s[0:3], 0 offset:132
	;; [unrolled: 1-line block ×4, first 2 shown]
	s_waitcnt vmcnt(0)
	ds_write_b128 v1, v[59:62]
.LBB90_161:
	s_or_b32 exec_lo, exec_lo, s4
	s_waitcnt lgkmcnt(0)
	s_waitcnt_vscnt null, 0x0
	s_barrier
	buffer_gl0_inv
	s_clause 0x37
	buffer_load_dword v3, off, s[0:3], 0 offset:152
	buffer_load_dword v4, off, s[0:3], 0 offset:156
	;; [unrolled: 1-line block ×56, first 2 shown]
	v_mov_b32_e32 v2, 0
	s_mov_b32 s4, exec_lo
	ds_read_b128 v[59:62], v2 offset:560
	s_clause 0x2
	buffer_load_dword v124, off, s[0:3], 0 offset:380
	buffer_load_dword v128, off, s[0:3], 0 offset:356
	;; [unrolled: 1-line block ×3, first 2 shown]
	ds_read_b128 v[63:66], v2 offset:576
	s_clause 0x4
	buffer_load_dword v132, off, s[0:3], 0 offset:396
	buffer_load_dword v133, off, s[0:3], 0 offset:408
	;; [unrolled: 1-line block ×5, first 2 shown]
	ds_read_b128 v[67:70], v2 offset:592
	s_waitcnt vmcnt(62) lgkmcnt(2)
	v_mul_f64 v[129:130], v[61:62], v[3:4]
	v_mul_f64 v[3:4], v[59:60], v[3:4]
	s_waitcnt vmcnt(60) lgkmcnt(1)
	v_mul_f64 v[136:137], v[65:66], v[71:72]
	v_mul_f64 v[71:72], v[63:64], v[71:72]
	;; [unrolled: 3-line block ×3, first 2 shown]
	v_fma_f64 v[129:130], v[59:60], v[73:74], -v[129:130]
	v_fma_f64 v[3:4], v[61:62], v[73:74], v[3:4]
	s_clause 0x2
	buffer_load_dword v134, off, s[0:3], 0 offset:412
	buffer_load_dword v74, off, s[0:3], 0 offset:388
	;; [unrolled: 1-line block ×3, first 2 shown]
	s_waitcnt vmcnt(57)
	v_fma_f64 v[140:141], v[63:64], v[77:78], -v[136:137]
	ds_read_b128 v[59:62], v2 offset:608
	v_fma_f64 v[71:72], v[65:66], v[77:78], v[71:72]
	s_clause 0x4
	buffer_load_dword v78, off, s[0:3], 0 offset:428
	buffer_load_dword v137, off, s[0:3], 0 offset:440
	;; [unrolled: 1-line block ×5, first 2 shown]
	s_waitcnt vmcnt(56)
	v_fma_f64 v[75:76], v[67:68], v[85:86], -v[75:76]
	ds_read_b128 v[63:66], v2 offset:624
	v_fma_f64 v[85:86], v[69:70], v[85:86], v[138:139]
	v_add_f64 v[129:130], v[129:130], 0
	v_add_f64 v[3:4], v[3:4], 0
	s_waitcnt lgkmcnt(1)
	v_mul_f64 v[143:144], v[59:60], v[79:80]
	v_mul_f64 v[79:80], v[61:62], v[79:80]
	v_add_f64 v[129:130], v[129:130], v[140:141]
	v_add_f64 v[3:4], v[3:4], v[71:72]
	s_clause 0x2
	buffer_load_dword v138, off, s[0:3], 0 offset:444
	buffer_load_dword v72, off, s[0:3], 0 offset:420
	;; [unrolled: 1-line block ×3, first 2 shown]
	s_waitcnt vmcnt(58) lgkmcnt(0)
	v_mul_f64 v[139:140], v[63:64], v[81:82]
	v_mul_f64 v[81:82], v[65:66], v[81:82]
	s_waitcnt vmcnt(56)
	v_fma_f64 v[79:80], v[59:60], v[87:88], -v[79:80]
	ds_read_b128 v[67:70], v2 offset:640
	v_fma_f64 v[87:88], v[61:62], v[87:88], v[143:144]
	buffer_load_dword v143, off, s[0:3], 0 offset:436
	ds_read_b128 v[59:62], v2 offset:656
	v_add_f64 v[75:76], v[129:130], v[75:76]
	v_add_f64 v[3:4], v[3:4], v[85:86]
	s_waitcnt vmcnt(53) lgkmcnt(1)
	v_mul_f64 v[85:86], v[67:68], v[89:90]
	v_mul_f64 v[89:90], v[69:70], v[89:90]
	s_waitcnt vmcnt(52)
	v_fma_f64 v[81:82], v[63:64], v[83:84], -v[81:82]
	v_add_f64 v[75:76], v[75:76], v[79:80]
	v_fma_f64 v[79:80], v[65:66], v[83:84], v[139:140]
	v_add_f64 v[3:4], v[3:4], v[87:88]
	s_waitcnt vmcnt(51) lgkmcnt(0)
	v_mul_f64 v[87:88], v[61:62], v[91:92]
	ds_read_b128 v[63:66], v2 offset:672
	s_waitcnt vmcnt(49)
	v_fma_f64 v[89:90], v[67:68], v[95:96], -v[89:90]
	v_mul_f64 v[83:84], v[59:60], v[91:92]
	v_add_f64 v[75:76], v[75:76], v[81:82]
	v_fma_f64 v[81:82], v[69:70], v[95:96], v[85:86]
	v_add_f64 v[3:4], v[3:4], v[79:80]
	s_clause 0x3
	buffer_load_dword v79, off, s[0:3], 0 offset:128
	buffer_load_dword v80, off, s[0:3], 0 offset:132
	buffer_load_dword v85, off, s[0:3], 0 offset:136
	buffer_load_dword v86, off, s[0:3], 0 offset:140
	s_waitcnt vmcnt(49) lgkmcnt(0)
	v_mul_f64 v[95:96], v[65:66], v[97:98]
	s_waitcnt vmcnt(48)
	v_fma_f64 v[87:88], v[59:60], v[93:94], -v[87:88]
	ds_read_b128 v[67:70], v2 offset:688
	v_mul_f64 v[91:92], v[63:64], v[97:98]
	v_fma_f64 v[83:84], v[61:62], v[93:94], v[83:84]
	ds_read_b128 v[59:62], v2 offset:704
	v_add_f64 v[75:76], v[75:76], v[89:90]
	v_add_f64 v[3:4], v[3:4], v[81:82]
	s_waitcnt vmcnt(47) lgkmcnt(1)
	v_mul_f64 v[89:90], v[69:70], v[99:100]
	s_waitcnt vmcnt(45)
	v_fma_f64 v[93:94], v[63:64], v[103:104], -v[95:96]
	v_mul_f64 v[81:82], v[67:68], v[99:100]
	v_add_f64 v[75:76], v[75:76], v[87:88]
	v_fma_f64 v[87:88], v[65:66], v[103:104], v[91:92]
	v_add_f64 v[3:4], v[3:4], v[83:84]
	s_waitcnt vmcnt(41) lgkmcnt(0)
	v_mul_f64 v[91:92], v[61:62], v[105:106]
	s_waitcnt vmcnt(40)
	v_fma_f64 v[89:90], v[67:68], v[101:102], -v[89:90]
	ds_read_b128 v[63:66], v2 offset:720
	v_mul_f64 v[83:84], v[59:60], v[105:106]
	v_fma_f64 v[81:82], v[69:70], v[101:102], v[81:82]
	ds_read_b128 v[67:70], v2 offset:736
	v_add_f64 v[75:76], v[75:76], v[93:94]
	v_add_f64 v[3:4], v[3:4], v[87:88]
	s_waitcnt vmcnt(39) lgkmcnt(1)
	v_mul_f64 v[93:94], v[65:66], v[107:108]
	s_waitcnt vmcnt(37)
	v_fma_f64 v[91:92], v[59:60], v[111:112], -v[91:92]
	v_mul_f64 v[87:88], v[63:64], v[107:108]
	v_fma_f64 v[83:84], v[61:62], v[111:112], v[83:84]
	ds_read_b128 v[59:62], v2 offset:752
	v_add_f64 v[75:76], v[75:76], v[89:90]
	s_waitcnt vmcnt(33) lgkmcnt(1)
	v_mul_f64 v[89:90], v[69:70], v[113:114]
	v_add_f64 v[3:4], v[3:4], v[81:82]
	s_waitcnt vmcnt(32)
	v_fma_f64 v[93:94], v[63:64], v[109:110], -v[93:94]
	v_mul_f64 v[81:82], v[67:68], v[113:114]
	v_fma_f64 v[87:88], v[65:66], v[109:110], v[87:88]
	ds_read_b128 v[63:66], v2 offset:768
	v_add_f64 v[75:76], v[75:76], v[91:92]
	s_waitcnt vmcnt(31) lgkmcnt(1)
	v_mul_f64 v[91:92], v[61:62], v[115:116]
	v_add_f64 v[3:4], v[3:4], v[83:84]
	;; [unrolled: 9-line block ×5, first 2 shown]
	s_waitcnt vmcnt(16)
	v_fma_f64 v[89:90], v[67:68], v[125:126], -v[89:90]
	v_mul_f64 v[83:84], v[59:60], v[131:132]
	v_fma_f64 v[81:82], v[69:70], v[125:126], v[81:82]
	ds_read_b128 v[67:70], v2 offset:832
	v_add_f64 v[75:76], v[75:76], v[93:94]
	v_add_f64 v[3:4], v[3:4], v[87:88]
	s_waitcnt vmcnt(15) lgkmcnt(1)
	v_mul_f64 v[93:94], v[65:66], v[133:134]
	v_mul_f64 v[87:88], v[63:64], v[133:134]
	s_waitcnt vmcnt(13)
	v_fma_f64 v[91:92], v[59:60], v[73:74], -v[91:92]
	v_fma_f64 v[73:74], v[61:62], v[73:74], v[83:84]
	ds_read_b128 v[59:62], v2 offset:848
	v_add_f64 v[75:76], v[75:76], v[89:90]
	v_add_f64 v[3:4], v[3:4], v[81:82]
	s_waitcnt vmcnt(9) lgkmcnt(1)
	v_mul_f64 v[81:82], v[67:68], v[77:78]
	v_mul_f64 v[77:78], v[69:70], v[77:78]
	s_waitcnt vmcnt(8)
	v_fma_f64 v[63:64], v[63:64], v[135:136], -v[93:94]
	v_fma_f64 v[65:66], v[65:66], v[135:136], v[87:88]
	v_add_f64 v[75:76], v[75:76], v[91:92]
	v_add_f64 v[3:4], v[3:4], v[73:74]
	s_waitcnt vmcnt(7) lgkmcnt(0)
	v_mul_f64 v[83:84], v[61:62], v[137:138]
	v_mul_f64 v[73:74], v[59:60], v[137:138]
	s_waitcnt vmcnt(5)
	v_fma_f64 v[67:68], v[67:68], v[71:72], -v[77:78]
	v_fma_f64 v[69:70], v[69:70], v[71:72], v[81:82]
	v_add_f64 v[63:64], v[75:76], v[63:64]
	v_add_f64 v[3:4], v[3:4], v[65:66]
	s_waitcnt vmcnt(4)
	v_fma_f64 v[59:60], v[59:60], v[142:143], -v[83:84]
	v_fma_f64 v[61:62], v[61:62], v[142:143], v[73:74]
	v_add_f64 v[63:64], v[63:64], v[67:68]
	v_add_f64 v[3:4], v[3:4], v[69:70]
	;; [unrolled: 1-line block ×4, first 2 shown]
	s_waitcnt vmcnt(2)
	v_add_f64 v[59:60], v[79:80], -v[59:60]
	s_waitcnt vmcnt(0)
	v_add_f64 v[3:4], v[85:86], -v[3:4]
	buffer_store_dword v60, off, s[0:3], 0 offset:132
	buffer_store_dword v59, off, s[0:3], 0 offset:128
	;; [unrolled: 1-line block ×4, first 2 shown]
	v_cmpx_lt_u32_e32 6, v0
	s_cbranch_execz .LBB90_163
; %bb.162:
	v_mov_b32_e32 v3, s33
	s_clause 0x3
	buffer_load_dword v59, v3, s[0:3], 0 offen
	buffer_load_dword v60, v3, s[0:3], 0 offen offset:4
	buffer_load_dword v61, v3, s[0:3], 0 offen offset:8
	;; [unrolled: 1-line block ×3, first 2 shown]
	buffer_store_dword v2, off, s[0:3], 0 offset:112
	buffer_store_dword v2, off, s[0:3], 0 offset:116
	;; [unrolled: 1-line block ×4, first 2 shown]
	s_waitcnt vmcnt(0)
	ds_write_b128 v1, v[59:62]
.LBB90_163:
	s_or_b32 exec_lo, exec_lo, s4
	s_waitcnt lgkmcnt(0)
	s_waitcnt_vscnt null, 0x0
	s_barrier
	buffer_gl0_inv
	s_clause 0x37
	buffer_load_dword v3, off, s[0:3], 0 offset:136
	buffer_load_dword v4, off, s[0:3], 0 offset:140
	;; [unrolled: 1-line block ×56, first 2 shown]
	ds_read_b128 v[59:62], v2 offset:544
	s_clause 0x2
	buffer_load_dword v124, off, s[0:3], 0 offset:364
	buffer_load_dword v128, off, s[0:3], 0 offset:340
	;; [unrolled: 1-line block ×3, first 2 shown]
	ds_read_b128 v[63:66], v2 offset:560
	s_clause 0x4
	buffer_load_dword v132, off, s[0:3], 0 offset:380
	buffer_load_dword v133, off, s[0:3], 0 offset:392
	buffer_load_dword v135, off, s[0:3], 0 offset:384
	buffer_load_dword v131, off, s[0:3], 0 offset:376
	buffer_load_dword v126, off, s[0:3], 0 offset:356
	ds_read_b128 v[67:70], v2 offset:576
	s_mov_b32 s4, exec_lo
	s_waitcnt vmcnt(62) lgkmcnt(2)
	v_mul_f64 v[129:130], v[61:62], v[3:4]
	v_mul_f64 v[3:4], v[59:60], v[3:4]
	s_waitcnt vmcnt(60) lgkmcnt(1)
	v_mul_f64 v[136:137], v[65:66], v[71:72]
	v_mul_f64 v[71:72], v[63:64], v[71:72]
	;; [unrolled: 3-line block ×3, first 2 shown]
	v_fma_f64 v[129:130], v[59:60], v[73:74], -v[129:130]
	v_fma_f64 v[3:4], v[61:62], v[73:74], v[3:4]
	s_clause 0x2
	buffer_load_dword v134, off, s[0:3], 0 offset:396
	buffer_load_dword v74, off, s[0:3], 0 offset:372
	;; [unrolled: 1-line block ×3, first 2 shown]
	s_waitcnt vmcnt(57)
	v_fma_f64 v[140:141], v[63:64], v[77:78], -v[136:137]
	ds_read_b128 v[59:62], v2 offset:592
	v_fma_f64 v[71:72], v[65:66], v[77:78], v[71:72]
	s_clause 0x4
	buffer_load_dword v78, off, s[0:3], 0 offset:412
	buffer_load_dword v137, off, s[0:3], 0 offset:424
	;; [unrolled: 1-line block ×5, first 2 shown]
	s_waitcnt vmcnt(56)
	v_fma_f64 v[75:76], v[67:68], v[85:86], -v[75:76]
	ds_read_b128 v[63:66], v2 offset:608
	v_fma_f64 v[85:86], v[69:70], v[85:86], v[138:139]
	v_add_f64 v[129:130], v[129:130], 0
	v_add_f64 v[3:4], v[3:4], 0
	s_waitcnt lgkmcnt(1)
	v_mul_f64 v[143:144], v[59:60], v[79:80]
	v_mul_f64 v[79:80], v[61:62], v[79:80]
	v_add_f64 v[129:130], v[129:130], v[140:141]
	v_add_f64 v[3:4], v[3:4], v[71:72]
	s_clause 0x2
	buffer_load_dword v138, off, s[0:3], 0 offset:428
	buffer_load_dword v72, off, s[0:3], 0 offset:404
	;; [unrolled: 1-line block ×3, first 2 shown]
	s_waitcnt vmcnt(58) lgkmcnt(0)
	v_mul_f64 v[139:140], v[63:64], v[81:82]
	v_mul_f64 v[81:82], v[65:66], v[81:82]
	s_waitcnt vmcnt(56)
	v_fma_f64 v[79:80], v[59:60], v[87:88], -v[79:80]
	ds_read_b128 v[67:70], v2 offset:624
	v_fma_f64 v[87:88], v[61:62], v[87:88], v[143:144]
	v_add_f64 v[75:76], v[129:130], v[75:76]
	v_add_f64 v[3:4], v[3:4], v[85:86]
	s_clause 0x2
	buffer_load_dword v86, off, s[0:3], 0 offset:444
	buffer_load_dword v85, off, s[0:3], 0 offset:440
	;; [unrolled: 1-line block ×3, first 2 shown]
	ds_read_b128 v[59:62], v2 offset:640
	s_waitcnt vmcnt(55) lgkmcnt(1)
	v_mul_f64 v[129:130], v[67:68], v[89:90]
	v_mul_f64 v[89:90], v[69:70], v[89:90]
	s_waitcnt vmcnt(54)
	v_fma_f64 v[81:82], v[63:64], v[83:84], -v[81:82]
	v_add_f64 v[75:76], v[75:76], v[79:80]
	v_fma_f64 v[79:80], v[65:66], v[83:84], v[139:140]
	v_add_f64 v[3:4], v[3:4], v[87:88]
	s_clause 0x1
	buffer_load_dword v84, off, s[0:3], 0 offset:436
	buffer_load_dword v83, off, s[0:3], 0 offset:432
	s_waitcnt vmcnt(55) lgkmcnt(0)
	v_mul_f64 v[87:88], v[59:60], v[91:92]
	v_mul_f64 v[91:92], v[61:62], v[91:92]
	s_waitcnt vmcnt(53)
	v_fma_f64 v[89:90], v[67:68], v[95:96], -v[89:90]
	ds_read_b128 v[63:66], v2 offset:656
	v_add_f64 v[75:76], v[75:76], v[81:82]
	v_fma_f64 v[81:82], v[69:70], v[95:96], v[129:130]
	v_add_f64 v[3:4], v[3:4], v[79:80]
	ds_read_b128 v[67:70], v2 offset:672
	s_waitcnt vmcnt(48)
	v_fma_f64 v[87:88], v[61:62], v[93:94], v[87:88]
	s_waitcnt lgkmcnt(1)
	v_mul_f64 v[95:96], v[65:66], v[97:98]
	v_fma_f64 v[91:92], v[59:60], v[93:94], -v[91:92]
	v_mul_f64 v[79:80], v[63:64], v[97:98]
	v_add_f64 v[75:76], v[75:76], v[89:90]
	s_waitcnt vmcnt(47) lgkmcnt(0)
	v_mul_f64 v[97:98], v[69:70], v[99:100]
	v_add_f64 v[3:4], v[3:4], v[81:82]
	s_clause 0x3
	buffer_load_dword v81, off, s[0:3], 0 offset:112
	buffer_load_dword v82, off, s[0:3], 0 offset:116
	;; [unrolled: 1-line block ×4, first 2 shown]
	ds_read_b128 v[59:62], v2 offset:688
	s_waitcnt vmcnt(49)
	v_fma_f64 v[95:96], v[63:64], v[103:104], -v[95:96]
	v_mul_f64 v[93:94], v[67:68], v[99:100]
	v_fma_f64 v[79:80], v[65:66], v[103:104], v[79:80]
	ds_read_b128 v[63:66], v2 offset:704
	v_add_f64 v[75:76], v[75:76], v[91:92]
	s_waitcnt vmcnt(44)
	v_fma_f64 v[97:98], v[67:68], v[101:102], -v[97:98]
	v_add_f64 v[3:4], v[3:4], v[87:88]
	s_waitcnt lgkmcnt(1)
	v_mul_f64 v[91:92], v[61:62], v[105:106]
	v_mul_f64 v[87:88], v[59:60], v[105:106]
	v_fma_f64 v[93:94], v[69:70], v[101:102], v[93:94]
	ds_read_b128 v[67:70], v2 offset:720
	v_add_f64 v[75:76], v[75:76], v[95:96]
	s_waitcnt vmcnt(43) lgkmcnt(1)
	v_mul_f64 v[95:96], v[65:66], v[107:108]
	v_add_f64 v[3:4], v[3:4], v[79:80]
	s_waitcnt vmcnt(41)
	v_fma_f64 v[91:92], v[59:60], v[111:112], -v[91:92]
	v_mul_f64 v[79:80], v[63:64], v[107:108]
	v_fma_f64 v[87:88], v[61:62], v[111:112], v[87:88]
	ds_read_b128 v[59:62], v2 offset:736
	v_add_f64 v[75:76], v[75:76], v[97:98]
	s_waitcnt vmcnt(37) lgkmcnt(1)
	v_mul_f64 v[97:98], v[69:70], v[113:114]
	v_add_f64 v[3:4], v[3:4], v[93:94]
	s_waitcnt vmcnt(36)
	v_fma_f64 v[95:96], v[63:64], v[109:110], -v[95:96]
	;; [unrolled: 9-line block ×6, first 2 shown]
	v_mul_f64 v[87:88], v[59:60], v[131:132]
	v_fma_f64 v[93:94], v[69:70], v[125:126], v[93:94]
	ds_read_b128 v[67:70], v2 offset:816
	v_add_f64 v[75:76], v[75:76], v[95:96]
	v_add_f64 v[3:4], v[3:4], v[79:80]
	s_waitcnt vmcnt(19) lgkmcnt(1)
	v_mul_f64 v[95:96], v[65:66], v[133:134]
	v_mul_f64 v[79:80], v[63:64], v[133:134]
	s_waitcnt vmcnt(17)
	v_fma_f64 v[91:92], v[59:60], v[73:74], -v[91:92]
	v_fma_f64 v[73:74], v[61:62], v[73:74], v[87:88]
	ds_read_b128 v[59:62], v2 offset:832
	s_waitcnt vmcnt(13) lgkmcnt(1)
	v_mul_f64 v[87:88], v[67:68], v[77:78]
	v_mul_f64 v[77:78], v[69:70], v[77:78]
	v_add_f64 v[75:76], v[75:76], v[97:98]
	v_add_f64 v[3:4], v[3:4], v[93:94]
	s_waitcnt vmcnt(12)
	v_fma_f64 v[93:94], v[63:64], v[135:136], -v[95:96]
	v_fma_f64 v[79:80], v[65:66], v[135:136], v[79:80]
	ds_read_b128 v[63:66], v2 offset:848
	v_add_f64 v[75:76], v[75:76], v[91:92]
	v_add_f64 v[3:4], v[3:4], v[73:74]
	s_waitcnt vmcnt(11) lgkmcnt(1)
	v_mul_f64 v[91:92], v[61:62], v[137:138]
	v_mul_f64 v[73:74], v[59:60], v[137:138]
	s_waitcnt vmcnt(9)
	v_fma_f64 v[67:68], v[67:68], v[71:72], -v[77:78]
	v_fma_f64 v[69:70], v[69:70], v[71:72], v[87:88]
	v_add_f64 v[75:76], v[75:76], v[93:94]
	v_add_f64 v[2:3], v[3:4], v[79:80]
	s_waitcnt vmcnt(7) lgkmcnt(0)
	v_mul_f64 v[77:78], v[65:66], v[85:86]
	s_waitcnt vmcnt(6)
	v_fma_f64 v[59:60], v[59:60], v[142:143], -v[91:92]
	v_mul_f64 v[71:72], v[63:64], v[85:86]
	v_fma_f64 v[61:62], v[61:62], v[142:143], v[73:74]
	v_add_f64 v[67:68], v[75:76], v[67:68]
	v_add_f64 v[2:3], v[2:3], v[69:70]
	s_waitcnt vmcnt(4)
	v_fma_f64 v[63:64], v[63:64], v[83:84], -v[77:78]
	v_fma_f64 v[65:66], v[65:66], v[83:84], v[71:72]
	v_add_f64 v[59:60], v[67:68], v[59:60]
	v_add_f64 v[2:3], v[2:3], v[61:62]
	;; [unrolled: 1-line block ×4, first 2 shown]
	s_waitcnt vmcnt(2)
	v_add_f64 v[59:60], v[81:82], -v[59:60]
	s_waitcnt vmcnt(0)
	v_add_f64 v[2:3], v[89:90], -v[2:3]
	buffer_store_dword v60, off, s[0:3], 0 offset:116
	buffer_store_dword v59, off, s[0:3], 0 offset:112
	;; [unrolled: 1-line block ×4, first 2 shown]
	v_cmpx_lt_u32_e32 5, v0
	s_cbranch_execz .LBB90_165
; %bb.164:
	v_mov_b32_e32 v2, s34
	s_clause 0x3
	buffer_load_dword v59, v2, s[0:3], 0 offen
	buffer_load_dword v60, v2, s[0:3], 0 offen offset:4
	buffer_load_dword v61, v2, s[0:3], 0 offen offset:8
	;; [unrolled: 1-line block ×3, first 2 shown]
	v_mov_b32_e32 v2, 0
	buffer_store_dword v2, off, s[0:3], 0 offset:96
	buffer_store_dword v2, off, s[0:3], 0 offset:100
	;; [unrolled: 1-line block ×4, first 2 shown]
	s_waitcnt vmcnt(0)
	ds_write_b128 v1, v[59:62]
.LBB90_165:
	s_or_b32 exec_lo, exec_lo, s4
	s_waitcnt lgkmcnt(0)
	s_waitcnt_vscnt null, 0x0
	s_barrier
	buffer_gl0_inv
	s_clause 0x37
	buffer_load_dword v3, off, s[0:3], 0 offset:120
	buffer_load_dword v4, off, s[0:3], 0 offset:124
	buffer_load_dword v71, off, s[0:3], 0 offset:136
	buffer_load_dword v72, off, s[0:3], 0 offset:140
	buffer_load_dword v73, off, s[0:3], 0 offset:112
	buffer_load_dword v74, off, s[0:3], 0 offset:116
	buffer_load_dword v75, off, s[0:3], 0 offset:152
	buffer_load_dword v76, off, s[0:3], 0 offset:156
	buffer_load_dword v77, off, s[0:3], 0 offset:128
	buffer_load_dword v78, off, s[0:3], 0 offset:132
	buffer_load_dword v80, off, s[0:3], 0 offset:172
	buffer_load_dword v81, off, s[0:3], 0 offset:184
	buffer_load_dword v83, off, s[0:3], 0 offset:176
	buffer_load_dword v79, off, s[0:3], 0 offset:168
	buffer_load_dword v85, off, s[0:3], 0 offset:144
	buffer_load_dword v86, off, s[0:3], 0 offset:148
	buffer_load_dword v82, off, s[0:3], 0 offset:188
	buffer_load_dword v88, off, s[0:3], 0 offset:164
	buffer_load_dword v87, off, s[0:3], 0 offset:160
	buffer_load_dword v90, off, s[0:3], 0 offset:204
	buffer_load_dword v91, off, s[0:3], 0 offset:216
	buffer_load_dword v93, off, s[0:3], 0 offset:208
	buffer_load_dword v89, off, s[0:3], 0 offset:200
	buffer_load_dword v84, off, s[0:3], 0 offset:180
	buffer_load_dword v92, off, s[0:3], 0 offset:220
	buffer_load_dword v96, off, s[0:3], 0 offset:196
	buffer_load_dword v95, off, s[0:3], 0 offset:192
	buffer_load_dword v98, off, s[0:3], 0 offset:236
	buffer_load_dword v99, off, s[0:3], 0 offset:248
	buffer_load_dword v101, off, s[0:3], 0 offset:240
	buffer_load_dword v97, off, s[0:3], 0 offset:232
	buffer_load_dword v94, off, s[0:3], 0 offset:212
	buffer_load_dword v100, off, s[0:3], 0 offset:252
	buffer_load_dword v104, off, s[0:3], 0 offset:228
	buffer_load_dword v103, off, s[0:3], 0 offset:224
	buffer_load_dword v106, off, s[0:3], 0 offset:268
	buffer_load_dword v107, off, s[0:3], 0 offset:280
	buffer_load_dword v109, off, s[0:3], 0 offset:272
	buffer_load_dword v105, off, s[0:3], 0 offset:264
	buffer_load_dword v102, off, s[0:3], 0 offset:244
	buffer_load_dword v108, off, s[0:3], 0 offset:284
	buffer_load_dword v112, off, s[0:3], 0 offset:260
	buffer_load_dword v111, off, s[0:3], 0 offset:256
	buffer_load_dword v114, off, s[0:3], 0 offset:300
	buffer_load_dword v115, off, s[0:3], 0 offset:312
	buffer_load_dword v117, off, s[0:3], 0 offset:304
	buffer_load_dword v113, off, s[0:3], 0 offset:296
	buffer_load_dword v110, off, s[0:3], 0 offset:276
	buffer_load_dword v116, off, s[0:3], 0 offset:316
	buffer_load_dword v120, off, s[0:3], 0 offset:292
	buffer_load_dword v119, off, s[0:3], 0 offset:288
	buffer_load_dword v122, off, s[0:3], 0 offset:332
	buffer_load_dword v123, off, s[0:3], 0 offset:344
	buffer_load_dword v125, off, s[0:3], 0 offset:336
	buffer_load_dword v121, off, s[0:3], 0 offset:328
	buffer_load_dword v118, off, s[0:3], 0 offset:308
	v_mov_b32_e32 v2, 0
	s_mov_b32 s4, exec_lo
	ds_read_b128 v[59:62], v2 offset:528
	s_clause 0x2
	buffer_load_dword v124, off, s[0:3], 0 offset:348
	buffer_load_dword v128, off, s[0:3], 0 offset:324
	;; [unrolled: 1-line block ×3, first 2 shown]
	ds_read_b128 v[63:66], v2 offset:544
	s_clause 0x4
	buffer_load_dword v132, off, s[0:3], 0 offset:364
	buffer_load_dword v133, off, s[0:3], 0 offset:376
	;; [unrolled: 1-line block ×5, first 2 shown]
	ds_read_b128 v[67:70], v2 offset:560
	s_waitcnt vmcnt(62) lgkmcnt(2)
	v_mul_f64 v[129:130], v[61:62], v[3:4]
	v_mul_f64 v[3:4], v[59:60], v[3:4]
	s_waitcnt vmcnt(60) lgkmcnt(1)
	v_mul_f64 v[136:137], v[65:66], v[71:72]
	v_mul_f64 v[71:72], v[63:64], v[71:72]
	;; [unrolled: 3-line block ×3, first 2 shown]
	v_fma_f64 v[129:130], v[59:60], v[73:74], -v[129:130]
	v_fma_f64 v[3:4], v[61:62], v[73:74], v[3:4]
	s_clause 0x2
	buffer_load_dword v134, off, s[0:3], 0 offset:380
	buffer_load_dword v74, off, s[0:3], 0 offset:356
	;; [unrolled: 1-line block ×3, first 2 shown]
	s_waitcnt vmcnt(57)
	v_fma_f64 v[140:141], v[63:64], v[77:78], -v[136:137]
	ds_read_b128 v[59:62], v2 offset:576
	v_fma_f64 v[71:72], v[65:66], v[77:78], v[71:72]
	s_clause 0x4
	buffer_load_dword v78, off, s[0:3], 0 offset:396
	buffer_load_dword v137, off, s[0:3], 0 offset:408
	;; [unrolled: 1-line block ×5, first 2 shown]
	s_waitcnt vmcnt(56)
	v_fma_f64 v[75:76], v[67:68], v[85:86], -v[75:76]
	ds_read_b128 v[63:66], v2 offset:592
	v_fma_f64 v[85:86], v[69:70], v[85:86], v[138:139]
	v_add_f64 v[129:130], v[129:130], 0
	v_add_f64 v[3:4], v[3:4], 0
	s_waitcnt lgkmcnt(1)
	v_mul_f64 v[143:144], v[59:60], v[79:80]
	v_mul_f64 v[79:80], v[61:62], v[79:80]
	v_add_f64 v[129:130], v[129:130], v[140:141]
	v_add_f64 v[3:4], v[3:4], v[71:72]
	s_clause 0x2
	buffer_load_dword v138, off, s[0:3], 0 offset:412
	buffer_load_dword v72, off, s[0:3], 0 offset:388
	;; [unrolled: 1-line block ×3, first 2 shown]
	s_waitcnt vmcnt(58) lgkmcnt(0)
	v_mul_f64 v[139:140], v[63:64], v[81:82]
	v_mul_f64 v[81:82], v[65:66], v[81:82]
	s_waitcnt vmcnt(56)
	v_fma_f64 v[79:80], v[59:60], v[87:88], -v[79:80]
	ds_read_b128 v[67:70], v2 offset:608
	v_fma_f64 v[87:88], v[61:62], v[87:88], v[143:144]
	v_add_f64 v[75:76], v[129:130], v[75:76]
	v_add_f64 v[3:4], v[3:4], v[85:86]
	s_clause 0x4
	buffer_load_dword v86, off, s[0:3], 0 offset:428
	buffer_load_dword v129, off, s[0:3], 0 offset:440
	;; [unrolled: 1-line block ×5, first 2 shown]
	ds_read_b128 v[59:62], v2 offset:624
	s_waitcnt vmcnt(57) lgkmcnt(1)
	v_mul_f64 v[145:146], v[67:68], v[89:90]
	v_mul_f64 v[89:90], v[69:70], v[89:90]
	s_waitcnt vmcnt(56)
	v_fma_f64 v[81:82], v[63:64], v[83:84], -v[81:82]
	v_add_f64 v[75:76], v[75:76], v[79:80]
	v_fma_f64 v[79:80], v[65:66], v[83:84], v[139:140]
	v_add_f64 v[3:4], v[3:4], v[87:88]
	s_clause 0x2
	buffer_load_dword v130, off, s[0:3], 0 offset:444
	buffer_load_dword v84, off, s[0:3], 0 offset:420
	;; [unrolled: 1-line block ×3, first 2 shown]
	s_waitcnt vmcnt(58) lgkmcnt(0)
	v_mul_f64 v[87:88], v[59:60], v[91:92]
	v_mul_f64 v[91:92], v[61:62], v[91:92]
	s_waitcnt vmcnt(56)
	v_fma_f64 v[89:90], v[67:68], v[95:96], -v[89:90]
	ds_read_b128 v[63:66], v2 offset:640
	v_add_f64 v[75:76], v[75:76], v[81:82]
	v_fma_f64 v[81:82], v[69:70], v[95:96], v[145:146]
	v_add_f64 v[3:4], v[3:4], v[79:80]
	buffer_load_dword v145, off, s[0:3], 0 offset:436
	ds_read_b128 v[67:70], v2 offset:656
	s_waitcnt vmcnt(53) lgkmcnt(1)
	v_mul_f64 v[95:96], v[65:66], v[97:98]
	s_waitcnt vmcnt(52)
	v_fma_f64 v[91:92], v[59:60], v[93:94], -v[91:92]
	v_mul_f64 v[79:80], v[63:64], v[97:98]
	v_fma_f64 v[87:88], v[61:62], v[93:94], v[87:88]
	ds_read_b128 v[59:62], v2 offset:672
	v_add_f64 v[75:76], v[75:76], v[89:90]
	v_add_f64 v[3:4], v[3:4], v[81:82]
	s_waitcnt vmcnt(51) lgkmcnt(1)
	v_mul_f64 v[89:90], v[69:70], v[99:100]
	v_mul_f64 v[81:82], v[67:68], v[99:100]
	s_waitcnt vmcnt(49)
	v_fma_f64 v[93:94], v[63:64], v[103:104], -v[95:96]
	v_fma_f64 v[79:80], v[65:66], v[103:104], v[79:80]
	s_waitcnt vmcnt(45) lgkmcnt(0)
	v_mul_f64 v[97:98], v[61:62], v[105:106]
	v_mul_f64 v[95:96], v[59:60], v[105:106]
	v_add_f64 v[75:76], v[75:76], v[91:92]
	v_add_f64 v[3:4], v[3:4], v[87:88]
	s_clause 0x3
	buffer_load_dword v87, off, s[0:3], 0 offset:96
	buffer_load_dword v88, off, s[0:3], 0 offset:100
	;; [unrolled: 1-line block ×4, first 2 shown]
	s_waitcnt vmcnt(48)
	v_fma_f64 v[89:90], v[67:68], v[101:102], -v[89:90]
	ds_read_b128 v[63:66], v2 offset:688
	v_fma_f64 v[81:82], v[69:70], v[101:102], v[81:82]
	ds_read_b128 v[67:70], v2 offset:704
	s_waitcnt vmcnt(45)
	v_fma_f64 v[97:98], v[59:60], v[111:112], -v[97:98]
	v_add_f64 v[75:76], v[75:76], v[93:94]
	v_add_f64 v[3:4], v[3:4], v[79:80]
	s_waitcnt lgkmcnt(1)
	v_mul_f64 v[93:94], v[65:66], v[107:108]
	v_mul_f64 v[79:80], v[63:64], v[107:108]
	v_add_f64 v[75:76], v[75:76], v[89:90]
	v_fma_f64 v[89:90], v[61:62], v[111:112], v[95:96]
	v_add_f64 v[3:4], v[3:4], v[81:82]
	s_waitcnt vmcnt(41) lgkmcnt(0)
	v_mul_f64 v[95:96], v[69:70], v[113:114]
	s_waitcnt vmcnt(40)
	v_fma_f64 v[93:94], v[63:64], v[109:110], -v[93:94]
	ds_read_b128 v[59:62], v2 offset:720
	v_mul_f64 v[81:82], v[67:68], v[113:114]
	v_fma_f64 v[79:80], v[65:66], v[109:110], v[79:80]
	ds_read_b128 v[63:66], v2 offset:736
	v_add_f64 v[75:76], v[75:76], v[97:98]
	v_add_f64 v[3:4], v[3:4], v[89:90]
	s_waitcnt vmcnt(39) lgkmcnt(1)
	v_mul_f64 v[97:98], v[61:62], v[115:116]
	s_waitcnt vmcnt(37)
	v_fma_f64 v[95:96], v[67:68], v[119:120], -v[95:96]
	v_mul_f64 v[89:90], v[59:60], v[115:116]
	v_fma_f64 v[81:82], v[69:70], v[119:120], v[81:82]
	ds_read_b128 v[67:70], v2 offset:752
	v_add_f64 v[75:76], v[75:76], v[93:94]
	s_waitcnt vmcnt(33) lgkmcnt(1)
	v_mul_f64 v[93:94], v[65:66], v[121:122]
	v_add_f64 v[3:4], v[3:4], v[79:80]
	s_waitcnt vmcnt(32)
	v_fma_f64 v[97:98], v[59:60], v[117:118], -v[97:98]
	v_mul_f64 v[79:80], v[63:64], v[121:122]
	v_fma_f64 v[89:90], v[61:62], v[117:118], v[89:90]
	ds_read_b128 v[59:62], v2 offset:768
	v_add_f64 v[75:76], v[75:76], v[95:96]
	s_waitcnt vmcnt(31) lgkmcnt(1)
	v_mul_f64 v[95:96], v[69:70], v[123:124]
	v_add_f64 v[3:4], v[3:4], v[81:82]
	;; [unrolled: 9-line block ×3, first 2 shown]
	s_waitcnt vmcnt(24)
	v_fma_f64 v[95:96], v[67:68], v[125:126], -v[95:96]
	v_mul_f64 v[89:90], v[59:60], v[131:132]
	v_fma_f64 v[81:82], v[69:70], v[125:126], v[81:82]
	ds_read_b128 v[67:70], v2 offset:800
	v_add_f64 v[75:76], v[75:76], v[93:94]
	v_add_f64 v[3:4], v[3:4], v[79:80]
	s_waitcnt vmcnt(23) lgkmcnt(1)
	v_mul_f64 v[93:94], v[65:66], v[133:134]
	v_mul_f64 v[79:80], v[63:64], v[133:134]
	s_waitcnt vmcnt(21)
	v_fma_f64 v[97:98], v[59:60], v[73:74], -v[97:98]
	v_fma_f64 v[73:74], v[61:62], v[73:74], v[89:90]
	ds_read_b128 v[59:62], v2 offset:816
	v_add_f64 v[75:76], v[75:76], v[95:96]
	v_add_f64 v[3:4], v[3:4], v[81:82]
	s_waitcnt vmcnt(17) lgkmcnt(1)
	v_mul_f64 v[81:82], v[67:68], v[77:78]
	v_mul_f64 v[77:78], v[69:70], v[77:78]
	s_waitcnt vmcnt(16)
	v_fma_f64 v[89:90], v[63:64], v[135:136], -v[93:94]
	;; [unrolled: 9-line block ×3, first 2 shown]
	v_fma_f64 v[71:72], v[69:70], v[71:72], v[81:82]
	ds_read_b128 v[67:70], v2 offset:848
	v_add_f64 v[75:76], v[75:76], v[89:90]
	v_add_f64 v[3:4], v[3:4], v[79:80]
	s_waitcnt vmcnt(9) lgkmcnt(1)
	v_mul_f64 v[81:82], v[65:66], v[85:86]
	s_waitcnt vmcnt(8)
	v_fma_f64 v[59:60], v[59:60], v[142:143], -v[93:94]
	v_mul_f64 v[79:80], v[63:64], v[85:86]
	v_fma_f64 v[61:62], v[61:62], v[142:143], v[73:74]
	v_add_f64 v[75:76], v[75:76], v[77:78]
	v_add_f64 v[3:4], v[3:4], v[71:72]
	s_waitcnt vmcnt(7) lgkmcnt(0)
	v_mul_f64 v[73:74], v[69:70], v[129:130]
	v_mul_f64 v[71:72], v[67:68], v[129:130]
	s_waitcnt vmcnt(5)
	v_fma_f64 v[63:64], v[63:64], v[83:84], -v[81:82]
	v_fma_f64 v[65:66], v[65:66], v[83:84], v[79:80]
	v_add_f64 v[59:60], v[75:76], v[59:60]
	v_add_f64 v[3:4], v[3:4], v[61:62]
	s_waitcnt vmcnt(4)
	v_fma_f64 v[61:62], v[67:68], v[144:145], -v[73:74]
	v_add_f64 v[59:60], v[59:60], v[63:64]
	v_fma_f64 v[63:64], v[69:70], v[144:145], v[71:72]
	v_add_f64 v[3:4], v[3:4], v[65:66]
	v_add_f64 v[59:60], v[59:60], v[61:62]
	;; [unrolled: 1-line block ×3, first 2 shown]
	s_waitcnt vmcnt(2)
	v_add_f64 v[59:60], v[87:88], -v[59:60]
	s_waitcnt vmcnt(0)
	v_add_f64 v[3:4], v[91:92], -v[3:4]
	buffer_store_dword v60, off, s[0:3], 0 offset:100
	buffer_store_dword v59, off, s[0:3], 0 offset:96
	;; [unrolled: 1-line block ×4, first 2 shown]
	v_cmpx_lt_u32_e32 4, v0
	s_cbranch_execz .LBB90_167
; %bb.166:
	v_mov_b32_e32 v3, s35
	s_clause 0x3
	buffer_load_dword v59, v3, s[0:3], 0 offen
	buffer_load_dword v60, v3, s[0:3], 0 offen offset:4
	buffer_load_dword v61, v3, s[0:3], 0 offen offset:8
	;; [unrolled: 1-line block ×3, first 2 shown]
	buffer_store_dword v2, off, s[0:3], 0 offset:80
	buffer_store_dword v2, off, s[0:3], 0 offset:84
	;; [unrolled: 1-line block ×4, first 2 shown]
	s_waitcnt vmcnt(0)
	ds_write_b128 v1, v[59:62]
.LBB90_167:
	s_or_b32 exec_lo, exec_lo, s4
	s_waitcnt lgkmcnt(0)
	s_waitcnt_vscnt null, 0x0
	s_barrier
	buffer_gl0_inv
	s_clause 0x37
	buffer_load_dword v3, off, s[0:3], 0 offset:104
	buffer_load_dword v4, off, s[0:3], 0 offset:108
	;; [unrolled: 1-line block ×56, first 2 shown]
	ds_read_b128 v[59:62], v2 offset:512
	s_clause 0x2
	buffer_load_dword v124, off, s[0:3], 0 offset:332
	buffer_load_dword v128, off, s[0:3], 0 offset:308
	;; [unrolled: 1-line block ×3, first 2 shown]
	ds_read_b128 v[63:66], v2 offset:528
	s_clause 0x4
	buffer_load_dword v132, off, s[0:3], 0 offset:348
	buffer_load_dword v133, off, s[0:3], 0 offset:360
	;; [unrolled: 1-line block ×5, first 2 shown]
	ds_read_b128 v[67:70], v2 offset:544
	s_mov_b32 s4, exec_lo
	s_waitcnt vmcnt(62) lgkmcnt(2)
	v_mul_f64 v[129:130], v[61:62], v[3:4]
	v_mul_f64 v[3:4], v[59:60], v[3:4]
	s_waitcnt vmcnt(60) lgkmcnt(1)
	v_mul_f64 v[136:137], v[65:66], v[71:72]
	v_mul_f64 v[71:72], v[63:64], v[71:72]
	;; [unrolled: 3-line block ×3, first 2 shown]
	v_fma_f64 v[129:130], v[59:60], v[73:74], -v[129:130]
	v_fma_f64 v[3:4], v[61:62], v[73:74], v[3:4]
	s_clause 0x2
	buffer_load_dword v134, off, s[0:3], 0 offset:364
	buffer_load_dword v74, off, s[0:3], 0 offset:340
	;; [unrolled: 1-line block ×3, first 2 shown]
	s_waitcnt vmcnt(57)
	v_fma_f64 v[140:141], v[63:64], v[77:78], -v[136:137]
	ds_read_b128 v[59:62], v2 offset:560
	v_fma_f64 v[71:72], v[65:66], v[77:78], v[71:72]
	s_clause 0x4
	buffer_load_dword v78, off, s[0:3], 0 offset:380
	buffer_load_dword v137, off, s[0:3], 0 offset:392
	;; [unrolled: 1-line block ×5, first 2 shown]
	s_waitcnt vmcnt(56)
	v_fma_f64 v[75:76], v[67:68], v[85:86], -v[75:76]
	ds_read_b128 v[63:66], v2 offset:576
	v_fma_f64 v[85:86], v[69:70], v[85:86], v[138:139]
	v_add_f64 v[129:130], v[129:130], 0
	v_add_f64 v[3:4], v[3:4], 0
	s_waitcnt lgkmcnt(1)
	v_mul_f64 v[143:144], v[59:60], v[79:80]
	v_mul_f64 v[79:80], v[61:62], v[79:80]
	v_add_f64 v[129:130], v[129:130], v[140:141]
	v_add_f64 v[3:4], v[3:4], v[71:72]
	s_clause 0x2
	buffer_load_dword v138, off, s[0:3], 0 offset:396
	buffer_load_dword v72, off, s[0:3], 0 offset:372
	;; [unrolled: 1-line block ×3, first 2 shown]
	s_waitcnt vmcnt(58) lgkmcnt(0)
	v_mul_f64 v[139:140], v[63:64], v[81:82]
	v_mul_f64 v[81:82], v[65:66], v[81:82]
	s_waitcnt vmcnt(56)
	v_fma_f64 v[79:80], v[59:60], v[87:88], -v[79:80]
	ds_read_b128 v[67:70], v2 offset:592
	v_fma_f64 v[87:88], v[61:62], v[87:88], v[143:144]
	v_add_f64 v[75:76], v[129:130], v[75:76]
	v_add_f64 v[3:4], v[3:4], v[85:86]
	s_clause 0x4
	buffer_load_dword v86, off, s[0:3], 0 offset:412
	buffer_load_dword v129, off, s[0:3], 0 offset:424
	;; [unrolled: 1-line block ×5, first 2 shown]
	ds_read_b128 v[59:62], v2 offset:608
	s_waitcnt vmcnt(57) lgkmcnt(1)
	v_mul_f64 v[145:146], v[67:68], v[89:90]
	v_mul_f64 v[89:90], v[69:70], v[89:90]
	s_waitcnt vmcnt(56)
	v_fma_f64 v[81:82], v[63:64], v[83:84], -v[81:82]
	v_add_f64 v[75:76], v[75:76], v[79:80]
	v_fma_f64 v[79:80], v[65:66], v[83:84], v[139:140]
	v_add_f64 v[3:4], v[3:4], v[87:88]
	s_clause 0x2
	buffer_load_dword v130, off, s[0:3], 0 offset:428
	buffer_load_dword v84, off, s[0:3], 0 offset:404
	;; [unrolled: 1-line block ×3, first 2 shown]
	s_waitcnt vmcnt(58) lgkmcnt(0)
	v_mul_f64 v[87:88], v[59:60], v[91:92]
	v_mul_f64 v[91:92], v[61:62], v[91:92]
	s_waitcnt vmcnt(56)
	v_fma_f64 v[89:90], v[67:68], v[95:96], -v[89:90]
	ds_read_b128 v[63:66], v2 offset:624
	v_add_f64 v[75:76], v[75:76], v[81:82]
	v_fma_f64 v[81:82], v[69:70], v[95:96], v[145:146]
	v_add_f64 v[3:4], v[3:4], v[79:80]
	s_clause 0x2
	buffer_load_dword v80, off, s[0:3], 0 offset:444
	buffer_load_dword v79, off, s[0:3], 0 offset:440
	;; [unrolled: 1-line block ×3, first 2 shown]
	ds_read_b128 v[67:70], v2 offset:640
	s_waitcnt vmcnt(55) lgkmcnt(1)
	v_mul_f64 v[95:96], v[63:64], v[97:98]
	v_mul_f64 v[97:98], v[65:66], v[97:98]
	s_waitcnt vmcnt(54)
	v_fma_f64 v[91:92], v[59:60], v[93:94], -v[91:92]
	v_fma_f64 v[87:88], v[61:62], v[93:94], v[87:88]
	v_add_f64 v[75:76], v[75:76], v[89:90]
	v_add_f64 v[3:4], v[3:4], v[81:82]
	s_clause 0x1
	buffer_load_dword v82, off, s[0:3], 0 offset:436
	buffer_load_dword v81, off, s[0:3], 0 offset:432
	s_waitcnt vmcnt(55) lgkmcnt(0)
	v_mul_f64 v[93:94], v[69:70], v[99:100]
	ds_read_b128 v[59:62], v2 offset:656
	s_waitcnt vmcnt(53)
	v_fma_f64 v[97:98], v[63:64], v[103:104], -v[97:98]
	v_mul_f64 v[89:90], v[67:68], v[99:100]
	v_add_f64 v[75:76], v[75:76], v[91:92]
	v_fma_f64 v[91:92], v[65:66], v[103:104], v[95:96]
	v_add_f64 v[3:4], v[3:4], v[87:88]
	ds_read_b128 v[63:66], v2 offset:672
	s_waitcnt vmcnt(49) lgkmcnt(1)
	v_mul_f64 v[95:96], v[61:62], v[105:106]
	s_waitcnt vmcnt(48)
	v_fma_f64 v[93:94], v[67:68], v[101:102], -v[93:94]
	v_mul_f64 v[87:88], v[59:60], v[105:106]
	v_fma_f64 v[89:90], v[69:70], v[101:102], v[89:90]
	v_add_f64 v[75:76], v[75:76], v[97:98]
	s_waitcnt vmcnt(47) lgkmcnt(0)
	v_mul_f64 v[101:102], v[65:66], v[107:108]
	v_add_f64 v[3:4], v[3:4], v[91:92]
	s_clause 0x3
	buffer_load_dword v91, off, s[0:3], 0 offset:80
	buffer_load_dword v92, off, s[0:3], 0 offset:84
	;; [unrolled: 1-line block ×4, first 2 shown]
	s_waitcnt vmcnt(49)
	v_fma_f64 v[95:96], v[59:60], v[111:112], -v[95:96]
	ds_read_b128 v[67:70], v2 offset:688
	v_mul_f64 v[99:100], v[63:64], v[107:108]
	v_fma_f64 v[87:88], v[61:62], v[111:112], v[87:88]
	ds_read_b128 v[59:62], v2 offset:704
	v_add_f64 v[75:76], v[75:76], v[93:94]
	s_waitcnt vmcnt(44)
	v_fma_f64 v[101:102], v[63:64], v[109:110], -v[101:102]
	v_add_f64 v[3:4], v[3:4], v[89:90]
	s_waitcnt lgkmcnt(1)
	v_mul_f64 v[93:94], v[69:70], v[113:114]
	v_mul_f64 v[89:90], v[67:68], v[113:114]
	v_add_f64 v[75:76], v[75:76], v[95:96]
	v_fma_f64 v[95:96], v[65:66], v[109:110], v[99:100]
	v_add_f64 v[3:4], v[3:4], v[87:88]
	s_waitcnt vmcnt(43) lgkmcnt(0)
	v_mul_f64 v[99:100], v[61:62], v[115:116]
	s_waitcnt vmcnt(41)
	v_fma_f64 v[93:94], v[67:68], v[119:120], -v[93:94]
	ds_read_b128 v[63:66], v2 offset:720
	v_mul_f64 v[87:88], v[59:60], v[115:116]
	v_fma_f64 v[89:90], v[69:70], v[119:120], v[89:90]
	ds_read_b128 v[67:70], v2 offset:736
	v_add_f64 v[75:76], v[75:76], v[101:102]
	v_add_f64 v[3:4], v[3:4], v[95:96]
	s_waitcnt vmcnt(37) lgkmcnt(1)
	v_mul_f64 v[101:102], v[65:66], v[121:122]
	s_waitcnt vmcnt(36)
	v_fma_f64 v[99:100], v[59:60], v[117:118], -v[99:100]
	v_mul_f64 v[95:96], v[63:64], v[121:122]
	v_fma_f64 v[87:88], v[61:62], v[117:118], v[87:88]
	ds_read_b128 v[59:62], v2 offset:752
	v_add_f64 v[75:76], v[75:76], v[93:94]
	s_waitcnt vmcnt(35) lgkmcnt(1)
	v_mul_f64 v[93:94], v[69:70], v[123:124]
	v_add_f64 v[3:4], v[3:4], v[89:90]
	s_waitcnt vmcnt(33)
	v_fma_f64 v[101:102], v[63:64], v[127:128], -v[101:102]
	v_mul_f64 v[89:90], v[67:68], v[123:124]
	v_fma_f64 v[95:96], v[65:66], v[127:128], v[95:96]
	ds_read_b128 v[63:66], v2 offset:768
	v_add_f64 v[75:76], v[75:76], v[99:100]
	s_waitcnt vmcnt(29) lgkmcnt(1)
	v_mul_f64 v[99:100], v[61:62], v[131:132]
	v_add_f64 v[3:4], v[3:4], v[87:88]
	s_waitcnt vmcnt(28)
	v_fma_f64 v[93:94], v[67:68], v[125:126], -v[93:94]
	v_mul_f64 v[87:88], v[59:60], v[131:132]
	v_fma_f64 v[89:90], v[69:70], v[125:126], v[89:90]
	ds_read_b128 v[67:70], v2 offset:784
	v_add_f64 v[75:76], v[75:76], v[101:102]
	v_add_f64 v[3:4], v[3:4], v[95:96]
	s_waitcnt vmcnt(27) lgkmcnt(1)
	v_mul_f64 v[101:102], v[65:66], v[133:134]
	v_mul_f64 v[95:96], v[63:64], v[133:134]
	s_waitcnt vmcnt(25)
	v_fma_f64 v[99:100], v[59:60], v[73:74], -v[99:100]
	v_fma_f64 v[73:74], v[61:62], v[73:74], v[87:88]
	ds_read_b128 v[59:62], v2 offset:800
	s_waitcnt vmcnt(21) lgkmcnt(1)
	v_mul_f64 v[87:88], v[67:68], v[77:78]
	v_mul_f64 v[77:78], v[69:70], v[77:78]
	v_add_f64 v[75:76], v[75:76], v[93:94]
	v_add_f64 v[3:4], v[3:4], v[89:90]
	s_waitcnt vmcnt(20)
	v_fma_f64 v[89:90], v[63:64], v[135:136], -v[101:102]
	v_fma_f64 v[93:94], v[65:66], v[135:136], v[95:96]
	ds_read_b128 v[63:66], v2 offset:816
	v_add_f64 v[75:76], v[75:76], v[99:100]
	v_add_f64 v[3:4], v[3:4], v[73:74]
	s_waitcnt vmcnt(19) lgkmcnt(1)
	v_mul_f64 v[95:96], v[61:62], v[137:138]
	v_mul_f64 v[73:74], v[59:60], v[137:138]
	s_waitcnt vmcnt(17)
	v_fma_f64 v[77:78], v[67:68], v[71:72], -v[77:78]
	v_fma_f64 v[71:72], v[69:70], v[71:72], v[87:88]
	ds_read_b128 v[67:70], v2 offset:832
	v_add_f64 v[75:76], v[75:76], v[89:90]
	v_add_f64 v[3:4], v[3:4], v[93:94]
	s_waitcnt vmcnt(13) lgkmcnt(1)
	v_mul_f64 v[87:88], v[63:64], v[85:86]
	v_mul_f64 v[85:86], v[65:66], v[85:86]
	;; [unrolled: 9-line block ×3, first 2 shown]
	s_waitcnt vmcnt(9)
	v_fma_f64 v[63:64], v[63:64], v[83:84], -v[85:86]
	v_fma_f64 v[65:66], v[65:66], v[83:84], v[87:88]
	v_add_f64 v[75:76], v[75:76], v[89:90]
	v_add_f64 v[2:3], v[3:4], v[73:74]
	s_waitcnt vmcnt(7) lgkmcnt(0)
	v_mul_f64 v[73:74], v[59:60], v[79:80]
	v_mul_f64 v[79:80], v[61:62], v[79:80]
	s_waitcnt vmcnt(6)
	v_fma_f64 v[67:68], v[67:68], v[144:145], -v[77:78]
	v_fma_f64 v[69:70], v[69:70], v[144:145], v[71:72]
	v_add_f64 v[63:64], v[75:76], v[63:64]
	v_add_f64 v[2:3], v[2:3], v[65:66]
	s_waitcnt vmcnt(4)
	v_fma_f64 v[59:60], v[59:60], v[81:82], -v[79:80]
	v_fma_f64 v[61:62], v[61:62], v[81:82], v[73:74]
	v_add_f64 v[63:64], v[63:64], v[67:68]
	v_add_f64 v[2:3], v[2:3], v[69:70]
	;; [unrolled: 1-line block ×4, first 2 shown]
	s_waitcnt vmcnt(2)
	v_add_f64 v[59:60], v[91:92], -v[59:60]
	s_waitcnt vmcnt(0)
	v_add_f64 v[2:3], v[97:98], -v[2:3]
	buffer_store_dword v60, off, s[0:3], 0 offset:84
	buffer_store_dword v59, off, s[0:3], 0 offset:80
	buffer_store_dword v3, off, s[0:3], 0 offset:92
	buffer_store_dword v2, off, s[0:3], 0 offset:88
	v_cmpx_lt_u32_e32 3, v0
	s_cbranch_execz .LBB90_169
; %bb.168:
	v_mov_b32_e32 v2, s36
	s_clause 0x3
	buffer_load_dword v59, v2, s[0:3], 0 offen
	buffer_load_dword v60, v2, s[0:3], 0 offen offset:4
	buffer_load_dword v61, v2, s[0:3], 0 offen offset:8
	;; [unrolled: 1-line block ×3, first 2 shown]
	v_mov_b32_e32 v2, 0
	buffer_store_dword v2, off, s[0:3], 0 offset:64
	buffer_store_dword v2, off, s[0:3], 0 offset:68
	;; [unrolled: 1-line block ×4, first 2 shown]
	s_waitcnt vmcnt(0)
	ds_write_b128 v1, v[59:62]
.LBB90_169:
	s_or_b32 exec_lo, exec_lo, s4
	s_waitcnt lgkmcnt(0)
	s_waitcnt_vscnt null, 0x0
	s_barrier
	buffer_gl0_inv
	s_clause 0x37
	buffer_load_dword v3, off, s[0:3], 0 offset:88
	buffer_load_dword v4, off, s[0:3], 0 offset:92
	;; [unrolled: 1-line block ×56, first 2 shown]
	v_mov_b32_e32 v2, 0
	s_mov_b32 s4, exec_lo
	ds_read_b128 v[59:62], v2 offset:496
	s_clause 0x2
	buffer_load_dword v124, off, s[0:3], 0 offset:316
	buffer_load_dword v128, off, s[0:3], 0 offset:292
	;; [unrolled: 1-line block ×3, first 2 shown]
	ds_read_b128 v[63:66], v2 offset:512
	s_clause 0x4
	buffer_load_dword v132, off, s[0:3], 0 offset:332
	buffer_load_dword v133, off, s[0:3], 0 offset:344
	;; [unrolled: 1-line block ×5, first 2 shown]
	ds_read_b128 v[67:70], v2 offset:528
	s_waitcnt vmcnt(62) lgkmcnt(2)
	v_mul_f64 v[129:130], v[61:62], v[3:4]
	v_mul_f64 v[3:4], v[59:60], v[3:4]
	s_waitcnt vmcnt(60) lgkmcnt(1)
	v_mul_f64 v[136:137], v[65:66], v[71:72]
	v_mul_f64 v[71:72], v[63:64], v[71:72]
	;; [unrolled: 3-line block ×3, first 2 shown]
	v_fma_f64 v[129:130], v[59:60], v[73:74], -v[129:130]
	v_fma_f64 v[3:4], v[61:62], v[73:74], v[3:4]
	s_clause 0x2
	buffer_load_dword v134, off, s[0:3], 0 offset:348
	buffer_load_dword v74, off, s[0:3], 0 offset:324
	;; [unrolled: 1-line block ×3, first 2 shown]
	s_waitcnt vmcnt(57)
	v_fma_f64 v[140:141], v[63:64], v[77:78], -v[136:137]
	ds_read_b128 v[59:62], v2 offset:544
	v_fma_f64 v[71:72], v[65:66], v[77:78], v[71:72]
	s_clause 0x4
	buffer_load_dword v78, off, s[0:3], 0 offset:364
	buffer_load_dword v137, off, s[0:3], 0 offset:376
	;; [unrolled: 1-line block ×5, first 2 shown]
	s_waitcnt vmcnt(56)
	v_fma_f64 v[75:76], v[67:68], v[85:86], -v[75:76]
	ds_read_b128 v[63:66], v2 offset:560
	v_fma_f64 v[85:86], v[69:70], v[85:86], v[138:139]
	v_add_f64 v[129:130], v[129:130], 0
	v_add_f64 v[3:4], v[3:4], 0
	s_waitcnt lgkmcnt(1)
	v_mul_f64 v[143:144], v[59:60], v[79:80]
	v_mul_f64 v[79:80], v[61:62], v[79:80]
	v_add_f64 v[129:130], v[129:130], v[140:141]
	v_add_f64 v[3:4], v[3:4], v[71:72]
	s_clause 0x2
	buffer_load_dword v138, off, s[0:3], 0 offset:380
	buffer_load_dword v72, off, s[0:3], 0 offset:356
	;; [unrolled: 1-line block ×3, first 2 shown]
	s_waitcnt vmcnt(58) lgkmcnt(0)
	v_mul_f64 v[139:140], v[63:64], v[81:82]
	v_mul_f64 v[81:82], v[65:66], v[81:82]
	s_waitcnt vmcnt(56)
	v_fma_f64 v[79:80], v[59:60], v[87:88], -v[79:80]
	ds_read_b128 v[67:70], v2 offset:576
	v_fma_f64 v[87:88], v[61:62], v[87:88], v[143:144]
	v_add_f64 v[75:76], v[129:130], v[75:76]
	v_add_f64 v[3:4], v[3:4], v[85:86]
	s_clause 0x4
	buffer_load_dword v86, off, s[0:3], 0 offset:396
	buffer_load_dword v129, off, s[0:3], 0 offset:408
	;; [unrolled: 1-line block ×5, first 2 shown]
	ds_read_b128 v[59:62], v2 offset:592
	s_waitcnt vmcnt(57) lgkmcnt(1)
	v_mul_f64 v[145:146], v[67:68], v[89:90]
	v_mul_f64 v[89:90], v[69:70], v[89:90]
	s_waitcnt vmcnt(56)
	v_fma_f64 v[81:82], v[63:64], v[83:84], -v[81:82]
	v_add_f64 v[75:76], v[75:76], v[79:80]
	v_fma_f64 v[79:80], v[65:66], v[83:84], v[139:140]
	v_add_f64 v[3:4], v[3:4], v[87:88]
	s_clause 0x2
	buffer_load_dword v130, off, s[0:3], 0 offset:412
	buffer_load_dword v84, off, s[0:3], 0 offset:388
	;; [unrolled: 1-line block ×3, first 2 shown]
	s_waitcnt vmcnt(58) lgkmcnt(0)
	v_mul_f64 v[87:88], v[59:60], v[91:92]
	v_mul_f64 v[91:92], v[61:62], v[91:92]
	s_waitcnt vmcnt(56)
	v_fma_f64 v[89:90], v[67:68], v[95:96], -v[89:90]
	ds_read_b128 v[63:66], v2 offset:608
	v_add_f64 v[75:76], v[75:76], v[81:82]
	v_fma_f64 v[81:82], v[69:70], v[95:96], v[145:146]
	v_add_f64 v[3:4], v[3:4], v[79:80]
	s_clause 0x4
	buffer_load_dword v80, off, s[0:3], 0 offset:428
	buffer_load_dword v95, off, s[0:3], 0 offset:440
	;; [unrolled: 1-line block ×5, first 2 shown]
	ds_read_b128 v[67:70], v2 offset:624
	s_waitcnt vmcnt(57) lgkmcnt(1)
	v_mul_f64 v[140:141], v[63:64], v[97:98]
	v_mul_f64 v[97:98], v[65:66], v[97:98]
	s_waitcnt vmcnt(56)
	v_fma_f64 v[91:92], v[59:60], v[93:94], -v[91:92]
	v_fma_f64 v[87:88], v[61:62], v[93:94], v[87:88]
	v_add_f64 v[75:76], v[75:76], v[89:90]
	v_add_f64 v[3:4], v[3:4], v[81:82]
	s_clause 0x2
	buffer_load_dword v96, off, s[0:3], 0 offset:444
	buffer_load_dword v82, off, s[0:3], 0 offset:420
	buffer_load_dword v81, off, s[0:3], 0 offset:416
	s_waitcnt vmcnt(58) lgkmcnt(0)
	v_mul_f64 v[93:94], v[69:70], v[99:100]
	ds_read_b128 v[59:62], v2 offset:640
	s_waitcnt vmcnt(56)
	v_fma_f64 v[97:98], v[63:64], v[103:104], -v[97:98]
	v_mul_f64 v[89:90], v[67:68], v[99:100]
	v_add_f64 v[75:76], v[75:76], v[91:92]
	v_fma_f64 v[91:92], v[65:66], v[103:104], v[140:141]
	v_add_f64 v[3:4], v[3:4], v[87:88]
	buffer_load_dword v140, off, s[0:3], 0 offset:436
	ds_read_b128 v[63:66], v2 offset:656
	s_waitcnt vmcnt(53) lgkmcnt(1)
	v_mul_f64 v[99:100], v[61:62], v[105:106]
	s_waitcnt vmcnt(52)
	v_fma_f64 v[93:94], v[67:68], v[101:102], -v[93:94]
	v_mul_f64 v[87:88], v[59:60], v[105:106]
	v_fma_f64 v[89:90], v[69:70], v[101:102], v[89:90]
	ds_read_b128 v[67:70], v2 offset:672
	v_add_f64 v[75:76], v[75:76], v[97:98]
	v_add_f64 v[3:4], v[3:4], v[91:92]
	s_waitcnt vmcnt(51) lgkmcnt(1)
	v_mul_f64 v[97:98], v[65:66], v[107:108]
	v_mul_f64 v[91:92], v[63:64], v[107:108]
	s_waitcnt vmcnt(49)
	v_fma_f64 v[99:100], v[59:60], v[111:112], -v[99:100]
	v_fma_f64 v[87:88], v[61:62], v[111:112], v[87:88]
	s_waitcnt vmcnt(45) lgkmcnt(0)
	v_mul_f64 v[103:104], v[69:70], v[113:114]
	v_mul_f64 v[101:102], v[67:68], v[113:114]
	v_add_f64 v[75:76], v[75:76], v[93:94]
	v_add_f64 v[3:4], v[3:4], v[89:90]
	s_clause 0x3
	buffer_load_dword v89, off, s[0:3], 0 offset:64
	buffer_load_dword v90, off, s[0:3], 0 offset:68
	;; [unrolled: 1-line block ×4, first 2 shown]
	s_waitcnt vmcnt(48)
	v_fma_f64 v[97:98], v[63:64], v[109:110], -v[97:98]
	ds_read_b128 v[59:62], v2 offset:688
	v_fma_f64 v[91:92], v[65:66], v[109:110], v[91:92]
	ds_read_b128 v[63:66], v2 offset:704
	s_waitcnt vmcnt(45)
	v_fma_f64 v[103:104], v[67:68], v[119:120], -v[103:104]
	v_add_f64 v[75:76], v[75:76], v[99:100]
	v_add_f64 v[3:4], v[3:4], v[87:88]
	s_waitcnt lgkmcnt(1)
	v_mul_f64 v[99:100], v[61:62], v[115:116]
	v_mul_f64 v[87:88], v[59:60], v[115:116]
	v_add_f64 v[75:76], v[75:76], v[97:98]
	v_fma_f64 v[97:98], v[69:70], v[119:120], v[101:102]
	v_add_f64 v[3:4], v[3:4], v[91:92]
	s_waitcnt vmcnt(41) lgkmcnt(0)
	v_mul_f64 v[101:102], v[65:66], v[121:122]
	s_waitcnt vmcnt(40)
	v_fma_f64 v[99:100], v[59:60], v[117:118], -v[99:100]
	ds_read_b128 v[67:70], v2 offset:720
	v_mul_f64 v[91:92], v[63:64], v[121:122]
	v_fma_f64 v[87:88], v[61:62], v[117:118], v[87:88]
	ds_read_b128 v[59:62], v2 offset:736
	v_add_f64 v[75:76], v[75:76], v[103:104]
	v_add_f64 v[3:4], v[3:4], v[97:98]
	s_waitcnt vmcnt(39) lgkmcnt(1)
	v_mul_f64 v[103:104], v[69:70], v[123:124]
	s_waitcnt vmcnt(37)
	v_fma_f64 v[101:102], v[63:64], v[127:128], -v[101:102]
	v_mul_f64 v[97:98], v[67:68], v[123:124]
	v_fma_f64 v[91:92], v[65:66], v[127:128], v[91:92]
	ds_read_b128 v[63:66], v2 offset:752
	v_add_f64 v[75:76], v[75:76], v[99:100]
	s_waitcnt vmcnt(33) lgkmcnt(1)
	v_mul_f64 v[99:100], v[61:62], v[131:132]
	v_add_f64 v[3:4], v[3:4], v[87:88]
	s_waitcnt vmcnt(32)
	v_fma_f64 v[103:104], v[67:68], v[125:126], -v[103:104]
	v_mul_f64 v[87:88], v[59:60], v[131:132]
	v_fma_f64 v[97:98], v[69:70], v[125:126], v[97:98]
	ds_read_b128 v[67:70], v2 offset:768
	v_add_f64 v[75:76], v[75:76], v[101:102]
	v_add_f64 v[3:4], v[3:4], v[91:92]
	s_waitcnt vmcnt(31) lgkmcnt(1)
	v_mul_f64 v[101:102], v[65:66], v[133:134]
	v_mul_f64 v[91:92], v[63:64], v[133:134]
	s_waitcnt vmcnt(29)
	v_fma_f64 v[99:100], v[59:60], v[73:74], -v[99:100]
	v_fma_f64 v[73:74], v[61:62], v[73:74], v[87:88]
	ds_read_b128 v[59:62], v2 offset:784
	s_waitcnt vmcnt(25) lgkmcnt(1)
	v_mul_f64 v[87:88], v[67:68], v[77:78]
	v_mul_f64 v[77:78], v[69:70], v[77:78]
	v_add_f64 v[75:76], v[75:76], v[103:104]
	v_add_f64 v[3:4], v[3:4], v[97:98]
	s_waitcnt vmcnt(24)
	v_fma_f64 v[97:98], v[63:64], v[135:136], -v[101:102]
	v_fma_f64 v[91:92], v[65:66], v[135:136], v[91:92]
	ds_read_b128 v[63:66], v2 offset:800
	v_add_f64 v[75:76], v[75:76], v[99:100]
	v_add_f64 v[3:4], v[3:4], v[73:74]
	s_waitcnt vmcnt(23) lgkmcnt(1)
	v_mul_f64 v[99:100], v[61:62], v[137:138]
	v_mul_f64 v[73:74], v[59:60], v[137:138]
	s_waitcnt vmcnt(21)
	v_fma_f64 v[77:78], v[67:68], v[71:72], -v[77:78]
	v_fma_f64 v[71:72], v[69:70], v[71:72], v[87:88]
	ds_read_b128 v[67:70], v2 offset:816
	v_add_f64 v[75:76], v[75:76], v[97:98]
	v_add_f64 v[3:4], v[3:4], v[91:92]
	s_waitcnt vmcnt(17) lgkmcnt(1)
	v_mul_f64 v[87:88], v[63:64], v[85:86]
	v_mul_f64 v[85:86], v[65:66], v[85:86]
	;; [unrolled: 9-line block ×4, first 2 shown]
	s_waitcnt vmcnt(8)
	v_fma_f64 v[67:68], v[67:68], v[144:145], -v[77:78]
	v_fma_f64 v[69:70], v[69:70], v[144:145], v[71:72]
	v_add_f64 v[75:76], v[75:76], v[85:86]
	v_add_f64 v[3:4], v[3:4], v[83:84]
	s_waitcnt vmcnt(7) lgkmcnt(0)
	v_mul_f64 v[77:78], v[65:66], v[95:96]
	v_mul_f64 v[71:72], v[63:64], v[95:96]
	s_waitcnt vmcnt(5)
	v_fma_f64 v[59:60], v[59:60], v[81:82], -v[79:80]
	v_fma_f64 v[61:62], v[61:62], v[81:82], v[73:74]
	v_add_f64 v[67:68], v[75:76], v[67:68]
	v_add_f64 v[3:4], v[3:4], v[69:70]
	s_waitcnt vmcnt(4)
	v_fma_f64 v[63:64], v[63:64], v[139:140], -v[77:78]
	v_fma_f64 v[65:66], v[65:66], v[139:140], v[71:72]
	v_add_f64 v[59:60], v[67:68], v[59:60]
	v_add_f64 v[3:4], v[3:4], v[61:62]
	;; [unrolled: 1-line block ×4, first 2 shown]
	s_waitcnt vmcnt(2)
	v_add_f64 v[59:60], v[89:90], -v[59:60]
	s_waitcnt vmcnt(0)
	v_add_f64 v[3:4], v[93:94], -v[3:4]
	buffer_store_dword v60, off, s[0:3], 0 offset:68
	buffer_store_dword v59, off, s[0:3], 0 offset:64
	;; [unrolled: 1-line block ×4, first 2 shown]
	v_cmpx_lt_u32_e32 2, v0
	s_cbranch_execz .LBB90_171
; %bb.170:
	v_mov_b32_e32 v3, s37
	s_clause 0x3
	buffer_load_dword v59, v3, s[0:3], 0 offen
	buffer_load_dword v60, v3, s[0:3], 0 offen offset:4
	buffer_load_dword v61, v3, s[0:3], 0 offen offset:8
	;; [unrolled: 1-line block ×3, first 2 shown]
	buffer_store_dword v2, off, s[0:3], 0 offset:48
	buffer_store_dword v2, off, s[0:3], 0 offset:52
	;; [unrolled: 1-line block ×4, first 2 shown]
	s_waitcnt vmcnt(0)
	ds_write_b128 v1, v[59:62]
.LBB90_171:
	s_or_b32 exec_lo, exec_lo, s4
	s_waitcnt lgkmcnt(0)
	s_waitcnt_vscnt null, 0x0
	s_barrier
	buffer_gl0_inv
	s_clause 0x37
	buffer_load_dword v3, off, s[0:3], 0 offset:72
	buffer_load_dword v4, off, s[0:3], 0 offset:76
	;; [unrolled: 1-line block ×56, first 2 shown]
	ds_read_b128 v[59:62], v2 offset:480
	s_clause 0x2
	buffer_load_dword v124, off, s[0:3], 0 offset:300
	buffer_load_dword v128, off, s[0:3], 0 offset:276
	;; [unrolled: 1-line block ×3, first 2 shown]
	ds_read_b128 v[63:66], v2 offset:496
	s_clause 0x4
	buffer_load_dword v132, off, s[0:3], 0 offset:316
	buffer_load_dword v133, off, s[0:3], 0 offset:328
	buffer_load_dword v135, off, s[0:3], 0 offset:320
	buffer_load_dword v131, off, s[0:3], 0 offset:312
	buffer_load_dword v126, off, s[0:3], 0 offset:292
	ds_read_b128 v[67:70], v2 offset:512
	s_mov_b32 s4, exec_lo
	s_waitcnt vmcnt(62) lgkmcnt(2)
	v_mul_f64 v[129:130], v[61:62], v[3:4]
	v_mul_f64 v[3:4], v[59:60], v[3:4]
	s_waitcnt vmcnt(60) lgkmcnt(1)
	v_mul_f64 v[136:137], v[65:66], v[71:72]
	v_mul_f64 v[71:72], v[63:64], v[71:72]
	;; [unrolled: 3-line block ×3, first 2 shown]
	v_fma_f64 v[129:130], v[59:60], v[73:74], -v[129:130]
	v_fma_f64 v[3:4], v[61:62], v[73:74], v[3:4]
	s_clause 0x2
	buffer_load_dword v134, off, s[0:3], 0 offset:332
	buffer_load_dword v74, off, s[0:3], 0 offset:308
	;; [unrolled: 1-line block ×3, first 2 shown]
	s_waitcnt vmcnt(57)
	v_fma_f64 v[140:141], v[63:64], v[77:78], -v[136:137]
	ds_read_b128 v[59:62], v2 offset:528
	v_fma_f64 v[71:72], v[65:66], v[77:78], v[71:72]
	s_clause 0x4
	buffer_load_dword v78, off, s[0:3], 0 offset:348
	buffer_load_dword v137, off, s[0:3], 0 offset:360
	;; [unrolled: 1-line block ×5, first 2 shown]
	s_waitcnt vmcnt(56)
	v_fma_f64 v[75:76], v[67:68], v[85:86], -v[75:76]
	ds_read_b128 v[63:66], v2 offset:544
	v_fma_f64 v[85:86], v[69:70], v[85:86], v[138:139]
	v_add_f64 v[129:130], v[129:130], 0
	v_add_f64 v[3:4], v[3:4], 0
	s_waitcnt lgkmcnt(1)
	v_mul_f64 v[143:144], v[59:60], v[79:80]
	v_mul_f64 v[79:80], v[61:62], v[79:80]
	v_add_f64 v[129:130], v[129:130], v[140:141]
	v_add_f64 v[3:4], v[3:4], v[71:72]
	s_clause 0x2
	buffer_load_dword v138, off, s[0:3], 0 offset:364
	buffer_load_dword v72, off, s[0:3], 0 offset:340
	;; [unrolled: 1-line block ×3, first 2 shown]
	s_waitcnt vmcnt(58) lgkmcnt(0)
	v_mul_f64 v[139:140], v[63:64], v[81:82]
	v_mul_f64 v[81:82], v[65:66], v[81:82]
	s_waitcnt vmcnt(56)
	v_fma_f64 v[79:80], v[59:60], v[87:88], -v[79:80]
	ds_read_b128 v[67:70], v2 offset:560
	v_fma_f64 v[87:88], v[61:62], v[87:88], v[143:144]
	v_add_f64 v[75:76], v[129:130], v[75:76]
	v_add_f64 v[3:4], v[3:4], v[85:86]
	s_clause 0x4
	buffer_load_dword v86, off, s[0:3], 0 offset:380
	buffer_load_dword v129, off, s[0:3], 0 offset:392
	buffer_load_dword v144, off, s[0:3], 0 offset:384
	buffer_load_dword v85, off, s[0:3], 0 offset:376
	buffer_load_dword v143, off, s[0:3], 0 offset:356
	ds_read_b128 v[59:62], v2 offset:576
	s_waitcnt vmcnt(57) lgkmcnt(1)
	v_mul_f64 v[145:146], v[67:68], v[89:90]
	v_mul_f64 v[89:90], v[69:70], v[89:90]
	s_waitcnt vmcnt(56)
	v_fma_f64 v[81:82], v[63:64], v[83:84], -v[81:82]
	v_add_f64 v[75:76], v[75:76], v[79:80]
	v_fma_f64 v[79:80], v[65:66], v[83:84], v[139:140]
	v_add_f64 v[3:4], v[3:4], v[87:88]
	s_clause 0x2
	buffer_load_dword v130, off, s[0:3], 0 offset:396
	buffer_load_dword v84, off, s[0:3], 0 offset:372
	;; [unrolled: 1-line block ×3, first 2 shown]
	s_waitcnt vmcnt(58) lgkmcnt(0)
	v_mul_f64 v[87:88], v[59:60], v[91:92]
	v_mul_f64 v[91:92], v[61:62], v[91:92]
	s_waitcnt vmcnt(56)
	v_fma_f64 v[89:90], v[67:68], v[95:96], -v[89:90]
	ds_read_b128 v[63:66], v2 offset:592
	v_add_f64 v[75:76], v[75:76], v[81:82]
	v_fma_f64 v[81:82], v[69:70], v[95:96], v[145:146]
	v_add_f64 v[3:4], v[3:4], v[79:80]
	s_clause 0x4
	buffer_load_dword v80, off, s[0:3], 0 offset:412
	buffer_load_dword v95, off, s[0:3], 0 offset:424
	;; [unrolled: 1-line block ×5, first 2 shown]
	ds_read_b128 v[67:70], v2 offset:608
	s_waitcnt vmcnt(57) lgkmcnt(1)
	v_mul_f64 v[140:141], v[63:64], v[97:98]
	v_mul_f64 v[97:98], v[65:66], v[97:98]
	s_waitcnt vmcnt(56)
	v_fma_f64 v[91:92], v[59:60], v[93:94], -v[91:92]
	v_fma_f64 v[87:88], v[61:62], v[93:94], v[87:88]
	v_add_f64 v[75:76], v[75:76], v[89:90]
	v_add_f64 v[3:4], v[3:4], v[81:82]
	s_clause 0x2
	buffer_load_dword v96, off, s[0:3], 0 offset:428
	buffer_load_dword v82, off, s[0:3], 0 offset:404
	;; [unrolled: 1-line block ×3, first 2 shown]
	s_waitcnt vmcnt(58) lgkmcnt(0)
	v_mul_f64 v[93:94], v[69:70], v[99:100]
	ds_read_b128 v[59:62], v2 offset:624
	s_waitcnt vmcnt(56)
	v_fma_f64 v[97:98], v[63:64], v[103:104], -v[97:98]
	v_mul_f64 v[89:90], v[67:68], v[99:100]
	v_add_f64 v[75:76], v[75:76], v[91:92]
	v_fma_f64 v[91:92], v[65:66], v[103:104], v[140:141]
	v_add_f64 v[3:4], v[3:4], v[87:88]
	s_clause 0x2
	buffer_load_dword v88, off, s[0:3], 0 offset:444
	buffer_load_dword v87, off, s[0:3], 0 offset:440
	;; [unrolled: 1-line block ×3, first 2 shown]
	s_waitcnt vmcnt(55) lgkmcnt(0)
	v_mul_f64 v[103:104], v[61:62], v[105:106]
	s_waitcnt vmcnt(54)
	v_fma_f64 v[93:94], v[67:68], v[101:102], -v[93:94]
	ds_read_b128 v[63:66], v2 offset:640
	v_mul_f64 v[99:100], v[59:60], v[105:106]
	v_fma_f64 v[89:90], v[69:70], v[101:102], v[89:90]
	v_add_f64 v[75:76], v[75:76], v[97:98]
	v_add_f64 v[3:4], v[3:4], v[91:92]
	s_clause 0x1
	buffer_load_dword v92, off, s[0:3], 0 offset:436
	buffer_load_dword v91, off, s[0:3], 0 offset:432
	s_waitcnt vmcnt(55) lgkmcnt(0)
	v_mul_f64 v[101:102], v[65:66], v[107:108]
	s_waitcnt vmcnt(53)
	v_fma_f64 v[103:104], v[59:60], v[111:112], -v[103:104]
	ds_read_b128 v[67:70], v2 offset:656
	v_mul_f64 v[97:98], v[63:64], v[107:108]
	v_add_f64 v[75:76], v[75:76], v[93:94]
	v_fma_f64 v[93:94], v[61:62], v[111:112], v[99:100]
	v_add_f64 v[3:4], v[3:4], v[89:90]
	ds_read_b128 v[59:62], v2 offset:672
	s_waitcnt vmcnt(49) lgkmcnt(1)
	v_mul_f64 v[99:100], v[69:70], v[113:114]
	s_waitcnt vmcnt(48)
	v_fma_f64 v[101:102], v[63:64], v[109:110], -v[101:102]
	v_mul_f64 v[89:90], v[67:68], v[113:114]
	v_fma_f64 v[97:98], v[65:66], v[109:110], v[97:98]
	v_add_f64 v[75:76], v[75:76], v[103:104]
	s_waitcnt vmcnt(47) lgkmcnt(0)
	v_mul_f64 v[107:108], v[61:62], v[115:116]
	v_add_f64 v[3:4], v[3:4], v[93:94]
	s_clause 0x3
	buffer_load_dword v93, off, s[0:3], 0 offset:48
	buffer_load_dword v94, off, s[0:3], 0 offset:52
	;; [unrolled: 1-line block ×4, first 2 shown]
	s_waitcnt vmcnt(49)
	v_fma_f64 v[99:100], v[67:68], v[119:120], -v[99:100]
	ds_read_b128 v[63:66], v2 offset:688
	v_mul_f64 v[105:106], v[59:60], v[115:116]
	v_fma_f64 v[89:90], v[69:70], v[119:120], v[89:90]
	ds_read_b128 v[67:70], v2 offset:704
	v_add_f64 v[75:76], v[75:76], v[101:102]
	s_waitcnt vmcnt(44)
	v_fma_f64 v[107:108], v[59:60], v[117:118], -v[107:108]
	v_add_f64 v[3:4], v[3:4], v[97:98]
	s_waitcnt lgkmcnt(1)
	v_mul_f64 v[101:102], v[65:66], v[121:122]
	v_mul_f64 v[97:98], v[63:64], v[121:122]
	v_add_f64 v[75:76], v[75:76], v[99:100]
	v_fma_f64 v[99:100], v[61:62], v[117:118], v[105:106]
	v_add_f64 v[3:4], v[3:4], v[89:90]
	s_waitcnt vmcnt(43) lgkmcnt(0)
	v_mul_f64 v[105:106], v[69:70], v[123:124]
	s_waitcnt vmcnt(41)
	v_fma_f64 v[101:102], v[63:64], v[127:128], -v[101:102]
	ds_read_b128 v[59:62], v2 offset:720
	v_mul_f64 v[89:90], v[67:68], v[123:124]
	v_fma_f64 v[97:98], v[65:66], v[127:128], v[97:98]
	ds_read_b128 v[63:66], v2 offset:736
	v_add_f64 v[75:76], v[75:76], v[107:108]
	v_add_f64 v[3:4], v[3:4], v[99:100]
	s_waitcnt vmcnt(37) lgkmcnt(1)
	v_mul_f64 v[107:108], v[61:62], v[131:132]
	s_waitcnt vmcnt(36)
	v_fma_f64 v[105:106], v[67:68], v[125:126], -v[105:106]
	v_mul_f64 v[99:100], v[59:60], v[131:132]
	v_fma_f64 v[89:90], v[69:70], v[125:126], v[89:90]
	ds_read_b128 v[67:70], v2 offset:752
	v_add_f64 v[75:76], v[75:76], v[101:102]
	v_add_f64 v[3:4], v[3:4], v[97:98]
	s_waitcnt vmcnt(35) lgkmcnt(1)
	v_mul_f64 v[101:102], v[65:66], v[133:134]
	v_mul_f64 v[97:98], v[63:64], v[133:134]
	s_waitcnt vmcnt(33)
	v_fma_f64 v[107:108], v[59:60], v[73:74], -v[107:108]
	v_fma_f64 v[73:74], v[61:62], v[73:74], v[99:100]
	ds_read_b128 v[59:62], v2 offset:768
	v_add_f64 v[75:76], v[75:76], v[105:106]
	v_add_f64 v[3:4], v[3:4], v[89:90]
	s_waitcnt vmcnt(29) lgkmcnt(1)
	v_mul_f64 v[89:90], v[67:68], v[77:78]
	v_mul_f64 v[77:78], v[69:70], v[77:78]
	s_waitcnt vmcnt(28)
	v_fma_f64 v[99:100], v[63:64], v[135:136], -v[101:102]
	;; [unrolled: 9-line block ×7, first 2 shown]
	v_fma_f64 v[61:62], v[61:62], v[81:82], v[73:74]
	v_add_f64 v[75:76], v[75:76], v[77:78]
	v_add_f64 v[2:3], v[3:4], v[71:72]
	s_waitcnt vmcnt(7) lgkmcnt(0)
	v_mul_f64 v[73:74], v[69:70], v[87:88]
	s_waitcnt vmcnt(6)
	v_fma_f64 v[63:64], v[63:64], v[139:140], -v[85:86]
	v_mul_f64 v[71:72], v[67:68], v[87:88]
	v_fma_f64 v[65:66], v[65:66], v[139:140], v[83:84]
	v_add_f64 v[59:60], v[75:76], v[59:60]
	v_add_f64 v[2:3], v[2:3], v[61:62]
	s_waitcnt vmcnt(4)
	v_fma_f64 v[61:62], v[67:68], v[91:92], -v[73:74]
	v_add_f64 v[59:60], v[59:60], v[63:64]
	v_fma_f64 v[63:64], v[69:70], v[91:92], v[71:72]
	v_add_f64 v[2:3], v[2:3], v[65:66]
	v_add_f64 v[59:60], v[59:60], v[61:62]
	;; [unrolled: 1-line block ×3, first 2 shown]
	s_waitcnt vmcnt(2)
	v_add_f64 v[59:60], v[93:94], -v[59:60]
	s_waitcnt vmcnt(0)
	v_add_f64 v[2:3], v[103:104], -v[2:3]
	buffer_store_dword v60, off, s[0:3], 0 offset:52
	buffer_store_dword v59, off, s[0:3], 0 offset:48
	;; [unrolled: 1-line block ×4, first 2 shown]
	v_cmpx_lt_u32_e32 1, v0
	s_cbranch_execz .LBB90_173
; %bb.172:
	v_mov_b32_e32 v2, s38
	s_clause 0x3
	buffer_load_dword v59, v2, s[0:3], 0 offen
	buffer_load_dword v60, v2, s[0:3], 0 offen offset:4
	buffer_load_dword v61, v2, s[0:3], 0 offen offset:8
	buffer_load_dword v62, v2, s[0:3], 0 offen offset:12
	v_mov_b32_e32 v2, 0
	buffer_store_dword v2, off, s[0:3], 0 offset:32
	buffer_store_dword v2, off, s[0:3], 0 offset:36
	;; [unrolled: 1-line block ×4, first 2 shown]
	s_waitcnt vmcnt(0)
	ds_write_b128 v1, v[59:62]
.LBB90_173:
	s_or_b32 exec_lo, exec_lo, s4
	s_waitcnt lgkmcnt(0)
	s_waitcnt_vscnt null, 0x0
	s_barrier
	buffer_gl0_inv
	s_clause 0x37
	buffer_load_dword v3, off, s[0:3], 0 offset:56
	buffer_load_dword v4, off, s[0:3], 0 offset:60
	;; [unrolled: 1-line block ×56, first 2 shown]
	v_mov_b32_e32 v2, 0
	s_mov_b32 s4, exec_lo
	ds_read_b128 v[59:62], v2 offset:464
	s_clause 0x2
	buffer_load_dword v124, off, s[0:3], 0 offset:284
	buffer_load_dword v128, off, s[0:3], 0 offset:260
	;; [unrolled: 1-line block ×3, first 2 shown]
	ds_read_b128 v[63:66], v2 offset:480
	s_clause 0x4
	buffer_load_dword v132, off, s[0:3], 0 offset:300
	buffer_load_dword v133, off, s[0:3], 0 offset:312
	;; [unrolled: 1-line block ×5, first 2 shown]
	ds_read_b128 v[67:70], v2 offset:496
	s_waitcnt vmcnt(62) lgkmcnt(2)
	v_mul_f64 v[129:130], v[61:62], v[3:4]
	v_mul_f64 v[3:4], v[59:60], v[3:4]
	s_waitcnt vmcnt(60) lgkmcnt(1)
	v_mul_f64 v[136:137], v[65:66], v[71:72]
	v_mul_f64 v[71:72], v[63:64], v[71:72]
	;; [unrolled: 3-line block ×3, first 2 shown]
	v_fma_f64 v[129:130], v[59:60], v[73:74], -v[129:130]
	v_fma_f64 v[3:4], v[61:62], v[73:74], v[3:4]
	s_clause 0x2
	buffer_load_dword v134, off, s[0:3], 0 offset:316
	buffer_load_dword v74, off, s[0:3], 0 offset:292
	;; [unrolled: 1-line block ×3, first 2 shown]
	s_waitcnt vmcnt(57)
	v_fma_f64 v[140:141], v[63:64], v[77:78], -v[136:137]
	ds_read_b128 v[59:62], v2 offset:512
	v_fma_f64 v[71:72], v[65:66], v[77:78], v[71:72]
	s_clause 0x4
	buffer_load_dword v78, off, s[0:3], 0 offset:332
	buffer_load_dword v137, off, s[0:3], 0 offset:344
	buffer_load_dword v142, off, s[0:3], 0 offset:336
	buffer_load_dword v77, off, s[0:3], 0 offset:328
	buffer_load_dword v136, off, s[0:3], 0 offset:308
	s_waitcnt vmcnt(56)
	v_fma_f64 v[75:76], v[67:68], v[85:86], -v[75:76]
	ds_read_b128 v[63:66], v2 offset:528
	v_fma_f64 v[85:86], v[69:70], v[85:86], v[138:139]
	v_add_f64 v[129:130], v[129:130], 0
	v_add_f64 v[3:4], v[3:4], 0
	s_waitcnt lgkmcnt(1)
	v_mul_f64 v[143:144], v[59:60], v[79:80]
	v_mul_f64 v[79:80], v[61:62], v[79:80]
	v_add_f64 v[129:130], v[129:130], v[140:141]
	v_add_f64 v[3:4], v[3:4], v[71:72]
	s_clause 0x2
	buffer_load_dword v138, off, s[0:3], 0 offset:348
	buffer_load_dword v72, off, s[0:3], 0 offset:324
	;; [unrolled: 1-line block ×3, first 2 shown]
	s_waitcnt vmcnt(58) lgkmcnt(0)
	v_mul_f64 v[139:140], v[63:64], v[81:82]
	v_mul_f64 v[81:82], v[65:66], v[81:82]
	s_waitcnt vmcnt(56)
	v_fma_f64 v[79:80], v[59:60], v[87:88], -v[79:80]
	ds_read_b128 v[67:70], v2 offset:544
	v_fma_f64 v[87:88], v[61:62], v[87:88], v[143:144]
	v_add_f64 v[75:76], v[129:130], v[75:76]
	v_add_f64 v[3:4], v[3:4], v[85:86]
	s_clause 0x4
	buffer_load_dword v86, off, s[0:3], 0 offset:364
	buffer_load_dword v129, off, s[0:3], 0 offset:376
	;; [unrolled: 1-line block ×5, first 2 shown]
	ds_read_b128 v[59:62], v2 offset:560
	s_waitcnt vmcnt(57) lgkmcnt(1)
	v_mul_f64 v[145:146], v[67:68], v[89:90]
	v_mul_f64 v[89:90], v[69:70], v[89:90]
	s_waitcnt vmcnt(56)
	v_fma_f64 v[81:82], v[63:64], v[83:84], -v[81:82]
	v_add_f64 v[75:76], v[75:76], v[79:80]
	v_fma_f64 v[79:80], v[65:66], v[83:84], v[139:140]
	v_add_f64 v[3:4], v[3:4], v[87:88]
	s_clause 0x2
	buffer_load_dword v130, off, s[0:3], 0 offset:380
	buffer_load_dword v84, off, s[0:3], 0 offset:356
	;; [unrolled: 1-line block ×3, first 2 shown]
	s_waitcnt vmcnt(58) lgkmcnt(0)
	v_mul_f64 v[87:88], v[59:60], v[91:92]
	v_mul_f64 v[91:92], v[61:62], v[91:92]
	s_waitcnt vmcnt(56)
	v_fma_f64 v[89:90], v[67:68], v[95:96], -v[89:90]
	ds_read_b128 v[63:66], v2 offset:576
	v_add_f64 v[75:76], v[75:76], v[81:82]
	v_fma_f64 v[81:82], v[69:70], v[95:96], v[145:146]
	v_add_f64 v[3:4], v[3:4], v[79:80]
	s_clause 0x4
	buffer_load_dword v80, off, s[0:3], 0 offset:396
	buffer_load_dword v95, off, s[0:3], 0 offset:408
	;; [unrolled: 1-line block ×5, first 2 shown]
	ds_read_b128 v[67:70], v2 offset:592
	s_waitcnt vmcnt(57) lgkmcnt(1)
	v_mul_f64 v[140:141], v[63:64], v[97:98]
	v_mul_f64 v[97:98], v[65:66], v[97:98]
	s_waitcnt vmcnt(56)
	v_fma_f64 v[91:92], v[59:60], v[93:94], -v[91:92]
	v_fma_f64 v[87:88], v[61:62], v[93:94], v[87:88]
	v_add_f64 v[75:76], v[75:76], v[89:90]
	v_add_f64 v[3:4], v[3:4], v[81:82]
	s_clause 0x2
	buffer_load_dword v96, off, s[0:3], 0 offset:412
	buffer_load_dword v82, off, s[0:3], 0 offset:388
	;; [unrolled: 1-line block ×3, first 2 shown]
	s_waitcnt vmcnt(58) lgkmcnt(0)
	v_mul_f64 v[93:94], v[69:70], v[99:100]
	ds_read_b128 v[59:62], v2 offset:608
	s_waitcnt vmcnt(56)
	v_fma_f64 v[97:98], v[63:64], v[103:104], -v[97:98]
	v_mul_f64 v[89:90], v[67:68], v[99:100]
	v_add_f64 v[75:76], v[75:76], v[91:92]
	v_fma_f64 v[91:92], v[65:66], v[103:104], v[140:141]
	v_add_f64 v[3:4], v[3:4], v[87:88]
	s_clause 0x4
	buffer_load_dword v88, off, s[0:3], 0 offset:428
	buffer_load_dword v99, off, s[0:3], 0 offset:440
	;; [unrolled: 1-line block ×5, first 2 shown]
	s_waitcnt vmcnt(57) lgkmcnt(0)
	v_mul_f64 v[146:147], v[59:60], v[105:106]
	v_mul_f64 v[104:105], v[61:62], v[105:106]
	s_waitcnt vmcnt(56)
	v_fma_f64 v[93:94], v[67:68], v[101:102], -v[93:94]
	ds_read_b128 v[63:66], v2 offset:624
	v_fma_f64 v[89:90], v[69:70], v[101:102], v[89:90]
	v_add_f64 v[75:76], v[75:76], v[97:98]
	v_add_f64 v[3:4], v[3:4], v[91:92]
	s_clause 0x2
	buffer_load_dword v100, off, s[0:3], 0 offset:444
	buffer_load_dword v92, off, s[0:3], 0 offset:420
	;; [unrolled: 1-line block ×3, first 2 shown]
	ds_read_b128 v[67:70], v2 offset:640
	s_waitcnt vmcnt(58) lgkmcnt(1)
	v_mul_f64 v[101:102], v[65:66], v[107:108]
	s_waitcnt vmcnt(56)
	v_fma_f64 v[105:106], v[59:60], v[111:112], -v[104:105]
	v_mul_f64 v[97:98], v[63:64], v[107:108]
	buffer_load_dword v104, off, s[0:3], 0 offset:436
	v_add_f64 v[75:76], v[75:76], v[93:94]
	v_fma_f64 v[93:94], v[61:62], v[111:112], v[146:147]
	v_add_f64 v[3:4], v[3:4], v[89:90]
	ds_read_b128 v[59:62], v2 offset:656
	s_waitcnt vmcnt(53) lgkmcnt(1)
	v_mul_f64 v[107:108], v[69:70], v[113:114]
	s_waitcnt vmcnt(52)
	v_fma_f64 v[101:102], v[63:64], v[109:110], -v[101:102]
	v_mul_f64 v[89:90], v[67:68], v[113:114]
	v_fma_f64 v[97:98], v[65:66], v[109:110], v[97:98]
	ds_read_b128 v[63:66], v2 offset:672
	v_add_f64 v[75:76], v[75:76], v[105:106]
	s_waitcnt vmcnt(51) lgkmcnt(1)
	v_mul_f64 v[105:106], v[61:62], v[115:116]
	v_add_f64 v[3:4], v[3:4], v[93:94]
	v_mul_f64 v[93:94], v[59:60], v[115:116]
	s_waitcnt vmcnt(49)
	v_fma_f64 v[107:108], v[67:68], v[119:120], -v[107:108]
	v_fma_f64 v[89:90], v[69:70], v[119:120], v[89:90]
	s_waitcnt vmcnt(45) lgkmcnt(0)
	v_mul_f64 v[111:112], v[65:66], v[121:122]
	v_mul_f64 v[109:110], v[63:64], v[121:122]
	v_add_f64 v[75:76], v[75:76], v[101:102]
	s_waitcnt vmcnt(44)
	v_fma_f64 v[105:106], v[59:60], v[117:118], -v[105:106]
	v_add_f64 v[3:4], v[3:4], v[97:98]
	s_clause 0x3
	buffer_load_dword v97, off, s[0:3], 0 offset:32
	buffer_load_dword v98, off, s[0:3], 0 offset:36
	;; [unrolled: 1-line block ×4, first 2 shown]
	ds_read_b128 v[67:70], v2 offset:688
	v_fma_f64 v[93:94], v[61:62], v[117:118], v[93:94]
	ds_read_b128 v[59:62], v2 offset:704
	s_waitcnt vmcnt(45)
	v_fma_f64 v[111:112], v[63:64], v[127:128], -v[111:112]
	v_add_f64 v[75:76], v[75:76], v[107:108]
	v_add_f64 v[3:4], v[3:4], v[89:90]
	s_waitcnt lgkmcnt(1)
	v_mul_f64 v[107:108], v[69:70], v[123:124]
	v_mul_f64 v[89:90], v[67:68], v[123:124]
	v_add_f64 v[75:76], v[75:76], v[105:106]
	v_fma_f64 v[105:106], v[65:66], v[127:128], v[109:110]
	v_add_f64 v[3:4], v[3:4], v[93:94]
	s_waitcnt vmcnt(41) lgkmcnt(0)
	v_mul_f64 v[109:110], v[61:62], v[131:132]
	s_waitcnt vmcnt(40)
	v_fma_f64 v[107:108], v[67:68], v[125:126], -v[107:108]
	ds_read_b128 v[63:66], v2 offset:720
	v_mul_f64 v[93:94], v[59:60], v[131:132]
	v_fma_f64 v[89:90], v[69:70], v[125:126], v[89:90]
	ds_read_b128 v[67:70], v2 offset:736
	v_add_f64 v[75:76], v[75:76], v[111:112]
	v_add_f64 v[3:4], v[3:4], v[105:106]
	s_waitcnt vmcnt(39) lgkmcnt(1)
	v_mul_f64 v[111:112], v[65:66], v[133:134]
	v_mul_f64 v[105:106], v[63:64], v[133:134]
	s_waitcnt vmcnt(37)
	v_fma_f64 v[109:110], v[59:60], v[73:74], -v[109:110]
	v_fma_f64 v[73:74], v[61:62], v[73:74], v[93:94]
	ds_read_b128 v[59:62], v2 offset:752
	v_add_f64 v[75:76], v[75:76], v[107:108]
	v_add_f64 v[3:4], v[3:4], v[89:90]
	s_waitcnt vmcnt(33) lgkmcnt(1)
	v_mul_f64 v[89:90], v[67:68], v[77:78]
	v_mul_f64 v[77:78], v[69:70], v[77:78]
	s_waitcnt vmcnt(32)
	v_fma_f64 v[93:94], v[63:64], v[135:136], -v[111:112]
	;; [unrolled: 9-line block ×7, first 2 shown]
	v_fma_f64 v[73:74], v[61:62], v[81:82], v[73:74]
	ds_read_b128 v[59:62], v2 offset:848
	v_add_f64 v[75:76], v[75:76], v[77:78]
	v_add_f64 v[3:4], v[3:4], v[71:72]
	s_waitcnt vmcnt(9) lgkmcnt(1)
	v_mul_f64 v[77:78], v[69:70], v[87:88]
	s_waitcnt vmcnt(8)
	v_fma_f64 v[63:64], v[63:64], v[139:140], -v[85:86]
	v_mul_f64 v[71:72], v[67:68], v[87:88]
	v_fma_f64 v[65:66], v[65:66], v[139:140], v[83:84]
	v_add_f64 v[75:76], v[75:76], v[79:80]
	v_add_f64 v[3:4], v[3:4], v[73:74]
	s_waitcnt vmcnt(7) lgkmcnt(0)
	v_mul_f64 v[79:80], v[61:62], v[99:100]
	v_mul_f64 v[73:74], v[59:60], v[99:100]
	s_waitcnt vmcnt(5)
	v_fma_f64 v[67:68], v[67:68], v[91:92], -v[77:78]
	v_fma_f64 v[69:70], v[69:70], v[91:92], v[71:72]
	v_add_f64 v[63:64], v[75:76], v[63:64]
	v_add_f64 v[3:4], v[3:4], v[65:66]
	s_waitcnt vmcnt(4)
	v_fma_f64 v[59:60], v[59:60], v[103:104], -v[79:80]
	v_fma_f64 v[61:62], v[61:62], v[103:104], v[73:74]
	v_add_f64 v[63:64], v[63:64], v[67:68]
	v_add_f64 v[3:4], v[3:4], v[69:70]
	;; [unrolled: 1-line block ×4, first 2 shown]
	s_waitcnt vmcnt(2)
	v_add_f64 v[59:60], v[97:98], -v[59:60]
	s_waitcnt vmcnt(0)
	v_add_f64 v[3:4], v[101:102], -v[3:4]
	buffer_store_dword v60, off, s[0:3], 0 offset:36
	buffer_store_dword v59, off, s[0:3], 0 offset:32
	;; [unrolled: 1-line block ×4, first 2 shown]
	v_cmpx_ne_u32_e32 0, v0
	s_cbranch_execz .LBB90_175
; %bb.174:
	s_clause 0x3
	buffer_load_dword v59, off, s[0:3], 0 offset:16
	buffer_load_dword v60, off, s[0:3], 0 offset:20
	;; [unrolled: 1-line block ×4, first 2 shown]
	buffer_store_dword v2, off, s[0:3], 0 offset:16
	buffer_store_dword v2, off, s[0:3], 0 offset:20
	;; [unrolled: 1-line block ×4, first 2 shown]
	s_waitcnt vmcnt(0)
	ds_write_b128 v1, v[59:62]
.LBB90_175:
	s_or_b32 exec_lo, exec_lo, s4
	s_waitcnt lgkmcnt(0)
	s_waitcnt_vscnt null, 0x0
	s_barrier
	buffer_gl0_inv
	s_clause 0x37
	buffer_load_dword v0, off, s[0:3], 0 offset:40
	buffer_load_dword v1, off, s[0:3], 0 offset:44
	;; [unrolled: 1-line block ×56, first 2 shown]
	ds_read_b128 v[59:62], v2 offset:448
	s_clause 0x2
	buffer_load_dword v122, off, s[0:3], 0 offset:268
	buffer_load_dword v126, off, s[0:3], 0 offset:244
	buffer_load_dword v125, off, s[0:3], 0 offset:240
	ds_read_b128 v[63:66], v2 offset:464
	s_clause 0x4
	buffer_load_dword v130, off, s[0:3], 0 offset:284
	buffer_load_dword v131, off, s[0:3], 0 offset:296
	;; [unrolled: 1-line block ×5, first 2 shown]
	ds_read_b128 v[67:70], v2 offset:480
	s_and_b32 vcc_lo, exec_lo, s39
	s_waitcnt vmcnt(62) lgkmcnt(2)
	v_mul_f64 v[127:128], v[61:62], v[0:1]
	v_mul_f64 v[0:1], v[59:60], v[0:1]
	s_waitcnt vmcnt(60) lgkmcnt(1)
	v_mul_f64 v[134:135], v[65:66], v[3:4]
	v_mul_f64 v[3:4], v[63:64], v[3:4]
	;; [unrolled: 3-line block ×3, first 2 shown]
	v_fma_f64 v[127:128], v[59:60], v[71:72], -v[127:128]
	v_fma_f64 v[0:1], v[61:62], v[71:72], v[0:1]
	s_clause 0x2
	buffer_load_dword v132, off, s[0:3], 0 offset:300
	buffer_load_dword v72, off, s[0:3], 0 offset:276
	;; [unrolled: 1-line block ×3, first 2 shown]
	s_waitcnt vmcnt(57)
	v_fma_f64 v[138:139], v[63:64], v[75:76], -v[134:135]
	ds_read_b128 v[59:62], v2 offset:496
	v_fma_f64 v[3:4], v[65:66], v[75:76], v[3:4]
	s_clause 0x4
	buffer_load_dword v76, off, s[0:3], 0 offset:316
	buffer_load_dword v135, off, s[0:3], 0 offset:328
	buffer_load_dword v140, off, s[0:3], 0 offset:320
	buffer_load_dword v75, off, s[0:3], 0 offset:312
	buffer_load_dword v134, off, s[0:3], 0 offset:292
	s_waitcnt vmcnt(56)
	v_fma_f64 v[73:74], v[67:68], v[83:84], -v[73:74]
	ds_read_b128 v[63:66], v2 offset:512
	v_fma_f64 v[83:84], v[69:70], v[83:84], v[136:137]
	v_add_f64 v[127:128], v[127:128], 0
	v_add_f64 v[0:1], v[0:1], 0
	s_waitcnt lgkmcnt(1)
	v_mul_f64 v[141:142], v[59:60], v[77:78]
	v_mul_f64 v[77:78], v[61:62], v[77:78]
	v_add_f64 v[127:128], v[127:128], v[138:139]
	v_add_f64 v[0:1], v[0:1], v[3:4]
	s_clause 0x2
	buffer_load_dword v136, off, s[0:3], 0 offset:332
	buffer_load_dword v4, off, s[0:3], 0 offset:308
	;; [unrolled: 1-line block ×3, first 2 shown]
	s_waitcnt vmcnt(58) lgkmcnt(0)
	v_mul_f64 v[137:138], v[63:64], v[79:80]
	v_mul_f64 v[79:80], v[65:66], v[79:80]
	s_waitcnt vmcnt(56)
	v_fma_f64 v[77:78], v[59:60], v[85:86], -v[77:78]
	ds_read_b128 v[67:70], v2 offset:528
	v_fma_f64 v[85:86], v[61:62], v[85:86], v[141:142]
	v_add_f64 v[73:74], v[127:128], v[73:74]
	v_add_f64 v[0:1], v[0:1], v[83:84]
	s_clause 0x4
	buffer_load_dword v84, off, s[0:3], 0 offset:348
	buffer_load_dword v127, off, s[0:3], 0 offset:360
	;; [unrolled: 1-line block ×5, first 2 shown]
	ds_read_b128 v[59:62], v2 offset:544
	s_waitcnt vmcnt(57) lgkmcnt(1)
	v_mul_f64 v[143:144], v[67:68], v[87:88]
	v_mul_f64 v[87:88], v[69:70], v[87:88]
	s_waitcnt vmcnt(56)
	v_fma_f64 v[79:80], v[63:64], v[81:82], -v[79:80]
	v_add_f64 v[73:74], v[73:74], v[77:78]
	v_fma_f64 v[77:78], v[65:66], v[81:82], v[137:138]
	v_add_f64 v[0:1], v[0:1], v[85:86]
	s_clause 0x2
	buffer_load_dword v128, off, s[0:3], 0 offset:364
	buffer_load_dword v82, off, s[0:3], 0 offset:340
	;; [unrolled: 1-line block ×3, first 2 shown]
	s_waitcnt vmcnt(58) lgkmcnt(0)
	v_mul_f64 v[85:86], v[59:60], v[89:90]
	v_mul_f64 v[89:90], v[61:62], v[89:90]
	s_waitcnt vmcnt(56)
	v_fma_f64 v[87:88], v[67:68], v[93:94], -v[87:88]
	ds_read_b128 v[63:66], v2 offset:560
	v_add_f64 v[73:74], v[73:74], v[79:80]
	v_fma_f64 v[79:80], v[69:70], v[93:94], v[143:144]
	v_add_f64 v[0:1], v[0:1], v[77:78]
	s_clause 0x4
	buffer_load_dword v78, off, s[0:3], 0 offset:380
	buffer_load_dword v93, off, s[0:3], 0 offset:392
	;; [unrolled: 1-line block ×5, first 2 shown]
	ds_read_b128 v[67:70], v2 offset:576
	s_waitcnt vmcnt(57) lgkmcnt(1)
	v_mul_f64 v[138:139], v[63:64], v[95:96]
	v_mul_f64 v[95:96], v[65:66], v[95:96]
	s_waitcnt vmcnt(56)
	v_fma_f64 v[89:90], v[59:60], v[91:92], -v[89:90]
	v_fma_f64 v[85:86], v[61:62], v[91:92], v[85:86]
	v_add_f64 v[73:74], v[73:74], v[87:88]
	v_add_f64 v[0:1], v[0:1], v[79:80]
	s_clause 0x2
	buffer_load_dword v94, off, s[0:3], 0 offset:396
	buffer_load_dword v80, off, s[0:3], 0 offset:372
	;; [unrolled: 1-line block ×3, first 2 shown]
	s_waitcnt vmcnt(58) lgkmcnt(0)
	v_mul_f64 v[91:92], v[69:70], v[97:98]
	ds_read_b128 v[59:62], v2 offset:592
	s_waitcnt vmcnt(56)
	v_fma_f64 v[95:96], v[63:64], v[101:102], -v[95:96]
	v_mul_f64 v[87:88], v[67:68], v[97:98]
	v_add_f64 v[73:74], v[73:74], v[89:90]
	v_fma_f64 v[89:90], v[65:66], v[101:102], v[138:139]
	v_add_f64 v[0:1], v[0:1], v[85:86]
	s_clause 0x4
	buffer_load_dword v86, off, s[0:3], 0 offset:412
	buffer_load_dword v97, off, s[0:3], 0 offset:424
	;; [unrolled: 1-line block ×5, first 2 shown]
	s_waitcnt vmcnt(57) lgkmcnt(0)
	v_mul_f64 v[144:145], v[59:60], v[103:104]
	v_mul_f64 v[102:103], v[61:62], v[103:104]
	s_waitcnt vmcnt(56)
	v_fma_f64 v[91:92], v[67:68], v[99:100], -v[91:92]
	ds_read_b128 v[63:66], v2 offset:608
	v_fma_f64 v[87:88], v[69:70], v[99:100], v[87:88]
	v_add_f64 v[73:74], v[73:74], v[95:96]
	v_add_f64 v[0:1], v[0:1], v[89:90]
	s_clause 0x2
	buffer_load_dword v98, off, s[0:3], 0 offset:428
	buffer_load_dword v90, off, s[0:3], 0 offset:404
	;; [unrolled: 1-line block ×3, first 2 shown]
	ds_read_b128 v[67:70], v2 offset:624
	s_waitcnt vmcnt(58) lgkmcnt(1)
	v_mul_f64 v[99:100], v[65:66], v[105:106]
	s_waitcnt vmcnt(56)
	v_fma_f64 v[103:104], v[59:60], v[109:110], -v[102:103]
	v_mul_f64 v[95:96], v[63:64], v[105:106]
	v_add_f64 v[73:74], v[73:74], v[91:92]
	v_fma_f64 v[91:92], v[61:62], v[109:110], v[144:145]
	v_add_f64 v[0:1], v[0:1], v[87:88]
	s_clause 0x2
	buffer_load_dword v88, off, s[0:3], 0 offset:444
	buffer_load_dword v87, off, s[0:3], 0 offset:440
	;; [unrolled: 1-line block ×3, first 2 shown]
	s_waitcnt vmcnt(55) lgkmcnt(0)
	v_mul_f64 v[109:110], v[69:70], v[111:112]
	s_waitcnt vmcnt(54)
	v_fma_f64 v[99:100], v[63:64], v[107:108], -v[99:100]
	ds_read_b128 v[59:62], v2 offset:640
	v_mul_f64 v[105:106], v[67:68], v[111:112]
	v_fma_f64 v[95:96], v[65:66], v[107:108], v[95:96]
	v_add_f64 v[73:74], v[73:74], v[103:104]
	v_add_f64 v[0:1], v[0:1], v[91:92]
	s_clause 0x1
	buffer_load_dword v92, off, s[0:3], 0 offset:436
	buffer_load_dword v91, off, s[0:3], 0 offset:432
	s_waitcnt vmcnt(55) lgkmcnt(0)
	v_mul_f64 v[107:108], v[61:62], v[113:114]
	s_waitcnt vmcnt(53)
	v_fma_f64 v[109:110], v[67:68], v[117:118], -v[109:110]
	ds_read_b128 v[63:66], v2 offset:656
	v_mul_f64 v[103:104], v[59:60], v[113:114]
	v_add_f64 v[73:74], v[73:74], v[99:100]
	v_fma_f64 v[99:100], v[69:70], v[117:118], v[105:106]
	v_add_f64 v[0:1], v[0:1], v[95:96]
	ds_read_b128 v[67:70], v2 offset:672
	s_waitcnt vmcnt(49) lgkmcnt(1)
	v_mul_f64 v[105:106], v[65:66], v[119:120]
	s_waitcnt vmcnt(48)
	v_fma_f64 v[107:108], v[59:60], v[115:116], -v[107:108]
	v_mul_f64 v[95:96], v[63:64], v[119:120]
	v_fma_f64 v[103:104], v[61:62], v[115:116], v[103:104]
	v_add_f64 v[73:74], v[73:74], v[109:110]
	s_waitcnt vmcnt(47) lgkmcnt(0)
	v_mul_f64 v[113:114], v[69:70], v[121:122]
	v_add_f64 v[0:1], v[0:1], v[99:100]
	s_clause 0x3
	buffer_load_dword v99, off, s[0:3], 0 offset:16
	buffer_load_dword v100, off, s[0:3], 0 offset:20
	buffer_load_dword v109, off, s[0:3], 0 offset:24
	buffer_load_dword v110, off, s[0:3], 0 offset:28
	s_waitcnt vmcnt(49)
	v_fma_f64 v[105:106], v[63:64], v[125:126], -v[105:106]
	ds_read_b128 v[59:62], v2 offset:688
	v_mul_f64 v[111:112], v[67:68], v[121:122]
	v_fma_f64 v[95:96], v[65:66], v[125:126], v[95:96]
	ds_read_b128 v[63:66], v2 offset:704
	v_add_f64 v[73:74], v[73:74], v[107:108]
	s_waitcnt vmcnt(44)
	v_fma_f64 v[113:114], v[67:68], v[123:124], -v[113:114]
	v_add_f64 v[0:1], v[0:1], v[103:104]
	s_waitcnt lgkmcnt(1)
	v_mul_f64 v[107:108], v[61:62], v[129:130]
	v_mul_f64 v[103:104], v[59:60], v[129:130]
	v_add_f64 v[73:74], v[73:74], v[105:106]
	v_fma_f64 v[105:106], v[69:70], v[123:124], v[111:112]
	v_add_f64 v[0:1], v[0:1], v[95:96]
	ds_read_b128 v[67:70], v2 offset:720
	s_waitcnt vmcnt(43) lgkmcnt(1)
	v_mul_f64 v[111:112], v[65:66], v[131:132]
	v_mul_f64 v[95:96], v[63:64], v[131:132]
	s_waitcnt vmcnt(41)
	v_fma_f64 v[107:108], v[59:60], v[71:72], -v[107:108]
	v_fma_f64 v[71:72], v[61:62], v[71:72], v[103:104]
	ds_read_b128 v[59:62], v2 offset:736
	v_add_f64 v[73:74], v[73:74], v[113:114]
	s_waitcnt vmcnt(37) lgkmcnt(1)
	v_mul_f64 v[103:104], v[67:68], v[75:76]
	v_add_f64 v[0:1], v[0:1], v[105:106]
	v_mul_f64 v[75:76], v[69:70], v[75:76]
	s_waitcnt vmcnt(36)
	v_fma_f64 v[105:106], v[63:64], v[133:134], -v[111:112]
	v_fma_f64 v[95:96], v[65:66], v[133:134], v[95:96]
	ds_read_b128 v[63:66], v2 offset:752
	v_add_f64 v[73:74], v[73:74], v[107:108]
	v_add_f64 v[0:1], v[0:1], v[71:72]
	s_waitcnt vmcnt(35) lgkmcnt(1)
	v_mul_f64 v[107:108], v[61:62], v[135:136]
	v_mul_f64 v[71:72], v[59:60], v[135:136]
	s_waitcnt vmcnt(33)
	v_fma_f64 v[75:76], v[67:68], v[3:4], -v[75:76]
	v_fma_f64 v[3:4], v[69:70], v[3:4], v[103:104]
	ds_read_b128 v[67:70], v2 offset:768
	v_add_f64 v[73:74], v[73:74], v[105:106]
	v_add_f64 v[0:1], v[0:1], v[95:96]
	s_waitcnt vmcnt(29) lgkmcnt(1)
	v_mul_f64 v[95:96], v[63:64], v[83:84]
	;; [unrolled: 9-line block ×6, first 2 shown]
	s_waitcnt vmcnt(12)
	v_fma_f64 v[63:64], v[63:64], v[137:138], -v[83:84]
	v_mul_f64 v[75:76], v[67:68], v[85:86]
	v_fma_f64 v[65:66], v[65:66], v[137:138], v[81:82]
	v_add_f64 v[73:74], v[73:74], v[77:78]
	v_add_f64 v[71:72], v[0:1], v[71:72]
	ds_read_b128 v[0:3], v2 offset:848
	s_waitcnt vmcnt(11) lgkmcnt(1)
	v_mul_f64 v[81:82], v[61:62], v[97:98]
	v_mul_f64 v[77:78], v[59:60], v[97:98]
	s_waitcnt vmcnt(9)
	v_fma_f64 v[67:68], v[67:68], v[89:90], -v[79:80]
	v_fma_f64 v[69:70], v[69:70], v[89:90], v[75:76]
	v_add_f64 v[63:64], v[73:74], v[63:64]
	v_add_f64 v[65:66], v[71:72], v[65:66]
	s_waitcnt vmcnt(7) lgkmcnt(0)
	v_mul_f64 v[73:74], v[2:3], v[87:88]
	s_waitcnt vmcnt(6)
	v_fma_f64 v[59:60], v[59:60], v[101:102], -v[81:82]
	v_mul_f64 v[71:72], v[0:1], v[87:88]
	v_fma_f64 v[61:62], v[61:62], v[101:102], v[77:78]
	v_add_f64 v[63:64], v[63:64], v[67:68]
	v_add_f64 v[65:66], v[65:66], v[69:70]
	s_waitcnt vmcnt(4)
	v_fma_f64 v[0:1], v[0:1], v[91:92], -v[73:74]
	v_fma_f64 v[2:3], v[2:3], v[91:92], v[71:72]
	v_add_f64 v[59:60], v[63:64], v[59:60]
	v_add_f64 v[61:62], v[65:66], v[61:62]
	;; [unrolled: 1-line block ×4, first 2 shown]
	s_waitcnt vmcnt(2)
	v_add_f64 v[0:1], v[99:100], -v[0:1]
	s_waitcnt vmcnt(0)
	v_add_f64 v[2:3], v[109:110], -v[2:3]
	buffer_store_dword v1, off, s[0:3], 0 offset:20
	buffer_store_dword v0, off, s[0:3], 0 offset:16
	;; [unrolled: 1-line block ×4, first 2 shown]
	s_cbranch_vccz .LBB90_228
; %bb.176:
	v_mov_b32_e32 v0, 0
	global_load_dword v1, v0, s[12:13] offset:100
	s_waitcnt vmcnt(0)
	v_add_nc_u32_e32 v1, -1, v1
	v_cmp_ne_u32_e32 vcc_lo, 25, v1
	s_cbranch_vccz .LBB90_178
; %bb.177:
	v_lshlrev_b32_e32 v1, 4, v1
	v_mov_b32_e32 v2, s9
	v_add_nc_u32_e32 v1, 16, v1
	s_clause 0x7
	buffer_load_dword v3, v1, s[0:3], 0 offen
	buffer_load_dword v4, v1, s[0:3], 0 offen offset:4
	buffer_load_dword v59, v1, s[0:3], 0 offen offset:8
	;; [unrolled: 1-line block ×6, first 2 shown]
	buffer_load_dword v64, v2, s[0:3], 0 offen
	s_waitcnt vmcnt(7)
	buffer_store_dword v3, v2, s[0:3], 0 offen
	s_waitcnt vmcnt(6)
	buffer_store_dword v4, v2, s[0:3], 0 offen offset:4
	s_waitcnt vmcnt(5)
	buffer_store_dword v59, v2, s[0:3], 0 offen offset:8
	;; [unrolled: 2-line block ×6, first 2 shown]
	s_waitcnt vmcnt(0)
	buffer_store_dword v64, v1, s[0:3], 0 offen
.LBB90_178:
	global_load_dword v0, v0, s[12:13] offset:96
	s_waitcnt vmcnt(0)
	v_add_nc_u32_e32 v0, -1, v0
	v_cmp_eq_u32_e32 vcc_lo, 24, v0
	s_cbranch_vccnz .LBB90_180
; %bb.179:
	v_lshlrev_b32_e32 v0, 4, v0
	v_mov_b32_e32 v1, s14
	v_add_nc_u32_e32 v0, 16, v0
	s_clause 0x7
	buffer_load_dword v2, v0, s[0:3], 0 offen
	buffer_load_dword v3, v0, s[0:3], 0 offen offset:4
	buffer_load_dword v4, v0, s[0:3], 0 offen offset:8
	;; [unrolled: 1-line block ×6, first 2 shown]
	buffer_load_dword v63, v1, s[0:3], 0 offen
	s_waitcnt vmcnt(7)
	buffer_store_dword v2, v1, s[0:3], 0 offen
	s_waitcnt vmcnt(6)
	buffer_store_dword v3, v1, s[0:3], 0 offen offset:4
	s_waitcnt vmcnt(5)
	buffer_store_dword v4, v1, s[0:3], 0 offen offset:8
	;; [unrolled: 2-line block ×6, first 2 shown]
	s_waitcnt vmcnt(0)
	buffer_store_dword v63, v0, s[0:3], 0 offen
.LBB90_180:
	v_mov_b32_e32 v0, 0
	global_load_dword v1, v0, s[12:13] offset:92
	s_waitcnt vmcnt(0)
	v_add_nc_u32_e32 v1, -1, v1
	v_cmp_eq_u32_e32 vcc_lo, 23, v1
	s_cbranch_vccnz .LBB90_182
; %bb.181:
	v_lshlrev_b32_e32 v1, 4, v1
	v_mov_b32_e32 v2, s15
	v_add_nc_u32_e32 v1, 16, v1
	s_clause 0x7
	buffer_load_dword v3, v1, s[0:3], 0 offen
	buffer_load_dword v4, v1, s[0:3], 0 offen offset:4
	buffer_load_dword v59, v1, s[0:3], 0 offen offset:8
	;; [unrolled: 1-line block ×6, first 2 shown]
	buffer_load_dword v64, v2, s[0:3], 0 offen
	s_waitcnt vmcnt(7)
	buffer_store_dword v3, v2, s[0:3], 0 offen
	s_waitcnt vmcnt(6)
	buffer_store_dword v4, v2, s[0:3], 0 offen offset:4
	s_waitcnt vmcnt(5)
	buffer_store_dword v59, v2, s[0:3], 0 offen offset:8
	;; [unrolled: 2-line block ×6, first 2 shown]
	s_waitcnt vmcnt(0)
	buffer_store_dword v64, v1, s[0:3], 0 offen
.LBB90_182:
	global_load_dword v0, v0, s[12:13] offset:88
	s_waitcnt vmcnt(0)
	v_add_nc_u32_e32 v0, -1, v0
	v_cmp_eq_u32_e32 vcc_lo, 22, v0
	s_cbranch_vccnz .LBB90_184
; %bb.183:
	v_lshlrev_b32_e32 v0, 4, v0
	v_mov_b32_e32 v1, s16
	v_add_nc_u32_e32 v0, 16, v0
	s_clause 0x7
	buffer_load_dword v2, v0, s[0:3], 0 offen
	buffer_load_dword v3, v0, s[0:3], 0 offen offset:4
	buffer_load_dword v4, v0, s[0:3], 0 offen offset:8
	;; [unrolled: 1-line block ×6, first 2 shown]
	buffer_load_dword v63, v1, s[0:3], 0 offen
	s_waitcnt vmcnt(7)
	buffer_store_dword v2, v1, s[0:3], 0 offen
	s_waitcnt vmcnt(6)
	buffer_store_dword v3, v1, s[0:3], 0 offen offset:4
	s_waitcnt vmcnt(5)
	buffer_store_dword v4, v1, s[0:3], 0 offen offset:8
	;; [unrolled: 2-line block ×6, first 2 shown]
	s_waitcnt vmcnt(0)
	buffer_store_dword v63, v0, s[0:3], 0 offen
.LBB90_184:
	v_mov_b32_e32 v0, 0
	global_load_dword v1, v0, s[12:13] offset:84
	s_waitcnt vmcnt(0)
	v_add_nc_u32_e32 v1, -1, v1
	v_cmp_eq_u32_e32 vcc_lo, 21, v1
	s_cbranch_vccnz .LBB90_186
; %bb.185:
	v_lshlrev_b32_e32 v1, 4, v1
	v_mov_b32_e32 v2, s17
	v_add_nc_u32_e32 v1, 16, v1
	s_clause 0x7
	buffer_load_dword v3, v1, s[0:3], 0 offen
	buffer_load_dword v4, v1, s[0:3], 0 offen offset:4
	buffer_load_dword v59, v1, s[0:3], 0 offen offset:8
	;; [unrolled: 1-line block ×6, first 2 shown]
	buffer_load_dword v64, v2, s[0:3], 0 offen
	s_waitcnt vmcnt(7)
	buffer_store_dword v3, v2, s[0:3], 0 offen
	s_waitcnt vmcnt(6)
	buffer_store_dword v4, v2, s[0:3], 0 offen offset:4
	s_waitcnt vmcnt(5)
	buffer_store_dword v59, v2, s[0:3], 0 offen offset:8
	;; [unrolled: 2-line block ×6, first 2 shown]
	s_waitcnt vmcnt(0)
	buffer_store_dword v64, v1, s[0:3], 0 offen
.LBB90_186:
	global_load_dword v0, v0, s[12:13] offset:80
	s_waitcnt vmcnt(0)
	v_add_nc_u32_e32 v0, -1, v0
	v_cmp_eq_u32_e32 vcc_lo, 20, v0
	s_cbranch_vccnz .LBB90_188
; %bb.187:
	v_lshlrev_b32_e32 v0, 4, v0
	v_mov_b32_e32 v1, s18
	v_add_nc_u32_e32 v0, 16, v0
	s_clause 0x7
	buffer_load_dword v2, v0, s[0:3], 0 offen
	buffer_load_dword v3, v0, s[0:3], 0 offen offset:4
	buffer_load_dword v4, v0, s[0:3], 0 offen offset:8
	;; [unrolled: 1-line block ×6, first 2 shown]
	buffer_load_dword v63, v1, s[0:3], 0 offen
	s_waitcnt vmcnt(7)
	buffer_store_dword v2, v1, s[0:3], 0 offen
	s_waitcnt vmcnt(6)
	buffer_store_dword v3, v1, s[0:3], 0 offen offset:4
	s_waitcnt vmcnt(5)
	buffer_store_dword v4, v1, s[0:3], 0 offen offset:8
	;; [unrolled: 2-line block ×6, first 2 shown]
	s_waitcnt vmcnt(0)
	buffer_store_dword v63, v0, s[0:3], 0 offen
.LBB90_188:
	v_mov_b32_e32 v0, 0
	global_load_dword v1, v0, s[12:13] offset:76
	s_waitcnt vmcnt(0)
	v_add_nc_u32_e32 v1, -1, v1
	v_cmp_eq_u32_e32 vcc_lo, 19, v1
	s_cbranch_vccnz .LBB90_190
; %bb.189:
	v_lshlrev_b32_e32 v1, 4, v1
	v_mov_b32_e32 v2, s19
	v_add_nc_u32_e32 v1, 16, v1
	s_clause 0x7
	buffer_load_dword v3, v1, s[0:3], 0 offen
	buffer_load_dword v4, v1, s[0:3], 0 offen offset:4
	buffer_load_dword v59, v1, s[0:3], 0 offen offset:8
	;; [unrolled: 1-line block ×6, first 2 shown]
	buffer_load_dword v64, v2, s[0:3], 0 offen
	s_waitcnt vmcnt(7)
	buffer_store_dword v3, v2, s[0:3], 0 offen
	s_waitcnt vmcnt(6)
	buffer_store_dword v4, v2, s[0:3], 0 offen offset:4
	s_waitcnt vmcnt(5)
	buffer_store_dword v59, v2, s[0:3], 0 offen offset:8
	;; [unrolled: 2-line block ×6, first 2 shown]
	s_waitcnt vmcnt(0)
	buffer_store_dword v64, v1, s[0:3], 0 offen
.LBB90_190:
	global_load_dword v0, v0, s[12:13] offset:72
	s_waitcnt vmcnt(0)
	v_add_nc_u32_e32 v0, -1, v0
	v_cmp_eq_u32_e32 vcc_lo, 18, v0
	s_cbranch_vccnz .LBB90_192
; %bb.191:
	v_lshlrev_b32_e32 v0, 4, v0
	v_mov_b32_e32 v1, s20
	v_add_nc_u32_e32 v0, 16, v0
	s_clause 0x7
	buffer_load_dword v2, v0, s[0:3], 0 offen
	buffer_load_dword v3, v0, s[0:3], 0 offen offset:4
	buffer_load_dword v4, v0, s[0:3], 0 offen offset:8
	buffer_load_dword v59, v0, s[0:3], 0 offen offset:12
	buffer_load_dword v60, v1, s[0:3], 0 offen offset:12
	buffer_load_dword v61, v1, s[0:3], 0 offen offset:8
	buffer_load_dword v62, v1, s[0:3], 0 offen offset:4
	buffer_load_dword v63, v1, s[0:3], 0 offen
	s_waitcnt vmcnt(7)
	buffer_store_dword v2, v1, s[0:3], 0 offen
	s_waitcnt vmcnt(6)
	buffer_store_dword v3, v1, s[0:3], 0 offen offset:4
	s_waitcnt vmcnt(5)
	buffer_store_dword v4, v1, s[0:3], 0 offen offset:8
	;; [unrolled: 2-line block ×6, first 2 shown]
	s_waitcnt vmcnt(0)
	buffer_store_dword v63, v0, s[0:3], 0 offen
.LBB90_192:
	v_mov_b32_e32 v0, 0
	global_load_dword v1, v0, s[12:13] offset:68
	s_waitcnt vmcnt(0)
	v_add_nc_u32_e32 v1, -1, v1
	v_cmp_eq_u32_e32 vcc_lo, 17, v1
	s_cbranch_vccnz .LBB90_194
; %bb.193:
	v_lshlrev_b32_e32 v1, 4, v1
	v_mov_b32_e32 v2, s21
	v_add_nc_u32_e32 v1, 16, v1
	s_clause 0x7
	buffer_load_dword v3, v1, s[0:3], 0 offen
	buffer_load_dword v4, v1, s[0:3], 0 offen offset:4
	buffer_load_dword v59, v1, s[0:3], 0 offen offset:8
	;; [unrolled: 1-line block ×6, first 2 shown]
	buffer_load_dword v64, v2, s[0:3], 0 offen
	s_waitcnt vmcnt(7)
	buffer_store_dword v3, v2, s[0:3], 0 offen
	s_waitcnt vmcnt(6)
	buffer_store_dword v4, v2, s[0:3], 0 offen offset:4
	s_waitcnt vmcnt(5)
	buffer_store_dword v59, v2, s[0:3], 0 offen offset:8
	;; [unrolled: 2-line block ×6, first 2 shown]
	s_waitcnt vmcnt(0)
	buffer_store_dword v64, v1, s[0:3], 0 offen
.LBB90_194:
	global_load_dword v0, v0, s[12:13] offset:64
	s_waitcnt vmcnt(0)
	v_add_nc_u32_e32 v0, -1, v0
	v_cmp_eq_u32_e32 vcc_lo, 16, v0
	s_cbranch_vccnz .LBB90_196
; %bb.195:
	v_lshlrev_b32_e32 v0, 4, v0
	v_mov_b32_e32 v1, s22
	v_add_nc_u32_e32 v0, 16, v0
	s_clause 0x7
	buffer_load_dword v2, v0, s[0:3], 0 offen
	buffer_load_dword v3, v0, s[0:3], 0 offen offset:4
	buffer_load_dword v4, v0, s[0:3], 0 offen offset:8
	;; [unrolled: 1-line block ×6, first 2 shown]
	buffer_load_dword v63, v1, s[0:3], 0 offen
	s_waitcnt vmcnt(7)
	buffer_store_dword v2, v1, s[0:3], 0 offen
	s_waitcnt vmcnt(6)
	buffer_store_dword v3, v1, s[0:3], 0 offen offset:4
	s_waitcnt vmcnt(5)
	buffer_store_dword v4, v1, s[0:3], 0 offen offset:8
	;; [unrolled: 2-line block ×6, first 2 shown]
	s_waitcnt vmcnt(0)
	buffer_store_dword v63, v0, s[0:3], 0 offen
.LBB90_196:
	v_mov_b32_e32 v0, 0
	global_load_dword v1, v0, s[12:13] offset:60
	s_waitcnt vmcnt(0)
	v_add_nc_u32_e32 v1, -1, v1
	v_cmp_eq_u32_e32 vcc_lo, 15, v1
	s_cbranch_vccnz .LBB90_198
; %bb.197:
	v_lshlrev_b32_e32 v1, 4, v1
	v_mov_b32_e32 v2, s23
	v_add_nc_u32_e32 v1, 16, v1
	s_clause 0x7
	buffer_load_dword v3, v1, s[0:3], 0 offen
	buffer_load_dword v4, v1, s[0:3], 0 offen offset:4
	buffer_load_dword v59, v1, s[0:3], 0 offen offset:8
	;; [unrolled: 1-line block ×6, first 2 shown]
	buffer_load_dword v64, v2, s[0:3], 0 offen
	s_waitcnt vmcnt(7)
	buffer_store_dword v3, v2, s[0:3], 0 offen
	s_waitcnt vmcnt(6)
	buffer_store_dword v4, v2, s[0:3], 0 offen offset:4
	s_waitcnt vmcnt(5)
	buffer_store_dword v59, v2, s[0:3], 0 offen offset:8
	;; [unrolled: 2-line block ×6, first 2 shown]
	s_waitcnt vmcnt(0)
	buffer_store_dword v64, v1, s[0:3], 0 offen
.LBB90_198:
	global_load_dword v0, v0, s[12:13] offset:56
	s_waitcnt vmcnt(0)
	v_add_nc_u32_e32 v0, -1, v0
	v_cmp_eq_u32_e32 vcc_lo, 14, v0
	s_cbranch_vccnz .LBB90_200
; %bb.199:
	v_lshlrev_b32_e32 v0, 4, v0
	v_mov_b32_e32 v1, s24
	v_add_nc_u32_e32 v0, 16, v0
	s_clause 0x7
	buffer_load_dword v2, v0, s[0:3], 0 offen
	buffer_load_dword v3, v0, s[0:3], 0 offen offset:4
	buffer_load_dword v4, v0, s[0:3], 0 offen offset:8
	;; [unrolled: 1-line block ×6, first 2 shown]
	buffer_load_dword v63, v1, s[0:3], 0 offen
	s_waitcnt vmcnt(7)
	buffer_store_dword v2, v1, s[0:3], 0 offen
	s_waitcnt vmcnt(6)
	buffer_store_dword v3, v1, s[0:3], 0 offen offset:4
	s_waitcnt vmcnt(5)
	buffer_store_dword v4, v1, s[0:3], 0 offen offset:8
	;; [unrolled: 2-line block ×6, first 2 shown]
	s_waitcnt vmcnt(0)
	buffer_store_dword v63, v0, s[0:3], 0 offen
.LBB90_200:
	v_mov_b32_e32 v0, 0
	global_load_dword v1, v0, s[12:13] offset:52
	s_waitcnt vmcnt(0)
	v_add_nc_u32_e32 v1, -1, v1
	v_cmp_eq_u32_e32 vcc_lo, 13, v1
	s_cbranch_vccnz .LBB90_202
; %bb.201:
	v_lshlrev_b32_e32 v1, 4, v1
	v_mov_b32_e32 v2, s25
	v_add_nc_u32_e32 v1, 16, v1
	s_clause 0x7
	buffer_load_dword v3, v1, s[0:3], 0 offen
	buffer_load_dword v4, v1, s[0:3], 0 offen offset:4
	buffer_load_dword v59, v1, s[0:3], 0 offen offset:8
	buffer_load_dword v60, v1, s[0:3], 0 offen offset:12
	buffer_load_dword v61, v2, s[0:3], 0 offen offset:12
	buffer_load_dword v62, v2, s[0:3], 0 offen offset:8
	buffer_load_dword v63, v2, s[0:3], 0 offen offset:4
	buffer_load_dword v64, v2, s[0:3], 0 offen
	s_waitcnt vmcnt(7)
	buffer_store_dword v3, v2, s[0:3], 0 offen
	s_waitcnt vmcnt(6)
	buffer_store_dword v4, v2, s[0:3], 0 offen offset:4
	s_waitcnt vmcnt(5)
	buffer_store_dword v59, v2, s[0:3], 0 offen offset:8
	;; [unrolled: 2-line block ×6, first 2 shown]
	s_waitcnt vmcnt(0)
	buffer_store_dword v64, v1, s[0:3], 0 offen
.LBB90_202:
	global_load_dword v0, v0, s[12:13] offset:48
	s_waitcnt vmcnt(0)
	v_add_nc_u32_e32 v0, -1, v0
	v_cmp_eq_u32_e32 vcc_lo, 12, v0
	s_cbranch_vccnz .LBB90_204
; %bb.203:
	v_lshlrev_b32_e32 v0, 4, v0
	v_mov_b32_e32 v1, s26
	v_add_nc_u32_e32 v0, 16, v0
	s_clause 0x7
	buffer_load_dword v2, v0, s[0:3], 0 offen
	buffer_load_dword v3, v0, s[0:3], 0 offen offset:4
	buffer_load_dword v4, v0, s[0:3], 0 offen offset:8
	;; [unrolled: 1-line block ×6, first 2 shown]
	buffer_load_dword v63, v1, s[0:3], 0 offen
	s_waitcnt vmcnt(7)
	buffer_store_dword v2, v1, s[0:3], 0 offen
	s_waitcnt vmcnt(6)
	buffer_store_dword v3, v1, s[0:3], 0 offen offset:4
	s_waitcnt vmcnt(5)
	buffer_store_dword v4, v1, s[0:3], 0 offen offset:8
	s_waitcnt vmcnt(4)
	buffer_store_dword v59, v1, s[0:3], 0 offen offset:12
	s_waitcnt vmcnt(3)
	buffer_store_dword v60, v0, s[0:3], 0 offen offset:12
	s_waitcnt vmcnt(2)
	buffer_store_dword v61, v0, s[0:3], 0 offen offset:8
	s_waitcnt vmcnt(1)
	buffer_store_dword v62, v0, s[0:3], 0 offen offset:4
	s_waitcnt vmcnt(0)
	buffer_store_dword v63, v0, s[0:3], 0 offen
.LBB90_204:
	v_mov_b32_e32 v0, 0
	global_load_dword v1, v0, s[12:13] offset:44
	s_waitcnt vmcnt(0)
	v_add_nc_u32_e32 v1, -1, v1
	v_cmp_eq_u32_e32 vcc_lo, 11, v1
	s_cbranch_vccnz .LBB90_206
; %bb.205:
	v_lshlrev_b32_e32 v1, 4, v1
	v_mov_b32_e32 v2, s27
	v_add_nc_u32_e32 v1, 16, v1
	s_clause 0x7
	buffer_load_dword v3, v1, s[0:3], 0 offen
	buffer_load_dword v4, v1, s[0:3], 0 offen offset:4
	buffer_load_dword v59, v1, s[0:3], 0 offen offset:8
	;; [unrolled: 1-line block ×6, first 2 shown]
	buffer_load_dword v64, v2, s[0:3], 0 offen
	s_waitcnt vmcnt(7)
	buffer_store_dword v3, v2, s[0:3], 0 offen
	s_waitcnt vmcnt(6)
	buffer_store_dword v4, v2, s[0:3], 0 offen offset:4
	s_waitcnt vmcnt(5)
	buffer_store_dword v59, v2, s[0:3], 0 offen offset:8
	;; [unrolled: 2-line block ×6, first 2 shown]
	s_waitcnt vmcnt(0)
	buffer_store_dword v64, v1, s[0:3], 0 offen
.LBB90_206:
	global_load_dword v0, v0, s[12:13] offset:40
	s_waitcnt vmcnt(0)
	v_add_nc_u32_e32 v0, -1, v0
	v_cmp_eq_u32_e32 vcc_lo, 10, v0
	s_cbranch_vccnz .LBB90_208
; %bb.207:
	v_lshlrev_b32_e32 v0, 4, v0
	v_mov_b32_e32 v1, s28
	v_add_nc_u32_e32 v0, 16, v0
	s_clause 0x7
	buffer_load_dword v2, v0, s[0:3], 0 offen
	buffer_load_dword v3, v0, s[0:3], 0 offen offset:4
	buffer_load_dword v4, v0, s[0:3], 0 offen offset:8
	;; [unrolled: 1-line block ×6, first 2 shown]
	buffer_load_dword v63, v1, s[0:3], 0 offen
	s_waitcnt vmcnt(7)
	buffer_store_dword v2, v1, s[0:3], 0 offen
	s_waitcnt vmcnt(6)
	buffer_store_dword v3, v1, s[0:3], 0 offen offset:4
	s_waitcnt vmcnt(5)
	buffer_store_dword v4, v1, s[0:3], 0 offen offset:8
	;; [unrolled: 2-line block ×6, first 2 shown]
	s_waitcnt vmcnt(0)
	buffer_store_dword v63, v0, s[0:3], 0 offen
.LBB90_208:
	v_mov_b32_e32 v0, 0
	global_load_dword v1, v0, s[12:13] offset:36
	s_waitcnt vmcnt(0)
	v_add_nc_u32_e32 v1, -1, v1
	v_cmp_eq_u32_e32 vcc_lo, 9, v1
	s_cbranch_vccnz .LBB90_210
; %bb.209:
	v_lshlrev_b32_e32 v1, 4, v1
	v_mov_b32_e32 v2, s29
	v_add_nc_u32_e32 v1, 16, v1
	s_clause 0x7
	buffer_load_dword v3, v1, s[0:3], 0 offen
	buffer_load_dword v4, v1, s[0:3], 0 offen offset:4
	buffer_load_dword v59, v1, s[0:3], 0 offen offset:8
	;; [unrolled: 1-line block ×6, first 2 shown]
	buffer_load_dword v64, v2, s[0:3], 0 offen
	s_waitcnt vmcnt(7)
	buffer_store_dword v3, v2, s[0:3], 0 offen
	s_waitcnt vmcnt(6)
	buffer_store_dword v4, v2, s[0:3], 0 offen offset:4
	s_waitcnt vmcnt(5)
	buffer_store_dword v59, v2, s[0:3], 0 offen offset:8
	;; [unrolled: 2-line block ×6, first 2 shown]
	s_waitcnt vmcnt(0)
	buffer_store_dword v64, v1, s[0:3], 0 offen
.LBB90_210:
	global_load_dword v0, v0, s[12:13] offset:32
	s_waitcnt vmcnt(0)
	v_add_nc_u32_e32 v0, -1, v0
	v_cmp_eq_u32_e32 vcc_lo, 8, v0
	s_cbranch_vccnz .LBB90_212
; %bb.211:
	v_lshlrev_b32_e32 v0, 4, v0
	v_mov_b32_e32 v1, s30
	v_add_nc_u32_e32 v0, 16, v0
	s_clause 0x7
	buffer_load_dword v2, v0, s[0:3], 0 offen
	buffer_load_dword v3, v0, s[0:3], 0 offen offset:4
	buffer_load_dword v4, v0, s[0:3], 0 offen offset:8
	buffer_load_dword v59, v0, s[0:3], 0 offen offset:12
	buffer_load_dword v60, v1, s[0:3], 0 offen offset:12
	buffer_load_dword v61, v1, s[0:3], 0 offen offset:8
	buffer_load_dword v62, v1, s[0:3], 0 offen offset:4
	buffer_load_dword v63, v1, s[0:3], 0 offen
	s_waitcnt vmcnt(7)
	buffer_store_dword v2, v1, s[0:3], 0 offen
	s_waitcnt vmcnt(6)
	buffer_store_dword v3, v1, s[0:3], 0 offen offset:4
	s_waitcnt vmcnt(5)
	buffer_store_dword v4, v1, s[0:3], 0 offen offset:8
	;; [unrolled: 2-line block ×6, first 2 shown]
	s_waitcnt vmcnt(0)
	buffer_store_dword v63, v0, s[0:3], 0 offen
.LBB90_212:
	v_mov_b32_e32 v0, 0
	global_load_dword v1, v0, s[12:13] offset:28
	s_waitcnt vmcnt(0)
	v_add_nc_u32_e32 v1, -1, v1
	v_cmp_eq_u32_e32 vcc_lo, 7, v1
	s_cbranch_vccnz .LBB90_214
; %bb.213:
	v_lshlrev_b32_e32 v1, 4, v1
	v_mov_b32_e32 v2, s31
	v_add_nc_u32_e32 v1, 16, v1
	s_clause 0x7
	buffer_load_dword v3, v1, s[0:3], 0 offen
	buffer_load_dword v4, v1, s[0:3], 0 offen offset:4
	buffer_load_dword v59, v1, s[0:3], 0 offen offset:8
	buffer_load_dword v60, v1, s[0:3], 0 offen offset:12
	buffer_load_dword v61, v2, s[0:3], 0 offen offset:12
	buffer_load_dword v62, v2, s[0:3], 0 offen offset:8
	buffer_load_dword v63, v2, s[0:3], 0 offen offset:4
	buffer_load_dword v64, v2, s[0:3], 0 offen
	s_waitcnt vmcnt(7)
	buffer_store_dword v3, v2, s[0:3], 0 offen
	s_waitcnt vmcnt(6)
	buffer_store_dword v4, v2, s[0:3], 0 offen offset:4
	s_waitcnt vmcnt(5)
	buffer_store_dword v59, v2, s[0:3], 0 offen offset:8
	;; [unrolled: 2-line block ×6, first 2 shown]
	s_waitcnt vmcnt(0)
	buffer_store_dword v64, v1, s[0:3], 0 offen
.LBB90_214:
	global_load_dword v0, v0, s[12:13] offset:24
	s_waitcnt vmcnt(0)
	v_add_nc_u32_e32 v0, -1, v0
	v_cmp_eq_u32_e32 vcc_lo, 6, v0
	s_cbranch_vccnz .LBB90_216
; %bb.215:
	v_lshlrev_b32_e32 v0, 4, v0
	v_mov_b32_e32 v1, s33
	v_add_nc_u32_e32 v0, 16, v0
	s_clause 0x7
	buffer_load_dword v2, v0, s[0:3], 0 offen
	buffer_load_dword v3, v0, s[0:3], 0 offen offset:4
	buffer_load_dword v4, v0, s[0:3], 0 offen offset:8
	;; [unrolled: 1-line block ×6, first 2 shown]
	buffer_load_dword v63, v1, s[0:3], 0 offen
	s_waitcnt vmcnt(7)
	buffer_store_dword v2, v1, s[0:3], 0 offen
	s_waitcnt vmcnt(6)
	buffer_store_dword v3, v1, s[0:3], 0 offen offset:4
	s_waitcnt vmcnt(5)
	buffer_store_dword v4, v1, s[0:3], 0 offen offset:8
	;; [unrolled: 2-line block ×6, first 2 shown]
	s_waitcnt vmcnt(0)
	buffer_store_dword v63, v0, s[0:3], 0 offen
.LBB90_216:
	v_mov_b32_e32 v0, 0
	global_load_dword v1, v0, s[12:13] offset:20
	s_waitcnt vmcnt(0)
	v_add_nc_u32_e32 v1, -1, v1
	v_cmp_eq_u32_e32 vcc_lo, 5, v1
	s_cbranch_vccnz .LBB90_218
; %bb.217:
	v_lshlrev_b32_e32 v1, 4, v1
	v_mov_b32_e32 v2, s34
	v_add_nc_u32_e32 v1, 16, v1
	s_clause 0x7
	buffer_load_dword v3, v1, s[0:3], 0 offen
	buffer_load_dword v4, v1, s[0:3], 0 offen offset:4
	buffer_load_dword v59, v1, s[0:3], 0 offen offset:8
	;; [unrolled: 1-line block ×6, first 2 shown]
	buffer_load_dword v64, v2, s[0:3], 0 offen
	s_waitcnt vmcnt(7)
	buffer_store_dword v3, v2, s[0:3], 0 offen
	s_waitcnt vmcnt(6)
	buffer_store_dword v4, v2, s[0:3], 0 offen offset:4
	s_waitcnt vmcnt(5)
	buffer_store_dword v59, v2, s[0:3], 0 offen offset:8
	;; [unrolled: 2-line block ×6, first 2 shown]
	s_waitcnt vmcnt(0)
	buffer_store_dword v64, v1, s[0:3], 0 offen
.LBB90_218:
	global_load_dword v0, v0, s[12:13] offset:16
	s_waitcnt vmcnt(0)
	v_add_nc_u32_e32 v0, -1, v0
	v_cmp_eq_u32_e32 vcc_lo, 4, v0
	s_cbranch_vccnz .LBB90_220
; %bb.219:
	v_lshlrev_b32_e32 v0, 4, v0
	v_mov_b32_e32 v1, s35
	v_add_nc_u32_e32 v0, 16, v0
	s_clause 0x7
	buffer_load_dword v2, v0, s[0:3], 0 offen
	buffer_load_dword v3, v0, s[0:3], 0 offen offset:4
	buffer_load_dword v4, v0, s[0:3], 0 offen offset:8
	;; [unrolled: 1-line block ×6, first 2 shown]
	buffer_load_dword v63, v1, s[0:3], 0 offen
	s_waitcnt vmcnt(7)
	buffer_store_dword v2, v1, s[0:3], 0 offen
	s_waitcnt vmcnt(6)
	buffer_store_dword v3, v1, s[0:3], 0 offen offset:4
	s_waitcnt vmcnt(5)
	buffer_store_dword v4, v1, s[0:3], 0 offen offset:8
	;; [unrolled: 2-line block ×6, first 2 shown]
	s_waitcnt vmcnt(0)
	buffer_store_dword v63, v0, s[0:3], 0 offen
.LBB90_220:
	v_mov_b32_e32 v0, 0
	global_load_dword v1, v0, s[12:13] offset:12
	s_waitcnt vmcnt(0)
	v_add_nc_u32_e32 v1, -1, v1
	v_cmp_eq_u32_e32 vcc_lo, 3, v1
	s_cbranch_vccnz .LBB90_222
; %bb.221:
	v_lshlrev_b32_e32 v1, 4, v1
	v_mov_b32_e32 v2, s36
	v_add_nc_u32_e32 v1, 16, v1
	s_clause 0x7
	buffer_load_dword v3, v1, s[0:3], 0 offen
	buffer_load_dword v4, v1, s[0:3], 0 offen offset:4
	buffer_load_dword v59, v1, s[0:3], 0 offen offset:8
	buffer_load_dword v60, v1, s[0:3], 0 offen offset:12
	buffer_load_dword v61, v2, s[0:3], 0 offen offset:12
	buffer_load_dword v62, v2, s[0:3], 0 offen offset:8
	buffer_load_dword v63, v2, s[0:3], 0 offen offset:4
	buffer_load_dword v64, v2, s[0:3], 0 offen
	s_waitcnt vmcnt(7)
	buffer_store_dword v3, v2, s[0:3], 0 offen
	s_waitcnt vmcnt(6)
	buffer_store_dword v4, v2, s[0:3], 0 offen offset:4
	s_waitcnt vmcnt(5)
	buffer_store_dword v59, v2, s[0:3], 0 offen offset:8
	;; [unrolled: 2-line block ×6, first 2 shown]
	s_waitcnt vmcnt(0)
	buffer_store_dword v64, v1, s[0:3], 0 offen
.LBB90_222:
	global_load_dword v0, v0, s[12:13] offset:8
	s_waitcnt vmcnt(0)
	v_add_nc_u32_e32 v0, -1, v0
	v_cmp_eq_u32_e32 vcc_lo, 2, v0
	s_cbranch_vccnz .LBB90_224
; %bb.223:
	v_lshlrev_b32_e32 v0, 4, v0
	v_mov_b32_e32 v1, s37
	v_add_nc_u32_e32 v0, 16, v0
	s_clause 0x7
	buffer_load_dword v2, v0, s[0:3], 0 offen
	buffer_load_dword v3, v0, s[0:3], 0 offen offset:4
	buffer_load_dword v4, v0, s[0:3], 0 offen offset:8
	;; [unrolled: 1-line block ×6, first 2 shown]
	buffer_load_dword v63, v1, s[0:3], 0 offen
	s_waitcnt vmcnt(7)
	buffer_store_dword v2, v1, s[0:3], 0 offen
	s_waitcnt vmcnt(6)
	buffer_store_dword v3, v1, s[0:3], 0 offen offset:4
	s_waitcnt vmcnt(5)
	buffer_store_dword v4, v1, s[0:3], 0 offen offset:8
	;; [unrolled: 2-line block ×6, first 2 shown]
	s_waitcnt vmcnt(0)
	buffer_store_dword v63, v0, s[0:3], 0 offen
.LBB90_224:
	v_mov_b32_e32 v0, 0
	global_load_dword v1, v0, s[12:13] offset:4
	s_waitcnt vmcnt(0)
	v_add_nc_u32_e32 v1, -1, v1
	v_cmp_eq_u32_e32 vcc_lo, 1, v1
	s_cbranch_vccnz .LBB90_226
; %bb.225:
	v_lshlrev_b32_e32 v1, 4, v1
	v_mov_b32_e32 v2, s38
	v_add_nc_u32_e32 v1, 16, v1
	s_clause 0x7
	buffer_load_dword v3, v1, s[0:3], 0 offen
	buffer_load_dword v4, v1, s[0:3], 0 offen offset:4
	buffer_load_dword v59, v1, s[0:3], 0 offen offset:8
	buffer_load_dword v60, v1, s[0:3], 0 offen offset:12
	buffer_load_dword v61, v2, s[0:3], 0 offen offset:12
	buffer_load_dword v62, v2, s[0:3], 0 offen offset:8
	buffer_load_dword v63, v2, s[0:3], 0 offen offset:4
	buffer_load_dword v64, v2, s[0:3], 0 offen
	s_waitcnt vmcnt(7)
	buffer_store_dword v3, v2, s[0:3], 0 offen
	s_waitcnt vmcnt(6)
	buffer_store_dword v4, v2, s[0:3], 0 offen offset:4
	s_waitcnt vmcnt(5)
	buffer_store_dword v59, v2, s[0:3], 0 offen offset:8
	;; [unrolled: 2-line block ×6, first 2 shown]
	s_waitcnt vmcnt(0)
	buffer_store_dword v64, v1, s[0:3], 0 offen
.LBB90_226:
	global_load_dword v0, v0, s[12:13]
	s_waitcnt vmcnt(0)
	v_add_nc_u32_e32 v0, -1, v0
	v_cmp_eq_u32_e32 vcc_lo, 0, v0
	s_cbranch_vccnz .LBB90_228
; %bb.227:
	v_lshlrev_b32_e32 v0, 4, v0
	v_add_nc_u32_e32 v0, 16, v0
	s_clause 0x7
	buffer_load_dword v1, v0, s[0:3], 0 offen
	buffer_load_dword v2, v0, s[0:3], 0 offen offset:4
	buffer_load_dword v3, v0, s[0:3], 0 offen offset:8
	;; [unrolled: 1-line block ×3, first 2 shown]
	buffer_load_dword v59, off, s[0:3], 0 offset:28
	buffer_load_dword v60, off, s[0:3], 0 offset:24
	;; [unrolled: 1-line block ×4, first 2 shown]
	s_waitcnt vmcnt(7)
	buffer_store_dword v1, off, s[0:3], 0 offset:16
	s_waitcnt vmcnt(6)
	buffer_store_dword v2, off, s[0:3], 0 offset:20
	s_waitcnt vmcnt(5)
	buffer_store_dword v3, off, s[0:3], 0 offset:24
	s_waitcnt vmcnt(4)
	buffer_store_dword v4, off, s[0:3], 0 offset:28
	s_waitcnt vmcnt(3)
	buffer_store_dword v59, v0, s[0:3], 0 offen offset:12
	s_waitcnt vmcnt(2)
	buffer_store_dword v60, v0, s[0:3], 0 offen offset:8
	;; [unrolled: 2-line block ×3, first 2 shown]
	s_waitcnt vmcnt(0)
	buffer_store_dword v62, v0, s[0:3], 0 offen
.LBB90_228:
	s_clause 0x3
	buffer_load_dword v0, off, s[0:3], 0 offset:16
	buffer_load_dword v1, off, s[0:3], 0 offset:20
	;; [unrolled: 1-line block ×4, first 2 shown]
	v_mov_b32_e32 v4, s38
	s_waitcnt vmcnt(0)
	flat_store_dwordx4 v[5:6], v[0:3]
	s_clause 0x3
	buffer_load_dword v0, v4, s[0:3], 0 offen
	buffer_load_dword v1, v4, s[0:3], 0 offen offset:4
	buffer_load_dword v2, v4, s[0:3], 0 offen offset:8
	buffer_load_dword v3, v4, s[0:3], 0 offen offset:12
	v_mov_b32_e32 v4, s37
	s_waitcnt vmcnt(0)
	flat_store_dwordx4 v[57:58], v[0:3]
	s_clause 0x3
	buffer_load_dword v0, v4, s[0:3], 0 offen
	buffer_load_dword v1, v4, s[0:3], 0 offen offset:4
	buffer_load_dword v2, v4, s[0:3], 0 offen offset:8
	buffer_load_dword v3, v4, s[0:3], 0 offen offset:12
	;; [unrolled: 8-line block ×26, first 2 shown]
	s_waitcnt vmcnt(0)
	flat_store_dwordx4 v[11:12], v[0:3]
	s_endpgm
	.section	.rodata,"a",@progbits
	.p2align	6, 0x0
	.amdhsa_kernel _ZN9rocsolver6v33100L18getri_kernel_smallILi27E19rocblas_complex_numIdEPKPS3_EEvT1_iilPiilS8_bb
		.amdhsa_group_segment_fixed_size 872
		.amdhsa_private_segment_fixed_size 464
		.amdhsa_kernarg_size 60
		.amdhsa_user_sgpr_count 6
		.amdhsa_user_sgpr_private_segment_buffer 1
		.amdhsa_user_sgpr_dispatch_ptr 0
		.amdhsa_user_sgpr_queue_ptr 0
		.amdhsa_user_sgpr_kernarg_segment_ptr 1
		.amdhsa_user_sgpr_dispatch_id 0
		.amdhsa_user_sgpr_flat_scratch_init 0
		.amdhsa_user_sgpr_private_segment_size 0
		.amdhsa_wavefront_size32 1
		.amdhsa_uses_dynamic_stack 0
		.amdhsa_system_sgpr_private_segment_wavefront_offset 1
		.amdhsa_system_sgpr_workgroup_id_x 1
		.amdhsa_system_sgpr_workgroup_id_y 0
		.amdhsa_system_sgpr_workgroup_id_z 0
		.amdhsa_system_sgpr_workgroup_info 0
		.amdhsa_system_vgpr_workitem_id 0
		.amdhsa_next_free_vgpr 148
		.amdhsa_next_free_sgpr 51
		.amdhsa_reserve_vcc 1
		.amdhsa_reserve_flat_scratch 0
		.amdhsa_float_round_mode_32 0
		.amdhsa_float_round_mode_16_64 0
		.amdhsa_float_denorm_mode_32 3
		.amdhsa_float_denorm_mode_16_64 3
		.amdhsa_dx10_clamp 1
		.amdhsa_ieee_mode 1
		.amdhsa_fp16_overflow 0
		.amdhsa_workgroup_processor_mode 1
		.amdhsa_memory_ordered 1
		.amdhsa_forward_progress 1
		.amdhsa_shared_vgpr_count 0
		.amdhsa_exception_fp_ieee_invalid_op 0
		.amdhsa_exception_fp_denorm_src 0
		.amdhsa_exception_fp_ieee_div_zero 0
		.amdhsa_exception_fp_ieee_overflow 0
		.amdhsa_exception_fp_ieee_underflow 0
		.amdhsa_exception_fp_ieee_inexact 0
		.amdhsa_exception_int_div_zero 0
	.end_amdhsa_kernel
	.section	.text._ZN9rocsolver6v33100L18getri_kernel_smallILi27E19rocblas_complex_numIdEPKPS3_EEvT1_iilPiilS8_bb,"axG",@progbits,_ZN9rocsolver6v33100L18getri_kernel_smallILi27E19rocblas_complex_numIdEPKPS3_EEvT1_iilPiilS8_bb,comdat
.Lfunc_end90:
	.size	_ZN9rocsolver6v33100L18getri_kernel_smallILi27E19rocblas_complex_numIdEPKPS3_EEvT1_iilPiilS8_bb, .Lfunc_end90-_ZN9rocsolver6v33100L18getri_kernel_smallILi27E19rocblas_complex_numIdEPKPS3_EEvT1_iilPiilS8_bb
                                        ; -- End function
	.set _ZN9rocsolver6v33100L18getri_kernel_smallILi27E19rocblas_complex_numIdEPKPS3_EEvT1_iilPiilS8_bb.num_vgpr, 148
	.set _ZN9rocsolver6v33100L18getri_kernel_smallILi27E19rocblas_complex_numIdEPKPS3_EEvT1_iilPiilS8_bb.num_agpr, 0
	.set _ZN9rocsolver6v33100L18getri_kernel_smallILi27E19rocblas_complex_numIdEPKPS3_EEvT1_iilPiilS8_bb.numbered_sgpr, 51
	.set _ZN9rocsolver6v33100L18getri_kernel_smallILi27E19rocblas_complex_numIdEPKPS3_EEvT1_iilPiilS8_bb.num_named_barrier, 0
	.set _ZN9rocsolver6v33100L18getri_kernel_smallILi27E19rocblas_complex_numIdEPKPS3_EEvT1_iilPiilS8_bb.private_seg_size, 464
	.set _ZN9rocsolver6v33100L18getri_kernel_smallILi27E19rocblas_complex_numIdEPKPS3_EEvT1_iilPiilS8_bb.uses_vcc, 1
	.set _ZN9rocsolver6v33100L18getri_kernel_smallILi27E19rocblas_complex_numIdEPKPS3_EEvT1_iilPiilS8_bb.uses_flat_scratch, 0
	.set _ZN9rocsolver6v33100L18getri_kernel_smallILi27E19rocblas_complex_numIdEPKPS3_EEvT1_iilPiilS8_bb.has_dyn_sized_stack, 0
	.set _ZN9rocsolver6v33100L18getri_kernel_smallILi27E19rocblas_complex_numIdEPKPS3_EEvT1_iilPiilS8_bb.has_recursion, 0
	.set _ZN9rocsolver6v33100L18getri_kernel_smallILi27E19rocblas_complex_numIdEPKPS3_EEvT1_iilPiilS8_bb.has_indirect_call, 0
	.section	.AMDGPU.csdata,"",@progbits
; Kernel info:
; codeLenInByte = 59544
; TotalNumSgprs: 53
; NumVgprs: 148
; ScratchSize: 464
; MemoryBound: 0
; FloatMode: 240
; IeeeMode: 1
; LDSByteSize: 872 bytes/workgroup (compile time only)
; SGPRBlocks: 0
; VGPRBlocks: 18
; NumSGPRsForWavesPerEU: 53
; NumVGPRsForWavesPerEU: 148
; Occupancy: 6
; WaveLimiterHint : 1
; COMPUTE_PGM_RSRC2:SCRATCH_EN: 1
; COMPUTE_PGM_RSRC2:USER_SGPR: 6
; COMPUTE_PGM_RSRC2:TRAP_HANDLER: 0
; COMPUTE_PGM_RSRC2:TGID_X_EN: 1
; COMPUTE_PGM_RSRC2:TGID_Y_EN: 0
; COMPUTE_PGM_RSRC2:TGID_Z_EN: 0
; COMPUTE_PGM_RSRC2:TIDIG_COMP_CNT: 0
	.section	.text._ZN9rocsolver6v33100L18getri_kernel_smallILi28E19rocblas_complex_numIdEPKPS3_EEvT1_iilPiilS8_bb,"axG",@progbits,_ZN9rocsolver6v33100L18getri_kernel_smallILi28E19rocblas_complex_numIdEPKPS3_EEvT1_iilPiilS8_bb,comdat
	.globl	_ZN9rocsolver6v33100L18getri_kernel_smallILi28E19rocblas_complex_numIdEPKPS3_EEvT1_iilPiilS8_bb ; -- Begin function _ZN9rocsolver6v33100L18getri_kernel_smallILi28E19rocblas_complex_numIdEPKPS3_EEvT1_iilPiilS8_bb
	.p2align	8
	.type	_ZN9rocsolver6v33100L18getri_kernel_smallILi28E19rocblas_complex_numIdEPKPS3_EEvT1_iilPiilS8_bb,@function
_ZN9rocsolver6v33100L18getri_kernel_smallILi28E19rocblas_complex_numIdEPKPS3_EEvT1_iilPiilS8_bb: ; @_ZN9rocsolver6v33100L18getri_kernel_smallILi28E19rocblas_complex_numIdEPKPS3_EEvT1_iilPiilS8_bb
; %bb.0:
	s_add_u32 s0, s0, s7
	s_addc_u32 s1, s1, 0
	s_mov_b32 s7, exec_lo
	v_cmpx_gt_u32_e32 28, v0
	s_cbranch_execz .LBB91_126
; %bb.1:
	s_clause 0x2
	s_load_dword s16, s[4:5], 0x38
	s_load_dwordx2 s[12:13], s[4:5], 0x0
	s_load_dwordx4 s[8:11], s[4:5], 0x28
	s_waitcnt lgkmcnt(0)
	s_bitcmp1_b32 s16, 8
	s_cselect_b32 s39, -1, 0
	s_ashr_i32 s7, s6, 31
	s_lshl_b64 s[14:15], s[6:7], 3
	s_add_u32 s12, s12, s14
	s_addc_u32 s13, s13, s15
	s_load_dwordx2 s[14:15], s[12:13], 0x0
	s_bfe_u32 s12, s16, 0x10008
	s_cmp_eq_u32 s12, 0
                                        ; implicit-def: $sgpr12_sgpr13
	s_cbranch_scc1 .LBB91_3
; %bb.2:
	s_clause 0x1
	s_load_dword s12, s[4:5], 0x20
	s_load_dwordx2 s[16:17], s[4:5], 0x18
	s_mul_i32 s13, s8, s7
	s_mul_hi_u32 s18, s8, s6
	s_mul_i32 s9, s9, s6
	s_add_i32 s13, s18, s13
	s_mul_i32 s8, s8, s6
	s_add_i32 s9, s13, s9
	s_lshl_b64 s[8:9], s[8:9], 2
	s_waitcnt lgkmcnt(0)
	s_ashr_i32 s13, s12, 31
	s_add_u32 s16, s16, s8
	s_addc_u32 s17, s17, s9
	s_lshl_b64 s[8:9], s[12:13], 2
	s_add_u32 s12, s16, s8
	s_addc_u32 s13, s17, s9
.LBB91_3:
	s_clause 0x1
	s_load_dwordx2 s[8:9], s[4:5], 0x8
	s_load_dword s41, s[4:5], 0x38
	v_lshlrev_b32_e32 v67, 4, v0
	s_movk_i32 s16, 0xa0
	s_movk_i32 s17, 0xb0
	;; [unrolled: 1-line block ×17, first 2 shown]
	s_waitcnt lgkmcnt(0)
	s_ashr_i32 s5, s8, 31
	s_mov_b32 s4, s8
	v_add3_u32 v7, s9, s9, v0
	s_lshl_b64 s[4:5], s[4:5], 4
	s_movk_i32 s52, 0x1b0
	s_add_u32 s8, s14, s4
	s_addc_u32 s14, s15, s5
	v_add_co_u32 v5, s4, s8, v67
	v_add_co_ci_u32_e64 v6, null, s14, 0, s4
	s_mov_b32 s4, s9
	s_ashr_i32 s5, s9, 31
	v_ashrrev_i32_e32 v8, 31, v7
	flat_load_dwordx4 v[1:4], v[5:6]
	s_lshl_b64 s[4:5], s[4:5], 4
	s_movk_i32 s15, 0x90
	v_add_co_u32 v57, vcc_lo, v5, s4
	v_add_co_ci_u32_e64 v58, null, s5, v6, vcc_lo
	v_lshlrev_b64 v[8:9], 4, v[7:8]
	v_add_nc_u32_e32 v7, s9, v7
	s_movk_i32 s4, 0x50
	s_add_i32 s30, s15, 16
	s_add_i32 s35, s4, 16
	;; [unrolled: 1-line block ×3, first 2 shown]
	v_add_co_u32 v55, vcc_lo, s8, v8
	v_add_co_ci_u32_e64 v56, null, s14, v9, vcc_lo
	v_ashrrev_i32_e32 v8, 31, v7
	s_add_i32 s28, s17, 16
	s_add_i32 s27, s18, 16
	;; [unrolled: 1-line block ×4, first 2 shown]
	v_lshlrev_b64 v[8:9], 4, v[7:8]
	v_add_nc_u32_e32 v7, s9, v7
	s_add_i32 s24, s21, 16
	s_add_i32 s23, s22, 16
	;; [unrolled: 1-line block ×4, first 2 shown]
	v_add_co_u32 v53, vcc_lo, s8, v8
	v_add_co_ci_u32_e64 v54, null, s14, v9, vcc_lo
	v_ashrrev_i32_e32 v8, 31, v7
	s_add_i32 s20, s44, 16
	s_add_i32 s19, s45, 16
	;; [unrolled: 1-line block ×4, first 2 shown]
	v_lshlrev_b64 v[8:9], 4, v[7:8]
	v_add_nc_u32_e32 v7, s9, v7
	s_add_i32 s16, s48, 16
	s_add_i32 s15, s49, 16
	s_mov_b32 s5, -1
	s_mov_b32 s40, 32
	v_add_co_u32 v51, vcc_lo, s8, v8
	v_add_co_ci_u32_e64 v52, null, s14, v9, vcc_lo
	v_ashrrev_i32_e32 v8, 31, v7
	s_mov_b32 s38, 48
	s_mov_b32 s37, 64
	s_movk_i32 s36, 0x50
	s_waitcnt vmcnt(0) lgkmcnt(0)
	buffer_store_dword v4, off, s[0:3], 0 offset:28
	buffer_store_dword v3, off, s[0:3], 0 offset:24
	buffer_store_dword v2, off, s[0:3], 0 offset:20
	buffer_store_dword v1, off, s[0:3], 0 offset:16
	flat_load_dwordx4 v[1:4], v[57:58]
	v_lshlrev_b64 v[8:9], 4, v[7:8]
	v_add_nc_u32_e32 v7, s9, v7
	s_waitcnt vmcnt(0) lgkmcnt(0)
	buffer_store_dword v4, off, s[0:3], 0 offset:44
	buffer_store_dword v3, off, s[0:3], 0 offset:40
	buffer_store_dword v2, off, s[0:3], 0 offset:36
	buffer_store_dword v1, off, s[0:3], 0 offset:32
	flat_load_dwordx4 v[1:4], v[55:56]
	v_add_co_u32 v49, vcc_lo, s8, v8
	v_add_co_ci_u32_e64 v50, null, s14, v9, vcc_lo
	v_ashrrev_i32_e32 v8, 31, v7
	s_waitcnt vmcnt(0) lgkmcnt(0)
	buffer_store_dword v4, off, s[0:3], 0 offset:60
	buffer_store_dword v3, off, s[0:3], 0 offset:56
	buffer_store_dword v2, off, s[0:3], 0 offset:52
	buffer_store_dword v1, off, s[0:3], 0 offset:48
	flat_load_dwordx4 v[1:4], v[53:54]
	v_lshlrev_b64 v[8:9], 4, v[7:8]
	v_add_nc_u32_e32 v7, s9, v7
	s_waitcnt vmcnt(0) lgkmcnt(0)
	buffer_store_dword v4, off, s[0:3], 0 offset:76
	buffer_store_dword v3, off, s[0:3], 0 offset:72
	buffer_store_dword v2, off, s[0:3], 0 offset:68
	buffer_store_dword v1, off, s[0:3], 0 offset:64
	flat_load_dwordx4 v[1:4], v[51:52]
	v_add_co_u32 v47, vcc_lo, s8, v8
	v_add_co_ci_u32_e64 v48, null, s14, v9, vcc_lo
	v_ashrrev_i32_e32 v8, 31, v7
	s_waitcnt vmcnt(0) lgkmcnt(0)
	buffer_store_dword v4, off, s[0:3], 0 offset:92
	buffer_store_dword v3, off, s[0:3], 0 offset:88
	buffer_store_dword v2, off, s[0:3], 0 offset:84
	buffer_store_dword v1, off, s[0:3], 0 offset:80
	flat_load_dwordx4 v[1:4], v[49:50]
	v_lshlrev_b64 v[8:9], 4, v[7:8]
	v_add_nc_u32_e32 v7, s9, v7
	s_waitcnt vmcnt(0) lgkmcnt(0)
	buffer_store_dword v4, off, s[0:3], 0 offset:108
	buffer_store_dword v3, off, s[0:3], 0 offset:104
	buffer_store_dword v2, off, s[0:3], 0 offset:100
	buffer_store_dword v1, off, s[0:3], 0 offset:96
	flat_load_dwordx4 v[1:4], v[47:48]
	v_add_co_u32 v45, vcc_lo, s8, v8
	v_add_co_ci_u32_e64 v46, null, s14, v9, vcc_lo
	v_ashrrev_i32_e32 v8, 31, v7
	s_waitcnt vmcnt(0) lgkmcnt(0)
	buffer_store_dword v4, off, s[0:3], 0 offset:124
	buffer_store_dword v3, off, s[0:3], 0 offset:120
	;; [unrolled: 1-line block ×4, first 2 shown]
	flat_load_dwordx4 v[1:4], v[45:46]
	v_lshlrev_b64 v[8:9], 4, v[7:8]
	v_add_nc_u32_e32 v7, s9, v7
	s_waitcnt vmcnt(0) lgkmcnt(0)
	buffer_store_dword v4, off, s[0:3], 0 offset:140
	buffer_store_dword v3, off, s[0:3], 0 offset:136
	;; [unrolled: 1-line block ×4, first 2 shown]
	v_add_co_u32 v43, vcc_lo, s8, v8
	v_add_co_ci_u32_e64 v44, null, s14, v9, vcc_lo
	v_ashrrev_i32_e32 v8, 31, v7
	flat_load_dwordx4 v[1:4], v[43:44]
	s_waitcnt vmcnt(0) lgkmcnt(0)
	buffer_store_dword v4, off, s[0:3], 0 offset:156
	buffer_store_dword v3, off, s[0:3], 0 offset:152
	buffer_store_dword v2, off, s[0:3], 0 offset:148
	buffer_store_dword v1, off, s[0:3], 0 offset:144
	v_lshlrev_b64 v[8:9], 4, v[7:8]
	v_add_nc_u32_e32 v7, s9, v7
	v_add_co_u32 v41, vcc_lo, s8, v8
	v_add_co_ci_u32_e64 v42, null, s14, v9, vcc_lo
	v_ashrrev_i32_e32 v8, 31, v7
	flat_load_dwordx4 v[1:4], v[41:42]
	s_waitcnt vmcnt(0) lgkmcnt(0)
	buffer_store_dword v4, off, s[0:3], 0 offset:172
	buffer_store_dword v3, off, s[0:3], 0 offset:168
	buffer_store_dword v2, off, s[0:3], 0 offset:164
	buffer_store_dword v1, off, s[0:3], 0 offset:160
	v_lshlrev_b64 v[8:9], 4, v[7:8]
	v_add_nc_u32_e32 v7, s9, v7
	;; [unrolled: 11-line block ×15, first 2 shown]
	v_add_co_u32 v11, vcc_lo, s8, v8
	v_add_co_ci_u32_e64 v12, null, s14, v9, vcc_lo
	v_ashrrev_i32_e32 v8, 31, v7
	v_add_nc_u32_e32 v35, s9, v7
	flat_load_dwordx4 v[1:4], v[11:12]
	s_waitcnt vmcnt(0) lgkmcnt(0)
	buffer_store_dword v4, off, s[0:3], 0 offset:396
	buffer_store_dword v3, off, s[0:3], 0 offset:392
	;; [unrolled: 1-line block ×4, first 2 shown]
	v_lshlrev_b64 v[9:10], 4, v[7:8]
	v_ashrrev_i32_e32 v36, 31, v35
	v_add_nc_u32_e32 v59, s9, v35
	v_add_co_u32 v9, vcc_lo, s8, v9
	v_add_co_ci_u32_e64 v10, null, s14, v10, vcc_lo
	v_lshlrev_b64 v[7:8], 4, v[35:36]
	v_ashrrev_i32_e32 v60, 31, v59
	flat_load_dwordx4 v[1:4], v[9:10]
	s_waitcnt vmcnt(0) lgkmcnt(0)
	buffer_store_dword v4, off, s[0:3], 0 offset:412
	buffer_store_dword v3, off, s[0:3], 0 offset:408
	;; [unrolled: 1-line block ×4, first 2 shown]
	v_add_co_u32 v7, vcc_lo, s8, v7
	v_add_co_ci_u32_e64 v8, null, s14, v8, vcc_lo
	v_lshlrev_b64 v[35:36], 4, v[59:60]
	v_add_nc_u32_e32 v59, s9, v59
	s_movk_i32 s9, 0x70
	flat_load_dwordx4 v[1:4], v[7:8]
	s_add_i32 s33, s9, 16
	s_add_i32 s9, s51, 16
	v_add_co_u32 v35, vcc_lo, s8, v35
	v_add_co_ci_u32_e64 v36, null, s14, v36, vcc_lo
	v_ashrrev_i32_e32 v60, 31, v59
	s_waitcnt vmcnt(0) lgkmcnt(0)
	buffer_store_dword v4, off, s[0:3], 0 offset:428
	buffer_store_dword v3, off, s[0:3], 0 offset:424
	;; [unrolled: 1-line block ×4, first 2 shown]
	flat_load_dwordx4 v[1:4], v[35:36]
	v_lshlrev_b64 v[59:60], 4, v[59:60]
	s_waitcnt vmcnt(0) lgkmcnt(0)
	buffer_store_dword v4, off, s[0:3], 0 offset:444
	buffer_store_dword v3, off, s[0:3], 0 offset:440
	;; [unrolled: 1-line block ×4, first 2 shown]
	v_add_co_u32 v59, vcc_lo, s8, v59
	v_add_co_ci_u32_e64 v60, null, s14, v60, vcc_lo
	s_movk_i32 s8, 0x60
	s_movk_i32 s14, 0x80
	s_add_i32 s34, s8, 16
	flat_load_dwordx4 v[1:4], v[59:60]
	s_add_i32 s31, s14, 16
	s_add_i32 s14, s50, 16
	;; [unrolled: 1-line block ×3, first 2 shown]
	s_bitcmp0_b32 s41, 0
	s_waitcnt vmcnt(0) lgkmcnt(0)
	buffer_store_dword v4, off, s[0:3], 0 offset:460
	buffer_store_dword v3, off, s[0:3], 0 offset:456
	;; [unrolled: 1-line block ×4, first 2 shown]
	s_cbranch_scc1 .LBB91_124
; %bb.4:
	v_cmp_eq_u32_e64 s4, 0, v0
	s_and_saveexec_b32 s5, s4
; %bb.5:
	v_mov_b32_e32 v1, 0
	ds_write_b32 v1, v1 offset:896
; %bb.6:
	s_or_b32 exec_lo, exec_lo, s5
	v_lshl_add_u32 v68, v0, 4, 16
	s_waitcnt lgkmcnt(0)
	s_waitcnt_vscnt null, 0x0
	s_barrier
	buffer_gl0_inv
	s_clause 0x3
	buffer_load_dword v1, v68, s[0:3], 0 offen
	buffer_load_dword v2, v68, s[0:3], 0 offen offset:4
	buffer_load_dword v3, v68, s[0:3], 0 offen offset:8
	;; [unrolled: 1-line block ×3, first 2 shown]
	s_waitcnt vmcnt(2)
	v_cmp_eq_f64_e32 vcc_lo, 0, v[1:2]
	s_waitcnt vmcnt(0)
	v_cmp_eq_f64_e64 s5, 0, v[3:4]
	s_and_b32 s5, vcc_lo, s5
	s_and_saveexec_b32 s41, s5
	s_cbranch_execz .LBB91_10
; %bb.7:
	v_mov_b32_e32 v1, 0
	s_mov_b32 s42, 0
	ds_read_b32 v2, v1 offset:896
	s_waitcnt lgkmcnt(0)
	v_readfirstlane_b32 s5, v2
	v_add_nc_u32_e32 v2, 1, v0
	s_cmp_eq_u32 s5, 0
	v_cmp_gt_i32_e32 vcc_lo, s5, v2
	s_cselect_b32 s43, -1, 0
	s_or_b32 s43, s43, vcc_lo
	s_and_b32 exec_lo, exec_lo, s43
	s_cbranch_execz .LBB91_10
; %bb.8:
	v_mov_b32_e32 v3, s5
.LBB91_9:                               ; =>This Inner Loop Header: Depth=1
	ds_cmpst_rtn_b32 v3, v1, v3, v2 offset:896
	s_waitcnt lgkmcnt(0)
	v_cmp_ne_u32_e32 vcc_lo, 0, v3
	v_cmp_le_i32_e64 s5, v3, v2
	s_and_b32 s5, vcc_lo, s5
	s_and_b32 s5, exec_lo, s5
	s_or_b32 s42, s5, s42
	s_andn2_b32 exec_lo, exec_lo, s42
	s_cbranch_execnz .LBB91_9
.LBB91_10:
	s_or_b32 exec_lo, exec_lo, s41
	v_mov_b32_e32 v1, 0
	s_barrier
	buffer_gl0_inv
	ds_read_b32 v2, v1 offset:896
	s_and_saveexec_b32 s5, s4
	s_cbranch_execz .LBB91_12
; %bb.11:
	s_lshl_b64 s[42:43], s[6:7], 2
	s_add_u32 s42, s10, s42
	s_addc_u32 s43, s11, s43
	s_waitcnt lgkmcnt(0)
	global_store_dword v1, v2, s[42:43]
.LBB91_12:
	s_or_b32 exec_lo, exec_lo, s5
	s_waitcnt lgkmcnt(0)
	v_cmp_ne_u32_e32 vcc_lo, 0, v2
	s_mov_b32 s5, 0
	s_cbranch_vccnz .LBB91_124
; %bb.13:
	s_clause 0x3
	buffer_load_dword v63, v68, s[0:3], 0 offen
	buffer_load_dword v64, v68, s[0:3], 0 offen offset:4
	buffer_load_dword v65, v68, s[0:3], 0 offen offset:8
	;; [unrolled: 1-line block ×3, first 2 shown]
                                        ; implicit-def: $vgpr61_vgpr62
                                        ; implicit-def: $vgpr3_vgpr4
	s_waitcnt vmcnt(0)
	v_cmp_ngt_f64_e64 s5, |v[63:64]|, |v[65:66]|
	s_and_saveexec_b32 s41, s5
	s_xor_b32 s5, exec_lo, s41
	s_cbranch_execz .LBB91_15
; %bb.14:
	v_div_scale_f64 v[1:2], null, v[65:66], v[65:66], v[63:64]
	v_div_scale_f64 v[69:70], vcc_lo, v[63:64], v[65:66], v[63:64]
	v_rcp_f64_e32 v[3:4], v[1:2]
	v_fma_f64 v[61:62], -v[1:2], v[3:4], 1.0
	v_fma_f64 v[3:4], v[3:4], v[61:62], v[3:4]
	v_fma_f64 v[61:62], -v[1:2], v[3:4], 1.0
	v_fma_f64 v[3:4], v[3:4], v[61:62], v[3:4]
	v_mul_f64 v[61:62], v[69:70], v[3:4]
	v_fma_f64 v[1:2], -v[1:2], v[61:62], v[69:70]
	v_div_fmas_f64 v[1:2], v[1:2], v[3:4], v[61:62]
	v_div_fixup_f64 v[1:2], v[1:2], v[65:66], v[63:64]
	v_fma_f64 v[3:4], v[63:64], v[1:2], v[65:66]
	v_div_scale_f64 v[61:62], null, v[3:4], v[3:4], 1.0
	v_div_scale_f64 v[69:70], vcc_lo, 1.0, v[3:4], 1.0
	v_rcp_f64_e32 v[63:64], v[61:62]
	v_fma_f64 v[65:66], -v[61:62], v[63:64], 1.0
	v_fma_f64 v[63:64], v[63:64], v[65:66], v[63:64]
	v_fma_f64 v[65:66], -v[61:62], v[63:64], 1.0
	v_fma_f64 v[63:64], v[63:64], v[65:66], v[63:64]
	v_mul_f64 v[65:66], v[69:70], v[63:64]
	v_fma_f64 v[61:62], -v[61:62], v[65:66], v[69:70]
	v_div_fmas_f64 v[61:62], v[61:62], v[63:64], v[65:66]
                                        ; implicit-def: $vgpr63_vgpr64
                                        ; implicit-def: $vgpr65_vgpr66
	v_div_fixup_f64 v[3:4], v[61:62], v[3:4], 1.0
	v_mul_f64 v[61:62], v[1:2], v[3:4]
	v_xor_b32_e32 v4, 0x80000000, v4
	v_xor_b32_e32 v2, 0x80000000, v62
	v_mov_b32_e32 v1, v61
.LBB91_15:
	s_andn2_saveexec_b32 s5, s5
	s_cbranch_execz .LBB91_17
; %bb.16:
	v_div_scale_f64 v[1:2], null, v[63:64], v[63:64], v[65:66]
	v_div_scale_f64 v[69:70], vcc_lo, v[65:66], v[63:64], v[65:66]
	v_rcp_f64_e32 v[3:4], v[1:2]
	v_fma_f64 v[61:62], -v[1:2], v[3:4], 1.0
	v_fma_f64 v[3:4], v[3:4], v[61:62], v[3:4]
	v_fma_f64 v[61:62], -v[1:2], v[3:4], 1.0
	v_fma_f64 v[3:4], v[3:4], v[61:62], v[3:4]
	v_mul_f64 v[61:62], v[69:70], v[3:4]
	v_fma_f64 v[1:2], -v[1:2], v[61:62], v[69:70]
	v_div_fmas_f64 v[1:2], v[1:2], v[3:4], v[61:62]
	v_div_fixup_f64 v[1:2], v[1:2], v[63:64], v[65:66]
	v_fma_f64 v[3:4], v[65:66], v[1:2], v[63:64]
	v_div_scale_f64 v[61:62], null, v[3:4], v[3:4], 1.0
	v_rcp_f64_e32 v[63:64], v[61:62]
	v_fma_f64 v[65:66], -v[61:62], v[63:64], 1.0
	v_fma_f64 v[63:64], v[63:64], v[65:66], v[63:64]
	v_fma_f64 v[65:66], -v[61:62], v[63:64], 1.0
	v_fma_f64 v[63:64], v[63:64], v[65:66], v[63:64]
	v_div_scale_f64 v[65:66], vcc_lo, 1.0, v[3:4], 1.0
	v_mul_f64 v[69:70], v[65:66], v[63:64]
	v_fma_f64 v[61:62], -v[61:62], v[69:70], v[65:66]
	v_div_fmas_f64 v[61:62], v[61:62], v[63:64], v[69:70]
	v_div_fixup_f64 v[61:62], v[61:62], v[3:4], 1.0
	v_mul_f64 v[3:4], v[1:2], -v[61:62]
	v_xor_b32_e32 v2, 0x80000000, v62
	v_mov_b32_e32 v1, v61
.LBB91_17:
	s_or_b32 exec_lo, exec_lo, s5
	v_mov_b32_e32 v66, s40
	buffer_store_dword v62, v68, s[0:3], 0 offen offset:4
	buffer_store_dword v61, v68, s[0:3], 0 offen
	buffer_store_dword v4, v68, s[0:3], 0 offen offset:12
	buffer_store_dword v3, v68, s[0:3], 0 offen offset:8
	v_xor_b32_e32 v4, 0x80000000, v4
	v_add_nc_u32_e32 v61, 0x1c0, v67
	s_clause 0x3
	buffer_load_dword v65, v66, s[0:3], 0 offen offset:12
	buffer_load_dword v64, v66, s[0:3], 0 offen offset:8
	;; [unrolled: 1-line block ×3, first 2 shown]
	buffer_load_dword v62, v66, s[0:3], 0 offen
	ds_write_b128 v67, v[1:4]
	s_waitcnt vmcnt(0)
	ds_write_b128 v67, v[62:65] offset:448
	s_waitcnt lgkmcnt(0)
	s_waitcnt_vscnt null, 0x0
	s_barrier
	buffer_gl0_inv
	s_and_saveexec_b32 s5, s4
	s_cbranch_execz .LBB91_19
; %bb.18:
	s_clause 0x3
	buffer_load_dword v69, v68, s[0:3], 0 offen offset:8
	buffer_load_dword v70, v68, s[0:3], 0 offen offset:12
	buffer_load_dword v71, v68, s[0:3], 0 offen
	buffer_load_dword v72, v68, s[0:3], 0 offen offset:4
	ds_read_b128 v[1:4], v61
	v_mov_b32_e32 v62, 0
	ds_read_b128 v[62:65], v62 offset:16
	s_waitcnt vmcnt(2) lgkmcnt(1)
	v_mul_f64 v[73:74], v[1:2], v[69:70]
	v_mul_f64 v[69:70], v[3:4], v[69:70]
	s_waitcnt vmcnt(0)
	v_fma_f64 v[3:4], v[3:4], v[71:72], v[73:74]
	v_fma_f64 v[1:2], v[1:2], v[71:72], -v[69:70]
	v_add_f64 v[3:4], v[3:4], 0
	v_add_f64 v[1:2], v[1:2], 0
	s_waitcnt lgkmcnt(0)
	v_mul_f64 v[69:70], v[3:4], v[64:65]
	v_mul_f64 v[64:65], v[1:2], v[64:65]
	v_fma_f64 v[1:2], v[1:2], v[62:63], -v[69:70]
	v_fma_f64 v[3:4], v[3:4], v[62:63], v[64:65]
	buffer_store_dword v1, off, s[0:3], 0 offset:32
	buffer_store_dword v2, off, s[0:3], 0 offset:36
	;; [unrolled: 1-line block ×4, first 2 shown]
.LBB91_19:
	s_or_b32 exec_lo, exec_lo, s5
	v_mov_b32_e32 v4, s38
	s_waitcnt_vscnt null, 0x0
	s_barrier
	buffer_gl0_inv
	s_mov_b32 s5, exec_lo
	s_clause 0x3
	buffer_load_dword v1, v4, s[0:3], 0 offen
	buffer_load_dword v2, v4, s[0:3], 0 offen offset:4
	buffer_load_dword v3, v4, s[0:3], 0 offen offset:8
	;; [unrolled: 1-line block ×3, first 2 shown]
	s_waitcnt vmcnt(0)
	ds_write_b128 v61, v[1:4]
	s_waitcnt lgkmcnt(0)
	s_barrier
	buffer_gl0_inv
	v_cmpx_gt_u32_e32 2, v0
	s_cbranch_execz .LBB91_23
; %bb.20:
	s_clause 0x3
	buffer_load_dword v62, v68, s[0:3], 0 offen offset:8
	buffer_load_dword v63, v68, s[0:3], 0 offen offset:12
	buffer_load_dword v64, v68, s[0:3], 0 offen
	buffer_load_dword v65, v68, s[0:3], 0 offen offset:4
	ds_read_b128 v[1:4], v61
	s_waitcnt vmcnt(2) lgkmcnt(0)
	v_mul_f64 v[68:69], v[3:4], v[62:63]
	v_mul_f64 v[62:63], v[1:2], v[62:63]
	s_waitcnt vmcnt(0)
	v_fma_f64 v[1:2], v[1:2], v[64:65], -v[68:69]
	v_fma_f64 v[3:4], v[3:4], v[64:65], v[62:63]
	v_add_f64 v[1:2], v[1:2], 0
	v_add_f64 v[3:4], v[3:4], 0
	s_and_saveexec_b32 s41, s4
	s_cbranch_execz .LBB91_22
; %bb.21:
	s_clause 0x3
	buffer_load_dword v68, off, s[0:3], 0 offset:40
	buffer_load_dword v69, off, s[0:3], 0 offset:44
	;; [unrolled: 1-line block ×4, first 2 shown]
	v_mov_b32_e32 v62, 0
	ds_read_b128 v[62:65], v62 offset:464
	s_waitcnt vmcnt(2) lgkmcnt(0)
	v_mul_f64 v[72:73], v[62:63], v[68:69]
	v_mul_f64 v[68:69], v[64:65], v[68:69]
	s_waitcnt vmcnt(0)
	v_fma_f64 v[64:65], v[64:65], v[70:71], v[72:73]
	v_fma_f64 v[62:63], v[62:63], v[70:71], -v[68:69]
	v_add_f64 v[3:4], v[3:4], v[64:65]
	v_add_f64 v[1:2], v[1:2], v[62:63]
.LBB91_22:
	s_or_b32 exec_lo, exec_lo, s41
	v_mov_b32_e32 v62, 0
	ds_read_b128 v[62:65], v62 offset:32
	s_waitcnt lgkmcnt(0)
	v_mul_f64 v[68:69], v[3:4], v[64:65]
	v_mul_f64 v[64:65], v[1:2], v[64:65]
	v_fma_f64 v[1:2], v[1:2], v[62:63], -v[68:69]
	v_fma_f64 v[3:4], v[3:4], v[62:63], v[64:65]
	buffer_store_dword v2, off, s[0:3], 0 offset:52
	buffer_store_dword v1, off, s[0:3], 0 offset:48
	;; [unrolled: 1-line block ×4, first 2 shown]
.LBB91_23:
	s_or_b32 exec_lo, exec_lo, s5
	v_mov_b32_e32 v4, s37
	s_waitcnt_vscnt null, 0x0
	s_barrier
	buffer_gl0_inv
	v_add_nc_u32_e32 v62, -1, v0
	s_clause 0x3
	buffer_load_dword v1, v4, s[0:3], 0 offen
	buffer_load_dword v2, v4, s[0:3], 0 offen offset:4
	buffer_load_dword v3, v4, s[0:3], 0 offen offset:8
	;; [unrolled: 1-line block ×3, first 2 shown]
	s_mov_b32 s4, exec_lo
	s_waitcnt vmcnt(0)
	ds_write_b128 v61, v[1:4]
	s_waitcnt lgkmcnt(0)
	s_barrier
	buffer_gl0_inv
	v_cmpx_gt_u32_e32 3, v0
	s_cbranch_execz .LBB91_27
; %bb.24:
	v_mov_b32_e32 v1, 0
	v_mov_b32_e32 v3, 0
	v_add_nc_u32_e32 v63, -1, v0
	v_add_nc_u32_e32 v64, 0x1c0, v67
	v_mov_b32_e32 v2, 0
	v_mov_b32_e32 v4, 0
	v_add_nc_u32_e32 v65, 16, v67
	s_mov_b32 s5, 0
	.p2align	6
.LBB91_25:                              ; =>This Inner Loop Header: Depth=1
	s_clause 0x3
	buffer_load_dword v72, v65, s[0:3], 0 offen offset:8
	buffer_load_dword v73, v65, s[0:3], 0 offen offset:12
	buffer_load_dword v74, v65, s[0:3], 0 offen
	buffer_load_dword v75, v65, s[0:3], 0 offen offset:4
	ds_read_b128 v[68:71], v64
	v_add_nc_u32_e32 v63, 1, v63
	v_add_nc_u32_e32 v64, 16, v64
	;; [unrolled: 1-line block ×3, first 2 shown]
	v_cmp_lt_u32_e32 vcc_lo, 1, v63
	s_or_b32 s5, vcc_lo, s5
	s_waitcnt vmcnt(2) lgkmcnt(0)
	v_mul_f64 v[76:77], v[70:71], v[72:73]
	v_mul_f64 v[72:73], v[68:69], v[72:73]
	s_waitcnt vmcnt(0)
	v_fma_f64 v[68:69], v[68:69], v[74:75], -v[76:77]
	v_fma_f64 v[70:71], v[70:71], v[74:75], v[72:73]
	v_add_f64 v[3:4], v[3:4], v[68:69]
	v_add_f64 v[1:2], v[1:2], v[70:71]
	s_andn2_b32 exec_lo, exec_lo, s5
	s_cbranch_execnz .LBB91_25
; %bb.26:
	s_or_b32 exec_lo, exec_lo, s5
	v_mov_b32_e32 v63, 0
	ds_read_b128 v[63:66], v63 offset:48
	s_waitcnt lgkmcnt(0)
	v_mul_f64 v[68:69], v[1:2], v[65:66]
	v_mul_f64 v[65:66], v[3:4], v[65:66]
	v_fma_f64 v[3:4], v[3:4], v[63:64], -v[68:69]
	v_fma_f64 v[1:2], v[1:2], v[63:64], v[65:66]
	buffer_store_dword v4, off, s[0:3], 0 offset:68
	buffer_store_dword v3, off, s[0:3], 0 offset:64
	;; [unrolled: 1-line block ×4, first 2 shown]
.LBB91_27:
	s_or_b32 exec_lo, exec_lo, s4
	v_mov_b32_e32 v4, s36
	s_waitcnt_vscnt null, 0x0
	s_barrier
	buffer_gl0_inv
	s_mov_b32 s4, exec_lo
	s_clause 0x3
	buffer_load_dword v1, v4, s[0:3], 0 offen
	buffer_load_dword v2, v4, s[0:3], 0 offen offset:4
	buffer_load_dword v3, v4, s[0:3], 0 offen offset:8
	;; [unrolled: 1-line block ×3, first 2 shown]
	s_waitcnt vmcnt(0)
	ds_write_b128 v61, v[1:4]
	s_waitcnt lgkmcnt(0)
	s_barrier
	buffer_gl0_inv
	v_cmpx_gt_u32_e32 4, v0
	s_cbranch_execz .LBB91_31
; %bb.28:
	v_mov_b32_e32 v1, 0
	v_mov_b32_e32 v3, 0
	v_add_nc_u32_e32 v63, -1, v0
	v_add_nc_u32_e32 v64, 0x1c0, v67
	v_mov_b32_e32 v2, 0
	v_mov_b32_e32 v4, 0
	v_add_nc_u32_e32 v65, 16, v67
	s_mov_b32 s5, 0
	.p2align	6
.LBB91_29:                              ; =>This Inner Loop Header: Depth=1
	s_clause 0x3
	buffer_load_dword v72, v65, s[0:3], 0 offen offset:8
	buffer_load_dword v73, v65, s[0:3], 0 offen offset:12
	buffer_load_dword v74, v65, s[0:3], 0 offen
	buffer_load_dword v75, v65, s[0:3], 0 offen offset:4
	ds_read_b128 v[68:71], v64
	v_add_nc_u32_e32 v63, 1, v63
	v_add_nc_u32_e32 v64, 16, v64
	;; [unrolled: 1-line block ×3, first 2 shown]
	v_cmp_lt_u32_e32 vcc_lo, 2, v63
	s_or_b32 s5, vcc_lo, s5
	s_waitcnt vmcnt(2) lgkmcnt(0)
	v_mul_f64 v[76:77], v[70:71], v[72:73]
	v_mul_f64 v[72:73], v[68:69], v[72:73]
	s_waitcnt vmcnt(0)
	v_fma_f64 v[68:69], v[68:69], v[74:75], -v[76:77]
	v_fma_f64 v[70:71], v[70:71], v[74:75], v[72:73]
	v_add_f64 v[3:4], v[3:4], v[68:69]
	v_add_f64 v[1:2], v[1:2], v[70:71]
	s_andn2_b32 exec_lo, exec_lo, s5
	s_cbranch_execnz .LBB91_29
; %bb.30:
	s_or_b32 exec_lo, exec_lo, s5
	v_mov_b32_e32 v63, 0
	ds_read_b128 v[63:66], v63 offset:64
	s_waitcnt lgkmcnt(0)
	v_mul_f64 v[68:69], v[1:2], v[65:66]
	v_mul_f64 v[65:66], v[3:4], v[65:66]
	v_fma_f64 v[3:4], v[3:4], v[63:64], -v[68:69]
	v_fma_f64 v[1:2], v[1:2], v[63:64], v[65:66]
	buffer_store_dword v4, off, s[0:3], 0 offset:84
	buffer_store_dword v3, off, s[0:3], 0 offset:80
	;; [unrolled: 1-line block ×4, first 2 shown]
.LBB91_31:
	s_or_b32 exec_lo, exec_lo, s4
	v_mov_b32_e32 v4, s35
	s_waitcnt_vscnt null, 0x0
	s_barrier
	buffer_gl0_inv
	s_mov_b32 s4, exec_lo
	s_clause 0x3
	buffer_load_dword v1, v4, s[0:3], 0 offen
	buffer_load_dword v2, v4, s[0:3], 0 offen offset:4
	buffer_load_dword v3, v4, s[0:3], 0 offen offset:8
	;; [unrolled: 1-line block ×3, first 2 shown]
	s_waitcnt vmcnt(0)
	ds_write_b128 v61, v[1:4]
	s_waitcnt lgkmcnt(0)
	s_barrier
	buffer_gl0_inv
	v_cmpx_gt_u32_e32 5, v0
	s_cbranch_execz .LBB91_35
; %bb.32:
	v_mov_b32_e32 v1, 0
	v_mov_b32_e32 v3, 0
	v_add_nc_u32_e32 v63, -1, v0
	v_add_nc_u32_e32 v64, 0x1c0, v67
	v_mov_b32_e32 v2, 0
	v_mov_b32_e32 v4, 0
	v_add_nc_u32_e32 v65, 16, v67
	s_mov_b32 s5, 0
	.p2align	6
.LBB91_33:                              ; =>This Inner Loop Header: Depth=1
	s_clause 0x3
	buffer_load_dword v72, v65, s[0:3], 0 offen offset:8
	buffer_load_dword v73, v65, s[0:3], 0 offen offset:12
	buffer_load_dword v74, v65, s[0:3], 0 offen
	buffer_load_dword v75, v65, s[0:3], 0 offen offset:4
	ds_read_b128 v[68:71], v64
	v_add_nc_u32_e32 v63, 1, v63
	v_add_nc_u32_e32 v64, 16, v64
	;; [unrolled: 1-line block ×3, first 2 shown]
	v_cmp_lt_u32_e32 vcc_lo, 3, v63
	s_or_b32 s5, vcc_lo, s5
	s_waitcnt vmcnt(2) lgkmcnt(0)
	v_mul_f64 v[76:77], v[70:71], v[72:73]
	v_mul_f64 v[72:73], v[68:69], v[72:73]
	s_waitcnt vmcnt(0)
	v_fma_f64 v[68:69], v[68:69], v[74:75], -v[76:77]
	v_fma_f64 v[70:71], v[70:71], v[74:75], v[72:73]
	v_add_f64 v[3:4], v[3:4], v[68:69]
	v_add_f64 v[1:2], v[1:2], v[70:71]
	s_andn2_b32 exec_lo, exec_lo, s5
	s_cbranch_execnz .LBB91_33
; %bb.34:
	s_or_b32 exec_lo, exec_lo, s5
	v_mov_b32_e32 v63, 0
	ds_read_b128 v[63:66], v63 offset:80
	s_waitcnt lgkmcnt(0)
	v_mul_f64 v[68:69], v[1:2], v[65:66]
	v_mul_f64 v[65:66], v[3:4], v[65:66]
	v_fma_f64 v[3:4], v[3:4], v[63:64], -v[68:69]
	v_fma_f64 v[1:2], v[1:2], v[63:64], v[65:66]
	buffer_store_dword v4, off, s[0:3], 0 offset:100
	buffer_store_dword v3, off, s[0:3], 0 offset:96
	;; [unrolled: 1-line block ×4, first 2 shown]
.LBB91_35:
	s_or_b32 exec_lo, exec_lo, s4
	v_mov_b32_e32 v4, s34
	s_waitcnt_vscnt null, 0x0
	s_barrier
	buffer_gl0_inv
	s_mov_b32 s4, exec_lo
	s_clause 0x3
	buffer_load_dword v1, v4, s[0:3], 0 offen
	buffer_load_dword v2, v4, s[0:3], 0 offen offset:4
	buffer_load_dword v3, v4, s[0:3], 0 offen offset:8
	;; [unrolled: 1-line block ×3, first 2 shown]
	s_waitcnt vmcnt(0)
	ds_write_b128 v61, v[1:4]
	s_waitcnt lgkmcnt(0)
	s_barrier
	buffer_gl0_inv
	v_cmpx_gt_u32_e32 6, v0
	s_cbranch_execz .LBB91_39
; %bb.36:
	v_mov_b32_e32 v1, 0
	v_mov_b32_e32 v3, 0
	v_add_nc_u32_e32 v63, -1, v0
	v_add_nc_u32_e32 v64, 0x1c0, v67
	v_mov_b32_e32 v2, 0
	v_mov_b32_e32 v4, 0
	v_add_nc_u32_e32 v65, 16, v67
	s_mov_b32 s5, 0
	.p2align	6
.LBB91_37:                              ; =>This Inner Loop Header: Depth=1
	s_clause 0x3
	buffer_load_dword v72, v65, s[0:3], 0 offen offset:8
	buffer_load_dword v73, v65, s[0:3], 0 offen offset:12
	buffer_load_dword v74, v65, s[0:3], 0 offen
	buffer_load_dword v75, v65, s[0:3], 0 offen offset:4
	ds_read_b128 v[68:71], v64
	v_add_nc_u32_e32 v63, 1, v63
	v_add_nc_u32_e32 v64, 16, v64
	;; [unrolled: 1-line block ×3, first 2 shown]
	v_cmp_lt_u32_e32 vcc_lo, 4, v63
	s_or_b32 s5, vcc_lo, s5
	s_waitcnt vmcnt(2) lgkmcnt(0)
	v_mul_f64 v[76:77], v[70:71], v[72:73]
	v_mul_f64 v[72:73], v[68:69], v[72:73]
	s_waitcnt vmcnt(0)
	v_fma_f64 v[68:69], v[68:69], v[74:75], -v[76:77]
	v_fma_f64 v[70:71], v[70:71], v[74:75], v[72:73]
	v_add_f64 v[3:4], v[3:4], v[68:69]
	v_add_f64 v[1:2], v[1:2], v[70:71]
	s_andn2_b32 exec_lo, exec_lo, s5
	s_cbranch_execnz .LBB91_37
; %bb.38:
	s_or_b32 exec_lo, exec_lo, s5
	v_mov_b32_e32 v63, 0
	ds_read_b128 v[63:66], v63 offset:96
	s_waitcnt lgkmcnt(0)
	v_mul_f64 v[68:69], v[1:2], v[65:66]
	v_mul_f64 v[65:66], v[3:4], v[65:66]
	v_fma_f64 v[3:4], v[3:4], v[63:64], -v[68:69]
	v_fma_f64 v[1:2], v[1:2], v[63:64], v[65:66]
	buffer_store_dword v4, off, s[0:3], 0 offset:116
	buffer_store_dword v3, off, s[0:3], 0 offset:112
	;; [unrolled: 1-line block ×4, first 2 shown]
.LBB91_39:
	s_or_b32 exec_lo, exec_lo, s4
	v_mov_b32_e32 v4, s33
	s_waitcnt_vscnt null, 0x0
	s_barrier
	buffer_gl0_inv
	s_mov_b32 s4, exec_lo
	s_clause 0x3
	buffer_load_dword v1, v4, s[0:3], 0 offen
	buffer_load_dword v2, v4, s[0:3], 0 offen offset:4
	buffer_load_dword v3, v4, s[0:3], 0 offen offset:8
	;; [unrolled: 1-line block ×3, first 2 shown]
	s_waitcnt vmcnt(0)
	ds_write_b128 v61, v[1:4]
	s_waitcnt lgkmcnt(0)
	s_barrier
	buffer_gl0_inv
	v_cmpx_gt_u32_e32 7, v0
	s_cbranch_execz .LBB91_43
; %bb.40:
	v_mov_b32_e32 v1, 0
	v_mov_b32_e32 v3, 0
	v_add_nc_u32_e32 v63, -1, v0
	v_add_nc_u32_e32 v64, 0x1c0, v67
	v_mov_b32_e32 v2, 0
	v_mov_b32_e32 v4, 0
	v_add_nc_u32_e32 v65, 16, v67
	s_mov_b32 s5, 0
	.p2align	6
.LBB91_41:                              ; =>This Inner Loop Header: Depth=1
	s_clause 0x3
	buffer_load_dword v72, v65, s[0:3], 0 offen offset:8
	buffer_load_dword v73, v65, s[0:3], 0 offen offset:12
	buffer_load_dword v74, v65, s[0:3], 0 offen
	buffer_load_dword v75, v65, s[0:3], 0 offen offset:4
	ds_read_b128 v[68:71], v64
	v_add_nc_u32_e32 v63, 1, v63
	v_add_nc_u32_e32 v64, 16, v64
	;; [unrolled: 1-line block ×3, first 2 shown]
	v_cmp_lt_u32_e32 vcc_lo, 5, v63
	s_or_b32 s5, vcc_lo, s5
	s_waitcnt vmcnt(2) lgkmcnt(0)
	v_mul_f64 v[76:77], v[70:71], v[72:73]
	v_mul_f64 v[72:73], v[68:69], v[72:73]
	s_waitcnt vmcnt(0)
	v_fma_f64 v[68:69], v[68:69], v[74:75], -v[76:77]
	v_fma_f64 v[70:71], v[70:71], v[74:75], v[72:73]
	v_add_f64 v[3:4], v[3:4], v[68:69]
	v_add_f64 v[1:2], v[1:2], v[70:71]
	s_andn2_b32 exec_lo, exec_lo, s5
	s_cbranch_execnz .LBB91_41
; %bb.42:
	s_or_b32 exec_lo, exec_lo, s5
	v_mov_b32_e32 v63, 0
	ds_read_b128 v[63:66], v63 offset:112
	s_waitcnt lgkmcnt(0)
	v_mul_f64 v[68:69], v[1:2], v[65:66]
	v_mul_f64 v[65:66], v[3:4], v[65:66]
	v_fma_f64 v[3:4], v[3:4], v[63:64], -v[68:69]
	v_fma_f64 v[1:2], v[1:2], v[63:64], v[65:66]
	buffer_store_dword v4, off, s[0:3], 0 offset:132
	buffer_store_dword v3, off, s[0:3], 0 offset:128
	;; [unrolled: 1-line block ×4, first 2 shown]
.LBB91_43:
	s_or_b32 exec_lo, exec_lo, s4
	v_mov_b32_e32 v4, s31
	s_waitcnt_vscnt null, 0x0
	s_barrier
	buffer_gl0_inv
	s_mov_b32 s4, exec_lo
	s_clause 0x3
	buffer_load_dword v1, v4, s[0:3], 0 offen
	buffer_load_dword v2, v4, s[0:3], 0 offen offset:4
	buffer_load_dword v3, v4, s[0:3], 0 offen offset:8
	buffer_load_dword v4, v4, s[0:3], 0 offen offset:12
	s_waitcnt vmcnt(0)
	ds_write_b128 v61, v[1:4]
	s_waitcnt lgkmcnt(0)
	s_barrier
	buffer_gl0_inv
	v_cmpx_gt_u32_e32 8, v0
	s_cbranch_execz .LBB91_47
; %bb.44:
	v_mov_b32_e32 v1, 0
	v_mov_b32_e32 v3, 0
	v_add_nc_u32_e32 v63, -1, v0
	v_add_nc_u32_e32 v64, 0x1c0, v67
	v_mov_b32_e32 v2, 0
	v_mov_b32_e32 v4, 0
	v_add_nc_u32_e32 v65, 16, v67
	s_mov_b32 s5, 0
	.p2align	6
.LBB91_45:                              ; =>This Inner Loop Header: Depth=1
	s_clause 0x3
	buffer_load_dword v72, v65, s[0:3], 0 offen offset:8
	buffer_load_dword v73, v65, s[0:3], 0 offen offset:12
	buffer_load_dword v74, v65, s[0:3], 0 offen
	buffer_load_dword v75, v65, s[0:3], 0 offen offset:4
	ds_read_b128 v[68:71], v64
	v_add_nc_u32_e32 v63, 1, v63
	v_add_nc_u32_e32 v64, 16, v64
	;; [unrolled: 1-line block ×3, first 2 shown]
	v_cmp_lt_u32_e32 vcc_lo, 6, v63
	s_or_b32 s5, vcc_lo, s5
	s_waitcnt vmcnt(2) lgkmcnt(0)
	v_mul_f64 v[76:77], v[70:71], v[72:73]
	v_mul_f64 v[72:73], v[68:69], v[72:73]
	s_waitcnt vmcnt(0)
	v_fma_f64 v[68:69], v[68:69], v[74:75], -v[76:77]
	v_fma_f64 v[70:71], v[70:71], v[74:75], v[72:73]
	v_add_f64 v[3:4], v[3:4], v[68:69]
	v_add_f64 v[1:2], v[1:2], v[70:71]
	s_andn2_b32 exec_lo, exec_lo, s5
	s_cbranch_execnz .LBB91_45
; %bb.46:
	s_or_b32 exec_lo, exec_lo, s5
	v_mov_b32_e32 v63, 0
	ds_read_b128 v[63:66], v63 offset:128
	s_waitcnt lgkmcnt(0)
	v_mul_f64 v[68:69], v[1:2], v[65:66]
	v_mul_f64 v[65:66], v[3:4], v[65:66]
	v_fma_f64 v[3:4], v[3:4], v[63:64], -v[68:69]
	v_fma_f64 v[1:2], v[1:2], v[63:64], v[65:66]
	buffer_store_dword v4, off, s[0:3], 0 offset:148
	buffer_store_dword v3, off, s[0:3], 0 offset:144
	;; [unrolled: 1-line block ×4, first 2 shown]
.LBB91_47:
	s_or_b32 exec_lo, exec_lo, s4
	v_mov_b32_e32 v4, s30
	s_waitcnt_vscnt null, 0x0
	s_barrier
	buffer_gl0_inv
	s_mov_b32 s4, exec_lo
	s_clause 0x3
	buffer_load_dword v1, v4, s[0:3], 0 offen
	buffer_load_dword v2, v4, s[0:3], 0 offen offset:4
	buffer_load_dword v3, v4, s[0:3], 0 offen offset:8
	;; [unrolled: 1-line block ×3, first 2 shown]
	s_waitcnt vmcnt(0)
	ds_write_b128 v61, v[1:4]
	s_waitcnt lgkmcnt(0)
	s_barrier
	buffer_gl0_inv
	v_cmpx_gt_u32_e32 9, v0
	s_cbranch_execz .LBB91_51
; %bb.48:
	v_mov_b32_e32 v1, 0
	v_mov_b32_e32 v3, 0
	v_add_nc_u32_e32 v63, -1, v0
	v_add_nc_u32_e32 v64, 0x1c0, v67
	v_mov_b32_e32 v2, 0
	v_mov_b32_e32 v4, 0
	v_add_nc_u32_e32 v65, 16, v67
	s_mov_b32 s5, 0
	.p2align	6
.LBB91_49:                              ; =>This Inner Loop Header: Depth=1
	s_clause 0x3
	buffer_load_dword v72, v65, s[0:3], 0 offen offset:8
	buffer_load_dword v73, v65, s[0:3], 0 offen offset:12
	buffer_load_dword v74, v65, s[0:3], 0 offen
	buffer_load_dword v75, v65, s[0:3], 0 offen offset:4
	ds_read_b128 v[68:71], v64
	v_add_nc_u32_e32 v63, 1, v63
	v_add_nc_u32_e32 v64, 16, v64
	;; [unrolled: 1-line block ×3, first 2 shown]
	v_cmp_lt_u32_e32 vcc_lo, 7, v63
	s_or_b32 s5, vcc_lo, s5
	s_waitcnt vmcnt(2) lgkmcnt(0)
	v_mul_f64 v[76:77], v[70:71], v[72:73]
	v_mul_f64 v[72:73], v[68:69], v[72:73]
	s_waitcnt vmcnt(0)
	v_fma_f64 v[68:69], v[68:69], v[74:75], -v[76:77]
	v_fma_f64 v[70:71], v[70:71], v[74:75], v[72:73]
	v_add_f64 v[3:4], v[3:4], v[68:69]
	v_add_f64 v[1:2], v[1:2], v[70:71]
	s_andn2_b32 exec_lo, exec_lo, s5
	s_cbranch_execnz .LBB91_49
; %bb.50:
	s_or_b32 exec_lo, exec_lo, s5
	v_mov_b32_e32 v63, 0
	ds_read_b128 v[63:66], v63 offset:144
	s_waitcnt lgkmcnt(0)
	v_mul_f64 v[68:69], v[1:2], v[65:66]
	v_mul_f64 v[65:66], v[3:4], v[65:66]
	v_fma_f64 v[3:4], v[3:4], v[63:64], -v[68:69]
	v_fma_f64 v[1:2], v[1:2], v[63:64], v[65:66]
	buffer_store_dword v4, off, s[0:3], 0 offset:164
	buffer_store_dword v3, off, s[0:3], 0 offset:160
	;; [unrolled: 1-line block ×4, first 2 shown]
.LBB91_51:
	s_or_b32 exec_lo, exec_lo, s4
	v_mov_b32_e32 v4, s29
	s_waitcnt_vscnt null, 0x0
	s_barrier
	buffer_gl0_inv
	s_mov_b32 s4, exec_lo
	s_clause 0x3
	buffer_load_dword v1, v4, s[0:3], 0 offen
	buffer_load_dword v2, v4, s[0:3], 0 offen offset:4
	buffer_load_dword v3, v4, s[0:3], 0 offen offset:8
	;; [unrolled: 1-line block ×3, first 2 shown]
	s_waitcnt vmcnt(0)
	ds_write_b128 v61, v[1:4]
	s_waitcnt lgkmcnt(0)
	s_barrier
	buffer_gl0_inv
	v_cmpx_gt_u32_e32 10, v0
	s_cbranch_execz .LBB91_55
; %bb.52:
	v_mov_b32_e32 v1, 0
	v_mov_b32_e32 v3, 0
	v_add_nc_u32_e32 v63, -1, v0
	v_add_nc_u32_e32 v64, 0x1c0, v67
	v_mov_b32_e32 v2, 0
	v_mov_b32_e32 v4, 0
	v_add_nc_u32_e32 v65, 16, v67
	s_mov_b32 s5, 0
	.p2align	6
.LBB91_53:                              ; =>This Inner Loop Header: Depth=1
	s_clause 0x3
	buffer_load_dword v72, v65, s[0:3], 0 offen offset:8
	buffer_load_dword v73, v65, s[0:3], 0 offen offset:12
	buffer_load_dword v74, v65, s[0:3], 0 offen
	buffer_load_dword v75, v65, s[0:3], 0 offen offset:4
	ds_read_b128 v[68:71], v64
	v_add_nc_u32_e32 v63, 1, v63
	v_add_nc_u32_e32 v64, 16, v64
	;; [unrolled: 1-line block ×3, first 2 shown]
	v_cmp_lt_u32_e32 vcc_lo, 8, v63
	s_or_b32 s5, vcc_lo, s5
	s_waitcnt vmcnt(2) lgkmcnt(0)
	v_mul_f64 v[76:77], v[70:71], v[72:73]
	v_mul_f64 v[72:73], v[68:69], v[72:73]
	s_waitcnt vmcnt(0)
	v_fma_f64 v[68:69], v[68:69], v[74:75], -v[76:77]
	v_fma_f64 v[70:71], v[70:71], v[74:75], v[72:73]
	v_add_f64 v[3:4], v[3:4], v[68:69]
	v_add_f64 v[1:2], v[1:2], v[70:71]
	s_andn2_b32 exec_lo, exec_lo, s5
	s_cbranch_execnz .LBB91_53
; %bb.54:
	s_or_b32 exec_lo, exec_lo, s5
	v_mov_b32_e32 v63, 0
	ds_read_b128 v[63:66], v63 offset:160
	s_waitcnt lgkmcnt(0)
	v_mul_f64 v[68:69], v[1:2], v[65:66]
	v_mul_f64 v[65:66], v[3:4], v[65:66]
	v_fma_f64 v[3:4], v[3:4], v[63:64], -v[68:69]
	v_fma_f64 v[1:2], v[1:2], v[63:64], v[65:66]
	buffer_store_dword v4, off, s[0:3], 0 offset:180
	buffer_store_dword v3, off, s[0:3], 0 offset:176
	;; [unrolled: 1-line block ×4, first 2 shown]
.LBB91_55:
	s_or_b32 exec_lo, exec_lo, s4
	v_mov_b32_e32 v4, s28
	s_waitcnt_vscnt null, 0x0
	s_barrier
	buffer_gl0_inv
	s_mov_b32 s4, exec_lo
	s_clause 0x3
	buffer_load_dword v1, v4, s[0:3], 0 offen
	buffer_load_dword v2, v4, s[0:3], 0 offen offset:4
	buffer_load_dword v3, v4, s[0:3], 0 offen offset:8
	;; [unrolled: 1-line block ×3, first 2 shown]
	s_waitcnt vmcnt(0)
	ds_write_b128 v61, v[1:4]
	s_waitcnt lgkmcnt(0)
	s_barrier
	buffer_gl0_inv
	v_cmpx_gt_u32_e32 11, v0
	s_cbranch_execz .LBB91_59
; %bb.56:
	v_mov_b32_e32 v1, 0
	v_mov_b32_e32 v3, 0
	v_add_nc_u32_e32 v63, -1, v0
	v_add_nc_u32_e32 v64, 0x1c0, v67
	v_mov_b32_e32 v2, 0
	v_mov_b32_e32 v4, 0
	v_add_nc_u32_e32 v65, 16, v67
	s_mov_b32 s5, 0
	.p2align	6
.LBB91_57:                              ; =>This Inner Loop Header: Depth=1
	s_clause 0x3
	buffer_load_dword v72, v65, s[0:3], 0 offen offset:8
	buffer_load_dword v73, v65, s[0:3], 0 offen offset:12
	buffer_load_dword v74, v65, s[0:3], 0 offen
	buffer_load_dword v75, v65, s[0:3], 0 offen offset:4
	ds_read_b128 v[68:71], v64
	v_add_nc_u32_e32 v63, 1, v63
	v_add_nc_u32_e32 v64, 16, v64
	;; [unrolled: 1-line block ×3, first 2 shown]
	v_cmp_lt_u32_e32 vcc_lo, 9, v63
	s_or_b32 s5, vcc_lo, s5
	s_waitcnt vmcnt(2) lgkmcnt(0)
	v_mul_f64 v[76:77], v[70:71], v[72:73]
	v_mul_f64 v[72:73], v[68:69], v[72:73]
	s_waitcnt vmcnt(0)
	v_fma_f64 v[68:69], v[68:69], v[74:75], -v[76:77]
	v_fma_f64 v[70:71], v[70:71], v[74:75], v[72:73]
	v_add_f64 v[3:4], v[3:4], v[68:69]
	v_add_f64 v[1:2], v[1:2], v[70:71]
	s_andn2_b32 exec_lo, exec_lo, s5
	s_cbranch_execnz .LBB91_57
; %bb.58:
	s_or_b32 exec_lo, exec_lo, s5
	v_mov_b32_e32 v63, 0
	ds_read_b128 v[63:66], v63 offset:176
	s_waitcnt lgkmcnt(0)
	v_mul_f64 v[68:69], v[1:2], v[65:66]
	v_mul_f64 v[65:66], v[3:4], v[65:66]
	v_fma_f64 v[3:4], v[3:4], v[63:64], -v[68:69]
	v_fma_f64 v[1:2], v[1:2], v[63:64], v[65:66]
	buffer_store_dword v4, off, s[0:3], 0 offset:196
	buffer_store_dword v3, off, s[0:3], 0 offset:192
	;; [unrolled: 1-line block ×4, first 2 shown]
.LBB91_59:
	s_or_b32 exec_lo, exec_lo, s4
	v_mov_b32_e32 v4, s27
	s_waitcnt_vscnt null, 0x0
	s_barrier
	buffer_gl0_inv
	s_mov_b32 s4, exec_lo
	s_clause 0x3
	buffer_load_dword v1, v4, s[0:3], 0 offen
	buffer_load_dword v2, v4, s[0:3], 0 offen offset:4
	buffer_load_dword v3, v4, s[0:3], 0 offen offset:8
	;; [unrolled: 1-line block ×3, first 2 shown]
	s_waitcnt vmcnt(0)
	ds_write_b128 v61, v[1:4]
	s_waitcnt lgkmcnt(0)
	s_barrier
	buffer_gl0_inv
	v_cmpx_gt_u32_e32 12, v0
	s_cbranch_execz .LBB91_63
; %bb.60:
	v_mov_b32_e32 v1, 0
	v_mov_b32_e32 v3, 0
	v_add_nc_u32_e32 v63, -1, v0
	v_add_nc_u32_e32 v64, 0x1c0, v67
	v_mov_b32_e32 v2, 0
	v_mov_b32_e32 v4, 0
	v_add_nc_u32_e32 v65, 16, v67
	s_mov_b32 s5, 0
	.p2align	6
.LBB91_61:                              ; =>This Inner Loop Header: Depth=1
	s_clause 0x3
	buffer_load_dword v72, v65, s[0:3], 0 offen offset:8
	buffer_load_dword v73, v65, s[0:3], 0 offen offset:12
	buffer_load_dword v74, v65, s[0:3], 0 offen
	buffer_load_dword v75, v65, s[0:3], 0 offen offset:4
	ds_read_b128 v[68:71], v64
	v_add_nc_u32_e32 v63, 1, v63
	v_add_nc_u32_e32 v64, 16, v64
	;; [unrolled: 1-line block ×3, first 2 shown]
	v_cmp_lt_u32_e32 vcc_lo, 10, v63
	s_or_b32 s5, vcc_lo, s5
	s_waitcnt vmcnt(2) lgkmcnt(0)
	v_mul_f64 v[76:77], v[70:71], v[72:73]
	v_mul_f64 v[72:73], v[68:69], v[72:73]
	s_waitcnt vmcnt(0)
	v_fma_f64 v[68:69], v[68:69], v[74:75], -v[76:77]
	v_fma_f64 v[70:71], v[70:71], v[74:75], v[72:73]
	v_add_f64 v[3:4], v[3:4], v[68:69]
	v_add_f64 v[1:2], v[1:2], v[70:71]
	s_andn2_b32 exec_lo, exec_lo, s5
	s_cbranch_execnz .LBB91_61
; %bb.62:
	s_or_b32 exec_lo, exec_lo, s5
	v_mov_b32_e32 v63, 0
	ds_read_b128 v[63:66], v63 offset:192
	s_waitcnt lgkmcnt(0)
	v_mul_f64 v[68:69], v[1:2], v[65:66]
	v_mul_f64 v[65:66], v[3:4], v[65:66]
	v_fma_f64 v[3:4], v[3:4], v[63:64], -v[68:69]
	v_fma_f64 v[1:2], v[1:2], v[63:64], v[65:66]
	buffer_store_dword v4, off, s[0:3], 0 offset:212
	buffer_store_dword v3, off, s[0:3], 0 offset:208
	;; [unrolled: 1-line block ×4, first 2 shown]
.LBB91_63:
	s_or_b32 exec_lo, exec_lo, s4
	v_mov_b32_e32 v4, s26
	s_waitcnt_vscnt null, 0x0
	s_barrier
	buffer_gl0_inv
	s_mov_b32 s4, exec_lo
	s_clause 0x3
	buffer_load_dword v1, v4, s[0:3], 0 offen
	buffer_load_dword v2, v4, s[0:3], 0 offen offset:4
	buffer_load_dword v3, v4, s[0:3], 0 offen offset:8
	;; [unrolled: 1-line block ×3, first 2 shown]
	s_waitcnt vmcnt(0)
	ds_write_b128 v61, v[1:4]
	s_waitcnt lgkmcnt(0)
	s_barrier
	buffer_gl0_inv
	v_cmpx_gt_u32_e32 13, v0
	s_cbranch_execz .LBB91_67
; %bb.64:
	v_mov_b32_e32 v1, 0
	v_mov_b32_e32 v3, 0
	v_add_nc_u32_e32 v63, -1, v0
	v_add_nc_u32_e32 v64, 0x1c0, v67
	v_mov_b32_e32 v2, 0
	v_mov_b32_e32 v4, 0
	v_add_nc_u32_e32 v65, 16, v67
	s_mov_b32 s5, 0
	.p2align	6
.LBB91_65:                              ; =>This Inner Loop Header: Depth=1
	s_clause 0x3
	buffer_load_dword v72, v65, s[0:3], 0 offen offset:8
	buffer_load_dword v73, v65, s[0:3], 0 offen offset:12
	buffer_load_dword v74, v65, s[0:3], 0 offen
	buffer_load_dword v75, v65, s[0:3], 0 offen offset:4
	ds_read_b128 v[68:71], v64
	v_add_nc_u32_e32 v63, 1, v63
	v_add_nc_u32_e32 v64, 16, v64
	;; [unrolled: 1-line block ×3, first 2 shown]
	v_cmp_lt_u32_e32 vcc_lo, 11, v63
	s_or_b32 s5, vcc_lo, s5
	s_waitcnt vmcnt(2) lgkmcnt(0)
	v_mul_f64 v[76:77], v[70:71], v[72:73]
	v_mul_f64 v[72:73], v[68:69], v[72:73]
	s_waitcnt vmcnt(0)
	v_fma_f64 v[68:69], v[68:69], v[74:75], -v[76:77]
	v_fma_f64 v[70:71], v[70:71], v[74:75], v[72:73]
	v_add_f64 v[3:4], v[3:4], v[68:69]
	v_add_f64 v[1:2], v[1:2], v[70:71]
	s_andn2_b32 exec_lo, exec_lo, s5
	s_cbranch_execnz .LBB91_65
; %bb.66:
	s_or_b32 exec_lo, exec_lo, s5
	v_mov_b32_e32 v63, 0
	ds_read_b128 v[63:66], v63 offset:208
	s_waitcnt lgkmcnt(0)
	v_mul_f64 v[68:69], v[1:2], v[65:66]
	v_mul_f64 v[65:66], v[3:4], v[65:66]
	v_fma_f64 v[3:4], v[3:4], v[63:64], -v[68:69]
	v_fma_f64 v[1:2], v[1:2], v[63:64], v[65:66]
	buffer_store_dword v4, off, s[0:3], 0 offset:228
	buffer_store_dword v3, off, s[0:3], 0 offset:224
	;; [unrolled: 1-line block ×4, first 2 shown]
.LBB91_67:
	s_or_b32 exec_lo, exec_lo, s4
	v_mov_b32_e32 v4, s25
	s_waitcnt_vscnt null, 0x0
	s_barrier
	buffer_gl0_inv
	s_mov_b32 s4, exec_lo
	s_clause 0x3
	buffer_load_dword v1, v4, s[0:3], 0 offen
	buffer_load_dword v2, v4, s[0:3], 0 offen offset:4
	buffer_load_dword v3, v4, s[0:3], 0 offen offset:8
	;; [unrolled: 1-line block ×3, first 2 shown]
	s_waitcnt vmcnt(0)
	ds_write_b128 v61, v[1:4]
	s_waitcnt lgkmcnt(0)
	s_barrier
	buffer_gl0_inv
	v_cmpx_gt_u32_e32 14, v0
	s_cbranch_execz .LBB91_71
; %bb.68:
	v_mov_b32_e32 v1, 0
	v_mov_b32_e32 v3, 0
	v_add_nc_u32_e32 v63, -1, v0
	v_add_nc_u32_e32 v64, 0x1c0, v67
	v_mov_b32_e32 v2, 0
	v_mov_b32_e32 v4, 0
	v_add_nc_u32_e32 v65, 16, v67
	s_mov_b32 s5, 0
	.p2align	6
.LBB91_69:                              ; =>This Inner Loop Header: Depth=1
	s_clause 0x3
	buffer_load_dword v72, v65, s[0:3], 0 offen offset:8
	buffer_load_dword v73, v65, s[0:3], 0 offen offset:12
	buffer_load_dword v74, v65, s[0:3], 0 offen
	buffer_load_dword v75, v65, s[0:3], 0 offen offset:4
	ds_read_b128 v[68:71], v64
	v_add_nc_u32_e32 v63, 1, v63
	v_add_nc_u32_e32 v64, 16, v64
	;; [unrolled: 1-line block ×3, first 2 shown]
	v_cmp_lt_u32_e32 vcc_lo, 12, v63
	s_or_b32 s5, vcc_lo, s5
	s_waitcnt vmcnt(2) lgkmcnt(0)
	v_mul_f64 v[76:77], v[70:71], v[72:73]
	v_mul_f64 v[72:73], v[68:69], v[72:73]
	s_waitcnt vmcnt(0)
	v_fma_f64 v[68:69], v[68:69], v[74:75], -v[76:77]
	v_fma_f64 v[70:71], v[70:71], v[74:75], v[72:73]
	v_add_f64 v[3:4], v[3:4], v[68:69]
	v_add_f64 v[1:2], v[1:2], v[70:71]
	s_andn2_b32 exec_lo, exec_lo, s5
	s_cbranch_execnz .LBB91_69
; %bb.70:
	s_or_b32 exec_lo, exec_lo, s5
	v_mov_b32_e32 v63, 0
	ds_read_b128 v[63:66], v63 offset:224
	s_waitcnt lgkmcnt(0)
	v_mul_f64 v[68:69], v[1:2], v[65:66]
	v_mul_f64 v[65:66], v[3:4], v[65:66]
	v_fma_f64 v[3:4], v[3:4], v[63:64], -v[68:69]
	v_fma_f64 v[1:2], v[1:2], v[63:64], v[65:66]
	buffer_store_dword v4, off, s[0:3], 0 offset:244
	buffer_store_dword v3, off, s[0:3], 0 offset:240
	;; [unrolled: 1-line block ×4, first 2 shown]
.LBB91_71:
	s_or_b32 exec_lo, exec_lo, s4
	v_mov_b32_e32 v4, s24
	s_waitcnt_vscnt null, 0x0
	s_barrier
	buffer_gl0_inv
	s_mov_b32 s4, exec_lo
	s_clause 0x3
	buffer_load_dword v1, v4, s[0:3], 0 offen
	buffer_load_dword v2, v4, s[0:3], 0 offen offset:4
	buffer_load_dword v3, v4, s[0:3], 0 offen offset:8
	buffer_load_dword v4, v4, s[0:3], 0 offen offset:12
	s_waitcnt vmcnt(0)
	ds_write_b128 v61, v[1:4]
	s_waitcnt lgkmcnt(0)
	s_barrier
	buffer_gl0_inv
	v_cmpx_gt_u32_e32 15, v0
	s_cbranch_execz .LBB91_75
; %bb.72:
	v_mov_b32_e32 v1, 0
	v_mov_b32_e32 v3, 0
	v_add_nc_u32_e32 v63, -1, v0
	v_add_nc_u32_e32 v64, 0x1c0, v67
	v_mov_b32_e32 v2, 0
	v_mov_b32_e32 v4, 0
	v_add_nc_u32_e32 v65, 16, v67
	s_mov_b32 s5, 0
	.p2align	6
.LBB91_73:                              ; =>This Inner Loop Header: Depth=1
	s_clause 0x3
	buffer_load_dword v72, v65, s[0:3], 0 offen offset:8
	buffer_load_dword v73, v65, s[0:3], 0 offen offset:12
	buffer_load_dword v74, v65, s[0:3], 0 offen
	buffer_load_dword v75, v65, s[0:3], 0 offen offset:4
	ds_read_b128 v[68:71], v64
	v_add_nc_u32_e32 v63, 1, v63
	v_add_nc_u32_e32 v64, 16, v64
	;; [unrolled: 1-line block ×3, first 2 shown]
	v_cmp_lt_u32_e32 vcc_lo, 13, v63
	s_or_b32 s5, vcc_lo, s5
	s_waitcnt vmcnt(2) lgkmcnt(0)
	v_mul_f64 v[76:77], v[70:71], v[72:73]
	v_mul_f64 v[72:73], v[68:69], v[72:73]
	s_waitcnt vmcnt(0)
	v_fma_f64 v[68:69], v[68:69], v[74:75], -v[76:77]
	v_fma_f64 v[70:71], v[70:71], v[74:75], v[72:73]
	v_add_f64 v[3:4], v[3:4], v[68:69]
	v_add_f64 v[1:2], v[1:2], v[70:71]
	s_andn2_b32 exec_lo, exec_lo, s5
	s_cbranch_execnz .LBB91_73
; %bb.74:
	s_or_b32 exec_lo, exec_lo, s5
	v_mov_b32_e32 v63, 0
	ds_read_b128 v[63:66], v63 offset:240
	s_waitcnt lgkmcnt(0)
	v_mul_f64 v[68:69], v[1:2], v[65:66]
	v_mul_f64 v[65:66], v[3:4], v[65:66]
	v_fma_f64 v[3:4], v[3:4], v[63:64], -v[68:69]
	v_fma_f64 v[1:2], v[1:2], v[63:64], v[65:66]
	buffer_store_dword v4, off, s[0:3], 0 offset:260
	buffer_store_dword v3, off, s[0:3], 0 offset:256
	;; [unrolled: 1-line block ×4, first 2 shown]
.LBB91_75:
	s_or_b32 exec_lo, exec_lo, s4
	v_mov_b32_e32 v4, s23
	s_waitcnt_vscnt null, 0x0
	s_barrier
	buffer_gl0_inv
	s_mov_b32 s4, exec_lo
	s_clause 0x3
	buffer_load_dword v1, v4, s[0:3], 0 offen
	buffer_load_dword v2, v4, s[0:3], 0 offen offset:4
	buffer_load_dword v3, v4, s[0:3], 0 offen offset:8
	;; [unrolled: 1-line block ×3, first 2 shown]
	s_waitcnt vmcnt(0)
	ds_write_b128 v61, v[1:4]
	s_waitcnt lgkmcnt(0)
	s_barrier
	buffer_gl0_inv
	v_cmpx_gt_u32_e32 16, v0
	s_cbranch_execz .LBB91_79
; %bb.76:
	v_mov_b32_e32 v1, 0
	v_mov_b32_e32 v3, 0
	v_add_nc_u32_e32 v63, -1, v0
	v_add_nc_u32_e32 v64, 0x1c0, v67
	v_mov_b32_e32 v2, 0
	v_mov_b32_e32 v4, 0
	v_add_nc_u32_e32 v65, 16, v67
	s_mov_b32 s5, 0
	.p2align	6
.LBB91_77:                              ; =>This Inner Loop Header: Depth=1
	s_clause 0x3
	buffer_load_dword v72, v65, s[0:3], 0 offen offset:8
	buffer_load_dword v73, v65, s[0:3], 0 offen offset:12
	buffer_load_dword v74, v65, s[0:3], 0 offen
	buffer_load_dword v75, v65, s[0:3], 0 offen offset:4
	ds_read_b128 v[68:71], v64
	v_add_nc_u32_e32 v63, 1, v63
	v_add_nc_u32_e32 v64, 16, v64
	;; [unrolled: 1-line block ×3, first 2 shown]
	v_cmp_lt_u32_e32 vcc_lo, 14, v63
	s_or_b32 s5, vcc_lo, s5
	s_waitcnt vmcnt(2) lgkmcnt(0)
	v_mul_f64 v[76:77], v[70:71], v[72:73]
	v_mul_f64 v[72:73], v[68:69], v[72:73]
	s_waitcnt vmcnt(0)
	v_fma_f64 v[68:69], v[68:69], v[74:75], -v[76:77]
	v_fma_f64 v[70:71], v[70:71], v[74:75], v[72:73]
	v_add_f64 v[3:4], v[3:4], v[68:69]
	v_add_f64 v[1:2], v[1:2], v[70:71]
	s_andn2_b32 exec_lo, exec_lo, s5
	s_cbranch_execnz .LBB91_77
; %bb.78:
	s_or_b32 exec_lo, exec_lo, s5
	v_mov_b32_e32 v63, 0
	ds_read_b128 v[63:66], v63 offset:256
	s_waitcnt lgkmcnt(0)
	v_mul_f64 v[68:69], v[1:2], v[65:66]
	v_mul_f64 v[65:66], v[3:4], v[65:66]
	v_fma_f64 v[3:4], v[3:4], v[63:64], -v[68:69]
	v_fma_f64 v[1:2], v[1:2], v[63:64], v[65:66]
	buffer_store_dword v4, off, s[0:3], 0 offset:276
	buffer_store_dword v3, off, s[0:3], 0 offset:272
	;; [unrolled: 1-line block ×4, first 2 shown]
.LBB91_79:
	s_or_b32 exec_lo, exec_lo, s4
	v_mov_b32_e32 v4, s22
	s_waitcnt_vscnt null, 0x0
	s_barrier
	buffer_gl0_inv
	s_mov_b32 s4, exec_lo
	s_clause 0x3
	buffer_load_dword v1, v4, s[0:3], 0 offen
	buffer_load_dword v2, v4, s[0:3], 0 offen offset:4
	buffer_load_dword v3, v4, s[0:3], 0 offen offset:8
	;; [unrolled: 1-line block ×3, first 2 shown]
	s_waitcnt vmcnt(0)
	ds_write_b128 v61, v[1:4]
	s_waitcnt lgkmcnt(0)
	s_barrier
	buffer_gl0_inv
	v_cmpx_gt_u32_e32 17, v0
	s_cbranch_execz .LBB91_83
; %bb.80:
	v_mov_b32_e32 v1, 0
	v_mov_b32_e32 v3, 0
	v_add_nc_u32_e32 v63, -1, v0
	v_add_nc_u32_e32 v64, 0x1c0, v67
	v_mov_b32_e32 v2, 0
	v_mov_b32_e32 v4, 0
	v_add_nc_u32_e32 v65, 16, v67
	s_mov_b32 s5, 0
	.p2align	6
.LBB91_81:                              ; =>This Inner Loop Header: Depth=1
	s_clause 0x3
	buffer_load_dword v72, v65, s[0:3], 0 offen offset:8
	buffer_load_dword v73, v65, s[0:3], 0 offen offset:12
	buffer_load_dword v74, v65, s[0:3], 0 offen
	buffer_load_dword v75, v65, s[0:3], 0 offen offset:4
	ds_read_b128 v[68:71], v64
	v_add_nc_u32_e32 v63, 1, v63
	v_add_nc_u32_e32 v64, 16, v64
	;; [unrolled: 1-line block ×3, first 2 shown]
	v_cmp_lt_u32_e32 vcc_lo, 15, v63
	s_or_b32 s5, vcc_lo, s5
	s_waitcnt vmcnt(2) lgkmcnt(0)
	v_mul_f64 v[76:77], v[70:71], v[72:73]
	v_mul_f64 v[72:73], v[68:69], v[72:73]
	s_waitcnt vmcnt(0)
	v_fma_f64 v[68:69], v[68:69], v[74:75], -v[76:77]
	v_fma_f64 v[70:71], v[70:71], v[74:75], v[72:73]
	v_add_f64 v[3:4], v[3:4], v[68:69]
	v_add_f64 v[1:2], v[1:2], v[70:71]
	s_andn2_b32 exec_lo, exec_lo, s5
	s_cbranch_execnz .LBB91_81
; %bb.82:
	s_or_b32 exec_lo, exec_lo, s5
	v_mov_b32_e32 v63, 0
	ds_read_b128 v[63:66], v63 offset:272
	s_waitcnt lgkmcnt(0)
	v_mul_f64 v[68:69], v[1:2], v[65:66]
	v_mul_f64 v[65:66], v[3:4], v[65:66]
	v_fma_f64 v[3:4], v[3:4], v[63:64], -v[68:69]
	v_fma_f64 v[1:2], v[1:2], v[63:64], v[65:66]
	buffer_store_dword v4, off, s[0:3], 0 offset:292
	buffer_store_dword v3, off, s[0:3], 0 offset:288
	;; [unrolled: 1-line block ×4, first 2 shown]
.LBB91_83:
	s_or_b32 exec_lo, exec_lo, s4
	v_mov_b32_e32 v4, s21
	s_waitcnt_vscnt null, 0x0
	s_barrier
	buffer_gl0_inv
	s_mov_b32 s4, exec_lo
	s_clause 0x3
	buffer_load_dword v1, v4, s[0:3], 0 offen
	buffer_load_dword v2, v4, s[0:3], 0 offen offset:4
	buffer_load_dword v3, v4, s[0:3], 0 offen offset:8
	;; [unrolled: 1-line block ×3, first 2 shown]
	s_waitcnt vmcnt(0)
	ds_write_b128 v61, v[1:4]
	s_waitcnt lgkmcnt(0)
	s_barrier
	buffer_gl0_inv
	v_cmpx_gt_u32_e32 18, v0
	s_cbranch_execz .LBB91_87
; %bb.84:
	v_mov_b32_e32 v1, 0
	v_mov_b32_e32 v3, 0
	v_add_nc_u32_e32 v63, -1, v0
	v_add_nc_u32_e32 v64, 0x1c0, v67
	v_mov_b32_e32 v2, 0
	v_mov_b32_e32 v4, 0
	v_add_nc_u32_e32 v65, 16, v67
	s_mov_b32 s5, 0
	.p2align	6
.LBB91_85:                              ; =>This Inner Loop Header: Depth=1
	s_clause 0x3
	buffer_load_dword v72, v65, s[0:3], 0 offen offset:8
	buffer_load_dword v73, v65, s[0:3], 0 offen offset:12
	buffer_load_dword v74, v65, s[0:3], 0 offen
	buffer_load_dword v75, v65, s[0:3], 0 offen offset:4
	ds_read_b128 v[68:71], v64
	v_add_nc_u32_e32 v63, 1, v63
	v_add_nc_u32_e32 v64, 16, v64
	;; [unrolled: 1-line block ×3, first 2 shown]
	v_cmp_lt_u32_e32 vcc_lo, 16, v63
	s_or_b32 s5, vcc_lo, s5
	s_waitcnt vmcnt(2) lgkmcnt(0)
	v_mul_f64 v[76:77], v[70:71], v[72:73]
	v_mul_f64 v[72:73], v[68:69], v[72:73]
	s_waitcnt vmcnt(0)
	v_fma_f64 v[68:69], v[68:69], v[74:75], -v[76:77]
	v_fma_f64 v[70:71], v[70:71], v[74:75], v[72:73]
	v_add_f64 v[3:4], v[3:4], v[68:69]
	v_add_f64 v[1:2], v[1:2], v[70:71]
	s_andn2_b32 exec_lo, exec_lo, s5
	s_cbranch_execnz .LBB91_85
; %bb.86:
	s_or_b32 exec_lo, exec_lo, s5
	v_mov_b32_e32 v63, 0
	ds_read_b128 v[63:66], v63 offset:288
	s_waitcnt lgkmcnt(0)
	v_mul_f64 v[68:69], v[1:2], v[65:66]
	v_mul_f64 v[65:66], v[3:4], v[65:66]
	v_fma_f64 v[3:4], v[3:4], v[63:64], -v[68:69]
	v_fma_f64 v[1:2], v[1:2], v[63:64], v[65:66]
	buffer_store_dword v4, off, s[0:3], 0 offset:308
	buffer_store_dword v3, off, s[0:3], 0 offset:304
	;; [unrolled: 1-line block ×4, first 2 shown]
.LBB91_87:
	s_or_b32 exec_lo, exec_lo, s4
	v_mov_b32_e32 v4, s20
	s_waitcnt_vscnt null, 0x0
	s_barrier
	buffer_gl0_inv
	s_mov_b32 s4, exec_lo
	s_clause 0x3
	buffer_load_dword v1, v4, s[0:3], 0 offen
	buffer_load_dword v2, v4, s[0:3], 0 offen offset:4
	buffer_load_dword v3, v4, s[0:3], 0 offen offset:8
	;; [unrolled: 1-line block ×3, first 2 shown]
	s_waitcnt vmcnt(0)
	ds_write_b128 v61, v[1:4]
	s_waitcnt lgkmcnt(0)
	s_barrier
	buffer_gl0_inv
	v_cmpx_gt_u32_e32 19, v0
	s_cbranch_execz .LBB91_91
; %bb.88:
	v_mov_b32_e32 v1, 0
	v_mov_b32_e32 v3, 0
	v_add_nc_u32_e32 v63, -1, v0
	v_add_nc_u32_e32 v64, 0x1c0, v67
	v_mov_b32_e32 v2, 0
	v_mov_b32_e32 v4, 0
	v_add_nc_u32_e32 v65, 16, v67
	s_mov_b32 s5, 0
	.p2align	6
.LBB91_89:                              ; =>This Inner Loop Header: Depth=1
	s_clause 0x3
	buffer_load_dword v72, v65, s[0:3], 0 offen offset:8
	buffer_load_dword v73, v65, s[0:3], 0 offen offset:12
	buffer_load_dword v74, v65, s[0:3], 0 offen
	buffer_load_dword v75, v65, s[0:3], 0 offen offset:4
	ds_read_b128 v[68:71], v64
	v_add_nc_u32_e32 v63, 1, v63
	v_add_nc_u32_e32 v64, 16, v64
	;; [unrolled: 1-line block ×3, first 2 shown]
	v_cmp_lt_u32_e32 vcc_lo, 17, v63
	s_or_b32 s5, vcc_lo, s5
	s_waitcnt vmcnt(2) lgkmcnt(0)
	v_mul_f64 v[76:77], v[70:71], v[72:73]
	v_mul_f64 v[72:73], v[68:69], v[72:73]
	s_waitcnt vmcnt(0)
	v_fma_f64 v[68:69], v[68:69], v[74:75], -v[76:77]
	v_fma_f64 v[70:71], v[70:71], v[74:75], v[72:73]
	v_add_f64 v[3:4], v[3:4], v[68:69]
	v_add_f64 v[1:2], v[1:2], v[70:71]
	s_andn2_b32 exec_lo, exec_lo, s5
	s_cbranch_execnz .LBB91_89
; %bb.90:
	s_or_b32 exec_lo, exec_lo, s5
	v_mov_b32_e32 v63, 0
	ds_read_b128 v[63:66], v63 offset:304
	s_waitcnt lgkmcnt(0)
	v_mul_f64 v[68:69], v[1:2], v[65:66]
	v_mul_f64 v[65:66], v[3:4], v[65:66]
	v_fma_f64 v[3:4], v[3:4], v[63:64], -v[68:69]
	v_fma_f64 v[1:2], v[1:2], v[63:64], v[65:66]
	buffer_store_dword v4, off, s[0:3], 0 offset:324
	buffer_store_dword v3, off, s[0:3], 0 offset:320
	;; [unrolled: 1-line block ×4, first 2 shown]
.LBB91_91:
	s_or_b32 exec_lo, exec_lo, s4
	v_mov_b32_e32 v4, s19
	s_waitcnt_vscnt null, 0x0
	s_barrier
	buffer_gl0_inv
	s_mov_b32 s4, exec_lo
	s_clause 0x3
	buffer_load_dword v1, v4, s[0:3], 0 offen
	buffer_load_dword v2, v4, s[0:3], 0 offen offset:4
	buffer_load_dword v3, v4, s[0:3], 0 offen offset:8
	;; [unrolled: 1-line block ×3, first 2 shown]
	s_waitcnt vmcnt(0)
	ds_write_b128 v61, v[1:4]
	s_waitcnt lgkmcnt(0)
	s_barrier
	buffer_gl0_inv
	v_cmpx_gt_u32_e32 20, v0
	s_cbranch_execz .LBB91_95
; %bb.92:
	v_mov_b32_e32 v1, 0
	v_mov_b32_e32 v3, 0
	v_add_nc_u32_e32 v63, -1, v0
	v_add_nc_u32_e32 v64, 0x1c0, v67
	v_mov_b32_e32 v2, 0
	v_mov_b32_e32 v4, 0
	v_add_nc_u32_e32 v65, 16, v67
	s_mov_b32 s5, 0
	.p2align	6
.LBB91_93:                              ; =>This Inner Loop Header: Depth=1
	s_clause 0x3
	buffer_load_dword v72, v65, s[0:3], 0 offen offset:8
	buffer_load_dword v73, v65, s[0:3], 0 offen offset:12
	buffer_load_dword v74, v65, s[0:3], 0 offen
	buffer_load_dword v75, v65, s[0:3], 0 offen offset:4
	ds_read_b128 v[68:71], v64
	v_add_nc_u32_e32 v63, 1, v63
	v_add_nc_u32_e32 v64, 16, v64
	;; [unrolled: 1-line block ×3, first 2 shown]
	v_cmp_lt_u32_e32 vcc_lo, 18, v63
	s_or_b32 s5, vcc_lo, s5
	s_waitcnt vmcnt(2) lgkmcnt(0)
	v_mul_f64 v[76:77], v[70:71], v[72:73]
	v_mul_f64 v[72:73], v[68:69], v[72:73]
	s_waitcnt vmcnt(0)
	v_fma_f64 v[68:69], v[68:69], v[74:75], -v[76:77]
	v_fma_f64 v[70:71], v[70:71], v[74:75], v[72:73]
	v_add_f64 v[3:4], v[3:4], v[68:69]
	v_add_f64 v[1:2], v[1:2], v[70:71]
	s_andn2_b32 exec_lo, exec_lo, s5
	s_cbranch_execnz .LBB91_93
; %bb.94:
	s_or_b32 exec_lo, exec_lo, s5
	v_mov_b32_e32 v63, 0
	ds_read_b128 v[63:66], v63 offset:320
	s_waitcnt lgkmcnt(0)
	v_mul_f64 v[68:69], v[1:2], v[65:66]
	v_mul_f64 v[65:66], v[3:4], v[65:66]
	v_fma_f64 v[3:4], v[3:4], v[63:64], -v[68:69]
	v_fma_f64 v[1:2], v[1:2], v[63:64], v[65:66]
	buffer_store_dword v4, off, s[0:3], 0 offset:340
	buffer_store_dword v3, off, s[0:3], 0 offset:336
	;; [unrolled: 1-line block ×4, first 2 shown]
.LBB91_95:
	s_or_b32 exec_lo, exec_lo, s4
	v_mov_b32_e32 v4, s18
	s_waitcnt_vscnt null, 0x0
	s_barrier
	buffer_gl0_inv
	s_mov_b32 s4, exec_lo
	s_clause 0x3
	buffer_load_dword v1, v4, s[0:3], 0 offen
	buffer_load_dword v2, v4, s[0:3], 0 offen offset:4
	buffer_load_dword v3, v4, s[0:3], 0 offen offset:8
	;; [unrolled: 1-line block ×3, first 2 shown]
	s_waitcnt vmcnt(0)
	ds_write_b128 v61, v[1:4]
	s_waitcnt lgkmcnt(0)
	s_barrier
	buffer_gl0_inv
	v_cmpx_gt_u32_e32 21, v0
	s_cbranch_execz .LBB91_99
; %bb.96:
	v_mov_b32_e32 v1, 0
	v_mov_b32_e32 v3, 0
	v_add_nc_u32_e32 v63, -1, v0
	v_add_nc_u32_e32 v64, 0x1c0, v67
	v_mov_b32_e32 v2, 0
	v_mov_b32_e32 v4, 0
	v_add_nc_u32_e32 v65, 16, v67
	s_mov_b32 s5, 0
	.p2align	6
.LBB91_97:                              ; =>This Inner Loop Header: Depth=1
	s_clause 0x3
	buffer_load_dword v72, v65, s[0:3], 0 offen offset:8
	buffer_load_dword v73, v65, s[0:3], 0 offen offset:12
	buffer_load_dword v74, v65, s[0:3], 0 offen
	buffer_load_dword v75, v65, s[0:3], 0 offen offset:4
	ds_read_b128 v[68:71], v64
	v_add_nc_u32_e32 v63, 1, v63
	v_add_nc_u32_e32 v64, 16, v64
	;; [unrolled: 1-line block ×3, first 2 shown]
	v_cmp_lt_u32_e32 vcc_lo, 19, v63
	s_or_b32 s5, vcc_lo, s5
	s_waitcnt vmcnt(2) lgkmcnt(0)
	v_mul_f64 v[76:77], v[70:71], v[72:73]
	v_mul_f64 v[72:73], v[68:69], v[72:73]
	s_waitcnt vmcnt(0)
	v_fma_f64 v[68:69], v[68:69], v[74:75], -v[76:77]
	v_fma_f64 v[70:71], v[70:71], v[74:75], v[72:73]
	v_add_f64 v[3:4], v[3:4], v[68:69]
	v_add_f64 v[1:2], v[1:2], v[70:71]
	s_andn2_b32 exec_lo, exec_lo, s5
	s_cbranch_execnz .LBB91_97
; %bb.98:
	s_or_b32 exec_lo, exec_lo, s5
	v_mov_b32_e32 v63, 0
	ds_read_b128 v[63:66], v63 offset:336
	s_waitcnt lgkmcnt(0)
	v_mul_f64 v[68:69], v[1:2], v[65:66]
	v_mul_f64 v[65:66], v[3:4], v[65:66]
	v_fma_f64 v[3:4], v[3:4], v[63:64], -v[68:69]
	v_fma_f64 v[1:2], v[1:2], v[63:64], v[65:66]
	buffer_store_dword v4, off, s[0:3], 0 offset:356
	buffer_store_dword v3, off, s[0:3], 0 offset:352
	;; [unrolled: 1-line block ×4, first 2 shown]
.LBB91_99:
	s_or_b32 exec_lo, exec_lo, s4
	v_mov_b32_e32 v4, s17
	s_waitcnt_vscnt null, 0x0
	s_barrier
	buffer_gl0_inv
	s_mov_b32 s4, exec_lo
	s_clause 0x3
	buffer_load_dword v1, v4, s[0:3], 0 offen
	buffer_load_dword v2, v4, s[0:3], 0 offen offset:4
	buffer_load_dword v3, v4, s[0:3], 0 offen offset:8
	;; [unrolled: 1-line block ×3, first 2 shown]
	s_waitcnt vmcnt(0)
	ds_write_b128 v61, v[1:4]
	s_waitcnt lgkmcnt(0)
	s_barrier
	buffer_gl0_inv
	v_cmpx_gt_u32_e32 22, v0
	s_cbranch_execz .LBB91_103
; %bb.100:
	v_mov_b32_e32 v1, 0
	v_mov_b32_e32 v3, 0
	v_add_nc_u32_e32 v63, -1, v0
	v_add_nc_u32_e32 v64, 0x1c0, v67
	v_mov_b32_e32 v2, 0
	v_mov_b32_e32 v4, 0
	v_add_nc_u32_e32 v65, 16, v67
	s_mov_b32 s5, 0
	.p2align	6
.LBB91_101:                             ; =>This Inner Loop Header: Depth=1
	s_clause 0x3
	buffer_load_dword v72, v65, s[0:3], 0 offen offset:8
	buffer_load_dword v73, v65, s[0:3], 0 offen offset:12
	buffer_load_dword v74, v65, s[0:3], 0 offen
	buffer_load_dword v75, v65, s[0:3], 0 offen offset:4
	ds_read_b128 v[68:71], v64
	v_add_nc_u32_e32 v63, 1, v63
	v_add_nc_u32_e32 v64, 16, v64
	;; [unrolled: 1-line block ×3, first 2 shown]
	v_cmp_lt_u32_e32 vcc_lo, 20, v63
	s_or_b32 s5, vcc_lo, s5
	s_waitcnt vmcnt(2) lgkmcnt(0)
	v_mul_f64 v[76:77], v[70:71], v[72:73]
	v_mul_f64 v[72:73], v[68:69], v[72:73]
	s_waitcnt vmcnt(0)
	v_fma_f64 v[68:69], v[68:69], v[74:75], -v[76:77]
	v_fma_f64 v[70:71], v[70:71], v[74:75], v[72:73]
	v_add_f64 v[3:4], v[3:4], v[68:69]
	v_add_f64 v[1:2], v[1:2], v[70:71]
	s_andn2_b32 exec_lo, exec_lo, s5
	s_cbranch_execnz .LBB91_101
; %bb.102:
	s_or_b32 exec_lo, exec_lo, s5
	v_mov_b32_e32 v63, 0
	ds_read_b128 v[63:66], v63 offset:352
	s_waitcnt lgkmcnt(0)
	v_mul_f64 v[68:69], v[1:2], v[65:66]
	v_mul_f64 v[65:66], v[3:4], v[65:66]
	v_fma_f64 v[3:4], v[3:4], v[63:64], -v[68:69]
	v_fma_f64 v[1:2], v[1:2], v[63:64], v[65:66]
	buffer_store_dword v4, off, s[0:3], 0 offset:372
	buffer_store_dword v3, off, s[0:3], 0 offset:368
	;; [unrolled: 1-line block ×4, first 2 shown]
.LBB91_103:
	s_or_b32 exec_lo, exec_lo, s4
	v_mov_b32_e32 v4, s16
	s_waitcnt_vscnt null, 0x0
	s_barrier
	buffer_gl0_inv
	s_mov_b32 s4, exec_lo
	s_clause 0x3
	buffer_load_dword v1, v4, s[0:3], 0 offen
	buffer_load_dword v2, v4, s[0:3], 0 offen offset:4
	buffer_load_dword v3, v4, s[0:3], 0 offen offset:8
	;; [unrolled: 1-line block ×3, first 2 shown]
	s_waitcnt vmcnt(0)
	ds_write_b128 v61, v[1:4]
	s_waitcnt lgkmcnt(0)
	s_barrier
	buffer_gl0_inv
	v_cmpx_gt_u32_e32 23, v0
	s_cbranch_execz .LBB91_107
; %bb.104:
	v_mov_b32_e32 v1, 0
	v_mov_b32_e32 v3, 0
	v_add_nc_u32_e32 v63, -1, v0
	v_add_nc_u32_e32 v64, 0x1c0, v67
	v_mov_b32_e32 v2, 0
	v_mov_b32_e32 v4, 0
	v_add_nc_u32_e32 v65, 16, v67
	s_mov_b32 s5, 0
	.p2align	6
.LBB91_105:                             ; =>This Inner Loop Header: Depth=1
	s_clause 0x3
	buffer_load_dword v72, v65, s[0:3], 0 offen offset:8
	buffer_load_dword v73, v65, s[0:3], 0 offen offset:12
	buffer_load_dword v74, v65, s[0:3], 0 offen
	buffer_load_dword v75, v65, s[0:3], 0 offen offset:4
	ds_read_b128 v[68:71], v64
	v_add_nc_u32_e32 v63, 1, v63
	v_add_nc_u32_e32 v64, 16, v64
	;; [unrolled: 1-line block ×3, first 2 shown]
	v_cmp_lt_u32_e32 vcc_lo, 21, v63
	s_or_b32 s5, vcc_lo, s5
	s_waitcnt vmcnt(2) lgkmcnt(0)
	v_mul_f64 v[76:77], v[70:71], v[72:73]
	v_mul_f64 v[72:73], v[68:69], v[72:73]
	s_waitcnt vmcnt(0)
	v_fma_f64 v[68:69], v[68:69], v[74:75], -v[76:77]
	v_fma_f64 v[70:71], v[70:71], v[74:75], v[72:73]
	v_add_f64 v[3:4], v[3:4], v[68:69]
	v_add_f64 v[1:2], v[1:2], v[70:71]
	s_andn2_b32 exec_lo, exec_lo, s5
	s_cbranch_execnz .LBB91_105
; %bb.106:
	s_or_b32 exec_lo, exec_lo, s5
	v_mov_b32_e32 v63, 0
	ds_read_b128 v[63:66], v63 offset:368
	s_waitcnt lgkmcnt(0)
	v_mul_f64 v[68:69], v[1:2], v[65:66]
	v_mul_f64 v[65:66], v[3:4], v[65:66]
	v_fma_f64 v[3:4], v[3:4], v[63:64], -v[68:69]
	v_fma_f64 v[1:2], v[1:2], v[63:64], v[65:66]
	buffer_store_dword v4, off, s[0:3], 0 offset:388
	buffer_store_dword v3, off, s[0:3], 0 offset:384
	;; [unrolled: 1-line block ×4, first 2 shown]
.LBB91_107:
	s_or_b32 exec_lo, exec_lo, s4
	v_mov_b32_e32 v4, s15
	s_waitcnt_vscnt null, 0x0
	s_barrier
	buffer_gl0_inv
	s_mov_b32 s4, exec_lo
	s_clause 0x3
	buffer_load_dword v1, v4, s[0:3], 0 offen
	buffer_load_dword v2, v4, s[0:3], 0 offen offset:4
	buffer_load_dword v3, v4, s[0:3], 0 offen offset:8
	;; [unrolled: 1-line block ×3, first 2 shown]
	s_waitcnt vmcnt(0)
	ds_write_b128 v61, v[1:4]
	s_waitcnt lgkmcnt(0)
	s_barrier
	buffer_gl0_inv
	v_cmpx_gt_u32_e32 24, v0
	s_cbranch_execz .LBB91_111
; %bb.108:
	v_mov_b32_e32 v1, 0
	v_mov_b32_e32 v3, 0
	v_add_nc_u32_e32 v63, -1, v0
	v_add_nc_u32_e32 v64, 0x1c0, v67
	v_mov_b32_e32 v2, 0
	v_mov_b32_e32 v4, 0
	v_add_nc_u32_e32 v65, 16, v67
	s_mov_b32 s5, 0
	.p2align	6
.LBB91_109:                             ; =>This Inner Loop Header: Depth=1
	s_clause 0x3
	buffer_load_dword v72, v65, s[0:3], 0 offen offset:8
	buffer_load_dword v73, v65, s[0:3], 0 offen offset:12
	buffer_load_dword v74, v65, s[0:3], 0 offen
	buffer_load_dword v75, v65, s[0:3], 0 offen offset:4
	ds_read_b128 v[68:71], v64
	v_add_nc_u32_e32 v63, 1, v63
	v_add_nc_u32_e32 v64, 16, v64
	v_add_nc_u32_e32 v65, 16, v65
	v_cmp_lt_u32_e32 vcc_lo, 22, v63
	s_or_b32 s5, vcc_lo, s5
	s_waitcnt vmcnt(2) lgkmcnt(0)
	v_mul_f64 v[76:77], v[70:71], v[72:73]
	v_mul_f64 v[72:73], v[68:69], v[72:73]
	s_waitcnt vmcnt(0)
	v_fma_f64 v[68:69], v[68:69], v[74:75], -v[76:77]
	v_fma_f64 v[70:71], v[70:71], v[74:75], v[72:73]
	v_add_f64 v[3:4], v[3:4], v[68:69]
	v_add_f64 v[1:2], v[1:2], v[70:71]
	s_andn2_b32 exec_lo, exec_lo, s5
	s_cbranch_execnz .LBB91_109
; %bb.110:
	s_or_b32 exec_lo, exec_lo, s5
	v_mov_b32_e32 v63, 0
	ds_read_b128 v[63:66], v63 offset:384
	s_waitcnt lgkmcnt(0)
	v_mul_f64 v[68:69], v[1:2], v[65:66]
	v_mul_f64 v[65:66], v[3:4], v[65:66]
	v_fma_f64 v[3:4], v[3:4], v[63:64], -v[68:69]
	v_fma_f64 v[1:2], v[1:2], v[63:64], v[65:66]
	buffer_store_dword v4, off, s[0:3], 0 offset:404
	buffer_store_dword v3, off, s[0:3], 0 offset:400
	;; [unrolled: 1-line block ×4, first 2 shown]
.LBB91_111:
	s_or_b32 exec_lo, exec_lo, s4
	v_mov_b32_e32 v4, s14
	s_waitcnt_vscnt null, 0x0
	s_barrier
	buffer_gl0_inv
	s_mov_b32 s4, exec_lo
	s_clause 0x3
	buffer_load_dword v1, v4, s[0:3], 0 offen
	buffer_load_dword v2, v4, s[0:3], 0 offen offset:4
	buffer_load_dword v3, v4, s[0:3], 0 offen offset:8
	;; [unrolled: 1-line block ×3, first 2 shown]
	s_waitcnt vmcnt(0)
	ds_write_b128 v61, v[1:4]
	s_waitcnt lgkmcnt(0)
	s_barrier
	buffer_gl0_inv
	v_cmpx_gt_u32_e32 25, v0
	s_cbranch_execz .LBB91_115
; %bb.112:
	v_mov_b32_e32 v1, 0
	v_mov_b32_e32 v3, 0
	v_add_nc_u32_e32 v63, -1, v0
	v_add_nc_u32_e32 v64, 0x1c0, v67
	v_mov_b32_e32 v2, 0
	v_mov_b32_e32 v4, 0
	v_add_nc_u32_e32 v65, 16, v67
	s_mov_b32 s5, 0
	.p2align	6
.LBB91_113:                             ; =>This Inner Loop Header: Depth=1
	s_clause 0x3
	buffer_load_dword v72, v65, s[0:3], 0 offen offset:8
	buffer_load_dword v73, v65, s[0:3], 0 offen offset:12
	buffer_load_dword v74, v65, s[0:3], 0 offen
	buffer_load_dword v75, v65, s[0:3], 0 offen offset:4
	ds_read_b128 v[68:71], v64
	v_add_nc_u32_e32 v63, 1, v63
	v_add_nc_u32_e32 v64, 16, v64
	;; [unrolled: 1-line block ×3, first 2 shown]
	v_cmp_lt_u32_e32 vcc_lo, 23, v63
	s_or_b32 s5, vcc_lo, s5
	s_waitcnt vmcnt(2) lgkmcnt(0)
	v_mul_f64 v[76:77], v[70:71], v[72:73]
	v_mul_f64 v[72:73], v[68:69], v[72:73]
	s_waitcnt vmcnt(0)
	v_fma_f64 v[68:69], v[68:69], v[74:75], -v[76:77]
	v_fma_f64 v[70:71], v[70:71], v[74:75], v[72:73]
	v_add_f64 v[3:4], v[3:4], v[68:69]
	v_add_f64 v[1:2], v[1:2], v[70:71]
	s_andn2_b32 exec_lo, exec_lo, s5
	s_cbranch_execnz .LBB91_113
; %bb.114:
	s_or_b32 exec_lo, exec_lo, s5
	v_mov_b32_e32 v63, 0
	ds_read_b128 v[63:66], v63 offset:400
	s_waitcnt lgkmcnt(0)
	v_mul_f64 v[68:69], v[1:2], v[65:66]
	v_mul_f64 v[65:66], v[3:4], v[65:66]
	v_fma_f64 v[3:4], v[3:4], v[63:64], -v[68:69]
	v_fma_f64 v[1:2], v[1:2], v[63:64], v[65:66]
	buffer_store_dword v4, off, s[0:3], 0 offset:420
	buffer_store_dword v3, off, s[0:3], 0 offset:416
	;; [unrolled: 1-line block ×4, first 2 shown]
.LBB91_115:
	s_or_b32 exec_lo, exec_lo, s4
	v_mov_b32_e32 v4, s9
	s_waitcnt_vscnt null, 0x0
	s_barrier
	buffer_gl0_inv
	s_mov_b32 s4, exec_lo
	s_clause 0x3
	buffer_load_dword v1, v4, s[0:3], 0 offen
	buffer_load_dword v2, v4, s[0:3], 0 offen offset:4
	buffer_load_dword v3, v4, s[0:3], 0 offen offset:8
	;; [unrolled: 1-line block ×3, first 2 shown]
	s_waitcnt vmcnt(0)
	ds_write_b128 v61, v[1:4]
	s_waitcnt lgkmcnt(0)
	s_barrier
	buffer_gl0_inv
	v_cmpx_gt_u32_e32 26, v0
	s_cbranch_execz .LBB91_119
; %bb.116:
	v_mov_b32_e32 v1, 0
	v_mov_b32_e32 v3, 0
	v_add_nc_u32_e32 v63, -1, v0
	v_add_nc_u32_e32 v64, 0x1c0, v67
	v_mov_b32_e32 v2, 0
	v_mov_b32_e32 v4, 0
	v_add_nc_u32_e32 v65, 16, v67
	s_mov_b32 s5, 0
	.p2align	6
.LBB91_117:                             ; =>This Inner Loop Header: Depth=1
	s_clause 0x3
	buffer_load_dword v72, v65, s[0:3], 0 offen offset:8
	buffer_load_dword v73, v65, s[0:3], 0 offen offset:12
	buffer_load_dword v74, v65, s[0:3], 0 offen
	buffer_load_dword v75, v65, s[0:3], 0 offen offset:4
	ds_read_b128 v[68:71], v64
	v_add_nc_u32_e32 v63, 1, v63
	v_add_nc_u32_e32 v64, 16, v64
	;; [unrolled: 1-line block ×3, first 2 shown]
	v_cmp_lt_u32_e32 vcc_lo, 24, v63
	s_or_b32 s5, vcc_lo, s5
	s_waitcnt vmcnt(2) lgkmcnt(0)
	v_mul_f64 v[76:77], v[70:71], v[72:73]
	v_mul_f64 v[72:73], v[68:69], v[72:73]
	s_waitcnt vmcnt(0)
	v_fma_f64 v[68:69], v[68:69], v[74:75], -v[76:77]
	v_fma_f64 v[70:71], v[70:71], v[74:75], v[72:73]
	v_add_f64 v[3:4], v[3:4], v[68:69]
	v_add_f64 v[1:2], v[1:2], v[70:71]
	s_andn2_b32 exec_lo, exec_lo, s5
	s_cbranch_execnz .LBB91_117
; %bb.118:
	s_or_b32 exec_lo, exec_lo, s5
	v_mov_b32_e32 v63, 0
	ds_read_b128 v[63:66], v63 offset:416
	s_waitcnt lgkmcnt(0)
	v_mul_f64 v[68:69], v[1:2], v[65:66]
	v_mul_f64 v[65:66], v[3:4], v[65:66]
	v_fma_f64 v[3:4], v[3:4], v[63:64], -v[68:69]
	v_fma_f64 v[1:2], v[1:2], v[63:64], v[65:66]
	buffer_store_dword v4, off, s[0:3], 0 offset:436
	buffer_store_dword v3, off, s[0:3], 0 offset:432
	;; [unrolled: 1-line block ×4, first 2 shown]
.LBB91_119:
	s_or_b32 exec_lo, exec_lo, s4
	v_mov_b32_e32 v4, s8
	s_waitcnt_vscnt null, 0x0
	s_barrier
	buffer_gl0_inv
	s_mov_b32 s4, exec_lo
	s_clause 0x3
	buffer_load_dword v1, v4, s[0:3], 0 offen
	buffer_load_dword v2, v4, s[0:3], 0 offen offset:4
	buffer_load_dword v3, v4, s[0:3], 0 offen offset:8
	;; [unrolled: 1-line block ×3, first 2 shown]
	s_waitcnt vmcnt(0)
	ds_write_b128 v61, v[1:4]
	s_waitcnt lgkmcnt(0)
	s_barrier
	buffer_gl0_inv
	v_cmpx_ne_u32_e32 27, v0
	s_cbranch_execz .LBB91_123
; %bb.120:
	v_mov_b32_e32 v1, 0
	v_mov_b32_e32 v3, 0
	;; [unrolled: 1-line block ×4, first 2 shown]
	v_add_nc_u32_e32 v63, 16, v67
	s_mov_b32 s5, 0
	.p2align	6
.LBB91_121:                             ; =>This Inner Loop Header: Depth=1
	s_clause 0x3
	buffer_load_dword v68, v63, s[0:3], 0 offen offset:8
	buffer_load_dword v69, v63, s[0:3], 0 offen offset:12
	buffer_load_dword v70, v63, s[0:3], 0 offen
	buffer_load_dword v71, v63, s[0:3], 0 offen offset:4
	ds_read_b128 v[64:67], v61
	v_add_nc_u32_e32 v62, 1, v62
	v_add_nc_u32_e32 v61, 16, v61
	;; [unrolled: 1-line block ×3, first 2 shown]
	v_cmp_lt_u32_e32 vcc_lo, 25, v62
	s_or_b32 s5, vcc_lo, s5
	s_waitcnt vmcnt(2) lgkmcnt(0)
	v_mul_f64 v[72:73], v[66:67], v[68:69]
	v_mul_f64 v[68:69], v[64:65], v[68:69]
	s_waitcnt vmcnt(0)
	v_fma_f64 v[64:65], v[64:65], v[70:71], -v[72:73]
	v_fma_f64 v[66:67], v[66:67], v[70:71], v[68:69]
	v_add_f64 v[3:4], v[3:4], v[64:65]
	v_add_f64 v[1:2], v[1:2], v[66:67]
	s_andn2_b32 exec_lo, exec_lo, s5
	s_cbranch_execnz .LBB91_121
; %bb.122:
	s_or_b32 exec_lo, exec_lo, s5
	v_mov_b32_e32 v61, 0
	ds_read_b128 v[61:64], v61 offset:432
	s_waitcnt lgkmcnt(0)
	v_mul_f64 v[65:66], v[1:2], v[63:64]
	v_mul_f64 v[63:64], v[3:4], v[63:64]
	v_fma_f64 v[3:4], v[3:4], v[61:62], -v[65:66]
	v_fma_f64 v[1:2], v[1:2], v[61:62], v[63:64]
	buffer_store_dword v4, off, s[0:3], 0 offset:452
	buffer_store_dword v3, off, s[0:3], 0 offset:448
	;; [unrolled: 1-line block ×4, first 2 shown]
.LBB91_123:
	s_or_b32 exec_lo, exec_lo, s4
	s_mov_b32 s5, -1
	s_waitcnt_vscnt null, 0x0
	s_barrier
	buffer_gl0_inv
.LBB91_124:
	s_and_b32 vcc_lo, exec_lo, s5
	s_cbranch_vccz .LBB91_126
; %bb.125:
	s_lshl_b64 s[4:5], s[6:7], 2
	v_mov_b32_e32 v1, 0
	s_add_u32 s4, s10, s4
	s_addc_u32 s5, s11, s5
	global_load_dword v1, v1, s[4:5]
	s_waitcnt vmcnt(0)
	v_cmp_ne_u32_e32 vcc_lo, 0, v1
	s_cbranch_vccz .LBB91_127
.LBB91_126:
	s_endpgm
.LBB91_127:
	v_lshl_add_u32 v1, v0, 4, 0x1c0
	s_mov_b32 s4, exec_lo
	v_cmpx_eq_u32_e32 27, v0
	s_cbranch_execz .LBB91_129
; %bb.128:
	v_mov_b32_e32 v2, s9
	s_clause 0x3
	buffer_load_dword v61, v2, s[0:3], 0 offen
	buffer_load_dword v62, v2, s[0:3], 0 offen offset:4
	buffer_load_dword v63, v2, s[0:3], 0 offen offset:8
	;; [unrolled: 1-line block ×3, first 2 shown]
	v_mov_b32_e32 v2, 0
	buffer_store_dword v2, off, s[0:3], 0 offset:432
	buffer_store_dword v2, off, s[0:3], 0 offset:436
	;; [unrolled: 1-line block ×4, first 2 shown]
	s_waitcnt vmcnt(0)
	ds_write_b128 v1, v[61:64]
.LBB91_129:
	s_or_b32 exec_lo, exec_lo, s4
	s_waitcnt lgkmcnt(0)
	s_waitcnt_vscnt null, 0x0
	s_barrier
	buffer_gl0_inv
	s_clause 0x7
	buffer_load_dword v3, off, s[0:3], 0 offset:456
	buffer_load_dword v4, off, s[0:3], 0 offset:460
	;; [unrolled: 1-line block ×8, first 2 shown]
	v_mov_b32_e32 v2, 0
	s_mov_b32 s4, exec_lo
	ds_read_b128 v[61:64], v2 offset:880
	s_waitcnt vmcnt(6) lgkmcnt(0)
	v_mul_f64 v[71:72], v[63:64], v[3:4]
	v_mul_f64 v[3:4], v[61:62], v[3:4]
	s_waitcnt vmcnt(4)
	v_fma_f64 v[61:62], v[61:62], v[65:66], -v[71:72]
	v_fma_f64 v[3:4], v[63:64], v[65:66], v[3:4]
	v_add_f64 v[61:62], v[61:62], 0
	v_add_f64 v[3:4], v[3:4], 0
	s_waitcnt vmcnt(2)
	v_add_f64 v[61:62], v[67:68], -v[61:62]
	s_waitcnt vmcnt(0)
	v_add_f64 v[3:4], v[69:70], -v[3:4]
	buffer_store_dword v61, off, s[0:3], 0 offset:432
	buffer_store_dword v62, off, s[0:3], 0 offset:436
	;; [unrolled: 1-line block ×4, first 2 shown]
	v_cmpx_lt_u32_e32 25, v0
	s_cbranch_execz .LBB91_131
; %bb.130:
	v_mov_b32_e32 v3, s14
	s_clause 0x3
	buffer_load_dword v61, v3, s[0:3], 0 offen
	buffer_load_dword v62, v3, s[0:3], 0 offen offset:4
	buffer_load_dword v63, v3, s[0:3], 0 offen offset:8
	buffer_load_dword v64, v3, s[0:3], 0 offen offset:12
	buffer_store_dword v2, off, s[0:3], 0 offset:416
	buffer_store_dword v2, off, s[0:3], 0 offset:420
	;; [unrolled: 1-line block ×4, first 2 shown]
	s_waitcnt vmcnt(0)
	ds_write_b128 v1, v[61:64]
.LBB91_131:
	s_or_b32 exec_lo, exec_lo, s4
	s_waitcnt lgkmcnt(0)
	s_waitcnt_vscnt null, 0x0
	s_barrier
	buffer_gl0_inv
	s_clause 0xb
	buffer_load_dword v3, off, s[0:3], 0 offset:440
	buffer_load_dword v4, off, s[0:3], 0 offset:444
	;; [unrolled: 1-line block ×12, first 2 shown]
	ds_read_b128 v[61:64], v2 offset:864
	ds_read_b128 v[65:68], v2 offset:880
	s_mov_b32 s4, exec_lo
	s_waitcnt vmcnt(10) lgkmcnt(1)
	v_mul_f64 v[79:80], v[63:64], v[3:4]
	v_mul_f64 v[2:3], v[61:62], v[3:4]
	s_waitcnt vmcnt(8) lgkmcnt(0)
	v_mul_f64 v[81:82], v[67:68], v[69:70]
	v_mul_f64 v[69:70], v[65:66], v[69:70]
	s_waitcnt vmcnt(6)
	v_fma_f64 v[61:62], v[61:62], v[71:72], -v[79:80]
	v_fma_f64 v[2:3], v[63:64], v[71:72], v[2:3]
	s_waitcnt vmcnt(4)
	v_fma_f64 v[63:64], v[65:66], v[73:74], -v[81:82]
	v_fma_f64 v[65:66], v[67:68], v[73:74], v[69:70]
	v_add_f64 v[61:62], v[61:62], 0
	v_add_f64 v[2:3], v[2:3], 0
	;; [unrolled: 1-line block ×4, first 2 shown]
	s_waitcnt vmcnt(2)
	v_add_f64 v[61:62], v[75:76], -v[61:62]
	s_waitcnt vmcnt(0)
	v_add_f64 v[2:3], v[77:78], -v[2:3]
	buffer_store_dword v61, off, s[0:3], 0 offset:416
	buffer_store_dword v62, off, s[0:3], 0 offset:420
	buffer_store_dword v2, off, s[0:3], 0 offset:424
	buffer_store_dword v3, off, s[0:3], 0 offset:428
	v_cmpx_lt_u32_e32 24, v0
	s_cbranch_execz .LBB91_133
; %bb.132:
	v_mov_b32_e32 v2, s15
	s_clause 0x3
	buffer_load_dword v61, v2, s[0:3], 0 offen
	buffer_load_dword v62, v2, s[0:3], 0 offen offset:4
	buffer_load_dword v63, v2, s[0:3], 0 offen offset:8
	;; [unrolled: 1-line block ×3, first 2 shown]
	v_mov_b32_e32 v2, 0
	buffer_store_dword v2, off, s[0:3], 0 offset:400
	buffer_store_dword v2, off, s[0:3], 0 offset:404
	;; [unrolled: 1-line block ×4, first 2 shown]
	s_waitcnt vmcnt(0)
	ds_write_b128 v1, v[61:64]
.LBB91_133:
	s_or_b32 exec_lo, exec_lo, s4
	s_waitcnt lgkmcnt(0)
	s_waitcnt_vscnt null, 0x0
	s_barrier
	buffer_gl0_inv
	s_clause 0xf
	buffer_load_dword v3, off, s[0:3], 0 offset:424
	buffer_load_dword v4, off, s[0:3], 0 offset:428
	;; [unrolled: 1-line block ×16, first 2 shown]
	v_mov_b32_e32 v2, 0
	ds_read_b128 v[61:64], v2 offset:848
	ds_read_b128 v[65:68], v2 offset:864
	;; [unrolled: 1-line block ×3, first 2 shown]
	s_mov_b32 s4, exec_lo
	s_waitcnt vmcnt(14) lgkmcnt(2)
	v_mul_f64 v[87:88], v[63:64], v[3:4]
	v_mul_f64 v[3:4], v[61:62], v[3:4]
	s_waitcnt vmcnt(12) lgkmcnt(1)
	v_mul_f64 v[89:90], v[67:68], v[73:74]
	v_mul_f64 v[73:74], v[65:66], v[73:74]
	s_waitcnt vmcnt(10)
	v_fma_f64 v[61:62], v[61:62], v[75:76], -v[87:88]
	v_fma_f64 v[3:4], v[63:64], v[75:76], v[3:4]
	s_waitcnt vmcnt(8) lgkmcnt(0)
	v_mul_f64 v[75:76], v[71:72], v[77:78]
	s_waitcnt vmcnt(6)
	v_fma_f64 v[65:66], v[65:66], v[79:80], -v[89:90]
	v_mul_f64 v[63:64], v[69:70], v[77:78]
	v_fma_f64 v[67:68], v[67:68], v[79:80], v[73:74]
	v_add_f64 v[61:62], v[61:62], 0
	v_add_f64 v[3:4], v[3:4], 0
	s_waitcnt vmcnt(4)
	v_fma_f64 v[69:70], v[69:70], v[81:82], -v[75:76]
	v_fma_f64 v[63:64], v[71:72], v[81:82], v[63:64]
	v_add_f64 v[61:62], v[61:62], v[65:66]
	v_add_f64 v[3:4], v[3:4], v[67:68]
	;; [unrolled: 1-line block ×4, first 2 shown]
	s_waitcnt vmcnt(2)
	v_add_f64 v[61:62], v[83:84], -v[61:62]
	s_waitcnt vmcnt(0)
	v_add_f64 v[3:4], v[85:86], -v[3:4]
	buffer_store_dword v61, off, s[0:3], 0 offset:400
	buffer_store_dword v62, off, s[0:3], 0 offset:404
	;; [unrolled: 1-line block ×4, first 2 shown]
	v_cmpx_lt_u32_e32 23, v0
	s_cbranch_execz .LBB91_135
; %bb.134:
	v_mov_b32_e32 v3, s16
	s_clause 0x3
	buffer_load_dword v61, v3, s[0:3], 0 offen
	buffer_load_dword v62, v3, s[0:3], 0 offen offset:4
	buffer_load_dword v63, v3, s[0:3], 0 offen offset:8
	;; [unrolled: 1-line block ×3, first 2 shown]
	buffer_store_dword v2, off, s[0:3], 0 offset:384
	buffer_store_dword v2, off, s[0:3], 0 offset:388
	;; [unrolled: 1-line block ×4, first 2 shown]
	s_waitcnt vmcnt(0)
	ds_write_b128 v1, v[61:64]
.LBB91_135:
	s_or_b32 exec_lo, exec_lo, s4
	s_waitcnt lgkmcnt(0)
	s_waitcnt_vscnt null, 0x0
	s_barrier
	buffer_gl0_inv
	s_clause 0x13
	buffer_load_dword v3, off, s[0:3], 0 offset:408
	buffer_load_dword v4, off, s[0:3], 0 offset:412
	;; [unrolled: 1-line block ×20, first 2 shown]
	ds_read_b128 v[61:64], v2 offset:832
	ds_read_b128 v[65:68], v2 offset:848
	;; [unrolled: 1-line block ×3, first 2 shown]
	s_mov_b32 s4, exec_lo
	s_waitcnt vmcnt(18) lgkmcnt(2)
	v_mul_f64 v[91:92], v[63:64], v[3:4]
	v_mul_f64 v[3:4], v[61:62], v[3:4]
	s_waitcnt vmcnt(16) lgkmcnt(1)
	v_mul_f64 v[93:94], v[67:68], v[73:74]
	v_mul_f64 v[73:74], v[65:66], v[73:74]
	s_waitcnt vmcnt(14)
	v_fma_f64 v[91:92], v[61:62], v[75:76], -v[91:92]
	v_fma_f64 v[3:4], v[63:64], v[75:76], v[3:4]
	ds_read_b128 v[61:64], v2 offset:880
	s_waitcnt vmcnt(12) lgkmcnt(1)
	v_mul_f64 v[75:76], v[69:70], v[77:78]
	v_mul_f64 v[77:78], v[71:72], v[77:78]
	s_waitcnt vmcnt(10)
	v_fma_f64 v[65:66], v[65:66], v[79:80], -v[93:94]
	v_fma_f64 v[67:68], v[67:68], v[79:80], v[73:74]
	s_waitcnt vmcnt(8) lgkmcnt(0)
	v_mul_f64 v[79:80], v[63:64], v[81:82]
	v_add_f64 v[91:92], v[91:92], 0
	v_add_f64 v[2:3], v[3:4], 0
	v_mul_f64 v[73:74], v[61:62], v[81:82]
	s_waitcnt vmcnt(6)
	v_fma_f64 v[69:70], v[69:70], v[83:84], -v[77:78]
	v_fma_f64 v[71:72], v[71:72], v[83:84], v[75:76]
	s_waitcnt vmcnt(4)
	v_fma_f64 v[61:62], v[61:62], v[85:86], -v[79:80]
	v_add_f64 v[65:66], v[91:92], v[65:66]
	v_add_f64 v[2:3], v[2:3], v[67:68]
	v_fma_f64 v[63:64], v[63:64], v[85:86], v[73:74]
	v_add_f64 v[65:66], v[65:66], v[69:70]
	v_add_f64 v[2:3], v[2:3], v[71:72]
	;; [unrolled: 1-line block ×4, first 2 shown]
	s_waitcnt vmcnt(2)
	v_add_f64 v[61:62], v[87:88], -v[61:62]
	s_waitcnt vmcnt(0)
	v_add_f64 v[2:3], v[89:90], -v[2:3]
	buffer_store_dword v61, off, s[0:3], 0 offset:384
	buffer_store_dword v62, off, s[0:3], 0 offset:388
	;; [unrolled: 1-line block ×4, first 2 shown]
	v_cmpx_lt_u32_e32 22, v0
	s_cbranch_execz .LBB91_137
; %bb.136:
	v_mov_b32_e32 v2, s17
	s_clause 0x3
	buffer_load_dword v61, v2, s[0:3], 0 offen
	buffer_load_dword v62, v2, s[0:3], 0 offen offset:4
	buffer_load_dword v63, v2, s[0:3], 0 offen offset:8
	buffer_load_dword v64, v2, s[0:3], 0 offen offset:12
	v_mov_b32_e32 v2, 0
	buffer_store_dword v2, off, s[0:3], 0 offset:368
	buffer_store_dword v2, off, s[0:3], 0 offset:372
	;; [unrolled: 1-line block ×4, first 2 shown]
	s_waitcnt vmcnt(0)
	ds_write_b128 v1, v[61:64]
.LBB91_137:
	s_or_b32 exec_lo, exec_lo, s4
	s_waitcnt lgkmcnt(0)
	s_waitcnt_vscnt null, 0x0
	s_barrier
	buffer_gl0_inv
	s_clause 0x17
	buffer_load_dword v3, off, s[0:3], 0 offset:392
	buffer_load_dword v4, off, s[0:3], 0 offset:396
	;; [unrolled: 1-line block ×24, first 2 shown]
	v_mov_b32_e32 v2, 0
	ds_read_b128 v[61:64], v2 offset:816
	ds_read_b128 v[65:68], v2 offset:832
	;; [unrolled: 1-line block ×3, first 2 shown]
	s_mov_b32 s4, exec_lo
	s_waitcnt vmcnt(22) lgkmcnt(2)
	v_mul_f64 v[95:96], v[63:64], v[3:4]
	v_mul_f64 v[3:4], v[61:62], v[3:4]
	s_waitcnt vmcnt(20) lgkmcnt(1)
	v_mul_f64 v[97:98], v[67:68], v[73:74]
	v_mul_f64 v[73:74], v[65:66], v[73:74]
	s_waitcnt vmcnt(18)
	v_fma_f64 v[95:96], v[61:62], v[75:76], -v[95:96]
	v_fma_f64 v[3:4], v[63:64], v[75:76], v[3:4]
	ds_read_b128 v[61:64], v2 offset:864
	s_waitcnt vmcnt(16) lgkmcnt(1)
	v_mul_f64 v[75:76], v[69:70], v[77:78]
	v_mul_f64 v[77:78], v[71:72], v[77:78]
	s_waitcnt vmcnt(14)
	v_fma_f64 v[97:98], v[65:66], v[79:80], -v[97:98]
	v_fma_f64 v[73:74], v[67:68], v[79:80], v[73:74]
	ds_read_b128 v[65:68], v2 offset:880
	s_waitcnt vmcnt(10) lgkmcnt(1)
	v_mul_f64 v[79:80], v[61:62], v[81:82]
	v_add_f64 v[95:96], v[95:96], 0
	v_add_f64 v[3:4], v[3:4], 0
	v_mul_f64 v[81:82], v[63:64], v[81:82]
	s_waitcnt vmcnt(8)
	v_fma_f64 v[69:70], v[69:70], v[87:88], -v[77:78]
	v_fma_f64 v[71:72], v[71:72], v[87:88], v[75:76]
	s_waitcnt vmcnt(7) lgkmcnt(0)
	v_mul_f64 v[75:76], v[67:68], v[83:84]
	s_waitcnt vmcnt(5)
	v_fma_f64 v[63:64], v[63:64], v[89:90], v[79:80]
	v_add_f64 v[77:78], v[95:96], v[97:98]
	v_add_f64 v[3:4], v[3:4], v[73:74]
	v_fma_f64 v[61:62], v[61:62], v[89:90], -v[81:82]
	v_mul_f64 v[73:74], v[65:66], v[83:84]
	s_waitcnt vmcnt(4)
	v_fma_f64 v[65:66], v[65:66], v[85:86], -v[75:76]
	v_add_f64 v[69:70], v[77:78], v[69:70]
	v_add_f64 v[3:4], v[3:4], v[71:72]
	v_fma_f64 v[67:68], v[67:68], v[85:86], v[73:74]
	v_add_f64 v[61:62], v[69:70], v[61:62]
	v_add_f64 v[3:4], v[3:4], v[63:64]
	;; [unrolled: 1-line block ×4, first 2 shown]
	s_waitcnt vmcnt(2)
	v_add_f64 v[61:62], v[91:92], -v[61:62]
	s_waitcnt vmcnt(0)
	v_add_f64 v[3:4], v[93:94], -v[3:4]
	buffer_store_dword v62, off, s[0:3], 0 offset:372
	buffer_store_dword v61, off, s[0:3], 0 offset:368
	;; [unrolled: 1-line block ×4, first 2 shown]
	v_cmpx_lt_u32_e32 21, v0
	s_cbranch_execz .LBB91_139
; %bb.138:
	v_mov_b32_e32 v3, s18
	s_clause 0x3
	buffer_load_dword v61, v3, s[0:3], 0 offen
	buffer_load_dword v62, v3, s[0:3], 0 offen offset:4
	buffer_load_dword v63, v3, s[0:3], 0 offen offset:8
	;; [unrolled: 1-line block ×3, first 2 shown]
	buffer_store_dword v2, off, s[0:3], 0 offset:352
	buffer_store_dword v2, off, s[0:3], 0 offset:356
	;; [unrolled: 1-line block ×4, first 2 shown]
	s_waitcnt vmcnt(0)
	ds_write_b128 v1, v[61:64]
.LBB91_139:
	s_or_b32 exec_lo, exec_lo, s4
	s_waitcnt lgkmcnt(0)
	s_waitcnt_vscnt null, 0x0
	s_barrier
	buffer_gl0_inv
	s_clause 0x1b
	buffer_load_dword v3, off, s[0:3], 0 offset:376
	buffer_load_dword v4, off, s[0:3], 0 offset:380
	;; [unrolled: 1-line block ×28, first 2 shown]
	ds_read_b128 v[61:64], v2 offset:800
	ds_read_b128 v[65:68], v2 offset:816
	;; [unrolled: 1-line block ×3, first 2 shown]
	s_mov_b32 s4, exec_lo
	s_waitcnt vmcnt(26) lgkmcnt(2)
	v_mul_f64 v[99:100], v[63:64], v[3:4]
	v_mul_f64 v[3:4], v[61:62], v[3:4]
	s_waitcnt vmcnt(24) lgkmcnt(1)
	v_mul_f64 v[101:102], v[67:68], v[73:74]
	v_mul_f64 v[73:74], v[65:66], v[73:74]
	s_waitcnt vmcnt(22)
	v_fma_f64 v[99:100], v[61:62], v[75:76], -v[99:100]
	v_fma_f64 v[3:4], v[63:64], v[75:76], v[3:4]
	ds_read_b128 v[61:64], v2 offset:848
	s_waitcnt vmcnt(20) lgkmcnt(1)
	v_mul_f64 v[75:76], v[69:70], v[77:78]
	v_mul_f64 v[77:78], v[71:72], v[77:78]
	s_waitcnt vmcnt(18)
	v_fma_f64 v[101:102], v[65:66], v[79:80], -v[101:102]
	v_fma_f64 v[73:74], v[67:68], v[79:80], v[73:74]
	ds_read_b128 v[65:68], v2 offset:864
	s_waitcnt vmcnt(14) lgkmcnt(1)
	v_mul_f64 v[79:80], v[61:62], v[81:82]
	v_add_f64 v[99:100], v[99:100], 0
	v_add_f64 v[3:4], v[3:4], 0
	v_mul_f64 v[81:82], v[63:64], v[81:82]
	s_waitcnt vmcnt(12)
	v_fma_f64 v[77:78], v[69:70], v[87:88], -v[77:78]
	v_fma_f64 v[75:76], v[71:72], v[87:88], v[75:76]
	ds_read_b128 v[69:72], v2 offset:880
	s_waitcnt vmcnt(9)
	v_fma_f64 v[63:64], v[63:64], v[89:90], v[79:80]
	v_add_f64 v[99:100], v[99:100], v[101:102]
	v_add_f64 v[3:4], v[3:4], v[73:74]
	s_waitcnt lgkmcnt(1)
	v_mul_f64 v[73:74], v[65:66], v[83:84]
	v_mul_f64 v[83:84], v[67:68], v[83:84]
	v_fma_f64 v[61:62], v[61:62], v[89:90], -v[81:82]
	s_waitcnt vmcnt(7) lgkmcnt(0)
	v_mul_f64 v[79:80], v[71:72], v[91:92]
	v_add_f64 v[77:78], v[99:100], v[77:78]
	v_add_f64 v[2:3], v[3:4], v[75:76]
	v_mul_f64 v[75:76], v[69:70], v[91:92]
	s_waitcnt vmcnt(6)
	v_fma_f64 v[65:66], v[65:66], v[85:86], -v[83:84]
	v_fma_f64 v[67:68], v[67:68], v[85:86], v[73:74]
	v_add_f64 v[61:62], v[77:78], v[61:62]
	v_add_f64 v[2:3], v[2:3], v[63:64]
	s_waitcnt vmcnt(4)
	v_fma_f64 v[63:64], v[69:70], v[93:94], -v[79:80]
	v_add_f64 v[61:62], v[61:62], v[65:66]
	v_fma_f64 v[65:66], v[71:72], v[93:94], v[75:76]
	v_add_f64 v[2:3], v[2:3], v[67:68]
	v_add_f64 v[61:62], v[61:62], v[63:64]
	v_add_f64 v[2:3], v[2:3], v[65:66]
	s_waitcnt vmcnt(2)
	v_add_f64 v[61:62], v[95:96], -v[61:62]
	s_waitcnt vmcnt(0)
	v_add_f64 v[2:3], v[97:98], -v[2:3]
	buffer_store_dword v62, off, s[0:3], 0 offset:356
	buffer_store_dword v61, off, s[0:3], 0 offset:352
	;; [unrolled: 1-line block ×4, first 2 shown]
	v_cmpx_lt_u32_e32 20, v0
	s_cbranch_execz .LBB91_141
; %bb.140:
	v_mov_b32_e32 v2, s19
	s_clause 0x3
	buffer_load_dword v61, v2, s[0:3], 0 offen
	buffer_load_dword v62, v2, s[0:3], 0 offen offset:4
	buffer_load_dword v63, v2, s[0:3], 0 offen offset:8
	;; [unrolled: 1-line block ×3, first 2 shown]
	v_mov_b32_e32 v2, 0
	buffer_store_dword v2, off, s[0:3], 0 offset:336
	buffer_store_dword v2, off, s[0:3], 0 offset:340
	;; [unrolled: 1-line block ×4, first 2 shown]
	s_waitcnt vmcnt(0)
	ds_write_b128 v1, v[61:64]
.LBB91_141:
	s_or_b32 exec_lo, exec_lo, s4
	s_waitcnt lgkmcnt(0)
	s_waitcnt_vscnt null, 0x0
	s_barrier
	buffer_gl0_inv
	s_clause 0x1f
	buffer_load_dword v3, off, s[0:3], 0 offset:360
	buffer_load_dword v4, off, s[0:3], 0 offset:364
	;; [unrolled: 1-line block ×32, first 2 shown]
	v_mov_b32_e32 v2, 0
	ds_read_b128 v[61:64], v2 offset:784
	ds_read_b128 v[65:68], v2 offset:800
	;; [unrolled: 1-line block ×3, first 2 shown]
	s_mov_b32 s4, exec_lo
	s_waitcnt vmcnt(30) lgkmcnt(2)
	v_mul_f64 v[103:104], v[63:64], v[3:4]
	v_mul_f64 v[3:4], v[61:62], v[3:4]
	s_waitcnt vmcnt(28) lgkmcnt(1)
	v_mul_f64 v[105:106], v[67:68], v[73:74]
	v_mul_f64 v[73:74], v[65:66], v[73:74]
	s_waitcnt vmcnt(26)
	v_fma_f64 v[103:104], v[61:62], v[75:76], -v[103:104]
	v_fma_f64 v[3:4], v[63:64], v[75:76], v[3:4]
	ds_read_b128 v[61:64], v2 offset:832
	s_waitcnt vmcnt(24) lgkmcnt(1)
	v_mul_f64 v[75:76], v[69:70], v[77:78]
	v_mul_f64 v[77:78], v[71:72], v[77:78]
	s_waitcnt vmcnt(22)
	v_fma_f64 v[105:106], v[65:66], v[79:80], -v[105:106]
	v_fma_f64 v[73:74], v[67:68], v[79:80], v[73:74]
	ds_read_b128 v[65:68], v2 offset:848
	s_waitcnt vmcnt(18) lgkmcnt(1)
	v_mul_f64 v[79:80], v[61:62], v[81:82]
	v_add_f64 v[103:104], v[103:104], 0
	v_add_f64 v[3:4], v[3:4], 0
	v_mul_f64 v[81:82], v[63:64], v[81:82]
	s_waitcnt vmcnt(16)
	v_fma_f64 v[77:78], v[69:70], v[87:88], -v[77:78]
	v_fma_f64 v[75:76], v[71:72], v[87:88], v[75:76]
	ds_read_b128 v[69:72], v2 offset:864
	s_waitcnt vmcnt(13)
	v_fma_f64 v[79:80], v[63:64], v[89:90], v[79:80]
	v_add_f64 v[103:104], v[103:104], v[105:106]
	v_add_f64 v[3:4], v[3:4], v[73:74]
	s_waitcnt lgkmcnt(1)
	v_mul_f64 v[73:74], v[65:66], v[83:84]
	v_mul_f64 v[83:84], v[67:68], v[83:84]
	v_fma_f64 v[81:82], v[61:62], v[89:90], -v[81:82]
	s_waitcnt vmcnt(9) lgkmcnt(0)
	v_mul_f64 v[87:88], v[71:72], v[91:92]
	ds_read_b128 v[61:64], v2 offset:880
	v_add_f64 v[77:78], v[103:104], v[77:78]
	v_add_f64 v[3:4], v[3:4], v[75:76]
	v_mul_f64 v[75:76], v[69:70], v[91:92]
	s_waitcnt vmcnt(8)
	v_fma_f64 v[65:66], v[65:66], v[85:86], -v[83:84]
	v_fma_f64 v[67:68], v[67:68], v[85:86], v[73:74]
	s_waitcnt vmcnt(5)
	v_fma_f64 v[69:70], v[69:70], v[97:98], -v[87:88]
	s_waitcnt lgkmcnt(0)
	v_mul_f64 v[73:74], v[61:62], v[93:94]
	v_add_f64 v[77:78], v[77:78], v[81:82]
	v_add_f64 v[3:4], v[3:4], v[79:80]
	v_mul_f64 v[79:80], v[63:64], v[93:94]
	v_fma_f64 v[71:72], v[71:72], v[97:98], v[75:76]
	s_waitcnt vmcnt(4)
	v_fma_f64 v[63:64], v[63:64], v[95:96], v[73:74]
	v_add_f64 v[65:66], v[77:78], v[65:66]
	v_add_f64 v[3:4], v[3:4], v[67:68]
	v_fma_f64 v[61:62], v[61:62], v[95:96], -v[79:80]
	v_add_f64 v[65:66], v[65:66], v[69:70]
	v_add_f64 v[3:4], v[3:4], v[71:72]
	;; [unrolled: 1-line block ×4, first 2 shown]
	s_waitcnt vmcnt(2)
	v_add_f64 v[61:62], v[99:100], -v[61:62]
	s_waitcnt vmcnt(0)
	v_add_f64 v[3:4], v[101:102], -v[3:4]
	buffer_store_dword v62, off, s[0:3], 0 offset:340
	buffer_store_dword v61, off, s[0:3], 0 offset:336
	;; [unrolled: 1-line block ×4, first 2 shown]
	v_cmpx_lt_u32_e32 19, v0
	s_cbranch_execz .LBB91_143
; %bb.142:
	v_mov_b32_e32 v3, s20
	s_clause 0x3
	buffer_load_dword v61, v3, s[0:3], 0 offen
	buffer_load_dword v62, v3, s[0:3], 0 offen offset:4
	buffer_load_dword v63, v3, s[0:3], 0 offen offset:8
	;; [unrolled: 1-line block ×3, first 2 shown]
	buffer_store_dword v2, off, s[0:3], 0 offset:320
	buffer_store_dword v2, off, s[0:3], 0 offset:324
	;; [unrolled: 1-line block ×4, first 2 shown]
	s_waitcnt vmcnt(0)
	ds_write_b128 v1, v[61:64]
.LBB91_143:
	s_or_b32 exec_lo, exec_lo, s4
	s_waitcnt lgkmcnt(0)
	s_waitcnt_vscnt null, 0x0
	s_barrier
	buffer_gl0_inv
	s_clause 0x23
	buffer_load_dword v3, off, s[0:3], 0 offset:344
	buffer_load_dword v4, off, s[0:3], 0 offset:348
	buffer_load_dword v73, off, s[0:3], 0 offset:360
	buffer_load_dword v74, off, s[0:3], 0 offset:364
	buffer_load_dword v75, off, s[0:3], 0 offset:336
	buffer_load_dword v76, off, s[0:3], 0 offset:340
	buffer_load_dword v77, off, s[0:3], 0 offset:376
	buffer_load_dword v78, off, s[0:3], 0 offset:380
	buffer_load_dword v79, off, s[0:3], 0 offset:352
	buffer_load_dword v80, off, s[0:3], 0 offset:356
	buffer_load_dword v82, off, s[0:3], 0 offset:396
	buffer_load_dword v83, off, s[0:3], 0 offset:408
	buffer_load_dword v85, off, s[0:3], 0 offset:400
	buffer_load_dword v81, off, s[0:3], 0 offset:392
	buffer_load_dword v87, off, s[0:3], 0 offset:368
	buffer_load_dword v88, off, s[0:3], 0 offset:372
	buffer_load_dword v84, off, s[0:3], 0 offset:412
	buffer_load_dword v90, off, s[0:3], 0 offset:388
	buffer_load_dword v89, off, s[0:3], 0 offset:384
	buffer_load_dword v92, off, s[0:3], 0 offset:428
	buffer_load_dword v93, off, s[0:3], 0 offset:440
	buffer_load_dword v95, off, s[0:3], 0 offset:432
	buffer_load_dword v91, off, s[0:3], 0 offset:424
	buffer_load_dword v86, off, s[0:3], 0 offset:404
	buffer_load_dword v94, off, s[0:3], 0 offset:444
	buffer_load_dword v98, off, s[0:3], 0 offset:420
	buffer_load_dword v97, off, s[0:3], 0 offset:416
	buffer_load_dword v100, off, s[0:3], 0 offset:460
	buffer_load_dword v99, off, s[0:3], 0 offset:456
	buffer_load_dword v96, off, s[0:3], 0 offset:436
	buffer_load_dword v102, off, s[0:3], 0 offset:452
	buffer_load_dword v101, off, s[0:3], 0 offset:448
	buffer_load_dword v103, off, s[0:3], 0 offset:320
	buffer_load_dword v104, off, s[0:3], 0 offset:324
	buffer_load_dword v105, off, s[0:3], 0 offset:328
	buffer_load_dword v106, off, s[0:3], 0 offset:332
	ds_read_b128 v[61:64], v2 offset:768
	ds_read_b128 v[65:68], v2 offset:784
	;; [unrolled: 1-line block ×3, first 2 shown]
	s_mov_b32 s4, exec_lo
	s_waitcnt vmcnt(34) lgkmcnt(2)
	v_mul_f64 v[107:108], v[63:64], v[3:4]
	v_mul_f64 v[3:4], v[61:62], v[3:4]
	s_waitcnt vmcnt(32) lgkmcnt(1)
	v_mul_f64 v[109:110], v[67:68], v[73:74]
	v_mul_f64 v[73:74], v[65:66], v[73:74]
	s_waitcnt vmcnt(30)
	v_fma_f64 v[107:108], v[61:62], v[75:76], -v[107:108]
	v_fma_f64 v[3:4], v[63:64], v[75:76], v[3:4]
	ds_read_b128 v[61:64], v2 offset:816
	s_waitcnt vmcnt(28) lgkmcnt(1)
	v_mul_f64 v[75:76], v[69:70], v[77:78]
	v_mul_f64 v[77:78], v[71:72], v[77:78]
	s_waitcnt vmcnt(26)
	v_fma_f64 v[109:110], v[65:66], v[79:80], -v[109:110]
	v_fma_f64 v[73:74], v[67:68], v[79:80], v[73:74]
	ds_read_b128 v[65:68], v2 offset:832
	s_waitcnt vmcnt(22) lgkmcnt(1)
	v_mul_f64 v[79:80], v[61:62], v[81:82]
	v_add_f64 v[107:108], v[107:108], 0
	v_add_f64 v[3:4], v[3:4], 0
	v_mul_f64 v[81:82], v[63:64], v[81:82]
	s_waitcnt vmcnt(20)
	v_fma_f64 v[77:78], v[69:70], v[87:88], -v[77:78]
	v_fma_f64 v[75:76], v[71:72], v[87:88], v[75:76]
	ds_read_b128 v[69:72], v2 offset:848
	s_waitcnt vmcnt(17)
	v_fma_f64 v[79:80], v[63:64], v[89:90], v[79:80]
	v_add_f64 v[107:108], v[107:108], v[109:110]
	v_add_f64 v[3:4], v[3:4], v[73:74]
	s_waitcnt lgkmcnt(1)
	v_mul_f64 v[73:74], v[65:66], v[83:84]
	v_mul_f64 v[83:84], v[67:68], v[83:84]
	v_fma_f64 v[81:82], v[61:62], v[89:90], -v[81:82]
	s_waitcnt vmcnt(13) lgkmcnt(0)
	v_mul_f64 v[87:88], v[71:72], v[91:92]
	ds_read_b128 v[61:64], v2 offset:864
	v_add_f64 v[77:78], v[107:108], v[77:78]
	v_add_f64 v[3:4], v[3:4], v[75:76]
	v_mul_f64 v[75:76], v[69:70], v[91:92]
	s_waitcnt vmcnt(12)
	v_fma_f64 v[83:84], v[65:66], v[85:86], -v[83:84]
	v_fma_f64 v[73:74], v[67:68], v[85:86], v[73:74]
	ds_read_b128 v[65:68], v2 offset:880
	s_waitcnt vmcnt(9)
	v_fma_f64 v[69:70], v[69:70], v[97:98], -v[87:88]
	v_add_f64 v[77:78], v[77:78], v[81:82]
	v_add_f64 v[3:4], v[3:4], v[79:80]
	s_waitcnt lgkmcnt(1)
	v_mul_f64 v[81:82], v[63:64], v[93:94]
	v_mul_f64 v[79:80], v[61:62], v[93:94]
	v_fma_f64 v[71:72], v[71:72], v[97:98], v[75:76]
	s_waitcnt vmcnt(7) lgkmcnt(0)
	v_mul_f64 v[75:76], v[67:68], v[99:100]
	v_add_f64 v[77:78], v[77:78], v[83:84]
	v_add_f64 v[2:3], v[3:4], v[73:74]
	s_waitcnt vmcnt(6)
	v_fma_f64 v[61:62], v[61:62], v[95:96], -v[81:82]
	v_mul_f64 v[73:74], v[65:66], v[99:100]
	v_fma_f64 v[63:64], v[63:64], v[95:96], v[79:80]
	s_waitcnt vmcnt(4)
	v_fma_f64 v[65:66], v[65:66], v[101:102], -v[75:76]
	v_add_f64 v[69:70], v[77:78], v[69:70]
	v_add_f64 v[2:3], v[2:3], v[71:72]
	v_fma_f64 v[67:68], v[67:68], v[101:102], v[73:74]
	v_add_f64 v[61:62], v[69:70], v[61:62]
	v_add_f64 v[2:3], v[2:3], v[63:64]
	;; [unrolled: 1-line block ×4, first 2 shown]
	s_waitcnt vmcnt(2)
	v_add_f64 v[61:62], v[103:104], -v[61:62]
	s_waitcnt vmcnt(0)
	v_add_f64 v[2:3], v[105:106], -v[2:3]
	buffer_store_dword v62, off, s[0:3], 0 offset:324
	buffer_store_dword v61, off, s[0:3], 0 offset:320
	;; [unrolled: 1-line block ×4, first 2 shown]
	v_cmpx_lt_u32_e32 18, v0
	s_cbranch_execz .LBB91_145
; %bb.144:
	v_mov_b32_e32 v2, s21
	s_clause 0x3
	buffer_load_dword v61, v2, s[0:3], 0 offen
	buffer_load_dword v62, v2, s[0:3], 0 offen offset:4
	buffer_load_dword v63, v2, s[0:3], 0 offen offset:8
	;; [unrolled: 1-line block ×3, first 2 shown]
	v_mov_b32_e32 v2, 0
	buffer_store_dword v2, off, s[0:3], 0 offset:304
	buffer_store_dword v2, off, s[0:3], 0 offset:308
	;; [unrolled: 1-line block ×4, first 2 shown]
	s_waitcnt vmcnt(0)
	ds_write_b128 v1, v[61:64]
.LBB91_145:
	s_or_b32 exec_lo, exec_lo, s4
	s_waitcnt lgkmcnt(0)
	s_waitcnt_vscnt null, 0x0
	s_barrier
	buffer_gl0_inv
	s_clause 0x27
	buffer_load_dword v3, off, s[0:3], 0 offset:328
	buffer_load_dword v4, off, s[0:3], 0 offset:332
	;; [unrolled: 1-line block ×40, first 2 shown]
	v_mov_b32_e32 v2, 0
	ds_read_b128 v[61:64], v2 offset:752
	ds_read_b128 v[65:68], v2 offset:768
	;; [unrolled: 1-line block ×3, first 2 shown]
	s_mov_b32 s4, exec_lo
	s_waitcnt vmcnt(38) lgkmcnt(2)
	v_mul_f64 v[111:112], v[63:64], v[3:4]
	v_mul_f64 v[3:4], v[61:62], v[3:4]
	s_waitcnt vmcnt(36) lgkmcnt(1)
	v_mul_f64 v[113:114], v[67:68], v[73:74]
	v_mul_f64 v[73:74], v[65:66], v[73:74]
	s_waitcnt vmcnt(34)
	v_fma_f64 v[111:112], v[61:62], v[75:76], -v[111:112]
	v_fma_f64 v[3:4], v[63:64], v[75:76], v[3:4]
	ds_read_b128 v[61:64], v2 offset:800
	s_waitcnt vmcnt(32) lgkmcnt(1)
	v_mul_f64 v[75:76], v[69:70], v[77:78]
	v_mul_f64 v[77:78], v[71:72], v[77:78]
	s_waitcnt vmcnt(30)
	v_fma_f64 v[113:114], v[65:66], v[79:80], -v[113:114]
	v_fma_f64 v[73:74], v[67:68], v[79:80], v[73:74]
	ds_read_b128 v[65:68], v2 offset:816
	s_waitcnt vmcnt(26) lgkmcnt(1)
	v_mul_f64 v[79:80], v[61:62], v[81:82]
	v_add_f64 v[111:112], v[111:112], 0
	v_add_f64 v[3:4], v[3:4], 0
	v_mul_f64 v[81:82], v[63:64], v[81:82]
	s_waitcnt vmcnt(24)
	v_fma_f64 v[77:78], v[69:70], v[87:88], -v[77:78]
	v_fma_f64 v[75:76], v[71:72], v[87:88], v[75:76]
	ds_read_b128 v[69:72], v2 offset:832
	s_waitcnt vmcnt(21)
	v_fma_f64 v[79:80], v[63:64], v[89:90], v[79:80]
	v_add_f64 v[111:112], v[111:112], v[113:114]
	v_add_f64 v[3:4], v[3:4], v[73:74]
	s_waitcnt lgkmcnt(1)
	v_mul_f64 v[73:74], v[65:66], v[83:84]
	v_mul_f64 v[83:84], v[67:68], v[83:84]
	v_fma_f64 v[81:82], v[61:62], v[89:90], -v[81:82]
	s_waitcnt vmcnt(17) lgkmcnt(0)
	v_mul_f64 v[87:88], v[71:72], v[91:92]
	ds_read_b128 v[61:64], v2 offset:848
	v_add_f64 v[77:78], v[111:112], v[77:78]
	v_add_f64 v[3:4], v[3:4], v[75:76]
	v_mul_f64 v[75:76], v[69:70], v[91:92]
	s_waitcnt vmcnt(16)
	v_fma_f64 v[83:84], v[65:66], v[85:86], -v[83:84]
	v_fma_f64 v[73:74], v[67:68], v[85:86], v[73:74]
	ds_read_b128 v[65:68], v2 offset:864
	s_waitcnt vmcnt(13)
	v_fma_f64 v[85:86], v[69:70], v[97:98], -v[87:88]
	v_add_f64 v[77:78], v[77:78], v[81:82]
	v_add_f64 v[3:4], v[3:4], v[79:80]
	s_waitcnt lgkmcnt(1)
	v_mul_f64 v[81:82], v[63:64], v[93:94]
	v_mul_f64 v[79:80], v[61:62], v[93:94]
	v_fma_f64 v[75:76], v[71:72], v[97:98], v[75:76]
	ds_read_b128 v[69:72], v2 offset:880
	v_add_f64 v[77:78], v[77:78], v[83:84]
	v_add_f64 v[3:4], v[3:4], v[73:74]
	s_waitcnt vmcnt(9) lgkmcnt(1)
	v_mul_f64 v[83:84], v[67:68], v[99:100]
	s_waitcnt vmcnt(8)
	v_fma_f64 v[61:62], v[61:62], v[95:96], -v[81:82]
	v_mul_f64 v[73:74], v[65:66], v[99:100]
	v_fma_f64 v[63:64], v[63:64], v[95:96], v[79:80]
	s_waitcnt vmcnt(7) lgkmcnt(0)
	v_mul_f64 v[79:80], v[71:72], v[101:102]
	v_add_f64 v[77:78], v[77:78], v[85:86]
	v_add_f64 v[3:4], v[3:4], v[75:76]
	s_waitcnt vmcnt(5)
	v_fma_f64 v[65:66], v[65:66], v[105:106], -v[83:84]
	v_mul_f64 v[75:76], v[69:70], v[101:102]
	v_fma_f64 v[67:68], v[67:68], v[105:106], v[73:74]
	v_add_f64 v[61:62], v[77:78], v[61:62]
	v_add_f64 v[3:4], v[3:4], v[63:64]
	s_waitcnt vmcnt(4)
	v_fma_f64 v[63:64], v[69:70], v[103:104], -v[79:80]
	v_add_f64 v[61:62], v[61:62], v[65:66]
	v_fma_f64 v[65:66], v[71:72], v[103:104], v[75:76]
	v_add_f64 v[3:4], v[3:4], v[67:68]
	v_add_f64 v[61:62], v[61:62], v[63:64]
	;; [unrolled: 1-line block ×3, first 2 shown]
	s_waitcnt vmcnt(2)
	v_add_f64 v[61:62], v[107:108], -v[61:62]
	s_waitcnt vmcnt(0)
	v_add_f64 v[3:4], v[109:110], -v[3:4]
	buffer_store_dword v62, off, s[0:3], 0 offset:308
	buffer_store_dword v61, off, s[0:3], 0 offset:304
	;; [unrolled: 1-line block ×4, first 2 shown]
	v_cmpx_lt_u32_e32 17, v0
	s_cbranch_execz .LBB91_147
; %bb.146:
	v_mov_b32_e32 v3, s22
	s_clause 0x3
	buffer_load_dword v61, v3, s[0:3], 0 offen
	buffer_load_dword v62, v3, s[0:3], 0 offen offset:4
	buffer_load_dword v63, v3, s[0:3], 0 offen offset:8
	;; [unrolled: 1-line block ×3, first 2 shown]
	buffer_store_dword v2, off, s[0:3], 0 offset:288
	buffer_store_dword v2, off, s[0:3], 0 offset:292
	;; [unrolled: 1-line block ×4, first 2 shown]
	s_waitcnt vmcnt(0)
	ds_write_b128 v1, v[61:64]
.LBB91_147:
	s_or_b32 exec_lo, exec_lo, s4
	s_waitcnt lgkmcnt(0)
	s_waitcnt_vscnt null, 0x0
	s_barrier
	buffer_gl0_inv
	s_clause 0x2b
	buffer_load_dword v3, off, s[0:3], 0 offset:312
	buffer_load_dword v4, off, s[0:3], 0 offset:316
	;; [unrolled: 1-line block ×44, first 2 shown]
	ds_read_b128 v[61:64], v2 offset:736
	ds_read_b128 v[65:68], v2 offset:752
	;; [unrolled: 1-line block ×3, first 2 shown]
	s_mov_b32 s4, exec_lo
	s_waitcnt vmcnt(42) lgkmcnt(2)
	v_mul_f64 v[115:116], v[63:64], v[3:4]
	v_mul_f64 v[3:4], v[61:62], v[3:4]
	s_waitcnt vmcnt(40) lgkmcnt(1)
	v_mul_f64 v[117:118], v[67:68], v[73:74]
	v_mul_f64 v[73:74], v[65:66], v[73:74]
	s_waitcnt vmcnt(38)
	v_fma_f64 v[115:116], v[61:62], v[75:76], -v[115:116]
	v_fma_f64 v[3:4], v[63:64], v[75:76], v[3:4]
	ds_read_b128 v[61:64], v2 offset:784
	s_waitcnt vmcnt(36) lgkmcnt(1)
	v_mul_f64 v[75:76], v[69:70], v[77:78]
	v_mul_f64 v[77:78], v[71:72], v[77:78]
	s_waitcnt vmcnt(34)
	v_fma_f64 v[117:118], v[65:66], v[79:80], -v[117:118]
	v_fma_f64 v[73:74], v[67:68], v[79:80], v[73:74]
	ds_read_b128 v[65:68], v2 offset:800
	s_waitcnt vmcnt(30) lgkmcnt(1)
	v_mul_f64 v[79:80], v[61:62], v[81:82]
	v_add_f64 v[115:116], v[115:116], 0
	v_add_f64 v[3:4], v[3:4], 0
	v_mul_f64 v[81:82], v[63:64], v[81:82]
	s_waitcnt vmcnt(28)
	v_fma_f64 v[77:78], v[69:70], v[87:88], -v[77:78]
	v_fma_f64 v[75:76], v[71:72], v[87:88], v[75:76]
	ds_read_b128 v[69:72], v2 offset:816
	s_waitcnt vmcnt(25)
	v_fma_f64 v[79:80], v[63:64], v[89:90], v[79:80]
	v_add_f64 v[115:116], v[115:116], v[117:118]
	v_add_f64 v[3:4], v[3:4], v[73:74]
	s_waitcnt lgkmcnt(1)
	v_mul_f64 v[73:74], v[65:66], v[83:84]
	v_mul_f64 v[83:84], v[67:68], v[83:84]
	v_fma_f64 v[81:82], v[61:62], v[89:90], -v[81:82]
	s_waitcnt vmcnt(21) lgkmcnt(0)
	v_mul_f64 v[87:88], v[71:72], v[91:92]
	ds_read_b128 v[61:64], v2 offset:832
	v_add_f64 v[77:78], v[115:116], v[77:78]
	v_add_f64 v[3:4], v[3:4], v[75:76]
	v_mul_f64 v[75:76], v[69:70], v[91:92]
	s_waitcnt vmcnt(20)
	v_fma_f64 v[83:84], v[65:66], v[85:86], -v[83:84]
	v_fma_f64 v[73:74], v[67:68], v[85:86], v[73:74]
	ds_read_b128 v[65:68], v2 offset:848
	s_waitcnt vmcnt(17)
	v_fma_f64 v[85:86], v[69:70], v[97:98], -v[87:88]
	v_add_f64 v[77:78], v[77:78], v[81:82]
	v_add_f64 v[3:4], v[3:4], v[79:80]
	s_waitcnt lgkmcnt(1)
	v_mul_f64 v[81:82], v[63:64], v[93:94]
	v_mul_f64 v[79:80], v[61:62], v[93:94]
	v_fma_f64 v[75:76], v[71:72], v[97:98], v[75:76]
	ds_read_b128 v[69:72], v2 offset:864
	v_add_f64 v[77:78], v[77:78], v[83:84]
	v_add_f64 v[3:4], v[3:4], v[73:74]
	s_waitcnt vmcnt(13) lgkmcnt(1)
	v_mul_f64 v[83:84], v[67:68], v[99:100]
	s_waitcnt vmcnt(12)
	v_fma_f64 v[81:82], v[61:62], v[95:96], -v[81:82]
	v_mul_f64 v[73:74], v[65:66], v[99:100]
	v_fma_f64 v[79:80], v[63:64], v[95:96], v[79:80]
	ds_read_b128 v[61:64], v2 offset:880
	v_add_f64 v[77:78], v[77:78], v[85:86]
	v_add_f64 v[3:4], v[3:4], v[75:76]
	s_waitcnt vmcnt(11) lgkmcnt(1)
	v_mul_f64 v[85:86], v[71:72], v[101:102]
	s_waitcnt vmcnt(9)
	v_fma_f64 v[65:66], v[65:66], v[105:106], -v[83:84]
	v_mul_f64 v[75:76], v[69:70], v[101:102]
	v_fma_f64 v[67:68], v[67:68], v[105:106], v[73:74]
	s_waitcnt vmcnt(7) lgkmcnt(0)
	v_mul_f64 v[73:74], v[61:62], v[107:108]
	v_add_f64 v[77:78], v[77:78], v[81:82]
	v_add_f64 v[2:3], v[3:4], v[79:80]
	v_mul_f64 v[79:80], v[63:64], v[107:108]
	s_waitcnt vmcnt(6)
	v_fma_f64 v[69:70], v[69:70], v[103:104], -v[85:86]
	v_fma_f64 v[71:72], v[71:72], v[103:104], v[75:76]
	s_waitcnt vmcnt(4)
	v_fma_f64 v[63:64], v[63:64], v[109:110], v[73:74]
	v_add_f64 v[65:66], v[77:78], v[65:66]
	v_add_f64 v[2:3], v[2:3], v[67:68]
	v_fma_f64 v[61:62], v[61:62], v[109:110], -v[79:80]
	v_add_f64 v[65:66], v[65:66], v[69:70]
	v_add_f64 v[2:3], v[2:3], v[71:72]
	;; [unrolled: 1-line block ×4, first 2 shown]
	s_waitcnt vmcnt(2)
	v_add_f64 v[61:62], v[111:112], -v[61:62]
	s_waitcnt vmcnt(0)
	v_add_f64 v[2:3], v[113:114], -v[2:3]
	buffer_store_dword v62, off, s[0:3], 0 offset:292
	buffer_store_dword v61, off, s[0:3], 0 offset:288
	;; [unrolled: 1-line block ×4, first 2 shown]
	v_cmpx_lt_u32_e32 16, v0
	s_cbranch_execz .LBB91_149
; %bb.148:
	v_mov_b32_e32 v2, s23
	s_clause 0x3
	buffer_load_dword v61, v2, s[0:3], 0 offen
	buffer_load_dword v62, v2, s[0:3], 0 offen offset:4
	buffer_load_dword v63, v2, s[0:3], 0 offen offset:8
	;; [unrolled: 1-line block ×3, first 2 shown]
	v_mov_b32_e32 v2, 0
	buffer_store_dword v2, off, s[0:3], 0 offset:272
	buffer_store_dword v2, off, s[0:3], 0 offset:276
	;; [unrolled: 1-line block ×4, first 2 shown]
	s_waitcnt vmcnt(0)
	ds_write_b128 v1, v[61:64]
.LBB91_149:
	s_or_b32 exec_lo, exec_lo, s4
	s_waitcnt lgkmcnt(0)
	s_waitcnt_vscnt null, 0x0
	s_barrier
	buffer_gl0_inv
	s_clause 0x2f
	buffer_load_dword v3, off, s[0:3], 0 offset:296
	buffer_load_dword v4, off, s[0:3], 0 offset:300
	;; [unrolled: 1-line block ×48, first 2 shown]
	v_mov_b32_e32 v2, 0
	ds_read_b128 v[61:64], v2 offset:720
	ds_read_b128 v[65:68], v2 offset:736
	;; [unrolled: 1-line block ×3, first 2 shown]
	s_mov_b32 s4, exec_lo
	s_waitcnt vmcnt(46) lgkmcnt(2)
	v_mul_f64 v[119:120], v[63:64], v[3:4]
	v_mul_f64 v[3:4], v[61:62], v[3:4]
	s_waitcnt vmcnt(44) lgkmcnt(1)
	v_mul_f64 v[121:122], v[67:68], v[73:74]
	v_mul_f64 v[73:74], v[65:66], v[73:74]
	s_waitcnt vmcnt(42)
	v_fma_f64 v[119:120], v[61:62], v[75:76], -v[119:120]
	v_fma_f64 v[3:4], v[63:64], v[75:76], v[3:4]
	ds_read_b128 v[61:64], v2 offset:768
	s_waitcnt vmcnt(40) lgkmcnt(1)
	v_mul_f64 v[75:76], v[69:70], v[77:78]
	v_mul_f64 v[77:78], v[71:72], v[77:78]
	s_waitcnt vmcnt(38)
	v_fma_f64 v[121:122], v[65:66], v[79:80], -v[121:122]
	v_fma_f64 v[73:74], v[67:68], v[79:80], v[73:74]
	ds_read_b128 v[65:68], v2 offset:784
	s_waitcnt vmcnt(34) lgkmcnt(1)
	v_mul_f64 v[79:80], v[61:62], v[81:82]
	v_add_f64 v[119:120], v[119:120], 0
	v_add_f64 v[3:4], v[3:4], 0
	v_mul_f64 v[81:82], v[63:64], v[81:82]
	s_waitcnt vmcnt(32)
	v_fma_f64 v[77:78], v[69:70], v[87:88], -v[77:78]
	v_fma_f64 v[75:76], v[71:72], v[87:88], v[75:76]
	ds_read_b128 v[69:72], v2 offset:800
	s_waitcnt vmcnt(29)
	v_fma_f64 v[79:80], v[63:64], v[89:90], v[79:80]
	v_add_f64 v[119:120], v[119:120], v[121:122]
	v_add_f64 v[3:4], v[3:4], v[73:74]
	s_waitcnt lgkmcnt(1)
	v_mul_f64 v[73:74], v[65:66], v[83:84]
	v_mul_f64 v[83:84], v[67:68], v[83:84]
	v_fma_f64 v[81:82], v[61:62], v[89:90], -v[81:82]
	s_waitcnt vmcnt(25) lgkmcnt(0)
	v_mul_f64 v[87:88], v[71:72], v[91:92]
	ds_read_b128 v[61:64], v2 offset:816
	v_add_f64 v[77:78], v[119:120], v[77:78]
	v_add_f64 v[3:4], v[3:4], v[75:76]
	v_mul_f64 v[75:76], v[69:70], v[91:92]
	s_waitcnt vmcnt(24)
	v_fma_f64 v[83:84], v[65:66], v[85:86], -v[83:84]
	v_fma_f64 v[73:74], v[67:68], v[85:86], v[73:74]
	ds_read_b128 v[65:68], v2 offset:832
	s_waitcnt vmcnt(21)
	v_fma_f64 v[85:86], v[69:70], v[97:98], -v[87:88]
	v_add_f64 v[77:78], v[77:78], v[81:82]
	v_add_f64 v[3:4], v[3:4], v[79:80]
	s_waitcnt lgkmcnt(1)
	v_mul_f64 v[81:82], v[63:64], v[93:94]
	v_mul_f64 v[79:80], v[61:62], v[93:94]
	v_fma_f64 v[75:76], v[71:72], v[97:98], v[75:76]
	ds_read_b128 v[69:72], v2 offset:848
	v_add_f64 v[77:78], v[77:78], v[83:84]
	v_add_f64 v[3:4], v[3:4], v[73:74]
	s_waitcnt vmcnt(17) lgkmcnt(1)
	v_mul_f64 v[83:84], v[67:68], v[99:100]
	s_waitcnt vmcnt(16)
	v_fma_f64 v[81:82], v[61:62], v[95:96], -v[81:82]
	v_mul_f64 v[73:74], v[65:66], v[99:100]
	v_fma_f64 v[79:80], v[63:64], v[95:96], v[79:80]
	ds_read_b128 v[61:64], v2 offset:864
	v_add_f64 v[77:78], v[77:78], v[85:86]
	v_add_f64 v[3:4], v[3:4], v[75:76]
	s_waitcnt vmcnt(15) lgkmcnt(1)
	v_mul_f64 v[85:86], v[71:72], v[101:102]
	s_waitcnt vmcnt(13)
	v_fma_f64 v[83:84], v[65:66], v[105:106], -v[83:84]
	;; [unrolled: 9-line block ×3, first 2 shown]
	v_mul_f64 v[79:80], v[61:62], v[107:108]
	v_fma_f64 v[71:72], v[71:72], v[103:104], v[75:76]
	s_waitcnt vmcnt(7) lgkmcnt(0)
	v_mul_f64 v[75:76], v[67:68], v[109:110]
	v_add_f64 v[77:78], v[77:78], v[83:84]
	v_add_f64 v[3:4], v[3:4], v[73:74]
	s_waitcnt vmcnt(5)
	v_fma_f64 v[61:62], v[61:62], v[113:114], -v[81:82]
	v_mul_f64 v[73:74], v[65:66], v[109:110]
	v_fma_f64 v[63:64], v[63:64], v[113:114], v[79:80]
	s_waitcnt vmcnt(4)
	v_fma_f64 v[65:66], v[65:66], v[111:112], -v[75:76]
	v_add_f64 v[69:70], v[77:78], v[69:70]
	v_add_f64 v[3:4], v[3:4], v[71:72]
	v_fma_f64 v[67:68], v[67:68], v[111:112], v[73:74]
	v_add_f64 v[61:62], v[69:70], v[61:62]
	v_add_f64 v[3:4], v[3:4], v[63:64]
	;; [unrolled: 1-line block ×4, first 2 shown]
	s_waitcnt vmcnt(2)
	v_add_f64 v[61:62], v[115:116], -v[61:62]
	s_waitcnt vmcnt(0)
	v_add_f64 v[3:4], v[117:118], -v[3:4]
	buffer_store_dword v62, off, s[0:3], 0 offset:276
	buffer_store_dword v61, off, s[0:3], 0 offset:272
	;; [unrolled: 1-line block ×4, first 2 shown]
	v_cmpx_lt_u32_e32 15, v0
	s_cbranch_execz .LBB91_151
; %bb.150:
	v_mov_b32_e32 v3, s24
	s_clause 0x3
	buffer_load_dword v61, v3, s[0:3], 0 offen
	buffer_load_dword v62, v3, s[0:3], 0 offen offset:4
	buffer_load_dword v63, v3, s[0:3], 0 offen offset:8
	;; [unrolled: 1-line block ×3, first 2 shown]
	buffer_store_dword v2, off, s[0:3], 0 offset:256
	buffer_store_dword v2, off, s[0:3], 0 offset:260
	;; [unrolled: 1-line block ×4, first 2 shown]
	s_waitcnt vmcnt(0)
	ds_write_b128 v1, v[61:64]
.LBB91_151:
	s_or_b32 exec_lo, exec_lo, s4
	s_waitcnt lgkmcnt(0)
	s_waitcnt_vscnt null, 0x0
	s_barrier
	buffer_gl0_inv
	s_clause 0x2f
	buffer_load_dword v3, off, s[0:3], 0 offset:280
	buffer_load_dword v4, off, s[0:3], 0 offset:284
	;; [unrolled: 1-line block ×48, first 2 shown]
	ds_read_b128 v[61:64], v2 offset:704
	s_clause 0x3
	buffer_load_dword v119, off, s[0:3], 0 offset:256
	buffer_load_dword v120, off, s[0:3], 0 offset:260
	;; [unrolled: 1-line block ×4, first 2 shown]
	ds_read_b128 v[65:68], v2 offset:720
	ds_read_b128 v[69:72], v2 offset:736
	s_mov_b32 s4, exec_lo
	s_waitcnt vmcnt(50) lgkmcnt(2)
	v_mul_f64 v[123:124], v[63:64], v[3:4]
	v_mul_f64 v[3:4], v[61:62], v[3:4]
	s_waitcnt vmcnt(48) lgkmcnt(1)
	v_mul_f64 v[125:126], v[67:68], v[73:74]
	v_mul_f64 v[73:74], v[65:66], v[73:74]
	s_waitcnt vmcnt(46)
	v_fma_f64 v[123:124], v[61:62], v[75:76], -v[123:124]
	v_fma_f64 v[3:4], v[63:64], v[75:76], v[3:4]
	s_waitcnt vmcnt(44) lgkmcnt(0)
	v_mul_f64 v[75:76], v[69:70], v[77:78]
	v_mul_f64 v[77:78], v[71:72], v[77:78]
	s_waitcnt vmcnt(42)
	v_fma_f64 v[125:126], v[65:66], v[79:80], -v[125:126]
	ds_read_b128 v[61:64], v2 offset:752
	v_fma_f64 v[73:74], v[67:68], v[79:80], v[73:74]
	ds_read_b128 v[65:68], v2 offset:768
	v_add_f64 v[123:124], v[123:124], 0
	v_add_f64 v[3:4], v[3:4], 0
	s_waitcnt vmcnt(36)
	v_fma_f64 v[75:76], v[71:72], v[87:88], v[75:76]
	s_waitcnt lgkmcnt(1)
	v_mul_f64 v[79:80], v[61:62], v[81:82]
	v_mul_f64 v[81:82], v[63:64], v[81:82]
	v_fma_f64 v[77:78], v[69:70], v[87:88], -v[77:78]
	ds_read_b128 v[69:72], v2 offset:784
	v_add_f64 v[123:124], v[123:124], v[125:126]
	v_add_f64 v[3:4], v[3:4], v[73:74]
	s_waitcnt vmcnt(35) lgkmcnt(1)
	v_mul_f64 v[73:74], v[65:66], v[83:84]
	v_mul_f64 v[83:84], v[67:68], v[83:84]
	s_waitcnt vmcnt(33)
	v_fma_f64 v[81:82], v[61:62], v[89:90], -v[81:82]
	v_fma_f64 v[79:80], v[63:64], v[89:90], v[79:80]
	ds_read_b128 v[61:64], v2 offset:800
	s_waitcnt vmcnt(29) lgkmcnt(1)
	v_mul_f64 v[87:88], v[71:72], v[91:92]
	v_add_f64 v[77:78], v[123:124], v[77:78]
	v_add_f64 v[3:4], v[3:4], v[75:76]
	v_mul_f64 v[75:76], v[69:70], v[91:92]
	s_waitcnt vmcnt(28)
	v_fma_f64 v[83:84], v[65:66], v[85:86], -v[83:84]
	v_fma_f64 v[73:74], v[67:68], v[85:86], v[73:74]
	ds_read_b128 v[65:68], v2 offset:816
	s_waitcnt vmcnt(25)
	v_fma_f64 v[85:86], v[69:70], v[97:98], -v[87:88]
	v_add_f64 v[77:78], v[77:78], v[81:82]
	v_add_f64 v[3:4], v[3:4], v[79:80]
	s_waitcnt lgkmcnt(1)
	v_mul_f64 v[81:82], v[63:64], v[93:94]
	v_mul_f64 v[79:80], v[61:62], v[93:94]
	v_fma_f64 v[75:76], v[71:72], v[97:98], v[75:76]
	ds_read_b128 v[69:72], v2 offset:832
	v_add_f64 v[77:78], v[77:78], v[83:84]
	v_add_f64 v[3:4], v[3:4], v[73:74]
	s_waitcnt vmcnt(21) lgkmcnt(1)
	v_mul_f64 v[83:84], v[67:68], v[99:100]
	s_waitcnt vmcnt(20)
	v_fma_f64 v[81:82], v[61:62], v[95:96], -v[81:82]
	v_mul_f64 v[73:74], v[65:66], v[99:100]
	v_fma_f64 v[79:80], v[63:64], v[95:96], v[79:80]
	ds_read_b128 v[61:64], v2 offset:848
	v_add_f64 v[77:78], v[77:78], v[85:86]
	v_add_f64 v[3:4], v[3:4], v[75:76]
	s_waitcnt vmcnt(19) lgkmcnt(1)
	v_mul_f64 v[85:86], v[71:72], v[101:102]
	s_waitcnt vmcnt(17)
	v_fma_f64 v[83:84], v[65:66], v[105:106], -v[83:84]
	;; [unrolled: 9-line block ×4, first 2 shown]
	v_mul_f64 v[73:74], v[65:66], v[109:110]
	v_fma_f64 v[63:64], v[63:64], v[113:114], v[79:80]
	s_waitcnt vmcnt(7) lgkmcnt(0)
	v_mul_f64 v[79:80], v[71:72], v[115:116]
	v_add_f64 v[77:78], v[77:78], v[85:86]
	v_add_f64 v[2:3], v[3:4], v[75:76]
	s_waitcnt vmcnt(6)
	v_fma_f64 v[65:66], v[65:66], v[111:112], -v[83:84]
	v_mul_f64 v[75:76], v[69:70], v[115:116]
	v_fma_f64 v[67:68], v[67:68], v[111:112], v[73:74]
	v_add_f64 v[61:62], v[77:78], v[61:62]
	v_add_f64 v[2:3], v[2:3], v[63:64]
	s_waitcnt vmcnt(4)
	v_fma_f64 v[63:64], v[69:70], v[117:118], -v[79:80]
	v_add_f64 v[61:62], v[61:62], v[65:66]
	v_fma_f64 v[65:66], v[71:72], v[117:118], v[75:76]
	v_add_f64 v[2:3], v[2:3], v[67:68]
	v_add_f64 v[61:62], v[61:62], v[63:64]
	;; [unrolled: 1-line block ×3, first 2 shown]
	s_waitcnt vmcnt(2)
	v_add_f64 v[61:62], v[119:120], -v[61:62]
	s_waitcnt vmcnt(0)
	v_add_f64 v[2:3], v[121:122], -v[2:3]
	buffer_store_dword v62, off, s[0:3], 0 offset:260
	buffer_store_dword v61, off, s[0:3], 0 offset:256
	;; [unrolled: 1-line block ×4, first 2 shown]
	v_cmpx_lt_u32_e32 14, v0
	s_cbranch_execz .LBB91_153
; %bb.152:
	v_mov_b32_e32 v2, s25
	s_clause 0x3
	buffer_load_dword v61, v2, s[0:3], 0 offen
	buffer_load_dword v62, v2, s[0:3], 0 offen offset:4
	buffer_load_dword v63, v2, s[0:3], 0 offen offset:8
	;; [unrolled: 1-line block ×3, first 2 shown]
	v_mov_b32_e32 v2, 0
	buffer_store_dword v2, off, s[0:3], 0 offset:240
	buffer_store_dword v2, off, s[0:3], 0 offset:244
	;; [unrolled: 1-line block ×4, first 2 shown]
	s_waitcnt vmcnt(0)
	ds_write_b128 v1, v[61:64]
.LBB91_153:
	s_or_b32 exec_lo, exec_lo, s4
	s_waitcnt lgkmcnt(0)
	s_waitcnt_vscnt null, 0x0
	s_barrier
	buffer_gl0_inv
	s_clause 0x33
	buffer_load_dword v3, off, s[0:3], 0 offset:264
	buffer_load_dword v4, off, s[0:3], 0 offset:268
	;; [unrolled: 1-line block ×52, first 2 shown]
	v_mov_b32_e32 v2, 0
	ds_read_b128 v[61:64], v2 offset:688
	ds_read_b128 v[65:68], v2 offset:704
	s_clause 0x3
	buffer_load_dword v125, off, s[0:3], 0 offset:240
	buffer_load_dword v126, off, s[0:3], 0 offset:244
	;; [unrolled: 1-line block ×4, first 2 shown]
	ds_read_b128 v[69:72], v2 offset:720
	s_mov_b32 s4, exec_lo
	s_waitcnt vmcnt(54) lgkmcnt(2)
	v_mul_f64 v[123:124], v[63:64], v[3:4]
	v_mul_f64 v[3:4], v[61:62], v[3:4]
	s_waitcnt vmcnt(52) lgkmcnt(1)
	v_mul_f64 v[129:130], v[67:68], v[73:74]
	v_mul_f64 v[73:74], v[65:66], v[73:74]
	s_waitcnt vmcnt(50)
	v_fma_f64 v[123:124], v[61:62], v[75:76], -v[123:124]
	v_fma_f64 v[3:4], v[63:64], v[75:76], v[3:4]
	ds_read_b128 v[61:64], v2 offset:736
	s_waitcnt vmcnt(48) lgkmcnt(1)
	v_mul_f64 v[75:76], v[69:70], v[77:78]
	v_mul_f64 v[77:78], v[71:72], v[77:78]
	s_waitcnt vmcnt(46)
	v_fma_f64 v[129:130], v[65:66], v[79:80], -v[129:130]
	v_fma_f64 v[73:74], v[67:68], v[79:80], v[73:74]
	ds_read_b128 v[65:68], v2 offset:752
	s_waitcnt vmcnt(42) lgkmcnt(1)
	v_mul_f64 v[79:80], v[61:62], v[81:82]
	v_add_f64 v[123:124], v[123:124], 0
	v_add_f64 v[3:4], v[3:4], 0
	v_mul_f64 v[81:82], v[63:64], v[81:82]
	s_waitcnt vmcnt(40)
	v_fma_f64 v[77:78], v[69:70], v[87:88], -v[77:78]
	v_fma_f64 v[75:76], v[71:72], v[87:88], v[75:76]
	ds_read_b128 v[69:72], v2 offset:768
	s_waitcnt vmcnt(37)
	v_fma_f64 v[79:80], v[63:64], v[89:90], v[79:80]
	v_add_f64 v[123:124], v[123:124], v[129:130]
	v_add_f64 v[3:4], v[3:4], v[73:74]
	s_waitcnt lgkmcnt(1)
	v_mul_f64 v[73:74], v[65:66], v[83:84]
	v_mul_f64 v[83:84], v[67:68], v[83:84]
	v_fma_f64 v[81:82], v[61:62], v[89:90], -v[81:82]
	s_waitcnt vmcnt(33) lgkmcnt(0)
	v_mul_f64 v[87:88], v[71:72], v[91:92]
	ds_read_b128 v[61:64], v2 offset:784
	v_add_f64 v[77:78], v[123:124], v[77:78]
	v_add_f64 v[3:4], v[3:4], v[75:76]
	v_mul_f64 v[75:76], v[69:70], v[91:92]
	s_waitcnt vmcnt(32)
	v_fma_f64 v[83:84], v[65:66], v[85:86], -v[83:84]
	v_fma_f64 v[73:74], v[67:68], v[85:86], v[73:74]
	ds_read_b128 v[65:68], v2 offset:800
	s_waitcnt vmcnt(29)
	v_fma_f64 v[85:86], v[69:70], v[97:98], -v[87:88]
	v_add_f64 v[77:78], v[77:78], v[81:82]
	v_add_f64 v[3:4], v[3:4], v[79:80]
	s_waitcnt lgkmcnt(1)
	v_mul_f64 v[81:82], v[63:64], v[93:94]
	v_mul_f64 v[79:80], v[61:62], v[93:94]
	v_fma_f64 v[75:76], v[71:72], v[97:98], v[75:76]
	ds_read_b128 v[69:72], v2 offset:816
	v_add_f64 v[77:78], v[77:78], v[83:84]
	v_add_f64 v[3:4], v[3:4], v[73:74]
	s_waitcnt vmcnt(25) lgkmcnt(1)
	v_mul_f64 v[83:84], v[67:68], v[99:100]
	s_waitcnt vmcnt(24)
	v_fma_f64 v[81:82], v[61:62], v[95:96], -v[81:82]
	v_mul_f64 v[73:74], v[65:66], v[99:100]
	v_fma_f64 v[79:80], v[63:64], v[95:96], v[79:80]
	ds_read_b128 v[61:64], v2 offset:832
	v_add_f64 v[77:78], v[77:78], v[85:86]
	v_add_f64 v[3:4], v[3:4], v[75:76]
	s_waitcnt vmcnt(23) lgkmcnt(1)
	v_mul_f64 v[85:86], v[71:72], v[101:102]
	s_waitcnt vmcnt(21)
	v_fma_f64 v[83:84], v[65:66], v[105:106], -v[83:84]
	;; [unrolled: 9-line block ×5, first 2 shown]
	v_mul_f64 v[75:76], v[69:70], v[115:116]
	v_fma_f64 v[67:68], v[67:68], v[111:112], v[73:74]
	s_waitcnt vmcnt(7) lgkmcnt(0)
	v_mul_f64 v[73:74], v[61:62], v[117:118]
	v_add_f64 v[77:78], v[77:78], v[81:82]
	v_add_f64 v[3:4], v[3:4], v[79:80]
	v_mul_f64 v[79:80], v[63:64], v[117:118]
	s_waitcnt vmcnt(5)
	v_fma_f64 v[69:70], v[69:70], v[121:122], -v[85:86]
	v_fma_f64 v[71:72], v[71:72], v[121:122], v[75:76]
	s_waitcnt vmcnt(4)
	v_fma_f64 v[63:64], v[63:64], v[119:120], v[73:74]
	v_add_f64 v[65:66], v[77:78], v[65:66]
	v_add_f64 v[3:4], v[3:4], v[67:68]
	v_fma_f64 v[61:62], v[61:62], v[119:120], -v[79:80]
	v_add_f64 v[65:66], v[65:66], v[69:70]
	v_add_f64 v[3:4], v[3:4], v[71:72]
	;; [unrolled: 1-line block ×4, first 2 shown]
	s_waitcnt vmcnt(2)
	v_add_f64 v[61:62], v[125:126], -v[61:62]
	s_waitcnt vmcnt(0)
	v_add_f64 v[3:4], v[127:128], -v[3:4]
	buffer_store_dword v62, off, s[0:3], 0 offset:244
	buffer_store_dword v61, off, s[0:3], 0 offset:240
	;; [unrolled: 1-line block ×4, first 2 shown]
	v_cmpx_lt_u32_e32 13, v0
	s_cbranch_execz .LBB91_155
; %bb.154:
	v_mov_b32_e32 v3, s26
	s_clause 0x3
	buffer_load_dword v61, v3, s[0:3], 0 offen
	buffer_load_dword v62, v3, s[0:3], 0 offen offset:4
	buffer_load_dword v63, v3, s[0:3], 0 offen offset:8
	;; [unrolled: 1-line block ×3, first 2 shown]
	buffer_store_dword v2, off, s[0:3], 0 offset:224
	buffer_store_dword v2, off, s[0:3], 0 offset:228
	;; [unrolled: 1-line block ×4, first 2 shown]
	s_waitcnt vmcnt(0)
	ds_write_b128 v1, v[61:64]
.LBB91_155:
	s_or_b32 exec_lo, exec_lo, s4
	s_waitcnt lgkmcnt(0)
	s_waitcnt_vscnt null, 0x0
	s_barrier
	buffer_gl0_inv
	s_clause 0x35
	buffer_load_dword v3, off, s[0:3], 0 offset:248
	buffer_load_dword v4, off, s[0:3], 0 offset:252
	;; [unrolled: 1-line block ×54, first 2 shown]
	ds_read_b128 v[61:64], v2 offset:672
	s_clause 0x1
	buffer_load_dword v126, off, s[0:3], 0 offset:452
	buffer_load_dword v125, off, s[0:3], 0 offset:448
	ds_read_b128 v[65:68], v2 offset:688
	ds_read_b128 v[69:72], v2 offset:704
	s_mov_b32 s4, exec_lo
	s_waitcnt vmcnt(54) lgkmcnt(2)
	v_mul_f64 v[127:128], v[63:64], v[3:4]
	v_mul_f64 v[3:4], v[61:62], v[3:4]
	s_waitcnt vmcnt(52) lgkmcnt(1)
	v_mul_f64 v[129:130], v[67:68], v[73:74]
	v_mul_f64 v[73:74], v[65:66], v[73:74]
	;; [unrolled: 3-line block ×3, first 2 shown]
	v_fma_f64 v[127:128], v[61:62], v[75:76], -v[127:128]
	v_fma_f64 v[3:4], v[63:64], v[75:76], v[3:4]
	s_clause 0x3
	buffer_load_dword v75, off, s[0:3], 0 offset:224
	buffer_load_dword v76, off, s[0:3], 0 offset:228
	;; [unrolled: 1-line block ×4, first 2 shown]
	s_waitcnt vmcnt(50)
	v_fma_f64 v[129:130], v[65:66], v[79:80], -v[129:130]
	ds_read_b128 v[61:64], v2 offset:720
	v_fma_f64 v[73:74], v[67:68], v[79:80], v[73:74]
	ds_read_b128 v[65:68], v2 offset:736
	s_waitcnt vmcnt(44)
	v_fma_f64 v[77:78], v[69:70], v[87:88], -v[77:78]
	v_fma_f64 v[87:88], v[71:72], v[87:88], v[133:134]
	ds_read_b128 v[69:72], v2 offset:752
	v_add_f64 v[127:128], v[127:128], 0
	v_add_f64 v[3:4], v[3:4], 0
	s_waitcnt lgkmcnt(2)
	v_mul_f64 v[79:80], v[61:62], v[81:82]
	v_mul_f64 v[81:82], v[63:64], v[81:82]
	v_add_f64 v[127:128], v[127:128], v[129:130]
	v_add_f64 v[3:4], v[3:4], v[73:74]
	s_waitcnt vmcnt(43) lgkmcnt(1)
	v_mul_f64 v[73:74], v[65:66], v[83:84]
	v_mul_f64 v[83:84], v[67:68], v[83:84]
	s_waitcnt vmcnt(41)
	v_fma_f64 v[81:82], v[61:62], v[89:90], -v[81:82]
	v_fma_f64 v[79:80], v[63:64], v[89:90], v[79:80]
	ds_read_b128 v[61:64], v2 offset:768
	s_waitcnt vmcnt(37) lgkmcnt(1)
	v_mul_f64 v[89:90], v[71:72], v[91:92]
	v_add_f64 v[77:78], v[127:128], v[77:78]
	v_add_f64 v[3:4], v[3:4], v[87:88]
	v_mul_f64 v[87:88], v[69:70], v[91:92]
	s_waitcnt vmcnt(36)
	v_fma_f64 v[83:84], v[65:66], v[85:86], -v[83:84]
	v_fma_f64 v[73:74], v[67:68], v[85:86], v[73:74]
	ds_read_b128 v[65:68], v2 offset:784
	s_waitcnt vmcnt(33)
	v_fma_f64 v[85:86], v[69:70], v[97:98], -v[89:90]
	v_add_f64 v[77:78], v[77:78], v[81:82]
	v_add_f64 v[3:4], v[3:4], v[79:80]
	s_waitcnt lgkmcnt(1)
	v_mul_f64 v[81:82], v[63:64], v[93:94]
	v_mul_f64 v[79:80], v[61:62], v[93:94]
	v_add_f64 v[77:78], v[77:78], v[83:84]
	v_fma_f64 v[83:84], v[71:72], v[97:98], v[87:88]
	v_add_f64 v[3:4], v[3:4], v[73:74]
	ds_read_b128 v[69:72], v2 offset:800
	s_waitcnt vmcnt(29) lgkmcnt(1)
	v_mul_f64 v[87:88], v[67:68], v[99:100]
	s_waitcnt vmcnt(28)
	v_fma_f64 v[81:82], v[61:62], v[95:96], -v[81:82]
	v_mul_f64 v[73:74], v[65:66], v[99:100]
	v_fma_f64 v[79:80], v[63:64], v[95:96], v[79:80]
	ds_read_b128 v[61:64], v2 offset:816
	v_add_f64 v[77:78], v[77:78], v[85:86]
	s_waitcnt vmcnt(27) lgkmcnt(1)
	v_mul_f64 v[85:86], v[71:72], v[101:102]
	v_add_f64 v[3:4], v[3:4], v[83:84]
	v_mul_f64 v[83:84], v[69:70], v[101:102]
	s_waitcnt vmcnt(25)
	v_fma_f64 v[87:88], v[65:66], v[105:106], -v[87:88]
	v_fma_f64 v[73:74], v[67:68], v[105:106], v[73:74]
	ds_read_b128 v[65:68], v2 offset:832
	v_add_f64 v[77:78], v[77:78], v[81:82]
	s_waitcnt vmcnt(21) lgkmcnt(1)
	v_mul_f64 v[81:82], v[63:64], v[107:108]
	v_add_f64 v[3:4], v[3:4], v[79:80]
	s_waitcnt vmcnt(20)
	v_fma_f64 v[85:86], v[69:70], v[103:104], -v[85:86]
	v_mul_f64 v[79:80], v[61:62], v[107:108]
	v_fma_f64 v[83:84], v[71:72], v[103:104], v[83:84]
	ds_read_b128 v[69:72], v2 offset:848
	v_add_f64 v[77:78], v[77:78], v[87:88]
	s_waitcnt vmcnt(19) lgkmcnt(1)
	v_mul_f64 v[87:88], v[67:68], v[109:110]
	v_add_f64 v[3:4], v[3:4], v[73:74]
	s_waitcnt vmcnt(17)
	v_fma_f64 v[81:82], v[61:62], v[113:114], -v[81:82]
	v_mul_f64 v[73:74], v[65:66], v[109:110]
	;; [unrolled: 9-line block ×4, first 2 shown]
	v_fma_f64 v[71:72], v[71:72], v[121:122], v[83:84]
	s_waitcnt vmcnt(7) lgkmcnt(0)
	v_mul_f64 v[83:84], v[67:68], v[123:124]
	v_add_f64 v[77:78], v[77:78], v[87:88]
	s_waitcnt vmcnt(6)
	v_fma_f64 v[61:62], v[61:62], v[119:120], -v[81:82]
	v_add_f64 v[2:3], v[3:4], v[73:74]
	v_mul_f64 v[73:74], v[65:66], v[123:124]
	v_fma_f64 v[63:64], v[63:64], v[119:120], v[79:80]
	s_waitcnt vmcnt(4)
	v_fma_f64 v[65:66], v[65:66], v[125:126], -v[83:84]
	v_add_f64 v[69:70], v[77:78], v[69:70]
	v_add_f64 v[2:3], v[2:3], v[71:72]
	v_fma_f64 v[67:68], v[67:68], v[125:126], v[73:74]
	v_add_f64 v[61:62], v[69:70], v[61:62]
	v_add_f64 v[2:3], v[2:3], v[63:64]
	;; [unrolled: 1-line block ×4, first 2 shown]
	s_waitcnt vmcnt(2)
	v_add_f64 v[61:62], v[75:76], -v[61:62]
	s_waitcnt vmcnt(0)
	v_add_f64 v[2:3], v[131:132], -v[2:3]
	buffer_store_dword v62, off, s[0:3], 0 offset:228
	buffer_store_dword v61, off, s[0:3], 0 offset:224
	;; [unrolled: 1-line block ×4, first 2 shown]
	v_cmpx_lt_u32_e32 12, v0
	s_cbranch_execz .LBB91_157
; %bb.156:
	v_mov_b32_e32 v2, s27
	s_clause 0x3
	buffer_load_dword v61, v2, s[0:3], 0 offen
	buffer_load_dword v62, v2, s[0:3], 0 offen offset:4
	buffer_load_dword v63, v2, s[0:3], 0 offen offset:8
	;; [unrolled: 1-line block ×3, first 2 shown]
	v_mov_b32_e32 v2, 0
	buffer_store_dword v2, off, s[0:3], 0 offset:208
	buffer_store_dword v2, off, s[0:3], 0 offset:212
	;; [unrolled: 1-line block ×4, first 2 shown]
	s_waitcnt vmcnt(0)
	ds_write_b128 v1, v[61:64]
.LBB91_157:
	s_or_b32 exec_lo, exec_lo, s4
	s_waitcnt lgkmcnt(0)
	s_waitcnt_vscnt null, 0x0
	s_barrier
	buffer_gl0_inv
	s_clause 0x37
	buffer_load_dword v3, off, s[0:3], 0 offset:232
	buffer_load_dword v4, off, s[0:3], 0 offset:236
	;; [unrolled: 1-line block ×56, first 2 shown]
	v_mov_b32_e32 v2, 0
	s_mov_b32 s4, exec_lo
	ds_read_b128 v[61:64], v2 offset:656
	s_clause 0x2
	buffer_load_dword v126, off, s[0:3], 0 offset:460
	buffer_load_dword v130, off, s[0:3], 0 offset:436
	;; [unrolled: 1-line block ×3, first 2 shown]
	ds_read_b128 v[65:68], v2 offset:672
	ds_read_b128 v[69:72], v2 offset:688
	buffer_load_dword v128, off, s[0:3], 0 offset:452
	s_waitcnt vmcnt(58) lgkmcnt(2)
	v_mul_f64 v[131:132], v[63:64], v[3:4]
	v_mul_f64 v[3:4], v[61:62], v[3:4]
	s_waitcnt vmcnt(56) lgkmcnt(1)
	v_mul_f64 v[133:134], v[67:68], v[73:74]
	v_mul_f64 v[73:74], v[65:66], v[73:74]
	s_waitcnt vmcnt(54)
	v_fma_f64 v[131:132], v[61:62], v[75:76], -v[131:132]
	v_fma_f64 v[3:4], v[63:64], v[75:76], v[3:4]
	s_waitcnt vmcnt(52) lgkmcnt(0)
	v_mul_f64 v[75:76], v[69:70], v[77:78]
	v_mul_f64 v[77:78], v[71:72], v[77:78]
	s_waitcnt vmcnt(50)
	v_fma_f64 v[133:134], v[65:66], v[79:80], -v[133:134]
	ds_read_b128 v[61:64], v2 offset:704
	v_fma_f64 v[73:74], v[67:68], v[79:80], v[73:74]
	s_clause 0x3
	buffer_load_dword v79, off, s[0:3], 0 offset:208
	buffer_load_dword v80, off, s[0:3], 0 offset:212
	;; [unrolled: 1-line block ×4, first 2 shown]
	ds_read_b128 v[65:68], v2 offset:720
	v_add_f64 v[131:132], v[131:132], 0
	v_add_f64 v[3:4], v[3:4], 0
	s_waitcnt vmcnt(48)
	v_fma_f64 v[75:76], v[71:72], v[87:88], v[75:76]
	s_waitcnt lgkmcnt(1)
	v_mul_f64 v[137:138], v[61:62], v[81:82]
	v_mul_f64 v[81:82], v[63:64], v[81:82]
	v_fma_f64 v[77:78], v[69:70], v[87:88], -v[77:78]
	ds_read_b128 v[69:72], v2 offset:736
	v_add_f64 v[131:132], v[131:132], v[133:134]
	v_add_f64 v[3:4], v[3:4], v[73:74]
	s_waitcnt vmcnt(47) lgkmcnt(1)
	v_mul_f64 v[73:74], v[65:66], v[83:84]
	v_mul_f64 v[83:84], v[67:68], v[83:84]
	s_waitcnt vmcnt(45)
	v_fma_f64 v[81:82], v[61:62], v[89:90], -v[81:82]
	v_fma_f64 v[87:88], v[63:64], v[89:90], v[137:138]
	s_waitcnt vmcnt(41) lgkmcnt(0)
	v_mul_f64 v[89:90], v[71:72], v[91:92]
	ds_read_b128 v[61:64], v2 offset:752
	v_add_f64 v[77:78], v[131:132], v[77:78]
	v_add_f64 v[3:4], v[3:4], v[75:76]
	v_mul_f64 v[75:76], v[69:70], v[91:92]
	s_waitcnt vmcnt(40)
	v_fma_f64 v[83:84], v[65:66], v[85:86], -v[83:84]
	v_fma_f64 v[73:74], v[67:68], v[85:86], v[73:74]
	ds_read_b128 v[65:68], v2 offset:768
	s_waitcnt vmcnt(39) lgkmcnt(1)
	v_mul_f64 v[85:86], v[63:64], v[93:94]
	v_add_f64 v[77:78], v[77:78], v[81:82]
	v_add_f64 v[3:4], v[3:4], v[87:88]
	s_waitcnt vmcnt(37)
	v_fma_f64 v[87:88], v[69:70], v[97:98], -v[89:90]
	v_mul_f64 v[81:82], v[61:62], v[93:94]
	v_fma_f64 v[75:76], v[71:72], v[97:98], v[75:76]
	ds_read_b128 v[69:72], v2 offset:784
	s_waitcnt vmcnt(32)
	v_fma_f64 v[85:86], v[61:62], v[95:96], -v[85:86]
	v_add_f64 v[77:78], v[77:78], v[83:84]
	v_add_f64 v[3:4], v[3:4], v[73:74]
	s_waitcnt lgkmcnt(1)
	v_mul_f64 v[83:84], v[67:68], v[99:100]
	v_mul_f64 v[73:74], v[65:66], v[99:100]
	v_fma_f64 v[81:82], v[63:64], v[95:96], v[81:82]
	ds_read_b128 v[61:64], v2 offset:800
	v_add_f64 v[77:78], v[77:78], v[87:88]
	v_add_f64 v[3:4], v[3:4], v[75:76]
	s_waitcnt vmcnt(31) lgkmcnt(1)
	v_mul_f64 v[87:88], v[71:72], v[101:102]
	s_waitcnt vmcnt(29)
	v_fma_f64 v[83:84], v[65:66], v[105:106], -v[83:84]
	v_mul_f64 v[75:76], v[69:70], v[101:102]
	v_fma_f64 v[73:74], v[67:68], v[105:106], v[73:74]
	ds_read_b128 v[65:68], v2 offset:816
	v_add_f64 v[77:78], v[77:78], v[85:86]
	v_add_f64 v[3:4], v[3:4], v[81:82]
	s_waitcnt vmcnt(25) lgkmcnt(1)
	v_mul_f64 v[85:86], v[63:64], v[107:108]
	s_waitcnt vmcnt(24)
	v_fma_f64 v[87:88], v[69:70], v[103:104], -v[87:88]
	;; [unrolled: 9-line block ×6, first 2 shown]
	v_mul_f64 v[73:74], v[65:66], v[123:124]
	v_fma_f64 v[63:64], v[63:64], v[119:120], v[81:82]
	s_waitcnt vmcnt(7) lgkmcnt(0)
	v_mul_f64 v[81:82], v[71:72], v[125:126]
	v_add_f64 v[77:78], v[77:78], v[87:88]
	v_add_f64 v[3:4], v[3:4], v[75:76]
	s_waitcnt vmcnt(5)
	v_fma_f64 v[65:66], v[65:66], v[129:130], -v[83:84]
	v_mul_f64 v[75:76], v[69:70], v[125:126]
	v_fma_f64 v[67:68], v[67:68], v[129:130], v[73:74]
	v_add_f64 v[61:62], v[77:78], v[61:62]
	v_add_f64 v[3:4], v[3:4], v[63:64]
	s_waitcnt vmcnt(4)
	v_fma_f64 v[63:64], v[69:70], v[127:128], -v[81:82]
	v_add_f64 v[61:62], v[61:62], v[65:66]
	v_fma_f64 v[65:66], v[71:72], v[127:128], v[75:76]
	v_add_f64 v[3:4], v[3:4], v[67:68]
	v_add_f64 v[61:62], v[61:62], v[63:64]
	;; [unrolled: 1-line block ×3, first 2 shown]
	s_waitcnt vmcnt(2)
	v_add_f64 v[61:62], v[79:80], -v[61:62]
	s_waitcnt vmcnt(0)
	v_add_f64 v[3:4], v[135:136], -v[3:4]
	buffer_store_dword v62, off, s[0:3], 0 offset:212
	buffer_store_dword v61, off, s[0:3], 0 offset:208
	;; [unrolled: 1-line block ×4, first 2 shown]
	v_cmpx_lt_u32_e32 11, v0
	s_cbranch_execz .LBB91_159
; %bb.158:
	v_mov_b32_e32 v3, s28
	s_clause 0x3
	buffer_load_dword v61, v3, s[0:3], 0 offen
	buffer_load_dword v62, v3, s[0:3], 0 offen offset:4
	buffer_load_dword v63, v3, s[0:3], 0 offen offset:8
	;; [unrolled: 1-line block ×3, first 2 shown]
	buffer_store_dword v2, off, s[0:3], 0 offset:192
	buffer_store_dword v2, off, s[0:3], 0 offset:196
	;; [unrolled: 1-line block ×4, first 2 shown]
	s_waitcnt vmcnt(0)
	ds_write_b128 v1, v[61:64]
.LBB91_159:
	s_or_b32 exec_lo, exec_lo, s4
	s_waitcnt lgkmcnt(0)
	s_waitcnt_vscnt null, 0x0
	s_barrier
	buffer_gl0_inv
	s_clause 0x37
	buffer_load_dword v3, off, s[0:3], 0 offset:216
	buffer_load_dword v4, off, s[0:3], 0 offset:220
	buffer_load_dword v73, off, s[0:3], 0 offset:232
	buffer_load_dword v74, off, s[0:3], 0 offset:236
	buffer_load_dword v75, off, s[0:3], 0 offset:208
	buffer_load_dword v76, off, s[0:3], 0 offset:212
	buffer_load_dword v77, off, s[0:3], 0 offset:248
	buffer_load_dword v78, off, s[0:3], 0 offset:252
	buffer_load_dword v79, off, s[0:3], 0 offset:224
	buffer_load_dword v80, off, s[0:3], 0 offset:228
	buffer_load_dword v82, off, s[0:3], 0 offset:268
	buffer_load_dword v83, off, s[0:3], 0 offset:280
	buffer_load_dword v85, off, s[0:3], 0 offset:272
	buffer_load_dword v81, off, s[0:3], 0 offset:264
	buffer_load_dword v87, off, s[0:3], 0 offset:240
	buffer_load_dword v88, off, s[0:3], 0 offset:244
	buffer_load_dword v84, off, s[0:3], 0 offset:284
	buffer_load_dword v90, off, s[0:3], 0 offset:260
	buffer_load_dword v89, off, s[0:3], 0 offset:256
	buffer_load_dword v92, off, s[0:3], 0 offset:300
	buffer_load_dword v93, off, s[0:3], 0 offset:312
	buffer_load_dword v95, off, s[0:3], 0 offset:304
	buffer_load_dword v91, off, s[0:3], 0 offset:296
	buffer_load_dword v86, off, s[0:3], 0 offset:276
	buffer_load_dword v94, off, s[0:3], 0 offset:316
	buffer_load_dword v98, off, s[0:3], 0 offset:292
	buffer_load_dword v97, off, s[0:3], 0 offset:288
	buffer_load_dword v100, off, s[0:3], 0 offset:332
	buffer_load_dword v101, off, s[0:3], 0 offset:344
	buffer_load_dword v103, off, s[0:3], 0 offset:336
	buffer_load_dword v99, off, s[0:3], 0 offset:328
	buffer_load_dword v96, off, s[0:3], 0 offset:308
	buffer_load_dword v102, off, s[0:3], 0 offset:348
	buffer_load_dword v106, off, s[0:3], 0 offset:324
	buffer_load_dword v105, off, s[0:3], 0 offset:320
	buffer_load_dword v108, off, s[0:3], 0 offset:364
	buffer_load_dword v109, off, s[0:3], 0 offset:376
	buffer_load_dword v111, off, s[0:3], 0 offset:368
	buffer_load_dword v107, off, s[0:3], 0 offset:360
	buffer_load_dword v104, off, s[0:3], 0 offset:340
	buffer_load_dword v110, off, s[0:3], 0 offset:380
	buffer_load_dword v114, off, s[0:3], 0 offset:356
	buffer_load_dword v113, off, s[0:3], 0 offset:352
	buffer_load_dword v116, off, s[0:3], 0 offset:396
	buffer_load_dword v117, off, s[0:3], 0 offset:408
	buffer_load_dword v119, off, s[0:3], 0 offset:400
	buffer_load_dword v115, off, s[0:3], 0 offset:392
	buffer_load_dword v112, off, s[0:3], 0 offset:372
	buffer_load_dword v118, off, s[0:3], 0 offset:412
	buffer_load_dword v122, off, s[0:3], 0 offset:388
	buffer_load_dword v121, off, s[0:3], 0 offset:384
	buffer_load_dword v124, off, s[0:3], 0 offset:428
	buffer_load_dword v125, off, s[0:3], 0 offset:440
	buffer_load_dword v127, off, s[0:3], 0 offset:432
	buffer_load_dword v123, off, s[0:3], 0 offset:424
	buffer_load_dword v120, off, s[0:3], 0 offset:404
	ds_read_b128 v[61:64], v2 offset:640
	s_clause 0x2
	buffer_load_dword v126, off, s[0:3], 0 offset:444
	buffer_load_dword v130, off, s[0:3], 0 offset:420
	;; [unrolled: 1-line block ×3, first 2 shown]
	ds_read_b128 v[65:68], v2 offset:656
	s_clause 0x2
	buffer_load_dword v134, off, s[0:3], 0 offset:460
	buffer_load_dword v133, off, s[0:3], 0 offset:456
	;; [unrolled: 1-line block ×3, first 2 shown]
	ds_read_b128 v[69:72], v2 offset:672
	s_mov_b32 s4, exec_lo
	s_waitcnt vmcnt(60) lgkmcnt(2)
	v_mul_f64 v[131:132], v[63:64], v[3:4]
	v_mul_f64 v[3:4], v[61:62], v[3:4]
	s_waitcnt vmcnt(58) lgkmcnt(1)
	v_mul_f64 v[135:136], v[67:68], v[73:74]
	v_mul_f64 v[73:74], v[65:66], v[73:74]
	;; [unrolled: 3-line block ×3, first 2 shown]
	v_fma_f64 v[131:132], v[61:62], v[75:76], -v[131:132]
	v_fma_f64 v[3:4], v[63:64], v[75:76], v[3:4]
	s_clause 0x1
	buffer_load_dword v76, off, s[0:3], 0 offset:452
	buffer_load_dword v75, off, s[0:3], 0 offset:448
	s_waitcnt vmcnt(54)
	v_fma_f64 v[135:136], v[65:66], v[79:80], -v[135:136]
	ds_read_b128 v[61:64], v2 offset:688
	v_fma_f64 v[73:74], v[67:68], v[79:80], v[73:74]
	ds_read_b128 v[65:68], v2 offset:704
	s_waitcnt vmcnt(48)
	v_fma_f64 v[77:78], v[69:70], v[87:88], -v[77:78]
	v_fma_f64 v[87:88], v[71:72], v[87:88], v[137:138]
	v_add_f64 v[131:132], v[131:132], 0
	v_add_f64 v[3:4], v[3:4], 0
	s_waitcnt lgkmcnt(1)
	v_mul_f64 v[79:80], v[61:62], v[81:82]
	v_mul_f64 v[81:82], v[63:64], v[81:82]
	s_waitcnt vmcnt(47) lgkmcnt(0)
	v_mul_f64 v[137:138], v[65:66], v[83:84]
	v_mul_f64 v[83:84], v[67:68], v[83:84]
	v_add_f64 v[131:132], v[131:132], v[135:136]
	v_add_f64 v[3:4], v[3:4], v[73:74]
	s_clause 0x3
	buffer_load_dword v73, off, s[0:3], 0 offset:192
	buffer_load_dword v74, off, s[0:3], 0 offset:196
	;; [unrolled: 1-line block ×4, first 2 shown]
	s_waitcnt vmcnt(49)
	v_fma_f64 v[81:82], v[61:62], v[89:90], -v[81:82]
	ds_read_b128 v[69:72], v2 offset:720
	v_fma_f64 v[79:80], v[63:64], v[89:90], v[79:80]
	ds_read_b128 v[61:64], v2 offset:736
	s_waitcnt vmcnt(44)
	v_fma_f64 v[83:84], v[65:66], v[85:86], -v[83:84]
	v_add_f64 v[77:78], v[131:132], v[77:78]
	v_add_f64 v[3:4], v[3:4], v[87:88]
	s_waitcnt lgkmcnt(1)
	v_mul_f64 v[89:90], v[71:72], v[91:92]
	v_mul_f64 v[87:88], v[69:70], v[91:92]
	v_add_f64 v[77:78], v[77:78], v[81:82]
	v_fma_f64 v[81:82], v[67:68], v[85:86], v[137:138]
	v_add_f64 v[3:4], v[3:4], v[79:80]
	s_waitcnt vmcnt(43) lgkmcnt(0)
	v_mul_f64 v[85:86], v[63:64], v[93:94]
	s_waitcnt vmcnt(41)
	v_fma_f64 v[89:90], v[69:70], v[97:98], -v[89:90]
	ds_read_b128 v[65:68], v2 offset:752
	v_mul_f64 v[79:80], v[61:62], v[93:94]
	v_add_f64 v[77:78], v[77:78], v[83:84]
	v_fma_f64 v[83:84], v[71:72], v[97:98], v[87:88]
	v_add_f64 v[3:4], v[3:4], v[81:82]
	ds_read_b128 v[69:72], v2 offset:768
	s_waitcnt vmcnt(37) lgkmcnt(1)
	v_mul_f64 v[87:88], v[67:68], v[99:100]
	s_waitcnt vmcnt(36)
	v_fma_f64 v[85:86], v[61:62], v[95:96], -v[85:86]
	v_mul_f64 v[81:82], v[65:66], v[99:100]
	v_fma_f64 v[79:80], v[63:64], v[95:96], v[79:80]
	ds_read_b128 v[61:64], v2 offset:784
	v_add_f64 v[77:78], v[77:78], v[89:90]
	s_waitcnt vmcnt(35) lgkmcnt(1)
	v_mul_f64 v[89:90], v[71:72], v[101:102]
	v_add_f64 v[3:4], v[3:4], v[83:84]
	v_mul_f64 v[83:84], v[69:70], v[101:102]
	s_waitcnt vmcnt(33)
	v_fma_f64 v[87:88], v[65:66], v[105:106], -v[87:88]
	v_fma_f64 v[81:82], v[67:68], v[105:106], v[81:82]
	ds_read_b128 v[65:68], v2 offset:800
	v_add_f64 v[77:78], v[77:78], v[85:86]
	s_waitcnt vmcnt(29) lgkmcnt(1)
	v_mul_f64 v[85:86], v[63:64], v[107:108]
	v_add_f64 v[3:4], v[3:4], v[79:80]
	s_waitcnt vmcnt(28)
	v_fma_f64 v[89:90], v[69:70], v[103:104], -v[89:90]
	v_mul_f64 v[79:80], v[61:62], v[107:108]
	v_fma_f64 v[83:84], v[71:72], v[103:104], v[83:84]
	ds_read_b128 v[69:72], v2 offset:816
	v_add_f64 v[77:78], v[77:78], v[87:88]
	s_waitcnt vmcnt(27) lgkmcnt(1)
	v_mul_f64 v[87:88], v[67:68], v[109:110]
	v_add_f64 v[3:4], v[3:4], v[81:82]
	s_waitcnt vmcnt(25)
	v_fma_f64 v[85:86], v[61:62], v[113:114], -v[85:86]
	v_mul_f64 v[81:82], v[65:66], v[109:110]
	;; [unrolled: 9-line block ×6, first 2 shown]
	v_fma_f64 v[67:68], v[67:68], v[129:130], v[81:82]
	s_waitcnt vmcnt(7) lgkmcnt(0)
	v_mul_f64 v[81:82], v[63:64], v[133:134]
	v_add_f64 v[77:78], v[77:78], v[85:86]
	s_waitcnt vmcnt(6)
	v_fma_f64 v[69:70], v[69:70], v[127:128], -v[89:90]
	v_add_f64 v[2:3], v[3:4], v[79:80]
	v_mul_f64 v[79:80], v[61:62], v[133:134]
	v_fma_f64 v[71:72], v[71:72], v[127:128], v[83:84]
	v_add_f64 v[65:66], v[77:78], v[65:66]
	v_add_f64 v[2:3], v[2:3], v[67:68]
	s_waitcnt vmcnt(4)
	v_fma_f64 v[61:62], v[61:62], v[75:76], -v[81:82]
	v_fma_f64 v[63:64], v[63:64], v[75:76], v[79:80]
	v_add_f64 v[65:66], v[65:66], v[69:70]
	v_add_f64 v[2:3], v[2:3], v[71:72]
	;; [unrolled: 1-line block ×4, first 2 shown]
	s_waitcnt vmcnt(2)
	v_add_f64 v[61:62], v[73:74], -v[61:62]
	s_waitcnt vmcnt(0)
	v_add_f64 v[2:3], v[135:136], -v[2:3]
	buffer_store_dword v62, off, s[0:3], 0 offset:196
	buffer_store_dword v61, off, s[0:3], 0 offset:192
	;; [unrolled: 1-line block ×4, first 2 shown]
	v_cmpx_lt_u32_e32 10, v0
	s_cbranch_execz .LBB91_161
; %bb.160:
	v_mov_b32_e32 v2, s29
	s_clause 0x3
	buffer_load_dword v61, v2, s[0:3], 0 offen
	buffer_load_dword v62, v2, s[0:3], 0 offen offset:4
	buffer_load_dword v63, v2, s[0:3], 0 offen offset:8
	;; [unrolled: 1-line block ×3, first 2 shown]
	v_mov_b32_e32 v2, 0
	buffer_store_dword v2, off, s[0:3], 0 offset:176
	buffer_store_dword v2, off, s[0:3], 0 offset:180
	;; [unrolled: 1-line block ×4, first 2 shown]
	s_waitcnt vmcnt(0)
	ds_write_b128 v1, v[61:64]
.LBB91_161:
	s_or_b32 exec_lo, exec_lo, s4
	s_waitcnt lgkmcnt(0)
	s_waitcnt_vscnt null, 0x0
	s_barrier
	buffer_gl0_inv
	s_clause 0x35
	buffer_load_dword v3, off, s[0:3], 0 offset:200
	buffer_load_dword v4, off, s[0:3], 0 offset:204
	;; [unrolled: 1-line block ×54, first 2 shown]
	v_mov_b32_e32 v2, 0
	s_mov_b32 s4, exec_lo
	ds_read_b128 v[61:64], v2 offset:624
	s_clause 0x3
	buffer_load_dword v125, off, s[0:3], 0 offset:424
	buffer_load_dword v126, off, s[0:3], 0 offset:428
	;; [unrolled: 1-line block ×4, first 2 shown]
	ds_read_b128 v[65:68], v2 offset:640
	s_clause 0x3
	buffer_load_dword v132, off, s[0:3], 0 offset:444
	buffer_load_dword v131, off, s[0:3], 0 offset:440
	;; [unrolled: 1-line block ×4, first 2 shown]
	ds_read_b128 v[69:72], v2 offset:656
	s_waitcnt vmcnt(60) lgkmcnt(2)
	v_mul_f64 v[129:130], v[63:64], v[3:4]
	v_mul_f64 v[3:4], v[61:62], v[3:4]
	s_waitcnt vmcnt(58) lgkmcnt(1)
	v_mul_f64 v[135:136], v[67:68], v[73:74]
	v_mul_f64 v[73:74], v[65:66], v[73:74]
	;; [unrolled: 3-line block ×3, first 2 shown]
	v_fma_f64 v[129:130], v[61:62], v[75:76], -v[129:130]
	v_fma_f64 v[3:4], v[63:64], v[75:76], v[3:4]
	s_clause 0x3
	buffer_load_dword v75, off, s[0:3], 0 offset:456
	buffer_load_dword v76, off, s[0:3], 0 offset:460
	;; [unrolled: 1-line block ×4, first 2 shown]
	s_waitcnt vmcnt(56)
	v_fma_f64 v[135:136], v[65:66], v[79:80], -v[135:136]
	ds_read_b128 v[61:64], v2 offset:672
	v_fma_f64 v[73:74], v[67:68], v[79:80], v[73:74]
	s_clause 0x1
	buffer_load_dword v79, off, s[0:3], 0 offset:448
	buffer_load_dword v80, off, s[0:3], 0 offset:452
	s_waitcnt vmcnt(54)
	v_fma_f64 v[77:78], v[69:70], v[83:84], -v[77:78]
	ds_read_b128 v[65:68], v2 offset:688
	v_fma_f64 v[83:84], v[71:72], v[83:84], v[139:140]
	ds_read_b128 v[69:72], v2 offset:704
	v_add_f64 v[129:130], v[129:130], 0
	v_add_f64 v[3:4], v[3:4], 0
	s_waitcnt lgkmcnt(2)
	v_mul_f64 v[141:142], v[61:62], v[81:82]
	v_mul_f64 v[81:82], v[63:64], v[81:82]
	v_add_f64 v[129:130], v[129:130], v[135:136]
	v_add_f64 v[3:4], v[3:4], v[73:74]
	s_waitcnt vmcnt(52) lgkmcnt(1)
	v_mul_f64 v[73:74], v[65:66], v[85:86]
	v_mul_f64 v[85:86], v[67:68], v[85:86]
	s_waitcnt vmcnt(50)
	v_fma_f64 v[81:82], v[61:62], v[87:88], -v[81:82]
	v_fma_f64 v[87:88], v[63:64], v[87:88], v[141:142]
	s_waitcnt vmcnt(48) lgkmcnt(0)
	v_mul_f64 v[135:136], v[69:70], v[89:90]
	v_mul_f64 v[89:90], v[71:72], v[89:90]
	v_add_f64 v[77:78], v[129:130], v[77:78]
	v_add_f64 v[3:4], v[3:4], v[83:84]
	s_clause 0x3
	buffer_load_dword v83, off, s[0:3], 0 offset:176
	buffer_load_dword v84, off, s[0:3], 0 offset:180
	;; [unrolled: 1-line block ×4, first 2 shown]
	s_waitcnt vmcnt(50)
	v_fma_f64 v[85:86], v[65:66], v[91:92], -v[85:86]
	ds_read_b128 v[61:64], v2 offset:720
	v_fma_f64 v[73:74], v[67:68], v[91:92], v[73:74]
	ds_read_b128 v[65:68], v2 offset:736
	s_waitcnt vmcnt(46)
	v_fma_f64 v[89:90], v[69:70], v[95:96], -v[89:90]
	v_add_f64 v[77:78], v[77:78], v[81:82]
	v_add_f64 v[3:4], v[3:4], v[87:88]
	s_waitcnt lgkmcnt(1)
	v_mul_f64 v[87:88], v[63:64], v[93:94]
	v_mul_f64 v[81:82], v[61:62], v[93:94]
	s_waitcnt vmcnt(44) lgkmcnt(0)
	v_mul_f64 v[91:92], v[67:68], v[97:98]
	v_add_f64 v[77:78], v[77:78], v[85:86]
	v_fma_f64 v[85:86], v[71:72], v[95:96], v[135:136]
	v_add_f64 v[3:4], v[3:4], v[73:74]
	s_waitcnt vmcnt(42)
	v_fma_f64 v[87:88], v[61:62], v[99:100], -v[87:88]
	ds_read_b128 v[69:72], v2 offset:752
	v_mul_f64 v[73:74], v[65:66], v[97:98]
	v_fma_f64 v[81:82], v[63:64], v[99:100], v[81:82]
	ds_read_b128 v[61:64], v2 offset:768
	s_waitcnt vmcnt(38)
	v_fma_f64 v[91:92], v[65:66], v[103:104], -v[91:92]
	v_add_f64 v[77:78], v[77:78], v[89:90]
	v_add_f64 v[3:4], v[3:4], v[85:86]
	s_waitcnt lgkmcnt(1)
	v_mul_f64 v[89:90], v[71:72], v[101:102]
	v_mul_f64 v[85:86], v[69:70], v[101:102]
	v_fma_f64 v[73:74], v[67:68], v[103:104], v[73:74]
	ds_read_b128 v[65:68], v2 offset:784
	v_add_f64 v[77:78], v[77:78], v[87:88]
	s_waitcnt vmcnt(36) lgkmcnt(1)
	v_mul_f64 v[87:88], v[63:64], v[105:106]
	v_add_f64 v[3:4], v[3:4], v[81:82]
	s_waitcnt vmcnt(34)
	v_fma_f64 v[89:90], v[69:70], v[107:108], -v[89:90]
	v_mul_f64 v[81:82], v[61:62], v[105:106]
	v_fma_f64 v[85:86], v[71:72], v[107:108], v[85:86]
	ds_read_b128 v[69:72], v2 offset:800
	v_add_f64 v[77:78], v[77:78], v[91:92]
	s_waitcnt vmcnt(32) lgkmcnt(1)
	v_mul_f64 v[91:92], v[67:68], v[109:110]
	v_add_f64 v[3:4], v[3:4], v[73:74]
	s_waitcnt vmcnt(30)
	v_fma_f64 v[87:88], v[61:62], v[111:112], -v[87:88]
	;; [unrolled: 9-line block ×7, first 2 shown]
	v_mul_f64 v[81:82], v[61:62], v[131:132]
	v_fma_f64 v[71:72], v[71:72], v[133:134], v[85:86]
	v_add_f64 v[77:78], v[77:78], v[91:92]
	v_add_f64 v[3:4], v[3:4], v[73:74]
	s_waitcnt vmcnt(8) lgkmcnt(0)
	v_mul_f64 v[73:74], v[65:66], v[75:76]
	v_mul_f64 v[75:76], v[67:68], v[75:76]
	s_waitcnt vmcnt(6)
	v_fma_f64 v[61:62], v[61:62], v[137:138], -v[87:88]
	v_fma_f64 v[63:64], v[63:64], v[137:138], v[81:82]
	v_add_f64 v[69:70], v[77:78], v[69:70]
	v_add_f64 v[3:4], v[3:4], v[71:72]
	s_waitcnt vmcnt(4)
	v_fma_f64 v[67:68], v[67:68], v[79:80], v[73:74]
	v_fma_f64 v[65:66], v[65:66], v[79:80], -v[75:76]
	v_add_f64 v[61:62], v[69:70], v[61:62]
	v_add_f64 v[3:4], v[3:4], v[63:64]
	v_add_f64 v[61:62], v[61:62], v[65:66]
	v_add_f64 v[3:4], v[3:4], v[67:68]
	s_waitcnt vmcnt(2)
	v_add_f64 v[61:62], v[83:84], -v[61:62]
	s_waitcnt vmcnt(0)
	v_add_f64 v[3:4], v[129:130], -v[3:4]
	buffer_store_dword v62, off, s[0:3], 0 offset:180
	buffer_store_dword v61, off, s[0:3], 0 offset:176
	buffer_store_dword v4, off, s[0:3], 0 offset:188
	buffer_store_dword v3, off, s[0:3], 0 offset:184
	v_cmpx_lt_u32_e32 9, v0
	s_cbranch_execz .LBB91_163
; %bb.162:
	v_mov_b32_e32 v3, s30
	s_clause 0x3
	buffer_load_dword v61, v3, s[0:3], 0 offen
	buffer_load_dword v62, v3, s[0:3], 0 offen offset:4
	buffer_load_dword v63, v3, s[0:3], 0 offen offset:8
	;; [unrolled: 1-line block ×3, first 2 shown]
	buffer_store_dword v2, off, s[0:3], 0 offset:160
	buffer_store_dword v2, off, s[0:3], 0 offset:164
	;; [unrolled: 1-line block ×4, first 2 shown]
	s_waitcnt vmcnt(0)
	ds_write_b128 v1, v[61:64]
.LBB91_163:
	s_or_b32 exec_lo, exec_lo, s4
	s_waitcnt lgkmcnt(0)
	s_waitcnt_vscnt null, 0x0
	s_barrier
	buffer_gl0_inv
	s_clause 0x37
	buffer_load_dword v3, off, s[0:3], 0 offset:184
	buffer_load_dword v4, off, s[0:3], 0 offset:188
	;; [unrolled: 1-line block ×56, first 2 shown]
	ds_read_b128 v[61:64], v2 offset:608
	s_clause 0x2
	buffer_load_dword v126, off, s[0:3], 0 offset:412
	buffer_load_dword v130, off, s[0:3], 0 offset:388
	;; [unrolled: 1-line block ×3, first 2 shown]
	ds_read_b128 v[65:68], v2 offset:624
	s_clause 0x4
	buffer_load_dword v134, off, s[0:3], 0 offset:428
	buffer_load_dword v135, off, s[0:3], 0 offset:440
	;; [unrolled: 1-line block ×5, first 2 shown]
	ds_read_b128 v[69:72], v2 offset:640
	s_mov_b32 s4, exec_lo
	s_waitcnt vmcnt(62) lgkmcnt(2)
	v_mul_f64 v[131:132], v[63:64], v[3:4]
	v_mul_f64 v[3:4], v[61:62], v[3:4]
	s_waitcnt vmcnt(60) lgkmcnt(1)
	v_mul_f64 v[138:139], v[67:68], v[73:74]
	v_mul_f64 v[73:74], v[65:66], v[73:74]
	;; [unrolled: 3-line block ×3, first 2 shown]
	v_fma_f64 v[131:132], v[61:62], v[75:76], -v[131:132]
	v_fma_f64 v[3:4], v[63:64], v[75:76], v[3:4]
	s_clause 0x2
	buffer_load_dword v136, off, s[0:3], 0 offset:444
	buffer_load_dword v76, off, s[0:3], 0 offset:420
	;; [unrolled: 1-line block ×3, first 2 shown]
	s_waitcnt vmcnt(57)
	v_fma_f64 v[142:143], v[65:66], v[79:80], -v[138:139]
	ds_read_b128 v[61:64], v2 offset:656
	v_fma_f64 v[73:74], v[67:68], v[79:80], v[73:74]
	s_clause 0x2
	buffer_load_dword v80, off, s[0:3], 0 offset:460
	buffer_load_dword v79, off, s[0:3], 0 offset:456
	;; [unrolled: 1-line block ×3, first 2 shown]
	s_waitcnt vmcnt(54)
	v_fma_f64 v[77:78], v[69:70], v[87:88], -v[77:78]
	ds_read_b128 v[65:68], v2 offset:672
	v_fma_f64 v[87:88], v[71:72], v[87:88], v[140:141]
	v_add_f64 v[131:132], v[131:132], 0
	v_add_f64 v[3:4], v[3:4], 0
	s_waitcnt lgkmcnt(1)
	v_mul_f64 v[144:145], v[61:62], v[81:82]
	v_mul_f64 v[81:82], v[63:64], v[81:82]
	s_waitcnt vmcnt(53) lgkmcnt(0)
	v_mul_f64 v[139:140], v[65:66], v[83:84]
	v_mul_f64 v[83:84], v[67:68], v[83:84]
	v_add_f64 v[131:132], v[131:132], v[142:143]
	v_add_f64 v[3:4], v[3:4], v[73:74]
	s_clause 0x1
	buffer_load_dword v74, off, s[0:3], 0 offset:452
	buffer_load_dword v73, off, s[0:3], 0 offset:448
	s_waitcnt vmcnt(53)
	v_fma_f64 v[81:82], v[61:62], v[89:90], -v[81:82]
	ds_read_b128 v[69:72], v2 offset:688
	v_fma_f64 v[89:90], v[63:64], v[89:90], v[144:145]
	ds_read_b128 v[61:64], v2 offset:704
	s_waitcnt vmcnt(48)
	v_fma_f64 v[83:84], v[65:66], v[85:86], -v[83:84]
	v_add_f64 v[77:78], v[131:132], v[77:78]
	v_add_f64 v[3:4], v[3:4], v[87:88]
	s_waitcnt lgkmcnt(1)
	v_mul_f64 v[87:88], v[69:70], v[91:92]
	v_mul_f64 v[91:92], v[71:72], v[91:92]
	s_waitcnt vmcnt(47) lgkmcnt(0)
	v_mul_f64 v[131:132], v[61:62], v[93:94]
	v_mul_f64 v[93:94], v[63:64], v[93:94]
	v_add_f64 v[77:78], v[77:78], v[81:82]
	v_fma_f64 v[81:82], v[67:68], v[85:86], v[139:140]
	v_add_f64 v[3:4], v[3:4], v[89:90]
	s_clause 0x3
	buffer_load_dword v85, off, s[0:3], 0 offset:160
	buffer_load_dword v86, off, s[0:3], 0 offset:164
	;; [unrolled: 1-line block ×4, first 2 shown]
	s_waitcnt vmcnt(49)
	v_fma_f64 v[91:92], v[69:70], v[97:98], -v[91:92]
	ds_read_b128 v[65:68], v2 offset:720
	s_waitcnt vmcnt(44)
	v_fma_f64 v[93:94], v[61:62], v[95:96], -v[93:94]
	v_add_f64 v[77:78], v[77:78], v[83:84]
	v_fma_f64 v[83:84], v[71:72], v[97:98], v[87:88]
	v_add_f64 v[3:4], v[3:4], v[81:82]
	ds_read_b128 v[69:72], v2 offset:736
	s_waitcnt lgkmcnt(1)
	v_mul_f64 v[87:88], v[67:68], v[99:100]
	v_mul_f64 v[81:82], v[65:66], v[99:100]
	v_add_f64 v[77:78], v[77:78], v[91:92]
	v_fma_f64 v[91:92], v[63:64], v[95:96], v[131:132]
	v_add_f64 v[3:4], v[3:4], v[83:84]
	s_waitcnt vmcnt(43) lgkmcnt(0)
	v_mul_f64 v[95:96], v[71:72], v[101:102]
	s_waitcnt vmcnt(41)
	v_fma_f64 v[87:88], v[65:66], v[105:106], -v[87:88]
	ds_read_b128 v[61:64], v2 offset:752
	v_mul_f64 v[83:84], v[69:70], v[101:102]
	v_fma_f64 v[81:82], v[67:68], v[105:106], v[81:82]
	ds_read_b128 v[65:68], v2 offset:768
	v_add_f64 v[77:78], v[77:78], v[93:94]
	v_add_f64 v[3:4], v[3:4], v[91:92]
	s_waitcnt vmcnt(37) lgkmcnt(1)
	v_mul_f64 v[93:94], v[63:64], v[107:108]
	s_waitcnt vmcnt(36)
	v_fma_f64 v[95:96], v[69:70], v[103:104], -v[95:96]
	v_mul_f64 v[91:92], v[61:62], v[107:108]
	v_fma_f64 v[83:84], v[71:72], v[103:104], v[83:84]
	ds_read_b128 v[69:72], v2 offset:784
	v_add_f64 v[77:78], v[77:78], v[87:88]
	s_waitcnt vmcnt(35) lgkmcnt(1)
	v_mul_f64 v[87:88], v[67:68], v[109:110]
	v_add_f64 v[3:4], v[3:4], v[81:82]
	s_waitcnt vmcnt(33)
	v_fma_f64 v[93:94], v[61:62], v[113:114], -v[93:94]
	v_mul_f64 v[81:82], v[65:66], v[109:110]
	v_fma_f64 v[91:92], v[63:64], v[113:114], v[91:92]
	ds_read_b128 v[61:64], v2 offset:800
	v_add_f64 v[77:78], v[77:78], v[95:96]
	s_waitcnt vmcnt(29) lgkmcnt(1)
	v_mul_f64 v[95:96], v[71:72], v[115:116]
	v_add_f64 v[3:4], v[3:4], v[83:84]
	;; [unrolled: 9-line block ×6, first 2 shown]
	s_waitcnt vmcnt(12)
	v_fma_f64 v[95:96], v[69:70], v[127:128], -v[95:96]
	v_mul_f64 v[91:92], v[61:62], v[133:134]
	v_fma_f64 v[83:84], v[71:72], v[127:128], v[83:84]
	ds_read_b128 v[69:72], v2 offset:880
	v_add_f64 v[77:78], v[77:78], v[87:88]
	v_add_f64 v[3:4], v[3:4], v[81:82]
	s_waitcnt vmcnt(11) lgkmcnt(1)
	v_mul_f64 v[87:88], v[67:68], v[135:136]
	v_mul_f64 v[81:82], v[65:66], v[135:136]
	s_waitcnt vmcnt(9)
	v_fma_f64 v[61:62], v[61:62], v[75:76], -v[93:94]
	v_fma_f64 v[63:64], v[63:64], v[75:76], v[91:92]
	s_waitcnt vmcnt(7) lgkmcnt(0)
	v_mul_f64 v[75:76], v[69:70], v[79:80]
	v_mul_f64 v[79:80], v[71:72], v[79:80]
	v_add_f64 v[77:78], v[77:78], v[95:96]
	v_add_f64 v[2:3], v[3:4], v[83:84]
	s_waitcnt vmcnt(6)
	v_fma_f64 v[65:66], v[65:66], v[137:138], -v[87:88]
	v_fma_f64 v[67:68], v[67:68], v[137:138], v[81:82]
	v_add_f64 v[61:62], v[77:78], v[61:62]
	v_add_f64 v[2:3], v[2:3], v[63:64]
	s_waitcnt vmcnt(4)
	v_fma_f64 v[63:64], v[69:70], v[73:74], -v[79:80]
	v_add_f64 v[61:62], v[61:62], v[65:66]
	v_fma_f64 v[65:66], v[71:72], v[73:74], v[75:76]
	v_add_f64 v[2:3], v[2:3], v[67:68]
	v_add_f64 v[61:62], v[61:62], v[63:64]
	;; [unrolled: 1-line block ×3, first 2 shown]
	s_waitcnt vmcnt(2)
	v_add_f64 v[61:62], v[85:86], -v[61:62]
	s_waitcnt vmcnt(0)
	v_add_f64 v[2:3], v[89:90], -v[2:3]
	buffer_store_dword v62, off, s[0:3], 0 offset:164
	buffer_store_dword v61, off, s[0:3], 0 offset:160
	;; [unrolled: 1-line block ×4, first 2 shown]
	v_cmpx_lt_u32_e32 8, v0
	s_cbranch_execz .LBB91_165
; %bb.164:
	v_mov_b32_e32 v2, s31
	s_clause 0x3
	buffer_load_dword v61, v2, s[0:3], 0 offen
	buffer_load_dword v62, v2, s[0:3], 0 offen offset:4
	buffer_load_dword v63, v2, s[0:3], 0 offen offset:8
	;; [unrolled: 1-line block ×3, first 2 shown]
	v_mov_b32_e32 v2, 0
	buffer_store_dword v2, off, s[0:3], 0 offset:144
	buffer_store_dword v2, off, s[0:3], 0 offset:148
	;; [unrolled: 1-line block ×4, first 2 shown]
	s_waitcnt vmcnt(0)
	ds_write_b128 v1, v[61:64]
.LBB91_165:
	s_or_b32 exec_lo, exec_lo, s4
	s_waitcnt lgkmcnt(0)
	s_waitcnt_vscnt null, 0x0
	s_barrier
	buffer_gl0_inv
	s_clause 0x37
	buffer_load_dword v3, off, s[0:3], 0 offset:168
	buffer_load_dword v4, off, s[0:3], 0 offset:172
	;; [unrolled: 1-line block ×56, first 2 shown]
	v_mov_b32_e32 v2, 0
	s_mov_b32 s4, exec_lo
	ds_read_b128 v[61:64], v2 offset:592
	s_clause 0x2
	buffer_load_dword v126, off, s[0:3], 0 offset:396
	buffer_load_dword v130, off, s[0:3], 0 offset:372
	;; [unrolled: 1-line block ×3, first 2 shown]
	ds_read_b128 v[65:68], v2 offset:608
	s_clause 0x4
	buffer_load_dword v134, off, s[0:3], 0 offset:412
	buffer_load_dword v135, off, s[0:3], 0 offset:424
	;; [unrolled: 1-line block ×5, first 2 shown]
	ds_read_b128 v[69:72], v2 offset:624
	s_waitcnt vmcnt(62) lgkmcnt(2)
	v_mul_f64 v[131:132], v[63:64], v[3:4]
	v_mul_f64 v[3:4], v[61:62], v[3:4]
	s_waitcnt vmcnt(60) lgkmcnt(1)
	v_mul_f64 v[138:139], v[67:68], v[73:74]
	v_mul_f64 v[73:74], v[65:66], v[73:74]
	;; [unrolled: 3-line block ×3, first 2 shown]
	v_fma_f64 v[131:132], v[61:62], v[75:76], -v[131:132]
	v_fma_f64 v[3:4], v[63:64], v[75:76], v[3:4]
	s_clause 0x2
	buffer_load_dword v136, off, s[0:3], 0 offset:428
	buffer_load_dword v76, off, s[0:3], 0 offset:404
	;; [unrolled: 1-line block ×3, first 2 shown]
	s_waitcnt vmcnt(57)
	v_fma_f64 v[142:143], v[65:66], v[79:80], -v[138:139]
	ds_read_b128 v[61:64], v2 offset:640
	v_fma_f64 v[73:74], v[67:68], v[79:80], v[73:74]
	s_clause 0x4
	buffer_load_dword v80, off, s[0:3], 0 offset:444
	buffer_load_dword v139, off, s[0:3], 0 offset:456
	buffer_load_dword v144, off, s[0:3], 0 offset:448
	buffer_load_dword v79, off, s[0:3], 0 offset:440
	buffer_load_dword v138, off, s[0:3], 0 offset:420
	s_waitcnt vmcnt(56)
	v_fma_f64 v[77:78], v[69:70], v[87:88], -v[77:78]
	ds_read_b128 v[65:68], v2 offset:656
	v_fma_f64 v[87:88], v[71:72], v[87:88], v[140:141]
	v_add_f64 v[131:132], v[131:132], 0
	v_add_f64 v[3:4], v[3:4], 0
	s_waitcnt lgkmcnt(1)
	v_mul_f64 v[145:146], v[61:62], v[81:82]
	v_mul_f64 v[81:82], v[63:64], v[81:82]
	v_add_f64 v[131:132], v[131:132], v[142:143]
	v_add_f64 v[3:4], v[3:4], v[73:74]
	s_clause 0x2
	buffer_load_dword v140, off, s[0:3], 0 offset:460
	buffer_load_dword v74, off, s[0:3], 0 offset:436
	;; [unrolled: 1-line block ×3, first 2 shown]
	s_waitcnt vmcnt(58) lgkmcnt(0)
	v_mul_f64 v[141:142], v[65:66], v[83:84]
	v_mul_f64 v[83:84], v[67:68], v[83:84]
	s_waitcnt vmcnt(56)
	v_fma_f64 v[81:82], v[61:62], v[89:90], -v[81:82]
	ds_read_b128 v[69:72], v2 offset:672
	v_fma_f64 v[89:90], v[63:64], v[89:90], v[145:146]
	buffer_load_dword v145, off, s[0:3], 0 offset:452
	ds_read_b128 v[61:64], v2 offset:688
	v_add_f64 v[77:78], v[131:132], v[77:78]
	v_add_f64 v[3:4], v[3:4], v[87:88]
	s_waitcnt vmcnt(53) lgkmcnt(1)
	v_mul_f64 v[87:88], v[69:70], v[91:92]
	v_mul_f64 v[91:92], v[71:72], v[91:92]
	s_waitcnt vmcnt(52)
	v_fma_f64 v[83:84], v[65:66], v[85:86], -v[83:84]
	v_add_f64 v[77:78], v[77:78], v[81:82]
	v_fma_f64 v[81:82], v[67:68], v[85:86], v[141:142]
	v_add_f64 v[3:4], v[3:4], v[89:90]
	s_waitcnt vmcnt(51) lgkmcnt(0)
	v_mul_f64 v[89:90], v[63:64], v[93:94]
	ds_read_b128 v[65:68], v2 offset:704
	s_waitcnt vmcnt(49)
	v_fma_f64 v[91:92], v[69:70], v[97:98], -v[91:92]
	v_mul_f64 v[85:86], v[61:62], v[93:94]
	v_add_f64 v[77:78], v[77:78], v[83:84]
	v_fma_f64 v[83:84], v[71:72], v[97:98], v[87:88]
	v_add_f64 v[3:4], v[3:4], v[81:82]
	s_clause 0x3
	buffer_load_dword v81, off, s[0:3], 0 offset:144
	buffer_load_dword v82, off, s[0:3], 0 offset:148
	;; [unrolled: 1-line block ×4, first 2 shown]
	s_waitcnt vmcnt(49) lgkmcnt(0)
	v_mul_f64 v[97:98], v[67:68], v[99:100]
	s_waitcnt vmcnt(48)
	v_fma_f64 v[89:90], v[61:62], v[95:96], -v[89:90]
	ds_read_b128 v[69:72], v2 offset:720
	v_mul_f64 v[93:94], v[65:66], v[99:100]
	v_fma_f64 v[85:86], v[63:64], v[95:96], v[85:86]
	ds_read_b128 v[61:64], v2 offset:736
	v_add_f64 v[77:78], v[77:78], v[91:92]
	v_add_f64 v[3:4], v[3:4], v[83:84]
	s_waitcnt vmcnt(47) lgkmcnt(1)
	v_mul_f64 v[91:92], v[71:72], v[101:102]
	s_waitcnt vmcnt(45)
	v_fma_f64 v[95:96], v[65:66], v[105:106], -v[97:98]
	v_mul_f64 v[83:84], v[69:70], v[101:102]
	v_add_f64 v[77:78], v[77:78], v[89:90]
	v_fma_f64 v[89:90], v[67:68], v[105:106], v[93:94]
	v_add_f64 v[3:4], v[3:4], v[85:86]
	s_waitcnt vmcnt(41) lgkmcnt(0)
	v_mul_f64 v[93:94], v[63:64], v[107:108]
	s_waitcnt vmcnt(40)
	v_fma_f64 v[91:92], v[69:70], v[103:104], -v[91:92]
	ds_read_b128 v[65:68], v2 offset:752
	v_mul_f64 v[85:86], v[61:62], v[107:108]
	v_fma_f64 v[83:84], v[71:72], v[103:104], v[83:84]
	ds_read_b128 v[69:72], v2 offset:768
	v_add_f64 v[77:78], v[77:78], v[95:96]
	v_add_f64 v[3:4], v[3:4], v[89:90]
	s_waitcnt vmcnt(39) lgkmcnt(1)
	v_mul_f64 v[95:96], v[67:68], v[109:110]
	s_waitcnt vmcnt(37)
	v_fma_f64 v[93:94], v[61:62], v[113:114], -v[93:94]
	v_mul_f64 v[89:90], v[65:66], v[109:110]
	v_fma_f64 v[85:86], v[63:64], v[113:114], v[85:86]
	ds_read_b128 v[61:64], v2 offset:784
	v_add_f64 v[77:78], v[77:78], v[91:92]
	s_waitcnt vmcnt(33) lgkmcnt(1)
	v_mul_f64 v[91:92], v[71:72], v[115:116]
	v_add_f64 v[3:4], v[3:4], v[83:84]
	s_waitcnt vmcnt(32)
	v_fma_f64 v[95:96], v[65:66], v[111:112], -v[95:96]
	v_mul_f64 v[83:84], v[69:70], v[115:116]
	v_fma_f64 v[89:90], v[67:68], v[111:112], v[89:90]
	ds_read_b128 v[65:68], v2 offset:800
	v_add_f64 v[77:78], v[77:78], v[93:94]
	s_waitcnt vmcnt(31) lgkmcnt(1)
	v_mul_f64 v[93:94], v[63:64], v[117:118]
	v_add_f64 v[3:4], v[3:4], v[85:86]
	;; [unrolled: 9-line block ×5, first 2 shown]
	s_waitcnt vmcnt(16)
	v_fma_f64 v[91:92], v[69:70], v[127:128], -v[91:92]
	v_mul_f64 v[85:86], v[61:62], v[133:134]
	v_fma_f64 v[83:84], v[71:72], v[127:128], v[83:84]
	ds_read_b128 v[69:72], v2 offset:864
	v_add_f64 v[77:78], v[77:78], v[95:96]
	v_add_f64 v[3:4], v[3:4], v[89:90]
	s_waitcnt vmcnt(15) lgkmcnt(1)
	v_mul_f64 v[95:96], v[67:68], v[135:136]
	v_mul_f64 v[89:90], v[65:66], v[135:136]
	s_waitcnt vmcnt(13)
	v_fma_f64 v[93:94], v[61:62], v[75:76], -v[93:94]
	v_fma_f64 v[75:76], v[63:64], v[75:76], v[85:86]
	ds_read_b128 v[61:64], v2 offset:880
	v_add_f64 v[77:78], v[77:78], v[91:92]
	v_add_f64 v[3:4], v[3:4], v[83:84]
	s_waitcnt vmcnt(9) lgkmcnt(1)
	v_mul_f64 v[83:84], v[69:70], v[79:80]
	v_mul_f64 v[79:80], v[71:72], v[79:80]
	s_waitcnt vmcnt(8)
	v_fma_f64 v[65:66], v[65:66], v[137:138], -v[95:96]
	v_fma_f64 v[67:68], v[67:68], v[137:138], v[89:90]
	v_add_f64 v[77:78], v[77:78], v[93:94]
	v_add_f64 v[3:4], v[3:4], v[75:76]
	s_waitcnt vmcnt(7) lgkmcnt(0)
	v_mul_f64 v[85:86], v[63:64], v[139:140]
	v_mul_f64 v[75:76], v[61:62], v[139:140]
	s_waitcnt vmcnt(5)
	v_fma_f64 v[69:70], v[69:70], v[73:74], -v[79:80]
	v_fma_f64 v[71:72], v[71:72], v[73:74], v[83:84]
	v_add_f64 v[65:66], v[77:78], v[65:66]
	v_add_f64 v[3:4], v[3:4], v[67:68]
	s_waitcnt vmcnt(4)
	v_fma_f64 v[61:62], v[61:62], v[144:145], -v[85:86]
	v_fma_f64 v[63:64], v[63:64], v[144:145], v[75:76]
	v_add_f64 v[65:66], v[65:66], v[69:70]
	v_add_f64 v[3:4], v[3:4], v[71:72]
	;; [unrolled: 1-line block ×4, first 2 shown]
	s_waitcnt vmcnt(2)
	v_add_f64 v[61:62], v[81:82], -v[61:62]
	s_waitcnt vmcnt(0)
	v_add_f64 v[3:4], v[87:88], -v[3:4]
	buffer_store_dword v62, off, s[0:3], 0 offset:148
	buffer_store_dword v61, off, s[0:3], 0 offset:144
	;; [unrolled: 1-line block ×4, first 2 shown]
	v_cmpx_lt_u32_e32 7, v0
	s_cbranch_execz .LBB91_167
; %bb.166:
	v_mov_b32_e32 v3, s33
	s_clause 0x3
	buffer_load_dword v61, v3, s[0:3], 0 offen
	buffer_load_dword v62, v3, s[0:3], 0 offen offset:4
	buffer_load_dword v63, v3, s[0:3], 0 offen offset:8
	buffer_load_dword v64, v3, s[0:3], 0 offen offset:12
	buffer_store_dword v2, off, s[0:3], 0 offset:128
	buffer_store_dword v2, off, s[0:3], 0 offset:132
	;; [unrolled: 1-line block ×4, first 2 shown]
	s_waitcnt vmcnt(0)
	ds_write_b128 v1, v[61:64]
.LBB91_167:
	s_or_b32 exec_lo, exec_lo, s4
	s_waitcnt lgkmcnt(0)
	s_waitcnt_vscnt null, 0x0
	s_barrier
	buffer_gl0_inv
	s_clause 0x37
	buffer_load_dword v3, off, s[0:3], 0 offset:152
	buffer_load_dword v4, off, s[0:3], 0 offset:156
	;; [unrolled: 1-line block ×56, first 2 shown]
	ds_read_b128 v[61:64], v2 offset:576
	s_clause 0x2
	buffer_load_dword v126, off, s[0:3], 0 offset:380
	buffer_load_dword v130, off, s[0:3], 0 offset:356
	;; [unrolled: 1-line block ×3, first 2 shown]
	ds_read_b128 v[65:68], v2 offset:592
	s_clause 0x4
	buffer_load_dword v134, off, s[0:3], 0 offset:396
	buffer_load_dword v135, off, s[0:3], 0 offset:408
	;; [unrolled: 1-line block ×5, first 2 shown]
	ds_read_b128 v[69:72], v2 offset:608
	s_mov_b32 s4, exec_lo
	s_waitcnt vmcnt(62) lgkmcnt(2)
	v_mul_f64 v[131:132], v[63:64], v[3:4]
	v_mul_f64 v[3:4], v[61:62], v[3:4]
	s_waitcnt vmcnt(60) lgkmcnt(1)
	v_mul_f64 v[138:139], v[67:68], v[73:74]
	v_mul_f64 v[73:74], v[65:66], v[73:74]
	s_waitcnt vmcnt(56) lgkmcnt(0)
	v_mul_f64 v[140:141], v[69:70], v[77:78]
	v_mul_f64 v[77:78], v[71:72], v[77:78]
	v_fma_f64 v[131:132], v[61:62], v[75:76], -v[131:132]
	v_fma_f64 v[3:4], v[63:64], v[75:76], v[3:4]
	s_clause 0x2
	buffer_load_dword v136, off, s[0:3], 0 offset:412
	buffer_load_dword v76, off, s[0:3], 0 offset:388
	;; [unrolled: 1-line block ×3, first 2 shown]
	s_waitcnt vmcnt(57)
	v_fma_f64 v[142:143], v[65:66], v[79:80], -v[138:139]
	ds_read_b128 v[61:64], v2 offset:624
	v_fma_f64 v[73:74], v[67:68], v[79:80], v[73:74]
	s_clause 0x4
	buffer_load_dword v80, off, s[0:3], 0 offset:428
	buffer_load_dword v139, off, s[0:3], 0 offset:440
	;; [unrolled: 1-line block ×5, first 2 shown]
	s_waitcnt vmcnt(56)
	v_fma_f64 v[77:78], v[69:70], v[87:88], -v[77:78]
	ds_read_b128 v[65:68], v2 offset:640
	v_fma_f64 v[87:88], v[71:72], v[87:88], v[140:141]
	v_add_f64 v[131:132], v[131:132], 0
	v_add_f64 v[3:4], v[3:4], 0
	s_waitcnt lgkmcnt(1)
	v_mul_f64 v[145:146], v[61:62], v[81:82]
	v_mul_f64 v[81:82], v[63:64], v[81:82]
	v_add_f64 v[131:132], v[131:132], v[142:143]
	v_add_f64 v[3:4], v[3:4], v[73:74]
	s_clause 0x2
	buffer_load_dword v140, off, s[0:3], 0 offset:444
	buffer_load_dword v74, off, s[0:3], 0 offset:420
	;; [unrolled: 1-line block ×3, first 2 shown]
	s_waitcnt vmcnt(58) lgkmcnt(0)
	v_mul_f64 v[141:142], v[65:66], v[83:84]
	v_mul_f64 v[83:84], v[67:68], v[83:84]
	s_waitcnt vmcnt(56)
	v_fma_f64 v[81:82], v[61:62], v[89:90], -v[81:82]
	ds_read_b128 v[69:72], v2 offset:656
	v_fma_f64 v[89:90], v[63:64], v[89:90], v[145:146]
	v_add_f64 v[77:78], v[131:132], v[77:78]
	v_add_f64 v[3:4], v[3:4], v[87:88]
	s_clause 0x2
	buffer_load_dword v88, off, s[0:3], 0 offset:460
	buffer_load_dword v87, off, s[0:3], 0 offset:456
	;; [unrolled: 1-line block ×3, first 2 shown]
	ds_read_b128 v[61:64], v2 offset:672
	s_waitcnt vmcnt(55) lgkmcnt(1)
	v_mul_f64 v[131:132], v[69:70], v[91:92]
	v_mul_f64 v[91:92], v[71:72], v[91:92]
	s_waitcnt vmcnt(54)
	v_fma_f64 v[83:84], v[65:66], v[85:86], -v[83:84]
	v_add_f64 v[77:78], v[77:78], v[81:82]
	v_fma_f64 v[81:82], v[67:68], v[85:86], v[141:142]
	v_add_f64 v[3:4], v[3:4], v[89:90]
	s_clause 0x1
	buffer_load_dword v86, off, s[0:3], 0 offset:452
	buffer_load_dword v85, off, s[0:3], 0 offset:448
	s_waitcnt vmcnt(55) lgkmcnt(0)
	v_mul_f64 v[89:90], v[61:62], v[93:94]
	v_mul_f64 v[93:94], v[63:64], v[93:94]
	s_waitcnt vmcnt(53)
	v_fma_f64 v[91:92], v[69:70], v[97:98], -v[91:92]
	ds_read_b128 v[65:68], v2 offset:688
	v_add_f64 v[77:78], v[77:78], v[83:84]
	v_fma_f64 v[83:84], v[71:72], v[97:98], v[131:132]
	v_add_f64 v[3:4], v[3:4], v[81:82]
	ds_read_b128 v[69:72], v2 offset:704
	s_waitcnt vmcnt(48)
	v_fma_f64 v[89:90], v[63:64], v[95:96], v[89:90]
	s_waitcnt lgkmcnt(1)
	v_mul_f64 v[97:98], v[67:68], v[99:100]
	v_fma_f64 v[93:94], v[61:62], v[95:96], -v[93:94]
	v_mul_f64 v[81:82], v[65:66], v[99:100]
	v_add_f64 v[77:78], v[77:78], v[91:92]
	s_waitcnt vmcnt(47) lgkmcnt(0)
	v_mul_f64 v[99:100], v[71:72], v[101:102]
	v_add_f64 v[3:4], v[3:4], v[83:84]
	s_clause 0x3
	buffer_load_dword v83, off, s[0:3], 0 offset:128
	buffer_load_dword v84, off, s[0:3], 0 offset:132
	;; [unrolled: 1-line block ×4, first 2 shown]
	ds_read_b128 v[61:64], v2 offset:720
	s_waitcnt vmcnt(49)
	v_fma_f64 v[97:98], v[65:66], v[105:106], -v[97:98]
	v_mul_f64 v[95:96], v[69:70], v[101:102]
	v_fma_f64 v[81:82], v[67:68], v[105:106], v[81:82]
	ds_read_b128 v[65:68], v2 offset:736
	v_add_f64 v[77:78], v[77:78], v[93:94]
	s_waitcnt vmcnt(44)
	v_fma_f64 v[99:100], v[69:70], v[103:104], -v[99:100]
	v_add_f64 v[3:4], v[3:4], v[89:90]
	s_waitcnt lgkmcnt(1)
	v_mul_f64 v[93:94], v[63:64], v[107:108]
	v_mul_f64 v[89:90], v[61:62], v[107:108]
	v_fma_f64 v[95:96], v[71:72], v[103:104], v[95:96]
	ds_read_b128 v[69:72], v2 offset:752
	v_add_f64 v[77:78], v[77:78], v[97:98]
	s_waitcnt vmcnt(43) lgkmcnt(1)
	v_mul_f64 v[97:98], v[67:68], v[109:110]
	v_add_f64 v[3:4], v[3:4], v[81:82]
	s_waitcnt vmcnt(41)
	v_fma_f64 v[93:94], v[61:62], v[113:114], -v[93:94]
	v_mul_f64 v[81:82], v[65:66], v[109:110]
	v_fma_f64 v[89:90], v[63:64], v[113:114], v[89:90]
	ds_read_b128 v[61:64], v2 offset:768
	v_add_f64 v[77:78], v[77:78], v[99:100]
	s_waitcnt vmcnt(37) lgkmcnt(1)
	v_mul_f64 v[99:100], v[71:72], v[115:116]
	v_add_f64 v[3:4], v[3:4], v[95:96]
	s_waitcnt vmcnt(36)
	v_fma_f64 v[97:98], v[65:66], v[111:112], -v[97:98]
	;; [unrolled: 9-line block ×6, first 2 shown]
	v_mul_f64 v[89:90], v[61:62], v[133:134]
	v_fma_f64 v[95:96], v[71:72], v[127:128], v[95:96]
	ds_read_b128 v[69:72], v2 offset:848
	v_add_f64 v[77:78], v[77:78], v[97:98]
	v_add_f64 v[3:4], v[3:4], v[81:82]
	s_waitcnt vmcnt(19) lgkmcnt(1)
	v_mul_f64 v[97:98], v[67:68], v[135:136]
	v_mul_f64 v[81:82], v[65:66], v[135:136]
	s_waitcnt vmcnt(17)
	v_fma_f64 v[93:94], v[61:62], v[75:76], -v[93:94]
	v_fma_f64 v[75:76], v[63:64], v[75:76], v[89:90]
	ds_read_b128 v[61:64], v2 offset:864
	s_waitcnt vmcnt(13) lgkmcnt(1)
	v_mul_f64 v[89:90], v[69:70], v[79:80]
	v_mul_f64 v[79:80], v[71:72], v[79:80]
	v_add_f64 v[77:78], v[77:78], v[99:100]
	v_add_f64 v[3:4], v[3:4], v[95:96]
	s_waitcnt vmcnt(12)
	v_fma_f64 v[95:96], v[65:66], v[137:138], -v[97:98]
	v_fma_f64 v[81:82], v[67:68], v[137:138], v[81:82]
	ds_read_b128 v[65:68], v2 offset:880
	v_add_f64 v[77:78], v[77:78], v[93:94]
	v_add_f64 v[3:4], v[3:4], v[75:76]
	s_waitcnt vmcnt(11) lgkmcnt(1)
	v_mul_f64 v[93:94], v[63:64], v[139:140]
	v_mul_f64 v[75:76], v[61:62], v[139:140]
	s_waitcnt vmcnt(9)
	v_fma_f64 v[69:70], v[69:70], v[73:74], -v[79:80]
	v_fma_f64 v[71:72], v[71:72], v[73:74], v[89:90]
	v_add_f64 v[77:78], v[77:78], v[95:96]
	v_add_f64 v[2:3], v[3:4], v[81:82]
	s_waitcnt vmcnt(7) lgkmcnt(0)
	v_mul_f64 v[79:80], v[67:68], v[87:88]
	s_waitcnt vmcnt(6)
	v_fma_f64 v[61:62], v[61:62], v[144:145], -v[93:94]
	v_mul_f64 v[73:74], v[65:66], v[87:88]
	v_fma_f64 v[63:64], v[63:64], v[144:145], v[75:76]
	v_add_f64 v[69:70], v[77:78], v[69:70]
	v_add_f64 v[2:3], v[2:3], v[71:72]
	s_waitcnt vmcnt(4)
	v_fma_f64 v[65:66], v[65:66], v[85:86], -v[79:80]
	v_fma_f64 v[67:68], v[67:68], v[85:86], v[73:74]
	v_add_f64 v[61:62], v[69:70], v[61:62]
	v_add_f64 v[2:3], v[2:3], v[63:64]
	;; [unrolled: 1-line block ×4, first 2 shown]
	s_waitcnt vmcnt(2)
	v_add_f64 v[61:62], v[83:84], -v[61:62]
	s_waitcnt vmcnt(0)
	v_add_f64 v[2:3], v[91:92], -v[2:3]
	buffer_store_dword v62, off, s[0:3], 0 offset:132
	buffer_store_dword v61, off, s[0:3], 0 offset:128
	;; [unrolled: 1-line block ×4, first 2 shown]
	v_cmpx_lt_u32_e32 6, v0
	s_cbranch_execz .LBB91_169
; %bb.168:
	v_mov_b32_e32 v2, s34
	s_clause 0x3
	buffer_load_dword v61, v2, s[0:3], 0 offen
	buffer_load_dword v62, v2, s[0:3], 0 offen offset:4
	buffer_load_dword v63, v2, s[0:3], 0 offen offset:8
	;; [unrolled: 1-line block ×3, first 2 shown]
	v_mov_b32_e32 v2, 0
	buffer_store_dword v2, off, s[0:3], 0 offset:112
	buffer_store_dword v2, off, s[0:3], 0 offset:116
	;; [unrolled: 1-line block ×4, first 2 shown]
	s_waitcnt vmcnt(0)
	ds_write_b128 v1, v[61:64]
.LBB91_169:
	s_or_b32 exec_lo, exec_lo, s4
	s_waitcnt lgkmcnt(0)
	s_waitcnt_vscnt null, 0x0
	s_barrier
	buffer_gl0_inv
	s_clause 0x37
	buffer_load_dword v3, off, s[0:3], 0 offset:136
	buffer_load_dword v4, off, s[0:3], 0 offset:140
	;; [unrolled: 1-line block ×56, first 2 shown]
	v_mov_b32_e32 v2, 0
	s_mov_b32 s4, exec_lo
	ds_read_b128 v[61:64], v2 offset:560
	s_clause 0x2
	buffer_load_dword v126, off, s[0:3], 0 offset:364
	buffer_load_dword v130, off, s[0:3], 0 offset:340
	;; [unrolled: 1-line block ×3, first 2 shown]
	ds_read_b128 v[65:68], v2 offset:576
	s_clause 0x4
	buffer_load_dword v134, off, s[0:3], 0 offset:380
	buffer_load_dword v135, off, s[0:3], 0 offset:392
	;; [unrolled: 1-line block ×5, first 2 shown]
	ds_read_b128 v[69:72], v2 offset:592
	s_waitcnt vmcnt(62) lgkmcnt(2)
	v_mul_f64 v[131:132], v[63:64], v[3:4]
	v_mul_f64 v[3:4], v[61:62], v[3:4]
	s_waitcnt vmcnt(60) lgkmcnt(1)
	v_mul_f64 v[138:139], v[67:68], v[73:74]
	v_mul_f64 v[73:74], v[65:66], v[73:74]
	;; [unrolled: 3-line block ×3, first 2 shown]
	v_fma_f64 v[131:132], v[61:62], v[75:76], -v[131:132]
	v_fma_f64 v[3:4], v[63:64], v[75:76], v[3:4]
	s_clause 0x2
	buffer_load_dword v136, off, s[0:3], 0 offset:396
	buffer_load_dword v76, off, s[0:3], 0 offset:372
	;; [unrolled: 1-line block ×3, first 2 shown]
	s_waitcnt vmcnt(57)
	v_fma_f64 v[142:143], v[65:66], v[79:80], -v[138:139]
	ds_read_b128 v[61:64], v2 offset:608
	v_fma_f64 v[73:74], v[67:68], v[79:80], v[73:74]
	s_clause 0x4
	buffer_load_dword v80, off, s[0:3], 0 offset:412
	buffer_load_dword v139, off, s[0:3], 0 offset:424
	buffer_load_dword v144, off, s[0:3], 0 offset:416
	buffer_load_dword v79, off, s[0:3], 0 offset:408
	buffer_load_dword v138, off, s[0:3], 0 offset:388
	s_waitcnt vmcnt(56)
	v_fma_f64 v[77:78], v[69:70], v[87:88], -v[77:78]
	ds_read_b128 v[65:68], v2 offset:624
	v_fma_f64 v[87:88], v[71:72], v[87:88], v[140:141]
	v_add_f64 v[131:132], v[131:132], 0
	v_add_f64 v[3:4], v[3:4], 0
	s_waitcnt lgkmcnt(1)
	v_mul_f64 v[145:146], v[61:62], v[81:82]
	v_mul_f64 v[81:82], v[63:64], v[81:82]
	v_add_f64 v[131:132], v[131:132], v[142:143]
	v_add_f64 v[3:4], v[3:4], v[73:74]
	s_clause 0x2
	buffer_load_dword v140, off, s[0:3], 0 offset:428
	buffer_load_dword v74, off, s[0:3], 0 offset:404
	;; [unrolled: 1-line block ×3, first 2 shown]
	s_waitcnt vmcnt(58) lgkmcnt(0)
	v_mul_f64 v[141:142], v[65:66], v[83:84]
	v_mul_f64 v[83:84], v[67:68], v[83:84]
	s_waitcnt vmcnt(56)
	v_fma_f64 v[81:82], v[61:62], v[89:90], -v[81:82]
	ds_read_b128 v[69:72], v2 offset:640
	v_fma_f64 v[89:90], v[63:64], v[89:90], v[145:146]
	v_add_f64 v[77:78], v[131:132], v[77:78]
	v_add_f64 v[3:4], v[3:4], v[87:88]
	s_clause 0x4
	buffer_load_dword v88, off, s[0:3], 0 offset:444
	buffer_load_dword v131, off, s[0:3], 0 offset:456
	;; [unrolled: 1-line block ×5, first 2 shown]
	ds_read_b128 v[61:64], v2 offset:656
	s_waitcnt vmcnt(57) lgkmcnt(1)
	v_mul_f64 v[147:148], v[69:70], v[91:92]
	v_mul_f64 v[91:92], v[71:72], v[91:92]
	s_waitcnt vmcnt(56)
	v_fma_f64 v[83:84], v[65:66], v[85:86], -v[83:84]
	v_add_f64 v[77:78], v[77:78], v[81:82]
	v_fma_f64 v[81:82], v[67:68], v[85:86], v[141:142]
	v_add_f64 v[3:4], v[3:4], v[89:90]
	s_clause 0x2
	buffer_load_dword v132, off, s[0:3], 0 offset:460
	buffer_load_dword v86, off, s[0:3], 0 offset:436
	;; [unrolled: 1-line block ×3, first 2 shown]
	s_waitcnt vmcnt(58) lgkmcnt(0)
	v_mul_f64 v[89:90], v[61:62], v[93:94]
	v_mul_f64 v[93:94], v[63:64], v[93:94]
	s_waitcnt vmcnt(56)
	v_fma_f64 v[91:92], v[69:70], v[97:98], -v[91:92]
	ds_read_b128 v[65:68], v2 offset:672
	v_add_f64 v[77:78], v[77:78], v[83:84]
	v_fma_f64 v[83:84], v[71:72], v[97:98], v[147:148]
	v_add_f64 v[3:4], v[3:4], v[81:82]
	buffer_load_dword v147, off, s[0:3], 0 offset:452
	ds_read_b128 v[69:72], v2 offset:688
	s_waitcnt vmcnt(53) lgkmcnt(1)
	v_mul_f64 v[97:98], v[67:68], v[99:100]
	s_waitcnt vmcnt(52)
	v_fma_f64 v[93:94], v[61:62], v[95:96], -v[93:94]
	v_mul_f64 v[81:82], v[65:66], v[99:100]
	v_fma_f64 v[89:90], v[63:64], v[95:96], v[89:90]
	ds_read_b128 v[61:64], v2 offset:704
	v_add_f64 v[77:78], v[77:78], v[91:92]
	v_add_f64 v[3:4], v[3:4], v[83:84]
	s_waitcnt vmcnt(51) lgkmcnt(1)
	v_mul_f64 v[91:92], v[71:72], v[101:102]
	v_mul_f64 v[83:84], v[69:70], v[101:102]
	s_waitcnt vmcnt(49)
	v_fma_f64 v[95:96], v[65:66], v[105:106], -v[97:98]
	v_fma_f64 v[81:82], v[67:68], v[105:106], v[81:82]
	s_waitcnt vmcnt(45) lgkmcnt(0)
	v_mul_f64 v[99:100], v[63:64], v[107:108]
	v_mul_f64 v[97:98], v[61:62], v[107:108]
	v_add_f64 v[77:78], v[77:78], v[93:94]
	v_add_f64 v[3:4], v[3:4], v[89:90]
	s_clause 0x3
	buffer_load_dword v89, off, s[0:3], 0 offset:112
	buffer_load_dword v90, off, s[0:3], 0 offset:116
	;; [unrolled: 1-line block ×4, first 2 shown]
	s_waitcnt vmcnt(48)
	v_fma_f64 v[91:92], v[69:70], v[103:104], -v[91:92]
	ds_read_b128 v[65:68], v2 offset:720
	v_fma_f64 v[83:84], v[71:72], v[103:104], v[83:84]
	ds_read_b128 v[69:72], v2 offset:736
	s_waitcnt vmcnt(45)
	v_fma_f64 v[99:100], v[61:62], v[113:114], -v[99:100]
	v_add_f64 v[77:78], v[77:78], v[95:96]
	v_add_f64 v[3:4], v[3:4], v[81:82]
	s_waitcnt lgkmcnt(1)
	v_mul_f64 v[95:96], v[67:68], v[109:110]
	v_mul_f64 v[81:82], v[65:66], v[109:110]
	v_add_f64 v[77:78], v[77:78], v[91:92]
	v_fma_f64 v[91:92], v[63:64], v[113:114], v[97:98]
	v_add_f64 v[3:4], v[3:4], v[83:84]
	s_waitcnt vmcnt(41) lgkmcnt(0)
	v_mul_f64 v[97:98], v[71:72], v[115:116]
	s_waitcnt vmcnt(40)
	v_fma_f64 v[95:96], v[65:66], v[111:112], -v[95:96]
	ds_read_b128 v[61:64], v2 offset:752
	v_mul_f64 v[83:84], v[69:70], v[115:116]
	v_fma_f64 v[81:82], v[67:68], v[111:112], v[81:82]
	ds_read_b128 v[65:68], v2 offset:768
	v_add_f64 v[77:78], v[77:78], v[99:100]
	v_add_f64 v[3:4], v[3:4], v[91:92]
	s_waitcnt vmcnt(39) lgkmcnt(1)
	v_mul_f64 v[99:100], v[63:64], v[117:118]
	s_waitcnt vmcnt(37)
	v_fma_f64 v[97:98], v[69:70], v[121:122], -v[97:98]
	v_mul_f64 v[91:92], v[61:62], v[117:118]
	v_fma_f64 v[83:84], v[71:72], v[121:122], v[83:84]
	ds_read_b128 v[69:72], v2 offset:784
	v_add_f64 v[77:78], v[77:78], v[95:96]
	s_waitcnt vmcnt(33) lgkmcnt(1)
	v_mul_f64 v[95:96], v[67:68], v[123:124]
	v_add_f64 v[3:4], v[3:4], v[81:82]
	s_waitcnt vmcnt(32)
	v_fma_f64 v[99:100], v[61:62], v[119:120], -v[99:100]
	v_mul_f64 v[81:82], v[65:66], v[123:124]
	v_fma_f64 v[91:92], v[63:64], v[119:120], v[91:92]
	ds_read_b128 v[61:64], v2 offset:800
	v_add_f64 v[77:78], v[77:78], v[97:98]
	s_waitcnt vmcnt(31) lgkmcnt(1)
	v_mul_f64 v[97:98], v[71:72], v[125:126]
	v_add_f64 v[3:4], v[3:4], v[83:84]
	;; [unrolled: 9-line block ×3, first 2 shown]
	s_waitcnt vmcnt(24)
	v_fma_f64 v[97:98], v[69:70], v[127:128], -v[97:98]
	v_mul_f64 v[91:92], v[61:62], v[133:134]
	v_fma_f64 v[83:84], v[71:72], v[127:128], v[83:84]
	ds_read_b128 v[69:72], v2 offset:832
	v_add_f64 v[77:78], v[77:78], v[95:96]
	v_add_f64 v[3:4], v[3:4], v[81:82]
	s_waitcnt vmcnt(23) lgkmcnt(1)
	v_mul_f64 v[95:96], v[67:68], v[135:136]
	v_mul_f64 v[81:82], v[65:66], v[135:136]
	s_waitcnt vmcnt(21)
	v_fma_f64 v[99:100], v[61:62], v[75:76], -v[99:100]
	v_fma_f64 v[75:76], v[63:64], v[75:76], v[91:92]
	ds_read_b128 v[61:64], v2 offset:848
	v_add_f64 v[77:78], v[77:78], v[97:98]
	v_add_f64 v[3:4], v[3:4], v[83:84]
	s_waitcnt vmcnt(17) lgkmcnt(1)
	v_mul_f64 v[83:84], v[69:70], v[79:80]
	v_mul_f64 v[79:80], v[71:72], v[79:80]
	s_waitcnt vmcnt(16)
	v_fma_f64 v[91:92], v[65:66], v[137:138], -v[95:96]
	;; [unrolled: 9-line block ×3, first 2 shown]
	v_fma_f64 v[73:74], v[71:72], v[73:74], v[83:84]
	ds_read_b128 v[69:72], v2 offset:880
	v_add_f64 v[77:78], v[77:78], v[91:92]
	v_add_f64 v[3:4], v[3:4], v[81:82]
	s_waitcnt vmcnt(9) lgkmcnt(1)
	v_mul_f64 v[83:84], v[67:68], v[87:88]
	s_waitcnt vmcnt(8)
	v_fma_f64 v[61:62], v[61:62], v[144:145], -v[95:96]
	v_mul_f64 v[81:82], v[65:66], v[87:88]
	v_fma_f64 v[63:64], v[63:64], v[144:145], v[75:76]
	v_add_f64 v[77:78], v[77:78], v[79:80]
	v_add_f64 v[3:4], v[3:4], v[73:74]
	s_waitcnt vmcnt(7) lgkmcnt(0)
	v_mul_f64 v[75:76], v[71:72], v[131:132]
	v_mul_f64 v[73:74], v[69:70], v[131:132]
	s_waitcnt vmcnt(5)
	v_fma_f64 v[65:66], v[65:66], v[85:86], -v[83:84]
	v_fma_f64 v[67:68], v[67:68], v[85:86], v[81:82]
	v_add_f64 v[61:62], v[77:78], v[61:62]
	v_add_f64 v[3:4], v[3:4], v[63:64]
	s_waitcnt vmcnt(4)
	v_fma_f64 v[63:64], v[69:70], v[146:147], -v[75:76]
	v_add_f64 v[61:62], v[61:62], v[65:66]
	v_fma_f64 v[65:66], v[71:72], v[146:147], v[73:74]
	v_add_f64 v[3:4], v[3:4], v[67:68]
	v_add_f64 v[61:62], v[61:62], v[63:64]
	;; [unrolled: 1-line block ×3, first 2 shown]
	s_waitcnt vmcnt(2)
	v_add_f64 v[61:62], v[89:90], -v[61:62]
	s_waitcnt vmcnt(0)
	v_add_f64 v[3:4], v[93:94], -v[3:4]
	buffer_store_dword v62, off, s[0:3], 0 offset:116
	buffer_store_dword v61, off, s[0:3], 0 offset:112
	;; [unrolled: 1-line block ×4, first 2 shown]
	v_cmpx_lt_u32_e32 5, v0
	s_cbranch_execz .LBB91_171
; %bb.170:
	v_mov_b32_e32 v3, s35
	s_clause 0x3
	buffer_load_dword v61, v3, s[0:3], 0 offen
	buffer_load_dword v62, v3, s[0:3], 0 offen offset:4
	buffer_load_dword v63, v3, s[0:3], 0 offen offset:8
	;; [unrolled: 1-line block ×3, first 2 shown]
	buffer_store_dword v2, off, s[0:3], 0 offset:96
	buffer_store_dword v2, off, s[0:3], 0 offset:100
	;; [unrolled: 1-line block ×4, first 2 shown]
	s_waitcnt vmcnt(0)
	ds_write_b128 v1, v[61:64]
.LBB91_171:
	s_or_b32 exec_lo, exec_lo, s4
	s_waitcnt lgkmcnt(0)
	s_waitcnt_vscnt null, 0x0
	s_barrier
	buffer_gl0_inv
	s_clause 0x37
	buffer_load_dword v3, off, s[0:3], 0 offset:120
	buffer_load_dword v4, off, s[0:3], 0 offset:124
	buffer_load_dword v73, off, s[0:3], 0 offset:136
	buffer_load_dword v74, off, s[0:3], 0 offset:140
	buffer_load_dword v75, off, s[0:3], 0 offset:112
	buffer_load_dword v76, off, s[0:3], 0 offset:116
	buffer_load_dword v77, off, s[0:3], 0 offset:152
	buffer_load_dword v78, off, s[0:3], 0 offset:156
	buffer_load_dword v79, off, s[0:3], 0 offset:128
	buffer_load_dword v80, off, s[0:3], 0 offset:132
	buffer_load_dword v82, off, s[0:3], 0 offset:172
	buffer_load_dword v83, off, s[0:3], 0 offset:184
	buffer_load_dword v85, off, s[0:3], 0 offset:176
	buffer_load_dword v81, off, s[0:3], 0 offset:168
	buffer_load_dword v87, off, s[0:3], 0 offset:144
	buffer_load_dword v88, off, s[0:3], 0 offset:148
	buffer_load_dword v84, off, s[0:3], 0 offset:188
	buffer_load_dword v90, off, s[0:3], 0 offset:164
	buffer_load_dword v89, off, s[0:3], 0 offset:160
	buffer_load_dword v92, off, s[0:3], 0 offset:204
	buffer_load_dword v93, off, s[0:3], 0 offset:216
	buffer_load_dword v95, off, s[0:3], 0 offset:208
	buffer_load_dword v91, off, s[0:3], 0 offset:200
	buffer_load_dword v86, off, s[0:3], 0 offset:180
	buffer_load_dword v94, off, s[0:3], 0 offset:220
	buffer_load_dword v98, off, s[0:3], 0 offset:196
	buffer_load_dword v97, off, s[0:3], 0 offset:192
	buffer_load_dword v100, off, s[0:3], 0 offset:236
	buffer_load_dword v101, off, s[0:3], 0 offset:248
	buffer_load_dword v103, off, s[0:3], 0 offset:240
	buffer_load_dword v99, off, s[0:3], 0 offset:232
	buffer_load_dword v96, off, s[0:3], 0 offset:212
	buffer_load_dword v102, off, s[0:3], 0 offset:252
	buffer_load_dword v106, off, s[0:3], 0 offset:228
	buffer_load_dword v105, off, s[0:3], 0 offset:224
	buffer_load_dword v108, off, s[0:3], 0 offset:268
	buffer_load_dword v109, off, s[0:3], 0 offset:280
	buffer_load_dword v111, off, s[0:3], 0 offset:272
	buffer_load_dword v107, off, s[0:3], 0 offset:264
	buffer_load_dword v104, off, s[0:3], 0 offset:244
	buffer_load_dword v110, off, s[0:3], 0 offset:284
	buffer_load_dword v114, off, s[0:3], 0 offset:260
	buffer_load_dword v113, off, s[0:3], 0 offset:256
	buffer_load_dword v116, off, s[0:3], 0 offset:300
	buffer_load_dword v117, off, s[0:3], 0 offset:312
	buffer_load_dword v119, off, s[0:3], 0 offset:304
	buffer_load_dword v115, off, s[0:3], 0 offset:296
	buffer_load_dword v112, off, s[0:3], 0 offset:276
	buffer_load_dword v118, off, s[0:3], 0 offset:316
	buffer_load_dword v122, off, s[0:3], 0 offset:292
	buffer_load_dword v121, off, s[0:3], 0 offset:288
	buffer_load_dword v124, off, s[0:3], 0 offset:332
	buffer_load_dword v125, off, s[0:3], 0 offset:344
	buffer_load_dword v127, off, s[0:3], 0 offset:336
	buffer_load_dword v123, off, s[0:3], 0 offset:328
	buffer_load_dword v120, off, s[0:3], 0 offset:308
	ds_read_b128 v[61:64], v2 offset:544
	s_clause 0x2
	buffer_load_dword v126, off, s[0:3], 0 offset:348
	buffer_load_dword v130, off, s[0:3], 0 offset:324
	;; [unrolled: 1-line block ×3, first 2 shown]
	ds_read_b128 v[65:68], v2 offset:560
	s_clause 0x4
	buffer_load_dword v134, off, s[0:3], 0 offset:364
	buffer_load_dword v135, off, s[0:3], 0 offset:376
	;; [unrolled: 1-line block ×5, first 2 shown]
	ds_read_b128 v[69:72], v2 offset:576
	s_mov_b32 s4, exec_lo
	s_waitcnt vmcnt(62) lgkmcnt(2)
	v_mul_f64 v[131:132], v[63:64], v[3:4]
	v_mul_f64 v[3:4], v[61:62], v[3:4]
	s_waitcnt vmcnt(60) lgkmcnt(1)
	v_mul_f64 v[138:139], v[67:68], v[73:74]
	v_mul_f64 v[73:74], v[65:66], v[73:74]
	;; [unrolled: 3-line block ×3, first 2 shown]
	v_fma_f64 v[131:132], v[61:62], v[75:76], -v[131:132]
	v_fma_f64 v[3:4], v[63:64], v[75:76], v[3:4]
	s_clause 0x2
	buffer_load_dword v136, off, s[0:3], 0 offset:380
	buffer_load_dword v76, off, s[0:3], 0 offset:356
	;; [unrolled: 1-line block ×3, first 2 shown]
	s_waitcnt vmcnt(57)
	v_fma_f64 v[142:143], v[65:66], v[79:80], -v[138:139]
	ds_read_b128 v[61:64], v2 offset:592
	v_fma_f64 v[73:74], v[67:68], v[79:80], v[73:74]
	s_clause 0x4
	buffer_load_dword v80, off, s[0:3], 0 offset:396
	buffer_load_dword v139, off, s[0:3], 0 offset:408
	buffer_load_dword v144, off, s[0:3], 0 offset:400
	buffer_load_dword v79, off, s[0:3], 0 offset:392
	buffer_load_dword v138, off, s[0:3], 0 offset:372
	s_waitcnt vmcnt(56)
	v_fma_f64 v[77:78], v[69:70], v[87:88], -v[77:78]
	ds_read_b128 v[65:68], v2 offset:608
	v_fma_f64 v[87:88], v[71:72], v[87:88], v[140:141]
	v_add_f64 v[131:132], v[131:132], 0
	v_add_f64 v[3:4], v[3:4], 0
	s_waitcnt lgkmcnt(1)
	v_mul_f64 v[145:146], v[61:62], v[81:82]
	v_mul_f64 v[81:82], v[63:64], v[81:82]
	v_add_f64 v[131:132], v[131:132], v[142:143]
	v_add_f64 v[3:4], v[3:4], v[73:74]
	s_clause 0x2
	buffer_load_dword v140, off, s[0:3], 0 offset:412
	buffer_load_dword v74, off, s[0:3], 0 offset:388
	;; [unrolled: 1-line block ×3, first 2 shown]
	s_waitcnt vmcnt(58) lgkmcnt(0)
	v_mul_f64 v[141:142], v[65:66], v[83:84]
	v_mul_f64 v[83:84], v[67:68], v[83:84]
	s_waitcnt vmcnt(56)
	v_fma_f64 v[81:82], v[61:62], v[89:90], -v[81:82]
	ds_read_b128 v[69:72], v2 offset:624
	v_fma_f64 v[89:90], v[63:64], v[89:90], v[145:146]
	v_add_f64 v[77:78], v[131:132], v[77:78]
	v_add_f64 v[3:4], v[3:4], v[87:88]
	s_clause 0x4
	buffer_load_dword v88, off, s[0:3], 0 offset:428
	buffer_load_dword v131, off, s[0:3], 0 offset:440
	;; [unrolled: 1-line block ×5, first 2 shown]
	ds_read_b128 v[61:64], v2 offset:640
	s_waitcnt vmcnt(57) lgkmcnt(1)
	v_mul_f64 v[147:148], v[69:70], v[91:92]
	v_mul_f64 v[91:92], v[71:72], v[91:92]
	s_waitcnt vmcnt(56)
	v_fma_f64 v[83:84], v[65:66], v[85:86], -v[83:84]
	v_add_f64 v[77:78], v[77:78], v[81:82]
	v_fma_f64 v[81:82], v[67:68], v[85:86], v[141:142]
	v_add_f64 v[3:4], v[3:4], v[89:90]
	s_clause 0x2
	buffer_load_dword v132, off, s[0:3], 0 offset:444
	buffer_load_dword v86, off, s[0:3], 0 offset:420
	;; [unrolled: 1-line block ×3, first 2 shown]
	s_waitcnt vmcnt(58) lgkmcnt(0)
	v_mul_f64 v[89:90], v[61:62], v[93:94]
	v_mul_f64 v[93:94], v[63:64], v[93:94]
	s_waitcnt vmcnt(56)
	v_fma_f64 v[91:92], v[69:70], v[97:98], -v[91:92]
	ds_read_b128 v[65:68], v2 offset:656
	v_add_f64 v[77:78], v[77:78], v[83:84]
	v_fma_f64 v[83:84], v[71:72], v[97:98], v[147:148]
	v_add_f64 v[3:4], v[3:4], v[81:82]
	s_clause 0x2
	buffer_load_dword v82, off, s[0:3], 0 offset:460
	buffer_load_dword v81, off, s[0:3], 0 offset:456
	buffer_load_dword v147, off, s[0:3], 0 offset:436
	ds_read_b128 v[69:72], v2 offset:672
	s_waitcnt vmcnt(55) lgkmcnt(1)
	v_mul_f64 v[97:98], v[65:66], v[99:100]
	v_mul_f64 v[99:100], v[67:68], v[99:100]
	s_waitcnt vmcnt(54)
	v_fma_f64 v[93:94], v[61:62], v[95:96], -v[93:94]
	v_fma_f64 v[89:90], v[63:64], v[95:96], v[89:90]
	v_add_f64 v[77:78], v[77:78], v[91:92]
	v_add_f64 v[3:4], v[3:4], v[83:84]
	s_clause 0x1
	buffer_load_dword v84, off, s[0:3], 0 offset:452
	buffer_load_dword v83, off, s[0:3], 0 offset:448
	s_waitcnt vmcnt(55) lgkmcnt(0)
	v_mul_f64 v[95:96], v[71:72], v[101:102]
	ds_read_b128 v[61:64], v2 offset:688
	s_waitcnt vmcnt(53)
	v_fma_f64 v[99:100], v[65:66], v[105:106], -v[99:100]
	v_mul_f64 v[91:92], v[69:70], v[101:102]
	v_add_f64 v[77:78], v[77:78], v[93:94]
	v_fma_f64 v[93:94], v[67:68], v[105:106], v[97:98]
	v_add_f64 v[3:4], v[3:4], v[89:90]
	ds_read_b128 v[65:68], v2 offset:704
	s_waitcnt vmcnt(49) lgkmcnt(1)
	v_mul_f64 v[97:98], v[63:64], v[107:108]
	s_waitcnt vmcnt(48)
	v_fma_f64 v[95:96], v[69:70], v[103:104], -v[95:96]
	v_mul_f64 v[89:90], v[61:62], v[107:108]
	v_fma_f64 v[91:92], v[71:72], v[103:104], v[91:92]
	v_add_f64 v[77:78], v[77:78], v[99:100]
	s_waitcnt vmcnt(47) lgkmcnt(0)
	v_mul_f64 v[103:104], v[67:68], v[109:110]
	v_add_f64 v[3:4], v[3:4], v[93:94]
	s_clause 0x3
	buffer_load_dword v93, off, s[0:3], 0 offset:96
	buffer_load_dword v94, off, s[0:3], 0 offset:100
	;; [unrolled: 1-line block ×4, first 2 shown]
	s_waitcnt vmcnt(49)
	v_fma_f64 v[97:98], v[61:62], v[113:114], -v[97:98]
	ds_read_b128 v[69:72], v2 offset:720
	v_mul_f64 v[101:102], v[65:66], v[109:110]
	v_fma_f64 v[89:90], v[63:64], v[113:114], v[89:90]
	ds_read_b128 v[61:64], v2 offset:736
	v_add_f64 v[77:78], v[77:78], v[95:96]
	s_waitcnt vmcnt(44)
	v_fma_f64 v[103:104], v[65:66], v[111:112], -v[103:104]
	v_add_f64 v[3:4], v[3:4], v[91:92]
	s_waitcnt lgkmcnt(1)
	v_mul_f64 v[95:96], v[71:72], v[115:116]
	v_mul_f64 v[91:92], v[69:70], v[115:116]
	v_add_f64 v[77:78], v[77:78], v[97:98]
	v_fma_f64 v[97:98], v[67:68], v[111:112], v[101:102]
	v_add_f64 v[3:4], v[3:4], v[89:90]
	s_waitcnt vmcnt(43) lgkmcnt(0)
	v_mul_f64 v[101:102], v[63:64], v[117:118]
	s_waitcnt vmcnt(41)
	v_fma_f64 v[95:96], v[69:70], v[121:122], -v[95:96]
	ds_read_b128 v[65:68], v2 offset:752
	v_mul_f64 v[89:90], v[61:62], v[117:118]
	v_fma_f64 v[91:92], v[71:72], v[121:122], v[91:92]
	ds_read_b128 v[69:72], v2 offset:768
	v_add_f64 v[77:78], v[77:78], v[103:104]
	v_add_f64 v[3:4], v[3:4], v[97:98]
	s_waitcnt vmcnt(37) lgkmcnt(1)
	v_mul_f64 v[103:104], v[67:68], v[123:124]
	s_waitcnt vmcnt(36)
	v_fma_f64 v[101:102], v[61:62], v[119:120], -v[101:102]
	v_mul_f64 v[97:98], v[65:66], v[123:124]
	v_fma_f64 v[89:90], v[63:64], v[119:120], v[89:90]
	ds_read_b128 v[61:64], v2 offset:784
	v_add_f64 v[77:78], v[77:78], v[95:96]
	s_waitcnt vmcnt(35) lgkmcnt(1)
	v_mul_f64 v[95:96], v[71:72], v[125:126]
	v_add_f64 v[3:4], v[3:4], v[91:92]
	s_waitcnt vmcnt(33)
	v_fma_f64 v[103:104], v[65:66], v[129:130], -v[103:104]
	v_mul_f64 v[91:92], v[69:70], v[125:126]
	v_fma_f64 v[97:98], v[67:68], v[129:130], v[97:98]
	ds_read_b128 v[65:68], v2 offset:800
	v_add_f64 v[77:78], v[77:78], v[101:102]
	s_waitcnt vmcnt(29) lgkmcnt(1)
	v_mul_f64 v[101:102], v[63:64], v[133:134]
	v_add_f64 v[3:4], v[3:4], v[89:90]
	s_waitcnt vmcnt(28)
	v_fma_f64 v[95:96], v[69:70], v[127:128], -v[95:96]
	v_mul_f64 v[89:90], v[61:62], v[133:134]
	v_fma_f64 v[91:92], v[71:72], v[127:128], v[91:92]
	ds_read_b128 v[69:72], v2 offset:816
	v_add_f64 v[77:78], v[77:78], v[103:104]
	v_add_f64 v[3:4], v[3:4], v[97:98]
	s_waitcnt vmcnt(27) lgkmcnt(1)
	v_mul_f64 v[103:104], v[67:68], v[135:136]
	v_mul_f64 v[97:98], v[65:66], v[135:136]
	s_waitcnt vmcnt(25)
	v_fma_f64 v[101:102], v[61:62], v[75:76], -v[101:102]
	v_fma_f64 v[75:76], v[63:64], v[75:76], v[89:90]
	ds_read_b128 v[61:64], v2 offset:832
	s_waitcnt vmcnt(21) lgkmcnt(1)
	v_mul_f64 v[89:90], v[69:70], v[79:80]
	v_mul_f64 v[79:80], v[71:72], v[79:80]
	v_add_f64 v[77:78], v[77:78], v[95:96]
	v_add_f64 v[3:4], v[3:4], v[91:92]
	s_waitcnt vmcnt(20)
	v_fma_f64 v[91:92], v[65:66], v[137:138], -v[103:104]
	v_fma_f64 v[95:96], v[67:68], v[137:138], v[97:98]
	ds_read_b128 v[65:68], v2 offset:848
	v_add_f64 v[77:78], v[77:78], v[101:102]
	v_add_f64 v[3:4], v[3:4], v[75:76]
	s_waitcnt vmcnt(19) lgkmcnt(1)
	v_mul_f64 v[97:98], v[63:64], v[139:140]
	v_mul_f64 v[75:76], v[61:62], v[139:140]
	s_waitcnt vmcnt(17)
	v_fma_f64 v[79:80], v[69:70], v[73:74], -v[79:80]
	v_fma_f64 v[73:74], v[71:72], v[73:74], v[89:90]
	ds_read_b128 v[69:72], v2 offset:864
	v_add_f64 v[77:78], v[77:78], v[91:92]
	v_add_f64 v[3:4], v[3:4], v[95:96]
	s_waitcnt vmcnt(13) lgkmcnt(1)
	v_mul_f64 v[89:90], v[65:66], v[87:88]
	v_mul_f64 v[87:88], v[67:68], v[87:88]
	;; [unrolled: 9-line block ×3, first 2 shown]
	s_waitcnt vmcnt(9)
	v_fma_f64 v[65:66], v[65:66], v[85:86], -v[87:88]
	v_fma_f64 v[67:68], v[67:68], v[85:86], v[89:90]
	v_add_f64 v[77:78], v[77:78], v[91:92]
	v_add_f64 v[2:3], v[3:4], v[75:76]
	s_waitcnt vmcnt(7) lgkmcnt(0)
	v_mul_f64 v[75:76], v[61:62], v[81:82]
	v_mul_f64 v[81:82], v[63:64], v[81:82]
	s_waitcnt vmcnt(6)
	v_fma_f64 v[69:70], v[69:70], v[146:147], -v[79:80]
	v_fma_f64 v[71:72], v[71:72], v[146:147], v[73:74]
	v_add_f64 v[65:66], v[77:78], v[65:66]
	v_add_f64 v[2:3], v[2:3], v[67:68]
	s_waitcnt vmcnt(4)
	v_fma_f64 v[61:62], v[61:62], v[83:84], -v[81:82]
	v_fma_f64 v[63:64], v[63:64], v[83:84], v[75:76]
	v_add_f64 v[65:66], v[65:66], v[69:70]
	v_add_f64 v[2:3], v[2:3], v[71:72]
	;; [unrolled: 1-line block ×4, first 2 shown]
	s_waitcnt vmcnt(2)
	v_add_f64 v[61:62], v[93:94], -v[61:62]
	s_waitcnt vmcnt(0)
	v_add_f64 v[2:3], v[99:100], -v[2:3]
	buffer_store_dword v62, off, s[0:3], 0 offset:100
	buffer_store_dword v61, off, s[0:3], 0 offset:96
	;; [unrolled: 1-line block ×4, first 2 shown]
	v_cmpx_lt_u32_e32 4, v0
	s_cbranch_execz .LBB91_173
; %bb.172:
	v_mov_b32_e32 v2, s36
	s_clause 0x3
	buffer_load_dword v61, v2, s[0:3], 0 offen
	buffer_load_dword v62, v2, s[0:3], 0 offen offset:4
	buffer_load_dword v63, v2, s[0:3], 0 offen offset:8
	;; [unrolled: 1-line block ×3, first 2 shown]
	v_mov_b32_e32 v2, 0
	buffer_store_dword v2, off, s[0:3], 0 offset:80
	buffer_store_dword v2, off, s[0:3], 0 offset:84
	buffer_store_dword v2, off, s[0:3], 0 offset:88
	buffer_store_dword v2, off, s[0:3], 0 offset:92
	s_waitcnt vmcnt(0)
	ds_write_b128 v1, v[61:64]
.LBB91_173:
	s_or_b32 exec_lo, exec_lo, s4
	s_waitcnt lgkmcnt(0)
	s_waitcnt_vscnt null, 0x0
	s_barrier
	buffer_gl0_inv
	s_clause 0x37
	buffer_load_dword v3, off, s[0:3], 0 offset:104
	buffer_load_dword v4, off, s[0:3], 0 offset:108
	;; [unrolled: 1-line block ×56, first 2 shown]
	v_mov_b32_e32 v2, 0
	s_mov_b32 s4, exec_lo
	ds_read_b128 v[61:64], v2 offset:528
	s_clause 0x2
	buffer_load_dword v126, off, s[0:3], 0 offset:332
	buffer_load_dword v130, off, s[0:3], 0 offset:308
	buffer_load_dword v129, off, s[0:3], 0 offset:304
	ds_read_b128 v[65:68], v2 offset:544
	s_clause 0x4
	buffer_load_dword v134, off, s[0:3], 0 offset:348
	buffer_load_dword v135, off, s[0:3], 0 offset:360
	;; [unrolled: 1-line block ×5, first 2 shown]
	ds_read_b128 v[69:72], v2 offset:560
	s_waitcnt vmcnt(62) lgkmcnt(2)
	v_mul_f64 v[131:132], v[63:64], v[3:4]
	v_mul_f64 v[3:4], v[61:62], v[3:4]
	s_waitcnt vmcnt(60) lgkmcnt(1)
	v_mul_f64 v[138:139], v[67:68], v[73:74]
	v_mul_f64 v[73:74], v[65:66], v[73:74]
	;; [unrolled: 3-line block ×3, first 2 shown]
	v_fma_f64 v[131:132], v[61:62], v[75:76], -v[131:132]
	v_fma_f64 v[3:4], v[63:64], v[75:76], v[3:4]
	s_clause 0x2
	buffer_load_dword v136, off, s[0:3], 0 offset:364
	buffer_load_dword v76, off, s[0:3], 0 offset:340
	buffer_load_dword v75, off, s[0:3], 0 offset:336
	s_waitcnt vmcnt(57)
	v_fma_f64 v[142:143], v[65:66], v[79:80], -v[138:139]
	ds_read_b128 v[61:64], v2 offset:576
	v_fma_f64 v[73:74], v[67:68], v[79:80], v[73:74]
	s_clause 0x4
	buffer_load_dword v80, off, s[0:3], 0 offset:380
	buffer_load_dword v139, off, s[0:3], 0 offset:392
	;; [unrolled: 1-line block ×5, first 2 shown]
	s_waitcnt vmcnt(56)
	v_fma_f64 v[77:78], v[69:70], v[87:88], -v[77:78]
	ds_read_b128 v[65:68], v2 offset:592
	v_fma_f64 v[87:88], v[71:72], v[87:88], v[140:141]
	v_add_f64 v[131:132], v[131:132], 0
	v_add_f64 v[3:4], v[3:4], 0
	s_waitcnt lgkmcnt(1)
	v_mul_f64 v[145:146], v[61:62], v[81:82]
	v_mul_f64 v[81:82], v[63:64], v[81:82]
	v_add_f64 v[131:132], v[131:132], v[142:143]
	v_add_f64 v[3:4], v[3:4], v[73:74]
	s_clause 0x2
	buffer_load_dword v140, off, s[0:3], 0 offset:396
	buffer_load_dword v74, off, s[0:3], 0 offset:372
	buffer_load_dword v73, off, s[0:3], 0 offset:368
	s_waitcnt vmcnt(58) lgkmcnt(0)
	v_mul_f64 v[141:142], v[65:66], v[83:84]
	v_mul_f64 v[83:84], v[67:68], v[83:84]
	s_waitcnt vmcnt(56)
	v_fma_f64 v[81:82], v[61:62], v[89:90], -v[81:82]
	ds_read_b128 v[69:72], v2 offset:608
	v_fma_f64 v[89:90], v[63:64], v[89:90], v[145:146]
	v_add_f64 v[77:78], v[131:132], v[77:78]
	v_add_f64 v[3:4], v[3:4], v[87:88]
	s_clause 0x4
	buffer_load_dword v88, off, s[0:3], 0 offset:412
	buffer_load_dword v131, off, s[0:3], 0 offset:424
	;; [unrolled: 1-line block ×5, first 2 shown]
	ds_read_b128 v[61:64], v2 offset:624
	s_waitcnt vmcnt(57) lgkmcnt(1)
	v_mul_f64 v[147:148], v[69:70], v[91:92]
	v_mul_f64 v[91:92], v[71:72], v[91:92]
	s_waitcnt vmcnt(56)
	v_fma_f64 v[83:84], v[65:66], v[85:86], -v[83:84]
	v_add_f64 v[77:78], v[77:78], v[81:82]
	v_fma_f64 v[81:82], v[67:68], v[85:86], v[141:142]
	v_add_f64 v[3:4], v[3:4], v[89:90]
	s_clause 0x2
	buffer_load_dword v132, off, s[0:3], 0 offset:428
	buffer_load_dword v86, off, s[0:3], 0 offset:404
	buffer_load_dword v85, off, s[0:3], 0 offset:400
	s_waitcnt vmcnt(58) lgkmcnt(0)
	v_mul_f64 v[89:90], v[61:62], v[93:94]
	v_mul_f64 v[93:94], v[63:64], v[93:94]
	s_waitcnt vmcnt(56)
	v_fma_f64 v[91:92], v[69:70], v[97:98], -v[91:92]
	ds_read_b128 v[65:68], v2 offset:640
	v_add_f64 v[77:78], v[77:78], v[83:84]
	v_fma_f64 v[83:84], v[71:72], v[97:98], v[147:148]
	v_add_f64 v[3:4], v[3:4], v[81:82]
	s_clause 0x4
	buffer_load_dword v82, off, s[0:3], 0 offset:444
	buffer_load_dword v97, off, s[0:3], 0 offset:456
	;; [unrolled: 1-line block ×5, first 2 shown]
	ds_read_b128 v[69:72], v2 offset:656
	s_waitcnt vmcnt(57) lgkmcnt(1)
	v_mul_f64 v[142:143], v[65:66], v[99:100]
	v_mul_f64 v[99:100], v[67:68], v[99:100]
	s_waitcnt vmcnt(56)
	v_fma_f64 v[93:94], v[61:62], v[95:96], -v[93:94]
	v_fma_f64 v[89:90], v[63:64], v[95:96], v[89:90]
	v_add_f64 v[77:78], v[77:78], v[91:92]
	v_add_f64 v[3:4], v[3:4], v[83:84]
	s_clause 0x2
	buffer_load_dword v98, off, s[0:3], 0 offset:460
	buffer_load_dword v84, off, s[0:3], 0 offset:436
	;; [unrolled: 1-line block ×3, first 2 shown]
	s_waitcnt vmcnt(58) lgkmcnt(0)
	v_mul_f64 v[95:96], v[71:72], v[101:102]
	ds_read_b128 v[61:64], v2 offset:672
	s_waitcnt vmcnt(56)
	v_fma_f64 v[99:100], v[65:66], v[105:106], -v[99:100]
	v_mul_f64 v[91:92], v[69:70], v[101:102]
	v_add_f64 v[77:78], v[77:78], v[93:94]
	v_fma_f64 v[93:94], v[67:68], v[105:106], v[142:143]
	v_add_f64 v[3:4], v[3:4], v[89:90]
	buffer_load_dword v142, off, s[0:3], 0 offset:452
	ds_read_b128 v[65:68], v2 offset:688
	s_waitcnt vmcnt(53) lgkmcnt(1)
	v_mul_f64 v[101:102], v[63:64], v[107:108]
	s_waitcnt vmcnt(52)
	v_fma_f64 v[95:96], v[69:70], v[103:104], -v[95:96]
	v_mul_f64 v[89:90], v[61:62], v[107:108]
	v_fma_f64 v[91:92], v[71:72], v[103:104], v[91:92]
	ds_read_b128 v[69:72], v2 offset:704
	v_add_f64 v[77:78], v[77:78], v[99:100]
	v_add_f64 v[3:4], v[3:4], v[93:94]
	s_waitcnt vmcnt(51) lgkmcnt(1)
	v_mul_f64 v[99:100], v[67:68], v[109:110]
	v_mul_f64 v[93:94], v[65:66], v[109:110]
	s_waitcnt vmcnt(49)
	v_fma_f64 v[101:102], v[61:62], v[113:114], -v[101:102]
	v_fma_f64 v[89:90], v[63:64], v[113:114], v[89:90]
	s_waitcnt vmcnt(45) lgkmcnt(0)
	v_mul_f64 v[105:106], v[71:72], v[115:116]
	v_mul_f64 v[103:104], v[69:70], v[115:116]
	v_add_f64 v[77:78], v[77:78], v[95:96]
	v_add_f64 v[3:4], v[3:4], v[91:92]
	s_clause 0x3
	buffer_load_dword v91, off, s[0:3], 0 offset:80
	buffer_load_dword v92, off, s[0:3], 0 offset:84
	;; [unrolled: 1-line block ×4, first 2 shown]
	s_waitcnt vmcnt(48)
	v_fma_f64 v[99:100], v[65:66], v[111:112], -v[99:100]
	ds_read_b128 v[61:64], v2 offset:720
	v_fma_f64 v[93:94], v[67:68], v[111:112], v[93:94]
	ds_read_b128 v[65:68], v2 offset:736
	s_waitcnt vmcnt(45)
	v_fma_f64 v[105:106], v[69:70], v[121:122], -v[105:106]
	v_add_f64 v[77:78], v[77:78], v[101:102]
	v_add_f64 v[3:4], v[3:4], v[89:90]
	s_waitcnt lgkmcnt(1)
	v_mul_f64 v[101:102], v[63:64], v[117:118]
	v_mul_f64 v[89:90], v[61:62], v[117:118]
	v_add_f64 v[77:78], v[77:78], v[99:100]
	v_fma_f64 v[99:100], v[71:72], v[121:122], v[103:104]
	v_add_f64 v[3:4], v[3:4], v[93:94]
	s_waitcnt vmcnt(41) lgkmcnt(0)
	v_mul_f64 v[103:104], v[67:68], v[123:124]
	s_waitcnt vmcnt(40)
	v_fma_f64 v[101:102], v[61:62], v[119:120], -v[101:102]
	ds_read_b128 v[69:72], v2 offset:752
	v_mul_f64 v[93:94], v[65:66], v[123:124]
	v_fma_f64 v[89:90], v[63:64], v[119:120], v[89:90]
	ds_read_b128 v[61:64], v2 offset:768
	v_add_f64 v[77:78], v[77:78], v[105:106]
	v_add_f64 v[3:4], v[3:4], v[99:100]
	s_waitcnt vmcnt(39) lgkmcnt(1)
	v_mul_f64 v[105:106], v[71:72], v[125:126]
	s_waitcnt vmcnt(37)
	v_fma_f64 v[103:104], v[65:66], v[129:130], -v[103:104]
	v_mul_f64 v[99:100], v[69:70], v[125:126]
	v_fma_f64 v[93:94], v[67:68], v[129:130], v[93:94]
	ds_read_b128 v[65:68], v2 offset:784
	v_add_f64 v[77:78], v[77:78], v[101:102]
	s_waitcnt vmcnt(33) lgkmcnt(1)
	v_mul_f64 v[101:102], v[63:64], v[133:134]
	v_add_f64 v[3:4], v[3:4], v[89:90]
	s_waitcnt vmcnt(32)
	v_fma_f64 v[105:106], v[69:70], v[127:128], -v[105:106]
	v_mul_f64 v[89:90], v[61:62], v[133:134]
	v_fma_f64 v[99:100], v[71:72], v[127:128], v[99:100]
	ds_read_b128 v[69:72], v2 offset:800
	v_add_f64 v[77:78], v[77:78], v[103:104]
	v_add_f64 v[3:4], v[3:4], v[93:94]
	s_waitcnt vmcnt(31) lgkmcnt(1)
	v_mul_f64 v[103:104], v[67:68], v[135:136]
	v_mul_f64 v[93:94], v[65:66], v[135:136]
	s_waitcnt vmcnt(29)
	v_fma_f64 v[101:102], v[61:62], v[75:76], -v[101:102]
	v_fma_f64 v[75:76], v[63:64], v[75:76], v[89:90]
	ds_read_b128 v[61:64], v2 offset:816
	s_waitcnt vmcnt(25) lgkmcnt(1)
	v_mul_f64 v[89:90], v[69:70], v[79:80]
	v_mul_f64 v[79:80], v[71:72], v[79:80]
	v_add_f64 v[77:78], v[77:78], v[105:106]
	v_add_f64 v[3:4], v[3:4], v[99:100]
	s_waitcnt vmcnt(24)
	v_fma_f64 v[99:100], v[65:66], v[137:138], -v[103:104]
	v_fma_f64 v[93:94], v[67:68], v[137:138], v[93:94]
	ds_read_b128 v[65:68], v2 offset:832
	v_add_f64 v[77:78], v[77:78], v[101:102]
	v_add_f64 v[3:4], v[3:4], v[75:76]
	s_waitcnt vmcnt(23) lgkmcnt(1)
	v_mul_f64 v[101:102], v[63:64], v[139:140]
	v_mul_f64 v[75:76], v[61:62], v[139:140]
	s_waitcnt vmcnt(21)
	v_fma_f64 v[79:80], v[69:70], v[73:74], -v[79:80]
	v_fma_f64 v[73:74], v[71:72], v[73:74], v[89:90]
	ds_read_b128 v[69:72], v2 offset:848
	v_add_f64 v[77:78], v[77:78], v[99:100]
	v_add_f64 v[3:4], v[3:4], v[93:94]
	s_waitcnt vmcnt(17) lgkmcnt(1)
	v_mul_f64 v[89:90], v[65:66], v[87:88]
	v_mul_f64 v[87:88], v[67:68], v[87:88]
	;; [unrolled: 9-line block ×4, first 2 shown]
	s_waitcnt vmcnt(8)
	v_fma_f64 v[69:70], v[69:70], v[146:147], -v[79:80]
	v_fma_f64 v[71:72], v[71:72], v[146:147], v[73:74]
	v_add_f64 v[77:78], v[77:78], v[87:88]
	v_add_f64 v[3:4], v[3:4], v[85:86]
	s_waitcnt vmcnt(7) lgkmcnt(0)
	v_mul_f64 v[79:80], v[67:68], v[97:98]
	v_mul_f64 v[73:74], v[65:66], v[97:98]
	s_waitcnt vmcnt(5)
	v_fma_f64 v[61:62], v[61:62], v[83:84], -v[81:82]
	v_fma_f64 v[63:64], v[63:64], v[83:84], v[75:76]
	v_add_f64 v[69:70], v[77:78], v[69:70]
	v_add_f64 v[3:4], v[3:4], v[71:72]
	s_waitcnt vmcnt(4)
	v_fma_f64 v[65:66], v[65:66], v[141:142], -v[79:80]
	v_fma_f64 v[67:68], v[67:68], v[141:142], v[73:74]
	v_add_f64 v[61:62], v[69:70], v[61:62]
	v_add_f64 v[3:4], v[3:4], v[63:64]
	;; [unrolled: 1-line block ×4, first 2 shown]
	s_waitcnt vmcnt(2)
	v_add_f64 v[61:62], v[91:92], -v[61:62]
	s_waitcnt vmcnt(0)
	v_add_f64 v[3:4], v[95:96], -v[3:4]
	buffer_store_dword v62, off, s[0:3], 0 offset:84
	buffer_store_dword v61, off, s[0:3], 0 offset:80
	;; [unrolled: 1-line block ×4, first 2 shown]
	v_cmpx_lt_u32_e32 3, v0
	s_cbranch_execz .LBB91_175
; %bb.174:
	v_mov_b32_e32 v3, s37
	s_clause 0x3
	buffer_load_dword v61, v3, s[0:3], 0 offen
	buffer_load_dword v62, v3, s[0:3], 0 offen offset:4
	buffer_load_dword v63, v3, s[0:3], 0 offen offset:8
	;; [unrolled: 1-line block ×3, first 2 shown]
	buffer_store_dword v2, off, s[0:3], 0 offset:64
	buffer_store_dword v2, off, s[0:3], 0 offset:68
	;; [unrolled: 1-line block ×4, first 2 shown]
	s_waitcnt vmcnt(0)
	ds_write_b128 v1, v[61:64]
.LBB91_175:
	s_or_b32 exec_lo, exec_lo, s4
	s_waitcnt lgkmcnt(0)
	s_waitcnt_vscnt null, 0x0
	s_barrier
	buffer_gl0_inv
	s_clause 0x37
	buffer_load_dword v3, off, s[0:3], 0 offset:88
	buffer_load_dword v4, off, s[0:3], 0 offset:92
	buffer_load_dword v73, off, s[0:3], 0 offset:104
	buffer_load_dword v74, off, s[0:3], 0 offset:108
	buffer_load_dword v75, off, s[0:3], 0 offset:80
	buffer_load_dword v76, off, s[0:3], 0 offset:84
	buffer_load_dword v77, off, s[0:3], 0 offset:120
	buffer_load_dword v78, off, s[0:3], 0 offset:124
	buffer_load_dword v79, off, s[0:3], 0 offset:96
	buffer_load_dword v80, off, s[0:3], 0 offset:100
	buffer_load_dword v82, off, s[0:3], 0 offset:140
	buffer_load_dword v83, off, s[0:3], 0 offset:152
	buffer_load_dword v85, off, s[0:3], 0 offset:144
	buffer_load_dword v81, off, s[0:3], 0 offset:136
	buffer_load_dword v87, off, s[0:3], 0 offset:112
	buffer_load_dword v88, off, s[0:3], 0 offset:116
	buffer_load_dword v84, off, s[0:3], 0 offset:156
	buffer_load_dword v90, off, s[0:3], 0 offset:132
	buffer_load_dword v89, off, s[0:3], 0 offset:128
	buffer_load_dword v92, off, s[0:3], 0 offset:172
	buffer_load_dword v93, off, s[0:3], 0 offset:184
	buffer_load_dword v95, off, s[0:3], 0 offset:176
	buffer_load_dword v91, off, s[0:3], 0 offset:168
	buffer_load_dword v86, off, s[0:3], 0 offset:148
	buffer_load_dword v94, off, s[0:3], 0 offset:188
	buffer_load_dword v98, off, s[0:3], 0 offset:164
	buffer_load_dword v97, off, s[0:3], 0 offset:160
	buffer_load_dword v100, off, s[0:3], 0 offset:204
	buffer_load_dword v101, off, s[0:3], 0 offset:216
	buffer_load_dword v103, off, s[0:3], 0 offset:208
	buffer_load_dword v99, off, s[0:3], 0 offset:200
	buffer_load_dword v96, off, s[0:3], 0 offset:180
	buffer_load_dword v102, off, s[0:3], 0 offset:220
	buffer_load_dword v106, off, s[0:3], 0 offset:196
	buffer_load_dword v105, off, s[0:3], 0 offset:192
	buffer_load_dword v108, off, s[0:3], 0 offset:236
	buffer_load_dword v109, off, s[0:3], 0 offset:248
	buffer_load_dword v111, off, s[0:3], 0 offset:240
	buffer_load_dword v107, off, s[0:3], 0 offset:232
	buffer_load_dword v104, off, s[0:3], 0 offset:212
	buffer_load_dword v110, off, s[0:3], 0 offset:252
	buffer_load_dword v114, off, s[0:3], 0 offset:228
	buffer_load_dword v113, off, s[0:3], 0 offset:224
	buffer_load_dword v116, off, s[0:3], 0 offset:268
	buffer_load_dword v117, off, s[0:3], 0 offset:280
	buffer_load_dword v119, off, s[0:3], 0 offset:272
	buffer_load_dword v115, off, s[0:3], 0 offset:264
	buffer_load_dword v112, off, s[0:3], 0 offset:244
	buffer_load_dword v118, off, s[0:3], 0 offset:284
	buffer_load_dword v122, off, s[0:3], 0 offset:260
	buffer_load_dword v121, off, s[0:3], 0 offset:256
	buffer_load_dword v124, off, s[0:3], 0 offset:300
	buffer_load_dword v125, off, s[0:3], 0 offset:312
	buffer_load_dword v127, off, s[0:3], 0 offset:304
	buffer_load_dword v123, off, s[0:3], 0 offset:296
	buffer_load_dword v120, off, s[0:3], 0 offset:276
	ds_read_b128 v[61:64], v2 offset:512
	s_clause 0x2
	buffer_load_dword v126, off, s[0:3], 0 offset:316
	buffer_load_dword v130, off, s[0:3], 0 offset:292
	;; [unrolled: 1-line block ×3, first 2 shown]
	ds_read_b128 v[65:68], v2 offset:528
	s_clause 0x4
	buffer_load_dword v134, off, s[0:3], 0 offset:332
	buffer_load_dword v135, off, s[0:3], 0 offset:344
	;; [unrolled: 1-line block ×5, first 2 shown]
	ds_read_b128 v[69:72], v2 offset:544
	s_mov_b32 s4, exec_lo
	s_waitcnt vmcnt(62) lgkmcnt(2)
	v_mul_f64 v[131:132], v[63:64], v[3:4]
	v_mul_f64 v[3:4], v[61:62], v[3:4]
	s_waitcnt vmcnt(60) lgkmcnt(1)
	v_mul_f64 v[138:139], v[67:68], v[73:74]
	v_mul_f64 v[73:74], v[65:66], v[73:74]
	;; [unrolled: 3-line block ×3, first 2 shown]
	v_fma_f64 v[131:132], v[61:62], v[75:76], -v[131:132]
	v_fma_f64 v[3:4], v[63:64], v[75:76], v[3:4]
	s_clause 0x2
	buffer_load_dword v136, off, s[0:3], 0 offset:348
	buffer_load_dword v76, off, s[0:3], 0 offset:324
	;; [unrolled: 1-line block ×3, first 2 shown]
	s_waitcnt vmcnt(57)
	v_fma_f64 v[142:143], v[65:66], v[79:80], -v[138:139]
	ds_read_b128 v[61:64], v2 offset:560
	v_fma_f64 v[73:74], v[67:68], v[79:80], v[73:74]
	s_clause 0x4
	buffer_load_dword v80, off, s[0:3], 0 offset:364
	buffer_load_dword v139, off, s[0:3], 0 offset:376
	buffer_load_dword v144, off, s[0:3], 0 offset:368
	buffer_load_dword v79, off, s[0:3], 0 offset:360
	buffer_load_dword v138, off, s[0:3], 0 offset:340
	s_waitcnt vmcnt(56)
	v_fma_f64 v[77:78], v[69:70], v[87:88], -v[77:78]
	ds_read_b128 v[65:68], v2 offset:576
	v_fma_f64 v[87:88], v[71:72], v[87:88], v[140:141]
	v_add_f64 v[131:132], v[131:132], 0
	v_add_f64 v[3:4], v[3:4], 0
	s_waitcnt lgkmcnt(1)
	v_mul_f64 v[145:146], v[61:62], v[81:82]
	v_mul_f64 v[81:82], v[63:64], v[81:82]
	v_add_f64 v[131:132], v[131:132], v[142:143]
	v_add_f64 v[3:4], v[3:4], v[73:74]
	s_clause 0x2
	buffer_load_dword v140, off, s[0:3], 0 offset:380
	buffer_load_dword v74, off, s[0:3], 0 offset:356
	;; [unrolled: 1-line block ×3, first 2 shown]
	s_waitcnt vmcnt(58) lgkmcnt(0)
	v_mul_f64 v[141:142], v[65:66], v[83:84]
	v_mul_f64 v[83:84], v[67:68], v[83:84]
	s_waitcnt vmcnt(56)
	v_fma_f64 v[81:82], v[61:62], v[89:90], -v[81:82]
	ds_read_b128 v[69:72], v2 offset:592
	v_fma_f64 v[89:90], v[63:64], v[89:90], v[145:146]
	v_add_f64 v[77:78], v[131:132], v[77:78]
	v_add_f64 v[3:4], v[3:4], v[87:88]
	s_clause 0x4
	buffer_load_dword v88, off, s[0:3], 0 offset:396
	buffer_load_dword v131, off, s[0:3], 0 offset:408
	;; [unrolled: 1-line block ×5, first 2 shown]
	ds_read_b128 v[61:64], v2 offset:608
	s_waitcnt vmcnt(57) lgkmcnt(1)
	v_mul_f64 v[147:148], v[69:70], v[91:92]
	v_mul_f64 v[91:92], v[71:72], v[91:92]
	s_waitcnt vmcnt(56)
	v_fma_f64 v[83:84], v[65:66], v[85:86], -v[83:84]
	v_add_f64 v[77:78], v[77:78], v[81:82]
	v_fma_f64 v[81:82], v[67:68], v[85:86], v[141:142]
	v_add_f64 v[3:4], v[3:4], v[89:90]
	s_clause 0x2
	buffer_load_dword v132, off, s[0:3], 0 offset:412
	buffer_load_dword v86, off, s[0:3], 0 offset:388
	;; [unrolled: 1-line block ×3, first 2 shown]
	s_waitcnt vmcnt(58) lgkmcnt(0)
	v_mul_f64 v[89:90], v[61:62], v[93:94]
	v_mul_f64 v[93:94], v[63:64], v[93:94]
	s_waitcnt vmcnt(56)
	v_fma_f64 v[91:92], v[69:70], v[97:98], -v[91:92]
	ds_read_b128 v[65:68], v2 offset:624
	v_add_f64 v[77:78], v[77:78], v[83:84]
	v_fma_f64 v[83:84], v[71:72], v[97:98], v[147:148]
	v_add_f64 v[3:4], v[3:4], v[81:82]
	s_clause 0x4
	buffer_load_dword v82, off, s[0:3], 0 offset:428
	buffer_load_dword v97, off, s[0:3], 0 offset:440
	;; [unrolled: 1-line block ×5, first 2 shown]
	ds_read_b128 v[69:72], v2 offset:640
	s_waitcnt vmcnt(57) lgkmcnt(1)
	v_mul_f64 v[142:143], v[65:66], v[99:100]
	v_mul_f64 v[99:100], v[67:68], v[99:100]
	s_waitcnt vmcnt(56)
	v_fma_f64 v[93:94], v[61:62], v[95:96], -v[93:94]
	v_fma_f64 v[89:90], v[63:64], v[95:96], v[89:90]
	v_add_f64 v[77:78], v[77:78], v[91:92]
	v_add_f64 v[3:4], v[3:4], v[83:84]
	s_clause 0x2
	buffer_load_dword v98, off, s[0:3], 0 offset:444
	buffer_load_dword v84, off, s[0:3], 0 offset:420
	;; [unrolled: 1-line block ×3, first 2 shown]
	s_waitcnt vmcnt(58) lgkmcnt(0)
	v_mul_f64 v[95:96], v[71:72], v[101:102]
	ds_read_b128 v[61:64], v2 offset:656
	s_waitcnt vmcnt(56)
	v_fma_f64 v[99:100], v[65:66], v[105:106], -v[99:100]
	v_mul_f64 v[91:92], v[69:70], v[101:102]
	v_add_f64 v[77:78], v[77:78], v[93:94]
	v_fma_f64 v[93:94], v[67:68], v[105:106], v[142:143]
	v_add_f64 v[3:4], v[3:4], v[89:90]
	s_clause 0x2
	buffer_load_dword v90, off, s[0:3], 0 offset:460
	buffer_load_dword v89, off, s[0:3], 0 offset:456
	;; [unrolled: 1-line block ×3, first 2 shown]
	s_waitcnt vmcnt(55) lgkmcnt(0)
	v_mul_f64 v[105:106], v[63:64], v[107:108]
	s_waitcnt vmcnt(54)
	v_fma_f64 v[95:96], v[69:70], v[103:104], -v[95:96]
	ds_read_b128 v[65:68], v2 offset:672
	v_mul_f64 v[101:102], v[61:62], v[107:108]
	v_fma_f64 v[91:92], v[71:72], v[103:104], v[91:92]
	v_add_f64 v[77:78], v[77:78], v[99:100]
	v_add_f64 v[3:4], v[3:4], v[93:94]
	s_clause 0x1
	buffer_load_dword v94, off, s[0:3], 0 offset:452
	buffer_load_dword v93, off, s[0:3], 0 offset:448
	s_waitcnt vmcnt(55) lgkmcnt(0)
	v_mul_f64 v[103:104], v[67:68], v[109:110]
	s_waitcnt vmcnt(53)
	v_fma_f64 v[105:106], v[61:62], v[113:114], -v[105:106]
	ds_read_b128 v[69:72], v2 offset:688
	v_mul_f64 v[99:100], v[65:66], v[109:110]
	v_add_f64 v[77:78], v[77:78], v[95:96]
	v_fma_f64 v[95:96], v[63:64], v[113:114], v[101:102]
	v_add_f64 v[3:4], v[3:4], v[91:92]
	ds_read_b128 v[61:64], v2 offset:704
	s_waitcnt vmcnt(49) lgkmcnt(1)
	v_mul_f64 v[101:102], v[71:72], v[115:116]
	s_waitcnt vmcnt(48)
	v_fma_f64 v[103:104], v[65:66], v[111:112], -v[103:104]
	v_mul_f64 v[91:92], v[69:70], v[115:116]
	v_fma_f64 v[99:100], v[67:68], v[111:112], v[99:100]
	v_add_f64 v[77:78], v[77:78], v[105:106]
	s_waitcnt vmcnt(47) lgkmcnt(0)
	v_mul_f64 v[109:110], v[63:64], v[117:118]
	v_add_f64 v[3:4], v[3:4], v[95:96]
	s_clause 0x3
	buffer_load_dword v95, off, s[0:3], 0 offset:64
	buffer_load_dword v96, off, s[0:3], 0 offset:68
	;; [unrolled: 1-line block ×4, first 2 shown]
	s_waitcnt vmcnt(49)
	v_fma_f64 v[101:102], v[69:70], v[121:122], -v[101:102]
	ds_read_b128 v[65:68], v2 offset:720
	v_mul_f64 v[107:108], v[61:62], v[117:118]
	v_fma_f64 v[91:92], v[71:72], v[121:122], v[91:92]
	ds_read_b128 v[69:72], v2 offset:736
	v_add_f64 v[77:78], v[77:78], v[103:104]
	s_waitcnt vmcnt(44)
	v_fma_f64 v[109:110], v[61:62], v[119:120], -v[109:110]
	v_add_f64 v[3:4], v[3:4], v[99:100]
	s_waitcnt lgkmcnt(1)
	v_mul_f64 v[103:104], v[67:68], v[123:124]
	v_mul_f64 v[99:100], v[65:66], v[123:124]
	v_add_f64 v[77:78], v[77:78], v[101:102]
	v_fma_f64 v[101:102], v[63:64], v[119:120], v[107:108]
	v_add_f64 v[3:4], v[3:4], v[91:92]
	s_waitcnt vmcnt(43) lgkmcnt(0)
	v_mul_f64 v[107:108], v[71:72], v[125:126]
	s_waitcnt vmcnt(41)
	v_fma_f64 v[103:104], v[65:66], v[129:130], -v[103:104]
	ds_read_b128 v[61:64], v2 offset:752
	v_mul_f64 v[91:92], v[69:70], v[125:126]
	v_fma_f64 v[99:100], v[67:68], v[129:130], v[99:100]
	ds_read_b128 v[65:68], v2 offset:768
	v_add_f64 v[77:78], v[77:78], v[109:110]
	v_add_f64 v[3:4], v[3:4], v[101:102]
	s_waitcnt vmcnt(37) lgkmcnt(1)
	v_mul_f64 v[109:110], v[63:64], v[133:134]
	s_waitcnt vmcnt(36)
	v_fma_f64 v[107:108], v[69:70], v[127:128], -v[107:108]
	v_mul_f64 v[101:102], v[61:62], v[133:134]
	v_fma_f64 v[91:92], v[71:72], v[127:128], v[91:92]
	ds_read_b128 v[69:72], v2 offset:784
	v_add_f64 v[77:78], v[77:78], v[103:104]
	v_add_f64 v[3:4], v[3:4], v[99:100]
	s_waitcnt vmcnt(35) lgkmcnt(1)
	v_mul_f64 v[103:104], v[67:68], v[135:136]
	v_mul_f64 v[99:100], v[65:66], v[135:136]
	s_waitcnt vmcnt(33)
	v_fma_f64 v[109:110], v[61:62], v[75:76], -v[109:110]
	v_fma_f64 v[75:76], v[63:64], v[75:76], v[101:102]
	ds_read_b128 v[61:64], v2 offset:800
	v_add_f64 v[77:78], v[77:78], v[107:108]
	v_add_f64 v[3:4], v[3:4], v[91:92]
	s_waitcnt vmcnt(29) lgkmcnt(1)
	v_mul_f64 v[91:92], v[69:70], v[79:80]
	v_mul_f64 v[79:80], v[71:72], v[79:80]
	s_waitcnt vmcnt(28)
	v_fma_f64 v[101:102], v[65:66], v[137:138], -v[103:104]
	;; [unrolled: 9-line block ×7, first 2 shown]
	v_fma_f64 v[63:64], v[63:64], v[83:84], v[75:76]
	v_add_f64 v[77:78], v[77:78], v[79:80]
	v_add_f64 v[2:3], v[3:4], v[73:74]
	s_waitcnt vmcnt(7) lgkmcnt(0)
	v_mul_f64 v[75:76], v[71:72], v[89:90]
	s_waitcnt vmcnt(6)
	v_fma_f64 v[65:66], v[65:66], v[141:142], -v[87:88]
	v_mul_f64 v[73:74], v[69:70], v[89:90]
	v_fma_f64 v[67:68], v[67:68], v[141:142], v[85:86]
	v_add_f64 v[61:62], v[77:78], v[61:62]
	v_add_f64 v[2:3], v[2:3], v[63:64]
	s_waitcnt vmcnt(4)
	v_fma_f64 v[63:64], v[69:70], v[93:94], -v[75:76]
	v_add_f64 v[61:62], v[61:62], v[65:66]
	v_fma_f64 v[65:66], v[71:72], v[93:94], v[73:74]
	v_add_f64 v[2:3], v[2:3], v[67:68]
	v_add_f64 v[61:62], v[61:62], v[63:64]
	;; [unrolled: 1-line block ×3, first 2 shown]
	s_waitcnt vmcnt(2)
	v_add_f64 v[61:62], v[95:96], -v[61:62]
	s_waitcnt vmcnt(0)
	v_add_f64 v[2:3], v[105:106], -v[2:3]
	buffer_store_dword v62, off, s[0:3], 0 offset:68
	buffer_store_dword v61, off, s[0:3], 0 offset:64
	;; [unrolled: 1-line block ×4, first 2 shown]
	v_cmpx_lt_u32_e32 2, v0
	s_cbranch_execz .LBB91_177
; %bb.176:
	v_mov_b32_e32 v2, s38
	s_clause 0x3
	buffer_load_dword v61, v2, s[0:3], 0 offen
	buffer_load_dword v62, v2, s[0:3], 0 offen offset:4
	buffer_load_dword v63, v2, s[0:3], 0 offen offset:8
	;; [unrolled: 1-line block ×3, first 2 shown]
	v_mov_b32_e32 v2, 0
	buffer_store_dword v2, off, s[0:3], 0 offset:48
	buffer_store_dword v2, off, s[0:3], 0 offset:52
	;; [unrolled: 1-line block ×4, first 2 shown]
	s_waitcnt vmcnt(0)
	ds_write_b128 v1, v[61:64]
.LBB91_177:
	s_or_b32 exec_lo, exec_lo, s4
	s_waitcnt lgkmcnt(0)
	s_waitcnt_vscnt null, 0x0
	s_barrier
	buffer_gl0_inv
	s_clause 0x37
	buffer_load_dword v3, off, s[0:3], 0 offset:72
	buffer_load_dword v4, off, s[0:3], 0 offset:76
	;; [unrolled: 1-line block ×56, first 2 shown]
	v_mov_b32_e32 v2, 0
	s_mov_b32 s4, exec_lo
	ds_read_b128 v[61:64], v2 offset:496
	s_clause 0x2
	buffer_load_dword v126, off, s[0:3], 0 offset:300
	buffer_load_dword v130, off, s[0:3], 0 offset:276
	;; [unrolled: 1-line block ×3, first 2 shown]
	ds_read_b128 v[65:68], v2 offset:512
	s_clause 0x4
	buffer_load_dword v134, off, s[0:3], 0 offset:316
	buffer_load_dword v135, off, s[0:3], 0 offset:328
	buffer_load_dword v137, off, s[0:3], 0 offset:320
	buffer_load_dword v133, off, s[0:3], 0 offset:312
	buffer_load_dword v128, off, s[0:3], 0 offset:292
	ds_read_b128 v[69:72], v2 offset:528
	s_waitcnt vmcnt(62) lgkmcnt(2)
	v_mul_f64 v[131:132], v[63:64], v[3:4]
	v_mul_f64 v[3:4], v[61:62], v[3:4]
	s_waitcnt vmcnt(60) lgkmcnt(1)
	v_mul_f64 v[138:139], v[67:68], v[73:74]
	v_mul_f64 v[73:74], v[65:66], v[73:74]
	;; [unrolled: 3-line block ×3, first 2 shown]
	v_fma_f64 v[131:132], v[61:62], v[75:76], -v[131:132]
	v_fma_f64 v[3:4], v[63:64], v[75:76], v[3:4]
	s_clause 0x2
	buffer_load_dword v136, off, s[0:3], 0 offset:332
	buffer_load_dword v76, off, s[0:3], 0 offset:308
	;; [unrolled: 1-line block ×3, first 2 shown]
	s_waitcnt vmcnt(57)
	v_fma_f64 v[142:143], v[65:66], v[79:80], -v[138:139]
	ds_read_b128 v[61:64], v2 offset:544
	v_fma_f64 v[73:74], v[67:68], v[79:80], v[73:74]
	s_clause 0x4
	buffer_load_dword v80, off, s[0:3], 0 offset:348
	buffer_load_dword v139, off, s[0:3], 0 offset:360
	;; [unrolled: 1-line block ×5, first 2 shown]
	s_waitcnt vmcnt(56)
	v_fma_f64 v[77:78], v[69:70], v[87:88], -v[77:78]
	ds_read_b128 v[65:68], v2 offset:560
	v_fma_f64 v[87:88], v[71:72], v[87:88], v[140:141]
	v_add_f64 v[131:132], v[131:132], 0
	v_add_f64 v[3:4], v[3:4], 0
	s_waitcnt lgkmcnt(1)
	v_mul_f64 v[145:146], v[61:62], v[81:82]
	v_mul_f64 v[81:82], v[63:64], v[81:82]
	v_add_f64 v[131:132], v[131:132], v[142:143]
	v_add_f64 v[3:4], v[3:4], v[73:74]
	s_clause 0x2
	buffer_load_dword v140, off, s[0:3], 0 offset:364
	buffer_load_dword v74, off, s[0:3], 0 offset:340
	;; [unrolled: 1-line block ×3, first 2 shown]
	s_waitcnt vmcnt(58) lgkmcnt(0)
	v_mul_f64 v[141:142], v[65:66], v[83:84]
	v_mul_f64 v[83:84], v[67:68], v[83:84]
	s_waitcnt vmcnt(56)
	v_fma_f64 v[81:82], v[61:62], v[89:90], -v[81:82]
	ds_read_b128 v[69:72], v2 offset:576
	v_fma_f64 v[89:90], v[63:64], v[89:90], v[145:146]
	v_add_f64 v[77:78], v[131:132], v[77:78]
	v_add_f64 v[3:4], v[3:4], v[87:88]
	s_clause 0x4
	buffer_load_dword v88, off, s[0:3], 0 offset:380
	buffer_load_dword v131, off, s[0:3], 0 offset:392
	;; [unrolled: 1-line block ×5, first 2 shown]
	ds_read_b128 v[61:64], v2 offset:592
	s_waitcnt vmcnt(57) lgkmcnt(1)
	v_mul_f64 v[147:148], v[69:70], v[91:92]
	v_mul_f64 v[91:92], v[71:72], v[91:92]
	s_waitcnt vmcnt(56)
	v_fma_f64 v[83:84], v[65:66], v[85:86], -v[83:84]
	v_add_f64 v[77:78], v[77:78], v[81:82]
	v_fma_f64 v[81:82], v[67:68], v[85:86], v[141:142]
	v_add_f64 v[3:4], v[3:4], v[89:90]
	s_clause 0x2
	buffer_load_dword v132, off, s[0:3], 0 offset:396
	buffer_load_dword v86, off, s[0:3], 0 offset:372
	;; [unrolled: 1-line block ×3, first 2 shown]
	s_waitcnt vmcnt(58) lgkmcnt(0)
	v_mul_f64 v[89:90], v[61:62], v[93:94]
	v_mul_f64 v[93:94], v[63:64], v[93:94]
	s_waitcnt vmcnt(56)
	v_fma_f64 v[91:92], v[69:70], v[97:98], -v[91:92]
	ds_read_b128 v[65:68], v2 offset:608
	v_add_f64 v[77:78], v[77:78], v[83:84]
	v_fma_f64 v[83:84], v[71:72], v[97:98], v[147:148]
	v_add_f64 v[3:4], v[3:4], v[81:82]
	s_clause 0x4
	buffer_load_dword v82, off, s[0:3], 0 offset:412
	buffer_load_dword v97, off, s[0:3], 0 offset:424
	;; [unrolled: 1-line block ×5, first 2 shown]
	ds_read_b128 v[69:72], v2 offset:624
	s_waitcnt vmcnt(57) lgkmcnt(1)
	v_mul_f64 v[142:143], v[65:66], v[99:100]
	v_mul_f64 v[99:100], v[67:68], v[99:100]
	s_waitcnt vmcnt(56)
	v_fma_f64 v[93:94], v[61:62], v[95:96], -v[93:94]
	v_fma_f64 v[89:90], v[63:64], v[95:96], v[89:90]
	v_add_f64 v[77:78], v[77:78], v[91:92]
	v_add_f64 v[3:4], v[3:4], v[83:84]
	s_clause 0x2
	buffer_load_dword v98, off, s[0:3], 0 offset:428
	buffer_load_dword v84, off, s[0:3], 0 offset:404
	buffer_load_dword v83, off, s[0:3], 0 offset:400
	s_waitcnt vmcnt(58) lgkmcnt(0)
	v_mul_f64 v[95:96], v[71:72], v[101:102]
	ds_read_b128 v[61:64], v2 offset:640
	s_waitcnt vmcnt(56)
	v_fma_f64 v[99:100], v[65:66], v[105:106], -v[99:100]
	v_mul_f64 v[91:92], v[69:70], v[101:102]
	v_add_f64 v[77:78], v[77:78], v[93:94]
	v_fma_f64 v[93:94], v[67:68], v[105:106], v[142:143]
	v_add_f64 v[3:4], v[3:4], v[89:90]
	s_clause 0x4
	buffer_load_dword v90, off, s[0:3], 0 offset:444
	buffer_load_dword v101, off, s[0:3], 0 offset:456
	;; [unrolled: 1-line block ×5, first 2 shown]
	s_waitcnt vmcnt(57) lgkmcnt(0)
	v_mul_f64 v[148:149], v[61:62], v[107:108]
	v_mul_f64 v[106:107], v[63:64], v[107:108]
	s_waitcnt vmcnt(56)
	v_fma_f64 v[95:96], v[69:70], v[103:104], -v[95:96]
	ds_read_b128 v[65:68], v2 offset:656
	v_fma_f64 v[91:92], v[71:72], v[103:104], v[91:92]
	v_add_f64 v[77:78], v[77:78], v[99:100]
	v_add_f64 v[3:4], v[3:4], v[93:94]
	s_clause 0x2
	buffer_load_dword v102, off, s[0:3], 0 offset:460
	buffer_load_dword v94, off, s[0:3], 0 offset:436
	;; [unrolled: 1-line block ×3, first 2 shown]
	ds_read_b128 v[69:72], v2 offset:672
	s_waitcnt vmcnt(58) lgkmcnt(1)
	v_mul_f64 v[103:104], v[67:68], v[109:110]
	s_waitcnt vmcnt(56)
	v_fma_f64 v[107:108], v[61:62], v[113:114], -v[106:107]
	v_mul_f64 v[99:100], v[65:66], v[109:110]
	buffer_load_dword v106, off, s[0:3], 0 offset:452
	v_add_f64 v[77:78], v[77:78], v[95:96]
	v_fma_f64 v[95:96], v[63:64], v[113:114], v[148:149]
	v_add_f64 v[3:4], v[3:4], v[91:92]
	ds_read_b128 v[61:64], v2 offset:688
	s_waitcnt vmcnt(53) lgkmcnt(1)
	v_mul_f64 v[109:110], v[71:72], v[115:116]
	s_waitcnt vmcnt(52)
	v_fma_f64 v[103:104], v[65:66], v[111:112], -v[103:104]
	v_mul_f64 v[91:92], v[69:70], v[115:116]
	v_fma_f64 v[99:100], v[67:68], v[111:112], v[99:100]
	ds_read_b128 v[65:68], v2 offset:704
	v_add_f64 v[77:78], v[77:78], v[107:108]
	s_waitcnt vmcnt(51) lgkmcnt(1)
	v_mul_f64 v[107:108], v[63:64], v[117:118]
	v_add_f64 v[3:4], v[3:4], v[95:96]
	v_mul_f64 v[95:96], v[61:62], v[117:118]
	s_waitcnt vmcnt(49)
	v_fma_f64 v[109:110], v[69:70], v[121:122], -v[109:110]
	v_fma_f64 v[91:92], v[71:72], v[121:122], v[91:92]
	s_waitcnt vmcnt(45) lgkmcnt(0)
	v_mul_f64 v[113:114], v[67:68], v[123:124]
	v_mul_f64 v[111:112], v[65:66], v[123:124]
	v_add_f64 v[77:78], v[77:78], v[103:104]
	s_waitcnt vmcnt(44)
	v_fma_f64 v[107:108], v[61:62], v[119:120], -v[107:108]
	v_add_f64 v[3:4], v[3:4], v[99:100]
	s_clause 0x3
	buffer_load_dword v99, off, s[0:3], 0 offset:48
	buffer_load_dword v100, off, s[0:3], 0 offset:52
	buffer_load_dword v103, off, s[0:3], 0 offset:56
	buffer_load_dword v104, off, s[0:3], 0 offset:60
	ds_read_b128 v[69:72], v2 offset:720
	v_fma_f64 v[95:96], v[63:64], v[119:120], v[95:96]
	ds_read_b128 v[61:64], v2 offset:736
	s_waitcnt vmcnt(45)
	v_fma_f64 v[113:114], v[65:66], v[129:130], -v[113:114]
	v_add_f64 v[77:78], v[77:78], v[109:110]
	v_add_f64 v[3:4], v[3:4], v[91:92]
	s_waitcnt lgkmcnt(1)
	v_mul_f64 v[109:110], v[71:72], v[125:126]
	v_mul_f64 v[91:92], v[69:70], v[125:126]
	v_add_f64 v[77:78], v[77:78], v[107:108]
	v_fma_f64 v[107:108], v[67:68], v[129:130], v[111:112]
	v_add_f64 v[3:4], v[3:4], v[95:96]
	s_waitcnt vmcnt(41) lgkmcnt(0)
	v_mul_f64 v[111:112], v[63:64], v[133:134]
	s_waitcnt vmcnt(40)
	v_fma_f64 v[109:110], v[69:70], v[127:128], -v[109:110]
	ds_read_b128 v[65:68], v2 offset:752
	v_mul_f64 v[95:96], v[61:62], v[133:134]
	v_fma_f64 v[91:92], v[71:72], v[127:128], v[91:92]
	ds_read_b128 v[69:72], v2 offset:768
	v_add_f64 v[77:78], v[77:78], v[113:114]
	v_add_f64 v[3:4], v[3:4], v[107:108]
	s_waitcnt vmcnt(39) lgkmcnt(1)
	v_mul_f64 v[113:114], v[67:68], v[135:136]
	v_mul_f64 v[107:108], v[65:66], v[135:136]
	s_waitcnt vmcnt(37)
	v_fma_f64 v[111:112], v[61:62], v[75:76], -v[111:112]
	v_fma_f64 v[75:76], v[63:64], v[75:76], v[95:96]
	ds_read_b128 v[61:64], v2 offset:784
	v_add_f64 v[77:78], v[77:78], v[109:110]
	v_add_f64 v[3:4], v[3:4], v[91:92]
	s_waitcnt vmcnt(33) lgkmcnt(1)
	v_mul_f64 v[91:92], v[69:70], v[79:80]
	v_mul_f64 v[79:80], v[71:72], v[79:80]
	s_waitcnt vmcnt(32)
	v_fma_f64 v[95:96], v[65:66], v[137:138], -v[113:114]
	;; [unrolled: 9-line block ×7, first 2 shown]
	v_fma_f64 v[75:76], v[63:64], v[83:84], v[75:76]
	ds_read_b128 v[61:64], v2 offset:880
	v_add_f64 v[77:78], v[77:78], v[79:80]
	v_add_f64 v[3:4], v[3:4], v[73:74]
	s_waitcnt vmcnt(9) lgkmcnt(1)
	v_mul_f64 v[79:80], v[71:72], v[89:90]
	s_waitcnt vmcnt(8)
	v_fma_f64 v[65:66], v[65:66], v[141:142], -v[87:88]
	v_mul_f64 v[73:74], v[69:70], v[89:90]
	v_fma_f64 v[67:68], v[67:68], v[141:142], v[85:86]
	v_add_f64 v[77:78], v[77:78], v[81:82]
	v_add_f64 v[3:4], v[3:4], v[75:76]
	s_waitcnt vmcnt(7) lgkmcnt(0)
	v_mul_f64 v[81:82], v[63:64], v[101:102]
	v_mul_f64 v[75:76], v[61:62], v[101:102]
	s_waitcnt vmcnt(5)
	v_fma_f64 v[69:70], v[69:70], v[93:94], -v[79:80]
	v_fma_f64 v[71:72], v[71:72], v[93:94], v[73:74]
	v_add_f64 v[65:66], v[77:78], v[65:66]
	v_add_f64 v[3:4], v[3:4], v[67:68]
	s_waitcnt vmcnt(4)
	v_fma_f64 v[61:62], v[61:62], v[105:106], -v[81:82]
	v_fma_f64 v[63:64], v[63:64], v[105:106], v[75:76]
	v_add_f64 v[65:66], v[65:66], v[69:70]
	v_add_f64 v[3:4], v[3:4], v[71:72]
	;; [unrolled: 1-line block ×4, first 2 shown]
	s_waitcnt vmcnt(2)
	v_add_f64 v[61:62], v[99:100], -v[61:62]
	s_waitcnt vmcnt(0)
	v_add_f64 v[3:4], v[103:104], -v[3:4]
	buffer_store_dword v62, off, s[0:3], 0 offset:52
	buffer_store_dword v61, off, s[0:3], 0 offset:48
	;; [unrolled: 1-line block ×4, first 2 shown]
	v_cmpx_lt_u32_e32 1, v0
	s_cbranch_execz .LBB91_179
; %bb.178:
	v_mov_b32_e32 v3, s40
	s_clause 0x3
	buffer_load_dword v61, v3, s[0:3], 0 offen
	buffer_load_dword v62, v3, s[0:3], 0 offen offset:4
	buffer_load_dword v63, v3, s[0:3], 0 offen offset:8
	;; [unrolled: 1-line block ×3, first 2 shown]
	buffer_store_dword v2, off, s[0:3], 0 offset:32
	buffer_store_dword v2, off, s[0:3], 0 offset:36
	;; [unrolled: 1-line block ×4, first 2 shown]
	s_waitcnt vmcnt(0)
	ds_write_b128 v1, v[61:64]
.LBB91_179:
	s_or_b32 exec_lo, exec_lo, s4
	s_waitcnt lgkmcnt(0)
	s_waitcnt_vscnt null, 0x0
	s_barrier
	buffer_gl0_inv
	s_clause 0x37
	buffer_load_dword v3, off, s[0:3], 0 offset:56
	buffer_load_dword v4, off, s[0:3], 0 offset:60
	;; [unrolled: 1-line block ×56, first 2 shown]
	ds_read_b128 v[61:64], v2 offset:480
	s_clause 0x2
	buffer_load_dword v126, off, s[0:3], 0 offset:284
	buffer_load_dword v130, off, s[0:3], 0 offset:260
	;; [unrolled: 1-line block ×3, first 2 shown]
	ds_read_b128 v[65:68], v2 offset:496
	s_clause 0x4
	buffer_load_dword v134, off, s[0:3], 0 offset:300
	buffer_load_dword v135, off, s[0:3], 0 offset:312
	;; [unrolled: 1-line block ×5, first 2 shown]
	ds_read_b128 v[69:72], v2 offset:512
	s_mov_b32 s4, exec_lo
	s_waitcnt vmcnt(62) lgkmcnt(2)
	v_mul_f64 v[131:132], v[63:64], v[3:4]
	v_mul_f64 v[3:4], v[61:62], v[3:4]
	s_waitcnt vmcnt(60) lgkmcnt(1)
	v_mul_f64 v[138:139], v[67:68], v[73:74]
	v_mul_f64 v[73:74], v[65:66], v[73:74]
	;; [unrolled: 3-line block ×3, first 2 shown]
	v_fma_f64 v[131:132], v[61:62], v[75:76], -v[131:132]
	v_fma_f64 v[3:4], v[63:64], v[75:76], v[3:4]
	s_clause 0x2
	buffer_load_dword v136, off, s[0:3], 0 offset:316
	buffer_load_dword v76, off, s[0:3], 0 offset:292
	;; [unrolled: 1-line block ×3, first 2 shown]
	s_waitcnt vmcnt(57)
	v_fma_f64 v[142:143], v[65:66], v[79:80], -v[138:139]
	ds_read_b128 v[61:64], v2 offset:528
	v_fma_f64 v[73:74], v[67:68], v[79:80], v[73:74]
	s_clause 0x4
	buffer_load_dword v80, off, s[0:3], 0 offset:332
	buffer_load_dword v139, off, s[0:3], 0 offset:344
	;; [unrolled: 1-line block ×5, first 2 shown]
	s_waitcnt vmcnt(56)
	v_fma_f64 v[77:78], v[69:70], v[87:88], -v[77:78]
	ds_read_b128 v[65:68], v2 offset:544
	v_fma_f64 v[87:88], v[71:72], v[87:88], v[140:141]
	v_add_f64 v[131:132], v[131:132], 0
	v_add_f64 v[3:4], v[3:4], 0
	s_waitcnt lgkmcnt(1)
	v_mul_f64 v[145:146], v[61:62], v[81:82]
	v_mul_f64 v[81:82], v[63:64], v[81:82]
	v_add_f64 v[131:132], v[131:132], v[142:143]
	v_add_f64 v[3:4], v[3:4], v[73:74]
	s_clause 0x2
	buffer_load_dword v140, off, s[0:3], 0 offset:348
	buffer_load_dword v74, off, s[0:3], 0 offset:324
	;; [unrolled: 1-line block ×3, first 2 shown]
	s_waitcnt vmcnt(58) lgkmcnt(0)
	v_mul_f64 v[141:142], v[65:66], v[83:84]
	v_mul_f64 v[83:84], v[67:68], v[83:84]
	s_waitcnt vmcnt(56)
	v_fma_f64 v[81:82], v[61:62], v[89:90], -v[81:82]
	ds_read_b128 v[69:72], v2 offset:560
	v_fma_f64 v[89:90], v[63:64], v[89:90], v[145:146]
	v_add_f64 v[77:78], v[131:132], v[77:78]
	v_add_f64 v[3:4], v[3:4], v[87:88]
	s_clause 0x4
	buffer_load_dword v88, off, s[0:3], 0 offset:364
	buffer_load_dword v131, off, s[0:3], 0 offset:376
	;; [unrolled: 1-line block ×5, first 2 shown]
	ds_read_b128 v[61:64], v2 offset:576
	s_waitcnt vmcnt(57) lgkmcnt(1)
	v_mul_f64 v[147:148], v[69:70], v[91:92]
	v_mul_f64 v[91:92], v[71:72], v[91:92]
	s_waitcnt vmcnt(56)
	v_fma_f64 v[83:84], v[65:66], v[85:86], -v[83:84]
	v_add_f64 v[77:78], v[77:78], v[81:82]
	v_fma_f64 v[81:82], v[67:68], v[85:86], v[141:142]
	v_add_f64 v[3:4], v[3:4], v[89:90]
	s_clause 0x2
	buffer_load_dword v132, off, s[0:3], 0 offset:380
	buffer_load_dword v86, off, s[0:3], 0 offset:356
	;; [unrolled: 1-line block ×3, first 2 shown]
	s_waitcnt vmcnt(58) lgkmcnt(0)
	v_mul_f64 v[89:90], v[61:62], v[93:94]
	v_mul_f64 v[93:94], v[63:64], v[93:94]
	s_waitcnt vmcnt(56)
	v_fma_f64 v[91:92], v[69:70], v[97:98], -v[91:92]
	ds_read_b128 v[65:68], v2 offset:592
	v_add_f64 v[77:78], v[77:78], v[83:84]
	v_fma_f64 v[83:84], v[71:72], v[97:98], v[147:148]
	v_add_f64 v[3:4], v[3:4], v[81:82]
	s_clause 0x4
	buffer_load_dword v82, off, s[0:3], 0 offset:396
	buffer_load_dword v97, off, s[0:3], 0 offset:408
	;; [unrolled: 1-line block ×5, first 2 shown]
	ds_read_b128 v[69:72], v2 offset:608
	s_waitcnt vmcnt(57) lgkmcnt(1)
	v_mul_f64 v[142:143], v[65:66], v[99:100]
	v_mul_f64 v[99:100], v[67:68], v[99:100]
	s_waitcnt vmcnt(56)
	v_fma_f64 v[93:94], v[61:62], v[95:96], -v[93:94]
	v_fma_f64 v[89:90], v[63:64], v[95:96], v[89:90]
	v_add_f64 v[77:78], v[77:78], v[91:92]
	v_add_f64 v[3:4], v[3:4], v[83:84]
	s_clause 0x2
	buffer_load_dword v98, off, s[0:3], 0 offset:412
	buffer_load_dword v84, off, s[0:3], 0 offset:388
	;; [unrolled: 1-line block ×3, first 2 shown]
	s_waitcnt vmcnt(58) lgkmcnt(0)
	v_mul_f64 v[95:96], v[71:72], v[101:102]
	ds_read_b128 v[61:64], v2 offset:624
	s_waitcnt vmcnt(56)
	v_fma_f64 v[99:100], v[65:66], v[105:106], -v[99:100]
	v_mul_f64 v[91:92], v[69:70], v[101:102]
	v_add_f64 v[77:78], v[77:78], v[93:94]
	v_fma_f64 v[93:94], v[67:68], v[105:106], v[142:143]
	v_add_f64 v[3:4], v[3:4], v[89:90]
	s_clause 0x4
	buffer_load_dword v90, off, s[0:3], 0 offset:428
	buffer_load_dword v101, off, s[0:3], 0 offset:440
	;; [unrolled: 1-line block ×5, first 2 shown]
	s_waitcnt vmcnt(57) lgkmcnt(0)
	v_mul_f64 v[148:149], v[61:62], v[107:108]
	v_mul_f64 v[106:107], v[63:64], v[107:108]
	s_waitcnt vmcnt(56)
	v_fma_f64 v[95:96], v[69:70], v[103:104], -v[95:96]
	ds_read_b128 v[65:68], v2 offset:640
	v_fma_f64 v[91:92], v[71:72], v[103:104], v[91:92]
	v_add_f64 v[77:78], v[77:78], v[99:100]
	v_add_f64 v[3:4], v[3:4], v[93:94]
	s_clause 0x2
	buffer_load_dword v102, off, s[0:3], 0 offset:444
	buffer_load_dword v94, off, s[0:3], 0 offset:420
	;; [unrolled: 1-line block ×3, first 2 shown]
	ds_read_b128 v[69:72], v2 offset:656
	s_waitcnt vmcnt(58) lgkmcnt(1)
	v_mul_f64 v[103:104], v[67:68], v[109:110]
	s_waitcnt vmcnt(56)
	v_fma_f64 v[107:108], v[61:62], v[113:114], -v[106:107]
	v_mul_f64 v[99:100], v[65:66], v[109:110]
	v_add_f64 v[77:78], v[77:78], v[95:96]
	v_fma_f64 v[95:96], v[63:64], v[113:114], v[148:149]
	v_add_f64 v[3:4], v[3:4], v[91:92]
	s_clause 0x2
	buffer_load_dword v92, off, s[0:3], 0 offset:460
	buffer_load_dword v91, off, s[0:3], 0 offset:456
	;; [unrolled: 1-line block ×3, first 2 shown]
	s_waitcnt vmcnt(55) lgkmcnt(0)
	v_mul_f64 v[113:114], v[71:72], v[115:116]
	s_waitcnt vmcnt(54)
	v_fma_f64 v[103:104], v[65:66], v[111:112], -v[103:104]
	ds_read_b128 v[61:64], v2 offset:672
	v_mul_f64 v[109:110], v[69:70], v[115:116]
	v_fma_f64 v[99:100], v[67:68], v[111:112], v[99:100]
	v_add_f64 v[77:78], v[77:78], v[107:108]
	v_add_f64 v[3:4], v[3:4], v[95:96]
	s_clause 0x1
	buffer_load_dword v96, off, s[0:3], 0 offset:452
	buffer_load_dword v95, off, s[0:3], 0 offset:448
	s_waitcnt vmcnt(55) lgkmcnt(0)
	v_mul_f64 v[111:112], v[63:64], v[117:118]
	s_waitcnt vmcnt(53)
	v_fma_f64 v[113:114], v[69:70], v[121:122], -v[113:114]
	ds_read_b128 v[65:68], v2 offset:688
	v_mul_f64 v[107:108], v[61:62], v[117:118]
	v_add_f64 v[77:78], v[77:78], v[103:104]
	v_fma_f64 v[103:104], v[71:72], v[121:122], v[109:110]
	v_add_f64 v[3:4], v[3:4], v[99:100]
	ds_read_b128 v[69:72], v2 offset:704
	s_waitcnt vmcnt(49) lgkmcnt(1)
	v_mul_f64 v[109:110], v[67:68], v[123:124]
	s_waitcnt vmcnt(48)
	v_fma_f64 v[111:112], v[61:62], v[119:120], -v[111:112]
	v_mul_f64 v[99:100], v[65:66], v[123:124]
	v_fma_f64 v[107:108], v[63:64], v[119:120], v[107:108]
	v_add_f64 v[77:78], v[77:78], v[113:114]
	s_waitcnt vmcnt(47) lgkmcnt(0)
	v_mul_f64 v[117:118], v[71:72], v[125:126]
	v_add_f64 v[3:4], v[3:4], v[103:104]
	s_clause 0x3
	buffer_load_dword v103, off, s[0:3], 0 offset:32
	buffer_load_dword v104, off, s[0:3], 0 offset:36
	;; [unrolled: 1-line block ×4, first 2 shown]
	s_waitcnt vmcnt(49)
	v_fma_f64 v[109:110], v[65:66], v[129:130], -v[109:110]
	ds_read_b128 v[61:64], v2 offset:720
	v_mul_f64 v[115:116], v[69:70], v[125:126]
	v_fma_f64 v[99:100], v[67:68], v[129:130], v[99:100]
	ds_read_b128 v[65:68], v2 offset:736
	v_add_f64 v[77:78], v[77:78], v[111:112]
	s_waitcnt vmcnt(44)
	v_fma_f64 v[117:118], v[69:70], v[127:128], -v[117:118]
	v_add_f64 v[3:4], v[3:4], v[107:108]
	s_waitcnt lgkmcnt(1)
	v_mul_f64 v[111:112], v[63:64], v[133:134]
	v_mul_f64 v[107:108], v[61:62], v[133:134]
	v_add_f64 v[77:78], v[77:78], v[109:110]
	v_fma_f64 v[109:110], v[71:72], v[127:128], v[115:116]
	v_add_f64 v[3:4], v[3:4], v[99:100]
	ds_read_b128 v[69:72], v2 offset:752
	s_waitcnt vmcnt(43) lgkmcnt(1)
	v_mul_f64 v[115:116], v[67:68], v[135:136]
	v_mul_f64 v[99:100], v[65:66], v[135:136]
	s_waitcnt vmcnt(41)
	v_fma_f64 v[111:112], v[61:62], v[75:76], -v[111:112]
	v_fma_f64 v[75:76], v[63:64], v[75:76], v[107:108]
	ds_read_b128 v[61:64], v2 offset:768
	v_add_f64 v[77:78], v[77:78], v[117:118]
	s_waitcnt vmcnt(37) lgkmcnt(1)
	v_mul_f64 v[107:108], v[69:70], v[79:80]
	v_add_f64 v[3:4], v[3:4], v[109:110]
	v_mul_f64 v[79:80], v[71:72], v[79:80]
	s_waitcnt vmcnt(36)
	v_fma_f64 v[109:110], v[65:66], v[137:138], -v[115:116]
	v_fma_f64 v[99:100], v[67:68], v[137:138], v[99:100]
	ds_read_b128 v[65:68], v2 offset:784
	v_add_f64 v[77:78], v[77:78], v[111:112]
	v_add_f64 v[3:4], v[3:4], v[75:76]
	s_waitcnt vmcnt(35) lgkmcnt(1)
	v_mul_f64 v[111:112], v[63:64], v[139:140]
	v_mul_f64 v[75:76], v[61:62], v[139:140]
	s_waitcnt vmcnt(33)
	v_fma_f64 v[79:80], v[69:70], v[73:74], -v[79:80]
	v_fma_f64 v[73:74], v[71:72], v[73:74], v[107:108]
	ds_read_b128 v[69:72], v2 offset:800
	v_add_f64 v[77:78], v[77:78], v[109:110]
	v_add_f64 v[3:4], v[3:4], v[99:100]
	s_waitcnt vmcnt(29) lgkmcnt(1)
	v_mul_f64 v[99:100], v[65:66], v[87:88]
	v_mul_f64 v[87:88], v[67:68], v[87:88]
	s_waitcnt vmcnt(28)
	v_fma_f64 v[107:108], v[61:62], v[144:145], -v[111:112]
	v_fma_f64 v[75:76], v[63:64], v[144:145], v[75:76]
	ds_read_b128 v[61:64], v2 offset:816
	v_add_f64 v[77:78], v[77:78], v[79:80]
	v_add_f64 v[3:4], v[3:4], v[73:74]
	s_waitcnt vmcnt(27) lgkmcnt(1)
	v_mul_f64 v[79:80], v[71:72], v[131:132]
	v_mul_f64 v[73:74], v[69:70], v[131:132]
	s_waitcnt vmcnt(25)
	v_fma_f64 v[87:88], v[65:66], v[85:86], -v[87:88]
	v_fma_f64 v[85:86], v[67:68], v[85:86], v[99:100]
	ds_read_b128 v[65:68], v2 offset:832
	v_add_f64 v[77:78], v[77:78], v[107:108]
	v_add_f64 v[3:4], v[3:4], v[75:76]
	s_waitcnt vmcnt(21) lgkmcnt(1)
	v_mul_f64 v[75:76], v[61:62], v[81:82]
	v_mul_f64 v[81:82], v[63:64], v[81:82]
	s_waitcnt vmcnt(20)
	v_fma_f64 v[79:80], v[69:70], v[146:147], -v[79:80]
	v_fma_f64 v[73:74], v[71:72], v[146:147], v[73:74]
	ds_read_b128 v[69:72], v2 offset:848
	v_add_f64 v[77:78], v[77:78], v[87:88]
	v_add_f64 v[3:4], v[3:4], v[85:86]
	s_waitcnt vmcnt(19) lgkmcnt(1)
	v_mul_f64 v[87:88], v[67:68], v[97:98]
	v_mul_f64 v[85:86], v[65:66], v[97:98]
	s_waitcnt vmcnt(17)
	v_fma_f64 v[81:82], v[61:62], v[83:84], -v[81:82]
	v_fma_f64 v[75:76], v[63:64], v[83:84], v[75:76]
	ds_read_b128 v[61:64], v2 offset:864
	v_add_f64 v[77:78], v[77:78], v[79:80]
	v_add_f64 v[3:4], v[3:4], v[73:74]
	s_waitcnt vmcnt(13) lgkmcnt(1)
	v_mul_f64 v[79:80], v[71:72], v[89:90]
	s_waitcnt vmcnt(12)
	v_fma_f64 v[83:84], v[65:66], v[141:142], -v[87:88]
	v_mul_f64 v[73:74], v[69:70], v[89:90]
	v_add_f64 v[77:78], v[77:78], v[81:82]
	v_fma_f64 v[81:82], v[67:68], v[141:142], v[85:86]
	v_add_f64 v[3:4], v[3:4], v[75:76]
	ds_read_b128 v[65:68], v2 offset:880
	s_waitcnt vmcnt(11) lgkmcnt(1)
	v_mul_f64 v[85:86], v[63:64], v[101:102]
	v_mul_f64 v[75:76], v[61:62], v[101:102]
	s_waitcnt vmcnt(9)
	v_fma_f64 v[69:70], v[69:70], v[93:94], -v[79:80]
	v_fma_f64 v[71:72], v[71:72], v[93:94], v[73:74]
	v_add_f64 v[77:78], v[77:78], v[83:84]
	v_add_f64 v[2:3], v[3:4], v[81:82]
	s_waitcnt vmcnt(7) lgkmcnt(0)
	v_mul_f64 v[79:80], v[67:68], v[91:92]
	s_waitcnt vmcnt(6)
	v_fma_f64 v[61:62], v[61:62], v[105:106], -v[85:86]
	v_mul_f64 v[73:74], v[65:66], v[91:92]
	v_fma_f64 v[63:64], v[63:64], v[105:106], v[75:76]
	v_add_f64 v[69:70], v[77:78], v[69:70]
	v_add_f64 v[2:3], v[2:3], v[71:72]
	s_waitcnt vmcnt(4)
	v_fma_f64 v[65:66], v[65:66], v[95:96], -v[79:80]
	v_fma_f64 v[67:68], v[67:68], v[95:96], v[73:74]
	v_add_f64 v[61:62], v[69:70], v[61:62]
	v_add_f64 v[2:3], v[2:3], v[63:64]
	;; [unrolled: 1-line block ×4, first 2 shown]
	s_waitcnt vmcnt(2)
	v_add_f64 v[61:62], v[103:104], -v[61:62]
	s_waitcnt vmcnt(0)
	v_add_f64 v[2:3], v[113:114], -v[2:3]
	buffer_store_dword v62, off, s[0:3], 0 offset:36
	buffer_store_dword v61, off, s[0:3], 0 offset:32
	;; [unrolled: 1-line block ×4, first 2 shown]
	v_cmpx_ne_u32_e32 0, v0
	s_cbranch_execz .LBB91_181
; %bb.180:
	s_clause 0x3
	buffer_load_dword v61, off, s[0:3], 0 offset:16
	buffer_load_dword v62, off, s[0:3], 0 offset:20
	buffer_load_dword v63, off, s[0:3], 0 offset:24
	buffer_load_dword v64, off, s[0:3], 0 offset:28
	v_mov_b32_e32 v0, 0
	buffer_store_dword v0, off, s[0:3], 0 offset:16
	buffer_store_dword v0, off, s[0:3], 0 offset:20
	;; [unrolled: 1-line block ×4, first 2 shown]
	s_waitcnt vmcnt(0)
	ds_write_b128 v1, v[61:64]
.LBB91_181:
	s_or_b32 exec_lo, exec_lo, s4
	s_waitcnt lgkmcnt(0)
	s_waitcnt_vscnt null, 0x0
	s_barrier
	buffer_gl0_inv
	s_clause 0x37
	buffer_load_dword v65, off, s[0:3], 0 offset:40
	buffer_load_dword v66, off, s[0:3], 0 offset:44
	;; [unrolled: 1-line block ×56, first 2 shown]
	v_mov_b32_e32 v0, 0
	s_and_b32 vcc_lo, exec_lo, s39
	ds_read_b128 v[1:4], v0 offset:464
	s_clause 0x2
	buffer_load_dword v122, off, s[0:3], 0 offset:268
	buffer_load_dword v126, off, s[0:3], 0 offset:244
	;; [unrolled: 1-line block ×3, first 2 shown]
	ds_read_b128 v[61:64], v0 offset:480
	s_clause 0x4
	buffer_load_dword v132, off, s[0:3], 0 offset:284
	buffer_load_dword v133, off, s[0:3], 0 offset:296
	;; [unrolled: 1-line block ×5, first 2 shown]
	s_waitcnt vmcnt(62) lgkmcnt(1)
	v_mul_f64 v[127:128], v[3:4], v[65:66]
	v_mul_f64 v[129:130], v[1:2], v[65:66]
	s_waitcnt vmcnt(60) lgkmcnt(0)
	v_mul_f64 v[136:137], v[63:64], v[69:70]
	ds_read_b128 v[65:68], v0 offset:496
	v_mul_f64 v[69:70], v[61:62], v[69:70]
	s_waitcnt vmcnt(58)
	v_fma_f64 v[127:128], v[1:2], v[71:72], -v[127:128]
	v_fma_f64 v[71:72], v[3:4], v[71:72], v[129:130]
	s_clause 0x2
	buffer_load_dword v134, off, s[0:3], 0 offset:300
	buffer_load_dword v130, off, s[0:3], 0 offset:276
	;; [unrolled: 1-line block ×3, first 2 shown]
	s_waitcnt vmcnt(59) lgkmcnt(0)
	v_mul_f64 v[138:139], v[65:66], v[73:74]
	v_mul_f64 v[73:74], v[67:68], v[73:74]
	s_waitcnt vmcnt(57)
	v_fma_f64 v[140:141], v[61:62], v[75:76], -v[136:137]
	ds_read_b128 v[1:4], v0 offset:512
	v_fma_f64 v[69:70], v[63:64], v[75:76], v[69:70]
	s_clause 0x4
	buffer_load_dword v76, off, s[0:3], 0 offset:316
	buffer_load_dword v137, off, s[0:3], 0 offset:328
	;; [unrolled: 1-line block ×5, first 2 shown]
	ds_read_b128 v[61:64], v0 offset:528
	v_add_f64 v[127:128], v[127:128], 0
	v_add_f64 v[71:72], v[71:72], 0
	s_waitcnt vmcnt(58) lgkmcnt(1)
	v_mul_f64 v[143:144], v[1:2], v[77:78]
	v_mul_f64 v[77:78], v[3:4], v[77:78]
	s_waitcnt vmcnt(56)
	v_fma_f64 v[73:74], v[65:66], v[83:84], -v[73:74]
	v_fma_f64 v[83:84], v[67:68], v[83:84], v[138:139]
	v_add_f64 v[127:128], v[127:128], v[140:141]
	v_add_f64 v[69:70], v[71:72], v[69:70]
	s_clause 0x2
	buffer_load_dword v138, off, s[0:3], 0 offset:332
	buffer_load_dword v72, off, s[0:3], 0 offset:308
	;; [unrolled: 1-line block ×3, first 2 shown]
	s_waitcnt vmcnt(58) lgkmcnt(0)
	v_mul_f64 v[139:140], v[61:62], v[79:80]
	v_mul_f64 v[79:80], v[63:64], v[79:80]
	s_waitcnt vmcnt(56)
	v_fma_f64 v[77:78], v[1:2], v[85:86], -v[77:78]
	ds_read_b128 v[65:68], v0 offset:544
	v_fma_f64 v[85:86], v[3:4], v[85:86], v[143:144]
	v_add_f64 v[73:74], v[127:128], v[73:74]
	v_add_f64 v[69:70], v[69:70], v[83:84]
	s_clause 0x4
	buffer_load_dword v84, off, s[0:3], 0 offset:348
	buffer_load_dword v127, off, s[0:3], 0 offset:360
	;; [unrolled: 1-line block ×5, first 2 shown]
	ds_read_b128 v[1:4], v0 offset:560
	s_waitcnt vmcnt(57) lgkmcnt(1)
	v_mul_f64 v[145:146], v[65:66], v[87:88]
	v_mul_f64 v[87:88], v[67:68], v[87:88]
	s_waitcnt vmcnt(56)
	v_fma_f64 v[79:80], v[61:62], v[81:82], -v[79:80]
	v_add_f64 v[73:74], v[73:74], v[77:78]
	v_fma_f64 v[77:78], v[63:64], v[81:82], v[139:140]
	v_add_f64 v[69:70], v[69:70], v[85:86]
	s_clause 0x2
	buffer_load_dword v128, off, s[0:3], 0 offset:364
	buffer_load_dword v82, off, s[0:3], 0 offset:340
	;; [unrolled: 1-line block ×3, first 2 shown]
	s_waitcnt vmcnt(58) lgkmcnt(0)
	v_mul_f64 v[85:86], v[1:2], v[89:90]
	v_mul_f64 v[89:90], v[3:4], v[89:90]
	s_waitcnt vmcnt(56)
	v_fma_f64 v[87:88], v[65:66], v[93:94], -v[87:88]
	ds_read_b128 v[61:64], v0 offset:576
	v_add_f64 v[73:74], v[73:74], v[79:80]
	v_fma_f64 v[79:80], v[67:68], v[93:94], v[145:146]
	v_add_f64 v[69:70], v[69:70], v[77:78]
	s_clause 0x4
	buffer_load_dword v78, off, s[0:3], 0 offset:380
	buffer_load_dword v93, off, s[0:3], 0 offset:392
	;; [unrolled: 1-line block ×5, first 2 shown]
	ds_read_b128 v[65:68], v0 offset:592
	s_waitcnt vmcnt(57) lgkmcnt(1)
	v_mul_f64 v[140:141], v[61:62], v[95:96]
	v_mul_f64 v[95:96], v[63:64], v[95:96]
	s_waitcnt vmcnt(56)
	v_fma_f64 v[89:90], v[1:2], v[91:92], -v[89:90]
	v_fma_f64 v[85:86], v[3:4], v[91:92], v[85:86]
	v_add_f64 v[73:74], v[73:74], v[87:88]
	v_add_f64 v[69:70], v[69:70], v[79:80]
	s_clause 0x2
	buffer_load_dword v94, off, s[0:3], 0 offset:396
	buffer_load_dword v80, off, s[0:3], 0 offset:372
	;; [unrolled: 1-line block ×3, first 2 shown]
	s_waitcnt vmcnt(58) lgkmcnt(0)
	v_mul_f64 v[91:92], v[67:68], v[97:98]
	ds_read_b128 v[1:4], v0 offset:608
	s_waitcnt vmcnt(56)
	v_fma_f64 v[95:96], v[61:62], v[101:102], -v[95:96]
	v_mul_f64 v[87:88], v[65:66], v[97:98]
	v_add_f64 v[73:74], v[73:74], v[89:90]
	v_fma_f64 v[89:90], v[63:64], v[101:102], v[140:141]
	v_add_f64 v[69:70], v[69:70], v[85:86]
	s_clause 0x4
	buffer_load_dword v86, off, s[0:3], 0 offset:412
	buffer_load_dword v97, off, s[0:3], 0 offset:424
	;; [unrolled: 1-line block ×5, first 2 shown]
	s_waitcnt vmcnt(57) lgkmcnt(0)
	v_mul_f64 v[146:147], v[1:2], v[103:104]
	v_mul_f64 v[102:103], v[3:4], v[103:104]
	s_waitcnt vmcnt(56)
	v_fma_f64 v[91:92], v[65:66], v[99:100], -v[91:92]
	ds_read_b128 v[61:64], v0 offset:624
	v_fma_f64 v[87:88], v[67:68], v[99:100], v[87:88]
	v_add_f64 v[73:74], v[73:74], v[95:96]
	v_add_f64 v[69:70], v[69:70], v[89:90]
	s_clause 0x2
	buffer_load_dword v98, off, s[0:3], 0 offset:428
	buffer_load_dword v90, off, s[0:3], 0 offset:404
	buffer_load_dword v89, off, s[0:3], 0 offset:400
	ds_read_b128 v[65:68], v0 offset:640
	s_waitcnt vmcnt(58) lgkmcnt(1)
	v_mul_f64 v[99:100], v[63:64], v[105:106]
	s_waitcnt vmcnt(56)
	v_fma_f64 v[103:104], v[1:2], v[109:110], -v[102:103]
	v_mul_f64 v[95:96], v[61:62], v[105:106]
	v_add_f64 v[73:74], v[73:74], v[91:92]
	v_fma_f64 v[91:92], v[3:4], v[109:110], v[146:147]
	v_add_f64 v[69:70], v[69:70], v[87:88]
	s_clause 0x4
	buffer_load_dword v88, off, s[0:3], 0 offset:444
	buffer_load_dword v105, off, s[0:3], 0 offset:456
	;; [unrolled: 1-line block ×5, first 2 shown]
	s_waitcnt vmcnt(57) lgkmcnt(0)
	v_mul_f64 v[146:147], v[65:66], v[111:112]
	v_mul_f64 v[110:111], v[67:68], v[111:112]
	s_waitcnt vmcnt(56)
	v_fma_f64 v[99:100], v[61:62], v[107:108], -v[99:100]
	ds_read_b128 v[1:4], v0 offset:656
	v_fma_f64 v[95:96], v[63:64], v[107:108], v[95:96]
	v_add_f64 v[73:74], v[73:74], v[103:104]
	v_add_f64 v[69:70], v[69:70], v[91:92]
	s_clause 0x2
	buffer_load_dword v106, off, s[0:3], 0 offset:460
	buffer_load_dword v92, off, s[0:3], 0 offset:436
	;; [unrolled: 1-line block ×3, first 2 shown]
	ds_read_b128 v[61:64], v0 offset:672
	s_waitcnt vmcnt(58) lgkmcnt(1)
	v_mul_f64 v[107:108], v[3:4], v[113:114]
	s_waitcnt vmcnt(56)
	v_fma_f64 v[111:112], v[65:66], v[117:118], -v[110:111]
	v_mul_f64 v[103:104], v[1:2], v[113:114]
	buffer_load_dword v110, off, s[0:3], 0 offset:452
	v_add_f64 v[73:74], v[73:74], v[99:100]
	v_fma_f64 v[99:100], v[67:68], v[117:118], v[146:147]
	v_add_f64 v[69:70], v[69:70], v[95:96]
	ds_read_b128 v[65:68], v0 offset:688
	s_waitcnt vmcnt(53) lgkmcnt(1)
	v_mul_f64 v[113:114], v[63:64], v[119:120]
	s_waitcnt vmcnt(52)
	v_fma_f64 v[107:108], v[1:2], v[115:116], -v[107:108]
	v_mul_f64 v[95:96], v[61:62], v[119:120]
	v_fma_f64 v[103:104], v[3:4], v[115:116], v[103:104]
	ds_read_b128 v[1:4], v0 offset:704
	v_add_f64 v[73:74], v[73:74], v[111:112]
	s_waitcnt vmcnt(51) lgkmcnt(1)
	v_mul_f64 v[111:112], v[67:68], v[121:122]
	v_add_f64 v[69:70], v[69:70], v[99:100]
	v_mul_f64 v[99:100], v[65:66], v[121:122]
	s_waitcnt vmcnt(49)
	v_fma_f64 v[113:114], v[61:62], v[125:126], -v[113:114]
	v_fma_f64 v[95:96], v[63:64], v[125:126], v[95:96]
	s_waitcnt vmcnt(45) lgkmcnt(0)
	v_mul_f64 v[117:118], v[3:4], v[131:132]
	v_mul_f64 v[115:116], v[1:2], v[131:132]
	v_add_f64 v[73:74], v[73:74], v[107:108]
	s_waitcnt vmcnt(44)
	v_fma_f64 v[111:112], v[65:66], v[123:124], -v[111:112]
	v_add_f64 v[69:70], v[69:70], v[103:104]
	s_clause 0x3
	buffer_load_dword v103, off, s[0:3], 0 offset:16
	buffer_load_dword v104, off, s[0:3], 0 offset:20
	buffer_load_dword v107, off, s[0:3], 0 offset:24
	buffer_load_dword v108, off, s[0:3], 0 offset:28
	ds_read_b128 v[61:64], v0 offset:720
	v_fma_f64 v[99:100], v[67:68], v[123:124], v[99:100]
	ds_read_b128 v[65:68], v0 offset:736
	v_add_f64 v[73:74], v[73:74], v[113:114]
	v_add_f64 v[69:70], v[69:70], v[95:96]
	s_waitcnt vmcnt(47) lgkmcnt(1)
	v_mul_f64 v[113:114], v[63:64], v[133:134]
	v_mul_f64 v[95:96], v[61:62], v[133:134]
	s_waitcnt vmcnt(45)
	v_fma_f64 v[117:118], v[1:2], v[129:130], -v[117:118]
	v_add_f64 v[73:74], v[73:74], v[111:112]
	v_fma_f64 v[111:112], v[3:4], v[129:130], v[115:116]
	v_add_f64 v[69:70], v[69:70], v[99:100]
	s_waitcnt vmcnt(41) lgkmcnt(0)
	v_mul_f64 v[99:100], v[65:66], v[75:76]
	v_mul_f64 v[75:76], v[67:68], v[75:76]
	ds_read_b128 v[1:4], v0 offset:752
	s_waitcnt vmcnt(40)
	v_fma_f64 v[113:114], v[61:62], v[135:136], -v[113:114]
	v_fma_f64 v[95:96], v[63:64], v[135:136], v[95:96]
	ds_read_b128 v[61:64], v0 offset:768
	v_add_f64 v[73:74], v[73:74], v[117:118]
	v_add_f64 v[69:70], v[69:70], v[111:112]
	s_waitcnt vmcnt(39) lgkmcnt(1)
	v_mul_f64 v[115:116], v[3:4], v[137:138]
	v_mul_f64 v[111:112], v[1:2], v[137:138]
	s_waitcnt vmcnt(37)
	v_fma_f64 v[75:76], v[65:66], v[71:72], -v[75:76]
	v_fma_f64 v[71:72], v[67:68], v[71:72], v[99:100]
	ds_read_b128 v[65:68], v0 offset:784
	v_add_f64 v[73:74], v[73:74], v[113:114]
	v_add_f64 v[69:70], v[69:70], v[95:96]
	s_waitcnt vmcnt(33) lgkmcnt(1)
	v_mul_f64 v[95:96], v[61:62], v[83:84]
	v_mul_f64 v[83:84], v[63:64], v[83:84]
	s_waitcnt vmcnt(32)
	v_fma_f64 v[99:100], v[1:2], v[142:143], -v[115:116]
	v_add_f64 v[73:74], v[73:74], v[75:76]
	v_fma_f64 v[75:76], v[3:4], v[142:143], v[111:112]
	v_add_f64 v[69:70], v[69:70], v[71:72]
	ds_read_b128 v[1:4], v0 offset:800
	s_waitcnt vmcnt(31) lgkmcnt(1)
	v_mul_f64 v[111:112], v[67:68], v[127:128]
	v_mul_f64 v[71:72], v[65:66], v[127:128]
	s_waitcnt vmcnt(29)
	v_fma_f64 v[83:84], v[61:62], v[81:82], -v[83:84]
	v_fma_f64 v[81:82], v[63:64], v[81:82], v[95:96]
	ds_read_b128 v[61:64], v0 offset:816
	v_add_f64 v[73:74], v[73:74], v[99:100]
	v_add_f64 v[69:70], v[69:70], v[75:76]
	s_waitcnt vmcnt(25) lgkmcnt(1)
	v_mul_f64 v[75:76], v[1:2], v[77:78]
	v_mul_f64 v[77:78], v[3:4], v[77:78]
	s_waitcnt vmcnt(24)
	v_fma_f64 v[95:96], v[65:66], v[144:145], -v[111:112]
	v_fma_f64 v[71:72], v[67:68], v[144:145], v[71:72]
	ds_read_b128 v[65:68], v0 offset:832
	v_add_f64 v[73:74], v[73:74], v[83:84]
	v_add_f64 v[69:70], v[69:70], v[81:82]
	s_waitcnt vmcnt(23) lgkmcnt(1)
	v_mul_f64 v[83:84], v[63:64], v[93:94]
	v_mul_f64 v[81:82], v[61:62], v[93:94]
	s_waitcnt vmcnt(21)
	v_fma_f64 v[77:78], v[1:2], v[79:80], -v[77:78]
	v_fma_f64 v[75:76], v[3:4], v[79:80], v[75:76]
	ds_read_b128 v[1:4], v0 offset:848
	v_add_f64 v[73:74], v[73:74], v[95:96]
	v_add_f64 v[69:70], v[69:70], v[71:72]
	s_waitcnt vmcnt(17) lgkmcnt(1)
	v_mul_f64 v[79:80], v[67:68], v[85:86]
	s_waitcnt vmcnt(16)
	v_fma_f64 v[83:84], v[61:62], v[139:140], -v[83:84]
	v_mul_f64 v[71:72], v[65:66], v[85:86]
	v_add_f64 v[73:74], v[73:74], v[77:78]
	v_fma_f64 v[77:78], v[63:64], v[139:140], v[81:82]
	v_add_f64 v[69:70], v[69:70], v[75:76]
	ds_read_b128 v[61:64], v0 offset:864
	s_waitcnt vmcnt(15) lgkmcnt(1)
	v_mul_f64 v[81:82], v[3:4], v[97:98]
	v_mul_f64 v[75:76], v[1:2], v[97:98]
	s_waitcnt vmcnt(13)
	v_fma_f64 v[79:80], v[65:66], v[89:90], -v[79:80]
	v_fma_f64 v[71:72], v[67:68], v[89:90], v[71:72]
	ds_read_b128 v[65:68], v0 offset:880
	v_add_f64 v[73:74], v[73:74], v[83:84]
	v_add_f64 v[69:70], v[69:70], v[77:78]
	s_waitcnt vmcnt(9) lgkmcnt(1)
	v_mul_f64 v[83:84], v[63:64], v[87:88]
	s_waitcnt vmcnt(8)
	v_fma_f64 v[1:2], v[1:2], v[101:102], -v[81:82]
	v_mul_f64 v[77:78], v[61:62], v[87:88]
	v_fma_f64 v[3:4], v[3:4], v[101:102], v[75:76]
	v_add_f64 v[73:74], v[73:74], v[79:80]
	v_add_f64 v[69:70], v[69:70], v[71:72]
	s_waitcnt vmcnt(7) lgkmcnt(0)
	v_mul_f64 v[75:76], v[67:68], v[105:106]
	v_mul_f64 v[71:72], v[65:66], v[105:106]
	s_waitcnt vmcnt(5)
	v_fma_f64 v[61:62], v[61:62], v[91:92], -v[83:84]
	v_fma_f64 v[63:64], v[63:64], v[91:92], v[77:78]
	v_add_f64 v[1:2], v[73:74], v[1:2]
	v_add_f64 v[3:4], v[69:70], v[3:4]
	s_waitcnt vmcnt(4)
	v_fma_f64 v[65:66], v[65:66], v[109:110], -v[75:76]
	v_add_f64 v[1:2], v[1:2], v[61:62]
	v_fma_f64 v[61:62], v[67:68], v[109:110], v[71:72]
	v_add_f64 v[3:4], v[3:4], v[63:64]
	v_add_f64 v[1:2], v[1:2], v[65:66]
	;; [unrolled: 1-line block ×3, first 2 shown]
	s_waitcnt vmcnt(2)
	v_add_f64 v[1:2], v[103:104], -v[1:2]
	s_waitcnt vmcnt(0)
	v_add_f64 v[3:4], v[107:108], -v[3:4]
	buffer_store_dword v2, off, s[0:3], 0 offset:20
	buffer_store_dword v1, off, s[0:3], 0 offset:16
	;; [unrolled: 1-line block ×4, first 2 shown]
	s_cbranch_vccz .LBB91_236
; %bb.182:
	global_load_dword v0, v0, s[12:13] offset:104
	s_waitcnt vmcnt(0)
	v_add_nc_u32_e32 v0, -1, v0
	v_cmp_ne_u32_e32 vcc_lo, 26, v0
	s_cbranch_vccz .LBB91_184
; %bb.183:
	v_lshlrev_b32_e32 v0, 4, v0
	v_mov_b32_e32 v1, s9
	v_add_nc_u32_e32 v0, 16, v0
	s_clause 0x7
	buffer_load_dword v2, v0, s[0:3], 0 offen
	buffer_load_dword v3, v0, s[0:3], 0 offen offset:4
	buffer_load_dword v4, v0, s[0:3], 0 offen offset:8
	buffer_load_dword v61, v0, s[0:3], 0 offen offset:12
	buffer_load_dword v62, v1, s[0:3], 0 offen offset:12
	buffer_load_dword v63, v1, s[0:3], 0 offen offset:8
	buffer_load_dword v64, v1, s[0:3], 0 offen offset:4
	buffer_load_dword v65, v1, s[0:3], 0 offen
	s_waitcnt vmcnt(7)
	buffer_store_dword v2, v1, s[0:3], 0 offen
	s_waitcnt vmcnt(6)
	buffer_store_dword v3, v1, s[0:3], 0 offen offset:4
	s_waitcnt vmcnt(5)
	buffer_store_dword v4, v1, s[0:3], 0 offen offset:8
	s_waitcnt vmcnt(4)
	buffer_store_dword v61, v1, s[0:3], 0 offen offset:12
	s_waitcnt vmcnt(3)
	buffer_store_dword v62, v0, s[0:3], 0 offen offset:12
	s_waitcnt vmcnt(2)
	buffer_store_dword v63, v0, s[0:3], 0 offen offset:8
	s_waitcnt vmcnt(1)
	buffer_store_dword v64, v0, s[0:3], 0 offen offset:4
	s_waitcnt vmcnt(0)
	buffer_store_dword v65, v0, s[0:3], 0 offen
.LBB91_184:
	v_mov_b32_e32 v0, 0
	global_load_dword v1, v0, s[12:13] offset:100
	s_waitcnt vmcnt(0)
	v_add_nc_u32_e32 v1, -1, v1
	v_cmp_eq_u32_e32 vcc_lo, 25, v1
	s_cbranch_vccnz .LBB91_186
; %bb.185:
	v_lshlrev_b32_e32 v1, 4, v1
	v_mov_b32_e32 v2, s14
	v_add_nc_u32_e32 v1, 16, v1
	s_clause 0x7
	buffer_load_dword v3, v1, s[0:3], 0 offen
	buffer_load_dword v4, v1, s[0:3], 0 offen offset:4
	buffer_load_dword v61, v1, s[0:3], 0 offen offset:8
	;; [unrolled: 1-line block ×6, first 2 shown]
	buffer_load_dword v66, v2, s[0:3], 0 offen
	s_waitcnt vmcnt(7)
	buffer_store_dword v3, v2, s[0:3], 0 offen
	s_waitcnt vmcnt(6)
	buffer_store_dword v4, v2, s[0:3], 0 offen offset:4
	s_waitcnt vmcnt(5)
	buffer_store_dword v61, v2, s[0:3], 0 offen offset:8
	s_waitcnt vmcnt(4)
	buffer_store_dword v62, v2, s[0:3], 0 offen offset:12
	s_waitcnt vmcnt(3)
	buffer_store_dword v63, v1, s[0:3], 0 offen offset:12
	s_waitcnt vmcnt(2)
	buffer_store_dword v64, v1, s[0:3], 0 offen offset:8
	s_waitcnt vmcnt(1)
	buffer_store_dword v65, v1, s[0:3], 0 offen offset:4
	s_waitcnt vmcnt(0)
	buffer_store_dword v66, v1, s[0:3], 0 offen
.LBB91_186:
	global_load_dword v0, v0, s[12:13] offset:96
	s_waitcnt vmcnt(0)
	v_add_nc_u32_e32 v0, -1, v0
	v_cmp_eq_u32_e32 vcc_lo, 24, v0
	s_cbranch_vccnz .LBB91_188
; %bb.187:
	v_lshlrev_b32_e32 v0, 4, v0
	v_mov_b32_e32 v1, s15
	v_add_nc_u32_e32 v0, 16, v0
	s_clause 0x7
	buffer_load_dword v2, v0, s[0:3], 0 offen
	buffer_load_dword v3, v0, s[0:3], 0 offen offset:4
	buffer_load_dword v4, v0, s[0:3], 0 offen offset:8
	;; [unrolled: 1-line block ×6, first 2 shown]
	buffer_load_dword v65, v1, s[0:3], 0 offen
	s_waitcnt vmcnt(7)
	buffer_store_dword v2, v1, s[0:3], 0 offen
	s_waitcnt vmcnt(6)
	buffer_store_dword v3, v1, s[0:3], 0 offen offset:4
	s_waitcnt vmcnt(5)
	buffer_store_dword v4, v1, s[0:3], 0 offen offset:8
	;; [unrolled: 2-line block ×6, first 2 shown]
	s_waitcnt vmcnt(0)
	buffer_store_dword v65, v0, s[0:3], 0 offen
.LBB91_188:
	v_mov_b32_e32 v0, 0
	global_load_dword v1, v0, s[12:13] offset:92
	s_waitcnt vmcnt(0)
	v_add_nc_u32_e32 v1, -1, v1
	v_cmp_eq_u32_e32 vcc_lo, 23, v1
	s_cbranch_vccnz .LBB91_190
; %bb.189:
	v_lshlrev_b32_e32 v1, 4, v1
	v_mov_b32_e32 v2, s16
	v_add_nc_u32_e32 v1, 16, v1
	s_clause 0x7
	buffer_load_dword v3, v1, s[0:3], 0 offen
	buffer_load_dword v4, v1, s[0:3], 0 offen offset:4
	buffer_load_dword v61, v1, s[0:3], 0 offen offset:8
	;; [unrolled: 1-line block ×6, first 2 shown]
	buffer_load_dword v66, v2, s[0:3], 0 offen
	s_waitcnt vmcnt(7)
	buffer_store_dword v3, v2, s[0:3], 0 offen
	s_waitcnt vmcnt(6)
	buffer_store_dword v4, v2, s[0:3], 0 offen offset:4
	s_waitcnt vmcnt(5)
	buffer_store_dword v61, v2, s[0:3], 0 offen offset:8
	;; [unrolled: 2-line block ×6, first 2 shown]
	s_waitcnt vmcnt(0)
	buffer_store_dword v66, v1, s[0:3], 0 offen
.LBB91_190:
	global_load_dword v0, v0, s[12:13] offset:88
	s_waitcnt vmcnt(0)
	v_add_nc_u32_e32 v0, -1, v0
	v_cmp_eq_u32_e32 vcc_lo, 22, v0
	s_cbranch_vccnz .LBB91_192
; %bb.191:
	v_lshlrev_b32_e32 v0, 4, v0
	v_mov_b32_e32 v1, s17
	v_add_nc_u32_e32 v0, 16, v0
	s_clause 0x7
	buffer_load_dword v2, v0, s[0:3], 0 offen
	buffer_load_dword v3, v0, s[0:3], 0 offen offset:4
	buffer_load_dword v4, v0, s[0:3], 0 offen offset:8
	;; [unrolled: 1-line block ×6, first 2 shown]
	buffer_load_dword v65, v1, s[0:3], 0 offen
	s_waitcnt vmcnt(7)
	buffer_store_dword v2, v1, s[0:3], 0 offen
	s_waitcnt vmcnt(6)
	buffer_store_dword v3, v1, s[0:3], 0 offen offset:4
	s_waitcnt vmcnt(5)
	buffer_store_dword v4, v1, s[0:3], 0 offen offset:8
	;; [unrolled: 2-line block ×6, first 2 shown]
	s_waitcnt vmcnt(0)
	buffer_store_dword v65, v0, s[0:3], 0 offen
.LBB91_192:
	v_mov_b32_e32 v0, 0
	global_load_dword v1, v0, s[12:13] offset:84
	s_waitcnt vmcnt(0)
	v_add_nc_u32_e32 v1, -1, v1
	v_cmp_eq_u32_e32 vcc_lo, 21, v1
	s_cbranch_vccnz .LBB91_194
; %bb.193:
	v_lshlrev_b32_e32 v1, 4, v1
	v_mov_b32_e32 v2, s18
	v_add_nc_u32_e32 v1, 16, v1
	s_clause 0x7
	buffer_load_dword v3, v1, s[0:3], 0 offen
	buffer_load_dword v4, v1, s[0:3], 0 offen offset:4
	buffer_load_dword v61, v1, s[0:3], 0 offen offset:8
	;; [unrolled: 1-line block ×6, first 2 shown]
	buffer_load_dword v66, v2, s[0:3], 0 offen
	s_waitcnt vmcnt(7)
	buffer_store_dword v3, v2, s[0:3], 0 offen
	s_waitcnt vmcnt(6)
	buffer_store_dword v4, v2, s[0:3], 0 offen offset:4
	s_waitcnt vmcnt(5)
	buffer_store_dword v61, v2, s[0:3], 0 offen offset:8
	;; [unrolled: 2-line block ×6, first 2 shown]
	s_waitcnt vmcnt(0)
	buffer_store_dword v66, v1, s[0:3], 0 offen
.LBB91_194:
	global_load_dword v0, v0, s[12:13] offset:80
	s_waitcnt vmcnt(0)
	v_add_nc_u32_e32 v0, -1, v0
	v_cmp_eq_u32_e32 vcc_lo, 20, v0
	s_cbranch_vccnz .LBB91_196
; %bb.195:
	v_lshlrev_b32_e32 v0, 4, v0
	v_mov_b32_e32 v1, s19
	v_add_nc_u32_e32 v0, 16, v0
	s_clause 0x7
	buffer_load_dword v2, v0, s[0:3], 0 offen
	buffer_load_dword v3, v0, s[0:3], 0 offen offset:4
	buffer_load_dword v4, v0, s[0:3], 0 offen offset:8
	;; [unrolled: 1-line block ×6, first 2 shown]
	buffer_load_dword v65, v1, s[0:3], 0 offen
	s_waitcnt vmcnt(7)
	buffer_store_dword v2, v1, s[0:3], 0 offen
	s_waitcnt vmcnt(6)
	buffer_store_dword v3, v1, s[0:3], 0 offen offset:4
	s_waitcnt vmcnt(5)
	buffer_store_dword v4, v1, s[0:3], 0 offen offset:8
	;; [unrolled: 2-line block ×6, first 2 shown]
	s_waitcnt vmcnt(0)
	buffer_store_dword v65, v0, s[0:3], 0 offen
.LBB91_196:
	v_mov_b32_e32 v0, 0
	global_load_dword v1, v0, s[12:13] offset:76
	s_waitcnt vmcnt(0)
	v_add_nc_u32_e32 v1, -1, v1
	v_cmp_eq_u32_e32 vcc_lo, 19, v1
	s_cbranch_vccnz .LBB91_198
; %bb.197:
	v_lshlrev_b32_e32 v1, 4, v1
	v_mov_b32_e32 v2, s20
	v_add_nc_u32_e32 v1, 16, v1
	s_clause 0x7
	buffer_load_dword v3, v1, s[0:3], 0 offen
	buffer_load_dword v4, v1, s[0:3], 0 offen offset:4
	buffer_load_dword v61, v1, s[0:3], 0 offen offset:8
	;; [unrolled: 1-line block ×6, first 2 shown]
	buffer_load_dword v66, v2, s[0:3], 0 offen
	s_waitcnt vmcnt(7)
	buffer_store_dword v3, v2, s[0:3], 0 offen
	s_waitcnt vmcnt(6)
	buffer_store_dword v4, v2, s[0:3], 0 offen offset:4
	s_waitcnt vmcnt(5)
	buffer_store_dword v61, v2, s[0:3], 0 offen offset:8
	;; [unrolled: 2-line block ×6, first 2 shown]
	s_waitcnt vmcnt(0)
	buffer_store_dword v66, v1, s[0:3], 0 offen
.LBB91_198:
	global_load_dword v0, v0, s[12:13] offset:72
	s_waitcnt vmcnt(0)
	v_add_nc_u32_e32 v0, -1, v0
	v_cmp_eq_u32_e32 vcc_lo, 18, v0
	s_cbranch_vccnz .LBB91_200
; %bb.199:
	v_lshlrev_b32_e32 v0, 4, v0
	v_mov_b32_e32 v1, s21
	v_add_nc_u32_e32 v0, 16, v0
	s_clause 0x7
	buffer_load_dword v2, v0, s[0:3], 0 offen
	buffer_load_dword v3, v0, s[0:3], 0 offen offset:4
	buffer_load_dword v4, v0, s[0:3], 0 offen offset:8
	;; [unrolled: 1-line block ×6, first 2 shown]
	buffer_load_dword v65, v1, s[0:3], 0 offen
	s_waitcnt vmcnt(7)
	buffer_store_dword v2, v1, s[0:3], 0 offen
	s_waitcnt vmcnt(6)
	buffer_store_dword v3, v1, s[0:3], 0 offen offset:4
	s_waitcnt vmcnt(5)
	buffer_store_dword v4, v1, s[0:3], 0 offen offset:8
	;; [unrolled: 2-line block ×6, first 2 shown]
	s_waitcnt vmcnt(0)
	buffer_store_dword v65, v0, s[0:3], 0 offen
.LBB91_200:
	v_mov_b32_e32 v0, 0
	global_load_dword v1, v0, s[12:13] offset:68
	s_waitcnt vmcnt(0)
	v_add_nc_u32_e32 v1, -1, v1
	v_cmp_eq_u32_e32 vcc_lo, 17, v1
	s_cbranch_vccnz .LBB91_202
; %bb.201:
	v_lshlrev_b32_e32 v1, 4, v1
	v_mov_b32_e32 v2, s22
	v_add_nc_u32_e32 v1, 16, v1
	s_clause 0x7
	buffer_load_dword v3, v1, s[0:3], 0 offen
	buffer_load_dword v4, v1, s[0:3], 0 offen offset:4
	buffer_load_dword v61, v1, s[0:3], 0 offen offset:8
	;; [unrolled: 1-line block ×6, first 2 shown]
	buffer_load_dword v66, v2, s[0:3], 0 offen
	s_waitcnt vmcnt(7)
	buffer_store_dword v3, v2, s[0:3], 0 offen
	s_waitcnt vmcnt(6)
	buffer_store_dword v4, v2, s[0:3], 0 offen offset:4
	s_waitcnt vmcnt(5)
	buffer_store_dword v61, v2, s[0:3], 0 offen offset:8
	s_waitcnt vmcnt(4)
	buffer_store_dword v62, v2, s[0:3], 0 offen offset:12
	s_waitcnt vmcnt(3)
	buffer_store_dword v63, v1, s[0:3], 0 offen offset:12
	s_waitcnt vmcnt(2)
	buffer_store_dword v64, v1, s[0:3], 0 offen offset:8
	s_waitcnt vmcnt(1)
	buffer_store_dword v65, v1, s[0:3], 0 offen offset:4
	s_waitcnt vmcnt(0)
	buffer_store_dword v66, v1, s[0:3], 0 offen
.LBB91_202:
	global_load_dword v0, v0, s[12:13] offset:64
	s_waitcnt vmcnt(0)
	v_add_nc_u32_e32 v0, -1, v0
	v_cmp_eq_u32_e32 vcc_lo, 16, v0
	s_cbranch_vccnz .LBB91_204
; %bb.203:
	v_lshlrev_b32_e32 v0, 4, v0
	v_mov_b32_e32 v1, s23
	v_add_nc_u32_e32 v0, 16, v0
	s_clause 0x7
	buffer_load_dword v2, v0, s[0:3], 0 offen
	buffer_load_dword v3, v0, s[0:3], 0 offen offset:4
	buffer_load_dword v4, v0, s[0:3], 0 offen offset:8
	;; [unrolled: 1-line block ×6, first 2 shown]
	buffer_load_dword v65, v1, s[0:3], 0 offen
	s_waitcnt vmcnt(7)
	buffer_store_dword v2, v1, s[0:3], 0 offen
	s_waitcnt vmcnt(6)
	buffer_store_dword v3, v1, s[0:3], 0 offen offset:4
	s_waitcnt vmcnt(5)
	buffer_store_dword v4, v1, s[0:3], 0 offen offset:8
	;; [unrolled: 2-line block ×6, first 2 shown]
	s_waitcnt vmcnt(0)
	buffer_store_dword v65, v0, s[0:3], 0 offen
.LBB91_204:
	v_mov_b32_e32 v0, 0
	global_load_dword v1, v0, s[12:13] offset:60
	s_waitcnt vmcnt(0)
	v_add_nc_u32_e32 v1, -1, v1
	v_cmp_eq_u32_e32 vcc_lo, 15, v1
	s_cbranch_vccnz .LBB91_206
; %bb.205:
	v_lshlrev_b32_e32 v1, 4, v1
	v_mov_b32_e32 v2, s24
	v_add_nc_u32_e32 v1, 16, v1
	s_clause 0x7
	buffer_load_dword v3, v1, s[0:3], 0 offen
	buffer_load_dword v4, v1, s[0:3], 0 offen offset:4
	buffer_load_dword v61, v1, s[0:3], 0 offen offset:8
	;; [unrolled: 1-line block ×6, first 2 shown]
	buffer_load_dword v66, v2, s[0:3], 0 offen
	s_waitcnt vmcnt(7)
	buffer_store_dword v3, v2, s[0:3], 0 offen
	s_waitcnt vmcnt(6)
	buffer_store_dword v4, v2, s[0:3], 0 offen offset:4
	s_waitcnt vmcnt(5)
	buffer_store_dword v61, v2, s[0:3], 0 offen offset:8
	;; [unrolled: 2-line block ×6, first 2 shown]
	s_waitcnt vmcnt(0)
	buffer_store_dword v66, v1, s[0:3], 0 offen
.LBB91_206:
	global_load_dword v0, v0, s[12:13] offset:56
	s_waitcnt vmcnt(0)
	v_add_nc_u32_e32 v0, -1, v0
	v_cmp_eq_u32_e32 vcc_lo, 14, v0
	s_cbranch_vccnz .LBB91_208
; %bb.207:
	v_lshlrev_b32_e32 v0, 4, v0
	v_mov_b32_e32 v1, s25
	v_add_nc_u32_e32 v0, 16, v0
	s_clause 0x7
	buffer_load_dword v2, v0, s[0:3], 0 offen
	buffer_load_dword v3, v0, s[0:3], 0 offen offset:4
	buffer_load_dword v4, v0, s[0:3], 0 offen offset:8
	;; [unrolled: 1-line block ×6, first 2 shown]
	buffer_load_dword v65, v1, s[0:3], 0 offen
	s_waitcnt vmcnt(7)
	buffer_store_dword v2, v1, s[0:3], 0 offen
	s_waitcnt vmcnt(6)
	buffer_store_dword v3, v1, s[0:3], 0 offen offset:4
	s_waitcnt vmcnt(5)
	buffer_store_dword v4, v1, s[0:3], 0 offen offset:8
	s_waitcnt vmcnt(4)
	buffer_store_dword v61, v1, s[0:3], 0 offen offset:12
	s_waitcnt vmcnt(3)
	buffer_store_dword v62, v0, s[0:3], 0 offen offset:12
	s_waitcnt vmcnt(2)
	buffer_store_dword v63, v0, s[0:3], 0 offen offset:8
	s_waitcnt vmcnt(1)
	buffer_store_dword v64, v0, s[0:3], 0 offen offset:4
	s_waitcnt vmcnt(0)
	buffer_store_dword v65, v0, s[0:3], 0 offen
.LBB91_208:
	v_mov_b32_e32 v0, 0
	global_load_dword v1, v0, s[12:13] offset:52
	s_waitcnt vmcnt(0)
	v_add_nc_u32_e32 v1, -1, v1
	v_cmp_eq_u32_e32 vcc_lo, 13, v1
	s_cbranch_vccnz .LBB91_210
; %bb.209:
	v_lshlrev_b32_e32 v1, 4, v1
	v_mov_b32_e32 v2, s26
	v_add_nc_u32_e32 v1, 16, v1
	s_clause 0x7
	buffer_load_dword v3, v1, s[0:3], 0 offen
	buffer_load_dword v4, v1, s[0:3], 0 offen offset:4
	buffer_load_dword v61, v1, s[0:3], 0 offen offset:8
	;; [unrolled: 1-line block ×6, first 2 shown]
	buffer_load_dword v66, v2, s[0:3], 0 offen
	s_waitcnt vmcnt(7)
	buffer_store_dword v3, v2, s[0:3], 0 offen
	s_waitcnt vmcnt(6)
	buffer_store_dword v4, v2, s[0:3], 0 offen offset:4
	s_waitcnt vmcnt(5)
	buffer_store_dword v61, v2, s[0:3], 0 offen offset:8
	;; [unrolled: 2-line block ×6, first 2 shown]
	s_waitcnt vmcnt(0)
	buffer_store_dword v66, v1, s[0:3], 0 offen
.LBB91_210:
	global_load_dword v0, v0, s[12:13] offset:48
	s_waitcnt vmcnt(0)
	v_add_nc_u32_e32 v0, -1, v0
	v_cmp_eq_u32_e32 vcc_lo, 12, v0
	s_cbranch_vccnz .LBB91_212
; %bb.211:
	v_lshlrev_b32_e32 v0, 4, v0
	v_mov_b32_e32 v1, s27
	v_add_nc_u32_e32 v0, 16, v0
	s_clause 0x7
	buffer_load_dword v2, v0, s[0:3], 0 offen
	buffer_load_dword v3, v0, s[0:3], 0 offen offset:4
	buffer_load_dword v4, v0, s[0:3], 0 offen offset:8
	;; [unrolled: 1-line block ×6, first 2 shown]
	buffer_load_dword v65, v1, s[0:3], 0 offen
	s_waitcnt vmcnt(7)
	buffer_store_dword v2, v1, s[0:3], 0 offen
	s_waitcnt vmcnt(6)
	buffer_store_dword v3, v1, s[0:3], 0 offen offset:4
	s_waitcnt vmcnt(5)
	buffer_store_dword v4, v1, s[0:3], 0 offen offset:8
	;; [unrolled: 2-line block ×6, first 2 shown]
	s_waitcnt vmcnt(0)
	buffer_store_dword v65, v0, s[0:3], 0 offen
.LBB91_212:
	v_mov_b32_e32 v0, 0
	global_load_dword v1, v0, s[12:13] offset:44
	s_waitcnt vmcnt(0)
	v_add_nc_u32_e32 v1, -1, v1
	v_cmp_eq_u32_e32 vcc_lo, 11, v1
	s_cbranch_vccnz .LBB91_214
; %bb.213:
	v_lshlrev_b32_e32 v1, 4, v1
	v_mov_b32_e32 v2, s28
	v_add_nc_u32_e32 v1, 16, v1
	s_clause 0x7
	buffer_load_dword v3, v1, s[0:3], 0 offen
	buffer_load_dword v4, v1, s[0:3], 0 offen offset:4
	buffer_load_dword v61, v1, s[0:3], 0 offen offset:8
	;; [unrolled: 1-line block ×6, first 2 shown]
	buffer_load_dword v66, v2, s[0:3], 0 offen
	s_waitcnt vmcnt(7)
	buffer_store_dword v3, v2, s[0:3], 0 offen
	s_waitcnt vmcnt(6)
	buffer_store_dword v4, v2, s[0:3], 0 offen offset:4
	s_waitcnt vmcnt(5)
	buffer_store_dword v61, v2, s[0:3], 0 offen offset:8
	;; [unrolled: 2-line block ×6, first 2 shown]
	s_waitcnt vmcnt(0)
	buffer_store_dword v66, v1, s[0:3], 0 offen
.LBB91_214:
	global_load_dword v0, v0, s[12:13] offset:40
	s_waitcnt vmcnt(0)
	v_add_nc_u32_e32 v0, -1, v0
	v_cmp_eq_u32_e32 vcc_lo, 10, v0
	s_cbranch_vccnz .LBB91_216
; %bb.215:
	v_lshlrev_b32_e32 v0, 4, v0
	v_mov_b32_e32 v1, s29
	v_add_nc_u32_e32 v0, 16, v0
	s_clause 0x7
	buffer_load_dword v2, v0, s[0:3], 0 offen
	buffer_load_dword v3, v0, s[0:3], 0 offen offset:4
	buffer_load_dword v4, v0, s[0:3], 0 offen offset:8
	;; [unrolled: 1-line block ×6, first 2 shown]
	buffer_load_dword v65, v1, s[0:3], 0 offen
	s_waitcnt vmcnt(7)
	buffer_store_dword v2, v1, s[0:3], 0 offen
	s_waitcnt vmcnt(6)
	buffer_store_dword v3, v1, s[0:3], 0 offen offset:4
	s_waitcnt vmcnt(5)
	buffer_store_dword v4, v1, s[0:3], 0 offen offset:8
	;; [unrolled: 2-line block ×6, first 2 shown]
	s_waitcnt vmcnt(0)
	buffer_store_dword v65, v0, s[0:3], 0 offen
.LBB91_216:
	v_mov_b32_e32 v0, 0
	global_load_dword v1, v0, s[12:13] offset:36
	s_waitcnt vmcnt(0)
	v_add_nc_u32_e32 v1, -1, v1
	v_cmp_eq_u32_e32 vcc_lo, 9, v1
	s_cbranch_vccnz .LBB91_218
; %bb.217:
	v_lshlrev_b32_e32 v1, 4, v1
	v_mov_b32_e32 v2, s30
	v_add_nc_u32_e32 v1, 16, v1
	s_clause 0x7
	buffer_load_dword v3, v1, s[0:3], 0 offen
	buffer_load_dword v4, v1, s[0:3], 0 offen offset:4
	buffer_load_dword v61, v1, s[0:3], 0 offen offset:8
	;; [unrolled: 1-line block ×6, first 2 shown]
	buffer_load_dword v66, v2, s[0:3], 0 offen
	s_waitcnt vmcnt(7)
	buffer_store_dword v3, v2, s[0:3], 0 offen
	s_waitcnt vmcnt(6)
	buffer_store_dword v4, v2, s[0:3], 0 offen offset:4
	s_waitcnt vmcnt(5)
	buffer_store_dword v61, v2, s[0:3], 0 offen offset:8
	s_waitcnt vmcnt(4)
	buffer_store_dword v62, v2, s[0:3], 0 offen offset:12
	s_waitcnt vmcnt(3)
	buffer_store_dword v63, v1, s[0:3], 0 offen offset:12
	s_waitcnt vmcnt(2)
	buffer_store_dword v64, v1, s[0:3], 0 offen offset:8
	s_waitcnt vmcnt(1)
	buffer_store_dword v65, v1, s[0:3], 0 offen offset:4
	s_waitcnt vmcnt(0)
	buffer_store_dword v66, v1, s[0:3], 0 offen
.LBB91_218:
	global_load_dword v0, v0, s[12:13] offset:32
	s_waitcnt vmcnt(0)
	v_add_nc_u32_e32 v0, -1, v0
	v_cmp_eq_u32_e32 vcc_lo, 8, v0
	s_cbranch_vccnz .LBB91_220
; %bb.219:
	v_lshlrev_b32_e32 v0, 4, v0
	v_mov_b32_e32 v1, s31
	v_add_nc_u32_e32 v0, 16, v0
	s_clause 0x7
	buffer_load_dword v2, v0, s[0:3], 0 offen
	buffer_load_dword v3, v0, s[0:3], 0 offen offset:4
	buffer_load_dword v4, v0, s[0:3], 0 offen offset:8
	;; [unrolled: 1-line block ×6, first 2 shown]
	buffer_load_dword v65, v1, s[0:3], 0 offen
	s_waitcnt vmcnt(7)
	buffer_store_dword v2, v1, s[0:3], 0 offen
	s_waitcnt vmcnt(6)
	buffer_store_dword v3, v1, s[0:3], 0 offen offset:4
	s_waitcnt vmcnt(5)
	buffer_store_dword v4, v1, s[0:3], 0 offen offset:8
	s_waitcnt vmcnt(4)
	buffer_store_dword v61, v1, s[0:3], 0 offen offset:12
	s_waitcnt vmcnt(3)
	buffer_store_dword v62, v0, s[0:3], 0 offen offset:12
	s_waitcnt vmcnt(2)
	buffer_store_dword v63, v0, s[0:3], 0 offen offset:8
	s_waitcnt vmcnt(1)
	buffer_store_dword v64, v0, s[0:3], 0 offen offset:4
	s_waitcnt vmcnt(0)
	buffer_store_dword v65, v0, s[0:3], 0 offen
.LBB91_220:
	v_mov_b32_e32 v0, 0
	global_load_dword v1, v0, s[12:13] offset:28
	s_waitcnt vmcnt(0)
	v_add_nc_u32_e32 v1, -1, v1
	v_cmp_eq_u32_e32 vcc_lo, 7, v1
	s_cbranch_vccnz .LBB91_222
; %bb.221:
	v_lshlrev_b32_e32 v1, 4, v1
	v_mov_b32_e32 v2, s33
	v_add_nc_u32_e32 v1, 16, v1
	s_clause 0x7
	buffer_load_dword v3, v1, s[0:3], 0 offen
	buffer_load_dword v4, v1, s[0:3], 0 offen offset:4
	buffer_load_dword v61, v1, s[0:3], 0 offen offset:8
	;; [unrolled: 1-line block ×6, first 2 shown]
	buffer_load_dword v66, v2, s[0:3], 0 offen
	s_waitcnt vmcnt(7)
	buffer_store_dword v3, v2, s[0:3], 0 offen
	s_waitcnt vmcnt(6)
	buffer_store_dword v4, v2, s[0:3], 0 offen offset:4
	s_waitcnt vmcnt(5)
	buffer_store_dword v61, v2, s[0:3], 0 offen offset:8
	;; [unrolled: 2-line block ×6, first 2 shown]
	s_waitcnt vmcnt(0)
	buffer_store_dword v66, v1, s[0:3], 0 offen
.LBB91_222:
	global_load_dword v0, v0, s[12:13] offset:24
	s_waitcnt vmcnt(0)
	v_add_nc_u32_e32 v0, -1, v0
	v_cmp_eq_u32_e32 vcc_lo, 6, v0
	s_cbranch_vccnz .LBB91_224
; %bb.223:
	v_lshlrev_b32_e32 v0, 4, v0
	v_mov_b32_e32 v1, s34
	v_add_nc_u32_e32 v0, 16, v0
	s_clause 0x7
	buffer_load_dword v2, v0, s[0:3], 0 offen
	buffer_load_dword v3, v0, s[0:3], 0 offen offset:4
	buffer_load_dword v4, v0, s[0:3], 0 offen offset:8
	buffer_load_dword v61, v0, s[0:3], 0 offen offset:12
	buffer_load_dword v62, v1, s[0:3], 0 offen offset:12
	buffer_load_dword v63, v1, s[0:3], 0 offen offset:8
	buffer_load_dword v64, v1, s[0:3], 0 offen offset:4
	buffer_load_dword v65, v1, s[0:3], 0 offen
	s_waitcnt vmcnt(7)
	buffer_store_dword v2, v1, s[0:3], 0 offen
	s_waitcnt vmcnt(6)
	buffer_store_dword v3, v1, s[0:3], 0 offen offset:4
	s_waitcnt vmcnt(5)
	buffer_store_dword v4, v1, s[0:3], 0 offen offset:8
	s_waitcnt vmcnt(4)
	buffer_store_dword v61, v1, s[0:3], 0 offen offset:12
	s_waitcnt vmcnt(3)
	buffer_store_dword v62, v0, s[0:3], 0 offen offset:12
	s_waitcnt vmcnt(2)
	buffer_store_dword v63, v0, s[0:3], 0 offen offset:8
	s_waitcnt vmcnt(1)
	buffer_store_dword v64, v0, s[0:3], 0 offen offset:4
	s_waitcnt vmcnt(0)
	buffer_store_dword v65, v0, s[0:3], 0 offen
.LBB91_224:
	v_mov_b32_e32 v0, 0
	global_load_dword v1, v0, s[12:13] offset:20
	s_waitcnt vmcnt(0)
	v_add_nc_u32_e32 v1, -1, v1
	v_cmp_eq_u32_e32 vcc_lo, 5, v1
	s_cbranch_vccnz .LBB91_226
; %bb.225:
	v_lshlrev_b32_e32 v1, 4, v1
	v_mov_b32_e32 v2, s35
	v_add_nc_u32_e32 v1, 16, v1
	s_clause 0x7
	buffer_load_dword v3, v1, s[0:3], 0 offen
	buffer_load_dword v4, v1, s[0:3], 0 offen offset:4
	buffer_load_dword v61, v1, s[0:3], 0 offen offset:8
	buffer_load_dword v62, v1, s[0:3], 0 offen offset:12
	buffer_load_dword v63, v2, s[0:3], 0 offen offset:12
	buffer_load_dword v64, v2, s[0:3], 0 offen offset:8
	buffer_load_dword v65, v2, s[0:3], 0 offen offset:4
	buffer_load_dword v66, v2, s[0:3], 0 offen
	s_waitcnt vmcnt(7)
	buffer_store_dword v3, v2, s[0:3], 0 offen
	s_waitcnt vmcnt(6)
	buffer_store_dword v4, v2, s[0:3], 0 offen offset:4
	s_waitcnt vmcnt(5)
	buffer_store_dword v61, v2, s[0:3], 0 offen offset:8
	;; [unrolled: 2-line block ×6, first 2 shown]
	s_waitcnt vmcnt(0)
	buffer_store_dword v66, v1, s[0:3], 0 offen
.LBB91_226:
	global_load_dword v0, v0, s[12:13] offset:16
	s_waitcnt vmcnt(0)
	v_add_nc_u32_e32 v0, -1, v0
	v_cmp_eq_u32_e32 vcc_lo, 4, v0
	s_cbranch_vccnz .LBB91_228
; %bb.227:
	v_lshlrev_b32_e32 v0, 4, v0
	v_mov_b32_e32 v1, s36
	v_add_nc_u32_e32 v0, 16, v0
	s_clause 0x7
	buffer_load_dword v2, v0, s[0:3], 0 offen
	buffer_load_dword v3, v0, s[0:3], 0 offen offset:4
	buffer_load_dword v4, v0, s[0:3], 0 offen offset:8
	;; [unrolled: 1-line block ×6, first 2 shown]
	buffer_load_dword v65, v1, s[0:3], 0 offen
	s_waitcnt vmcnt(7)
	buffer_store_dword v2, v1, s[0:3], 0 offen
	s_waitcnt vmcnt(6)
	buffer_store_dword v3, v1, s[0:3], 0 offen offset:4
	s_waitcnt vmcnt(5)
	buffer_store_dword v4, v1, s[0:3], 0 offen offset:8
	s_waitcnt vmcnt(4)
	buffer_store_dword v61, v1, s[0:3], 0 offen offset:12
	s_waitcnt vmcnt(3)
	buffer_store_dword v62, v0, s[0:3], 0 offen offset:12
	s_waitcnt vmcnt(2)
	buffer_store_dword v63, v0, s[0:3], 0 offen offset:8
	s_waitcnt vmcnt(1)
	buffer_store_dword v64, v0, s[0:3], 0 offen offset:4
	s_waitcnt vmcnt(0)
	buffer_store_dword v65, v0, s[0:3], 0 offen
.LBB91_228:
	v_mov_b32_e32 v0, 0
	global_load_dword v1, v0, s[12:13] offset:12
	s_waitcnt vmcnt(0)
	v_add_nc_u32_e32 v1, -1, v1
	v_cmp_eq_u32_e32 vcc_lo, 3, v1
	s_cbranch_vccnz .LBB91_230
; %bb.229:
	v_lshlrev_b32_e32 v1, 4, v1
	v_mov_b32_e32 v2, s37
	v_add_nc_u32_e32 v1, 16, v1
	s_clause 0x7
	buffer_load_dword v3, v1, s[0:3], 0 offen
	buffer_load_dword v4, v1, s[0:3], 0 offen offset:4
	buffer_load_dword v61, v1, s[0:3], 0 offen offset:8
	;; [unrolled: 1-line block ×6, first 2 shown]
	buffer_load_dword v66, v2, s[0:3], 0 offen
	s_waitcnt vmcnt(7)
	buffer_store_dword v3, v2, s[0:3], 0 offen
	s_waitcnt vmcnt(6)
	buffer_store_dword v4, v2, s[0:3], 0 offen offset:4
	s_waitcnt vmcnt(5)
	buffer_store_dword v61, v2, s[0:3], 0 offen offset:8
	;; [unrolled: 2-line block ×6, first 2 shown]
	s_waitcnt vmcnt(0)
	buffer_store_dword v66, v1, s[0:3], 0 offen
.LBB91_230:
	global_load_dword v0, v0, s[12:13] offset:8
	s_waitcnt vmcnt(0)
	v_add_nc_u32_e32 v0, -1, v0
	v_cmp_eq_u32_e32 vcc_lo, 2, v0
	s_cbranch_vccnz .LBB91_232
; %bb.231:
	v_lshlrev_b32_e32 v0, 4, v0
	v_mov_b32_e32 v1, s38
	v_add_nc_u32_e32 v0, 16, v0
	s_clause 0x7
	buffer_load_dword v2, v0, s[0:3], 0 offen
	buffer_load_dword v3, v0, s[0:3], 0 offen offset:4
	buffer_load_dword v4, v0, s[0:3], 0 offen offset:8
	;; [unrolled: 1-line block ×6, first 2 shown]
	buffer_load_dword v65, v1, s[0:3], 0 offen
	s_waitcnt vmcnt(7)
	buffer_store_dword v2, v1, s[0:3], 0 offen
	s_waitcnt vmcnt(6)
	buffer_store_dword v3, v1, s[0:3], 0 offen offset:4
	s_waitcnt vmcnt(5)
	buffer_store_dword v4, v1, s[0:3], 0 offen offset:8
	;; [unrolled: 2-line block ×6, first 2 shown]
	s_waitcnt vmcnt(0)
	buffer_store_dword v65, v0, s[0:3], 0 offen
.LBB91_232:
	v_mov_b32_e32 v0, 0
	global_load_dword v1, v0, s[12:13] offset:4
	s_waitcnt vmcnt(0)
	v_add_nc_u32_e32 v1, -1, v1
	v_cmp_eq_u32_e32 vcc_lo, 1, v1
	s_cbranch_vccnz .LBB91_234
; %bb.233:
	v_lshlrev_b32_e32 v1, 4, v1
	v_mov_b32_e32 v2, s40
	v_add_nc_u32_e32 v1, 16, v1
	s_clause 0x7
	buffer_load_dword v3, v1, s[0:3], 0 offen
	buffer_load_dword v4, v1, s[0:3], 0 offen offset:4
	buffer_load_dword v61, v1, s[0:3], 0 offen offset:8
	;; [unrolled: 1-line block ×6, first 2 shown]
	buffer_load_dword v66, v2, s[0:3], 0 offen
	s_waitcnt vmcnt(7)
	buffer_store_dword v3, v2, s[0:3], 0 offen
	s_waitcnt vmcnt(6)
	buffer_store_dword v4, v2, s[0:3], 0 offen offset:4
	s_waitcnt vmcnt(5)
	buffer_store_dword v61, v2, s[0:3], 0 offen offset:8
	;; [unrolled: 2-line block ×6, first 2 shown]
	s_waitcnt vmcnt(0)
	buffer_store_dword v66, v1, s[0:3], 0 offen
.LBB91_234:
	global_load_dword v0, v0, s[12:13]
	s_waitcnt vmcnt(0)
	v_add_nc_u32_e32 v0, -1, v0
	v_cmp_eq_u32_e32 vcc_lo, 0, v0
	s_cbranch_vccnz .LBB91_236
; %bb.235:
	v_lshlrev_b32_e32 v0, 4, v0
	v_add_nc_u32_e32 v0, 16, v0
	s_clause 0x7
	buffer_load_dword v1, v0, s[0:3], 0 offen
	buffer_load_dword v2, v0, s[0:3], 0 offen offset:4
	buffer_load_dword v3, v0, s[0:3], 0 offen offset:8
	buffer_load_dword v4, v0, s[0:3], 0 offen offset:12
	buffer_load_dword v61, off, s[0:3], 0 offset:28
	buffer_load_dword v62, off, s[0:3], 0 offset:24
	;; [unrolled: 1-line block ×4, first 2 shown]
	s_waitcnt vmcnt(7)
	buffer_store_dword v1, off, s[0:3], 0 offset:16
	s_waitcnt vmcnt(6)
	buffer_store_dword v2, off, s[0:3], 0 offset:20
	;; [unrolled: 2-line block ×4, first 2 shown]
	s_waitcnt vmcnt(3)
	buffer_store_dword v61, v0, s[0:3], 0 offen offset:12
	s_waitcnt vmcnt(2)
	buffer_store_dword v62, v0, s[0:3], 0 offen offset:8
	s_waitcnt vmcnt(1)
	buffer_store_dword v63, v0, s[0:3], 0 offen offset:4
	s_waitcnt vmcnt(0)
	buffer_store_dword v64, v0, s[0:3], 0 offen
.LBB91_236:
	s_clause 0x3
	buffer_load_dword v0, off, s[0:3], 0 offset:16
	buffer_load_dword v1, off, s[0:3], 0 offset:20
	;; [unrolled: 1-line block ×4, first 2 shown]
	v_mov_b32_e32 v4, s40
	s_waitcnt vmcnt(0)
	flat_store_dwordx4 v[5:6], v[0:3]
	s_clause 0x3
	buffer_load_dword v0, v4, s[0:3], 0 offen
	buffer_load_dword v1, v4, s[0:3], 0 offen offset:4
	buffer_load_dword v2, v4, s[0:3], 0 offen offset:8
	buffer_load_dword v3, v4, s[0:3], 0 offen offset:12
	v_mov_b32_e32 v4, s38
	s_waitcnt vmcnt(0)
	flat_store_dwordx4 v[57:58], v[0:3]
	s_clause 0x3
	buffer_load_dword v0, v4, s[0:3], 0 offen
	buffer_load_dword v1, v4, s[0:3], 0 offen offset:4
	buffer_load_dword v2, v4, s[0:3], 0 offen offset:8
	buffer_load_dword v3, v4, s[0:3], 0 offen offset:12
	v_mov_b32_e32 v4, s37
	s_waitcnt vmcnt(0)
	flat_store_dwordx4 v[55:56], v[0:3]
	s_clause 0x3
	buffer_load_dword v0, v4, s[0:3], 0 offen
	buffer_load_dword v1, v4, s[0:3], 0 offen offset:4
	buffer_load_dword v2, v4, s[0:3], 0 offen offset:8
	buffer_load_dword v3, v4, s[0:3], 0 offen offset:12
	v_mov_b32_e32 v4, s36
	s_waitcnt vmcnt(0)
	flat_store_dwordx4 v[53:54], v[0:3]
	s_clause 0x3
	buffer_load_dword v0, v4, s[0:3], 0 offen
	buffer_load_dword v1, v4, s[0:3], 0 offen offset:4
	buffer_load_dword v2, v4, s[0:3], 0 offen offset:8
	buffer_load_dword v3, v4, s[0:3], 0 offen offset:12
	v_mov_b32_e32 v4, s35
	s_waitcnt vmcnt(0)
	flat_store_dwordx4 v[51:52], v[0:3]
	s_clause 0x3
	buffer_load_dword v0, v4, s[0:3], 0 offen
	buffer_load_dword v1, v4, s[0:3], 0 offen offset:4
	buffer_load_dword v2, v4, s[0:3], 0 offen offset:8
	buffer_load_dword v3, v4, s[0:3], 0 offen offset:12
	v_mov_b32_e32 v4, s34
	s_waitcnt vmcnt(0)
	flat_store_dwordx4 v[49:50], v[0:3]
	s_clause 0x3
	buffer_load_dword v0, v4, s[0:3], 0 offen
	buffer_load_dword v1, v4, s[0:3], 0 offen offset:4
	buffer_load_dword v2, v4, s[0:3], 0 offen offset:8
	buffer_load_dword v3, v4, s[0:3], 0 offen offset:12
	v_mov_b32_e32 v4, s33
	s_waitcnt vmcnt(0)
	flat_store_dwordx4 v[47:48], v[0:3]
	s_clause 0x3
	buffer_load_dword v0, v4, s[0:3], 0 offen
	buffer_load_dword v1, v4, s[0:3], 0 offen offset:4
	buffer_load_dword v2, v4, s[0:3], 0 offen offset:8
	buffer_load_dword v3, v4, s[0:3], 0 offen offset:12
	v_mov_b32_e32 v4, s31
	s_waitcnt vmcnt(0)
	flat_store_dwordx4 v[45:46], v[0:3]
	s_clause 0x3
	buffer_load_dword v0, v4, s[0:3], 0 offen
	buffer_load_dword v1, v4, s[0:3], 0 offen offset:4
	buffer_load_dword v2, v4, s[0:3], 0 offen offset:8
	buffer_load_dword v3, v4, s[0:3], 0 offen offset:12
	v_mov_b32_e32 v4, s30
	s_waitcnt vmcnt(0)
	flat_store_dwordx4 v[43:44], v[0:3]
	s_clause 0x3
	buffer_load_dword v0, v4, s[0:3], 0 offen
	buffer_load_dword v1, v4, s[0:3], 0 offen offset:4
	buffer_load_dword v2, v4, s[0:3], 0 offen offset:8
	buffer_load_dword v3, v4, s[0:3], 0 offen offset:12
	v_mov_b32_e32 v4, s29
	s_waitcnt vmcnt(0)
	flat_store_dwordx4 v[41:42], v[0:3]
	s_clause 0x3
	buffer_load_dword v0, v4, s[0:3], 0 offen
	buffer_load_dword v1, v4, s[0:3], 0 offen offset:4
	buffer_load_dword v2, v4, s[0:3], 0 offen offset:8
	buffer_load_dword v3, v4, s[0:3], 0 offen offset:12
	v_mov_b32_e32 v4, s28
	s_waitcnt vmcnt(0)
	flat_store_dwordx4 v[39:40], v[0:3]
	s_clause 0x3
	buffer_load_dword v0, v4, s[0:3], 0 offen
	buffer_load_dword v1, v4, s[0:3], 0 offen offset:4
	buffer_load_dword v2, v4, s[0:3], 0 offen offset:8
	buffer_load_dword v3, v4, s[0:3], 0 offen offset:12
	v_mov_b32_e32 v4, s27
	s_waitcnt vmcnt(0)
	flat_store_dwordx4 v[37:38], v[0:3]
	s_clause 0x3
	buffer_load_dword v0, v4, s[0:3], 0 offen
	buffer_load_dword v1, v4, s[0:3], 0 offen offset:4
	buffer_load_dword v2, v4, s[0:3], 0 offen offset:8
	buffer_load_dword v3, v4, s[0:3], 0 offen offset:12
	v_mov_b32_e32 v4, s26
	s_waitcnt vmcnt(0)
	flat_store_dwordx4 v[33:34], v[0:3]
	s_clause 0x3
	buffer_load_dword v0, v4, s[0:3], 0 offen
	buffer_load_dword v1, v4, s[0:3], 0 offen offset:4
	buffer_load_dword v2, v4, s[0:3], 0 offen offset:8
	buffer_load_dword v3, v4, s[0:3], 0 offen offset:12
	v_mov_b32_e32 v4, s25
	s_waitcnt vmcnt(0)
	flat_store_dwordx4 v[31:32], v[0:3]
	s_clause 0x3
	buffer_load_dword v0, v4, s[0:3], 0 offen
	buffer_load_dword v1, v4, s[0:3], 0 offen offset:4
	buffer_load_dword v2, v4, s[0:3], 0 offen offset:8
	buffer_load_dword v3, v4, s[0:3], 0 offen offset:12
	v_mov_b32_e32 v4, s24
	s_waitcnt vmcnt(0)
	flat_store_dwordx4 v[29:30], v[0:3]
	s_clause 0x3
	buffer_load_dword v0, v4, s[0:3], 0 offen
	buffer_load_dword v1, v4, s[0:3], 0 offen offset:4
	buffer_load_dword v2, v4, s[0:3], 0 offen offset:8
	buffer_load_dword v3, v4, s[0:3], 0 offen offset:12
	v_mov_b32_e32 v4, s23
	s_waitcnt vmcnt(0)
	flat_store_dwordx4 v[27:28], v[0:3]
	s_clause 0x3
	buffer_load_dword v0, v4, s[0:3], 0 offen
	buffer_load_dword v1, v4, s[0:3], 0 offen offset:4
	buffer_load_dword v2, v4, s[0:3], 0 offen offset:8
	buffer_load_dword v3, v4, s[0:3], 0 offen offset:12
	v_mov_b32_e32 v4, s22
	s_waitcnt vmcnt(0)
	flat_store_dwordx4 v[25:26], v[0:3]
	s_clause 0x3
	buffer_load_dword v0, v4, s[0:3], 0 offen
	buffer_load_dword v1, v4, s[0:3], 0 offen offset:4
	buffer_load_dword v2, v4, s[0:3], 0 offen offset:8
	buffer_load_dword v3, v4, s[0:3], 0 offen offset:12
	v_mov_b32_e32 v4, s21
	s_waitcnt vmcnt(0)
	flat_store_dwordx4 v[23:24], v[0:3]
	s_clause 0x3
	buffer_load_dword v0, v4, s[0:3], 0 offen
	buffer_load_dword v1, v4, s[0:3], 0 offen offset:4
	buffer_load_dword v2, v4, s[0:3], 0 offen offset:8
	buffer_load_dword v3, v4, s[0:3], 0 offen offset:12
	v_mov_b32_e32 v4, s20
	s_waitcnt vmcnt(0)
	flat_store_dwordx4 v[21:22], v[0:3]
	s_clause 0x3
	buffer_load_dword v0, v4, s[0:3], 0 offen
	buffer_load_dword v1, v4, s[0:3], 0 offen offset:4
	buffer_load_dword v2, v4, s[0:3], 0 offen offset:8
	buffer_load_dword v3, v4, s[0:3], 0 offen offset:12
	v_mov_b32_e32 v4, s19
	s_waitcnt vmcnt(0)
	flat_store_dwordx4 v[19:20], v[0:3]
	s_clause 0x3
	buffer_load_dword v0, v4, s[0:3], 0 offen
	buffer_load_dword v1, v4, s[0:3], 0 offen offset:4
	buffer_load_dword v2, v4, s[0:3], 0 offen offset:8
	buffer_load_dword v3, v4, s[0:3], 0 offen offset:12
	v_mov_b32_e32 v4, s18
	s_waitcnt vmcnt(0)
	flat_store_dwordx4 v[17:18], v[0:3]
	s_clause 0x3
	buffer_load_dword v0, v4, s[0:3], 0 offen
	buffer_load_dword v1, v4, s[0:3], 0 offen offset:4
	buffer_load_dword v2, v4, s[0:3], 0 offen offset:8
	buffer_load_dword v3, v4, s[0:3], 0 offen offset:12
	v_mov_b32_e32 v4, s17
	s_waitcnt vmcnt(0)
	flat_store_dwordx4 v[15:16], v[0:3]
	s_clause 0x3
	buffer_load_dword v0, v4, s[0:3], 0 offen
	buffer_load_dword v1, v4, s[0:3], 0 offen offset:4
	buffer_load_dword v2, v4, s[0:3], 0 offen offset:8
	buffer_load_dword v3, v4, s[0:3], 0 offen offset:12
	v_mov_b32_e32 v4, s16
	s_waitcnt vmcnt(0)
	flat_store_dwordx4 v[13:14], v[0:3]
	s_clause 0x3
	buffer_load_dword v0, v4, s[0:3], 0 offen
	buffer_load_dword v1, v4, s[0:3], 0 offen offset:4
	buffer_load_dword v2, v4, s[0:3], 0 offen offset:8
	buffer_load_dword v3, v4, s[0:3], 0 offen offset:12
	v_mov_b32_e32 v4, s15
	s_waitcnt vmcnt(0)
	flat_store_dwordx4 v[11:12], v[0:3]
	s_clause 0x3
	buffer_load_dword v0, v4, s[0:3], 0 offen
	buffer_load_dword v1, v4, s[0:3], 0 offen offset:4
	buffer_load_dword v2, v4, s[0:3], 0 offen offset:8
	buffer_load_dword v3, v4, s[0:3], 0 offen offset:12
	v_mov_b32_e32 v4, s14
	s_waitcnt vmcnt(0)
	flat_store_dwordx4 v[9:10], v[0:3]
	s_clause 0x3
	buffer_load_dword v0, v4, s[0:3], 0 offen
	buffer_load_dword v1, v4, s[0:3], 0 offen offset:4
	buffer_load_dword v2, v4, s[0:3], 0 offen offset:8
	buffer_load_dword v3, v4, s[0:3], 0 offen offset:12
	v_mov_b32_e32 v4, s9
	s_waitcnt vmcnt(0)
	flat_store_dwordx4 v[7:8], v[0:3]
	s_clause 0x3
	buffer_load_dword v0, v4, s[0:3], 0 offen
	buffer_load_dword v1, v4, s[0:3], 0 offen offset:4
	buffer_load_dword v2, v4, s[0:3], 0 offen offset:8
	buffer_load_dword v3, v4, s[0:3], 0 offen offset:12
	v_mov_b32_e32 v4, s8
	s_waitcnt vmcnt(0)
	flat_store_dwordx4 v[35:36], v[0:3]
	s_clause 0x3
	buffer_load_dword v0, v4, s[0:3], 0 offen
	buffer_load_dword v1, v4, s[0:3], 0 offen offset:4
	buffer_load_dword v2, v4, s[0:3], 0 offen offset:8
	buffer_load_dword v3, v4, s[0:3], 0 offen offset:12
	s_waitcnt vmcnt(0)
	flat_store_dwordx4 v[59:60], v[0:3]
	s_endpgm
	.section	.rodata,"a",@progbits
	.p2align	6, 0x0
	.amdhsa_kernel _ZN9rocsolver6v33100L18getri_kernel_smallILi28E19rocblas_complex_numIdEPKPS3_EEvT1_iilPiilS8_bb
		.amdhsa_group_segment_fixed_size 904
		.amdhsa_private_segment_fixed_size 480
		.amdhsa_kernarg_size 60
		.amdhsa_user_sgpr_count 6
		.amdhsa_user_sgpr_private_segment_buffer 1
		.amdhsa_user_sgpr_dispatch_ptr 0
		.amdhsa_user_sgpr_queue_ptr 0
		.amdhsa_user_sgpr_kernarg_segment_ptr 1
		.amdhsa_user_sgpr_dispatch_id 0
		.amdhsa_user_sgpr_flat_scratch_init 0
		.amdhsa_user_sgpr_private_segment_size 0
		.amdhsa_wavefront_size32 1
		.amdhsa_uses_dynamic_stack 0
		.amdhsa_system_sgpr_private_segment_wavefront_offset 1
		.amdhsa_system_sgpr_workgroup_id_x 1
		.amdhsa_system_sgpr_workgroup_id_y 0
		.amdhsa_system_sgpr_workgroup_id_z 0
		.amdhsa_system_sgpr_workgroup_info 0
		.amdhsa_system_vgpr_workitem_id 0
		.amdhsa_next_free_vgpr 150
		.amdhsa_next_free_sgpr 53
		.amdhsa_reserve_vcc 1
		.amdhsa_reserve_flat_scratch 0
		.amdhsa_float_round_mode_32 0
		.amdhsa_float_round_mode_16_64 0
		.amdhsa_float_denorm_mode_32 3
		.amdhsa_float_denorm_mode_16_64 3
		.amdhsa_dx10_clamp 1
		.amdhsa_ieee_mode 1
		.amdhsa_fp16_overflow 0
		.amdhsa_workgroup_processor_mode 1
		.amdhsa_memory_ordered 1
		.amdhsa_forward_progress 1
		.amdhsa_shared_vgpr_count 0
		.amdhsa_exception_fp_ieee_invalid_op 0
		.amdhsa_exception_fp_denorm_src 0
		.amdhsa_exception_fp_ieee_div_zero 0
		.amdhsa_exception_fp_ieee_overflow 0
		.amdhsa_exception_fp_ieee_underflow 0
		.amdhsa_exception_fp_ieee_inexact 0
		.amdhsa_exception_int_div_zero 0
	.end_amdhsa_kernel
	.section	.text._ZN9rocsolver6v33100L18getri_kernel_smallILi28E19rocblas_complex_numIdEPKPS3_EEvT1_iilPiilS8_bb,"axG",@progbits,_ZN9rocsolver6v33100L18getri_kernel_smallILi28E19rocblas_complex_numIdEPKPS3_EEvT1_iilPiilS8_bb,comdat
.Lfunc_end91:
	.size	_ZN9rocsolver6v33100L18getri_kernel_smallILi28E19rocblas_complex_numIdEPKPS3_EEvT1_iilPiilS8_bb, .Lfunc_end91-_ZN9rocsolver6v33100L18getri_kernel_smallILi28E19rocblas_complex_numIdEPKPS3_EEvT1_iilPiilS8_bb
                                        ; -- End function
	.set _ZN9rocsolver6v33100L18getri_kernel_smallILi28E19rocblas_complex_numIdEPKPS3_EEvT1_iilPiilS8_bb.num_vgpr, 150
	.set _ZN9rocsolver6v33100L18getri_kernel_smallILi28E19rocblas_complex_numIdEPKPS3_EEvT1_iilPiilS8_bb.num_agpr, 0
	.set _ZN9rocsolver6v33100L18getri_kernel_smallILi28E19rocblas_complex_numIdEPKPS3_EEvT1_iilPiilS8_bb.numbered_sgpr, 53
	.set _ZN9rocsolver6v33100L18getri_kernel_smallILi28E19rocblas_complex_numIdEPKPS3_EEvT1_iilPiilS8_bb.num_named_barrier, 0
	.set _ZN9rocsolver6v33100L18getri_kernel_smallILi28E19rocblas_complex_numIdEPKPS3_EEvT1_iilPiilS8_bb.private_seg_size, 480
	.set _ZN9rocsolver6v33100L18getri_kernel_smallILi28E19rocblas_complex_numIdEPKPS3_EEvT1_iilPiilS8_bb.uses_vcc, 1
	.set _ZN9rocsolver6v33100L18getri_kernel_smallILi28E19rocblas_complex_numIdEPKPS3_EEvT1_iilPiilS8_bb.uses_flat_scratch, 0
	.set _ZN9rocsolver6v33100L18getri_kernel_smallILi28E19rocblas_complex_numIdEPKPS3_EEvT1_iilPiilS8_bb.has_dyn_sized_stack, 0
	.set _ZN9rocsolver6v33100L18getri_kernel_smallILi28E19rocblas_complex_numIdEPKPS3_EEvT1_iilPiilS8_bb.has_recursion, 0
	.set _ZN9rocsolver6v33100L18getri_kernel_smallILi28E19rocblas_complex_numIdEPKPS3_EEvT1_iilPiilS8_bb.has_indirect_call, 0
	.section	.AMDGPU.csdata,"",@progbits
; Kernel info:
; codeLenInByte = 63180
; TotalNumSgprs: 55
; NumVgprs: 150
; ScratchSize: 480
; MemoryBound: 0
; FloatMode: 240
; IeeeMode: 1
; LDSByteSize: 904 bytes/workgroup (compile time only)
; SGPRBlocks: 0
; VGPRBlocks: 18
; NumSGPRsForWavesPerEU: 55
; NumVGPRsForWavesPerEU: 150
; Occupancy: 6
; WaveLimiterHint : 1
; COMPUTE_PGM_RSRC2:SCRATCH_EN: 1
; COMPUTE_PGM_RSRC2:USER_SGPR: 6
; COMPUTE_PGM_RSRC2:TRAP_HANDLER: 0
; COMPUTE_PGM_RSRC2:TGID_X_EN: 1
; COMPUTE_PGM_RSRC2:TGID_Y_EN: 0
; COMPUTE_PGM_RSRC2:TGID_Z_EN: 0
; COMPUTE_PGM_RSRC2:TIDIG_COMP_CNT: 0
	.section	.text._ZN9rocsolver6v33100L18getri_kernel_smallILi29E19rocblas_complex_numIdEPKPS3_EEvT1_iilPiilS8_bb,"axG",@progbits,_ZN9rocsolver6v33100L18getri_kernel_smallILi29E19rocblas_complex_numIdEPKPS3_EEvT1_iilPiilS8_bb,comdat
	.globl	_ZN9rocsolver6v33100L18getri_kernel_smallILi29E19rocblas_complex_numIdEPKPS3_EEvT1_iilPiilS8_bb ; -- Begin function _ZN9rocsolver6v33100L18getri_kernel_smallILi29E19rocblas_complex_numIdEPKPS3_EEvT1_iilPiilS8_bb
	.p2align	8
	.type	_ZN9rocsolver6v33100L18getri_kernel_smallILi29E19rocblas_complex_numIdEPKPS3_EEvT1_iilPiilS8_bb,@function
_ZN9rocsolver6v33100L18getri_kernel_smallILi29E19rocblas_complex_numIdEPKPS3_EEvT1_iilPiilS8_bb: ; @_ZN9rocsolver6v33100L18getri_kernel_smallILi29E19rocblas_complex_numIdEPKPS3_EEvT1_iilPiilS8_bb
; %bb.0:
	s_add_u32 s0, s0, s7
	s_addc_u32 s1, s1, 0
	s_mov_b32 s7, exec_lo
	v_cmpx_gt_u32_e32 29, v0
	s_cbranch_execz .LBB92_130
; %bb.1:
	s_clause 0x2
	s_load_dword s16, s[4:5], 0x38
	s_load_dwordx2 s[12:13], s[4:5], 0x0
	s_load_dwordx4 s[8:11], s[4:5], 0x28
	s_waitcnt lgkmcnt(0)
	s_bitcmp1_b32 s16, 8
	s_cselect_b32 s41, -1, 0
	s_ashr_i32 s7, s6, 31
	s_lshl_b64 s[14:15], s[6:7], 3
	s_add_u32 s12, s12, s14
	s_addc_u32 s13, s13, s15
	s_load_dwordx2 s[14:15], s[12:13], 0x0
	s_bfe_u32 s12, s16, 0x10008
	s_cmp_eq_u32 s12, 0
                                        ; implicit-def: $sgpr12_sgpr13
	s_cbranch_scc1 .LBB92_3
; %bb.2:
	s_clause 0x1
	s_load_dword s12, s[4:5], 0x20
	s_load_dwordx2 s[16:17], s[4:5], 0x18
	s_mul_i32 s13, s8, s7
	s_mul_hi_u32 s18, s8, s6
	s_mul_i32 s9, s9, s6
	s_add_i32 s13, s18, s13
	s_mul_i32 s8, s8, s6
	s_add_i32 s9, s13, s9
	s_lshl_b64 s[8:9], s[8:9], 2
	s_waitcnt lgkmcnt(0)
	s_ashr_i32 s13, s12, 31
	s_add_u32 s16, s16, s8
	s_addc_u32 s17, s17, s9
	s_lshl_b64 s[8:9], s[12:13], 2
	s_add_u32 s12, s16, s8
	s_addc_u32 s13, s17, s9
.LBB92_3:
	s_clause 0x1
	s_load_dwordx2 s[8:9], s[4:5], 0x8
	s_load_dword s42, s[4:5], 0x38
	v_lshlrev_b32_e32 v69, 4, v0
	s_movk_i32 s16, 0xa0
	s_movk_i32 s17, 0xb0
	;; [unrolled: 1-line block ×17, first 2 shown]
	s_waitcnt lgkmcnt(0)
	s_ashr_i32 s5, s8, 31
	s_mov_b32 s4, s8
	v_add3_u32 v7, s9, s9, v0
	s_lshl_b64 s[4:5], s[4:5], 4
	s_movk_i32 s52, 0x1b0
	s_add_u32 s8, s14, s4
	s_addc_u32 s14, s15, s5
	v_add_co_u32 v5, s4, s8, v69
	v_add_co_ci_u32_e64 v6, null, s14, 0, s4
	s_mov_b32 s4, s9
	s_ashr_i32 s5, s9, 31
	v_ashrrev_i32_e32 v8, 31, v7
	flat_load_dwordx4 v[1:4], v[5:6]
	s_lshl_b64 s[4:5], s[4:5], 4
	s_movk_i32 s15, 0x90
	v_add_co_u32 v59, vcc_lo, v5, s4
	v_add_co_ci_u32_e64 v60, null, s5, v6, vcc_lo
	v_lshlrev_b64 v[8:9], 4, v[7:8]
	v_add_nc_u32_e32 v7, s9, v7
	s_movk_i32 s4, 0x50
	s_movk_i32 s53, 0x1c0
	s_add_i32 s36, s4, 16
	s_add_i32 s31, s15, 16
	v_add_co_u32 v57, vcc_lo, s8, v8
	v_add_co_ci_u32_e64 v58, null, s14, v9, vcc_lo
	v_ashrrev_i32_e32 v8, 31, v7
	s_add_i32 s30, s16, 16
	s_add_i32 s29, s17, 16
	;; [unrolled: 1-line block ×4, first 2 shown]
	v_lshlrev_b64 v[8:9], 4, v[7:8]
	v_add_nc_u32_e32 v7, s9, v7
	s_add_i32 s26, s20, 16
	s_add_i32 s25, s21, 16
	;; [unrolled: 1-line block ×4, first 2 shown]
	v_add_co_u32 v53, vcc_lo, s8, v8
	v_add_co_ci_u32_e64 v54, null, s14, v9, vcc_lo
	v_ashrrev_i32_e32 v8, 31, v7
	s_add_i32 s22, s43, 16
	s_add_i32 s21, s44, 16
	;; [unrolled: 1-line block ×4, first 2 shown]
	v_lshlrev_b64 v[8:9], 4, v[7:8]
	v_add_nc_u32_e32 v7, s9, v7
	s_add_i32 s18, s47, 16
	s_add_i32 s17, s48, 16
	;; [unrolled: 1-line block ×4, first 2 shown]
	v_add_co_u32 v51, vcc_lo, s8, v8
	v_add_co_ci_u32_e64 v52, null, s14, v9, vcc_lo
	v_ashrrev_i32_e32 v8, 31, v7
	s_mov_b32 s5, -1
	s_mov_b32 s40, 32
	s_mov_b32 s39, 48
	s_mov_b32 s38, 64
	v_lshlrev_b64 v[8:9], 4, v[7:8]
	v_add_nc_u32_e32 v7, s9, v7
	s_movk_i32 s37, 0x50
	s_waitcnt vmcnt(0) lgkmcnt(0)
	buffer_store_dword v4, off, s[0:3], 0 offset:28
	buffer_store_dword v3, off, s[0:3], 0 offset:24
	buffer_store_dword v2, off, s[0:3], 0 offset:20
	buffer_store_dword v1, off, s[0:3], 0 offset:16
	flat_load_dwordx4 v[1:4], v[59:60]
	v_add_co_u32 v49, vcc_lo, s8, v8
	v_add_co_ci_u32_e64 v50, null, s14, v9, vcc_lo
	v_ashrrev_i32_e32 v8, 31, v7
	s_waitcnt vmcnt(0) lgkmcnt(0)
	buffer_store_dword v4, off, s[0:3], 0 offset:44
	buffer_store_dword v3, off, s[0:3], 0 offset:40
	buffer_store_dword v2, off, s[0:3], 0 offset:36
	buffer_store_dword v1, off, s[0:3], 0 offset:32
	flat_load_dwordx4 v[1:4], v[57:58]
	v_lshlrev_b64 v[8:9], 4, v[7:8]
	v_add_nc_u32_e32 v7, s9, v7
	s_waitcnt vmcnt(0) lgkmcnt(0)
	buffer_store_dword v4, off, s[0:3], 0 offset:60
	buffer_store_dword v3, off, s[0:3], 0 offset:56
	buffer_store_dword v2, off, s[0:3], 0 offset:52
	buffer_store_dword v1, off, s[0:3], 0 offset:48
	flat_load_dwordx4 v[1:4], v[53:54]
	v_add_co_u32 v47, vcc_lo, s8, v8
	v_add_co_ci_u32_e64 v48, null, s14, v9, vcc_lo
	v_ashrrev_i32_e32 v8, 31, v7
	s_waitcnt vmcnt(0) lgkmcnt(0)
	buffer_store_dword v4, off, s[0:3], 0 offset:76
	buffer_store_dword v3, off, s[0:3], 0 offset:72
	buffer_store_dword v2, off, s[0:3], 0 offset:68
	buffer_store_dword v1, off, s[0:3], 0 offset:64
	flat_load_dwordx4 v[1:4], v[51:52]
	v_lshlrev_b64 v[8:9], 4, v[7:8]
	v_add_nc_u32_e32 v7, s9, v7
	;; [unrolled: 17-line block ×4, first 2 shown]
	s_waitcnt vmcnt(0) lgkmcnt(0)
	buffer_store_dword v4, off, s[0:3], 0 offset:156
	buffer_store_dword v3, off, s[0:3], 0 offset:152
	;; [unrolled: 1-line block ×4, first 2 shown]
	v_add_co_u32 v41, vcc_lo, s8, v8
	v_add_co_ci_u32_e64 v42, null, s14, v9, vcc_lo
	v_ashrrev_i32_e32 v8, 31, v7
	flat_load_dwordx4 v[1:4], v[41:42]
	s_waitcnt vmcnt(0) lgkmcnt(0)
	buffer_store_dword v4, off, s[0:3], 0 offset:172
	buffer_store_dword v3, off, s[0:3], 0 offset:168
	buffer_store_dword v2, off, s[0:3], 0 offset:164
	buffer_store_dword v1, off, s[0:3], 0 offset:160
	v_lshlrev_b64 v[8:9], 4, v[7:8]
	v_add_nc_u32_e32 v7, s9, v7
	v_add_co_u32 v39, vcc_lo, s8, v8
	v_add_co_ci_u32_e64 v40, null, s14, v9, vcc_lo
	v_ashrrev_i32_e32 v8, 31, v7
	flat_load_dwordx4 v[1:4], v[39:40]
	s_waitcnt vmcnt(0) lgkmcnt(0)
	buffer_store_dword v4, off, s[0:3], 0 offset:188
	buffer_store_dword v3, off, s[0:3], 0 offset:184
	buffer_store_dword v2, off, s[0:3], 0 offset:180
	buffer_store_dword v1, off, s[0:3], 0 offset:176
	v_lshlrev_b64 v[8:9], 4, v[7:8]
	v_add_nc_u32_e32 v7, s9, v7
	;; [unrolled: 11-line block ×14, first 2 shown]
	v_add_co_u32 v11, vcc_lo, s8, v8
	v_add_co_ci_u32_e64 v12, null, s14, v9, vcc_lo
	v_ashrrev_i32_e32 v8, 31, v7
	v_add_nc_u32_e32 v35, s9, v7
	flat_load_dwordx4 v[1:4], v[11:12]
	s_waitcnt vmcnt(0) lgkmcnt(0)
	buffer_store_dword v4, off, s[0:3], 0 offset:396
	buffer_store_dword v3, off, s[0:3], 0 offset:392
	;; [unrolled: 1-line block ×4, first 2 shown]
	v_lshlrev_b64 v[9:10], 4, v[7:8]
	v_ashrrev_i32_e32 v36, 31, v35
	v_add_nc_u32_e32 v55, s9, v35
	v_add_co_u32 v9, vcc_lo, s8, v9
	v_add_co_ci_u32_e64 v10, null, s14, v10, vcc_lo
	v_lshlrev_b64 v[7:8], 4, v[35:36]
	v_ashrrev_i32_e32 v56, 31, v55
	v_add_nc_u32_e32 v61, s9, v55
	flat_load_dwordx4 v[1:4], v[9:10]
	s_waitcnt vmcnt(0) lgkmcnt(0)
	buffer_store_dword v4, off, s[0:3], 0 offset:412
	buffer_store_dword v3, off, s[0:3], 0 offset:408
	;; [unrolled: 1-line block ×4, first 2 shown]
	v_add_co_u32 v7, vcc_lo, s8, v7
	v_add_co_ci_u32_e64 v8, null, s14, v8, vcc_lo
	v_lshlrev_b64 v[35:36], 4, v[55:56]
	v_ashrrev_i32_e32 v62, 31, v61
	flat_load_dwordx4 v[1:4], v[7:8]
	s_waitcnt vmcnt(0) lgkmcnt(0)
	buffer_store_dword v4, off, s[0:3], 0 offset:428
	buffer_store_dword v3, off, s[0:3], 0 offset:424
	;; [unrolled: 1-line block ×4, first 2 shown]
	v_add_co_u32 v35, vcc_lo, s8, v35
	v_add_co_ci_u32_e64 v36, null, s14, v36, vcc_lo
	v_lshlrev_b64 v[55:56], 4, v[61:62]
	v_add_nc_u32_e32 v61, s9, v61
	s_movk_i32 s9, 0x70
	flat_load_dwordx4 v[1:4], v[35:36]
	s_add_i32 s34, s9, 16
	s_add_i32 s9, s52, 16
	v_add_co_u32 v55, vcc_lo, s8, v55
	v_add_co_ci_u32_e64 v56, null, s14, v56, vcc_lo
	v_ashrrev_i32_e32 v62, 31, v61
	s_waitcnt vmcnt(0) lgkmcnt(0)
	buffer_store_dword v4, off, s[0:3], 0 offset:444
	buffer_store_dword v3, off, s[0:3], 0 offset:440
	;; [unrolled: 1-line block ×4, first 2 shown]
	flat_load_dwordx4 v[1:4], v[55:56]
	v_lshlrev_b64 v[61:62], 4, v[61:62]
	s_waitcnt vmcnt(0) lgkmcnt(0)
	buffer_store_dword v4, off, s[0:3], 0 offset:460
	buffer_store_dword v3, off, s[0:3], 0 offset:456
	buffer_store_dword v2, off, s[0:3], 0 offset:452
	buffer_store_dword v1, off, s[0:3], 0 offset:448
	v_add_co_u32 v61, vcc_lo, s8, v61
	v_add_co_ci_u32_e64 v62, null, s14, v62, vcc_lo
	s_movk_i32 s8, 0x60
	s_movk_i32 s14, 0x80
	s_add_i32 s35, s8, 16
	flat_load_dwordx4 v[1:4], v[61:62]
	s_add_i32 s33, s14, 16
	s_add_i32 s14, s51, 16
	;; [unrolled: 1-line block ×3, first 2 shown]
	s_bitcmp0_b32 s42, 0
	s_waitcnt vmcnt(0) lgkmcnt(0)
	buffer_store_dword v4, off, s[0:3], 0 offset:476
	buffer_store_dword v3, off, s[0:3], 0 offset:472
	;; [unrolled: 1-line block ×4, first 2 shown]
	s_cbranch_scc1 .LBB92_128
; %bb.4:
	v_cmp_eq_u32_e64 s4, 0, v0
	s_and_saveexec_b32 s5, s4
; %bb.5:
	v_mov_b32_e32 v1, 0
	ds_write_b32 v1, v1 offset:928
; %bb.6:
	s_or_b32 exec_lo, exec_lo, s5
	v_lshl_add_u32 v70, v0, 4, 16
	s_waitcnt lgkmcnt(0)
	s_waitcnt_vscnt null, 0x0
	s_barrier
	buffer_gl0_inv
	s_clause 0x3
	buffer_load_dword v1, v70, s[0:3], 0 offen
	buffer_load_dword v2, v70, s[0:3], 0 offen offset:4
	buffer_load_dword v3, v70, s[0:3], 0 offen offset:8
	;; [unrolled: 1-line block ×3, first 2 shown]
	s_waitcnt vmcnt(2)
	v_cmp_eq_f64_e32 vcc_lo, 0, v[1:2]
	s_waitcnt vmcnt(0)
	v_cmp_eq_f64_e64 s5, 0, v[3:4]
	s_and_b32 s5, vcc_lo, s5
	s_and_saveexec_b32 s42, s5
	s_cbranch_execz .LBB92_10
; %bb.7:
	v_mov_b32_e32 v1, 0
	s_mov_b32 s43, 0
	ds_read_b32 v2, v1 offset:928
	s_waitcnt lgkmcnt(0)
	v_readfirstlane_b32 s5, v2
	v_add_nc_u32_e32 v2, 1, v0
	s_cmp_eq_u32 s5, 0
	v_cmp_gt_i32_e32 vcc_lo, s5, v2
	s_cselect_b32 s44, -1, 0
	s_or_b32 s44, s44, vcc_lo
	s_and_b32 exec_lo, exec_lo, s44
	s_cbranch_execz .LBB92_10
; %bb.8:
	v_mov_b32_e32 v3, s5
.LBB92_9:                               ; =>This Inner Loop Header: Depth=1
	ds_cmpst_rtn_b32 v3, v1, v3, v2 offset:928
	s_waitcnt lgkmcnt(0)
	v_cmp_ne_u32_e32 vcc_lo, 0, v3
	v_cmp_le_i32_e64 s5, v3, v2
	s_and_b32 s5, vcc_lo, s5
	s_and_b32 s5, exec_lo, s5
	s_or_b32 s43, s5, s43
	s_andn2_b32 exec_lo, exec_lo, s43
	s_cbranch_execnz .LBB92_9
.LBB92_10:
	s_or_b32 exec_lo, exec_lo, s42
	v_mov_b32_e32 v1, 0
	s_barrier
	buffer_gl0_inv
	ds_read_b32 v2, v1 offset:928
	s_and_saveexec_b32 s5, s4
	s_cbranch_execz .LBB92_12
; %bb.11:
	s_lshl_b64 s[42:43], s[6:7], 2
	s_add_u32 s42, s10, s42
	s_addc_u32 s43, s11, s43
	s_waitcnt lgkmcnt(0)
	global_store_dword v1, v2, s[42:43]
.LBB92_12:
	s_or_b32 exec_lo, exec_lo, s5
	s_waitcnt lgkmcnt(0)
	v_cmp_ne_u32_e32 vcc_lo, 0, v2
	s_mov_b32 s5, 0
	s_cbranch_vccnz .LBB92_128
; %bb.13:
	s_clause 0x3
	buffer_load_dword v65, v70, s[0:3], 0 offen
	buffer_load_dword v66, v70, s[0:3], 0 offen offset:4
	buffer_load_dword v67, v70, s[0:3], 0 offen offset:8
	;; [unrolled: 1-line block ×3, first 2 shown]
                                        ; implicit-def: $vgpr63_vgpr64
                                        ; implicit-def: $vgpr3_vgpr4
	s_waitcnt vmcnt(0)
	v_cmp_ngt_f64_e64 s5, |v[65:66]|, |v[67:68]|
	s_and_saveexec_b32 s42, s5
	s_xor_b32 s5, exec_lo, s42
	s_cbranch_execz .LBB92_15
; %bb.14:
	v_div_scale_f64 v[1:2], null, v[67:68], v[67:68], v[65:66]
	v_div_scale_f64 v[71:72], vcc_lo, v[65:66], v[67:68], v[65:66]
	v_rcp_f64_e32 v[3:4], v[1:2]
	v_fma_f64 v[63:64], -v[1:2], v[3:4], 1.0
	v_fma_f64 v[3:4], v[3:4], v[63:64], v[3:4]
	v_fma_f64 v[63:64], -v[1:2], v[3:4], 1.0
	v_fma_f64 v[3:4], v[3:4], v[63:64], v[3:4]
	v_mul_f64 v[63:64], v[71:72], v[3:4]
	v_fma_f64 v[1:2], -v[1:2], v[63:64], v[71:72]
	v_div_fmas_f64 v[1:2], v[1:2], v[3:4], v[63:64]
	v_div_fixup_f64 v[1:2], v[1:2], v[67:68], v[65:66]
	v_fma_f64 v[3:4], v[65:66], v[1:2], v[67:68]
	v_div_scale_f64 v[63:64], null, v[3:4], v[3:4], 1.0
	v_div_scale_f64 v[71:72], vcc_lo, 1.0, v[3:4], 1.0
	v_rcp_f64_e32 v[65:66], v[63:64]
	v_fma_f64 v[67:68], -v[63:64], v[65:66], 1.0
	v_fma_f64 v[65:66], v[65:66], v[67:68], v[65:66]
	v_fma_f64 v[67:68], -v[63:64], v[65:66], 1.0
	v_fma_f64 v[65:66], v[65:66], v[67:68], v[65:66]
	v_mul_f64 v[67:68], v[71:72], v[65:66]
	v_fma_f64 v[63:64], -v[63:64], v[67:68], v[71:72]
	v_div_fmas_f64 v[63:64], v[63:64], v[65:66], v[67:68]
                                        ; implicit-def: $vgpr65_vgpr66
                                        ; implicit-def: $vgpr67_vgpr68
	v_div_fixup_f64 v[3:4], v[63:64], v[3:4], 1.0
	v_mul_f64 v[63:64], v[1:2], v[3:4]
	v_xor_b32_e32 v4, 0x80000000, v4
	v_xor_b32_e32 v2, 0x80000000, v64
	v_mov_b32_e32 v1, v63
.LBB92_15:
	s_andn2_saveexec_b32 s5, s5
	s_cbranch_execz .LBB92_17
; %bb.16:
	v_div_scale_f64 v[1:2], null, v[65:66], v[65:66], v[67:68]
	v_div_scale_f64 v[71:72], vcc_lo, v[67:68], v[65:66], v[67:68]
	v_rcp_f64_e32 v[3:4], v[1:2]
	v_fma_f64 v[63:64], -v[1:2], v[3:4], 1.0
	v_fma_f64 v[3:4], v[3:4], v[63:64], v[3:4]
	v_fma_f64 v[63:64], -v[1:2], v[3:4], 1.0
	v_fma_f64 v[3:4], v[3:4], v[63:64], v[3:4]
	v_mul_f64 v[63:64], v[71:72], v[3:4]
	v_fma_f64 v[1:2], -v[1:2], v[63:64], v[71:72]
	v_div_fmas_f64 v[1:2], v[1:2], v[3:4], v[63:64]
	v_div_fixup_f64 v[1:2], v[1:2], v[65:66], v[67:68]
	v_fma_f64 v[3:4], v[67:68], v[1:2], v[65:66]
	v_div_scale_f64 v[63:64], null, v[3:4], v[3:4], 1.0
	v_rcp_f64_e32 v[65:66], v[63:64]
	v_fma_f64 v[67:68], -v[63:64], v[65:66], 1.0
	v_fma_f64 v[65:66], v[65:66], v[67:68], v[65:66]
	v_fma_f64 v[67:68], -v[63:64], v[65:66], 1.0
	v_fma_f64 v[65:66], v[65:66], v[67:68], v[65:66]
	v_div_scale_f64 v[67:68], vcc_lo, 1.0, v[3:4], 1.0
	v_mul_f64 v[71:72], v[67:68], v[65:66]
	v_fma_f64 v[63:64], -v[63:64], v[71:72], v[67:68]
	v_div_fmas_f64 v[63:64], v[63:64], v[65:66], v[71:72]
	v_div_fixup_f64 v[63:64], v[63:64], v[3:4], 1.0
	v_mul_f64 v[3:4], v[1:2], -v[63:64]
	v_xor_b32_e32 v2, 0x80000000, v64
	v_mov_b32_e32 v1, v63
.LBB92_17:
	s_or_b32 exec_lo, exec_lo, s5
	v_mov_b32_e32 v68, s40
	buffer_store_dword v64, v70, s[0:3], 0 offen offset:4
	buffer_store_dword v63, v70, s[0:3], 0 offen
	buffer_store_dword v4, v70, s[0:3], 0 offen offset:12
	buffer_store_dword v3, v70, s[0:3], 0 offen offset:8
	v_xor_b32_e32 v4, 0x80000000, v4
	v_add_nc_u32_e32 v63, 0x1d0, v69
	s_clause 0x3
	buffer_load_dword v67, v68, s[0:3], 0 offen offset:12
	buffer_load_dword v66, v68, s[0:3], 0 offen offset:8
	;; [unrolled: 1-line block ×3, first 2 shown]
	buffer_load_dword v64, v68, s[0:3], 0 offen
	ds_write_b128 v69, v[1:4]
	s_waitcnt vmcnt(0)
	ds_write_b128 v69, v[64:67] offset:464
	s_waitcnt lgkmcnt(0)
	s_waitcnt_vscnt null, 0x0
	s_barrier
	buffer_gl0_inv
	s_and_saveexec_b32 s5, s4
	s_cbranch_execz .LBB92_19
; %bb.18:
	s_clause 0x3
	buffer_load_dword v71, v70, s[0:3], 0 offen offset:8
	buffer_load_dword v72, v70, s[0:3], 0 offen offset:12
	buffer_load_dword v73, v70, s[0:3], 0 offen
	buffer_load_dword v74, v70, s[0:3], 0 offen offset:4
	ds_read_b128 v[1:4], v63
	v_mov_b32_e32 v64, 0
	ds_read_b128 v[64:67], v64 offset:16
	s_waitcnt vmcnt(2) lgkmcnt(1)
	v_mul_f64 v[75:76], v[1:2], v[71:72]
	v_mul_f64 v[71:72], v[3:4], v[71:72]
	s_waitcnt vmcnt(0)
	v_fma_f64 v[3:4], v[3:4], v[73:74], v[75:76]
	v_fma_f64 v[1:2], v[1:2], v[73:74], -v[71:72]
	v_add_f64 v[3:4], v[3:4], 0
	v_add_f64 v[1:2], v[1:2], 0
	s_waitcnt lgkmcnt(0)
	v_mul_f64 v[71:72], v[3:4], v[66:67]
	v_mul_f64 v[66:67], v[1:2], v[66:67]
	v_fma_f64 v[1:2], v[1:2], v[64:65], -v[71:72]
	v_fma_f64 v[3:4], v[3:4], v[64:65], v[66:67]
	buffer_store_dword v1, off, s[0:3], 0 offset:32
	buffer_store_dword v2, off, s[0:3], 0 offset:36
	;; [unrolled: 1-line block ×4, first 2 shown]
.LBB92_19:
	s_or_b32 exec_lo, exec_lo, s5
	v_mov_b32_e32 v4, s39
	s_waitcnt_vscnt null, 0x0
	s_barrier
	buffer_gl0_inv
	s_mov_b32 s5, exec_lo
	s_clause 0x3
	buffer_load_dword v1, v4, s[0:3], 0 offen
	buffer_load_dword v2, v4, s[0:3], 0 offen offset:4
	buffer_load_dword v3, v4, s[0:3], 0 offen offset:8
	;; [unrolled: 1-line block ×3, first 2 shown]
	s_waitcnt vmcnt(0)
	ds_write_b128 v63, v[1:4]
	s_waitcnt lgkmcnt(0)
	s_barrier
	buffer_gl0_inv
	v_cmpx_gt_u32_e32 2, v0
	s_cbranch_execz .LBB92_23
; %bb.20:
	s_clause 0x3
	buffer_load_dword v64, v70, s[0:3], 0 offen offset:8
	buffer_load_dword v65, v70, s[0:3], 0 offen offset:12
	buffer_load_dword v66, v70, s[0:3], 0 offen
	buffer_load_dword v67, v70, s[0:3], 0 offen offset:4
	ds_read_b128 v[1:4], v63
	s_waitcnt vmcnt(2) lgkmcnt(0)
	v_mul_f64 v[70:71], v[3:4], v[64:65]
	v_mul_f64 v[64:65], v[1:2], v[64:65]
	s_waitcnt vmcnt(0)
	v_fma_f64 v[1:2], v[1:2], v[66:67], -v[70:71]
	v_fma_f64 v[3:4], v[3:4], v[66:67], v[64:65]
	v_add_f64 v[1:2], v[1:2], 0
	v_add_f64 v[3:4], v[3:4], 0
	s_and_saveexec_b32 s42, s4
	s_cbranch_execz .LBB92_22
; %bb.21:
	s_clause 0x3
	buffer_load_dword v70, off, s[0:3], 0 offset:40
	buffer_load_dword v71, off, s[0:3], 0 offset:44
	;; [unrolled: 1-line block ×4, first 2 shown]
	v_mov_b32_e32 v64, 0
	ds_read_b128 v[64:67], v64 offset:480
	s_waitcnt vmcnt(2) lgkmcnt(0)
	v_mul_f64 v[74:75], v[64:65], v[70:71]
	v_mul_f64 v[70:71], v[66:67], v[70:71]
	s_waitcnt vmcnt(0)
	v_fma_f64 v[66:67], v[66:67], v[72:73], v[74:75]
	v_fma_f64 v[64:65], v[64:65], v[72:73], -v[70:71]
	v_add_f64 v[3:4], v[3:4], v[66:67]
	v_add_f64 v[1:2], v[1:2], v[64:65]
.LBB92_22:
	s_or_b32 exec_lo, exec_lo, s42
	v_mov_b32_e32 v64, 0
	ds_read_b128 v[64:67], v64 offset:32
	s_waitcnt lgkmcnt(0)
	v_mul_f64 v[70:71], v[3:4], v[66:67]
	v_mul_f64 v[66:67], v[1:2], v[66:67]
	v_fma_f64 v[1:2], v[1:2], v[64:65], -v[70:71]
	v_fma_f64 v[3:4], v[3:4], v[64:65], v[66:67]
	buffer_store_dword v2, off, s[0:3], 0 offset:52
	buffer_store_dword v1, off, s[0:3], 0 offset:48
	;; [unrolled: 1-line block ×4, first 2 shown]
.LBB92_23:
	s_or_b32 exec_lo, exec_lo, s5
	v_mov_b32_e32 v4, s38
	s_waitcnt_vscnt null, 0x0
	s_barrier
	buffer_gl0_inv
	v_add_nc_u32_e32 v64, -1, v0
	s_clause 0x3
	buffer_load_dword v1, v4, s[0:3], 0 offen
	buffer_load_dword v2, v4, s[0:3], 0 offen offset:4
	buffer_load_dword v3, v4, s[0:3], 0 offen offset:8
	buffer_load_dword v4, v4, s[0:3], 0 offen offset:12
	s_mov_b32 s4, exec_lo
	s_waitcnt vmcnt(0)
	ds_write_b128 v63, v[1:4]
	s_waitcnt lgkmcnt(0)
	s_barrier
	buffer_gl0_inv
	v_cmpx_gt_u32_e32 3, v0
	s_cbranch_execz .LBB92_27
; %bb.24:
	v_mov_b32_e32 v1, 0
	v_mov_b32_e32 v3, 0
	v_add_nc_u32_e32 v65, -1, v0
	v_add_nc_u32_e32 v66, 0x1d0, v69
	v_mov_b32_e32 v2, 0
	v_mov_b32_e32 v4, 0
	v_add_nc_u32_e32 v67, 16, v69
	s_mov_b32 s5, 0
	.p2align	6
.LBB92_25:                              ; =>This Inner Loop Header: Depth=1
	s_clause 0x3
	buffer_load_dword v74, v67, s[0:3], 0 offen offset:8
	buffer_load_dword v75, v67, s[0:3], 0 offen offset:12
	buffer_load_dword v76, v67, s[0:3], 0 offen
	buffer_load_dword v77, v67, s[0:3], 0 offen offset:4
	ds_read_b128 v[70:73], v66
	v_add_nc_u32_e32 v65, 1, v65
	v_add_nc_u32_e32 v66, 16, v66
	v_add_nc_u32_e32 v67, 16, v67
	v_cmp_lt_u32_e32 vcc_lo, 1, v65
	s_or_b32 s5, vcc_lo, s5
	s_waitcnt vmcnt(2) lgkmcnt(0)
	v_mul_f64 v[78:79], v[72:73], v[74:75]
	v_mul_f64 v[74:75], v[70:71], v[74:75]
	s_waitcnt vmcnt(0)
	v_fma_f64 v[70:71], v[70:71], v[76:77], -v[78:79]
	v_fma_f64 v[72:73], v[72:73], v[76:77], v[74:75]
	v_add_f64 v[3:4], v[3:4], v[70:71]
	v_add_f64 v[1:2], v[1:2], v[72:73]
	s_andn2_b32 exec_lo, exec_lo, s5
	s_cbranch_execnz .LBB92_25
; %bb.26:
	s_or_b32 exec_lo, exec_lo, s5
	v_mov_b32_e32 v65, 0
	ds_read_b128 v[65:68], v65 offset:48
	s_waitcnt lgkmcnt(0)
	v_mul_f64 v[70:71], v[1:2], v[67:68]
	v_mul_f64 v[67:68], v[3:4], v[67:68]
	v_fma_f64 v[3:4], v[3:4], v[65:66], -v[70:71]
	v_fma_f64 v[1:2], v[1:2], v[65:66], v[67:68]
	buffer_store_dword v4, off, s[0:3], 0 offset:68
	buffer_store_dword v3, off, s[0:3], 0 offset:64
	;; [unrolled: 1-line block ×4, first 2 shown]
.LBB92_27:
	s_or_b32 exec_lo, exec_lo, s4
	v_mov_b32_e32 v4, s37
	s_waitcnt_vscnt null, 0x0
	s_barrier
	buffer_gl0_inv
	s_mov_b32 s4, exec_lo
	s_clause 0x3
	buffer_load_dword v1, v4, s[0:3], 0 offen
	buffer_load_dword v2, v4, s[0:3], 0 offen offset:4
	buffer_load_dword v3, v4, s[0:3], 0 offen offset:8
	;; [unrolled: 1-line block ×3, first 2 shown]
	s_waitcnt vmcnt(0)
	ds_write_b128 v63, v[1:4]
	s_waitcnt lgkmcnt(0)
	s_barrier
	buffer_gl0_inv
	v_cmpx_gt_u32_e32 4, v0
	s_cbranch_execz .LBB92_31
; %bb.28:
	v_mov_b32_e32 v1, 0
	v_mov_b32_e32 v3, 0
	v_add_nc_u32_e32 v65, -1, v0
	v_add_nc_u32_e32 v66, 0x1d0, v69
	v_mov_b32_e32 v2, 0
	v_mov_b32_e32 v4, 0
	v_add_nc_u32_e32 v67, 16, v69
	s_mov_b32 s5, 0
	.p2align	6
.LBB92_29:                              ; =>This Inner Loop Header: Depth=1
	s_clause 0x3
	buffer_load_dword v74, v67, s[0:3], 0 offen offset:8
	buffer_load_dword v75, v67, s[0:3], 0 offen offset:12
	buffer_load_dword v76, v67, s[0:3], 0 offen
	buffer_load_dword v77, v67, s[0:3], 0 offen offset:4
	ds_read_b128 v[70:73], v66
	v_add_nc_u32_e32 v65, 1, v65
	v_add_nc_u32_e32 v66, 16, v66
	;; [unrolled: 1-line block ×3, first 2 shown]
	v_cmp_lt_u32_e32 vcc_lo, 2, v65
	s_or_b32 s5, vcc_lo, s5
	s_waitcnt vmcnt(2) lgkmcnt(0)
	v_mul_f64 v[78:79], v[72:73], v[74:75]
	v_mul_f64 v[74:75], v[70:71], v[74:75]
	s_waitcnt vmcnt(0)
	v_fma_f64 v[70:71], v[70:71], v[76:77], -v[78:79]
	v_fma_f64 v[72:73], v[72:73], v[76:77], v[74:75]
	v_add_f64 v[3:4], v[3:4], v[70:71]
	v_add_f64 v[1:2], v[1:2], v[72:73]
	s_andn2_b32 exec_lo, exec_lo, s5
	s_cbranch_execnz .LBB92_29
; %bb.30:
	s_or_b32 exec_lo, exec_lo, s5
	v_mov_b32_e32 v65, 0
	ds_read_b128 v[65:68], v65 offset:64
	s_waitcnt lgkmcnt(0)
	v_mul_f64 v[70:71], v[1:2], v[67:68]
	v_mul_f64 v[67:68], v[3:4], v[67:68]
	v_fma_f64 v[3:4], v[3:4], v[65:66], -v[70:71]
	v_fma_f64 v[1:2], v[1:2], v[65:66], v[67:68]
	buffer_store_dword v4, off, s[0:3], 0 offset:84
	buffer_store_dword v3, off, s[0:3], 0 offset:80
	buffer_store_dword v2, off, s[0:3], 0 offset:92
	buffer_store_dword v1, off, s[0:3], 0 offset:88
.LBB92_31:
	s_or_b32 exec_lo, exec_lo, s4
	v_mov_b32_e32 v4, s36
	s_waitcnt_vscnt null, 0x0
	s_barrier
	buffer_gl0_inv
	s_mov_b32 s4, exec_lo
	s_clause 0x3
	buffer_load_dword v1, v4, s[0:3], 0 offen
	buffer_load_dword v2, v4, s[0:3], 0 offen offset:4
	buffer_load_dword v3, v4, s[0:3], 0 offen offset:8
	;; [unrolled: 1-line block ×3, first 2 shown]
	s_waitcnt vmcnt(0)
	ds_write_b128 v63, v[1:4]
	s_waitcnt lgkmcnt(0)
	s_barrier
	buffer_gl0_inv
	v_cmpx_gt_u32_e32 5, v0
	s_cbranch_execz .LBB92_35
; %bb.32:
	v_mov_b32_e32 v1, 0
	v_mov_b32_e32 v3, 0
	v_add_nc_u32_e32 v65, -1, v0
	v_add_nc_u32_e32 v66, 0x1d0, v69
	v_mov_b32_e32 v2, 0
	v_mov_b32_e32 v4, 0
	v_add_nc_u32_e32 v67, 16, v69
	s_mov_b32 s5, 0
	.p2align	6
.LBB92_33:                              ; =>This Inner Loop Header: Depth=1
	s_clause 0x3
	buffer_load_dword v74, v67, s[0:3], 0 offen offset:8
	buffer_load_dword v75, v67, s[0:3], 0 offen offset:12
	buffer_load_dword v76, v67, s[0:3], 0 offen
	buffer_load_dword v77, v67, s[0:3], 0 offen offset:4
	ds_read_b128 v[70:73], v66
	v_add_nc_u32_e32 v65, 1, v65
	v_add_nc_u32_e32 v66, 16, v66
	v_add_nc_u32_e32 v67, 16, v67
	v_cmp_lt_u32_e32 vcc_lo, 3, v65
	s_or_b32 s5, vcc_lo, s5
	s_waitcnt vmcnt(2) lgkmcnt(0)
	v_mul_f64 v[78:79], v[72:73], v[74:75]
	v_mul_f64 v[74:75], v[70:71], v[74:75]
	s_waitcnt vmcnt(0)
	v_fma_f64 v[70:71], v[70:71], v[76:77], -v[78:79]
	v_fma_f64 v[72:73], v[72:73], v[76:77], v[74:75]
	v_add_f64 v[3:4], v[3:4], v[70:71]
	v_add_f64 v[1:2], v[1:2], v[72:73]
	s_andn2_b32 exec_lo, exec_lo, s5
	s_cbranch_execnz .LBB92_33
; %bb.34:
	s_or_b32 exec_lo, exec_lo, s5
	v_mov_b32_e32 v65, 0
	ds_read_b128 v[65:68], v65 offset:80
	s_waitcnt lgkmcnt(0)
	v_mul_f64 v[70:71], v[1:2], v[67:68]
	v_mul_f64 v[67:68], v[3:4], v[67:68]
	v_fma_f64 v[3:4], v[3:4], v[65:66], -v[70:71]
	v_fma_f64 v[1:2], v[1:2], v[65:66], v[67:68]
	buffer_store_dword v4, off, s[0:3], 0 offset:100
	buffer_store_dword v3, off, s[0:3], 0 offset:96
	;; [unrolled: 1-line block ×4, first 2 shown]
.LBB92_35:
	s_or_b32 exec_lo, exec_lo, s4
	v_mov_b32_e32 v4, s35
	s_waitcnt_vscnt null, 0x0
	s_barrier
	buffer_gl0_inv
	s_mov_b32 s4, exec_lo
	s_clause 0x3
	buffer_load_dword v1, v4, s[0:3], 0 offen
	buffer_load_dword v2, v4, s[0:3], 0 offen offset:4
	buffer_load_dword v3, v4, s[0:3], 0 offen offset:8
	;; [unrolled: 1-line block ×3, first 2 shown]
	s_waitcnt vmcnt(0)
	ds_write_b128 v63, v[1:4]
	s_waitcnt lgkmcnt(0)
	s_barrier
	buffer_gl0_inv
	v_cmpx_gt_u32_e32 6, v0
	s_cbranch_execz .LBB92_39
; %bb.36:
	v_mov_b32_e32 v1, 0
	v_mov_b32_e32 v3, 0
	v_add_nc_u32_e32 v65, -1, v0
	v_add_nc_u32_e32 v66, 0x1d0, v69
	v_mov_b32_e32 v2, 0
	v_mov_b32_e32 v4, 0
	v_add_nc_u32_e32 v67, 16, v69
	s_mov_b32 s5, 0
	.p2align	6
.LBB92_37:                              ; =>This Inner Loop Header: Depth=1
	s_clause 0x3
	buffer_load_dword v74, v67, s[0:3], 0 offen offset:8
	buffer_load_dword v75, v67, s[0:3], 0 offen offset:12
	buffer_load_dword v76, v67, s[0:3], 0 offen
	buffer_load_dword v77, v67, s[0:3], 0 offen offset:4
	ds_read_b128 v[70:73], v66
	v_add_nc_u32_e32 v65, 1, v65
	v_add_nc_u32_e32 v66, 16, v66
	;; [unrolled: 1-line block ×3, first 2 shown]
	v_cmp_lt_u32_e32 vcc_lo, 4, v65
	s_or_b32 s5, vcc_lo, s5
	s_waitcnt vmcnt(2) lgkmcnt(0)
	v_mul_f64 v[78:79], v[72:73], v[74:75]
	v_mul_f64 v[74:75], v[70:71], v[74:75]
	s_waitcnt vmcnt(0)
	v_fma_f64 v[70:71], v[70:71], v[76:77], -v[78:79]
	v_fma_f64 v[72:73], v[72:73], v[76:77], v[74:75]
	v_add_f64 v[3:4], v[3:4], v[70:71]
	v_add_f64 v[1:2], v[1:2], v[72:73]
	s_andn2_b32 exec_lo, exec_lo, s5
	s_cbranch_execnz .LBB92_37
; %bb.38:
	s_or_b32 exec_lo, exec_lo, s5
	v_mov_b32_e32 v65, 0
	ds_read_b128 v[65:68], v65 offset:96
	s_waitcnt lgkmcnt(0)
	v_mul_f64 v[70:71], v[1:2], v[67:68]
	v_mul_f64 v[67:68], v[3:4], v[67:68]
	v_fma_f64 v[3:4], v[3:4], v[65:66], -v[70:71]
	v_fma_f64 v[1:2], v[1:2], v[65:66], v[67:68]
	buffer_store_dword v4, off, s[0:3], 0 offset:116
	buffer_store_dword v3, off, s[0:3], 0 offset:112
	;; [unrolled: 1-line block ×4, first 2 shown]
.LBB92_39:
	s_or_b32 exec_lo, exec_lo, s4
	v_mov_b32_e32 v4, s34
	s_waitcnt_vscnt null, 0x0
	s_barrier
	buffer_gl0_inv
	s_mov_b32 s4, exec_lo
	s_clause 0x3
	buffer_load_dword v1, v4, s[0:3], 0 offen
	buffer_load_dword v2, v4, s[0:3], 0 offen offset:4
	buffer_load_dword v3, v4, s[0:3], 0 offen offset:8
	;; [unrolled: 1-line block ×3, first 2 shown]
	s_waitcnt vmcnt(0)
	ds_write_b128 v63, v[1:4]
	s_waitcnt lgkmcnt(0)
	s_barrier
	buffer_gl0_inv
	v_cmpx_gt_u32_e32 7, v0
	s_cbranch_execz .LBB92_43
; %bb.40:
	v_mov_b32_e32 v1, 0
	v_mov_b32_e32 v3, 0
	v_add_nc_u32_e32 v65, -1, v0
	v_add_nc_u32_e32 v66, 0x1d0, v69
	v_mov_b32_e32 v2, 0
	v_mov_b32_e32 v4, 0
	v_add_nc_u32_e32 v67, 16, v69
	s_mov_b32 s5, 0
	.p2align	6
.LBB92_41:                              ; =>This Inner Loop Header: Depth=1
	s_clause 0x3
	buffer_load_dword v74, v67, s[0:3], 0 offen offset:8
	buffer_load_dword v75, v67, s[0:3], 0 offen offset:12
	buffer_load_dword v76, v67, s[0:3], 0 offen
	buffer_load_dword v77, v67, s[0:3], 0 offen offset:4
	ds_read_b128 v[70:73], v66
	v_add_nc_u32_e32 v65, 1, v65
	v_add_nc_u32_e32 v66, 16, v66
	v_add_nc_u32_e32 v67, 16, v67
	v_cmp_lt_u32_e32 vcc_lo, 5, v65
	s_or_b32 s5, vcc_lo, s5
	s_waitcnt vmcnt(2) lgkmcnt(0)
	v_mul_f64 v[78:79], v[72:73], v[74:75]
	v_mul_f64 v[74:75], v[70:71], v[74:75]
	s_waitcnt vmcnt(0)
	v_fma_f64 v[70:71], v[70:71], v[76:77], -v[78:79]
	v_fma_f64 v[72:73], v[72:73], v[76:77], v[74:75]
	v_add_f64 v[3:4], v[3:4], v[70:71]
	v_add_f64 v[1:2], v[1:2], v[72:73]
	s_andn2_b32 exec_lo, exec_lo, s5
	s_cbranch_execnz .LBB92_41
; %bb.42:
	s_or_b32 exec_lo, exec_lo, s5
	v_mov_b32_e32 v65, 0
	ds_read_b128 v[65:68], v65 offset:112
	s_waitcnt lgkmcnt(0)
	v_mul_f64 v[70:71], v[1:2], v[67:68]
	v_mul_f64 v[67:68], v[3:4], v[67:68]
	v_fma_f64 v[3:4], v[3:4], v[65:66], -v[70:71]
	v_fma_f64 v[1:2], v[1:2], v[65:66], v[67:68]
	buffer_store_dword v4, off, s[0:3], 0 offset:132
	buffer_store_dword v3, off, s[0:3], 0 offset:128
	;; [unrolled: 1-line block ×4, first 2 shown]
.LBB92_43:
	s_or_b32 exec_lo, exec_lo, s4
	v_mov_b32_e32 v4, s33
	s_waitcnt_vscnt null, 0x0
	s_barrier
	buffer_gl0_inv
	s_mov_b32 s4, exec_lo
	s_clause 0x3
	buffer_load_dword v1, v4, s[0:3], 0 offen
	buffer_load_dword v2, v4, s[0:3], 0 offen offset:4
	buffer_load_dword v3, v4, s[0:3], 0 offen offset:8
	buffer_load_dword v4, v4, s[0:3], 0 offen offset:12
	s_waitcnt vmcnt(0)
	ds_write_b128 v63, v[1:4]
	s_waitcnt lgkmcnt(0)
	s_barrier
	buffer_gl0_inv
	v_cmpx_gt_u32_e32 8, v0
	s_cbranch_execz .LBB92_47
; %bb.44:
	v_mov_b32_e32 v1, 0
	v_mov_b32_e32 v3, 0
	v_add_nc_u32_e32 v65, -1, v0
	v_add_nc_u32_e32 v66, 0x1d0, v69
	v_mov_b32_e32 v2, 0
	v_mov_b32_e32 v4, 0
	v_add_nc_u32_e32 v67, 16, v69
	s_mov_b32 s5, 0
	.p2align	6
.LBB92_45:                              ; =>This Inner Loop Header: Depth=1
	s_clause 0x3
	buffer_load_dword v74, v67, s[0:3], 0 offen offset:8
	buffer_load_dword v75, v67, s[0:3], 0 offen offset:12
	buffer_load_dword v76, v67, s[0:3], 0 offen
	buffer_load_dword v77, v67, s[0:3], 0 offen offset:4
	ds_read_b128 v[70:73], v66
	v_add_nc_u32_e32 v65, 1, v65
	v_add_nc_u32_e32 v66, 16, v66
	;; [unrolled: 1-line block ×3, first 2 shown]
	v_cmp_lt_u32_e32 vcc_lo, 6, v65
	s_or_b32 s5, vcc_lo, s5
	s_waitcnt vmcnt(2) lgkmcnt(0)
	v_mul_f64 v[78:79], v[72:73], v[74:75]
	v_mul_f64 v[74:75], v[70:71], v[74:75]
	s_waitcnt vmcnt(0)
	v_fma_f64 v[70:71], v[70:71], v[76:77], -v[78:79]
	v_fma_f64 v[72:73], v[72:73], v[76:77], v[74:75]
	v_add_f64 v[3:4], v[3:4], v[70:71]
	v_add_f64 v[1:2], v[1:2], v[72:73]
	s_andn2_b32 exec_lo, exec_lo, s5
	s_cbranch_execnz .LBB92_45
; %bb.46:
	s_or_b32 exec_lo, exec_lo, s5
	v_mov_b32_e32 v65, 0
	ds_read_b128 v[65:68], v65 offset:128
	s_waitcnt lgkmcnt(0)
	v_mul_f64 v[70:71], v[1:2], v[67:68]
	v_mul_f64 v[67:68], v[3:4], v[67:68]
	v_fma_f64 v[3:4], v[3:4], v[65:66], -v[70:71]
	v_fma_f64 v[1:2], v[1:2], v[65:66], v[67:68]
	buffer_store_dword v4, off, s[0:3], 0 offset:148
	buffer_store_dword v3, off, s[0:3], 0 offset:144
	;; [unrolled: 1-line block ×4, first 2 shown]
.LBB92_47:
	s_or_b32 exec_lo, exec_lo, s4
	v_mov_b32_e32 v4, s31
	s_waitcnt_vscnt null, 0x0
	s_barrier
	buffer_gl0_inv
	s_mov_b32 s4, exec_lo
	s_clause 0x3
	buffer_load_dword v1, v4, s[0:3], 0 offen
	buffer_load_dword v2, v4, s[0:3], 0 offen offset:4
	buffer_load_dword v3, v4, s[0:3], 0 offen offset:8
	;; [unrolled: 1-line block ×3, first 2 shown]
	s_waitcnt vmcnt(0)
	ds_write_b128 v63, v[1:4]
	s_waitcnt lgkmcnt(0)
	s_barrier
	buffer_gl0_inv
	v_cmpx_gt_u32_e32 9, v0
	s_cbranch_execz .LBB92_51
; %bb.48:
	v_mov_b32_e32 v1, 0
	v_mov_b32_e32 v3, 0
	v_add_nc_u32_e32 v65, -1, v0
	v_add_nc_u32_e32 v66, 0x1d0, v69
	v_mov_b32_e32 v2, 0
	v_mov_b32_e32 v4, 0
	v_add_nc_u32_e32 v67, 16, v69
	s_mov_b32 s5, 0
	.p2align	6
.LBB92_49:                              ; =>This Inner Loop Header: Depth=1
	s_clause 0x3
	buffer_load_dword v74, v67, s[0:3], 0 offen offset:8
	buffer_load_dword v75, v67, s[0:3], 0 offen offset:12
	buffer_load_dword v76, v67, s[0:3], 0 offen
	buffer_load_dword v77, v67, s[0:3], 0 offen offset:4
	ds_read_b128 v[70:73], v66
	v_add_nc_u32_e32 v65, 1, v65
	v_add_nc_u32_e32 v66, 16, v66
	;; [unrolled: 1-line block ×3, first 2 shown]
	v_cmp_lt_u32_e32 vcc_lo, 7, v65
	s_or_b32 s5, vcc_lo, s5
	s_waitcnt vmcnt(2) lgkmcnt(0)
	v_mul_f64 v[78:79], v[72:73], v[74:75]
	v_mul_f64 v[74:75], v[70:71], v[74:75]
	s_waitcnt vmcnt(0)
	v_fma_f64 v[70:71], v[70:71], v[76:77], -v[78:79]
	v_fma_f64 v[72:73], v[72:73], v[76:77], v[74:75]
	v_add_f64 v[3:4], v[3:4], v[70:71]
	v_add_f64 v[1:2], v[1:2], v[72:73]
	s_andn2_b32 exec_lo, exec_lo, s5
	s_cbranch_execnz .LBB92_49
; %bb.50:
	s_or_b32 exec_lo, exec_lo, s5
	v_mov_b32_e32 v65, 0
	ds_read_b128 v[65:68], v65 offset:144
	s_waitcnt lgkmcnt(0)
	v_mul_f64 v[70:71], v[1:2], v[67:68]
	v_mul_f64 v[67:68], v[3:4], v[67:68]
	v_fma_f64 v[3:4], v[3:4], v[65:66], -v[70:71]
	v_fma_f64 v[1:2], v[1:2], v[65:66], v[67:68]
	buffer_store_dword v4, off, s[0:3], 0 offset:164
	buffer_store_dword v3, off, s[0:3], 0 offset:160
	;; [unrolled: 1-line block ×4, first 2 shown]
.LBB92_51:
	s_or_b32 exec_lo, exec_lo, s4
	v_mov_b32_e32 v4, s30
	s_waitcnt_vscnt null, 0x0
	s_barrier
	buffer_gl0_inv
	s_mov_b32 s4, exec_lo
	s_clause 0x3
	buffer_load_dword v1, v4, s[0:3], 0 offen
	buffer_load_dword v2, v4, s[0:3], 0 offen offset:4
	buffer_load_dword v3, v4, s[0:3], 0 offen offset:8
	;; [unrolled: 1-line block ×3, first 2 shown]
	s_waitcnt vmcnt(0)
	ds_write_b128 v63, v[1:4]
	s_waitcnt lgkmcnt(0)
	s_barrier
	buffer_gl0_inv
	v_cmpx_gt_u32_e32 10, v0
	s_cbranch_execz .LBB92_55
; %bb.52:
	v_mov_b32_e32 v1, 0
	v_mov_b32_e32 v3, 0
	v_add_nc_u32_e32 v65, -1, v0
	v_add_nc_u32_e32 v66, 0x1d0, v69
	v_mov_b32_e32 v2, 0
	v_mov_b32_e32 v4, 0
	v_add_nc_u32_e32 v67, 16, v69
	s_mov_b32 s5, 0
	.p2align	6
.LBB92_53:                              ; =>This Inner Loop Header: Depth=1
	s_clause 0x3
	buffer_load_dword v74, v67, s[0:3], 0 offen offset:8
	buffer_load_dword v75, v67, s[0:3], 0 offen offset:12
	buffer_load_dword v76, v67, s[0:3], 0 offen
	buffer_load_dword v77, v67, s[0:3], 0 offen offset:4
	ds_read_b128 v[70:73], v66
	v_add_nc_u32_e32 v65, 1, v65
	v_add_nc_u32_e32 v66, 16, v66
	;; [unrolled: 1-line block ×3, first 2 shown]
	v_cmp_lt_u32_e32 vcc_lo, 8, v65
	s_or_b32 s5, vcc_lo, s5
	s_waitcnt vmcnt(2) lgkmcnt(0)
	v_mul_f64 v[78:79], v[72:73], v[74:75]
	v_mul_f64 v[74:75], v[70:71], v[74:75]
	s_waitcnt vmcnt(0)
	v_fma_f64 v[70:71], v[70:71], v[76:77], -v[78:79]
	v_fma_f64 v[72:73], v[72:73], v[76:77], v[74:75]
	v_add_f64 v[3:4], v[3:4], v[70:71]
	v_add_f64 v[1:2], v[1:2], v[72:73]
	s_andn2_b32 exec_lo, exec_lo, s5
	s_cbranch_execnz .LBB92_53
; %bb.54:
	s_or_b32 exec_lo, exec_lo, s5
	v_mov_b32_e32 v65, 0
	ds_read_b128 v[65:68], v65 offset:160
	s_waitcnt lgkmcnt(0)
	v_mul_f64 v[70:71], v[1:2], v[67:68]
	v_mul_f64 v[67:68], v[3:4], v[67:68]
	v_fma_f64 v[3:4], v[3:4], v[65:66], -v[70:71]
	v_fma_f64 v[1:2], v[1:2], v[65:66], v[67:68]
	buffer_store_dword v4, off, s[0:3], 0 offset:180
	buffer_store_dword v3, off, s[0:3], 0 offset:176
	;; [unrolled: 1-line block ×4, first 2 shown]
.LBB92_55:
	s_or_b32 exec_lo, exec_lo, s4
	v_mov_b32_e32 v4, s29
	s_waitcnt_vscnt null, 0x0
	s_barrier
	buffer_gl0_inv
	s_mov_b32 s4, exec_lo
	s_clause 0x3
	buffer_load_dword v1, v4, s[0:3], 0 offen
	buffer_load_dword v2, v4, s[0:3], 0 offen offset:4
	buffer_load_dword v3, v4, s[0:3], 0 offen offset:8
	;; [unrolled: 1-line block ×3, first 2 shown]
	s_waitcnt vmcnt(0)
	ds_write_b128 v63, v[1:4]
	s_waitcnt lgkmcnt(0)
	s_barrier
	buffer_gl0_inv
	v_cmpx_gt_u32_e32 11, v0
	s_cbranch_execz .LBB92_59
; %bb.56:
	v_mov_b32_e32 v1, 0
	v_mov_b32_e32 v3, 0
	v_add_nc_u32_e32 v65, -1, v0
	v_add_nc_u32_e32 v66, 0x1d0, v69
	v_mov_b32_e32 v2, 0
	v_mov_b32_e32 v4, 0
	v_add_nc_u32_e32 v67, 16, v69
	s_mov_b32 s5, 0
	.p2align	6
.LBB92_57:                              ; =>This Inner Loop Header: Depth=1
	s_clause 0x3
	buffer_load_dword v74, v67, s[0:3], 0 offen offset:8
	buffer_load_dword v75, v67, s[0:3], 0 offen offset:12
	buffer_load_dword v76, v67, s[0:3], 0 offen
	buffer_load_dword v77, v67, s[0:3], 0 offen offset:4
	ds_read_b128 v[70:73], v66
	v_add_nc_u32_e32 v65, 1, v65
	v_add_nc_u32_e32 v66, 16, v66
	;; [unrolled: 1-line block ×3, first 2 shown]
	v_cmp_lt_u32_e32 vcc_lo, 9, v65
	s_or_b32 s5, vcc_lo, s5
	s_waitcnt vmcnt(2) lgkmcnt(0)
	v_mul_f64 v[78:79], v[72:73], v[74:75]
	v_mul_f64 v[74:75], v[70:71], v[74:75]
	s_waitcnt vmcnt(0)
	v_fma_f64 v[70:71], v[70:71], v[76:77], -v[78:79]
	v_fma_f64 v[72:73], v[72:73], v[76:77], v[74:75]
	v_add_f64 v[3:4], v[3:4], v[70:71]
	v_add_f64 v[1:2], v[1:2], v[72:73]
	s_andn2_b32 exec_lo, exec_lo, s5
	s_cbranch_execnz .LBB92_57
; %bb.58:
	s_or_b32 exec_lo, exec_lo, s5
	v_mov_b32_e32 v65, 0
	ds_read_b128 v[65:68], v65 offset:176
	s_waitcnt lgkmcnt(0)
	v_mul_f64 v[70:71], v[1:2], v[67:68]
	v_mul_f64 v[67:68], v[3:4], v[67:68]
	v_fma_f64 v[3:4], v[3:4], v[65:66], -v[70:71]
	v_fma_f64 v[1:2], v[1:2], v[65:66], v[67:68]
	buffer_store_dword v4, off, s[0:3], 0 offset:196
	buffer_store_dword v3, off, s[0:3], 0 offset:192
	;; [unrolled: 1-line block ×4, first 2 shown]
.LBB92_59:
	s_or_b32 exec_lo, exec_lo, s4
	v_mov_b32_e32 v4, s28
	s_waitcnt_vscnt null, 0x0
	s_barrier
	buffer_gl0_inv
	s_mov_b32 s4, exec_lo
	s_clause 0x3
	buffer_load_dword v1, v4, s[0:3], 0 offen
	buffer_load_dword v2, v4, s[0:3], 0 offen offset:4
	buffer_load_dword v3, v4, s[0:3], 0 offen offset:8
	;; [unrolled: 1-line block ×3, first 2 shown]
	s_waitcnt vmcnt(0)
	ds_write_b128 v63, v[1:4]
	s_waitcnt lgkmcnt(0)
	s_barrier
	buffer_gl0_inv
	v_cmpx_gt_u32_e32 12, v0
	s_cbranch_execz .LBB92_63
; %bb.60:
	v_mov_b32_e32 v1, 0
	v_mov_b32_e32 v3, 0
	v_add_nc_u32_e32 v65, -1, v0
	v_add_nc_u32_e32 v66, 0x1d0, v69
	v_mov_b32_e32 v2, 0
	v_mov_b32_e32 v4, 0
	v_add_nc_u32_e32 v67, 16, v69
	s_mov_b32 s5, 0
	.p2align	6
.LBB92_61:                              ; =>This Inner Loop Header: Depth=1
	s_clause 0x3
	buffer_load_dword v74, v67, s[0:3], 0 offen offset:8
	buffer_load_dword v75, v67, s[0:3], 0 offen offset:12
	buffer_load_dword v76, v67, s[0:3], 0 offen
	buffer_load_dword v77, v67, s[0:3], 0 offen offset:4
	ds_read_b128 v[70:73], v66
	v_add_nc_u32_e32 v65, 1, v65
	v_add_nc_u32_e32 v66, 16, v66
	;; [unrolled: 1-line block ×3, first 2 shown]
	v_cmp_lt_u32_e32 vcc_lo, 10, v65
	s_or_b32 s5, vcc_lo, s5
	s_waitcnt vmcnt(2) lgkmcnt(0)
	v_mul_f64 v[78:79], v[72:73], v[74:75]
	v_mul_f64 v[74:75], v[70:71], v[74:75]
	s_waitcnt vmcnt(0)
	v_fma_f64 v[70:71], v[70:71], v[76:77], -v[78:79]
	v_fma_f64 v[72:73], v[72:73], v[76:77], v[74:75]
	v_add_f64 v[3:4], v[3:4], v[70:71]
	v_add_f64 v[1:2], v[1:2], v[72:73]
	s_andn2_b32 exec_lo, exec_lo, s5
	s_cbranch_execnz .LBB92_61
; %bb.62:
	s_or_b32 exec_lo, exec_lo, s5
	v_mov_b32_e32 v65, 0
	ds_read_b128 v[65:68], v65 offset:192
	s_waitcnt lgkmcnt(0)
	v_mul_f64 v[70:71], v[1:2], v[67:68]
	v_mul_f64 v[67:68], v[3:4], v[67:68]
	v_fma_f64 v[3:4], v[3:4], v[65:66], -v[70:71]
	v_fma_f64 v[1:2], v[1:2], v[65:66], v[67:68]
	buffer_store_dword v4, off, s[0:3], 0 offset:212
	buffer_store_dword v3, off, s[0:3], 0 offset:208
	;; [unrolled: 1-line block ×4, first 2 shown]
.LBB92_63:
	s_or_b32 exec_lo, exec_lo, s4
	v_mov_b32_e32 v4, s27
	s_waitcnt_vscnt null, 0x0
	s_barrier
	buffer_gl0_inv
	s_mov_b32 s4, exec_lo
	s_clause 0x3
	buffer_load_dword v1, v4, s[0:3], 0 offen
	buffer_load_dword v2, v4, s[0:3], 0 offen offset:4
	buffer_load_dword v3, v4, s[0:3], 0 offen offset:8
	;; [unrolled: 1-line block ×3, first 2 shown]
	s_waitcnt vmcnt(0)
	ds_write_b128 v63, v[1:4]
	s_waitcnt lgkmcnt(0)
	s_barrier
	buffer_gl0_inv
	v_cmpx_gt_u32_e32 13, v0
	s_cbranch_execz .LBB92_67
; %bb.64:
	v_mov_b32_e32 v1, 0
	v_mov_b32_e32 v3, 0
	v_add_nc_u32_e32 v65, -1, v0
	v_add_nc_u32_e32 v66, 0x1d0, v69
	v_mov_b32_e32 v2, 0
	v_mov_b32_e32 v4, 0
	v_add_nc_u32_e32 v67, 16, v69
	s_mov_b32 s5, 0
	.p2align	6
.LBB92_65:                              ; =>This Inner Loop Header: Depth=1
	s_clause 0x3
	buffer_load_dword v74, v67, s[0:3], 0 offen offset:8
	buffer_load_dword v75, v67, s[0:3], 0 offen offset:12
	buffer_load_dword v76, v67, s[0:3], 0 offen
	buffer_load_dword v77, v67, s[0:3], 0 offen offset:4
	ds_read_b128 v[70:73], v66
	v_add_nc_u32_e32 v65, 1, v65
	v_add_nc_u32_e32 v66, 16, v66
	;; [unrolled: 1-line block ×3, first 2 shown]
	v_cmp_lt_u32_e32 vcc_lo, 11, v65
	s_or_b32 s5, vcc_lo, s5
	s_waitcnt vmcnt(2) lgkmcnt(0)
	v_mul_f64 v[78:79], v[72:73], v[74:75]
	v_mul_f64 v[74:75], v[70:71], v[74:75]
	s_waitcnt vmcnt(0)
	v_fma_f64 v[70:71], v[70:71], v[76:77], -v[78:79]
	v_fma_f64 v[72:73], v[72:73], v[76:77], v[74:75]
	v_add_f64 v[3:4], v[3:4], v[70:71]
	v_add_f64 v[1:2], v[1:2], v[72:73]
	s_andn2_b32 exec_lo, exec_lo, s5
	s_cbranch_execnz .LBB92_65
; %bb.66:
	s_or_b32 exec_lo, exec_lo, s5
	v_mov_b32_e32 v65, 0
	ds_read_b128 v[65:68], v65 offset:208
	s_waitcnt lgkmcnt(0)
	v_mul_f64 v[70:71], v[1:2], v[67:68]
	v_mul_f64 v[67:68], v[3:4], v[67:68]
	v_fma_f64 v[3:4], v[3:4], v[65:66], -v[70:71]
	v_fma_f64 v[1:2], v[1:2], v[65:66], v[67:68]
	buffer_store_dword v4, off, s[0:3], 0 offset:228
	buffer_store_dword v3, off, s[0:3], 0 offset:224
	;; [unrolled: 1-line block ×4, first 2 shown]
.LBB92_67:
	s_or_b32 exec_lo, exec_lo, s4
	v_mov_b32_e32 v4, s26
	s_waitcnt_vscnt null, 0x0
	s_barrier
	buffer_gl0_inv
	s_mov_b32 s4, exec_lo
	s_clause 0x3
	buffer_load_dword v1, v4, s[0:3], 0 offen
	buffer_load_dword v2, v4, s[0:3], 0 offen offset:4
	buffer_load_dword v3, v4, s[0:3], 0 offen offset:8
	buffer_load_dword v4, v4, s[0:3], 0 offen offset:12
	s_waitcnt vmcnt(0)
	ds_write_b128 v63, v[1:4]
	s_waitcnt lgkmcnt(0)
	s_barrier
	buffer_gl0_inv
	v_cmpx_gt_u32_e32 14, v0
	s_cbranch_execz .LBB92_71
; %bb.68:
	v_mov_b32_e32 v1, 0
	v_mov_b32_e32 v3, 0
	v_add_nc_u32_e32 v65, -1, v0
	v_add_nc_u32_e32 v66, 0x1d0, v69
	v_mov_b32_e32 v2, 0
	v_mov_b32_e32 v4, 0
	v_add_nc_u32_e32 v67, 16, v69
	s_mov_b32 s5, 0
	.p2align	6
.LBB92_69:                              ; =>This Inner Loop Header: Depth=1
	s_clause 0x3
	buffer_load_dword v74, v67, s[0:3], 0 offen offset:8
	buffer_load_dword v75, v67, s[0:3], 0 offen offset:12
	buffer_load_dword v76, v67, s[0:3], 0 offen
	buffer_load_dword v77, v67, s[0:3], 0 offen offset:4
	ds_read_b128 v[70:73], v66
	v_add_nc_u32_e32 v65, 1, v65
	v_add_nc_u32_e32 v66, 16, v66
	;; [unrolled: 1-line block ×3, first 2 shown]
	v_cmp_lt_u32_e32 vcc_lo, 12, v65
	s_or_b32 s5, vcc_lo, s5
	s_waitcnt vmcnt(2) lgkmcnt(0)
	v_mul_f64 v[78:79], v[72:73], v[74:75]
	v_mul_f64 v[74:75], v[70:71], v[74:75]
	s_waitcnt vmcnt(0)
	v_fma_f64 v[70:71], v[70:71], v[76:77], -v[78:79]
	v_fma_f64 v[72:73], v[72:73], v[76:77], v[74:75]
	v_add_f64 v[3:4], v[3:4], v[70:71]
	v_add_f64 v[1:2], v[1:2], v[72:73]
	s_andn2_b32 exec_lo, exec_lo, s5
	s_cbranch_execnz .LBB92_69
; %bb.70:
	s_or_b32 exec_lo, exec_lo, s5
	v_mov_b32_e32 v65, 0
	ds_read_b128 v[65:68], v65 offset:224
	s_waitcnt lgkmcnt(0)
	v_mul_f64 v[70:71], v[1:2], v[67:68]
	v_mul_f64 v[67:68], v[3:4], v[67:68]
	v_fma_f64 v[3:4], v[3:4], v[65:66], -v[70:71]
	v_fma_f64 v[1:2], v[1:2], v[65:66], v[67:68]
	buffer_store_dword v4, off, s[0:3], 0 offset:244
	buffer_store_dword v3, off, s[0:3], 0 offset:240
	;; [unrolled: 1-line block ×4, first 2 shown]
.LBB92_71:
	s_or_b32 exec_lo, exec_lo, s4
	v_mov_b32_e32 v4, s25
	s_waitcnt_vscnt null, 0x0
	s_barrier
	buffer_gl0_inv
	s_mov_b32 s4, exec_lo
	s_clause 0x3
	buffer_load_dword v1, v4, s[0:3], 0 offen
	buffer_load_dword v2, v4, s[0:3], 0 offen offset:4
	buffer_load_dword v3, v4, s[0:3], 0 offen offset:8
	;; [unrolled: 1-line block ×3, first 2 shown]
	s_waitcnt vmcnt(0)
	ds_write_b128 v63, v[1:4]
	s_waitcnt lgkmcnt(0)
	s_barrier
	buffer_gl0_inv
	v_cmpx_gt_u32_e32 15, v0
	s_cbranch_execz .LBB92_75
; %bb.72:
	v_mov_b32_e32 v1, 0
	v_mov_b32_e32 v3, 0
	v_add_nc_u32_e32 v65, -1, v0
	v_add_nc_u32_e32 v66, 0x1d0, v69
	v_mov_b32_e32 v2, 0
	v_mov_b32_e32 v4, 0
	v_add_nc_u32_e32 v67, 16, v69
	s_mov_b32 s5, 0
	.p2align	6
.LBB92_73:                              ; =>This Inner Loop Header: Depth=1
	s_clause 0x3
	buffer_load_dword v74, v67, s[0:3], 0 offen offset:8
	buffer_load_dword v75, v67, s[0:3], 0 offen offset:12
	buffer_load_dword v76, v67, s[0:3], 0 offen
	buffer_load_dword v77, v67, s[0:3], 0 offen offset:4
	ds_read_b128 v[70:73], v66
	v_add_nc_u32_e32 v65, 1, v65
	v_add_nc_u32_e32 v66, 16, v66
	v_add_nc_u32_e32 v67, 16, v67
	v_cmp_lt_u32_e32 vcc_lo, 13, v65
	s_or_b32 s5, vcc_lo, s5
	s_waitcnt vmcnt(2) lgkmcnt(0)
	v_mul_f64 v[78:79], v[72:73], v[74:75]
	v_mul_f64 v[74:75], v[70:71], v[74:75]
	s_waitcnt vmcnt(0)
	v_fma_f64 v[70:71], v[70:71], v[76:77], -v[78:79]
	v_fma_f64 v[72:73], v[72:73], v[76:77], v[74:75]
	v_add_f64 v[3:4], v[3:4], v[70:71]
	v_add_f64 v[1:2], v[1:2], v[72:73]
	s_andn2_b32 exec_lo, exec_lo, s5
	s_cbranch_execnz .LBB92_73
; %bb.74:
	s_or_b32 exec_lo, exec_lo, s5
	v_mov_b32_e32 v65, 0
	ds_read_b128 v[65:68], v65 offset:240
	s_waitcnt lgkmcnt(0)
	v_mul_f64 v[70:71], v[1:2], v[67:68]
	v_mul_f64 v[67:68], v[3:4], v[67:68]
	v_fma_f64 v[3:4], v[3:4], v[65:66], -v[70:71]
	v_fma_f64 v[1:2], v[1:2], v[65:66], v[67:68]
	buffer_store_dword v4, off, s[0:3], 0 offset:260
	buffer_store_dword v3, off, s[0:3], 0 offset:256
	;; [unrolled: 1-line block ×4, first 2 shown]
.LBB92_75:
	s_or_b32 exec_lo, exec_lo, s4
	v_mov_b32_e32 v4, s24
	s_waitcnt_vscnt null, 0x0
	s_barrier
	buffer_gl0_inv
	s_mov_b32 s4, exec_lo
	s_clause 0x3
	buffer_load_dword v1, v4, s[0:3], 0 offen
	buffer_load_dword v2, v4, s[0:3], 0 offen offset:4
	buffer_load_dword v3, v4, s[0:3], 0 offen offset:8
	;; [unrolled: 1-line block ×3, first 2 shown]
	s_waitcnt vmcnt(0)
	ds_write_b128 v63, v[1:4]
	s_waitcnt lgkmcnt(0)
	s_barrier
	buffer_gl0_inv
	v_cmpx_gt_u32_e32 16, v0
	s_cbranch_execz .LBB92_79
; %bb.76:
	v_mov_b32_e32 v1, 0
	v_mov_b32_e32 v3, 0
	v_add_nc_u32_e32 v65, -1, v0
	v_add_nc_u32_e32 v66, 0x1d0, v69
	v_mov_b32_e32 v2, 0
	v_mov_b32_e32 v4, 0
	v_add_nc_u32_e32 v67, 16, v69
	s_mov_b32 s5, 0
	.p2align	6
.LBB92_77:                              ; =>This Inner Loop Header: Depth=1
	s_clause 0x3
	buffer_load_dword v74, v67, s[0:3], 0 offen offset:8
	buffer_load_dword v75, v67, s[0:3], 0 offen offset:12
	buffer_load_dword v76, v67, s[0:3], 0 offen
	buffer_load_dword v77, v67, s[0:3], 0 offen offset:4
	ds_read_b128 v[70:73], v66
	v_add_nc_u32_e32 v65, 1, v65
	v_add_nc_u32_e32 v66, 16, v66
	;; [unrolled: 1-line block ×3, first 2 shown]
	v_cmp_lt_u32_e32 vcc_lo, 14, v65
	s_or_b32 s5, vcc_lo, s5
	s_waitcnt vmcnt(2) lgkmcnt(0)
	v_mul_f64 v[78:79], v[72:73], v[74:75]
	v_mul_f64 v[74:75], v[70:71], v[74:75]
	s_waitcnt vmcnt(0)
	v_fma_f64 v[70:71], v[70:71], v[76:77], -v[78:79]
	v_fma_f64 v[72:73], v[72:73], v[76:77], v[74:75]
	v_add_f64 v[3:4], v[3:4], v[70:71]
	v_add_f64 v[1:2], v[1:2], v[72:73]
	s_andn2_b32 exec_lo, exec_lo, s5
	s_cbranch_execnz .LBB92_77
; %bb.78:
	s_or_b32 exec_lo, exec_lo, s5
	v_mov_b32_e32 v65, 0
	ds_read_b128 v[65:68], v65 offset:256
	s_waitcnt lgkmcnt(0)
	v_mul_f64 v[70:71], v[1:2], v[67:68]
	v_mul_f64 v[67:68], v[3:4], v[67:68]
	v_fma_f64 v[3:4], v[3:4], v[65:66], -v[70:71]
	v_fma_f64 v[1:2], v[1:2], v[65:66], v[67:68]
	buffer_store_dword v4, off, s[0:3], 0 offset:276
	buffer_store_dword v3, off, s[0:3], 0 offset:272
	;; [unrolled: 1-line block ×4, first 2 shown]
.LBB92_79:
	s_or_b32 exec_lo, exec_lo, s4
	v_mov_b32_e32 v4, s23
	s_waitcnt_vscnt null, 0x0
	s_barrier
	buffer_gl0_inv
	s_mov_b32 s4, exec_lo
	s_clause 0x3
	buffer_load_dword v1, v4, s[0:3], 0 offen
	buffer_load_dword v2, v4, s[0:3], 0 offen offset:4
	buffer_load_dword v3, v4, s[0:3], 0 offen offset:8
	;; [unrolled: 1-line block ×3, first 2 shown]
	s_waitcnt vmcnt(0)
	ds_write_b128 v63, v[1:4]
	s_waitcnt lgkmcnt(0)
	s_barrier
	buffer_gl0_inv
	v_cmpx_gt_u32_e32 17, v0
	s_cbranch_execz .LBB92_83
; %bb.80:
	v_mov_b32_e32 v1, 0
	v_mov_b32_e32 v3, 0
	v_add_nc_u32_e32 v65, -1, v0
	v_add_nc_u32_e32 v66, 0x1d0, v69
	v_mov_b32_e32 v2, 0
	v_mov_b32_e32 v4, 0
	v_add_nc_u32_e32 v67, 16, v69
	s_mov_b32 s5, 0
	.p2align	6
.LBB92_81:                              ; =>This Inner Loop Header: Depth=1
	s_clause 0x3
	buffer_load_dword v74, v67, s[0:3], 0 offen offset:8
	buffer_load_dword v75, v67, s[0:3], 0 offen offset:12
	buffer_load_dword v76, v67, s[0:3], 0 offen
	buffer_load_dword v77, v67, s[0:3], 0 offen offset:4
	ds_read_b128 v[70:73], v66
	v_add_nc_u32_e32 v65, 1, v65
	v_add_nc_u32_e32 v66, 16, v66
	;; [unrolled: 1-line block ×3, first 2 shown]
	v_cmp_lt_u32_e32 vcc_lo, 15, v65
	s_or_b32 s5, vcc_lo, s5
	s_waitcnt vmcnt(2) lgkmcnt(0)
	v_mul_f64 v[78:79], v[72:73], v[74:75]
	v_mul_f64 v[74:75], v[70:71], v[74:75]
	s_waitcnt vmcnt(0)
	v_fma_f64 v[70:71], v[70:71], v[76:77], -v[78:79]
	v_fma_f64 v[72:73], v[72:73], v[76:77], v[74:75]
	v_add_f64 v[3:4], v[3:4], v[70:71]
	v_add_f64 v[1:2], v[1:2], v[72:73]
	s_andn2_b32 exec_lo, exec_lo, s5
	s_cbranch_execnz .LBB92_81
; %bb.82:
	s_or_b32 exec_lo, exec_lo, s5
	v_mov_b32_e32 v65, 0
	ds_read_b128 v[65:68], v65 offset:272
	s_waitcnt lgkmcnt(0)
	v_mul_f64 v[70:71], v[1:2], v[67:68]
	v_mul_f64 v[67:68], v[3:4], v[67:68]
	v_fma_f64 v[3:4], v[3:4], v[65:66], -v[70:71]
	v_fma_f64 v[1:2], v[1:2], v[65:66], v[67:68]
	buffer_store_dword v4, off, s[0:3], 0 offset:292
	buffer_store_dword v3, off, s[0:3], 0 offset:288
	;; [unrolled: 1-line block ×4, first 2 shown]
.LBB92_83:
	s_or_b32 exec_lo, exec_lo, s4
	v_mov_b32_e32 v4, s22
	s_waitcnt_vscnt null, 0x0
	s_barrier
	buffer_gl0_inv
	s_mov_b32 s4, exec_lo
	s_clause 0x3
	buffer_load_dword v1, v4, s[0:3], 0 offen
	buffer_load_dword v2, v4, s[0:3], 0 offen offset:4
	buffer_load_dword v3, v4, s[0:3], 0 offen offset:8
	;; [unrolled: 1-line block ×3, first 2 shown]
	s_waitcnt vmcnt(0)
	ds_write_b128 v63, v[1:4]
	s_waitcnt lgkmcnt(0)
	s_barrier
	buffer_gl0_inv
	v_cmpx_gt_u32_e32 18, v0
	s_cbranch_execz .LBB92_87
; %bb.84:
	v_mov_b32_e32 v1, 0
	v_mov_b32_e32 v3, 0
	v_add_nc_u32_e32 v65, -1, v0
	v_add_nc_u32_e32 v66, 0x1d0, v69
	v_mov_b32_e32 v2, 0
	v_mov_b32_e32 v4, 0
	v_add_nc_u32_e32 v67, 16, v69
	s_mov_b32 s5, 0
	.p2align	6
.LBB92_85:                              ; =>This Inner Loop Header: Depth=1
	s_clause 0x3
	buffer_load_dword v74, v67, s[0:3], 0 offen offset:8
	buffer_load_dword v75, v67, s[0:3], 0 offen offset:12
	buffer_load_dword v76, v67, s[0:3], 0 offen
	buffer_load_dword v77, v67, s[0:3], 0 offen offset:4
	ds_read_b128 v[70:73], v66
	v_add_nc_u32_e32 v65, 1, v65
	v_add_nc_u32_e32 v66, 16, v66
	;; [unrolled: 1-line block ×3, first 2 shown]
	v_cmp_lt_u32_e32 vcc_lo, 16, v65
	s_or_b32 s5, vcc_lo, s5
	s_waitcnt vmcnt(2) lgkmcnt(0)
	v_mul_f64 v[78:79], v[72:73], v[74:75]
	v_mul_f64 v[74:75], v[70:71], v[74:75]
	s_waitcnt vmcnt(0)
	v_fma_f64 v[70:71], v[70:71], v[76:77], -v[78:79]
	v_fma_f64 v[72:73], v[72:73], v[76:77], v[74:75]
	v_add_f64 v[3:4], v[3:4], v[70:71]
	v_add_f64 v[1:2], v[1:2], v[72:73]
	s_andn2_b32 exec_lo, exec_lo, s5
	s_cbranch_execnz .LBB92_85
; %bb.86:
	s_or_b32 exec_lo, exec_lo, s5
	v_mov_b32_e32 v65, 0
	ds_read_b128 v[65:68], v65 offset:288
	s_waitcnt lgkmcnt(0)
	v_mul_f64 v[70:71], v[1:2], v[67:68]
	v_mul_f64 v[67:68], v[3:4], v[67:68]
	v_fma_f64 v[3:4], v[3:4], v[65:66], -v[70:71]
	v_fma_f64 v[1:2], v[1:2], v[65:66], v[67:68]
	buffer_store_dword v4, off, s[0:3], 0 offset:308
	buffer_store_dword v3, off, s[0:3], 0 offset:304
	;; [unrolled: 1-line block ×4, first 2 shown]
.LBB92_87:
	s_or_b32 exec_lo, exec_lo, s4
	v_mov_b32_e32 v4, s21
	s_waitcnt_vscnt null, 0x0
	s_barrier
	buffer_gl0_inv
	s_mov_b32 s4, exec_lo
	s_clause 0x3
	buffer_load_dword v1, v4, s[0:3], 0 offen
	buffer_load_dword v2, v4, s[0:3], 0 offen offset:4
	buffer_load_dword v3, v4, s[0:3], 0 offen offset:8
	;; [unrolled: 1-line block ×3, first 2 shown]
	s_waitcnt vmcnt(0)
	ds_write_b128 v63, v[1:4]
	s_waitcnt lgkmcnt(0)
	s_barrier
	buffer_gl0_inv
	v_cmpx_gt_u32_e32 19, v0
	s_cbranch_execz .LBB92_91
; %bb.88:
	v_mov_b32_e32 v1, 0
	v_mov_b32_e32 v3, 0
	v_add_nc_u32_e32 v65, -1, v0
	v_add_nc_u32_e32 v66, 0x1d0, v69
	v_mov_b32_e32 v2, 0
	v_mov_b32_e32 v4, 0
	v_add_nc_u32_e32 v67, 16, v69
	s_mov_b32 s5, 0
	.p2align	6
.LBB92_89:                              ; =>This Inner Loop Header: Depth=1
	s_clause 0x3
	buffer_load_dword v74, v67, s[0:3], 0 offen offset:8
	buffer_load_dword v75, v67, s[0:3], 0 offen offset:12
	buffer_load_dword v76, v67, s[0:3], 0 offen
	buffer_load_dword v77, v67, s[0:3], 0 offen offset:4
	ds_read_b128 v[70:73], v66
	v_add_nc_u32_e32 v65, 1, v65
	v_add_nc_u32_e32 v66, 16, v66
	;; [unrolled: 1-line block ×3, first 2 shown]
	v_cmp_lt_u32_e32 vcc_lo, 17, v65
	s_or_b32 s5, vcc_lo, s5
	s_waitcnt vmcnt(2) lgkmcnt(0)
	v_mul_f64 v[78:79], v[72:73], v[74:75]
	v_mul_f64 v[74:75], v[70:71], v[74:75]
	s_waitcnt vmcnt(0)
	v_fma_f64 v[70:71], v[70:71], v[76:77], -v[78:79]
	v_fma_f64 v[72:73], v[72:73], v[76:77], v[74:75]
	v_add_f64 v[3:4], v[3:4], v[70:71]
	v_add_f64 v[1:2], v[1:2], v[72:73]
	s_andn2_b32 exec_lo, exec_lo, s5
	s_cbranch_execnz .LBB92_89
; %bb.90:
	s_or_b32 exec_lo, exec_lo, s5
	v_mov_b32_e32 v65, 0
	ds_read_b128 v[65:68], v65 offset:304
	s_waitcnt lgkmcnt(0)
	v_mul_f64 v[70:71], v[1:2], v[67:68]
	v_mul_f64 v[67:68], v[3:4], v[67:68]
	v_fma_f64 v[3:4], v[3:4], v[65:66], -v[70:71]
	v_fma_f64 v[1:2], v[1:2], v[65:66], v[67:68]
	buffer_store_dword v4, off, s[0:3], 0 offset:324
	buffer_store_dword v3, off, s[0:3], 0 offset:320
	;; [unrolled: 1-line block ×4, first 2 shown]
.LBB92_91:
	s_or_b32 exec_lo, exec_lo, s4
	v_mov_b32_e32 v4, s20
	s_waitcnt_vscnt null, 0x0
	s_barrier
	buffer_gl0_inv
	s_mov_b32 s4, exec_lo
	s_clause 0x3
	buffer_load_dword v1, v4, s[0:3], 0 offen
	buffer_load_dword v2, v4, s[0:3], 0 offen offset:4
	buffer_load_dword v3, v4, s[0:3], 0 offen offset:8
	;; [unrolled: 1-line block ×3, first 2 shown]
	s_waitcnt vmcnt(0)
	ds_write_b128 v63, v[1:4]
	s_waitcnt lgkmcnt(0)
	s_barrier
	buffer_gl0_inv
	v_cmpx_gt_u32_e32 20, v0
	s_cbranch_execz .LBB92_95
; %bb.92:
	v_mov_b32_e32 v1, 0
	v_mov_b32_e32 v3, 0
	v_add_nc_u32_e32 v65, -1, v0
	v_add_nc_u32_e32 v66, 0x1d0, v69
	v_mov_b32_e32 v2, 0
	v_mov_b32_e32 v4, 0
	v_add_nc_u32_e32 v67, 16, v69
	s_mov_b32 s5, 0
	.p2align	6
.LBB92_93:                              ; =>This Inner Loop Header: Depth=1
	s_clause 0x3
	buffer_load_dword v74, v67, s[0:3], 0 offen offset:8
	buffer_load_dword v75, v67, s[0:3], 0 offen offset:12
	buffer_load_dword v76, v67, s[0:3], 0 offen
	buffer_load_dword v77, v67, s[0:3], 0 offen offset:4
	ds_read_b128 v[70:73], v66
	v_add_nc_u32_e32 v65, 1, v65
	v_add_nc_u32_e32 v66, 16, v66
	v_add_nc_u32_e32 v67, 16, v67
	v_cmp_lt_u32_e32 vcc_lo, 18, v65
	s_or_b32 s5, vcc_lo, s5
	s_waitcnt vmcnt(2) lgkmcnt(0)
	v_mul_f64 v[78:79], v[72:73], v[74:75]
	v_mul_f64 v[74:75], v[70:71], v[74:75]
	s_waitcnt vmcnt(0)
	v_fma_f64 v[70:71], v[70:71], v[76:77], -v[78:79]
	v_fma_f64 v[72:73], v[72:73], v[76:77], v[74:75]
	v_add_f64 v[3:4], v[3:4], v[70:71]
	v_add_f64 v[1:2], v[1:2], v[72:73]
	s_andn2_b32 exec_lo, exec_lo, s5
	s_cbranch_execnz .LBB92_93
; %bb.94:
	s_or_b32 exec_lo, exec_lo, s5
	v_mov_b32_e32 v65, 0
	ds_read_b128 v[65:68], v65 offset:320
	s_waitcnt lgkmcnt(0)
	v_mul_f64 v[70:71], v[1:2], v[67:68]
	v_mul_f64 v[67:68], v[3:4], v[67:68]
	v_fma_f64 v[3:4], v[3:4], v[65:66], -v[70:71]
	v_fma_f64 v[1:2], v[1:2], v[65:66], v[67:68]
	buffer_store_dword v4, off, s[0:3], 0 offset:340
	buffer_store_dword v3, off, s[0:3], 0 offset:336
	;; [unrolled: 1-line block ×4, first 2 shown]
.LBB92_95:
	s_or_b32 exec_lo, exec_lo, s4
	v_mov_b32_e32 v4, s19
	s_waitcnt_vscnt null, 0x0
	s_barrier
	buffer_gl0_inv
	s_mov_b32 s4, exec_lo
	s_clause 0x3
	buffer_load_dword v1, v4, s[0:3], 0 offen
	buffer_load_dword v2, v4, s[0:3], 0 offen offset:4
	buffer_load_dword v3, v4, s[0:3], 0 offen offset:8
	;; [unrolled: 1-line block ×3, first 2 shown]
	s_waitcnt vmcnt(0)
	ds_write_b128 v63, v[1:4]
	s_waitcnt lgkmcnt(0)
	s_barrier
	buffer_gl0_inv
	v_cmpx_gt_u32_e32 21, v0
	s_cbranch_execz .LBB92_99
; %bb.96:
	v_mov_b32_e32 v1, 0
	v_mov_b32_e32 v3, 0
	v_add_nc_u32_e32 v65, -1, v0
	v_add_nc_u32_e32 v66, 0x1d0, v69
	v_mov_b32_e32 v2, 0
	v_mov_b32_e32 v4, 0
	v_add_nc_u32_e32 v67, 16, v69
	s_mov_b32 s5, 0
	.p2align	6
.LBB92_97:                              ; =>This Inner Loop Header: Depth=1
	s_clause 0x3
	buffer_load_dword v74, v67, s[0:3], 0 offen offset:8
	buffer_load_dword v75, v67, s[0:3], 0 offen offset:12
	buffer_load_dword v76, v67, s[0:3], 0 offen
	buffer_load_dword v77, v67, s[0:3], 0 offen offset:4
	ds_read_b128 v[70:73], v66
	v_add_nc_u32_e32 v65, 1, v65
	v_add_nc_u32_e32 v66, 16, v66
	v_add_nc_u32_e32 v67, 16, v67
	v_cmp_lt_u32_e32 vcc_lo, 19, v65
	s_or_b32 s5, vcc_lo, s5
	s_waitcnt vmcnt(2) lgkmcnt(0)
	v_mul_f64 v[78:79], v[72:73], v[74:75]
	v_mul_f64 v[74:75], v[70:71], v[74:75]
	s_waitcnt vmcnt(0)
	v_fma_f64 v[70:71], v[70:71], v[76:77], -v[78:79]
	v_fma_f64 v[72:73], v[72:73], v[76:77], v[74:75]
	v_add_f64 v[3:4], v[3:4], v[70:71]
	v_add_f64 v[1:2], v[1:2], v[72:73]
	s_andn2_b32 exec_lo, exec_lo, s5
	s_cbranch_execnz .LBB92_97
; %bb.98:
	s_or_b32 exec_lo, exec_lo, s5
	v_mov_b32_e32 v65, 0
	ds_read_b128 v[65:68], v65 offset:336
	s_waitcnt lgkmcnt(0)
	v_mul_f64 v[70:71], v[1:2], v[67:68]
	v_mul_f64 v[67:68], v[3:4], v[67:68]
	v_fma_f64 v[3:4], v[3:4], v[65:66], -v[70:71]
	v_fma_f64 v[1:2], v[1:2], v[65:66], v[67:68]
	buffer_store_dword v4, off, s[0:3], 0 offset:356
	buffer_store_dword v3, off, s[0:3], 0 offset:352
	;; [unrolled: 1-line block ×4, first 2 shown]
.LBB92_99:
	s_or_b32 exec_lo, exec_lo, s4
	v_mov_b32_e32 v4, s18
	s_waitcnt_vscnt null, 0x0
	s_barrier
	buffer_gl0_inv
	s_mov_b32 s4, exec_lo
	s_clause 0x3
	buffer_load_dword v1, v4, s[0:3], 0 offen
	buffer_load_dword v2, v4, s[0:3], 0 offen offset:4
	buffer_load_dword v3, v4, s[0:3], 0 offen offset:8
	;; [unrolled: 1-line block ×3, first 2 shown]
	s_waitcnt vmcnt(0)
	ds_write_b128 v63, v[1:4]
	s_waitcnt lgkmcnt(0)
	s_barrier
	buffer_gl0_inv
	v_cmpx_gt_u32_e32 22, v0
	s_cbranch_execz .LBB92_103
; %bb.100:
	v_mov_b32_e32 v1, 0
	v_mov_b32_e32 v3, 0
	v_add_nc_u32_e32 v65, -1, v0
	v_add_nc_u32_e32 v66, 0x1d0, v69
	v_mov_b32_e32 v2, 0
	v_mov_b32_e32 v4, 0
	v_add_nc_u32_e32 v67, 16, v69
	s_mov_b32 s5, 0
	.p2align	6
.LBB92_101:                             ; =>This Inner Loop Header: Depth=1
	s_clause 0x3
	buffer_load_dword v74, v67, s[0:3], 0 offen offset:8
	buffer_load_dword v75, v67, s[0:3], 0 offen offset:12
	buffer_load_dword v76, v67, s[0:3], 0 offen
	buffer_load_dword v77, v67, s[0:3], 0 offen offset:4
	ds_read_b128 v[70:73], v66
	v_add_nc_u32_e32 v65, 1, v65
	v_add_nc_u32_e32 v66, 16, v66
	;; [unrolled: 1-line block ×3, first 2 shown]
	v_cmp_lt_u32_e32 vcc_lo, 20, v65
	s_or_b32 s5, vcc_lo, s5
	s_waitcnt vmcnt(2) lgkmcnt(0)
	v_mul_f64 v[78:79], v[72:73], v[74:75]
	v_mul_f64 v[74:75], v[70:71], v[74:75]
	s_waitcnt vmcnt(0)
	v_fma_f64 v[70:71], v[70:71], v[76:77], -v[78:79]
	v_fma_f64 v[72:73], v[72:73], v[76:77], v[74:75]
	v_add_f64 v[3:4], v[3:4], v[70:71]
	v_add_f64 v[1:2], v[1:2], v[72:73]
	s_andn2_b32 exec_lo, exec_lo, s5
	s_cbranch_execnz .LBB92_101
; %bb.102:
	s_or_b32 exec_lo, exec_lo, s5
	v_mov_b32_e32 v65, 0
	ds_read_b128 v[65:68], v65 offset:352
	s_waitcnt lgkmcnt(0)
	v_mul_f64 v[70:71], v[1:2], v[67:68]
	v_mul_f64 v[67:68], v[3:4], v[67:68]
	v_fma_f64 v[3:4], v[3:4], v[65:66], -v[70:71]
	v_fma_f64 v[1:2], v[1:2], v[65:66], v[67:68]
	buffer_store_dword v4, off, s[0:3], 0 offset:372
	buffer_store_dword v3, off, s[0:3], 0 offset:368
	;; [unrolled: 1-line block ×4, first 2 shown]
.LBB92_103:
	s_or_b32 exec_lo, exec_lo, s4
	v_mov_b32_e32 v4, s17
	s_waitcnt_vscnt null, 0x0
	s_barrier
	buffer_gl0_inv
	s_mov_b32 s4, exec_lo
	s_clause 0x3
	buffer_load_dword v1, v4, s[0:3], 0 offen
	buffer_load_dword v2, v4, s[0:3], 0 offen offset:4
	buffer_load_dword v3, v4, s[0:3], 0 offen offset:8
	;; [unrolled: 1-line block ×3, first 2 shown]
	s_waitcnt vmcnt(0)
	ds_write_b128 v63, v[1:4]
	s_waitcnt lgkmcnt(0)
	s_barrier
	buffer_gl0_inv
	v_cmpx_gt_u32_e32 23, v0
	s_cbranch_execz .LBB92_107
; %bb.104:
	v_mov_b32_e32 v1, 0
	v_mov_b32_e32 v3, 0
	v_add_nc_u32_e32 v65, -1, v0
	v_add_nc_u32_e32 v66, 0x1d0, v69
	v_mov_b32_e32 v2, 0
	v_mov_b32_e32 v4, 0
	v_add_nc_u32_e32 v67, 16, v69
	s_mov_b32 s5, 0
	.p2align	6
.LBB92_105:                             ; =>This Inner Loop Header: Depth=1
	s_clause 0x3
	buffer_load_dword v74, v67, s[0:3], 0 offen offset:8
	buffer_load_dword v75, v67, s[0:3], 0 offen offset:12
	buffer_load_dword v76, v67, s[0:3], 0 offen
	buffer_load_dword v77, v67, s[0:3], 0 offen offset:4
	ds_read_b128 v[70:73], v66
	v_add_nc_u32_e32 v65, 1, v65
	v_add_nc_u32_e32 v66, 16, v66
	;; [unrolled: 1-line block ×3, first 2 shown]
	v_cmp_lt_u32_e32 vcc_lo, 21, v65
	s_or_b32 s5, vcc_lo, s5
	s_waitcnt vmcnt(2) lgkmcnt(0)
	v_mul_f64 v[78:79], v[72:73], v[74:75]
	v_mul_f64 v[74:75], v[70:71], v[74:75]
	s_waitcnt vmcnt(0)
	v_fma_f64 v[70:71], v[70:71], v[76:77], -v[78:79]
	v_fma_f64 v[72:73], v[72:73], v[76:77], v[74:75]
	v_add_f64 v[3:4], v[3:4], v[70:71]
	v_add_f64 v[1:2], v[1:2], v[72:73]
	s_andn2_b32 exec_lo, exec_lo, s5
	s_cbranch_execnz .LBB92_105
; %bb.106:
	s_or_b32 exec_lo, exec_lo, s5
	v_mov_b32_e32 v65, 0
	ds_read_b128 v[65:68], v65 offset:368
	s_waitcnt lgkmcnt(0)
	v_mul_f64 v[70:71], v[1:2], v[67:68]
	v_mul_f64 v[67:68], v[3:4], v[67:68]
	v_fma_f64 v[3:4], v[3:4], v[65:66], -v[70:71]
	v_fma_f64 v[1:2], v[1:2], v[65:66], v[67:68]
	buffer_store_dword v4, off, s[0:3], 0 offset:388
	buffer_store_dword v3, off, s[0:3], 0 offset:384
	;; [unrolled: 1-line block ×4, first 2 shown]
.LBB92_107:
	s_or_b32 exec_lo, exec_lo, s4
	v_mov_b32_e32 v4, s16
	s_waitcnt_vscnt null, 0x0
	s_barrier
	buffer_gl0_inv
	s_mov_b32 s4, exec_lo
	s_clause 0x3
	buffer_load_dword v1, v4, s[0:3], 0 offen
	buffer_load_dword v2, v4, s[0:3], 0 offen offset:4
	buffer_load_dword v3, v4, s[0:3], 0 offen offset:8
	buffer_load_dword v4, v4, s[0:3], 0 offen offset:12
	s_waitcnt vmcnt(0)
	ds_write_b128 v63, v[1:4]
	s_waitcnt lgkmcnt(0)
	s_barrier
	buffer_gl0_inv
	v_cmpx_gt_u32_e32 24, v0
	s_cbranch_execz .LBB92_111
; %bb.108:
	v_mov_b32_e32 v1, 0
	v_mov_b32_e32 v3, 0
	v_add_nc_u32_e32 v65, -1, v0
	v_add_nc_u32_e32 v66, 0x1d0, v69
	v_mov_b32_e32 v2, 0
	v_mov_b32_e32 v4, 0
	v_add_nc_u32_e32 v67, 16, v69
	s_mov_b32 s5, 0
	.p2align	6
.LBB92_109:                             ; =>This Inner Loop Header: Depth=1
	s_clause 0x3
	buffer_load_dword v74, v67, s[0:3], 0 offen offset:8
	buffer_load_dword v75, v67, s[0:3], 0 offen offset:12
	buffer_load_dword v76, v67, s[0:3], 0 offen
	buffer_load_dword v77, v67, s[0:3], 0 offen offset:4
	ds_read_b128 v[70:73], v66
	v_add_nc_u32_e32 v65, 1, v65
	v_add_nc_u32_e32 v66, 16, v66
	;; [unrolled: 1-line block ×3, first 2 shown]
	v_cmp_lt_u32_e32 vcc_lo, 22, v65
	s_or_b32 s5, vcc_lo, s5
	s_waitcnt vmcnt(2) lgkmcnt(0)
	v_mul_f64 v[78:79], v[72:73], v[74:75]
	v_mul_f64 v[74:75], v[70:71], v[74:75]
	s_waitcnt vmcnt(0)
	v_fma_f64 v[70:71], v[70:71], v[76:77], -v[78:79]
	v_fma_f64 v[72:73], v[72:73], v[76:77], v[74:75]
	v_add_f64 v[3:4], v[3:4], v[70:71]
	v_add_f64 v[1:2], v[1:2], v[72:73]
	s_andn2_b32 exec_lo, exec_lo, s5
	s_cbranch_execnz .LBB92_109
; %bb.110:
	s_or_b32 exec_lo, exec_lo, s5
	v_mov_b32_e32 v65, 0
	ds_read_b128 v[65:68], v65 offset:384
	s_waitcnt lgkmcnt(0)
	v_mul_f64 v[70:71], v[1:2], v[67:68]
	v_mul_f64 v[67:68], v[3:4], v[67:68]
	v_fma_f64 v[3:4], v[3:4], v[65:66], -v[70:71]
	v_fma_f64 v[1:2], v[1:2], v[65:66], v[67:68]
	buffer_store_dword v4, off, s[0:3], 0 offset:404
	buffer_store_dword v3, off, s[0:3], 0 offset:400
	;; [unrolled: 1-line block ×4, first 2 shown]
.LBB92_111:
	s_or_b32 exec_lo, exec_lo, s4
	v_mov_b32_e32 v4, s15
	s_waitcnt_vscnt null, 0x0
	s_barrier
	buffer_gl0_inv
	s_mov_b32 s4, exec_lo
	s_clause 0x3
	buffer_load_dword v1, v4, s[0:3], 0 offen
	buffer_load_dword v2, v4, s[0:3], 0 offen offset:4
	buffer_load_dword v3, v4, s[0:3], 0 offen offset:8
	;; [unrolled: 1-line block ×3, first 2 shown]
	s_waitcnt vmcnt(0)
	ds_write_b128 v63, v[1:4]
	s_waitcnt lgkmcnt(0)
	s_barrier
	buffer_gl0_inv
	v_cmpx_gt_u32_e32 25, v0
	s_cbranch_execz .LBB92_115
; %bb.112:
	v_mov_b32_e32 v1, 0
	v_mov_b32_e32 v3, 0
	v_add_nc_u32_e32 v65, -1, v0
	v_add_nc_u32_e32 v66, 0x1d0, v69
	v_mov_b32_e32 v2, 0
	v_mov_b32_e32 v4, 0
	v_add_nc_u32_e32 v67, 16, v69
	s_mov_b32 s5, 0
	.p2align	6
.LBB92_113:                             ; =>This Inner Loop Header: Depth=1
	s_clause 0x3
	buffer_load_dword v74, v67, s[0:3], 0 offen offset:8
	buffer_load_dword v75, v67, s[0:3], 0 offen offset:12
	buffer_load_dword v76, v67, s[0:3], 0 offen
	buffer_load_dword v77, v67, s[0:3], 0 offen offset:4
	ds_read_b128 v[70:73], v66
	v_add_nc_u32_e32 v65, 1, v65
	v_add_nc_u32_e32 v66, 16, v66
	;; [unrolled: 1-line block ×3, first 2 shown]
	v_cmp_lt_u32_e32 vcc_lo, 23, v65
	s_or_b32 s5, vcc_lo, s5
	s_waitcnt vmcnt(2) lgkmcnt(0)
	v_mul_f64 v[78:79], v[72:73], v[74:75]
	v_mul_f64 v[74:75], v[70:71], v[74:75]
	s_waitcnt vmcnt(0)
	v_fma_f64 v[70:71], v[70:71], v[76:77], -v[78:79]
	v_fma_f64 v[72:73], v[72:73], v[76:77], v[74:75]
	v_add_f64 v[3:4], v[3:4], v[70:71]
	v_add_f64 v[1:2], v[1:2], v[72:73]
	s_andn2_b32 exec_lo, exec_lo, s5
	s_cbranch_execnz .LBB92_113
; %bb.114:
	s_or_b32 exec_lo, exec_lo, s5
	v_mov_b32_e32 v65, 0
	ds_read_b128 v[65:68], v65 offset:400
	s_waitcnt lgkmcnt(0)
	v_mul_f64 v[70:71], v[1:2], v[67:68]
	v_mul_f64 v[67:68], v[3:4], v[67:68]
	v_fma_f64 v[3:4], v[3:4], v[65:66], -v[70:71]
	v_fma_f64 v[1:2], v[1:2], v[65:66], v[67:68]
	buffer_store_dword v4, off, s[0:3], 0 offset:420
	buffer_store_dword v3, off, s[0:3], 0 offset:416
	;; [unrolled: 1-line block ×4, first 2 shown]
.LBB92_115:
	s_or_b32 exec_lo, exec_lo, s4
	v_mov_b32_e32 v4, s14
	s_waitcnt_vscnt null, 0x0
	s_barrier
	buffer_gl0_inv
	s_mov_b32 s4, exec_lo
	s_clause 0x3
	buffer_load_dword v1, v4, s[0:3], 0 offen
	buffer_load_dword v2, v4, s[0:3], 0 offen offset:4
	buffer_load_dword v3, v4, s[0:3], 0 offen offset:8
	buffer_load_dword v4, v4, s[0:3], 0 offen offset:12
	s_waitcnt vmcnt(0)
	ds_write_b128 v63, v[1:4]
	s_waitcnt lgkmcnt(0)
	s_barrier
	buffer_gl0_inv
	v_cmpx_gt_u32_e32 26, v0
	s_cbranch_execz .LBB92_119
; %bb.116:
	v_mov_b32_e32 v1, 0
	v_mov_b32_e32 v3, 0
	v_add_nc_u32_e32 v65, -1, v0
	v_add_nc_u32_e32 v66, 0x1d0, v69
	v_mov_b32_e32 v2, 0
	v_mov_b32_e32 v4, 0
	v_add_nc_u32_e32 v67, 16, v69
	s_mov_b32 s5, 0
	.p2align	6
.LBB92_117:                             ; =>This Inner Loop Header: Depth=1
	s_clause 0x3
	buffer_load_dword v74, v67, s[0:3], 0 offen offset:8
	buffer_load_dword v75, v67, s[0:3], 0 offen offset:12
	buffer_load_dword v76, v67, s[0:3], 0 offen
	buffer_load_dword v77, v67, s[0:3], 0 offen offset:4
	ds_read_b128 v[70:73], v66
	v_add_nc_u32_e32 v65, 1, v65
	v_add_nc_u32_e32 v66, 16, v66
	;; [unrolled: 1-line block ×3, first 2 shown]
	v_cmp_lt_u32_e32 vcc_lo, 24, v65
	s_or_b32 s5, vcc_lo, s5
	s_waitcnt vmcnt(2) lgkmcnt(0)
	v_mul_f64 v[78:79], v[72:73], v[74:75]
	v_mul_f64 v[74:75], v[70:71], v[74:75]
	s_waitcnt vmcnt(0)
	v_fma_f64 v[70:71], v[70:71], v[76:77], -v[78:79]
	v_fma_f64 v[72:73], v[72:73], v[76:77], v[74:75]
	v_add_f64 v[3:4], v[3:4], v[70:71]
	v_add_f64 v[1:2], v[1:2], v[72:73]
	s_andn2_b32 exec_lo, exec_lo, s5
	s_cbranch_execnz .LBB92_117
; %bb.118:
	s_or_b32 exec_lo, exec_lo, s5
	v_mov_b32_e32 v65, 0
	ds_read_b128 v[65:68], v65 offset:416
	s_waitcnt lgkmcnt(0)
	v_mul_f64 v[70:71], v[1:2], v[67:68]
	v_mul_f64 v[67:68], v[3:4], v[67:68]
	v_fma_f64 v[3:4], v[3:4], v[65:66], -v[70:71]
	v_fma_f64 v[1:2], v[1:2], v[65:66], v[67:68]
	buffer_store_dword v4, off, s[0:3], 0 offset:436
	buffer_store_dword v3, off, s[0:3], 0 offset:432
	;; [unrolled: 1-line block ×4, first 2 shown]
.LBB92_119:
	s_or_b32 exec_lo, exec_lo, s4
	v_mov_b32_e32 v4, s9
	s_waitcnt_vscnt null, 0x0
	s_barrier
	buffer_gl0_inv
	s_mov_b32 s4, exec_lo
	s_clause 0x3
	buffer_load_dword v1, v4, s[0:3], 0 offen
	buffer_load_dword v2, v4, s[0:3], 0 offen offset:4
	buffer_load_dword v3, v4, s[0:3], 0 offen offset:8
	;; [unrolled: 1-line block ×3, first 2 shown]
	s_waitcnt vmcnt(0)
	ds_write_b128 v63, v[1:4]
	s_waitcnt lgkmcnt(0)
	s_barrier
	buffer_gl0_inv
	v_cmpx_gt_u32_e32 27, v0
	s_cbranch_execz .LBB92_123
; %bb.120:
	v_mov_b32_e32 v1, 0
	v_mov_b32_e32 v3, 0
	v_add_nc_u32_e32 v65, -1, v0
	v_add_nc_u32_e32 v66, 0x1d0, v69
	v_mov_b32_e32 v2, 0
	v_mov_b32_e32 v4, 0
	v_add_nc_u32_e32 v67, 16, v69
	s_mov_b32 s5, 0
	.p2align	6
.LBB92_121:                             ; =>This Inner Loop Header: Depth=1
	s_clause 0x3
	buffer_load_dword v74, v67, s[0:3], 0 offen offset:8
	buffer_load_dword v75, v67, s[0:3], 0 offen offset:12
	buffer_load_dword v76, v67, s[0:3], 0 offen
	buffer_load_dword v77, v67, s[0:3], 0 offen offset:4
	ds_read_b128 v[70:73], v66
	v_add_nc_u32_e32 v65, 1, v65
	v_add_nc_u32_e32 v66, 16, v66
	v_add_nc_u32_e32 v67, 16, v67
	v_cmp_lt_u32_e32 vcc_lo, 25, v65
	s_or_b32 s5, vcc_lo, s5
	s_waitcnt vmcnt(2) lgkmcnt(0)
	v_mul_f64 v[78:79], v[72:73], v[74:75]
	v_mul_f64 v[74:75], v[70:71], v[74:75]
	s_waitcnt vmcnt(0)
	v_fma_f64 v[70:71], v[70:71], v[76:77], -v[78:79]
	v_fma_f64 v[72:73], v[72:73], v[76:77], v[74:75]
	v_add_f64 v[3:4], v[3:4], v[70:71]
	v_add_f64 v[1:2], v[1:2], v[72:73]
	s_andn2_b32 exec_lo, exec_lo, s5
	s_cbranch_execnz .LBB92_121
; %bb.122:
	s_or_b32 exec_lo, exec_lo, s5
	v_mov_b32_e32 v65, 0
	ds_read_b128 v[65:68], v65 offset:432
	s_waitcnt lgkmcnt(0)
	v_mul_f64 v[70:71], v[1:2], v[67:68]
	v_mul_f64 v[67:68], v[3:4], v[67:68]
	v_fma_f64 v[3:4], v[3:4], v[65:66], -v[70:71]
	v_fma_f64 v[1:2], v[1:2], v[65:66], v[67:68]
	buffer_store_dword v4, off, s[0:3], 0 offset:452
	buffer_store_dword v3, off, s[0:3], 0 offset:448
	buffer_store_dword v2, off, s[0:3], 0 offset:460
	buffer_store_dword v1, off, s[0:3], 0 offset:456
.LBB92_123:
	s_or_b32 exec_lo, exec_lo, s4
	v_mov_b32_e32 v4, s8
	s_waitcnt_vscnt null, 0x0
	s_barrier
	buffer_gl0_inv
	s_mov_b32 s4, exec_lo
	s_clause 0x3
	buffer_load_dword v1, v4, s[0:3], 0 offen
	buffer_load_dword v2, v4, s[0:3], 0 offen offset:4
	buffer_load_dword v3, v4, s[0:3], 0 offen offset:8
	;; [unrolled: 1-line block ×3, first 2 shown]
	s_waitcnt vmcnt(0)
	ds_write_b128 v63, v[1:4]
	s_waitcnt lgkmcnt(0)
	s_barrier
	buffer_gl0_inv
	v_cmpx_ne_u32_e32 28, v0
	s_cbranch_execz .LBB92_127
; %bb.124:
	v_mov_b32_e32 v1, 0
	v_mov_b32_e32 v3, 0
	;; [unrolled: 1-line block ×4, first 2 shown]
	v_add_nc_u32_e32 v65, 16, v69
	s_mov_b32 s5, 0
	.p2align	6
.LBB92_125:                             ; =>This Inner Loop Header: Depth=1
	s_clause 0x3
	buffer_load_dword v70, v65, s[0:3], 0 offen offset:8
	buffer_load_dword v71, v65, s[0:3], 0 offen offset:12
	buffer_load_dword v72, v65, s[0:3], 0 offen
	buffer_load_dword v73, v65, s[0:3], 0 offen offset:4
	ds_read_b128 v[66:69], v63
	v_add_nc_u32_e32 v64, 1, v64
	v_add_nc_u32_e32 v63, 16, v63
	v_add_nc_u32_e32 v65, 16, v65
	v_cmp_lt_u32_e32 vcc_lo, 26, v64
	s_or_b32 s5, vcc_lo, s5
	s_waitcnt vmcnt(2) lgkmcnt(0)
	v_mul_f64 v[74:75], v[68:69], v[70:71]
	v_mul_f64 v[70:71], v[66:67], v[70:71]
	s_waitcnt vmcnt(0)
	v_fma_f64 v[66:67], v[66:67], v[72:73], -v[74:75]
	v_fma_f64 v[68:69], v[68:69], v[72:73], v[70:71]
	v_add_f64 v[3:4], v[3:4], v[66:67]
	v_add_f64 v[1:2], v[1:2], v[68:69]
	s_andn2_b32 exec_lo, exec_lo, s5
	s_cbranch_execnz .LBB92_125
; %bb.126:
	s_or_b32 exec_lo, exec_lo, s5
	v_mov_b32_e32 v63, 0
	ds_read_b128 v[63:66], v63 offset:448
	s_waitcnt lgkmcnt(0)
	v_mul_f64 v[67:68], v[1:2], v[65:66]
	v_mul_f64 v[65:66], v[3:4], v[65:66]
	v_fma_f64 v[3:4], v[3:4], v[63:64], -v[67:68]
	v_fma_f64 v[1:2], v[1:2], v[63:64], v[65:66]
	buffer_store_dword v4, off, s[0:3], 0 offset:468
	buffer_store_dword v3, off, s[0:3], 0 offset:464
	;; [unrolled: 1-line block ×4, first 2 shown]
.LBB92_127:
	s_or_b32 exec_lo, exec_lo, s4
	s_mov_b32 s5, -1
	s_waitcnt_vscnt null, 0x0
	s_barrier
	buffer_gl0_inv
.LBB92_128:
	s_and_b32 vcc_lo, exec_lo, s5
	s_cbranch_vccz .LBB92_130
; %bb.129:
	s_lshl_b64 s[4:5], s[6:7], 2
	v_mov_b32_e32 v1, 0
	s_add_u32 s4, s10, s4
	s_addc_u32 s5, s11, s5
	global_load_dword v1, v1, s[4:5]
	s_waitcnt vmcnt(0)
	v_cmp_ne_u32_e32 vcc_lo, 0, v1
	s_cbranch_vccz .LBB92_131
.LBB92_130:
	s_endpgm
.LBB92_131:
	v_lshl_add_u32 v1, v0, 4, 0x1d0
	s_mov_b32 s4, exec_lo
	v_cmpx_eq_u32_e32 28, v0
	s_cbranch_execz .LBB92_133
; %bb.132:
	v_mov_b32_e32 v2, s9
	s_clause 0x3
	buffer_load_dword v63, v2, s[0:3], 0 offen
	buffer_load_dword v64, v2, s[0:3], 0 offen offset:4
	buffer_load_dword v65, v2, s[0:3], 0 offen offset:8
	;; [unrolled: 1-line block ×3, first 2 shown]
	v_mov_b32_e32 v2, 0
	buffer_store_dword v2, off, s[0:3], 0 offset:448
	buffer_store_dword v2, off, s[0:3], 0 offset:452
	;; [unrolled: 1-line block ×4, first 2 shown]
	s_waitcnt vmcnt(0)
	ds_write_b128 v1, v[63:66]
.LBB92_133:
	s_or_b32 exec_lo, exec_lo, s4
	s_waitcnt lgkmcnt(0)
	s_waitcnt_vscnt null, 0x0
	s_barrier
	buffer_gl0_inv
	s_clause 0x7
	buffer_load_dword v3, off, s[0:3], 0 offset:472
	buffer_load_dword v4, off, s[0:3], 0 offset:476
	;; [unrolled: 1-line block ×8, first 2 shown]
	v_mov_b32_e32 v2, 0
	s_mov_b32 s4, exec_lo
	ds_read_b128 v[63:66], v2 offset:912
	s_waitcnt vmcnt(6) lgkmcnt(0)
	v_mul_f64 v[73:74], v[65:66], v[3:4]
	v_mul_f64 v[3:4], v[63:64], v[3:4]
	s_waitcnt vmcnt(4)
	v_fma_f64 v[63:64], v[63:64], v[67:68], -v[73:74]
	v_fma_f64 v[3:4], v[65:66], v[67:68], v[3:4]
	v_add_f64 v[63:64], v[63:64], 0
	v_add_f64 v[3:4], v[3:4], 0
	s_waitcnt vmcnt(2)
	v_add_f64 v[63:64], v[69:70], -v[63:64]
	s_waitcnt vmcnt(0)
	v_add_f64 v[3:4], v[71:72], -v[3:4]
	buffer_store_dword v63, off, s[0:3], 0 offset:448
	buffer_store_dword v64, off, s[0:3], 0 offset:452
	;; [unrolled: 1-line block ×4, first 2 shown]
	v_cmpx_lt_u32_e32 26, v0
	s_cbranch_execz .LBB92_135
; %bb.134:
	v_mov_b32_e32 v3, s14
	s_clause 0x3
	buffer_load_dword v63, v3, s[0:3], 0 offen
	buffer_load_dword v64, v3, s[0:3], 0 offen offset:4
	buffer_load_dword v65, v3, s[0:3], 0 offen offset:8
	;; [unrolled: 1-line block ×3, first 2 shown]
	buffer_store_dword v2, off, s[0:3], 0 offset:432
	buffer_store_dword v2, off, s[0:3], 0 offset:436
	;; [unrolled: 1-line block ×4, first 2 shown]
	s_waitcnt vmcnt(0)
	ds_write_b128 v1, v[63:66]
.LBB92_135:
	s_or_b32 exec_lo, exec_lo, s4
	s_waitcnt lgkmcnt(0)
	s_waitcnt_vscnt null, 0x0
	s_barrier
	buffer_gl0_inv
	s_clause 0xb
	buffer_load_dword v3, off, s[0:3], 0 offset:456
	buffer_load_dword v4, off, s[0:3], 0 offset:460
	;; [unrolled: 1-line block ×12, first 2 shown]
	ds_read_b128 v[63:66], v2 offset:896
	ds_read_b128 v[67:70], v2 offset:912
	s_mov_b32 s4, exec_lo
	s_waitcnt vmcnt(10) lgkmcnt(1)
	v_mul_f64 v[81:82], v[65:66], v[3:4]
	v_mul_f64 v[2:3], v[63:64], v[3:4]
	s_waitcnt vmcnt(8) lgkmcnt(0)
	v_mul_f64 v[83:84], v[69:70], v[71:72]
	v_mul_f64 v[71:72], v[67:68], v[71:72]
	s_waitcnt vmcnt(6)
	v_fma_f64 v[63:64], v[63:64], v[73:74], -v[81:82]
	v_fma_f64 v[2:3], v[65:66], v[73:74], v[2:3]
	s_waitcnt vmcnt(4)
	v_fma_f64 v[65:66], v[67:68], v[75:76], -v[83:84]
	v_fma_f64 v[67:68], v[69:70], v[75:76], v[71:72]
	v_add_f64 v[63:64], v[63:64], 0
	v_add_f64 v[2:3], v[2:3], 0
	;; [unrolled: 1-line block ×4, first 2 shown]
	s_waitcnt vmcnt(2)
	v_add_f64 v[63:64], v[77:78], -v[63:64]
	s_waitcnt vmcnt(0)
	v_add_f64 v[2:3], v[79:80], -v[2:3]
	buffer_store_dword v63, off, s[0:3], 0 offset:432
	buffer_store_dword v64, off, s[0:3], 0 offset:436
	;; [unrolled: 1-line block ×4, first 2 shown]
	v_cmpx_lt_u32_e32 25, v0
	s_cbranch_execz .LBB92_137
; %bb.136:
	v_mov_b32_e32 v2, s15
	s_clause 0x3
	buffer_load_dword v63, v2, s[0:3], 0 offen
	buffer_load_dword v64, v2, s[0:3], 0 offen offset:4
	buffer_load_dword v65, v2, s[0:3], 0 offen offset:8
	;; [unrolled: 1-line block ×3, first 2 shown]
	v_mov_b32_e32 v2, 0
	buffer_store_dword v2, off, s[0:3], 0 offset:416
	buffer_store_dword v2, off, s[0:3], 0 offset:420
	;; [unrolled: 1-line block ×4, first 2 shown]
	s_waitcnt vmcnt(0)
	ds_write_b128 v1, v[63:66]
.LBB92_137:
	s_or_b32 exec_lo, exec_lo, s4
	s_waitcnt lgkmcnt(0)
	s_waitcnt_vscnt null, 0x0
	s_barrier
	buffer_gl0_inv
	s_clause 0xf
	buffer_load_dword v3, off, s[0:3], 0 offset:440
	buffer_load_dword v4, off, s[0:3], 0 offset:444
	;; [unrolled: 1-line block ×16, first 2 shown]
	v_mov_b32_e32 v2, 0
	ds_read_b128 v[63:66], v2 offset:880
	ds_read_b128 v[67:70], v2 offset:896
	;; [unrolled: 1-line block ×3, first 2 shown]
	s_mov_b32 s4, exec_lo
	s_waitcnt vmcnt(14) lgkmcnt(2)
	v_mul_f64 v[89:90], v[65:66], v[3:4]
	v_mul_f64 v[3:4], v[63:64], v[3:4]
	s_waitcnt vmcnt(12) lgkmcnt(1)
	v_mul_f64 v[91:92], v[69:70], v[75:76]
	v_mul_f64 v[75:76], v[67:68], v[75:76]
	s_waitcnt vmcnt(10)
	v_fma_f64 v[63:64], v[63:64], v[77:78], -v[89:90]
	v_fma_f64 v[3:4], v[65:66], v[77:78], v[3:4]
	s_waitcnt vmcnt(8) lgkmcnt(0)
	v_mul_f64 v[77:78], v[73:74], v[79:80]
	s_waitcnt vmcnt(6)
	v_fma_f64 v[67:68], v[67:68], v[81:82], -v[91:92]
	v_mul_f64 v[65:66], v[71:72], v[79:80]
	v_fma_f64 v[69:70], v[69:70], v[81:82], v[75:76]
	v_add_f64 v[63:64], v[63:64], 0
	v_add_f64 v[3:4], v[3:4], 0
	s_waitcnt vmcnt(4)
	v_fma_f64 v[71:72], v[71:72], v[83:84], -v[77:78]
	v_fma_f64 v[65:66], v[73:74], v[83:84], v[65:66]
	v_add_f64 v[63:64], v[63:64], v[67:68]
	v_add_f64 v[3:4], v[3:4], v[69:70]
	;; [unrolled: 1-line block ×4, first 2 shown]
	s_waitcnt vmcnt(2)
	v_add_f64 v[63:64], v[85:86], -v[63:64]
	s_waitcnt vmcnt(0)
	v_add_f64 v[3:4], v[87:88], -v[3:4]
	buffer_store_dword v63, off, s[0:3], 0 offset:416
	buffer_store_dword v64, off, s[0:3], 0 offset:420
	;; [unrolled: 1-line block ×4, first 2 shown]
	v_cmpx_lt_u32_e32 24, v0
	s_cbranch_execz .LBB92_139
; %bb.138:
	v_mov_b32_e32 v3, s16
	s_clause 0x3
	buffer_load_dword v63, v3, s[0:3], 0 offen
	buffer_load_dword v64, v3, s[0:3], 0 offen offset:4
	buffer_load_dword v65, v3, s[0:3], 0 offen offset:8
	;; [unrolled: 1-line block ×3, first 2 shown]
	buffer_store_dword v2, off, s[0:3], 0 offset:400
	buffer_store_dword v2, off, s[0:3], 0 offset:404
	;; [unrolled: 1-line block ×4, first 2 shown]
	s_waitcnt vmcnt(0)
	ds_write_b128 v1, v[63:66]
.LBB92_139:
	s_or_b32 exec_lo, exec_lo, s4
	s_waitcnt lgkmcnt(0)
	s_waitcnt_vscnt null, 0x0
	s_barrier
	buffer_gl0_inv
	s_clause 0x13
	buffer_load_dword v3, off, s[0:3], 0 offset:424
	buffer_load_dword v4, off, s[0:3], 0 offset:428
	buffer_load_dword v75, off, s[0:3], 0 offset:440
	buffer_load_dword v76, off, s[0:3], 0 offset:444
	buffer_load_dword v77, off, s[0:3], 0 offset:416
	buffer_load_dword v78, off, s[0:3], 0 offset:420
	buffer_load_dword v79, off, s[0:3], 0 offset:456
	buffer_load_dword v80, off, s[0:3], 0 offset:460
	buffer_load_dword v81, off, s[0:3], 0 offset:432
	buffer_load_dword v82, off, s[0:3], 0 offset:436
	buffer_load_dword v84, off, s[0:3], 0 offset:476
	buffer_load_dword v83, off, s[0:3], 0 offset:472
	buffer_load_dword v85, off, s[0:3], 0 offset:448
	buffer_load_dword v86, off, s[0:3], 0 offset:452
	buffer_load_dword v88, off, s[0:3], 0 offset:468
	buffer_load_dword v87, off, s[0:3], 0 offset:464
	buffer_load_dword v89, off, s[0:3], 0 offset:400
	buffer_load_dword v90, off, s[0:3], 0 offset:404
	buffer_load_dword v91, off, s[0:3], 0 offset:408
	buffer_load_dword v92, off, s[0:3], 0 offset:412
	ds_read_b128 v[63:66], v2 offset:864
	ds_read_b128 v[67:70], v2 offset:880
	;; [unrolled: 1-line block ×3, first 2 shown]
	s_mov_b32 s4, exec_lo
	s_waitcnt vmcnt(18) lgkmcnt(2)
	v_mul_f64 v[93:94], v[65:66], v[3:4]
	v_mul_f64 v[3:4], v[63:64], v[3:4]
	s_waitcnt vmcnt(16) lgkmcnt(1)
	v_mul_f64 v[95:96], v[69:70], v[75:76]
	v_mul_f64 v[75:76], v[67:68], v[75:76]
	s_waitcnt vmcnt(14)
	v_fma_f64 v[93:94], v[63:64], v[77:78], -v[93:94]
	v_fma_f64 v[3:4], v[65:66], v[77:78], v[3:4]
	ds_read_b128 v[63:66], v2 offset:912
	s_waitcnt vmcnt(12) lgkmcnt(1)
	v_mul_f64 v[77:78], v[71:72], v[79:80]
	v_mul_f64 v[79:80], v[73:74], v[79:80]
	s_waitcnt vmcnt(10)
	v_fma_f64 v[67:68], v[67:68], v[81:82], -v[95:96]
	v_fma_f64 v[69:70], v[69:70], v[81:82], v[75:76]
	s_waitcnt vmcnt(8) lgkmcnt(0)
	v_mul_f64 v[81:82], v[65:66], v[83:84]
	v_add_f64 v[93:94], v[93:94], 0
	v_add_f64 v[2:3], v[3:4], 0
	v_mul_f64 v[75:76], v[63:64], v[83:84]
	s_waitcnt vmcnt(6)
	v_fma_f64 v[71:72], v[71:72], v[85:86], -v[79:80]
	v_fma_f64 v[73:74], v[73:74], v[85:86], v[77:78]
	s_waitcnt vmcnt(4)
	v_fma_f64 v[63:64], v[63:64], v[87:88], -v[81:82]
	v_add_f64 v[67:68], v[93:94], v[67:68]
	v_add_f64 v[2:3], v[2:3], v[69:70]
	v_fma_f64 v[65:66], v[65:66], v[87:88], v[75:76]
	v_add_f64 v[67:68], v[67:68], v[71:72]
	v_add_f64 v[2:3], v[2:3], v[73:74]
	;; [unrolled: 1-line block ×4, first 2 shown]
	s_waitcnt vmcnt(2)
	v_add_f64 v[63:64], v[89:90], -v[63:64]
	s_waitcnt vmcnt(0)
	v_add_f64 v[2:3], v[91:92], -v[2:3]
	buffer_store_dword v63, off, s[0:3], 0 offset:400
	buffer_store_dword v64, off, s[0:3], 0 offset:404
	;; [unrolled: 1-line block ×4, first 2 shown]
	v_cmpx_lt_u32_e32 23, v0
	s_cbranch_execz .LBB92_141
; %bb.140:
	v_mov_b32_e32 v2, s17
	s_clause 0x3
	buffer_load_dword v63, v2, s[0:3], 0 offen
	buffer_load_dword v64, v2, s[0:3], 0 offen offset:4
	buffer_load_dword v65, v2, s[0:3], 0 offen offset:8
	;; [unrolled: 1-line block ×3, first 2 shown]
	v_mov_b32_e32 v2, 0
	buffer_store_dword v2, off, s[0:3], 0 offset:384
	buffer_store_dword v2, off, s[0:3], 0 offset:388
	;; [unrolled: 1-line block ×4, first 2 shown]
	s_waitcnt vmcnt(0)
	ds_write_b128 v1, v[63:66]
.LBB92_141:
	s_or_b32 exec_lo, exec_lo, s4
	s_waitcnt lgkmcnt(0)
	s_waitcnt_vscnt null, 0x0
	s_barrier
	buffer_gl0_inv
	s_clause 0x17
	buffer_load_dword v3, off, s[0:3], 0 offset:408
	buffer_load_dword v4, off, s[0:3], 0 offset:412
	buffer_load_dword v75, off, s[0:3], 0 offset:424
	buffer_load_dword v76, off, s[0:3], 0 offset:428
	buffer_load_dword v77, off, s[0:3], 0 offset:400
	buffer_load_dword v78, off, s[0:3], 0 offset:404
	buffer_load_dword v79, off, s[0:3], 0 offset:440
	buffer_load_dword v80, off, s[0:3], 0 offset:444
	buffer_load_dword v81, off, s[0:3], 0 offset:416
	buffer_load_dword v82, off, s[0:3], 0 offset:420
	buffer_load_dword v84, off, s[0:3], 0 offset:460
	buffer_load_dword v85, off, s[0:3], 0 offset:472
	buffer_load_dword v87, off, s[0:3], 0 offset:464
	buffer_load_dword v83, off, s[0:3], 0 offset:456
	buffer_load_dword v89, off, s[0:3], 0 offset:432
	buffer_load_dword v90, off, s[0:3], 0 offset:436
	buffer_load_dword v86, off, s[0:3], 0 offset:476
	buffer_load_dword v92, off, s[0:3], 0 offset:452
	buffer_load_dword v91, off, s[0:3], 0 offset:448
	buffer_load_dword v88, off, s[0:3], 0 offset:468
	buffer_load_dword v93, off, s[0:3], 0 offset:384
	buffer_load_dword v94, off, s[0:3], 0 offset:388
	buffer_load_dword v95, off, s[0:3], 0 offset:392
	buffer_load_dword v96, off, s[0:3], 0 offset:396
	v_mov_b32_e32 v2, 0
	ds_read_b128 v[63:66], v2 offset:848
	ds_read_b128 v[67:70], v2 offset:864
	ds_read_b128 v[71:74], v2 offset:880
	s_mov_b32 s4, exec_lo
	s_waitcnt vmcnt(22) lgkmcnt(2)
	v_mul_f64 v[97:98], v[65:66], v[3:4]
	v_mul_f64 v[3:4], v[63:64], v[3:4]
	s_waitcnt vmcnt(20) lgkmcnt(1)
	v_mul_f64 v[99:100], v[69:70], v[75:76]
	v_mul_f64 v[75:76], v[67:68], v[75:76]
	s_waitcnt vmcnt(18)
	v_fma_f64 v[97:98], v[63:64], v[77:78], -v[97:98]
	v_fma_f64 v[3:4], v[65:66], v[77:78], v[3:4]
	ds_read_b128 v[63:66], v2 offset:896
	s_waitcnt vmcnt(16) lgkmcnt(1)
	v_mul_f64 v[77:78], v[71:72], v[79:80]
	v_mul_f64 v[79:80], v[73:74], v[79:80]
	s_waitcnt vmcnt(14)
	v_fma_f64 v[99:100], v[67:68], v[81:82], -v[99:100]
	v_fma_f64 v[75:76], v[69:70], v[81:82], v[75:76]
	ds_read_b128 v[67:70], v2 offset:912
	s_waitcnt vmcnt(10) lgkmcnt(1)
	v_mul_f64 v[81:82], v[63:64], v[83:84]
	v_add_f64 v[97:98], v[97:98], 0
	v_add_f64 v[3:4], v[3:4], 0
	v_mul_f64 v[83:84], v[65:66], v[83:84]
	s_waitcnt vmcnt(8)
	v_fma_f64 v[71:72], v[71:72], v[89:90], -v[79:80]
	v_fma_f64 v[73:74], v[73:74], v[89:90], v[77:78]
	s_waitcnt vmcnt(7) lgkmcnt(0)
	v_mul_f64 v[77:78], v[69:70], v[85:86]
	s_waitcnt vmcnt(5)
	v_fma_f64 v[65:66], v[65:66], v[91:92], v[81:82]
	v_add_f64 v[79:80], v[97:98], v[99:100]
	v_add_f64 v[3:4], v[3:4], v[75:76]
	v_fma_f64 v[63:64], v[63:64], v[91:92], -v[83:84]
	v_mul_f64 v[75:76], v[67:68], v[85:86]
	s_waitcnt vmcnt(4)
	v_fma_f64 v[67:68], v[67:68], v[87:88], -v[77:78]
	v_add_f64 v[71:72], v[79:80], v[71:72]
	v_add_f64 v[3:4], v[3:4], v[73:74]
	v_fma_f64 v[69:70], v[69:70], v[87:88], v[75:76]
	v_add_f64 v[63:64], v[71:72], v[63:64]
	v_add_f64 v[3:4], v[3:4], v[65:66]
	v_add_f64 v[63:64], v[63:64], v[67:68]
	v_add_f64 v[3:4], v[3:4], v[69:70]
	s_waitcnt vmcnt(2)
	v_add_f64 v[63:64], v[93:94], -v[63:64]
	s_waitcnt vmcnt(0)
	v_add_f64 v[3:4], v[95:96], -v[3:4]
	buffer_store_dword v64, off, s[0:3], 0 offset:388
	buffer_store_dword v63, off, s[0:3], 0 offset:384
	buffer_store_dword v4, off, s[0:3], 0 offset:396
	buffer_store_dword v3, off, s[0:3], 0 offset:392
	v_cmpx_lt_u32_e32 22, v0
	s_cbranch_execz .LBB92_143
; %bb.142:
	v_mov_b32_e32 v3, s18
	s_clause 0x3
	buffer_load_dword v63, v3, s[0:3], 0 offen
	buffer_load_dword v64, v3, s[0:3], 0 offen offset:4
	buffer_load_dword v65, v3, s[0:3], 0 offen offset:8
	;; [unrolled: 1-line block ×3, first 2 shown]
	buffer_store_dword v2, off, s[0:3], 0 offset:368
	buffer_store_dword v2, off, s[0:3], 0 offset:372
	buffer_store_dword v2, off, s[0:3], 0 offset:376
	buffer_store_dword v2, off, s[0:3], 0 offset:380
	s_waitcnt vmcnt(0)
	ds_write_b128 v1, v[63:66]
.LBB92_143:
	s_or_b32 exec_lo, exec_lo, s4
	s_waitcnt lgkmcnt(0)
	s_waitcnt_vscnt null, 0x0
	s_barrier
	buffer_gl0_inv
	s_clause 0x1b
	buffer_load_dword v3, off, s[0:3], 0 offset:392
	buffer_load_dword v4, off, s[0:3], 0 offset:396
	;; [unrolled: 1-line block ×28, first 2 shown]
	ds_read_b128 v[63:66], v2 offset:832
	ds_read_b128 v[67:70], v2 offset:848
	;; [unrolled: 1-line block ×3, first 2 shown]
	s_mov_b32 s4, exec_lo
	s_waitcnt vmcnt(26) lgkmcnt(2)
	v_mul_f64 v[101:102], v[65:66], v[3:4]
	v_mul_f64 v[3:4], v[63:64], v[3:4]
	s_waitcnt vmcnt(24) lgkmcnt(1)
	v_mul_f64 v[103:104], v[69:70], v[75:76]
	v_mul_f64 v[75:76], v[67:68], v[75:76]
	s_waitcnt vmcnt(22)
	v_fma_f64 v[101:102], v[63:64], v[77:78], -v[101:102]
	v_fma_f64 v[3:4], v[65:66], v[77:78], v[3:4]
	ds_read_b128 v[63:66], v2 offset:880
	s_waitcnt vmcnt(20) lgkmcnt(1)
	v_mul_f64 v[77:78], v[71:72], v[79:80]
	v_mul_f64 v[79:80], v[73:74], v[79:80]
	s_waitcnt vmcnt(18)
	v_fma_f64 v[103:104], v[67:68], v[81:82], -v[103:104]
	v_fma_f64 v[75:76], v[69:70], v[81:82], v[75:76]
	ds_read_b128 v[67:70], v2 offset:896
	s_waitcnt vmcnt(14) lgkmcnt(1)
	v_mul_f64 v[81:82], v[63:64], v[83:84]
	v_add_f64 v[101:102], v[101:102], 0
	v_add_f64 v[3:4], v[3:4], 0
	v_mul_f64 v[83:84], v[65:66], v[83:84]
	s_waitcnt vmcnt(12)
	v_fma_f64 v[79:80], v[71:72], v[89:90], -v[79:80]
	v_fma_f64 v[77:78], v[73:74], v[89:90], v[77:78]
	ds_read_b128 v[71:74], v2 offset:912
	s_waitcnt vmcnt(9)
	v_fma_f64 v[65:66], v[65:66], v[91:92], v[81:82]
	v_add_f64 v[101:102], v[101:102], v[103:104]
	v_add_f64 v[3:4], v[3:4], v[75:76]
	s_waitcnt lgkmcnt(1)
	v_mul_f64 v[75:76], v[67:68], v[85:86]
	v_mul_f64 v[85:86], v[69:70], v[85:86]
	v_fma_f64 v[63:64], v[63:64], v[91:92], -v[83:84]
	s_waitcnt vmcnt(7) lgkmcnt(0)
	v_mul_f64 v[81:82], v[73:74], v[93:94]
	v_add_f64 v[79:80], v[101:102], v[79:80]
	v_add_f64 v[2:3], v[3:4], v[77:78]
	v_mul_f64 v[77:78], v[71:72], v[93:94]
	s_waitcnt vmcnt(6)
	v_fma_f64 v[67:68], v[67:68], v[87:88], -v[85:86]
	v_fma_f64 v[69:70], v[69:70], v[87:88], v[75:76]
	v_add_f64 v[63:64], v[79:80], v[63:64]
	v_add_f64 v[2:3], v[2:3], v[65:66]
	s_waitcnt vmcnt(4)
	v_fma_f64 v[65:66], v[71:72], v[95:96], -v[81:82]
	v_add_f64 v[63:64], v[63:64], v[67:68]
	v_fma_f64 v[67:68], v[73:74], v[95:96], v[77:78]
	v_add_f64 v[2:3], v[2:3], v[69:70]
	v_add_f64 v[63:64], v[63:64], v[65:66]
	;; [unrolled: 1-line block ×3, first 2 shown]
	s_waitcnt vmcnt(2)
	v_add_f64 v[63:64], v[97:98], -v[63:64]
	s_waitcnt vmcnt(0)
	v_add_f64 v[2:3], v[99:100], -v[2:3]
	buffer_store_dword v64, off, s[0:3], 0 offset:372
	buffer_store_dword v63, off, s[0:3], 0 offset:368
	;; [unrolled: 1-line block ×4, first 2 shown]
	v_cmpx_lt_u32_e32 21, v0
	s_cbranch_execz .LBB92_145
; %bb.144:
	v_mov_b32_e32 v2, s19
	s_clause 0x3
	buffer_load_dword v63, v2, s[0:3], 0 offen
	buffer_load_dword v64, v2, s[0:3], 0 offen offset:4
	buffer_load_dword v65, v2, s[0:3], 0 offen offset:8
	;; [unrolled: 1-line block ×3, first 2 shown]
	v_mov_b32_e32 v2, 0
	buffer_store_dword v2, off, s[0:3], 0 offset:352
	buffer_store_dword v2, off, s[0:3], 0 offset:356
	;; [unrolled: 1-line block ×4, first 2 shown]
	s_waitcnt vmcnt(0)
	ds_write_b128 v1, v[63:66]
.LBB92_145:
	s_or_b32 exec_lo, exec_lo, s4
	s_waitcnt lgkmcnt(0)
	s_waitcnt_vscnt null, 0x0
	s_barrier
	buffer_gl0_inv
	s_clause 0x1f
	buffer_load_dword v3, off, s[0:3], 0 offset:376
	buffer_load_dword v4, off, s[0:3], 0 offset:380
	;; [unrolled: 1-line block ×32, first 2 shown]
	v_mov_b32_e32 v2, 0
	ds_read_b128 v[63:66], v2 offset:816
	ds_read_b128 v[67:70], v2 offset:832
	ds_read_b128 v[71:74], v2 offset:848
	s_mov_b32 s4, exec_lo
	s_waitcnt vmcnt(30) lgkmcnt(2)
	v_mul_f64 v[105:106], v[65:66], v[3:4]
	v_mul_f64 v[3:4], v[63:64], v[3:4]
	s_waitcnt vmcnt(28) lgkmcnt(1)
	v_mul_f64 v[107:108], v[69:70], v[75:76]
	v_mul_f64 v[75:76], v[67:68], v[75:76]
	s_waitcnt vmcnt(26)
	v_fma_f64 v[105:106], v[63:64], v[77:78], -v[105:106]
	v_fma_f64 v[3:4], v[65:66], v[77:78], v[3:4]
	ds_read_b128 v[63:66], v2 offset:864
	s_waitcnt vmcnt(24) lgkmcnt(1)
	v_mul_f64 v[77:78], v[71:72], v[79:80]
	v_mul_f64 v[79:80], v[73:74], v[79:80]
	s_waitcnt vmcnt(22)
	v_fma_f64 v[107:108], v[67:68], v[81:82], -v[107:108]
	v_fma_f64 v[75:76], v[69:70], v[81:82], v[75:76]
	ds_read_b128 v[67:70], v2 offset:880
	s_waitcnt vmcnt(18) lgkmcnt(1)
	v_mul_f64 v[81:82], v[63:64], v[83:84]
	v_add_f64 v[105:106], v[105:106], 0
	v_add_f64 v[3:4], v[3:4], 0
	v_mul_f64 v[83:84], v[65:66], v[83:84]
	s_waitcnt vmcnt(16)
	v_fma_f64 v[79:80], v[71:72], v[89:90], -v[79:80]
	v_fma_f64 v[77:78], v[73:74], v[89:90], v[77:78]
	ds_read_b128 v[71:74], v2 offset:896
	s_waitcnt vmcnt(13)
	v_fma_f64 v[81:82], v[65:66], v[91:92], v[81:82]
	v_add_f64 v[105:106], v[105:106], v[107:108]
	v_add_f64 v[3:4], v[3:4], v[75:76]
	s_waitcnt lgkmcnt(1)
	v_mul_f64 v[75:76], v[67:68], v[85:86]
	v_mul_f64 v[85:86], v[69:70], v[85:86]
	v_fma_f64 v[83:84], v[63:64], v[91:92], -v[83:84]
	s_waitcnt vmcnt(9) lgkmcnt(0)
	v_mul_f64 v[89:90], v[73:74], v[93:94]
	ds_read_b128 v[63:66], v2 offset:912
	v_add_f64 v[79:80], v[105:106], v[79:80]
	v_add_f64 v[3:4], v[3:4], v[77:78]
	v_mul_f64 v[77:78], v[71:72], v[93:94]
	s_waitcnt vmcnt(8)
	v_fma_f64 v[67:68], v[67:68], v[87:88], -v[85:86]
	v_fma_f64 v[69:70], v[69:70], v[87:88], v[75:76]
	s_waitcnt vmcnt(5)
	v_fma_f64 v[71:72], v[71:72], v[99:100], -v[89:90]
	s_waitcnt lgkmcnt(0)
	v_mul_f64 v[75:76], v[63:64], v[95:96]
	v_add_f64 v[79:80], v[79:80], v[83:84]
	v_add_f64 v[3:4], v[3:4], v[81:82]
	v_mul_f64 v[81:82], v[65:66], v[95:96]
	v_fma_f64 v[73:74], v[73:74], v[99:100], v[77:78]
	s_waitcnt vmcnt(4)
	v_fma_f64 v[65:66], v[65:66], v[97:98], v[75:76]
	v_add_f64 v[67:68], v[79:80], v[67:68]
	v_add_f64 v[3:4], v[3:4], v[69:70]
	v_fma_f64 v[63:64], v[63:64], v[97:98], -v[81:82]
	v_add_f64 v[67:68], v[67:68], v[71:72]
	v_add_f64 v[3:4], v[3:4], v[73:74]
	;; [unrolled: 1-line block ×4, first 2 shown]
	s_waitcnt vmcnt(2)
	v_add_f64 v[63:64], v[101:102], -v[63:64]
	s_waitcnt vmcnt(0)
	v_add_f64 v[3:4], v[103:104], -v[3:4]
	buffer_store_dword v64, off, s[0:3], 0 offset:356
	buffer_store_dword v63, off, s[0:3], 0 offset:352
	;; [unrolled: 1-line block ×4, first 2 shown]
	v_cmpx_lt_u32_e32 20, v0
	s_cbranch_execz .LBB92_147
; %bb.146:
	v_mov_b32_e32 v3, s20
	s_clause 0x3
	buffer_load_dword v63, v3, s[0:3], 0 offen
	buffer_load_dword v64, v3, s[0:3], 0 offen offset:4
	buffer_load_dword v65, v3, s[0:3], 0 offen offset:8
	;; [unrolled: 1-line block ×3, first 2 shown]
	buffer_store_dword v2, off, s[0:3], 0 offset:336
	buffer_store_dword v2, off, s[0:3], 0 offset:340
	buffer_store_dword v2, off, s[0:3], 0 offset:344
	buffer_store_dword v2, off, s[0:3], 0 offset:348
	s_waitcnt vmcnt(0)
	ds_write_b128 v1, v[63:66]
.LBB92_147:
	s_or_b32 exec_lo, exec_lo, s4
	s_waitcnt lgkmcnt(0)
	s_waitcnt_vscnt null, 0x0
	s_barrier
	buffer_gl0_inv
	s_clause 0x23
	buffer_load_dword v3, off, s[0:3], 0 offset:360
	buffer_load_dword v4, off, s[0:3], 0 offset:364
	;; [unrolled: 1-line block ×36, first 2 shown]
	ds_read_b128 v[63:66], v2 offset:800
	ds_read_b128 v[67:70], v2 offset:816
	;; [unrolled: 1-line block ×3, first 2 shown]
	s_mov_b32 s4, exec_lo
	s_waitcnt vmcnt(34) lgkmcnt(2)
	v_mul_f64 v[109:110], v[65:66], v[3:4]
	v_mul_f64 v[3:4], v[63:64], v[3:4]
	s_waitcnt vmcnt(32) lgkmcnt(1)
	v_mul_f64 v[111:112], v[69:70], v[75:76]
	v_mul_f64 v[75:76], v[67:68], v[75:76]
	s_waitcnt vmcnt(30)
	v_fma_f64 v[109:110], v[63:64], v[77:78], -v[109:110]
	v_fma_f64 v[3:4], v[65:66], v[77:78], v[3:4]
	ds_read_b128 v[63:66], v2 offset:848
	s_waitcnt vmcnt(28) lgkmcnt(1)
	v_mul_f64 v[77:78], v[71:72], v[79:80]
	v_mul_f64 v[79:80], v[73:74], v[79:80]
	s_waitcnt vmcnt(26)
	v_fma_f64 v[111:112], v[67:68], v[81:82], -v[111:112]
	v_fma_f64 v[75:76], v[69:70], v[81:82], v[75:76]
	ds_read_b128 v[67:70], v2 offset:864
	s_waitcnt vmcnt(22) lgkmcnt(1)
	v_mul_f64 v[81:82], v[63:64], v[83:84]
	v_add_f64 v[109:110], v[109:110], 0
	v_add_f64 v[3:4], v[3:4], 0
	v_mul_f64 v[83:84], v[65:66], v[83:84]
	s_waitcnt vmcnt(20)
	v_fma_f64 v[79:80], v[71:72], v[89:90], -v[79:80]
	v_fma_f64 v[77:78], v[73:74], v[89:90], v[77:78]
	ds_read_b128 v[71:74], v2 offset:880
	s_waitcnt vmcnt(17)
	v_fma_f64 v[81:82], v[65:66], v[91:92], v[81:82]
	v_add_f64 v[109:110], v[109:110], v[111:112]
	v_add_f64 v[3:4], v[3:4], v[75:76]
	s_waitcnt lgkmcnt(1)
	v_mul_f64 v[75:76], v[67:68], v[85:86]
	v_mul_f64 v[85:86], v[69:70], v[85:86]
	v_fma_f64 v[83:84], v[63:64], v[91:92], -v[83:84]
	s_waitcnt vmcnt(13) lgkmcnt(0)
	v_mul_f64 v[89:90], v[73:74], v[93:94]
	ds_read_b128 v[63:66], v2 offset:896
	v_add_f64 v[79:80], v[109:110], v[79:80]
	v_add_f64 v[3:4], v[3:4], v[77:78]
	v_mul_f64 v[77:78], v[71:72], v[93:94]
	s_waitcnt vmcnt(12)
	v_fma_f64 v[85:86], v[67:68], v[87:88], -v[85:86]
	v_fma_f64 v[75:76], v[69:70], v[87:88], v[75:76]
	ds_read_b128 v[67:70], v2 offset:912
	s_waitcnt vmcnt(9)
	v_fma_f64 v[71:72], v[71:72], v[99:100], -v[89:90]
	v_add_f64 v[79:80], v[79:80], v[83:84]
	v_add_f64 v[3:4], v[3:4], v[81:82]
	s_waitcnt lgkmcnt(1)
	v_mul_f64 v[83:84], v[65:66], v[95:96]
	v_mul_f64 v[81:82], v[63:64], v[95:96]
	v_fma_f64 v[73:74], v[73:74], v[99:100], v[77:78]
	s_waitcnt vmcnt(7) lgkmcnt(0)
	v_mul_f64 v[77:78], v[69:70], v[101:102]
	v_add_f64 v[79:80], v[79:80], v[85:86]
	v_add_f64 v[2:3], v[3:4], v[75:76]
	s_waitcnt vmcnt(6)
	v_fma_f64 v[63:64], v[63:64], v[97:98], -v[83:84]
	v_mul_f64 v[75:76], v[67:68], v[101:102]
	v_fma_f64 v[65:66], v[65:66], v[97:98], v[81:82]
	s_waitcnt vmcnt(4)
	v_fma_f64 v[67:68], v[67:68], v[103:104], -v[77:78]
	v_add_f64 v[71:72], v[79:80], v[71:72]
	v_add_f64 v[2:3], v[2:3], v[73:74]
	v_fma_f64 v[69:70], v[69:70], v[103:104], v[75:76]
	v_add_f64 v[63:64], v[71:72], v[63:64]
	v_add_f64 v[2:3], v[2:3], v[65:66]
	;; [unrolled: 1-line block ×4, first 2 shown]
	s_waitcnt vmcnt(2)
	v_add_f64 v[63:64], v[105:106], -v[63:64]
	s_waitcnt vmcnt(0)
	v_add_f64 v[2:3], v[107:108], -v[2:3]
	buffer_store_dword v64, off, s[0:3], 0 offset:340
	buffer_store_dword v63, off, s[0:3], 0 offset:336
	;; [unrolled: 1-line block ×4, first 2 shown]
	v_cmpx_lt_u32_e32 19, v0
	s_cbranch_execz .LBB92_149
; %bb.148:
	v_mov_b32_e32 v2, s21
	s_clause 0x3
	buffer_load_dword v63, v2, s[0:3], 0 offen
	buffer_load_dword v64, v2, s[0:3], 0 offen offset:4
	buffer_load_dword v65, v2, s[0:3], 0 offen offset:8
	;; [unrolled: 1-line block ×3, first 2 shown]
	v_mov_b32_e32 v2, 0
	buffer_store_dword v2, off, s[0:3], 0 offset:320
	buffer_store_dword v2, off, s[0:3], 0 offset:324
	;; [unrolled: 1-line block ×4, first 2 shown]
	s_waitcnt vmcnt(0)
	ds_write_b128 v1, v[63:66]
.LBB92_149:
	s_or_b32 exec_lo, exec_lo, s4
	s_waitcnt lgkmcnt(0)
	s_waitcnt_vscnt null, 0x0
	s_barrier
	buffer_gl0_inv
	s_clause 0x27
	buffer_load_dword v3, off, s[0:3], 0 offset:344
	buffer_load_dword v4, off, s[0:3], 0 offset:348
	;; [unrolled: 1-line block ×40, first 2 shown]
	v_mov_b32_e32 v2, 0
	ds_read_b128 v[63:66], v2 offset:784
	ds_read_b128 v[67:70], v2 offset:800
	;; [unrolled: 1-line block ×3, first 2 shown]
	s_mov_b32 s4, exec_lo
	s_waitcnt vmcnt(38) lgkmcnt(2)
	v_mul_f64 v[113:114], v[65:66], v[3:4]
	v_mul_f64 v[3:4], v[63:64], v[3:4]
	s_waitcnt vmcnt(36) lgkmcnt(1)
	v_mul_f64 v[115:116], v[69:70], v[75:76]
	v_mul_f64 v[75:76], v[67:68], v[75:76]
	s_waitcnt vmcnt(34)
	v_fma_f64 v[113:114], v[63:64], v[77:78], -v[113:114]
	v_fma_f64 v[3:4], v[65:66], v[77:78], v[3:4]
	ds_read_b128 v[63:66], v2 offset:832
	s_waitcnt vmcnt(32) lgkmcnt(1)
	v_mul_f64 v[77:78], v[71:72], v[79:80]
	v_mul_f64 v[79:80], v[73:74], v[79:80]
	s_waitcnt vmcnt(30)
	v_fma_f64 v[115:116], v[67:68], v[81:82], -v[115:116]
	v_fma_f64 v[75:76], v[69:70], v[81:82], v[75:76]
	ds_read_b128 v[67:70], v2 offset:848
	s_waitcnt vmcnt(26) lgkmcnt(1)
	v_mul_f64 v[81:82], v[63:64], v[83:84]
	v_add_f64 v[113:114], v[113:114], 0
	v_add_f64 v[3:4], v[3:4], 0
	v_mul_f64 v[83:84], v[65:66], v[83:84]
	s_waitcnt vmcnt(24)
	v_fma_f64 v[79:80], v[71:72], v[89:90], -v[79:80]
	v_fma_f64 v[77:78], v[73:74], v[89:90], v[77:78]
	ds_read_b128 v[71:74], v2 offset:864
	s_waitcnt vmcnt(21)
	v_fma_f64 v[81:82], v[65:66], v[91:92], v[81:82]
	v_add_f64 v[113:114], v[113:114], v[115:116]
	v_add_f64 v[3:4], v[3:4], v[75:76]
	s_waitcnt lgkmcnt(1)
	v_mul_f64 v[75:76], v[67:68], v[85:86]
	v_mul_f64 v[85:86], v[69:70], v[85:86]
	v_fma_f64 v[83:84], v[63:64], v[91:92], -v[83:84]
	s_waitcnt vmcnt(17) lgkmcnt(0)
	v_mul_f64 v[89:90], v[73:74], v[93:94]
	ds_read_b128 v[63:66], v2 offset:880
	v_add_f64 v[79:80], v[113:114], v[79:80]
	v_add_f64 v[3:4], v[3:4], v[77:78]
	v_mul_f64 v[77:78], v[71:72], v[93:94]
	s_waitcnt vmcnt(16)
	v_fma_f64 v[85:86], v[67:68], v[87:88], -v[85:86]
	v_fma_f64 v[75:76], v[69:70], v[87:88], v[75:76]
	ds_read_b128 v[67:70], v2 offset:896
	s_waitcnt vmcnt(13)
	v_fma_f64 v[87:88], v[71:72], v[99:100], -v[89:90]
	v_add_f64 v[79:80], v[79:80], v[83:84]
	v_add_f64 v[3:4], v[3:4], v[81:82]
	s_waitcnt lgkmcnt(1)
	v_mul_f64 v[83:84], v[65:66], v[95:96]
	v_mul_f64 v[81:82], v[63:64], v[95:96]
	v_fma_f64 v[77:78], v[73:74], v[99:100], v[77:78]
	ds_read_b128 v[71:74], v2 offset:912
	v_add_f64 v[79:80], v[79:80], v[85:86]
	v_add_f64 v[3:4], v[3:4], v[75:76]
	s_waitcnt vmcnt(9) lgkmcnt(1)
	v_mul_f64 v[85:86], v[69:70], v[101:102]
	s_waitcnt vmcnt(8)
	v_fma_f64 v[63:64], v[63:64], v[97:98], -v[83:84]
	v_mul_f64 v[75:76], v[67:68], v[101:102]
	v_fma_f64 v[65:66], v[65:66], v[97:98], v[81:82]
	s_waitcnt vmcnt(7) lgkmcnt(0)
	v_mul_f64 v[81:82], v[73:74], v[103:104]
	v_add_f64 v[79:80], v[79:80], v[87:88]
	v_add_f64 v[3:4], v[3:4], v[77:78]
	s_waitcnt vmcnt(5)
	v_fma_f64 v[67:68], v[67:68], v[107:108], -v[85:86]
	v_mul_f64 v[77:78], v[71:72], v[103:104]
	v_fma_f64 v[69:70], v[69:70], v[107:108], v[75:76]
	v_add_f64 v[63:64], v[79:80], v[63:64]
	v_add_f64 v[3:4], v[3:4], v[65:66]
	s_waitcnt vmcnt(4)
	v_fma_f64 v[65:66], v[71:72], v[105:106], -v[81:82]
	v_add_f64 v[63:64], v[63:64], v[67:68]
	v_fma_f64 v[67:68], v[73:74], v[105:106], v[77:78]
	v_add_f64 v[3:4], v[3:4], v[69:70]
	v_add_f64 v[63:64], v[63:64], v[65:66]
	;; [unrolled: 1-line block ×3, first 2 shown]
	s_waitcnt vmcnt(2)
	v_add_f64 v[63:64], v[109:110], -v[63:64]
	s_waitcnt vmcnt(0)
	v_add_f64 v[3:4], v[111:112], -v[3:4]
	buffer_store_dword v64, off, s[0:3], 0 offset:324
	buffer_store_dword v63, off, s[0:3], 0 offset:320
	;; [unrolled: 1-line block ×4, first 2 shown]
	v_cmpx_lt_u32_e32 18, v0
	s_cbranch_execz .LBB92_151
; %bb.150:
	v_mov_b32_e32 v3, s22
	s_clause 0x3
	buffer_load_dword v63, v3, s[0:3], 0 offen
	buffer_load_dword v64, v3, s[0:3], 0 offen offset:4
	buffer_load_dword v65, v3, s[0:3], 0 offen offset:8
	;; [unrolled: 1-line block ×3, first 2 shown]
	buffer_store_dword v2, off, s[0:3], 0 offset:304
	buffer_store_dword v2, off, s[0:3], 0 offset:308
	;; [unrolled: 1-line block ×4, first 2 shown]
	s_waitcnt vmcnt(0)
	ds_write_b128 v1, v[63:66]
.LBB92_151:
	s_or_b32 exec_lo, exec_lo, s4
	s_waitcnt lgkmcnt(0)
	s_waitcnt_vscnt null, 0x0
	s_barrier
	buffer_gl0_inv
	s_clause 0x2b
	buffer_load_dword v3, off, s[0:3], 0 offset:328
	buffer_load_dword v4, off, s[0:3], 0 offset:332
	;; [unrolled: 1-line block ×44, first 2 shown]
	ds_read_b128 v[63:66], v2 offset:768
	ds_read_b128 v[67:70], v2 offset:784
	;; [unrolled: 1-line block ×3, first 2 shown]
	s_mov_b32 s4, exec_lo
	s_waitcnt vmcnt(42) lgkmcnt(2)
	v_mul_f64 v[117:118], v[65:66], v[3:4]
	v_mul_f64 v[3:4], v[63:64], v[3:4]
	s_waitcnt vmcnt(40) lgkmcnt(1)
	v_mul_f64 v[119:120], v[69:70], v[75:76]
	v_mul_f64 v[75:76], v[67:68], v[75:76]
	s_waitcnt vmcnt(38)
	v_fma_f64 v[117:118], v[63:64], v[77:78], -v[117:118]
	v_fma_f64 v[3:4], v[65:66], v[77:78], v[3:4]
	ds_read_b128 v[63:66], v2 offset:816
	s_waitcnt vmcnt(36) lgkmcnt(1)
	v_mul_f64 v[77:78], v[71:72], v[79:80]
	v_mul_f64 v[79:80], v[73:74], v[79:80]
	s_waitcnt vmcnt(34)
	v_fma_f64 v[119:120], v[67:68], v[81:82], -v[119:120]
	v_fma_f64 v[75:76], v[69:70], v[81:82], v[75:76]
	ds_read_b128 v[67:70], v2 offset:832
	s_waitcnt vmcnt(30) lgkmcnt(1)
	v_mul_f64 v[81:82], v[63:64], v[83:84]
	v_add_f64 v[117:118], v[117:118], 0
	v_add_f64 v[3:4], v[3:4], 0
	v_mul_f64 v[83:84], v[65:66], v[83:84]
	s_waitcnt vmcnt(28)
	v_fma_f64 v[79:80], v[71:72], v[89:90], -v[79:80]
	v_fma_f64 v[77:78], v[73:74], v[89:90], v[77:78]
	ds_read_b128 v[71:74], v2 offset:848
	s_waitcnt vmcnt(25)
	v_fma_f64 v[81:82], v[65:66], v[91:92], v[81:82]
	v_add_f64 v[117:118], v[117:118], v[119:120]
	v_add_f64 v[3:4], v[3:4], v[75:76]
	s_waitcnt lgkmcnt(1)
	v_mul_f64 v[75:76], v[67:68], v[85:86]
	v_mul_f64 v[85:86], v[69:70], v[85:86]
	v_fma_f64 v[83:84], v[63:64], v[91:92], -v[83:84]
	s_waitcnt vmcnt(21) lgkmcnt(0)
	v_mul_f64 v[89:90], v[73:74], v[93:94]
	ds_read_b128 v[63:66], v2 offset:864
	v_add_f64 v[79:80], v[117:118], v[79:80]
	v_add_f64 v[3:4], v[3:4], v[77:78]
	v_mul_f64 v[77:78], v[71:72], v[93:94]
	s_waitcnt vmcnt(20)
	v_fma_f64 v[85:86], v[67:68], v[87:88], -v[85:86]
	v_fma_f64 v[75:76], v[69:70], v[87:88], v[75:76]
	ds_read_b128 v[67:70], v2 offset:880
	s_waitcnt vmcnt(17)
	v_fma_f64 v[87:88], v[71:72], v[99:100], -v[89:90]
	v_add_f64 v[79:80], v[79:80], v[83:84]
	v_add_f64 v[3:4], v[3:4], v[81:82]
	s_waitcnt lgkmcnt(1)
	v_mul_f64 v[83:84], v[65:66], v[95:96]
	v_mul_f64 v[81:82], v[63:64], v[95:96]
	v_fma_f64 v[77:78], v[73:74], v[99:100], v[77:78]
	ds_read_b128 v[71:74], v2 offset:896
	v_add_f64 v[79:80], v[79:80], v[85:86]
	v_add_f64 v[3:4], v[3:4], v[75:76]
	s_waitcnt vmcnt(13) lgkmcnt(1)
	v_mul_f64 v[85:86], v[69:70], v[101:102]
	s_waitcnt vmcnt(12)
	v_fma_f64 v[83:84], v[63:64], v[97:98], -v[83:84]
	v_mul_f64 v[75:76], v[67:68], v[101:102]
	v_fma_f64 v[81:82], v[65:66], v[97:98], v[81:82]
	ds_read_b128 v[63:66], v2 offset:912
	v_add_f64 v[79:80], v[79:80], v[87:88]
	v_add_f64 v[3:4], v[3:4], v[77:78]
	s_waitcnt vmcnt(11) lgkmcnt(1)
	v_mul_f64 v[87:88], v[73:74], v[103:104]
	s_waitcnt vmcnt(9)
	v_fma_f64 v[67:68], v[67:68], v[107:108], -v[85:86]
	v_mul_f64 v[77:78], v[71:72], v[103:104]
	v_fma_f64 v[69:70], v[69:70], v[107:108], v[75:76]
	s_waitcnt vmcnt(7) lgkmcnt(0)
	v_mul_f64 v[75:76], v[63:64], v[109:110]
	v_add_f64 v[79:80], v[79:80], v[83:84]
	v_add_f64 v[2:3], v[3:4], v[81:82]
	v_mul_f64 v[81:82], v[65:66], v[109:110]
	s_waitcnt vmcnt(6)
	v_fma_f64 v[71:72], v[71:72], v[105:106], -v[87:88]
	v_fma_f64 v[73:74], v[73:74], v[105:106], v[77:78]
	s_waitcnt vmcnt(4)
	v_fma_f64 v[65:66], v[65:66], v[111:112], v[75:76]
	v_add_f64 v[67:68], v[79:80], v[67:68]
	v_add_f64 v[2:3], v[2:3], v[69:70]
	v_fma_f64 v[63:64], v[63:64], v[111:112], -v[81:82]
	v_add_f64 v[67:68], v[67:68], v[71:72]
	v_add_f64 v[2:3], v[2:3], v[73:74]
	;; [unrolled: 1-line block ×4, first 2 shown]
	s_waitcnt vmcnt(2)
	v_add_f64 v[63:64], v[113:114], -v[63:64]
	s_waitcnt vmcnt(0)
	v_add_f64 v[2:3], v[115:116], -v[2:3]
	buffer_store_dword v64, off, s[0:3], 0 offset:308
	buffer_store_dword v63, off, s[0:3], 0 offset:304
	buffer_store_dword v3, off, s[0:3], 0 offset:316
	buffer_store_dword v2, off, s[0:3], 0 offset:312
	v_cmpx_lt_u32_e32 17, v0
	s_cbranch_execz .LBB92_153
; %bb.152:
	v_mov_b32_e32 v2, s23
	s_clause 0x3
	buffer_load_dword v63, v2, s[0:3], 0 offen
	buffer_load_dword v64, v2, s[0:3], 0 offen offset:4
	buffer_load_dword v65, v2, s[0:3], 0 offen offset:8
	;; [unrolled: 1-line block ×3, first 2 shown]
	v_mov_b32_e32 v2, 0
	buffer_store_dword v2, off, s[0:3], 0 offset:288
	buffer_store_dword v2, off, s[0:3], 0 offset:292
	;; [unrolled: 1-line block ×4, first 2 shown]
	s_waitcnt vmcnt(0)
	ds_write_b128 v1, v[63:66]
.LBB92_153:
	s_or_b32 exec_lo, exec_lo, s4
	s_waitcnt lgkmcnt(0)
	s_waitcnt_vscnt null, 0x0
	s_barrier
	buffer_gl0_inv
	s_clause 0x2f
	buffer_load_dword v3, off, s[0:3], 0 offset:312
	buffer_load_dword v4, off, s[0:3], 0 offset:316
	;; [unrolled: 1-line block ×48, first 2 shown]
	v_mov_b32_e32 v2, 0
	ds_read_b128 v[63:66], v2 offset:752
	ds_read_b128 v[67:70], v2 offset:768
	ds_read_b128 v[71:74], v2 offset:784
	s_mov_b32 s4, exec_lo
	s_waitcnt vmcnt(46) lgkmcnt(2)
	v_mul_f64 v[121:122], v[65:66], v[3:4]
	v_mul_f64 v[3:4], v[63:64], v[3:4]
	s_waitcnt vmcnt(44) lgkmcnt(1)
	v_mul_f64 v[123:124], v[69:70], v[75:76]
	v_mul_f64 v[75:76], v[67:68], v[75:76]
	s_waitcnt vmcnt(42)
	v_fma_f64 v[121:122], v[63:64], v[77:78], -v[121:122]
	v_fma_f64 v[3:4], v[65:66], v[77:78], v[3:4]
	ds_read_b128 v[63:66], v2 offset:800
	s_waitcnt vmcnt(40) lgkmcnt(1)
	v_mul_f64 v[77:78], v[71:72], v[79:80]
	v_mul_f64 v[79:80], v[73:74], v[79:80]
	s_waitcnt vmcnt(38)
	v_fma_f64 v[123:124], v[67:68], v[81:82], -v[123:124]
	v_fma_f64 v[75:76], v[69:70], v[81:82], v[75:76]
	ds_read_b128 v[67:70], v2 offset:816
	s_waitcnt vmcnt(34) lgkmcnt(1)
	v_mul_f64 v[81:82], v[63:64], v[83:84]
	v_add_f64 v[121:122], v[121:122], 0
	v_add_f64 v[3:4], v[3:4], 0
	v_mul_f64 v[83:84], v[65:66], v[83:84]
	s_waitcnt vmcnt(32)
	v_fma_f64 v[79:80], v[71:72], v[89:90], -v[79:80]
	v_fma_f64 v[77:78], v[73:74], v[89:90], v[77:78]
	ds_read_b128 v[71:74], v2 offset:832
	s_waitcnt vmcnt(29)
	v_fma_f64 v[81:82], v[65:66], v[91:92], v[81:82]
	v_add_f64 v[121:122], v[121:122], v[123:124]
	v_add_f64 v[3:4], v[3:4], v[75:76]
	s_waitcnt lgkmcnt(1)
	v_mul_f64 v[75:76], v[67:68], v[85:86]
	v_mul_f64 v[85:86], v[69:70], v[85:86]
	v_fma_f64 v[83:84], v[63:64], v[91:92], -v[83:84]
	s_waitcnt vmcnt(25) lgkmcnt(0)
	v_mul_f64 v[89:90], v[73:74], v[93:94]
	ds_read_b128 v[63:66], v2 offset:848
	v_add_f64 v[79:80], v[121:122], v[79:80]
	v_add_f64 v[3:4], v[3:4], v[77:78]
	v_mul_f64 v[77:78], v[71:72], v[93:94]
	s_waitcnt vmcnt(24)
	v_fma_f64 v[85:86], v[67:68], v[87:88], -v[85:86]
	v_fma_f64 v[75:76], v[69:70], v[87:88], v[75:76]
	ds_read_b128 v[67:70], v2 offset:864
	s_waitcnt vmcnt(21)
	v_fma_f64 v[87:88], v[71:72], v[99:100], -v[89:90]
	v_add_f64 v[79:80], v[79:80], v[83:84]
	v_add_f64 v[3:4], v[3:4], v[81:82]
	s_waitcnt lgkmcnt(1)
	v_mul_f64 v[83:84], v[65:66], v[95:96]
	v_mul_f64 v[81:82], v[63:64], v[95:96]
	v_fma_f64 v[77:78], v[73:74], v[99:100], v[77:78]
	ds_read_b128 v[71:74], v2 offset:880
	v_add_f64 v[79:80], v[79:80], v[85:86]
	v_add_f64 v[3:4], v[3:4], v[75:76]
	s_waitcnt vmcnt(17) lgkmcnt(1)
	v_mul_f64 v[85:86], v[69:70], v[101:102]
	s_waitcnt vmcnt(16)
	v_fma_f64 v[83:84], v[63:64], v[97:98], -v[83:84]
	v_mul_f64 v[75:76], v[67:68], v[101:102]
	v_fma_f64 v[81:82], v[65:66], v[97:98], v[81:82]
	ds_read_b128 v[63:66], v2 offset:896
	v_add_f64 v[79:80], v[79:80], v[87:88]
	v_add_f64 v[3:4], v[3:4], v[77:78]
	s_waitcnt vmcnt(15) lgkmcnt(1)
	v_mul_f64 v[87:88], v[73:74], v[103:104]
	s_waitcnt vmcnt(13)
	v_fma_f64 v[85:86], v[67:68], v[107:108], -v[85:86]
	;; [unrolled: 9-line block ×3, first 2 shown]
	v_mul_f64 v[81:82], v[63:64], v[109:110]
	v_fma_f64 v[73:74], v[73:74], v[105:106], v[77:78]
	s_waitcnt vmcnt(7) lgkmcnt(0)
	v_mul_f64 v[77:78], v[69:70], v[111:112]
	v_add_f64 v[79:80], v[79:80], v[85:86]
	v_add_f64 v[3:4], v[3:4], v[75:76]
	s_waitcnt vmcnt(5)
	v_fma_f64 v[63:64], v[63:64], v[115:116], -v[83:84]
	v_mul_f64 v[75:76], v[67:68], v[111:112]
	v_fma_f64 v[65:66], v[65:66], v[115:116], v[81:82]
	s_waitcnt vmcnt(4)
	v_fma_f64 v[67:68], v[67:68], v[113:114], -v[77:78]
	v_add_f64 v[71:72], v[79:80], v[71:72]
	v_add_f64 v[3:4], v[3:4], v[73:74]
	v_fma_f64 v[69:70], v[69:70], v[113:114], v[75:76]
	v_add_f64 v[63:64], v[71:72], v[63:64]
	v_add_f64 v[3:4], v[3:4], v[65:66]
	;; [unrolled: 1-line block ×4, first 2 shown]
	s_waitcnt vmcnt(2)
	v_add_f64 v[63:64], v[117:118], -v[63:64]
	s_waitcnt vmcnt(0)
	v_add_f64 v[3:4], v[119:120], -v[3:4]
	buffer_store_dword v64, off, s[0:3], 0 offset:292
	buffer_store_dword v63, off, s[0:3], 0 offset:288
	;; [unrolled: 1-line block ×4, first 2 shown]
	v_cmpx_lt_u32_e32 16, v0
	s_cbranch_execz .LBB92_155
; %bb.154:
	v_mov_b32_e32 v3, s24
	s_clause 0x3
	buffer_load_dword v63, v3, s[0:3], 0 offen
	buffer_load_dword v64, v3, s[0:3], 0 offen offset:4
	buffer_load_dword v65, v3, s[0:3], 0 offen offset:8
	buffer_load_dword v66, v3, s[0:3], 0 offen offset:12
	buffer_store_dword v2, off, s[0:3], 0 offset:272
	buffer_store_dword v2, off, s[0:3], 0 offset:276
	;; [unrolled: 1-line block ×4, first 2 shown]
	s_waitcnt vmcnt(0)
	ds_write_b128 v1, v[63:66]
.LBB92_155:
	s_or_b32 exec_lo, exec_lo, s4
	s_waitcnt lgkmcnt(0)
	s_waitcnt_vscnt null, 0x0
	s_barrier
	buffer_gl0_inv
	s_clause 0x2f
	buffer_load_dword v3, off, s[0:3], 0 offset:296
	buffer_load_dword v4, off, s[0:3], 0 offset:300
	;; [unrolled: 1-line block ×48, first 2 shown]
	ds_read_b128 v[63:66], v2 offset:736
	s_clause 0x3
	buffer_load_dword v121, off, s[0:3], 0 offset:272
	buffer_load_dword v122, off, s[0:3], 0 offset:276
	;; [unrolled: 1-line block ×4, first 2 shown]
	ds_read_b128 v[67:70], v2 offset:752
	ds_read_b128 v[71:74], v2 offset:768
	s_mov_b32 s4, exec_lo
	s_waitcnt vmcnt(50) lgkmcnt(2)
	v_mul_f64 v[125:126], v[65:66], v[3:4]
	v_mul_f64 v[3:4], v[63:64], v[3:4]
	s_waitcnt vmcnt(48) lgkmcnt(1)
	v_mul_f64 v[127:128], v[69:70], v[75:76]
	v_mul_f64 v[75:76], v[67:68], v[75:76]
	s_waitcnt vmcnt(46)
	v_fma_f64 v[125:126], v[63:64], v[77:78], -v[125:126]
	v_fma_f64 v[3:4], v[65:66], v[77:78], v[3:4]
	s_waitcnt vmcnt(44) lgkmcnt(0)
	v_mul_f64 v[77:78], v[71:72], v[79:80]
	v_mul_f64 v[79:80], v[73:74], v[79:80]
	s_waitcnt vmcnt(42)
	v_fma_f64 v[127:128], v[67:68], v[81:82], -v[127:128]
	ds_read_b128 v[63:66], v2 offset:784
	v_fma_f64 v[75:76], v[69:70], v[81:82], v[75:76]
	ds_read_b128 v[67:70], v2 offset:800
	v_add_f64 v[125:126], v[125:126], 0
	v_add_f64 v[3:4], v[3:4], 0
	s_waitcnt vmcnt(36)
	v_fma_f64 v[77:78], v[73:74], v[89:90], v[77:78]
	s_waitcnt lgkmcnt(1)
	v_mul_f64 v[81:82], v[63:64], v[83:84]
	v_mul_f64 v[83:84], v[65:66], v[83:84]
	v_fma_f64 v[79:80], v[71:72], v[89:90], -v[79:80]
	ds_read_b128 v[71:74], v2 offset:816
	v_add_f64 v[125:126], v[125:126], v[127:128]
	v_add_f64 v[3:4], v[3:4], v[75:76]
	s_waitcnt vmcnt(35) lgkmcnt(1)
	v_mul_f64 v[75:76], v[67:68], v[85:86]
	v_mul_f64 v[85:86], v[69:70], v[85:86]
	s_waitcnt vmcnt(33)
	v_fma_f64 v[83:84], v[63:64], v[91:92], -v[83:84]
	v_fma_f64 v[81:82], v[65:66], v[91:92], v[81:82]
	ds_read_b128 v[63:66], v2 offset:832
	s_waitcnt vmcnt(29) lgkmcnt(1)
	v_mul_f64 v[89:90], v[73:74], v[93:94]
	v_add_f64 v[79:80], v[125:126], v[79:80]
	v_add_f64 v[3:4], v[3:4], v[77:78]
	v_mul_f64 v[77:78], v[71:72], v[93:94]
	s_waitcnt vmcnt(28)
	v_fma_f64 v[85:86], v[67:68], v[87:88], -v[85:86]
	v_fma_f64 v[75:76], v[69:70], v[87:88], v[75:76]
	ds_read_b128 v[67:70], v2 offset:848
	s_waitcnt vmcnt(25)
	v_fma_f64 v[87:88], v[71:72], v[99:100], -v[89:90]
	v_add_f64 v[79:80], v[79:80], v[83:84]
	v_add_f64 v[3:4], v[3:4], v[81:82]
	s_waitcnt lgkmcnt(1)
	v_mul_f64 v[83:84], v[65:66], v[95:96]
	v_mul_f64 v[81:82], v[63:64], v[95:96]
	v_fma_f64 v[77:78], v[73:74], v[99:100], v[77:78]
	ds_read_b128 v[71:74], v2 offset:864
	v_add_f64 v[79:80], v[79:80], v[85:86]
	v_add_f64 v[3:4], v[3:4], v[75:76]
	s_waitcnt vmcnt(21) lgkmcnt(1)
	v_mul_f64 v[85:86], v[69:70], v[101:102]
	s_waitcnt vmcnt(20)
	v_fma_f64 v[83:84], v[63:64], v[97:98], -v[83:84]
	v_mul_f64 v[75:76], v[67:68], v[101:102]
	v_fma_f64 v[81:82], v[65:66], v[97:98], v[81:82]
	ds_read_b128 v[63:66], v2 offset:880
	v_add_f64 v[79:80], v[79:80], v[87:88]
	v_add_f64 v[3:4], v[3:4], v[77:78]
	s_waitcnt vmcnt(19) lgkmcnt(1)
	v_mul_f64 v[87:88], v[73:74], v[103:104]
	s_waitcnt vmcnt(17)
	v_fma_f64 v[85:86], v[67:68], v[107:108], -v[85:86]
	;; [unrolled: 9-line block ×4, first 2 shown]
	v_mul_f64 v[75:76], v[67:68], v[111:112]
	v_fma_f64 v[65:66], v[65:66], v[115:116], v[81:82]
	s_waitcnt vmcnt(7) lgkmcnt(0)
	v_mul_f64 v[81:82], v[73:74], v[117:118]
	v_add_f64 v[79:80], v[79:80], v[87:88]
	v_add_f64 v[2:3], v[3:4], v[77:78]
	s_waitcnt vmcnt(6)
	v_fma_f64 v[67:68], v[67:68], v[113:114], -v[85:86]
	v_mul_f64 v[77:78], v[71:72], v[117:118]
	v_fma_f64 v[69:70], v[69:70], v[113:114], v[75:76]
	v_add_f64 v[63:64], v[79:80], v[63:64]
	v_add_f64 v[2:3], v[2:3], v[65:66]
	s_waitcnt vmcnt(4)
	v_fma_f64 v[65:66], v[71:72], v[119:120], -v[81:82]
	v_add_f64 v[63:64], v[63:64], v[67:68]
	v_fma_f64 v[67:68], v[73:74], v[119:120], v[77:78]
	v_add_f64 v[2:3], v[2:3], v[69:70]
	v_add_f64 v[63:64], v[63:64], v[65:66]
	;; [unrolled: 1-line block ×3, first 2 shown]
	s_waitcnt vmcnt(2)
	v_add_f64 v[63:64], v[121:122], -v[63:64]
	s_waitcnt vmcnt(0)
	v_add_f64 v[2:3], v[123:124], -v[2:3]
	buffer_store_dword v64, off, s[0:3], 0 offset:276
	buffer_store_dword v63, off, s[0:3], 0 offset:272
	;; [unrolled: 1-line block ×4, first 2 shown]
	v_cmpx_lt_u32_e32 15, v0
	s_cbranch_execz .LBB92_157
; %bb.156:
	v_mov_b32_e32 v2, s25
	s_clause 0x3
	buffer_load_dword v63, v2, s[0:3], 0 offen
	buffer_load_dword v64, v2, s[0:3], 0 offen offset:4
	buffer_load_dword v65, v2, s[0:3], 0 offen offset:8
	;; [unrolled: 1-line block ×3, first 2 shown]
	v_mov_b32_e32 v2, 0
	buffer_store_dword v2, off, s[0:3], 0 offset:256
	buffer_store_dword v2, off, s[0:3], 0 offset:260
	buffer_store_dword v2, off, s[0:3], 0 offset:264
	buffer_store_dword v2, off, s[0:3], 0 offset:268
	s_waitcnt vmcnt(0)
	ds_write_b128 v1, v[63:66]
.LBB92_157:
	s_or_b32 exec_lo, exec_lo, s4
	s_waitcnt lgkmcnt(0)
	s_waitcnt_vscnt null, 0x0
	s_barrier
	buffer_gl0_inv
	s_clause 0x33
	buffer_load_dword v3, off, s[0:3], 0 offset:280
	buffer_load_dword v4, off, s[0:3], 0 offset:284
	;; [unrolled: 1-line block ×52, first 2 shown]
	v_mov_b32_e32 v2, 0
	ds_read_b128 v[63:66], v2 offset:720
	ds_read_b128 v[67:70], v2 offset:736
	s_clause 0x3
	buffer_load_dword v127, off, s[0:3], 0 offset:256
	buffer_load_dword v128, off, s[0:3], 0 offset:260
	;; [unrolled: 1-line block ×4, first 2 shown]
	ds_read_b128 v[71:74], v2 offset:752
	s_mov_b32 s4, exec_lo
	s_waitcnt vmcnt(54) lgkmcnt(2)
	v_mul_f64 v[125:126], v[65:66], v[3:4]
	v_mul_f64 v[3:4], v[63:64], v[3:4]
	s_waitcnt vmcnt(52) lgkmcnt(1)
	v_mul_f64 v[131:132], v[69:70], v[75:76]
	v_mul_f64 v[75:76], v[67:68], v[75:76]
	s_waitcnt vmcnt(50)
	v_fma_f64 v[125:126], v[63:64], v[77:78], -v[125:126]
	v_fma_f64 v[3:4], v[65:66], v[77:78], v[3:4]
	ds_read_b128 v[63:66], v2 offset:768
	s_waitcnt vmcnt(48) lgkmcnt(1)
	v_mul_f64 v[77:78], v[71:72], v[79:80]
	v_mul_f64 v[79:80], v[73:74], v[79:80]
	s_waitcnt vmcnt(46)
	v_fma_f64 v[131:132], v[67:68], v[81:82], -v[131:132]
	v_fma_f64 v[75:76], v[69:70], v[81:82], v[75:76]
	ds_read_b128 v[67:70], v2 offset:784
	s_waitcnt vmcnt(42) lgkmcnt(1)
	v_mul_f64 v[81:82], v[63:64], v[83:84]
	v_add_f64 v[125:126], v[125:126], 0
	v_add_f64 v[3:4], v[3:4], 0
	v_mul_f64 v[83:84], v[65:66], v[83:84]
	s_waitcnt vmcnt(40)
	v_fma_f64 v[79:80], v[71:72], v[89:90], -v[79:80]
	v_fma_f64 v[77:78], v[73:74], v[89:90], v[77:78]
	ds_read_b128 v[71:74], v2 offset:800
	s_waitcnt vmcnt(37)
	v_fma_f64 v[81:82], v[65:66], v[91:92], v[81:82]
	v_add_f64 v[125:126], v[125:126], v[131:132]
	v_add_f64 v[3:4], v[3:4], v[75:76]
	s_waitcnt lgkmcnt(1)
	v_mul_f64 v[75:76], v[67:68], v[85:86]
	v_mul_f64 v[85:86], v[69:70], v[85:86]
	v_fma_f64 v[83:84], v[63:64], v[91:92], -v[83:84]
	s_waitcnt vmcnt(33) lgkmcnt(0)
	v_mul_f64 v[89:90], v[73:74], v[93:94]
	ds_read_b128 v[63:66], v2 offset:816
	v_add_f64 v[79:80], v[125:126], v[79:80]
	v_add_f64 v[3:4], v[3:4], v[77:78]
	v_mul_f64 v[77:78], v[71:72], v[93:94]
	s_waitcnt vmcnt(32)
	v_fma_f64 v[85:86], v[67:68], v[87:88], -v[85:86]
	v_fma_f64 v[75:76], v[69:70], v[87:88], v[75:76]
	ds_read_b128 v[67:70], v2 offset:832
	s_waitcnt vmcnt(29)
	v_fma_f64 v[87:88], v[71:72], v[99:100], -v[89:90]
	v_add_f64 v[79:80], v[79:80], v[83:84]
	v_add_f64 v[3:4], v[3:4], v[81:82]
	s_waitcnt lgkmcnt(1)
	v_mul_f64 v[83:84], v[65:66], v[95:96]
	v_mul_f64 v[81:82], v[63:64], v[95:96]
	v_fma_f64 v[77:78], v[73:74], v[99:100], v[77:78]
	ds_read_b128 v[71:74], v2 offset:848
	v_add_f64 v[79:80], v[79:80], v[85:86]
	v_add_f64 v[3:4], v[3:4], v[75:76]
	s_waitcnt vmcnt(25) lgkmcnt(1)
	v_mul_f64 v[85:86], v[69:70], v[101:102]
	s_waitcnt vmcnt(24)
	v_fma_f64 v[83:84], v[63:64], v[97:98], -v[83:84]
	v_mul_f64 v[75:76], v[67:68], v[101:102]
	v_fma_f64 v[81:82], v[65:66], v[97:98], v[81:82]
	ds_read_b128 v[63:66], v2 offset:864
	v_add_f64 v[79:80], v[79:80], v[87:88]
	v_add_f64 v[3:4], v[3:4], v[77:78]
	s_waitcnt vmcnt(23) lgkmcnt(1)
	v_mul_f64 v[87:88], v[73:74], v[103:104]
	s_waitcnt vmcnt(21)
	v_fma_f64 v[85:86], v[67:68], v[107:108], -v[85:86]
	;; [unrolled: 9-line block ×5, first 2 shown]
	v_mul_f64 v[77:78], v[71:72], v[117:118]
	v_fma_f64 v[69:70], v[69:70], v[113:114], v[75:76]
	s_waitcnt vmcnt(7) lgkmcnt(0)
	v_mul_f64 v[75:76], v[63:64], v[119:120]
	v_add_f64 v[79:80], v[79:80], v[83:84]
	v_add_f64 v[3:4], v[3:4], v[81:82]
	v_mul_f64 v[81:82], v[65:66], v[119:120]
	s_waitcnt vmcnt(5)
	v_fma_f64 v[71:72], v[71:72], v[123:124], -v[87:88]
	v_fma_f64 v[73:74], v[73:74], v[123:124], v[77:78]
	s_waitcnt vmcnt(4)
	v_fma_f64 v[65:66], v[65:66], v[121:122], v[75:76]
	v_add_f64 v[67:68], v[79:80], v[67:68]
	v_add_f64 v[3:4], v[3:4], v[69:70]
	v_fma_f64 v[63:64], v[63:64], v[121:122], -v[81:82]
	v_add_f64 v[67:68], v[67:68], v[71:72]
	v_add_f64 v[3:4], v[3:4], v[73:74]
	;; [unrolled: 1-line block ×4, first 2 shown]
	s_waitcnt vmcnt(2)
	v_add_f64 v[63:64], v[127:128], -v[63:64]
	s_waitcnt vmcnt(0)
	v_add_f64 v[3:4], v[129:130], -v[3:4]
	buffer_store_dword v64, off, s[0:3], 0 offset:260
	buffer_store_dword v63, off, s[0:3], 0 offset:256
	;; [unrolled: 1-line block ×4, first 2 shown]
	v_cmpx_lt_u32_e32 14, v0
	s_cbranch_execz .LBB92_159
; %bb.158:
	v_mov_b32_e32 v3, s26
	s_clause 0x3
	buffer_load_dword v63, v3, s[0:3], 0 offen
	buffer_load_dword v64, v3, s[0:3], 0 offen offset:4
	buffer_load_dword v65, v3, s[0:3], 0 offen offset:8
	;; [unrolled: 1-line block ×3, first 2 shown]
	buffer_store_dword v2, off, s[0:3], 0 offset:240
	buffer_store_dword v2, off, s[0:3], 0 offset:244
	;; [unrolled: 1-line block ×4, first 2 shown]
	s_waitcnt vmcnt(0)
	ds_write_b128 v1, v[63:66]
.LBB92_159:
	s_or_b32 exec_lo, exec_lo, s4
	s_waitcnt lgkmcnt(0)
	s_waitcnt_vscnt null, 0x0
	s_barrier
	buffer_gl0_inv
	s_clause 0x35
	buffer_load_dword v3, off, s[0:3], 0 offset:264
	buffer_load_dword v4, off, s[0:3], 0 offset:268
	;; [unrolled: 1-line block ×54, first 2 shown]
	ds_read_b128 v[63:66], v2 offset:704
	s_clause 0x1
	buffer_load_dword v128, off, s[0:3], 0 offset:468
	buffer_load_dword v127, off, s[0:3], 0 offset:464
	ds_read_b128 v[67:70], v2 offset:720
	ds_read_b128 v[71:74], v2 offset:736
	s_mov_b32 s4, exec_lo
	s_waitcnt vmcnt(54) lgkmcnt(2)
	v_mul_f64 v[129:130], v[65:66], v[3:4]
	v_mul_f64 v[3:4], v[63:64], v[3:4]
	s_waitcnt vmcnt(52) lgkmcnt(1)
	v_mul_f64 v[131:132], v[69:70], v[75:76]
	v_mul_f64 v[75:76], v[67:68], v[75:76]
	;; [unrolled: 3-line block ×3, first 2 shown]
	v_fma_f64 v[129:130], v[63:64], v[77:78], -v[129:130]
	v_fma_f64 v[3:4], v[65:66], v[77:78], v[3:4]
	s_clause 0x3
	buffer_load_dword v77, off, s[0:3], 0 offset:240
	buffer_load_dword v78, off, s[0:3], 0 offset:244
	;; [unrolled: 1-line block ×4, first 2 shown]
	s_waitcnt vmcnt(50)
	v_fma_f64 v[131:132], v[67:68], v[81:82], -v[131:132]
	ds_read_b128 v[63:66], v2 offset:752
	v_fma_f64 v[75:76], v[69:70], v[81:82], v[75:76]
	ds_read_b128 v[67:70], v2 offset:768
	s_waitcnt vmcnt(44)
	v_fma_f64 v[79:80], v[71:72], v[89:90], -v[79:80]
	v_fma_f64 v[89:90], v[73:74], v[89:90], v[135:136]
	ds_read_b128 v[71:74], v2 offset:784
	v_add_f64 v[129:130], v[129:130], 0
	v_add_f64 v[3:4], v[3:4], 0
	s_waitcnt lgkmcnt(2)
	v_mul_f64 v[81:82], v[63:64], v[83:84]
	v_mul_f64 v[83:84], v[65:66], v[83:84]
	v_add_f64 v[129:130], v[129:130], v[131:132]
	v_add_f64 v[3:4], v[3:4], v[75:76]
	s_waitcnt vmcnt(43) lgkmcnt(1)
	v_mul_f64 v[75:76], v[67:68], v[85:86]
	v_mul_f64 v[85:86], v[69:70], v[85:86]
	s_waitcnt vmcnt(41)
	v_fma_f64 v[83:84], v[63:64], v[91:92], -v[83:84]
	v_fma_f64 v[81:82], v[65:66], v[91:92], v[81:82]
	ds_read_b128 v[63:66], v2 offset:800
	s_waitcnt vmcnt(37) lgkmcnt(1)
	v_mul_f64 v[91:92], v[73:74], v[93:94]
	v_add_f64 v[79:80], v[129:130], v[79:80]
	v_add_f64 v[3:4], v[3:4], v[89:90]
	v_mul_f64 v[89:90], v[71:72], v[93:94]
	s_waitcnt vmcnt(36)
	v_fma_f64 v[85:86], v[67:68], v[87:88], -v[85:86]
	v_fma_f64 v[75:76], v[69:70], v[87:88], v[75:76]
	ds_read_b128 v[67:70], v2 offset:816
	s_waitcnt vmcnt(33)
	v_fma_f64 v[87:88], v[71:72], v[99:100], -v[91:92]
	v_add_f64 v[79:80], v[79:80], v[83:84]
	v_add_f64 v[3:4], v[3:4], v[81:82]
	s_waitcnt lgkmcnt(1)
	v_mul_f64 v[83:84], v[65:66], v[95:96]
	v_mul_f64 v[81:82], v[63:64], v[95:96]
	v_add_f64 v[79:80], v[79:80], v[85:86]
	v_fma_f64 v[85:86], v[73:74], v[99:100], v[89:90]
	v_add_f64 v[3:4], v[3:4], v[75:76]
	ds_read_b128 v[71:74], v2 offset:832
	s_waitcnt vmcnt(29) lgkmcnt(1)
	v_mul_f64 v[89:90], v[69:70], v[101:102]
	s_waitcnt vmcnt(28)
	v_fma_f64 v[83:84], v[63:64], v[97:98], -v[83:84]
	v_mul_f64 v[75:76], v[67:68], v[101:102]
	v_fma_f64 v[81:82], v[65:66], v[97:98], v[81:82]
	ds_read_b128 v[63:66], v2 offset:848
	v_add_f64 v[79:80], v[79:80], v[87:88]
	s_waitcnt vmcnt(27) lgkmcnt(1)
	v_mul_f64 v[87:88], v[73:74], v[103:104]
	v_add_f64 v[3:4], v[3:4], v[85:86]
	v_mul_f64 v[85:86], v[71:72], v[103:104]
	s_waitcnt vmcnt(25)
	v_fma_f64 v[89:90], v[67:68], v[107:108], -v[89:90]
	v_fma_f64 v[75:76], v[69:70], v[107:108], v[75:76]
	ds_read_b128 v[67:70], v2 offset:864
	v_add_f64 v[79:80], v[79:80], v[83:84]
	s_waitcnt vmcnt(21) lgkmcnt(1)
	v_mul_f64 v[83:84], v[65:66], v[109:110]
	v_add_f64 v[3:4], v[3:4], v[81:82]
	s_waitcnt vmcnt(20)
	v_fma_f64 v[87:88], v[71:72], v[105:106], -v[87:88]
	v_mul_f64 v[81:82], v[63:64], v[109:110]
	v_fma_f64 v[85:86], v[73:74], v[105:106], v[85:86]
	ds_read_b128 v[71:74], v2 offset:880
	v_add_f64 v[79:80], v[79:80], v[89:90]
	s_waitcnt vmcnt(19) lgkmcnt(1)
	v_mul_f64 v[89:90], v[69:70], v[111:112]
	v_add_f64 v[3:4], v[3:4], v[75:76]
	s_waitcnt vmcnt(17)
	v_fma_f64 v[83:84], v[63:64], v[115:116], -v[83:84]
	v_mul_f64 v[75:76], v[67:68], v[111:112]
	;; [unrolled: 9-line block ×4, first 2 shown]
	v_fma_f64 v[73:74], v[73:74], v[123:124], v[85:86]
	s_waitcnt vmcnt(7) lgkmcnt(0)
	v_mul_f64 v[85:86], v[69:70], v[125:126]
	v_add_f64 v[79:80], v[79:80], v[89:90]
	s_waitcnt vmcnt(6)
	v_fma_f64 v[63:64], v[63:64], v[121:122], -v[83:84]
	v_add_f64 v[2:3], v[3:4], v[75:76]
	v_mul_f64 v[75:76], v[67:68], v[125:126]
	v_fma_f64 v[65:66], v[65:66], v[121:122], v[81:82]
	s_waitcnt vmcnt(4)
	v_fma_f64 v[67:68], v[67:68], v[127:128], -v[85:86]
	v_add_f64 v[71:72], v[79:80], v[71:72]
	v_add_f64 v[2:3], v[2:3], v[73:74]
	v_fma_f64 v[69:70], v[69:70], v[127:128], v[75:76]
	v_add_f64 v[63:64], v[71:72], v[63:64]
	v_add_f64 v[2:3], v[2:3], v[65:66]
	v_add_f64 v[63:64], v[63:64], v[67:68]
	v_add_f64 v[2:3], v[2:3], v[69:70]
	s_waitcnt vmcnt(2)
	v_add_f64 v[63:64], v[77:78], -v[63:64]
	s_waitcnt vmcnt(0)
	v_add_f64 v[2:3], v[133:134], -v[2:3]
	buffer_store_dword v64, off, s[0:3], 0 offset:244
	buffer_store_dword v63, off, s[0:3], 0 offset:240
	;; [unrolled: 1-line block ×4, first 2 shown]
	v_cmpx_lt_u32_e32 13, v0
	s_cbranch_execz .LBB92_161
; %bb.160:
	v_mov_b32_e32 v2, s27
	s_clause 0x3
	buffer_load_dword v63, v2, s[0:3], 0 offen
	buffer_load_dword v64, v2, s[0:3], 0 offen offset:4
	buffer_load_dword v65, v2, s[0:3], 0 offen offset:8
	;; [unrolled: 1-line block ×3, first 2 shown]
	v_mov_b32_e32 v2, 0
	buffer_store_dword v2, off, s[0:3], 0 offset:224
	buffer_store_dword v2, off, s[0:3], 0 offset:228
	;; [unrolled: 1-line block ×4, first 2 shown]
	s_waitcnt vmcnt(0)
	ds_write_b128 v1, v[63:66]
.LBB92_161:
	s_or_b32 exec_lo, exec_lo, s4
	s_waitcnt lgkmcnt(0)
	s_waitcnt_vscnt null, 0x0
	s_barrier
	buffer_gl0_inv
	s_clause 0x37
	buffer_load_dword v3, off, s[0:3], 0 offset:248
	buffer_load_dword v4, off, s[0:3], 0 offset:252
	;; [unrolled: 1-line block ×56, first 2 shown]
	v_mov_b32_e32 v2, 0
	s_mov_b32 s4, exec_lo
	ds_read_b128 v[63:66], v2 offset:688
	s_clause 0x2
	buffer_load_dword v128, off, s[0:3], 0 offset:476
	buffer_load_dword v132, off, s[0:3], 0 offset:452
	;; [unrolled: 1-line block ×3, first 2 shown]
	ds_read_b128 v[67:70], v2 offset:704
	ds_read_b128 v[71:74], v2 offset:720
	buffer_load_dword v130, off, s[0:3], 0 offset:468
	s_waitcnt vmcnt(58) lgkmcnt(2)
	v_mul_f64 v[133:134], v[65:66], v[3:4]
	v_mul_f64 v[3:4], v[63:64], v[3:4]
	s_waitcnt vmcnt(56) lgkmcnt(1)
	v_mul_f64 v[135:136], v[69:70], v[75:76]
	v_mul_f64 v[75:76], v[67:68], v[75:76]
	s_waitcnt vmcnt(54)
	v_fma_f64 v[133:134], v[63:64], v[77:78], -v[133:134]
	v_fma_f64 v[3:4], v[65:66], v[77:78], v[3:4]
	s_waitcnt vmcnt(52) lgkmcnt(0)
	v_mul_f64 v[77:78], v[71:72], v[79:80]
	v_mul_f64 v[79:80], v[73:74], v[79:80]
	s_waitcnt vmcnt(50)
	v_fma_f64 v[135:136], v[67:68], v[81:82], -v[135:136]
	ds_read_b128 v[63:66], v2 offset:736
	v_fma_f64 v[75:76], v[69:70], v[81:82], v[75:76]
	s_clause 0x3
	buffer_load_dword v81, off, s[0:3], 0 offset:224
	buffer_load_dword v82, off, s[0:3], 0 offset:228
	;; [unrolled: 1-line block ×4, first 2 shown]
	ds_read_b128 v[67:70], v2 offset:752
	v_add_f64 v[133:134], v[133:134], 0
	v_add_f64 v[3:4], v[3:4], 0
	s_waitcnt vmcnt(48)
	v_fma_f64 v[77:78], v[73:74], v[89:90], v[77:78]
	s_waitcnt lgkmcnt(1)
	v_mul_f64 v[139:140], v[63:64], v[83:84]
	v_mul_f64 v[83:84], v[65:66], v[83:84]
	v_fma_f64 v[79:80], v[71:72], v[89:90], -v[79:80]
	ds_read_b128 v[71:74], v2 offset:768
	v_add_f64 v[133:134], v[133:134], v[135:136]
	v_add_f64 v[3:4], v[3:4], v[75:76]
	s_waitcnt vmcnt(47) lgkmcnt(1)
	v_mul_f64 v[75:76], v[67:68], v[85:86]
	v_mul_f64 v[85:86], v[69:70], v[85:86]
	s_waitcnt vmcnt(45)
	v_fma_f64 v[83:84], v[63:64], v[91:92], -v[83:84]
	v_fma_f64 v[89:90], v[65:66], v[91:92], v[139:140]
	s_waitcnt vmcnt(41) lgkmcnt(0)
	v_mul_f64 v[91:92], v[73:74], v[93:94]
	ds_read_b128 v[63:66], v2 offset:784
	v_add_f64 v[79:80], v[133:134], v[79:80]
	v_add_f64 v[3:4], v[3:4], v[77:78]
	v_mul_f64 v[77:78], v[71:72], v[93:94]
	s_waitcnt vmcnt(40)
	v_fma_f64 v[85:86], v[67:68], v[87:88], -v[85:86]
	v_fma_f64 v[75:76], v[69:70], v[87:88], v[75:76]
	ds_read_b128 v[67:70], v2 offset:800
	s_waitcnt vmcnt(39) lgkmcnt(1)
	v_mul_f64 v[87:88], v[65:66], v[95:96]
	v_add_f64 v[79:80], v[79:80], v[83:84]
	v_add_f64 v[3:4], v[3:4], v[89:90]
	s_waitcnt vmcnt(37)
	v_fma_f64 v[89:90], v[71:72], v[99:100], -v[91:92]
	v_mul_f64 v[83:84], v[63:64], v[95:96]
	v_fma_f64 v[77:78], v[73:74], v[99:100], v[77:78]
	ds_read_b128 v[71:74], v2 offset:816
	s_waitcnt vmcnt(32)
	v_fma_f64 v[87:88], v[63:64], v[97:98], -v[87:88]
	v_add_f64 v[79:80], v[79:80], v[85:86]
	v_add_f64 v[3:4], v[3:4], v[75:76]
	s_waitcnt lgkmcnt(1)
	v_mul_f64 v[85:86], v[69:70], v[101:102]
	v_mul_f64 v[75:76], v[67:68], v[101:102]
	v_fma_f64 v[83:84], v[65:66], v[97:98], v[83:84]
	ds_read_b128 v[63:66], v2 offset:832
	v_add_f64 v[79:80], v[79:80], v[89:90]
	v_add_f64 v[3:4], v[3:4], v[77:78]
	s_waitcnt vmcnt(31) lgkmcnt(1)
	v_mul_f64 v[89:90], v[73:74], v[103:104]
	s_waitcnt vmcnt(29)
	v_fma_f64 v[85:86], v[67:68], v[107:108], -v[85:86]
	v_mul_f64 v[77:78], v[71:72], v[103:104]
	v_fma_f64 v[75:76], v[69:70], v[107:108], v[75:76]
	ds_read_b128 v[67:70], v2 offset:848
	v_add_f64 v[79:80], v[79:80], v[87:88]
	v_add_f64 v[3:4], v[3:4], v[83:84]
	s_waitcnt vmcnt(25) lgkmcnt(1)
	v_mul_f64 v[87:88], v[65:66], v[109:110]
	s_waitcnt vmcnt(24)
	v_fma_f64 v[89:90], v[71:72], v[105:106], -v[89:90]
	;; [unrolled: 9-line block ×6, first 2 shown]
	v_mul_f64 v[75:76], v[67:68], v[125:126]
	v_fma_f64 v[65:66], v[65:66], v[121:122], v[83:84]
	s_waitcnt vmcnt(7) lgkmcnt(0)
	v_mul_f64 v[83:84], v[73:74], v[127:128]
	v_add_f64 v[79:80], v[79:80], v[89:90]
	v_add_f64 v[3:4], v[3:4], v[77:78]
	s_waitcnt vmcnt(5)
	v_fma_f64 v[67:68], v[67:68], v[131:132], -v[85:86]
	v_mul_f64 v[77:78], v[71:72], v[127:128]
	v_fma_f64 v[69:70], v[69:70], v[131:132], v[75:76]
	v_add_f64 v[63:64], v[79:80], v[63:64]
	v_add_f64 v[3:4], v[3:4], v[65:66]
	s_waitcnt vmcnt(4)
	v_fma_f64 v[65:66], v[71:72], v[129:130], -v[83:84]
	v_add_f64 v[63:64], v[63:64], v[67:68]
	v_fma_f64 v[67:68], v[73:74], v[129:130], v[77:78]
	v_add_f64 v[3:4], v[3:4], v[69:70]
	v_add_f64 v[63:64], v[63:64], v[65:66]
	;; [unrolled: 1-line block ×3, first 2 shown]
	s_waitcnt vmcnt(2)
	v_add_f64 v[63:64], v[81:82], -v[63:64]
	s_waitcnt vmcnt(0)
	v_add_f64 v[3:4], v[137:138], -v[3:4]
	buffer_store_dword v64, off, s[0:3], 0 offset:228
	buffer_store_dword v63, off, s[0:3], 0 offset:224
	;; [unrolled: 1-line block ×4, first 2 shown]
	v_cmpx_lt_u32_e32 12, v0
	s_cbranch_execz .LBB92_163
; %bb.162:
	v_mov_b32_e32 v3, s28
	s_clause 0x3
	buffer_load_dword v63, v3, s[0:3], 0 offen
	buffer_load_dword v64, v3, s[0:3], 0 offen offset:4
	buffer_load_dword v65, v3, s[0:3], 0 offen offset:8
	;; [unrolled: 1-line block ×3, first 2 shown]
	buffer_store_dword v2, off, s[0:3], 0 offset:208
	buffer_store_dword v2, off, s[0:3], 0 offset:212
	;; [unrolled: 1-line block ×4, first 2 shown]
	s_waitcnt vmcnt(0)
	ds_write_b128 v1, v[63:66]
.LBB92_163:
	s_or_b32 exec_lo, exec_lo, s4
	s_waitcnt lgkmcnt(0)
	s_waitcnt_vscnt null, 0x0
	s_barrier
	buffer_gl0_inv
	s_clause 0x37
	buffer_load_dword v3, off, s[0:3], 0 offset:232
	buffer_load_dword v4, off, s[0:3], 0 offset:236
	;; [unrolled: 1-line block ×56, first 2 shown]
	ds_read_b128 v[63:66], v2 offset:672
	s_clause 0x2
	buffer_load_dword v128, off, s[0:3], 0 offset:460
	buffer_load_dword v132, off, s[0:3], 0 offset:436
	;; [unrolled: 1-line block ×3, first 2 shown]
	ds_read_b128 v[67:70], v2 offset:688
	s_clause 0x2
	buffer_load_dword v136, off, s[0:3], 0 offset:476
	buffer_load_dword v135, off, s[0:3], 0 offset:472
	;; [unrolled: 1-line block ×3, first 2 shown]
	ds_read_b128 v[71:74], v2 offset:704
	s_mov_b32 s4, exec_lo
	s_waitcnt vmcnt(60) lgkmcnt(2)
	v_mul_f64 v[133:134], v[65:66], v[3:4]
	v_mul_f64 v[3:4], v[63:64], v[3:4]
	s_waitcnt vmcnt(58) lgkmcnt(1)
	v_mul_f64 v[137:138], v[69:70], v[75:76]
	v_mul_f64 v[75:76], v[67:68], v[75:76]
	s_waitcnt vmcnt(54) lgkmcnt(0)
	v_mul_f64 v[139:140], v[71:72], v[79:80]
	v_mul_f64 v[79:80], v[73:74], v[79:80]
	v_fma_f64 v[133:134], v[63:64], v[77:78], -v[133:134]
	v_fma_f64 v[3:4], v[65:66], v[77:78], v[3:4]
	s_clause 0x1
	buffer_load_dword v78, off, s[0:3], 0 offset:468
	buffer_load_dword v77, off, s[0:3], 0 offset:464
	s_waitcnt vmcnt(54)
	v_fma_f64 v[137:138], v[67:68], v[81:82], -v[137:138]
	ds_read_b128 v[63:66], v2 offset:720
	v_fma_f64 v[75:76], v[69:70], v[81:82], v[75:76]
	ds_read_b128 v[67:70], v2 offset:736
	s_waitcnt vmcnt(48)
	v_fma_f64 v[79:80], v[71:72], v[89:90], -v[79:80]
	v_fma_f64 v[89:90], v[73:74], v[89:90], v[139:140]
	v_add_f64 v[133:134], v[133:134], 0
	v_add_f64 v[3:4], v[3:4], 0
	s_waitcnt lgkmcnt(1)
	v_mul_f64 v[81:82], v[63:64], v[83:84]
	v_mul_f64 v[83:84], v[65:66], v[83:84]
	s_waitcnt vmcnt(47) lgkmcnt(0)
	v_mul_f64 v[139:140], v[67:68], v[85:86]
	v_mul_f64 v[85:86], v[69:70], v[85:86]
	v_add_f64 v[133:134], v[133:134], v[137:138]
	v_add_f64 v[3:4], v[3:4], v[75:76]
	s_clause 0x3
	buffer_load_dword v75, off, s[0:3], 0 offset:208
	buffer_load_dword v76, off, s[0:3], 0 offset:212
	;; [unrolled: 1-line block ×4, first 2 shown]
	s_waitcnt vmcnt(49)
	v_fma_f64 v[83:84], v[63:64], v[91:92], -v[83:84]
	ds_read_b128 v[71:74], v2 offset:752
	v_fma_f64 v[81:82], v[65:66], v[91:92], v[81:82]
	ds_read_b128 v[63:66], v2 offset:768
	s_waitcnt vmcnt(44)
	v_fma_f64 v[85:86], v[67:68], v[87:88], -v[85:86]
	v_add_f64 v[79:80], v[133:134], v[79:80]
	v_add_f64 v[3:4], v[3:4], v[89:90]
	s_waitcnt lgkmcnt(1)
	v_mul_f64 v[91:92], v[73:74], v[93:94]
	v_mul_f64 v[89:90], v[71:72], v[93:94]
	v_add_f64 v[79:80], v[79:80], v[83:84]
	v_fma_f64 v[83:84], v[69:70], v[87:88], v[139:140]
	v_add_f64 v[3:4], v[3:4], v[81:82]
	s_waitcnt vmcnt(43) lgkmcnt(0)
	v_mul_f64 v[87:88], v[65:66], v[95:96]
	s_waitcnt vmcnt(41)
	v_fma_f64 v[91:92], v[71:72], v[99:100], -v[91:92]
	ds_read_b128 v[67:70], v2 offset:784
	v_mul_f64 v[81:82], v[63:64], v[95:96]
	v_add_f64 v[79:80], v[79:80], v[85:86]
	v_fma_f64 v[85:86], v[73:74], v[99:100], v[89:90]
	v_add_f64 v[3:4], v[3:4], v[83:84]
	ds_read_b128 v[71:74], v2 offset:800
	s_waitcnt vmcnt(37) lgkmcnt(1)
	v_mul_f64 v[89:90], v[69:70], v[101:102]
	s_waitcnt vmcnt(36)
	v_fma_f64 v[87:88], v[63:64], v[97:98], -v[87:88]
	v_mul_f64 v[83:84], v[67:68], v[101:102]
	v_fma_f64 v[81:82], v[65:66], v[97:98], v[81:82]
	ds_read_b128 v[63:66], v2 offset:816
	v_add_f64 v[79:80], v[79:80], v[91:92]
	s_waitcnt vmcnt(35) lgkmcnt(1)
	v_mul_f64 v[91:92], v[73:74], v[103:104]
	v_add_f64 v[3:4], v[3:4], v[85:86]
	v_mul_f64 v[85:86], v[71:72], v[103:104]
	s_waitcnt vmcnt(33)
	v_fma_f64 v[89:90], v[67:68], v[107:108], -v[89:90]
	v_fma_f64 v[83:84], v[69:70], v[107:108], v[83:84]
	ds_read_b128 v[67:70], v2 offset:832
	v_add_f64 v[79:80], v[79:80], v[87:88]
	s_waitcnt vmcnt(29) lgkmcnt(1)
	v_mul_f64 v[87:88], v[65:66], v[109:110]
	v_add_f64 v[3:4], v[3:4], v[81:82]
	s_waitcnt vmcnt(28)
	v_fma_f64 v[91:92], v[71:72], v[105:106], -v[91:92]
	v_mul_f64 v[81:82], v[63:64], v[109:110]
	v_fma_f64 v[85:86], v[73:74], v[105:106], v[85:86]
	ds_read_b128 v[71:74], v2 offset:848
	v_add_f64 v[79:80], v[79:80], v[89:90]
	s_waitcnt vmcnt(27) lgkmcnt(1)
	v_mul_f64 v[89:90], v[69:70], v[111:112]
	v_add_f64 v[3:4], v[3:4], v[83:84]
	s_waitcnt vmcnt(25)
	v_fma_f64 v[87:88], v[63:64], v[115:116], -v[87:88]
	v_mul_f64 v[83:84], v[67:68], v[111:112]
	v_fma_f64 v[81:82], v[65:66], v[115:116], v[81:82]
	ds_read_b128 v[63:66], v2 offset:864
	v_add_f64 v[79:80], v[79:80], v[91:92]
	s_waitcnt vmcnt(21) lgkmcnt(1)
	v_mul_f64 v[91:92], v[73:74], v[117:118]
	v_add_f64 v[3:4], v[3:4], v[85:86]
	s_waitcnt vmcnt(20)
	v_fma_f64 v[89:90], v[67:68], v[113:114], -v[89:90]
	v_mul_f64 v[85:86], v[71:72], v[117:118]
	v_fma_f64 v[83:84], v[69:70], v[113:114], v[83:84]
	ds_read_b128 v[67:70], v2 offset:880
	v_add_f64 v[79:80], v[79:80], v[87:88]
	s_waitcnt vmcnt(19) lgkmcnt(1)
	v_mul_f64 v[87:88], v[65:66], v[119:120]
	v_add_f64 v[3:4], v[3:4], v[81:82]
	s_waitcnt vmcnt(17)
	v_fma_f64 v[91:92], v[71:72], v[123:124], -v[91:92]
	v_mul_f64 v[81:82], v[63:64], v[119:120]
	v_fma_f64 v[85:86], v[73:74], v[123:124], v[85:86]
	ds_read_b128 v[71:74], v2 offset:896
	v_add_f64 v[79:80], v[79:80], v[89:90]
	s_waitcnt vmcnt(13) lgkmcnt(1)
	v_mul_f64 v[89:90], v[69:70], v[125:126]
	v_add_f64 v[3:4], v[3:4], v[83:84]
	s_waitcnt vmcnt(12)
	v_fma_f64 v[87:88], v[63:64], v[121:122], -v[87:88]
	v_mul_f64 v[83:84], v[67:68], v[125:126]
	v_fma_f64 v[81:82], v[65:66], v[121:122], v[81:82]
	ds_read_b128 v[63:66], v2 offset:912
	v_add_f64 v[79:80], v[79:80], v[91:92]
	s_waitcnt vmcnt(11) lgkmcnt(1)
	v_mul_f64 v[91:92], v[73:74], v[127:128]
	v_add_f64 v[3:4], v[3:4], v[85:86]
	s_waitcnt vmcnt(9)
	v_fma_f64 v[67:68], v[67:68], v[131:132], -v[89:90]
	v_mul_f64 v[85:86], v[71:72], v[127:128]
	v_fma_f64 v[69:70], v[69:70], v[131:132], v[83:84]
	s_waitcnt vmcnt(7) lgkmcnt(0)
	v_mul_f64 v[83:84], v[65:66], v[135:136]
	v_add_f64 v[79:80], v[79:80], v[87:88]
	s_waitcnt vmcnt(6)
	v_fma_f64 v[71:72], v[71:72], v[129:130], -v[91:92]
	v_add_f64 v[2:3], v[3:4], v[81:82]
	v_mul_f64 v[81:82], v[63:64], v[135:136]
	v_fma_f64 v[73:74], v[73:74], v[129:130], v[85:86]
	v_add_f64 v[67:68], v[79:80], v[67:68]
	v_add_f64 v[2:3], v[2:3], v[69:70]
	s_waitcnt vmcnt(4)
	v_fma_f64 v[63:64], v[63:64], v[77:78], -v[83:84]
	v_fma_f64 v[65:66], v[65:66], v[77:78], v[81:82]
	v_add_f64 v[67:68], v[67:68], v[71:72]
	v_add_f64 v[2:3], v[2:3], v[73:74]
	;; [unrolled: 1-line block ×4, first 2 shown]
	s_waitcnt vmcnt(2)
	v_add_f64 v[63:64], v[75:76], -v[63:64]
	s_waitcnt vmcnt(0)
	v_add_f64 v[2:3], v[137:138], -v[2:3]
	buffer_store_dword v64, off, s[0:3], 0 offset:212
	buffer_store_dword v63, off, s[0:3], 0 offset:208
	;; [unrolled: 1-line block ×4, first 2 shown]
	v_cmpx_lt_u32_e32 11, v0
	s_cbranch_execz .LBB92_165
; %bb.164:
	v_mov_b32_e32 v2, s29
	s_clause 0x3
	buffer_load_dword v63, v2, s[0:3], 0 offen
	buffer_load_dword v64, v2, s[0:3], 0 offen offset:4
	buffer_load_dword v65, v2, s[0:3], 0 offen offset:8
	;; [unrolled: 1-line block ×3, first 2 shown]
	v_mov_b32_e32 v2, 0
	buffer_store_dword v2, off, s[0:3], 0 offset:192
	buffer_store_dword v2, off, s[0:3], 0 offset:196
	;; [unrolled: 1-line block ×4, first 2 shown]
	s_waitcnt vmcnt(0)
	ds_write_b128 v1, v[63:66]
.LBB92_165:
	s_or_b32 exec_lo, exec_lo, s4
	s_waitcnt lgkmcnt(0)
	s_waitcnt_vscnt null, 0x0
	s_barrier
	buffer_gl0_inv
	s_clause 0x35
	buffer_load_dword v3, off, s[0:3], 0 offset:216
	buffer_load_dword v4, off, s[0:3], 0 offset:220
	;; [unrolled: 1-line block ×54, first 2 shown]
	v_mov_b32_e32 v2, 0
	s_mov_b32 s4, exec_lo
	ds_read_b128 v[63:66], v2 offset:656
	s_clause 0x3
	buffer_load_dword v127, off, s[0:3], 0 offset:440
	buffer_load_dword v128, off, s[0:3], 0 offset:444
	;; [unrolled: 1-line block ×4, first 2 shown]
	ds_read_b128 v[67:70], v2 offset:672
	s_clause 0x3
	buffer_load_dword v134, off, s[0:3], 0 offset:460
	buffer_load_dword v133, off, s[0:3], 0 offset:456
	;; [unrolled: 1-line block ×4, first 2 shown]
	ds_read_b128 v[71:74], v2 offset:688
	s_waitcnt vmcnt(60) lgkmcnt(2)
	v_mul_f64 v[131:132], v[65:66], v[3:4]
	v_mul_f64 v[3:4], v[63:64], v[3:4]
	s_waitcnt vmcnt(58) lgkmcnt(1)
	v_mul_f64 v[137:138], v[69:70], v[75:76]
	v_mul_f64 v[75:76], v[67:68], v[75:76]
	;; [unrolled: 3-line block ×3, first 2 shown]
	v_fma_f64 v[131:132], v[63:64], v[77:78], -v[131:132]
	v_fma_f64 v[3:4], v[65:66], v[77:78], v[3:4]
	s_clause 0x3
	buffer_load_dword v77, off, s[0:3], 0 offset:472
	buffer_load_dword v78, off, s[0:3], 0 offset:476
	;; [unrolled: 1-line block ×4, first 2 shown]
	s_waitcnt vmcnt(56)
	v_fma_f64 v[137:138], v[67:68], v[81:82], -v[137:138]
	ds_read_b128 v[63:66], v2 offset:704
	v_fma_f64 v[75:76], v[69:70], v[81:82], v[75:76]
	s_clause 0x1
	buffer_load_dword v81, off, s[0:3], 0 offset:464
	buffer_load_dword v82, off, s[0:3], 0 offset:468
	s_waitcnt vmcnt(54)
	v_fma_f64 v[79:80], v[71:72], v[85:86], -v[79:80]
	ds_read_b128 v[67:70], v2 offset:720
	v_fma_f64 v[85:86], v[73:74], v[85:86], v[141:142]
	ds_read_b128 v[71:74], v2 offset:736
	v_add_f64 v[131:132], v[131:132], 0
	v_add_f64 v[3:4], v[3:4], 0
	s_waitcnt lgkmcnt(2)
	v_mul_f64 v[143:144], v[63:64], v[83:84]
	v_mul_f64 v[83:84], v[65:66], v[83:84]
	v_add_f64 v[131:132], v[131:132], v[137:138]
	v_add_f64 v[3:4], v[3:4], v[75:76]
	s_waitcnt vmcnt(52) lgkmcnt(1)
	v_mul_f64 v[75:76], v[67:68], v[87:88]
	v_mul_f64 v[87:88], v[69:70], v[87:88]
	s_waitcnt vmcnt(50)
	v_fma_f64 v[83:84], v[63:64], v[89:90], -v[83:84]
	v_fma_f64 v[89:90], v[65:66], v[89:90], v[143:144]
	s_waitcnt vmcnt(48) lgkmcnt(0)
	v_mul_f64 v[137:138], v[71:72], v[91:92]
	v_mul_f64 v[91:92], v[73:74], v[91:92]
	v_add_f64 v[79:80], v[131:132], v[79:80]
	v_add_f64 v[3:4], v[3:4], v[85:86]
	s_clause 0x3
	buffer_load_dword v85, off, s[0:3], 0 offset:192
	buffer_load_dword v86, off, s[0:3], 0 offset:196
	;; [unrolled: 1-line block ×4, first 2 shown]
	s_waitcnt vmcnt(50)
	v_fma_f64 v[87:88], v[67:68], v[93:94], -v[87:88]
	ds_read_b128 v[63:66], v2 offset:752
	v_fma_f64 v[75:76], v[69:70], v[93:94], v[75:76]
	ds_read_b128 v[67:70], v2 offset:768
	s_waitcnt vmcnt(46)
	v_fma_f64 v[91:92], v[71:72], v[97:98], -v[91:92]
	v_add_f64 v[79:80], v[79:80], v[83:84]
	v_add_f64 v[3:4], v[3:4], v[89:90]
	s_waitcnt lgkmcnt(1)
	v_mul_f64 v[89:90], v[65:66], v[95:96]
	v_mul_f64 v[83:84], v[63:64], v[95:96]
	s_waitcnt vmcnt(44) lgkmcnt(0)
	v_mul_f64 v[93:94], v[69:70], v[99:100]
	v_add_f64 v[79:80], v[79:80], v[87:88]
	v_fma_f64 v[87:88], v[73:74], v[97:98], v[137:138]
	v_add_f64 v[3:4], v[3:4], v[75:76]
	s_waitcnt vmcnt(42)
	v_fma_f64 v[89:90], v[63:64], v[101:102], -v[89:90]
	ds_read_b128 v[71:74], v2 offset:784
	v_mul_f64 v[75:76], v[67:68], v[99:100]
	v_fma_f64 v[83:84], v[65:66], v[101:102], v[83:84]
	ds_read_b128 v[63:66], v2 offset:800
	s_waitcnt vmcnt(38)
	v_fma_f64 v[93:94], v[67:68], v[105:106], -v[93:94]
	v_add_f64 v[79:80], v[79:80], v[91:92]
	v_add_f64 v[3:4], v[3:4], v[87:88]
	s_waitcnt lgkmcnt(1)
	v_mul_f64 v[91:92], v[73:74], v[103:104]
	v_mul_f64 v[87:88], v[71:72], v[103:104]
	v_fma_f64 v[75:76], v[69:70], v[105:106], v[75:76]
	ds_read_b128 v[67:70], v2 offset:816
	v_add_f64 v[79:80], v[79:80], v[89:90]
	s_waitcnt vmcnt(36) lgkmcnt(1)
	v_mul_f64 v[89:90], v[65:66], v[107:108]
	v_add_f64 v[3:4], v[3:4], v[83:84]
	s_waitcnt vmcnt(34)
	v_fma_f64 v[91:92], v[71:72], v[109:110], -v[91:92]
	v_mul_f64 v[83:84], v[63:64], v[107:108]
	v_fma_f64 v[87:88], v[73:74], v[109:110], v[87:88]
	ds_read_b128 v[71:74], v2 offset:832
	v_add_f64 v[79:80], v[79:80], v[93:94]
	s_waitcnt vmcnt(32) lgkmcnt(1)
	v_mul_f64 v[93:94], v[69:70], v[111:112]
	v_add_f64 v[3:4], v[3:4], v[75:76]
	s_waitcnt vmcnt(30)
	v_fma_f64 v[89:90], v[63:64], v[113:114], -v[89:90]
	;; [unrolled: 9-line block ×7, first 2 shown]
	v_mul_f64 v[83:84], v[63:64], v[133:134]
	v_fma_f64 v[73:74], v[73:74], v[135:136], v[87:88]
	v_add_f64 v[79:80], v[79:80], v[93:94]
	v_add_f64 v[3:4], v[3:4], v[75:76]
	s_waitcnt vmcnt(8) lgkmcnt(0)
	v_mul_f64 v[75:76], v[67:68], v[77:78]
	v_mul_f64 v[77:78], v[69:70], v[77:78]
	s_waitcnt vmcnt(6)
	v_fma_f64 v[63:64], v[63:64], v[139:140], -v[89:90]
	v_fma_f64 v[65:66], v[65:66], v[139:140], v[83:84]
	v_add_f64 v[71:72], v[79:80], v[71:72]
	v_add_f64 v[3:4], v[3:4], v[73:74]
	s_waitcnt vmcnt(4)
	v_fma_f64 v[69:70], v[69:70], v[81:82], v[75:76]
	v_fma_f64 v[67:68], v[67:68], v[81:82], -v[77:78]
	v_add_f64 v[63:64], v[71:72], v[63:64]
	v_add_f64 v[3:4], v[3:4], v[65:66]
	;; [unrolled: 1-line block ×4, first 2 shown]
	s_waitcnt vmcnt(2)
	v_add_f64 v[63:64], v[85:86], -v[63:64]
	s_waitcnt vmcnt(0)
	v_add_f64 v[3:4], v[131:132], -v[3:4]
	buffer_store_dword v64, off, s[0:3], 0 offset:196
	buffer_store_dword v63, off, s[0:3], 0 offset:192
	;; [unrolled: 1-line block ×4, first 2 shown]
	v_cmpx_lt_u32_e32 10, v0
	s_cbranch_execz .LBB92_167
; %bb.166:
	v_mov_b32_e32 v3, s30
	s_clause 0x3
	buffer_load_dword v63, v3, s[0:3], 0 offen
	buffer_load_dword v64, v3, s[0:3], 0 offen offset:4
	buffer_load_dword v65, v3, s[0:3], 0 offen offset:8
	;; [unrolled: 1-line block ×3, first 2 shown]
	buffer_store_dword v2, off, s[0:3], 0 offset:176
	buffer_store_dword v2, off, s[0:3], 0 offset:180
	;; [unrolled: 1-line block ×4, first 2 shown]
	s_waitcnt vmcnt(0)
	ds_write_b128 v1, v[63:66]
.LBB92_167:
	s_or_b32 exec_lo, exec_lo, s4
	s_waitcnt lgkmcnt(0)
	s_waitcnt_vscnt null, 0x0
	s_barrier
	buffer_gl0_inv
	s_clause 0x37
	buffer_load_dword v3, off, s[0:3], 0 offset:200
	buffer_load_dword v4, off, s[0:3], 0 offset:204
	;; [unrolled: 1-line block ×56, first 2 shown]
	ds_read_b128 v[63:66], v2 offset:640
	s_clause 0x2
	buffer_load_dword v128, off, s[0:3], 0 offset:428
	buffer_load_dword v132, off, s[0:3], 0 offset:404
	;; [unrolled: 1-line block ×3, first 2 shown]
	ds_read_b128 v[67:70], v2 offset:656
	s_clause 0x4
	buffer_load_dword v136, off, s[0:3], 0 offset:444
	buffer_load_dword v137, off, s[0:3], 0 offset:456
	buffer_load_dword v139, off, s[0:3], 0 offset:448
	buffer_load_dword v135, off, s[0:3], 0 offset:440
	buffer_load_dword v130, off, s[0:3], 0 offset:420
	ds_read_b128 v[71:74], v2 offset:672
	s_mov_b32 s4, exec_lo
	s_waitcnt vmcnt(62) lgkmcnt(2)
	v_mul_f64 v[133:134], v[65:66], v[3:4]
	v_mul_f64 v[3:4], v[63:64], v[3:4]
	s_waitcnt vmcnt(60) lgkmcnt(1)
	v_mul_f64 v[140:141], v[69:70], v[75:76]
	v_mul_f64 v[75:76], v[67:68], v[75:76]
	;; [unrolled: 3-line block ×3, first 2 shown]
	v_fma_f64 v[133:134], v[63:64], v[77:78], -v[133:134]
	v_fma_f64 v[3:4], v[65:66], v[77:78], v[3:4]
	s_clause 0x2
	buffer_load_dword v138, off, s[0:3], 0 offset:460
	buffer_load_dword v78, off, s[0:3], 0 offset:436
	;; [unrolled: 1-line block ×3, first 2 shown]
	s_waitcnt vmcnt(57)
	v_fma_f64 v[144:145], v[67:68], v[81:82], -v[140:141]
	ds_read_b128 v[63:66], v2 offset:688
	v_fma_f64 v[75:76], v[69:70], v[81:82], v[75:76]
	s_clause 0x2
	buffer_load_dword v82, off, s[0:3], 0 offset:476
	buffer_load_dword v81, off, s[0:3], 0 offset:472
	;; [unrolled: 1-line block ×3, first 2 shown]
	s_waitcnt vmcnt(54)
	v_fma_f64 v[79:80], v[71:72], v[89:90], -v[79:80]
	ds_read_b128 v[67:70], v2 offset:704
	v_fma_f64 v[89:90], v[73:74], v[89:90], v[142:143]
	v_add_f64 v[133:134], v[133:134], 0
	v_add_f64 v[3:4], v[3:4], 0
	s_waitcnt lgkmcnt(1)
	v_mul_f64 v[146:147], v[63:64], v[83:84]
	v_mul_f64 v[83:84], v[65:66], v[83:84]
	s_waitcnt vmcnt(53) lgkmcnt(0)
	v_mul_f64 v[141:142], v[67:68], v[85:86]
	v_mul_f64 v[85:86], v[69:70], v[85:86]
	v_add_f64 v[133:134], v[133:134], v[144:145]
	v_add_f64 v[3:4], v[3:4], v[75:76]
	s_clause 0x1
	buffer_load_dword v76, off, s[0:3], 0 offset:468
	buffer_load_dword v75, off, s[0:3], 0 offset:464
	s_waitcnt vmcnt(53)
	v_fma_f64 v[83:84], v[63:64], v[91:92], -v[83:84]
	ds_read_b128 v[71:74], v2 offset:720
	v_fma_f64 v[91:92], v[65:66], v[91:92], v[146:147]
	ds_read_b128 v[63:66], v2 offset:736
	s_waitcnt vmcnt(48)
	v_fma_f64 v[85:86], v[67:68], v[87:88], -v[85:86]
	v_add_f64 v[79:80], v[133:134], v[79:80]
	v_add_f64 v[3:4], v[3:4], v[89:90]
	s_waitcnt lgkmcnt(1)
	v_mul_f64 v[89:90], v[71:72], v[93:94]
	v_mul_f64 v[93:94], v[73:74], v[93:94]
	s_waitcnt vmcnt(47) lgkmcnt(0)
	v_mul_f64 v[133:134], v[63:64], v[95:96]
	v_mul_f64 v[95:96], v[65:66], v[95:96]
	v_add_f64 v[79:80], v[79:80], v[83:84]
	v_fma_f64 v[83:84], v[69:70], v[87:88], v[141:142]
	v_add_f64 v[3:4], v[3:4], v[91:92]
	s_clause 0x3
	buffer_load_dword v87, off, s[0:3], 0 offset:176
	buffer_load_dword v88, off, s[0:3], 0 offset:180
	;; [unrolled: 1-line block ×4, first 2 shown]
	s_waitcnt vmcnt(49)
	v_fma_f64 v[93:94], v[71:72], v[99:100], -v[93:94]
	ds_read_b128 v[67:70], v2 offset:752
	s_waitcnt vmcnt(44)
	v_fma_f64 v[95:96], v[63:64], v[97:98], -v[95:96]
	v_add_f64 v[79:80], v[79:80], v[85:86]
	v_fma_f64 v[85:86], v[73:74], v[99:100], v[89:90]
	v_add_f64 v[3:4], v[3:4], v[83:84]
	ds_read_b128 v[71:74], v2 offset:768
	s_waitcnt lgkmcnt(1)
	v_mul_f64 v[89:90], v[69:70], v[101:102]
	v_mul_f64 v[83:84], v[67:68], v[101:102]
	v_add_f64 v[79:80], v[79:80], v[93:94]
	v_fma_f64 v[93:94], v[65:66], v[97:98], v[133:134]
	v_add_f64 v[3:4], v[3:4], v[85:86]
	s_waitcnt vmcnt(43) lgkmcnt(0)
	v_mul_f64 v[97:98], v[73:74], v[103:104]
	s_waitcnt vmcnt(41)
	v_fma_f64 v[89:90], v[67:68], v[107:108], -v[89:90]
	ds_read_b128 v[63:66], v2 offset:784
	v_mul_f64 v[85:86], v[71:72], v[103:104]
	v_fma_f64 v[83:84], v[69:70], v[107:108], v[83:84]
	ds_read_b128 v[67:70], v2 offset:800
	v_add_f64 v[79:80], v[79:80], v[95:96]
	v_add_f64 v[3:4], v[3:4], v[93:94]
	s_waitcnt vmcnt(37) lgkmcnt(1)
	v_mul_f64 v[95:96], v[65:66], v[109:110]
	s_waitcnt vmcnt(36)
	v_fma_f64 v[97:98], v[71:72], v[105:106], -v[97:98]
	v_mul_f64 v[93:94], v[63:64], v[109:110]
	v_fma_f64 v[85:86], v[73:74], v[105:106], v[85:86]
	ds_read_b128 v[71:74], v2 offset:816
	v_add_f64 v[79:80], v[79:80], v[89:90]
	s_waitcnt vmcnt(35) lgkmcnt(1)
	v_mul_f64 v[89:90], v[69:70], v[111:112]
	v_add_f64 v[3:4], v[3:4], v[83:84]
	s_waitcnt vmcnt(33)
	v_fma_f64 v[95:96], v[63:64], v[115:116], -v[95:96]
	v_mul_f64 v[83:84], v[67:68], v[111:112]
	v_fma_f64 v[93:94], v[65:66], v[115:116], v[93:94]
	ds_read_b128 v[63:66], v2 offset:832
	v_add_f64 v[79:80], v[79:80], v[97:98]
	s_waitcnt vmcnt(29) lgkmcnt(1)
	v_mul_f64 v[97:98], v[73:74], v[117:118]
	v_add_f64 v[3:4], v[3:4], v[85:86]
	;; [unrolled: 9-line block ×6, first 2 shown]
	s_waitcnt vmcnt(12)
	v_fma_f64 v[97:98], v[71:72], v[129:130], -v[97:98]
	v_mul_f64 v[93:94], v[63:64], v[135:136]
	v_fma_f64 v[85:86], v[73:74], v[129:130], v[85:86]
	ds_read_b128 v[71:74], v2 offset:912
	v_add_f64 v[79:80], v[79:80], v[89:90]
	v_add_f64 v[3:4], v[3:4], v[83:84]
	s_waitcnt vmcnt(11) lgkmcnt(1)
	v_mul_f64 v[89:90], v[69:70], v[137:138]
	v_mul_f64 v[83:84], v[67:68], v[137:138]
	s_waitcnt vmcnt(9)
	v_fma_f64 v[63:64], v[63:64], v[77:78], -v[95:96]
	v_fma_f64 v[65:66], v[65:66], v[77:78], v[93:94]
	s_waitcnt vmcnt(7) lgkmcnt(0)
	v_mul_f64 v[77:78], v[71:72], v[81:82]
	v_mul_f64 v[81:82], v[73:74], v[81:82]
	v_add_f64 v[79:80], v[79:80], v[97:98]
	v_add_f64 v[2:3], v[3:4], v[85:86]
	s_waitcnt vmcnt(6)
	v_fma_f64 v[67:68], v[67:68], v[139:140], -v[89:90]
	v_fma_f64 v[69:70], v[69:70], v[139:140], v[83:84]
	v_add_f64 v[63:64], v[79:80], v[63:64]
	v_add_f64 v[2:3], v[2:3], v[65:66]
	s_waitcnt vmcnt(4)
	v_fma_f64 v[65:66], v[71:72], v[75:76], -v[81:82]
	v_add_f64 v[63:64], v[63:64], v[67:68]
	v_fma_f64 v[67:68], v[73:74], v[75:76], v[77:78]
	v_add_f64 v[2:3], v[2:3], v[69:70]
	v_add_f64 v[63:64], v[63:64], v[65:66]
	;; [unrolled: 1-line block ×3, first 2 shown]
	s_waitcnt vmcnt(2)
	v_add_f64 v[63:64], v[87:88], -v[63:64]
	s_waitcnt vmcnt(0)
	v_add_f64 v[2:3], v[91:92], -v[2:3]
	buffer_store_dword v64, off, s[0:3], 0 offset:180
	buffer_store_dword v63, off, s[0:3], 0 offset:176
	;; [unrolled: 1-line block ×4, first 2 shown]
	v_cmpx_lt_u32_e32 9, v0
	s_cbranch_execz .LBB92_169
; %bb.168:
	v_mov_b32_e32 v2, s31
	s_clause 0x3
	buffer_load_dword v63, v2, s[0:3], 0 offen
	buffer_load_dword v64, v2, s[0:3], 0 offen offset:4
	buffer_load_dword v65, v2, s[0:3], 0 offen offset:8
	;; [unrolled: 1-line block ×3, first 2 shown]
	v_mov_b32_e32 v2, 0
	buffer_store_dword v2, off, s[0:3], 0 offset:160
	buffer_store_dword v2, off, s[0:3], 0 offset:164
	;; [unrolled: 1-line block ×4, first 2 shown]
	s_waitcnt vmcnt(0)
	ds_write_b128 v1, v[63:66]
.LBB92_169:
	s_or_b32 exec_lo, exec_lo, s4
	s_waitcnt lgkmcnt(0)
	s_waitcnt_vscnt null, 0x0
	s_barrier
	buffer_gl0_inv
	s_clause 0x37
	buffer_load_dword v3, off, s[0:3], 0 offset:184
	buffer_load_dword v4, off, s[0:3], 0 offset:188
	;; [unrolled: 1-line block ×56, first 2 shown]
	v_mov_b32_e32 v2, 0
	s_mov_b32 s4, exec_lo
	ds_read_b128 v[63:66], v2 offset:624
	s_clause 0x2
	buffer_load_dword v128, off, s[0:3], 0 offset:412
	buffer_load_dword v132, off, s[0:3], 0 offset:388
	;; [unrolled: 1-line block ×3, first 2 shown]
	ds_read_b128 v[67:70], v2 offset:640
	s_clause 0x4
	buffer_load_dword v136, off, s[0:3], 0 offset:428
	buffer_load_dword v137, off, s[0:3], 0 offset:440
	;; [unrolled: 1-line block ×5, first 2 shown]
	ds_read_b128 v[71:74], v2 offset:656
	s_waitcnt vmcnt(62) lgkmcnt(2)
	v_mul_f64 v[133:134], v[65:66], v[3:4]
	v_mul_f64 v[3:4], v[63:64], v[3:4]
	s_waitcnt vmcnt(60) lgkmcnt(1)
	v_mul_f64 v[140:141], v[69:70], v[75:76]
	v_mul_f64 v[75:76], v[67:68], v[75:76]
	;; [unrolled: 3-line block ×3, first 2 shown]
	v_fma_f64 v[133:134], v[63:64], v[77:78], -v[133:134]
	v_fma_f64 v[3:4], v[65:66], v[77:78], v[3:4]
	s_clause 0x2
	buffer_load_dword v138, off, s[0:3], 0 offset:444
	buffer_load_dword v78, off, s[0:3], 0 offset:420
	;; [unrolled: 1-line block ×3, first 2 shown]
	s_waitcnt vmcnt(57)
	v_fma_f64 v[144:145], v[67:68], v[81:82], -v[140:141]
	ds_read_b128 v[63:66], v2 offset:672
	v_fma_f64 v[75:76], v[69:70], v[81:82], v[75:76]
	s_clause 0x4
	buffer_load_dword v82, off, s[0:3], 0 offset:460
	buffer_load_dword v141, off, s[0:3], 0 offset:472
	;; [unrolled: 1-line block ×5, first 2 shown]
	s_waitcnt vmcnt(56)
	v_fma_f64 v[79:80], v[71:72], v[89:90], -v[79:80]
	ds_read_b128 v[67:70], v2 offset:688
	v_fma_f64 v[89:90], v[73:74], v[89:90], v[142:143]
	v_add_f64 v[133:134], v[133:134], 0
	v_add_f64 v[3:4], v[3:4], 0
	s_waitcnt lgkmcnt(1)
	v_mul_f64 v[147:148], v[63:64], v[83:84]
	v_mul_f64 v[83:84], v[65:66], v[83:84]
	v_add_f64 v[133:134], v[133:134], v[144:145]
	v_add_f64 v[3:4], v[3:4], v[75:76]
	s_clause 0x2
	buffer_load_dword v142, off, s[0:3], 0 offset:476
	buffer_load_dword v76, off, s[0:3], 0 offset:452
	;; [unrolled: 1-line block ×3, first 2 shown]
	s_waitcnt vmcnt(58) lgkmcnt(0)
	v_mul_f64 v[143:144], v[67:68], v[85:86]
	v_mul_f64 v[85:86], v[69:70], v[85:86]
	s_waitcnt vmcnt(56)
	v_fma_f64 v[83:84], v[63:64], v[91:92], -v[83:84]
	ds_read_b128 v[71:74], v2 offset:704
	v_fma_f64 v[91:92], v[65:66], v[91:92], v[147:148]
	buffer_load_dword v147, off, s[0:3], 0 offset:468
	ds_read_b128 v[63:66], v2 offset:720
	v_add_f64 v[79:80], v[133:134], v[79:80]
	v_add_f64 v[3:4], v[3:4], v[89:90]
	s_waitcnt vmcnt(53) lgkmcnt(1)
	v_mul_f64 v[89:90], v[71:72], v[93:94]
	v_mul_f64 v[93:94], v[73:74], v[93:94]
	s_waitcnt vmcnt(52)
	v_fma_f64 v[85:86], v[67:68], v[87:88], -v[85:86]
	v_add_f64 v[79:80], v[79:80], v[83:84]
	v_fma_f64 v[83:84], v[69:70], v[87:88], v[143:144]
	v_add_f64 v[3:4], v[3:4], v[91:92]
	s_waitcnt vmcnt(51) lgkmcnt(0)
	v_mul_f64 v[91:92], v[65:66], v[95:96]
	ds_read_b128 v[67:70], v2 offset:736
	s_waitcnt vmcnt(49)
	v_fma_f64 v[93:94], v[71:72], v[99:100], -v[93:94]
	v_mul_f64 v[87:88], v[63:64], v[95:96]
	v_add_f64 v[79:80], v[79:80], v[85:86]
	v_fma_f64 v[85:86], v[73:74], v[99:100], v[89:90]
	v_add_f64 v[3:4], v[3:4], v[83:84]
	s_clause 0x3
	buffer_load_dword v83, off, s[0:3], 0 offset:160
	buffer_load_dword v84, off, s[0:3], 0 offset:164
	;; [unrolled: 1-line block ×4, first 2 shown]
	s_waitcnt vmcnt(49) lgkmcnt(0)
	v_mul_f64 v[99:100], v[69:70], v[101:102]
	s_waitcnt vmcnt(48)
	v_fma_f64 v[91:92], v[63:64], v[97:98], -v[91:92]
	ds_read_b128 v[71:74], v2 offset:752
	v_mul_f64 v[95:96], v[67:68], v[101:102]
	v_fma_f64 v[87:88], v[65:66], v[97:98], v[87:88]
	ds_read_b128 v[63:66], v2 offset:768
	v_add_f64 v[79:80], v[79:80], v[93:94]
	v_add_f64 v[3:4], v[3:4], v[85:86]
	s_waitcnt vmcnt(47) lgkmcnt(1)
	v_mul_f64 v[93:94], v[73:74], v[103:104]
	s_waitcnt vmcnt(45)
	v_fma_f64 v[97:98], v[67:68], v[107:108], -v[99:100]
	v_mul_f64 v[85:86], v[71:72], v[103:104]
	v_add_f64 v[79:80], v[79:80], v[91:92]
	v_fma_f64 v[91:92], v[69:70], v[107:108], v[95:96]
	v_add_f64 v[3:4], v[3:4], v[87:88]
	s_waitcnt vmcnt(41) lgkmcnt(0)
	v_mul_f64 v[95:96], v[65:66], v[109:110]
	s_waitcnt vmcnt(40)
	v_fma_f64 v[93:94], v[71:72], v[105:106], -v[93:94]
	ds_read_b128 v[67:70], v2 offset:784
	v_mul_f64 v[87:88], v[63:64], v[109:110]
	v_fma_f64 v[85:86], v[73:74], v[105:106], v[85:86]
	ds_read_b128 v[71:74], v2 offset:800
	v_add_f64 v[79:80], v[79:80], v[97:98]
	v_add_f64 v[3:4], v[3:4], v[91:92]
	s_waitcnt vmcnt(39) lgkmcnt(1)
	v_mul_f64 v[97:98], v[69:70], v[111:112]
	s_waitcnt vmcnt(37)
	v_fma_f64 v[95:96], v[63:64], v[115:116], -v[95:96]
	v_mul_f64 v[91:92], v[67:68], v[111:112]
	v_fma_f64 v[87:88], v[65:66], v[115:116], v[87:88]
	ds_read_b128 v[63:66], v2 offset:816
	v_add_f64 v[79:80], v[79:80], v[93:94]
	s_waitcnt vmcnt(33) lgkmcnt(1)
	v_mul_f64 v[93:94], v[73:74], v[117:118]
	v_add_f64 v[3:4], v[3:4], v[85:86]
	s_waitcnt vmcnt(32)
	v_fma_f64 v[97:98], v[67:68], v[113:114], -v[97:98]
	v_mul_f64 v[85:86], v[71:72], v[117:118]
	v_fma_f64 v[91:92], v[69:70], v[113:114], v[91:92]
	ds_read_b128 v[67:70], v2 offset:832
	v_add_f64 v[79:80], v[79:80], v[95:96]
	s_waitcnt vmcnt(31) lgkmcnt(1)
	v_mul_f64 v[95:96], v[65:66], v[119:120]
	v_add_f64 v[3:4], v[3:4], v[87:88]
	s_waitcnt vmcnt(29)
	v_fma_f64 v[93:94], v[71:72], v[123:124], -v[93:94]
	v_mul_f64 v[87:88], v[63:64], v[119:120]
	v_fma_f64 v[85:86], v[73:74], v[123:124], v[85:86]
	ds_read_b128 v[71:74], v2 offset:848
	v_add_f64 v[79:80], v[79:80], v[97:98]
	s_waitcnt vmcnt(25) lgkmcnt(1)
	v_mul_f64 v[97:98], v[69:70], v[125:126]
	v_add_f64 v[3:4], v[3:4], v[91:92]
	s_waitcnt vmcnt(24)
	v_fma_f64 v[95:96], v[63:64], v[121:122], -v[95:96]
	v_mul_f64 v[91:92], v[67:68], v[125:126]
	v_fma_f64 v[87:88], v[65:66], v[121:122], v[87:88]
	ds_read_b128 v[63:66], v2 offset:864
	v_add_f64 v[79:80], v[79:80], v[93:94]
	s_waitcnt vmcnt(23) lgkmcnt(1)
	v_mul_f64 v[93:94], v[73:74], v[127:128]
	v_add_f64 v[3:4], v[3:4], v[85:86]
	s_waitcnt vmcnt(21)
	v_fma_f64 v[97:98], v[67:68], v[131:132], -v[97:98]
	v_mul_f64 v[85:86], v[71:72], v[127:128]
	v_fma_f64 v[91:92], v[69:70], v[131:132], v[91:92]
	ds_read_b128 v[67:70], v2 offset:880
	v_add_f64 v[79:80], v[79:80], v[95:96]
	s_waitcnt vmcnt(17) lgkmcnt(1)
	v_mul_f64 v[95:96], v[65:66], v[135:136]
	v_add_f64 v[3:4], v[3:4], v[87:88]
	s_waitcnt vmcnt(16)
	v_fma_f64 v[93:94], v[71:72], v[129:130], -v[93:94]
	v_mul_f64 v[87:88], v[63:64], v[135:136]
	v_fma_f64 v[85:86], v[73:74], v[129:130], v[85:86]
	ds_read_b128 v[71:74], v2 offset:896
	v_add_f64 v[79:80], v[79:80], v[97:98]
	v_add_f64 v[3:4], v[3:4], v[91:92]
	s_waitcnt vmcnt(15) lgkmcnt(1)
	v_mul_f64 v[97:98], v[69:70], v[137:138]
	v_mul_f64 v[91:92], v[67:68], v[137:138]
	s_waitcnt vmcnt(13)
	v_fma_f64 v[95:96], v[63:64], v[77:78], -v[95:96]
	v_fma_f64 v[77:78], v[65:66], v[77:78], v[87:88]
	ds_read_b128 v[63:66], v2 offset:912
	v_add_f64 v[79:80], v[79:80], v[93:94]
	v_add_f64 v[3:4], v[3:4], v[85:86]
	s_waitcnt vmcnt(9) lgkmcnt(1)
	v_mul_f64 v[85:86], v[71:72], v[81:82]
	v_mul_f64 v[81:82], v[73:74], v[81:82]
	s_waitcnt vmcnt(8)
	v_fma_f64 v[67:68], v[67:68], v[139:140], -v[97:98]
	v_fma_f64 v[69:70], v[69:70], v[139:140], v[91:92]
	v_add_f64 v[79:80], v[79:80], v[95:96]
	v_add_f64 v[3:4], v[3:4], v[77:78]
	s_waitcnt vmcnt(7) lgkmcnt(0)
	v_mul_f64 v[87:88], v[65:66], v[141:142]
	v_mul_f64 v[77:78], v[63:64], v[141:142]
	s_waitcnt vmcnt(5)
	v_fma_f64 v[71:72], v[71:72], v[75:76], -v[81:82]
	v_fma_f64 v[73:74], v[73:74], v[75:76], v[85:86]
	v_add_f64 v[67:68], v[79:80], v[67:68]
	v_add_f64 v[3:4], v[3:4], v[69:70]
	s_waitcnt vmcnt(4)
	v_fma_f64 v[63:64], v[63:64], v[146:147], -v[87:88]
	v_fma_f64 v[65:66], v[65:66], v[146:147], v[77:78]
	v_add_f64 v[67:68], v[67:68], v[71:72]
	v_add_f64 v[3:4], v[3:4], v[73:74]
	;; [unrolled: 1-line block ×4, first 2 shown]
	s_waitcnt vmcnt(2)
	v_add_f64 v[63:64], v[83:84], -v[63:64]
	s_waitcnt vmcnt(0)
	v_add_f64 v[3:4], v[89:90], -v[3:4]
	buffer_store_dword v64, off, s[0:3], 0 offset:164
	buffer_store_dword v63, off, s[0:3], 0 offset:160
	buffer_store_dword v4, off, s[0:3], 0 offset:172
	buffer_store_dword v3, off, s[0:3], 0 offset:168
	v_cmpx_lt_u32_e32 8, v0
	s_cbranch_execz .LBB92_171
; %bb.170:
	v_mov_b32_e32 v3, s33
	s_clause 0x3
	buffer_load_dword v63, v3, s[0:3], 0 offen
	buffer_load_dword v64, v3, s[0:3], 0 offen offset:4
	buffer_load_dword v65, v3, s[0:3], 0 offen offset:8
	;; [unrolled: 1-line block ×3, first 2 shown]
	buffer_store_dword v2, off, s[0:3], 0 offset:144
	buffer_store_dword v2, off, s[0:3], 0 offset:148
	;; [unrolled: 1-line block ×4, first 2 shown]
	s_waitcnt vmcnt(0)
	ds_write_b128 v1, v[63:66]
.LBB92_171:
	s_or_b32 exec_lo, exec_lo, s4
	s_waitcnt lgkmcnt(0)
	s_waitcnt_vscnt null, 0x0
	s_barrier
	buffer_gl0_inv
	s_clause 0x37
	buffer_load_dword v3, off, s[0:3], 0 offset:168
	buffer_load_dword v4, off, s[0:3], 0 offset:172
	;; [unrolled: 1-line block ×56, first 2 shown]
	ds_read_b128 v[63:66], v2 offset:608
	s_clause 0x2
	buffer_load_dword v128, off, s[0:3], 0 offset:396
	buffer_load_dword v132, off, s[0:3], 0 offset:372
	;; [unrolled: 1-line block ×3, first 2 shown]
	ds_read_b128 v[67:70], v2 offset:624
	s_clause 0x4
	buffer_load_dword v136, off, s[0:3], 0 offset:412
	buffer_load_dword v137, off, s[0:3], 0 offset:424
	;; [unrolled: 1-line block ×5, first 2 shown]
	ds_read_b128 v[71:74], v2 offset:640
	s_mov_b32 s4, exec_lo
	s_waitcnt vmcnt(62) lgkmcnt(2)
	v_mul_f64 v[133:134], v[65:66], v[3:4]
	v_mul_f64 v[3:4], v[63:64], v[3:4]
	s_waitcnt vmcnt(60) lgkmcnt(1)
	v_mul_f64 v[140:141], v[69:70], v[75:76]
	v_mul_f64 v[75:76], v[67:68], v[75:76]
	;; [unrolled: 3-line block ×3, first 2 shown]
	v_fma_f64 v[133:134], v[63:64], v[77:78], -v[133:134]
	v_fma_f64 v[3:4], v[65:66], v[77:78], v[3:4]
	s_clause 0x2
	buffer_load_dword v138, off, s[0:3], 0 offset:428
	buffer_load_dword v78, off, s[0:3], 0 offset:404
	;; [unrolled: 1-line block ×3, first 2 shown]
	s_waitcnt vmcnt(57)
	v_fma_f64 v[144:145], v[67:68], v[81:82], -v[140:141]
	ds_read_b128 v[63:66], v2 offset:656
	v_fma_f64 v[75:76], v[69:70], v[81:82], v[75:76]
	s_clause 0x4
	buffer_load_dword v82, off, s[0:3], 0 offset:444
	buffer_load_dword v141, off, s[0:3], 0 offset:456
	;; [unrolled: 1-line block ×5, first 2 shown]
	s_waitcnt vmcnt(56)
	v_fma_f64 v[79:80], v[71:72], v[89:90], -v[79:80]
	ds_read_b128 v[67:70], v2 offset:672
	v_fma_f64 v[89:90], v[73:74], v[89:90], v[142:143]
	v_add_f64 v[133:134], v[133:134], 0
	v_add_f64 v[3:4], v[3:4], 0
	s_waitcnt lgkmcnt(1)
	v_mul_f64 v[147:148], v[63:64], v[83:84]
	v_mul_f64 v[83:84], v[65:66], v[83:84]
	v_add_f64 v[133:134], v[133:134], v[144:145]
	v_add_f64 v[3:4], v[3:4], v[75:76]
	s_clause 0x2
	buffer_load_dword v142, off, s[0:3], 0 offset:460
	buffer_load_dword v76, off, s[0:3], 0 offset:436
	;; [unrolled: 1-line block ×3, first 2 shown]
	s_waitcnt vmcnt(58) lgkmcnt(0)
	v_mul_f64 v[143:144], v[67:68], v[85:86]
	v_mul_f64 v[85:86], v[69:70], v[85:86]
	s_waitcnt vmcnt(56)
	v_fma_f64 v[83:84], v[63:64], v[91:92], -v[83:84]
	ds_read_b128 v[71:74], v2 offset:688
	v_fma_f64 v[91:92], v[65:66], v[91:92], v[147:148]
	v_add_f64 v[79:80], v[133:134], v[79:80]
	v_add_f64 v[3:4], v[3:4], v[89:90]
	s_clause 0x2
	buffer_load_dword v90, off, s[0:3], 0 offset:476
	buffer_load_dword v89, off, s[0:3], 0 offset:472
	;; [unrolled: 1-line block ×3, first 2 shown]
	ds_read_b128 v[63:66], v2 offset:704
	s_waitcnt vmcnt(55) lgkmcnt(1)
	v_mul_f64 v[133:134], v[71:72], v[93:94]
	v_mul_f64 v[93:94], v[73:74], v[93:94]
	s_waitcnt vmcnt(54)
	v_fma_f64 v[85:86], v[67:68], v[87:88], -v[85:86]
	v_add_f64 v[79:80], v[79:80], v[83:84]
	v_fma_f64 v[83:84], v[69:70], v[87:88], v[143:144]
	v_add_f64 v[3:4], v[3:4], v[91:92]
	s_clause 0x1
	buffer_load_dword v88, off, s[0:3], 0 offset:468
	buffer_load_dword v87, off, s[0:3], 0 offset:464
	s_waitcnt vmcnt(55) lgkmcnt(0)
	v_mul_f64 v[91:92], v[63:64], v[95:96]
	v_mul_f64 v[95:96], v[65:66], v[95:96]
	s_waitcnt vmcnt(53)
	v_fma_f64 v[93:94], v[71:72], v[99:100], -v[93:94]
	ds_read_b128 v[67:70], v2 offset:720
	v_add_f64 v[79:80], v[79:80], v[85:86]
	v_fma_f64 v[85:86], v[73:74], v[99:100], v[133:134]
	v_add_f64 v[3:4], v[3:4], v[83:84]
	ds_read_b128 v[71:74], v2 offset:736
	s_waitcnt vmcnt(48)
	v_fma_f64 v[91:92], v[65:66], v[97:98], v[91:92]
	s_waitcnt lgkmcnt(1)
	v_mul_f64 v[99:100], v[69:70], v[101:102]
	v_fma_f64 v[95:96], v[63:64], v[97:98], -v[95:96]
	v_mul_f64 v[83:84], v[67:68], v[101:102]
	v_add_f64 v[79:80], v[79:80], v[93:94]
	s_waitcnt vmcnt(47) lgkmcnt(0)
	v_mul_f64 v[101:102], v[73:74], v[103:104]
	v_add_f64 v[3:4], v[3:4], v[85:86]
	s_clause 0x3
	buffer_load_dword v85, off, s[0:3], 0 offset:144
	buffer_load_dword v86, off, s[0:3], 0 offset:148
	;; [unrolled: 1-line block ×4, first 2 shown]
	ds_read_b128 v[63:66], v2 offset:752
	s_waitcnt vmcnt(49)
	v_fma_f64 v[99:100], v[67:68], v[107:108], -v[99:100]
	v_mul_f64 v[97:98], v[71:72], v[103:104]
	v_fma_f64 v[83:84], v[69:70], v[107:108], v[83:84]
	ds_read_b128 v[67:70], v2 offset:768
	v_add_f64 v[79:80], v[79:80], v[95:96]
	s_waitcnt vmcnt(44)
	v_fma_f64 v[101:102], v[71:72], v[105:106], -v[101:102]
	v_add_f64 v[3:4], v[3:4], v[91:92]
	s_waitcnt lgkmcnt(1)
	v_mul_f64 v[95:96], v[65:66], v[109:110]
	v_mul_f64 v[91:92], v[63:64], v[109:110]
	v_fma_f64 v[97:98], v[73:74], v[105:106], v[97:98]
	ds_read_b128 v[71:74], v2 offset:784
	v_add_f64 v[79:80], v[79:80], v[99:100]
	s_waitcnt vmcnt(43) lgkmcnt(1)
	v_mul_f64 v[99:100], v[69:70], v[111:112]
	v_add_f64 v[3:4], v[3:4], v[83:84]
	s_waitcnt vmcnt(41)
	v_fma_f64 v[95:96], v[63:64], v[115:116], -v[95:96]
	v_mul_f64 v[83:84], v[67:68], v[111:112]
	v_fma_f64 v[91:92], v[65:66], v[115:116], v[91:92]
	ds_read_b128 v[63:66], v2 offset:800
	v_add_f64 v[79:80], v[79:80], v[101:102]
	s_waitcnt vmcnt(37) lgkmcnt(1)
	v_mul_f64 v[101:102], v[73:74], v[117:118]
	v_add_f64 v[3:4], v[3:4], v[97:98]
	s_waitcnt vmcnt(36)
	v_fma_f64 v[99:100], v[67:68], v[113:114], -v[99:100]
	;; [unrolled: 9-line block ×6, first 2 shown]
	v_mul_f64 v[91:92], v[63:64], v[135:136]
	v_fma_f64 v[97:98], v[73:74], v[129:130], v[97:98]
	ds_read_b128 v[71:74], v2 offset:880
	v_add_f64 v[79:80], v[79:80], v[99:100]
	v_add_f64 v[3:4], v[3:4], v[83:84]
	s_waitcnt vmcnt(19) lgkmcnt(1)
	v_mul_f64 v[99:100], v[69:70], v[137:138]
	v_mul_f64 v[83:84], v[67:68], v[137:138]
	s_waitcnt vmcnt(17)
	v_fma_f64 v[95:96], v[63:64], v[77:78], -v[95:96]
	v_fma_f64 v[77:78], v[65:66], v[77:78], v[91:92]
	ds_read_b128 v[63:66], v2 offset:896
	s_waitcnt vmcnt(13) lgkmcnt(1)
	v_mul_f64 v[91:92], v[71:72], v[81:82]
	v_mul_f64 v[81:82], v[73:74], v[81:82]
	v_add_f64 v[79:80], v[79:80], v[101:102]
	v_add_f64 v[3:4], v[3:4], v[97:98]
	s_waitcnt vmcnt(12)
	v_fma_f64 v[97:98], v[67:68], v[139:140], -v[99:100]
	v_fma_f64 v[83:84], v[69:70], v[139:140], v[83:84]
	ds_read_b128 v[67:70], v2 offset:912
	v_add_f64 v[79:80], v[79:80], v[95:96]
	v_add_f64 v[3:4], v[3:4], v[77:78]
	s_waitcnt vmcnt(11) lgkmcnt(1)
	v_mul_f64 v[95:96], v[65:66], v[141:142]
	v_mul_f64 v[77:78], v[63:64], v[141:142]
	s_waitcnt vmcnt(9)
	v_fma_f64 v[71:72], v[71:72], v[75:76], -v[81:82]
	v_fma_f64 v[73:74], v[73:74], v[75:76], v[91:92]
	v_add_f64 v[79:80], v[79:80], v[97:98]
	v_add_f64 v[2:3], v[3:4], v[83:84]
	s_waitcnt vmcnt(7) lgkmcnt(0)
	v_mul_f64 v[81:82], v[69:70], v[89:90]
	s_waitcnt vmcnt(6)
	v_fma_f64 v[63:64], v[63:64], v[146:147], -v[95:96]
	v_mul_f64 v[75:76], v[67:68], v[89:90]
	v_fma_f64 v[65:66], v[65:66], v[146:147], v[77:78]
	v_add_f64 v[71:72], v[79:80], v[71:72]
	v_add_f64 v[2:3], v[2:3], v[73:74]
	s_waitcnt vmcnt(4)
	v_fma_f64 v[67:68], v[67:68], v[87:88], -v[81:82]
	v_fma_f64 v[69:70], v[69:70], v[87:88], v[75:76]
	v_add_f64 v[63:64], v[71:72], v[63:64]
	v_add_f64 v[2:3], v[2:3], v[65:66]
	v_add_f64 v[63:64], v[63:64], v[67:68]
	v_add_f64 v[2:3], v[2:3], v[69:70]
	s_waitcnt vmcnt(2)
	v_add_f64 v[63:64], v[85:86], -v[63:64]
	s_waitcnt vmcnt(0)
	v_add_f64 v[2:3], v[93:94], -v[2:3]
	buffer_store_dword v64, off, s[0:3], 0 offset:148
	buffer_store_dword v63, off, s[0:3], 0 offset:144
	;; [unrolled: 1-line block ×4, first 2 shown]
	v_cmpx_lt_u32_e32 7, v0
	s_cbranch_execz .LBB92_173
; %bb.172:
	v_mov_b32_e32 v2, s34
	s_clause 0x3
	buffer_load_dword v63, v2, s[0:3], 0 offen
	buffer_load_dword v64, v2, s[0:3], 0 offen offset:4
	buffer_load_dword v65, v2, s[0:3], 0 offen offset:8
	;; [unrolled: 1-line block ×3, first 2 shown]
	v_mov_b32_e32 v2, 0
	buffer_store_dword v2, off, s[0:3], 0 offset:128
	buffer_store_dword v2, off, s[0:3], 0 offset:132
	;; [unrolled: 1-line block ×4, first 2 shown]
	s_waitcnt vmcnt(0)
	ds_write_b128 v1, v[63:66]
.LBB92_173:
	s_or_b32 exec_lo, exec_lo, s4
	s_waitcnt lgkmcnt(0)
	s_waitcnt_vscnt null, 0x0
	s_barrier
	buffer_gl0_inv
	s_clause 0x37
	buffer_load_dword v3, off, s[0:3], 0 offset:152
	buffer_load_dword v4, off, s[0:3], 0 offset:156
	;; [unrolled: 1-line block ×56, first 2 shown]
	v_mov_b32_e32 v2, 0
	s_mov_b32 s4, exec_lo
	ds_read_b128 v[63:66], v2 offset:592
	s_clause 0x2
	buffer_load_dword v128, off, s[0:3], 0 offset:380
	buffer_load_dword v132, off, s[0:3], 0 offset:356
	;; [unrolled: 1-line block ×3, first 2 shown]
	ds_read_b128 v[67:70], v2 offset:608
	s_clause 0x4
	buffer_load_dword v136, off, s[0:3], 0 offset:396
	buffer_load_dword v137, off, s[0:3], 0 offset:408
	;; [unrolled: 1-line block ×5, first 2 shown]
	ds_read_b128 v[71:74], v2 offset:624
	s_waitcnt vmcnt(62) lgkmcnt(2)
	v_mul_f64 v[133:134], v[65:66], v[3:4]
	v_mul_f64 v[3:4], v[63:64], v[3:4]
	s_waitcnt vmcnt(60) lgkmcnt(1)
	v_mul_f64 v[140:141], v[69:70], v[75:76]
	v_mul_f64 v[75:76], v[67:68], v[75:76]
	;; [unrolled: 3-line block ×3, first 2 shown]
	v_fma_f64 v[133:134], v[63:64], v[77:78], -v[133:134]
	v_fma_f64 v[3:4], v[65:66], v[77:78], v[3:4]
	s_clause 0x2
	buffer_load_dword v138, off, s[0:3], 0 offset:412
	buffer_load_dword v78, off, s[0:3], 0 offset:388
	;; [unrolled: 1-line block ×3, first 2 shown]
	s_waitcnt vmcnt(57)
	v_fma_f64 v[144:145], v[67:68], v[81:82], -v[140:141]
	ds_read_b128 v[63:66], v2 offset:640
	v_fma_f64 v[75:76], v[69:70], v[81:82], v[75:76]
	s_clause 0x4
	buffer_load_dword v82, off, s[0:3], 0 offset:428
	buffer_load_dword v141, off, s[0:3], 0 offset:440
	;; [unrolled: 1-line block ×5, first 2 shown]
	s_waitcnt vmcnt(56)
	v_fma_f64 v[79:80], v[71:72], v[89:90], -v[79:80]
	ds_read_b128 v[67:70], v2 offset:656
	v_fma_f64 v[89:90], v[73:74], v[89:90], v[142:143]
	v_add_f64 v[133:134], v[133:134], 0
	v_add_f64 v[3:4], v[3:4], 0
	s_waitcnt lgkmcnt(1)
	v_mul_f64 v[147:148], v[63:64], v[83:84]
	v_mul_f64 v[83:84], v[65:66], v[83:84]
	v_add_f64 v[133:134], v[133:134], v[144:145]
	v_add_f64 v[3:4], v[3:4], v[75:76]
	s_clause 0x2
	buffer_load_dword v142, off, s[0:3], 0 offset:444
	buffer_load_dword v76, off, s[0:3], 0 offset:420
	;; [unrolled: 1-line block ×3, first 2 shown]
	s_waitcnt vmcnt(58) lgkmcnt(0)
	v_mul_f64 v[143:144], v[67:68], v[85:86]
	v_mul_f64 v[85:86], v[69:70], v[85:86]
	s_waitcnt vmcnt(56)
	v_fma_f64 v[83:84], v[63:64], v[91:92], -v[83:84]
	ds_read_b128 v[71:74], v2 offset:672
	v_fma_f64 v[91:92], v[65:66], v[91:92], v[147:148]
	v_add_f64 v[79:80], v[133:134], v[79:80]
	v_add_f64 v[3:4], v[3:4], v[89:90]
	s_clause 0x4
	buffer_load_dword v90, off, s[0:3], 0 offset:460
	buffer_load_dword v133, off, s[0:3], 0 offset:472
	;; [unrolled: 1-line block ×5, first 2 shown]
	ds_read_b128 v[63:66], v2 offset:688
	s_waitcnt vmcnt(57) lgkmcnt(1)
	v_mul_f64 v[149:150], v[71:72], v[93:94]
	v_mul_f64 v[93:94], v[73:74], v[93:94]
	s_waitcnt vmcnt(56)
	v_fma_f64 v[85:86], v[67:68], v[87:88], -v[85:86]
	v_add_f64 v[79:80], v[79:80], v[83:84]
	v_fma_f64 v[83:84], v[69:70], v[87:88], v[143:144]
	v_add_f64 v[3:4], v[3:4], v[91:92]
	s_clause 0x2
	buffer_load_dword v134, off, s[0:3], 0 offset:476
	buffer_load_dword v88, off, s[0:3], 0 offset:452
	;; [unrolled: 1-line block ×3, first 2 shown]
	s_waitcnt vmcnt(58) lgkmcnt(0)
	v_mul_f64 v[91:92], v[63:64], v[95:96]
	v_mul_f64 v[95:96], v[65:66], v[95:96]
	s_waitcnt vmcnt(56)
	v_fma_f64 v[93:94], v[71:72], v[99:100], -v[93:94]
	ds_read_b128 v[67:70], v2 offset:704
	v_add_f64 v[79:80], v[79:80], v[85:86]
	v_fma_f64 v[85:86], v[73:74], v[99:100], v[149:150]
	v_add_f64 v[3:4], v[3:4], v[83:84]
	buffer_load_dword v149, off, s[0:3], 0 offset:468
	ds_read_b128 v[71:74], v2 offset:720
	s_waitcnt vmcnt(53) lgkmcnt(1)
	v_mul_f64 v[99:100], v[69:70], v[101:102]
	s_waitcnt vmcnt(52)
	v_fma_f64 v[95:96], v[63:64], v[97:98], -v[95:96]
	v_mul_f64 v[83:84], v[67:68], v[101:102]
	v_fma_f64 v[91:92], v[65:66], v[97:98], v[91:92]
	ds_read_b128 v[63:66], v2 offset:736
	v_add_f64 v[79:80], v[79:80], v[93:94]
	v_add_f64 v[3:4], v[3:4], v[85:86]
	s_waitcnt vmcnt(51) lgkmcnt(1)
	v_mul_f64 v[93:94], v[73:74], v[103:104]
	v_mul_f64 v[85:86], v[71:72], v[103:104]
	s_waitcnt vmcnt(49)
	v_fma_f64 v[97:98], v[67:68], v[107:108], -v[99:100]
	v_fma_f64 v[83:84], v[69:70], v[107:108], v[83:84]
	s_waitcnt vmcnt(45) lgkmcnt(0)
	v_mul_f64 v[101:102], v[65:66], v[109:110]
	v_mul_f64 v[99:100], v[63:64], v[109:110]
	v_add_f64 v[79:80], v[79:80], v[95:96]
	v_add_f64 v[3:4], v[3:4], v[91:92]
	s_clause 0x3
	buffer_load_dword v91, off, s[0:3], 0 offset:128
	buffer_load_dword v92, off, s[0:3], 0 offset:132
	;; [unrolled: 1-line block ×4, first 2 shown]
	s_waitcnt vmcnt(48)
	v_fma_f64 v[93:94], v[71:72], v[105:106], -v[93:94]
	ds_read_b128 v[67:70], v2 offset:752
	v_fma_f64 v[85:86], v[73:74], v[105:106], v[85:86]
	ds_read_b128 v[71:74], v2 offset:768
	s_waitcnt vmcnt(45)
	v_fma_f64 v[101:102], v[63:64], v[115:116], -v[101:102]
	v_add_f64 v[79:80], v[79:80], v[97:98]
	v_add_f64 v[3:4], v[3:4], v[83:84]
	s_waitcnt lgkmcnt(1)
	v_mul_f64 v[97:98], v[69:70], v[111:112]
	v_mul_f64 v[83:84], v[67:68], v[111:112]
	v_add_f64 v[79:80], v[79:80], v[93:94]
	v_fma_f64 v[93:94], v[65:66], v[115:116], v[99:100]
	v_add_f64 v[3:4], v[3:4], v[85:86]
	s_waitcnt vmcnt(41) lgkmcnt(0)
	v_mul_f64 v[99:100], v[73:74], v[117:118]
	s_waitcnt vmcnt(40)
	v_fma_f64 v[97:98], v[67:68], v[113:114], -v[97:98]
	ds_read_b128 v[63:66], v2 offset:784
	v_mul_f64 v[85:86], v[71:72], v[117:118]
	v_fma_f64 v[83:84], v[69:70], v[113:114], v[83:84]
	ds_read_b128 v[67:70], v2 offset:800
	v_add_f64 v[79:80], v[79:80], v[101:102]
	v_add_f64 v[3:4], v[3:4], v[93:94]
	s_waitcnt vmcnt(39) lgkmcnt(1)
	v_mul_f64 v[101:102], v[65:66], v[119:120]
	s_waitcnt vmcnt(37)
	v_fma_f64 v[99:100], v[71:72], v[123:124], -v[99:100]
	v_mul_f64 v[93:94], v[63:64], v[119:120]
	v_fma_f64 v[85:86], v[73:74], v[123:124], v[85:86]
	ds_read_b128 v[71:74], v2 offset:816
	v_add_f64 v[79:80], v[79:80], v[97:98]
	s_waitcnt vmcnt(33) lgkmcnt(1)
	v_mul_f64 v[97:98], v[69:70], v[125:126]
	v_add_f64 v[3:4], v[3:4], v[83:84]
	s_waitcnt vmcnt(32)
	v_fma_f64 v[101:102], v[63:64], v[121:122], -v[101:102]
	v_mul_f64 v[83:84], v[67:68], v[125:126]
	v_fma_f64 v[93:94], v[65:66], v[121:122], v[93:94]
	ds_read_b128 v[63:66], v2 offset:832
	v_add_f64 v[79:80], v[79:80], v[99:100]
	s_waitcnt vmcnt(31) lgkmcnt(1)
	v_mul_f64 v[99:100], v[73:74], v[127:128]
	v_add_f64 v[3:4], v[3:4], v[85:86]
	;; [unrolled: 9-line block ×3, first 2 shown]
	s_waitcnt vmcnt(24)
	v_fma_f64 v[99:100], v[71:72], v[129:130], -v[99:100]
	v_mul_f64 v[93:94], v[63:64], v[135:136]
	v_fma_f64 v[85:86], v[73:74], v[129:130], v[85:86]
	ds_read_b128 v[71:74], v2 offset:864
	v_add_f64 v[79:80], v[79:80], v[97:98]
	v_add_f64 v[3:4], v[3:4], v[83:84]
	s_waitcnt vmcnt(23) lgkmcnt(1)
	v_mul_f64 v[97:98], v[69:70], v[137:138]
	v_mul_f64 v[83:84], v[67:68], v[137:138]
	s_waitcnt vmcnt(21)
	v_fma_f64 v[101:102], v[63:64], v[77:78], -v[101:102]
	v_fma_f64 v[77:78], v[65:66], v[77:78], v[93:94]
	ds_read_b128 v[63:66], v2 offset:880
	v_add_f64 v[79:80], v[79:80], v[99:100]
	v_add_f64 v[3:4], v[3:4], v[85:86]
	s_waitcnt vmcnt(17) lgkmcnt(1)
	v_mul_f64 v[85:86], v[71:72], v[81:82]
	v_mul_f64 v[81:82], v[73:74], v[81:82]
	s_waitcnt vmcnt(16)
	v_fma_f64 v[93:94], v[67:68], v[139:140], -v[97:98]
	;; [unrolled: 9-line block ×3, first 2 shown]
	v_fma_f64 v[75:76], v[73:74], v[75:76], v[85:86]
	ds_read_b128 v[71:74], v2 offset:912
	v_add_f64 v[79:80], v[79:80], v[93:94]
	v_add_f64 v[3:4], v[3:4], v[83:84]
	s_waitcnt vmcnt(9) lgkmcnt(1)
	v_mul_f64 v[85:86], v[69:70], v[89:90]
	s_waitcnt vmcnt(8)
	v_fma_f64 v[63:64], v[63:64], v[146:147], -v[97:98]
	v_mul_f64 v[83:84], v[67:68], v[89:90]
	v_fma_f64 v[65:66], v[65:66], v[146:147], v[77:78]
	v_add_f64 v[79:80], v[79:80], v[81:82]
	v_add_f64 v[3:4], v[3:4], v[75:76]
	s_waitcnt vmcnt(7) lgkmcnt(0)
	v_mul_f64 v[77:78], v[73:74], v[133:134]
	v_mul_f64 v[75:76], v[71:72], v[133:134]
	s_waitcnt vmcnt(5)
	v_fma_f64 v[67:68], v[67:68], v[87:88], -v[85:86]
	v_fma_f64 v[69:70], v[69:70], v[87:88], v[83:84]
	v_add_f64 v[63:64], v[79:80], v[63:64]
	v_add_f64 v[3:4], v[3:4], v[65:66]
	s_waitcnt vmcnt(4)
	v_fma_f64 v[65:66], v[71:72], v[148:149], -v[77:78]
	v_add_f64 v[63:64], v[63:64], v[67:68]
	v_fma_f64 v[67:68], v[73:74], v[148:149], v[75:76]
	v_add_f64 v[3:4], v[3:4], v[69:70]
	v_add_f64 v[63:64], v[63:64], v[65:66]
	;; [unrolled: 1-line block ×3, first 2 shown]
	s_waitcnt vmcnt(2)
	v_add_f64 v[63:64], v[91:92], -v[63:64]
	s_waitcnt vmcnt(0)
	v_add_f64 v[3:4], v[95:96], -v[3:4]
	buffer_store_dword v64, off, s[0:3], 0 offset:132
	buffer_store_dword v63, off, s[0:3], 0 offset:128
	;; [unrolled: 1-line block ×4, first 2 shown]
	v_cmpx_lt_u32_e32 6, v0
	s_cbranch_execz .LBB92_175
; %bb.174:
	v_mov_b32_e32 v3, s35
	s_clause 0x3
	buffer_load_dword v63, v3, s[0:3], 0 offen
	buffer_load_dword v64, v3, s[0:3], 0 offen offset:4
	buffer_load_dword v65, v3, s[0:3], 0 offen offset:8
	;; [unrolled: 1-line block ×3, first 2 shown]
	buffer_store_dword v2, off, s[0:3], 0 offset:112
	buffer_store_dword v2, off, s[0:3], 0 offset:116
	;; [unrolled: 1-line block ×4, first 2 shown]
	s_waitcnt vmcnt(0)
	ds_write_b128 v1, v[63:66]
.LBB92_175:
	s_or_b32 exec_lo, exec_lo, s4
	s_waitcnt lgkmcnt(0)
	s_waitcnt_vscnt null, 0x0
	s_barrier
	buffer_gl0_inv
	s_clause 0x37
	buffer_load_dword v3, off, s[0:3], 0 offset:136
	buffer_load_dword v4, off, s[0:3], 0 offset:140
	;; [unrolled: 1-line block ×56, first 2 shown]
	ds_read_b128 v[63:66], v2 offset:576
	s_clause 0x2
	buffer_load_dword v128, off, s[0:3], 0 offset:364
	buffer_load_dword v132, off, s[0:3], 0 offset:340
	;; [unrolled: 1-line block ×3, first 2 shown]
	ds_read_b128 v[67:70], v2 offset:592
	s_clause 0x4
	buffer_load_dword v136, off, s[0:3], 0 offset:380
	buffer_load_dword v137, off, s[0:3], 0 offset:392
	;; [unrolled: 1-line block ×5, first 2 shown]
	ds_read_b128 v[71:74], v2 offset:608
	s_mov_b32 s4, exec_lo
	s_waitcnt vmcnt(62) lgkmcnt(2)
	v_mul_f64 v[133:134], v[65:66], v[3:4]
	v_mul_f64 v[3:4], v[63:64], v[3:4]
	s_waitcnt vmcnt(60) lgkmcnt(1)
	v_mul_f64 v[140:141], v[69:70], v[75:76]
	v_mul_f64 v[75:76], v[67:68], v[75:76]
	;; [unrolled: 3-line block ×3, first 2 shown]
	v_fma_f64 v[133:134], v[63:64], v[77:78], -v[133:134]
	v_fma_f64 v[3:4], v[65:66], v[77:78], v[3:4]
	s_clause 0x2
	buffer_load_dword v138, off, s[0:3], 0 offset:396
	buffer_load_dword v78, off, s[0:3], 0 offset:372
	;; [unrolled: 1-line block ×3, first 2 shown]
	s_waitcnt vmcnt(57)
	v_fma_f64 v[144:145], v[67:68], v[81:82], -v[140:141]
	ds_read_b128 v[63:66], v2 offset:624
	v_fma_f64 v[75:76], v[69:70], v[81:82], v[75:76]
	s_clause 0x4
	buffer_load_dword v82, off, s[0:3], 0 offset:412
	buffer_load_dword v141, off, s[0:3], 0 offset:424
	;; [unrolled: 1-line block ×5, first 2 shown]
	s_waitcnt vmcnt(56)
	v_fma_f64 v[79:80], v[71:72], v[89:90], -v[79:80]
	ds_read_b128 v[67:70], v2 offset:640
	v_fma_f64 v[89:90], v[73:74], v[89:90], v[142:143]
	v_add_f64 v[133:134], v[133:134], 0
	v_add_f64 v[3:4], v[3:4], 0
	s_waitcnt lgkmcnt(1)
	v_mul_f64 v[147:148], v[63:64], v[83:84]
	v_mul_f64 v[83:84], v[65:66], v[83:84]
	v_add_f64 v[133:134], v[133:134], v[144:145]
	v_add_f64 v[3:4], v[3:4], v[75:76]
	s_clause 0x2
	buffer_load_dword v142, off, s[0:3], 0 offset:428
	buffer_load_dword v76, off, s[0:3], 0 offset:404
	;; [unrolled: 1-line block ×3, first 2 shown]
	s_waitcnt vmcnt(58) lgkmcnt(0)
	v_mul_f64 v[143:144], v[67:68], v[85:86]
	v_mul_f64 v[85:86], v[69:70], v[85:86]
	s_waitcnt vmcnt(56)
	v_fma_f64 v[83:84], v[63:64], v[91:92], -v[83:84]
	ds_read_b128 v[71:74], v2 offset:656
	v_fma_f64 v[91:92], v[65:66], v[91:92], v[147:148]
	v_add_f64 v[79:80], v[133:134], v[79:80]
	v_add_f64 v[3:4], v[3:4], v[89:90]
	s_clause 0x4
	buffer_load_dword v90, off, s[0:3], 0 offset:444
	buffer_load_dword v133, off, s[0:3], 0 offset:456
	buffer_load_dword v148, off, s[0:3], 0 offset:448
	buffer_load_dword v89, off, s[0:3], 0 offset:440
	buffer_load_dword v147, off, s[0:3], 0 offset:420
	ds_read_b128 v[63:66], v2 offset:672
	s_waitcnt vmcnt(57) lgkmcnt(1)
	v_mul_f64 v[149:150], v[71:72], v[93:94]
	v_mul_f64 v[93:94], v[73:74], v[93:94]
	s_waitcnt vmcnt(56)
	v_fma_f64 v[85:86], v[67:68], v[87:88], -v[85:86]
	v_add_f64 v[79:80], v[79:80], v[83:84]
	v_fma_f64 v[83:84], v[69:70], v[87:88], v[143:144]
	v_add_f64 v[3:4], v[3:4], v[91:92]
	s_clause 0x2
	buffer_load_dword v134, off, s[0:3], 0 offset:460
	buffer_load_dword v88, off, s[0:3], 0 offset:436
	;; [unrolled: 1-line block ×3, first 2 shown]
	s_waitcnt vmcnt(58) lgkmcnt(0)
	v_mul_f64 v[91:92], v[63:64], v[95:96]
	v_mul_f64 v[95:96], v[65:66], v[95:96]
	s_waitcnt vmcnt(56)
	v_fma_f64 v[93:94], v[71:72], v[99:100], -v[93:94]
	ds_read_b128 v[67:70], v2 offset:688
	v_add_f64 v[79:80], v[79:80], v[85:86]
	v_fma_f64 v[85:86], v[73:74], v[99:100], v[149:150]
	v_add_f64 v[3:4], v[3:4], v[83:84]
	s_clause 0x2
	buffer_load_dword v84, off, s[0:3], 0 offset:476
	buffer_load_dword v83, off, s[0:3], 0 offset:472
	;; [unrolled: 1-line block ×3, first 2 shown]
	ds_read_b128 v[71:74], v2 offset:704
	s_waitcnt vmcnt(55) lgkmcnt(1)
	v_mul_f64 v[99:100], v[67:68], v[101:102]
	v_mul_f64 v[101:102], v[69:70], v[101:102]
	s_waitcnt vmcnt(54)
	v_fma_f64 v[95:96], v[63:64], v[97:98], -v[95:96]
	v_fma_f64 v[91:92], v[65:66], v[97:98], v[91:92]
	v_add_f64 v[79:80], v[79:80], v[93:94]
	v_add_f64 v[3:4], v[3:4], v[85:86]
	s_clause 0x1
	buffer_load_dword v86, off, s[0:3], 0 offset:468
	buffer_load_dword v85, off, s[0:3], 0 offset:464
	s_waitcnt vmcnt(55) lgkmcnt(0)
	v_mul_f64 v[97:98], v[73:74], v[103:104]
	ds_read_b128 v[63:66], v2 offset:720
	s_waitcnt vmcnt(53)
	v_fma_f64 v[101:102], v[67:68], v[107:108], -v[101:102]
	v_mul_f64 v[93:94], v[71:72], v[103:104]
	v_add_f64 v[79:80], v[79:80], v[95:96]
	v_fma_f64 v[95:96], v[69:70], v[107:108], v[99:100]
	v_add_f64 v[3:4], v[3:4], v[91:92]
	ds_read_b128 v[67:70], v2 offset:736
	s_waitcnt vmcnt(49) lgkmcnt(1)
	v_mul_f64 v[99:100], v[65:66], v[109:110]
	s_waitcnt vmcnt(48)
	v_fma_f64 v[97:98], v[71:72], v[105:106], -v[97:98]
	v_mul_f64 v[91:92], v[63:64], v[109:110]
	v_fma_f64 v[93:94], v[73:74], v[105:106], v[93:94]
	v_add_f64 v[79:80], v[79:80], v[101:102]
	s_waitcnt vmcnt(47) lgkmcnt(0)
	v_mul_f64 v[105:106], v[69:70], v[111:112]
	v_add_f64 v[3:4], v[3:4], v[95:96]
	s_clause 0x3
	buffer_load_dword v95, off, s[0:3], 0 offset:112
	buffer_load_dword v96, off, s[0:3], 0 offset:116
	;; [unrolled: 1-line block ×4, first 2 shown]
	s_waitcnt vmcnt(49)
	v_fma_f64 v[99:100], v[63:64], v[115:116], -v[99:100]
	ds_read_b128 v[71:74], v2 offset:752
	v_mul_f64 v[103:104], v[67:68], v[111:112]
	v_fma_f64 v[91:92], v[65:66], v[115:116], v[91:92]
	ds_read_b128 v[63:66], v2 offset:768
	v_add_f64 v[79:80], v[79:80], v[97:98]
	s_waitcnt vmcnt(44)
	v_fma_f64 v[105:106], v[67:68], v[113:114], -v[105:106]
	v_add_f64 v[3:4], v[3:4], v[93:94]
	s_waitcnt lgkmcnt(1)
	v_mul_f64 v[97:98], v[73:74], v[117:118]
	v_mul_f64 v[93:94], v[71:72], v[117:118]
	v_add_f64 v[79:80], v[79:80], v[99:100]
	v_fma_f64 v[99:100], v[69:70], v[113:114], v[103:104]
	v_add_f64 v[3:4], v[3:4], v[91:92]
	s_waitcnt vmcnt(43) lgkmcnt(0)
	v_mul_f64 v[103:104], v[65:66], v[119:120]
	s_waitcnt vmcnt(41)
	v_fma_f64 v[97:98], v[71:72], v[123:124], -v[97:98]
	ds_read_b128 v[67:70], v2 offset:784
	v_mul_f64 v[91:92], v[63:64], v[119:120]
	v_fma_f64 v[93:94], v[73:74], v[123:124], v[93:94]
	ds_read_b128 v[71:74], v2 offset:800
	v_add_f64 v[79:80], v[79:80], v[105:106]
	v_add_f64 v[3:4], v[3:4], v[99:100]
	s_waitcnt vmcnt(37) lgkmcnt(1)
	v_mul_f64 v[105:106], v[69:70], v[125:126]
	s_waitcnt vmcnt(36)
	v_fma_f64 v[103:104], v[63:64], v[121:122], -v[103:104]
	v_mul_f64 v[99:100], v[67:68], v[125:126]
	v_fma_f64 v[91:92], v[65:66], v[121:122], v[91:92]
	ds_read_b128 v[63:66], v2 offset:816
	v_add_f64 v[79:80], v[79:80], v[97:98]
	s_waitcnt vmcnt(35) lgkmcnt(1)
	v_mul_f64 v[97:98], v[73:74], v[127:128]
	v_add_f64 v[3:4], v[3:4], v[93:94]
	s_waitcnt vmcnt(33)
	v_fma_f64 v[105:106], v[67:68], v[131:132], -v[105:106]
	v_mul_f64 v[93:94], v[71:72], v[127:128]
	v_fma_f64 v[99:100], v[69:70], v[131:132], v[99:100]
	ds_read_b128 v[67:70], v2 offset:832
	v_add_f64 v[79:80], v[79:80], v[103:104]
	s_waitcnt vmcnt(29) lgkmcnt(1)
	v_mul_f64 v[103:104], v[65:66], v[135:136]
	v_add_f64 v[3:4], v[3:4], v[91:92]
	s_waitcnt vmcnt(28)
	v_fma_f64 v[97:98], v[71:72], v[129:130], -v[97:98]
	v_mul_f64 v[91:92], v[63:64], v[135:136]
	v_fma_f64 v[93:94], v[73:74], v[129:130], v[93:94]
	ds_read_b128 v[71:74], v2 offset:848
	v_add_f64 v[79:80], v[79:80], v[105:106]
	v_add_f64 v[3:4], v[3:4], v[99:100]
	s_waitcnt vmcnt(27) lgkmcnt(1)
	v_mul_f64 v[105:106], v[69:70], v[137:138]
	v_mul_f64 v[99:100], v[67:68], v[137:138]
	s_waitcnt vmcnt(25)
	v_fma_f64 v[103:104], v[63:64], v[77:78], -v[103:104]
	v_fma_f64 v[77:78], v[65:66], v[77:78], v[91:92]
	ds_read_b128 v[63:66], v2 offset:864
	s_waitcnt vmcnt(21) lgkmcnt(1)
	v_mul_f64 v[91:92], v[71:72], v[81:82]
	v_mul_f64 v[81:82], v[73:74], v[81:82]
	v_add_f64 v[79:80], v[79:80], v[97:98]
	v_add_f64 v[3:4], v[3:4], v[93:94]
	s_waitcnt vmcnt(20)
	v_fma_f64 v[93:94], v[67:68], v[139:140], -v[105:106]
	v_fma_f64 v[97:98], v[69:70], v[139:140], v[99:100]
	ds_read_b128 v[67:70], v2 offset:880
	v_add_f64 v[79:80], v[79:80], v[103:104]
	v_add_f64 v[3:4], v[3:4], v[77:78]
	s_waitcnt vmcnt(19) lgkmcnt(1)
	v_mul_f64 v[99:100], v[65:66], v[141:142]
	v_mul_f64 v[77:78], v[63:64], v[141:142]
	s_waitcnt vmcnt(17)
	v_fma_f64 v[81:82], v[71:72], v[75:76], -v[81:82]
	v_fma_f64 v[75:76], v[73:74], v[75:76], v[91:92]
	ds_read_b128 v[71:74], v2 offset:896
	v_add_f64 v[79:80], v[79:80], v[93:94]
	v_add_f64 v[3:4], v[3:4], v[97:98]
	s_waitcnt vmcnt(13) lgkmcnt(1)
	v_mul_f64 v[91:92], v[67:68], v[89:90]
	v_mul_f64 v[89:90], v[69:70], v[89:90]
	;; [unrolled: 9-line block ×3, first 2 shown]
	s_waitcnt vmcnt(9)
	v_fma_f64 v[67:68], v[67:68], v[87:88], -v[89:90]
	v_fma_f64 v[69:70], v[69:70], v[87:88], v[91:92]
	v_add_f64 v[79:80], v[79:80], v[93:94]
	v_add_f64 v[2:3], v[3:4], v[77:78]
	s_waitcnt vmcnt(7) lgkmcnt(0)
	v_mul_f64 v[77:78], v[63:64], v[83:84]
	v_mul_f64 v[83:84], v[65:66], v[83:84]
	s_waitcnt vmcnt(6)
	v_fma_f64 v[71:72], v[71:72], v[148:149], -v[81:82]
	v_fma_f64 v[73:74], v[73:74], v[148:149], v[75:76]
	v_add_f64 v[67:68], v[79:80], v[67:68]
	v_add_f64 v[2:3], v[2:3], v[69:70]
	s_waitcnt vmcnt(4)
	v_fma_f64 v[63:64], v[63:64], v[85:86], -v[83:84]
	v_fma_f64 v[65:66], v[65:66], v[85:86], v[77:78]
	v_add_f64 v[67:68], v[67:68], v[71:72]
	v_add_f64 v[2:3], v[2:3], v[73:74]
	;; [unrolled: 1-line block ×4, first 2 shown]
	s_waitcnt vmcnt(2)
	v_add_f64 v[63:64], v[95:96], -v[63:64]
	s_waitcnt vmcnt(0)
	v_add_f64 v[2:3], v[101:102], -v[2:3]
	buffer_store_dword v64, off, s[0:3], 0 offset:116
	buffer_store_dword v63, off, s[0:3], 0 offset:112
	;; [unrolled: 1-line block ×4, first 2 shown]
	v_cmpx_lt_u32_e32 5, v0
	s_cbranch_execz .LBB92_177
; %bb.176:
	v_mov_b32_e32 v2, s36
	s_clause 0x3
	buffer_load_dword v63, v2, s[0:3], 0 offen
	buffer_load_dword v64, v2, s[0:3], 0 offen offset:4
	buffer_load_dword v65, v2, s[0:3], 0 offen offset:8
	buffer_load_dword v66, v2, s[0:3], 0 offen offset:12
	v_mov_b32_e32 v2, 0
	buffer_store_dword v2, off, s[0:3], 0 offset:96
	buffer_store_dword v2, off, s[0:3], 0 offset:100
	;; [unrolled: 1-line block ×4, first 2 shown]
	s_waitcnt vmcnt(0)
	ds_write_b128 v1, v[63:66]
.LBB92_177:
	s_or_b32 exec_lo, exec_lo, s4
	s_waitcnt lgkmcnt(0)
	s_waitcnt_vscnt null, 0x0
	s_barrier
	buffer_gl0_inv
	s_clause 0x37
	buffer_load_dword v3, off, s[0:3], 0 offset:120
	buffer_load_dword v4, off, s[0:3], 0 offset:124
	;; [unrolled: 1-line block ×56, first 2 shown]
	v_mov_b32_e32 v2, 0
	s_mov_b32 s4, exec_lo
	ds_read_b128 v[63:66], v2 offset:560
	s_clause 0x2
	buffer_load_dword v128, off, s[0:3], 0 offset:348
	buffer_load_dword v132, off, s[0:3], 0 offset:324
	;; [unrolled: 1-line block ×3, first 2 shown]
	ds_read_b128 v[67:70], v2 offset:576
	s_clause 0x4
	buffer_load_dword v136, off, s[0:3], 0 offset:364
	buffer_load_dword v137, off, s[0:3], 0 offset:376
	;; [unrolled: 1-line block ×5, first 2 shown]
	ds_read_b128 v[71:74], v2 offset:592
	s_waitcnt vmcnt(62) lgkmcnt(2)
	v_mul_f64 v[133:134], v[65:66], v[3:4]
	v_mul_f64 v[3:4], v[63:64], v[3:4]
	s_waitcnt vmcnt(60) lgkmcnt(1)
	v_mul_f64 v[140:141], v[69:70], v[75:76]
	v_mul_f64 v[75:76], v[67:68], v[75:76]
	;; [unrolled: 3-line block ×3, first 2 shown]
	v_fma_f64 v[133:134], v[63:64], v[77:78], -v[133:134]
	v_fma_f64 v[3:4], v[65:66], v[77:78], v[3:4]
	s_clause 0x2
	buffer_load_dword v138, off, s[0:3], 0 offset:380
	buffer_load_dword v78, off, s[0:3], 0 offset:356
	;; [unrolled: 1-line block ×3, first 2 shown]
	s_waitcnt vmcnt(57)
	v_fma_f64 v[144:145], v[67:68], v[81:82], -v[140:141]
	ds_read_b128 v[63:66], v2 offset:608
	v_fma_f64 v[75:76], v[69:70], v[81:82], v[75:76]
	s_clause 0x4
	buffer_load_dword v82, off, s[0:3], 0 offset:396
	buffer_load_dword v141, off, s[0:3], 0 offset:408
	;; [unrolled: 1-line block ×5, first 2 shown]
	s_waitcnt vmcnt(56)
	v_fma_f64 v[79:80], v[71:72], v[89:90], -v[79:80]
	ds_read_b128 v[67:70], v2 offset:624
	v_fma_f64 v[89:90], v[73:74], v[89:90], v[142:143]
	v_add_f64 v[133:134], v[133:134], 0
	v_add_f64 v[3:4], v[3:4], 0
	s_waitcnt lgkmcnt(1)
	v_mul_f64 v[147:148], v[63:64], v[83:84]
	v_mul_f64 v[83:84], v[65:66], v[83:84]
	v_add_f64 v[133:134], v[133:134], v[144:145]
	v_add_f64 v[3:4], v[3:4], v[75:76]
	s_clause 0x2
	buffer_load_dword v142, off, s[0:3], 0 offset:412
	buffer_load_dword v76, off, s[0:3], 0 offset:388
	;; [unrolled: 1-line block ×3, first 2 shown]
	s_waitcnt vmcnt(58) lgkmcnt(0)
	v_mul_f64 v[143:144], v[67:68], v[85:86]
	v_mul_f64 v[85:86], v[69:70], v[85:86]
	s_waitcnt vmcnt(56)
	v_fma_f64 v[83:84], v[63:64], v[91:92], -v[83:84]
	ds_read_b128 v[71:74], v2 offset:640
	v_fma_f64 v[91:92], v[65:66], v[91:92], v[147:148]
	v_add_f64 v[79:80], v[133:134], v[79:80]
	v_add_f64 v[3:4], v[3:4], v[89:90]
	s_clause 0x4
	buffer_load_dword v90, off, s[0:3], 0 offset:428
	buffer_load_dword v133, off, s[0:3], 0 offset:440
	;; [unrolled: 1-line block ×5, first 2 shown]
	ds_read_b128 v[63:66], v2 offset:656
	s_waitcnt vmcnt(57) lgkmcnt(1)
	v_mul_f64 v[149:150], v[71:72], v[93:94]
	v_mul_f64 v[93:94], v[73:74], v[93:94]
	s_waitcnt vmcnt(56)
	v_fma_f64 v[85:86], v[67:68], v[87:88], -v[85:86]
	v_add_f64 v[79:80], v[79:80], v[83:84]
	v_fma_f64 v[83:84], v[69:70], v[87:88], v[143:144]
	v_add_f64 v[3:4], v[3:4], v[91:92]
	s_clause 0x2
	buffer_load_dword v134, off, s[0:3], 0 offset:444
	buffer_load_dword v88, off, s[0:3], 0 offset:420
	;; [unrolled: 1-line block ×3, first 2 shown]
	s_waitcnt vmcnt(58) lgkmcnt(0)
	v_mul_f64 v[91:92], v[63:64], v[95:96]
	v_mul_f64 v[95:96], v[65:66], v[95:96]
	s_waitcnt vmcnt(56)
	v_fma_f64 v[93:94], v[71:72], v[99:100], -v[93:94]
	ds_read_b128 v[67:70], v2 offset:672
	v_add_f64 v[79:80], v[79:80], v[85:86]
	v_fma_f64 v[85:86], v[73:74], v[99:100], v[149:150]
	v_add_f64 v[3:4], v[3:4], v[83:84]
	s_clause 0x4
	buffer_load_dword v84, off, s[0:3], 0 offset:460
	buffer_load_dword v99, off, s[0:3], 0 offset:472
	;; [unrolled: 1-line block ×5, first 2 shown]
	ds_read_b128 v[71:74], v2 offset:688
	s_waitcnt vmcnt(57) lgkmcnt(1)
	v_mul_f64 v[144:145], v[67:68], v[101:102]
	v_mul_f64 v[101:102], v[69:70], v[101:102]
	s_waitcnt vmcnt(56)
	v_fma_f64 v[95:96], v[63:64], v[97:98], -v[95:96]
	v_fma_f64 v[91:92], v[65:66], v[97:98], v[91:92]
	v_add_f64 v[79:80], v[79:80], v[93:94]
	v_add_f64 v[3:4], v[3:4], v[85:86]
	s_clause 0x2
	buffer_load_dword v100, off, s[0:3], 0 offset:476
	buffer_load_dword v86, off, s[0:3], 0 offset:452
	;; [unrolled: 1-line block ×3, first 2 shown]
	s_waitcnt vmcnt(58) lgkmcnt(0)
	v_mul_f64 v[97:98], v[73:74], v[103:104]
	ds_read_b128 v[63:66], v2 offset:704
	s_waitcnt vmcnt(56)
	v_fma_f64 v[101:102], v[67:68], v[107:108], -v[101:102]
	v_mul_f64 v[93:94], v[71:72], v[103:104]
	v_add_f64 v[79:80], v[79:80], v[95:96]
	v_fma_f64 v[95:96], v[69:70], v[107:108], v[144:145]
	v_add_f64 v[3:4], v[3:4], v[91:92]
	buffer_load_dword v144, off, s[0:3], 0 offset:468
	ds_read_b128 v[67:70], v2 offset:720
	s_waitcnt vmcnt(53) lgkmcnt(1)
	v_mul_f64 v[103:104], v[65:66], v[109:110]
	s_waitcnt vmcnt(52)
	v_fma_f64 v[97:98], v[71:72], v[105:106], -v[97:98]
	v_mul_f64 v[91:92], v[63:64], v[109:110]
	v_fma_f64 v[93:94], v[73:74], v[105:106], v[93:94]
	ds_read_b128 v[71:74], v2 offset:736
	v_add_f64 v[79:80], v[79:80], v[101:102]
	v_add_f64 v[3:4], v[3:4], v[95:96]
	s_waitcnt vmcnt(51) lgkmcnt(1)
	v_mul_f64 v[101:102], v[69:70], v[111:112]
	v_mul_f64 v[95:96], v[67:68], v[111:112]
	s_waitcnt vmcnt(49)
	v_fma_f64 v[103:104], v[63:64], v[115:116], -v[103:104]
	v_fma_f64 v[91:92], v[65:66], v[115:116], v[91:92]
	s_waitcnt vmcnt(45) lgkmcnt(0)
	v_mul_f64 v[107:108], v[73:74], v[117:118]
	v_mul_f64 v[105:106], v[71:72], v[117:118]
	v_add_f64 v[79:80], v[79:80], v[97:98]
	v_add_f64 v[3:4], v[3:4], v[93:94]
	s_clause 0x3
	buffer_load_dword v93, off, s[0:3], 0 offset:96
	buffer_load_dword v94, off, s[0:3], 0 offset:100
	;; [unrolled: 1-line block ×4, first 2 shown]
	s_waitcnt vmcnt(48)
	v_fma_f64 v[101:102], v[67:68], v[113:114], -v[101:102]
	ds_read_b128 v[63:66], v2 offset:752
	v_fma_f64 v[95:96], v[69:70], v[113:114], v[95:96]
	ds_read_b128 v[67:70], v2 offset:768
	s_waitcnt vmcnt(45)
	v_fma_f64 v[107:108], v[71:72], v[123:124], -v[107:108]
	v_add_f64 v[79:80], v[79:80], v[103:104]
	v_add_f64 v[3:4], v[3:4], v[91:92]
	s_waitcnt lgkmcnt(1)
	v_mul_f64 v[103:104], v[65:66], v[119:120]
	v_mul_f64 v[91:92], v[63:64], v[119:120]
	v_add_f64 v[79:80], v[79:80], v[101:102]
	v_fma_f64 v[101:102], v[73:74], v[123:124], v[105:106]
	v_add_f64 v[3:4], v[3:4], v[95:96]
	s_waitcnt vmcnt(41) lgkmcnt(0)
	v_mul_f64 v[105:106], v[69:70], v[125:126]
	s_waitcnt vmcnt(40)
	v_fma_f64 v[103:104], v[63:64], v[121:122], -v[103:104]
	ds_read_b128 v[71:74], v2 offset:784
	v_mul_f64 v[95:96], v[67:68], v[125:126]
	v_fma_f64 v[91:92], v[65:66], v[121:122], v[91:92]
	ds_read_b128 v[63:66], v2 offset:800
	v_add_f64 v[79:80], v[79:80], v[107:108]
	v_add_f64 v[3:4], v[3:4], v[101:102]
	s_waitcnt vmcnt(39) lgkmcnt(1)
	v_mul_f64 v[107:108], v[73:74], v[127:128]
	s_waitcnt vmcnt(37)
	v_fma_f64 v[105:106], v[67:68], v[131:132], -v[105:106]
	v_mul_f64 v[101:102], v[71:72], v[127:128]
	v_fma_f64 v[95:96], v[69:70], v[131:132], v[95:96]
	ds_read_b128 v[67:70], v2 offset:816
	v_add_f64 v[79:80], v[79:80], v[103:104]
	s_waitcnt vmcnt(33) lgkmcnt(1)
	v_mul_f64 v[103:104], v[65:66], v[135:136]
	v_add_f64 v[3:4], v[3:4], v[91:92]
	s_waitcnt vmcnt(32)
	v_fma_f64 v[107:108], v[71:72], v[129:130], -v[107:108]
	v_mul_f64 v[91:92], v[63:64], v[135:136]
	v_fma_f64 v[101:102], v[73:74], v[129:130], v[101:102]
	ds_read_b128 v[71:74], v2 offset:832
	v_add_f64 v[79:80], v[79:80], v[105:106]
	v_add_f64 v[3:4], v[3:4], v[95:96]
	s_waitcnt vmcnt(31) lgkmcnt(1)
	v_mul_f64 v[105:106], v[69:70], v[137:138]
	v_mul_f64 v[95:96], v[67:68], v[137:138]
	s_waitcnt vmcnt(29)
	v_fma_f64 v[103:104], v[63:64], v[77:78], -v[103:104]
	v_fma_f64 v[77:78], v[65:66], v[77:78], v[91:92]
	ds_read_b128 v[63:66], v2 offset:848
	s_waitcnt vmcnt(25) lgkmcnt(1)
	v_mul_f64 v[91:92], v[71:72], v[81:82]
	v_mul_f64 v[81:82], v[73:74], v[81:82]
	v_add_f64 v[79:80], v[79:80], v[107:108]
	v_add_f64 v[3:4], v[3:4], v[101:102]
	s_waitcnt vmcnt(24)
	v_fma_f64 v[101:102], v[67:68], v[139:140], -v[105:106]
	v_fma_f64 v[95:96], v[69:70], v[139:140], v[95:96]
	ds_read_b128 v[67:70], v2 offset:864
	v_add_f64 v[79:80], v[79:80], v[103:104]
	v_add_f64 v[3:4], v[3:4], v[77:78]
	s_waitcnt vmcnt(23) lgkmcnt(1)
	v_mul_f64 v[103:104], v[65:66], v[141:142]
	v_mul_f64 v[77:78], v[63:64], v[141:142]
	s_waitcnt vmcnt(21)
	v_fma_f64 v[81:82], v[71:72], v[75:76], -v[81:82]
	v_fma_f64 v[75:76], v[73:74], v[75:76], v[91:92]
	ds_read_b128 v[71:74], v2 offset:880
	v_add_f64 v[79:80], v[79:80], v[101:102]
	v_add_f64 v[3:4], v[3:4], v[95:96]
	s_waitcnt vmcnt(17) lgkmcnt(1)
	v_mul_f64 v[91:92], v[67:68], v[89:90]
	v_mul_f64 v[89:90], v[69:70], v[89:90]
	;; [unrolled: 9-line block ×4, first 2 shown]
	s_waitcnt vmcnt(8)
	v_fma_f64 v[71:72], v[71:72], v[148:149], -v[81:82]
	v_fma_f64 v[73:74], v[73:74], v[148:149], v[75:76]
	v_add_f64 v[79:80], v[79:80], v[89:90]
	v_add_f64 v[3:4], v[3:4], v[87:88]
	s_waitcnt vmcnt(7) lgkmcnt(0)
	v_mul_f64 v[81:82], v[69:70], v[99:100]
	v_mul_f64 v[75:76], v[67:68], v[99:100]
	s_waitcnt vmcnt(5)
	v_fma_f64 v[63:64], v[63:64], v[85:86], -v[83:84]
	v_fma_f64 v[65:66], v[65:66], v[85:86], v[77:78]
	v_add_f64 v[71:72], v[79:80], v[71:72]
	v_add_f64 v[3:4], v[3:4], v[73:74]
	s_waitcnt vmcnt(4)
	v_fma_f64 v[67:68], v[67:68], v[143:144], -v[81:82]
	v_fma_f64 v[69:70], v[69:70], v[143:144], v[75:76]
	v_add_f64 v[63:64], v[71:72], v[63:64]
	v_add_f64 v[3:4], v[3:4], v[65:66]
	;; [unrolled: 1-line block ×4, first 2 shown]
	s_waitcnt vmcnt(2)
	v_add_f64 v[63:64], v[93:94], -v[63:64]
	s_waitcnt vmcnt(0)
	v_add_f64 v[3:4], v[97:98], -v[3:4]
	buffer_store_dword v64, off, s[0:3], 0 offset:100
	buffer_store_dword v63, off, s[0:3], 0 offset:96
	;; [unrolled: 1-line block ×4, first 2 shown]
	v_cmpx_lt_u32_e32 4, v0
	s_cbranch_execz .LBB92_179
; %bb.178:
	v_mov_b32_e32 v3, s37
	s_clause 0x3
	buffer_load_dword v63, v3, s[0:3], 0 offen
	buffer_load_dword v64, v3, s[0:3], 0 offen offset:4
	buffer_load_dword v65, v3, s[0:3], 0 offen offset:8
	;; [unrolled: 1-line block ×3, first 2 shown]
	buffer_store_dword v2, off, s[0:3], 0 offset:80
	buffer_store_dword v2, off, s[0:3], 0 offset:84
	buffer_store_dword v2, off, s[0:3], 0 offset:88
	buffer_store_dword v2, off, s[0:3], 0 offset:92
	s_waitcnt vmcnt(0)
	ds_write_b128 v1, v[63:66]
.LBB92_179:
	s_or_b32 exec_lo, exec_lo, s4
	s_waitcnt lgkmcnt(0)
	s_waitcnt_vscnt null, 0x0
	s_barrier
	buffer_gl0_inv
	s_clause 0x37
	buffer_load_dword v3, off, s[0:3], 0 offset:104
	buffer_load_dword v4, off, s[0:3], 0 offset:108
	;; [unrolled: 1-line block ×56, first 2 shown]
	ds_read_b128 v[63:66], v2 offset:544
	s_clause 0x2
	buffer_load_dword v128, off, s[0:3], 0 offset:332
	buffer_load_dword v132, off, s[0:3], 0 offset:308
	;; [unrolled: 1-line block ×3, first 2 shown]
	ds_read_b128 v[67:70], v2 offset:560
	s_clause 0x4
	buffer_load_dword v136, off, s[0:3], 0 offset:348
	buffer_load_dword v137, off, s[0:3], 0 offset:360
	;; [unrolled: 1-line block ×5, first 2 shown]
	ds_read_b128 v[71:74], v2 offset:576
	s_mov_b32 s4, exec_lo
	s_waitcnt vmcnt(62) lgkmcnt(2)
	v_mul_f64 v[133:134], v[65:66], v[3:4]
	v_mul_f64 v[3:4], v[63:64], v[3:4]
	s_waitcnt vmcnt(60) lgkmcnt(1)
	v_mul_f64 v[140:141], v[69:70], v[75:76]
	v_mul_f64 v[75:76], v[67:68], v[75:76]
	;; [unrolled: 3-line block ×3, first 2 shown]
	v_fma_f64 v[133:134], v[63:64], v[77:78], -v[133:134]
	v_fma_f64 v[3:4], v[65:66], v[77:78], v[3:4]
	s_clause 0x2
	buffer_load_dword v138, off, s[0:3], 0 offset:364
	buffer_load_dword v78, off, s[0:3], 0 offset:340
	;; [unrolled: 1-line block ×3, first 2 shown]
	s_waitcnt vmcnt(57)
	v_fma_f64 v[144:145], v[67:68], v[81:82], -v[140:141]
	ds_read_b128 v[63:66], v2 offset:592
	v_fma_f64 v[75:76], v[69:70], v[81:82], v[75:76]
	s_clause 0x4
	buffer_load_dword v82, off, s[0:3], 0 offset:380
	buffer_load_dword v141, off, s[0:3], 0 offset:392
	;; [unrolled: 1-line block ×5, first 2 shown]
	s_waitcnt vmcnt(56)
	v_fma_f64 v[79:80], v[71:72], v[89:90], -v[79:80]
	ds_read_b128 v[67:70], v2 offset:608
	v_fma_f64 v[89:90], v[73:74], v[89:90], v[142:143]
	v_add_f64 v[133:134], v[133:134], 0
	v_add_f64 v[3:4], v[3:4], 0
	s_waitcnt lgkmcnt(1)
	v_mul_f64 v[147:148], v[63:64], v[83:84]
	v_mul_f64 v[83:84], v[65:66], v[83:84]
	v_add_f64 v[133:134], v[133:134], v[144:145]
	v_add_f64 v[3:4], v[3:4], v[75:76]
	s_clause 0x2
	buffer_load_dword v142, off, s[0:3], 0 offset:396
	buffer_load_dword v76, off, s[0:3], 0 offset:372
	;; [unrolled: 1-line block ×3, first 2 shown]
	s_waitcnt vmcnt(58) lgkmcnt(0)
	v_mul_f64 v[143:144], v[67:68], v[85:86]
	v_mul_f64 v[85:86], v[69:70], v[85:86]
	s_waitcnt vmcnt(56)
	v_fma_f64 v[83:84], v[63:64], v[91:92], -v[83:84]
	ds_read_b128 v[71:74], v2 offset:624
	v_fma_f64 v[91:92], v[65:66], v[91:92], v[147:148]
	v_add_f64 v[79:80], v[133:134], v[79:80]
	v_add_f64 v[3:4], v[3:4], v[89:90]
	s_clause 0x4
	buffer_load_dword v90, off, s[0:3], 0 offset:412
	buffer_load_dword v133, off, s[0:3], 0 offset:424
	;; [unrolled: 1-line block ×5, first 2 shown]
	ds_read_b128 v[63:66], v2 offset:640
	s_waitcnt vmcnt(57) lgkmcnt(1)
	v_mul_f64 v[149:150], v[71:72], v[93:94]
	v_mul_f64 v[93:94], v[73:74], v[93:94]
	s_waitcnt vmcnt(56)
	v_fma_f64 v[85:86], v[67:68], v[87:88], -v[85:86]
	v_add_f64 v[79:80], v[79:80], v[83:84]
	v_fma_f64 v[83:84], v[69:70], v[87:88], v[143:144]
	v_add_f64 v[3:4], v[3:4], v[91:92]
	s_clause 0x2
	buffer_load_dword v134, off, s[0:3], 0 offset:428
	buffer_load_dword v88, off, s[0:3], 0 offset:404
	;; [unrolled: 1-line block ×3, first 2 shown]
	s_waitcnt vmcnt(58) lgkmcnt(0)
	v_mul_f64 v[91:92], v[63:64], v[95:96]
	v_mul_f64 v[95:96], v[65:66], v[95:96]
	s_waitcnt vmcnt(56)
	v_fma_f64 v[93:94], v[71:72], v[99:100], -v[93:94]
	ds_read_b128 v[67:70], v2 offset:656
	v_add_f64 v[79:80], v[79:80], v[85:86]
	v_fma_f64 v[85:86], v[73:74], v[99:100], v[149:150]
	v_add_f64 v[3:4], v[3:4], v[83:84]
	s_clause 0x4
	buffer_load_dword v84, off, s[0:3], 0 offset:444
	buffer_load_dword v99, off, s[0:3], 0 offset:456
	buffer_load_dword v143, off, s[0:3], 0 offset:448
	buffer_load_dword v83, off, s[0:3], 0 offset:440
	buffer_load_dword v149, off, s[0:3], 0 offset:420
	ds_read_b128 v[71:74], v2 offset:672
	s_waitcnt vmcnt(57) lgkmcnt(1)
	v_mul_f64 v[144:145], v[67:68], v[101:102]
	v_mul_f64 v[101:102], v[69:70], v[101:102]
	s_waitcnt vmcnt(56)
	v_fma_f64 v[95:96], v[63:64], v[97:98], -v[95:96]
	v_fma_f64 v[91:92], v[65:66], v[97:98], v[91:92]
	v_add_f64 v[79:80], v[79:80], v[93:94]
	v_add_f64 v[3:4], v[3:4], v[85:86]
	s_clause 0x2
	buffer_load_dword v100, off, s[0:3], 0 offset:460
	buffer_load_dword v86, off, s[0:3], 0 offset:436
	;; [unrolled: 1-line block ×3, first 2 shown]
	s_waitcnt vmcnt(58) lgkmcnt(0)
	v_mul_f64 v[97:98], v[73:74], v[103:104]
	ds_read_b128 v[63:66], v2 offset:688
	s_waitcnt vmcnt(56)
	v_fma_f64 v[101:102], v[67:68], v[107:108], -v[101:102]
	v_mul_f64 v[93:94], v[71:72], v[103:104]
	v_add_f64 v[79:80], v[79:80], v[95:96]
	v_fma_f64 v[95:96], v[69:70], v[107:108], v[144:145]
	v_add_f64 v[3:4], v[3:4], v[91:92]
	s_clause 0x2
	buffer_load_dword v92, off, s[0:3], 0 offset:476
	buffer_load_dword v91, off, s[0:3], 0 offset:472
	;; [unrolled: 1-line block ×3, first 2 shown]
	s_waitcnt vmcnt(55) lgkmcnt(0)
	v_mul_f64 v[107:108], v[65:66], v[109:110]
	s_waitcnt vmcnt(54)
	v_fma_f64 v[97:98], v[71:72], v[105:106], -v[97:98]
	ds_read_b128 v[67:70], v2 offset:704
	v_mul_f64 v[103:104], v[63:64], v[109:110]
	v_fma_f64 v[93:94], v[73:74], v[105:106], v[93:94]
	v_add_f64 v[79:80], v[79:80], v[101:102]
	v_add_f64 v[3:4], v[3:4], v[95:96]
	s_clause 0x1
	buffer_load_dword v96, off, s[0:3], 0 offset:468
	buffer_load_dword v95, off, s[0:3], 0 offset:464
	s_waitcnt vmcnt(55) lgkmcnt(0)
	v_mul_f64 v[105:106], v[69:70], v[111:112]
	s_waitcnt vmcnt(53)
	v_fma_f64 v[107:108], v[63:64], v[115:116], -v[107:108]
	ds_read_b128 v[71:74], v2 offset:720
	v_mul_f64 v[101:102], v[67:68], v[111:112]
	v_add_f64 v[79:80], v[79:80], v[97:98]
	v_fma_f64 v[97:98], v[65:66], v[115:116], v[103:104]
	v_add_f64 v[3:4], v[3:4], v[93:94]
	ds_read_b128 v[63:66], v2 offset:736
	s_waitcnt vmcnt(49) lgkmcnt(1)
	v_mul_f64 v[103:104], v[73:74], v[117:118]
	s_waitcnt vmcnt(48)
	v_fma_f64 v[105:106], v[67:68], v[113:114], -v[105:106]
	v_mul_f64 v[93:94], v[71:72], v[117:118]
	v_fma_f64 v[101:102], v[69:70], v[113:114], v[101:102]
	v_add_f64 v[79:80], v[79:80], v[107:108]
	s_waitcnt vmcnt(47) lgkmcnt(0)
	v_mul_f64 v[111:112], v[65:66], v[119:120]
	v_add_f64 v[3:4], v[3:4], v[97:98]
	s_clause 0x3
	buffer_load_dword v97, off, s[0:3], 0 offset:80
	buffer_load_dword v98, off, s[0:3], 0 offset:84
	;; [unrolled: 1-line block ×4, first 2 shown]
	s_waitcnt vmcnt(49)
	v_fma_f64 v[103:104], v[71:72], v[123:124], -v[103:104]
	ds_read_b128 v[67:70], v2 offset:752
	v_mul_f64 v[109:110], v[63:64], v[119:120]
	v_fma_f64 v[93:94], v[73:74], v[123:124], v[93:94]
	ds_read_b128 v[71:74], v2 offset:768
	v_add_f64 v[79:80], v[79:80], v[105:106]
	s_waitcnt vmcnt(44)
	v_fma_f64 v[111:112], v[63:64], v[121:122], -v[111:112]
	v_add_f64 v[3:4], v[3:4], v[101:102]
	s_waitcnt lgkmcnt(1)
	v_mul_f64 v[105:106], v[69:70], v[125:126]
	v_mul_f64 v[101:102], v[67:68], v[125:126]
	v_add_f64 v[79:80], v[79:80], v[103:104]
	v_fma_f64 v[103:104], v[65:66], v[121:122], v[109:110]
	v_add_f64 v[3:4], v[3:4], v[93:94]
	s_waitcnt vmcnt(43) lgkmcnt(0)
	v_mul_f64 v[109:110], v[73:74], v[127:128]
	s_waitcnt vmcnt(41)
	v_fma_f64 v[105:106], v[67:68], v[131:132], -v[105:106]
	ds_read_b128 v[63:66], v2 offset:784
	v_mul_f64 v[93:94], v[71:72], v[127:128]
	v_fma_f64 v[101:102], v[69:70], v[131:132], v[101:102]
	ds_read_b128 v[67:70], v2 offset:800
	v_add_f64 v[79:80], v[79:80], v[111:112]
	v_add_f64 v[3:4], v[3:4], v[103:104]
	s_waitcnt vmcnt(37) lgkmcnt(1)
	v_mul_f64 v[111:112], v[65:66], v[135:136]
	s_waitcnt vmcnt(36)
	v_fma_f64 v[109:110], v[71:72], v[129:130], -v[109:110]
	v_mul_f64 v[103:104], v[63:64], v[135:136]
	v_fma_f64 v[93:94], v[73:74], v[129:130], v[93:94]
	ds_read_b128 v[71:74], v2 offset:816
	v_add_f64 v[79:80], v[79:80], v[105:106]
	v_add_f64 v[3:4], v[3:4], v[101:102]
	s_waitcnt vmcnt(35) lgkmcnt(1)
	v_mul_f64 v[105:106], v[69:70], v[137:138]
	v_mul_f64 v[101:102], v[67:68], v[137:138]
	s_waitcnt vmcnt(33)
	v_fma_f64 v[111:112], v[63:64], v[77:78], -v[111:112]
	v_fma_f64 v[77:78], v[65:66], v[77:78], v[103:104]
	ds_read_b128 v[63:66], v2 offset:832
	v_add_f64 v[79:80], v[79:80], v[109:110]
	v_add_f64 v[3:4], v[3:4], v[93:94]
	s_waitcnt vmcnt(29) lgkmcnt(1)
	v_mul_f64 v[93:94], v[71:72], v[81:82]
	v_mul_f64 v[81:82], v[73:74], v[81:82]
	s_waitcnt vmcnt(28)
	v_fma_f64 v[103:104], v[67:68], v[139:140], -v[105:106]
	;; [unrolled: 9-line block ×7, first 2 shown]
	v_fma_f64 v[65:66], v[65:66], v[85:86], v[77:78]
	v_add_f64 v[79:80], v[79:80], v[81:82]
	v_add_f64 v[2:3], v[3:4], v[75:76]
	s_waitcnt vmcnt(7) lgkmcnt(0)
	v_mul_f64 v[77:78], v[73:74], v[91:92]
	s_waitcnt vmcnt(6)
	v_fma_f64 v[67:68], v[67:68], v[143:144], -v[89:90]
	v_mul_f64 v[75:76], v[71:72], v[91:92]
	v_fma_f64 v[69:70], v[69:70], v[143:144], v[87:88]
	v_add_f64 v[63:64], v[79:80], v[63:64]
	v_add_f64 v[2:3], v[2:3], v[65:66]
	s_waitcnt vmcnt(4)
	v_fma_f64 v[65:66], v[71:72], v[95:96], -v[77:78]
	v_add_f64 v[63:64], v[63:64], v[67:68]
	v_fma_f64 v[67:68], v[73:74], v[95:96], v[75:76]
	v_add_f64 v[2:3], v[2:3], v[69:70]
	v_add_f64 v[63:64], v[63:64], v[65:66]
	;; [unrolled: 1-line block ×3, first 2 shown]
	s_waitcnt vmcnt(2)
	v_add_f64 v[63:64], v[97:98], -v[63:64]
	s_waitcnt vmcnt(0)
	v_add_f64 v[2:3], v[107:108], -v[2:3]
	buffer_store_dword v64, off, s[0:3], 0 offset:84
	buffer_store_dword v63, off, s[0:3], 0 offset:80
	;; [unrolled: 1-line block ×4, first 2 shown]
	v_cmpx_lt_u32_e32 3, v0
	s_cbranch_execz .LBB92_181
; %bb.180:
	v_mov_b32_e32 v2, s38
	s_clause 0x3
	buffer_load_dword v63, v2, s[0:3], 0 offen
	buffer_load_dword v64, v2, s[0:3], 0 offen offset:4
	buffer_load_dword v65, v2, s[0:3], 0 offen offset:8
	;; [unrolled: 1-line block ×3, first 2 shown]
	v_mov_b32_e32 v2, 0
	buffer_store_dword v2, off, s[0:3], 0 offset:64
	buffer_store_dword v2, off, s[0:3], 0 offset:68
	;; [unrolled: 1-line block ×4, first 2 shown]
	s_waitcnt vmcnt(0)
	ds_write_b128 v1, v[63:66]
.LBB92_181:
	s_or_b32 exec_lo, exec_lo, s4
	s_waitcnt lgkmcnt(0)
	s_waitcnt_vscnt null, 0x0
	s_barrier
	buffer_gl0_inv
	s_clause 0x37
	buffer_load_dword v3, off, s[0:3], 0 offset:88
	buffer_load_dword v4, off, s[0:3], 0 offset:92
	;; [unrolled: 1-line block ×56, first 2 shown]
	v_mov_b32_e32 v2, 0
	s_mov_b32 s4, exec_lo
	ds_read_b128 v[63:66], v2 offset:528
	s_clause 0x2
	buffer_load_dword v128, off, s[0:3], 0 offset:316
	buffer_load_dword v132, off, s[0:3], 0 offset:292
	;; [unrolled: 1-line block ×3, first 2 shown]
	ds_read_b128 v[67:70], v2 offset:544
	s_clause 0x4
	buffer_load_dword v136, off, s[0:3], 0 offset:332
	buffer_load_dword v137, off, s[0:3], 0 offset:344
	;; [unrolled: 1-line block ×5, first 2 shown]
	ds_read_b128 v[71:74], v2 offset:560
	s_waitcnt vmcnt(62) lgkmcnt(2)
	v_mul_f64 v[133:134], v[65:66], v[3:4]
	v_mul_f64 v[3:4], v[63:64], v[3:4]
	s_waitcnt vmcnt(60) lgkmcnt(1)
	v_mul_f64 v[140:141], v[69:70], v[75:76]
	v_mul_f64 v[75:76], v[67:68], v[75:76]
	;; [unrolled: 3-line block ×3, first 2 shown]
	v_fma_f64 v[133:134], v[63:64], v[77:78], -v[133:134]
	v_fma_f64 v[3:4], v[65:66], v[77:78], v[3:4]
	s_clause 0x2
	buffer_load_dword v138, off, s[0:3], 0 offset:348
	buffer_load_dword v78, off, s[0:3], 0 offset:324
	;; [unrolled: 1-line block ×3, first 2 shown]
	s_waitcnt vmcnt(57)
	v_fma_f64 v[144:145], v[67:68], v[81:82], -v[140:141]
	ds_read_b128 v[63:66], v2 offset:576
	v_fma_f64 v[75:76], v[69:70], v[81:82], v[75:76]
	s_clause 0x4
	buffer_load_dword v82, off, s[0:3], 0 offset:364
	buffer_load_dword v141, off, s[0:3], 0 offset:376
	;; [unrolled: 1-line block ×5, first 2 shown]
	s_waitcnt vmcnt(56)
	v_fma_f64 v[79:80], v[71:72], v[89:90], -v[79:80]
	ds_read_b128 v[67:70], v2 offset:592
	v_fma_f64 v[89:90], v[73:74], v[89:90], v[142:143]
	v_add_f64 v[133:134], v[133:134], 0
	v_add_f64 v[3:4], v[3:4], 0
	s_waitcnt lgkmcnt(1)
	v_mul_f64 v[147:148], v[63:64], v[83:84]
	v_mul_f64 v[83:84], v[65:66], v[83:84]
	v_add_f64 v[133:134], v[133:134], v[144:145]
	v_add_f64 v[3:4], v[3:4], v[75:76]
	s_clause 0x2
	buffer_load_dword v142, off, s[0:3], 0 offset:380
	buffer_load_dword v76, off, s[0:3], 0 offset:356
	;; [unrolled: 1-line block ×3, first 2 shown]
	s_waitcnt vmcnt(58) lgkmcnt(0)
	v_mul_f64 v[143:144], v[67:68], v[85:86]
	v_mul_f64 v[85:86], v[69:70], v[85:86]
	s_waitcnt vmcnt(56)
	v_fma_f64 v[83:84], v[63:64], v[91:92], -v[83:84]
	ds_read_b128 v[71:74], v2 offset:608
	v_fma_f64 v[91:92], v[65:66], v[91:92], v[147:148]
	v_add_f64 v[79:80], v[133:134], v[79:80]
	v_add_f64 v[3:4], v[3:4], v[89:90]
	s_clause 0x4
	buffer_load_dword v90, off, s[0:3], 0 offset:396
	buffer_load_dword v133, off, s[0:3], 0 offset:408
	;; [unrolled: 1-line block ×5, first 2 shown]
	ds_read_b128 v[63:66], v2 offset:624
	s_waitcnt vmcnt(57) lgkmcnt(1)
	v_mul_f64 v[149:150], v[71:72], v[93:94]
	v_mul_f64 v[93:94], v[73:74], v[93:94]
	s_waitcnt vmcnt(56)
	v_fma_f64 v[85:86], v[67:68], v[87:88], -v[85:86]
	v_add_f64 v[79:80], v[79:80], v[83:84]
	v_fma_f64 v[83:84], v[69:70], v[87:88], v[143:144]
	v_add_f64 v[3:4], v[3:4], v[91:92]
	s_clause 0x2
	buffer_load_dword v134, off, s[0:3], 0 offset:412
	buffer_load_dword v88, off, s[0:3], 0 offset:388
	;; [unrolled: 1-line block ×3, first 2 shown]
	s_waitcnt vmcnt(58) lgkmcnt(0)
	v_mul_f64 v[91:92], v[63:64], v[95:96]
	v_mul_f64 v[95:96], v[65:66], v[95:96]
	s_waitcnt vmcnt(56)
	v_fma_f64 v[93:94], v[71:72], v[99:100], -v[93:94]
	ds_read_b128 v[67:70], v2 offset:640
	v_add_f64 v[79:80], v[79:80], v[85:86]
	v_fma_f64 v[85:86], v[73:74], v[99:100], v[149:150]
	v_add_f64 v[3:4], v[3:4], v[83:84]
	s_clause 0x4
	buffer_load_dword v84, off, s[0:3], 0 offset:428
	buffer_load_dword v99, off, s[0:3], 0 offset:440
	buffer_load_dword v143, off, s[0:3], 0 offset:432
	buffer_load_dword v83, off, s[0:3], 0 offset:424
	buffer_load_dword v149, off, s[0:3], 0 offset:404
	ds_read_b128 v[71:74], v2 offset:656
	s_waitcnt vmcnt(57) lgkmcnt(1)
	v_mul_f64 v[144:145], v[67:68], v[101:102]
	v_mul_f64 v[101:102], v[69:70], v[101:102]
	s_waitcnt vmcnt(56)
	v_fma_f64 v[95:96], v[63:64], v[97:98], -v[95:96]
	v_fma_f64 v[91:92], v[65:66], v[97:98], v[91:92]
	v_add_f64 v[79:80], v[79:80], v[93:94]
	v_add_f64 v[3:4], v[3:4], v[85:86]
	s_clause 0x2
	buffer_load_dword v100, off, s[0:3], 0 offset:444
	buffer_load_dword v86, off, s[0:3], 0 offset:420
	;; [unrolled: 1-line block ×3, first 2 shown]
	s_waitcnt vmcnt(58) lgkmcnt(0)
	v_mul_f64 v[97:98], v[73:74], v[103:104]
	ds_read_b128 v[63:66], v2 offset:672
	s_waitcnt vmcnt(56)
	v_fma_f64 v[101:102], v[67:68], v[107:108], -v[101:102]
	v_mul_f64 v[93:94], v[71:72], v[103:104]
	v_add_f64 v[79:80], v[79:80], v[95:96]
	v_fma_f64 v[95:96], v[69:70], v[107:108], v[144:145]
	v_add_f64 v[3:4], v[3:4], v[91:92]
	s_clause 0x4
	buffer_load_dword v92, off, s[0:3], 0 offset:460
	buffer_load_dword v103, off, s[0:3], 0 offset:472
	;; [unrolled: 1-line block ×5, first 2 shown]
	s_waitcnt vmcnt(57) lgkmcnt(0)
	v_mul_f64 v[150:151], v[63:64], v[109:110]
	v_mul_f64 v[108:109], v[65:66], v[109:110]
	s_waitcnt vmcnt(56)
	v_fma_f64 v[97:98], v[71:72], v[105:106], -v[97:98]
	ds_read_b128 v[67:70], v2 offset:688
	v_fma_f64 v[93:94], v[73:74], v[105:106], v[93:94]
	v_add_f64 v[79:80], v[79:80], v[101:102]
	v_add_f64 v[3:4], v[3:4], v[95:96]
	s_clause 0x2
	buffer_load_dword v104, off, s[0:3], 0 offset:476
	buffer_load_dword v96, off, s[0:3], 0 offset:452
	;; [unrolled: 1-line block ×3, first 2 shown]
	ds_read_b128 v[71:74], v2 offset:704
	s_waitcnt vmcnt(58) lgkmcnt(1)
	v_mul_f64 v[105:106], v[69:70], v[111:112]
	s_waitcnt vmcnt(56)
	v_fma_f64 v[109:110], v[63:64], v[115:116], -v[108:109]
	v_mul_f64 v[101:102], v[67:68], v[111:112]
	buffer_load_dword v108, off, s[0:3], 0 offset:468
	v_add_f64 v[79:80], v[79:80], v[97:98]
	v_fma_f64 v[97:98], v[65:66], v[115:116], v[150:151]
	v_add_f64 v[3:4], v[3:4], v[93:94]
	ds_read_b128 v[63:66], v2 offset:720
	s_waitcnt vmcnt(53) lgkmcnt(1)
	v_mul_f64 v[111:112], v[73:74], v[117:118]
	s_waitcnt vmcnt(52)
	v_fma_f64 v[105:106], v[67:68], v[113:114], -v[105:106]
	v_mul_f64 v[93:94], v[71:72], v[117:118]
	v_fma_f64 v[101:102], v[69:70], v[113:114], v[101:102]
	ds_read_b128 v[67:70], v2 offset:736
	v_add_f64 v[79:80], v[79:80], v[109:110]
	s_waitcnt vmcnt(51) lgkmcnt(1)
	v_mul_f64 v[109:110], v[65:66], v[119:120]
	v_add_f64 v[3:4], v[3:4], v[97:98]
	v_mul_f64 v[97:98], v[63:64], v[119:120]
	s_waitcnt vmcnt(49)
	v_fma_f64 v[111:112], v[71:72], v[123:124], -v[111:112]
	v_fma_f64 v[93:94], v[73:74], v[123:124], v[93:94]
	s_waitcnt vmcnt(45) lgkmcnt(0)
	v_mul_f64 v[115:116], v[69:70], v[125:126]
	v_mul_f64 v[113:114], v[67:68], v[125:126]
	v_add_f64 v[79:80], v[79:80], v[105:106]
	s_waitcnt vmcnt(44)
	v_fma_f64 v[109:110], v[63:64], v[121:122], -v[109:110]
	v_add_f64 v[3:4], v[3:4], v[101:102]
	s_clause 0x3
	buffer_load_dword v101, off, s[0:3], 0 offset:64
	buffer_load_dword v102, off, s[0:3], 0 offset:68
	;; [unrolled: 1-line block ×4, first 2 shown]
	ds_read_b128 v[71:74], v2 offset:752
	v_fma_f64 v[97:98], v[65:66], v[121:122], v[97:98]
	ds_read_b128 v[63:66], v2 offset:768
	s_waitcnt vmcnt(45)
	v_fma_f64 v[115:116], v[67:68], v[131:132], -v[115:116]
	v_add_f64 v[79:80], v[79:80], v[111:112]
	v_add_f64 v[3:4], v[3:4], v[93:94]
	s_waitcnt lgkmcnt(1)
	v_mul_f64 v[111:112], v[73:74], v[127:128]
	v_mul_f64 v[93:94], v[71:72], v[127:128]
	v_add_f64 v[79:80], v[79:80], v[109:110]
	v_fma_f64 v[109:110], v[69:70], v[131:132], v[113:114]
	v_add_f64 v[3:4], v[3:4], v[97:98]
	s_waitcnt vmcnt(41) lgkmcnt(0)
	v_mul_f64 v[113:114], v[65:66], v[135:136]
	s_waitcnt vmcnt(40)
	v_fma_f64 v[111:112], v[71:72], v[129:130], -v[111:112]
	ds_read_b128 v[67:70], v2 offset:784
	v_mul_f64 v[97:98], v[63:64], v[135:136]
	v_fma_f64 v[93:94], v[73:74], v[129:130], v[93:94]
	ds_read_b128 v[71:74], v2 offset:800
	v_add_f64 v[79:80], v[79:80], v[115:116]
	v_add_f64 v[3:4], v[3:4], v[109:110]
	s_waitcnt vmcnt(39) lgkmcnt(1)
	v_mul_f64 v[115:116], v[69:70], v[137:138]
	v_mul_f64 v[109:110], v[67:68], v[137:138]
	s_waitcnt vmcnt(37)
	v_fma_f64 v[113:114], v[63:64], v[77:78], -v[113:114]
	v_fma_f64 v[77:78], v[65:66], v[77:78], v[97:98]
	ds_read_b128 v[63:66], v2 offset:816
	v_add_f64 v[79:80], v[79:80], v[111:112]
	v_add_f64 v[3:4], v[3:4], v[93:94]
	s_waitcnt vmcnt(33) lgkmcnt(1)
	v_mul_f64 v[93:94], v[71:72], v[81:82]
	v_mul_f64 v[81:82], v[73:74], v[81:82]
	s_waitcnt vmcnt(32)
	v_fma_f64 v[97:98], v[67:68], v[139:140], -v[115:116]
	v_fma_f64 v[109:110], v[69:70], v[139:140], v[109:110]
	ds_read_b128 v[67:70], v2 offset:832
	v_add_f64 v[79:80], v[79:80], v[113:114]
	v_add_f64 v[3:4], v[3:4], v[77:78]
	s_waitcnt vmcnt(31) lgkmcnt(1)
	v_mul_f64 v[111:112], v[65:66], v[141:142]
	v_mul_f64 v[77:78], v[63:64], v[141:142]
	s_waitcnt vmcnt(29)
	v_fma_f64 v[81:82], v[71:72], v[75:76], -v[81:82]
	v_fma_f64 v[75:76], v[73:74], v[75:76], v[93:94]
	ds_read_b128 v[71:74], v2 offset:848
	v_add_f64 v[79:80], v[79:80], v[97:98]
	v_add_f64 v[3:4], v[3:4], v[109:110]
	s_waitcnt vmcnt(25) lgkmcnt(1)
	v_mul_f64 v[93:94], v[67:68], v[89:90]
	v_mul_f64 v[89:90], v[69:70], v[89:90]
	s_waitcnt vmcnt(24)
	v_fma_f64 v[97:98], v[63:64], v[146:147], -v[111:112]
	v_fma_f64 v[77:78], v[65:66], v[146:147], v[77:78]
	ds_read_b128 v[63:66], v2 offset:864
	v_add_f64 v[79:80], v[79:80], v[81:82]
	v_add_f64 v[3:4], v[3:4], v[75:76]
	s_waitcnt vmcnt(23) lgkmcnt(1)
	v_mul_f64 v[81:82], v[73:74], v[133:134]
	v_mul_f64 v[75:76], v[71:72], v[133:134]
	s_waitcnt vmcnt(21)
	v_fma_f64 v[89:90], v[67:68], v[87:88], -v[89:90]
	v_fma_f64 v[87:88], v[69:70], v[87:88], v[93:94]
	ds_read_b128 v[67:70], v2 offset:880
	v_add_f64 v[79:80], v[79:80], v[97:98]
	v_add_f64 v[3:4], v[3:4], v[77:78]
	s_waitcnt vmcnt(17) lgkmcnt(1)
	v_mul_f64 v[77:78], v[63:64], v[83:84]
	v_mul_f64 v[83:84], v[65:66], v[83:84]
	s_waitcnt vmcnt(16)
	v_fma_f64 v[81:82], v[71:72], v[148:149], -v[81:82]
	v_fma_f64 v[75:76], v[73:74], v[148:149], v[75:76]
	ds_read_b128 v[71:74], v2 offset:896
	v_add_f64 v[79:80], v[79:80], v[89:90]
	v_add_f64 v[3:4], v[3:4], v[87:88]
	s_waitcnt vmcnt(15) lgkmcnt(1)
	v_mul_f64 v[89:90], v[69:70], v[99:100]
	v_mul_f64 v[87:88], v[67:68], v[99:100]
	s_waitcnt vmcnt(13)
	v_fma_f64 v[83:84], v[63:64], v[85:86], -v[83:84]
	v_fma_f64 v[77:78], v[65:66], v[85:86], v[77:78]
	ds_read_b128 v[63:66], v2 offset:912
	v_add_f64 v[79:80], v[79:80], v[81:82]
	v_add_f64 v[3:4], v[3:4], v[75:76]
	s_waitcnt vmcnt(9) lgkmcnt(1)
	v_mul_f64 v[81:82], v[73:74], v[91:92]
	s_waitcnt vmcnt(8)
	v_fma_f64 v[67:68], v[67:68], v[143:144], -v[89:90]
	v_mul_f64 v[75:76], v[71:72], v[91:92]
	v_fma_f64 v[69:70], v[69:70], v[143:144], v[87:88]
	v_add_f64 v[79:80], v[79:80], v[83:84]
	v_add_f64 v[3:4], v[3:4], v[77:78]
	s_waitcnt vmcnt(7) lgkmcnt(0)
	v_mul_f64 v[83:84], v[65:66], v[103:104]
	v_mul_f64 v[77:78], v[63:64], v[103:104]
	s_waitcnt vmcnt(5)
	v_fma_f64 v[71:72], v[71:72], v[95:96], -v[81:82]
	v_fma_f64 v[73:74], v[73:74], v[95:96], v[75:76]
	v_add_f64 v[67:68], v[79:80], v[67:68]
	v_add_f64 v[3:4], v[3:4], v[69:70]
	s_waitcnt vmcnt(4)
	v_fma_f64 v[63:64], v[63:64], v[107:108], -v[83:84]
	v_fma_f64 v[65:66], v[65:66], v[107:108], v[77:78]
	v_add_f64 v[67:68], v[67:68], v[71:72]
	v_add_f64 v[3:4], v[3:4], v[73:74]
	;; [unrolled: 1-line block ×4, first 2 shown]
	s_waitcnt vmcnt(2)
	v_add_f64 v[63:64], v[101:102], -v[63:64]
	s_waitcnt vmcnt(0)
	v_add_f64 v[3:4], v[105:106], -v[3:4]
	buffer_store_dword v64, off, s[0:3], 0 offset:68
	buffer_store_dword v63, off, s[0:3], 0 offset:64
	;; [unrolled: 1-line block ×4, first 2 shown]
	v_cmpx_lt_u32_e32 2, v0
	s_cbranch_execz .LBB92_183
; %bb.182:
	v_mov_b32_e32 v3, s39
	s_clause 0x3
	buffer_load_dword v63, v3, s[0:3], 0 offen
	buffer_load_dword v64, v3, s[0:3], 0 offen offset:4
	buffer_load_dword v65, v3, s[0:3], 0 offen offset:8
	;; [unrolled: 1-line block ×3, first 2 shown]
	buffer_store_dword v2, off, s[0:3], 0 offset:48
	buffer_store_dword v2, off, s[0:3], 0 offset:52
	;; [unrolled: 1-line block ×4, first 2 shown]
	s_waitcnt vmcnt(0)
	ds_write_b128 v1, v[63:66]
.LBB92_183:
	s_or_b32 exec_lo, exec_lo, s4
	s_waitcnt lgkmcnt(0)
	s_waitcnt_vscnt null, 0x0
	s_barrier
	buffer_gl0_inv
	s_clause 0x37
	buffer_load_dword v3, off, s[0:3], 0 offset:72
	buffer_load_dword v4, off, s[0:3], 0 offset:76
	;; [unrolled: 1-line block ×56, first 2 shown]
	ds_read_b128 v[63:66], v2 offset:512
	s_clause 0x2
	buffer_load_dword v128, off, s[0:3], 0 offset:300
	buffer_load_dword v132, off, s[0:3], 0 offset:276
	;; [unrolled: 1-line block ×3, first 2 shown]
	ds_read_b128 v[67:70], v2 offset:528
	s_clause 0x4
	buffer_load_dword v136, off, s[0:3], 0 offset:316
	buffer_load_dword v137, off, s[0:3], 0 offset:328
	;; [unrolled: 1-line block ×5, first 2 shown]
	ds_read_b128 v[71:74], v2 offset:544
	s_mov_b32 s4, exec_lo
	s_waitcnt vmcnt(62) lgkmcnt(2)
	v_mul_f64 v[133:134], v[65:66], v[3:4]
	v_mul_f64 v[3:4], v[63:64], v[3:4]
	s_waitcnt vmcnt(60) lgkmcnt(1)
	v_mul_f64 v[140:141], v[69:70], v[75:76]
	v_mul_f64 v[75:76], v[67:68], v[75:76]
	;; [unrolled: 3-line block ×3, first 2 shown]
	v_fma_f64 v[133:134], v[63:64], v[77:78], -v[133:134]
	v_fma_f64 v[3:4], v[65:66], v[77:78], v[3:4]
	s_clause 0x2
	buffer_load_dword v138, off, s[0:3], 0 offset:332
	buffer_load_dword v78, off, s[0:3], 0 offset:308
	;; [unrolled: 1-line block ×3, first 2 shown]
	s_waitcnt vmcnt(57)
	v_fma_f64 v[144:145], v[67:68], v[81:82], -v[140:141]
	ds_read_b128 v[63:66], v2 offset:560
	v_fma_f64 v[75:76], v[69:70], v[81:82], v[75:76]
	s_clause 0x4
	buffer_load_dword v82, off, s[0:3], 0 offset:348
	buffer_load_dword v141, off, s[0:3], 0 offset:360
	;; [unrolled: 1-line block ×5, first 2 shown]
	s_waitcnt vmcnt(56)
	v_fma_f64 v[79:80], v[71:72], v[89:90], -v[79:80]
	ds_read_b128 v[67:70], v2 offset:576
	v_fma_f64 v[89:90], v[73:74], v[89:90], v[142:143]
	v_add_f64 v[133:134], v[133:134], 0
	v_add_f64 v[3:4], v[3:4], 0
	s_waitcnt lgkmcnt(1)
	v_mul_f64 v[147:148], v[63:64], v[83:84]
	v_mul_f64 v[83:84], v[65:66], v[83:84]
	v_add_f64 v[133:134], v[133:134], v[144:145]
	v_add_f64 v[3:4], v[3:4], v[75:76]
	s_clause 0x2
	buffer_load_dword v142, off, s[0:3], 0 offset:364
	buffer_load_dword v76, off, s[0:3], 0 offset:340
	;; [unrolled: 1-line block ×3, first 2 shown]
	s_waitcnt vmcnt(58) lgkmcnt(0)
	v_mul_f64 v[143:144], v[67:68], v[85:86]
	v_mul_f64 v[85:86], v[69:70], v[85:86]
	s_waitcnt vmcnt(56)
	v_fma_f64 v[83:84], v[63:64], v[91:92], -v[83:84]
	ds_read_b128 v[71:74], v2 offset:592
	v_fma_f64 v[91:92], v[65:66], v[91:92], v[147:148]
	v_add_f64 v[79:80], v[133:134], v[79:80]
	v_add_f64 v[3:4], v[3:4], v[89:90]
	s_clause 0x4
	buffer_load_dword v90, off, s[0:3], 0 offset:380
	buffer_load_dword v133, off, s[0:3], 0 offset:392
	;; [unrolled: 1-line block ×5, first 2 shown]
	ds_read_b128 v[63:66], v2 offset:608
	s_waitcnt vmcnt(57) lgkmcnt(1)
	v_mul_f64 v[149:150], v[71:72], v[93:94]
	v_mul_f64 v[93:94], v[73:74], v[93:94]
	s_waitcnt vmcnt(56)
	v_fma_f64 v[85:86], v[67:68], v[87:88], -v[85:86]
	v_add_f64 v[79:80], v[79:80], v[83:84]
	v_fma_f64 v[83:84], v[69:70], v[87:88], v[143:144]
	v_add_f64 v[3:4], v[3:4], v[91:92]
	s_clause 0x2
	buffer_load_dword v134, off, s[0:3], 0 offset:396
	buffer_load_dword v88, off, s[0:3], 0 offset:372
	;; [unrolled: 1-line block ×3, first 2 shown]
	s_waitcnt vmcnt(58) lgkmcnt(0)
	v_mul_f64 v[91:92], v[63:64], v[95:96]
	v_mul_f64 v[95:96], v[65:66], v[95:96]
	s_waitcnt vmcnt(56)
	v_fma_f64 v[93:94], v[71:72], v[99:100], -v[93:94]
	ds_read_b128 v[67:70], v2 offset:624
	v_add_f64 v[79:80], v[79:80], v[85:86]
	v_fma_f64 v[85:86], v[73:74], v[99:100], v[149:150]
	v_add_f64 v[3:4], v[3:4], v[83:84]
	s_clause 0x4
	buffer_load_dword v84, off, s[0:3], 0 offset:412
	buffer_load_dword v99, off, s[0:3], 0 offset:424
	;; [unrolled: 1-line block ×5, first 2 shown]
	ds_read_b128 v[71:74], v2 offset:640
	s_waitcnt vmcnt(57) lgkmcnt(1)
	v_mul_f64 v[144:145], v[67:68], v[101:102]
	v_mul_f64 v[101:102], v[69:70], v[101:102]
	s_waitcnt vmcnt(56)
	v_fma_f64 v[95:96], v[63:64], v[97:98], -v[95:96]
	v_fma_f64 v[91:92], v[65:66], v[97:98], v[91:92]
	v_add_f64 v[79:80], v[79:80], v[93:94]
	v_add_f64 v[3:4], v[3:4], v[85:86]
	s_clause 0x2
	buffer_load_dword v100, off, s[0:3], 0 offset:428
	buffer_load_dword v86, off, s[0:3], 0 offset:404
	;; [unrolled: 1-line block ×3, first 2 shown]
	s_waitcnt vmcnt(58) lgkmcnt(0)
	v_mul_f64 v[97:98], v[73:74], v[103:104]
	ds_read_b128 v[63:66], v2 offset:656
	s_waitcnt vmcnt(56)
	v_fma_f64 v[101:102], v[67:68], v[107:108], -v[101:102]
	v_mul_f64 v[93:94], v[71:72], v[103:104]
	v_add_f64 v[79:80], v[79:80], v[95:96]
	v_fma_f64 v[95:96], v[69:70], v[107:108], v[144:145]
	v_add_f64 v[3:4], v[3:4], v[91:92]
	s_clause 0x4
	buffer_load_dword v92, off, s[0:3], 0 offset:444
	buffer_load_dword v103, off, s[0:3], 0 offset:456
	;; [unrolled: 1-line block ×5, first 2 shown]
	s_waitcnt vmcnt(57) lgkmcnt(0)
	v_mul_f64 v[150:151], v[63:64], v[109:110]
	v_mul_f64 v[108:109], v[65:66], v[109:110]
	s_waitcnt vmcnt(56)
	v_fma_f64 v[97:98], v[71:72], v[105:106], -v[97:98]
	ds_read_b128 v[67:70], v2 offset:672
	v_fma_f64 v[93:94], v[73:74], v[105:106], v[93:94]
	v_add_f64 v[79:80], v[79:80], v[101:102]
	v_add_f64 v[3:4], v[3:4], v[95:96]
	s_clause 0x2
	buffer_load_dword v104, off, s[0:3], 0 offset:460
	buffer_load_dword v96, off, s[0:3], 0 offset:436
	;; [unrolled: 1-line block ×3, first 2 shown]
	ds_read_b128 v[71:74], v2 offset:688
	s_waitcnt vmcnt(58) lgkmcnt(1)
	v_mul_f64 v[105:106], v[69:70], v[111:112]
	s_waitcnt vmcnt(56)
	v_fma_f64 v[109:110], v[63:64], v[115:116], -v[108:109]
	v_mul_f64 v[101:102], v[67:68], v[111:112]
	v_add_f64 v[79:80], v[79:80], v[97:98]
	v_fma_f64 v[97:98], v[65:66], v[115:116], v[150:151]
	v_add_f64 v[3:4], v[3:4], v[93:94]
	s_clause 0x2
	buffer_load_dword v94, off, s[0:3], 0 offset:476
	buffer_load_dword v93, off, s[0:3], 0 offset:472
	;; [unrolled: 1-line block ×3, first 2 shown]
	s_waitcnt vmcnt(55) lgkmcnt(0)
	v_mul_f64 v[115:116], v[73:74], v[117:118]
	s_waitcnt vmcnt(54)
	v_fma_f64 v[105:106], v[67:68], v[113:114], -v[105:106]
	ds_read_b128 v[63:66], v2 offset:704
	v_mul_f64 v[111:112], v[71:72], v[117:118]
	v_fma_f64 v[101:102], v[69:70], v[113:114], v[101:102]
	v_add_f64 v[79:80], v[79:80], v[109:110]
	v_add_f64 v[3:4], v[3:4], v[97:98]
	s_clause 0x1
	buffer_load_dword v98, off, s[0:3], 0 offset:468
	buffer_load_dword v97, off, s[0:3], 0 offset:464
	s_waitcnt vmcnt(55) lgkmcnt(0)
	v_mul_f64 v[113:114], v[65:66], v[119:120]
	s_waitcnt vmcnt(53)
	v_fma_f64 v[115:116], v[71:72], v[123:124], -v[115:116]
	ds_read_b128 v[67:70], v2 offset:720
	v_mul_f64 v[109:110], v[63:64], v[119:120]
	v_add_f64 v[79:80], v[79:80], v[105:106]
	v_fma_f64 v[105:106], v[73:74], v[123:124], v[111:112]
	v_add_f64 v[3:4], v[3:4], v[101:102]
	ds_read_b128 v[71:74], v2 offset:736
	s_waitcnt vmcnt(49) lgkmcnt(1)
	v_mul_f64 v[111:112], v[69:70], v[125:126]
	s_waitcnt vmcnt(48)
	v_fma_f64 v[113:114], v[63:64], v[121:122], -v[113:114]
	v_mul_f64 v[101:102], v[67:68], v[125:126]
	v_fma_f64 v[109:110], v[65:66], v[121:122], v[109:110]
	v_add_f64 v[79:80], v[79:80], v[115:116]
	s_waitcnt vmcnt(47) lgkmcnt(0)
	v_mul_f64 v[119:120], v[73:74], v[127:128]
	v_add_f64 v[3:4], v[3:4], v[105:106]
	s_clause 0x3
	buffer_load_dword v105, off, s[0:3], 0 offset:48
	buffer_load_dword v106, off, s[0:3], 0 offset:52
	;; [unrolled: 1-line block ×4, first 2 shown]
	s_waitcnt vmcnt(49)
	v_fma_f64 v[111:112], v[67:68], v[131:132], -v[111:112]
	ds_read_b128 v[63:66], v2 offset:752
	v_mul_f64 v[117:118], v[71:72], v[127:128]
	v_fma_f64 v[101:102], v[69:70], v[131:132], v[101:102]
	ds_read_b128 v[67:70], v2 offset:768
	v_add_f64 v[79:80], v[79:80], v[113:114]
	s_waitcnt vmcnt(44)
	v_fma_f64 v[119:120], v[71:72], v[129:130], -v[119:120]
	v_add_f64 v[3:4], v[3:4], v[109:110]
	s_waitcnt lgkmcnt(1)
	v_mul_f64 v[113:114], v[65:66], v[135:136]
	v_mul_f64 v[109:110], v[63:64], v[135:136]
	v_add_f64 v[79:80], v[79:80], v[111:112]
	v_fma_f64 v[111:112], v[73:74], v[129:130], v[117:118]
	v_add_f64 v[3:4], v[3:4], v[101:102]
	ds_read_b128 v[71:74], v2 offset:784
	s_waitcnt vmcnt(43) lgkmcnt(1)
	v_mul_f64 v[117:118], v[69:70], v[137:138]
	v_mul_f64 v[101:102], v[67:68], v[137:138]
	s_waitcnt vmcnt(41)
	v_fma_f64 v[113:114], v[63:64], v[77:78], -v[113:114]
	v_fma_f64 v[77:78], v[65:66], v[77:78], v[109:110]
	ds_read_b128 v[63:66], v2 offset:800
	v_add_f64 v[79:80], v[79:80], v[119:120]
	s_waitcnt vmcnt(37) lgkmcnt(1)
	v_mul_f64 v[109:110], v[71:72], v[81:82]
	v_add_f64 v[3:4], v[3:4], v[111:112]
	v_mul_f64 v[81:82], v[73:74], v[81:82]
	s_waitcnt vmcnt(36)
	v_fma_f64 v[111:112], v[67:68], v[139:140], -v[117:118]
	v_fma_f64 v[101:102], v[69:70], v[139:140], v[101:102]
	ds_read_b128 v[67:70], v2 offset:816
	v_add_f64 v[79:80], v[79:80], v[113:114]
	v_add_f64 v[3:4], v[3:4], v[77:78]
	s_waitcnt vmcnt(35) lgkmcnt(1)
	v_mul_f64 v[113:114], v[65:66], v[141:142]
	v_mul_f64 v[77:78], v[63:64], v[141:142]
	s_waitcnt vmcnt(33)
	v_fma_f64 v[81:82], v[71:72], v[75:76], -v[81:82]
	v_fma_f64 v[75:76], v[73:74], v[75:76], v[109:110]
	ds_read_b128 v[71:74], v2 offset:832
	v_add_f64 v[79:80], v[79:80], v[111:112]
	v_add_f64 v[3:4], v[3:4], v[101:102]
	s_waitcnt vmcnt(29) lgkmcnt(1)
	v_mul_f64 v[101:102], v[67:68], v[89:90]
	v_mul_f64 v[89:90], v[69:70], v[89:90]
	s_waitcnt vmcnt(28)
	v_fma_f64 v[109:110], v[63:64], v[146:147], -v[113:114]
	v_fma_f64 v[77:78], v[65:66], v[146:147], v[77:78]
	ds_read_b128 v[63:66], v2 offset:848
	v_add_f64 v[79:80], v[79:80], v[81:82]
	v_add_f64 v[3:4], v[3:4], v[75:76]
	s_waitcnt vmcnt(27) lgkmcnt(1)
	v_mul_f64 v[81:82], v[73:74], v[133:134]
	v_mul_f64 v[75:76], v[71:72], v[133:134]
	s_waitcnt vmcnt(25)
	v_fma_f64 v[89:90], v[67:68], v[87:88], -v[89:90]
	v_fma_f64 v[87:88], v[69:70], v[87:88], v[101:102]
	ds_read_b128 v[67:70], v2 offset:864
	v_add_f64 v[79:80], v[79:80], v[109:110]
	v_add_f64 v[3:4], v[3:4], v[77:78]
	s_waitcnt vmcnt(21) lgkmcnt(1)
	v_mul_f64 v[77:78], v[63:64], v[83:84]
	v_mul_f64 v[83:84], v[65:66], v[83:84]
	s_waitcnt vmcnt(20)
	v_fma_f64 v[81:82], v[71:72], v[148:149], -v[81:82]
	v_fma_f64 v[75:76], v[73:74], v[148:149], v[75:76]
	ds_read_b128 v[71:74], v2 offset:880
	v_add_f64 v[79:80], v[79:80], v[89:90]
	v_add_f64 v[3:4], v[3:4], v[87:88]
	s_waitcnt vmcnt(19) lgkmcnt(1)
	v_mul_f64 v[89:90], v[69:70], v[99:100]
	v_mul_f64 v[87:88], v[67:68], v[99:100]
	s_waitcnt vmcnt(17)
	v_fma_f64 v[83:84], v[63:64], v[85:86], -v[83:84]
	v_fma_f64 v[77:78], v[65:66], v[85:86], v[77:78]
	ds_read_b128 v[63:66], v2 offset:896
	v_add_f64 v[79:80], v[79:80], v[81:82]
	v_add_f64 v[3:4], v[3:4], v[75:76]
	s_waitcnt vmcnt(13) lgkmcnt(1)
	v_mul_f64 v[81:82], v[73:74], v[91:92]
	s_waitcnt vmcnt(12)
	v_fma_f64 v[85:86], v[67:68], v[143:144], -v[89:90]
	v_mul_f64 v[75:76], v[71:72], v[91:92]
	v_add_f64 v[79:80], v[79:80], v[83:84]
	v_fma_f64 v[83:84], v[69:70], v[143:144], v[87:88]
	v_add_f64 v[3:4], v[3:4], v[77:78]
	ds_read_b128 v[67:70], v2 offset:912
	s_waitcnt vmcnt(11) lgkmcnt(1)
	v_mul_f64 v[87:88], v[65:66], v[103:104]
	v_mul_f64 v[77:78], v[63:64], v[103:104]
	s_waitcnt vmcnt(9)
	v_fma_f64 v[71:72], v[71:72], v[95:96], -v[81:82]
	v_fma_f64 v[73:74], v[73:74], v[95:96], v[75:76]
	v_add_f64 v[79:80], v[79:80], v[85:86]
	v_add_f64 v[2:3], v[3:4], v[83:84]
	s_waitcnt vmcnt(7) lgkmcnt(0)
	v_mul_f64 v[81:82], v[69:70], v[93:94]
	s_waitcnt vmcnt(6)
	v_fma_f64 v[63:64], v[63:64], v[107:108], -v[87:88]
	v_mul_f64 v[75:76], v[67:68], v[93:94]
	v_fma_f64 v[65:66], v[65:66], v[107:108], v[77:78]
	v_add_f64 v[71:72], v[79:80], v[71:72]
	v_add_f64 v[2:3], v[2:3], v[73:74]
	s_waitcnt vmcnt(4)
	v_fma_f64 v[67:68], v[67:68], v[97:98], -v[81:82]
	v_fma_f64 v[69:70], v[69:70], v[97:98], v[75:76]
	v_add_f64 v[63:64], v[71:72], v[63:64]
	v_add_f64 v[2:3], v[2:3], v[65:66]
	;; [unrolled: 1-line block ×4, first 2 shown]
	s_waitcnt vmcnt(2)
	v_add_f64 v[63:64], v[105:106], -v[63:64]
	s_waitcnt vmcnt(0)
	v_add_f64 v[2:3], v[115:116], -v[2:3]
	buffer_store_dword v64, off, s[0:3], 0 offset:52
	buffer_store_dword v63, off, s[0:3], 0 offset:48
	;; [unrolled: 1-line block ×4, first 2 shown]
	v_cmpx_lt_u32_e32 1, v0
	s_cbranch_execz .LBB92_185
; %bb.184:
	v_mov_b32_e32 v2, s40
	s_clause 0x3
	buffer_load_dword v63, v2, s[0:3], 0 offen
	buffer_load_dword v64, v2, s[0:3], 0 offen offset:4
	buffer_load_dword v65, v2, s[0:3], 0 offen offset:8
	;; [unrolled: 1-line block ×3, first 2 shown]
	v_mov_b32_e32 v2, 0
	buffer_store_dword v2, off, s[0:3], 0 offset:32
	buffer_store_dword v2, off, s[0:3], 0 offset:36
	;; [unrolled: 1-line block ×4, first 2 shown]
	s_waitcnt vmcnt(0)
	ds_write_b128 v1, v[63:66]
.LBB92_185:
	s_or_b32 exec_lo, exec_lo, s4
	s_waitcnt lgkmcnt(0)
	s_waitcnt_vscnt null, 0x0
	s_barrier
	buffer_gl0_inv
	s_clause 0x37
	buffer_load_dword v3, off, s[0:3], 0 offset:56
	buffer_load_dword v4, off, s[0:3], 0 offset:60
	;; [unrolled: 1-line block ×56, first 2 shown]
	v_mov_b32_e32 v2, 0
	s_mov_b32 s4, exec_lo
	ds_read_b128 v[63:66], v2 offset:496
	s_clause 0x2
	buffer_load_dword v128, off, s[0:3], 0 offset:284
	buffer_load_dword v132, off, s[0:3], 0 offset:260
	;; [unrolled: 1-line block ×3, first 2 shown]
	ds_read_b128 v[67:70], v2 offset:512
	s_clause 0x4
	buffer_load_dword v136, off, s[0:3], 0 offset:300
	buffer_load_dword v137, off, s[0:3], 0 offset:312
	buffer_load_dword v139, off, s[0:3], 0 offset:304
	buffer_load_dword v135, off, s[0:3], 0 offset:296
	buffer_load_dword v130, off, s[0:3], 0 offset:276
	ds_read_b128 v[71:74], v2 offset:528
	s_waitcnt vmcnt(62) lgkmcnt(2)
	v_mul_f64 v[133:134], v[65:66], v[3:4]
	v_mul_f64 v[3:4], v[63:64], v[3:4]
	s_waitcnt vmcnt(60) lgkmcnt(1)
	v_mul_f64 v[140:141], v[69:70], v[75:76]
	v_mul_f64 v[75:76], v[67:68], v[75:76]
	;; [unrolled: 3-line block ×3, first 2 shown]
	v_fma_f64 v[133:134], v[63:64], v[77:78], -v[133:134]
	v_fma_f64 v[3:4], v[65:66], v[77:78], v[3:4]
	s_clause 0x2
	buffer_load_dword v138, off, s[0:3], 0 offset:316
	buffer_load_dword v78, off, s[0:3], 0 offset:292
	;; [unrolled: 1-line block ×3, first 2 shown]
	s_waitcnt vmcnt(57)
	v_fma_f64 v[144:145], v[67:68], v[81:82], -v[140:141]
	ds_read_b128 v[63:66], v2 offset:544
	v_fma_f64 v[75:76], v[69:70], v[81:82], v[75:76]
	s_clause 0x4
	buffer_load_dword v82, off, s[0:3], 0 offset:332
	buffer_load_dword v141, off, s[0:3], 0 offset:344
	;; [unrolled: 1-line block ×5, first 2 shown]
	s_waitcnt vmcnt(56)
	v_fma_f64 v[79:80], v[71:72], v[89:90], -v[79:80]
	ds_read_b128 v[67:70], v2 offset:560
	v_fma_f64 v[89:90], v[73:74], v[89:90], v[142:143]
	v_add_f64 v[133:134], v[133:134], 0
	v_add_f64 v[3:4], v[3:4], 0
	s_waitcnt lgkmcnt(1)
	v_mul_f64 v[147:148], v[63:64], v[83:84]
	v_mul_f64 v[83:84], v[65:66], v[83:84]
	v_add_f64 v[133:134], v[133:134], v[144:145]
	v_add_f64 v[3:4], v[3:4], v[75:76]
	s_clause 0x2
	buffer_load_dword v142, off, s[0:3], 0 offset:348
	buffer_load_dword v76, off, s[0:3], 0 offset:324
	buffer_load_dword v75, off, s[0:3], 0 offset:320
	s_waitcnt vmcnt(58) lgkmcnt(0)
	v_mul_f64 v[143:144], v[67:68], v[85:86]
	v_mul_f64 v[85:86], v[69:70], v[85:86]
	s_waitcnt vmcnt(56)
	v_fma_f64 v[83:84], v[63:64], v[91:92], -v[83:84]
	ds_read_b128 v[71:74], v2 offset:576
	v_fma_f64 v[91:92], v[65:66], v[91:92], v[147:148]
	v_add_f64 v[79:80], v[133:134], v[79:80]
	v_add_f64 v[3:4], v[3:4], v[89:90]
	s_clause 0x4
	buffer_load_dword v90, off, s[0:3], 0 offset:364
	buffer_load_dword v133, off, s[0:3], 0 offset:376
	;; [unrolled: 1-line block ×5, first 2 shown]
	ds_read_b128 v[63:66], v2 offset:592
	s_waitcnt vmcnt(57) lgkmcnt(1)
	v_mul_f64 v[149:150], v[71:72], v[93:94]
	v_mul_f64 v[93:94], v[73:74], v[93:94]
	s_waitcnt vmcnt(56)
	v_fma_f64 v[85:86], v[67:68], v[87:88], -v[85:86]
	v_add_f64 v[79:80], v[79:80], v[83:84]
	v_fma_f64 v[83:84], v[69:70], v[87:88], v[143:144]
	v_add_f64 v[3:4], v[3:4], v[91:92]
	s_clause 0x2
	buffer_load_dword v134, off, s[0:3], 0 offset:380
	buffer_load_dword v88, off, s[0:3], 0 offset:356
	;; [unrolled: 1-line block ×3, first 2 shown]
	s_waitcnt vmcnt(58) lgkmcnt(0)
	v_mul_f64 v[91:92], v[63:64], v[95:96]
	v_mul_f64 v[95:96], v[65:66], v[95:96]
	s_waitcnt vmcnt(56)
	v_fma_f64 v[93:94], v[71:72], v[99:100], -v[93:94]
	ds_read_b128 v[67:70], v2 offset:608
	v_add_f64 v[79:80], v[79:80], v[85:86]
	v_fma_f64 v[85:86], v[73:74], v[99:100], v[149:150]
	v_add_f64 v[3:4], v[3:4], v[83:84]
	s_clause 0x4
	buffer_load_dword v84, off, s[0:3], 0 offset:396
	buffer_load_dword v99, off, s[0:3], 0 offset:408
	;; [unrolled: 1-line block ×5, first 2 shown]
	ds_read_b128 v[71:74], v2 offset:624
	s_waitcnt vmcnt(57) lgkmcnt(1)
	v_mul_f64 v[144:145], v[67:68], v[101:102]
	v_mul_f64 v[101:102], v[69:70], v[101:102]
	s_waitcnt vmcnt(56)
	v_fma_f64 v[95:96], v[63:64], v[97:98], -v[95:96]
	v_fma_f64 v[91:92], v[65:66], v[97:98], v[91:92]
	v_add_f64 v[79:80], v[79:80], v[93:94]
	v_add_f64 v[3:4], v[3:4], v[85:86]
	s_clause 0x2
	buffer_load_dword v100, off, s[0:3], 0 offset:412
	buffer_load_dword v86, off, s[0:3], 0 offset:388
	;; [unrolled: 1-line block ×3, first 2 shown]
	s_waitcnt vmcnt(58) lgkmcnt(0)
	v_mul_f64 v[97:98], v[73:74], v[103:104]
	ds_read_b128 v[63:66], v2 offset:640
	s_waitcnt vmcnt(56)
	v_fma_f64 v[101:102], v[67:68], v[107:108], -v[101:102]
	v_mul_f64 v[93:94], v[71:72], v[103:104]
	v_add_f64 v[79:80], v[79:80], v[95:96]
	v_fma_f64 v[95:96], v[69:70], v[107:108], v[144:145]
	v_add_f64 v[3:4], v[3:4], v[91:92]
	s_clause 0x4
	buffer_load_dword v92, off, s[0:3], 0 offset:428
	buffer_load_dword v103, off, s[0:3], 0 offset:440
	buffer_load_dword v107, off, s[0:3], 0 offset:432
	buffer_load_dword v91, off, s[0:3], 0 offset:424
	buffer_load_dword v144, off, s[0:3], 0 offset:404
	s_waitcnt vmcnt(57) lgkmcnt(0)
	v_mul_f64 v[150:151], v[63:64], v[109:110]
	v_mul_f64 v[108:109], v[65:66], v[109:110]
	s_waitcnt vmcnt(56)
	v_fma_f64 v[97:98], v[71:72], v[105:106], -v[97:98]
	ds_read_b128 v[67:70], v2 offset:656
	v_fma_f64 v[93:94], v[73:74], v[105:106], v[93:94]
	v_add_f64 v[79:80], v[79:80], v[101:102]
	v_add_f64 v[3:4], v[3:4], v[95:96]
	s_clause 0x2
	buffer_load_dword v104, off, s[0:3], 0 offset:444
	buffer_load_dword v96, off, s[0:3], 0 offset:420
	;; [unrolled: 1-line block ×3, first 2 shown]
	ds_read_b128 v[71:74], v2 offset:672
	s_waitcnt vmcnt(58) lgkmcnt(1)
	v_mul_f64 v[105:106], v[69:70], v[111:112]
	s_waitcnt vmcnt(56)
	v_fma_f64 v[109:110], v[63:64], v[115:116], -v[108:109]
	v_mul_f64 v[101:102], v[67:68], v[111:112]
	v_add_f64 v[79:80], v[79:80], v[97:98]
	v_fma_f64 v[97:98], v[65:66], v[115:116], v[150:151]
	v_add_f64 v[3:4], v[3:4], v[93:94]
	s_clause 0x4
	buffer_load_dword v94, off, s[0:3], 0 offset:460
	buffer_load_dword v111, off, s[0:3], 0 offset:472
	;; [unrolled: 1-line block ×5, first 2 shown]
	s_waitcnt vmcnt(57) lgkmcnt(0)
	v_mul_f64 v[150:151], v[71:72], v[117:118]
	v_mul_f64 v[116:117], v[73:74], v[117:118]
	s_waitcnt vmcnt(56)
	v_fma_f64 v[105:106], v[67:68], v[113:114], -v[105:106]
	ds_read_b128 v[63:66], v2 offset:688
	v_fma_f64 v[101:102], v[69:70], v[113:114], v[101:102]
	v_add_f64 v[79:80], v[79:80], v[109:110]
	v_add_f64 v[3:4], v[3:4], v[97:98]
	s_clause 0x2
	buffer_load_dword v112, off, s[0:3], 0 offset:476
	buffer_load_dword v98, off, s[0:3], 0 offset:452
	;; [unrolled: 1-line block ×3, first 2 shown]
	ds_read_b128 v[67:70], v2 offset:704
	s_waitcnt vmcnt(58) lgkmcnt(1)
	v_mul_f64 v[113:114], v[65:66], v[119:120]
	s_waitcnt vmcnt(56)
	v_fma_f64 v[117:118], v[71:72], v[123:124], -v[116:117]
	v_mul_f64 v[109:110], v[63:64], v[119:120]
	buffer_load_dword v116, off, s[0:3], 0 offset:468
	v_add_f64 v[79:80], v[79:80], v[105:106]
	v_fma_f64 v[105:106], v[73:74], v[123:124], v[150:151]
	v_add_f64 v[3:4], v[3:4], v[101:102]
	ds_read_b128 v[71:74], v2 offset:720
	s_waitcnt vmcnt(53) lgkmcnt(1)
	v_mul_f64 v[119:120], v[69:70], v[125:126]
	s_waitcnt vmcnt(52)
	v_fma_f64 v[113:114], v[63:64], v[121:122], -v[113:114]
	v_mul_f64 v[101:102], v[67:68], v[125:126]
	v_fma_f64 v[109:110], v[65:66], v[121:122], v[109:110]
	ds_read_b128 v[63:66], v2 offset:736
	v_add_f64 v[79:80], v[79:80], v[117:118]
	s_waitcnt vmcnt(51) lgkmcnt(1)
	v_mul_f64 v[117:118], v[73:74], v[127:128]
	v_add_f64 v[3:4], v[3:4], v[105:106]
	v_mul_f64 v[105:106], v[71:72], v[127:128]
	s_waitcnt vmcnt(49)
	v_fma_f64 v[119:120], v[67:68], v[131:132], -v[119:120]
	v_fma_f64 v[101:102], v[69:70], v[131:132], v[101:102]
	s_waitcnt vmcnt(45) lgkmcnt(0)
	v_mul_f64 v[123:124], v[65:66], v[135:136]
	v_mul_f64 v[121:122], v[63:64], v[135:136]
	v_add_f64 v[79:80], v[79:80], v[113:114]
	s_waitcnt vmcnt(44)
	v_fma_f64 v[117:118], v[71:72], v[129:130], -v[117:118]
	v_add_f64 v[3:4], v[3:4], v[109:110]
	s_clause 0x3
	buffer_load_dword v109, off, s[0:3], 0 offset:32
	buffer_load_dword v110, off, s[0:3], 0 offset:36
	;; [unrolled: 1-line block ×4, first 2 shown]
	ds_read_b128 v[67:70], v2 offset:752
	v_fma_f64 v[105:106], v[73:74], v[129:130], v[105:106]
	ds_read_b128 v[71:74], v2 offset:768
	v_add_f64 v[79:80], v[79:80], v[119:120]
	v_add_f64 v[3:4], v[3:4], v[101:102]
	s_waitcnt vmcnt(47) lgkmcnt(1)
	v_mul_f64 v[119:120], v[69:70], v[137:138]
	v_mul_f64 v[101:102], v[67:68], v[137:138]
	s_waitcnt vmcnt(45)
	v_fma_f64 v[123:124], v[63:64], v[77:78], -v[123:124]
	v_fma_f64 v[77:78], v[65:66], v[77:78], v[121:122]
	ds_read_b128 v[63:66], v2 offset:784
	v_add_f64 v[79:80], v[79:80], v[117:118]
	v_add_f64 v[3:4], v[3:4], v[105:106]
	s_waitcnt vmcnt(41) lgkmcnt(1)
	v_mul_f64 v[105:106], v[71:72], v[81:82]
	v_mul_f64 v[81:82], v[73:74], v[81:82]
	s_waitcnt vmcnt(40)
	v_fma_f64 v[117:118], v[67:68], v[139:140], -v[119:120]
	v_fma_f64 v[101:102], v[69:70], v[139:140], v[101:102]
	ds_read_b128 v[67:70], v2 offset:800
	v_add_f64 v[79:80], v[79:80], v[123:124]
	v_add_f64 v[3:4], v[3:4], v[77:78]
	s_waitcnt vmcnt(39) lgkmcnt(1)
	v_mul_f64 v[119:120], v[65:66], v[141:142]
	v_mul_f64 v[77:78], v[63:64], v[141:142]
	s_waitcnt vmcnt(37)
	v_fma_f64 v[81:82], v[71:72], v[75:76], -v[81:82]
	v_fma_f64 v[75:76], v[73:74], v[75:76], v[105:106]
	ds_read_b128 v[71:74], v2 offset:816
	v_add_f64 v[79:80], v[79:80], v[117:118]
	v_add_f64 v[3:4], v[3:4], v[101:102]
	s_waitcnt vmcnt(33) lgkmcnt(1)
	v_mul_f64 v[101:102], v[67:68], v[89:90]
	v_mul_f64 v[89:90], v[69:70], v[89:90]
	s_waitcnt vmcnt(32)
	v_fma_f64 v[105:106], v[63:64], v[146:147], -v[119:120]
	v_fma_f64 v[77:78], v[65:66], v[146:147], v[77:78]
	ds_read_b128 v[63:66], v2 offset:832
	v_add_f64 v[79:80], v[79:80], v[81:82]
	v_add_f64 v[3:4], v[3:4], v[75:76]
	s_waitcnt vmcnt(31) lgkmcnt(1)
	v_mul_f64 v[81:82], v[73:74], v[133:134]
	v_mul_f64 v[75:76], v[71:72], v[133:134]
	s_waitcnt vmcnt(29)
	v_fma_f64 v[89:90], v[67:68], v[87:88], -v[89:90]
	v_fma_f64 v[87:88], v[69:70], v[87:88], v[101:102]
	ds_read_b128 v[67:70], v2 offset:848
	v_add_f64 v[79:80], v[79:80], v[105:106]
	v_add_f64 v[3:4], v[3:4], v[77:78]
	s_waitcnt vmcnt(25) lgkmcnt(1)
	v_mul_f64 v[77:78], v[63:64], v[83:84]
	v_mul_f64 v[83:84], v[65:66], v[83:84]
	s_waitcnt vmcnt(24)
	v_fma_f64 v[81:82], v[71:72], v[148:149], -v[81:82]
	v_fma_f64 v[75:76], v[73:74], v[148:149], v[75:76]
	ds_read_b128 v[71:74], v2 offset:864
	v_add_f64 v[79:80], v[79:80], v[89:90]
	v_add_f64 v[3:4], v[3:4], v[87:88]
	s_waitcnt vmcnt(23) lgkmcnt(1)
	v_mul_f64 v[89:90], v[69:70], v[99:100]
	v_mul_f64 v[87:88], v[67:68], v[99:100]
	s_waitcnt vmcnt(21)
	v_fma_f64 v[83:84], v[63:64], v[85:86], -v[83:84]
	v_fma_f64 v[77:78], v[65:66], v[85:86], v[77:78]
	ds_read_b128 v[63:66], v2 offset:880
	v_add_f64 v[79:80], v[79:80], v[81:82]
	v_add_f64 v[3:4], v[3:4], v[75:76]
	s_waitcnt vmcnt(17) lgkmcnt(1)
	v_mul_f64 v[81:82], v[73:74], v[91:92]
	s_waitcnt vmcnt(16)
	v_fma_f64 v[85:86], v[67:68], v[143:144], -v[89:90]
	v_mul_f64 v[75:76], v[71:72], v[91:92]
	v_add_f64 v[79:80], v[79:80], v[83:84]
	v_fma_f64 v[83:84], v[69:70], v[143:144], v[87:88]
	v_add_f64 v[3:4], v[3:4], v[77:78]
	ds_read_b128 v[67:70], v2 offset:896
	s_waitcnt vmcnt(15) lgkmcnt(1)
	v_mul_f64 v[87:88], v[65:66], v[103:104]
	v_mul_f64 v[77:78], v[63:64], v[103:104]
	s_waitcnt vmcnt(13)
	v_fma_f64 v[81:82], v[71:72], v[95:96], -v[81:82]
	v_fma_f64 v[75:76], v[73:74], v[95:96], v[75:76]
	ds_read_b128 v[71:74], v2 offset:912
	v_add_f64 v[79:80], v[79:80], v[85:86]
	v_add_f64 v[3:4], v[3:4], v[83:84]
	s_waitcnt vmcnt(9) lgkmcnt(1)
	v_mul_f64 v[85:86], v[69:70], v[93:94]
	s_waitcnt vmcnt(8)
	v_fma_f64 v[63:64], v[63:64], v[107:108], -v[87:88]
	v_mul_f64 v[83:84], v[67:68], v[93:94]
	v_fma_f64 v[65:66], v[65:66], v[107:108], v[77:78]
	v_add_f64 v[79:80], v[79:80], v[81:82]
	v_add_f64 v[3:4], v[3:4], v[75:76]
	s_waitcnt vmcnt(7) lgkmcnt(0)
	v_mul_f64 v[77:78], v[73:74], v[111:112]
	v_mul_f64 v[75:76], v[71:72], v[111:112]
	s_waitcnt vmcnt(5)
	v_fma_f64 v[67:68], v[67:68], v[97:98], -v[85:86]
	v_fma_f64 v[69:70], v[69:70], v[97:98], v[83:84]
	v_add_f64 v[63:64], v[79:80], v[63:64]
	v_add_f64 v[3:4], v[3:4], v[65:66]
	s_waitcnt vmcnt(4)
	v_fma_f64 v[65:66], v[71:72], v[115:116], -v[77:78]
	v_add_f64 v[63:64], v[63:64], v[67:68]
	v_fma_f64 v[67:68], v[73:74], v[115:116], v[75:76]
	v_add_f64 v[3:4], v[3:4], v[69:70]
	v_add_f64 v[63:64], v[63:64], v[65:66]
	;; [unrolled: 1-line block ×3, first 2 shown]
	s_waitcnt vmcnt(2)
	v_add_f64 v[63:64], v[109:110], -v[63:64]
	s_waitcnt vmcnt(0)
	v_add_f64 v[3:4], v[113:114], -v[3:4]
	buffer_store_dword v64, off, s[0:3], 0 offset:36
	buffer_store_dword v63, off, s[0:3], 0 offset:32
	;; [unrolled: 1-line block ×4, first 2 shown]
	v_cmpx_ne_u32_e32 0, v0
	s_cbranch_execz .LBB92_187
; %bb.186:
	s_clause 0x3
	buffer_load_dword v63, off, s[0:3], 0 offset:16
	buffer_load_dword v64, off, s[0:3], 0 offset:20
	buffer_load_dword v65, off, s[0:3], 0 offset:24
	buffer_load_dword v66, off, s[0:3], 0 offset:28
	buffer_store_dword v2, off, s[0:3], 0 offset:16
	buffer_store_dword v2, off, s[0:3], 0 offset:20
	;; [unrolled: 1-line block ×4, first 2 shown]
	s_waitcnt vmcnt(0)
	ds_write_b128 v1, v[63:66]
.LBB92_187:
	s_or_b32 exec_lo, exec_lo, s4
	s_waitcnt lgkmcnt(0)
	s_waitcnt_vscnt null, 0x0
	s_barrier
	buffer_gl0_inv
	s_clause 0x37
	buffer_load_dword v0, off, s[0:3], 0 offset:40
	buffer_load_dword v1, off, s[0:3], 0 offset:44
	;; [unrolled: 1-line block ×56, first 2 shown]
	ds_read_b128 v[63:66], v2 offset:480
	s_clause 0x2
	buffer_load_dword v126, off, s[0:3], 0 offset:268
	buffer_load_dword v130, off, s[0:3], 0 offset:244
	;; [unrolled: 1-line block ×3, first 2 shown]
	ds_read_b128 v[67:70], v2 offset:496
	s_clause 0x4
	buffer_load_dword v134, off, s[0:3], 0 offset:284
	buffer_load_dword v135, off, s[0:3], 0 offset:296
	;; [unrolled: 1-line block ×5, first 2 shown]
	ds_read_b128 v[71:74], v2 offset:512
	s_and_b32 vcc_lo, exec_lo, s41
	s_waitcnt vmcnt(62) lgkmcnt(2)
	v_mul_f64 v[131:132], v[65:66], v[0:1]
	v_mul_f64 v[0:1], v[63:64], v[0:1]
	s_waitcnt vmcnt(60) lgkmcnt(1)
	v_mul_f64 v[138:139], v[69:70], v[3:4]
	v_mul_f64 v[3:4], v[67:68], v[3:4]
	;; [unrolled: 3-line block ×3, first 2 shown]
	v_fma_f64 v[131:132], v[63:64], v[75:76], -v[131:132]
	v_fma_f64 v[0:1], v[65:66], v[75:76], v[0:1]
	s_clause 0x2
	buffer_load_dword v136, off, s[0:3], 0 offset:300
	buffer_load_dword v76, off, s[0:3], 0 offset:276
	;; [unrolled: 1-line block ×3, first 2 shown]
	s_waitcnt vmcnt(57)
	v_fma_f64 v[142:143], v[67:68], v[79:80], -v[138:139]
	ds_read_b128 v[63:66], v2 offset:528
	v_fma_f64 v[3:4], v[69:70], v[79:80], v[3:4]
	s_clause 0x4
	buffer_load_dword v80, off, s[0:3], 0 offset:316
	buffer_load_dword v139, off, s[0:3], 0 offset:328
	;; [unrolled: 1-line block ×5, first 2 shown]
	s_waitcnt vmcnt(56)
	v_fma_f64 v[77:78], v[71:72], v[87:88], -v[77:78]
	ds_read_b128 v[67:70], v2 offset:544
	v_fma_f64 v[87:88], v[73:74], v[87:88], v[140:141]
	v_add_f64 v[131:132], v[131:132], 0
	v_add_f64 v[0:1], v[0:1], 0
	s_waitcnt lgkmcnt(1)
	v_mul_f64 v[145:146], v[63:64], v[81:82]
	v_mul_f64 v[81:82], v[65:66], v[81:82]
	v_add_f64 v[131:132], v[131:132], v[142:143]
	v_add_f64 v[0:1], v[0:1], v[3:4]
	s_clause 0x2
	buffer_load_dword v140, off, s[0:3], 0 offset:332
	buffer_load_dword v4, off, s[0:3], 0 offset:308
	buffer_load_dword v3, off, s[0:3], 0 offset:304
	s_waitcnt vmcnt(58) lgkmcnt(0)
	v_mul_f64 v[141:142], v[67:68], v[83:84]
	v_mul_f64 v[83:84], v[69:70], v[83:84]
	s_waitcnt vmcnt(56)
	v_fma_f64 v[81:82], v[63:64], v[89:90], -v[81:82]
	ds_read_b128 v[71:74], v2 offset:560
	v_fma_f64 v[89:90], v[65:66], v[89:90], v[145:146]
	v_add_f64 v[77:78], v[131:132], v[77:78]
	v_add_f64 v[0:1], v[0:1], v[87:88]
	s_clause 0x4
	buffer_load_dword v88, off, s[0:3], 0 offset:348
	buffer_load_dword v131, off, s[0:3], 0 offset:360
	buffer_load_dword v146, off, s[0:3], 0 offset:352
	buffer_load_dword v87, off, s[0:3], 0 offset:344
	buffer_load_dword v145, off, s[0:3], 0 offset:324
	ds_read_b128 v[63:66], v2 offset:576
	s_waitcnt vmcnt(57) lgkmcnt(1)
	v_mul_f64 v[147:148], v[71:72], v[91:92]
	v_mul_f64 v[91:92], v[73:74], v[91:92]
	s_waitcnt vmcnt(56)
	v_fma_f64 v[83:84], v[67:68], v[85:86], -v[83:84]
	v_add_f64 v[77:78], v[77:78], v[81:82]
	v_fma_f64 v[81:82], v[69:70], v[85:86], v[141:142]
	v_add_f64 v[0:1], v[0:1], v[89:90]
	s_clause 0x2
	buffer_load_dword v132, off, s[0:3], 0 offset:364
	buffer_load_dword v86, off, s[0:3], 0 offset:340
	;; [unrolled: 1-line block ×3, first 2 shown]
	s_waitcnt vmcnt(58) lgkmcnt(0)
	v_mul_f64 v[89:90], v[63:64], v[93:94]
	v_mul_f64 v[93:94], v[65:66], v[93:94]
	s_waitcnt vmcnt(56)
	v_fma_f64 v[91:92], v[71:72], v[97:98], -v[91:92]
	ds_read_b128 v[67:70], v2 offset:592
	v_add_f64 v[77:78], v[77:78], v[83:84]
	v_fma_f64 v[83:84], v[73:74], v[97:98], v[147:148]
	v_add_f64 v[0:1], v[0:1], v[81:82]
	s_clause 0x4
	buffer_load_dword v82, off, s[0:3], 0 offset:380
	buffer_load_dword v97, off, s[0:3], 0 offset:392
	;; [unrolled: 1-line block ×5, first 2 shown]
	ds_read_b128 v[71:74], v2 offset:608
	s_waitcnt vmcnt(57) lgkmcnt(1)
	v_mul_f64 v[142:143], v[67:68], v[99:100]
	v_mul_f64 v[99:100], v[69:70], v[99:100]
	s_waitcnt vmcnt(56)
	v_fma_f64 v[93:94], v[63:64], v[95:96], -v[93:94]
	v_fma_f64 v[89:90], v[65:66], v[95:96], v[89:90]
	v_add_f64 v[77:78], v[77:78], v[91:92]
	v_add_f64 v[0:1], v[0:1], v[83:84]
	s_clause 0x2
	buffer_load_dword v98, off, s[0:3], 0 offset:396
	buffer_load_dword v84, off, s[0:3], 0 offset:372
	;; [unrolled: 1-line block ×3, first 2 shown]
	s_waitcnt vmcnt(58) lgkmcnt(0)
	v_mul_f64 v[95:96], v[73:74], v[101:102]
	ds_read_b128 v[63:66], v2 offset:624
	s_waitcnt vmcnt(56)
	v_fma_f64 v[99:100], v[67:68], v[105:106], -v[99:100]
	v_mul_f64 v[91:92], v[71:72], v[101:102]
	v_add_f64 v[77:78], v[77:78], v[93:94]
	v_fma_f64 v[93:94], v[69:70], v[105:106], v[142:143]
	v_add_f64 v[0:1], v[0:1], v[89:90]
	s_clause 0x4
	buffer_load_dword v90, off, s[0:3], 0 offset:412
	buffer_load_dword v101, off, s[0:3], 0 offset:424
	;; [unrolled: 1-line block ×5, first 2 shown]
	s_waitcnt vmcnt(57) lgkmcnt(0)
	v_mul_f64 v[148:149], v[63:64], v[107:108]
	v_mul_f64 v[106:107], v[65:66], v[107:108]
	s_waitcnt vmcnt(56)
	v_fma_f64 v[95:96], v[71:72], v[103:104], -v[95:96]
	ds_read_b128 v[67:70], v2 offset:640
	v_fma_f64 v[91:92], v[73:74], v[103:104], v[91:92]
	v_add_f64 v[77:78], v[77:78], v[99:100]
	v_add_f64 v[0:1], v[0:1], v[93:94]
	s_clause 0x2
	buffer_load_dword v102, off, s[0:3], 0 offset:428
	buffer_load_dword v94, off, s[0:3], 0 offset:404
	;; [unrolled: 1-line block ×3, first 2 shown]
	ds_read_b128 v[71:74], v2 offset:656
	s_waitcnt vmcnt(58) lgkmcnt(1)
	v_mul_f64 v[103:104], v[69:70], v[109:110]
	s_waitcnt vmcnt(56)
	v_fma_f64 v[107:108], v[63:64], v[113:114], -v[106:107]
	v_mul_f64 v[99:100], v[67:68], v[109:110]
	v_add_f64 v[77:78], v[77:78], v[95:96]
	v_fma_f64 v[95:96], v[65:66], v[113:114], v[148:149]
	v_add_f64 v[0:1], v[0:1], v[91:92]
	s_clause 0x4
	buffer_load_dword v92, off, s[0:3], 0 offset:444
	buffer_load_dword v109, off, s[0:3], 0 offset:456
	;; [unrolled: 1-line block ×5, first 2 shown]
	s_waitcnt vmcnt(57) lgkmcnt(0)
	v_mul_f64 v[148:149], v[71:72], v[115:116]
	v_mul_f64 v[114:115], v[73:74], v[115:116]
	s_waitcnt vmcnt(56)
	v_fma_f64 v[103:104], v[67:68], v[111:112], -v[103:104]
	ds_read_b128 v[63:66], v2 offset:672
	v_fma_f64 v[99:100], v[69:70], v[111:112], v[99:100]
	v_add_f64 v[77:78], v[77:78], v[107:108]
	v_add_f64 v[0:1], v[0:1], v[95:96]
	s_clause 0x2
	buffer_load_dword v110, off, s[0:3], 0 offset:460
	buffer_load_dword v96, off, s[0:3], 0 offset:436
	;; [unrolled: 1-line block ×3, first 2 shown]
	ds_read_b128 v[67:70], v2 offset:688
	s_waitcnt vmcnt(58) lgkmcnt(1)
	v_mul_f64 v[111:112], v[65:66], v[117:118]
	s_waitcnt vmcnt(56)
	v_fma_f64 v[115:116], v[71:72], v[121:122], -v[114:115]
	v_mul_f64 v[107:108], v[63:64], v[117:118]
	v_add_f64 v[77:78], v[77:78], v[103:104]
	v_fma_f64 v[103:104], v[73:74], v[121:122], v[148:149]
	v_add_f64 v[0:1], v[0:1], v[99:100]
	s_clause 0x2
	buffer_load_dword v100, off, s[0:3], 0 offset:476
	buffer_load_dword v99, off, s[0:3], 0 offset:472
	;; [unrolled: 1-line block ×3, first 2 shown]
	s_waitcnt vmcnt(55) lgkmcnt(0)
	v_mul_f64 v[121:122], v[69:70], v[123:124]
	s_waitcnt vmcnt(54)
	v_fma_f64 v[111:112], v[63:64], v[119:120], -v[111:112]
	ds_read_b128 v[71:74], v2 offset:704
	v_mul_f64 v[117:118], v[67:68], v[123:124]
	v_fma_f64 v[107:108], v[65:66], v[119:120], v[107:108]
	v_add_f64 v[77:78], v[77:78], v[115:116]
	v_add_f64 v[0:1], v[0:1], v[103:104]
	s_clause 0x1
	buffer_load_dword v104, off, s[0:3], 0 offset:468
	buffer_load_dword v103, off, s[0:3], 0 offset:464
	s_waitcnt vmcnt(55) lgkmcnt(0)
	v_mul_f64 v[119:120], v[73:74], v[125:126]
	s_waitcnt vmcnt(53)
	v_fma_f64 v[121:122], v[67:68], v[129:130], -v[121:122]
	ds_read_b128 v[63:66], v2 offset:720
	v_mul_f64 v[115:116], v[71:72], v[125:126]
	v_add_f64 v[77:78], v[77:78], v[111:112]
	v_fma_f64 v[111:112], v[69:70], v[129:130], v[117:118]
	v_add_f64 v[0:1], v[0:1], v[107:108]
	ds_read_b128 v[67:70], v2 offset:736
	s_waitcnt vmcnt(49) lgkmcnt(1)
	v_mul_f64 v[117:118], v[65:66], v[133:134]
	s_waitcnt vmcnt(48)
	v_fma_f64 v[119:120], v[71:72], v[127:128], -v[119:120]
	v_mul_f64 v[107:108], v[63:64], v[133:134]
	v_fma_f64 v[115:116], v[73:74], v[127:128], v[115:116]
	v_add_f64 v[77:78], v[77:78], v[121:122]
	v_add_f64 v[0:1], v[0:1], v[111:112]
	s_clause 0x3
	buffer_load_dword v111, off, s[0:3], 0 offset:16
	buffer_load_dword v112, off, s[0:3], 0 offset:20
	;; [unrolled: 1-line block ×4, first 2 shown]
	ds_read_b128 v[71:74], v2 offset:752
	s_waitcnt vmcnt(51) lgkmcnt(1)
	v_mul_f64 v[125:126], v[69:70], v[135:136]
	v_mul_f64 v[123:124], v[67:68], v[135:136]
	s_waitcnt vmcnt(49)
	v_fma_f64 v[117:118], v[63:64], v[75:76], -v[117:118]
	v_fma_f64 v[75:76], v[65:66], v[75:76], v[107:108]
	ds_read_b128 v[63:66], v2 offset:768
	v_add_f64 v[77:78], v[77:78], v[119:120]
	v_add_f64 v[0:1], v[0:1], v[115:116]
	s_waitcnt vmcnt(45) lgkmcnt(1)
	v_mul_f64 v[107:108], v[71:72], v[79:80]
	v_mul_f64 v[79:80], v[73:74], v[79:80]
	s_waitcnt vmcnt(44)
	v_fma_f64 v[115:116], v[67:68], v[137:138], -v[125:126]
	v_add_f64 v[77:78], v[77:78], v[117:118]
	v_fma_f64 v[117:118], v[69:70], v[137:138], v[123:124]
	v_add_f64 v[0:1], v[0:1], v[75:76]
	ds_read_b128 v[67:70], v2 offset:784
	s_waitcnt vmcnt(43) lgkmcnt(1)
	v_mul_f64 v[119:120], v[65:66], v[139:140]
	v_mul_f64 v[75:76], v[63:64], v[139:140]
	s_waitcnt vmcnt(41)
	v_fma_f64 v[79:80], v[71:72], v[3:4], -v[79:80]
	v_fma_f64 v[3:4], v[73:74], v[3:4], v[107:108]
	ds_read_b128 v[71:74], v2 offset:800
	v_add_f64 v[77:78], v[77:78], v[115:116]
	v_add_f64 v[0:1], v[0:1], v[117:118]
	s_waitcnt vmcnt(37) lgkmcnt(1)
	v_mul_f64 v[107:108], v[67:68], v[87:88]
	v_mul_f64 v[87:88], v[69:70], v[87:88]
	s_waitcnt vmcnt(36)
	v_fma_f64 v[115:116], v[63:64], v[144:145], -v[119:120]
	v_fma_f64 v[75:76], v[65:66], v[144:145], v[75:76]
	ds_read_b128 v[63:66], v2 offset:816
	v_add_f64 v[77:78], v[77:78], v[79:80]
	v_add_f64 v[0:1], v[0:1], v[3:4]
	;; [unrolled: 9-line block ×5, first 2 shown]
	s_waitcnt vmcnt(21) lgkmcnt(1)
	v_mul_f64 v[79:80], v[73:74], v[89:90]
	s_waitcnt vmcnt(20)
	v_fma_f64 v[83:84], v[67:68], v[141:142], -v[87:88]
	v_mul_f64 v[3:4], v[71:72], v[89:90]
	v_add_f64 v[77:78], v[77:78], v[81:82]
	v_fma_f64 v[81:82], v[69:70], v[141:142], v[85:86]
	v_add_f64 v[0:1], v[0:1], v[75:76]
	ds_read_b128 v[67:70], v2 offset:880
	s_waitcnt vmcnt(19) lgkmcnt(1)
	v_mul_f64 v[85:86], v[65:66], v[101:102]
	v_mul_f64 v[75:76], v[63:64], v[101:102]
	s_waitcnt vmcnt(17)
	v_fma_f64 v[79:80], v[71:72], v[93:94], -v[79:80]
	v_fma_f64 v[3:4], v[73:74], v[93:94], v[3:4]
	ds_read_b128 v[71:74], v2 offset:896
	v_add_f64 v[77:78], v[77:78], v[83:84]
	v_add_f64 v[0:1], v[0:1], v[81:82]
	s_waitcnt vmcnt(13) lgkmcnt(1)
	v_mul_f64 v[83:84], v[69:70], v[91:92]
	s_waitcnt vmcnt(12)
	v_fma_f64 v[63:64], v[63:64], v[105:106], -v[85:86]
	v_mul_f64 v[81:82], v[67:68], v[91:92]
	v_fma_f64 v[65:66], v[65:66], v[105:106], v[75:76]
	v_add_f64 v[77:78], v[77:78], v[79:80]
	v_add_f64 v[75:76], v[0:1], v[3:4]
	ds_read_b128 v[0:3], v2 offset:912
	s_waitcnt vmcnt(11) lgkmcnt(1)
	v_mul_f64 v[85:86], v[73:74], v[109:110]
	v_mul_f64 v[79:80], v[71:72], v[109:110]
	s_waitcnt vmcnt(9)
	v_fma_f64 v[67:68], v[67:68], v[95:96], -v[83:84]
	v_fma_f64 v[69:70], v[69:70], v[95:96], v[81:82]
	v_add_f64 v[63:64], v[77:78], v[63:64]
	v_add_f64 v[65:66], v[75:76], v[65:66]
	s_waitcnt vmcnt(7) lgkmcnt(0)
	v_mul_f64 v[77:78], v[2:3], v[99:100]
	s_waitcnt vmcnt(6)
	v_fma_f64 v[71:72], v[71:72], v[113:114], -v[85:86]
	v_mul_f64 v[75:76], v[0:1], v[99:100]
	v_add_f64 v[63:64], v[63:64], v[67:68]
	v_fma_f64 v[67:68], v[73:74], v[113:114], v[79:80]
	v_add_f64 v[65:66], v[65:66], v[69:70]
	s_waitcnt vmcnt(4)
	v_fma_f64 v[0:1], v[0:1], v[103:104], -v[77:78]
	v_fma_f64 v[2:3], v[2:3], v[103:104], v[75:76]
	v_add_f64 v[63:64], v[63:64], v[71:72]
	v_add_f64 v[65:66], v[65:66], v[67:68]
	;; [unrolled: 1-line block ×4, first 2 shown]
	s_waitcnt vmcnt(2)
	v_add_f64 v[0:1], v[111:112], -v[0:1]
	s_waitcnt vmcnt(0)
	v_add_f64 v[2:3], v[121:122], -v[2:3]
	buffer_store_dword v1, off, s[0:3], 0 offset:20
	buffer_store_dword v0, off, s[0:3], 0 offset:16
	;; [unrolled: 1-line block ×4, first 2 shown]
	s_cbranch_vccz .LBB92_244
; %bb.188:
	v_mov_b32_e32 v0, 0
	global_load_dword v1, v0, s[12:13] offset:108
	s_waitcnt vmcnt(0)
	v_add_nc_u32_e32 v1, -1, v1
	v_cmp_ne_u32_e32 vcc_lo, 27, v1
	s_cbranch_vccz .LBB92_190
; %bb.189:
	v_lshlrev_b32_e32 v1, 4, v1
	v_mov_b32_e32 v2, s9
	v_add_nc_u32_e32 v1, 16, v1
	s_clause 0x7
	buffer_load_dword v3, v1, s[0:3], 0 offen
	buffer_load_dword v4, v1, s[0:3], 0 offen offset:4
	buffer_load_dword v63, v1, s[0:3], 0 offen offset:8
	;; [unrolled: 1-line block ×6, first 2 shown]
	buffer_load_dword v68, v2, s[0:3], 0 offen
	s_waitcnt vmcnt(7)
	buffer_store_dword v3, v2, s[0:3], 0 offen
	s_waitcnt vmcnt(6)
	buffer_store_dword v4, v2, s[0:3], 0 offen offset:4
	s_waitcnt vmcnt(5)
	buffer_store_dword v63, v2, s[0:3], 0 offen offset:8
	;; [unrolled: 2-line block ×6, first 2 shown]
	s_waitcnt vmcnt(0)
	buffer_store_dword v68, v1, s[0:3], 0 offen
.LBB92_190:
	global_load_dword v0, v0, s[12:13] offset:104
	s_waitcnt vmcnt(0)
	v_add_nc_u32_e32 v0, -1, v0
	v_cmp_eq_u32_e32 vcc_lo, 26, v0
	s_cbranch_vccnz .LBB92_192
; %bb.191:
	v_lshlrev_b32_e32 v0, 4, v0
	v_mov_b32_e32 v1, s14
	v_add_nc_u32_e32 v0, 16, v0
	s_clause 0x7
	buffer_load_dword v2, v0, s[0:3], 0 offen
	buffer_load_dword v3, v0, s[0:3], 0 offen offset:4
	buffer_load_dword v4, v0, s[0:3], 0 offen offset:8
	;; [unrolled: 1-line block ×6, first 2 shown]
	buffer_load_dword v67, v1, s[0:3], 0 offen
	s_waitcnt vmcnt(7)
	buffer_store_dword v2, v1, s[0:3], 0 offen
	s_waitcnt vmcnt(6)
	buffer_store_dword v3, v1, s[0:3], 0 offen offset:4
	s_waitcnt vmcnt(5)
	buffer_store_dword v4, v1, s[0:3], 0 offen offset:8
	;; [unrolled: 2-line block ×6, first 2 shown]
	s_waitcnt vmcnt(0)
	buffer_store_dword v67, v0, s[0:3], 0 offen
.LBB92_192:
	v_mov_b32_e32 v0, 0
	global_load_dword v1, v0, s[12:13] offset:100
	s_waitcnt vmcnt(0)
	v_add_nc_u32_e32 v1, -1, v1
	v_cmp_eq_u32_e32 vcc_lo, 25, v1
	s_cbranch_vccnz .LBB92_194
; %bb.193:
	v_lshlrev_b32_e32 v1, 4, v1
	v_mov_b32_e32 v2, s15
	v_add_nc_u32_e32 v1, 16, v1
	s_clause 0x7
	buffer_load_dword v3, v1, s[0:3], 0 offen
	buffer_load_dword v4, v1, s[0:3], 0 offen offset:4
	buffer_load_dword v63, v1, s[0:3], 0 offen offset:8
	;; [unrolled: 1-line block ×6, first 2 shown]
	buffer_load_dword v68, v2, s[0:3], 0 offen
	s_waitcnt vmcnt(7)
	buffer_store_dword v3, v2, s[0:3], 0 offen
	s_waitcnt vmcnt(6)
	buffer_store_dword v4, v2, s[0:3], 0 offen offset:4
	s_waitcnt vmcnt(5)
	buffer_store_dword v63, v2, s[0:3], 0 offen offset:8
	;; [unrolled: 2-line block ×6, first 2 shown]
	s_waitcnt vmcnt(0)
	buffer_store_dword v68, v1, s[0:3], 0 offen
.LBB92_194:
	global_load_dword v0, v0, s[12:13] offset:96
	s_waitcnt vmcnt(0)
	v_add_nc_u32_e32 v0, -1, v0
	v_cmp_eq_u32_e32 vcc_lo, 24, v0
	s_cbranch_vccnz .LBB92_196
; %bb.195:
	v_lshlrev_b32_e32 v0, 4, v0
	v_mov_b32_e32 v1, s16
	v_add_nc_u32_e32 v0, 16, v0
	s_clause 0x7
	buffer_load_dword v2, v0, s[0:3], 0 offen
	buffer_load_dword v3, v0, s[0:3], 0 offen offset:4
	buffer_load_dword v4, v0, s[0:3], 0 offen offset:8
	;; [unrolled: 1-line block ×6, first 2 shown]
	buffer_load_dword v67, v1, s[0:3], 0 offen
	s_waitcnt vmcnt(7)
	buffer_store_dword v2, v1, s[0:3], 0 offen
	s_waitcnt vmcnt(6)
	buffer_store_dword v3, v1, s[0:3], 0 offen offset:4
	s_waitcnt vmcnt(5)
	buffer_store_dword v4, v1, s[0:3], 0 offen offset:8
	s_waitcnt vmcnt(4)
	buffer_store_dword v63, v1, s[0:3], 0 offen offset:12
	s_waitcnt vmcnt(3)
	buffer_store_dword v64, v0, s[0:3], 0 offen offset:12
	s_waitcnt vmcnt(2)
	buffer_store_dword v65, v0, s[0:3], 0 offen offset:8
	s_waitcnt vmcnt(1)
	buffer_store_dword v66, v0, s[0:3], 0 offen offset:4
	s_waitcnt vmcnt(0)
	buffer_store_dword v67, v0, s[0:3], 0 offen
.LBB92_196:
	v_mov_b32_e32 v0, 0
	global_load_dword v1, v0, s[12:13] offset:92
	s_waitcnt vmcnt(0)
	v_add_nc_u32_e32 v1, -1, v1
	v_cmp_eq_u32_e32 vcc_lo, 23, v1
	s_cbranch_vccnz .LBB92_198
; %bb.197:
	v_lshlrev_b32_e32 v1, 4, v1
	v_mov_b32_e32 v2, s17
	v_add_nc_u32_e32 v1, 16, v1
	s_clause 0x7
	buffer_load_dword v3, v1, s[0:3], 0 offen
	buffer_load_dword v4, v1, s[0:3], 0 offen offset:4
	buffer_load_dword v63, v1, s[0:3], 0 offen offset:8
	;; [unrolled: 1-line block ×6, first 2 shown]
	buffer_load_dword v68, v2, s[0:3], 0 offen
	s_waitcnt vmcnt(7)
	buffer_store_dword v3, v2, s[0:3], 0 offen
	s_waitcnt vmcnt(6)
	buffer_store_dword v4, v2, s[0:3], 0 offen offset:4
	s_waitcnt vmcnt(5)
	buffer_store_dword v63, v2, s[0:3], 0 offen offset:8
	;; [unrolled: 2-line block ×6, first 2 shown]
	s_waitcnt vmcnt(0)
	buffer_store_dword v68, v1, s[0:3], 0 offen
.LBB92_198:
	global_load_dword v0, v0, s[12:13] offset:88
	s_waitcnt vmcnt(0)
	v_add_nc_u32_e32 v0, -1, v0
	v_cmp_eq_u32_e32 vcc_lo, 22, v0
	s_cbranch_vccnz .LBB92_200
; %bb.199:
	v_lshlrev_b32_e32 v0, 4, v0
	v_mov_b32_e32 v1, s18
	v_add_nc_u32_e32 v0, 16, v0
	s_clause 0x7
	buffer_load_dword v2, v0, s[0:3], 0 offen
	buffer_load_dword v3, v0, s[0:3], 0 offen offset:4
	buffer_load_dword v4, v0, s[0:3], 0 offen offset:8
	;; [unrolled: 1-line block ×6, first 2 shown]
	buffer_load_dword v67, v1, s[0:3], 0 offen
	s_waitcnt vmcnt(7)
	buffer_store_dword v2, v1, s[0:3], 0 offen
	s_waitcnt vmcnt(6)
	buffer_store_dword v3, v1, s[0:3], 0 offen offset:4
	s_waitcnt vmcnt(5)
	buffer_store_dword v4, v1, s[0:3], 0 offen offset:8
	s_waitcnt vmcnt(4)
	buffer_store_dword v63, v1, s[0:3], 0 offen offset:12
	s_waitcnt vmcnt(3)
	buffer_store_dword v64, v0, s[0:3], 0 offen offset:12
	s_waitcnt vmcnt(2)
	buffer_store_dword v65, v0, s[0:3], 0 offen offset:8
	s_waitcnt vmcnt(1)
	buffer_store_dword v66, v0, s[0:3], 0 offen offset:4
	s_waitcnt vmcnt(0)
	buffer_store_dword v67, v0, s[0:3], 0 offen
.LBB92_200:
	v_mov_b32_e32 v0, 0
	global_load_dword v1, v0, s[12:13] offset:84
	s_waitcnt vmcnt(0)
	v_add_nc_u32_e32 v1, -1, v1
	v_cmp_eq_u32_e32 vcc_lo, 21, v1
	s_cbranch_vccnz .LBB92_202
; %bb.201:
	v_lshlrev_b32_e32 v1, 4, v1
	v_mov_b32_e32 v2, s19
	v_add_nc_u32_e32 v1, 16, v1
	s_clause 0x7
	buffer_load_dword v3, v1, s[0:3], 0 offen
	buffer_load_dword v4, v1, s[0:3], 0 offen offset:4
	buffer_load_dword v63, v1, s[0:3], 0 offen offset:8
	;; [unrolled: 1-line block ×6, first 2 shown]
	buffer_load_dword v68, v2, s[0:3], 0 offen
	s_waitcnt vmcnt(7)
	buffer_store_dword v3, v2, s[0:3], 0 offen
	s_waitcnt vmcnt(6)
	buffer_store_dword v4, v2, s[0:3], 0 offen offset:4
	s_waitcnt vmcnt(5)
	buffer_store_dword v63, v2, s[0:3], 0 offen offset:8
	;; [unrolled: 2-line block ×6, first 2 shown]
	s_waitcnt vmcnt(0)
	buffer_store_dword v68, v1, s[0:3], 0 offen
.LBB92_202:
	global_load_dword v0, v0, s[12:13] offset:80
	s_waitcnt vmcnt(0)
	v_add_nc_u32_e32 v0, -1, v0
	v_cmp_eq_u32_e32 vcc_lo, 20, v0
	s_cbranch_vccnz .LBB92_204
; %bb.203:
	v_lshlrev_b32_e32 v0, 4, v0
	v_mov_b32_e32 v1, s20
	v_add_nc_u32_e32 v0, 16, v0
	s_clause 0x7
	buffer_load_dword v2, v0, s[0:3], 0 offen
	buffer_load_dword v3, v0, s[0:3], 0 offen offset:4
	buffer_load_dword v4, v0, s[0:3], 0 offen offset:8
	;; [unrolled: 1-line block ×6, first 2 shown]
	buffer_load_dword v67, v1, s[0:3], 0 offen
	s_waitcnt vmcnt(7)
	buffer_store_dword v2, v1, s[0:3], 0 offen
	s_waitcnt vmcnt(6)
	buffer_store_dword v3, v1, s[0:3], 0 offen offset:4
	s_waitcnt vmcnt(5)
	buffer_store_dword v4, v1, s[0:3], 0 offen offset:8
	;; [unrolled: 2-line block ×6, first 2 shown]
	s_waitcnt vmcnt(0)
	buffer_store_dword v67, v0, s[0:3], 0 offen
.LBB92_204:
	v_mov_b32_e32 v0, 0
	global_load_dword v1, v0, s[12:13] offset:76
	s_waitcnt vmcnt(0)
	v_add_nc_u32_e32 v1, -1, v1
	v_cmp_eq_u32_e32 vcc_lo, 19, v1
	s_cbranch_vccnz .LBB92_206
; %bb.205:
	v_lshlrev_b32_e32 v1, 4, v1
	v_mov_b32_e32 v2, s21
	v_add_nc_u32_e32 v1, 16, v1
	s_clause 0x7
	buffer_load_dword v3, v1, s[0:3], 0 offen
	buffer_load_dword v4, v1, s[0:3], 0 offen offset:4
	buffer_load_dword v63, v1, s[0:3], 0 offen offset:8
	;; [unrolled: 1-line block ×6, first 2 shown]
	buffer_load_dword v68, v2, s[0:3], 0 offen
	s_waitcnt vmcnt(7)
	buffer_store_dword v3, v2, s[0:3], 0 offen
	s_waitcnt vmcnt(6)
	buffer_store_dword v4, v2, s[0:3], 0 offen offset:4
	s_waitcnt vmcnt(5)
	buffer_store_dword v63, v2, s[0:3], 0 offen offset:8
	;; [unrolled: 2-line block ×6, first 2 shown]
	s_waitcnt vmcnt(0)
	buffer_store_dword v68, v1, s[0:3], 0 offen
.LBB92_206:
	global_load_dword v0, v0, s[12:13] offset:72
	s_waitcnt vmcnt(0)
	v_add_nc_u32_e32 v0, -1, v0
	v_cmp_eq_u32_e32 vcc_lo, 18, v0
	s_cbranch_vccnz .LBB92_208
; %bb.207:
	v_lshlrev_b32_e32 v0, 4, v0
	v_mov_b32_e32 v1, s22
	v_add_nc_u32_e32 v0, 16, v0
	s_clause 0x7
	buffer_load_dword v2, v0, s[0:3], 0 offen
	buffer_load_dword v3, v0, s[0:3], 0 offen offset:4
	buffer_load_dword v4, v0, s[0:3], 0 offen offset:8
	;; [unrolled: 1-line block ×6, first 2 shown]
	buffer_load_dword v67, v1, s[0:3], 0 offen
	s_waitcnt vmcnt(7)
	buffer_store_dword v2, v1, s[0:3], 0 offen
	s_waitcnt vmcnt(6)
	buffer_store_dword v3, v1, s[0:3], 0 offen offset:4
	s_waitcnt vmcnt(5)
	buffer_store_dword v4, v1, s[0:3], 0 offen offset:8
	;; [unrolled: 2-line block ×6, first 2 shown]
	s_waitcnt vmcnt(0)
	buffer_store_dword v67, v0, s[0:3], 0 offen
.LBB92_208:
	v_mov_b32_e32 v0, 0
	global_load_dword v1, v0, s[12:13] offset:68
	s_waitcnt vmcnt(0)
	v_add_nc_u32_e32 v1, -1, v1
	v_cmp_eq_u32_e32 vcc_lo, 17, v1
	s_cbranch_vccnz .LBB92_210
; %bb.209:
	v_lshlrev_b32_e32 v1, 4, v1
	v_mov_b32_e32 v2, s23
	v_add_nc_u32_e32 v1, 16, v1
	s_clause 0x7
	buffer_load_dword v3, v1, s[0:3], 0 offen
	buffer_load_dword v4, v1, s[0:3], 0 offen offset:4
	buffer_load_dword v63, v1, s[0:3], 0 offen offset:8
	;; [unrolled: 1-line block ×6, first 2 shown]
	buffer_load_dword v68, v2, s[0:3], 0 offen
	s_waitcnt vmcnt(7)
	buffer_store_dword v3, v2, s[0:3], 0 offen
	s_waitcnt vmcnt(6)
	buffer_store_dword v4, v2, s[0:3], 0 offen offset:4
	s_waitcnt vmcnt(5)
	buffer_store_dword v63, v2, s[0:3], 0 offen offset:8
	;; [unrolled: 2-line block ×6, first 2 shown]
	s_waitcnt vmcnt(0)
	buffer_store_dword v68, v1, s[0:3], 0 offen
.LBB92_210:
	global_load_dword v0, v0, s[12:13] offset:64
	s_waitcnt vmcnt(0)
	v_add_nc_u32_e32 v0, -1, v0
	v_cmp_eq_u32_e32 vcc_lo, 16, v0
	s_cbranch_vccnz .LBB92_212
; %bb.211:
	v_lshlrev_b32_e32 v0, 4, v0
	v_mov_b32_e32 v1, s24
	v_add_nc_u32_e32 v0, 16, v0
	s_clause 0x7
	buffer_load_dword v2, v0, s[0:3], 0 offen
	buffer_load_dword v3, v0, s[0:3], 0 offen offset:4
	buffer_load_dword v4, v0, s[0:3], 0 offen offset:8
	;; [unrolled: 1-line block ×6, first 2 shown]
	buffer_load_dword v67, v1, s[0:3], 0 offen
	s_waitcnt vmcnt(7)
	buffer_store_dword v2, v1, s[0:3], 0 offen
	s_waitcnt vmcnt(6)
	buffer_store_dword v3, v1, s[0:3], 0 offen offset:4
	s_waitcnt vmcnt(5)
	buffer_store_dword v4, v1, s[0:3], 0 offen offset:8
	;; [unrolled: 2-line block ×6, first 2 shown]
	s_waitcnt vmcnt(0)
	buffer_store_dword v67, v0, s[0:3], 0 offen
.LBB92_212:
	v_mov_b32_e32 v0, 0
	global_load_dword v1, v0, s[12:13] offset:60
	s_waitcnt vmcnt(0)
	v_add_nc_u32_e32 v1, -1, v1
	v_cmp_eq_u32_e32 vcc_lo, 15, v1
	s_cbranch_vccnz .LBB92_214
; %bb.213:
	v_lshlrev_b32_e32 v1, 4, v1
	v_mov_b32_e32 v2, s25
	v_add_nc_u32_e32 v1, 16, v1
	s_clause 0x7
	buffer_load_dword v3, v1, s[0:3], 0 offen
	buffer_load_dword v4, v1, s[0:3], 0 offen offset:4
	buffer_load_dword v63, v1, s[0:3], 0 offen offset:8
	;; [unrolled: 1-line block ×6, first 2 shown]
	buffer_load_dword v68, v2, s[0:3], 0 offen
	s_waitcnt vmcnt(7)
	buffer_store_dword v3, v2, s[0:3], 0 offen
	s_waitcnt vmcnt(6)
	buffer_store_dword v4, v2, s[0:3], 0 offen offset:4
	s_waitcnt vmcnt(5)
	buffer_store_dword v63, v2, s[0:3], 0 offen offset:8
	;; [unrolled: 2-line block ×6, first 2 shown]
	s_waitcnt vmcnt(0)
	buffer_store_dword v68, v1, s[0:3], 0 offen
.LBB92_214:
	global_load_dword v0, v0, s[12:13] offset:56
	s_waitcnt vmcnt(0)
	v_add_nc_u32_e32 v0, -1, v0
	v_cmp_eq_u32_e32 vcc_lo, 14, v0
	s_cbranch_vccnz .LBB92_216
; %bb.215:
	v_lshlrev_b32_e32 v0, 4, v0
	v_mov_b32_e32 v1, s26
	v_add_nc_u32_e32 v0, 16, v0
	s_clause 0x7
	buffer_load_dword v2, v0, s[0:3], 0 offen
	buffer_load_dword v3, v0, s[0:3], 0 offen offset:4
	buffer_load_dword v4, v0, s[0:3], 0 offen offset:8
	;; [unrolled: 1-line block ×6, first 2 shown]
	buffer_load_dword v67, v1, s[0:3], 0 offen
	s_waitcnt vmcnt(7)
	buffer_store_dword v2, v1, s[0:3], 0 offen
	s_waitcnt vmcnt(6)
	buffer_store_dword v3, v1, s[0:3], 0 offen offset:4
	s_waitcnt vmcnt(5)
	buffer_store_dword v4, v1, s[0:3], 0 offen offset:8
	;; [unrolled: 2-line block ×6, first 2 shown]
	s_waitcnt vmcnt(0)
	buffer_store_dword v67, v0, s[0:3], 0 offen
.LBB92_216:
	v_mov_b32_e32 v0, 0
	global_load_dword v1, v0, s[12:13] offset:52
	s_waitcnt vmcnt(0)
	v_add_nc_u32_e32 v1, -1, v1
	v_cmp_eq_u32_e32 vcc_lo, 13, v1
	s_cbranch_vccnz .LBB92_218
; %bb.217:
	v_lshlrev_b32_e32 v1, 4, v1
	v_mov_b32_e32 v2, s27
	v_add_nc_u32_e32 v1, 16, v1
	s_clause 0x7
	buffer_load_dword v3, v1, s[0:3], 0 offen
	buffer_load_dword v4, v1, s[0:3], 0 offen offset:4
	buffer_load_dword v63, v1, s[0:3], 0 offen offset:8
	;; [unrolled: 1-line block ×6, first 2 shown]
	buffer_load_dword v68, v2, s[0:3], 0 offen
	s_waitcnt vmcnt(7)
	buffer_store_dword v3, v2, s[0:3], 0 offen
	s_waitcnt vmcnt(6)
	buffer_store_dword v4, v2, s[0:3], 0 offen offset:4
	s_waitcnt vmcnt(5)
	buffer_store_dword v63, v2, s[0:3], 0 offen offset:8
	;; [unrolled: 2-line block ×6, first 2 shown]
	s_waitcnt vmcnt(0)
	buffer_store_dword v68, v1, s[0:3], 0 offen
.LBB92_218:
	global_load_dword v0, v0, s[12:13] offset:48
	s_waitcnt vmcnt(0)
	v_add_nc_u32_e32 v0, -1, v0
	v_cmp_eq_u32_e32 vcc_lo, 12, v0
	s_cbranch_vccnz .LBB92_220
; %bb.219:
	v_lshlrev_b32_e32 v0, 4, v0
	v_mov_b32_e32 v1, s28
	v_add_nc_u32_e32 v0, 16, v0
	s_clause 0x7
	buffer_load_dword v2, v0, s[0:3], 0 offen
	buffer_load_dword v3, v0, s[0:3], 0 offen offset:4
	buffer_load_dword v4, v0, s[0:3], 0 offen offset:8
	;; [unrolled: 1-line block ×6, first 2 shown]
	buffer_load_dword v67, v1, s[0:3], 0 offen
	s_waitcnt vmcnt(7)
	buffer_store_dword v2, v1, s[0:3], 0 offen
	s_waitcnt vmcnt(6)
	buffer_store_dword v3, v1, s[0:3], 0 offen offset:4
	s_waitcnt vmcnt(5)
	buffer_store_dword v4, v1, s[0:3], 0 offen offset:8
	;; [unrolled: 2-line block ×6, first 2 shown]
	s_waitcnt vmcnt(0)
	buffer_store_dword v67, v0, s[0:3], 0 offen
.LBB92_220:
	v_mov_b32_e32 v0, 0
	global_load_dword v1, v0, s[12:13] offset:44
	s_waitcnt vmcnt(0)
	v_add_nc_u32_e32 v1, -1, v1
	v_cmp_eq_u32_e32 vcc_lo, 11, v1
	s_cbranch_vccnz .LBB92_222
; %bb.221:
	v_lshlrev_b32_e32 v1, 4, v1
	v_mov_b32_e32 v2, s29
	v_add_nc_u32_e32 v1, 16, v1
	s_clause 0x7
	buffer_load_dword v3, v1, s[0:3], 0 offen
	buffer_load_dword v4, v1, s[0:3], 0 offen offset:4
	buffer_load_dword v63, v1, s[0:3], 0 offen offset:8
	;; [unrolled: 1-line block ×6, first 2 shown]
	buffer_load_dword v68, v2, s[0:3], 0 offen
	s_waitcnt vmcnt(7)
	buffer_store_dword v3, v2, s[0:3], 0 offen
	s_waitcnt vmcnt(6)
	buffer_store_dword v4, v2, s[0:3], 0 offen offset:4
	s_waitcnt vmcnt(5)
	buffer_store_dword v63, v2, s[0:3], 0 offen offset:8
	;; [unrolled: 2-line block ×6, first 2 shown]
	s_waitcnt vmcnt(0)
	buffer_store_dword v68, v1, s[0:3], 0 offen
.LBB92_222:
	global_load_dword v0, v0, s[12:13] offset:40
	s_waitcnt vmcnt(0)
	v_add_nc_u32_e32 v0, -1, v0
	v_cmp_eq_u32_e32 vcc_lo, 10, v0
	s_cbranch_vccnz .LBB92_224
; %bb.223:
	v_lshlrev_b32_e32 v0, 4, v0
	v_mov_b32_e32 v1, s30
	v_add_nc_u32_e32 v0, 16, v0
	s_clause 0x7
	buffer_load_dword v2, v0, s[0:3], 0 offen
	buffer_load_dword v3, v0, s[0:3], 0 offen offset:4
	buffer_load_dword v4, v0, s[0:3], 0 offen offset:8
	;; [unrolled: 1-line block ×6, first 2 shown]
	buffer_load_dword v67, v1, s[0:3], 0 offen
	s_waitcnt vmcnt(7)
	buffer_store_dword v2, v1, s[0:3], 0 offen
	s_waitcnt vmcnt(6)
	buffer_store_dword v3, v1, s[0:3], 0 offen offset:4
	s_waitcnt vmcnt(5)
	buffer_store_dword v4, v1, s[0:3], 0 offen offset:8
	;; [unrolled: 2-line block ×6, first 2 shown]
	s_waitcnt vmcnt(0)
	buffer_store_dword v67, v0, s[0:3], 0 offen
.LBB92_224:
	v_mov_b32_e32 v0, 0
	global_load_dword v1, v0, s[12:13] offset:36
	s_waitcnt vmcnt(0)
	v_add_nc_u32_e32 v1, -1, v1
	v_cmp_eq_u32_e32 vcc_lo, 9, v1
	s_cbranch_vccnz .LBB92_226
; %bb.225:
	v_lshlrev_b32_e32 v1, 4, v1
	v_mov_b32_e32 v2, s31
	v_add_nc_u32_e32 v1, 16, v1
	s_clause 0x7
	buffer_load_dword v3, v1, s[0:3], 0 offen
	buffer_load_dword v4, v1, s[0:3], 0 offen offset:4
	buffer_load_dword v63, v1, s[0:3], 0 offen offset:8
	;; [unrolled: 1-line block ×6, first 2 shown]
	buffer_load_dword v68, v2, s[0:3], 0 offen
	s_waitcnt vmcnt(7)
	buffer_store_dword v3, v2, s[0:3], 0 offen
	s_waitcnt vmcnt(6)
	buffer_store_dword v4, v2, s[0:3], 0 offen offset:4
	s_waitcnt vmcnt(5)
	buffer_store_dword v63, v2, s[0:3], 0 offen offset:8
	;; [unrolled: 2-line block ×6, first 2 shown]
	s_waitcnt vmcnt(0)
	buffer_store_dword v68, v1, s[0:3], 0 offen
.LBB92_226:
	global_load_dword v0, v0, s[12:13] offset:32
	s_waitcnt vmcnt(0)
	v_add_nc_u32_e32 v0, -1, v0
	v_cmp_eq_u32_e32 vcc_lo, 8, v0
	s_cbranch_vccnz .LBB92_228
; %bb.227:
	v_lshlrev_b32_e32 v0, 4, v0
	v_mov_b32_e32 v1, s33
	v_add_nc_u32_e32 v0, 16, v0
	s_clause 0x7
	buffer_load_dword v2, v0, s[0:3], 0 offen
	buffer_load_dword v3, v0, s[0:3], 0 offen offset:4
	buffer_load_dword v4, v0, s[0:3], 0 offen offset:8
	;; [unrolled: 1-line block ×6, first 2 shown]
	buffer_load_dword v67, v1, s[0:3], 0 offen
	s_waitcnt vmcnt(7)
	buffer_store_dword v2, v1, s[0:3], 0 offen
	s_waitcnt vmcnt(6)
	buffer_store_dword v3, v1, s[0:3], 0 offen offset:4
	s_waitcnt vmcnt(5)
	buffer_store_dword v4, v1, s[0:3], 0 offen offset:8
	;; [unrolled: 2-line block ×6, first 2 shown]
	s_waitcnt vmcnt(0)
	buffer_store_dword v67, v0, s[0:3], 0 offen
.LBB92_228:
	v_mov_b32_e32 v0, 0
	global_load_dword v1, v0, s[12:13] offset:28
	s_waitcnt vmcnt(0)
	v_add_nc_u32_e32 v1, -1, v1
	v_cmp_eq_u32_e32 vcc_lo, 7, v1
	s_cbranch_vccnz .LBB92_230
; %bb.229:
	v_lshlrev_b32_e32 v1, 4, v1
	v_mov_b32_e32 v2, s34
	v_add_nc_u32_e32 v1, 16, v1
	s_clause 0x7
	buffer_load_dword v3, v1, s[0:3], 0 offen
	buffer_load_dword v4, v1, s[0:3], 0 offen offset:4
	buffer_load_dword v63, v1, s[0:3], 0 offen offset:8
	;; [unrolled: 1-line block ×6, first 2 shown]
	buffer_load_dword v68, v2, s[0:3], 0 offen
	s_waitcnt vmcnt(7)
	buffer_store_dword v3, v2, s[0:3], 0 offen
	s_waitcnt vmcnt(6)
	buffer_store_dword v4, v2, s[0:3], 0 offen offset:4
	s_waitcnt vmcnt(5)
	buffer_store_dword v63, v2, s[0:3], 0 offen offset:8
	;; [unrolled: 2-line block ×6, first 2 shown]
	s_waitcnt vmcnt(0)
	buffer_store_dword v68, v1, s[0:3], 0 offen
.LBB92_230:
	global_load_dword v0, v0, s[12:13] offset:24
	s_waitcnt vmcnt(0)
	v_add_nc_u32_e32 v0, -1, v0
	v_cmp_eq_u32_e32 vcc_lo, 6, v0
	s_cbranch_vccnz .LBB92_232
; %bb.231:
	v_lshlrev_b32_e32 v0, 4, v0
	v_mov_b32_e32 v1, s35
	v_add_nc_u32_e32 v0, 16, v0
	s_clause 0x7
	buffer_load_dword v2, v0, s[0:3], 0 offen
	buffer_load_dword v3, v0, s[0:3], 0 offen offset:4
	buffer_load_dword v4, v0, s[0:3], 0 offen offset:8
	;; [unrolled: 1-line block ×6, first 2 shown]
	buffer_load_dword v67, v1, s[0:3], 0 offen
	s_waitcnt vmcnt(7)
	buffer_store_dword v2, v1, s[0:3], 0 offen
	s_waitcnt vmcnt(6)
	buffer_store_dword v3, v1, s[0:3], 0 offen offset:4
	s_waitcnt vmcnt(5)
	buffer_store_dword v4, v1, s[0:3], 0 offen offset:8
	;; [unrolled: 2-line block ×6, first 2 shown]
	s_waitcnt vmcnt(0)
	buffer_store_dword v67, v0, s[0:3], 0 offen
.LBB92_232:
	v_mov_b32_e32 v0, 0
	global_load_dword v1, v0, s[12:13] offset:20
	s_waitcnt vmcnt(0)
	v_add_nc_u32_e32 v1, -1, v1
	v_cmp_eq_u32_e32 vcc_lo, 5, v1
	s_cbranch_vccnz .LBB92_234
; %bb.233:
	v_lshlrev_b32_e32 v1, 4, v1
	v_mov_b32_e32 v2, s36
	v_add_nc_u32_e32 v1, 16, v1
	s_clause 0x7
	buffer_load_dword v3, v1, s[0:3], 0 offen
	buffer_load_dword v4, v1, s[0:3], 0 offen offset:4
	buffer_load_dword v63, v1, s[0:3], 0 offen offset:8
	;; [unrolled: 1-line block ×6, first 2 shown]
	buffer_load_dword v68, v2, s[0:3], 0 offen
	s_waitcnt vmcnt(7)
	buffer_store_dword v3, v2, s[0:3], 0 offen
	s_waitcnt vmcnt(6)
	buffer_store_dword v4, v2, s[0:3], 0 offen offset:4
	s_waitcnt vmcnt(5)
	buffer_store_dword v63, v2, s[0:3], 0 offen offset:8
	;; [unrolled: 2-line block ×6, first 2 shown]
	s_waitcnt vmcnt(0)
	buffer_store_dword v68, v1, s[0:3], 0 offen
.LBB92_234:
	global_load_dword v0, v0, s[12:13] offset:16
	s_waitcnt vmcnt(0)
	v_add_nc_u32_e32 v0, -1, v0
	v_cmp_eq_u32_e32 vcc_lo, 4, v0
	s_cbranch_vccnz .LBB92_236
; %bb.235:
	v_lshlrev_b32_e32 v0, 4, v0
	v_mov_b32_e32 v1, s37
	v_add_nc_u32_e32 v0, 16, v0
	s_clause 0x7
	buffer_load_dword v2, v0, s[0:3], 0 offen
	buffer_load_dword v3, v0, s[0:3], 0 offen offset:4
	buffer_load_dword v4, v0, s[0:3], 0 offen offset:8
	;; [unrolled: 1-line block ×6, first 2 shown]
	buffer_load_dword v67, v1, s[0:3], 0 offen
	s_waitcnt vmcnt(7)
	buffer_store_dword v2, v1, s[0:3], 0 offen
	s_waitcnt vmcnt(6)
	buffer_store_dword v3, v1, s[0:3], 0 offen offset:4
	s_waitcnt vmcnt(5)
	buffer_store_dword v4, v1, s[0:3], 0 offen offset:8
	;; [unrolled: 2-line block ×6, first 2 shown]
	s_waitcnt vmcnt(0)
	buffer_store_dword v67, v0, s[0:3], 0 offen
.LBB92_236:
	v_mov_b32_e32 v0, 0
	global_load_dword v1, v0, s[12:13] offset:12
	s_waitcnt vmcnt(0)
	v_add_nc_u32_e32 v1, -1, v1
	v_cmp_eq_u32_e32 vcc_lo, 3, v1
	s_cbranch_vccnz .LBB92_238
; %bb.237:
	v_lshlrev_b32_e32 v1, 4, v1
	v_mov_b32_e32 v2, s38
	v_add_nc_u32_e32 v1, 16, v1
	s_clause 0x7
	buffer_load_dword v3, v1, s[0:3], 0 offen
	buffer_load_dword v4, v1, s[0:3], 0 offen offset:4
	buffer_load_dword v63, v1, s[0:3], 0 offen offset:8
	;; [unrolled: 1-line block ×6, first 2 shown]
	buffer_load_dword v68, v2, s[0:3], 0 offen
	s_waitcnt vmcnt(7)
	buffer_store_dword v3, v2, s[0:3], 0 offen
	s_waitcnt vmcnt(6)
	buffer_store_dword v4, v2, s[0:3], 0 offen offset:4
	s_waitcnt vmcnt(5)
	buffer_store_dword v63, v2, s[0:3], 0 offen offset:8
	;; [unrolled: 2-line block ×6, first 2 shown]
	s_waitcnt vmcnt(0)
	buffer_store_dword v68, v1, s[0:3], 0 offen
.LBB92_238:
	global_load_dword v0, v0, s[12:13] offset:8
	s_waitcnt vmcnt(0)
	v_add_nc_u32_e32 v0, -1, v0
	v_cmp_eq_u32_e32 vcc_lo, 2, v0
	s_cbranch_vccnz .LBB92_240
; %bb.239:
	v_lshlrev_b32_e32 v0, 4, v0
	v_mov_b32_e32 v1, s39
	v_add_nc_u32_e32 v0, 16, v0
	s_clause 0x7
	buffer_load_dword v2, v0, s[0:3], 0 offen
	buffer_load_dword v3, v0, s[0:3], 0 offen offset:4
	buffer_load_dword v4, v0, s[0:3], 0 offen offset:8
	;; [unrolled: 1-line block ×6, first 2 shown]
	buffer_load_dword v67, v1, s[0:3], 0 offen
	s_waitcnt vmcnt(7)
	buffer_store_dword v2, v1, s[0:3], 0 offen
	s_waitcnt vmcnt(6)
	buffer_store_dword v3, v1, s[0:3], 0 offen offset:4
	s_waitcnt vmcnt(5)
	buffer_store_dword v4, v1, s[0:3], 0 offen offset:8
	;; [unrolled: 2-line block ×6, first 2 shown]
	s_waitcnt vmcnt(0)
	buffer_store_dword v67, v0, s[0:3], 0 offen
.LBB92_240:
	v_mov_b32_e32 v0, 0
	global_load_dword v1, v0, s[12:13] offset:4
	s_waitcnt vmcnt(0)
	v_add_nc_u32_e32 v1, -1, v1
	v_cmp_eq_u32_e32 vcc_lo, 1, v1
	s_cbranch_vccnz .LBB92_242
; %bb.241:
	v_lshlrev_b32_e32 v1, 4, v1
	v_mov_b32_e32 v2, s40
	v_add_nc_u32_e32 v1, 16, v1
	s_clause 0x7
	buffer_load_dword v3, v1, s[0:3], 0 offen
	buffer_load_dword v4, v1, s[0:3], 0 offen offset:4
	buffer_load_dword v63, v1, s[0:3], 0 offen offset:8
	;; [unrolled: 1-line block ×6, first 2 shown]
	buffer_load_dword v68, v2, s[0:3], 0 offen
	s_waitcnt vmcnt(7)
	buffer_store_dword v3, v2, s[0:3], 0 offen
	s_waitcnt vmcnt(6)
	buffer_store_dword v4, v2, s[0:3], 0 offen offset:4
	s_waitcnt vmcnt(5)
	buffer_store_dword v63, v2, s[0:3], 0 offen offset:8
	;; [unrolled: 2-line block ×6, first 2 shown]
	s_waitcnt vmcnt(0)
	buffer_store_dword v68, v1, s[0:3], 0 offen
.LBB92_242:
	global_load_dword v0, v0, s[12:13]
	s_waitcnt vmcnt(0)
	v_add_nc_u32_e32 v0, -1, v0
	v_cmp_eq_u32_e32 vcc_lo, 0, v0
	s_cbranch_vccnz .LBB92_244
; %bb.243:
	v_lshlrev_b32_e32 v0, 4, v0
	v_add_nc_u32_e32 v0, 16, v0
	s_clause 0x7
	buffer_load_dword v1, v0, s[0:3], 0 offen
	buffer_load_dword v2, v0, s[0:3], 0 offen offset:4
	buffer_load_dword v3, v0, s[0:3], 0 offen offset:8
	buffer_load_dword v4, v0, s[0:3], 0 offen offset:12
	buffer_load_dword v63, off, s[0:3], 0 offset:28
	buffer_load_dword v64, off, s[0:3], 0 offset:24
	;; [unrolled: 1-line block ×4, first 2 shown]
	s_waitcnt vmcnt(7)
	buffer_store_dword v1, off, s[0:3], 0 offset:16
	s_waitcnt vmcnt(6)
	buffer_store_dword v2, off, s[0:3], 0 offset:20
	;; [unrolled: 2-line block ×4, first 2 shown]
	s_waitcnt vmcnt(3)
	buffer_store_dword v63, v0, s[0:3], 0 offen offset:12
	s_waitcnt vmcnt(2)
	buffer_store_dword v64, v0, s[0:3], 0 offen offset:8
	;; [unrolled: 2-line block ×3, first 2 shown]
	s_waitcnt vmcnt(0)
	buffer_store_dword v66, v0, s[0:3], 0 offen
.LBB92_244:
	s_clause 0x3
	buffer_load_dword v0, off, s[0:3], 0 offset:16
	buffer_load_dword v1, off, s[0:3], 0 offset:20
	;; [unrolled: 1-line block ×4, first 2 shown]
	v_mov_b32_e32 v4, s40
	s_waitcnt vmcnt(0)
	flat_store_dwordx4 v[5:6], v[0:3]
	s_clause 0x3
	buffer_load_dword v0, v4, s[0:3], 0 offen
	buffer_load_dword v1, v4, s[0:3], 0 offen offset:4
	buffer_load_dword v2, v4, s[0:3], 0 offen offset:8
	buffer_load_dword v3, v4, s[0:3], 0 offen offset:12
	v_mov_b32_e32 v4, s39
	s_waitcnt vmcnt(0)
	flat_store_dwordx4 v[59:60], v[0:3]
	s_clause 0x3
	buffer_load_dword v0, v4, s[0:3], 0 offen
	buffer_load_dword v1, v4, s[0:3], 0 offen offset:4
	buffer_load_dword v2, v4, s[0:3], 0 offen offset:8
	buffer_load_dword v3, v4, s[0:3], 0 offen offset:12
	;; [unrolled: 8-line block ×28, first 2 shown]
	s_waitcnt vmcnt(0)
	flat_store_dwordx4 v[61:62], v[0:3]
	s_endpgm
	.section	.rodata,"a",@progbits
	.p2align	6, 0x0
	.amdhsa_kernel _ZN9rocsolver6v33100L18getri_kernel_smallILi29E19rocblas_complex_numIdEPKPS3_EEvT1_iilPiilS8_bb
		.amdhsa_group_segment_fixed_size 936
		.amdhsa_private_segment_fixed_size 496
		.amdhsa_kernarg_size 60
		.amdhsa_user_sgpr_count 6
		.amdhsa_user_sgpr_private_segment_buffer 1
		.amdhsa_user_sgpr_dispatch_ptr 0
		.amdhsa_user_sgpr_queue_ptr 0
		.amdhsa_user_sgpr_kernarg_segment_ptr 1
		.amdhsa_user_sgpr_dispatch_id 0
		.amdhsa_user_sgpr_flat_scratch_init 0
		.amdhsa_user_sgpr_private_segment_size 0
		.amdhsa_wavefront_size32 1
		.amdhsa_uses_dynamic_stack 0
		.amdhsa_system_sgpr_private_segment_wavefront_offset 1
		.amdhsa_system_sgpr_workgroup_id_x 1
		.amdhsa_system_sgpr_workgroup_id_y 0
		.amdhsa_system_sgpr_workgroup_id_z 0
		.amdhsa_system_sgpr_workgroup_info 0
		.amdhsa_system_vgpr_workitem_id 0
		.amdhsa_next_free_vgpr 152
		.amdhsa_next_free_sgpr 54
		.amdhsa_reserve_vcc 1
		.amdhsa_reserve_flat_scratch 0
		.amdhsa_float_round_mode_32 0
		.amdhsa_float_round_mode_16_64 0
		.amdhsa_float_denorm_mode_32 3
		.amdhsa_float_denorm_mode_16_64 3
		.amdhsa_dx10_clamp 1
		.amdhsa_ieee_mode 1
		.amdhsa_fp16_overflow 0
		.amdhsa_workgroup_processor_mode 1
		.amdhsa_memory_ordered 1
		.amdhsa_forward_progress 1
		.amdhsa_shared_vgpr_count 0
		.amdhsa_exception_fp_ieee_invalid_op 0
		.amdhsa_exception_fp_denorm_src 0
		.amdhsa_exception_fp_ieee_div_zero 0
		.amdhsa_exception_fp_ieee_overflow 0
		.amdhsa_exception_fp_ieee_underflow 0
		.amdhsa_exception_fp_ieee_inexact 0
		.amdhsa_exception_int_div_zero 0
	.end_amdhsa_kernel
	.section	.text._ZN9rocsolver6v33100L18getri_kernel_smallILi29E19rocblas_complex_numIdEPKPS3_EEvT1_iilPiilS8_bb,"axG",@progbits,_ZN9rocsolver6v33100L18getri_kernel_smallILi29E19rocblas_complex_numIdEPKPS3_EEvT1_iilPiilS8_bb,comdat
.Lfunc_end92:
	.size	_ZN9rocsolver6v33100L18getri_kernel_smallILi29E19rocblas_complex_numIdEPKPS3_EEvT1_iilPiilS8_bb, .Lfunc_end92-_ZN9rocsolver6v33100L18getri_kernel_smallILi29E19rocblas_complex_numIdEPKPS3_EEvT1_iilPiilS8_bb
                                        ; -- End function
	.set _ZN9rocsolver6v33100L18getri_kernel_smallILi29E19rocblas_complex_numIdEPKPS3_EEvT1_iilPiilS8_bb.num_vgpr, 152
	.set _ZN9rocsolver6v33100L18getri_kernel_smallILi29E19rocblas_complex_numIdEPKPS3_EEvT1_iilPiilS8_bb.num_agpr, 0
	.set _ZN9rocsolver6v33100L18getri_kernel_smallILi29E19rocblas_complex_numIdEPKPS3_EEvT1_iilPiilS8_bb.numbered_sgpr, 54
	.set _ZN9rocsolver6v33100L18getri_kernel_smallILi29E19rocblas_complex_numIdEPKPS3_EEvT1_iilPiilS8_bb.num_named_barrier, 0
	.set _ZN9rocsolver6v33100L18getri_kernel_smallILi29E19rocblas_complex_numIdEPKPS3_EEvT1_iilPiilS8_bb.private_seg_size, 496
	.set _ZN9rocsolver6v33100L18getri_kernel_smallILi29E19rocblas_complex_numIdEPKPS3_EEvT1_iilPiilS8_bb.uses_vcc, 1
	.set _ZN9rocsolver6v33100L18getri_kernel_smallILi29E19rocblas_complex_numIdEPKPS3_EEvT1_iilPiilS8_bb.uses_flat_scratch, 0
	.set _ZN9rocsolver6v33100L18getri_kernel_smallILi29E19rocblas_complex_numIdEPKPS3_EEvT1_iilPiilS8_bb.has_dyn_sized_stack, 0
	.set _ZN9rocsolver6v33100L18getri_kernel_smallILi29E19rocblas_complex_numIdEPKPS3_EEvT1_iilPiilS8_bb.has_recursion, 0
	.set _ZN9rocsolver6v33100L18getri_kernel_smallILi29E19rocblas_complex_numIdEPKPS3_EEvT1_iilPiilS8_bb.has_indirect_call, 0
	.section	.AMDGPU.csdata,"",@progbits
; Kernel info:
; codeLenInByte = 66840
; TotalNumSgprs: 56
; NumVgprs: 152
; ScratchSize: 496
; MemoryBound: 0
; FloatMode: 240
; IeeeMode: 1
; LDSByteSize: 936 bytes/workgroup (compile time only)
; SGPRBlocks: 0
; VGPRBlocks: 18
; NumSGPRsForWavesPerEU: 56
; NumVGPRsForWavesPerEU: 152
; Occupancy: 6
; WaveLimiterHint : 1
; COMPUTE_PGM_RSRC2:SCRATCH_EN: 1
; COMPUTE_PGM_RSRC2:USER_SGPR: 6
; COMPUTE_PGM_RSRC2:TRAP_HANDLER: 0
; COMPUTE_PGM_RSRC2:TGID_X_EN: 1
; COMPUTE_PGM_RSRC2:TGID_Y_EN: 0
; COMPUTE_PGM_RSRC2:TGID_Z_EN: 0
; COMPUTE_PGM_RSRC2:TIDIG_COMP_CNT: 0
	.section	.text._ZN9rocsolver6v33100L18getri_kernel_smallILi30E19rocblas_complex_numIdEPKPS3_EEvT1_iilPiilS8_bb,"axG",@progbits,_ZN9rocsolver6v33100L18getri_kernel_smallILi30E19rocblas_complex_numIdEPKPS3_EEvT1_iilPiilS8_bb,comdat
	.globl	_ZN9rocsolver6v33100L18getri_kernel_smallILi30E19rocblas_complex_numIdEPKPS3_EEvT1_iilPiilS8_bb ; -- Begin function _ZN9rocsolver6v33100L18getri_kernel_smallILi30E19rocblas_complex_numIdEPKPS3_EEvT1_iilPiilS8_bb
	.p2align	8
	.type	_ZN9rocsolver6v33100L18getri_kernel_smallILi30E19rocblas_complex_numIdEPKPS3_EEvT1_iilPiilS8_bb,@function
_ZN9rocsolver6v33100L18getri_kernel_smallILi30E19rocblas_complex_numIdEPKPS3_EEvT1_iilPiilS8_bb: ; @_ZN9rocsolver6v33100L18getri_kernel_smallILi30E19rocblas_complex_numIdEPKPS3_EEvT1_iilPiilS8_bb
; %bb.0:
	s_add_u32 s0, s0, s7
	s_addc_u32 s1, s1, 0
	s_mov_b32 s7, exec_lo
	v_cmpx_gt_u32_e32 30, v0
	s_cbranch_execz .LBB93_134
; %bb.1:
	s_clause 0x2
	s_load_dword s16, s[4:5], 0x38
	s_load_dwordx2 s[12:13], s[4:5], 0x0
	s_load_dwordx4 s[8:11], s[4:5], 0x28
	s_waitcnt lgkmcnt(0)
	s_bitcmp1_b32 s16, 8
	s_cselect_b32 s42, -1, 0
	s_ashr_i32 s7, s6, 31
	s_lshl_b64 s[14:15], s[6:7], 3
	s_add_u32 s12, s12, s14
	s_addc_u32 s13, s13, s15
	s_load_dwordx2 s[14:15], s[12:13], 0x0
	s_bfe_u32 s12, s16, 0x10008
	s_cmp_eq_u32 s12, 0
                                        ; implicit-def: $sgpr12_sgpr13
	s_cbranch_scc1 .LBB93_3
; %bb.2:
	s_clause 0x1
	s_load_dword s12, s[4:5], 0x20
	s_load_dwordx2 s[16:17], s[4:5], 0x18
	s_mul_i32 s13, s8, s7
	s_mul_hi_u32 s18, s8, s6
	s_mul_i32 s9, s9, s6
	s_add_i32 s13, s18, s13
	s_mul_i32 s8, s8, s6
	s_add_i32 s9, s13, s9
	s_lshl_b64 s[8:9], s[8:9], 2
	s_waitcnt lgkmcnt(0)
	s_ashr_i32 s13, s12, 31
	s_add_u32 s16, s16, s8
	s_addc_u32 s17, s17, s9
	s_lshl_b64 s[8:9], s[12:13], 2
	s_add_u32 s12, s16, s8
	s_addc_u32 s13, s17, s9
.LBB93_3:
	s_clause 0x1
	s_load_dwordx2 s[8:9], s[4:5], 0x8
	s_load_dword s43, s[4:5], 0x38
	v_lshlrev_b32_e32 v71, 4, v0
	s_movk_i32 s16, 0xa0
	s_movk_i32 s17, 0xb0
	;; [unrolled: 1-line block ×17, first 2 shown]
	s_waitcnt lgkmcnt(0)
	s_ashr_i32 s5, s8, 31
	s_mov_b32 s4, s8
	v_add3_u32 v7, s9, s9, v0
	s_lshl_b64 s[4:5], s[4:5], 4
	s_movk_i32 s53, 0x1b0
	s_add_u32 s8, s14, s4
	s_addc_u32 s14, s15, s5
	v_add_co_u32 v5, s4, s8, v71
	v_add_co_ci_u32_e64 v6, null, s14, 0, s4
	s_mov_b32 s4, s9
	s_ashr_i32 s5, s9, 31
	v_ashrrev_i32_e32 v8, 31, v7
	flat_load_dwordx4 v[1:4], v[5:6]
	s_lshl_b64 s[4:5], s[4:5], 4
	s_movk_i32 s15, 0x90
	v_add_co_u32 v59, vcc_lo, v5, s4
	v_add_co_ci_u32_e64 v60, null, s5, v6, vcc_lo
	v_lshlrev_b64 v[8:9], 4, v[7:8]
	v_add_nc_u32_e32 v7, s9, v7
	s_movk_i32 s4, 0x50
	s_movk_i32 s54, 0x1c0
	s_movk_i32 s55, 0x1d0
	s_add_i32 s37, s4, 16
	v_add_co_u32 v57, vcc_lo, s8, v8
	v_add_co_ci_u32_e64 v58, null, s14, v9, vcc_lo
	v_ashrrev_i32_e32 v8, 31, v7
	s_add_i32 s33, s15, 16
	s_add_i32 s31, s16, 16
	;; [unrolled: 1-line block ×4, first 2 shown]
	v_lshlrev_b64 v[8:9], 4, v[7:8]
	v_add_nc_u32_e32 v7, s9, v7
	s_add_i32 s28, s19, 16
	s_add_i32 s27, s20, 16
	;; [unrolled: 1-line block ×4, first 2 shown]
	v_add_co_u32 v53, vcc_lo, s8, v8
	v_add_co_ci_u32_e64 v54, null, s14, v9, vcc_lo
	v_ashrrev_i32_e32 v8, 31, v7
	s_add_i32 s24, s23, 16
	s_add_i32 s23, s44, 16
	;; [unrolled: 1-line block ×4, first 2 shown]
	v_lshlrev_b64 v[8:9], 4, v[7:8]
	v_add_nc_u32_e32 v7, s9, v7
	s_add_i32 s20, s47, 16
	s_add_i32 s19, s48, 16
	;; [unrolled: 1-line block ×4, first 2 shown]
	v_add_co_u32 v51, vcc_lo, s8, v8
	v_add_co_ci_u32_e64 v52, null, s14, v9, vcc_lo
	v_ashrrev_i32_e32 v8, 31, v7
	s_add_i32 s16, s51, 16
	s_add_i32 s15, s52, 16
	s_mov_b32 s5, -1
	s_mov_b32 s41, 32
	v_lshlrev_b64 v[8:9], 4, v[7:8]
	v_add_nc_u32_e32 v7, s9, v7
	s_mov_b32 s40, 48
	s_mov_b32 s39, 64
	s_movk_i32 s38, 0x50
	s_waitcnt vmcnt(0) lgkmcnt(0)
	buffer_store_dword v4, off, s[0:3], 0 offset:28
	buffer_store_dword v3, off, s[0:3], 0 offset:24
	buffer_store_dword v2, off, s[0:3], 0 offset:20
	buffer_store_dword v1, off, s[0:3], 0 offset:16
	flat_load_dwordx4 v[1:4], v[59:60]
	v_add_co_u32 v49, vcc_lo, s8, v8
	v_add_co_ci_u32_e64 v50, null, s14, v9, vcc_lo
	v_ashrrev_i32_e32 v8, 31, v7
	s_waitcnt vmcnt(0) lgkmcnt(0)
	buffer_store_dword v4, off, s[0:3], 0 offset:44
	buffer_store_dword v3, off, s[0:3], 0 offset:40
	buffer_store_dword v2, off, s[0:3], 0 offset:36
	buffer_store_dword v1, off, s[0:3], 0 offset:32
	flat_load_dwordx4 v[1:4], v[57:58]
	v_lshlrev_b64 v[8:9], 4, v[7:8]
	v_add_nc_u32_e32 v7, s9, v7
	s_waitcnt vmcnt(0) lgkmcnt(0)
	buffer_store_dword v4, off, s[0:3], 0 offset:60
	buffer_store_dword v3, off, s[0:3], 0 offset:56
	buffer_store_dword v2, off, s[0:3], 0 offset:52
	buffer_store_dword v1, off, s[0:3], 0 offset:48
	flat_load_dwordx4 v[1:4], v[53:54]
	v_add_co_u32 v47, vcc_lo, s8, v8
	v_add_co_ci_u32_e64 v48, null, s14, v9, vcc_lo
	v_ashrrev_i32_e32 v8, 31, v7
	s_waitcnt vmcnt(0) lgkmcnt(0)
	buffer_store_dword v4, off, s[0:3], 0 offset:76
	buffer_store_dword v3, off, s[0:3], 0 offset:72
	buffer_store_dword v2, off, s[0:3], 0 offset:68
	buffer_store_dword v1, off, s[0:3], 0 offset:64
	flat_load_dwordx4 v[1:4], v[51:52]
	v_lshlrev_b64 v[8:9], 4, v[7:8]
	v_add_nc_u32_e32 v7, s9, v7
	s_waitcnt vmcnt(0) lgkmcnt(0)
	buffer_store_dword v4, off, s[0:3], 0 offset:92
	buffer_store_dword v3, off, s[0:3], 0 offset:88
	buffer_store_dword v2, off, s[0:3], 0 offset:84
	buffer_store_dword v1, off, s[0:3], 0 offset:80
	flat_load_dwordx4 v[1:4], v[49:50]
	v_add_co_u32 v45, vcc_lo, s8, v8
	v_add_co_ci_u32_e64 v46, null, s14, v9, vcc_lo
	v_ashrrev_i32_e32 v8, 31, v7
	s_waitcnt vmcnt(0) lgkmcnt(0)
	buffer_store_dword v4, off, s[0:3], 0 offset:108
	buffer_store_dword v3, off, s[0:3], 0 offset:104
	buffer_store_dword v2, off, s[0:3], 0 offset:100
	buffer_store_dword v1, off, s[0:3], 0 offset:96
	flat_load_dwordx4 v[1:4], v[47:48]
	v_lshlrev_b64 v[8:9], 4, v[7:8]
	v_add_nc_u32_e32 v7, s9, v7
	s_waitcnt vmcnt(0) lgkmcnt(0)
	buffer_store_dword v4, off, s[0:3], 0 offset:124
	buffer_store_dword v3, off, s[0:3], 0 offset:120
	buffer_store_dword v2, off, s[0:3], 0 offset:116
	buffer_store_dword v1, off, s[0:3], 0 offset:112
	flat_load_dwordx4 v[1:4], v[45:46]
	v_add_co_u32 v43, vcc_lo, s8, v8
	v_add_co_ci_u32_e64 v44, null, s14, v9, vcc_lo
	v_ashrrev_i32_e32 v8, 31, v7
	s_waitcnt vmcnt(0) lgkmcnt(0)
	buffer_store_dword v4, off, s[0:3], 0 offset:140
	buffer_store_dword v3, off, s[0:3], 0 offset:136
	buffer_store_dword v2, off, s[0:3], 0 offset:132
	buffer_store_dword v1, off, s[0:3], 0 offset:128
	flat_load_dwordx4 v[1:4], v[43:44]
	v_lshlrev_b64 v[8:9], 4, v[7:8]
	v_add_nc_u32_e32 v7, s9, v7
	s_waitcnt vmcnt(0) lgkmcnt(0)
	buffer_store_dword v4, off, s[0:3], 0 offset:156
	buffer_store_dword v3, off, s[0:3], 0 offset:152
	;; [unrolled: 1-line block ×4, first 2 shown]
	v_add_co_u32 v41, vcc_lo, s8, v8
	v_add_co_ci_u32_e64 v42, null, s14, v9, vcc_lo
	v_ashrrev_i32_e32 v8, 31, v7
	flat_load_dwordx4 v[1:4], v[41:42]
	s_waitcnt vmcnt(0) lgkmcnt(0)
	buffer_store_dword v4, off, s[0:3], 0 offset:172
	buffer_store_dword v3, off, s[0:3], 0 offset:168
	buffer_store_dword v2, off, s[0:3], 0 offset:164
	buffer_store_dword v1, off, s[0:3], 0 offset:160
	v_lshlrev_b64 v[8:9], 4, v[7:8]
	v_add_nc_u32_e32 v7, s9, v7
	v_add_co_u32 v39, vcc_lo, s8, v8
	v_add_co_ci_u32_e64 v40, null, s14, v9, vcc_lo
	v_ashrrev_i32_e32 v8, 31, v7
	flat_load_dwordx4 v[1:4], v[39:40]
	s_waitcnt vmcnt(0) lgkmcnt(0)
	buffer_store_dword v4, off, s[0:3], 0 offset:188
	buffer_store_dword v3, off, s[0:3], 0 offset:184
	buffer_store_dword v2, off, s[0:3], 0 offset:180
	buffer_store_dword v1, off, s[0:3], 0 offset:176
	v_lshlrev_b64 v[8:9], 4, v[7:8]
	v_add_nc_u32_e32 v7, s9, v7
	;; [unrolled: 11-line block ×14, first 2 shown]
	v_add_co_u32 v11, vcc_lo, s8, v8
	v_add_co_ci_u32_e64 v12, null, s14, v9, vcc_lo
	v_ashrrev_i32_e32 v8, 31, v7
	v_add_nc_u32_e32 v35, s9, v7
	flat_load_dwordx4 v[1:4], v[11:12]
	s_waitcnt vmcnt(0) lgkmcnt(0)
	buffer_store_dword v4, off, s[0:3], 0 offset:396
	buffer_store_dword v3, off, s[0:3], 0 offset:392
	;; [unrolled: 1-line block ×4, first 2 shown]
	v_lshlrev_b64 v[9:10], 4, v[7:8]
	v_ashrrev_i32_e32 v36, 31, v35
	v_add_nc_u32_e32 v55, s9, v35
	v_add_co_u32 v9, vcc_lo, s8, v9
	v_add_co_ci_u32_e64 v10, null, s14, v10, vcc_lo
	v_lshlrev_b64 v[7:8], 4, v[35:36]
	v_ashrrev_i32_e32 v56, 31, v55
	v_add_nc_u32_e32 v61, s9, v55
	flat_load_dwordx4 v[1:4], v[9:10]
	s_waitcnt vmcnt(0) lgkmcnt(0)
	buffer_store_dword v4, off, s[0:3], 0 offset:412
	buffer_store_dword v3, off, s[0:3], 0 offset:408
	;; [unrolled: 1-line block ×4, first 2 shown]
	v_add_co_u32 v7, vcc_lo, s8, v7
	v_add_co_ci_u32_e64 v8, null, s14, v8, vcc_lo
	v_lshlrev_b64 v[35:36], 4, v[55:56]
	v_ashrrev_i32_e32 v62, 31, v61
	v_add_nc_u32_e32 v63, s9, v61
	flat_load_dwordx4 v[1:4], v[7:8]
	s_waitcnt vmcnt(0) lgkmcnt(0)
	buffer_store_dword v4, off, s[0:3], 0 offset:428
	buffer_store_dword v3, off, s[0:3], 0 offset:424
	;; [unrolled: 1-line block ×4, first 2 shown]
	v_add_co_u32 v35, vcc_lo, s8, v35
	v_add_co_ci_u32_e64 v36, null, s14, v36, vcc_lo
	v_lshlrev_b64 v[55:56], 4, v[61:62]
	v_ashrrev_i32_e32 v64, 31, v63
	flat_load_dwordx4 v[1:4], v[35:36]
	s_waitcnt vmcnt(0) lgkmcnt(0)
	buffer_store_dword v4, off, s[0:3], 0 offset:444
	buffer_store_dword v3, off, s[0:3], 0 offset:440
	;; [unrolled: 1-line block ×4, first 2 shown]
	v_add_co_u32 v55, vcc_lo, s8, v55
	v_add_co_ci_u32_e64 v56, null, s14, v56, vcc_lo
	v_lshlrev_b64 v[61:62], 4, v[63:64]
	v_add_nc_u32_e32 v63, s9, v63
	s_movk_i32 s9, 0x70
	flat_load_dwordx4 v[1:4], v[55:56]
	s_add_i32 s35, s9, 16
	s_add_i32 s9, s54, 16
	v_add_co_u32 v61, vcc_lo, s8, v61
	v_add_co_ci_u32_e64 v62, null, s14, v62, vcc_lo
	v_ashrrev_i32_e32 v64, 31, v63
	s_waitcnt vmcnt(0) lgkmcnt(0)
	buffer_store_dword v4, off, s[0:3], 0 offset:460
	buffer_store_dword v3, off, s[0:3], 0 offset:456
	;; [unrolled: 1-line block ×4, first 2 shown]
	flat_load_dwordx4 v[1:4], v[61:62]
	v_lshlrev_b64 v[63:64], 4, v[63:64]
	s_waitcnt vmcnt(0) lgkmcnt(0)
	buffer_store_dword v4, off, s[0:3], 0 offset:476
	buffer_store_dword v3, off, s[0:3], 0 offset:472
	;; [unrolled: 1-line block ×4, first 2 shown]
	v_add_co_u32 v63, vcc_lo, s8, v63
	v_add_co_ci_u32_e64 v64, null, s14, v64, vcc_lo
	s_movk_i32 s8, 0x60
	s_movk_i32 s14, 0x80
	s_add_i32 s36, s8, 16
	flat_load_dwordx4 v[1:4], v[63:64]
	s_add_i32 s34, s14, 16
	s_add_i32 s14, s53, 16
	;; [unrolled: 1-line block ×3, first 2 shown]
	s_bitcmp0_b32 s43, 0
	s_waitcnt vmcnt(0) lgkmcnt(0)
	buffer_store_dword v4, off, s[0:3], 0 offset:492
	buffer_store_dword v3, off, s[0:3], 0 offset:488
	;; [unrolled: 1-line block ×4, first 2 shown]
	s_cbranch_scc1 .LBB93_132
; %bb.4:
	v_cmp_eq_u32_e64 s4, 0, v0
	s_and_saveexec_b32 s5, s4
; %bb.5:
	v_mov_b32_e32 v1, 0
	ds_write_b32 v1, v1 offset:960
; %bb.6:
	s_or_b32 exec_lo, exec_lo, s5
	v_lshl_add_u32 v72, v0, 4, 16
	s_waitcnt lgkmcnt(0)
	s_waitcnt_vscnt null, 0x0
	s_barrier
	buffer_gl0_inv
	s_clause 0x3
	buffer_load_dword v1, v72, s[0:3], 0 offen
	buffer_load_dword v2, v72, s[0:3], 0 offen offset:4
	buffer_load_dword v3, v72, s[0:3], 0 offen offset:8
	;; [unrolled: 1-line block ×3, first 2 shown]
	s_waitcnt vmcnt(2)
	v_cmp_eq_f64_e32 vcc_lo, 0, v[1:2]
	s_waitcnt vmcnt(0)
	v_cmp_eq_f64_e64 s5, 0, v[3:4]
	s_and_b32 s5, vcc_lo, s5
	s_and_saveexec_b32 s43, s5
	s_cbranch_execz .LBB93_10
; %bb.7:
	v_mov_b32_e32 v1, 0
	s_mov_b32 s44, 0
	ds_read_b32 v2, v1 offset:960
	s_waitcnt lgkmcnt(0)
	v_readfirstlane_b32 s5, v2
	v_add_nc_u32_e32 v2, 1, v0
	s_cmp_eq_u32 s5, 0
	v_cmp_gt_i32_e32 vcc_lo, s5, v2
	s_cselect_b32 s45, -1, 0
	s_or_b32 s45, s45, vcc_lo
	s_and_b32 exec_lo, exec_lo, s45
	s_cbranch_execz .LBB93_10
; %bb.8:
	v_mov_b32_e32 v3, s5
.LBB93_9:                               ; =>This Inner Loop Header: Depth=1
	ds_cmpst_rtn_b32 v3, v1, v3, v2 offset:960
	s_waitcnt lgkmcnt(0)
	v_cmp_ne_u32_e32 vcc_lo, 0, v3
	v_cmp_le_i32_e64 s5, v3, v2
	s_and_b32 s5, vcc_lo, s5
	s_and_b32 s5, exec_lo, s5
	s_or_b32 s44, s5, s44
	s_andn2_b32 exec_lo, exec_lo, s44
	s_cbranch_execnz .LBB93_9
.LBB93_10:
	s_or_b32 exec_lo, exec_lo, s43
	v_mov_b32_e32 v1, 0
	s_barrier
	buffer_gl0_inv
	ds_read_b32 v2, v1 offset:960
	s_and_saveexec_b32 s5, s4
	s_cbranch_execz .LBB93_12
; %bb.11:
	s_lshl_b64 s[44:45], s[6:7], 2
	s_add_u32 s44, s10, s44
	s_addc_u32 s45, s11, s45
	s_waitcnt lgkmcnt(0)
	global_store_dword v1, v2, s[44:45]
.LBB93_12:
	s_or_b32 exec_lo, exec_lo, s5
	s_waitcnt lgkmcnt(0)
	v_cmp_ne_u32_e32 vcc_lo, 0, v2
	s_mov_b32 s5, 0
	s_cbranch_vccnz .LBB93_132
; %bb.13:
	s_clause 0x3
	buffer_load_dword v67, v72, s[0:3], 0 offen
	buffer_load_dword v68, v72, s[0:3], 0 offen offset:4
	buffer_load_dword v69, v72, s[0:3], 0 offen offset:8
	;; [unrolled: 1-line block ×3, first 2 shown]
                                        ; implicit-def: $vgpr65_vgpr66
                                        ; implicit-def: $vgpr3_vgpr4
	s_waitcnt vmcnt(0)
	v_cmp_ngt_f64_e64 s5, |v[67:68]|, |v[69:70]|
	s_and_saveexec_b32 s43, s5
	s_xor_b32 s5, exec_lo, s43
	s_cbranch_execz .LBB93_15
; %bb.14:
	v_div_scale_f64 v[1:2], null, v[69:70], v[69:70], v[67:68]
	v_div_scale_f64 v[73:74], vcc_lo, v[67:68], v[69:70], v[67:68]
	v_rcp_f64_e32 v[3:4], v[1:2]
	v_fma_f64 v[65:66], -v[1:2], v[3:4], 1.0
	v_fma_f64 v[3:4], v[3:4], v[65:66], v[3:4]
	v_fma_f64 v[65:66], -v[1:2], v[3:4], 1.0
	v_fma_f64 v[3:4], v[3:4], v[65:66], v[3:4]
	v_mul_f64 v[65:66], v[73:74], v[3:4]
	v_fma_f64 v[1:2], -v[1:2], v[65:66], v[73:74]
	v_div_fmas_f64 v[1:2], v[1:2], v[3:4], v[65:66]
	v_div_fixup_f64 v[1:2], v[1:2], v[69:70], v[67:68]
	v_fma_f64 v[3:4], v[67:68], v[1:2], v[69:70]
	v_div_scale_f64 v[65:66], null, v[3:4], v[3:4], 1.0
	v_div_scale_f64 v[73:74], vcc_lo, 1.0, v[3:4], 1.0
	v_rcp_f64_e32 v[67:68], v[65:66]
	v_fma_f64 v[69:70], -v[65:66], v[67:68], 1.0
	v_fma_f64 v[67:68], v[67:68], v[69:70], v[67:68]
	v_fma_f64 v[69:70], -v[65:66], v[67:68], 1.0
	v_fma_f64 v[67:68], v[67:68], v[69:70], v[67:68]
	v_mul_f64 v[69:70], v[73:74], v[67:68]
	v_fma_f64 v[65:66], -v[65:66], v[69:70], v[73:74]
	v_div_fmas_f64 v[65:66], v[65:66], v[67:68], v[69:70]
                                        ; implicit-def: $vgpr67_vgpr68
                                        ; implicit-def: $vgpr69_vgpr70
	v_div_fixup_f64 v[3:4], v[65:66], v[3:4], 1.0
	v_mul_f64 v[65:66], v[1:2], v[3:4]
	v_xor_b32_e32 v4, 0x80000000, v4
	v_xor_b32_e32 v2, 0x80000000, v66
	v_mov_b32_e32 v1, v65
.LBB93_15:
	s_andn2_saveexec_b32 s5, s5
	s_cbranch_execz .LBB93_17
; %bb.16:
	v_div_scale_f64 v[1:2], null, v[67:68], v[67:68], v[69:70]
	v_div_scale_f64 v[73:74], vcc_lo, v[69:70], v[67:68], v[69:70]
	v_rcp_f64_e32 v[3:4], v[1:2]
	v_fma_f64 v[65:66], -v[1:2], v[3:4], 1.0
	v_fma_f64 v[3:4], v[3:4], v[65:66], v[3:4]
	v_fma_f64 v[65:66], -v[1:2], v[3:4], 1.0
	v_fma_f64 v[3:4], v[3:4], v[65:66], v[3:4]
	v_mul_f64 v[65:66], v[73:74], v[3:4]
	v_fma_f64 v[1:2], -v[1:2], v[65:66], v[73:74]
	v_div_fmas_f64 v[1:2], v[1:2], v[3:4], v[65:66]
	v_div_fixup_f64 v[1:2], v[1:2], v[67:68], v[69:70]
	v_fma_f64 v[3:4], v[69:70], v[1:2], v[67:68]
	v_div_scale_f64 v[65:66], null, v[3:4], v[3:4], 1.0
	v_rcp_f64_e32 v[67:68], v[65:66]
	v_fma_f64 v[69:70], -v[65:66], v[67:68], 1.0
	v_fma_f64 v[67:68], v[67:68], v[69:70], v[67:68]
	v_fma_f64 v[69:70], -v[65:66], v[67:68], 1.0
	v_fma_f64 v[67:68], v[67:68], v[69:70], v[67:68]
	v_div_scale_f64 v[69:70], vcc_lo, 1.0, v[3:4], 1.0
	v_mul_f64 v[73:74], v[69:70], v[67:68]
	v_fma_f64 v[65:66], -v[65:66], v[73:74], v[69:70]
	v_div_fmas_f64 v[65:66], v[65:66], v[67:68], v[73:74]
	v_div_fixup_f64 v[65:66], v[65:66], v[3:4], 1.0
	v_mul_f64 v[3:4], v[1:2], -v[65:66]
	v_xor_b32_e32 v2, 0x80000000, v66
	v_mov_b32_e32 v1, v65
.LBB93_17:
	s_or_b32 exec_lo, exec_lo, s5
	v_mov_b32_e32 v70, s41
	buffer_store_dword v66, v72, s[0:3], 0 offen offset:4
	buffer_store_dword v65, v72, s[0:3], 0 offen
	buffer_store_dword v4, v72, s[0:3], 0 offen offset:12
	buffer_store_dword v3, v72, s[0:3], 0 offen offset:8
	v_xor_b32_e32 v4, 0x80000000, v4
	v_add_nc_u32_e32 v65, 0x1e0, v71
	s_clause 0x3
	buffer_load_dword v69, v70, s[0:3], 0 offen offset:12
	buffer_load_dword v68, v70, s[0:3], 0 offen offset:8
	;; [unrolled: 1-line block ×3, first 2 shown]
	buffer_load_dword v66, v70, s[0:3], 0 offen
	ds_write_b128 v71, v[1:4]
	s_waitcnt vmcnt(0)
	ds_write_b128 v71, v[66:69] offset:480
	s_waitcnt lgkmcnt(0)
	s_waitcnt_vscnt null, 0x0
	s_barrier
	buffer_gl0_inv
	s_and_saveexec_b32 s5, s4
	s_cbranch_execz .LBB93_19
; %bb.18:
	s_clause 0x3
	buffer_load_dword v73, v72, s[0:3], 0 offen offset:8
	buffer_load_dword v74, v72, s[0:3], 0 offen offset:12
	buffer_load_dword v75, v72, s[0:3], 0 offen
	buffer_load_dword v76, v72, s[0:3], 0 offen offset:4
	ds_read_b128 v[1:4], v65
	v_mov_b32_e32 v66, 0
	ds_read_b128 v[66:69], v66 offset:16
	s_waitcnt vmcnt(2) lgkmcnt(1)
	v_mul_f64 v[77:78], v[1:2], v[73:74]
	v_mul_f64 v[73:74], v[3:4], v[73:74]
	s_waitcnt vmcnt(0)
	v_fma_f64 v[3:4], v[3:4], v[75:76], v[77:78]
	v_fma_f64 v[1:2], v[1:2], v[75:76], -v[73:74]
	v_add_f64 v[3:4], v[3:4], 0
	v_add_f64 v[1:2], v[1:2], 0
	s_waitcnt lgkmcnt(0)
	v_mul_f64 v[73:74], v[3:4], v[68:69]
	v_mul_f64 v[68:69], v[1:2], v[68:69]
	v_fma_f64 v[1:2], v[1:2], v[66:67], -v[73:74]
	v_fma_f64 v[3:4], v[3:4], v[66:67], v[68:69]
	buffer_store_dword v1, off, s[0:3], 0 offset:32
	buffer_store_dword v2, off, s[0:3], 0 offset:36
	;; [unrolled: 1-line block ×4, first 2 shown]
.LBB93_19:
	s_or_b32 exec_lo, exec_lo, s5
	v_mov_b32_e32 v4, s40
	s_waitcnt_vscnt null, 0x0
	s_barrier
	buffer_gl0_inv
	s_mov_b32 s5, exec_lo
	s_clause 0x3
	buffer_load_dword v1, v4, s[0:3], 0 offen
	buffer_load_dword v2, v4, s[0:3], 0 offen offset:4
	buffer_load_dword v3, v4, s[0:3], 0 offen offset:8
	;; [unrolled: 1-line block ×3, first 2 shown]
	s_waitcnt vmcnt(0)
	ds_write_b128 v65, v[1:4]
	s_waitcnt lgkmcnt(0)
	s_barrier
	buffer_gl0_inv
	v_cmpx_gt_u32_e32 2, v0
	s_cbranch_execz .LBB93_23
; %bb.20:
	s_clause 0x3
	buffer_load_dword v66, v72, s[0:3], 0 offen offset:8
	buffer_load_dword v67, v72, s[0:3], 0 offen offset:12
	buffer_load_dword v68, v72, s[0:3], 0 offen
	buffer_load_dword v69, v72, s[0:3], 0 offen offset:4
	ds_read_b128 v[1:4], v65
	s_waitcnt vmcnt(2) lgkmcnt(0)
	v_mul_f64 v[72:73], v[3:4], v[66:67]
	v_mul_f64 v[66:67], v[1:2], v[66:67]
	s_waitcnt vmcnt(0)
	v_fma_f64 v[1:2], v[1:2], v[68:69], -v[72:73]
	v_fma_f64 v[3:4], v[3:4], v[68:69], v[66:67]
	v_add_f64 v[1:2], v[1:2], 0
	v_add_f64 v[3:4], v[3:4], 0
	s_and_saveexec_b32 s43, s4
	s_cbranch_execz .LBB93_22
; %bb.21:
	s_clause 0x3
	buffer_load_dword v72, off, s[0:3], 0 offset:40
	buffer_load_dword v73, off, s[0:3], 0 offset:44
	buffer_load_dword v74, off, s[0:3], 0 offset:32
	buffer_load_dword v75, off, s[0:3], 0 offset:36
	v_mov_b32_e32 v66, 0
	ds_read_b128 v[66:69], v66 offset:496
	s_waitcnt vmcnt(2) lgkmcnt(0)
	v_mul_f64 v[76:77], v[66:67], v[72:73]
	v_mul_f64 v[72:73], v[68:69], v[72:73]
	s_waitcnt vmcnt(0)
	v_fma_f64 v[68:69], v[68:69], v[74:75], v[76:77]
	v_fma_f64 v[66:67], v[66:67], v[74:75], -v[72:73]
	v_add_f64 v[3:4], v[3:4], v[68:69]
	v_add_f64 v[1:2], v[1:2], v[66:67]
.LBB93_22:
	s_or_b32 exec_lo, exec_lo, s43
	v_mov_b32_e32 v66, 0
	ds_read_b128 v[66:69], v66 offset:32
	s_waitcnt lgkmcnt(0)
	v_mul_f64 v[72:73], v[3:4], v[68:69]
	v_mul_f64 v[68:69], v[1:2], v[68:69]
	v_fma_f64 v[1:2], v[1:2], v[66:67], -v[72:73]
	v_fma_f64 v[3:4], v[3:4], v[66:67], v[68:69]
	buffer_store_dword v2, off, s[0:3], 0 offset:52
	buffer_store_dword v1, off, s[0:3], 0 offset:48
	;; [unrolled: 1-line block ×4, first 2 shown]
.LBB93_23:
	s_or_b32 exec_lo, exec_lo, s5
	v_mov_b32_e32 v4, s39
	s_waitcnt_vscnt null, 0x0
	s_barrier
	buffer_gl0_inv
	v_add_nc_u32_e32 v66, -1, v0
	s_clause 0x3
	buffer_load_dword v1, v4, s[0:3], 0 offen
	buffer_load_dword v2, v4, s[0:3], 0 offen offset:4
	buffer_load_dword v3, v4, s[0:3], 0 offen offset:8
	;; [unrolled: 1-line block ×3, first 2 shown]
	s_mov_b32 s4, exec_lo
	s_waitcnt vmcnt(0)
	ds_write_b128 v65, v[1:4]
	s_waitcnt lgkmcnt(0)
	s_barrier
	buffer_gl0_inv
	v_cmpx_gt_u32_e32 3, v0
	s_cbranch_execz .LBB93_27
; %bb.24:
	v_mov_b32_e32 v1, 0
	v_mov_b32_e32 v3, 0
	v_add_nc_u32_e32 v67, -1, v0
	v_add_nc_u32_e32 v68, 0x1e0, v71
	v_mov_b32_e32 v2, 0
	v_mov_b32_e32 v4, 0
	v_add_nc_u32_e32 v69, 16, v71
	s_mov_b32 s5, 0
	.p2align	6
.LBB93_25:                              ; =>This Inner Loop Header: Depth=1
	s_clause 0x3
	buffer_load_dword v76, v69, s[0:3], 0 offen offset:8
	buffer_load_dword v77, v69, s[0:3], 0 offen offset:12
	buffer_load_dword v78, v69, s[0:3], 0 offen
	buffer_load_dword v79, v69, s[0:3], 0 offen offset:4
	ds_read_b128 v[72:75], v68
	v_add_nc_u32_e32 v67, 1, v67
	v_add_nc_u32_e32 v68, 16, v68
	v_add_nc_u32_e32 v69, 16, v69
	v_cmp_lt_u32_e32 vcc_lo, 1, v67
	s_or_b32 s5, vcc_lo, s5
	s_waitcnt vmcnt(2) lgkmcnt(0)
	v_mul_f64 v[80:81], v[74:75], v[76:77]
	v_mul_f64 v[76:77], v[72:73], v[76:77]
	s_waitcnt vmcnt(0)
	v_fma_f64 v[72:73], v[72:73], v[78:79], -v[80:81]
	v_fma_f64 v[74:75], v[74:75], v[78:79], v[76:77]
	v_add_f64 v[3:4], v[3:4], v[72:73]
	v_add_f64 v[1:2], v[1:2], v[74:75]
	s_andn2_b32 exec_lo, exec_lo, s5
	s_cbranch_execnz .LBB93_25
; %bb.26:
	s_or_b32 exec_lo, exec_lo, s5
	v_mov_b32_e32 v67, 0
	ds_read_b128 v[67:70], v67 offset:48
	s_waitcnt lgkmcnt(0)
	v_mul_f64 v[72:73], v[1:2], v[69:70]
	v_mul_f64 v[69:70], v[3:4], v[69:70]
	v_fma_f64 v[3:4], v[3:4], v[67:68], -v[72:73]
	v_fma_f64 v[1:2], v[1:2], v[67:68], v[69:70]
	buffer_store_dword v4, off, s[0:3], 0 offset:68
	buffer_store_dword v3, off, s[0:3], 0 offset:64
	;; [unrolled: 1-line block ×4, first 2 shown]
.LBB93_27:
	s_or_b32 exec_lo, exec_lo, s4
	v_mov_b32_e32 v4, s38
	s_waitcnt_vscnt null, 0x0
	s_barrier
	buffer_gl0_inv
	s_mov_b32 s4, exec_lo
	s_clause 0x3
	buffer_load_dword v1, v4, s[0:3], 0 offen
	buffer_load_dword v2, v4, s[0:3], 0 offen offset:4
	buffer_load_dword v3, v4, s[0:3], 0 offen offset:8
	buffer_load_dword v4, v4, s[0:3], 0 offen offset:12
	s_waitcnt vmcnt(0)
	ds_write_b128 v65, v[1:4]
	s_waitcnt lgkmcnt(0)
	s_barrier
	buffer_gl0_inv
	v_cmpx_gt_u32_e32 4, v0
	s_cbranch_execz .LBB93_31
; %bb.28:
	v_mov_b32_e32 v1, 0
	v_mov_b32_e32 v3, 0
	v_add_nc_u32_e32 v67, -1, v0
	v_add_nc_u32_e32 v68, 0x1e0, v71
	v_mov_b32_e32 v2, 0
	v_mov_b32_e32 v4, 0
	v_add_nc_u32_e32 v69, 16, v71
	s_mov_b32 s5, 0
	.p2align	6
.LBB93_29:                              ; =>This Inner Loop Header: Depth=1
	s_clause 0x3
	buffer_load_dword v76, v69, s[0:3], 0 offen offset:8
	buffer_load_dword v77, v69, s[0:3], 0 offen offset:12
	buffer_load_dword v78, v69, s[0:3], 0 offen
	buffer_load_dword v79, v69, s[0:3], 0 offen offset:4
	ds_read_b128 v[72:75], v68
	v_add_nc_u32_e32 v67, 1, v67
	v_add_nc_u32_e32 v68, 16, v68
	;; [unrolled: 1-line block ×3, first 2 shown]
	v_cmp_lt_u32_e32 vcc_lo, 2, v67
	s_or_b32 s5, vcc_lo, s5
	s_waitcnt vmcnt(2) lgkmcnt(0)
	v_mul_f64 v[80:81], v[74:75], v[76:77]
	v_mul_f64 v[76:77], v[72:73], v[76:77]
	s_waitcnt vmcnt(0)
	v_fma_f64 v[72:73], v[72:73], v[78:79], -v[80:81]
	v_fma_f64 v[74:75], v[74:75], v[78:79], v[76:77]
	v_add_f64 v[3:4], v[3:4], v[72:73]
	v_add_f64 v[1:2], v[1:2], v[74:75]
	s_andn2_b32 exec_lo, exec_lo, s5
	s_cbranch_execnz .LBB93_29
; %bb.30:
	s_or_b32 exec_lo, exec_lo, s5
	v_mov_b32_e32 v67, 0
	ds_read_b128 v[67:70], v67 offset:64
	s_waitcnt lgkmcnt(0)
	v_mul_f64 v[72:73], v[1:2], v[69:70]
	v_mul_f64 v[69:70], v[3:4], v[69:70]
	v_fma_f64 v[3:4], v[3:4], v[67:68], -v[72:73]
	v_fma_f64 v[1:2], v[1:2], v[67:68], v[69:70]
	buffer_store_dword v4, off, s[0:3], 0 offset:84
	buffer_store_dword v3, off, s[0:3], 0 offset:80
	;; [unrolled: 1-line block ×4, first 2 shown]
.LBB93_31:
	s_or_b32 exec_lo, exec_lo, s4
	v_mov_b32_e32 v4, s37
	s_waitcnt_vscnt null, 0x0
	s_barrier
	buffer_gl0_inv
	s_mov_b32 s4, exec_lo
	s_clause 0x3
	buffer_load_dword v1, v4, s[0:3], 0 offen
	buffer_load_dword v2, v4, s[0:3], 0 offen offset:4
	buffer_load_dword v3, v4, s[0:3], 0 offen offset:8
	;; [unrolled: 1-line block ×3, first 2 shown]
	s_waitcnt vmcnt(0)
	ds_write_b128 v65, v[1:4]
	s_waitcnt lgkmcnt(0)
	s_barrier
	buffer_gl0_inv
	v_cmpx_gt_u32_e32 5, v0
	s_cbranch_execz .LBB93_35
; %bb.32:
	v_mov_b32_e32 v1, 0
	v_mov_b32_e32 v3, 0
	v_add_nc_u32_e32 v67, -1, v0
	v_add_nc_u32_e32 v68, 0x1e0, v71
	v_mov_b32_e32 v2, 0
	v_mov_b32_e32 v4, 0
	v_add_nc_u32_e32 v69, 16, v71
	s_mov_b32 s5, 0
	.p2align	6
.LBB93_33:                              ; =>This Inner Loop Header: Depth=1
	s_clause 0x3
	buffer_load_dword v76, v69, s[0:3], 0 offen offset:8
	buffer_load_dword v77, v69, s[0:3], 0 offen offset:12
	buffer_load_dword v78, v69, s[0:3], 0 offen
	buffer_load_dword v79, v69, s[0:3], 0 offen offset:4
	ds_read_b128 v[72:75], v68
	v_add_nc_u32_e32 v67, 1, v67
	v_add_nc_u32_e32 v68, 16, v68
	;; [unrolled: 1-line block ×3, first 2 shown]
	v_cmp_lt_u32_e32 vcc_lo, 3, v67
	s_or_b32 s5, vcc_lo, s5
	s_waitcnt vmcnt(2) lgkmcnt(0)
	v_mul_f64 v[80:81], v[74:75], v[76:77]
	v_mul_f64 v[76:77], v[72:73], v[76:77]
	s_waitcnt vmcnt(0)
	v_fma_f64 v[72:73], v[72:73], v[78:79], -v[80:81]
	v_fma_f64 v[74:75], v[74:75], v[78:79], v[76:77]
	v_add_f64 v[3:4], v[3:4], v[72:73]
	v_add_f64 v[1:2], v[1:2], v[74:75]
	s_andn2_b32 exec_lo, exec_lo, s5
	s_cbranch_execnz .LBB93_33
; %bb.34:
	s_or_b32 exec_lo, exec_lo, s5
	v_mov_b32_e32 v67, 0
	ds_read_b128 v[67:70], v67 offset:80
	s_waitcnt lgkmcnt(0)
	v_mul_f64 v[72:73], v[1:2], v[69:70]
	v_mul_f64 v[69:70], v[3:4], v[69:70]
	v_fma_f64 v[3:4], v[3:4], v[67:68], -v[72:73]
	v_fma_f64 v[1:2], v[1:2], v[67:68], v[69:70]
	buffer_store_dword v4, off, s[0:3], 0 offset:100
	buffer_store_dword v3, off, s[0:3], 0 offset:96
	;; [unrolled: 1-line block ×4, first 2 shown]
.LBB93_35:
	s_or_b32 exec_lo, exec_lo, s4
	v_mov_b32_e32 v4, s36
	s_waitcnt_vscnt null, 0x0
	s_barrier
	buffer_gl0_inv
	s_mov_b32 s4, exec_lo
	s_clause 0x3
	buffer_load_dword v1, v4, s[0:3], 0 offen
	buffer_load_dword v2, v4, s[0:3], 0 offen offset:4
	buffer_load_dword v3, v4, s[0:3], 0 offen offset:8
	;; [unrolled: 1-line block ×3, first 2 shown]
	s_waitcnt vmcnt(0)
	ds_write_b128 v65, v[1:4]
	s_waitcnt lgkmcnt(0)
	s_barrier
	buffer_gl0_inv
	v_cmpx_gt_u32_e32 6, v0
	s_cbranch_execz .LBB93_39
; %bb.36:
	v_mov_b32_e32 v1, 0
	v_mov_b32_e32 v3, 0
	v_add_nc_u32_e32 v67, -1, v0
	v_add_nc_u32_e32 v68, 0x1e0, v71
	v_mov_b32_e32 v2, 0
	v_mov_b32_e32 v4, 0
	v_add_nc_u32_e32 v69, 16, v71
	s_mov_b32 s5, 0
	.p2align	6
.LBB93_37:                              ; =>This Inner Loop Header: Depth=1
	s_clause 0x3
	buffer_load_dword v76, v69, s[0:3], 0 offen offset:8
	buffer_load_dword v77, v69, s[0:3], 0 offen offset:12
	buffer_load_dword v78, v69, s[0:3], 0 offen
	buffer_load_dword v79, v69, s[0:3], 0 offen offset:4
	ds_read_b128 v[72:75], v68
	v_add_nc_u32_e32 v67, 1, v67
	v_add_nc_u32_e32 v68, 16, v68
	;; [unrolled: 1-line block ×3, first 2 shown]
	v_cmp_lt_u32_e32 vcc_lo, 4, v67
	s_or_b32 s5, vcc_lo, s5
	s_waitcnt vmcnt(2) lgkmcnt(0)
	v_mul_f64 v[80:81], v[74:75], v[76:77]
	v_mul_f64 v[76:77], v[72:73], v[76:77]
	s_waitcnt vmcnt(0)
	v_fma_f64 v[72:73], v[72:73], v[78:79], -v[80:81]
	v_fma_f64 v[74:75], v[74:75], v[78:79], v[76:77]
	v_add_f64 v[3:4], v[3:4], v[72:73]
	v_add_f64 v[1:2], v[1:2], v[74:75]
	s_andn2_b32 exec_lo, exec_lo, s5
	s_cbranch_execnz .LBB93_37
; %bb.38:
	s_or_b32 exec_lo, exec_lo, s5
	v_mov_b32_e32 v67, 0
	ds_read_b128 v[67:70], v67 offset:96
	s_waitcnt lgkmcnt(0)
	v_mul_f64 v[72:73], v[1:2], v[69:70]
	v_mul_f64 v[69:70], v[3:4], v[69:70]
	v_fma_f64 v[3:4], v[3:4], v[67:68], -v[72:73]
	v_fma_f64 v[1:2], v[1:2], v[67:68], v[69:70]
	buffer_store_dword v4, off, s[0:3], 0 offset:116
	buffer_store_dword v3, off, s[0:3], 0 offset:112
	;; [unrolled: 1-line block ×4, first 2 shown]
.LBB93_39:
	s_or_b32 exec_lo, exec_lo, s4
	v_mov_b32_e32 v4, s35
	s_waitcnt_vscnt null, 0x0
	s_barrier
	buffer_gl0_inv
	s_mov_b32 s4, exec_lo
	s_clause 0x3
	buffer_load_dword v1, v4, s[0:3], 0 offen
	buffer_load_dword v2, v4, s[0:3], 0 offen offset:4
	buffer_load_dword v3, v4, s[0:3], 0 offen offset:8
	;; [unrolled: 1-line block ×3, first 2 shown]
	s_waitcnt vmcnt(0)
	ds_write_b128 v65, v[1:4]
	s_waitcnt lgkmcnt(0)
	s_barrier
	buffer_gl0_inv
	v_cmpx_gt_u32_e32 7, v0
	s_cbranch_execz .LBB93_43
; %bb.40:
	v_mov_b32_e32 v1, 0
	v_mov_b32_e32 v3, 0
	v_add_nc_u32_e32 v67, -1, v0
	v_add_nc_u32_e32 v68, 0x1e0, v71
	v_mov_b32_e32 v2, 0
	v_mov_b32_e32 v4, 0
	v_add_nc_u32_e32 v69, 16, v71
	s_mov_b32 s5, 0
	.p2align	6
.LBB93_41:                              ; =>This Inner Loop Header: Depth=1
	s_clause 0x3
	buffer_load_dword v76, v69, s[0:3], 0 offen offset:8
	buffer_load_dword v77, v69, s[0:3], 0 offen offset:12
	buffer_load_dword v78, v69, s[0:3], 0 offen
	buffer_load_dword v79, v69, s[0:3], 0 offen offset:4
	ds_read_b128 v[72:75], v68
	v_add_nc_u32_e32 v67, 1, v67
	v_add_nc_u32_e32 v68, 16, v68
	;; [unrolled: 1-line block ×3, first 2 shown]
	v_cmp_lt_u32_e32 vcc_lo, 5, v67
	s_or_b32 s5, vcc_lo, s5
	s_waitcnt vmcnt(2) lgkmcnt(0)
	v_mul_f64 v[80:81], v[74:75], v[76:77]
	v_mul_f64 v[76:77], v[72:73], v[76:77]
	s_waitcnt vmcnt(0)
	v_fma_f64 v[72:73], v[72:73], v[78:79], -v[80:81]
	v_fma_f64 v[74:75], v[74:75], v[78:79], v[76:77]
	v_add_f64 v[3:4], v[3:4], v[72:73]
	v_add_f64 v[1:2], v[1:2], v[74:75]
	s_andn2_b32 exec_lo, exec_lo, s5
	s_cbranch_execnz .LBB93_41
; %bb.42:
	s_or_b32 exec_lo, exec_lo, s5
	v_mov_b32_e32 v67, 0
	ds_read_b128 v[67:70], v67 offset:112
	s_waitcnt lgkmcnt(0)
	v_mul_f64 v[72:73], v[1:2], v[69:70]
	v_mul_f64 v[69:70], v[3:4], v[69:70]
	v_fma_f64 v[3:4], v[3:4], v[67:68], -v[72:73]
	v_fma_f64 v[1:2], v[1:2], v[67:68], v[69:70]
	buffer_store_dword v4, off, s[0:3], 0 offset:132
	buffer_store_dword v3, off, s[0:3], 0 offset:128
	;; [unrolled: 1-line block ×4, first 2 shown]
.LBB93_43:
	s_or_b32 exec_lo, exec_lo, s4
	v_mov_b32_e32 v4, s34
	s_waitcnt_vscnt null, 0x0
	s_barrier
	buffer_gl0_inv
	s_mov_b32 s4, exec_lo
	s_clause 0x3
	buffer_load_dword v1, v4, s[0:3], 0 offen
	buffer_load_dword v2, v4, s[0:3], 0 offen offset:4
	buffer_load_dword v3, v4, s[0:3], 0 offen offset:8
	;; [unrolled: 1-line block ×3, first 2 shown]
	s_waitcnt vmcnt(0)
	ds_write_b128 v65, v[1:4]
	s_waitcnt lgkmcnt(0)
	s_barrier
	buffer_gl0_inv
	v_cmpx_gt_u32_e32 8, v0
	s_cbranch_execz .LBB93_47
; %bb.44:
	v_mov_b32_e32 v1, 0
	v_mov_b32_e32 v3, 0
	v_add_nc_u32_e32 v67, -1, v0
	v_add_nc_u32_e32 v68, 0x1e0, v71
	v_mov_b32_e32 v2, 0
	v_mov_b32_e32 v4, 0
	v_add_nc_u32_e32 v69, 16, v71
	s_mov_b32 s5, 0
	.p2align	6
.LBB93_45:                              ; =>This Inner Loop Header: Depth=1
	s_clause 0x3
	buffer_load_dword v76, v69, s[0:3], 0 offen offset:8
	buffer_load_dword v77, v69, s[0:3], 0 offen offset:12
	buffer_load_dword v78, v69, s[0:3], 0 offen
	buffer_load_dword v79, v69, s[0:3], 0 offen offset:4
	ds_read_b128 v[72:75], v68
	v_add_nc_u32_e32 v67, 1, v67
	v_add_nc_u32_e32 v68, 16, v68
	;; [unrolled: 1-line block ×3, first 2 shown]
	v_cmp_lt_u32_e32 vcc_lo, 6, v67
	s_or_b32 s5, vcc_lo, s5
	s_waitcnt vmcnt(2) lgkmcnt(0)
	v_mul_f64 v[80:81], v[74:75], v[76:77]
	v_mul_f64 v[76:77], v[72:73], v[76:77]
	s_waitcnt vmcnt(0)
	v_fma_f64 v[72:73], v[72:73], v[78:79], -v[80:81]
	v_fma_f64 v[74:75], v[74:75], v[78:79], v[76:77]
	v_add_f64 v[3:4], v[3:4], v[72:73]
	v_add_f64 v[1:2], v[1:2], v[74:75]
	s_andn2_b32 exec_lo, exec_lo, s5
	s_cbranch_execnz .LBB93_45
; %bb.46:
	s_or_b32 exec_lo, exec_lo, s5
	v_mov_b32_e32 v67, 0
	ds_read_b128 v[67:70], v67 offset:128
	s_waitcnt lgkmcnt(0)
	v_mul_f64 v[72:73], v[1:2], v[69:70]
	v_mul_f64 v[69:70], v[3:4], v[69:70]
	v_fma_f64 v[3:4], v[3:4], v[67:68], -v[72:73]
	v_fma_f64 v[1:2], v[1:2], v[67:68], v[69:70]
	buffer_store_dword v4, off, s[0:3], 0 offset:148
	buffer_store_dword v3, off, s[0:3], 0 offset:144
	;; [unrolled: 1-line block ×4, first 2 shown]
.LBB93_47:
	s_or_b32 exec_lo, exec_lo, s4
	v_mov_b32_e32 v4, s33
	s_waitcnt_vscnt null, 0x0
	s_barrier
	buffer_gl0_inv
	s_mov_b32 s4, exec_lo
	s_clause 0x3
	buffer_load_dword v1, v4, s[0:3], 0 offen
	buffer_load_dword v2, v4, s[0:3], 0 offen offset:4
	buffer_load_dword v3, v4, s[0:3], 0 offen offset:8
	;; [unrolled: 1-line block ×3, first 2 shown]
	s_waitcnt vmcnt(0)
	ds_write_b128 v65, v[1:4]
	s_waitcnt lgkmcnt(0)
	s_barrier
	buffer_gl0_inv
	v_cmpx_gt_u32_e32 9, v0
	s_cbranch_execz .LBB93_51
; %bb.48:
	v_mov_b32_e32 v1, 0
	v_mov_b32_e32 v3, 0
	v_add_nc_u32_e32 v67, -1, v0
	v_add_nc_u32_e32 v68, 0x1e0, v71
	v_mov_b32_e32 v2, 0
	v_mov_b32_e32 v4, 0
	v_add_nc_u32_e32 v69, 16, v71
	s_mov_b32 s5, 0
	.p2align	6
.LBB93_49:                              ; =>This Inner Loop Header: Depth=1
	s_clause 0x3
	buffer_load_dword v76, v69, s[0:3], 0 offen offset:8
	buffer_load_dword v77, v69, s[0:3], 0 offen offset:12
	buffer_load_dword v78, v69, s[0:3], 0 offen
	buffer_load_dword v79, v69, s[0:3], 0 offen offset:4
	ds_read_b128 v[72:75], v68
	v_add_nc_u32_e32 v67, 1, v67
	v_add_nc_u32_e32 v68, 16, v68
	;; [unrolled: 1-line block ×3, first 2 shown]
	v_cmp_lt_u32_e32 vcc_lo, 7, v67
	s_or_b32 s5, vcc_lo, s5
	s_waitcnt vmcnt(2) lgkmcnt(0)
	v_mul_f64 v[80:81], v[74:75], v[76:77]
	v_mul_f64 v[76:77], v[72:73], v[76:77]
	s_waitcnt vmcnt(0)
	v_fma_f64 v[72:73], v[72:73], v[78:79], -v[80:81]
	v_fma_f64 v[74:75], v[74:75], v[78:79], v[76:77]
	v_add_f64 v[3:4], v[3:4], v[72:73]
	v_add_f64 v[1:2], v[1:2], v[74:75]
	s_andn2_b32 exec_lo, exec_lo, s5
	s_cbranch_execnz .LBB93_49
; %bb.50:
	s_or_b32 exec_lo, exec_lo, s5
	v_mov_b32_e32 v67, 0
	ds_read_b128 v[67:70], v67 offset:144
	s_waitcnt lgkmcnt(0)
	v_mul_f64 v[72:73], v[1:2], v[69:70]
	v_mul_f64 v[69:70], v[3:4], v[69:70]
	v_fma_f64 v[3:4], v[3:4], v[67:68], -v[72:73]
	v_fma_f64 v[1:2], v[1:2], v[67:68], v[69:70]
	buffer_store_dword v4, off, s[0:3], 0 offset:164
	buffer_store_dword v3, off, s[0:3], 0 offset:160
	;; [unrolled: 1-line block ×4, first 2 shown]
.LBB93_51:
	s_or_b32 exec_lo, exec_lo, s4
	v_mov_b32_e32 v4, s31
	s_waitcnt_vscnt null, 0x0
	s_barrier
	buffer_gl0_inv
	s_mov_b32 s4, exec_lo
	s_clause 0x3
	buffer_load_dword v1, v4, s[0:3], 0 offen
	buffer_load_dword v2, v4, s[0:3], 0 offen offset:4
	buffer_load_dword v3, v4, s[0:3], 0 offen offset:8
	;; [unrolled: 1-line block ×3, first 2 shown]
	s_waitcnt vmcnt(0)
	ds_write_b128 v65, v[1:4]
	s_waitcnt lgkmcnt(0)
	s_barrier
	buffer_gl0_inv
	v_cmpx_gt_u32_e32 10, v0
	s_cbranch_execz .LBB93_55
; %bb.52:
	v_mov_b32_e32 v1, 0
	v_mov_b32_e32 v3, 0
	v_add_nc_u32_e32 v67, -1, v0
	v_add_nc_u32_e32 v68, 0x1e0, v71
	v_mov_b32_e32 v2, 0
	v_mov_b32_e32 v4, 0
	v_add_nc_u32_e32 v69, 16, v71
	s_mov_b32 s5, 0
	.p2align	6
.LBB93_53:                              ; =>This Inner Loop Header: Depth=1
	s_clause 0x3
	buffer_load_dword v76, v69, s[0:3], 0 offen offset:8
	buffer_load_dword v77, v69, s[0:3], 0 offen offset:12
	buffer_load_dword v78, v69, s[0:3], 0 offen
	buffer_load_dword v79, v69, s[0:3], 0 offen offset:4
	ds_read_b128 v[72:75], v68
	v_add_nc_u32_e32 v67, 1, v67
	v_add_nc_u32_e32 v68, 16, v68
	;; [unrolled: 1-line block ×3, first 2 shown]
	v_cmp_lt_u32_e32 vcc_lo, 8, v67
	s_or_b32 s5, vcc_lo, s5
	s_waitcnt vmcnt(2) lgkmcnt(0)
	v_mul_f64 v[80:81], v[74:75], v[76:77]
	v_mul_f64 v[76:77], v[72:73], v[76:77]
	s_waitcnt vmcnt(0)
	v_fma_f64 v[72:73], v[72:73], v[78:79], -v[80:81]
	v_fma_f64 v[74:75], v[74:75], v[78:79], v[76:77]
	v_add_f64 v[3:4], v[3:4], v[72:73]
	v_add_f64 v[1:2], v[1:2], v[74:75]
	s_andn2_b32 exec_lo, exec_lo, s5
	s_cbranch_execnz .LBB93_53
; %bb.54:
	s_or_b32 exec_lo, exec_lo, s5
	v_mov_b32_e32 v67, 0
	ds_read_b128 v[67:70], v67 offset:160
	s_waitcnt lgkmcnt(0)
	v_mul_f64 v[72:73], v[1:2], v[69:70]
	v_mul_f64 v[69:70], v[3:4], v[69:70]
	v_fma_f64 v[3:4], v[3:4], v[67:68], -v[72:73]
	v_fma_f64 v[1:2], v[1:2], v[67:68], v[69:70]
	buffer_store_dword v4, off, s[0:3], 0 offset:180
	buffer_store_dword v3, off, s[0:3], 0 offset:176
	;; [unrolled: 1-line block ×4, first 2 shown]
.LBB93_55:
	s_or_b32 exec_lo, exec_lo, s4
	v_mov_b32_e32 v4, s30
	s_waitcnt_vscnt null, 0x0
	s_barrier
	buffer_gl0_inv
	s_mov_b32 s4, exec_lo
	s_clause 0x3
	buffer_load_dword v1, v4, s[0:3], 0 offen
	buffer_load_dword v2, v4, s[0:3], 0 offen offset:4
	buffer_load_dword v3, v4, s[0:3], 0 offen offset:8
	;; [unrolled: 1-line block ×3, first 2 shown]
	s_waitcnt vmcnt(0)
	ds_write_b128 v65, v[1:4]
	s_waitcnt lgkmcnt(0)
	s_barrier
	buffer_gl0_inv
	v_cmpx_gt_u32_e32 11, v0
	s_cbranch_execz .LBB93_59
; %bb.56:
	v_mov_b32_e32 v1, 0
	v_mov_b32_e32 v3, 0
	v_add_nc_u32_e32 v67, -1, v0
	v_add_nc_u32_e32 v68, 0x1e0, v71
	v_mov_b32_e32 v2, 0
	v_mov_b32_e32 v4, 0
	v_add_nc_u32_e32 v69, 16, v71
	s_mov_b32 s5, 0
	.p2align	6
.LBB93_57:                              ; =>This Inner Loop Header: Depth=1
	s_clause 0x3
	buffer_load_dword v76, v69, s[0:3], 0 offen offset:8
	buffer_load_dword v77, v69, s[0:3], 0 offen offset:12
	buffer_load_dword v78, v69, s[0:3], 0 offen
	buffer_load_dword v79, v69, s[0:3], 0 offen offset:4
	ds_read_b128 v[72:75], v68
	v_add_nc_u32_e32 v67, 1, v67
	v_add_nc_u32_e32 v68, 16, v68
	;; [unrolled: 1-line block ×3, first 2 shown]
	v_cmp_lt_u32_e32 vcc_lo, 9, v67
	s_or_b32 s5, vcc_lo, s5
	s_waitcnt vmcnt(2) lgkmcnt(0)
	v_mul_f64 v[80:81], v[74:75], v[76:77]
	v_mul_f64 v[76:77], v[72:73], v[76:77]
	s_waitcnt vmcnt(0)
	v_fma_f64 v[72:73], v[72:73], v[78:79], -v[80:81]
	v_fma_f64 v[74:75], v[74:75], v[78:79], v[76:77]
	v_add_f64 v[3:4], v[3:4], v[72:73]
	v_add_f64 v[1:2], v[1:2], v[74:75]
	s_andn2_b32 exec_lo, exec_lo, s5
	s_cbranch_execnz .LBB93_57
; %bb.58:
	s_or_b32 exec_lo, exec_lo, s5
	v_mov_b32_e32 v67, 0
	ds_read_b128 v[67:70], v67 offset:176
	s_waitcnt lgkmcnt(0)
	v_mul_f64 v[72:73], v[1:2], v[69:70]
	v_mul_f64 v[69:70], v[3:4], v[69:70]
	v_fma_f64 v[3:4], v[3:4], v[67:68], -v[72:73]
	v_fma_f64 v[1:2], v[1:2], v[67:68], v[69:70]
	buffer_store_dword v4, off, s[0:3], 0 offset:196
	buffer_store_dword v3, off, s[0:3], 0 offset:192
	;; [unrolled: 1-line block ×4, first 2 shown]
.LBB93_59:
	s_or_b32 exec_lo, exec_lo, s4
	v_mov_b32_e32 v4, s29
	s_waitcnt_vscnt null, 0x0
	s_barrier
	buffer_gl0_inv
	s_mov_b32 s4, exec_lo
	s_clause 0x3
	buffer_load_dword v1, v4, s[0:3], 0 offen
	buffer_load_dword v2, v4, s[0:3], 0 offen offset:4
	buffer_load_dword v3, v4, s[0:3], 0 offen offset:8
	;; [unrolled: 1-line block ×3, first 2 shown]
	s_waitcnt vmcnt(0)
	ds_write_b128 v65, v[1:4]
	s_waitcnt lgkmcnt(0)
	s_barrier
	buffer_gl0_inv
	v_cmpx_gt_u32_e32 12, v0
	s_cbranch_execz .LBB93_63
; %bb.60:
	v_mov_b32_e32 v1, 0
	v_mov_b32_e32 v3, 0
	v_add_nc_u32_e32 v67, -1, v0
	v_add_nc_u32_e32 v68, 0x1e0, v71
	v_mov_b32_e32 v2, 0
	v_mov_b32_e32 v4, 0
	v_add_nc_u32_e32 v69, 16, v71
	s_mov_b32 s5, 0
	.p2align	6
.LBB93_61:                              ; =>This Inner Loop Header: Depth=1
	s_clause 0x3
	buffer_load_dword v76, v69, s[0:3], 0 offen offset:8
	buffer_load_dword v77, v69, s[0:3], 0 offen offset:12
	buffer_load_dword v78, v69, s[0:3], 0 offen
	buffer_load_dword v79, v69, s[0:3], 0 offen offset:4
	ds_read_b128 v[72:75], v68
	v_add_nc_u32_e32 v67, 1, v67
	v_add_nc_u32_e32 v68, 16, v68
	v_add_nc_u32_e32 v69, 16, v69
	v_cmp_lt_u32_e32 vcc_lo, 10, v67
	s_or_b32 s5, vcc_lo, s5
	s_waitcnt vmcnt(2) lgkmcnt(0)
	v_mul_f64 v[80:81], v[74:75], v[76:77]
	v_mul_f64 v[76:77], v[72:73], v[76:77]
	s_waitcnt vmcnt(0)
	v_fma_f64 v[72:73], v[72:73], v[78:79], -v[80:81]
	v_fma_f64 v[74:75], v[74:75], v[78:79], v[76:77]
	v_add_f64 v[3:4], v[3:4], v[72:73]
	v_add_f64 v[1:2], v[1:2], v[74:75]
	s_andn2_b32 exec_lo, exec_lo, s5
	s_cbranch_execnz .LBB93_61
; %bb.62:
	s_or_b32 exec_lo, exec_lo, s5
	v_mov_b32_e32 v67, 0
	ds_read_b128 v[67:70], v67 offset:192
	s_waitcnt lgkmcnt(0)
	v_mul_f64 v[72:73], v[1:2], v[69:70]
	v_mul_f64 v[69:70], v[3:4], v[69:70]
	v_fma_f64 v[3:4], v[3:4], v[67:68], -v[72:73]
	v_fma_f64 v[1:2], v[1:2], v[67:68], v[69:70]
	buffer_store_dword v4, off, s[0:3], 0 offset:212
	buffer_store_dword v3, off, s[0:3], 0 offset:208
	;; [unrolled: 1-line block ×4, first 2 shown]
.LBB93_63:
	s_or_b32 exec_lo, exec_lo, s4
	v_mov_b32_e32 v4, s28
	s_waitcnt_vscnt null, 0x0
	s_barrier
	buffer_gl0_inv
	s_mov_b32 s4, exec_lo
	s_clause 0x3
	buffer_load_dword v1, v4, s[0:3], 0 offen
	buffer_load_dword v2, v4, s[0:3], 0 offen offset:4
	buffer_load_dword v3, v4, s[0:3], 0 offen offset:8
	;; [unrolled: 1-line block ×3, first 2 shown]
	s_waitcnt vmcnt(0)
	ds_write_b128 v65, v[1:4]
	s_waitcnt lgkmcnt(0)
	s_barrier
	buffer_gl0_inv
	v_cmpx_gt_u32_e32 13, v0
	s_cbranch_execz .LBB93_67
; %bb.64:
	v_mov_b32_e32 v1, 0
	v_mov_b32_e32 v3, 0
	v_add_nc_u32_e32 v67, -1, v0
	v_add_nc_u32_e32 v68, 0x1e0, v71
	v_mov_b32_e32 v2, 0
	v_mov_b32_e32 v4, 0
	v_add_nc_u32_e32 v69, 16, v71
	s_mov_b32 s5, 0
	.p2align	6
.LBB93_65:                              ; =>This Inner Loop Header: Depth=1
	s_clause 0x3
	buffer_load_dword v76, v69, s[0:3], 0 offen offset:8
	buffer_load_dword v77, v69, s[0:3], 0 offen offset:12
	buffer_load_dword v78, v69, s[0:3], 0 offen
	buffer_load_dword v79, v69, s[0:3], 0 offen offset:4
	ds_read_b128 v[72:75], v68
	v_add_nc_u32_e32 v67, 1, v67
	v_add_nc_u32_e32 v68, 16, v68
	v_add_nc_u32_e32 v69, 16, v69
	v_cmp_lt_u32_e32 vcc_lo, 11, v67
	s_or_b32 s5, vcc_lo, s5
	s_waitcnt vmcnt(2) lgkmcnt(0)
	v_mul_f64 v[80:81], v[74:75], v[76:77]
	v_mul_f64 v[76:77], v[72:73], v[76:77]
	s_waitcnt vmcnt(0)
	v_fma_f64 v[72:73], v[72:73], v[78:79], -v[80:81]
	v_fma_f64 v[74:75], v[74:75], v[78:79], v[76:77]
	v_add_f64 v[3:4], v[3:4], v[72:73]
	v_add_f64 v[1:2], v[1:2], v[74:75]
	s_andn2_b32 exec_lo, exec_lo, s5
	s_cbranch_execnz .LBB93_65
; %bb.66:
	s_or_b32 exec_lo, exec_lo, s5
	v_mov_b32_e32 v67, 0
	ds_read_b128 v[67:70], v67 offset:208
	s_waitcnt lgkmcnt(0)
	v_mul_f64 v[72:73], v[1:2], v[69:70]
	v_mul_f64 v[69:70], v[3:4], v[69:70]
	v_fma_f64 v[3:4], v[3:4], v[67:68], -v[72:73]
	v_fma_f64 v[1:2], v[1:2], v[67:68], v[69:70]
	buffer_store_dword v4, off, s[0:3], 0 offset:228
	buffer_store_dword v3, off, s[0:3], 0 offset:224
	;; [unrolled: 1-line block ×4, first 2 shown]
.LBB93_67:
	s_or_b32 exec_lo, exec_lo, s4
	v_mov_b32_e32 v4, s27
	s_waitcnt_vscnt null, 0x0
	s_barrier
	buffer_gl0_inv
	s_mov_b32 s4, exec_lo
	s_clause 0x3
	buffer_load_dword v1, v4, s[0:3], 0 offen
	buffer_load_dword v2, v4, s[0:3], 0 offen offset:4
	buffer_load_dword v3, v4, s[0:3], 0 offen offset:8
	;; [unrolled: 1-line block ×3, first 2 shown]
	s_waitcnt vmcnt(0)
	ds_write_b128 v65, v[1:4]
	s_waitcnt lgkmcnt(0)
	s_barrier
	buffer_gl0_inv
	v_cmpx_gt_u32_e32 14, v0
	s_cbranch_execz .LBB93_71
; %bb.68:
	v_mov_b32_e32 v1, 0
	v_mov_b32_e32 v3, 0
	v_add_nc_u32_e32 v67, -1, v0
	v_add_nc_u32_e32 v68, 0x1e0, v71
	v_mov_b32_e32 v2, 0
	v_mov_b32_e32 v4, 0
	v_add_nc_u32_e32 v69, 16, v71
	s_mov_b32 s5, 0
	.p2align	6
.LBB93_69:                              ; =>This Inner Loop Header: Depth=1
	s_clause 0x3
	buffer_load_dword v76, v69, s[0:3], 0 offen offset:8
	buffer_load_dword v77, v69, s[0:3], 0 offen offset:12
	buffer_load_dword v78, v69, s[0:3], 0 offen
	buffer_load_dword v79, v69, s[0:3], 0 offen offset:4
	ds_read_b128 v[72:75], v68
	v_add_nc_u32_e32 v67, 1, v67
	v_add_nc_u32_e32 v68, 16, v68
	;; [unrolled: 1-line block ×3, first 2 shown]
	v_cmp_lt_u32_e32 vcc_lo, 12, v67
	s_or_b32 s5, vcc_lo, s5
	s_waitcnt vmcnt(2) lgkmcnt(0)
	v_mul_f64 v[80:81], v[74:75], v[76:77]
	v_mul_f64 v[76:77], v[72:73], v[76:77]
	s_waitcnt vmcnt(0)
	v_fma_f64 v[72:73], v[72:73], v[78:79], -v[80:81]
	v_fma_f64 v[74:75], v[74:75], v[78:79], v[76:77]
	v_add_f64 v[3:4], v[3:4], v[72:73]
	v_add_f64 v[1:2], v[1:2], v[74:75]
	s_andn2_b32 exec_lo, exec_lo, s5
	s_cbranch_execnz .LBB93_69
; %bb.70:
	s_or_b32 exec_lo, exec_lo, s5
	v_mov_b32_e32 v67, 0
	ds_read_b128 v[67:70], v67 offset:224
	s_waitcnt lgkmcnt(0)
	v_mul_f64 v[72:73], v[1:2], v[69:70]
	v_mul_f64 v[69:70], v[3:4], v[69:70]
	v_fma_f64 v[3:4], v[3:4], v[67:68], -v[72:73]
	v_fma_f64 v[1:2], v[1:2], v[67:68], v[69:70]
	buffer_store_dword v4, off, s[0:3], 0 offset:244
	buffer_store_dword v3, off, s[0:3], 0 offset:240
	;; [unrolled: 1-line block ×4, first 2 shown]
.LBB93_71:
	s_or_b32 exec_lo, exec_lo, s4
	v_mov_b32_e32 v4, s26
	s_waitcnt_vscnt null, 0x0
	s_barrier
	buffer_gl0_inv
	s_mov_b32 s4, exec_lo
	s_clause 0x3
	buffer_load_dword v1, v4, s[0:3], 0 offen
	buffer_load_dword v2, v4, s[0:3], 0 offen offset:4
	buffer_load_dword v3, v4, s[0:3], 0 offen offset:8
	;; [unrolled: 1-line block ×3, first 2 shown]
	s_waitcnt vmcnt(0)
	ds_write_b128 v65, v[1:4]
	s_waitcnt lgkmcnt(0)
	s_barrier
	buffer_gl0_inv
	v_cmpx_gt_u32_e32 15, v0
	s_cbranch_execz .LBB93_75
; %bb.72:
	v_mov_b32_e32 v1, 0
	v_mov_b32_e32 v3, 0
	v_add_nc_u32_e32 v67, -1, v0
	v_add_nc_u32_e32 v68, 0x1e0, v71
	v_mov_b32_e32 v2, 0
	v_mov_b32_e32 v4, 0
	v_add_nc_u32_e32 v69, 16, v71
	s_mov_b32 s5, 0
	.p2align	6
.LBB93_73:                              ; =>This Inner Loop Header: Depth=1
	s_clause 0x3
	buffer_load_dword v76, v69, s[0:3], 0 offen offset:8
	buffer_load_dword v77, v69, s[0:3], 0 offen offset:12
	buffer_load_dword v78, v69, s[0:3], 0 offen
	buffer_load_dword v79, v69, s[0:3], 0 offen offset:4
	ds_read_b128 v[72:75], v68
	v_add_nc_u32_e32 v67, 1, v67
	v_add_nc_u32_e32 v68, 16, v68
	;; [unrolled: 1-line block ×3, first 2 shown]
	v_cmp_lt_u32_e32 vcc_lo, 13, v67
	s_or_b32 s5, vcc_lo, s5
	s_waitcnt vmcnt(2) lgkmcnt(0)
	v_mul_f64 v[80:81], v[74:75], v[76:77]
	v_mul_f64 v[76:77], v[72:73], v[76:77]
	s_waitcnt vmcnt(0)
	v_fma_f64 v[72:73], v[72:73], v[78:79], -v[80:81]
	v_fma_f64 v[74:75], v[74:75], v[78:79], v[76:77]
	v_add_f64 v[3:4], v[3:4], v[72:73]
	v_add_f64 v[1:2], v[1:2], v[74:75]
	s_andn2_b32 exec_lo, exec_lo, s5
	s_cbranch_execnz .LBB93_73
; %bb.74:
	s_or_b32 exec_lo, exec_lo, s5
	v_mov_b32_e32 v67, 0
	ds_read_b128 v[67:70], v67 offset:240
	s_waitcnt lgkmcnt(0)
	v_mul_f64 v[72:73], v[1:2], v[69:70]
	v_mul_f64 v[69:70], v[3:4], v[69:70]
	v_fma_f64 v[3:4], v[3:4], v[67:68], -v[72:73]
	v_fma_f64 v[1:2], v[1:2], v[67:68], v[69:70]
	buffer_store_dword v4, off, s[0:3], 0 offset:260
	buffer_store_dword v3, off, s[0:3], 0 offset:256
	;; [unrolled: 1-line block ×4, first 2 shown]
.LBB93_75:
	s_or_b32 exec_lo, exec_lo, s4
	v_mov_b32_e32 v4, s25
	s_waitcnt_vscnt null, 0x0
	s_barrier
	buffer_gl0_inv
	s_mov_b32 s4, exec_lo
	s_clause 0x3
	buffer_load_dword v1, v4, s[0:3], 0 offen
	buffer_load_dword v2, v4, s[0:3], 0 offen offset:4
	buffer_load_dword v3, v4, s[0:3], 0 offen offset:8
	;; [unrolled: 1-line block ×3, first 2 shown]
	s_waitcnt vmcnt(0)
	ds_write_b128 v65, v[1:4]
	s_waitcnt lgkmcnt(0)
	s_barrier
	buffer_gl0_inv
	v_cmpx_gt_u32_e32 16, v0
	s_cbranch_execz .LBB93_79
; %bb.76:
	v_mov_b32_e32 v1, 0
	v_mov_b32_e32 v3, 0
	v_add_nc_u32_e32 v67, -1, v0
	v_add_nc_u32_e32 v68, 0x1e0, v71
	v_mov_b32_e32 v2, 0
	v_mov_b32_e32 v4, 0
	v_add_nc_u32_e32 v69, 16, v71
	s_mov_b32 s5, 0
	.p2align	6
.LBB93_77:                              ; =>This Inner Loop Header: Depth=1
	s_clause 0x3
	buffer_load_dword v76, v69, s[0:3], 0 offen offset:8
	buffer_load_dword v77, v69, s[0:3], 0 offen offset:12
	buffer_load_dword v78, v69, s[0:3], 0 offen
	buffer_load_dword v79, v69, s[0:3], 0 offen offset:4
	ds_read_b128 v[72:75], v68
	v_add_nc_u32_e32 v67, 1, v67
	v_add_nc_u32_e32 v68, 16, v68
	;; [unrolled: 1-line block ×3, first 2 shown]
	v_cmp_lt_u32_e32 vcc_lo, 14, v67
	s_or_b32 s5, vcc_lo, s5
	s_waitcnt vmcnt(2) lgkmcnt(0)
	v_mul_f64 v[80:81], v[74:75], v[76:77]
	v_mul_f64 v[76:77], v[72:73], v[76:77]
	s_waitcnt vmcnt(0)
	v_fma_f64 v[72:73], v[72:73], v[78:79], -v[80:81]
	v_fma_f64 v[74:75], v[74:75], v[78:79], v[76:77]
	v_add_f64 v[3:4], v[3:4], v[72:73]
	v_add_f64 v[1:2], v[1:2], v[74:75]
	s_andn2_b32 exec_lo, exec_lo, s5
	s_cbranch_execnz .LBB93_77
; %bb.78:
	s_or_b32 exec_lo, exec_lo, s5
	v_mov_b32_e32 v67, 0
	ds_read_b128 v[67:70], v67 offset:256
	s_waitcnt lgkmcnt(0)
	v_mul_f64 v[72:73], v[1:2], v[69:70]
	v_mul_f64 v[69:70], v[3:4], v[69:70]
	v_fma_f64 v[3:4], v[3:4], v[67:68], -v[72:73]
	v_fma_f64 v[1:2], v[1:2], v[67:68], v[69:70]
	buffer_store_dword v4, off, s[0:3], 0 offset:276
	buffer_store_dword v3, off, s[0:3], 0 offset:272
	;; [unrolled: 1-line block ×4, first 2 shown]
.LBB93_79:
	s_or_b32 exec_lo, exec_lo, s4
	v_mov_b32_e32 v4, s24
	s_waitcnt_vscnt null, 0x0
	s_barrier
	buffer_gl0_inv
	s_mov_b32 s4, exec_lo
	s_clause 0x3
	buffer_load_dword v1, v4, s[0:3], 0 offen
	buffer_load_dword v2, v4, s[0:3], 0 offen offset:4
	buffer_load_dword v3, v4, s[0:3], 0 offen offset:8
	;; [unrolled: 1-line block ×3, first 2 shown]
	s_waitcnt vmcnt(0)
	ds_write_b128 v65, v[1:4]
	s_waitcnt lgkmcnt(0)
	s_barrier
	buffer_gl0_inv
	v_cmpx_gt_u32_e32 17, v0
	s_cbranch_execz .LBB93_83
; %bb.80:
	v_mov_b32_e32 v1, 0
	v_mov_b32_e32 v3, 0
	v_add_nc_u32_e32 v67, -1, v0
	v_add_nc_u32_e32 v68, 0x1e0, v71
	v_mov_b32_e32 v2, 0
	v_mov_b32_e32 v4, 0
	v_add_nc_u32_e32 v69, 16, v71
	s_mov_b32 s5, 0
	.p2align	6
.LBB93_81:                              ; =>This Inner Loop Header: Depth=1
	s_clause 0x3
	buffer_load_dword v76, v69, s[0:3], 0 offen offset:8
	buffer_load_dword v77, v69, s[0:3], 0 offen offset:12
	buffer_load_dword v78, v69, s[0:3], 0 offen
	buffer_load_dword v79, v69, s[0:3], 0 offen offset:4
	ds_read_b128 v[72:75], v68
	v_add_nc_u32_e32 v67, 1, v67
	v_add_nc_u32_e32 v68, 16, v68
	;; [unrolled: 1-line block ×3, first 2 shown]
	v_cmp_lt_u32_e32 vcc_lo, 15, v67
	s_or_b32 s5, vcc_lo, s5
	s_waitcnt vmcnt(2) lgkmcnt(0)
	v_mul_f64 v[80:81], v[74:75], v[76:77]
	v_mul_f64 v[76:77], v[72:73], v[76:77]
	s_waitcnt vmcnt(0)
	v_fma_f64 v[72:73], v[72:73], v[78:79], -v[80:81]
	v_fma_f64 v[74:75], v[74:75], v[78:79], v[76:77]
	v_add_f64 v[3:4], v[3:4], v[72:73]
	v_add_f64 v[1:2], v[1:2], v[74:75]
	s_andn2_b32 exec_lo, exec_lo, s5
	s_cbranch_execnz .LBB93_81
; %bb.82:
	s_or_b32 exec_lo, exec_lo, s5
	v_mov_b32_e32 v67, 0
	ds_read_b128 v[67:70], v67 offset:272
	s_waitcnt lgkmcnt(0)
	v_mul_f64 v[72:73], v[1:2], v[69:70]
	v_mul_f64 v[69:70], v[3:4], v[69:70]
	v_fma_f64 v[3:4], v[3:4], v[67:68], -v[72:73]
	v_fma_f64 v[1:2], v[1:2], v[67:68], v[69:70]
	buffer_store_dword v4, off, s[0:3], 0 offset:292
	buffer_store_dword v3, off, s[0:3], 0 offset:288
	;; [unrolled: 1-line block ×4, first 2 shown]
.LBB93_83:
	s_or_b32 exec_lo, exec_lo, s4
	v_mov_b32_e32 v4, s23
	s_waitcnt_vscnt null, 0x0
	s_barrier
	buffer_gl0_inv
	s_mov_b32 s4, exec_lo
	s_clause 0x3
	buffer_load_dword v1, v4, s[0:3], 0 offen
	buffer_load_dword v2, v4, s[0:3], 0 offen offset:4
	buffer_load_dword v3, v4, s[0:3], 0 offen offset:8
	buffer_load_dword v4, v4, s[0:3], 0 offen offset:12
	s_waitcnt vmcnt(0)
	ds_write_b128 v65, v[1:4]
	s_waitcnt lgkmcnt(0)
	s_barrier
	buffer_gl0_inv
	v_cmpx_gt_u32_e32 18, v0
	s_cbranch_execz .LBB93_87
; %bb.84:
	v_mov_b32_e32 v1, 0
	v_mov_b32_e32 v3, 0
	v_add_nc_u32_e32 v67, -1, v0
	v_add_nc_u32_e32 v68, 0x1e0, v71
	v_mov_b32_e32 v2, 0
	v_mov_b32_e32 v4, 0
	v_add_nc_u32_e32 v69, 16, v71
	s_mov_b32 s5, 0
	.p2align	6
.LBB93_85:                              ; =>This Inner Loop Header: Depth=1
	s_clause 0x3
	buffer_load_dword v76, v69, s[0:3], 0 offen offset:8
	buffer_load_dword v77, v69, s[0:3], 0 offen offset:12
	buffer_load_dword v78, v69, s[0:3], 0 offen
	buffer_load_dword v79, v69, s[0:3], 0 offen offset:4
	ds_read_b128 v[72:75], v68
	v_add_nc_u32_e32 v67, 1, v67
	v_add_nc_u32_e32 v68, 16, v68
	;; [unrolled: 1-line block ×3, first 2 shown]
	v_cmp_lt_u32_e32 vcc_lo, 16, v67
	s_or_b32 s5, vcc_lo, s5
	s_waitcnt vmcnt(2) lgkmcnt(0)
	v_mul_f64 v[80:81], v[74:75], v[76:77]
	v_mul_f64 v[76:77], v[72:73], v[76:77]
	s_waitcnt vmcnt(0)
	v_fma_f64 v[72:73], v[72:73], v[78:79], -v[80:81]
	v_fma_f64 v[74:75], v[74:75], v[78:79], v[76:77]
	v_add_f64 v[3:4], v[3:4], v[72:73]
	v_add_f64 v[1:2], v[1:2], v[74:75]
	s_andn2_b32 exec_lo, exec_lo, s5
	s_cbranch_execnz .LBB93_85
; %bb.86:
	s_or_b32 exec_lo, exec_lo, s5
	v_mov_b32_e32 v67, 0
	ds_read_b128 v[67:70], v67 offset:288
	s_waitcnt lgkmcnt(0)
	v_mul_f64 v[72:73], v[1:2], v[69:70]
	v_mul_f64 v[69:70], v[3:4], v[69:70]
	v_fma_f64 v[3:4], v[3:4], v[67:68], -v[72:73]
	v_fma_f64 v[1:2], v[1:2], v[67:68], v[69:70]
	buffer_store_dword v4, off, s[0:3], 0 offset:308
	buffer_store_dword v3, off, s[0:3], 0 offset:304
	;; [unrolled: 1-line block ×4, first 2 shown]
.LBB93_87:
	s_or_b32 exec_lo, exec_lo, s4
	v_mov_b32_e32 v4, s22
	s_waitcnt_vscnt null, 0x0
	s_barrier
	buffer_gl0_inv
	s_mov_b32 s4, exec_lo
	s_clause 0x3
	buffer_load_dword v1, v4, s[0:3], 0 offen
	buffer_load_dword v2, v4, s[0:3], 0 offen offset:4
	buffer_load_dword v3, v4, s[0:3], 0 offen offset:8
	buffer_load_dword v4, v4, s[0:3], 0 offen offset:12
	s_waitcnt vmcnt(0)
	ds_write_b128 v65, v[1:4]
	s_waitcnt lgkmcnt(0)
	s_barrier
	buffer_gl0_inv
	v_cmpx_gt_u32_e32 19, v0
	s_cbranch_execz .LBB93_91
; %bb.88:
	v_mov_b32_e32 v1, 0
	v_mov_b32_e32 v3, 0
	v_add_nc_u32_e32 v67, -1, v0
	v_add_nc_u32_e32 v68, 0x1e0, v71
	v_mov_b32_e32 v2, 0
	v_mov_b32_e32 v4, 0
	v_add_nc_u32_e32 v69, 16, v71
	s_mov_b32 s5, 0
	.p2align	6
.LBB93_89:                              ; =>This Inner Loop Header: Depth=1
	s_clause 0x3
	buffer_load_dword v76, v69, s[0:3], 0 offen offset:8
	buffer_load_dword v77, v69, s[0:3], 0 offen offset:12
	buffer_load_dword v78, v69, s[0:3], 0 offen
	buffer_load_dword v79, v69, s[0:3], 0 offen offset:4
	ds_read_b128 v[72:75], v68
	v_add_nc_u32_e32 v67, 1, v67
	v_add_nc_u32_e32 v68, 16, v68
	;; [unrolled: 1-line block ×3, first 2 shown]
	v_cmp_lt_u32_e32 vcc_lo, 17, v67
	s_or_b32 s5, vcc_lo, s5
	s_waitcnt vmcnt(2) lgkmcnt(0)
	v_mul_f64 v[80:81], v[74:75], v[76:77]
	v_mul_f64 v[76:77], v[72:73], v[76:77]
	s_waitcnt vmcnt(0)
	v_fma_f64 v[72:73], v[72:73], v[78:79], -v[80:81]
	v_fma_f64 v[74:75], v[74:75], v[78:79], v[76:77]
	v_add_f64 v[3:4], v[3:4], v[72:73]
	v_add_f64 v[1:2], v[1:2], v[74:75]
	s_andn2_b32 exec_lo, exec_lo, s5
	s_cbranch_execnz .LBB93_89
; %bb.90:
	s_or_b32 exec_lo, exec_lo, s5
	v_mov_b32_e32 v67, 0
	ds_read_b128 v[67:70], v67 offset:304
	s_waitcnt lgkmcnt(0)
	v_mul_f64 v[72:73], v[1:2], v[69:70]
	v_mul_f64 v[69:70], v[3:4], v[69:70]
	v_fma_f64 v[3:4], v[3:4], v[67:68], -v[72:73]
	v_fma_f64 v[1:2], v[1:2], v[67:68], v[69:70]
	buffer_store_dword v4, off, s[0:3], 0 offset:324
	buffer_store_dword v3, off, s[0:3], 0 offset:320
	;; [unrolled: 1-line block ×4, first 2 shown]
.LBB93_91:
	s_or_b32 exec_lo, exec_lo, s4
	v_mov_b32_e32 v4, s21
	s_waitcnt_vscnt null, 0x0
	s_barrier
	buffer_gl0_inv
	s_mov_b32 s4, exec_lo
	s_clause 0x3
	buffer_load_dword v1, v4, s[0:3], 0 offen
	buffer_load_dword v2, v4, s[0:3], 0 offen offset:4
	buffer_load_dword v3, v4, s[0:3], 0 offen offset:8
	;; [unrolled: 1-line block ×3, first 2 shown]
	s_waitcnt vmcnt(0)
	ds_write_b128 v65, v[1:4]
	s_waitcnt lgkmcnt(0)
	s_barrier
	buffer_gl0_inv
	v_cmpx_gt_u32_e32 20, v0
	s_cbranch_execz .LBB93_95
; %bb.92:
	v_mov_b32_e32 v1, 0
	v_mov_b32_e32 v3, 0
	v_add_nc_u32_e32 v67, -1, v0
	v_add_nc_u32_e32 v68, 0x1e0, v71
	v_mov_b32_e32 v2, 0
	v_mov_b32_e32 v4, 0
	v_add_nc_u32_e32 v69, 16, v71
	s_mov_b32 s5, 0
	.p2align	6
.LBB93_93:                              ; =>This Inner Loop Header: Depth=1
	s_clause 0x3
	buffer_load_dword v76, v69, s[0:3], 0 offen offset:8
	buffer_load_dword v77, v69, s[0:3], 0 offen offset:12
	buffer_load_dword v78, v69, s[0:3], 0 offen
	buffer_load_dword v79, v69, s[0:3], 0 offen offset:4
	ds_read_b128 v[72:75], v68
	v_add_nc_u32_e32 v67, 1, v67
	v_add_nc_u32_e32 v68, 16, v68
	;; [unrolled: 1-line block ×3, first 2 shown]
	v_cmp_lt_u32_e32 vcc_lo, 18, v67
	s_or_b32 s5, vcc_lo, s5
	s_waitcnt vmcnt(2) lgkmcnt(0)
	v_mul_f64 v[80:81], v[74:75], v[76:77]
	v_mul_f64 v[76:77], v[72:73], v[76:77]
	s_waitcnt vmcnt(0)
	v_fma_f64 v[72:73], v[72:73], v[78:79], -v[80:81]
	v_fma_f64 v[74:75], v[74:75], v[78:79], v[76:77]
	v_add_f64 v[3:4], v[3:4], v[72:73]
	v_add_f64 v[1:2], v[1:2], v[74:75]
	s_andn2_b32 exec_lo, exec_lo, s5
	s_cbranch_execnz .LBB93_93
; %bb.94:
	s_or_b32 exec_lo, exec_lo, s5
	v_mov_b32_e32 v67, 0
	ds_read_b128 v[67:70], v67 offset:320
	s_waitcnt lgkmcnt(0)
	v_mul_f64 v[72:73], v[1:2], v[69:70]
	v_mul_f64 v[69:70], v[3:4], v[69:70]
	v_fma_f64 v[3:4], v[3:4], v[67:68], -v[72:73]
	v_fma_f64 v[1:2], v[1:2], v[67:68], v[69:70]
	buffer_store_dword v4, off, s[0:3], 0 offset:340
	buffer_store_dword v3, off, s[0:3], 0 offset:336
	buffer_store_dword v2, off, s[0:3], 0 offset:348
	buffer_store_dword v1, off, s[0:3], 0 offset:344
.LBB93_95:
	s_or_b32 exec_lo, exec_lo, s4
	v_mov_b32_e32 v4, s20
	s_waitcnt_vscnt null, 0x0
	s_barrier
	buffer_gl0_inv
	s_mov_b32 s4, exec_lo
	s_clause 0x3
	buffer_load_dword v1, v4, s[0:3], 0 offen
	buffer_load_dword v2, v4, s[0:3], 0 offen offset:4
	buffer_load_dword v3, v4, s[0:3], 0 offen offset:8
	;; [unrolled: 1-line block ×3, first 2 shown]
	s_waitcnt vmcnt(0)
	ds_write_b128 v65, v[1:4]
	s_waitcnt lgkmcnt(0)
	s_barrier
	buffer_gl0_inv
	v_cmpx_gt_u32_e32 21, v0
	s_cbranch_execz .LBB93_99
; %bb.96:
	v_mov_b32_e32 v1, 0
	v_mov_b32_e32 v3, 0
	v_add_nc_u32_e32 v67, -1, v0
	v_add_nc_u32_e32 v68, 0x1e0, v71
	v_mov_b32_e32 v2, 0
	v_mov_b32_e32 v4, 0
	v_add_nc_u32_e32 v69, 16, v71
	s_mov_b32 s5, 0
	.p2align	6
.LBB93_97:                              ; =>This Inner Loop Header: Depth=1
	s_clause 0x3
	buffer_load_dword v76, v69, s[0:3], 0 offen offset:8
	buffer_load_dword v77, v69, s[0:3], 0 offen offset:12
	buffer_load_dword v78, v69, s[0:3], 0 offen
	buffer_load_dword v79, v69, s[0:3], 0 offen offset:4
	ds_read_b128 v[72:75], v68
	v_add_nc_u32_e32 v67, 1, v67
	v_add_nc_u32_e32 v68, 16, v68
	;; [unrolled: 1-line block ×3, first 2 shown]
	v_cmp_lt_u32_e32 vcc_lo, 19, v67
	s_or_b32 s5, vcc_lo, s5
	s_waitcnt vmcnt(2) lgkmcnt(0)
	v_mul_f64 v[80:81], v[74:75], v[76:77]
	v_mul_f64 v[76:77], v[72:73], v[76:77]
	s_waitcnt vmcnt(0)
	v_fma_f64 v[72:73], v[72:73], v[78:79], -v[80:81]
	v_fma_f64 v[74:75], v[74:75], v[78:79], v[76:77]
	v_add_f64 v[3:4], v[3:4], v[72:73]
	v_add_f64 v[1:2], v[1:2], v[74:75]
	s_andn2_b32 exec_lo, exec_lo, s5
	s_cbranch_execnz .LBB93_97
; %bb.98:
	s_or_b32 exec_lo, exec_lo, s5
	v_mov_b32_e32 v67, 0
	ds_read_b128 v[67:70], v67 offset:336
	s_waitcnt lgkmcnt(0)
	v_mul_f64 v[72:73], v[1:2], v[69:70]
	v_mul_f64 v[69:70], v[3:4], v[69:70]
	v_fma_f64 v[3:4], v[3:4], v[67:68], -v[72:73]
	v_fma_f64 v[1:2], v[1:2], v[67:68], v[69:70]
	buffer_store_dword v4, off, s[0:3], 0 offset:356
	buffer_store_dword v3, off, s[0:3], 0 offset:352
	;; [unrolled: 1-line block ×4, first 2 shown]
.LBB93_99:
	s_or_b32 exec_lo, exec_lo, s4
	v_mov_b32_e32 v4, s19
	s_waitcnt_vscnt null, 0x0
	s_barrier
	buffer_gl0_inv
	s_mov_b32 s4, exec_lo
	s_clause 0x3
	buffer_load_dword v1, v4, s[0:3], 0 offen
	buffer_load_dword v2, v4, s[0:3], 0 offen offset:4
	buffer_load_dword v3, v4, s[0:3], 0 offen offset:8
	;; [unrolled: 1-line block ×3, first 2 shown]
	s_waitcnt vmcnt(0)
	ds_write_b128 v65, v[1:4]
	s_waitcnt lgkmcnt(0)
	s_barrier
	buffer_gl0_inv
	v_cmpx_gt_u32_e32 22, v0
	s_cbranch_execz .LBB93_103
; %bb.100:
	v_mov_b32_e32 v1, 0
	v_mov_b32_e32 v3, 0
	v_add_nc_u32_e32 v67, -1, v0
	v_add_nc_u32_e32 v68, 0x1e0, v71
	v_mov_b32_e32 v2, 0
	v_mov_b32_e32 v4, 0
	v_add_nc_u32_e32 v69, 16, v71
	s_mov_b32 s5, 0
	.p2align	6
.LBB93_101:                             ; =>This Inner Loop Header: Depth=1
	s_clause 0x3
	buffer_load_dword v76, v69, s[0:3], 0 offen offset:8
	buffer_load_dword v77, v69, s[0:3], 0 offen offset:12
	buffer_load_dword v78, v69, s[0:3], 0 offen
	buffer_load_dword v79, v69, s[0:3], 0 offen offset:4
	ds_read_b128 v[72:75], v68
	v_add_nc_u32_e32 v67, 1, v67
	v_add_nc_u32_e32 v68, 16, v68
	;; [unrolled: 1-line block ×3, first 2 shown]
	v_cmp_lt_u32_e32 vcc_lo, 20, v67
	s_or_b32 s5, vcc_lo, s5
	s_waitcnt vmcnt(2) lgkmcnt(0)
	v_mul_f64 v[80:81], v[74:75], v[76:77]
	v_mul_f64 v[76:77], v[72:73], v[76:77]
	s_waitcnt vmcnt(0)
	v_fma_f64 v[72:73], v[72:73], v[78:79], -v[80:81]
	v_fma_f64 v[74:75], v[74:75], v[78:79], v[76:77]
	v_add_f64 v[3:4], v[3:4], v[72:73]
	v_add_f64 v[1:2], v[1:2], v[74:75]
	s_andn2_b32 exec_lo, exec_lo, s5
	s_cbranch_execnz .LBB93_101
; %bb.102:
	s_or_b32 exec_lo, exec_lo, s5
	v_mov_b32_e32 v67, 0
	ds_read_b128 v[67:70], v67 offset:352
	s_waitcnt lgkmcnt(0)
	v_mul_f64 v[72:73], v[1:2], v[69:70]
	v_mul_f64 v[69:70], v[3:4], v[69:70]
	v_fma_f64 v[3:4], v[3:4], v[67:68], -v[72:73]
	v_fma_f64 v[1:2], v[1:2], v[67:68], v[69:70]
	buffer_store_dword v4, off, s[0:3], 0 offset:372
	buffer_store_dword v3, off, s[0:3], 0 offset:368
	;; [unrolled: 1-line block ×4, first 2 shown]
.LBB93_103:
	s_or_b32 exec_lo, exec_lo, s4
	v_mov_b32_e32 v4, s18
	s_waitcnt_vscnt null, 0x0
	s_barrier
	buffer_gl0_inv
	s_mov_b32 s4, exec_lo
	s_clause 0x3
	buffer_load_dword v1, v4, s[0:3], 0 offen
	buffer_load_dword v2, v4, s[0:3], 0 offen offset:4
	buffer_load_dword v3, v4, s[0:3], 0 offen offset:8
	;; [unrolled: 1-line block ×3, first 2 shown]
	s_waitcnt vmcnt(0)
	ds_write_b128 v65, v[1:4]
	s_waitcnt lgkmcnt(0)
	s_barrier
	buffer_gl0_inv
	v_cmpx_gt_u32_e32 23, v0
	s_cbranch_execz .LBB93_107
; %bb.104:
	v_mov_b32_e32 v1, 0
	v_mov_b32_e32 v3, 0
	v_add_nc_u32_e32 v67, -1, v0
	v_add_nc_u32_e32 v68, 0x1e0, v71
	v_mov_b32_e32 v2, 0
	v_mov_b32_e32 v4, 0
	v_add_nc_u32_e32 v69, 16, v71
	s_mov_b32 s5, 0
	.p2align	6
.LBB93_105:                             ; =>This Inner Loop Header: Depth=1
	s_clause 0x3
	buffer_load_dword v76, v69, s[0:3], 0 offen offset:8
	buffer_load_dword v77, v69, s[0:3], 0 offen offset:12
	buffer_load_dword v78, v69, s[0:3], 0 offen
	buffer_load_dword v79, v69, s[0:3], 0 offen offset:4
	ds_read_b128 v[72:75], v68
	v_add_nc_u32_e32 v67, 1, v67
	v_add_nc_u32_e32 v68, 16, v68
	;; [unrolled: 1-line block ×3, first 2 shown]
	v_cmp_lt_u32_e32 vcc_lo, 21, v67
	s_or_b32 s5, vcc_lo, s5
	s_waitcnt vmcnt(2) lgkmcnt(0)
	v_mul_f64 v[80:81], v[74:75], v[76:77]
	v_mul_f64 v[76:77], v[72:73], v[76:77]
	s_waitcnt vmcnt(0)
	v_fma_f64 v[72:73], v[72:73], v[78:79], -v[80:81]
	v_fma_f64 v[74:75], v[74:75], v[78:79], v[76:77]
	v_add_f64 v[3:4], v[3:4], v[72:73]
	v_add_f64 v[1:2], v[1:2], v[74:75]
	s_andn2_b32 exec_lo, exec_lo, s5
	s_cbranch_execnz .LBB93_105
; %bb.106:
	s_or_b32 exec_lo, exec_lo, s5
	v_mov_b32_e32 v67, 0
	ds_read_b128 v[67:70], v67 offset:368
	s_waitcnt lgkmcnt(0)
	v_mul_f64 v[72:73], v[1:2], v[69:70]
	v_mul_f64 v[69:70], v[3:4], v[69:70]
	v_fma_f64 v[3:4], v[3:4], v[67:68], -v[72:73]
	v_fma_f64 v[1:2], v[1:2], v[67:68], v[69:70]
	buffer_store_dword v4, off, s[0:3], 0 offset:388
	buffer_store_dword v3, off, s[0:3], 0 offset:384
	;; [unrolled: 1-line block ×4, first 2 shown]
.LBB93_107:
	s_or_b32 exec_lo, exec_lo, s4
	v_mov_b32_e32 v4, s17
	s_waitcnt_vscnt null, 0x0
	s_barrier
	buffer_gl0_inv
	s_mov_b32 s4, exec_lo
	s_clause 0x3
	buffer_load_dword v1, v4, s[0:3], 0 offen
	buffer_load_dword v2, v4, s[0:3], 0 offen offset:4
	buffer_load_dword v3, v4, s[0:3], 0 offen offset:8
	;; [unrolled: 1-line block ×3, first 2 shown]
	s_waitcnt vmcnt(0)
	ds_write_b128 v65, v[1:4]
	s_waitcnt lgkmcnt(0)
	s_barrier
	buffer_gl0_inv
	v_cmpx_gt_u32_e32 24, v0
	s_cbranch_execz .LBB93_111
; %bb.108:
	v_mov_b32_e32 v1, 0
	v_mov_b32_e32 v3, 0
	v_add_nc_u32_e32 v67, -1, v0
	v_add_nc_u32_e32 v68, 0x1e0, v71
	v_mov_b32_e32 v2, 0
	v_mov_b32_e32 v4, 0
	v_add_nc_u32_e32 v69, 16, v71
	s_mov_b32 s5, 0
	.p2align	6
.LBB93_109:                             ; =>This Inner Loop Header: Depth=1
	s_clause 0x3
	buffer_load_dword v76, v69, s[0:3], 0 offen offset:8
	buffer_load_dword v77, v69, s[0:3], 0 offen offset:12
	buffer_load_dword v78, v69, s[0:3], 0 offen
	buffer_load_dword v79, v69, s[0:3], 0 offen offset:4
	ds_read_b128 v[72:75], v68
	v_add_nc_u32_e32 v67, 1, v67
	v_add_nc_u32_e32 v68, 16, v68
	;; [unrolled: 1-line block ×3, first 2 shown]
	v_cmp_lt_u32_e32 vcc_lo, 22, v67
	s_or_b32 s5, vcc_lo, s5
	s_waitcnt vmcnt(2) lgkmcnt(0)
	v_mul_f64 v[80:81], v[74:75], v[76:77]
	v_mul_f64 v[76:77], v[72:73], v[76:77]
	s_waitcnt vmcnt(0)
	v_fma_f64 v[72:73], v[72:73], v[78:79], -v[80:81]
	v_fma_f64 v[74:75], v[74:75], v[78:79], v[76:77]
	v_add_f64 v[3:4], v[3:4], v[72:73]
	v_add_f64 v[1:2], v[1:2], v[74:75]
	s_andn2_b32 exec_lo, exec_lo, s5
	s_cbranch_execnz .LBB93_109
; %bb.110:
	s_or_b32 exec_lo, exec_lo, s5
	v_mov_b32_e32 v67, 0
	ds_read_b128 v[67:70], v67 offset:384
	s_waitcnt lgkmcnt(0)
	v_mul_f64 v[72:73], v[1:2], v[69:70]
	v_mul_f64 v[69:70], v[3:4], v[69:70]
	v_fma_f64 v[3:4], v[3:4], v[67:68], -v[72:73]
	v_fma_f64 v[1:2], v[1:2], v[67:68], v[69:70]
	buffer_store_dword v4, off, s[0:3], 0 offset:404
	buffer_store_dword v3, off, s[0:3], 0 offset:400
	;; [unrolled: 1-line block ×4, first 2 shown]
.LBB93_111:
	s_or_b32 exec_lo, exec_lo, s4
	v_mov_b32_e32 v4, s16
	s_waitcnt_vscnt null, 0x0
	s_barrier
	buffer_gl0_inv
	s_mov_b32 s4, exec_lo
	s_clause 0x3
	buffer_load_dword v1, v4, s[0:3], 0 offen
	buffer_load_dword v2, v4, s[0:3], 0 offen offset:4
	buffer_load_dword v3, v4, s[0:3], 0 offen offset:8
	;; [unrolled: 1-line block ×3, first 2 shown]
	s_waitcnt vmcnt(0)
	ds_write_b128 v65, v[1:4]
	s_waitcnt lgkmcnt(0)
	s_barrier
	buffer_gl0_inv
	v_cmpx_gt_u32_e32 25, v0
	s_cbranch_execz .LBB93_115
; %bb.112:
	v_mov_b32_e32 v1, 0
	v_mov_b32_e32 v3, 0
	v_add_nc_u32_e32 v67, -1, v0
	v_add_nc_u32_e32 v68, 0x1e0, v71
	v_mov_b32_e32 v2, 0
	v_mov_b32_e32 v4, 0
	v_add_nc_u32_e32 v69, 16, v71
	s_mov_b32 s5, 0
	.p2align	6
.LBB93_113:                             ; =>This Inner Loop Header: Depth=1
	s_clause 0x3
	buffer_load_dword v76, v69, s[0:3], 0 offen offset:8
	buffer_load_dword v77, v69, s[0:3], 0 offen offset:12
	buffer_load_dword v78, v69, s[0:3], 0 offen
	buffer_load_dword v79, v69, s[0:3], 0 offen offset:4
	ds_read_b128 v[72:75], v68
	v_add_nc_u32_e32 v67, 1, v67
	v_add_nc_u32_e32 v68, 16, v68
	;; [unrolled: 1-line block ×3, first 2 shown]
	v_cmp_lt_u32_e32 vcc_lo, 23, v67
	s_or_b32 s5, vcc_lo, s5
	s_waitcnt vmcnt(2) lgkmcnt(0)
	v_mul_f64 v[80:81], v[74:75], v[76:77]
	v_mul_f64 v[76:77], v[72:73], v[76:77]
	s_waitcnt vmcnt(0)
	v_fma_f64 v[72:73], v[72:73], v[78:79], -v[80:81]
	v_fma_f64 v[74:75], v[74:75], v[78:79], v[76:77]
	v_add_f64 v[3:4], v[3:4], v[72:73]
	v_add_f64 v[1:2], v[1:2], v[74:75]
	s_andn2_b32 exec_lo, exec_lo, s5
	s_cbranch_execnz .LBB93_113
; %bb.114:
	s_or_b32 exec_lo, exec_lo, s5
	v_mov_b32_e32 v67, 0
	ds_read_b128 v[67:70], v67 offset:400
	s_waitcnt lgkmcnt(0)
	v_mul_f64 v[72:73], v[1:2], v[69:70]
	v_mul_f64 v[69:70], v[3:4], v[69:70]
	v_fma_f64 v[3:4], v[3:4], v[67:68], -v[72:73]
	v_fma_f64 v[1:2], v[1:2], v[67:68], v[69:70]
	buffer_store_dword v4, off, s[0:3], 0 offset:420
	buffer_store_dword v3, off, s[0:3], 0 offset:416
	;; [unrolled: 1-line block ×4, first 2 shown]
.LBB93_115:
	s_or_b32 exec_lo, exec_lo, s4
	v_mov_b32_e32 v4, s15
	s_waitcnt_vscnt null, 0x0
	s_barrier
	buffer_gl0_inv
	s_mov_b32 s4, exec_lo
	s_clause 0x3
	buffer_load_dword v1, v4, s[0:3], 0 offen
	buffer_load_dword v2, v4, s[0:3], 0 offen offset:4
	buffer_load_dword v3, v4, s[0:3], 0 offen offset:8
	;; [unrolled: 1-line block ×3, first 2 shown]
	s_waitcnt vmcnt(0)
	ds_write_b128 v65, v[1:4]
	s_waitcnt lgkmcnt(0)
	s_barrier
	buffer_gl0_inv
	v_cmpx_gt_u32_e32 26, v0
	s_cbranch_execz .LBB93_119
; %bb.116:
	v_mov_b32_e32 v1, 0
	v_mov_b32_e32 v3, 0
	v_add_nc_u32_e32 v67, -1, v0
	v_add_nc_u32_e32 v68, 0x1e0, v71
	v_mov_b32_e32 v2, 0
	v_mov_b32_e32 v4, 0
	v_add_nc_u32_e32 v69, 16, v71
	s_mov_b32 s5, 0
	.p2align	6
.LBB93_117:                             ; =>This Inner Loop Header: Depth=1
	s_clause 0x3
	buffer_load_dword v76, v69, s[0:3], 0 offen offset:8
	buffer_load_dword v77, v69, s[0:3], 0 offen offset:12
	buffer_load_dword v78, v69, s[0:3], 0 offen
	buffer_load_dword v79, v69, s[0:3], 0 offen offset:4
	ds_read_b128 v[72:75], v68
	v_add_nc_u32_e32 v67, 1, v67
	v_add_nc_u32_e32 v68, 16, v68
	v_add_nc_u32_e32 v69, 16, v69
	v_cmp_lt_u32_e32 vcc_lo, 24, v67
	s_or_b32 s5, vcc_lo, s5
	s_waitcnt vmcnt(2) lgkmcnt(0)
	v_mul_f64 v[80:81], v[74:75], v[76:77]
	v_mul_f64 v[76:77], v[72:73], v[76:77]
	s_waitcnt vmcnt(0)
	v_fma_f64 v[72:73], v[72:73], v[78:79], -v[80:81]
	v_fma_f64 v[74:75], v[74:75], v[78:79], v[76:77]
	v_add_f64 v[3:4], v[3:4], v[72:73]
	v_add_f64 v[1:2], v[1:2], v[74:75]
	s_andn2_b32 exec_lo, exec_lo, s5
	s_cbranch_execnz .LBB93_117
; %bb.118:
	s_or_b32 exec_lo, exec_lo, s5
	v_mov_b32_e32 v67, 0
	ds_read_b128 v[67:70], v67 offset:416
	s_waitcnt lgkmcnt(0)
	v_mul_f64 v[72:73], v[1:2], v[69:70]
	v_mul_f64 v[69:70], v[3:4], v[69:70]
	v_fma_f64 v[3:4], v[3:4], v[67:68], -v[72:73]
	v_fma_f64 v[1:2], v[1:2], v[67:68], v[69:70]
	buffer_store_dword v4, off, s[0:3], 0 offset:436
	buffer_store_dword v3, off, s[0:3], 0 offset:432
	;; [unrolled: 1-line block ×4, first 2 shown]
.LBB93_119:
	s_or_b32 exec_lo, exec_lo, s4
	v_mov_b32_e32 v4, s14
	s_waitcnt_vscnt null, 0x0
	s_barrier
	buffer_gl0_inv
	s_mov_b32 s4, exec_lo
	s_clause 0x3
	buffer_load_dword v1, v4, s[0:3], 0 offen
	buffer_load_dword v2, v4, s[0:3], 0 offen offset:4
	buffer_load_dword v3, v4, s[0:3], 0 offen offset:8
	buffer_load_dword v4, v4, s[0:3], 0 offen offset:12
	s_waitcnt vmcnt(0)
	ds_write_b128 v65, v[1:4]
	s_waitcnt lgkmcnt(0)
	s_barrier
	buffer_gl0_inv
	v_cmpx_gt_u32_e32 27, v0
	s_cbranch_execz .LBB93_123
; %bb.120:
	v_mov_b32_e32 v1, 0
	v_mov_b32_e32 v3, 0
	v_add_nc_u32_e32 v67, -1, v0
	v_add_nc_u32_e32 v68, 0x1e0, v71
	v_mov_b32_e32 v2, 0
	v_mov_b32_e32 v4, 0
	v_add_nc_u32_e32 v69, 16, v71
	s_mov_b32 s5, 0
	.p2align	6
.LBB93_121:                             ; =>This Inner Loop Header: Depth=1
	s_clause 0x3
	buffer_load_dword v76, v69, s[0:3], 0 offen offset:8
	buffer_load_dword v77, v69, s[0:3], 0 offen offset:12
	buffer_load_dword v78, v69, s[0:3], 0 offen
	buffer_load_dword v79, v69, s[0:3], 0 offen offset:4
	ds_read_b128 v[72:75], v68
	v_add_nc_u32_e32 v67, 1, v67
	v_add_nc_u32_e32 v68, 16, v68
	;; [unrolled: 1-line block ×3, first 2 shown]
	v_cmp_lt_u32_e32 vcc_lo, 25, v67
	s_or_b32 s5, vcc_lo, s5
	s_waitcnt vmcnt(2) lgkmcnt(0)
	v_mul_f64 v[80:81], v[74:75], v[76:77]
	v_mul_f64 v[76:77], v[72:73], v[76:77]
	s_waitcnt vmcnt(0)
	v_fma_f64 v[72:73], v[72:73], v[78:79], -v[80:81]
	v_fma_f64 v[74:75], v[74:75], v[78:79], v[76:77]
	v_add_f64 v[3:4], v[3:4], v[72:73]
	v_add_f64 v[1:2], v[1:2], v[74:75]
	s_andn2_b32 exec_lo, exec_lo, s5
	s_cbranch_execnz .LBB93_121
; %bb.122:
	s_or_b32 exec_lo, exec_lo, s5
	v_mov_b32_e32 v67, 0
	ds_read_b128 v[67:70], v67 offset:432
	s_waitcnt lgkmcnt(0)
	v_mul_f64 v[72:73], v[1:2], v[69:70]
	v_mul_f64 v[69:70], v[3:4], v[69:70]
	v_fma_f64 v[3:4], v[3:4], v[67:68], -v[72:73]
	v_fma_f64 v[1:2], v[1:2], v[67:68], v[69:70]
	buffer_store_dword v4, off, s[0:3], 0 offset:452
	buffer_store_dword v3, off, s[0:3], 0 offset:448
	buffer_store_dword v2, off, s[0:3], 0 offset:460
	buffer_store_dword v1, off, s[0:3], 0 offset:456
.LBB93_123:
	s_or_b32 exec_lo, exec_lo, s4
	v_mov_b32_e32 v4, s9
	s_waitcnt_vscnt null, 0x0
	s_barrier
	buffer_gl0_inv
	s_mov_b32 s4, exec_lo
	s_clause 0x3
	buffer_load_dword v1, v4, s[0:3], 0 offen
	buffer_load_dword v2, v4, s[0:3], 0 offen offset:4
	buffer_load_dword v3, v4, s[0:3], 0 offen offset:8
	;; [unrolled: 1-line block ×3, first 2 shown]
	s_waitcnt vmcnt(0)
	ds_write_b128 v65, v[1:4]
	s_waitcnt lgkmcnt(0)
	s_barrier
	buffer_gl0_inv
	v_cmpx_gt_u32_e32 28, v0
	s_cbranch_execz .LBB93_127
; %bb.124:
	v_mov_b32_e32 v1, 0
	v_mov_b32_e32 v3, 0
	v_add_nc_u32_e32 v67, -1, v0
	v_add_nc_u32_e32 v68, 0x1e0, v71
	v_mov_b32_e32 v2, 0
	v_mov_b32_e32 v4, 0
	v_add_nc_u32_e32 v69, 16, v71
	s_mov_b32 s5, 0
	.p2align	6
.LBB93_125:                             ; =>This Inner Loop Header: Depth=1
	s_clause 0x3
	buffer_load_dword v76, v69, s[0:3], 0 offen offset:8
	buffer_load_dword v77, v69, s[0:3], 0 offen offset:12
	buffer_load_dword v78, v69, s[0:3], 0 offen
	buffer_load_dword v79, v69, s[0:3], 0 offen offset:4
	ds_read_b128 v[72:75], v68
	v_add_nc_u32_e32 v67, 1, v67
	v_add_nc_u32_e32 v68, 16, v68
	;; [unrolled: 1-line block ×3, first 2 shown]
	v_cmp_lt_u32_e32 vcc_lo, 26, v67
	s_or_b32 s5, vcc_lo, s5
	s_waitcnt vmcnt(2) lgkmcnt(0)
	v_mul_f64 v[80:81], v[74:75], v[76:77]
	v_mul_f64 v[76:77], v[72:73], v[76:77]
	s_waitcnt vmcnt(0)
	v_fma_f64 v[72:73], v[72:73], v[78:79], -v[80:81]
	v_fma_f64 v[74:75], v[74:75], v[78:79], v[76:77]
	v_add_f64 v[3:4], v[3:4], v[72:73]
	v_add_f64 v[1:2], v[1:2], v[74:75]
	s_andn2_b32 exec_lo, exec_lo, s5
	s_cbranch_execnz .LBB93_125
; %bb.126:
	s_or_b32 exec_lo, exec_lo, s5
	v_mov_b32_e32 v67, 0
	ds_read_b128 v[67:70], v67 offset:448
	s_waitcnt lgkmcnt(0)
	v_mul_f64 v[72:73], v[1:2], v[69:70]
	v_mul_f64 v[69:70], v[3:4], v[69:70]
	v_fma_f64 v[3:4], v[3:4], v[67:68], -v[72:73]
	v_fma_f64 v[1:2], v[1:2], v[67:68], v[69:70]
	buffer_store_dword v4, off, s[0:3], 0 offset:468
	buffer_store_dword v3, off, s[0:3], 0 offset:464
	;; [unrolled: 1-line block ×4, first 2 shown]
.LBB93_127:
	s_or_b32 exec_lo, exec_lo, s4
	v_mov_b32_e32 v4, s8
	s_waitcnt_vscnt null, 0x0
	s_barrier
	buffer_gl0_inv
	s_mov_b32 s4, exec_lo
	s_clause 0x3
	buffer_load_dword v1, v4, s[0:3], 0 offen
	buffer_load_dword v2, v4, s[0:3], 0 offen offset:4
	buffer_load_dword v3, v4, s[0:3], 0 offen offset:8
	;; [unrolled: 1-line block ×3, first 2 shown]
	s_waitcnt vmcnt(0)
	ds_write_b128 v65, v[1:4]
	s_waitcnt lgkmcnt(0)
	s_barrier
	buffer_gl0_inv
	v_cmpx_ne_u32_e32 29, v0
	s_cbranch_execz .LBB93_131
; %bb.128:
	v_mov_b32_e32 v1, 0
	v_mov_b32_e32 v3, 0
	;; [unrolled: 1-line block ×4, first 2 shown]
	v_add_nc_u32_e32 v67, 16, v71
	s_mov_b32 s5, 0
	.p2align	6
.LBB93_129:                             ; =>This Inner Loop Header: Depth=1
	s_clause 0x3
	buffer_load_dword v72, v67, s[0:3], 0 offen offset:8
	buffer_load_dword v73, v67, s[0:3], 0 offen offset:12
	buffer_load_dword v74, v67, s[0:3], 0 offen
	buffer_load_dword v75, v67, s[0:3], 0 offen offset:4
	ds_read_b128 v[68:71], v65
	v_add_nc_u32_e32 v66, 1, v66
	v_add_nc_u32_e32 v65, 16, v65
	;; [unrolled: 1-line block ×3, first 2 shown]
	v_cmp_lt_u32_e32 vcc_lo, 27, v66
	s_or_b32 s5, vcc_lo, s5
	s_waitcnt vmcnt(2) lgkmcnt(0)
	v_mul_f64 v[76:77], v[70:71], v[72:73]
	v_mul_f64 v[72:73], v[68:69], v[72:73]
	s_waitcnt vmcnt(0)
	v_fma_f64 v[68:69], v[68:69], v[74:75], -v[76:77]
	v_fma_f64 v[70:71], v[70:71], v[74:75], v[72:73]
	v_add_f64 v[3:4], v[3:4], v[68:69]
	v_add_f64 v[1:2], v[1:2], v[70:71]
	s_andn2_b32 exec_lo, exec_lo, s5
	s_cbranch_execnz .LBB93_129
; %bb.130:
	s_or_b32 exec_lo, exec_lo, s5
	v_mov_b32_e32 v65, 0
	ds_read_b128 v[65:68], v65 offset:464
	s_waitcnt lgkmcnt(0)
	v_mul_f64 v[69:70], v[1:2], v[67:68]
	v_mul_f64 v[67:68], v[3:4], v[67:68]
	v_fma_f64 v[3:4], v[3:4], v[65:66], -v[69:70]
	v_fma_f64 v[1:2], v[1:2], v[65:66], v[67:68]
	buffer_store_dword v4, off, s[0:3], 0 offset:484
	buffer_store_dword v3, off, s[0:3], 0 offset:480
	;; [unrolled: 1-line block ×4, first 2 shown]
.LBB93_131:
	s_or_b32 exec_lo, exec_lo, s4
	s_mov_b32 s5, -1
	s_waitcnt_vscnt null, 0x0
	s_barrier
	buffer_gl0_inv
.LBB93_132:
	s_and_b32 vcc_lo, exec_lo, s5
	s_cbranch_vccz .LBB93_134
; %bb.133:
	s_lshl_b64 s[4:5], s[6:7], 2
	v_mov_b32_e32 v1, 0
	s_add_u32 s4, s10, s4
	s_addc_u32 s5, s11, s5
	global_load_dword v1, v1, s[4:5]
	s_waitcnt vmcnt(0)
	v_cmp_ne_u32_e32 vcc_lo, 0, v1
	s_cbranch_vccz .LBB93_135
.LBB93_134:
	s_endpgm
.LBB93_135:
	v_lshl_add_u32 v1, v0, 4, 0x1e0
	s_mov_b32 s4, exec_lo
	v_cmpx_eq_u32_e32 29, v0
	s_cbranch_execz .LBB93_137
; %bb.136:
	v_mov_b32_e32 v2, s9
	s_clause 0x3
	buffer_load_dword v65, v2, s[0:3], 0 offen
	buffer_load_dword v66, v2, s[0:3], 0 offen offset:4
	buffer_load_dword v67, v2, s[0:3], 0 offen offset:8
	;; [unrolled: 1-line block ×3, first 2 shown]
	v_mov_b32_e32 v2, 0
	buffer_store_dword v2, off, s[0:3], 0 offset:464
	buffer_store_dword v2, off, s[0:3], 0 offset:468
	;; [unrolled: 1-line block ×4, first 2 shown]
	s_waitcnt vmcnt(0)
	ds_write_b128 v1, v[65:68]
.LBB93_137:
	s_or_b32 exec_lo, exec_lo, s4
	s_waitcnt lgkmcnt(0)
	s_waitcnt_vscnt null, 0x0
	s_barrier
	buffer_gl0_inv
	s_clause 0x7
	buffer_load_dword v3, off, s[0:3], 0 offset:488
	buffer_load_dword v4, off, s[0:3], 0 offset:492
	buffer_load_dword v69, off, s[0:3], 0 offset:480
	buffer_load_dword v70, off, s[0:3], 0 offset:484
	buffer_load_dword v71, off, s[0:3], 0 offset:464
	buffer_load_dword v72, off, s[0:3], 0 offset:468
	buffer_load_dword v73, off, s[0:3], 0 offset:472
	buffer_load_dword v74, off, s[0:3], 0 offset:476
	v_mov_b32_e32 v2, 0
	s_mov_b32 s4, exec_lo
	ds_read_b128 v[65:68], v2 offset:944
	s_waitcnt vmcnt(6) lgkmcnt(0)
	v_mul_f64 v[75:76], v[67:68], v[3:4]
	v_mul_f64 v[3:4], v[65:66], v[3:4]
	s_waitcnt vmcnt(4)
	v_fma_f64 v[65:66], v[65:66], v[69:70], -v[75:76]
	v_fma_f64 v[3:4], v[67:68], v[69:70], v[3:4]
	v_add_f64 v[65:66], v[65:66], 0
	v_add_f64 v[3:4], v[3:4], 0
	s_waitcnt vmcnt(2)
	v_add_f64 v[65:66], v[71:72], -v[65:66]
	s_waitcnt vmcnt(0)
	v_add_f64 v[3:4], v[73:74], -v[3:4]
	buffer_store_dword v65, off, s[0:3], 0 offset:464
	buffer_store_dword v66, off, s[0:3], 0 offset:468
	;; [unrolled: 1-line block ×4, first 2 shown]
	v_cmpx_lt_u32_e32 27, v0
	s_cbranch_execz .LBB93_139
; %bb.138:
	v_mov_b32_e32 v3, s14
	s_clause 0x3
	buffer_load_dword v65, v3, s[0:3], 0 offen
	buffer_load_dword v66, v3, s[0:3], 0 offen offset:4
	buffer_load_dword v67, v3, s[0:3], 0 offen offset:8
	;; [unrolled: 1-line block ×3, first 2 shown]
	buffer_store_dword v2, off, s[0:3], 0 offset:448
	buffer_store_dword v2, off, s[0:3], 0 offset:452
	;; [unrolled: 1-line block ×4, first 2 shown]
	s_waitcnt vmcnt(0)
	ds_write_b128 v1, v[65:68]
.LBB93_139:
	s_or_b32 exec_lo, exec_lo, s4
	s_waitcnt lgkmcnt(0)
	s_waitcnt_vscnt null, 0x0
	s_barrier
	buffer_gl0_inv
	s_clause 0xb
	buffer_load_dword v3, off, s[0:3], 0 offset:472
	buffer_load_dword v4, off, s[0:3], 0 offset:476
	;; [unrolled: 1-line block ×12, first 2 shown]
	ds_read_b128 v[65:68], v2 offset:928
	ds_read_b128 v[69:72], v2 offset:944
	s_mov_b32 s4, exec_lo
	s_waitcnt vmcnt(10) lgkmcnt(1)
	v_mul_f64 v[83:84], v[67:68], v[3:4]
	v_mul_f64 v[2:3], v[65:66], v[3:4]
	s_waitcnt vmcnt(8) lgkmcnt(0)
	v_mul_f64 v[85:86], v[71:72], v[73:74]
	v_mul_f64 v[73:74], v[69:70], v[73:74]
	s_waitcnt vmcnt(6)
	v_fma_f64 v[65:66], v[65:66], v[75:76], -v[83:84]
	v_fma_f64 v[2:3], v[67:68], v[75:76], v[2:3]
	s_waitcnt vmcnt(4)
	v_fma_f64 v[67:68], v[69:70], v[77:78], -v[85:86]
	v_fma_f64 v[69:70], v[71:72], v[77:78], v[73:74]
	v_add_f64 v[65:66], v[65:66], 0
	v_add_f64 v[2:3], v[2:3], 0
	;; [unrolled: 1-line block ×4, first 2 shown]
	s_waitcnt vmcnt(2)
	v_add_f64 v[65:66], v[79:80], -v[65:66]
	s_waitcnt vmcnt(0)
	v_add_f64 v[2:3], v[81:82], -v[2:3]
	buffer_store_dword v65, off, s[0:3], 0 offset:448
	buffer_store_dword v66, off, s[0:3], 0 offset:452
	;; [unrolled: 1-line block ×4, first 2 shown]
	v_cmpx_lt_u32_e32 26, v0
	s_cbranch_execz .LBB93_141
; %bb.140:
	v_mov_b32_e32 v2, s15
	s_clause 0x3
	buffer_load_dword v65, v2, s[0:3], 0 offen
	buffer_load_dword v66, v2, s[0:3], 0 offen offset:4
	buffer_load_dword v67, v2, s[0:3], 0 offen offset:8
	;; [unrolled: 1-line block ×3, first 2 shown]
	v_mov_b32_e32 v2, 0
	buffer_store_dword v2, off, s[0:3], 0 offset:432
	buffer_store_dword v2, off, s[0:3], 0 offset:436
	;; [unrolled: 1-line block ×4, first 2 shown]
	s_waitcnt vmcnt(0)
	ds_write_b128 v1, v[65:68]
.LBB93_141:
	s_or_b32 exec_lo, exec_lo, s4
	s_waitcnt lgkmcnt(0)
	s_waitcnt_vscnt null, 0x0
	s_barrier
	buffer_gl0_inv
	s_clause 0xf
	buffer_load_dword v3, off, s[0:3], 0 offset:456
	buffer_load_dword v4, off, s[0:3], 0 offset:460
	;; [unrolled: 1-line block ×16, first 2 shown]
	v_mov_b32_e32 v2, 0
	ds_read_b128 v[65:68], v2 offset:912
	ds_read_b128 v[69:72], v2 offset:928
	;; [unrolled: 1-line block ×3, first 2 shown]
	s_mov_b32 s4, exec_lo
	s_waitcnt vmcnt(14) lgkmcnt(2)
	v_mul_f64 v[91:92], v[67:68], v[3:4]
	v_mul_f64 v[3:4], v[65:66], v[3:4]
	s_waitcnt vmcnt(12) lgkmcnt(1)
	v_mul_f64 v[93:94], v[71:72], v[77:78]
	v_mul_f64 v[77:78], v[69:70], v[77:78]
	s_waitcnt vmcnt(10)
	v_fma_f64 v[65:66], v[65:66], v[79:80], -v[91:92]
	v_fma_f64 v[3:4], v[67:68], v[79:80], v[3:4]
	s_waitcnt vmcnt(8) lgkmcnt(0)
	v_mul_f64 v[79:80], v[75:76], v[81:82]
	s_waitcnt vmcnt(6)
	v_fma_f64 v[69:70], v[69:70], v[83:84], -v[93:94]
	v_mul_f64 v[67:68], v[73:74], v[81:82]
	v_fma_f64 v[71:72], v[71:72], v[83:84], v[77:78]
	v_add_f64 v[65:66], v[65:66], 0
	v_add_f64 v[3:4], v[3:4], 0
	s_waitcnt vmcnt(4)
	v_fma_f64 v[73:74], v[73:74], v[85:86], -v[79:80]
	v_fma_f64 v[67:68], v[75:76], v[85:86], v[67:68]
	v_add_f64 v[65:66], v[65:66], v[69:70]
	v_add_f64 v[3:4], v[3:4], v[71:72]
	;; [unrolled: 1-line block ×4, first 2 shown]
	s_waitcnt vmcnt(2)
	v_add_f64 v[65:66], v[87:88], -v[65:66]
	s_waitcnt vmcnt(0)
	v_add_f64 v[3:4], v[89:90], -v[3:4]
	buffer_store_dword v65, off, s[0:3], 0 offset:432
	buffer_store_dword v66, off, s[0:3], 0 offset:436
	;; [unrolled: 1-line block ×4, first 2 shown]
	v_cmpx_lt_u32_e32 25, v0
	s_cbranch_execz .LBB93_143
; %bb.142:
	v_mov_b32_e32 v3, s16
	s_clause 0x3
	buffer_load_dword v65, v3, s[0:3], 0 offen
	buffer_load_dword v66, v3, s[0:3], 0 offen offset:4
	buffer_load_dword v67, v3, s[0:3], 0 offen offset:8
	;; [unrolled: 1-line block ×3, first 2 shown]
	buffer_store_dword v2, off, s[0:3], 0 offset:416
	buffer_store_dword v2, off, s[0:3], 0 offset:420
	;; [unrolled: 1-line block ×4, first 2 shown]
	s_waitcnt vmcnt(0)
	ds_write_b128 v1, v[65:68]
.LBB93_143:
	s_or_b32 exec_lo, exec_lo, s4
	s_waitcnt lgkmcnt(0)
	s_waitcnt_vscnt null, 0x0
	s_barrier
	buffer_gl0_inv
	s_clause 0x13
	buffer_load_dword v3, off, s[0:3], 0 offset:440
	buffer_load_dword v4, off, s[0:3], 0 offset:444
	;; [unrolled: 1-line block ×20, first 2 shown]
	ds_read_b128 v[65:68], v2 offset:896
	ds_read_b128 v[69:72], v2 offset:912
	;; [unrolled: 1-line block ×3, first 2 shown]
	s_mov_b32 s4, exec_lo
	s_waitcnt vmcnt(18) lgkmcnt(2)
	v_mul_f64 v[95:96], v[67:68], v[3:4]
	v_mul_f64 v[3:4], v[65:66], v[3:4]
	s_waitcnt vmcnt(16) lgkmcnt(1)
	v_mul_f64 v[97:98], v[71:72], v[77:78]
	v_mul_f64 v[77:78], v[69:70], v[77:78]
	s_waitcnt vmcnt(14)
	v_fma_f64 v[95:96], v[65:66], v[79:80], -v[95:96]
	v_fma_f64 v[3:4], v[67:68], v[79:80], v[3:4]
	ds_read_b128 v[65:68], v2 offset:944
	s_waitcnt vmcnt(12) lgkmcnt(1)
	v_mul_f64 v[79:80], v[73:74], v[81:82]
	v_mul_f64 v[81:82], v[75:76], v[81:82]
	s_waitcnt vmcnt(10)
	v_fma_f64 v[69:70], v[69:70], v[83:84], -v[97:98]
	v_fma_f64 v[71:72], v[71:72], v[83:84], v[77:78]
	s_waitcnt vmcnt(8) lgkmcnt(0)
	v_mul_f64 v[83:84], v[67:68], v[85:86]
	v_add_f64 v[95:96], v[95:96], 0
	v_add_f64 v[2:3], v[3:4], 0
	v_mul_f64 v[77:78], v[65:66], v[85:86]
	s_waitcnt vmcnt(6)
	v_fma_f64 v[73:74], v[73:74], v[87:88], -v[81:82]
	v_fma_f64 v[75:76], v[75:76], v[87:88], v[79:80]
	s_waitcnt vmcnt(4)
	v_fma_f64 v[65:66], v[65:66], v[89:90], -v[83:84]
	v_add_f64 v[69:70], v[95:96], v[69:70]
	v_add_f64 v[2:3], v[2:3], v[71:72]
	v_fma_f64 v[67:68], v[67:68], v[89:90], v[77:78]
	v_add_f64 v[69:70], v[69:70], v[73:74]
	v_add_f64 v[2:3], v[2:3], v[75:76]
	v_add_f64 v[65:66], v[69:70], v[65:66]
	v_add_f64 v[2:3], v[2:3], v[67:68]
	s_waitcnt vmcnt(2)
	v_add_f64 v[65:66], v[91:92], -v[65:66]
	s_waitcnt vmcnt(0)
	v_add_f64 v[2:3], v[93:94], -v[2:3]
	buffer_store_dword v65, off, s[0:3], 0 offset:416
	buffer_store_dword v66, off, s[0:3], 0 offset:420
	;; [unrolled: 1-line block ×4, first 2 shown]
	v_cmpx_lt_u32_e32 24, v0
	s_cbranch_execz .LBB93_145
; %bb.144:
	v_mov_b32_e32 v2, s17
	s_clause 0x3
	buffer_load_dword v65, v2, s[0:3], 0 offen
	buffer_load_dword v66, v2, s[0:3], 0 offen offset:4
	buffer_load_dword v67, v2, s[0:3], 0 offen offset:8
	;; [unrolled: 1-line block ×3, first 2 shown]
	v_mov_b32_e32 v2, 0
	buffer_store_dword v2, off, s[0:3], 0 offset:400
	buffer_store_dword v2, off, s[0:3], 0 offset:404
	;; [unrolled: 1-line block ×4, first 2 shown]
	s_waitcnt vmcnt(0)
	ds_write_b128 v1, v[65:68]
.LBB93_145:
	s_or_b32 exec_lo, exec_lo, s4
	s_waitcnt lgkmcnt(0)
	s_waitcnt_vscnt null, 0x0
	s_barrier
	buffer_gl0_inv
	s_clause 0x17
	buffer_load_dword v3, off, s[0:3], 0 offset:424
	buffer_load_dword v4, off, s[0:3], 0 offset:428
	;; [unrolled: 1-line block ×24, first 2 shown]
	v_mov_b32_e32 v2, 0
	ds_read_b128 v[65:68], v2 offset:880
	ds_read_b128 v[69:72], v2 offset:896
	;; [unrolled: 1-line block ×3, first 2 shown]
	s_mov_b32 s4, exec_lo
	s_waitcnt vmcnt(22) lgkmcnt(2)
	v_mul_f64 v[99:100], v[67:68], v[3:4]
	v_mul_f64 v[3:4], v[65:66], v[3:4]
	s_waitcnt vmcnt(20) lgkmcnt(1)
	v_mul_f64 v[101:102], v[71:72], v[77:78]
	v_mul_f64 v[77:78], v[69:70], v[77:78]
	s_waitcnt vmcnt(18)
	v_fma_f64 v[99:100], v[65:66], v[79:80], -v[99:100]
	v_fma_f64 v[3:4], v[67:68], v[79:80], v[3:4]
	ds_read_b128 v[65:68], v2 offset:928
	s_waitcnt vmcnt(16) lgkmcnt(1)
	v_mul_f64 v[79:80], v[73:74], v[81:82]
	v_mul_f64 v[81:82], v[75:76], v[81:82]
	s_waitcnt vmcnt(14)
	v_fma_f64 v[101:102], v[69:70], v[83:84], -v[101:102]
	v_fma_f64 v[77:78], v[71:72], v[83:84], v[77:78]
	ds_read_b128 v[69:72], v2 offset:944
	s_waitcnt vmcnt(10) lgkmcnt(1)
	v_mul_f64 v[83:84], v[65:66], v[85:86]
	v_add_f64 v[99:100], v[99:100], 0
	v_add_f64 v[3:4], v[3:4], 0
	v_mul_f64 v[85:86], v[67:68], v[85:86]
	s_waitcnt vmcnt(8)
	v_fma_f64 v[73:74], v[73:74], v[91:92], -v[81:82]
	v_fma_f64 v[75:76], v[75:76], v[91:92], v[79:80]
	s_waitcnt vmcnt(7) lgkmcnt(0)
	v_mul_f64 v[79:80], v[71:72], v[87:88]
	s_waitcnt vmcnt(5)
	v_fma_f64 v[67:68], v[67:68], v[93:94], v[83:84]
	v_add_f64 v[81:82], v[99:100], v[101:102]
	v_add_f64 v[3:4], v[3:4], v[77:78]
	v_fma_f64 v[65:66], v[65:66], v[93:94], -v[85:86]
	v_mul_f64 v[77:78], v[69:70], v[87:88]
	s_waitcnt vmcnt(4)
	v_fma_f64 v[69:70], v[69:70], v[89:90], -v[79:80]
	v_add_f64 v[73:74], v[81:82], v[73:74]
	v_add_f64 v[3:4], v[3:4], v[75:76]
	v_fma_f64 v[71:72], v[71:72], v[89:90], v[77:78]
	v_add_f64 v[65:66], v[73:74], v[65:66]
	v_add_f64 v[3:4], v[3:4], v[67:68]
	v_add_f64 v[65:66], v[65:66], v[69:70]
	v_add_f64 v[3:4], v[3:4], v[71:72]
	s_waitcnt vmcnt(2)
	v_add_f64 v[65:66], v[95:96], -v[65:66]
	s_waitcnt vmcnt(0)
	v_add_f64 v[3:4], v[97:98], -v[3:4]
	buffer_store_dword v66, off, s[0:3], 0 offset:404
	buffer_store_dword v65, off, s[0:3], 0 offset:400
	buffer_store_dword v4, off, s[0:3], 0 offset:412
	buffer_store_dword v3, off, s[0:3], 0 offset:408
	v_cmpx_lt_u32_e32 23, v0
	s_cbranch_execz .LBB93_147
; %bb.146:
	v_mov_b32_e32 v3, s18
	s_clause 0x3
	buffer_load_dword v65, v3, s[0:3], 0 offen
	buffer_load_dword v66, v3, s[0:3], 0 offen offset:4
	buffer_load_dword v67, v3, s[0:3], 0 offen offset:8
	;; [unrolled: 1-line block ×3, first 2 shown]
	buffer_store_dword v2, off, s[0:3], 0 offset:384
	buffer_store_dword v2, off, s[0:3], 0 offset:388
	;; [unrolled: 1-line block ×4, first 2 shown]
	s_waitcnt vmcnt(0)
	ds_write_b128 v1, v[65:68]
.LBB93_147:
	s_or_b32 exec_lo, exec_lo, s4
	s_waitcnt lgkmcnt(0)
	s_waitcnt_vscnt null, 0x0
	s_barrier
	buffer_gl0_inv
	s_clause 0x1b
	buffer_load_dword v3, off, s[0:3], 0 offset:408
	buffer_load_dword v4, off, s[0:3], 0 offset:412
	;; [unrolled: 1-line block ×28, first 2 shown]
	ds_read_b128 v[65:68], v2 offset:864
	ds_read_b128 v[69:72], v2 offset:880
	;; [unrolled: 1-line block ×3, first 2 shown]
	s_mov_b32 s4, exec_lo
	s_waitcnt vmcnt(26) lgkmcnt(2)
	v_mul_f64 v[103:104], v[67:68], v[3:4]
	v_mul_f64 v[3:4], v[65:66], v[3:4]
	s_waitcnt vmcnt(24) lgkmcnt(1)
	v_mul_f64 v[105:106], v[71:72], v[77:78]
	v_mul_f64 v[77:78], v[69:70], v[77:78]
	s_waitcnt vmcnt(22)
	v_fma_f64 v[103:104], v[65:66], v[79:80], -v[103:104]
	v_fma_f64 v[3:4], v[67:68], v[79:80], v[3:4]
	ds_read_b128 v[65:68], v2 offset:912
	s_waitcnt vmcnt(20) lgkmcnt(1)
	v_mul_f64 v[79:80], v[73:74], v[81:82]
	v_mul_f64 v[81:82], v[75:76], v[81:82]
	s_waitcnt vmcnt(18)
	v_fma_f64 v[105:106], v[69:70], v[83:84], -v[105:106]
	v_fma_f64 v[77:78], v[71:72], v[83:84], v[77:78]
	ds_read_b128 v[69:72], v2 offset:928
	s_waitcnt vmcnt(14) lgkmcnt(1)
	v_mul_f64 v[83:84], v[65:66], v[85:86]
	v_add_f64 v[103:104], v[103:104], 0
	v_add_f64 v[3:4], v[3:4], 0
	v_mul_f64 v[85:86], v[67:68], v[85:86]
	s_waitcnt vmcnt(12)
	v_fma_f64 v[81:82], v[73:74], v[91:92], -v[81:82]
	v_fma_f64 v[79:80], v[75:76], v[91:92], v[79:80]
	ds_read_b128 v[73:76], v2 offset:944
	s_waitcnt vmcnt(9)
	v_fma_f64 v[67:68], v[67:68], v[93:94], v[83:84]
	v_add_f64 v[103:104], v[103:104], v[105:106]
	v_add_f64 v[3:4], v[3:4], v[77:78]
	s_waitcnt lgkmcnt(1)
	v_mul_f64 v[77:78], v[69:70], v[87:88]
	v_mul_f64 v[87:88], v[71:72], v[87:88]
	v_fma_f64 v[65:66], v[65:66], v[93:94], -v[85:86]
	s_waitcnt vmcnt(7) lgkmcnt(0)
	v_mul_f64 v[83:84], v[75:76], v[95:96]
	v_add_f64 v[81:82], v[103:104], v[81:82]
	v_add_f64 v[2:3], v[3:4], v[79:80]
	v_mul_f64 v[79:80], v[73:74], v[95:96]
	s_waitcnt vmcnt(6)
	v_fma_f64 v[69:70], v[69:70], v[89:90], -v[87:88]
	v_fma_f64 v[71:72], v[71:72], v[89:90], v[77:78]
	v_add_f64 v[65:66], v[81:82], v[65:66]
	v_add_f64 v[2:3], v[2:3], v[67:68]
	s_waitcnt vmcnt(4)
	v_fma_f64 v[67:68], v[73:74], v[97:98], -v[83:84]
	v_add_f64 v[65:66], v[65:66], v[69:70]
	v_fma_f64 v[69:70], v[75:76], v[97:98], v[79:80]
	v_add_f64 v[2:3], v[2:3], v[71:72]
	v_add_f64 v[65:66], v[65:66], v[67:68]
	;; [unrolled: 1-line block ×3, first 2 shown]
	s_waitcnt vmcnt(2)
	v_add_f64 v[65:66], v[99:100], -v[65:66]
	s_waitcnt vmcnt(0)
	v_add_f64 v[2:3], v[101:102], -v[2:3]
	buffer_store_dword v66, off, s[0:3], 0 offset:388
	buffer_store_dword v65, off, s[0:3], 0 offset:384
	;; [unrolled: 1-line block ×4, first 2 shown]
	v_cmpx_lt_u32_e32 22, v0
	s_cbranch_execz .LBB93_149
; %bb.148:
	v_mov_b32_e32 v2, s19
	s_clause 0x3
	buffer_load_dword v65, v2, s[0:3], 0 offen
	buffer_load_dword v66, v2, s[0:3], 0 offen offset:4
	buffer_load_dword v67, v2, s[0:3], 0 offen offset:8
	;; [unrolled: 1-line block ×3, first 2 shown]
	v_mov_b32_e32 v2, 0
	buffer_store_dword v2, off, s[0:3], 0 offset:368
	buffer_store_dword v2, off, s[0:3], 0 offset:372
	;; [unrolled: 1-line block ×4, first 2 shown]
	s_waitcnt vmcnt(0)
	ds_write_b128 v1, v[65:68]
.LBB93_149:
	s_or_b32 exec_lo, exec_lo, s4
	s_waitcnt lgkmcnt(0)
	s_waitcnt_vscnt null, 0x0
	s_barrier
	buffer_gl0_inv
	s_clause 0x1f
	buffer_load_dword v3, off, s[0:3], 0 offset:392
	buffer_load_dword v4, off, s[0:3], 0 offset:396
	;; [unrolled: 1-line block ×32, first 2 shown]
	v_mov_b32_e32 v2, 0
	ds_read_b128 v[65:68], v2 offset:848
	ds_read_b128 v[69:72], v2 offset:864
	;; [unrolled: 1-line block ×3, first 2 shown]
	s_mov_b32 s4, exec_lo
	s_waitcnt vmcnt(30) lgkmcnt(2)
	v_mul_f64 v[107:108], v[67:68], v[3:4]
	v_mul_f64 v[3:4], v[65:66], v[3:4]
	s_waitcnt vmcnt(28) lgkmcnt(1)
	v_mul_f64 v[109:110], v[71:72], v[77:78]
	v_mul_f64 v[77:78], v[69:70], v[77:78]
	s_waitcnt vmcnt(26)
	v_fma_f64 v[107:108], v[65:66], v[79:80], -v[107:108]
	v_fma_f64 v[3:4], v[67:68], v[79:80], v[3:4]
	ds_read_b128 v[65:68], v2 offset:896
	s_waitcnt vmcnt(24) lgkmcnt(1)
	v_mul_f64 v[79:80], v[73:74], v[81:82]
	v_mul_f64 v[81:82], v[75:76], v[81:82]
	s_waitcnt vmcnt(22)
	v_fma_f64 v[109:110], v[69:70], v[83:84], -v[109:110]
	v_fma_f64 v[77:78], v[71:72], v[83:84], v[77:78]
	ds_read_b128 v[69:72], v2 offset:912
	s_waitcnt vmcnt(18) lgkmcnt(1)
	v_mul_f64 v[83:84], v[65:66], v[85:86]
	v_add_f64 v[107:108], v[107:108], 0
	v_add_f64 v[3:4], v[3:4], 0
	v_mul_f64 v[85:86], v[67:68], v[85:86]
	s_waitcnt vmcnt(16)
	v_fma_f64 v[81:82], v[73:74], v[91:92], -v[81:82]
	v_fma_f64 v[79:80], v[75:76], v[91:92], v[79:80]
	ds_read_b128 v[73:76], v2 offset:928
	s_waitcnt vmcnt(13)
	v_fma_f64 v[83:84], v[67:68], v[93:94], v[83:84]
	v_add_f64 v[107:108], v[107:108], v[109:110]
	v_add_f64 v[3:4], v[3:4], v[77:78]
	s_waitcnt lgkmcnt(1)
	v_mul_f64 v[77:78], v[69:70], v[87:88]
	v_mul_f64 v[87:88], v[71:72], v[87:88]
	v_fma_f64 v[85:86], v[65:66], v[93:94], -v[85:86]
	s_waitcnt vmcnt(9) lgkmcnt(0)
	v_mul_f64 v[91:92], v[75:76], v[95:96]
	ds_read_b128 v[65:68], v2 offset:944
	v_add_f64 v[81:82], v[107:108], v[81:82]
	v_add_f64 v[3:4], v[3:4], v[79:80]
	v_mul_f64 v[79:80], v[73:74], v[95:96]
	s_waitcnt vmcnt(8)
	v_fma_f64 v[69:70], v[69:70], v[89:90], -v[87:88]
	v_fma_f64 v[71:72], v[71:72], v[89:90], v[77:78]
	s_waitcnt vmcnt(5)
	v_fma_f64 v[73:74], v[73:74], v[101:102], -v[91:92]
	s_waitcnt lgkmcnt(0)
	v_mul_f64 v[77:78], v[65:66], v[97:98]
	v_add_f64 v[81:82], v[81:82], v[85:86]
	v_add_f64 v[3:4], v[3:4], v[83:84]
	v_mul_f64 v[83:84], v[67:68], v[97:98]
	v_fma_f64 v[75:76], v[75:76], v[101:102], v[79:80]
	s_waitcnt vmcnt(4)
	v_fma_f64 v[67:68], v[67:68], v[99:100], v[77:78]
	v_add_f64 v[69:70], v[81:82], v[69:70]
	v_add_f64 v[3:4], v[3:4], v[71:72]
	v_fma_f64 v[65:66], v[65:66], v[99:100], -v[83:84]
	v_add_f64 v[69:70], v[69:70], v[73:74]
	v_add_f64 v[3:4], v[3:4], v[75:76]
	;; [unrolled: 1-line block ×4, first 2 shown]
	s_waitcnt vmcnt(2)
	v_add_f64 v[65:66], v[103:104], -v[65:66]
	s_waitcnt vmcnt(0)
	v_add_f64 v[3:4], v[105:106], -v[3:4]
	buffer_store_dword v66, off, s[0:3], 0 offset:372
	buffer_store_dword v65, off, s[0:3], 0 offset:368
	;; [unrolled: 1-line block ×4, first 2 shown]
	v_cmpx_lt_u32_e32 21, v0
	s_cbranch_execz .LBB93_151
; %bb.150:
	v_mov_b32_e32 v3, s20
	s_clause 0x3
	buffer_load_dword v65, v3, s[0:3], 0 offen
	buffer_load_dword v66, v3, s[0:3], 0 offen offset:4
	buffer_load_dword v67, v3, s[0:3], 0 offen offset:8
	;; [unrolled: 1-line block ×3, first 2 shown]
	buffer_store_dword v2, off, s[0:3], 0 offset:352
	buffer_store_dword v2, off, s[0:3], 0 offset:356
	buffer_store_dword v2, off, s[0:3], 0 offset:360
	buffer_store_dword v2, off, s[0:3], 0 offset:364
	s_waitcnt vmcnt(0)
	ds_write_b128 v1, v[65:68]
.LBB93_151:
	s_or_b32 exec_lo, exec_lo, s4
	s_waitcnt lgkmcnt(0)
	s_waitcnt_vscnt null, 0x0
	s_barrier
	buffer_gl0_inv
	s_clause 0x23
	buffer_load_dword v3, off, s[0:3], 0 offset:376
	buffer_load_dword v4, off, s[0:3], 0 offset:380
	;; [unrolled: 1-line block ×36, first 2 shown]
	ds_read_b128 v[65:68], v2 offset:832
	ds_read_b128 v[69:72], v2 offset:848
	;; [unrolled: 1-line block ×3, first 2 shown]
	s_mov_b32 s4, exec_lo
	s_waitcnt vmcnt(34) lgkmcnt(2)
	v_mul_f64 v[111:112], v[67:68], v[3:4]
	v_mul_f64 v[3:4], v[65:66], v[3:4]
	s_waitcnt vmcnt(32) lgkmcnt(1)
	v_mul_f64 v[113:114], v[71:72], v[77:78]
	v_mul_f64 v[77:78], v[69:70], v[77:78]
	s_waitcnt vmcnt(30)
	v_fma_f64 v[111:112], v[65:66], v[79:80], -v[111:112]
	v_fma_f64 v[3:4], v[67:68], v[79:80], v[3:4]
	ds_read_b128 v[65:68], v2 offset:880
	s_waitcnt vmcnt(28) lgkmcnt(1)
	v_mul_f64 v[79:80], v[73:74], v[81:82]
	v_mul_f64 v[81:82], v[75:76], v[81:82]
	s_waitcnt vmcnt(26)
	v_fma_f64 v[113:114], v[69:70], v[83:84], -v[113:114]
	v_fma_f64 v[77:78], v[71:72], v[83:84], v[77:78]
	ds_read_b128 v[69:72], v2 offset:896
	s_waitcnt vmcnt(22) lgkmcnt(1)
	v_mul_f64 v[83:84], v[65:66], v[85:86]
	v_add_f64 v[111:112], v[111:112], 0
	v_add_f64 v[3:4], v[3:4], 0
	v_mul_f64 v[85:86], v[67:68], v[85:86]
	s_waitcnt vmcnt(20)
	v_fma_f64 v[81:82], v[73:74], v[91:92], -v[81:82]
	v_fma_f64 v[79:80], v[75:76], v[91:92], v[79:80]
	ds_read_b128 v[73:76], v2 offset:912
	s_waitcnt vmcnt(17)
	v_fma_f64 v[83:84], v[67:68], v[93:94], v[83:84]
	v_add_f64 v[111:112], v[111:112], v[113:114]
	v_add_f64 v[3:4], v[3:4], v[77:78]
	s_waitcnt lgkmcnt(1)
	v_mul_f64 v[77:78], v[69:70], v[87:88]
	v_mul_f64 v[87:88], v[71:72], v[87:88]
	v_fma_f64 v[85:86], v[65:66], v[93:94], -v[85:86]
	s_waitcnt vmcnt(13) lgkmcnt(0)
	v_mul_f64 v[91:92], v[75:76], v[95:96]
	ds_read_b128 v[65:68], v2 offset:928
	v_add_f64 v[81:82], v[111:112], v[81:82]
	v_add_f64 v[3:4], v[3:4], v[79:80]
	v_mul_f64 v[79:80], v[73:74], v[95:96]
	s_waitcnt vmcnt(12)
	v_fma_f64 v[87:88], v[69:70], v[89:90], -v[87:88]
	v_fma_f64 v[77:78], v[71:72], v[89:90], v[77:78]
	ds_read_b128 v[69:72], v2 offset:944
	s_waitcnt vmcnt(9)
	v_fma_f64 v[73:74], v[73:74], v[101:102], -v[91:92]
	v_add_f64 v[81:82], v[81:82], v[85:86]
	v_add_f64 v[3:4], v[3:4], v[83:84]
	s_waitcnt lgkmcnt(1)
	v_mul_f64 v[85:86], v[67:68], v[97:98]
	v_mul_f64 v[83:84], v[65:66], v[97:98]
	v_fma_f64 v[75:76], v[75:76], v[101:102], v[79:80]
	s_waitcnt vmcnt(7) lgkmcnt(0)
	v_mul_f64 v[79:80], v[71:72], v[103:104]
	v_add_f64 v[81:82], v[81:82], v[87:88]
	v_add_f64 v[2:3], v[3:4], v[77:78]
	s_waitcnt vmcnt(6)
	v_fma_f64 v[65:66], v[65:66], v[99:100], -v[85:86]
	v_mul_f64 v[77:78], v[69:70], v[103:104]
	v_fma_f64 v[67:68], v[67:68], v[99:100], v[83:84]
	s_waitcnt vmcnt(4)
	v_fma_f64 v[69:70], v[69:70], v[105:106], -v[79:80]
	v_add_f64 v[73:74], v[81:82], v[73:74]
	v_add_f64 v[2:3], v[2:3], v[75:76]
	v_fma_f64 v[71:72], v[71:72], v[105:106], v[77:78]
	v_add_f64 v[65:66], v[73:74], v[65:66]
	v_add_f64 v[2:3], v[2:3], v[67:68]
	;; [unrolled: 1-line block ×4, first 2 shown]
	s_waitcnt vmcnt(2)
	v_add_f64 v[65:66], v[107:108], -v[65:66]
	s_waitcnt vmcnt(0)
	v_add_f64 v[2:3], v[109:110], -v[2:3]
	buffer_store_dword v66, off, s[0:3], 0 offset:356
	buffer_store_dword v65, off, s[0:3], 0 offset:352
	buffer_store_dword v3, off, s[0:3], 0 offset:364
	buffer_store_dword v2, off, s[0:3], 0 offset:360
	v_cmpx_lt_u32_e32 20, v0
	s_cbranch_execz .LBB93_153
; %bb.152:
	v_mov_b32_e32 v2, s21
	s_clause 0x3
	buffer_load_dword v65, v2, s[0:3], 0 offen
	buffer_load_dword v66, v2, s[0:3], 0 offen offset:4
	buffer_load_dword v67, v2, s[0:3], 0 offen offset:8
	;; [unrolled: 1-line block ×3, first 2 shown]
	v_mov_b32_e32 v2, 0
	buffer_store_dword v2, off, s[0:3], 0 offset:336
	buffer_store_dword v2, off, s[0:3], 0 offset:340
	;; [unrolled: 1-line block ×4, first 2 shown]
	s_waitcnt vmcnt(0)
	ds_write_b128 v1, v[65:68]
.LBB93_153:
	s_or_b32 exec_lo, exec_lo, s4
	s_waitcnt lgkmcnt(0)
	s_waitcnt_vscnt null, 0x0
	s_barrier
	buffer_gl0_inv
	s_clause 0x27
	buffer_load_dword v3, off, s[0:3], 0 offset:360
	buffer_load_dword v4, off, s[0:3], 0 offset:364
	;; [unrolled: 1-line block ×40, first 2 shown]
	v_mov_b32_e32 v2, 0
	ds_read_b128 v[65:68], v2 offset:816
	ds_read_b128 v[69:72], v2 offset:832
	;; [unrolled: 1-line block ×3, first 2 shown]
	s_mov_b32 s4, exec_lo
	s_waitcnt vmcnt(38) lgkmcnt(2)
	v_mul_f64 v[115:116], v[67:68], v[3:4]
	v_mul_f64 v[3:4], v[65:66], v[3:4]
	s_waitcnt vmcnt(36) lgkmcnt(1)
	v_mul_f64 v[117:118], v[71:72], v[77:78]
	v_mul_f64 v[77:78], v[69:70], v[77:78]
	s_waitcnt vmcnt(34)
	v_fma_f64 v[115:116], v[65:66], v[79:80], -v[115:116]
	v_fma_f64 v[3:4], v[67:68], v[79:80], v[3:4]
	ds_read_b128 v[65:68], v2 offset:864
	s_waitcnt vmcnt(32) lgkmcnt(1)
	v_mul_f64 v[79:80], v[73:74], v[81:82]
	v_mul_f64 v[81:82], v[75:76], v[81:82]
	s_waitcnt vmcnt(30)
	v_fma_f64 v[117:118], v[69:70], v[83:84], -v[117:118]
	v_fma_f64 v[77:78], v[71:72], v[83:84], v[77:78]
	ds_read_b128 v[69:72], v2 offset:880
	s_waitcnt vmcnt(26) lgkmcnt(1)
	v_mul_f64 v[83:84], v[65:66], v[85:86]
	v_add_f64 v[115:116], v[115:116], 0
	v_add_f64 v[3:4], v[3:4], 0
	v_mul_f64 v[85:86], v[67:68], v[85:86]
	s_waitcnt vmcnt(24)
	v_fma_f64 v[81:82], v[73:74], v[91:92], -v[81:82]
	v_fma_f64 v[79:80], v[75:76], v[91:92], v[79:80]
	ds_read_b128 v[73:76], v2 offset:896
	s_waitcnt vmcnt(21)
	v_fma_f64 v[83:84], v[67:68], v[93:94], v[83:84]
	v_add_f64 v[115:116], v[115:116], v[117:118]
	v_add_f64 v[3:4], v[3:4], v[77:78]
	s_waitcnt lgkmcnt(1)
	v_mul_f64 v[77:78], v[69:70], v[87:88]
	v_mul_f64 v[87:88], v[71:72], v[87:88]
	v_fma_f64 v[85:86], v[65:66], v[93:94], -v[85:86]
	s_waitcnt vmcnt(17) lgkmcnt(0)
	v_mul_f64 v[91:92], v[75:76], v[95:96]
	ds_read_b128 v[65:68], v2 offset:912
	v_add_f64 v[81:82], v[115:116], v[81:82]
	v_add_f64 v[3:4], v[3:4], v[79:80]
	v_mul_f64 v[79:80], v[73:74], v[95:96]
	s_waitcnt vmcnt(16)
	v_fma_f64 v[87:88], v[69:70], v[89:90], -v[87:88]
	v_fma_f64 v[77:78], v[71:72], v[89:90], v[77:78]
	ds_read_b128 v[69:72], v2 offset:928
	s_waitcnt vmcnt(13)
	v_fma_f64 v[89:90], v[73:74], v[101:102], -v[91:92]
	v_add_f64 v[81:82], v[81:82], v[85:86]
	v_add_f64 v[3:4], v[3:4], v[83:84]
	s_waitcnt lgkmcnt(1)
	v_mul_f64 v[85:86], v[67:68], v[97:98]
	v_mul_f64 v[83:84], v[65:66], v[97:98]
	v_fma_f64 v[79:80], v[75:76], v[101:102], v[79:80]
	ds_read_b128 v[73:76], v2 offset:944
	v_add_f64 v[81:82], v[81:82], v[87:88]
	v_add_f64 v[3:4], v[3:4], v[77:78]
	s_waitcnt vmcnt(9) lgkmcnt(1)
	v_mul_f64 v[87:88], v[71:72], v[103:104]
	s_waitcnt vmcnt(8)
	v_fma_f64 v[65:66], v[65:66], v[99:100], -v[85:86]
	v_mul_f64 v[77:78], v[69:70], v[103:104]
	v_fma_f64 v[67:68], v[67:68], v[99:100], v[83:84]
	s_waitcnt vmcnt(7) lgkmcnt(0)
	v_mul_f64 v[83:84], v[75:76], v[105:106]
	v_add_f64 v[81:82], v[81:82], v[89:90]
	v_add_f64 v[3:4], v[3:4], v[79:80]
	s_waitcnt vmcnt(5)
	v_fma_f64 v[69:70], v[69:70], v[109:110], -v[87:88]
	v_mul_f64 v[79:80], v[73:74], v[105:106]
	v_fma_f64 v[71:72], v[71:72], v[109:110], v[77:78]
	v_add_f64 v[65:66], v[81:82], v[65:66]
	v_add_f64 v[3:4], v[3:4], v[67:68]
	s_waitcnt vmcnt(4)
	v_fma_f64 v[67:68], v[73:74], v[107:108], -v[83:84]
	v_add_f64 v[65:66], v[65:66], v[69:70]
	v_fma_f64 v[69:70], v[75:76], v[107:108], v[79:80]
	v_add_f64 v[3:4], v[3:4], v[71:72]
	v_add_f64 v[65:66], v[65:66], v[67:68]
	;; [unrolled: 1-line block ×3, first 2 shown]
	s_waitcnt vmcnt(2)
	v_add_f64 v[65:66], v[111:112], -v[65:66]
	s_waitcnt vmcnt(0)
	v_add_f64 v[3:4], v[113:114], -v[3:4]
	buffer_store_dword v66, off, s[0:3], 0 offset:340
	buffer_store_dword v65, off, s[0:3], 0 offset:336
	buffer_store_dword v4, off, s[0:3], 0 offset:348
	buffer_store_dword v3, off, s[0:3], 0 offset:344
	v_cmpx_lt_u32_e32 19, v0
	s_cbranch_execz .LBB93_155
; %bb.154:
	v_mov_b32_e32 v3, s22
	s_clause 0x3
	buffer_load_dword v65, v3, s[0:3], 0 offen
	buffer_load_dword v66, v3, s[0:3], 0 offen offset:4
	buffer_load_dword v67, v3, s[0:3], 0 offen offset:8
	;; [unrolled: 1-line block ×3, first 2 shown]
	buffer_store_dword v2, off, s[0:3], 0 offset:320
	buffer_store_dword v2, off, s[0:3], 0 offset:324
	;; [unrolled: 1-line block ×4, first 2 shown]
	s_waitcnt vmcnt(0)
	ds_write_b128 v1, v[65:68]
.LBB93_155:
	s_or_b32 exec_lo, exec_lo, s4
	s_waitcnt lgkmcnt(0)
	s_waitcnt_vscnt null, 0x0
	s_barrier
	buffer_gl0_inv
	s_clause 0x2b
	buffer_load_dword v3, off, s[0:3], 0 offset:344
	buffer_load_dword v4, off, s[0:3], 0 offset:348
	;; [unrolled: 1-line block ×44, first 2 shown]
	ds_read_b128 v[65:68], v2 offset:800
	ds_read_b128 v[69:72], v2 offset:816
	ds_read_b128 v[73:76], v2 offset:832
	s_mov_b32 s4, exec_lo
	s_waitcnt vmcnt(42) lgkmcnt(2)
	v_mul_f64 v[119:120], v[67:68], v[3:4]
	v_mul_f64 v[3:4], v[65:66], v[3:4]
	s_waitcnt vmcnt(40) lgkmcnt(1)
	v_mul_f64 v[121:122], v[71:72], v[77:78]
	v_mul_f64 v[77:78], v[69:70], v[77:78]
	s_waitcnt vmcnt(38)
	v_fma_f64 v[119:120], v[65:66], v[79:80], -v[119:120]
	v_fma_f64 v[3:4], v[67:68], v[79:80], v[3:4]
	ds_read_b128 v[65:68], v2 offset:848
	s_waitcnt vmcnt(36) lgkmcnt(1)
	v_mul_f64 v[79:80], v[73:74], v[81:82]
	v_mul_f64 v[81:82], v[75:76], v[81:82]
	s_waitcnt vmcnt(34)
	v_fma_f64 v[121:122], v[69:70], v[83:84], -v[121:122]
	v_fma_f64 v[77:78], v[71:72], v[83:84], v[77:78]
	ds_read_b128 v[69:72], v2 offset:864
	s_waitcnt vmcnt(30) lgkmcnt(1)
	v_mul_f64 v[83:84], v[65:66], v[85:86]
	v_add_f64 v[119:120], v[119:120], 0
	v_add_f64 v[3:4], v[3:4], 0
	v_mul_f64 v[85:86], v[67:68], v[85:86]
	s_waitcnt vmcnt(28)
	v_fma_f64 v[81:82], v[73:74], v[91:92], -v[81:82]
	v_fma_f64 v[79:80], v[75:76], v[91:92], v[79:80]
	ds_read_b128 v[73:76], v2 offset:880
	s_waitcnt vmcnt(25)
	v_fma_f64 v[83:84], v[67:68], v[93:94], v[83:84]
	v_add_f64 v[119:120], v[119:120], v[121:122]
	v_add_f64 v[3:4], v[3:4], v[77:78]
	s_waitcnt lgkmcnt(1)
	v_mul_f64 v[77:78], v[69:70], v[87:88]
	v_mul_f64 v[87:88], v[71:72], v[87:88]
	v_fma_f64 v[85:86], v[65:66], v[93:94], -v[85:86]
	s_waitcnt vmcnt(21) lgkmcnt(0)
	v_mul_f64 v[91:92], v[75:76], v[95:96]
	ds_read_b128 v[65:68], v2 offset:896
	v_add_f64 v[81:82], v[119:120], v[81:82]
	v_add_f64 v[3:4], v[3:4], v[79:80]
	v_mul_f64 v[79:80], v[73:74], v[95:96]
	s_waitcnt vmcnt(20)
	v_fma_f64 v[87:88], v[69:70], v[89:90], -v[87:88]
	v_fma_f64 v[77:78], v[71:72], v[89:90], v[77:78]
	ds_read_b128 v[69:72], v2 offset:912
	s_waitcnt vmcnt(17)
	v_fma_f64 v[89:90], v[73:74], v[101:102], -v[91:92]
	v_add_f64 v[81:82], v[81:82], v[85:86]
	v_add_f64 v[3:4], v[3:4], v[83:84]
	s_waitcnt lgkmcnt(1)
	v_mul_f64 v[85:86], v[67:68], v[97:98]
	v_mul_f64 v[83:84], v[65:66], v[97:98]
	v_fma_f64 v[79:80], v[75:76], v[101:102], v[79:80]
	ds_read_b128 v[73:76], v2 offset:928
	v_add_f64 v[81:82], v[81:82], v[87:88]
	v_add_f64 v[3:4], v[3:4], v[77:78]
	s_waitcnt vmcnt(13) lgkmcnt(1)
	v_mul_f64 v[87:88], v[71:72], v[103:104]
	s_waitcnt vmcnt(12)
	v_fma_f64 v[85:86], v[65:66], v[99:100], -v[85:86]
	v_mul_f64 v[77:78], v[69:70], v[103:104]
	v_fma_f64 v[83:84], v[67:68], v[99:100], v[83:84]
	ds_read_b128 v[65:68], v2 offset:944
	v_add_f64 v[81:82], v[81:82], v[89:90]
	v_add_f64 v[3:4], v[3:4], v[79:80]
	s_waitcnt vmcnt(11) lgkmcnt(1)
	v_mul_f64 v[89:90], v[75:76], v[105:106]
	s_waitcnt vmcnt(9)
	v_fma_f64 v[69:70], v[69:70], v[109:110], -v[87:88]
	v_mul_f64 v[79:80], v[73:74], v[105:106]
	v_fma_f64 v[71:72], v[71:72], v[109:110], v[77:78]
	s_waitcnt vmcnt(7) lgkmcnt(0)
	v_mul_f64 v[77:78], v[65:66], v[111:112]
	v_add_f64 v[81:82], v[81:82], v[85:86]
	v_add_f64 v[2:3], v[3:4], v[83:84]
	v_mul_f64 v[83:84], v[67:68], v[111:112]
	s_waitcnt vmcnt(6)
	v_fma_f64 v[73:74], v[73:74], v[107:108], -v[89:90]
	v_fma_f64 v[75:76], v[75:76], v[107:108], v[79:80]
	s_waitcnt vmcnt(4)
	v_fma_f64 v[67:68], v[67:68], v[113:114], v[77:78]
	v_add_f64 v[69:70], v[81:82], v[69:70]
	v_add_f64 v[2:3], v[2:3], v[71:72]
	v_fma_f64 v[65:66], v[65:66], v[113:114], -v[83:84]
	v_add_f64 v[69:70], v[69:70], v[73:74]
	v_add_f64 v[2:3], v[2:3], v[75:76]
	;; [unrolled: 1-line block ×4, first 2 shown]
	s_waitcnt vmcnt(2)
	v_add_f64 v[65:66], v[115:116], -v[65:66]
	s_waitcnt vmcnt(0)
	v_add_f64 v[2:3], v[117:118], -v[2:3]
	buffer_store_dword v66, off, s[0:3], 0 offset:324
	buffer_store_dword v65, off, s[0:3], 0 offset:320
	buffer_store_dword v3, off, s[0:3], 0 offset:332
	buffer_store_dword v2, off, s[0:3], 0 offset:328
	v_cmpx_lt_u32_e32 18, v0
	s_cbranch_execz .LBB93_157
; %bb.156:
	v_mov_b32_e32 v2, s23
	s_clause 0x3
	buffer_load_dword v65, v2, s[0:3], 0 offen
	buffer_load_dword v66, v2, s[0:3], 0 offen offset:4
	buffer_load_dword v67, v2, s[0:3], 0 offen offset:8
	;; [unrolled: 1-line block ×3, first 2 shown]
	v_mov_b32_e32 v2, 0
	buffer_store_dword v2, off, s[0:3], 0 offset:304
	buffer_store_dword v2, off, s[0:3], 0 offset:308
	buffer_store_dword v2, off, s[0:3], 0 offset:312
	buffer_store_dword v2, off, s[0:3], 0 offset:316
	s_waitcnt vmcnt(0)
	ds_write_b128 v1, v[65:68]
.LBB93_157:
	s_or_b32 exec_lo, exec_lo, s4
	s_waitcnt lgkmcnt(0)
	s_waitcnt_vscnt null, 0x0
	s_barrier
	buffer_gl0_inv
	s_clause 0x2f
	buffer_load_dword v3, off, s[0:3], 0 offset:328
	buffer_load_dword v4, off, s[0:3], 0 offset:332
	;; [unrolled: 1-line block ×48, first 2 shown]
	v_mov_b32_e32 v2, 0
	ds_read_b128 v[65:68], v2 offset:784
	ds_read_b128 v[69:72], v2 offset:800
	;; [unrolled: 1-line block ×3, first 2 shown]
	s_mov_b32 s4, exec_lo
	s_waitcnt vmcnt(46) lgkmcnt(2)
	v_mul_f64 v[123:124], v[67:68], v[3:4]
	v_mul_f64 v[3:4], v[65:66], v[3:4]
	s_waitcnt vmcnt(44) lgkmcnt(1)
	v_mul_f64 v[125:126], v[71:72], v[77:78]
	v_mul_f64 v[77:78], v[69:70], v[77:78]
	s_waitcnt vmcnt(42)
	v_fma_f64 v[123:124], v[65:66], v[79:80], -v[123:124]
	v_fma_f64 v[3:4], v[67:68], v[79:80], v[3:4]
	ds_read_b128 v[65:68], v2 offset:832
	s_waitcnt vmcnt(40) lgkmcnt(1)
	v_mul_f64 v[79:80], v[73:74], v[81:82]
	v_mul_f64 v[81:82], v[75:76], v[81:82]
	s_waitcnt vmcnt(38)
	v_fma_f64 v[125:126], v[69:70], v[83:84], -v[125:126]
	v_fma_f64 v[77:78], v[71:72], v[83:84], v[77:78]
	ds_read_b128 v[69:72], v2 offset:848
	s_waitcnt vmcnt(34) lgkmcnt(1)
	v_mul_f64 v[83:84], v[65:66], v[85:86]
	v_add_f64 v[123:124], v[123:124], 0
	v_add_f64 v[3:4], v[3:4], 0
	v_mul_f64 v[85:86], v[67:68], v[85:86]
	s_waitcnt vmcnt(32)
	v_fma_f64 v[81:82], v[73:74], v[91:92], -v[81:82]
	v_fma_f64 v[79:80], v[75:76], v[91:92], v[79:80]
	ds_read_b128 v[73:76], v2 offset:864
	s_waitcnt vmcnt(29)
	v_fma_f64 v[83:84], v[67:68], v[93:94], v[83:84]
	v_add_f64 v[123:124], v[123:124], v[125:126]
	v_add_f64 v[3:4], v[3:4], v[77:78]
	s_waitcnt lgkmcnt(1)
	v_mul_f64 v[77:78], v[69:70], v[87:88]
	v_mul_f64 v[87:88], v[71:72], v[87:88]
	v_fma_f64 v[85:86], v[65:66], v[93:94], -v[85:86]
	s_waitcnt vmcnt(25) lgkmcnt(0)
	v_mul_f64 v[91:92], v[75:76], v[95:96]
	ds_read_b128 v[65:68], v2 offset:880
	v_add_f64 v[81:82], v[123:124], v[81:82]
	v_add_f64 v[3:4], v[3:4], v[79:80]
	v_mul_f64 v[79:80], v[73:74], v[95:96]
	s_waitcnt vmcnt(24)
	v_fma_f64 v[87:88], v[69:70], v[89:90], -v[87:88]
	v_fma_f64 v[77:78], v[71:72], v[89:90], v[77:78]
	ds_read_b128 v[69:72], v2 offset:896
	s_waitcnt vmcnt(21)
	v_fma_f64 v[89:90], v[73:74], v[101:102], -v[91:92]
	v_add_f64 v[81:82], v[81:82], v[85:86]
	v_add_f64 v[3:4], v[3:4], v[83:84]
	s_waitcnt lgkmcnt(1)
	v_mul_f64 v[85:86], v[67:68], v[97:98]
	v_mul_f64 v[83:84], v[65:66], v[97:98]
	v_fma_f64 v[79:80], v[75:76], v[101:102], v[79:80]
	ds_read_b128 v[73:76], v2 offset:912
	v_add_f64 v[81:82], v[81:82], v[87:88]
	v_add_f64 v[3:4], v[3:4], v[77:78]
	s_waitcnt vmcnt(17) lgkmcnt(1)
	v_mul_f64 v[87:88], v[71:72], v[103:104]
	s_waitcnt vmcnt(16)
	v_fma_f64 v[85:86], v[65:66], v[99:100], -v[85:86]
	v_mul_f64 v[77:78], v[69:70], v[103:104]
	v_fma_f64 v[83:84], v[67:68], v[99:100], v[83:84]
	ds_read_b128 v[65:68], v2 offset:928
	v_add_f64 v[81:82], v[81:82], v[89:90]
	v_add_f64 v[3:4], v[3:4], v[79:80]
	s_waitcnt vmcnt(15) lgkmcnt(1)
	v_mul_f64 v[89:90], v[75:76], v[105:106]
	s_waitcnt vmcnt(13)
	v_fma_f64 v[87:88], v[69:70], v[109:110], -v[87:88]
	;; [unrolled: 9-line block ×3, first 2 shown]
	v_mul_f64 v[83:84], v[65:66], v[111:112]
	v_fma_f64 v[75:76], v[75:76], v[107:108], v[79:80]
	s_waitcnt vmcnt(7) lgkmcnt(0)
	v_mul_f64 v[79:80], v[71:72], v[113:114]
	v_add_f64 v[81:82], v[81:82], v[87:88]
	v_add_f64 v[3:4], v[3:4], v[77:78]
	s_waitcnt vmcnt(5)
	v_fma_f64 v[65:66], v[65:66], v[117:118], -v[85:86]
	v_mul_f64 v[77:78], v[69:70], v[113:114]
	v_fma_f64 v[67:68], v[67:68], v[117:118], v[83:84]
	s_waitcnt vmcnt(4)
	v_fma_f64 v[69:70], v[69:70], v[115:116], -v[79:80]
	v_add_f64 v[73:74], v[81:82], v[73:74]
	v_add_f64 v[3:4], v[3:4], v[75:76]
	v_fma_f64 v[71:72], v[71:72], v[115:116], v[77:78]
	v_add_f64 v[65:66], v[73:74], v[65:66]
	v_add_f64 v[3:4], v[3:4], v[67:68]
	;; [unrolled: 1-line block ×4, first 2 shown]
	s_waitcnt vmcnt(2)
	v_add_f64 v[65:66], v[119:120], -v[65:66]
	s_waitcnt vmcnt(0)
	v_add_f64 v[3:4], v[121:122], -v[3:4]
	buffer_store_dword v66, off, s[0:3], 0 offset:308
	buffer_store_dword v65, off, s[0:3], 0 offset:304
	buffer_store_dword v4, off, s[0:3], 0 offset:316
	buffer_store_dword v3, off, s[0:3], 0 offset:312
	v_cmpx_lt_u32_e32 17, v0
	s_cbranch_execz .LBB93_159
; %bb.158:
	v_mov_b32_e32 v3, s24
	s_clause 0x3
	buffer_load_dword v65, v3, s[0:3], 0 offen
	buffer_load_dword v66, v3, s[0:3], 0 offen offset:4
	buffer_load_dword v67, v3, s[0:3], 0 offen offset:8
	;; [unrolled: 1-line block ×3, first 2 shown]
	buffer_store_dword v2, off, s[0:3], 0 offset:288
	buffer_store_dword v2, off, s[0:3], 0 offset:292
	;; [unrolled: 1-line block ×4, first 2 shown]
	s_waitcnt vmcnt(0)
	ds_write_b128 v1, v[65:68]
.LBB93_159:
	s_or_b32 exec_lo, exec_lo, s4
	s_waitcnt lgkmcnt(0)
	s_waitcnt_vscnt null, 0x0
	s_barrier
	buffer_gl0_inv
	s_clause 0x2f
	buffer_load_dword v3, off, s[0:3], 0 offset:312
	buffer_load_dword v4, off, s[0:3], 0 offset:316
	;; [unrolled: 1-line block ×48, first 2 shown]
	ds_read_b128 v[65:68], v2 offset:768
	s_clause 0x3
	buffer_load_dword v123, off, s[0:3], 0 offset:288
	buffer_load_dword v124, off, s[0:3], 0 offset:292
	;; [unrolled: 1-line block ×4, first 2 shown]
	ds_read_b128 v[69:72], v2 offset:784
	ds_read_b128 v[73:76], v2 offset:800
	s_mov_b32 s4, exec_lo
	s_waitcnt vmcnt(50) lgkmcnt(2)
	v_mul_f64 v[127:128], v[67:68], v[3:4]
	v_mul_f64 v[3:4], v[65:66], v[3:4]
	s_waitcnt vmcnt(48) lgkmcnt(1)
	v_mul_f64 v[129:130], v[71:72], v[77:78]
	v_mul_f64 v[77:78], v[69:70], v[77:78]
	s_waitcnt vmcnt(46)
	v_fma_f64 v[127:128], v[65:66], v[79:80], -v[127:128]
	v_fma_f64 v[3:4], v[67:68], v[79:80], v[3:4]
	s_waitcnt vmcnt(44) lgkmcnt(0)
	v_mul_f64 v[79:80], v[73:74], v[81:82]
	v_mul_f64 v[81:82], v[75:76], v[81:82]
	s_waitcnt vmcnt(42)
	v_fma_f64 v[129:130], v[69:70], v[83:84], -v[129:130]
	ds_read_b128 v[65:68], v2 offset:816
	v_fma_f64 v[77:78], v[71:72], v[83:84], v[77:78]
	ds_read_b128 v[69:72], v2 offset:832
	v_add_f64 v[127:128], v[127:128], 0
	v_add_f64 v[3:4], v[3:4], 0
	s_waitcnt vmcnt(36)
	v_fma_f64 v[79:80], v[75:76], v[91:92], v[79:80]
	s_waitcnt lgkmcnt(1)
	v_mul_f64 v[83:84], v[65:66], v[85:86]
	v_mul_f64 v[85:86], v[67:68], v[85:86]
	v_fma_f64 v[81:82], v[73:74], v[91:92], -v[81:82]
	ds_read_b128 v[73:76], v2 offset:848
	v_add_f64 v[127:128], v[127:128], v[129:130]
	v_add_f64 v[3:4], v[3:4], v[77:78]
	s_waitcnt vmcnt(35) lgkmcnt(1)
	v_mul_f64 v[77:78], v[69:70], v[87:88]
	v_mul_f64 v[87:88], v[71:72], v[87:88]
	s_waitcnt vmcnt(33)
	v_fma_f64 v[85:86], v[65:66], v[93:94], -v[85:86]
	v_fma_f64 v[83:84], v[67:68], v[93:94], v[83:84]
	ds_read_b128 v[65:68], v2 offset:864
	s_waitcnt vmcnt(29) lgkmcnt(1)
	v_mul_f64 v[91:92], v[75:76], v[95:96]
	v_add_f64 v[81:82], v[127:128], v[81:82]
	v_add_f64 v[3:4], v[3:4], v[79:80]
	v_mul_f64 v[79:80], v[73:74], v[95:96]
	s_waitcnt vmcnt(28)
	v_fma_f64 v[87:88], v[69:70], v[89:90], -v[87:88]
	v_fma_f64 v[77:78], v[71:72], v[89:90], v[77:78]
	ds_read_b128 v[69:72], v2 offset:880
	s_waitcnt vmcnt(25)
	v_fma_f64 v[89:90], v[73:74], v[101:102], -v[91:92]
	v_add_f64 v[81:82], v[81:82], v[85:86]
	v_add_f64 v[3:4], v[3:4], v[83:84]
	s_waitcnt lgkmcnt(1)
	v_mul_f64 v[85:86], v[67:68], v[97:98]
	v_mul_f64 v[83:84], v[65:66], v[97:98]
	v_fma_f64 v[79:80], v[75:76], v[101:102], v[79:80]
	ds_read_b128 v[73:76], v2 offset:896
	v_add_f64 v[81:82], v[81:82], v[87:88]
	v_add_f64 v[3:4], v[3:4], v[77:78]
	s_waitcnt vmcnt(21) lgkmcnt(1)
	v_mul_f64 v[87:88], v[71:72], v[103:104]
	s_waitcnt vmcnt(20)
	v_fma_f64 v[85:86], v[65:66], v[99:100], -v[85:86]
	v_mul_f64 v[77:78], v[69:70], v[103:104]
	v_fma_f64 v[83:84], v[67:68], v[99:100], v[83:84]
	ds_read_b128 v[65:68], v2 offset:912
	v_add_f64 v[81:82], v[81:82], v[89:90]
	v_add_f64 v[3:4], v[3:4], v[79:80]
	s_waitcnt vmcnt(19) lgkmcnt(1)
	v_mul_f64 v[89:90], v[75:76], v[105:106]
	s_waitcnt vmcnt(17)
	v_fma_f64 v[87:88], v[69:70], v[109:110], -v[87:88]
	v_mul_f64 v[79:80], v[73:74], v[105:106]
	v_fma_f64 v[77:78], v[71:72], v[109:110], v[77:78]
	ds_read_b128 v[69:72], v2 offset:928
	v_add_f64 v[81:82], v[81:82], v[85:86]
	v_add_f64 v[3:4], v[3:4], v[83:84]
	s_waitcnt vmcnt(13) lgkmcnt(1)
	v_mul_f64 v[85:86], v[67:68], v[111:112]
	s_waitcnt vmcnt(12)
	v_fma_f64 v[89:90], v[73:74], v[107:108], -v[89:90]
	v_mul_f64 v[83:84], v[65:66], v[111:112]
	v_fma_f64 v[79:80], v[75:76], v[107:108], v[79:80]
	ds_read_b128 v[73:76], v2 offset:944
	v_add_f64 v[81:82], v[81:82], v[87:88]
	v_add_f64 v[3:4], v[3:4], v[77:78]
	s_waitcnt vmcnt(11) lgkmcnt(1)
	v_mul_f64 v[87:88], v[71:72], v[113:114]
	s_waitcnt vmcnt(9)
	v_fma_f64 v[65:66], v[65:66], v[117:118], -v[85:86]
	v_mul_f64 v[77:78], v[69:70], v[113:114]
	v_fma_f64 v[67:68], v[67:68], v[117:118], v[83:84]
	s_waitcnt vmcnt(7) lgkmcnt(0)
	v_mul_f64 v[83:84], v[75:76], v[119:120]
	v_add_f64 v[81:82], v[81:82], v[89:90]
	v_add_f64 v[2:3], v[3:4], v[79:80]
	s_waitcnt vmcnt(6)
	v_fma_f64 v[69:70], v[69:70], v[115:116], -v[87:88]
	v_mul_f64 v[79:80], v[73:74], v[119:120]
	v_fma_f64 v[71:72], v[71:72], v[115:116], v[77:78]
	v_add_f64 v[65:66], v[81:82], v[65:66]
	v_add_f64 v[2:3], v[2:3], v[67:68]
	s_waitcnt vmcnt(4)
	v_fma_f64 v[67:68], v[73:74], v[121:122], -v[83:84]
	v_add_f64 v[65:66], v[65:66], v[69:70]
	v_fma_f64 v[69:70], v[75:76], v[121:122], v[79:80]
	v_add_f64 v[2:3], v[2:3], v[71:72]
	v_add_f64 v[65:66], v[65:66], v[67:68]
	;; [unrolled: 1-line block ×3, first 2 shown]
	s_waitcnt vmcnt(2)
	v_add_f64 v[65:66], v[123:124], -v[65:66]
	s_waitcnt vmcnt(0)
	v_add_f64 v[2:3], v[125:126], -v[2:3]
	buffer_store_dword v66, off, s[0:3], 0 offset:292
	buffer_store_dword v65, off, s[0:3], 0 offset:288
	;; [unrolled: 1-line block ×4, first 2 shown]
	v_cmpx_lt_u32_e32 16, v0
	s_cbranch_execz .LBB93_161
; %bb.160:
	v_mov_b32_e32 v2, s25
	s_clause 0x3
	buffer_load_dword v65, v2, s[0:3], 0 offen
	buffer_load_dword v66, v2, s[0:3], 0 offen offset:4
	buffer_load_dword v67, v2, s[0:3], 0 offen offset:8
	;; [unrolled: 1-line block ×3, first 2 shown]
	v_mov_b32_e32 v2, 0
	buffer_store_dword v2, off, s[0:3], 0 offset:272
	buffer_store_dword v2, off, s[0:3], 0 offset:276
	;; [unrolled: 1-line block ×4, first 2 shown]
	s_waitcnt vmcnt(0)
	ds_write_b128 v1, v[65:68]
.LBB93_161:
	s_or_b32 exec_lo, exec_lo, s4
	s_waitcnt lgkmcnt(0)
	s_waitcnt_vscnt null, 0x0
	s_barrier
	buffer_gl0_inv
	s_clause 0x33
	buffer_load_dword v3, off, s[0:3], 0 offset:296
	buffer_load_dword v4, off, s[0:3], 0 offset:300
	;; [unrolled: 1-line block ×52, first 2 shown]
	v_mov_b32_e32 v2, 0
	ds_read_b128 v[65:68], v2 offset:752
	ds_read_b128 v[69:72], v2 offset:768
	s_clause 0x3
	buffer_load_dword v129, off, s[0:3], 0 offset:272
	buffer_load_dword v130, off, s[0:3], 0 offset:276
	;; [unrolled: 1-line block ×4, first 2 shown]
	ds_read_b128 v[73:76], v2 offset:784
	s_mov_b32 s4, exec_lo
	s_waitcnt vmcnt(54) lgkmcnt(2)
	v_mul_f64 v[127:128], v[67:68], v[3:4]
	v_mul_f64 v[3:4], v[65:66], v[3:4]
	s_waitcnt vmcnt(52) lgkmcnt(1)
	v_mul_f64 v[133:134], v[71:72], v[77:78]
	v_mul_f64 v[77:78], v[69:70], v[77:78]
	s_waitcnt vmcnt(50)
	v_fma_f64 v[127:128], v[65:66], v[79:80], -v[127:128]
	v_fma_f64 v[3:4], v[67:68], v[79:80], v[3:4]
	ds_read_b128 v[65:68], v2 offset:800
	s_waitcnt vmcnt(48) lgkmcnt(1)
	v_mul_f64 v[79:80], v[73:74], v[81:82]
	v_mul_f64 v[81:82], v[75:76], v[81:82]
	s_waitcnt vmcnt(46)
	v_fma_f64 v[133:134], v[69:70], v[83:84], -v[133:134]
	v_fma_f64 v[77:78], v[71:72], v[83:84], v[77:78]
	ds_read_b128 v[69:72], v2 offset:816
	s_waitcnt vmcnt(42) lgkmcnt(1)
	v_mul_f64 v[83:84], v[65:66], v[85:86]
	v_add_f64 v[127:128], v[127:128], 0
	v_add_f64 v[3:4], v[3:4], 0
	v_mul_f64 v[85:86], v[67:68], v[85:86]
	s_waitcnt vmcnt(40)
	v_fma_f64 v[81:82], v[73:74], v[91:92], -v[81:82]
	v_fma_f64 v[79:80], v[75:76], v[91:92], v[79:80]
	ds_read_b128 v[73:76], v2 offset:832
	s_waitcnt vmcnt(37)
	v_fma_f64 v[83:84], v[67:68], v[93:94], v[83:84]
	v_add_f64 v[127:128], v[127:128], v[133:134]
	v_add_f64 v[3:4], v[3:4], v[77:78]
	s_waitcnt lgkmcnt(1)
	v_mul_f64 v[77:78], v[69:70], v[87:88]
	v_mul_f64 v[87:88], v[71:72], v[87:88]
	v_fma_f64 v[85:86], v[65:66], v[93:94], -v[85:86]
	s_waitcnt vmcnt(33) lgkmcnt(0)
	v_mul_f64 v[91:92], v[75:76], v[95:96]
	ds_read_b128 v[65:68], v2 offset:848
	v_add_f64 v[81:82], v[127:128], v[81:82]
	v_add_f64 v[3:4], v[3:4], v[79:80]
	v_mul_f64 v[79:80], v[73:74], v[95:96]
	s_waitcnt vmcnt(32)
	v_fma_f64 v[87:88], v[69:70], v[89:90], -v[87:88]
	v_fma_f64 v[77:78], v[71:72], v[89:90], v[77:78]
	ds_read_b128 v[69:72], v2 offset:864
	s_waitcnt vmcnt(29)
	v_fma_f64 v[89:90], v[73:74], v[101:102], -v[91:92]
	v_add_f64 v[81:82], v[81:82], v[85:86]
	v_add_f64 v[3:4], v[3:4], v[83:84]
	s_waitcnt lgkmcnt(1)
	v_mul_f64 v[85:86], v[67:68], v[97:98]
	v_mul_f64 v[83:84], v[65:66], v[97:98]
	v_fma_f64 v[79:80], v[75:76], v[101:102], v[79:80]
	ds_read_b128 v[73:76], v2 offset:880
	v_add_f64 v[81:82], v[81:82], v[87:88]
	v_add_f64 v[3:4], v[3:4], v[77:78]
	s_waitcnt vmcnt(25) lgkmcnt(1)
	v_mul_f64 v[87:88], v[71:72], v[103:104]
	s_waitcnt vmcnt(24)
	v_fma_f64 v[85:86], v[65:66], v[99:100], -v[85:86]
	v_mul_f64 v[77:78], v[69:70], v[103:104]
	v_fma_f64 v[83:84], v[67:68], v[99:100], v[83:84]
	ds_read_b128 v[65:68], v2 offset:896
	v_add_f64 v[81:82], v[81:82], v[89:90]
	v_add_f64 v[3:4], v[3:4], v[79:80]
	s_waitcnt vmcnt(23) lgkmcnt(1)
	v_mul_f64 v[89:90], v[75:76], v[105:106]
	s_waitcnt vmcnt(21)
	v_fma_f64 v[87:88], v[69:70], v[109:110], -v[87:88]
	;; [unrolled: 9-line block ×5, first 2 shown]
	v_mul_f64 v[79:80], v[73:74], v[119:120]
	v_fma_f64 v[71:72], v[71:72], v[115:116], v[77:78]
	s_waitcnt vmcnt(7) lgkmcnt(0)
	v_mul_f64 v[77:78], v[65:66], v[121:122]
	v_add_f64 v[81:82], v[81:82], v[85:86]
	v_add_f64 v[3:4], v[3:4], v[83:84]
	v_mul_f64 v[83:84], v[67:68], v[121:122]
	s_waitcnt vmcnt(5)
	v_fma_f64 v[73:74], v[73:74], v[125:126], -v[89:90]
	v_fma_f64 v[75:76], v[75:76], v[125:126], v[79:80]
	s_waitcnt vmcnt(4)
	v_fma_f64 v[67:68], v[67:68], v[123:124], v[77:78]
	v_add_f64 v[69:70], v[81:82], v[69:70]
	v_add_f64 v[3:4], v[3:4], v[71:72]
	v_fma_f64 v[65:66], v[65:66], v[123:124], -v[83:84]
	v_add_f64 v[69:70], v[69:70], v[73:74]
	v_add_f64 v[3:4], v[3:4], v[75:76]
	v_add_f64 v[65:66], v[69:70], v[65:66]
	v_add_f64 v[3:4], v[3:4], v[67:68]
	s_waitcnt vmcnt(2)
	v_add_f64 v[65:66], v[129:130], -v[65:66]
	s_waitcnt vmcnt(0)
	v_add_f64 v[3:4], v[131:132], -v[3:4]
	buffer_store_dword v66, off, s[0:3], 0 offset:276
	buffer_store_dword v65, off, s[0:3], 0 offset:272
	;; [unrolled: 1-line block ×4, first 2 shown]
	v_cmpx_lt_u32_e32 15, v0
	s_cbranch_execz .LBB93_163
; %bb.162:
	v_mov_b32_e32 v3, s26
	s_clause 0x3
	buffer_load_dword v65, v3, s[0:3], 0 offen
	buffer_load_dword v66, v3, s[0:3], 0 offen offset:4
	buffer_load_dword v67, v3, s[0:3], 0 offen offset:8
	;; [unrolled: 1-line block ×3, first 2 shown]
	buffer_store_dword v2, off, s[0:3], 0 offset:256
	buffer_store_dword v2, off, s[0:3], 0 offset:260
	;; [unrolled: 1-line block ×4, first 2 shown]
	s_waitcnt vmcnt(0)
	ds_write_b128 v1, v[65:68]
.LBB93_163:
	s_or_b32 exec_lo, exec_lo, s4
	s_waitcnt lgkmcnt(0)
	s_waitcnt_vscnt null, 0x0
	s_barrier
	buffer_gl0_inv
	s_clause 0x35
	buffer_load_dword v3, off, s[0:3], 0 offset:280
	buffer_load_dword v4, off, s[0:3], 0 offset:284
	;; [unrolled: 1-line block ×54, first 2 shown]
	ds_read_b128 v[65:68], v2 offset:736
	s_clause 0x1
	buffer_load_dword v130, off, s[0:3], 0 offset:484
	buffer_load_dword v129, off, s[0:3], 0 offset:480
	ds_read_b128 v[69:72], v2 offset:752
	ds_read_b128 v[73:76], v2 offset:768
	s_mov_b32 s4, exec_lo
	s_waitcnt vmcnt(54) lgkmcnt(2)
	v_mul_f64 v[131:132], v[67:68], v[3:4]
	v_mul_f64 v[3:4], v[65:66], v[3:4]
	s_waitcnt vmcnt(52) lgkmcnt(1)
	v_mul_f64 v[133:134], v[71:72], v[77:78]
	v_mul_f64 v[77:78], v[69:70], v[77:78]
	;; [unrolled: 3-line block ×3, first 2 shown]
	v_fma_f64 v[131:132], v[65:66], v[79:80], -v[131:132]
	v_fma_f64 v[3:4], v[67:68], v[79:80], v[3:4]
	s_clause 0x3
	buffer_load_dword v79, off, s[0:3], 0 offset:256
	buffer_load_dword v80, off, s[0:3], 0 offset:260
	;; [unrolled: 1-line block ×4, first 2 shown]
	s_waitcnt vmcnt(50)
	v_fma_f64 v[133:134], v[69:70], v[83:84], -v[133:134]
	ds_read_b128 v[65:68], v2 offset:784
	v_fma_f64 v[77:78], v[71:72], v[83:84], v[77:78]
	ds_read_b128 v[69:72], v2 offset:800
	s_waitcnt vmcnt(44)
	v_fma_f64 v[81:82], v[73:74], v[91:92], -v[81:82]
	v_fma_f64 v[91:92], v[75:76], v[91:92], v[137:138]
	ds_read_b128 v[73:76], v2 offset:816
	v_add_f64 v[131:132], v[131:132], 0
	v_add_f64 v[3:4], v[3:4], 0
	s_waitcnt lgkmcnt(2)
	v_mul_f64 v[83:84], v[65:66], v[85:86]
	v_mul_f64 v[85:86], v[67:68], v[85:86]
	v_add_f64 v[131:132], v[131:132], v[133:134]
	v_add_f64 v[3:4], v[3:4], v[77:78]
	s_waitcnt vmcnt(43) lgkmcnt(1)
	v_mul_f64 v[77:78], v[69:70], v[87:88]
	v_mul_f64 v[87:88], v[71:72], v[87:88]
	s_waitcnt vmcnt(41)
	v_fma_f64 v[85:86], v[65:66], v[93:94], -v[85:86]
	v_fma_f64 v[83:84], v[67:68], v[93:94], v[83:84]
	ds_read_b128 v[65:68], v2 offset:832
	s_waitcnt vmcnt(37) lgkmcnt(1)
	v_mul_f64 v[93:94], v[75:76], v[95:96]
	v_add_f64 v[81:82], v[131:132], v[81:82]
	v_add_f64 v[3:4], v[3:4], v[91:92]
	v_mul_f64 v[91:92], v[73:74], v[95:96]
	s_waitcnt vmcnt(36)
	v_fma_f64 v[87:88], v[69:70], v[89:90], -v[87:88]
	v_fma_f64 v[77:78], v[71:72], v[89:90], v[77:78]
	ds_read_b128 v[69:72], v2 offset:848
	s_waitcnt vmcnt(33)
	v_fma_f64 v[89:90], v[73:74], v[101:102], -v[93:94]
	v_add_f64 v[81:82], v[81:82], v[85:86]
	v_add_f64 v[3:4], v[3:4], v[83:84]
	s_waitcnt lgkmcnt(1)
	v_mul_f64 v[85:86], v[67:68], v[97:98]
	v_mul_f64 v[83:84], v[65:66], v[97:98]
	v_add_f64 v[81:82], v[81:82], v[87:88]
	v_fma_f64 v[87:88], v[75:76], v[101:102], v[91:92]
	v_add_f64 v[3:4], v[3:4], v[77:78]
	ds_read_b128 v[73:76], v2 offset:864
	s_waitcnt vmcnt(29) lgkmcnt(1)
	v_mul_f64 v[91:92], v[71:72], v[103:104]
	s_waitcnt vmcnt(28)
	v_fma_f64 v[85:86], v[65:66], v[99:100], -v[85:86]
	v_mul_f64 v[77:78], v[69:70], v[103:104]
	v_fma_f64 v[83:84], v[67:68], v[99:100], v[83:84]
	ds_read_b128 v[65:68], v2 offset:880
	v_add_f64 v[81:82], v[81:82], v[89:90]
	s_waitcnt vmcnt(27) lgkmcnt(1)
	v_mul_f64 v[89:90], v[75:76], v[105:106]
	v_add_f64 v[3:4], v[3:4], v[87:88]
	v_mul_f64 v[87:88], v[73:74], v[105:106]
	s_waitcnt vmcnt(25)
	v_fma_f64 v[91:92], v[69:70], v[109:110], -v[91:92]
	v_fma_f64 v[77:78], v[71:72], v[109:110], v[77:78]
	ds_read_b128 v[69:72], v2 offset:896
	v_add_f64 v[81:82], v[81:82], v[85:86]
	s_waitcnt vmcnt(21) lgkmcnt(1)
	v_mul_f64 v[85:86], v[67:68], v[111:112]
	v_add_f64 v[3:4], v[3:4], v[83:84]
	s_waitcnt vmcnt(20)
	v_fma_f64 v[89:90], v[73:74], v[107:108], -v[89:90]
	v_mul_f64 v[83:84], v[65:66], v[111:112]
	v_fma_f64 v[87:88], v[75:76], v[107:108], v[87:88]
	ds_read_b128 v[73:76], v2 offset:912
	v_add_f64 v[81:82], v[81:82], v[91:92]
	s_waitcnt vmcnt(19) lgkmcnt(1)
	v_mul_f64 v[91:92], v[71:72], v[113:114]
	v_add_f64 v[3:4], v[3:4], v[77:78]
	s_waitcnt vmcnt(17)
	v_fma_f64 v[85:86], v[65:66], v[117:118], -v[85:86]
	v_mul_f64 v[77:78], v[69:70], v[113:114]
	;; [unrolled: 9-line block ×4, first 2 shown]
	v_fma_f64 v[75:76], v[75:76], v[125:126], v[87:88]
	s_waitcnt vmcnt(7) lgkmcnt(0)
	v_mul_f64 v[87:88], v[71:72], v[127:128]
	v_add_f64 v[81:82], v[81:82], v[91:92]
	s_waitcnt vmcnt(6)
	v_fma_f64 v[65:66], v[65:66], v[123:124], -v[85:86]
	v_add_f64 v[2:3], v[3:4], v[77:78]
	v_mul_f64 v[77:78], v[69:70], v[127:128]
	v_fma_f64 v[67:68], v[67:68], v[123:124], v[83:84]
	s_waitcnt vmcnt(4)
	v_fma_f64 v[69:70], v[69:70], v[129:130], -v[87:88]
	v_add_f64 v[73:74], v[81:82], v[73:74]
	v_add_f64 v[2:3], v[2:3], v[75:76]
	v_fma_f64 v[71:72], v[71:72], v[129:130], v[77:78]
	v_add_f64 v[65:66], v[73:74], v[65:66]
	v_add_f64 v[2:3], v[2:3], v[67:68]
	;; [unrolled: 1-line block ×4, first 2 shown]
	s_waitcnt vmcnt(2)
	v_add_f64 v[65:66], v[79:80], -v[65:66]
	s_waitcnt vmcnt(0)
	v_add_f64 v[2:3], v[135:136], -v[2:3]
	buffer_store_dword v66, off, s[0:3], 0 offset:260
	buffer_store_dword v65, off, s[0:3], 0 offset:256
	buffer_store_dword v3, off, s[0:3], 0 offset:268
	buffer_store_dword v2, off, s[0:3], 0 offset:264
	v_cmpx_lt_u32_e32 14, v0
	s_cbranch_execz .LBB93_165
; %bb.164:
	v_mov_b32_e32 v2, s27
	s_clause 0x3
	buffer_load_dword v65, v2, s[0:3], 0 offen
	buffer_load_dword v66, v2, s[0:3], 0 offen offset:4
	buffer_load_dword v67, v2, s[0:3], 0 offen offset:8
	;; [unrolled: 1-line block ×3, first 2 shown]
	v_mov_b32_e32 v2, 0
	buffer_store_dword v2, off, s[0:3], 0 offset:240
	buffer_store_dword v2, off, s[0:3], 0 offset:244
	;; [unrolled: 1-line block ×4, first 2 shown]
	s_waitcnt vmcnt(0)
	ds_write_b128 v1, v[65:68]
.LBB93_165:
	s_or_b32 exec_lo, exec_lo, s4
	s_waitcnt lgkmcnt(0)
	s_waitcnt_vscnt null, 0x0
	s_barrier
	buffer_gl0_inv
	s_clause 0x35
	buffer_load_dword v3, off, s[0:3], 0 offset:264
	buffer_load_dword v4, off, s[0:3], 0 offset:268
	;; [unrolled: 1-line block ×54, first 2 shown]
	v_mov_b32_e32 v2, 0
	s_mov_b32 s4, exec_lo
	ds_read_b128 v[65:68], v2 offset:720
	s_clause 0x3
	buffer_load_dword v129, off, s[0:3], 0 offset:488
	buffer_load_dword v130, off, s[0:3], 0 offset:492
	;; [unrolled: 1-line block ×4, first 2 shown]
	ds_read_b128 v[69:72], v2 offset:736
	s_clause 0x1
	buffer_load_dword v135, off, s[0:3], 0 offset:480
	buffer_load_dword v136, off, s[0:3], 0 offset:484
	ds_read_b128 v[73:76], v2 offset:752
	s_waitcnt vmcnt(58) lgkmcnt(2)
	v_mul_f64 v[133:134], v[67:68], v[3:4]
	v_mul_f64 v[3:4], v[65:66], v[3:4]
	s_waitcnt vmcnt(56) lgkmcnt(1)
	v_mul_f64 v[137:138], v[71:72], v[77:78]
	v_mul_f64 v[77:78], v[69:70], v[77:78]
	s_waitcnt vmcnt(54)
	v_fma_f64 v[133:134], v[65:66], v[79:80], -v[133:134]
	v_fma_f64 v[3:4], v[67:68], v[79:80], v[3:4]
	ds_read_b128 v[65:68], v2 offset:768
	s_waitcnt vmcnt(52) lgkmcnt(1)
	v_mul_f64 v[79:80], v[73:74], v[81:82]
	v_mul_f64 v[81:82], v[75:76], v[81:82]
	s_waitcnt vmcnt(50)
	v_fma_f64 v[137:138], v[69:70], v[83:84], -v[137:138]
	v_fma_f64 v[77:78], v[71:72], v[83:84], v[77:78]
	s_clause 0x3
	buffer_load_dword v83, off, s[0:3], 0 offset:240
	buffer_load_dword v84, off, s[0:3], 0 offset:244
	;; [unrolled: 1-line block ×4, first 2 shown]
	ds_read_b128 v[69:72], v2 offset:784
	s_waitcnt vmcnt(52) lgkmcnt(1)
	v_mul_f64 v[141:142], v[65:66], v[85:86]
	v_add_f64 v[133:134], v[133:134], 0
	v_add_f64 v[3:4], v[3:4], 0
	v_mul_f64 v[85:86], v[67:68], v[85:86]
	s_waitcnt vmcnt(50)
	v_fma_f64 v[81:82], v[73:74], v[87:88], -v[81:82]
	v_fma_f64 v[79:80], v[75:76], v[87:88], v[79:80]
	ds_read_b128 v[73:76], v2 offset:800
	s_waitcnt vmcnt(48) lgkmcnt(1)
	v_mul_f64 v[87:88], v[71:72], v[89:90]
	v_add_f64 v[133:134], v[133:134], v[137:138]
	v_add_f64 v[3:4], v[3:4], v[77:78]
	s_waitcnt vmcnt(46)
	v_fma_f64 v[85:86], v[65:66], v[91:92], -v[85:86]
	v_mul_f64 v[77:78], v[69:70], v[89:90]
	v_fma_f64 v[89:90], v[67:68], v[91:92], v[141:142]
	s_waitcnt vmcnt(44) lgkmcnt(0)
	v_mul_f64 v[91:92], v[75:76], v[93:94]
	s_waitcnt vmcnt(42)
	v_fma_f64 v[87:88], v[69:70], v[95:96], -v[87:88]
	ds_read_b128 v[65:68], v2 offset:816
	v_add_f64 v[81:82], v[133:134], v[81:82]
	v_add_f64 v[3:4], v[3:4], v[79:80]
	v_mul_f64 v[79:80], v[73:74], v[93:94]
	v_fma_f64 v[77:78], v[71:72], v[95:96], v[77:78]
	ds_read_b128 v[69:72], v2 offset:832
	s_waitcnt vmcnt(38)
	v_fma_f64 v[91:92], v[73:74], v[99:100], -v[91:92]
	v_add_f64 v[81:82], v[81:82], v[85:86]
	v_add_f64 v[3:4], v[3:4], v[89:90]
	s_waitcnt lgkmcnt(1)
	v_mul_f64 v[89:90], v[67:68], v[97:98]
	v_mul_f64 v[85:86], v[65:66], v[97:98]
	v_fma_f64 v[79:80], v[75:76], v[99:100], v[79:80]
	ds_read_b128 v[73:76], v2 offset:848
	v_add_f64 v[81:82], v[81:82], v[87:88]
	v_add_f64 v[3:4], v[3:4], v[77:78]
	s_waitcnt vmcnt(36) lgkmcnt(1)
	v_mul_f64 v[87:88], v[71:72], v[101:102]
	s_waitcnt vmcnt(34)
	v_fma_f64 v[89:90], v[65:66], v[103:104], -v[89:90]
	v_mul_f64 v[77:78], v[69:70], v[101:102]
	v_fma_f64 v[85:86], v[67:68], v[103:104], v[85:86]
	ds_read_b128 v[65:68], v2 offset:864
	v_add_f64 v[81:82], v[81:82], v[91:92]
	v_add_f64 v[3:4], v[3:4], v[79:80]
	s_waitcnt vmcnt(32) lgkmcnt(1)
	v_mul_f64 v[91:92], v[75:76], v[105:106]
	s_waitcnt vmcnt(30)
	v_fma_f64 v[87:88], v[69:70], v[107:108], -v[87:88]
	;; [unrolled: 9-line block ×7, first 2 shown]
	v_mul_f64 v[77:78], v[69:70], v[125:126]
	v_fma_f64 v[67:68], v[67:68], v[127:128], v[85:86]
	s_waitcnt vmcnt(8) lgkmcnt(0)
	v_mul_f64 v[85:86], v[75:76], v[129:130]
	v_add_f64 v[81:82], v[81:82], v[91:92]
	v_add_f64 v[3:4], v[3:4], v[79:80]
	s_waitcnt vmcnt(6)
	v_fma_f64 v[69:70], v[69:70], v[131:132], -v[87:88]
	v_mul_f64 v[79:80], v[73:74], v[129:130]
	v_fma_f64 v[71:72], v[71:72], v[131:132], v[77:78]
	v_add_f64 v[65:66], v[81:82], v[65:66]
	v_add_f64 v[3:4], v[3:4], v[67:68]
	s_waitcnt vmcnt(4)
	v_fma_f64 v[67:68], v[73:74], v[135:136], -v[85:86]
	v_add_f64 v[65:66], v[65:66], v[69:70]
	v_fma_f64 v[69:70], v[75:76], v[135:136], v[79:80]
	v_add_f64 v[3:4], v[3:4], v[71:72]
	v_add_f64 v[65:66], v[65:66], v[67:68]
	;; [unrolled: 1-line block ×3, first 2 shown]
	s_waitcnt vmcnt(2)
	v_add_f64 v[65:66], v[83:84], -v[65:66]
	s_waitcnt vmcnt(0)
	v_add_f64 v[3:4], v[139:140], -v[3:4]
	buffer_store_dword v66, off, s[0:3], 0 offset:244
	buffer_store_dword v65, off, s[0:3], 0 offset:240
	;; [unrolled: 1-line block ×4, first 2 shown]
	v_cmpx_lt_u32_e32 13, v0
	s_cbranch_execz .LBB93_167
; %bb.166:
	v_mov_b32_e32 v3, s28
	s_clause 0x3
	buffer_load_dword v65, v3, s[0:3], 0 offen
	buffer_load_dword v66, v3, s[0:3], 0 offen offset:4
	buffer_load_dword v67, v3, s[0:3], 0 offen offset:8
	buffer_load_dword v68, v3, s[0:3], 0 offen offset:12
	buffer_store_dword v2, off, s[0:3], 0 offset:224
	buffer_store_dword v2, off, s[0:3], 0 offset:228
	;; [unrolled: 1-line block ×4, first 2 shown]
	s_waitcnt vmcnt(0)
	ds_write_b128 v1, v[65:68]
.LBB93_167:
	s_or_b32 exec_lo, exec_lo, s4
	s_waitcnt lgkmcnt(0)
	s_waitcnt_vscnt null, 0x0
	s_barrier
	buffer_gl0_inv
	s_clause 0x37
	buffer_load_dword v3, off, s[0:3], 0 offset:248
	buffer_load_dword v4, off, s[0:3], 0 offset:252
	;; [unrolled: 1-line block ×56, first 2 shown]
	ds_read_b128 v[65:68], v2 offset:704
	s_clause 0x2
	buffer_load_dword v130, off, s[0:3], 0 offset:476
	buffer_load_dword v134, off, s[0:3], 0 offset:452
	;; [unrolled: 1-line block ×3, first 2 shown]
	ds_read_b128 v[69:72], v2 offset:720
	s_clause 0x2
	buffer_load_dword v138, off, s[0:3], 0 offset:492
	buffer_load_dword v137, off, s[0:3], 0 offset:488
	;; [unrolled: 1-line block ×3, first 2 shown]
	ds_read_b128 v[73:76], v2 offset:736
	s_mov_b32 s4, exec_lo
	s_waitcnt vmcnt(60) lgkmcnt(2)
	v_mul_f64 v[135:136], v[67:68], v[3:4]
	v_mul_f64 v[3:4], v[65:66], v[3:4]
	s_waitcnt vmcnt(58) lgkmcnt(1)
	v_mul_f64 v[139:140], v[71:72], v[77:78]
	v_mul_f64 v[77:78], v[69:70], v[77:78]
	;; [unrolled: 3-line block ×3, first 2 shown]
	v_fma_f64 v[135:136], v[65:66], v[79:80], -v[135:136]
	v_fma_f64 v[3:4], v[67:68], v[79:80], v[3:4]
	s_clause 0x1
	buffer_load_dword v80, off, s[0:3], 0 offset:484
	buffer_load_dword v79, off, s[0:3], 0 offset:480
	s_waitcnt vmcnt(54)
	v_fma_f64 v[139:140], v[69:70], v[83:84], -v[139:140]
	ds_read_b128 v[65:68], v2 offset:752
	v_fma_f64 v[77:78], v[71:72], v[83:84], v[77:78]
	ds_read_b128 v[69:72], v2 offset:768
	s_waitcnt vmcnt(48)
	v_fma_f64 v[81:82], v[73:74], v[91:92], -v[81:82]
	v_fma_f64 v[91:92], v[75:76], v[91:92], v[141:142]
	v_add_f64 v[135:136], v[135:136], 0
	v_add_f64 v[3:4], v[3:4], 0
	s_waitcnt lgkmcnt(1)
	v_mul_f64 v[83:84], v[65:66], v[85:86]
	v_mul_f64 v[85:86], v[67:68], v[85:86]
	s_waitcnt vmcnt(47) lgkmcnt(0)
	v_mul_f64 v[141:142], v[69:70], v[87:88]
	v_mul_f64 v[87:88], v[71:72], v[87:88]
	v_add_f64 v[135:136], v[135:136], v[139:140]
	v_add_f64 v[3:4], v[3:4], v[77:78]
	s_clause 0x3
	buffer_load_dword v77, off, s[0:3], 0 offset:224
	buffer_load_dword v78, off, s[0:3], 0 offset:228
	;; [unrolled: 1-line block ×4, first 2 shown]
	s_waitcnt vmcnt(49)
	v_fma_f64 v[85:86], v[65:66], v[93:94], -v[85:86]
	ds_read_b128 v[73:76], v2 offset:784
	v_fma_f64 v[83:84], v[67:68], v[93:94], v[83:84]
	ds_read_b128 v[65:68], v2 offset:800
	s_waitcnt vmcnt(44)
	v_fma_f64 v[87:88], v[69:70], v[89:90], -v[87:88]
	v_add_f64 v[81:82], v[135:136], v[81:82]
	v_add_f64 v[3:4], v[3:4], v[91:92]
	s_waitcnt lgkmcnt(1)
	v_mul_f64 v[93:94], v[75:76], v[95:96]
	v_mul_f64 v[91:92], v[73:74], v[95:96]
	v_add_f64 v[81:82], v[81:82], v[85:86]
	v_fma_f64 v[85:86], v[71:72], v[89:90], v[141:142]
	v_add_f64 v[3:4], v[3:4], v[83:84]
	s_waitcnt vmcnt(43) lgkmcnt(0)
	v_mul_f64 v[89:90], v[67:68], v[97:98]
	s_waitcnt vmcnt(41)
	v_fma_f64 v[93:94], v[73:74], v[101:102], -v[93:94]
	ds_read_b128 v[69:72], v2 offset:816
	v_mul_f64 v[83:84], v[65:66], v[97:98]
	v_add_f64 v[81:82], v[81:82], v[87:88]
	v_fma_f64 v[87:88], v[75:76], v[101:102], v[91:92]
	v_add_f64 v[3:4], v[3:4], v[85:86]
	ds_read_b128 v[73:76], v2 offset:832
	s_waitcnt vmcnt(37) lgkmcnt(1)
	v_mul_f64 v[91:92], v[71:72], v[103:104]
	s_waitcnt vmcnt(36)
	v_fma_f64 v[89:90], v[65:66], v[99:100], -v[89:90]
	v_mul_f64 v[85:86], v[69:70], v[103:104]
	v_fma_f64 v[83:84], v[67:68], v[99:100], v[83:84]
	ds_read_b128 v[65:68], v2 offset:848
	v_add_f64 v[81:82], v[81:82], v[93:94]
	s_waitcnt vmcnt(35) lgkmcnt(1)
	v_mul_f64 v[93:94], v[75:76], v[105:106]
	v_add_f64 v[3:4], v[3:4], v[87:88]
	v_mul_f64 v[87:88], v[73:74], v[105:106]
	s_waitcnt vmcnt(33)
	v_fma_f64 v[91:92], v[69:70], v[109:110], -v[91:92]
	v_fma_f64 v[85:86], v[71:72], v[109:110], v[85:86]
	ds_read_b128 v[69:72], v2 offset:864
	v_add_f64 v[81:82], v[81:82], v[89:90]
	s_waitcnt vmcnt(29) lgkmcnt(1)
	v_mul_f64 v[89:90], v[67:68], v[111:112]
	v_add_f64 v[3:4], v[3:4], v[83:84]
	s_waitcnt vmcnt(28)
	v_fma_f64 v[93:94], v[73:74], v[107:108], -v[93:94]
	v_mul_f64 v[83:84], v[65:66], v[111:112]
	v_fma_f64 v[87:88], v[75:76], v[107:108], v[87:88]
	ds_read_b128 v[73:76], v2 offset:880
	v_add_f64 v[81:82], v[81:82], v[91:92]
	s_waitcnt vmcnt(27) lgkmcnt(1)
	v_mul_f64 v[91:92], v[71:72], v[113:114]
	v_add_f64 v[3:4], v[3:4], v[85:86]
	s_waitcnt vmcnt(25)
	v_fma_f64 v[89:90], v[65:66], v[117:118], -v[89:90]
	v_mul_f64 v[85:86], v[69:70], v[113:114]
	;; [unrolled: 9-line block ×6, first 2 shown]
	v_fma_f64 v[71:72], v[71:72], v[133:134], v[85:86]
	s_waitcnt vmcnt(7) lgkmcnt(0)
	v_mul_f64 v[85:86], v[67:68], v[137:138]
	v_add_f64 v[81:82], v[81:82], v[89:90]
	s_waitcnt vmcnt(6)
	v_fma_f64 v[73:74], v[73:74], v[131:132], -v[93:94]
	v_add_f64 v[2:3], v[3:4], v[83:84]
	v_mul_f64 v[83:84], v[65:66], v[137:138]
	v_fma_f64 v[75:76], v[75:76], v[131:132], v[87:88]
	v_add_f64 v[69:70], v[81:82], v[69:70]
	v_add_f64 v[2:3], v[2:3], v[71:72]
	s_waitcnt vmcnt(4)
	v_fma_f64 v[65:66], v[65:66], v[79:80], -v[85:86]
	v_fma_f64 v[67:68], v[67:68], v[79:80], v[83:84]
	v_add_f64 v[69:70], v[69:70], v[73:74]
	v_add_f64 v[2:3], v[2:3], v[75:76]
	;; [unrolled: 1-line block ×4, first 2 shown]
	s_waitcnt vmcnt(2)
	v_add_f64 v[65:66], v[77:78], -v[65:66]
	s_waitcnt vmcnt(0)
	v_add_f64 v[2:3], v[139:140], -v[2:3]
	buffer_store_dword v66, off, s[0:3], 0 offset:228
	buffer_store_dword v65, off, s[0:3], 0 offset:224
	;; [unrolled: 1-line block ×4, first 2 shown]
	v_cmpx_lt_u32_e32 12, v0
	s_cbranch_execz .LBB93_169
; %bb.168:
	v_mov_b32_e32 v2, s29
	s_clause 0x3
	buffer_load_dword v65, v2, s[0:3], 0 offen
	buffer_load_dword v66, v2, s[0:3], 0 offen offset:4
	buffer_load_dword v67, v2, s[0:3], 0 offen offset:8
	;; [unrolled: 1-line block ×3, first 2 shown]
	v_mov_b32_e32 v2, 0
	buffer_store_dword v2, off, s[0:3], 0 offset:208
	buffer_store_dword v2, off, s[0:3], 0 offset:212
	;; [unrolled: 1-line block ×4, first 2 shown]
	s_waitcnt vmcnt(0)
	ds_write_b128 v1, v[65:68]
.LBB93_169:
	s_or_b32 exec_lo, exec_lo, s4
	s_waitcnt lgkmcnt(0)
	s_waitcnt_vscnt null, 0x0
	s_barrier
	buffer_gl0_inv
	s_clause 0x37
	buffer_load_dword v3, off, s[0:3], 0 offset:232
	buffer_load_dword v4, off, s[0:3], 0 offset:236
	;; [unrolled: 1-line block ×56, first 2 shown]
	v_mov_b32_e32 v2, 0
	s_mov_b32 s4, exec_lo
	ds_read_b128 v[65:68], v2 offset:688
	s_clause 0x2
	buffer_load_dword v130, off, s[0:3], 0 offset:460
	buffer_load_dword v134, off, s[0:3], 0 offset:436
	;; [unrolled: 1-line block ×3, first 2 shown]
	ds_read_b128 v[69:72], v2 offset:704
	s_clause 0x4
	buffer_load_dword v138, off, s[0:3], 0 offset:476
	buffer_load_dword v139, off, s[0:3], 0 offset:488
	;; [unrolled: 1-line block ×5, first 2 shown]
	ds_read_b128 v[73:76], v2 offset:720
	s_waitcnt vmcnt(62) lgkmcnt(2)
	v_mul_f64 v[135:136], v[67:68], v[3:4]
	v_mul_f64 v[3:4], v[65:66], v[3:4]
	s_waitcnt vmcnt(60) lgkmcnt(1)
	v_mul_f64 v[142:143], v[71:72], v[77:78]
	v_mul_f64 v[77:78], v[69:70], v[77:78]
	;; [unrolled: 3-line block ×3, first 2 shown]
	v_fma_f64 v[135:136], v[65:66], v[79:80], -v[135:136]
	v_fma_f64 v[3:4], v[67:68], v[79:80], v[3:4]
	s_clause 0x2
	buffer_load_dword v140, off, s[0:3], 0 offset:492
	buffer_load_dword v80, off, s[0:3], 0 offset:468
	;; [unrolled: 1-line block ×3, first 2 shown]
	s_waitcnt vmcnt(57)
	v_fma_f64 v[146:147], v[69:70], v[83:84], -v[142:143]
	ds_read_b128 v[65:68], v2 offset:736
	v_fma_f64 v[77:78], v[71:72], v[83:84], v[77:78]
	buffer_load_dword v142, off, s[0:3], 0 offset:484
	ds_read_b128 v[69:72], v2 offset:752
	s_waitcnt vmcnt(52)
	v_fma_f64 v[81:82], v[73:74], v[91:92], -v[81:82]
	v_fma_f64 v[91:92], v[75:76], v[91:92], v[144:145]
	ds_read_b128 v[73:76], v2 offset:768
	v_add_f64 v[135:136], v[135:136], 0
	v_add_f64 v[3:4], v[3:4], 0
	s_waitcnt lgkmcnt(2)
	v_mul_f64 v[83:84], v[65:66], v[85:86]
	v_mul_f64 v[85:86], v[67:68], v[85:86]
	v_add_f64 v[135:136], v[135:136], v[146:147]
	v_add_f64 v[3:4], v[3:4], v[77:78]
	s_waitcnt vmcnt(51) lgkmcnt(1)
	v_mul_f64 v[77:78], v[69:70], v[87:88]
	v_mul_f64 v[87:88], v[71:72], v[87:88]
	s_waitcnt vmcnt(49)
	v_fma_f64 v[85:86], v[65:66], v[93:94], -v[85:86]
	v_fma_f64 v[83:84], v[67:68], v[93:94], v[83:84]
	v_add_f64 v[81:82], v[135:136], v[81:82]
	v_add_f64 v[3:4], v[3:4], v[91:92]
	s_clause 0x3
	buffer_load_dword v91, off, s[0:3], 0 offset:208
	buffer_load_dword v92, off, s[0:3], 0 offset:212
	;; [unrolled: 1-line block ×4, first 2 shown]
	s_waitcnt vmcnt(49) lgkmcnt(0)
	v_mul_f64 v[135:136], v[73:74], v[95:96]
	v_mul_f64 v[95:96], v[75:76], v[95:96]
	s_waitcnt vmcnt(48)
	v_fma_f64 v[87:88], v[69:70], v[89:90], -v[87:88]
	ds_read_b128 v[65:68], v2 offset:784
	v_fma_f64 v[77:78], v[71:72], v[89:90], v[77:78]
	ds_read_b128 v[69:72], v2 offset:800
	v_add_f64 v[81:82], v[81:82], v[85:86]
	v_add_f64 v[3:4], v[3:4], v[83:84]
	s_waitcnt vmcnt(47) lgkmcnt(1)
	v_mul_f64 v[85:86], v[67:68], v[97:98]
	s_waitcnt vmcnt(45)
	v_fma_f64 v[89:90], v[73:74], v[101:102], -v[95:96]
	v_mul_f64 v[83:84], v[65:66], v[97:98]
	s_waitcnt vmcnt(41) lgkmcnt(0)
	v_mul_f64 v[95:96], v[71:72], v[103:104]
	v_add_f64 v[81:82], v[81:82], v[87:88]
	v_fma_f64 v[87:88], v[75:76], v[101:102], v[135:136]
	v_add_f64 v[3:4], v[3:4], v[77:78]
	ds_read_b128 v[73:76], v2 offset:816
	s_waitcnt vmcnt(40)
	v_fma_f64 v[85:86], v[65:66], v[99:100], -v[85:86]
	v_mul_f64 v[77:78], v[69:70], v[103:104]
	v_fma_f64 v[83:84], v[67:68], v[99:100], v[83:84]
	ds_read_b128 v[65:68], v2 offset:832
	s_waitcnt vmcnt(37)
	v_fma_f64 v[95:96], v[69:70], v[109:110], -v[95:96]
	v_add_f64 v[81:82], v[81:82], v[89:90]
	s_waitcnt lgkmcnt(1)
	v_mul_f64 v[89:90], v[75:76], v[105:106]
	v_add_f64 v[3:4], v[3:4], v[87:88]
	v_mul_f64 v[87:88], v[73:74], v[105:106]
	v_fma_f64 v[77:78], v[71:72], v[109:110], v[77:78]
	ds_read_b128 v[69:72], v2 offset:848
	v_add_f64 v[81:82], v[81:82], v[85:86]
	s_waitcnt vmcnt(33) lgkmcnt(1)
	v_mul_f64 v[85:86], v[67:68], v[111:112]
	v_add_f64 v[3:4], v[3:4], v[83:84]
	s_waitcnt vmcnt(32)
	v_fma_f64 v[89:90], v[73:74], v[107:108], -v[89:90]
	v_mul_f64 v[83:84], v[65:66], v[111:112]
	v_fma_f64 v[87:88], v[75:76], v[107:108], v[87:88]
	ds_read_b128 v[73:76], v2 offset:864
	v_add_f64 v[81:82], v[81:82], v[95:96]
	s_waitcnt vmcnt(31) lgkmcnt(1)
	v_mul_f64 v[95:96], v[71:72], v[113:114]
	v_add_f64 v[3:4], v[3:4], v[77:78]
	s_waitcnt vmcnt(29)
	v_fma_f64 v[85:86], v[65:66], v[117:118], -v[85:86]
	;; [unrolled: 9-line block ×7, first 2 shown]
	v_mul_f64 v[83:84], v[65:66], v[137:138]
	v_fma_f64 v[75:76], v[75:76], v[131:132], v[87:88]
	v_add_f64 v[81:82], v[81:82], v[95:96]
	v_add_f64 v[3:4], v[3:4], v[77:78]
	s_waitcnt vmcnt(7) lgkmcnt(0)
	v_mul_f64 v[87:88], v[71:72], v[139:140]
	v_mul_f64 v[77:78], v[69:70], v[139:140]
	s_waitcnt vmcnt(5)
	v_fma_f64 v[65:66], v[65:66], v[79:80], -v[85:86]
	v_fma_f64 v[67:68], v[67:68], v[79:80], v[83:84]
	v_add_f64 v[73:74], v[81:82], v[73:74]
	v_add_f64 v[3:4], v[3:4], v[75:76]
	s_waitcnt vmcnt(4)
	v_fma_f64 v[69:70], v[69:70], v[141:142], -v[87:88]
	v_fma_f64 v[71:72], v[71:72], v[141:142], v[77:78]
	v_add_f64 v[65:66], v[73:74], v[65:66]
	v_add_f64 v[3:4], v[3:4], v[67:68]
	;; [unrolled: 1-line block ×4, first 2 shown]
	s_waitcnt vmcnt(2)
	v_add_f64 v[65:66], v[91:92], -v[65:66]
	s_waitcnt vmcnt(0)
	v_add_f64 v[3:4], v[93:94], -v[3:4]
	buffer_store_dword v66, off, s[0:3], 0 offset:212
	buffer_store_dword v65, off, s[0:3], 0 offset:208
	;; [unrolled: 1-line block ×4, first 2 shown]
	v_cmpx_lt_u32_e32 11, v0
	s_cbranch_execz .LBB93_171
; %bb.170:
	v_mov_b32_e32 v3, s30
	s_clause 0x3
	buffer_load_dword v65, v3, s[0:3], 0 offen
	buffer_load_dword v66, v3, s[0:3], 0 offen offset:4
	buffer_load_dword v67, v3, s[0:3], 0 offen offset:8
	buffer_load_dword v68, v3, s[0:3], 0 offen offset:12
	buffer_store_dword v2, off, s[0:3], 0 offset:192
	buffer_store_dword v2, off, s[0:3], 0 offset:196
	;; [unrolled: 1-line block ×4, first 2 shown]
	s_waitcnt vmcnt(0)
	ds_write_b128 v1, v[65:68]
.LBB93_171:
	s_or_b32 exec_lo, exec_lo, s4
	s_waitcnt lgkmcnt(0)
	s_waitcnt_vscnt null, 0x0
	s_barrier
	buffer_gl0_inv
	s_clause 0x37
	buffer_load_dword v3, off, s[0:3], 0 offset:216
	buffer_load_dword v4, off, s[0:3], 0 offset:220
	;; [unrolled: 1-line block ×56, first 2 shown]
	ds_read_b128 v[65:68], v2 offset:672
	s_clause 0x2
	buffer_load_dword v130, off, s[0:3], 0 offset:444
	buffer_load_dword v134, off, s[0:3], 0 offset:420
	;; [unrolled: 1-line block ×3, first 2 shown]
	ds_read_b128 v[69:72], v2 offset:688
	s_clause 0x4
	buffer_load_dword v138, off, s[0:3], 0 offset:460
	buffer_load_dword v139, off, s[0:3], 0 offset:472
	;; [unrolled: 1-line block ×5, first 2 shown]
	ds_read_b128 v[73:76], v2 offset:704
	s_mov_b32 s4, exec_lo
	s_waitcnt vmcnt(62) lgkmcnt(2)
	v_mul_f64 v[135:136], v[67:68], v[3:4]
	v_mul_f64 v[3:4], v[65:66], v[3:4]
	s_waitcnt vmcnt(60) lgkmcnt(1)
	v_mul_f64 v[142:143], v[71:72], v[77:78]
	v_mul_f64 v[77:78], v[69:70], v[77:78]
	s_waitcnt vmcnt(56) lgkmcnt(0)
	v_mul_f64 v[144:145], v[73:74], v[81:82]
	v_mul_f64 v[81:82], v[75:76], v[81:82]
	v_fma_f64 v[135:136], v[65:66], v[79:80], -v[135:136]
	v_fma_f64 v[3:4], v[67:68], v[79:80], v[3:4]
	s_clause 0x2
	buffer_load_dword v140, off, s[0:3], 0 offset:476
	buffer_load_dword v80, off, s[0:3], 0 offset:452
	;; [unrolled: 1-line block ×3, first 2 shown]
	s_waitcnt vmcnt(57)
	v_fma_f64 v[146:147], v[69:70], v[83:84], -v[142:143]
	ds_read_b128 v[65:68], v2 offset:720
	v_fma_f64 v[77:78], v[71:72], v[83:84], v[77:78]
	s_clause 0x2
	buffer_load_dword v84, off, s[0:3], 0 offset:492
	buffer_load_dword v83, off, s[0:3], 0 offset:488
	;; [unrolled: 1-line block ×3, first 2 shown]
	s_waitcnt vmcnt(54)
	v_fma_f64 v[81:82], v[73:74], v[91:92], -v[81:82]
	ds_read_b128 v[69:72], v2 offset:736
	v_fma_f64 v[91:92], v[75:76], v[91:92], v[144:145]
	v_add_f64 v[135:136], v[135:136], 0
	v_add_f64 v[3:4], v[3:4], 0
	s_waitcnt lgkmcnt(1)
	v_mul_f64 v[148:149], v[65:66], v[85:86]
	v_mul_f64 v[85:86], v[67:68], v[85:86]
	s_waitcnt vmcnt(53) lgkmcnt(0)
	v_mul_f64 v[143:144], v[69:70], v[87:88]
	v_mul_f64 v[87:88], v[71:72], v[87:88]
	v_add_f64 v[135:136], v[135:136], v[146:147]
	v_add_f64 v[3:4], v[3:4], v[77:78]
	s_clause 0x1
	buffer_load_dword v78, off, s[0:3], 0 offset:484
	buffer_load_dword v77, off, s[0:3], 0 offset:480
	s_waitcnt vmcnt(53)
	v_fma_f64 v[85:86], v[65:66], v[93:94], -v[85:86]
	ds_read_b128 v[73:76], v2 offset:752
	v_fma_f64 v[93:94], v[67:68], v[93:94], v[148:149]
	ds_read_b128 v[65:68], v2 offset:768
	s_waitcnt vmcnt(48)
	v_fma_f64 v[87:88], v[69:70], v[89:90], -v[87:88]
	v_add_f64 v[81:82], v[135:136], v[81:82]
	v_add_f64 v[3:4], v[3:4], v[91:92]
	s_waitcnt lgkmcnt(1)
	v_mul_f64 v[91:92], v[73:74], v[95:96]
	v_mul_f64 v[95:96], v[75:76], v[95:96]
	s_waitcnt vmcnt(47) lgkmcnt(0)
	v_mul_f64 v[135:136], v[65:66], v[97:98]
	v_mul_f64 v[97:98], v[67:68], v[97:98]
	v_add_f64 v[81:82], v[81:82], v[85:86]
	v_fma_f64 v[85:86], v[71:72], v[89:90], v[143:144]
	v_add_f64 v[3:4], v[3:4], v[93:94]
	s_clause 0x3
	buffer_load_dword v89, off, s[0:3], 0 offset:192
	buffer_load_dword v90, off, s[0:3], 0 offset:196
	;; [unrolled: 1-line block ×4, first 2 shown]
	s_waitcnt vmcnt(49)
	v_fma_f64 v[95:96], v[73:74], v[101:102], -v[95:96]
	ds_read_b128 v[69:72], v2 offset:784
	s_waitcnt vmcnt(44)
	v_fma_f64 v[97:98], v[65:66], v[99:100], -v[97:98]
	v_add_f64 v[81:82], v[81:82], v[87:88]
	v_fma_f64 v[87:88], v[75:76], v[101:102], v[91:92]
	v_add_f64 v[3:4], v[3:4], v[85:86]
	ds_read_b128 v[73:76], v2 offset:800
	s_waitcnt lgkmcnt(1)
	v_mul_f64 v[91:92], v[71:72], v[103:104]
	v_mul_f64 v[85:86], v[69:70], v[103:104]
	v_add_f64 v[81:82], v[81:82], v[95:96]
	v_fma_f64 v[95:96], v[67:68], v[99:100], v[135:136]
	v_add_f64 v[3:4], v[3:4], v[87:88]
	s_waitcnt vmcnt(43) lgkmcnt(0)
	v_mul_f64 v[99:100], v[75:76], v[105:106]
	s_waitcnt vmcnt(41)
	v_fma_f64 v[91:92], v[69:70], v[109:110], -v[91:92]
	ds_read_b128 v[65:68], v2 offset:816
	v_mul_f64 v[87:88], v[73:74], v[105:106]
	v_fma_f64 v[85:86], v[71:72], v[109:110], v[85:86]
	ds_read_b128 v[69:72], v2 offset:832
	v_add_f64 v[81:82], v[81:82], v[97:98]
	v_add_f64 v[3:4], v[3:4], v[95:96]
	s_waitcnt vmcnt(37) lgkmcnt(1)
	v_mul_f64 v[97:98], v[67:68], v[111:112]
	s_waitcnt vmcnt(36)
	v_fma_f64 v[99:100], v[73:74], v[107:108], -v[99:100]
	v_mul_f64 v[95:96], v[65:66], v[111:112]
	v_fma_f64 v[87:88], v[75:76], v[107:108], v[87:88]
	ds_read_b128 v[73:76], v2 offset:848
	v_add_f64 v[81:82], v[81:82], v[91:92]
	s_waitcnt vmcnt(35) lgkmcnt(1)
	v_mul_f64 v[91:92], v[71:72], v[113:114]
	v_add_f64 v[3:4], v[3:4], v[85:86]
	s_waitcnt vmcnt(33)
	v_fma_f64 v[97:98], v[65:66], v[117:118], -v[97:98]
	v_mul_f64 v[85:86], v[69:70], v[113:114]
	v_fma_f64 v[95:96], v[67:68], v[117:118], v[95:96]
	ds_read_b128 v[65:68], v2 offset:864
	v_add_f64 v[81:82], v[81:82], v[99:100]
	s_waitcnt vmcnt(29) lgkmcnt(1)
	v_mul_f64 v[99:100], v[75:76], v[119:120]
	v_add_f64 v[3:4], v[3:4], v[87:88]
	s_waitcnt vmcnt(28)
	v_fma_f64 v[91:92], v[69:70], v[115:116], -v[91:92]
	v_mul_f64 v[87:88], v[73:74], v[119:120]
	v_fma_f64 v[85:86], v[71:72], v[115:116], v[85:86]
	ds_read_b128 v[69:72], v2 offset:880
	v_add_f64 v[81:82], v[81:82], v[97:98]
	s_waitcnt vmcnt(27) lgkmcnt(1)
	v_mul_f64 v[97:98], v[67:68], v[121:122]
	v_add_f64 v[3:4], v[3:4], v[95:96]
	s_waitcnt vmcnt(25)
	v_fma_f64 v[99:100], v[73:74], v[125:126], -v[99:100]
	v_mul_f64 v[95:96], v[65:66], v[121:122]
	v_fma_f64 v[87:88], v[75:76], v[125:126], v[87:88]
	ds_read_b128 v[73:76], v2 offset:896
	v_add_f64 v[81:82], v[81:82], v[91:92]
	s_waitcnt vmcnt(21) lgkmcnt(1)
	v_mul_f64 v[91:92], v[71:72], v[127:128]
	v_add_f64 v[3:4], v[3:4], v[85:86]
	s_waitcnt vmcnt(20)
	v_fma_f64 v[97:98], v[65:66], v[123:124], -v[97:98]
	v_mul_f64 v[85:86], v[69:70], v[127:128]
	v_fma_f64 v[95:96], v[67:68], v[123:124], v[95:96]
	ds_read_b128 v[65:68], v2 offset:912
	v_add_f64 v[81:82], v[81:82], v[99:100]
	s_waitcnt vmcnt(19) lgkmcnt(1)
	v_mul_f64 v[99:100], v[75:76], v[129:130]
	v_add_f64 v[3:4], v[3:4], v[87:88]
	s_waitcnt vmcnt(17)
	v_fma_f64 v[91:92], v[69:70], v[133:134], -v[91:92]
	v_mul_f64 v[87:88], v[73:74], v[129:130]
	v_fma_f64 v[85:86], v[71:72], v[133:134], v[85:86]
	ds_read_b128 v[69:72], v2 offset:928
	v_add_f64 v[81:82], v[81:82], v[97:98]
	s_waitcnt vmcnt(13) lgkmcnt(1)
	v_mul_f64 v[97:98], v[67:68], v[137:138]
	v_add_f64 v[3:4], v[3:4], v[95:96]
	s_waitcnt vmcnt(12)
	v_fma_f64 v[99:100], v[73:74], v[131:132], -v[99:100]
	v_mul_f64 v[95:96], v[65:66], v[137:138]
	v_fma_f64 v[87:88], v[75:76], v[131:132], v[87:88]
	ds_read_b128 v[73:76], v2 offset:944
	v_add_f64 v[81:82], v[81:82], v[91:92]
	v_add_f64 v[3:4], v[3:4], v[85:86]
	s_waitcnt vmcnt(11) lgkmcnt(1)
	v_mul_f64 v[91:92], v[71:72], v[139:140]
	v_mul_f64 v[85:86], v[69:70], v[139:140]
	s_waitcnt vmcnt(9)
	v_fma_f64 v[65:66], v[65:66], v[79:80], -v[97:98]
	v_fma_f64 v[67:68], v[67:68], v[79:80], v[95:96]
	s_waitcnt vmcnt(7) lgkmcnt(0)
	v_mul_f64 v[79:80], v[73:74], v[83:84]
	v_mul_f64 v[83:84], v[75:76], v[83:84]
	v_add_f64 v[81:82], v[81:82], v[99:100]
	v_add_f64 v[2:3], v[3:4], v[87:88]
	s_waitcnt vmcnt(6)
	v_fma_f64 v[69:70], v[69:70], v[141:142], -v[91:92]
	v_fma_f64 v[71:72], v[71:72], v[141:142], v[85:86]
	v_add_f64 v[65:66], v[81:82], v[65:66]
	v_add_f64 v[2:3], v[2:3], v[67:68]
	s_waitcnt vmcnt(4)
	v_fma_f64 v[67:68], v[73:74], v[77:78], -v[83:84]
	v_add_f64 v[65:66], v[65:66], v[69:70]
	v_fma_f64 v[69:70], v[75:76], v[77:78], v[79:80]
	v_add_f64 v[2:3], v[2:3], v[71:72]
	v_add_f64 v[65:66], v[65:66], v[67:68]
	v_add_f64 v[2:3], v[2:3], v[69:70]
	s_waitcnt vmcnt(2)
	v_add_f64 v[65:66], v[89:90], -v[65:66]
	s_waitcnt vmcnt(0)
	v_add_f64 v[2:3], v[93:94], -v[2:3]
	buffer_store_dword v66, off, s[0:3], 0 offset:196
	buffer_store_dword v65, off, s[0:3], 0 offset:192
	;; [unrolled: 1-line block ×4, first 2 shown]
	v_cmpx_lt_u32_e32 10, v0
	s_cbranch_execz .LBB93_173
; %bb.172:
	v_mov_b32_e32 v2, s31
	s_clause 0x3
	buffer_load_dword v65, v2, s[0:3], 0 offen
	buffer_load_dword v66, v2, s[0:3], 0 offen offset:4
	buffer_load_dword v67, v2, s[0:3], 0 offen offset:8
	buffer_load_dword v68, v2, s[0:3], 0 offen offset:12
	v_mov_b32_e32 v2, 0
	buffer_store_dword v2, off, s[0:3], 0 offset:176
	buffer_store_dword v2, off, s[0:3], 0 offset:180
	;; [unrolled: 1-line block ×4, first 2 shown]
	s_waitcnt vmcnt(0)
	ds_write_b128 v1, v[65:68]
.LBB93_173:
	s_or_b32 exec_lo, exec_lo, s4
	s_waitcnt lgkmcnt(0)
	s_waitcnt_vscnt null, 0x0
	s_barrier
	buffer_gl0_inv
	s_clause 0x37
	buffer_load_dword v3, off, s[0:3], 0 offset:200
	buffer_load_dword v4, off, s[0:3], 0 offset:204
	;; [unrolled: 1-line block ×56, first 2 shown]
	v_mov_b32_e32 v2, 0
	s_mov_b32 s4, exec_lo
	ds_read_b128 v[65:68], v2 offset:656
	s_clause 0x2
	buffer_load_dword v130, off, s[0:3], 0 offset:428
	buffer_load_dword v134, off, s[0:3], 0 offset:404
	buffer_load_dword v133, off, s[0:3], 0 offset:400
	ds_read_b128 v[69:72], v2 offset:672
	s_clause 0x4
	buffer_load_dword v138, off, s[0:3], 0 offset:444
	buffer_load_dword v139, off, s[0:3], 0 offset:456
	buffer_load_dword v141, off, s[0:3], 0 offset:448
	buffer_load_dword v137, off, s[0:3], 0 offset:440
	buffer_load_dword v132, off, s[0:3], 0 offset:420
	ds_read_b128 v[73:76], v2 offset:688
	s_waitcnt vmcnt(62) lgkmcnt(2)
	v_mul_f64 v[135:136], v[67:68], v[3:4]
	v_mul_f64 v[3:4], v[65:66], v[3:4]
	s_waitcnt vmcnt(60) lgkmcnt(1)
	v_mul_f64 v[142:143], v[71:72], v[77:78]
	v_mul_f64 v[77:78], v[69:70], v[77:78]
	s_waitcnt vmcnt(56) lgkmcnt(0)
	v_mul_f64 v[144:145], v[73:74], v[81:82]
	v_mul_f64 v[81:82], v[75:76], v[81:82]
	v_fma_f64 v[135:136], v[65:66], v[79:80], -v[135:136]
	v_fma_f64 v[3:4], v[67:68], v[79:80], v[3:4]
	s_clause 0x2
	buffer_load_dword v140, off, s[0:3], 0 offset:460
	buffer_load_dword v80, off, s[0:3], 0 offset:436
	buffer_load_dword v79, off, s[0:3], 0 offset:432
	s_waitcnt vmcnt(57)
	v_fma_f64 v[146:147], v[69:70], v[83:84], -v[142:143]
	ds_read_b128 v[65:68], v2 offset:704
	v_fma_f64 v[77:78], v[71:72], v[83:84], v[77:78]
	s_clause 0x4
	buffer_load_dword v84, off, s[0:3], 0 offset:476
	buffer_load_dword v143, off, s[0:3], 0 offset:488
	;; [unrolled: 1-line block ×5, first 2 shown]
	s_waitcnt vmcnt(56)
	v_fma_f64 v[81:82], v[73:74], v[91:92], -v[81:82]
	ds_read_b128 v[69:72], v2 offset:720
	v_fma_f64 v[91:92], v[75:76], v[91:92], v[144:145]
	v_add_f64 v[135:136], v[135:136], 0
	v_add_f64 v[3:4], v[3:4], 0
	s_waitcnt lgkmcnt(1)
	v_mul_f64 v[149:150], v[65:66], v[85:86]
	v_mul_f64 v[85:86], v[67:68], v[85:86]
	v_add_f64 v[135:136], v[135:136], v[146:147]
	v_add_f64 v[3:4], v[3:4], v[77:78]
	s_clause 0x2
	buffer_load_dword v144, off, s[0:3], 0 offset:492
	buffer_load_dword v78, off, s[0:3], 0 offset:468
	;; [unrolled: 1-line block ×3, first 2 shown]
	s_waitcnt vmcnt(58) lgkmcnt(0)
	v_mul_f64 v[145:146], v[69:70], v[87:88]
	v_mul_f64 v[87:88], v[71:72], v[87:88]
	s_waitcnt vmcnt(56)
	v_fma_f64 v[85:86], v[65:66], v[93:94], -v[85:86]
	ds_read_b128 v[73:76], v2 offset:736
	v_fma_f64 v[93:94], v[67:68], v[93:94], v[149:150]
	buffer_load_dword v149, off, s[0:3], 0 offset:484
	ds_read_b128 v[65:68], v2 offset:752
	v_add_f64 v[81:82], v[135:136], v[81:82]
	v_add_f64 v[3:4], v[3:4], v[91:92]
	s_waitcnt vmcnt(53) lgkmcnt(1)
	v_mul_f64 v[91:92], v[73:74], v[95:96]
	v_mul_f64 v[95:96], v[75:76], v[95:96]
	s_waitcnt vmcnt(52)
	v_fma_f64 v[87:88], v[69:70], v[89:90], -v[87:88]
	v_add_f64 v[81:82], v[81:82], v[85:86]
	v_fma_f64 v[85:86], v[71:72], v[89:90], v[145:146]
	v_add_f64 v[3:4], v[3:4], v[93:94]
	s_waitcnt vmcnt(51) lgkmcnt(0)
	v_mul_f64 v[93:94], v[67:68], v[97:98]
	ds_read_b128 v[69:72], v2 offset:768
	s_waitcnt vmcnt(49)
	v_fma_f64 v[95:96], v[73:74], v[101:102], -v[95:96]
	v_mul_f64 v[89:90], v[65:66], v[97:98]
	v_add_f64 v[81:82], v[81:82], v[87:88]
	v_fma_f64 v[87:88], v[75:76], v[101:102], v[91:92]
	v_add_f64 v[3:4], v[3:4], v[85:86]
	s_clause 0x3
	buffer_load_dword v85, off, s[0:3], 0 offset:176
	buffer_load_dword v86, off, s[0:3], 0 offset:180
	;; [unrolled: 1-line block ×4, first 2 shown]
	s_waitcnt vmcnt(49) lgkmcnt(0)
	v_mul_f64 v[101:102], v[71:72], v[103:104]
	s_waitcnt vmcnt(48)
	v_fma_f64 v[93:94], v[65:66], v[99:100], -v[93:94]
	ds_read_b128 v[73:76], v2 offset:784
	v_mul_f64 v[97:98], v[69:70], v[103:104]
	v_fma_f64 v[89:90], v[67:68], v[99:100], v[89:90]
	ds_read_b128 v[65:68], v2 offset:800
	v_add_f64 v[81:82], v[81:82], v[95:96]
	v_add_f64 v[3:4], v[3:4], v[87:88]
	s_waitcnt vmcnt(47) lgkmcnt(1)
	v_mul_f64 v[95:96], v[75:76], v[105:106]
	s_waitcnt vmcnt(45)
	v_fma_f64 v[99:100], v[69:70], v[109:110], -v[101:102]
	v_mul_f64 v[87:88], v[73:74], v[105:106]
	v_add_f64 v[81:82], v[81:82], v[93:94]
	v_fma_f64 v[93:94], v[71:72], v[109:110], v[97:98]
	v_add_f64 v[3:4], v[3:4], v[89:90]
	s_waitcnt vmcnt(41) lgkmcnt(0)
	v_mul_f64 v[97:98], v[67:68], v[111:112]
	s_waitcnt vmcnt(40)
	v_fma_f64 v[95:96], v[73:74], v[107:108], -v[95:96]
	ds_read_b128 v[69:72], v2 offset:816
	v_mul_f64 v[89:90], v[65:66], v[111:112]
	v_fma_f64 v[87:88], v[75:76], v[107:108], v[87:88]
	ds_read_b128 v[73:76], v2 offset:832
	v_add_f64 v[81:82], v[81:82], v[99:100]
	v_add_f64 v[3:4], v[3:4], v[93:94]
	s_waitcnt vmcnt(39) lgkmcnt(1)
	v_mul_f64 v[99:100], v[71:72], v[113:114]
	s_waitcnt vmcnt(37)
	v_fma_f64 v[97:98], v[65:66], v[117:118], -v[97:98]
	v_mul_f64 v[93:94], v[69:70], v[113:114]
	v_fma_f64 v[89:90], v[67:68], v[117:118], v[89:90]
	ds_read_b128 v[65:68], v2 offset:848
	v_add_f64 v[81:82], v[81:82], v[95:96]
	s_waitcnt vmcnt(33) lgkmcnt(1)
	v_mul_f64 v[95:96], v[75:76], v[119:120]
	v_add_f64 v[3:4], v[3:4], v[87:88]
	s_waitcnt vmcnt(32)
	v_fma_f64 v[99:100], v[69:70], v[115:116], -v[99:100]
	v_mul_f64 v[87:88], v[73:74], v[119:120]
	v_fma_f64 v[93:94], v[71:72], v[115:116], v[93:94]
	ds_read_b128 v[69:72], v2 offset:864
	v_add_f64 v[81:82], v[81:82], v[97:98]
	s_waitcnt vmcnt(31) lgkmcnt(1)
	v_mul_f64 v[97:98], v[67:68], v[121:122]
	v_add_f64 v[3:4], v[3:4], v[89:90]
	;; [unrolled: 9-line block ×5, first 2 shown]
	s_waitcnt vmcnt(16)
	v_fma_f64 v[95:96], v[73:74], v[131:132], -v[95:96]
	v_mul_f64 v[89:90], v[65:66], v[137:138]
	v_fma_f64 v[87:88], v[75:76], v[131:132], v[87:88]
	ds_read_b128 v[73:76], v2 offset:928
	v_add_f64 v[81:82], v[81:82], v[99:100]
	v_add_f64 v[3:4], v[3:4], v[93:94]
	s_waitcnt vmcnt(15) lgkmcnt(1)
	v_mul_f64 v[99:100], v[71:72], v[139:140]
	v_mul_f64 v[93:94], v[69:70], v[139:140]
	s_waitcnt vmcnt(13)
	v_fma_f64 v[97:98], v[65:66], v[79:80], -v[97:98]
	v_fma_f64 v[79:80], v[67:68], v[79:80], v[89:90]
	ds_read_b128 v[65:68], v2 offset:944
	v_add_f64 v[81:82], v[81:82], v[95:96]
	v_add_f64 v[3:4], v[3:4], v[87:88]
	s_waitcnt vmcnt(9) lgkmcnt(1)
	v_mul_f64 v[87:88], v[73:74], v[83:84]
	v_mul_f64 v[83:84], v[75:76], v[83:84]
	s_waitcnt vmcnt(8)
	v_fma_f64 v[69:70], v[69:70], v[141:142], -v[99:100]
	v_fma_f64 v[71:72], v[71:72], v[141:142], v[93:94]
	v_add_f64 v[81:82], v[81:82], v[97:98]
	v_add_f64 v[3:4], v[3:4], v[79:80]
	s_waitcnt vmcnt(7) lgkmcnt(0)
	v_mul_f64 v[89:90], v[67:68], v[143:144]
	v_mul_f64 v[79:80], v[65:66], v[143:144]
	s_waitcnt vmcnt(5)
	v_fma_f64 v[73:74], v[73:74], v[77:78], -v[83:84]
	v_fma_f64 v[75:76], v[75:76], v[77:78], v[87:88]
	v_add_f64 v[69:70], v[81:82], v[69:70]
	v_add_f64 v[3:4], v[3:4], v[71:72]
	s_waitcnt vmcnt(4)
	v_fma_f64 v[65:66], v[65:66], v[148:149], -v[89:90]
	v_fma_f64 v[67:68], v[67:68], v[148:149], v[79:80]
	v_add_f64 v[69:70], v[69:70], v[73:74]
	v_add_f64 v[3:4], v[3:4], v[75:76]
	;; [unrolled: 1-line block ×4, first 2 shown]
	s_waitcnt vmcnt(2)
	v_add_f64 v[65:66], v[85:86], -v[65:66]
	s_waitcnt vmcnt(0)
	v_add_f64 v[3:4], v[91:92], -v[3:4]
	buffer_store_dword v66, off, s[0:3], 0 offset:180
	buffer_store_dword v65, off, s[0:3], 0 offset:176
	;; [unrolled: 1-line block ×4, first 2 shown]
	v_cmpx_lt_u32_e32 9, v0
	s_cbranch_execz .LBB93_175
; %bb.174:
	v_mov_b32_e32 v3, s33
	s_clause 0x3
	buffer_load_dword v65, v3, s[0:3], 0 offen
	buffer_load_dword v66, v3, s[0:3], 0 offen offset:4
	buffer_load_dword v67, v3, s[0:3], 0 offen offset:8
	;; [unrolled: 1-line block ×3, first 2 shown]
	buffer_store_dword v2, off, s[0:3], 0 offset:160
	buffer_store_dword v2, off, s[0:3], 0 offset:164
	;; [unrolled: 1-line block ×4, first 2 shown]
	s_waitcnt vmcnt(0)
	ds_write_b128 v1, v[65:68]
.LBB93_175:
	s_or_b32 exec_lo, exec_lo, s4
	s_waitcnt lgkmcnt(0)
	s_waitcnt_vscnt null, 0x0
	s_barrier
	buffer_gl0_inv
	s_clause 0x37
	buffer_load_dword v3, off, s[0:3], 0 offset:184
	buffer_load_dword v4, off, s[0:3], 0 offset:188
	;; [unrolled: 1-line block ×56, first 2 shown]
	ds_read_b128 v[65:68], v2 offset:640
	s_clause 0x2
	buffer_load_dword v130, off, s[0:3], 0 offset:412
	buffer_load_dword v134, off, s[0:3], 0 offset:388
	;; [unrolled: 1-line block ×3, first 2 shown]
	ds_read_b128 v[69:72], v2 offset:656
	s_clause 0x4
	buffer_load_dword v138, off, s[0:3], 0 offset:428
	buffer_load_dword v139, off, s[0:3], 0 offset:440
	;; [unrolled: 1-line block ×5, first 2 shown]
	ds_read_b128 v[73:76], v2 offset:672
	s_mov_b32 s4, exec_lo
	s_waitcnt vmcnt(62) lgkmcnt(2)
	v_mul_f64 v[135:136], v[67:68], v[3:4]
	v_mul_f64 v[3:4], v[65:66], v[3:4]
	s_waitcnt vmcnt(60) lgkmcnt(1)
	v_mul_f64 v[142:143], v[71:72], v[77:78]
	v_mul_f64 v[77:78], v[69:70], v[77:78]
	;; [unrolled: 3-line block ×3, first 2 shown]
	v_fma_f64 v[135:136], v[65:66], v[79:80], -v[135:136]
	v_fma_f64 v[3:4], v[67:68], v[79:80], v[3:4]
	s_clause 0x2
	buffer_load_dword v140, off, s[0:3], 0 offset:444
	buffer_load_dword v80, off, s[0:3], 0 offset:420
	;; [unrolled: 1-line block ×3, first 2 shown]
	s_waitcnt vmcnt(57)
	v_fma_f64 v[146:147], v[69:70], v[83:84], -v[142:143]
	ds_read_b128 v[65:68], v2 offset:688
	v_fma_f64 v[77:78], v[71:72], v[83:84], v[77:78]
	s_clause 0x4
	buffer_load_dword v84, off, s[0:3], 0 offset:460
	buffer_load_dword v143, off, s[0:3], 0 offset:472
	;; [unrolled: 1-line block ×5, first 2 shown]
	s_waitcnt vmcnt(56)
	v_fma_f64 v[81:82], v[73:74], v[91:92], -v[81:82]
	ds_read_b128 v[69:72], v2 offset:704
	v_fma_f64 v[91:92], v[75:76], v[91:92], v[144:145]
	v_add_f64 v[135:136], v[135:136], 0
	v_add_f64 v[3:4], v[3:4], 0
	s_waitcnt lgkmcnt(1)
	v_mul_f64 v[149:150], v[65:66], v[85:86]
	v_mul_f64 v[85:86], v[67:68], v[85:86]
	v_add_f64 v[135:136], v[135:136], v[146:147]
	v_add_f64 v[3:4], v[3:4], v[77:78]
	s_clause 0x2
	buffer_load_dword v144, off, s[0:3], 0 offset:476
	buffer_load_dword v78, off, s[0:3], 0 offset:452
	;; [unrolled: 1-line block ×3, first 2 shown]
	s_waitcnt vmcnt(58) lgkmcnt(0)
	v_mul_f64 v[145:146], v[69:70], v[87:88]
	v_mul_f64 v[87:88], v[71:72], v[87:88]
	s_waitcnt vmcnt(56)
	v_fma_f64 v[85:86], v[65:66], v[93:94], -v[85:86]
	ds_read_b128 v[73:76], v2 offset:720
	v_fma_f64 v[93:94], v[67:68], v[93:94], v[149:150]
	v_add_f64 v[81:82], v[135:136], v[81:82]
	v_add_f64 v[3:4], v[3:4], v[91:92]
	s_clause 0x2
	buffer_load_dword v92, off, s[0:3], 0 offset:492
	buffer_load_dword v91, off, s[0:3], 0 offset:488
	;; [unrolled: 1-line block ×3, first 2 shown]
	ds_read_b128 v[65:68], v2 offset:736
	s_waitcnt vmcnt(55) lgkmcnt(1)
	v_mul_f64 v[135:136], v[73:74], v[95:96]
	v_mul_f64 v[95:96], v[75:76], v[95:96]
	s_waitcnt vmcnt(54)
	v_fma_f64 v[87:88], v[69:70], v[89:90], -v[87:88]
	v_add_f64 v[81:82], v[81:82], v[85:86]
	v_fma_f64 v[85:86], v[71:72], v[89:90], v[145:146]
	v_add_f64 v[3:4], v[3:4], v[93:94]
	s_clause 0x1
	buffer_load_dword v90, off, s[0:3], 0 offset:484
	buffer_load_dword v89, off, s[0:3], 0 offset:480
	s_waitcnt vmcnt(55) lgkmcnt(0)
	v_mul_f64 v[93:94], v[65:66], v[97:98]
	v_mul_f64 v[97:98], v[67:68], v[97:98]
	s_waitcnt vmcnt(53)
	v_fma_f64 v[95:96], v[73:74], v[101:102], -v[95:96]
	ds_read_b128 v[69:72], v2 offset:752
	v_add_f64 v[81:82], v[81:82], v[87:88]
	v_fma_f64 v[87:88], v[75:76], v[101:102], v[135:136]
	v_add_f64 v[3:4], v[3:4], v[85:86]
	ds_read_b128 v[73:76], v2 offset:768
	s_waitcnt vmcnt(48)
	v_fma_f64 v[93:94], v[67:68], v[99:100], v[93:94]
	s_waitcnt lgkmcnt(1)
	v_mul_f64 v[101:102], v[71:72], v[103:104]
	v_fma_f64 v[97:98], v[65:66], v[99:100], -v[97:98]
	v_mul_f64 v[85:86], v[69:70], v[103:104]
	v_add_f64 v[81:82], v[81:82], v[95:96]
	s_waitcnt vmcnt(47) lgkmcnt(0)
	v_mul_f64 v[103:104], v[75:76], v[105:106]
	v_add_f64 v[3:4], v[3:4], v[87:88]
	s_clause 0x3
	buffer_load_dword v87, off, s[0:3], 0 offset:160
	buffer_load_dword v88, off, s[0:3], 0 offset:164
	buffer_load_dword v95, off, s[0:3], 0 offset:168
	buffer_load_dword v96, off, s[0:3], 0 offset:172
	ds_read_b128 v[65:68], v2 offset:784
	s_waitcnt vmcnt(49)
	v_fma_f64 v[101:102], v[69:70], v[109:110], -v[101:102]
	v_mul_f64 v[99:100], v[73:74], v[105:106]
	v_fma_f64 v[85:86], v[71:72], v[109:110], v[85:86]
	ds_read_b128 v[69:72], v2 offset:800
	v_add_f64 v[81:82], v[81:82], v[97:98]
	s_waitcnt vmcnt(44)
	v_fma_f64 v[103:104], v[73:74], v[107:108], -v[103:104]
	v_add_f64 v[3:4], v[3:4], v[93:94]
	s_waitcnt lgkmcnt(1)
	v_mul_f64 v[97:98], v[67:68], v[111:112]
	v_mul_f64 v[93:94], v[65:66], v[111:112]
	v_fma_f64 v[99:100], v[75:76], v[107:108], v[99:100]
	ds_read_b128 v[73:76], v2 offset:816
	v_add_f64 v[81:82], v[81:82], v[101:102]
	s_waitcnt vmcnt(43) lgkmcnt(1)
	v_mul_f64 v[101:102], v[71:72], v[113:114]
	v_add_f64 v[3:4], v[3:4], v[85:86]
	s_waitcnt vmcnt(41)
	v_fma_f64 v[97:98], v[65:66], v[117:118], -v[97:98]
	v_mul_f64 v[85:86], v[69:70], v[113:114]
	v_fma_f64 v[93:94], v[67:68], v[117:118], v[93:94]
	ds_read_b128 v[65:68], v2 offset:832
	v_add_f64 v[81:82], v[81:82], v[103:104]
	s_waitcnt vmcnt(37) lgkmcnt(1)
	v_mul_f64 v[103:104], v[75:76], v[119:120]
	v_add_f64 v[3:4], v[3:4], v[99:100]
	s_waitcnt vmcnt(36)
	v_fma_f64 v[101:102], v[69:70], v[115:116], -v[101:102]
	;; [unrolled: 9-line block ×6, first 2 shown]
	v_mul_f64 v[93:94], v[65:66], v[137:138]
	v_fma_f64 v[99:100], v[75:76], v[131:132], v[99:100]
	ds_read_b128 v[73:76], v2 offset:912
	v_add_f64 v[81:82], v[81:82], v[101:102]
	v_add_f64 v[3:4], v[3:4], v[85:86]
	s_waitcnt vmcnt(19) lgkmcnt(1)
	v_mul_f64 v[101:102], v[71:72], v[139:140]
	v_mul_f64 v[85:86], v[69:70], v[139:140]
	s_waitcnt vmcnt(17)
	v_fma_f64 v[97:98], v[65:66], v[79:80], -v[97:98]
	v_fma_f64 v[79:80], v[67:68], v[79:80], v[93:94]
	ds_read_b128 v[65:68], v2 offset:928
	s_waitcnt vmcnt(13) lgkmcnt(1)
	v_mul_f64 v[93:94], v[73:74], v[83:84]
	v_mul_f64 v[83:84], v[75:76], v[83:84]
	v_add_f64 v[81:82], v[81:82], v[103:104]
	v_add_f64 v[3:4], v[3:4], v[99:100]
	s_waitcnt vmcnt(12)
	v_fma_f64 v[99:100], v[69:70], v[141:142], -v[101:102]
	v_fma_f64 v[85:86], v[71:72], v[141:142], v[85:86]
	ds_read_b128 v[69:72], v2 offset:944
	v_add_f64 v[81:82], v[81:82], v[97:98]
	v_add_f64 v[3:4], v[3:4], v[79:80]
	s_waitcnt vmcnt(11) lgkmcnt(1)
	v_mul_f64 v[97:98], v[67:68], v[143:144]
	v_mul_f64 v[79:80], v[65:66], v[143:144]
	s_waitcnt vmcnt(9)
	v_fma_f64 v[73:74], v[73:74], v[77:78], -v[83:84]
	v_fma_f64 v[75:76], v[75:76], v[77:78], v[93:94]
	v_add_f64 v[81:82], v[81:82], v[99:100]
	v_add_f64 v[2:3], v[3:4], v[85:86]
	s_waitcnt vmcnt(7) lgkmcnt(0)
	v_mul_f64 v[83:84], v[71:72], v[91:92]
	s_waitcnt vmcnt(6)
	v_fma_f64 v[65:66], v[65:66], v[148:149], -v[97:98]
	v_mul_f64 v[77:78], v[69:70], v[91:92]
	v_fma_f64 v[67:68], v[67:68], v[148:149], v[79:80]
	v_add_f64 v[73:74], v[81:82], v[73:74]
	v_add_f64 v[2:3], v[2:3], v[75:76]
	s_waitcnt vmcnt(4)
	v_fma_f64 v[69:70], v[69:70], v[89:90], -v[83:84]
	v_fma_f64 v[71:72], v[71:72], v[89:90], v[77:78]
	v_add_f64 v[65:66], v[73:74], v[65:66]
	v_add_f64 v[2:3], v[2:3], v[67:68]
	;; [unrolled: 1-line block ×4, first 2 shown]
	s_waitcnt vmcnt(2)
	v_add_f64 v[65:66], v[87:88], -v[65:66]
	s_waitcnt vmcnt(0)
	v_add_f64 v[2:3], v[95:96], -v[2:3]
	buffer_store_dword v66, off, s[0:3], 0 offset:164
	buffer_store_dword v65, off, s[0:3], 0 offset:160
	;; [unrolled: 1-line block ×4, first 2 shown]
	v_cmpx_lt_u32_e32 8, v0
	s_cbranch_execz .LBB93_177
; %bb.176:
	v_mov_b32_e32 v2, s34
	s_clause 0x3
	buffer_load_dword v65, v2, s[0:3], 0 offen
	buffer_load_dword v66, v2, s[0:3], 0 offen offset:4
	buffer_load_dword v67, v2, s[0:3], 0 offen offset:8
	;; [unrolled: 1-line block ×3, first 2 shown]
	v_mov_b32_e32 v2, 0
	buffer_store_dword v2, off, s[0:3], 0 offset:144
	buffer_store_dword v2, off, s[0:3], 0 offset:148
	;; [unrolled: 1-line block ×4, first 2 shown]
	s_waitcnt vmcnt(0)
	ds_write_b128 v1, v[65:68]
.LBB93_177:
	s_or_b32 exec_lo, exec_lo, s4
	s_waitcnt lgkmcnt(0)
	s_waitcnt_vscnt null, 0x0
	s_barrier
	buffer_gl0_inv
	s_clause 0x37
	buffer_load_dword v3, off, s[0:3], 0 offset:168
	buffer_load_dword v4, off, s[0:3], 0 offset:172
	;; [unrolled: 1-line block ×56, first 2 shown]
	v_mov_b32_e32 v2, 0
	s_mov_b32 s4, exec_lo
	ds_read_b128 v[65:68], v2 offset:624
	s_clause 0x2
	buffer_load_dword v130, off, s[0:3], 0 offset:396
	buffer_load_dword v134, off, s[0:3], 0 offset:372
	;; [unrolled: 1-line block ×3, first 2 shown]
	ds_read_b128 v[69:72], v2 offset:640
	s_clause 0x4
	buffer_load_dword v138, off, s[0:3], 0 offset:412
	buffer_load_dword v139, off, s[0:3], 0 offset:424
	;; [unrolled: 1-line block ×5, first 2 shown]
	ds_read_b128 v[73:76], v2 offset:656
	s_waitcnt vmcnt(62) lgkmcnt(2)
	v_mul_f64 v[135:136], v[67:68], v[3:4]
	v_mul_f64 v[3:4], v[65:66], v[3:4]
	s_waitcnt vmcnt(60) lgkmcnt(1)
	v_mul_f64 v[142:143], v[71:72], v[77:78]
	v_mul_f64 v[77:78], v[69:70], v[77:78]
	;; [unrolled: 3-line block ×3, first 2 shown]
	v_fma_f64 v[135:136], v[65:66], v[79:80], -v[135:136]
	v_fma_f64 v[3:4], v[67:68], v[79:80], v[3:4]
	s_clause 0x2
	buffer_load_dword v140, off, s[0:3], 0 offset:428
	buffer_load_dword v80, off, s[0:3], 0 offset:404
	;; [unrolled: 1-line block ×3, first 2 shown]
	s_waitcnt vmcnt(57)
	v_fma_f64 v[146:147], v[69:70], v[83:84], -v[142:143]
	ds_read_b128 v[65:68], v2 offset:672
	v_fma_f64 v[77:78], v[71:72], v[83:84], v[77:78]
	s_clause 0x4
	buffer_load_dword v84, off, s[0:3], 0 offset:444
	buffer_load_dword v143, off, s[0:3], 0 offset:456
	;; [unrolled: 1-line block ×5, first 2 shown]
	s_waitcnt vmcnt(56)
	v_fma_f64 v[81:82], v[73:74], v[91:92], -v[81:82]
	ds_read_b128 v[69:72], v2 offset:688
	v_fma_f64 v[91:92], v[75:76], v[91:92], v[144:145]
	v_add_f64 v[135:136], v[135:136], 0
	v_add_f64 v[3:4], v[3:4], 0
	s_waitcnt lgkmcnt(1)
	v_mul_f64 v[149:150], v[65:66], v[85:86]
	v_mul_f64 v[85:86], v[67:68], v[85:86]
	v_add_f64 v[135:136], v[135:136], v[146:147]
	v_add_f64 v[3:4], v[3:4], v[77:78]
	s_clause 0x2
	buffer_load_dword v144, off, s[0:3], 0 offset:460
	buffer_load_dword v78, off, s[0:3], 0 offset:436
	;; [unrolled: 1-line block ×3, first 2 shown]
	s_waitcnt vmcnt(58) lgkmcnt(0)
	v_mul_f64 v[145:146], v[69:70], v[87:88]
	v_mul_f64 v[87:88], v[71:72], v[87:88]
	s_waitcnt vmcnt(56)
	v_fma_f64 v[85:86], v[65:66], v[93:94], -v[85:86]
	ds_read_b128 v[73:76], v2 offset:704
	v_fma_f64 v[93:94], v[67:68], v[93:94], v[149:150]
	v_add_f64 v[81:82], v[135:136], v[81:82]
	v_add_f64 v[3:4], v[3:4], v[91:92]
	s_clause 0x4
	buffer_load_dword v92, off, s[0:3], 0 offset:476
	buffer_load_dword v135, off, s[0:3], 0 offset:488
	;; [unrolled: 1-line block ×5, first 2 shown]
	ds_read_b128 v[65:68], v2 offset:720
	s_waitcnt vmcnt(57) lgkmcnt(1)
	v_mul_f64 v[151:152], v[73:74], v[95:96]
	v_mul_f64 v[95:96], v[75:76], v[95:96]
	s_waitcnt vmcnt(56)
	v_fma_f64 v[87:88], v[69:70], v[89:90], -v[87:88]
	v_add_f64 v[81:82], v[81:82], v[85:86]
	v_fma_f64 v[85:86], v[71:72], v[89:90], v[145:146]
	v_add_f64 v[3:4], v[3:4], v[93:94]
	s_clause 0x2
	buffer_load_dword v136, off, s[0:3], 0 offset:492
	buffer_load_dword v90, off, s[0:3], 0 offset:468
	;; [unrolled: 1-line block ×3, first 2 shown]
	s_waitcnt vmcnt(58) lgkmcnt(0)
	v_mul_f64 v[93:94], v[65:66], v[97:98]
	v_mul_f64 v[97:98], v[67:68], v[97:98]
	s_waitcnt vmcnt(56)
	v_fma_f64 v[95:96], v[73:74], v[101:102], -v[95:96]
	ds_read_b128 v[69:72], v2 offset:736
	v_add_f64 v[81:82], v[81:82], v[87:88]
	v_fma_f64 v[87:88], v[75:76], v[101:102], v[151:152]
	v_add_f64 v[3:4], v[3:4], v[85:86]
	buffer_load_dword v151, off, s[0:3], 0 offset:484
	ds_read_b128 v[73:76], v2 offset:752
	s_waitcnt vmcnt(53) lgkmcnt(1)
	v_mul_f64 v[101:102], v[71:72], v[103:104]
	s_waitcnt vmcnt(52)
	v_fma_f64 v[97:98], v[65:66], v[99:100], -v[97:98]
	v_mul_f64 v[85:86], v[69:70], v[103:104]
	v_fma_f64 v[93:94], v[67:68], v[99:100], v[93:94]
	ds_read_b128 v[65:68], v2 offset:768
	v_add_f64 v[81:82], v[81:82], v[95:96]
	v_add_f64 v[3:4], v[3:4], v[87:88]
	s_waitcnt vmcnt(51) lgkmcnt(1)
	v_mul_f64 v[95:96], v[75:76], v[105:106]
	v_mul_f64 v[87:88], v[73:74], v[105:106]
	s_waitcnt vmcnt(49)
	v_fma_f64 v[99:100], v[69:70], v[109:110], -v[101:102]
	v_fma_f64 v[85:86], v[71:72], v[109:110], v[85:86]
	s_waitcnt vmcnt(45) lgkmcnt(0)
	v_mul_f64 v[103:104], v[67:68], v[111:112]
	v_mul_f64 v[101:102], v[65:66], v[111:112]
	v_add_f64 v[81:82], v[81:82], v[97:98]
	v_add_f64 v[3:4], v[3:4], v[93:94]
	s_clause 0x3
	buffer_load_dword v93, off, s[0:3], 0 offset:144
	buffer_load_dword v94, off, s[0:3], 0 offset:148
	;; [unrolled: 1-line block ×4, first 2 shown]
	s_waitcnt vmcnt(48)
	v_fma_f64 v[95:96], v[73:74], v[107:108], -v[95:96]
	ds_read_b128 v[69:72], v2 offset:784
	v_fma_f64 v[87:88], v[75:76], v[107:108], v[87:88]
	ds_read_b128 v[73:76], v2 offset:800
	s_waitcnt vmcnt(45)
	v_fma_f64 v[103:104], v[65:66], v[117:118], -v[103:104]
	v_add_f64 v[81:82], v[81:82], v[99:100]
	v_add_f64 v[3:4], v[3:4], v[85:86]
	s_waitcnt lgkmcnt(1)
	v_mul_f64 v[99:100], v[71:72], v[113:114]
	v_mul_f64 v[85:86], v[69:70], v[113:114]
	v_add_f64 v[81:82], v[81:82], v[95:96]
	v_fma_f64 v[95:96], v[67:68], v[117:118], v[101:102]
	v_add_f64 v[3:4], v[3:4], v[87:88]
	s_waitcnt vmcnt(41) lgkmcnt(0)
	v_mul_f64 v[101:102], v[75:76], v[119:120]
	s_waitcnt vmcnt(40)
	v_fma_f64 v[99:100], v[69:70], v[115:116], -v[99:100]
	ds_read_b128 v[65:68], v2 offset:816
	v_mul_f64 v[87:88], v[73:74], v[119:120]
	v_fma_f64 v[85:86], v[71:72], v[115:116], v[85:86]
	ds_read_b128 v[69:72], v2 offset:832
	v_add_f64 v[81:82], v[81:82], v[103:104]
	v_add_f64 v[3:4], v[3:4], v[95:96]
	s_waitcnt vmcnt(39) lgkmcnt(1)
	v_mul_f64 v[103:104], v[67:68], v[121:122]
	s_waitcnt vmcnt(37)
	v_fma_f64 v[101:102], v[73:74], v[125:126], -v[101:102]
	v_mul_f64 v[95:96], v[65:66], v[121:122]
	v_fma_f64 v[87:88], v[75:76], v[125:126], v[87:88]
	ds_read_b128 v[73:76], v2 offset:848
	v_add_f64 v[81:82], v[81:82], v[99:100]
	s_waitcnt vmcnt(33) lgkmcnt(1)
	v_mul_f64 v[99:100], v[71:72], v[127:128]
	v_add_f64 v[3:4], v[3:4], v[85:86]
	s_waitcnt vmcnt(32)
	v_fma_f64 v[103:104], v[65:66], v[123:124], -v[103:104]
	v_mul_f64 v[85:86], v[69:70], v[127:128]
	v_fma_f64 v[95:96], v[67:68], v[123:124], v[95:96]
	ds_read_b128 v[65:68], v2 offset:864
	v_add_f64 v[81:82], v[81:82], v[101:102]
	s_waitcnt vmcnt(31) lgkmcnt(1)
	v_mul_f64 v[101:102], v[75:76], v[129:130]
	v_add_f64 v[3:4], v[3:4], v[87:88]
	s_waitcnt vmcnt(29)
	v_fma_f64 v[99:100], v[69:70], v[133:134], -v[99:100]
	v_mul_f64 v[87:88], v[73:74], v[129:130]
	v_fma_f64 v[85:86], v[71:72], v[133:134], v[85:86]
	ds_read_b128 v[69:72], v2 offset:880
	v_add_f64 v[81:82], v[81:82], v[103:104]
	s_waitcnt vmcnt(25) lgkmcnt(1)
	v_mul_f64 v[103:104], v[67:68], v[137:138]
	v_add_f64 v[3:4], v[3:4], v[95:96]
	s_waitcnt vmcnt(24)
	v_fma_f64 v[101:102], v[73:74], v[131:132], -v[101:102]
	v_mul_f64 v[95:96], v[65:66], v[137:138]
	v_fma_f64 v[87:88], v[75:76], v[131:132], v[87:88]
	ds_read_b128 v[73:76], v2 offset:896
	v_add_f64 v[81:82], v[81:82], v[99:100]
	v_add_f64 v[3:4], v[3:4], v[85:86]
	s_waitcnt vmcnt(23) lgkmcnt(1)
	v_mul_f64 v[99:100], v[71:72], v[139:140]
	v_mul_f64 v[85:86], v[69:70], v[139:140]
	s_waitcnt vmcnt(21)
	v_fma_f64 v[103:104], v[65:66], v[79:80], -v[103:104]
	v_fma_f64 v[79:80], v[67:68], v[79:80], v[95:96]
	ds_read_b128 v[65:68], v2 offset:912
	v_add_f64 v[81:82], v[81:82], v[101:102]
	v_add_f64 v[3:4], v[3:4], v[87:88]
	s_waitcnt vmcnt(17) lgkmcnt(1)
	v_mul_f64 v[87:88], v[73:74], v[83:84]
	v_mul_f64 v[83:84], v[75:76], v[83:84]
	s_waitcnt vmcnt(16)
	v_fma_f64 v[95:96], v[69:70], v[141:142], -v[99:100]
	;; [unrolled: 9-line block ×3, first 2 shown]
	v_fma_f64 v[77:78], v[75:76], v[77:78], v[87:88]
	ds_read_b128 v[73:76], v2 offset:944
	v_add_f64 v[81:82], v[81:82], v[95:96]
	v_add_f64 v[3:4], v[3:4], v[85:86]
	s_waitcnt vmcnt(9) lgkmcnt(1)
	v_mul_f64 v[87:88], v[71:72], v[91:92]
	s_waitcnt vmcnt(8)
	v_fma_f64 v[65:66], v[65:66], v[148:149], -v[99:100]
	v_mul_f64 v[85:86], v[69:70], v[91:92]
	v_fma_f64 v[67:68], v[67:68], v[148:149], v[79:80]
	v_add_f64 v[81:82], v[81:82], v[83:84]
	v_add_f64 v[3:4], v[3:4], v[77:78]
	s_waitcnt vmcnt(7) lgkmcnt(0)
	v_mul_f64 v[79:80], v[75:76], v[135:136]
	v_mul_f64 v[77:78], v[73:74], v[135:136]
	s_waitcnt vmcnt(5)
	v_fma_f64 v[69:70], v[69:70], v[89:90], -v[87:88]
	v_fma_f64 v[71:72], v[71:72], v[89:90], v[85:86]
	v_add_f64 v[65:66], v[81:82], v[65:66]
	v_add_f64 v[3:4], v[3:4], v[67:68]
	s_waitcnt vmcnt(4)
	v_fma_f64 v[67:68], v[73:74], v[150:151], -v[79:80]
	v_add_f64 v[65:66], v[65:66], v[69:70]
	v_fma_f64 v[69:70], v[75:76], v[150:151], v[77:78]
	v_add_f64 v[3:4], v[3:4], v[71:72]
	v_add_f64 v[65:66], v[65:66], v[67:68]
	;; [unrolled: 1-line block ×3, first 2 shown]
	s_waitcnt vmcnt(2)
	v_add_f64 v[65:66], v[93:94], -v[65:66]
	s_waitcnt vmcnt(0)
	v_add_f64 v[3:4], v[97:98], -v[3:4]
	buffer_store_dword v66, off, s[0:3], 0 offset:148
	buffer_store_dword v65, off, s[0:3], 0 offset:144
	;; [unrolled: 1-line block ×4, first 2 shown]
	v_cmpx_lt_u32_e32 7, v0
	s_cbranch_execz .LBB93_179
; %bb.178:
	v_mov_b32_e32 v3, s35
	s_clause 0x3
	buffer_load_dword v65, v3, s[0:3], 0 offen
	buffer_load_dword v66, v3, s[0:3], 0 offen offset:4
	buffer_load_dword v67, v3, s[0:3], 0 offen offset:8
	;; [unrolled: 1-line block ×3, first 2 shown]
	buffer_store_dword v2, off, s[0:3], 0 offset:128
	buffer_store_dword v2, off, s[0:3], 0 offset:132
	;; [unrolled: 1-line block ×4, first 2 shown]
	s_waitcnt vmcnt(0)
	ds_write_b128 v1, v[65:68]
.LBB93_179:
	s_or_b32 exec_lo, exec_lo, s4
	s_waitcnt lgkmcnt(0)
	s_waitcnt_vscnt null, 0x0
	s_barrier
	buffer_gl0_inv
	s_clause 0x37
	buffer_load_dword v3, off, s[0:3], 0 offset:152
	buffer_load_dword v4, off, s[0:3], 0 offset:156
	;; [unrolled: 1-line block ×56, first 2 shown]
	ds_read_b128 v[65:68], v2 offset:608
	s_clause 0x2
	buffer_load_dword v130, off, s[0:3], 0 offset:380
	buffer_load_dword v134, off, s[0:3], 0 offset:356
	;; [unrolled: 1-line block ×3, first 2 shown]
	ds_read_b128 v[69:72], v2 offset:624
	s_clause 0x4
	buffer_load_dword v138, off, s[0:3], 0 offset:396
	buffer_load_dword v139, off, s[0:3], 0 offset:408
	;; [unrolled: 1-line block ×5, first 2 shown]
	ds_read_b128 v[73:76], v2 offset:640
	s_mov_b32 s4, exec_lo
	s_waitcnt vmcnt(62) lgkmcnt(2)
	v_mul_f64 v[135:136], v[67:68], v[3:4]
	v_mul_f64 v[3:4], v[65:66], v[3:4]
	s_waitcnt vmcnt(60) lgkmcnt(1)
	v_mul_f64 v[142:143], v[71:72], v[77:78]
	v_mul_f64 v[77:78], v[69:70], v[77:78]
	;; [unrolled: 3-line block ×3, first 2 shown]
	v_fma_f64 v[135:136], v[65:66], v[79:80], -v[135:136]
	v_fma_f64 v[3:4], v[67:68], v[79:80], v[3:4]
	s_clause 0x2
	buffer_load_dword v140, off, s[0:3], 0 offset:412
	buffer_load_dword v80, off, s[0:3], 0 offset:388
	;; [unrolled: 1-line block ×3, first 2 shown]
	s_waitcnt vmcnt(57)
	v_fma_f64 v[146:147], v[69:70], v[83:84], -v[142:143]
	ds_read_b128 v[65:68], v2 offset:656
	v_fma_f64 v[77:78], v[71:72], v[83:84], v[77:78]
	s_clause 0x4
	buffer_load_dword v84, off, s[0:3], 0 offset:428
	buffer_load_dword v143, off, s[0:3], 0 offset:440
	;; [unrolled: 1-line block ×5, first 2 shown]
	s_waitcnt vmcnt(56)
	v_fma_f64 v[81:82], v[73:74], v[91:92], -v[81:82]
	ds_read_b128 v[69:72], v2 offset:672
	v_fma_f64 v[91:92], v[75:76], v[91:92], v[144:145]
	v_add_f64 v[135:136], v[135:136], 0
	v_add_f64 v[3:4], v[3:4], 0
	s_waitcnt lgkmcnt(1)
	v_mul_f64 v[149:150], v[65:66], v[85:86]
	v_mul_f64 v[85:86], v[67:68], v[85:86]
	v_add_f64 v[135:136], v[135:136], v[146:147]
	v_add_f64 v[3:4], v[3:4], v[77:78]
	s_clause 0x2
	buffer_load_dword v144, off, s[0:3], 0 offset:444
	buffer_load_dword v78, off, s[0:3], 0 offset:420
	;; [unrolled: 1-line block ×3, first 2 shown]
	s_waitcnt vmcnt(58) lgkmcnt(0)
	v_mul_f64 v[145:146], v[69:70], v[87:88]
	v_mul_f64 v[87:88], v[71:72], v[87:88]
	s_waitcnt vmcnt(56)
	v_fma_f64 v[85:86], v[65:66], v[93:94], -v[85:86]
	ds_read_b128 v[73:76], v2 offset:688
	v_fma_f64 v[93:94], v[67:68], v[93:94], v[149:150]
	v_add_f64 v[81:82], v[135:136], v[81:82]
	v_add_f64 v[3:4], v[3:4], v[91:92]
	s_clause 0x4
	buffer_load_dword v92, off, s[0:3], 0 offset:460
	buffer_load_dword v135, off, s[0:3], 0 offset:472
	;; [unrolled: 1-line block ×5, first 2 shown]
	ds_read_b128 v[65:68], v2 offset:704
	s_waitcnt vmcnt(57) lgkmcnt(1)
	v_mul_f64 v[151:152], v[73:74], v[95:96]
	v_mul_f64 v[95:96], v[75:76], v[95:96]
	s_waitcnt vmcnt(56)
	v_fma_f64 v[87:88], v[69:70], v[89:90], -v[87:88]
	v_add_f64 v[81:82], v[81:82], v[85:86]
	v_fma_f64 v[85:86], v[71:72], v[89:90], v[145:146]
	v_add_f64 v[3:4], v[3:4], v[93:94]
	s_clause 0x2
	buffer_load_dword v136, off, s[0:3], 0 offset:476
	buffer_load_dword v90, off, s[0:3], 0 offset:452
	;; [unrolled: 1-line block ×3, first 2 shown]
	s_waitcnt vmcnt(58) lgkmcnt(0)
	v_mul_f64 v[93:94], v[65:66], v[97:98]
	v_mul_f64 v[97:98], v[67:68], v[97:98]
	s_waitcnt vmcnt(56)
	v_fma_f64 v[95:96], v[73:74], v[101:102], -v[95:96]
	ds_read_b128 v[69:72], v2 offset:720
	v_add_f64 v[81:82], v[81:82], v[87:88]
	v_fma_f64 v[87:88], v[75:76], v[101:102], v[151:152]
	v_add_f64 v[3:4], v[3:4], v[85:86]
	s_clause 0x2
	buffer_load_dword v86, off, s[0:3], 0 offset:492
	buffer_load_dword v85, off, s[0:3], 0 offset:488
	;; [unrolled: 1-line block ×3, first 2 shown]
	ds_read_b128 v[73:76], v2 offset:736
	s_waitcnt vmcnt(55) lgkmcnt(1)
	v_mul_f64 v[101:102], v[69:70], v[103:104]
	v_mul_f64 v[103:104], v[71:72], v[103:104]
	s_waitcnt vmcnt(54)
	v_fma_f64 v[97:98], v[65:66], v[99:100], -v[97:98]
	v_fma_f64 v[93:94], v[67:68], v[99:100], v[93:94]
	v_add_f64 v[81:82], v[81:82], v[95:96]
	v_add_f64 v[3:4], v[3:4], v[87:88]
	s_clause 0x1
	buffer_load_dword v88, off, s[0:3], 0 offset:484
	buffer_load_dword v87, off, s[0:3], 0 offset:480
	s_waitcnt vmcnt(55) lgkmcnt(0)
	v_mul_f64 v[99:100], v[75:76], v[105:106]
	ds_read_b128 v[65:68], v2 offset:752
	s_waitcnt vmcnt(53)
	v_fma_f64 v[103:104], v[69:70], v[109:110], -v[103:104]
	v_mul_f64 v[95:96], v[73:74], v[105:106]
	v_add_f64 v[81:82], v[81:82], v[97:98]
	v_fma_f64 v[97:98], v[71:72], v[109:110], v[101:102]
	v_add_f64 v[3:4], v[3:4], v[93:94]
	ds_read_b128 v[69:72], v2 offset:768
	s_waitcnt vmcnt(49) lgkmcnt(1)
	v_mul_f64 v[101:102], v[67:68], v[111:112]
	s_waitcnt vmcnt(48)
	v_fma_f64 v[99:100], v[73:74], v[107:108], -v[99:100]
	v_mul_f64 v[93:94], v[65:66], v[111:112]
	v_fma_f64 v[95:96], v[75:76], v[107:108], v[95:96]
	v_add_f64 v[81:82], v[81:82], v[103:104]
	s_waitcnt vmcnt(47) lgkmcnt(0)
	v_mul_f64 v[107:108], v[71:72], v[113:114]
	v_add_f64 v[3:4], v[3:4], v[97:98]
	s_clause 0x3
	buffer_load_dword v97, off, s[0:3], 0 offset:128
	buffer_load_dword v98, off, s[0:3], 0 offset:132
	;; [unrolled: 1-line block ×4, first 2 shown]
	s_waitcnt vmcnt(49)
	v_fma_f64 v[101:102], v[65:66], v[117:118], -v[101:102]
	ds_read_b128 v[73:76], v2 offset:784
	v_mul_f64 v[105:106], v[69:70], v[113:114]
	v_fma_f64 v[93:94], v[67:68], v[117:118], v[93:94]
	ds_read_b128 v[65:68], v2 offset:800
	v_add_f64 v[81:82], v[81:82], v[99:100]
	s_waitcnt vmcnt(44)
	v_fma_f64 v[107:108], v[69:70], v[115:116], -v[107:108]
	v_add_f64 v[3:4], v[3:4], v[95:96]
	s_waitcnt lgkmcnt(1)
	v_mul_f64 v[99:100], v[75:76], v[119:120]
	v_mul_f64 v[95:96], v[73:74], v[119:120]
	v_add_f64 v[81:82], v[81:82], v[101:102]
	v_fma_f64 v[101:102], v[71:72], v[115:116], v[105:106]
	v_add_f64 v[3:4], v[3:4], v[93:94]
	s_waitcnt vmcnt(43) lgkmcnt(0)
	v_mul_f64 v[105:106], v[67:68], v[121:122]
	s_waitcnt vmcnt(41)
	v_fma_f64 v[99:100], v[73:74], v[125:126], -v[99:100]
	ds_read_b128 v[69:72], v2 offset:816
	v_mul_f64 v[93:94], v[65:66], v[121:122]
	v_fma_f64 v[95:96], v[75:76], v[125:126], v[95:96]
	ds_read_b128 v[73:76], v2 offset:832
	v_add_f64 v[81:82], v[81:82], v[107:108]
	v_add_f64 v[3:4], v[3:4], v[101:102]
	s_waitcnt vmcnt(37) lgkmcnt(1)
	v_mul_f64 v[107:108], v[71:72], v[127:128]
	s_waitcnt vmcnt(36)
	v_fma_f64 v[105:106], v[65:66], v[123:124], -v[105:106]
	v_mul_f64 v[101:102], v[69:70], v[127:128]
	v_fma_f64 v[93:94], v[67:68], v[123:124], v[93:94]
	ds_read_b128 v[65:68], v2 offset:848
	v_add_f64 v[81:82], v[81:82], v[99:100]
	s_waitcnt vmcnt(35) lgkmcnt(1)
	v_mul_f64 v[99:100], v[75:76], v[129:130]
	v_add_f64 v[3:4], v[3:4], v[95:96]
	s_waitcnt vmcnt(33)
	v_fma_f64 v[107:108], v[69:70], v[133:134], -v[107:108]
	v_mul_f64 v[95:96], v[73:74], v[129:130]
	v_fma_f64 v[101:102], v[71:72], v[133:134], v[101:102]
	ds_read_b128 v[69:72], v2 offset:864
	v_add_f64 v[81:82], v[81:82], v[105:106]
	s_waitcnt vmcnt(29) lgkmcnt(1)
	v_mul_f64 v[105:106], v[67:68], v[137:138]
	v_add_f64 v[3:4], v[3:4], v[93:94]
	s_waitcnt vmcnt(28)
	v_fma_f64 v[99:100], v[73:74], v[131:132], -v[99:100]
	v_mul_f64 v[93:94], v[65:66], v[137:138]
	v_fma_f64 v[95:96], v[75:76], v[131:132], v[95:96]
	ds_read_b128 v[73:76], v2 offset:880
	v_add_f64 v[81:82], v[81:82], v[107:108]
	v_add_f64 v[3:4], v[3:4], v[101:102]
	s_waitcnt vmcnt(27) lgkmcnt(1)
	v_mul_f64 v[107:108], v[71:72], v[139:140]
	v_mul_f64 v[101:102], v[69:70], v[139:140]
	s_waitcnt vmcnt(25)
	v_fma_f64 v[105:106], v[65:66], v[79:80], -v[105:106]
	v_fma_f64 v[79:80], v[67:68], v[79:80], v[93:94]
	ds_read_b128 v[65:68], v2 offset:896
	s_waitcnt vmcnt(21) lgkmcnt(1)
	v_mul_f64 v[93:94], v[73:74], v[83:84]
	v_mul_f64 v[83:84], v[75:76], v[83:84]
	v_add_f64 v[81:82], v[81:82], v[99:100]
	v_add_f64 v[3:4], v[3:4], v[95:96]
	s_waitcnt vmcnt(20)
	v_fma_f64 v[95:96], v[69:70], v[141:142], -v[107:108]
	v_fma_f64 v[99:100], v[71:72], v[141:142], v[101:102]
	ds_read_b128 v[69:72], v2 offset:912
	v_add_f64 v[81:82], v[81:82], v[105:106]
	v_add_f64 v[3:4], v[3:4], v[79:80]
	s_waitcnt vmcnt(19) lgkmcnt(1)
	v_mul_f64 v[101:102], v[67:68], v[143:144]
	v_mul_f64 v[79:80], v[65:66], v[143:144]
	s_waitcnt vmcnt(17)
	v_fma_f64 v[83:84], v[73:74], v[77:78], -v[83:84]
	v_fma_f64 v[77:78], v[75:76], v[77:78], v[93:94]
	ds_read_b128 v[73:76], v2 offset:928
	v_add_f64 v[81:82], v[81:82], v[95:96]
	v_add_f64 v[3:4], v[3:4], v[99:100]
	s_waitcnt vmcnt(13) lgkmcnt(1)
	v_mul_f64 v[93:94], v[69:70], v[91:92]
	v_mul_f64 v[91:92], v[71:72], v[91:92]
	;; [unrolled: 9-line block ×3, first 2 shown]
	s_waitcnt vmcnt(9)
	v_fma_f64 v[69:70], v[69:70], v[89:90], -v[91:92]
	v_fma_f64 v[71:72], v[71:72], v[89:90], v[93:94]
	v_add_f64 v[81:82], v[81:82], v[95:96]
	v_add_f64 v[2:3], v[3:4], v[79:80]
	s_waitcnt vmcnt(7) lgkmcnt(0)
	v_mul_f64 v[79:80], v[65:66], v[85:86]
	v_mul_f64 v[85:86], v[67:68], v[85:86]
	s_waitcnt vmcnt(6)
	v_fma_f64 v[73:74], v[73:74], v[150:151], -v[83:84]
	v_fma_f64 v[75:76], v[75:76], v[150:151], v[77:78]
	v_add_f64 v[69:70], v[81:82], v[69:70]
	v_add_f64 v[2:3], v[2:3], v[71:72]
	s_waitcnt vmcnt(4)
	v_fma_f64 v[65:66], v[65:66], v[87:88], -v[85:86]
	v_fma_f64 v[67:68], v[67:68], v[87:88], v[79:80]
	v_add_f64 v[69:70], v[69:70], v[73:74]
	v_add_f64 v[2:3], v[2:3], v[75:76]
	;; [unrolled: 1-line block ×4, first 2 shown]
	s_waitcnt vmcnt(2)
	v_add_f64 v[65:66], v[97:98], -v[65:66]
	s_waitcnt vmcnt(0)
	v_add_f64 v[2:3], v[103:104], -v[2:3]
	buffer_store_dword v66, off, s[0:3], 0 offset:132
	buffer_store_dword v65, off, s[0:3], 0 offset:128
	;; [unrolled: 1-line block ×4, first 2 shown]
	v_cmpx_lt_u32_e32 6, v0
	s_cbranch_execz .LBB93_181
; %bb.180:
	v_mov_b32_e32 v2, s36
	s_clause 0x3
	buffer_load_dword v65, v2, s[0:3], 0 offen
	buffer_load_dword v66, v2, s[0:3], 0 offen offset:4
	buffer_load_dword v67, v2, s[0:3], 0 offen offset:8
	;; [unrolled: 1-line block ×3, first 2 shown]
	v_mov_b32_e32 v2, 0
	buffer_store_dword v2, off, s[0:3], 0 offset:112
	buffer_store_dword v2, off, s[0:3], 0 offset:116
	;; [unrolled: 1-line block ×4, first 2 shown]
	s_waitcnt vmcnt(0)
	ds_write_b128 v1, v[65:68]
.LBB93_181:
	s_or_b32 exec_lo, exec_lo, s4
	s_waitcnt lgkmcnt(0)
	s_waitcnt_vscnt null, 0x0
	s_barrier
	buffer_gl0_inv
	s_clause 0x37
	buffer_load_dword v3, off, s[0:3], 0 offset:136
	buffer_load_dword v4, off, s[0:3], 0 offset:140
	;; [unrolled: 1-line block ×56, first 2 shown]
	v_mov_b32_e32 v2, 0
	s_mov_b32 s4, exec_lo
	ds_read_b128 v[65:68], v2 offset:592
	s_clause 0x2
	buffer_load_dword v130, off, s[0:3], 0 offset:364
	buffer_load_dword v134, off, s[0:3], 0 offset:340
	;; [unrolled: 1-line block ×3, first 2 shown]
	ds_read_b128 v[69:72], v2 offset:608
	s_clause 0x4
	buffer_load_dword v138, off, s[0:3], 0 offset:380
	buffer_load_dword v139, off, s[0:3], 0 offset:392
	;; [unrolled: 1-line block ×5, first 2 shown]
	ds_read_b128 v[73:76], v2 offset:624
	s_waitcnt vmcnt(62) lgkmcnt(2)
	v_mul_f64 v[135:136], v[67:68], v[3:4]
	v_mul_f64 v[3:4], v[65:66], v[3:4]
	s_waitcnt vmcnt(60) lgkmcnt(1)
	v_mul_f64 v[142:143], v[71:72], v[77:78]
	v_mul_f64 v[77:78], v[69:70], v[77:78]
	;; [unrolled: 3-line block ×3, first 2 shown]
	v_fma_f64 v[135:136], v[65:66], v[79:80], -v[135:136]
	v_fma_f64 v[3:4], v[67:68], v[79:80], v[3:4]
	s_clause 0x2
	buffer_load_dword v140, off, s[0:3], 0 offset:396
	buffer_load_dword v80, off, s[0:3], 0 offset:372
	buffer_load_dword v79, off, s[0:3], 0 offset:368
	s_waitcnt vmcnt(57)
	v_fma_f64 v[146:147], v[69:70], v[83:84], -v[142:143]
	ds_read_b128 v[65:68], v2 offset:640
	v_fma_f64 v[77:78], v[71:72], v[83:84], v[77:78]
	s_clause 0x4
	buffer_load_dword v84, off, s[0:3], 0 offset:412
	buffer_load_dword v143, off, s[0:3], 0 offset:424
	;; [unrolled: 1-line block ×5, first 2 shown]
	s_waitcnt vmcnt(56)
	v_fma_f64 v[81:82], v[73:74], v[91:92], -v[81:82]
	ds_read_b128 v[69:72], v2 offset:656
	v_fma_f64 v[91:92], v[75:76], v[91:92], v[144:145]
	v_add_f64 v[135:136], v[135:136], 0
	v_add_f64 v[3:4], v[3:4], 0
	s_waitcnt lgkmcnt(1)
	v_mul_f64 v[149:150], v[65:66], v[85:86]
	v_mul_f64 v[85:86], v[67:68], v[85:86]
	v_add_f64 v[135:136], v[135:136], v[146:147]
	v_add_f64 v[3:4], v[3:4], v[77:78]
	s_clause 0x2
	buffer_load_dword v144, off, s[0:3], 0 offset:428
	buffer_load_dword v78, off, s[0:3], 0 offset:404
	;; [unrolled: 1-line block ×3, first 2 shown]
	s_waitcnt vmcnt(58) lgkmcnt(0)
	v_mul_f64 v[145:146], v[69:70], v[87:88]
	v_mul_f64 v[87:88], v[71:72], v[87:88]
	s_waitcnt vmcnt(56)
	v_fma_f64 v[85:86], v[65:66], v[93:94], -v[85:86]
	ds_read_b128 v[73:76], v2 offset:672
	v_fma_f64 v[93:94], v[67:68], v[93:94], v[149:150]
	v_add_f64 v[81:82], v[135:136], v[81:82]
	v_add_f64 v[3:4], v[3:4], v[91:92]
	s_clause 0x4
	buffer_load_dword v92, off, s[0:3], 0 offset:444
	buffer_load_dword v135, off, s[0:3], 0 offset:456
	;; [unrolled: 1-line block ×5, first 2 shown]
	ds_read_b128 v[65:68], v2 offset:688
	s_waitcnt vmcnt(57) lgkmcnt(1)
	v_mul_f64 v[151:152], v[73:74], v[95:96]
	v_mul_f64 v[95:96], v[75:76], v[95:96]
	s_waitcnt vmcnt(56)
	v_fma_f64 v[87:88], v[69:70], v[89:90], -v[87:88]
	v_add_f64 v[81:82], v[81:82], v[85:86]
	v_fma_f64 v[85:86], v[71:72], v[89:90], v[145:146]
	v_add_f64 v[3:4], v[3:4], v[93:94]
	s_clause 0x2
	buffer_load_dword v136, off, s[0:3], 0 offset:460
	buffer_load_dword v90, off, s[0:3], 0 offset:436
	;; [unrolled: 1-line block ×3, first 2 shown]
	s_waitcnt vmcnt(58) lgkmcnt(0)
	v_mul_f64 v[93:94], v[65:66], v[97:98]
	v_mul_f64 v[97:98], v[67:68], v[97:98]
	s_waitcnt vmcnt(56)
	v_fma_f64 v[95:96], v[73:74], v[101:102], -v[95:96]
	ds_read_b128 v[69:72], v2 offset:704
	v_add_f64 v[81:82], v[81:82], v[87:88]
	v_fma_f64 v[87:88], v[75:76], v[101:102], v[151:152]
	v_add_f64 v[3:4], v[3:4], v[85:86]
	s_clause 0x4
	buffer_load_dword v86, off, s[0:3], 0 offset:476
	buffer_load_dword v101, off, s[0:3], 0 offset:488
	;; [unrolled: 1-line block ×5, first 2 shown]
	ds_read_b128 v[73:76], v2 offset:720
	s_waitcnt vmcnt(57) lgkmcnt(1)
	v_mul_f64 v[146:147], v[69:70], v[103:104]
	v_mul_f64 v[103:104], v[71:72], v[103:104]
	s_waitcnt vmcnt(56)
	v_fma_f64 v[97:98], v[65:66], v[99:100], -v[97:98]
	v_fma_f64 v[93:94], v[67:68], v[99:100], v[93:94]
	v_add_f64 v[81:82], v[81:82], v[95:96]
	v_add_f64 v[3:4], v[3:4], v[87:88]
	s_clause 0x2
	buffer_load_dword v102, off, s[0:3], 0 offset:492
	buffer_load_dword v88, off, s[0:3], 0 offset:468
	;; [unrolled: 1-line block ×3, first 2 shown]
	s_waitcnt vmcnt(58) lgkmcnt(0)
	v_mul_f64 v[99:100], v[75:76], v[105:106]
	ds_read_b128 v[65:68], v2 offset:736
	s_waitcnt vmcnt(56)
	v_fma_f64 v[103:104], v[69:70], v[109:110], -v[103:104]
	v_mul_f64 v[95:96], v[73:74], v[105:106]
	v_add_f64 v[81:82], v[81:82], v[97:98]
	v_fma_f64 v[97:98], v[71:72], v[109:110], v[146:147]
	v_add_f64 v[3:4], v[3:4], v[93:94]
	buffer_load_dword v146, off, s[0:3], 0 offset:484
	ds_read_b128 v[69:72], v2 offset:752
	s_waitcnt vmcnt(53) lgkmcnt(1)
	v_mul_f64 v[105:106], v[67:68], v[111:112]
	s_waitcnt vmcnt(52)
	v_fma_f64 v[99:100], v[73:74], v[107:108], -v[99:100]
	v_mul_f64 v[93:94], v[65:66], v[111:112]
	v_fma_f64 v[95:96], v[75:76], v[107:108], v[95:96]
	ds_read_b128 v[73:76], v2 offset:768
	v_add_f64 v[81:82], v[81:82], v[103:104]
	v_add_f64 v[3:4], v[3:4], v[97:98]
	s_waitcnt vmcnt(51) lgkmcnt(1)
	v_mul_f64 v[103:104], v[71:72], v[113:114]
	v_mul_f64 v[97:98], v[69:70], v[113:114]
	s_waitcnt vmcnt(49)
	v_fma_f64 v[105:106], v[65:66], v[117:118], -v[105:106]
	v_fma_f64 v[93:94], v[67:68], v[117:118], v[93:94]
	s_waitcnt vmcnt(45) lgkmcnt(0)
	v_mul_f64 v[109:110], v[75:76], v[119:120]
	v_mul_f64 v[107:108], v[73:74], v[119:120]
	v_add_f64 v[81:82], v[81:82], v[99:100]
	v_add_f64 v[3:4], v[3:4], v[95:96]
	s_clause 0x3
	buffer_load_dword v95, off, s[0:3], 0 offset:112
	buffer_load_dword v96, off, s[0:3], 0 offset:116
	;; [unrolled: 1-line block ×4, first 2 shown]
	s_waitcnt vmcnt(48)
	v_fma_f64 v[103:104], v[69:70], v[115:116], -v[103:104]
	ds_read_b128 v[65:68], v2 offset:784
	v_fma_f64 v[97:98], v[71:72], v[115:116], v[97:98]
	ds_read_b128 v[69:72], v2 offset:800
	s_waitcnt vmcnt(45)
	v_fma_f64 v[109:110], v[73:74], v[125:126], -v[109:110]
	v_add_f64 v[81:82], v[81:82], v[105:106]
	v_add_f64 v[3:4], v[3:4], v[93:94]
	s_waitcnt lgkmcnt(1)
	v_mul_f64 v[105:106], v[67:68], v[121:122]
	v_mul_f64 v[93:94], v[65:66], v[121:122]
	v_add_f64 v[81:82], v[81:82], v[103:104]
	v_fma_f64 v[103:104], v[75:76], v[125:126], v[107:108]
	v_add_f64 v[3:4], v[3:4], v[97:98]
	s_waitcnt vmcnt(41) lgkmcnt(0)
	v_mul_f64 v[107:108], v[71:72], v[127:128]
	s_waitcnt vmcnt(40)
	v_fma_f64 v[105:106], v[65:66], v[123:124], -v[105:106]
	ds_read_b128 v[73:76], v2 offset:816
	v_mul_f64 v[97:98], v[69:70], v[127:128]
	v_fma_f64 v[93:94], v[67:68], v[123:124], v[93:94]
	ds_read_b128 v[65:68], v2 offset:832
	v_add_f64 v[81:82], v[81:82], v[109:110]
	v_add_f64 v[3:4], v[3:4], v[103:104]
	s_waitcnt vmcnt(39) lgkmcnt(1)
	v_mul_f64 v[109:110], v[75:76], v[129:130]
	s_waitcnt vmcnt(37)
	v_fma_f64 v[107:108], v[69:70], v[133:134], -v[107:108]
	v_mul_f64 v[103:104], v[73:74], v[129:130]
	v_fma_f64 v[97:98], v[71:72], v[133:134], v[97:98]
	ds_read_b128 v[69:72], v2 offset:848
	v_add_f64 v[81:82], v[81:82], v[105:106]
	s_waitcnt vmcnt(33) lgkmcnt(1)
	v_mul_f64 v[105:106], v[67:68], v[137:138]
	v_add_f64 v[3:4], v[3:4], v[93:94]
	s_waitcnt vmcnt(32)
	v_fma_f64 v[109:110], v[73:74], v[131:132], -v[109:110]
	v_mul_f64 v[93:94], v[65:66], v[137:138]
	v_fma_f64 v[103:104], v[75:76], v[131:132], v[103:104]
	ds_read_b128 v[73:76], v2 offset:864
	v_add_f64 v[81:82], v[81:82], v[107:108]
	v_add_f64 v[3:4], v[3:4], v[97:98]
	s_waitcnt vmcnt(31) lgkmcnt(1)
	v_mul_f64 v[107:108], v[71:72], v[139:140]
	v_mul_f64 v[97:98], v[69:70], v[139:140]
	s_waitcnt vmcnt(29)
	v_fma_f64 v[105:106], v[65:66], v[79:80], -v[105:106]
	v_fma_f64 v[79:80], v[67:68], v[79:80], v[93:94]
	ds_read_b128 v[65:68], v2 offset:880
	s_waitcnt vmcnt(25) lgkmcnt(1)
	v_mul_f64 v[93:94], v[73:74], v[83:84]
	v_mul_f64 v[83:84], v[75:76], v[83:84]
	v_add_f64 v[81:82], v[81:82], v[109:110]
	v_add_f64 v[3:4], v[3:4], v[103:104]
	s_waitcnt vmcnt(24)
	v_fma_f64 v[103:104], v[69:70], v[141:142], -v[107:108]
	v_fma_f64 v[97:98], v[71:72], v[141:142], v[97:98]
	ds_read_b128 v[69:72], v2 offset:896
	v_add_f64 v[81:82], v[81:82], v[105:106]
	v_add_f64 v[3:4], v[3:4], v[79:80]
	s_waitcnt vmcnt(23) lgkmcnt(1)
	v_mul_f64 v[105:106], v[67:68], v[143:144]
	v_mul_f64 v[79:80], v[65:66], v[143:144]
	s_waitcnt vmcnt(21)
	v_fma_f64 v[83:84], v[73:74], v[77:78], -v[83:84]
	v_fma_f64 v[77:78], v[75:76], v[77:78], v[93:94]
	ds_read_b128 v[73:76], v2 offset:912
	v_add_f64 v[81:82], v[81:82], v[103:104]
	v_add_f64 v[3:4], v[3:4], v[97:98]
	s_waitcnt vmcnt(17) lgkmcnt(1)
	v_mul_f64 v[93:94], v[69:70], v[91:92]
	v_mul_f64 v[91:92], v[71:72], v[91:92]
	;; [unrolled: 9-line block ×4, first 2 shown]
	s_waitcnt vmcnt(8)
	v_fma_f64 v[73:74], v[73:74], v[150:151], -v[83:84]
	v_fma_f64 v[75:76], v[75:76], v[150:151], v[77:78]
	v_add_f64 v[81:82], v[81:82], v[91:92]
	v_add_f64 v[3:4], v[3:4], v[89:90]
	s_waitcnt vmcnt(7) lgkmcnt(0)
	v_mul_f64 v[83:84], v[71:72], v[101:102]
	v_mul_f64 v[77:78], v[69:70], v[101:102]
	s_waitcnt vmcnt(5)
	v_fma_f64 v[65:66], v[65:66], v[87:88], -v[85:86]
	v_fma_f64 v[67:68], v[67:68], v[87:88], v[79:80]
	v_add_f64 v[73:74], v[81:82], v[73:74]
	v_add_f64 v[3:4], v[3:4], v[75:76]
	s_waitcnt vmcnt(4)
	v_fma_f64 v[69:70], v[69:70], v[145:146], -v[83:84]
	v_fma_f64 v[71:72], v[71:72], v[145:146], v[77:78]
	v_add_f64 v[65:66], v[73:74], v[65:66]
	v_add_f64 v[3:4], v[3:4], v[67:68]
	;; [unrolled: 1-line block ×4, first 2 shown]
	s_waitcnt vmcnt(2)
	v_add_f64 v[65:66], v[95:96], -v[65:66]
	s_waitcnt vmcnt(0)
	v_add_f64 v[3:4], v[99:100], -v[3:4]
	buffer_store_dword v66, off, s[0:3], 0 offset:116
	buffer_store_dword v65, off, s[0:3], 0 offset:112
	buffer_store_dword v4, off, s[0:3], 0 offset:124
	buffer_store_dword v3, off, s[0:3], 0 offset:120
	v_cmpx_lt_u32_e32 5, v0
	s_cbranch_execz .LBB93_183
; %bb.182:
	v_mov_b32_e32 v3, s37
	s_clause 0x3
	buffer_load_dword v65, v3, s[0:3], 0 offen
	buffer_load_dword v66, v3, s[0:3], 0 offen offset:4
	buffer_load_dword v67, v3, s[0:3], 0 offen offset:8
	;; [unrolled: 1-line block ×3, first 2 shown]
	buffer_store_dword v2, off, s[0:3], 0 offset:96
	buffer_store_dword v2, off, s[0:3], 0 offset:100
	;; [unrolled: 1-line block ×4, first 2 shown]
	s_waitcnt vmcnt(0)
	ds_write_b128 v1, v[65:68]
.LBB93_183:
	s_or_b32 exec_lo, exec_lo, s4
	s_waitcnt lgkmcnt(0)
	s_waitcnt_vscnt null, 0x0
	s_barrier
	buffer_gl0_inv
	s_clause 0x37
	buffer_load_dword v3, off, s[0:3], 0 offset:120
	buffer_load_dword v4, off, s[0:3], 0 offset:124
	;; [unrolled: 1-line block ×56, first 2 shown]
	ds_read_b128 v[65:68], v2 offset:576
	s_clause 0x2
	buffer_load_dword v130, off, s[0:3], 0 offset:348
	buffer_load_dword v134, off, s[0:3], 0 offset:324
	;; [unrolled: 1-line block ×3, first 2 shown]
	ds_read_b128 v[69:72], v2 offset:592
	s_clause 0x4
	buffer_load_dword v138, off, s[0:3], 0 offset:364
	buffer_load_dword v139, off, s[0:3], 0 offset:376
	;; [unrolled: 1-line block ×5, first 2 shown]
	ds_read_b128 v[73:76], v2 offset:608
	s_mov_b32 s4, exec_lo
	s_waitcnt vmcnt(62) lgkmcnt(2)
	v_mul_f64 v[135:136], v[67:68], v[3:4]
	v_mul_f64 v[3:4], v[65:66], v[3:4]
	s_waitcnt vmcnt(60) lgkmcnt(1)
	v_mul_f64 v[142:143], v[71:72], v[77:78]
	v_mul_f64 v[77:78], v[69:70], v[77:78]
	;; [unrolled: 3-line block ×3, first 2 shown]
	v_fma_f64 v[135:136], v[65:66], v[79:80], -v[135:136]
	v_fma_f64 v[3:4], v[67:68], v[79:80], v[3:4]
	s_clause 0x2
	buffer_load_dword v140, off, s[0:3], 0 offset:380
	buffer_load_dword v80, off, s[0:3], 0 offset:356
	;; [unrolled: 1-line block ×3, first 2 shown]
	s_waitcnt vmcnt(57)
	v_fma_f64 v[146:147], v[69:70], v[83:84], -v[142:143]
	ds_read_b128 v[65:68], v2 offset:624
	v_fma_f64 v[77:78], v[71:72], v[83:84], v[77:78]
	s_clause 0x4
	buffer_load_dword v84, off, s[0:3], 0 offset:396
	buffer_load_dword v143, off, s[0:3], 0 offset:408
	;; [unrolled: 1-line block ×5, first 2 shown]
	s_waitcnt vmcnt(56)
	v_fma_f64 v[81:82], v[73:74], v[91:92], -v[81:82]
	ds_read_b128 v[69:72], v2 offset:640
	v_fma_f64 v[91:92], v[75:76], v[91:92], v[144:145]
	v_add_f64 v[135:136], v[135:136], 0
	v_add_f64 v[3:4], v[3:4], 0
	s_waitcnt lgkmcnt(1)
	v_mul_f64 v[149:150], v[65:66], v[85:86]
	v_mul_f64 v[85:86], v[67:68], v[85:86]
	v_add_f64 v[135:136], v[135:136], v[146:147]
	v_add_f64 v[3:4], v[3:4], v[77:78]
	s_clause 0x2
	buffer_load_dword v144, off, s[0:3], 0 offset:412
	buffer_load_dword v78, off, s[0:3], 0 offset:388
	;; [unrolled: 1-line block ×3, first 2 shown]
	s_waitcnt vmcnt(58) lgkmcnt(0)
	v_mul_f64 v[145:146], v[69:70], v[87:88]
	v_mul_f64 v[87:88], v[71:72], v[87:88]
	s_waitcnt vmcnt(56)
	v_fma_f64 v[85:86], v[65:66], v[93:94], -v[85:86]
	ds_read_b128 v[73:76], v2 offset:656
	v_fma_f64 v[93:94], v[67:68], v[93:94], v[149:150]
	v_add_f64 v[81:82], v[135:136], v[81:82]
	v_add_f64 v[3:4], v[3:4], v[91:92]
	s_clause 0x4
	buffer_load_dword v92, off, s[0:3], 0 offset:428
	buffer_load_dword v135, off, s[0:3], 0 offset:440
	;; [unrolled: 1-line block ×5, first 2 shown]
	ds_read_b128 v[65:68], v2 offset:672
	s_waitcnt vmcnt(57) lgkmcnt(1)
	v_mul_f64 v[151:152], v[73:74], v[95:96]
	v_mul_f64 v[95:96], v[75:76], v[95:96]
	s_waitcnt vmcnt(56)
	v_fma_f64 v[87:88], v[69:70], v[89:90], -v[87:88]
	v_add_f64 v[81:82], v[81:82], v[85:86]
	v_fma_f64 v[85:86], v[71:72], v[89:90], v[145:146]
	v_add_f64 v[3:4], v[3:4], v[93:94]
	s_clause 0x2
	buffer_load_dword v136, off, s[0:3], 0 offset:444
	buffer_load_dword v90, off, s[0:3], 0 offset:420
	;; [unrolled: 1-line block ×3, first 2 shown]
	s_waitcnt vmcnt(58) lgkmcnt(0)
	v_mul_f64 v[93:94], v[65:66], v[97:98]
	v_mul_f64 v[97:98], v[67:68], v[97:98]
	s_waitcnt vmcnt(56)
	v_fma_f64 v[95:96], v[73:74], v[101:102], -v[95:96]
	ds_read_b128 v[69:72], v2 offset:688
	v_add_f64 v[81:82], v[81:82], v[87:88]
	v_fma_f64 v[87:88], v[75:76], v[101:102], v[151:152]
	v_add_f64 v[3:4], v[3:4], v[85:86]
	s_clause 0x4
	buffer_load_dword v86, off, s[0:3], 0 offset:460
	buffer_load_dword v101, off, s[0:3], 0 offset:472
	;; [unrolled: 1-line block ×5, first 2 shown]
	ds_read_b128 v[73:76], v2 offset:704
	s_waitcnt vmcnt(57) lgkmcnt(1)
	v_mul_f64 v[146:147], v[69:70], v[103:104]
	v_mul_f64 v[103:104], v[71:72], v[103:104]
	s_waitcnt vmcnt(56)
	v_fma_f64 v[97:98], v[65:66], v[99:100], -v[97:98]
	v_fma_f64 v[93:94], v[67:68], v[99:100], v[93:94]
	v_add_f64 v[81:82], v[81:82], v[95:96]
	v_add_f64 v[3:4], v[3:4], v[87:88]
	s_clause 0x2
	buffer_load_dword v102, off, s[0:3], 0 offset:476
	buffer_load_dword v88, off, s[0:3], 0 offset:452
	;; [unrolled: 1-line block ×3, first 2 shown]
	s_waitcnt vmcnt(58) lgkmcnt(0)
	v_mul_f64 v[99:100], v[75:76], v[105:106]
	ds_read_b128 v[65:68], v2 offset:720
	s_waitcnt vmcnt(56)
	v_fma_f64 v[103:104], v[69:70], v[109:110], -v[103:104]
	v_mul_f64 v[95:96], v[73:74], v[105:106]
	v_add_f64 v[81:82], v[81:82], v[97:98]
	v_fma_f64 v[97:98], v[71:72], v[109:110], v[146:147]
	v_add_f64 v[3:4], v[3:4], v[93:94]
	s_clause 0x2
	buffer_load_dword v94, off, s[0:3], 0 offset:492
	buffer_load_dword v93, off, s[0:3], 0 offset:488
	;; [unrolled: 1-line block ×3, first 2 shown]
	s_waitcnt vmcnt(55) lgkmcnt(0)
	v_mul_f64 v[109:110], v[67:68], v[111:112]
	s_waitcnt vmcnt(54)
	v_fma_f64 v[99:100], v[73:74], v[107:108], -v[99:100]
	ds_read_b128 v[69:72], v2 offset:736
	v_mul_f64 v[105:106], v[65:66], v[111:112]
	v_fma_f64 v[95:96], v[75:76], v[107:108], v[95:96]
	v_add_f64 v[81:82], v[81:82], v[103:104]
	v_add_f64 v[3:4], v[3:4], v[97:98]
	s_clause 0x1
	buffer_load_dword v98, off, s[0:3], 0 offset:484
	buffer_load_dword v97, off, s[0:3], 0 offset:480
	s_waitcnt vmcnt(55) lgkmcnt(0)
	v_mul_f64 v[107:108], v[71:72], v[113:114]
	s_waitcnt vmcnt(53)
	v_fma_f64 v[109:110], v[65:66], v[117:118], -v[109:110]
	ds_read_b128 v[73:76], v2 offset:752
	v_mul_f64 v[103:104], v[69:70], v[113:114]
	v_add_f64 v[81:82], v[81:82], v[99:100]
	v_fma_f64 v[99:100], v[67:68], v[117:118], v[105:106]
	v_add_f64 v[3:4], v[3:4], v[95:96]
	ds_read_b128 v[65:68], v2 offset:768
	s_waitcnt vmcnt(49) lgkmcnt(1)
	v_mul_f64 v[105:106], v[75:76], v[119:120]
	s_waitcnt vmcnt(48)
	v_fma_f64 v[107:108], v[69:70], v[115:116], -v[107:108]
	v_mul_f64 v[95:96], v[73:74], v[119:120]
	v_fma_f64 v[103:104], v[71:72], v[115:116], v[103:104]
	v_add_f64 v[81:82], v[81:82], v[109:110]
	s_waitcnt vmcnt(47) lgkmcnt(0)
	v_mul_f64 v[113:114], v[67:68], v[121:122]
	v_add_f64 v[3:4], v[3:4], v[99:100]
	s_clause 0x3
	buffer_load_dword v99, off, s[0:3], 0 offset:96
	buffer_load_dword v100, off, s[0:3], 0 offset:100
	;; [unrolled: 1-line block ×4, first 2 shown]
	s_waitcnt vmcnt(49)
	v_fma_f64 v[105:106], v[73:74], v[125:126], -v[105:106]
	ds_read_b128 v[69:72], v2 offset:784
	v_mul_f64 v[111:112], v[65:66], v[121:122]
	v_fma_f64 v[95:96], v[75:76], v[125:126], v[95:96]
	ds_read_b128 v[73:76], v2 offset:800
	v_add_f64 v[81:82], v[81:82], v[107:108]
	s_waitcnt vmcnt(44)
	v_fma_f64 v[113:114], v[65:66], v[123:124], -v[113:114]
	v_add_f64 v[3:4], v[3:4], v[103:104]
	s_waitcnt lgkmcnt(1)
	v_mul_f64 v[107:108], v[71:72], v[127:128]
	v_mul_f64 v[103:104], v[69:70], v[127:128]
	v_add_f64 v[81:82], v[81:82], v[105:106]
	v_fma_f64 v[105:106], v[67:68], v[123:124], v[111:112]
	v_add_f64 v[3:4], v[3:4], v[95:96]
	s_waitcnt vmcnt(43) lgkmcnt(0)
	v_mul_f64 v[111:112], v[75:76], v[129:130]
	s_waitcnt vmcnt(41)
	v_fma_f64 v[107:108], v[69:70], v[133:134], -v[107:108]
	ds_read_b128 v[65:68], v2 offset:816
	v_mul_f64 v[95:96], v[73:74], v[129:130]
	v_fma_f64 v[103:104], v[71:72], v[133:134], v[103:104]
	ds_read_b128 v[69:72], v2 offset:832
	v_add_f64 v[81:82], v[81:82], v[113:114]
	v_add_f64 v[3:4], v[3:4], v[105:106]
	s_waitcnt vmcnt(37) lgkmcnt(1)
	v_mul_f64 v[113:114], v[67:68], v[137:138]
	s_waitcnt vmcnt(36)
	v_fma_f64 v[111:112], v[73:74], v[131:132], -v[111:112]
	v_mul_f64 v[105:106], v[65:66], v[137:138]
	v_fma_f64 v[95:96], v[75:76], v[131:132], v[95:96]
	ds_read_b128 v[73:76], v2 offset:848
	v_add_f64 v[81:82], v[81:82], v[107:108]
	v_add_f64 v[3:4], v[3:4], v[103:104]
	s_waitcnt vmcnt(35) lgkmcnt(1)
	v_mul_f64 v[107:108], v[71:72], v[139:140]
	v_mul_f64 v[103:104], v[69:70], v[139:140]
	s_waitcnt vmcnt(33)
	v_fma_f64 v[113:114], v[65:66], v[79:80], -v[113:114]
	v_fma_f64 v[79:80], v[67:68], v[79:80], v[105:106]
	ds_read_b128 v[65:68], v2 offset:864
	v_add_f64 v[81:82], v[81:82], v[111:112]
	v_add_f64 v[3:4], v[3:4], v[95:96]
	s_waitcnt vmcnt(29) lgkmcnt(1)
	v_mul_f64 v[95:96], v[73:74], v[83:84]
	v_mul_f64 v[83:84], v[75:76], v[83:84]
	s_waitcnt vmcnt(28)
	v_fma_f64 v[105:106], v[69:70], v[141:142], -v[107:108]
	;; [unrolled: 9-line block ×7, first 2 shown]
	v_fma_f64 v[67:68], v[67:68], v[87:88], v[79:80]
	v_add_f64 v[81:82], v[81:82], v[83:84]
	v_add_f64 v[2:3], v[3:4], v[77:78]
	s_waitcnt vmcnt(7) lgkmcnt(0)
	v_mul_f64 v[79:80], v[75:76], v[93:94]
	s_waitcnt vmcnt(6)
	v_fma_f64 v[69:70], v[69:70], v[145:146], -v[91:92]
	v_mul_f64 v[77:78], v[73:74], v[93:94]
	v_fma_f64 v[71:72], v[71:72], v[145:146], v[89:90]
	v_add_f64 v[65:66], v[81:82], v[65:66]
	v_add_f64 v[2:3], v[2:3], v[67:68]
	s_waitcnt vmcnt(4)
	v_fma_f64 v[67:68], v[73:74], v[97:98], -v[79:80]
	v_add_f64 v[65:66], v[65:66], v[69:70]
	v_fma_f64 v[69:70], v[75:76], v[97:98], v[77:78]
	v_add_f64 v[2:3], v[2:3], v[71:72]
	v_add_f64 v[65:66], v[65:66], v[67:68]
	;; [unrolled: 1-line block ×3, first 2 shown]
	s_waitcnt vmcnt(2)
	v_add_f64 v[65:66], v[99:100], -v[65:66]
	s_waitcnt vmcnt(0)
	v_add_f64 v[2:3], v[109:110], -v[2:3]
	buffer_store_dword v66, off, s[0:3], 0 offset:100
	buffer_store_dword v65, off, s[0:3], 0 offset:96
	;; [unrolled: 1-line block ×4, first 2 shown]
	v_cmpx_lt_u32_e32 4, v0
	s_cbranch_execz .LBB93_185
; %bb.184:
	v_mov_b32_e32 v2, s38
	s_clause 0x3
	buffer_load_dword v65, v2, s[0:3], 0 offen
	buffer_load_dword v66, v2, s[0:3], 0 offen offset:4
	buffer_load_dword v67, v2, s[0:3], 0 offen offset:8
	;; [unrolled: 1-line block ×3, first 2 shown]
	v_mov_b32_e32 v2, 0
	buffer_store_dword v2, off, s[0:3], 0 offset:80
	buffer_store_dword v2, off, s[0:3], 0 offset:84
	;; [unrolled: 1-line block ×4, first 2 shown]
	s_waitcnt vmcnt(0)
	ds_write_b128 v1, v[65:68]
.LBB93_185:
	s_or_b32 exec_lo, exec_lo, s4
	s_waitcnt lgkmcnt(0)
	s_waitcnt_vscnt null, 0x0
	s_barrier
	buffer_gl0_inv
	s_clause 0x37
	buffer_load_dword v3, off, s[0:3], 0 offset:104
	buffer_load_dword v4, off, s[0:3], 0 offset:108
	;; [unrolled: 1-line block ×56, first 2 shown]
	v_mov_b32_e32 v2, 0
	s_mov_b32 s4, exec_lo
	ds_read_b128 v[65:68], v2 offset:560
	s_clause 0x2
	buffer_load_dword v130, off, s[0:3], 0 offset:332
	buffer_load_dword v134, off, s[0:3], 0 offset:308
	;; [unrolled: 1-line block ×3, first 2 shown]
	ds_read_b128 v[69:72], v2 offset:576
	s_clause 0x4
	buffer_load_dword v138, off, s[0:3], 0 offset:348
	buffer_load_dword v139, off, s[0:3], 0 offset:360
	;; [unrolled: 1-line block ×5, first 2 shown]
	ds_read_b128 v[73:76], v2 offset:592
	s_waitcnt vmcnt(62) lgkmcnt(2)
	v_mul_f64 v[135:136], v[67:68], v[3:4]
	v_mul_f64 v[3:4], v[65:66], v[3:4]
	s_waitcnt vmcnt(60) lgkmcnt(1)
	v_mul_f64 v[142:143], v[71:72], v[77:78]
	v_mul_f64 v[77:78], v[69:70], v[77:78]
	s_waitcnt vmcnt(56) lgkmcnt(0)
	v_mul_f64 v[144:145], v[73:74], v[81:82]
	v_mul_f64 v[81:82], v[75:76], v[81:82]
	v_fma_f64 v[135:136], v[65:66], v[79:80], -v[135:136]
	v_fma_f64 v[3:4], v[67:68], v[79:80], v[3:4]
	s_clause 0x2
	buffer_load_dword v140, off, s[0:3], 0 offset:364
	buffer_load_dword v80, off, s[0:3], 0 offset:340
	;; [unrolled: 1-line block ×3, first 2 shown]
	s_waitcnt vmcnt(57)
	v_fma_f64 v[146:147], v[69:70], v[83:84], -v[142:143]
	ds_read_b128 v[65:68], v2 offset:608
	v_fma_f64 v[77:78], v[71:72], v[83:84], v[77:78]
	s_clause 0x4
	buffer_load_dword v84, off, s[0:3], 0 offset:380
	buffer_load_dword v143, off, s[0:3], 0 offset:392
	;; [unrolled: 1-line block ×5, first 2 shown]
	s_waitcnt vmcnt(56)
	v_fma_f64 v[81:82], v[73:74], v[91:92], -v[81:82]
	ds_read_b128 v[69:72], v2 offset:624
	v_fma_f64 v[91:92], v[75:76], v[91:92], v[144:145]
	v_add_f64 v[135:136], v[135:136], 0
	v_add_f64 v[3:4], v[3:4], 0
	s_waitcnt lgkmcnt(1)
	v_mul_f64 v[149:150], v[65:66], v[85:86]
	v_mul_f64 v[85:86], v[67:68], v[85:86]
	v_add_f64 v[135:136], v[135:136], v[146:147]
	v_add_f64 v[3:4], v[3:4], v[77:78]
	s_clause 0x2
	buffer_load_dword v144, off, s[0:3], 0 offset:396
	buffer_load_dword v78, off, s[0:3], 0 offset:372
	;; [unrolled: 1-line block ×3, first 2 shown]
	s_waitcnt vmcnt(58) lgkmcnt(0)
	v_mul_f64 v[145:146], v[69:70], v[87:88]
	v_mul_f64 v[87:88], v[71:72], v[87:88]
	s_waitcnt vmcnt(56)
	v_fma_f64 v[85:86], v[65:66], v[93:94], -v[85:86]
	ds_read_b128 v[73:76], v2 offset:640
	v_fma_f64 v[93:94], v[67:68], v[93:94], v[149:150]
	v_add_f64 v[81:82], v[135:136], v[81:82]
	v_add_f64 v[3:4], v[3:4], v[91:92]
	s_clause 0x4
	buffer_load_dword v92, off, s[0:3], 0 offset:412
	buffer_load_dword v135, off, s[0:3], 0 offset:424
	;; [unrolled: 1-line block ×5, first 2 shown]
	ds_read_b128 v[65:68], v2 offset:656
	s_waitcnt vmcnt(57) lgkmcnt(1)
	v_mul_f64 v[151:152], v[73:74], v[95:96]
	v_mul_f64 v[95:96], v[75:76], v[95:96]
	s_waitcnt vmcnt(56)
	v_fma_f64 v[87:88], v[69:70], v[89:90], -v[87:88]
	v_add_f64 v[81:82], v[81:82], v[85:86]
	v_fma_f64 v[85:86], v[71:72], v[89:90], v[145:146]
	v_add_f64 v[3:4], v[3:4], v[93:94]
	s_clause 0x2
	buffer_load_dword v136, off, s[0:3], 0 offset:428
	buffer_load_dword v90, off, s[0:3], 0 offset:404
	;; [unrolled: 1-line block ×3, first 2 shown]
	s_waitcnt vmcnt(58) lgkmcnt(0)
	v_mul_f64 v[93:94], v[65:66], v[97:98]
	v_mul_f64 v[97:98], v[67:68], v[97:98]
	s_waitcnt vmcnt(56)
	v_fma_f64 v[95:96], v[73:74], v[101:102], -v[95:96]
	ds_read_b128 v[69:72], v2 offset:672
	v_add_f64 v[81:82], v[81:82], v[87:88]
	v_fma_f64 v[87:88], v[75:76], v[101:102], v[151:152]
	v_add_f64 v[3:4], v[3:4], v[85:86]
	s_clause 0x4
	buffer_load_dword v86, off, s[0:3], 0 offset:444
	buffer_load_dword v101, off, s[0:3], 0 offset:456
	;; [unrolled: 1-line block ×5, first 2 shown]
	ds_read_b128 v[73:76], v2 offset:688
	s_waitcnt vmcnt(57) lgkmcnt(1)
	v_mul_f64 v[146:147], v[69:70], v[103:104]
	v_mul_f64 v[103:104], v[71:72], v[103:104]
	s_waitcnt vmcnt(56)
	v_fma_f64 v[97:98], v[65:66], v[99:100], -v[97:98]
	v_fma_f64 v[93:94], v[67:68], v[99:100], v[93:94]
	v_add_f64 v[81:82], v[81:82], v[95:96]
	v_add_f64 v[3:4], v[3:4], v[87:88]
	s_clause 0x2
	buffer_load_dword v102, off, s[0:3], 0 offset:460
	buffer_load_dword v88, off, s[0:3], 0 offset:436
	;; [unrolled: 1-line block ×3, first 2 shown]
	s_waitcnt vmcnt(58) lgkmcnt(0)
	v_mul_f64 v[99:100], v[75:76], v[105:106]
	ds_read_b128 v[65:68], v2 offset:704
	s_waitcnt vmcnt(56)
	v_fma_f64 v[103:104], v[69:70], v[109:110], -v[103:104]
	v_mul_f64 v[95:96], v[73:74], v[105:106]
	v_add_f64 v[81:82], v[81:82], v[97:98]
	v_fma_f64 v[97:98], v[71:72], v[109:110], v[146:147]
	v_add_f64 v[3:4], v[3:4], v[93:94]
	s_clause 0x4
	buffer_load_dword v94, off, s[0:3], 0 offset:476
	buffer_load_dword v105, off, s[0:3], 0 offset:488
	;; [unrolled: 1-line block ×5, first 2 shown]
	s_waitcnt vmcnt(57) lgkmcnt(0)
	v_mul_f64 v[152:153], v[65:66], v[111:112]
	v_mul_f64 v[110:111], v[67:68], v[111:112]
	s_waitcnt vmcnt(56)
	v_fma_f64 v[99:100], v[73:74], v[107:108], -v[99:100]
	ds_read_b128 v[69:72], v2 offset:720
	v_fma_f64 v[95:96], v[75:76], v[107:108], v[95:96]
	v_add_f64 v[81:82], v[81:82], v[103:104]
	v_add_f64 v[3:4], v[3:4], v[97:98]
	s_clause 0x2
	buffer_load_dword v106, off, s[0:3], 0 offset:492
	buffer_load_dword v98, off, s[0:3], 0 offset:468
	;; [unrolled: 1-line block ×3, first 2 shown]
	ds_read_b128 v[73:76], v2 offset:736
	s_waitcnt vmcnt(58) lgkmcnt(1)
	v_mul_f64 v[107:108], v[71:72], v[113:114]
	s_waitcnt vmcnt(56)
	v_fma_f64 v[111:112], v[65:66], v[117:118], -v[110:111]
	v_mul_f64 v[103:104], v[69:70], v[113:114]
	buffer_load_dword v110, off, s[0:3], 0 offset:484
	v_add_f64 v[81:82], v[81:82], v[99:100]
	v_fma_f64 v[99:100], v[67:68], v[117:118], v[152:153]
	v_add_f64 v[3:4], v[3:4], v[95:96]
	ds_read_b128 v[65:68], v2 offset:752
	s_waitcnt vmcnt(53) lgkmcnt(1)
	v_mul_f64 v[113:114], v[75:76], v[119:120]
	s_waitcnt vmcnt(52)
	v_fma_f64 v[107:108], v[69:70], v[115:116], -v[107:108]
	v_mul_f64 v[95:96], v[73:74], v[119:120]
	v_fma_f64 v[103:104], v[71:72], v[115:116], v[103:104]
	ds_read_b128 v[69:72], v2 offset:768
	v_add_f64 v[81:82], v[81:82], v[111:112]
	s_waitcnt vmcnt(51) lgkmcnt(1)
	v_mul_f64 v[111:112], v[67:68], v[121:122]
	v_add_f64 v[3:4], v[3:4], v[99:100]
	v_mul_f64 v[99:100], v[65:66], v[121:122]
	s_waitcnt vmcnt(49)
	v_fma_f64 v[113:114], v[73:74], v[125:126], -v[113:114]
	v_fma_f64 v[95:96], v[75:76], v[125:126], v[95:96]
	s_waitcnt vmcnt(45) lgkmcnt(0)
	v_mul_f64 v[117:118], v[71:72], v[127:128]
	v_mul_f64 v[115:116], v[69:70], v[127:128]
	v_add_f64 v[81:82], v[81:82], v[107:108]
	s_waitcnt vmcnt(44)
	v_fma_f64 v[111:112], v[65:66], v[123:124], -v[111:112]
	v_add_f64 v[3:4], v[3:4], v[103:104]
	s_clause 0x3
	buffer_load_dword v103, off, s[0:3], 0 offset:80
	buffer_load_dword v104, off, s[0:3], 0 offset:84
	;; [unrolled: 1-line block ×4, first 2 shown]
	ds_read_b128 v[73:76], v2 offset:784
	v_fma_f64 v[99:100], v[67:68], v[123:124], v[99:100]
	ds_read_b128 v[65:68], v2 offset:800
	s_waitcnt vmcnt(45)
	v_fma_f64 v[117:118], v[69:70], v[133:134], -v[117:118]
	v_add_f64 v[81:82], v[81:82], v[113:114]
	v_add_f64 v[3:4], v[3:4], v[95:96]
	s_waitcnt lgkmcnt(1)
	v_mul_f64 v[113:114], v[75:76], v[129:130]
	v_mul_f64 v[95:96], v[73:74], v[129:130]
	v_add_f64 v[81:82], v[81:82], v[111:112]
	v_fma_f64 v[111:112], v[71:72], v[133:134], v[115:116]
	v_add_f64 v[3:4], v[3:4], v[99:100]
	s_waitcnt vmcnt(41) lgkmcnt(0)
	v_mul_f64 v[115:116], v[67:68], v[137:138]
	s_waitcnt vmcnt(40)
	v_fma_f64 v[113:114], v[73:74], v[131:132], -v[113:114]
	ds_read_b128 v[69:72], v2 offset:816
	v_mul_f64 v[99:100], v[65:66], v[137:138]
	v_fma_f64 v[95:96], v[75:76], v[131:132], v[95:96]
	ds_read_b128 v[73:76], v2 offset:832
	v_add_f64 v[81:82], v[81:82], v[117:118]
	v_add_f64 v[3:4], v[3:4], v[111:112]
	s_waitcnt vmcnt(39) lgkmcnt(1)
	v_mul_f64 v[117:118], v[71:72], v[139:140]
	v_mul_f64 v[111:112], v[69:70], v[139:140]
	s_waitcnt vmcnt(37)
	v_fma_f64 v[115:116], v[65:66], v[79:80], -v[115:116]
	v_fma_f64 v[79:80], v[67:68], v[79:80], v[99:100]
	ds_read_b128 v[65:68], v2 offset:848
	v_add_f64 v[81:82], v[81:82], v[113:114]
	v_add_f64 v[3:4], v[3:4], v[95:96]
	s_waitcnt vmcnt(33) lgkmcnt(1)
	v_mul_f64 v[95:96], v[73:74], v[83:84]
	v_mul_f64 v[83:84], v[75:76], v[83:84]
	s_waitcnt vmcnt(32)
	v_fma_f64 v[99:100], v[69:70], v[141:142], -v[117:118]
	v_fma_f64 v[111:112], v[71:72], v[141:142], v[111:112]
	ds_read_b128 v[69:72], v2 offset:864
	v_add_f64 v[81:82], v[81:82], v[115:116]
	v_add_f64 v[3:4], v[3:4], v[79:80]
	s_waitcnt vmcnt(31) lgkmcnt(1)
	v_mul_f64 v[113:114], v[67:68], v[143:144]
	v_mul_f64 v[79:80], v[65:66], v[143:144]
	s_waitcnt vmcnt(29)
	v_fma_f64 v[83:84], v[73:74], v[77:78], -v[83:84]
	v_fma_f64 v[77:78], v[75:76], v[77:78], v[95:96]
	ds_read_b128 v[73:76], v2 offset:880
	v_add_f64 v[81:82], v[81:82], v[99:100]
	v_add_f64 v[3:4], v[3:4], v[111:112]
	s_waitcnt vmcnt(25) lgkmcnt(1)
	v_mul_f64 v[95:96], v[69:70], v[91:92]
	v_mul_f64 v[91:92], v[71:72], v[91:92]
	s_waitcnt vmcnt(24)
	v_fma_f64 v[99:100], v[65:66], v[148:149], -v[113:114]
	v_fma_f64 v[79:80], v[67:68], v[148:149], v[79:80]
	ds_read_b128 v[65:68], v2 offset:896
	v_add_f64 v[81:82], v[81:82], v[83:84]
	v_add_f64 v[3:4], v[3:4], v[77:78]
	s_waitcnt vmcnt(23) lgkmcnt(1)
	v_mul_f64 v[83:84], v[75:76], v[135:136]
	v_mul_f64 v[77:78], v[73:74], v[135:136]
	s_waitcnt vmcnt(21)
	v_fma_f64 v[91:92], v[69:70], v[89:90], -v[91:92]
	v_fma_f64 v[89:90], v[71:72], v[89:90], v[95:96]
	ds_read_b128 v[69:72], v2 offset:912
	v_add_f64 v[81:82], v[81:82], v[99:100]
	v_add_f64 v[3:4], v[3:4], v[79:80]
	s_waitcnt vmcnt(17) lgkmcnt(1)
	v_mul_f64 v[79:80], v[65:66], v[85:86]
	v_mul_f64 v[85:86], v[67:68], v[85:86]
	s_waitcnt vmcnt(16)
	v_fma_f64 v[83:84], v[73:74], v[150:151], -v[83:84]
	v_fma_f64 v[77:78], v[75:76], v[150:151], v[77:78]
	ds_read_b128 v[73:76], v2 offset:928
	v_add_f64 v[81:82], v[81:82], v[91:92]
	v_add_f64 v[3:4], v[3:4], v[89:90]
	s_waitcnt vmcnt(15) lgkmcnt(1)
	v_mul_f64 v[91:92], v[71:72], v[101:102]
	v_mul_f64 v[89:90], v[69:70], v[101:102]
	s_waitcnt vmcnt(13)
	v_fma_f64 v[85:86], v[65:66], v[87:88], -v[85:86]
	v_fma_f64 v[79:80], v[67:68], v[87:88], v[79:80]
	ds_read_b128 v[65:68], v2 offset:944
	v_add_f64 v[81:82], v[81:82], v[83:84]
	v_add_f64 v[3:4], v[3:4], v[77:78]
	s_waitcnt vmcnt(9) lgkmcnt(1)
	v_mul_f64 v[83:84], v[75:76], v[93:94]
	s_waitcnt vmcnt(8)
	v_fma_f64 v[69:70], v[69:70], v[145:146], -v[91:92]
	v_mul_f64 v[77:78], v[73:74], v[93:94]
	v_fma_f64 v[71:72], v[71:72], v[145:146], v[89:90]
	v_add_f64 v[81:82], v[81:82], v[85:86]
	v_add_f64 v[3:4], v[3:4], v[79:80]
	s_waitcnt vmcnt(7) lgkmcnt(0)
	v_mul_f64 v[85:86], v[67:68], v[105:106]
	v_mul_f64 v[79:80], v[65:66], v[105:106]
	s_waitcnt vmcnt(5)
	v_fma_f64 v[73:74], v[73:74], v[97:98], -v[83:84]
	v_fma_f64 v[75:76], v[75:76], v[97:98], v[77:78]
	v_add_f64 v[69:70], v[81:82], v[69:70]
	v_add_f64 v[3:4], v[3:4], v[71:72]
	s_waitcnt vmcnt(4)
	v_fma_f64 v[65:66], v[65:66], v[109:110], -v[85:86]
	v_fma_f64 v[67:68], v[67:68], v[109:110], v[79:80]
	v_add_f64 v[69:70], v[69:70], v[73:74]
	v_add_f64 v[3:4], v[3:4], v[75:76]
	;; [unrolled: 1-line block ×4, first 2 shown]
	s_waitcnt vmcnt(2)
	v_add_f64 v[65:66], v[103:104], -v[65:66]
	s_waitcnt vmcnt(0)
	v_add_f64 v[3:4], v[107:108], -v[3:4]
	buffer_store_dword v66, off, s[0:3], 0 offset:84
	buffer_store_dword v65, off, s[0:3], 0 offset:80
	;; [unrolled: 1-line block ×4, first 2 shown]
	v_cmpx_lt_u32_e32 3, v0
	s_cbranch_execz .LBB93_187
; %bb.186:
	v_mov_b32_e32 v3, s39
	s_clause 0x3
	buffer_load_dword v65, v3, s[0:3], 0 offen
	buffer_load_dword v66, v3, s[0:3], 0 offen offset:4
	buffer_load_dword v67, v3, s[0:3], 0 offen offset:8
	;; [unrolled: 1-line block ×3, first 2 shown]
	buffer_store_dword v2, off, s[0:3], 0 offset:64
	buffer_store_dword v2, off, s[0:3], 0 offset:68
	;; [unrolled: 1-line block ×4, first 2 shown]
	s_waitcnt vmcnt(0)
	ds_write_b128 v1, v[65:68]
.LBB93_187:
	s_or_b32 exec_lo, exec_lo, s4
	s_waitcnt lgkmcnt(0)
	s_waitcnt_vscnt null, 0x0
	s_barrier
	buffer_gl0_inv
	s_clause 0x37
	buffer_load_dword v3, off, s[0:3], 0 offset:88
	buffer_load_dword v4, off, s[0:3], 0 offset:92
	buffer_load_dword v77, off, s[0:3], 0 offset:104
	buffer_load_dword v78, off, s[0:3], 0 offset:108
	buffer_load_dword v79, off, s[0:3], 0 offset:80
	buffer_load_dword v80, off, s[0:3], 0 offset:84
	buffer_load_dword v81, off, s[0:3], 0 offset:120
	buffer_load_dword v82, off, s[0:3], 0 offset:124
	buffer_load_dword v83, off, s[0:3], 0 offset:96
	buffer_load_dword v84, off, s[0:3], 0 offset:100
	buffer_load_dword v86, off, s[0:3], 0 offset:140
	buffer_load_dword v87, off, s[0:3], 0 offset:152
	buffer_load_dword v89, off, s[0:3], 0 offset:144
	buffer_load_dword v85, off, s[0:3], 0 offset:136
	buffer_load_dword v91, off, s[0:3], 0 offset:112
	buffer_load_dword v92, off, s[0:3], 0 offset:116
	buffer_load_dword v88, off, s[0:3], 0 offset:156
	buffer_load_dword v94, off, s[0:3], 0 offset:132
	buffer_load_dword v93, off, s[0:3], 0 offset:128
	buffer_load_dword v96, off, s[0:3], 0 offset:172
	buffer_load_dword v97, off, s[0:3], 0 offset:184
	buffer_load_dword v99, off, s[0:3], 0 offset:176
	buffer_load_dword v95, off, s[0:3], 0 offset:168
	buffer_load_dword v90, off, s[0:3], 0 offset:148
	buffer_load_dword v98, off, s[0:3], 0 offset:188
	buffer_load_dword v102, off, s[0:3], 0 offset:164
	buffer_load_dword v101, off, s[0:3], 0 offset:160
	buffer_load_dword v104, off, s[0:3], 0 offset:204
	buffer_load_dword v105, off, s[0:3], 0 offset:216
	buffer_load_dword v107, off, s[0:3], 0 offset:208
	buffer_load_dword v103, off, s[0:3], 0 offset:200
	buffer_load_dword v100, off, s[0:3], 0 offset:180
	buffer_load_dword v106, off, s[0:3], 0 offset:220
	buffer_load_dword v110, off, s[0:3], 0 offset:196
	buffer_load_dword v109, off, s[0:3], 0 offset:192
	buffer_load_dword v112, off, s[0:3], 0 offset:236
	buffer_load_dword v113, off, s[0:3], 0 offset:248
	buffer_load_dword v115, off, s[0:3], 0 offset:240
	buffer_load_dword v111, off, s[0:3], 0 offset:232
	buffer_load_dword v108, off, s[0:3], 0 offset:212
	buffer_load_dword v114, off, s[0:3], 0 offset:252
	buffer_load_dword v118, off, s[0:3], 0 offset:228
	buffer_load_dword v117, off, s[0:3], 0 offset:224
	buffer_load_dword v120, off, s[0:3], 0 offset:268
	buffer_load_dword v121, off, s[0:3], 0 offset:280
	buffer_load_dword v123, off, s[0:3], 0 offset:272
	buffer_load_dword v119, off, s[0:3], 0 offset:264
	buffer_load_dword v116, off, s[0:3], 0 offset:244
	buffer_load_dword v122, off, s[0:3], 0 offset:284
	buffer_load_dword v126, off, s[0:3], 0 offset:260
	buffer_load_dword v125, off, s[0:3], 0 offset:256
	buffer_load_dword v128, off, s[0:3], 0 offset:300
	buffer_load_dword v129, off, s[0:3], 0 offset:312
	buffer_load_dword v131, off, s[0:3], 0 offset:304
	buffer_load_dword v127, off, s[0:3], 0 offset:296
	buffer_load_dword v124, off, s[0:3], 0 offset:276
	ds_read_b128 v[65:68], v2 offset:544
	s_clause 0x2
	buffer_load_dword v130, off, s[0:3], 0 offset:316
	buffer_load_dword v134, off, s[0:3], 0 offset:292
	;; [unrolled: 1-line block ×3, first 2 shown]
	ds_read_b128 v[69:72], v2 offset:560
	s_clause 0x4
	buffer_load_dword v138, off, s[0:3], 0 offset:332
	buffer_load_dword v139, off, s[0:3], 0 offset:344
	buffer_load_dword v141, off, s[0:3], 0 offset:336
	buffer_load_dword v137, off, s[0:3], 0 offset:328
	buffer_load_dword v132, off, s[0:3], 0 offset:308
	ds_read_b128 v[73:76], v2 offset:576
	s_mov_b32 s4, exec_lo
	s_waitcnt vmcnt(62) lgkmcnt(2)
	v_mul_f64 v[135:136], v[67:68], v[3:4]
	v_mul_f64 v[3:4], v[65:66], v[3:4]
	s_waitcnt vmcnt(60) lgkmcnt(1)
	v_mul_f64 v[142:143], v[71:72], v[77:78]
	v_mul_f64 v[77:78], v[69:70], v[77:78]
	;; [unrolled: 3-line block ×3, first 2 shown]
	v_fma_f64 v[135:136], v[65:66], v[79:80], -v[135:136]
	v_fma_f64 v[3:4], v[67:68], v[79:80], v[3:4]
	s_clause 0x2
	buffer_load_dword v140, off, s[0:3], 0 offset:348
	buffer_load_dword v80, off, s[0:3], 0 offset:324
	;; [unrolled: 1-line block ×3, first 2 shown]
	s_waitcnt vmcnt(57)
	v_fma_f64 v[146:147], v[69:70], v[83:84], -v[142:143]
	ds_read_b128 v[65:68], v2 offset:592
	v_fma_f64 v[77:78], v[71:72], v[83:84], v[77:78]
	s_clause 0x4
	buffer_load_dword v84, off, s[0:3], 0 offset:364
	buffer_load_dword v143, off, s[0:3], 0 offset:376
	;; [unrolled: 1-line block ×5, first 2 shown]
	s_waitcnt vmcnt(56)
	v_fma_f64 v[81:82], v[73:74], v[91:92], -v[81:82]
	ds_read_b128 v[69:72], v2 offset:608
	v_fma_f64 v[91:92], v[75:76], v[91:92], v[144:145]
	v_add_f64 v[135:136], v[135:136], 0
	v_add_f64 v[3:4], v[3:4], 0
	s_waitcnt lgkmcnt(1)
	v_mul_f64 v[149:150], v[65:66], v[85:86]
	v_mul_f64 v[85:86], v[67:68], v[85:86]
	v_add_f64 v[135:136], v[135:136], v[146:147]
	v_add_f64 v[3:4], v[3:4], v[77:78]
	s_clause 0x2
	buffer_load_dword v144, off, s[0:3], 0 offset:380
	buffer_load_dword v78, off, s[0:3], 0 offset:356
	;; [unrolled: 1-line block ×3, first 2 shown]
	s_waitcnt vmcnt(58) lgkmcnt(0)
	v_mul_f64 v[145:146], v[69:70], v[87:88]
	v_mul_f64 v[87:88], v[71:72], v[87:88]
	s_waitcnt vmcnt(56)
	v_fma_f64 v[85:86], v[65:66], v[93:94], -v[85:86]
	ds_read_b128 v[73:76], v2 offset:624
	v_fma_f64 v[93:94], v[67:68], v[93:94], v[149:150]
	v_add_f64 v[81:82], v[135:136], v[81:82]
	v_add_f64 v[3:4], v[3:4], v[91:92]
	s_clause 0x4
	buffer_load_dword v92, off, s[0:3], 0 offset:396
	buffer_load_dword v135, off, s[0:3], 0 offset:408
	;; [unrolled: 1-line block ×5, first 2 shown]
	ds_read_b128 v[65:68], v2 offset:640
	s_waitcnt vmcnt(57) lgkmcnt(1)
	v_mul_f64 v[151:152], v[73:74], v[95:96]
	v_mul_f64 v[95:96], v[75:76], v[95:96]
	s_waitcnt vmcnt(56)
	v_fma_f64 v[87:88], v[69:70], v[89:90], -v[87:88]
	v_add_f64 v[81:82], v[81:82], v[85:86]
	v_fma_f64 v[85:86], v[71:72], v[89:90], v[145:146]
	v_add_f64 v[3:4], v[3:4], v[93:94]
	s_clause 0x2
	buffer_load_dword v136, off, s[0:3], 0 offset:412
	buffer_load_dword v90, off, s[0:3], 0 offset:388
	;; [unrolled: 1-line block ×3, first 2 shown]
	s_waitcnt vmcnt(58) lgkmcnt(0)
	v_mul_f64 v[93:94], v[65:66], v[97:98]
	v_mul_f64 v[97:98], v[67:68], v[97:98]
	s_waitcnt vmcnt(56)
	v_fma_f64 v[95:96], v[73:74], v[101:102], -v[95:96]
	ds_read_b128 v[69:72], v2 offset:656
	v_add_f64 v[81:82], v[81:82], v[87:88]
	v_fma_f64 v[87:88], v[75:76], v[101:102], v[151:152]
	v_add_f64 v[3:4], v[3:4], v[85:86]
	s_clause 0x4
	buffer_load_dword v86, off, s[0:3], 0 offset:428
	buffer_load_dword v101, off, s[0:3], 0 offset:440
	;; [unrolled: 1-line block ×5, first 2 shown]
	ds_read_b128 v[73:76], v2 offset:672
	s_waitcnt vmcnt(57) lgkmcnt(1)
	v_mul_f64 v[146:147], v[69:70], v[103:104]
	v_mul_f64 v[103:104], v[71:72], v[103:104]
	s_waitcnt vmcnt(56)
	v_fma_f64 v[97:98], v[65:66], v[99:100], -v[97:98]
	v_fma_f64 v[93:94], v[67:68], v[99:100], v[93:94]
	v_add_f64 v[81:82], v[81:82], v[95:96]
	v_add_f64 v[3:4], v[3:4], v[87:88]
	s_clause 0x2
	buffer_load_dword v102, off, s[0:3], 0 offset:444
	buffer_load_dword v88, off, s[0:3], 0 offset:420
	;; [unrolled: 1-line block ×3, first 2 shown]
	s_waitcnt vmcnt(58) lgkmcnt(0)
	v_mul_f64 v[99:100], v[75:76], v[105:106]
	ds_read_b128 v[65:68], v2 offset:688
	s_waitcnt vmcnt(56)
	v_fma_f64 v[103:104], v[69:70], v[109:110], -v[103:104]
	v_mul_f64 v[95:96], v[73:74], v[105:106]
	v_add_f64 v[81:82], v[81:82], v[97:98]
	v_fma_f64 v[97:98], v[71:72], v[109:110], v[146:147]
	v_add_f64 v[3:4], v[3:4], v[93:94]
	s_clause 0x4
	buffer_load_dword v94, off, s[0:3], 0 offset:460
	buffer_load_dword v105, off, s[0:3], 0 offset:472
	;; [unrolled: 1-line block ×5, first 2 shown]
	s_waitcnt vmcnt(57) lgkmcnt(0)
	v_mul_f64 v[152:153], v[65:66], v[111:112]
	v_mul_f64 v[110:111], v[67:68], v[111:112]
	s_waitcnt vmcnt(56)
	v_fma_f64 v[99:100], v[73:74], v[107:108], -v[99:100]
	ds_read_b128 v[69:72], v2 offset:704
	v_fma_f64 v[95:96], v[75:76], v[107:108], v[95:96]
	v_add_f64 v[81:82], v[81:82], v[103:104]
	v_add_f64 v[3:4], v[3:4], v[97:98]
	s_clause 0x2
	buffer_load_dword v106, off, s[0:3], 0 offset:476
	buffer_load_dword v98, off, s[0:3], 0 offset:452
	;; [unrolled: 1-line block ×3, first 2 shown]
	ds_read_b128 v[73:76], v2 offset:720
	s_waitcnt vmcnt(58) lgkmcnt(1)
	v_mul_f64 v[107:108], v[71:72], v[113:114]
	s_waitcnt vmcnt(56)
	v_fma_f64 v[111:112], v[65:66], v[117:118], -v[110:111]
	v_mul_f64 v[103:104], v[69:70], v[113:114]
	v_add_f64 v[81:82], v[81:82], v[99:100]
	v_fma_f64 v[99:100], v[67:68], v[117:118], v[152:153]
	v_add_f64 v[3:4], v[3:4], v[95:96]
	s_clause 0x2
	buffer_load_dword v96, off, s[0:3], 0 offset:492
	buffer_load_dword v95, off, s[0:3], 0 offset:488
	;; [unrolled: 1-line block ×3, first 2 shown]
	s_waitcnt vmcnt(55) lgkmcnt(0)
	v_mul_f64 v[117:118], v[75:76], v[119:120]
	s_waitcnt vmcnt(54)
	v_fma_f64 v[107:108], v[69:70], v[115:116], -v[107:108]
	ds_read_b128 v[65:68], v2 offset:736
	v_mul_f64 v[113:114], v[73:74], v[119:120]
	v_fma_f64 v[103:104], v[71:72], v[115:116], v[103:104]
	v_add_f64 v[81:82], v[81:82], v[111:112]
	v_add_f64 v[3:4], v[3:4], v[99:100]
	s_clause 0x1
	buffer_load_dword v100, off, s[0:3], 0 offset:484
	buffer_load_dword v99, off, s[0:3], 0 offset:480
	s_waitcnt vmcnt(55) lgkmcnt(0)
	v_mul_f64 v[115:116], v[67:68], v[121:122]
	s_waitcnt vmcnt(53)
	v_fma_f64 v[117:118], v[73:74], v[125:126], -v[117:118]
	ds_read_b128 v[69:72], v2 offset:752
	v_mul_f64 v[111:112], v[65:66], v[121:122]
	v_add_f64 v[81:82], v[81:82], v[107:108]
	v_fma_f64 v[107:108], v[75:76], v[125:126], v[113:114]
	v_add_f64 v[3:4], v[3:4], v[103:104]
	ds_read_b128 v[73:76], v2 offset:768
	s_waitcnt vmcnt(49) lgkmcnt(1)
	v_mul_f64 v[113:114], v[71:72], v[127:128]
	s_waitcnt vmcnt(48)
	v_fma_f64 v[115:116], v[65:66], v[123:124], -v[115:116]
	v_mul_f64 v[103:104], v[69:70], v[127:128]
	v_fma_f64 v[111:112], v[67:68], v[123:124], v[111:112]
	v_add_f64 v[81:82], v[81:82], v[117:118]
	s_waitcnt vmcnt(47) lgkmcnt(0)
	v_mul_f64 v[121:122], v[75:76], v[129:130]
	v_add_f64 v[3:4], v[3:4], v[107:108]
	s_clause 0x3
	buffer_load_dword v107, off, s[0:3], 0 offset:64
	buffer_load_dword v108, off, s[0:3], 0 offset:68
	;; [unrolled: 1-line block ×4, first 2 shown]
	s_waitcnt vmcnt(49)
	v_fma_f64 v[113:114], v[69:70], v[133:134], -v[113:114]
	ds_read_b128 v[65:68], v2 offset:784
	v_mul_f64 v[119:120], v[73:74], v[129:130]
	v_fma_f64 v[103:104], v[71:72], v[133:134], v[103:104]
	ds_read_b128 v[69:72], v2 offset:800
	v_add_f64 v[81:82], v[81:82], v[115:116]
	s_waitcnt vmcnt(44)
	v_fma_f64 v[121:122], v[73:74], v[131:132], -v[121:122]
	v_add_f64 v[3:4], v[3:4], v[111:112]
	s_waitcnt lgkmcnt(1)
	v_mul_f64 v[115:116], v[67:68], v[137:138]
	v_mul_f64 v[111:112], v[65:66], v[137:138]
	v_add_f64 v[81:82], v[81:82], v[113:114]
	v_fma_f64 v[113:114], v[75:76], v[131:132], v[119:120]
	v_add_f64 v[3:4], v[3:4], v[103:104]
	ds_read_b128 v[73:76], v2 offset:816
	s_waitcnt vmcnt(43) lgkmcnt(1)
	v_mul_f64 v[119:120], v[71:72], v[139:140]
	v_mul_f64 v[103:104], v[69:70], v[139:140]
	s_waitcnt vmcnt(41)
	v_fma_f64 v[115:116], v[65:66], v[79:80], -v[115:116]
	v_fma_f64 v[79:80], v[67:68], v[79:80], v[111:112]
	ds_read_b128 v[65:68], v2 offset:832
	v_add_f64 v[81:82], v[81:82], v[121:122]
	s_waitcnt vmcnt(37) lgkmcnt(1)
	v_mul_f64 v[111:112], v[73:74], v[83:84]
	v_add_f64 v[3:4], v[3:4], v[113:114]
	v_mul_f64 v[83:84], v[75:76], v[83:84]
	s_waitcnt vmcnt(36)
	v_fma_f64 v[113:114], v[69:70], v[141:142], -v[119:120]
	v_fma_f64 v[103:104], v[71:72], v[141:142], v[103:104]
	ds_read_b128 v[69:72], v2 offset:848
	v_add_f64 v[81:82], v[81:82], v[115:116]
	v_add_f64 v[3:4], v[3:4], v[79:80]
	s_waitcnt vmcnt(35) lgkmcnt(1)
	v_mul_f64 v[115:116], v[67:68], v[143:144]
	v_mul_f64 v[79:80], v[65:66], v[143:144]
	s_waitcnt vmcnt(33)
	v_fma_f64 v[83:84], v[73:74], v[77:78], -v[83:84]
	v_fma_f64 v[77:78], v[75:76], v[77:78], v[111:112]
	ds_read_b128 v[73:76], v2 offset:864
	v_add_f64 v[81:82], v[81:82], v[113:114]
	v_add_f64 v[3:4], v[3:4], v[103:104]
	s_waitcnt vmcnt(29) lgkmcnt(1)
	v_mul_f64 v[103:104], v[69:70], v[91:92]
	;; [unrolled: 9-line block ×6, first 2 shown]
	s_waitcnt vmcnt(12)
	v_fma_f64 v[87:88], v[69:70], v[145:146], -v[91:92]
	v_mul_f64 v[77:78], v[73:74], v[93:94]
	v_add_f64 v[81:82], v[81:82], v[85:86]
	v_fma_f64 v[85:86], v[71:72], v[145:146], v[89:90]
	v_add_f64 v[3:4], v[3:4], v[79:80]
	ds_read_b128 v[69:72], v2 offset:944
	s_waitcnt vmcnt(11) lgkmcnt(1)
	v_mul_f64 v[89:90], v[67:68], v[105:106]
	v_mul_f64 v[79:80], v[65:66], v[105:106]
	s_waitcnt vmcnt(9)
	v_fma_f64 v[73:74], v[73:74], v[97:98], -v[83:84]
	v_fma_f64 v[75:76], v[75:76], v[97:98], v[77:78]
	v_add_f64 v[81:82], v[81:82], v[87:88]
	v_add_f64 v[2:3], v[3:4], v[85:86]
	s_waitcnt vmcnt(7) lgkmcnt(0)
	v_mul_f64 v[83:84], v[71:72], v[95:96]
	s_waitcnt vmcnt(6)
	v_fma_f64 v[65:66], v[65:66], v[109:110], -v[89:90]
	v_mul_f64 v[77:78], v[69:70], v[95:96]
	v_fma_f64 v[67:68], v[67:68], v[109:110], v[79:80]
	v_add_f64 v[73:74], v[81:82], v[73:74]
	v_add_f64 v[2:3], v[2:3], v[75:76]
	s_waitcnt vmcnt(4)
	v_fma_f64 v[69:70], v[69:70], v[99:100], -v[83:84]
	v_fma_f64 v[71:72], v[71:72], v[99:100], v[77:78]
	v_add_f64 v[65:66], v[73:74], v[65:66]
	v_add_f64 v[2:3], v[2:3], v[67:68]
	;; [unrolled: 1-line block ×4, first 2 shown]
	s_waitcnt vmcnt(2)
	v_add_f64 v[65:66], v[107:108], -v[65:66]
	s_waitcnt vmcnt(0)
	v_add_f64 v[2:3], v[117:118], -v[2:3]
	buffer_store_dword v66, off, s[0:3], 0 offset:68
	buffer_store_dword v65, off, s[0:3], 0 offset:64
	;; [unrolled: 1-line block ×4, first 2 shown]
	v_cmpx_lt_u32_e32 2, v0
	s_cbranch_execz .LBB93_189
; %bb.188:
	v_mov_b32_e32 v2, s40
	s_clause 0x3
	buffer_load_dword v65, v2, s[0:3], 0 offen
	buffer_load_dword v66, v2, s[0:3], 0 offen offset:4
	buffer_load_dword v67, v2, s[0:3], 0 offen offset:8
	;; [unrolled: 1-line block ×3, first 2 shown]
	v_mov_b32_e32 v2, 0
	buffer_store_dword v2, off, s[0:3], 0 offset:48
	buffer_store_dword v2, off, s[0:3], 0 offset:52
	;; [unrolled: 1-line block ×4, first 2 shown]
	s_waitcnt vmcnt(0)
	ds_write_b128 v1, v[65:68]
.LBB93_189:
	s_or_b32 exec_lo, exec_lo, s4
	s_waitcnt lgkmcnt(0)
	s_waitcnt_vscnt null, 0x0
	s_barrier
	buffer_gl0_inv
	s_clause 0x37
	buffer_load_dword v3, off, s[0:3], 0 offset:72
	buffer_load_dword v4, off, s[0:3], 0 offset:76
	;; [unrolled: 1-line block ×56, first 2 shown]
	v_mov_b32_e32 v2, 0
	s_mov_b32 s4, exec_lo
	ds_read_b128 v[65:68], v2 offset:528
	s_clause 0x2
	buffer_load_dword v130, off, s[0:3], 0 offset:300
	buffer_load_dword v134, off, s[0:3], 0 offset:276
	;; [unrolled: 1-line block ×3, first 2 shown]
	ds_read_b128 v[69:72], v2 offset:544
	s_clause 0x4
	buffer_load_dword v138, off, s[0:3], 0 offset:316
	buffer_load_dword v139, off, s[0:3], 0 offset:328
	;; [unrolled: 1-line block ×5, first 2 shown]
	ds_read_b128 v[73:76], v2 offset:560
	s_waitcnt vmcnt(62) lgkmcnt(2)
	v_mul_f64 v[135:136], v[67:68], v[3:4]
	v_mul_f64 v[3:4], v[65:66], v[3:4]
	s_waitcnt vmcnt(60) lgkmcnt(1)
	v_mul_f64 v[142:143], v[71:72], v[77:78]
	v_mul_f64 v[77:78], v[69:70], v[77:78]
	;; [unrolled: 3-line block ×3, first 2 shown]
	v_fma_f64 v[135:136], v[65:66], v[79:80], -v[135:136]
	v_fma_f64 v[3:4], v[67:68], v[79:80], v[3:4]
	s_clause 0x2
	buffer_load_dword v140, off, s[0:3], 0 offset:332
	buffer_load_dword v80, off, s[0:3], 0 offset:308
	buffer_load_dword v79, off, s[0:3], 0 offset:304
	s_waitcnt vmcnt(57)
	v_fma_f64 v[146:147], v[69:70], v[83:84], -v[142:143]
	ds_read_b128 v[65:68], v2 offset:576
	v_fma_f64 v[77:78], v[71:72], v[83:84], v[77:78]
	s_clause 0x4
	buffer_load_dword v84, off, s[0:3], 0 offset:348
	buffer_load_dword v143, off, s[0:3], 0 offset:360
	;; [unrolled: 1-line block ×5, first 2 shown]
	s_waitcnt vmcnt(56)
	v_fma_f64 v[81:82], v[73:74], v[91:92], -v[81:82]
	ds_read_b128 v[69:72], v2 offset:592
	v_fma_f64 v[91:92], v[75:76], v[91:92], v[144:145]
	v_add_f64 v[135:136], v[135:136], 0
	v_add_f64 v[3:4], v[3:4], 0
	s_waitcnt lgkmcnt(1)
	v_mul_f64 v[149:150], v[65:66], v[85:86]
	v_mul_f64 v[85:86], v[67:68], v[85:86]
	v_add_f64 v[135:136], v[135:136], v[146:147]
	v_add_f64 v[3:4], v[3:4], v[77:78]
	s_clause 0x2
	buffer_load_dword v144, off, s[0:3], 0 offset:364
	buffer_load_dword v78, off, s[0:3], 0 offset:340
	;; [unrolled: 1-line block ×3, first 2 shown]
	s_waitcnt vmcnt(58) lgkmcnt(0)
	v_mul_f64 v[145:146], v[69:70], v[87:88]
	v_mul_f64 v[87:88], v[71:72], v[87:88]
	s_waitcnt vmcnt(56)
	v_fma_f64 v[85:86], v[65:66], v[93:94], -v[85:86]
	ds_read_b128 v[73:76], v2 offset:608
	v_fma_f64 v[93:94], v[67:68], v[93:94], v[149:150]
	v_add_f64 v[81:82], v[135:136], v[81:82]
	v_add_f64 v[3:4], v[3:4], v[91:92]
	s_clause 0x4
	buffer_load_dword v92, off, s[0:3], 0 offset:380
	buffer_load_dword v135, off, s[0:3], 0 offset:392
	buffer_load_dword v150, off, s[0:3], 0 offset:384
	buffer_load_dword v91, off, s[0:3], 0 offset:376
	buffer_load_dword v149, off, s[0:3], 0 offset:356
	ds_read_b128 v[65:68], v2 offset:624
	s_waitcnt vmcnt(57) lgkmcnt(1)
	v_mul_f64 v[151:152], v[73:74], v[95:96]
	v_mul_f64 v[95:96], v[75:76], v[95:96]
	s_waitcnt vmcnt(56)
	v_fma_f64 v[87:88], v[69:70], v[89:90], -v[87:88]
	v_add_f64 v[81:82], v[81:82], v[85:86]
	v_fma_f64 v[85:86], v[71:72], v[89:90], v[145:146]
	v_add_f64 v[3:4], v[3:4], v[93:94]
	s_clause 0x2
	buffer_load_dword v136, off, s[0:3], 0 offset:396
	buffer_load_dword v90, off, s[0:3], 0 offset:372
	;; [unrolled: 1-line block ×3, first 2 shown]
	s_waitcnt vmcnt(58) lgkmcnt(0)
	v_mul_f64 v[93:94], v[65:66], v[97:98]
	v_mul_f64 v[97:98], v[67:68], v[97:98]
	s_waitcnt vmcnt(56)
	v_fma_f64 v[95:96], v[73:74], v[101:102], -v[95:96]
	ds_read_b128 v[69:72], v2 offset:640
	v_add_f64 v[81:82], v[81:82], v[87:88]
	v_fma_f64 v[87:88], v[75:76], v[101:102], v[151:152]
	v_add_f64 v[3:4], v[3:4], v[85:86]
	s_clause 0x4
	buffer_load_dword v86, off, s[0:3], 0 offset:412
	buffer_load_dword v101, off, s[0:3], 0 offset:424
	;; [unrolled: 1-line block ×5, first 2 shown]
	ds_read_b128 v[73:76], v2 offset:656
	s_waitcnt vmcnt(57) lgkmcnt(1)
	v_mul_f64 v[146:147], v[69:70], v[103:104]
	v_mul_f64 v[103:104], v[71:72], v[103:104]
	s_waitcnt vmcnt(56)
	v_fma_f64 v[97:98], v[65:66], v[99:100], -v[97:98]
	v_fma_f64 v[93:94], v[67:68], v[99:100], v[93:94]
	v_add_f64 v[81:82], v[81:82], v[95:96]
	v_add_f64 v[3:4], v[3:4], v[87:88]
	s_clause 0x2
	buffer_load_dword v102, off, s[0:3], 0 offset:428
	buffer_load_dword v88, off, s[0:3], 0 offset:404
	buffer_load_dword v87, off, s[0:3], 0 offset:400
	s_waitcnt vmcnt(58) lgkmcnt(0)
	v_mul_f64 v[99:100], v[75:76], v[105:106]
	ds_read_b128 v[65:68], v2 offset:672
	s_waitcnt vmcnt(56)
	v_fma_f64 v[103:104], v[69:70], v[109:110], -v[103:104]
	v_mul_f64 v[95:96], v[73:74], v[105:106]
	v_add_f64 v[81:82], v[81:82], v[97:98]
	v_fma_f64 v[97:98], v[71:72], v[109:110], v[146:147]
	v_add_f64 v[3:4], v[3:4], v[93:94]
	s_clause 0x4
	buffer_load_dword v94, off, s[0:3], 0 offset:444
	buffer_load_dword v105, off, s[0:3], 0 offset:456
	;; [unrolled: 1-line block ×5, first 2 shown]
	s_waitcnt vmcnt(57) lgkmcnt(0)
	v_mul_f64 v[152:153], v[65:66], v[111:112]
	v_mul_f64 v[110:111], v[67:68], v[111:112]
	s_waitcnt vmcnt(56)
	v_fma_f64 v[99:100], v[73:74], v[107:108], -v[99:100]
	ds_read_b128 v[69:72], v2 offset:688
	v_fma_f64 v[95:96], v[75:76], v[107:108], v[95:96]
	v_add_f64 v[81:82], v[81:82], v[103:104]
	v_add_f64 v[3:4], v[3:4], v[97:98]
	s_clause 0x2
	buffer_load_dword v106, off, s[0:3], 0 offset:460
	buffer_load_dword v98, off, s[0:3], 0 offset:436
	buffer_load_dword v97, off, s[0:3], 0 offset:432
	ds_read_b128 v[73:76], v2 offset:704
	s_waitcnt vmcnt(58) lgkmcnt(1)
	v_mul_f64 v[107:108], v[71:72], v[113:114]
	s_waitcnt vmcnt(56)
	v_fma_f64 v[111:112], v[65:66], v[117:118], -v[110:111]
	v_mul_f64 v[103:104], v[69:70], v[113:114]
	v_add_f64 v[81:82], v[81:82], v[99:100]
	v_fma_f64 v[99:100], v[67:68], v[117:118], v[152:153]
	v_add_f64 v[3:4], v[3:4], v[95:96]
	s_clause 0x4
	buffer_load_dword v96, off, s[0:3], 0 offset:476
	buffer_load_dword v113, off, s[0:3], 0 offset:488
	;; [unrolled: 1-line block ×5, first 2 shown]
	s_waitcnt vmcnt(57) lgkmcnt(0)
	v_mul_f64 v[152:153], v[73:74], v[119:120]
	v_mul_f64 v[118:119], v[75:76], v[119:120]
	s_waitcnt vmcnt(56)
	v_fma_f64 v[107:108], v[69:70], v[115:116], -v[107:108]
	ds_read_b128 v[65:68], v2 offset:720
	v_fma_f64 v[103:104], v[71:72], v[115:116], v[103:104]
	v_add_f64 v[81:82], v[81:82], v[111:112]
	v_add_f64 v[3:4], v[3:4], v[99:100]
	s_clause 0x2
	buffer_load_dword v114, off, s[0:3], 0 offset:492
	buffer_load_dword v100, off, s[0:3], 0 offset:468
	;; [unrolled: 1-line block ×3, first 2 shown]
	ds_read_b128 v[69:72], v2 offset:736
	s_waitcnt vmcnt(58) lgkmcnt(1)
	v_mul_f64 v[115:116], v[67:68], v[121:122]
	s_waitcnt vmcnt(56)
	v_fma_f64 v[119:120], v[73:74], v[125:126], -v[118:119]
	v_mul_f64 v[111:112], v[65:66], v[121:122]
	buffer_load_dword v118, off, s[0:3], 0 offset:484
	v_add_f64 v[81:82], v[81:82], v[107:108]
	v_fma_f64 v[107:108], v[75:76], v[125:126], v[152:153]
	v_add_f64 v[3:4], v[3:4], v[103:104]
	ds_read_b128 v[73:76], v2 offset:752
	s_waitcnt vmcnt(53) lgkmcnt(1)
	v_mul_f64 v[121:122], v[71:72], v[127:128]
	s_waitcnt vmcnt(52)
	v_fma_f64 v[115:116], v[65:66], v[123:124], -v[115:116]
	v_mul_f64 v[103:104], v[69:70], v[127:128]
	v_fma_f64 v[111:112], v[67:68], v[123:124], v[111:112]
	ds_read_b128 v[65:68], v2 offset:768
	v_add_f64 v[81:82], v[81:82], v[119:120]
	s_waitcnt vmcnt(51) lgkmcnt(1)
	v_mul_f64 v[119:120], v[75:76], v[129:130]
	v_add_f64 v[3:4], v[3:4], v[107:108]
	v_mul_f64 v[107:108], v[73:74], v[129:130]
	s_waitcnt vmcnt(49)
	v_fma_f64 v[121:122], v[69:70], v[133:134], -v[121:122]
	v_fma_f64 v[103:104], v[71:72], v[133:134], v[103:104]
	s_waitcnt vmcnt(45) lgkmcnt(0)
	v_mul_f64 v[125:126], v[67:68], v[137:138]
	v_mul_f64 v[123:124], v[65:66], v[137:138]
	v_add_f64 v[81:82], v[81:82], v[115:116]
	s_waitcnt vmcnt(44)
	v_fma_f64 v[119:120], v[73:74], v[131:132], -v[119:120]
	v_add_f64 v[3:4], v[3:4], v[111:112]
	s_clause 0x3
	buffer_load_dword v111, off, s[0:3], 0 offset:48
	buffer_load_dword v112, off, s[0:3], 0 offset:52
	;; [unrolled: 1-line block ×4, first 2 shown]
	ds_read_b128 v[69:72], v2 offset:784
	v_fma_f64 v[107:108], v[75:76], v[131:132], v[107:108]
	ds_read_b128 v[73:76], v2 offset:800
	v_add_f64 v[81:82], v[81:82], v[121:122]
	v_add_f64 v[3:4], v[3:4], v[103:104]
	s_waitcnt vmcnt(47) lgkmcnt(1)
	v_mul_f64 v[121:122], v[71:72], v[139:140]
	v_mul_f64 v[103:104], v[69:70], v[139:140]
	s_waitcnt vmcnt(45)
	v_fma_f64 v[125:126], v[65:66], v[79:80], -v[125:126]
	v_fma_f64 v[79:80], v[67:68], v[79:80], v[123:124]
	ds_read_b128 v[65:68], v2 offset:816
	v_add_f64 v[81:82], v[81:82], v[119:120]
	v_add_f64 v[3:4], v[3:4], v[107:108]
	s_waitcnt vmcnt(41) lgkmcnt(1)
	v_mul_f64 v[107:108], v[73:74], v[83:84]
	v_mul_f64 v[83:84], v[75:76], v[83:84]
	s_waitcnt vmcnt(40)
	v_fma_f64 v[119:120], v[69:70], v[141:142], -v[121:122]
	;; [unrolled: 9-line block ×7, first 2 shown]
	v_fma_f64 v[79:80], v[67:68], v[87:88], v[79:80]
	ds_read_b128 v[65:68], v2 offset:912
	v_add_f64 v[81:82], v[81:82], v[83:84]
	v_add_f64 v[3:4], v[3:4], v[77:78]
	s_waitcnt vmcnt(17) lgkmcnt(1)
	v_mul_f64 v[83:84], v[75:76], v[93:94]
	s_waitcnt vmcnt(16)
	v_fma_f64 v[87:88], v[69:70], v[145:146], -v[91:92]
	v_mul_f64 v[77:78], v[73:74], v[93:94]
	v_add_f64 v[81:82], v[81:82], v[85:86]
	v_fma_f64 v[85:86], v[71:72], v[145:146], v[89:90]
	v_add_f64 v[3:4], v[3:4], v[79:80]
	ds_read_b128 v[69:72], v2 offset:928
	s_waitcnt vmcnt(15) lgkmcnt(1)
	v_mul_f64 v[89:90], v[67:68], v[105:106]
	v_mul_f64 v[79:80], v[65:66], v[105:106]
	s_waitcnt vmcnt(13)
	v_fma_f64 v[83:84], v[73:74], v[97:98], -v[83:84]
	v_fma_f64 v[77:78], v[75:76], v[97:98], v[77:78]
	ds_read_b128 v[73:76], v2 offset:944
	v_add_f64 v[81:82], v[81:82], v[87:88]
	v_add_f64 v[3:4], v[3:4], v[85:86]
	s_waitcnt vmcnt(9) lgkmcnt(1)
	v_mul_f64 v[87:88], v[71:72], v[95:96]
	s_waitcnt vmcnt(8)
	v_fma_f64 v[65:66], v[65:66], v[109:110], -v[89:90]
	v_mul_f64 v[85:86], v[69:70], v[95:96]
	v_fma_f64 v[67:68], v[67:68], v[109:110], v[79:80]
	v_add_f64 v[81:82], v[81:82], v[83:84]
	v_add_f64 v[3:4], v[3:4], v[77:78]
	s_waitcnt vmcnt(7) lgkmcnt(0)
	v_mul_f64 v[79:80], v[75:76], v[113:114]
	v_mul_f64 v[77:78], v[73:74], v[113:114]
	s_waitcnt vmcnt(5)
	v_fma_f64 v[69:70], v[69:70], v[99:100], -v[87:88]
	v_fma_f64 v[71:72], v[71:72], v[99:100], v[85:86]
	v_add_f64 v[65:66], v[81:82], v[65:66]
	v_add_f64 v[3:4], v[3:4], v[67:68]
	s_waitcnt vmcnt(4)
	v_fma_f64 v[67:68], v[73:74], v[117:118], -v[79:80]
	v_add_f64 v[65:66], v[65:66], v[69:70]
	v_fma_f64 v[69:70], v[75:76], v[117:118], v[77:78]
	v_add_f64 v[3:4], v[3:4], v[71:72]
	v_add_f64 v[65:66], v[65:66], v[67:68]
	v_add_f64 v[3:4], v[3:4], v[69:70]
	s_waitcnt vmcnt(2)
	v_add_f64 v[65:66], v[111:112], -v[65:66]
	s_waitcnt vmcnt(0)
	v_add_f64 v[3:4], v[115:116], -v[3:4]
	buffer_store_dword v66, off, s[0:3], 0 offset:52
	buffer_store_dword v65, off, s[0:3], 0 offset:48
	;; [unrolled: 1-line block ×4, first 2 shown]
	v_cmpx_lt_u32_e32 1, v0
	s_cbranch_execz .LBB93_191
; %bb.190:
	v_mov_b32_e32 v3, s41
	s_clause 0x3
	buffer_load_dword v65, v3, s[0:3], 0 offen
	buffer_load_dword v66, v3, s[0:3], 0 offen offset:4
	buffer_load_dword v67, v3, s[0:3], 0 offen offset:8
	;; [unrolled: 1-line block ×3, first 2 shown]
	buffer_store_dword v2, off, s[0:3], 0 offset:32
	buffer_store_dword v2, off, s[0:3], 0 offset:36
	;; [unrolled: 1-line block ×4, first 2 shown]
	s_waitcnt vmcnt(0)
	ds_write_b128 v1, v[65:68]
.LBB93_191:
	s_or_b32 exec_lo, exec_lo, s4
	s_waitcnt lgkmcnt(0)
	s_waitcnt_vscnt null, 0x0
	s_barrier
	buffer_gl0_inv
	s_clause 0x37
	buffer_load_dword v3, off, s[0:3], 0 offset:56
	buffer_load_dword v4, off, s[0:3], 0 offset:60
	;; [unrolled: 1-line block ×56, first 2 shown]
	ds_read_b128 v[65:68], v2 offset:512
	s_clause 0x2
	buffer_load_dword v130, off, s[0:3], 0 offset:284
	buffer_load_dword v134, off, s[0:3], 0 offset:260
	buffer_load_dword v133, off, s[0:3], 0 offset:256
	ds_read_b128 v[69:72], v2 offset:528
	s_clause 0x4
	buffer_load_dword v138, off, s[0:3], 0 offset:300
	buffer_load_dword v139, off, s[0:3], 0 offset:312
	;; [unrolled: 1-line block ×5, first 2 shown]
	ds_read_b128 v[73:76], v2 offset:544
	s_mov_b32 s4, exec_lo
	s_waitcnt vmcnt(62) lgkmcnt(2)
	v_mul_f64 v[135:136], v[67:68], v[3:4]
	v_mul_f64 v[3:4], v[65:66], v[3:4]
	s_waitcnt vmcnt(60) lgkmcnt(1)
	v_mul_f64 v[142:143], v[71:72], v[77:78]
	v_mul_f64 v[77:78], v[69:70], v[77:78]
	;; [unrolled: 3-line block ×3, first 2 shown]
	v_fma_f64 v[135:136], v[65:66], v[79:80], -v[135:136]
	v_fma_f64 v[3:4], v[67:68], v[79:80], v[3:4]
	s_clause 0x2
	buffer_load_dword v140, off, s[0:3], 0 offset:316
	buffer_load_dword v80, off, s[0:3], 0 offset:292
	;; [unrolled: 1-line block ×3, first 2 shown]
	s_waitcnt vmcnt(57)
	v_fma_f64 v[146:147], v[69:70], v[83:84], -v[142:143]
	ds_read_b128 v[65:68], v2 offset:560
	v_fma_f64 v[77:78], v[71:72], v[83:84], v[77:78]
	s_clause 0x4
	buffer_load_dword v84, off, s[0:3], 0 offset:332
	buffer_load_dword v143, off, s[0:3], 0 offset:344
	;; [unrolled: 1-line block ×5, first 2 shown]
	s_waitcnt vmcnt(56)
	v_fma_f64 v[81:82], v[73:74], v[91:92], -v[81:82]
	ds_read_b128 v[69:72], v2 offset:576
	v_fma_f64 v[91:92], v[75:76], v[91:92], v[144:145]
	v_add_f64 v[135:136], v[135:136], 0
	v_add_f64 v[3:4], v[3:4], 0
	s_waitcnt lgkmcnt(1)
	v_mul_f64 v[149:150], v[65:66], v[85:86]
	v_mul_f64 v[85:86], v[67:68], v[85:86]
	v_add_f64 v[135:136], v[135:136], v[146:147]
	v_add_f64 v[3:4], v[3:4], v[77:78]
	s_clause 0x2
	buffer_load_dword v144, off, s[0:3], 0 offset:348
	buffer_load_dword v78, off, s[0:3], 0 offset:324
	;; [unrolled: 1-line block ×3, first 2 shown]
	s_waitcnt vmcnt(58) lgkmcnt(0)
	v_mul_f64 v[145:146], v[69:70], v[87:88]
	v_mul_f64 v[87:88], v[71:72], v[87:88]
	s_waitcnt vmcnt(56)
	v_fma_f64 v[85:86], v[65:66], v[93:94], -v[85:86]
	ds_read_b128 v[73:76], v2 offset:592
	v_fma_f64 v[93:94], v[67:68], v[93:94], v[149:150]
	v_add_f64 v[81:82], v[135:136], v[81:82]
	v_add_f64 v[3:4], v[3:4], v[91:92]
	s_clause 0x4
	buffer_load_dword v92, off, s[0:3], 0 offset:364
	buffer_load_dword v135, off, s[0:3], 0 offset:376
	;; [unrolled: 1-line block ×5, first 2 shown]
	ds_read_b128 v[65:68], v2 offset:608
	s_waitcnt vmcnt(57) lgkmcnt(1)
	v_mul_f64 v[151:152], v[73:74], v[95:96]
	v_mul_f64 v[95:96], v[75:76], v[95:96]
	s_waitcnt vmcnt(56)
	v_fma_f64 v[87:88], v[69:70], v[89:90], -v[87:88]
	v_add_f64 v[81:82], v[81:82], v[85:86]
	v_fma_f64 v[85:86], v[71:72], v[89:90], v[145:146]
	v_add_f64 v[3:4], v[3:4], v[93:94]
	s_clause 0x2
	buffer_load_dword v136, off, s[0:3], 0 offset:380
	buffer_load_dword v90, off, s[0:3], 0 offset:356
	;; [unrolled: 1-line block ×3, first 2 shown]
	s_waitcnt vmcnt(58) lgkmcnt(0)
	v_mul_f64 v[93:94], v[65:66], v[97:98]
	v_mul_f64 v[97:98], v[67:68], v[97:98]
	s_waitcnt vmcnt(56)
	v_fma_f64 v[95:96], v[73:74], v[101:102], -v[95:96]
	ds_read_b128 v[69:72], v2 offset:624
	v_add_f64 v[81:82], v[81:82], v[87:88]
	v_fma_f64 v[87:88], v[75:76], v[101:102], v[151:152]
	v_add_f64 v[3:4], v[3:4], v[85:86]
	s_clause 0x4
	buffer_load_dword v86, off, s[0:3], 0 offset:396
	buffer_load_dword v101, off, s[0:3], 0 offset:408
	;; [unrolled: 1-line block ×5, first 2 shown]
	ds_read_b128 v[73:76], v2 offset:640
	s_waitcnt vmcnt(57) lgkmcnt(1)
	v_mul_f64 v[146:147], v[69:70], v[103:104]
	v_mul_f64 v[103:104], v[71:72], v[103:104]
	s_waitcnt vmcnt(56)
	v_fma_f64 v[97:98], v[65:66], v[99:100], -v[97:98]
	v_fma_f64 v[93:94], v[67:68], v[99:100], v[93:94]
	v_add_f64 v[81:82], v[81:82], v[95:96]
	v_add_f64 v[3:4], v[3:4], v[87:88]
	s_clause 0x2
	buffer_load_dword v102, off, s[0:3], 0 offset:412
	buffer_load_dword v88, off, s[0:3], 0 offset:388
	;; [unrolled: 1-line block ×3, first 2 shown]
	s_waitcnt vmcnt(58) lgkmcnt(0)
	v_mul_f64 v[99:100], v[75:76], v[105:106]
	ds_read_b128 v[65:68], v2 offset:656
	s_waitcnt vmcnt(56)
	v_fma_f64 v[103:104], v[69:70], v[109:110], -v[103:104]
	v_mul_f64 v[95:96], v[73:74], v[105:106]
	v_add_f64 v[81:82], v[81:82], v[97:98]
	v_fma_f64 v[97:98], v[71:72], v[109:110], v[146:147]
	v_add_f64 v[3:4], v[3:4], v[93:94]
	s_clause 0x4
	buffer_load_dword v94, off, s[0:3], 0 offset:428
	buffer_load_dword v105, off, s[0:3], 0 offset:440
	;; [unrolled: 1-line block ×5, first 2 shown]
	s_waitcnt vmcnt(57) lgkmcnt(0)
	v_mul_f64 v[152:153], v[65:66], v[111:112]
	v_mul_f64 v[110:111], v[67:68], v[111:112]
	s_waitcnt vmcnt(56)
	v_fma_f64 v[99:100], v[73:74], v[107:108], -v[99:100]
	ds_read_b128 v[69:72], v2 offset:672
	v_fma_f64 v[95:96], v[75:76], v[107:108], v[95:96]
	v_add_f64 v[81:82], v[81:82], v[103:104]
	v_add_f64 v[3:4], v[3:4], v[97:98]
	s_clause 0x2
	buffer_load_dword v106, off, s[0:3], 0 offset:444
	buffer_load_dword v98, off, s[0:3], 0 offset:420
	;; [unrolled: 1-line block ×3, first 2 shown]
	ds_read_b128 v[73:76], v2 offset:688
	s_waitcnt vmcnt(58) lgkmcnt(1)
	v_mul_f64 v[107:108], v[71:72], v[113:114]
	s_waitcnt vmcnt(56)
	v_fma_f64 v[111:112], v[65:66], v[117:118], -v[110:111]
	v_mul_f64 v[103:104], v[69:70], v[113:114]
	v_add_f64 v[81:82], v[81:82], v[99:100]
	v_fma_f64 v[99:100], v[67:68], v[117:118], v[152:153]
	v_add_f64 v[3:4], v[3:4], v[95:96]
	s_clause 0x4
	buffer_load_dword v96, off, s[0:3], 0 offset:460
	buffer_load_dword v113, off, s[0:3], 0 offset:472
	;; [unrolled: 1-line block ×5, first 2 shown]
	s_waitcnt vmcnt(57) lgkmcnt(0)
	v_mul_f64 v[152:153], v[73:74], v[119:120]
	v_mul_f64 v[118:119], v[75:76], v[119:120]
	s_waitcnt vmcnt(56)
	v_fma_f64 v[107:108], v[69:70], v[115:116], -v[107:108]
	ds_read_b128 v[65:68], v2 offset:704
	v_fma_f64 v[103:104], v[71:72], v[115:116], v[103:104]
	v_add_f64 v[81:82], v[81:82], v[111:112]
	v_add_f64 v[3:4], v[3:4], v[99:100]
	s_clause 0x2
	buffer_load_dword v114, off, s[0:3], 0 offset:476
	buffer_load_dword v100, off, s[0:3], 0 offset:452
	;; [unrolled: 1-line block ×3, first 2 shown]
	ds_read_b128 v[69:72], v2 offset:720
	s_waitcnt vmcnt(58) lgkmcnt(1)
	v_mul_f64 v[115:116], v[67:68], v[121:122]
	s_waitcnt vmcnt(56)
	v_fma_f64 v[119:120], v[73:74], v[125:126], -v[118:119]
	v_mul_f64 v[111:112], v[65:66], v[121:122]
	v_add_f64 v[81:82], v[81:82], v[107:108]
	v_fma_f64 v[107:108], v[75:76], v[125:126], v[152:153]
	v_add_f64 v[3:4], v[3:4], v[103:104]
	s_clause 0x2
	buffer_load_dword v104, off, s[0:3], 0 offset:492
	buffer_load_dword v103, off, s[0:3], 0 offset:488
	;; [unrolled: 1-line block ×3, first 2 shown]
	s_waitcnt vmcnt(55) lgkmcnt(0)
	v_mul_f64 v[125:126], v[71:72], v[127:128]
	s_waitcnt vmcnt(54)
	v_fma_f64 v[115:116], v[65:66], v[123:124], -v[115:116]
	ds_read_b128 v[73:76], v2 offset:736
	v_mul_f64 v[121:122], v[69:70], v[127:128]
	v_fma_f64 v[111:112], v[67:68], v[123:124], v[111:112]
	v_add_f64 v[81:82], v[81:82], v[119:120]
	v_add_f64 v[3:4], v[3:4], v[107:108]
	s_clause 0x1
	buffer_load_dword v108, off, s[0:3], 0 offset:484
	buffer_load_dword v107, off, s[0:3], 0 offset:480
	s_waitcnt vmcnt(55) lgkmcnt(0)
	v_mul_f64 v[123:124], v[75:76], v[129:130]
	s_waitcnt vmcnt(53)
	v_fma_f64 v[125:126], v[69:70], v[133:134], -v[125:126]
	ds_read_b128 v[65:68], v2 offset:752
	v_mul_f64 v[119:120], v[73:74], v[129:130]
	v_add_f64 v[81:82], v[81:82], v[115:116]
	v_fma_f64 v[115:116], v[71:72], v[133:134], v[121:122]
	v_add_f64 v[3:4], v[3:4], v[111:112]
	ds_read_b128 v[69:72], v2 offset:768
	s_waitcnt vmcnt(49) lgkmcnt(1)
	v_mul_f64 v[121:122], v[67:68], v[137:138]
	s_waitcnt vmcnt(48)
	v_fma_f64 v[123:124], v[73:74], v[131:132], -v[123:124]
	v_mul_f64 v[111:112], v[65:66], v[137:138]
	v_fma_f64 v[119:120], v[75:76], v[131:132], v[119:120]
	v_add_f64 v[81:82], v[81:82], v[125:126]
	v_add_f64 v[3:4], v[3:4], v[115:116]
	s_clause 0x3
	buffer_load_dword v115, off, s[0:3], 0 offset:32
	buffer_load_dword v116, off, s[0:3], 0 offset:36
	;; [unrolled: 1-line block ×4, first 2 shown]
	ds_read_b128 v[73:76], v2 offset:784
	s_waitcnt vmcnt(51) lgkmcnt(1)
	v_mul_f64 v[129:130], v[71:72], v[139:140]
	v_mul_f64 v[127:128], v[69:70], v[139:140]
	s_waitcnt vmcnt(49)
	v_fma_f64 v[121:122], v[65:66], v[79:80], -v[121:122]
	v_fma_f64 v[79:80], v[67:68], v[79:80], v[111:112]
	ds_read_b128 v[65:68], v2 offset:800
	v_add_f64 v[81:82], v[81:82], v[123:124]
	v_add_f64 v[3:4], v[3:4], v[119:120]
	s_waitcnt vmcnt(45) lgkmcnt(1)
	v_mul_f64 v[111:112], v[73:74], v[83:84]
	v_mul_f64 v[83:84], v[75:76], v[83:84]
	s_waitcnt vmcnt(44)
	v_fma_f64 v[119:120], v[69:70], v[141:142], -v[129:130]
	v_add_f64 v[81:82], v[81:82], v[121:122]
	v_fma_f64 v[121:122], v[71:72], v[141:142], v[127:128]
	v_add_f64 v[3:4], v[3:4], v[79:80]
	ds_read_b128 v[69:72], v2 offset:816
	s_waitcnt vmcnt(43) lgkmcnt(1)
	v_mul_f64 v[123:124], v[67:68], v[143:144]
	v_mul_f64 v[79:80], v[65:66], v[143:144]
	s_waitcnt vmcnt(41)
	v_fma_f64 v[83:84], v[73:74], v[77:78], -v[83:84]
	v_fma_f64 v[77:78], v[75:76], v[77:78], v[111:112]
	ds_read_b128 v[73:76], v2 offset:832
	v_add_f64 v[81:82], v[81:82], v[119:120]
	v_add_f64 v[3:4], v[3:4], v[121:122]
	s_waitcnt vmcnt(37) lgkmcnt(1)
	v_mul_f64 v[111:112], v[69:70], v[91:92]
	v_mul_f64 v[91:92], v[71:72], v[91:92]
	s_waitcnt vmcnt(36)
	v_fma_f64 v[119:120], v[65:66], v[148:149], -v[123:124]
	v_fma_f64 v[79:80], v[67:68], v[148:149], v[79:80]
	ds_read_b128 v[65:68], v2 offset:848
	v_add_f64 v[81:82], v[81:82], v[83:84]
	v_add_f64 v[3:4], v[3:4], v[77:78]
	;; [unrolled: 9-line block ×5, first 2 shown]
	s_waitcnt vmcnt(21) lgkmcnt(1)
	v_mul_f64 v[83:84], v[75:76], v[93:94]
	s_waitcnt vmcnt(20)
	v_fma_f64 v[87:88], v[69:70], v[145:146], -v[91:92]
	v_mul_f64 v[77:78], v[73:74], v[93:94]
	v_add_f64 v[81:82], v[81:82], v[85:86]
	v_fma_f64 v[85:86], v[71:72], v[145:146], v[89:90]
	v_add_f64 v[3:4], v[3:4], v[79:80]
	ds_read_b128 v[69:72], v2 offset:912
	s_waitcnt vmcnt(19) lgkmcnt(1)
	v_mul_f64 v[89:90], v[67:68], v[105:106]
	v_mul_f64 v[79:80], v[65:66], v[105:106]
	s_waitcnt vmcnt(17)
	v_fma_f64 v[83:84], v[73:74], v[97:98], -v[83:84]
	v_fma_f64 v[77:78], v[75:76], v[97:98], v[77:78]
	ds_read_b128 v[73:76], v2 offset:928
	v_add_f64 v[81:82], v[81:82], v[87:88]
	v_add_f64 v[3:4], v[3:4], v[85:86]
	s_waitcnt vmcnt(13) lgkmcnt(1)
	v_mul_f64 v[87:88], v[71:72], v[95:96]
	s_waitcnt vmcnt(12)
	v_fma_f64 v[89:90], v[65:66], v[109:110], -v[89:90]
	v_mul_f64 v[85:86], v[69:70], v[95:96]
	v_fma_f64 v[79:80], v[67:68], v[109:110], v[79:80]
	ds_read_b128 v[65:68], v2 offset:944
	v_add_f64 v[81:82], v[81:82], v[83:84]
	v_add_f64 v[3:4], v[3:4], v[77:78]
	s_waitcnt vmcnt(11) lgkmcnt(1)
	v_mul_f64 v[83:84], v[75:76], v[113:114]
	v_mul_f64 v[77:78], v[73:74], v[113:114]
	s_waitcnt vmcnt(9)
	v_fma_f64 v[69:70], v[69:70], v[99:100], -v[87:88]
	v_fma_f64 v[71:72], v[71:72], v[99:100], v[85:86]
	v_add_f64 v[81:82], v[81:82], v[89:90]
	v_add_f64 v[2:3], v[3:4], v[79:80]
	s_waitcnt vmcnt(7) lgkmcnt(0)
	v_mul_f64 v[85:86], v[67:68], v[103:104]
	s_waitcnt vmcnt(6)
	v_fma_f64 v[73:74], v[73:74], v[117:118], -v[83:84]
	v_mul_f64 v[79:80], v[65:66], v[103:104]
	v_fma_f64 v[75:76], v[75:76], v[117:118], v[77:78]
	v_add_f64 v[69:70], v[81:82], v[69:70]
	v_add_f64 v[2:3], v[2:3], v[71:72]
	s_waitcnt vmcnt(4)
	v_fma_f64 v[65:66], v[65:66], v[107:108], -v[85:86]
	v_fma_f64 v[67:68], v[67:68], v[107:108], v[79:80]
	v_add_f64 v[69:70], v[69:70], v[73:74]
	v_add_f64 v[2:3], v[2:3], v[75:76]
	;; [unrolled: 1-line block ×4, first 2 shown]
	s_waitcnt vmcnt(2)
	v_add_f64 v[65:66], v[115:116], -v[65:66]
	s_waitcnt vmcnt(0)
	v_add_f64 v[2:3], v[125:126], -v[2:3]
	buffer_store_dword v66, off, s[0:3], 0 offset:36
	buffer_store_dword v65, off, s[0:3], 0 offset:32
	;; [unrolled: 1-line block ×4, first 2 shown]
	v_cmpx_ne_u32_e32 0, v0
	s_cbranch_execz .LBB93_193
; %bb.192:
	s_clause 0x3
	buffer_load_dword v65, off, s[0:3], 0 offset:16
	buffer_load_dword v66, off, s[0:3], 0 offset:20
	;; [unrolled: 1-line block ×4, first 2 shown]
	v_mov_b32_e32 v0, 0
	buffer_store_dword v0, off, s[0:3], 0 offset:16
	buffer_store_dword v0, off, s[0:3], 0 offset:20
	;; [unrolled: 1-line block ×4, first 2 shown]
	s_waitcnt vmcnt(0)
	ds_write_b128 v1, v[65:68]
.LBB93_193:
	s_or_b32 exec_lo, exec_lo, s4
	s_waitcnt lgkmcnt(0)
	s_waitcnt_vscnt null, 0x0
	s_barrier
	buffer_gl0_inv
	s_clause 0x37
	buffer_load_dword v73, off, s[0:3], 0 offset:40
	buffer_load_dword v74, off, s[0:3], 0 offset:44
	buffer_load_dword v77, off, s[0:3], 0 offset:56
	buffer_load_dword v78, off, s[0:3], 0 offset:60
	buffer_load_dword v79, off, s[0:3], 0 offset:32
	buffer_load_dword v80, off, s[0:3], 0 offset:36
	buffer_load_dword v2, off, s[0:3], 0 offset:72
	buffer_load_dword v3, off, s[0:3], 0 offset:76
	buffer_load_dword v0, off, s[0:3], 0 offset:48
	buffer_load_dword v1, off, s[0:3], 0 offset:52
	buffer_load_dword v82, off, s[0:3], 0 offset:92
	buffer_load_dword v83, off, s[0:3], 0 offset:104
	buffer_load_dword v85, off, s[0:3], 0 offset:96
	buffer_load_dword v81, off, s[0:3], 0 offset:88
	buffer_load_dword v87, off, s[0:3], 0 offset:64
	buffer_load_dword v88, off, s[0:3], 0 offset:68
	buffer_load_dword v84, off, s[0:3], 0 offset:108
	buffer_load_dword v90, off, s[0:3], 0 offset:84
	buffer_load_dword v89, off, s[0:3], 0 offset:80
	buffer_load_dword v92, off, s[0:3], 0 offset:124
	buffer_load_dword v93, off, s[0:3], 0 offset:136
	buffer_load_dword v95, off, s[0:3], 0 offset:128
	buffer_load_dword v91, off, s[0:3], 0 offset:120
	buffer_load_dword v86, off, s[0:3], 0 offset:100
	buffer_load_dword v94, off, s[0:3], 0 offset:140
	buffer_load_dword v98, off, s[0:3], 0 offset:116
	buffer_load_dword v97, off, s[0:3], 0 offset:112
	buffer_load_dword v100, off, s[0:3], 0 offset:156
	buffer_load_dword v101, off, s[0:3], 0 offset:168
	buffer_load_dword v103, off, s[0:3], 0 offset:160
	buffer_load_dword v99, off, s[0:3], 0 offset:152
	buffer_load_dword v96, off, s[0:3], 0 offset:132
	buffer_load_dword v102, off, s[0:3], 0 offset:172
	buffer_load_dword v106, off, s[0:3], 0 offset:148
	buffer_load_dword v105, off, s[0:3], 0 offset:144
	buffer_load_dword v108, off, s[0:3], 0 offset:188
	buffer_load_dword v109, off, s[0:3], 0 offset:200
	buffer_load_dword v111, off, s[0:3], 0 offset:192
	buffer_load_dword v107, off, s[0:3], 0 offset:184
	buffer_load_dword v104, off, s[0:3], 0 offset:164
	buffer_load_dword v110, off, s[0:3], 0 offset:204
	buffer_load_dword v114, off, s[0:3], 0 offset:180
	buffer_load_dword v113, off, s[0:3], 0 offset:176
	buffer_load_dword v116, off, s[0:3], 0 offset:220
	buffer_load_dword v117, off, s[0:3], 0 offset:232
	buffer_load_dword v119, off, s[0:3], 0 offset:224
	buffer_load_dword v115, off, s[0:3], 0 offset:216
	buffer_load_dword v112, off, s[0:3], 0 offset:196
	buffer_load_dword v118, off, s[0:3], 0 offset:236
	buffer_load_dword v122, off, s[0:3], 0 offset:212
	buffer_load_dword v121, off, s[0:3], 0 offset:208
	buffer_load_dword v124, off, s[0:3], 0 offset:252
	buffer_load_dword v125, off, s[0:3], 0 offset:264
	buffer_load_dword v127, off, s[0:3], 0 offset:256
	buffer_load_dword v123, off, s[0:3], 0 offset:248
	buffer_load_dword v120, off, s[0:3], 0 offset:228
	v_mov_b32_e32 v4, 0
	s_and_b32 vcc_lo, exec_lo, s42
	ds_read_b128 v[65:68], v4 offset:496
	s_clause 0x2
	buffer_load_dword v126, off, s[0:3], 0 offset:268
	buffer_load_dword v130, off, s[0:3], 0 offset:244
	;; [unrolled: 1-line block ×3, first 2 shown]
	ds_read_b128 v[69:72], v4 offset:512
	s_clause 0x4
	buffer_load_dword v136, off, s[0:3], 0 offset:284
	buffer_load_dword v137, off, s[0:3], 0 offset:296
	;; [unrolled: 1-line block ×5, first 2 shown]
	s_waitcnt vmcnt(62) lgkmcnt(1)
	v_mul_f64 v[131:132], v[67:68], v[73:74]
	v_mul_f64 v[133:134], v[65:66], v[73:74]
	s_waitcnt vmcnt(60) lgkmcnt(0)
	v_mul_f64 v[140:141], v[71:72], v[77:78]
	ds_read_b128 v[73:76], v4 offset:528
	v_mul_f64 v[77:78], v[69:70], v[77:78]
	s_waitcnt vmcnt(58)
	v_fma_f64 v[131:132], v[65:66], v[79:80], -v[131:132]
	v_fma_f64 v[79:80], v[67:68], v[79:80], v[133:134]
	s_clause 0x2
	buffer_load_dword v138, off, s[0:3], 0 offset:300
	buffer_load_dword v134, off, s[0:3], 0 offset:276
	;; [unrolled: 1-line block ×3, first 2 shown]
	s_waitcnt vmcnt(59) lgkmcnt(0)
	v_mul_f64 v[144:145], v[75:76], v[2:3]
	s_waitcnt vmcnt(57)
	v_fma_f64 v[69:70], v[69:70], v[0:1], -v[140:141]
	ds_read_b128 v[65:68], v4 offset:544
	v_mul_f64 v[142:143], v[73:74], v[2:3]
	v_fma_f64 v[71:72], v[71:72], v[0:1], v[77:78]
	v_add_f64 v[131:132], v[131:132], 0
	v_add_f64 v[77:78], v[79:80], 0
	s_clause 0x4
	buffer_load_dword v80, off, s[0:3], 0 offset:316
	buffer_load_dword v141, off, s[0:3], 0 offset:328
	;; [unrolled: 1-line block ×5, first 2 shown]
	s_waitcnt vmcnt(58) lgkmcnt(0)
	v_mul_f64 v[147:148], v[65:66], v[81:82]
	v_mul_f64 v[81:82], v[67:68], v[81:82]
	s_waitcnt vmcnt(56)
	v_fma_f64 v[73:74], v[73:74], v[87:88], -v[144:145]
	ds_read_b128 v[0:3], v4 offset:560
	v_fma_f64 v[75:76], v[75:76], v[87:88], v[142:143]
	s_clause 0x2
	buffer_load_dword v142, off, s[0:3], 0 offset:332
	buffer_load_dword v88, off, s[0:3], 0 offset:308
	buffer_load_dword v87, off, s[0:3], 0 offset:304
	v_add_f64 v[131:132], v[131:132], v[69:70]
	v_add_f64 v[77:78], v[77:78], v[71:72]
	ds_read_b128 v[69:72], v4 offset:576
	s_waitcnt vmcnt(58) lgkmcnt(1)
	v_mul_f64 v[143:144], v[0:1], v[83:84]
	v_mul_f64 v[83:84], v[2:3], v[83:84]
	s_waitcnt vmcnt(56)
	v_fma_f64 v[81:82], v[65:66], v[89:90], -v[81:82]
	v_fma_f64 v[89:90], v[67:68], v[89:90], v[147:148]
	s_waitcnt vmcnt(52) lgkmcnt(0)
	v_mul_f64 v[149:150], v[69:70], v[91:92]
	v_add_f64 v[73:74], v[131:132], v[73:74]
	v_add_f64 v[75:76], v[77:78], v[75:76]
	s_clause 0x4
	buffer_load_dword v78, off, s[0:3], 0 offset:348
	buffer_load_dword v131, off, s[0:3], 0 offset:360
	;; [unrolled: 1-line block ×5, first 2 shown]
	v_mul_f64 v[91:92], v[71:72], v[91:92]
	s_waitcnt vmcnt(56)
	v_fma_f64 v[83:84], v[0:1], v[85:86], -v[83:84]
	ds_read_b128 v[65:68], v4 offset:592
	v_add_f64 v[73:74], v[73:74], v[81:82]
	v_fma_f64 v[81:82], v[2:3], v[85:86], v[143:144]
	v_add_f64 v[75:76], v[75:76], v[89:90]
	s_clause 0x2
	buffer_load_dword v132, off, s[0:3], 0 offset:364
	buffer_load_dword v86, off, s[0:3], 0 offset:340
	;; [unrolled: 1-line block ×3, first 2 shown]
	s_waitcnt vmcnt(58) lgkmcnt(0)
	v_mul_f64 v[89:90], v[65:66], v[93:94]
	v_mul_f64 v[93:94], v[67:68], v[93:94]
	s_waitcnt vmcnt(56)
	v_fma_f64 v[91:92], v[69:70], v[97:98], -v[91:92]
	ds_read_b128 v[0:3], v4 offset:608
	v_add_f64 v[73:74], v[73:74], v[83:84]
	v_fma_f64 v[83:84], v[71:72], v[97:98], v[149:150]
	v_add_f64 v[75:76], v[75:76], v[81:82]
	s_clause 0x4
	buffer_load_dword v82, off, s[0:3], 0 offset:380
	buffer_load_dword v97, off, s[0:3], 0 offset:392
	;; [unrolled: 1-line block ×5, first 2 shown]
	ds_read_b128 v[69:72], v4 offset:624
	s_waitcnt vmcnt(57) lgkmcnt(1)
	v_mul_f64 v[144:145], v[0:1], v[99:100]
	v_mul_f64 v[99:100], v[2:3], v[99:100]
	s_waitcnt vmcnt(56)
	v_fma_f64 v[93:94], v[65:66], v[95:96], -v[93:94]
	v_fma_f64 v[89:90], v[67:68], v[95:96], v[89:90]
	v_add_f64 v[73:74], v[73:74], v[91:92]
	v_add_f64 v[75:76], v[75:76], v[83:84]
	s_clause 0x2
	buffer_load_dword v98, off, s[0:3], 0 offset:396
	buffer_load_dword v84, off, s[0:3], 0 offset:372
	;; [unrolled: 1-line block ×3, first 2 shown]
	s_waitcnt vmcnt(58) lgkmcnt(0)
	v_mul_f64 v[95:96], v[71:72], v[101:102]
	ds_read_b128 v[65:68], v4 offset:640
	s_waitcnt vmcnt(56)
	v_fma_f64 v[99:100], v[0:1], v[105:106], -v[99:100]
	v_mul_f64 v[91:92], v[69:70], v[101:102]
	v_add_f64 v[73:74], v[73:74], v[93:94]
	v_fma_f64 v[93:94], v[2:3], v[105:106], v[144:145]
	v_add_f64 v[75:76], v[75:76], v[89:90]
	s_clause 0x4
	buffer_load_dword v90, off, s[0:3], 0 offset:412
	buffer_load_dword v101, off, s[0:3], 0 offset:424
	buffer_load_dword v105, off, s[0:3], 0 offset:416
	buffer_load_dword v89, off, s[0:3], 0 offset:408
	buffer_load_dword v144, off, s[0:3], 0 offset:388
	s_waitcnt vmcnt(57) lgkmcnt(0)
	v_mul_f64 v[150:151], v[65:66], v[107:108]
	v_mul_f64 v[106:107], v[67:68], v[107:108]
	s_waitcnt vmcnt(56)
	v_fma_f64 v[95:96], v[69:70], v[103:104], -v[95:96]
	ds_read_b128 v[0:3], v4 offset:656
	v_fma_f64 v[91:92], v[71:72], v[103:104], v[91:92]
	v_add_f64 v[73:74], v[73:74], v[99:100]
	v_add_f64 v[75:76], v[75:76], v[93:94]
	s_clause 0x2
	buffer_load_dword v102, off, s[0:3], 0 offset:428
	buffer_load_dword v94, off, s[0:3], 0 offset:404
	buffer_load_dword v93, off, s[0:3], 0 offset:400
	ds_read_b128 v[69:72], v4 offset:672
	s_waitcnt vmcnt(58) lgkmcnt(1)
	v_mul_f64 v[103:104], v[2:3], v[109:110]
	s_waitcnt vmcnt(56)
	v_fma_f64 v[107:108], v[65:66], v[113:114], -v[106:107]
	v_mul_f64 v[99:100], v[0:1], v[109:110]
	v_add_f64 v[73:74], v[73:74], v[95:96]
	v_fma_f64 v[95:96], v[67:68], v[113:114], v[150:151]
	v_add_f64 v[75:76], v[75:76], v[91:92]
	s_clause 0x4
	buffer_load_dword v92, off, s[0:3], 0 offset:444
	buffer_load_dword v109, off, s[0:3], 0 offset:456
	buffer_load_dword v113, off, s[0:3], 0 offset:448
	buffer_load_dword v91, off, s[0:3], 0 offset:440
	buffer_load_dword v106, off, s[0:3], 0 offset:420
	s_waitcnt vmcnt(57) lgkmcnt(0)
	v_mul_f64 v[150:151], v[69:70], v[115:116]
	v_mul_f64 v[114:115], v[71:72], v[115:116]
	s_waitcnt vmcnt(56)
	v_fma_f64 v[103:104], v[0:1], v[111:112], -v[103:104]
	ds_read_b128 v[65:68], v4 offset:688
	v_fma_f64 v[99:100], v[2:3], v[111:112], v[99:100]
	v_add_f64 v[73:74], v[73:74], v[107:108]
	v_add_f64 v[75:76], v[75:76], v[95:96]
	s_clause 0x2
	buffer_load_dword v110, off, s[0:3], 0 offset:460
	buffer_load_dword v96, off, s[0:3], 0 offset:436
	buffer_load_dword v95, off, s[0:3], 0 offset:432
	ds_read_b128 v[0:3], v4 offset:704
	s_waitcnt vmcnt(58) lgkmcnt(1)
	v_mul_f64 v[111:112], v[67:68], v[117:118]
	;; [unrolled: 28-line block ×3, first 2 shown]
	s_waitcnt vmcnt(56)
	v_fma_f64 v[123:124], v[0:1], v[129:130], -v[122:123]
	v_mul_f64 v[115:116], v[69:70], v[125:126]
	buffer_load_dword v122, off, s[0:3], 0 offset:484
	v_add_f64 v[73:74], v[73:74], v[111:112]
	v_fma_f64 v[111:112], v[2:3], v[129:130], v[150:151]
	v_add_f64 v[75:76], v[75:76], v[107:108]
	ds_read_b128 v[0:3], v4 offset:752
	s_waitcnt vmcnt(53) lgkmcnt(1)
	v_mul_f64 v[125:126], v[67:68], v[135:136]
	s_waitcnt vmcnt(52)
	v_fma_f64 v[119:120], v[69:70], v[127:128], -v[119:120]
	v_mul_f64 v[107:108], v[65:66], v[135:136]
	v_fma_f64 v[115:116], v[71:72], v[127:128], v[115:116]
	ds_read_b128 v[69:72], v4 offset:768
	v_add_f64 v[73:74], v[73:74], v[123:124]
	v_add_f64 v[75:76], v[75:76], v[111:112]
	s_waitcnt vmcnt(51) lgkmcnt(1)
	v_mul_f64 v[123:124], v[2:3], v[137:138]
	v_mul_f64 v[111:112], v[0:1], v[137:138]
	s_waitcnt vmcnt(49)
	v_fma_f64 v[125:126], v[65:66], v[133:134], -v[125:126]
	v_fma_f64 v[107:108], v[67:68], v[133:134], v[107:108]
	v_add_f64 v[73:74], v[73:74], v[119:120]
	v_add_f64 v[75:76], v[75:76], v[115:116]
	s_clause 0x3
	buffer_load_dword v115, off, s[0:3], 0 offset:16
	buffer_load_dword v116, off, s[0:3], 0 offset:20
	;; [unrolled: 1-line block ×4, first 2 shown]
	ds_read_b128 v[65:68], v4 offset:784
	s_waitcnt vmcnt(49) lgkmcnt(1)
	v_mul_f64 v[127:128], v[69:70], v[79:80]
	v_mul_f64 v[79:80], v[71:72], v[79:80]
	s_waitcnt vmcnt(48)
	v_fma_f64 v[123:124], v[0:1], v[139:140], -v[123:124]
	v_fma_f64 v[111:112], v[2:3], v[139:140], v[111:112]
	ds_read_b128 v[0:3], v4 offset:800
	v_add_f64 v[73:74], v[73:74], v[125:126]
	v_add_f64 v[75:76], v[75:76], v[107:108]
	s_waitcnt vmcnt(47) lgkmcnt(1)
	v_mul_f64 v[125:126], v[67:68], v[141:142]
	v_mul_f64 v[107:108], v[65:66], v[141:142]
	s_waitcnt vmcnt(45)
	v_fma_f64 v[79:80], v[69:70], v[87:88], -v[79:80]
	v_fma_f64 v[87:88], v[71:72], v[87:88], v[127:128]
	ds_read_b128 v[69:72], v4 offset:816
	v_add_f64 v[73:74], v[73:74], v[123:124]
	v_add_f64 v[75:76], v[75:76], v[111:112]
	s_waitcnt vmcnt(41) lgkmcnt(1)
	v_mul_f64 v[111:112], v[0:1], v[77:78]
	v_mul_f64 v[77:78], v[2:3], v[77:78]
	s_waitcnt vmcnt(40)
	v_fma_f64 v[123:124], v[65:66], v[146:147], -v[125:126]
	v_add_f64 v[73:74], v[73:74], v[79:80]
	v_fma_f64 v[79:80], v[67:68], v[146:147], v[107:108]
	v_add_f64 v[75:76], v[75:76], v[87:88]
	ds_read_b128 v[65:68], v4 offset:832
	s_waitcnt vmcnt(39) lgkmcnt(1)
	v_mul_f64 v[107:108], v[71:72], v[131:132]
	v_mul_f64 v[87:88], v[69:70], v[131:132]
	s_waitcnt vmcnt(37)
	v_fma_f64 v[77:78], v[0:1], v[85:86], -v[77:78]
	v_fma_f64 v[85:86], v[2:3], v[85:86], v[111:112]
	ds_read_b128 v[0:3], v4 offset:848
	v_add_f64 v[73:74], v[73:74], v[123:124]
	v_add_f64 v[75:76], v[75:76], v[79:80]
	s_waitcnt vmcnt(33) lgkmcnt(1)
	v_mul_f64 v[79:80], v[65:66], v[81:82]
	v_mul_f64 v[81:82], v[67:68], v[81:82]
	s_waitcnt vmcnt(32)
	v_fma_f64 v[107:108], v[69:70], v[148:149], -v[107:108]
	v_add_f64 v[73:74], v[73:74], v[77:78]
	v_fma_f64 v[77:78], v[71:72], v[148:149], v[87:88]
	v_add_f64 v[75:76], v[75:76], v[85:86]
	ds_read_b128 v[69:72], v4 offset:864
	s_waitcnt vmcnt(31) lgkmcnt(1)
	v_mul_f64 v[87:88], v[2:3], v[97:98]
	v_mul_f64 v[85:86], v[0:1], v[97:98]
	s_waitcnt vmcnt(29)
	v_fma_f64 v[81:82], v[65:66], v[83:84], -v[81:82]
	v_fma_f64 v[79:80], v[67:68], v[83:84], v[79:80]
	ds_read_b128 v[65:68], v4 offset:880
	v_add_f64 v[73:74], v[73:74], v[107:108]
	v_add_f64 v[75:76], v[75:76], v[77:78]
	s_waitcnt vmcnt(25) lgkmcnt(1)
	v_mul_f64 v[83:84], v[71:72], v[89:90]
	s_waitcnt vmcnt(24)
	v_fma_f64 v[87:88], v[0:1], v[143:144], -v[87:88]
	v_mul_f64 v[77:78], v[69:70], v[89:90]
	v_add_f64 v[73:74], v[73:74], v[81:82]
	v_fma_f64 v[81:82], v[2:3], v[143:144], v[85:86]
	v_add_f64 v[75:76], v[75:76], v[79:80]
	ds_read_b128 v[0:3], v4 offset:896
	s_waitcnt vmcnt(23) lgkmcnt(1)
	v_mul_f64 v[85:86], v[67:68], v[101:102]
	v_mul_f64 v[79:80], v[65:66], v[101:102]
	s_waitcnt vmcnt(21)
	v_fma_f64 v[83:84], v[69:70], v[93:94], -v[83:84]
	v_fma_f64 v[77:78], v[71:72], v[93:94], v[77:78]
	ds_read_b128 v[69:72], v4 offset:912
	v_add_f64 v[73:74], v[73:74], v[87:88]
	v_add_f64 v[75:76], v[75:76], v[81:82]
	s_waitcnt vmcnt(17) lgkmcnt(1)
	v_mul_f64 v[87:88], v[2:3], v[91:92]
	s_waitcnt vmcnt(16)
	v_fma_f64 v[85:86], v[65:66], v[105:106], -v[85:86]
	v_mul_f64 v[81:82], v[0:1], v[91:92]
	v_fma_f64 v[79:80], v[67:68], v[105:106], v[79:80]
	ds_read_b128 v[65:68], v4 offset:928
	v_add_f64 v[73:74], v[73:74], v[83:84]
	v_add_f64 v[75:76], v[75:76], v[77:78]
	s_waitcnt vmcnt(15) lgkmcnt(1)
	v_mul_f64 v[83:84], v[71:72], v[109:110]
	v_mul_f64 v[77:78], v[69:70], v[109:110]
	s_waitcnt vmcnt(13)
	v_fma_f64 v[87:88], v[0:1], v[95:96], -v[87:88]
	v_fma_f64 v[81:82], v[2:3], v[95:96], v[81:82]
	ds_read_b128 v[0:3], v4 offset:944
	v_add_f64 v[73:74], v[73:74], v[85:86]
	v_add_f64 v[75:76], v[75:76], v[79:80]
	s_waitcnt vmcnt(9) lgkmcnt(1)
	v_mul_f64 v[85:86], v[67:68], v[99:100]
	s_waitcnt vmcnt(8)
	v_fma_f64 v[69:70], v[69:70], v[113:114], -v[83:84]
	v_mul_f64 v[79:80], v[65:66], v[99:100]
	v_fma_f64 v[71:72], v[71:72], v[113:114], v[77:78]
	v_add_f64 v[73:74], v[73:74], v[87:88]
	v_add_f64 v[75:76], v[75:76], v[81:82]
	s_waitcnt vmcnt(7) lgkmcnt(0)
	v_mul_f64 v[81:82], v[2:3], v[117:118]
	v_mul_f64 v[77:78], v[0:1], v[117:118]
	s_waitcnt vmcnt(5)
	v_fma_f64 v[65:66], v[65:66], v[103:104], -v[85:86]
	v_fma_f64 v[67:68], v[67:68], v[103:104], v[79:80]
	v_add_f64 v[69:70], v[73:74], v[69:70]
	v_add_f64 v[71:72], v[75:76], v[71:72]
	s_waitcnt vmcnt(4)
	v_fma_f64 v[0:1], v[0:1], v[121:122], -v[81:82]
	v_fma_f64 v[2:3], v[2:3], v[121:122], v[77:78]
	v_add_f64 v[65:66], v[69:70], v[65:66]
	v_add_f64 v[67:68], v[71:72], v[67:68]
	;; [unrolled: 1-line block ×4, first 2 shown]
	s_waitcnt vmcnt(2)
	v_add_f64 v[0:1], v[115:116], -v[0:1]
	s_waitcnt vmcnt(0)
	v_add_f64 v[2:3], v[119:120], -v[2:3]
	buffer_store_dword v1, off, s[0:3], 0 offset:20
	buffer_store_dword v0, off, s[0:3], 0 offset:16
	buffer_store_dword v3, off, s[0:3], 0 offset:28
	buffer_store_dword v2, off, s[0:3], 0 offset:24
	s_cbranch_vccz .LBB93_252
; %bb.194:
	global_load_dword v0, v4, s[12:13] offset:112
	s_waitcnt vmcnt(0)
	v_add_nc_u32_e32 v0, -1, v0
	v_cmp_ne_u32_e32 vcc_lo, 28, v0
	s_cbranch_vccz .LBB93_196
; %bb.195:
	v_lshlrev_b32_e32 v0, 4, v0
	v_mov_b32_e32 v1, s9
	v_add_nc_u32_e32 v0, 16, v0
	s_clause 0x7
	buffer_load_dword v2, v0, s[0:3], 0 offen
	buffer_load_dword v3, v0, s[0:3], 0 offen offset:4
	buffer_load_dword v4, v0, s[0:3], 0 offen offset:8
	buffer_load_dword v65, v0, s[0:3], 0 offen offset:12
	buffer_load_dword v66, v1, s[0:3], 0 offen offset:12
	buffer_load_dword v67, v1, s[0:3], 0 offen offset:8
	buffer_load_dword v68, v1, s[0:3], 0 offen offset:4
	buffer_load_dword v69, v1, s[0:3], 0 offen
	s_waitcnt vmcnt(7)
	buffer_store_dword v2, v1, s[0:3], 0 offen
	s_waitcnt vmcnt(6)
	buffer_store_dword v3, v1, s[0:3], 0 offen offset:4
	s_waitcnt vmcnt(5)
	buffer_store_dword v4, v1, s[0:3], 0 offen offset:8
	;; [unrolled: 2-line block ×6, first 2 shown]
	s_waitcnt vmcnt(0)
	buffer_store_dword v69, v0, s[0:3], 0 offen
.LBB93_196:
	v_mov_b32_e32 v0, 0
	global_load_dword v1, v0, s[12:13] offset:108
	s_waitcnt vmcnt(0)
	v_add_nc_u32_e32 v1, -1, v1
	v_cmp_eq_u32_e32 vcc_lo, 27, v1
	s_cbranch_vccnz .LBB93_198
; %bb.197:
	v_lshlrev_b32_e32 v1, 4, v1
	v_mov_b32_e32 v2, s14
	v_add_nc_u32_e32 v1, 16, v1
	s_clause 0x7
	buffer_load_dword v3, v1, s[0:3], 0 offen
	buffer_load_dword v4, v1, s[0:3], 0 offen offset:4
	buffer_load_dword v65, v1, s[0:3], 0 offen offset:8
	;; [unrolled: 1-line block ×6, first 2 shown]
	buffer_load_dword v70, v2, s[0:3], 0 offen
	s_waitcnt vmcnt(7)
	buffer_store_dword v3, v2, s[0:3], 0 offen
	s_waitcnt vmcnt(6)
	buffer_store_dword v4, v2, s[0:3], 0 offen offset:4
	s_waitcnt vmcnt(5)
	buffer_store_dword v65, v2, s[0:3], 0 offen offset:8
	;; [unrolled: 2-line block ×6, first 2 shown]
	s_waitcnt vmcnt(0)
	buffer_store_dword v70, v1, s[0:3], 0 offen
.LBB93_198:
	global_load_dword v0, v0, s[12:13] offset:104
	s_waitcnt vmcnt(0)
	v_add_nc_u32_e32 v0, -1, v0
	v_cmp_eq_u32_e32 vcc_lo, 26, v0
	s_cbranch_vccnz .LBB93_200
; %bb.199:
	v_lshlrev_b32_e32 v0, 4, v0
	v_mov_b32_e32 v1, s15
	v_add_nc_u32_e32 v0, 16, v0
	s_clause 0x7
	buffer_load_dword v2, v0, s[0:3], 0 offen
	buffer_load_dword v3, v0, s[0:3], 0 offen offset:4
	buffer_load_dword v4, v0, s[0:3], 0 offen offset:8
	;; [unrolled: 1-line block ×6, first 2 shown]
	buffer_load_dword v69, v1, s[0:3], 0 offen
	s_waitcnt vmcnt(7)
	buffer_store_dword v2, v1, s[0:3], 0 offen
	s_waitcnt vmcnt(6)
	buffer_store_dword v3, v1, s[0:3], 0 offen offset:4
	s_waitcnt vmcnt(5)
	buffer_store_dword v4, v1, s[0:3], 0 offen offset:8
	;; [unrolled: 2-line block ×6, first 2 shown]
	s_waitcnt vmcnt(0)
	buffer_store_dword v69, v0, s[0:3], 0 offen
.LBB93_200:
	v_mov_b32_e32 v0, 0
	global_load_dword v1, v0, s[12:13] offset:100
	s_waitcnt vmcnt(0)
	v_add_nc_u32_e32 v1, -1, v1
	v_cmp_eq_u32_e32 vcc_lo, 25, v1
	s_cbranch_vccnz .LBB93_202
; %bb.201:
	v_lshlrev_b32_e32 v1, 4, v1
	v_mov_b32_e32 v2, s16
	v_add_nc_u32_e32 v1, 16, v1
	s_clause 0x7
	buffer_load_dword v3, v1, s[0:3], 0 offen
	buffer_load_dword v4, v1, s[0:3], 0 offen offset:4
	buffer_load_dword v65, v1, s[0:3], 0 offen offset:8
	;; [unrolled: 1-line block ×6, first 2 shown]
	buffer_load_dword v70, v2, s[0:3], 0 offen
	s_waitcnt vmcnt(7)
	buffer_store_dword v3, v2, s[0:3], 0 offen
	s_waitcnt vmcnt(6)
	buffer_store_dword v4, v2, s[0:3], 0 offen offset:4
	s_waitcnt vmcnt(5)
	buffer_store_dword v65, v2, s[0:3], 0 offen offset:8
	s_waitcnt vmcnt(4)
	buffer_store_dword v66, v2, s[0:3], 0 offen offset:12
	s_waitcnt vmcnt(3)
	buffer_store_dword v67, v1, s[0:3], 0 offen offset:12
	s_waitcnt vmcnt(2)
	buffer_store_dword v68, v1, s[0:3], 0 offen offset:8
	s_waitcnt vmcnt(1)
	buffer_store_dword v69, v1, s[0:3], 0 offen offset:4
	s_waitcnt vmcnt(0)
	buffer_store_dword v70, v1, s[0:3], 0 offen
.LBB93_202:
	global_load_dword v0, v0, s[12:13] offset:96
	s_waitcnt vmcnt(0)
	v_add_nc_u32_e32 v0, -1, v0
	v_cmp_eq_u32_e32 vcc_lo, 24, v0
	s_cbranch_vccnz .LBB93_204
; %bb.203:
	v_lshlrev_b32_e32 v0, 4, v0
	v_mov_b32_e32 v1, s17
	v_add_nc_u32_e32 v0, 16, v0
	s_clause 0x7
	buffer_load_dword v2, v0, s[0:3], 0 offen
	buffer_load_dword v3, v0, s[0:3], 0 offen offset:4
	buffer_load_dword v4, v0, s[0:3], 0 offen offset:8
	;; [unrolled: 1-line block ×6, first 2 shown]
	buffer_load_dword v69, v1, s[0:3], 0 offen
	s_waitcnt vmcnt(7)
	buffer_store_dword v2, v1, s[0:3], 0 offen
	s_waitcnt vmcnt(6)
	buffer_store_dword v3, v1, s[0:3], 0 offen offset:4
	s_waitcnt vmcnt(5)
	buffer_store_dword v4, v1, s[0:3], 0 offen offset:8
	;; [unrolled: 2-line block ×6, first 2 shown]
	s_waitcnt vmcnt(0)
	buffer_store_dword v69, v0, s[0:3], 0 offen
.LBB93_204:
	v_mov_b32_e32 v0, 0
	global_load_dword v1, v0, s[12:13] offset:92
	s_waitcnt vmcnt(0)
	v_add_nc_u32_e32 v1, -1, v1
	v_cmp_eq_u32_e32 vcc_lo, 23, v1
	s_cbranch_vccnz .LBB93_206
; %bb.205:
	v_lshlrev_b32_e32 v1, 4, v1
	v_mov_b32_e32 v2, s18
	v_add_nc_u32_e32 v1, 16, v1
	s_clause 0x7
	buffer_load_dword v3, v1, s[0:3], 0 offen
	buffer_load_dword v4, v1, s[0:3], 0 offen offset:4
	buffer_load_dword v65, v1, s[0:3], 0 offen offset:8
	;; [unrolled: 1-line block ×6, first 2 shown]
	buffer_load_dword v70, v2, s[0:3], 0 offen
	s_waitcnt vmcnt(7)
	buffer_store_dword v3, v2, s[0:3], 0 offen
	s_waitcnt vmcnt(6)
	buffer_store_dword v4, v2, s[0:3], 0 offen offset:4
	s_waitcnt vmcnt(5)
	buffer_store_dword v65, v2, s[0:3], 0 offen offset:8
	;; [unrolled: 2-line block ×6, first 2 shown]
	s_waitcnt vmcnt(0)
	buffer_store_dword v70, v1, s[0:3], 0 offen
.LBB93_206:
	global_load_dword v0, v0, s[12:13] offset:88
	s_waitcnt vmcnt(0)
	v_add_nc_u32_e32 v0, -1, v0
	v_cmp_eq_u32_e32 vcc_lo, 22, v0
	s_cbranch_vccnz .LBB93_208
; %bb.207:
	v_lshlrev_b32_e32 v0, 4, v0
	v_mov_b32_e32 v1, s19
	v_add_nc_u32_e32 v0, 16, v0
	s_clause 0x7
	buffer_load_dword v2, v0, s[0:3], 0 offen
	buffer_load_dword v3, v0, s[0:3], 0 offen offset:4
	buffer_load_dword v4, v0, s[0:3], 0 offen offset:8
	;; [unrolled: 1-line block ×6, first 2 shown]
	buffer_load_dword v69, v1, s[0:3], 0 offen
	s_waitcnt vmcnt(7)
	buffer_store_dword v2, v1, s[0:3], 0 offen
	s_waitcnt vmcnt(6)
	buffer_store_dword v3, v1, s[0:3], 0 offen offset:4
	s_waitcnt vmcnt(5)
	buffer_store_dword v4, v1, s[0:3], 0 offen offset:8
	;; [unrolled: 2-line block ×6, first 2 shown]
	s_waitcnt vmcnt(0)
	buffer_store_dword v69, v0, s[0:3], 0 offen
.LBB93_208:
	v_mov_b32_e32 v0, 0
	global_load_dword v1, v0, s[12:13] offset:84
	s_waitcnt vmcnt(0)
	v_add_nc_u32_e32 v1, -1, v1
	v_cmp_eq_u32_e32 vcc_lo, 21, v1
	s_cbranch_vccnz .LBB93_210
; %bb.209:
	v_lshlrev_b32_e32 v1, 4, v1
	v_mov_b32_e32 v2, s20
	v_add_nc_u32_e32 v1, 16, v1
	s_clause 0x7
	buffer_load_dword v3, v1, s[0:3], 0 offen
	buffer_load_dword v4, v1, s[0:3], 0 offen offset:4
	buffer_load_dword v65, v1, s[0:3], 0 offen offset:8
	;; [unrolled: 1-line block ×6, first 2 shown]
	buffer_load_dword v70, v2, s[0:3], 0 offen
	s_waitcnt vmcnt(7)
	buffer_store_dword v3, v2, s[0:3], 0 offen
	s_waitcnt vmcnt(6)
	buffer_store_dword v4, v2, s[0:3], 0 offen offset:4
	s_waitcnt vmcnt(5)
	buffer_store_dword v65, v2, s[0:3], 0 offen offset:8
	;; [unrolled: 2-line block ×6, first 2 shown]
	s_waitcnt vmcnt(0)
	buffer_store_dword v70, v1, s[0:3], 0 offen
.LBB93_210:
	global_load_dword v0, v0, s[12:13] offset:80
	s_waitcnt vmcnt(0)
	v_add_nc_u32_e32 v0, -1, v0
	v_cmp_eq_u32_e32 vcc_lo, 20, v0
	s_cbranch_vccnz .LBB93_212
; %bb.211:
	v_lshlrev_b32_e32 v0, 4, v0
	v_mov_b32_e32 v1, s21
	v_add_nc_u32_e32 v0, 16, v0
	s_clause 0x7
	buffer_load_dword v2, v0, s[0:3], 0 offen
	buffer_load_dword v3, v0, s[0:3], 0 offen offset:4
	buffer_load_dword v4, v0, s[0:3], 0 offen offset:8
	;; [unrolled: 1-line block ×6, first 2 shown]
	buffer_load_dword v69, v1, s[0:3], 0 offen
	s_waitcnt vmcnt(7)
	buffer_store_dword v2, v1, s[0:3], 0 offen
	s_waitcnt vmcnt(6)
	buffer_store_dword v3, v1, s[0:3], 0 offen offset:4
	s_waitcnt vmcnt(5)
	buffer_store_dword v4, v1, s[0:3], 0 offen offset:8
	;; [unrolled: 2-line block ×6, first 2 shown]
	s_waitcnt vmcnt(0)
	buffer_store_dword v69, v0, s[0:3], 0 offen
.LBB93_212:
	v_mov_b32_e32 v0, 0
	global_load_dword v1, v0, s[12:13] offset:76
	s_waitcnt vmcnt(0)
	v_add_nc_u32_e32 v1, -1, v1
	v_cmp_eq_u32_e32 vcc_lo, 19, v1
	s_cbranch_vccnz .LBB93_214
; %bb.213:
	v_lshlrev_b32_e32 v1, 4, v1
	v_mov_b32_e32 v2, s22
	v_add_nc_u32_e32 v1, 16, v1
	s_clause 0x7
	buffer_load_dword v3, v1, s[0:3], 0 offen
	buffer_load_dword v4, v1, s[0:3], 0 offen offset:4
	buffer_load_dword v65, v1, s[0:3], 0 offen offset:8
	;; [unrolled: 1-line block ×6, first 2 shown]
	buffer_load_dword v70, v2, s[0:3], 0 offen
	s_waitcnt vmcnt(7)
	buffer_store_dword v3, v2, s[0:3], 0 offen
	s_waitcnt vmcnt(6)
	buffer_store_dword v4, v2, s[0:3], 0 offen offset:4
	s_waitcnt vmcnt(5)
	buffer_store_dword v65, v2, s[0:3], 0 offen offset:8
	;; [unrolled: 2-line block ×6, first 2 shown]
	s_waitcnt vmcnt(0)
	buffer_store_dword v70, v1, s[0:3], 0 offen
.LBB93_214:
	global_load_dword v0, v0, s[12:13] offset:72
	s_waitcnt vmcnt(0)
	v_add_nc_u32_e32 v0, -1, v0
	v_cmp_eq_u32_e32 vcc_lo, 18, v0
	s_cbranch_vccnz .LBB93_216
; %bb.215:
	v_lshlrev_b32_e32 v0, 4, v0
	v_mov_b32_e32 v1, s23
	v_add_nc_u32_e32 v0, 16, v0
	s_clause 0x7
	buffer_load_dword v2, v0, s[0:3], 0 offen
	buffer_load_dword v3, v0, s[0:3], 0 offen offset:4
	buffer_load_dword v4, v0, s[0:3], 0 offen offset:8
	;; [unrolled: 1-line block ×6, first 2 shown]
	buffer_load_dword v69, v1, s[0:3], 0 offen
	s_waitcnt vmcnt(7)
	buffer_store_dword v2, v1, s[0:3], 0 offen
	s_waitcnt vmcnt(6)
	buffer_store_dword v3, v1, s[0:3], 0 offen offset:4
	s_waitcnt vmcnt(5)
	buffer_store_dword v4, v1, s[0:3], 0 offen offset:8
	;; [unrolled: 2-line block ×6, first 2 shown]
	s_waitcnt vmcnt(0)
	buffer_store_dword v69, v0, s[0:3], 0 offen
.LBB93_216:
	v_mov_b32_e32 v0, 0
	global_load_dword v1, v0, s[12:13] offset:68
	s_waitcnt vmcnt(0)
	v_add_nc_u32_e32 v1, -1, v1
	v_cmp_eq_u32_e32 vcc_lo, 17, v1
	s_cbranch_vccnz .LBB93_218
; %bb.217:
	v_lshlrev_b32_e32 v1, 4, v1
	v_mov_b32_e32 v2, s24
	v_add_nc_u32_e32 v1, 16, v1
	s_clause 0x7
	buffer_load_dword v3, v1, s[0:3], 0 offen
	buffer_load_dword v4, v1, s[0:3], 0 offen offset:4
	buffer_load_dword v65, v1, s[0:3], 0 offen offset:8
	;; [unrolled: 1-line block ×6, first 2 shown]
	buffer_load_dword v70, v2, s[0:3], 0 offen
	s_waitcnt vmcnt(7)
	buffer_store_dword v3, v2, s[0:3], 0 offen
	s_waitcnt vmcnt(6)
	buffer_store_dword v4, v2, s[0:3], 0 offen offset:4
	s_waitcnt vmcnt(5)
	buffer_store_dword v65, v2, s[0:3], 0 offen offset:8
	;; [unrolled: 2-line block ×6, first 2 shown]
	s_waitcnt vmcnt(0)
	buffer_store_dword v70, v1, s[0:3], 0 offen
.LBB93_218:
	global_load_dword v0, v0, s[12:13] offset:64
	s_waitcnt vmcnt(0)
	v_add_nc_u32_e32 v0, -1, v0
	v_cmp_eq_u32_e32 vcc_lo, 16, v0
	s_cbranch_vccnz .LBB93_220
; %bb.219:
	v_lshlrev_b32_e32 v0, 4, v0
	v_mov_b32_e32 v1, s25
	v_add_nc_u32_e32 v0, 16, v0
	s_clause 0x7
	buffer_load_dword v2, v0, s[0:3], 0 offen
	buffer_load_dword v3, v0, s[0:3], 0 offen offset:4
	buffer_load_dword v4, v0, s[0:3], 0 offen offset:8
	;; [unrolled: 1-line block ×6, first 2 shown]
	buffer_load_dword v69, v1, s[0:3], 0 offen
	s_waitcnt vmcnt(7)
	buffer_store_dword v2, v1, s[0:3], 0 offen
	s_waitcnt vmcnt(6)
	buffer_store_dword v3, v1, s[0:3], 0 offen offset:4
	s_waitcnt vmcnt(5)
	buffer_store_dword v4, v1, s[0:3], 0 offen offset:8
	;; [unrolled: 2-line block ×6, first 2 shown]
	s_waitcnt vmcnt(0)
	buffer_store_dword v69, v0, s[0:3], 0 offen
.LBB93_220:
	v_mov_b32_e32 v0, 0
	global_load_dword v1, v0, s[12:13] offset:60
	s_waitcnt vmcnt(0)
	v_add_nc_u32_e32 v1, -1, v1
	v_cmp_eq_u32_e32 vcc_lo, 15, v1
	s_cbranch_vccnz .LBB93_222
; %bb.221:
	v_lshlrev_b32_e32 v1, 4, v1
	v_mov_b32_e32 v2, s26
	v_add_nc_u32_e32 v1, 16, v1
	s_clause 0x7
	buffer_load_dword v3, v1, s[0:3], 0 offen
	buffer_load_dword v4, v1, s[0:3], 0 offen offset:4
	buffer_load_dword v65, v1, s[0:3], 0 offen offset:8
	;; [unrolled: 1-line block ×6, first 2 shown]
	buffer_load_dword v70, v2, s[0:3], 0 offen
	s_waitcnt vmcnt(7)
	buffer_store_dword v3, v2, s[0:3], 0 offen
	s_waitcnt vmcnt(6)
	buffer_store_dword v4, v2, s[0:3], 0 offen offset:4
	s_waitcnt vmcnt(5)
	buffer_store_dword v65, v2, s[0:3], 0 offen offset:8
	s_waitcnt vmcnt(4)
	buffer_store_dword v66, v2, s[0:3], 0 offen offset:12
	s_waitcnt vmcnt(3)
	buffer_store_dword v67, v1, s[0:3], 0 offen offset:12
	s_waitcnt vmcnt(2)
	buffer_store_dword v68, v1, s[0:3], 0 offen offset:8
	s_waitcnt vmcnt(1)
	buffer_store_dword v69, v1, s[0:3], 0 offen offset:4
	s_waitcnt vmcnt(0)
	buffer_store_dword v70, v1, s[0:3], 0 offen
.LBB93_222:
	global_load_dword v0, v0, s[12:13] offset:56
	s_waitcnt vmcnt(0)
	v_add_nc_u32_e32 v0, -1, v0
	v_cmp_eq_u32_e32 vcc_lo, 14, v0
	s_cbranch_vccnz .LBB93_224
; %bb.223:
	v_lshlrev_b32_e32 v0, 4, v0
	v_mov_b32_e32 v1, s27
	v_add_nc_u32_e32 v0, 16, v0
	s_clause 0x7
	buffer_load_dword v2, v0, s[0:3], 0 offen
	buffer_load_dword v3, v0, s[0:3], 0 offen offset:4
	buffer_load_dword v4, v0, s[0:3], 0 offen offset:8
	;; [unrolled: 1-line block ×6, first 2 shown]
	buffer_load_dword v69, v1, s[0:3], 0 offen
	s_waitcnt vmcnt(7)
	buffer_store_dword v2, v1, s[0:3], 0 offen
	s_waitcnt vmcnt(6)
	buffer_store_dword v3, v1, s[0:3], 0 offen offset:4
	s_waitcnt vmcnt(5)
	buffer_store_dword v4, v1, s[0:3], 0 offen offset:8
	;; [unrolled: 2-line block ×6, first 2 shown]
	s_waitcnt vmcnt(0)
	buffer_store_dword v69, v0, s[0:3], 0 offen
.LBB93_224:
	v_mov_b32_e32 v0, 0
	global_load_dword v1, v0, s[12:13] offset:52
	s_waitcnt vmcnt(0)
	v_add_nc_u32_e32 v1, -1, v1
	v_cmp_eq_u32_e32 vcc_lo, 13, v1
	s_cbranch_vccnz .LBB93_226
; %bb.225:
	v_lshlrev_b32_e32 v1, 4, v1
	v_mov_b32_e32 v2, s28
	v_add_nc_u32_e32 v1, 16, v1
	s_clause 0x7
	buffer_load_dword v3, v1, s[0:3], 0 offen
	buffer_load_dword v4, v1, s[0:3], 0 offen offset:4
	buffer_load_dword v65, v1, s[0:3], 0 offen offset:8
	;; [unrolled: 1-line block ×6, first 2 shown]
	buffer_load_dword v70, v2, s[0:3], 0 offen
	s_waitcnt vmcnt(7)
	buffer_store_dword v3, v2, s[0:3], 0 offen
	s_waitcnt vmcnt(6)
	buffer_store_dword v4, v2, s[0:3], 0 offen offset:4
	s_waitcnt vmcnt(5)
	buffer_store_dword v65, v2, s[0:3], 0 offen offset:8
	;; [unrolled: 2-line block ×6, first 2 shown]
	s_waitcnt vmcnt(0)
	buffer_store_dword v70, v1, s[0:3], 0 offen
.LBB93_226:
	global_load_dword v0, v0, s[12:13] offset:48
	s_waitcnt vmcnt(0)
	v_add_nc_u32_e32 v0, -1, v0
	v_cmp_eq_u32_e32 vcc_lo, 12, v0
	s_cbranch_vccnz .LBB93_228
; %bb.227:
	v_lshlrev_b32_e32 v0, 4, v0
	v_mov_b32_e32 v1, s29
	v_add_nc_u32_e32 v0, 16, v0
	s_clause 0x7
	buffer_load_dword v2, v0, s[0:3], 0 offen
	buffer_load_dword v3, v0, s[0:3], 0 offen offset:4
	buffer_load_dword v4, v0, s[0:3], 0 offen offset:8
	;; [unrolled: 1-line block ×6, first 2 shown]
	buffer_load_dword v69, v1, s[0:3], 0 offen
	s_waitcnt vmcnt(7)
	buffer_store_dword v2, v1, s[0:3], 0 offen
	s_waitcnt vmcnt(6)
	buffer_store_dword v3, v1, s[0:3], 0 offen offset:4
	s_waitcnt vmcnt(5)
	buffer_store_dword v4, v1, s[0:3], 0 offen offset:8
	;; [unrolled: 2-line block ×6, first 2 shown]
	s_waitcnt vmcnt(0)
	buffer_store_dword v69, v0, s[0:3], 0 offen
.LBB93_228:
	v_mov_b32_e32 v0, 0
	global_load_dword v1, v0, s[12:13] offset:44
	s_waitcnt vmcnt(0)
	v_add_nc_u32_e32 v1, -1, v1
	v_cmp_eq_u32_e32 vcc_lo, 11, v1
	s_cbranch_vccnz .LBB93_230
; %bb.229:
	v_lshlrev_b32_e32 v1, 4, v1
	v_mov_b32_e32 v2, s30
	v_add_nc_u32_e32 v1, 16, v1
	s_clause 0x7
	buffer_load_dword v3, v1, s[0:3], 0 offen
	buffer_load_dword v4, v1, s[0:3], 0 offen offset:4
	buffer_load_dword v65, v1, s[0:3], 0 offen offset:8
	;; [unrolled: 1-line block ×6, first 2 shown]
	buffer_load_dword v70, v2, s[0:3], 0 offen
	s_waitcnt vmcnt(7)
	buffer_store_dword v3, v2, s[0:3], 0 offen
	s_waitcnt vmcnt(6)
	buffer_store_dword v4, v2, s[0:3], 0 offen offset:4
	s_waitcnt vmcnt(5)
	buffer_store_dword v65, v2, s[0:3], 0 offen offset:8
	;; [unrolled: 2-line block ×6, first 2 shown]
	s_waitcnt vmcnt(0)
	buffer_store_dword v70, v1, s[0:3], 0 offen
.LBB93_230:
	global_load_dword v0, v0, s[12:13] offset:40
	s_waitcnt vmcnt(0)
	v_add_nc_u32_e32 v0, -1, v0
	v_cmp_eq_u32_e32 vcc_lo, 10, v0
	s_cbranch_vccnz .LBB93_232
; %bb.231:
	v_lshlrev_b32_e32 v0, 4, v0
	v_mov_b32_e32 v1, s31
	v_add_nc_u32_e32 v0, 16, v0
	s_clause 0x7
	buffer_load_dword v2, v0, s[0:3], 0 offen
	buffer_load_dword v3, v0, s[0:3], 0 offen offset:4
	buffer_load_dword v4, v0, s[0:3], 0 offen offset:8
	;; [unrolled: 1-line block ×6, first 2 shown]
	buffer_load_dword v69, v1, s[0:3], 0 offen
	s_waitcnt vmcnt(7)
	buffer_store_dword v2, v1, s[0:3], 0 offen
	s_waitcnt vmcnt(6)
	buffer_store_dword v3, v1, s[0:3], 0 offen offset:4
	s_waitcnt vmcnt(5)
	buffer_store_dword v4, v1, s[0:3], 0 offen offset:8
	;; [unrolled: 2-line block ×6, first 2 shown]
	s_waitcnt vmcnt(0)
	buffer_store_dword v69, v0, s[0:3], 0 offen
.LBB93_232:
	v_mov_b32_e32 v0, 0
	global_load_dword v1, v0, s[12:13] offset:36
	s_waitcnt vmcnt(0)
	v_add_nc_u32_e32 v1, -1, v1
	v_cmp_eq_u32_e32 vcc_lo, 9, v1
	s_cbranch_vccnz .LBB93_234
; %bb.233:
	v_lshlrev_b32_e32 v1, 4, v1
	v_mov_b32_e32 v2, s33
	v_add_nc_u32_e32 v1, 16, v1
	s_clause 0x7
	buffer_load_dword v3, v1, s[0:3], 0 offen
	buffer_load_dword v4, v1, s[0:3], 0 offen offset:4
	buffer_load_dword v65, v1, s[0:3], 0 offen offset:8
	;; [unrolled: 1-line block ×6, first 2 shown]
	buffer_load_dword v70, v2, s[0:3], 0 offen
	s_waitcnt vmcnt(7)
	buffer_store_dword v3, v2, s[0:3], 0 offen
	s_waitcnt vmcnt(6)
	buffer_store_dword v4, v2, s[0:3], 0 offen offset:4
	s_waitcnt vmcnt(5)
	buffer_store_dword v65, v2, s[0:3], 0 offen offset:8
	;; [unrolled: 2-line block ×6, first 2 shown]
	s_waitcnt vmcnt(0)
	buffer_store_dword v70, v1, s[0:3], 0 offen
.LBB93_234:
	global_load_dword v0, v0, s[12:13] offset:32
	s_waitcnt vmcnt(0)
	v_add_nc_u32_e32 v0, -1, v0
	v_cmp_eq_u32_e32 vcc_lo, 8, v0
	s_cbranch_vccnz .LBB93_236
; %bb.235:
	v_lshlrev_b32_e32 v0, 4, v0
	v_mov_b32_e32 v1, s34
	v_add_nc_u32_e32 v0, 16, v0
	s_clause 0x7
	buffer_load_dword v2, v0, s[0:3], 0 offen
	buffer_load_dword v3, v0, s[0:3], 0 offen offset:4
	buffer_load_dword v4, v0, s[0:3], 0 offen offset:8
	;; [unrolled: 1-line block ×6, first 2 shown]
	buffer_load_dword v69, v1, s[0:3], 0 offen
	s_waitcnt vmcnt(7)
	buffer_store_dword v2, v1, s[0:3], 0 offen
	s_waitcnt vmcnt(6)
	buffer_store_dword v3, v1, s[0:3], 0 offen offset:4
	s_waitcnt vmcnt(5)
	buffer_store_dword v4, v1, s[0:3], 0 offen offset:8
	;; [unrolled: 2-line block ×6, first 2 shown]
	s_waitcnt vmcnt(0)
	buffer_store_dword v69, v0, s[0:3], 0 offen
.LBB93_236:
	v_mov_b32_e32 v0, 0
	global_load_dword v1, v0, s[12:13] offset:28
	s_waitcnt vmcnt(0)
	v_add_nc_u32_e32 v1, -1, v1
	v_cmp_eq_u32_e32 vcc_lo, 7, v1
	s_cbranch_vccnz .LBB93_238
; %bb.237:
	v_lshlrev_b32_e32 v1, 4, v1
	v_mov_b32_e32 v2, s35
	v_add_nc_u32_e32 v1, 16, v1
	s_clause 0x7
	buffer_load_dword v3, v1, s[0:3], 0 offen
	buffer_load_dword v4, v1, s[0:3], 0 offen offset:4
	buffer_load_dword v65, v1, s[0:3], 0 offen offset:8
	;; [unrolled: 1-line block ×6, first 2 shown]
	buffer_load_dword v70, v2, s[0:3], 0 offen
	s_waitcnt vmcnt(7)
	buffer_store_dword v3, v2, s[0:3], 0 offen
	s_waitcnt vmcnt(6)
	buffer_store_dword v4, v2, s[0:3], 0 offen offset:4
	s_waitcnt vmcnt(5)
	buffer_store_dword v65, v2, s[0:3], 0 offen offset:8
	;; [unrolled: 2-line block ×6, first 2 shown]
	s_waitcnt vmcnt(0)
	buffer_store_dword v70, v1, s[0:3], 0 offen
.LBB93_238:
	global_load_dword v0, v0, s[12:13] offset:24
	s_waitcnt vmcnt(0)
	v_add_nc_u32_e32 v0, -1, v0
	v_cmp_eq_u32_e32 vcc_lo, 6, v0
	s_cbranch_vccnz .LBB93_240
; %bb.239:
	v_lshlrev_b32_e32 v0, 4, v0
	v_mov_b32_e32 v1, s36
	v_add_nc_u32_e32 v0, 16, v0
	s_clause 0x7
	buffer_load_dword v2, v0, s[0:3], 0 offen
	buffer_load_dword v3, v0, s[0:3], 0 offen offset:4
	buffer_load_dword v4, v0, s[0:3], 0 offen offset:8
	;; [unrolled: 1-line block ×6, first 2 shown]
	buffer_load_dword v69, v1, s[0:3], 0 offen
	s_waitcnt vmcnt(7)
	buffer_store_dword v2, v1, s[0:3], 0 offen
	s_waitcnt vmcnt(6)
	buffer_store_dword v3, v1, s[0:3], 0 offen offset:4
	s_waitcnt vmcnt(5)
	buffer_store_dword v4, v1, s[0:3], 0 offen offset:8
	;; [unrolled: 2-line block ×6, first 2 shown]
	s_waitcnt vmcnt(0)
	buffer_store_dword v69, v0, s[0:3], 0 offen
.LBB93_240:
	v_mov_b32_e32 v0, 0
	global_load_dword v1, v0, s[12:13] offset:20
	s_waitcnt vmcnt(0)
	v_add_nc_u32_e32 v1, -1, v1
	v_cmp_eq_u32_e32 vcc_lo, 5, v1
	s_cbranch_vccnz .LBB93_242
; %bb.241:
	v_lshlrev_b32_e32 v1, 4, v1
	v_mov_b32_e32 v2, s37
	v_add_nc_u32_e32 v1, 16, v1
	s_clause 0x7
	buffer_load_dword v3, v1, s[0:3], 0 offen
	buffer_load_dword v4, v1, s[0:3], 0 offen offset:4
	buffer_load_dword v65, v1, s[0:3], 0 offen offset:8
	;; [unrolled: 1-line block ×6, first 2 shown]
	buffer_load_dword v70, v2, s[0:3], 0 offen
	s_waitcnt vmcnt(7)
	buffer_store_dword v3, v2, s[0:3], 0 offen
	s_waitcnt vmcnt(6)
	buffer_store_dword v4, v2, s[0:3], 0 offen offset:4
	s_waitcnt vmcnt(5)
	buffer_store_dword v65, v2, s[0:3], 0 offen offset:8
	;; [unrolled: 2-line block ×6, first 2 shown]
	s_waitcnt vmcnt(0)
	buffer_store_dword v70, v1, s[0:3], 0 offen
.LBB93_242:
	global_load_dword v0, v0, s[12:13] offset:16
	s_waitcnt vmcnt(0)
	v_add_nc_u32_e32 v0, -1, v0
	v_cmp_eq_u32_e32 vcc_lo, 4, v0
	s_cbranch_vccnz .LBB93_244
; %bb.243:
	v_lshlrev_b32_e32 v0, 4, v0
	v_mov_b32_e32 v1, s38
	v_add_nc_u32_e32 v0, 16, v0
	s_clause 0x7
	buffer_load_dword v2, v0, s[0:3], 0 offen
	buffer_load_dword v3, v0, s[0:3], 0 offen offset:4
	buffer_load_dword v4, v0, s[0:3], 0 offen offset:8
	;; [unrolled: 1-line block ×6, first 2 shown]
	buffer_load_dword v69, v1, s[0:3], 0 offen
	s_waitcnt vmcnt(7)
	buffer_store_dword v2, v1, s[0:3], 0 offen
	s_waitcnt vmcnt(6)
	buffer_store_dword v3, v1, s[0:3], 0 offen offset:4
	s_waitcnt vmcnt(5)
	buffer_store_dword v4, v1, s[0:3], 0 offen offset:8
	;; [unrolled: 2-line block ×6, first 2 shown]
	s_waitcnt vmcnt(0)
	buffer_store_dword v69, v0, s[0:3], 0 offen
.LBB93_244:
	v_mov_b32_e32 v0, 0
	global_load_dword v1, v0, s[12:13] offset:12
	s_waitcnt vmcnt(0)
	v_add_nc_u32_e32 v1, -1, v1
	v_cmp_eq_u32_e32 vcc_lo, 3, v1
	s_cbranch_vccnz .LBB93_246
; %bb.245:
	v_lshlrev_b32_e32 v1, 4, v1
	v_mov_b32_e32 v2, s39
	v_add_nc_u32_e32 v1, 16, v1
	s_clause 0x7
	buffer_load_dword v3, v1, s[0:3], 0 offen
	buffer_load_dword v4, v1, s[0:3], 0 offen offset:4
	buffer_load_dword v65, v1, s[0:3], 0 offen offset:8
	;; [unrolled: 1-line block ×6, first 2 shown]
	buffer_load_dword v70, v2, s[0:3], 0 offen
	s_waitcnt vmcnt(7)
	buffer_store_dword v3, v2, s[0:3], 0 offen
	s_waitcnt vmcnt(6)
	buffer_store_dword v4, v2, s[0:3], 0 offen offset:4
	s_waitcnt vmcnt(5)
	buffer_store_dword v65, v2, s[0:3], 0 offen offset:8
	;; [unrolled: 2-line block ×6, first 2 shown]
	s_waitcnt vmcnt(0)
	buffer_store_dword v70, v1, s[0:3], 0 offen
.LBB93_246:
	global_load_dword v0, v0, s[12:13] offset:8
	s_waitcnt vmcnt(0)
	v_add_nc_u32_e32 v0, -1, v0
	v_cmp_eq_u32_e32 vcc_lo, 2, v0
	s_cbranch_vccnz .LBB93_248
; %bb.247:
	v_lshlrev_b32_e32 v0, 4, v0
	v_mov_b32_e32 v1, s40
	v_add_nc_u32_e32 v0, 16, v0
	s_clause 0x7
	buffer_load_dword v2, v0, s[0:3], 0 offen
	buffer_load_dword v3, v0, s[0:3], 0 offen offset:4
	buffer_load_dword v4, v0, s[0:3], 0 offen offset:8
	;; [unrolled: 1-line block ×6, first 2 shown]
	buffer_load_dword v69, v1, s[0:3], 0 offen
	s_waitcnt vmcnt(7)
	buffer_store_dword v2, v1, s[0:3], 0 offen
	s_waitcnt vmcnt(6)
	buffer_store_dword v3, v1, s[0:3], 0 offen offset:4
	s_waitcnt vmcnt(5)
	buffer_store_dword v4, v1, s[0:3], 0 offen offset:8
	;; [unrolled: 2-line block ×6, first 2 shown]
	s_waitcnt vmcnt(0)
	buffer_store_dword v69, v0, s[0:3], 0 offen
.LBB93_248:
	v_mov_b32_e32 v0, 0
	global_load_dword v1, v0, s[12:13] offset:4
	s_waitcnt vmcnt(0)
	v_add_nc_u32_e32 v1, -1, v1
	v_cmp_eq_u32_e32 vcc_lo, 1, v1
	s_cbranch_vccnz .LBB93_250
; %bb.249:
	v_lshlrev_b32_e32 v1, 4, v1
	v_mov_b32_e32 v2, s41
	v_add_nc_u32_e32 v1, 16, v1
	s_clause 0x7
	buffer_load_dword v3, v1, s[0:3], 0 offen
	buffer_load_dword v4, v1, s[0:3], 0 offen offset:4
	buffer_load_dword v65, v1, s[0:3], 0 offen offset:8
	;; [unrolled: 1-line block ×6, first 2 shown]
	buffer_load_dword v70, v2, s[0:3], 0 offen
	s_waitcnt vmcnt(7)
	buffer_store_dword v3, v2, s[0:3], 0 offen
	s_waitcnt vmcnt(6)
	buffer_store_dword v4, v2, s[0:3], 0 offen offset:4
	s_waitcnt vmcnt(5)
	buffer_store_dword v65, v2, s[0:3], 0 offen offset:8
	;; [unrolled: 2-line block ×6, first 2 shown]
	s_waitcnt vmcnt(0)
	buffer_store_dword v70, v1, s[0:3], 0 offen
.LBB93_250:
	global_load_dword v0, v0, s[12:13]
	s_waitcnt vmcnt(0)
	v_add_nc_u32_e32 v0, -1, v0
	v_cmp_eq_u32_e32 vcc_lo, 0, v0
	s_cbranch_vccnz .LBB93_252
; %bb.251:
	v_lshlrev_b32_e32 v0, 4, v0
	v_add_nc_u32_e32 v0, 16, v0
	s_clause 0x7
	buffer_load_dword v1, v0, s[0:3], 0 offen
	buffer_load_dword v2, v0, s[0:3], 0 offen offset:4
	buffer_load_dword v3, v0, s[0:3], 0 offen offset:8
	;; [unrolled: 1-line block ×3, first 2 shown]
	buffer_load_dword v65, off, s[0:3], 0 offset:28
	buffer_load_dword v66, off, s[0:3], 0 offset:24
	buffer_load_dword v67, off, s[0:3], 0 offset:20
	buffer_load_dword v68, off, s[0:3], 0 offset:16
	s_waitcnt vmcnt(7)
	buffer_store_dword v1, off, s[0:3], 0 offset:16
	s_waitcnt vmcnt(6)
	buffer_store_dword v2, off, s[0:3], 0 offset:20
	;; [unrolled: 2-line block ×4, first 2 shown]
	s_waitcnt vmcnt(3)
	buffer_store_dword v65, v0, s[0:3], 0 offen offset:12
	s_waitcnt vmcnt(2)
	buffer_store_dword v66, v0, s[0:3], 0 offen offset:8
	;; [unrolled: 2-line block ×3, first 2 shown]
	s_waitcnt vmcnt(0)
	buffer_store_dword v68, v0, s[0:3], 0 offen
.LBB93_252:
	s_clause 0x3
	buffer_load_dword v0, off, s[0:3], 0 offset:16
	buffer_load_dword v1, off, s[0:3], 0 offset:20
	;; [unrolled: 1-line block ×4, first 2 shown]
	v_mov_b32_e32 v4, s41
	s_waitcnt vmcnt(0)
	flat_store_dwordx4 v[5:6], v[0:3]
	s_clause 0x3
	buffer_load_dword v0, v4, s[0:3], 0 offen
	buffer_load_dword v1, v4, s[0:3], 0 offen offset:4
	buffer_load_dword v2, v4, s[0:3], 0 offen offset:8
	buffer_load_dword v3, v4, s[0:3], 0 offen offset:12
	v_mov_b32_e32 v4, s40
	s_waitcnt vmcnt(0)
	flat_store_dwordx4 v[59:60], v[0:3]
	s_clause 0x3
	buffer_load_dword v0, v4, s[0:3], 0 offen
	buffer_load_dword v1, v4, s[0:3], 0 offen offset:4
	buffer_load_dword v2, v4, s[0:3], 0 offen offset:8
	buffer_load_dword v3, v4, s[0:3], 0 offen offset:12
	;; [unrolled: 8-line block ×29, first 2 shown]
	s_waitcnt vmcnt(0)
	flat_store_dwordx4 v[63:64], v[0:3]
	s_endpgm
	.section	.rodata,"a",@progbits
	.p2align	6, 0x0
	.amdhsa_kernel _ZN9rocsolver6v33100L18getri_kernel_smallILi30E19rocblas_complex_numIdEPKPS3_EEvT1_iilPiilS8_bb
		.amdhsa_group_segment_fixed_size 968
		.amdhsa_private_segment_fixed_size 512
		.amdhsa_kernarg_size 60
		.amdhsa_user_sgpr_count 6
		.amdhsa_user_sgpr_private_segment_buffer 1
		.amdhsa_user_sgpr_dispatch_ptr 0
		.amdhsa_user_sgpr_queue_ptr 0
		.amdhsa_user_sgpr_kernarg_segment_ptr 1
		.amdhsa_user_sgpr_dispatch_id 0
		.amdhsa_user_sgpr_flat_scratch_init 0
		.amdhsa_user_sgpr_private_segment_size 0
		.amdhsa_wavefront_size32 1
		.amdhsa_uses_dynamic_stack 0
		.amdhsa_system_sgpr_private_segment_wavefront_offset 1
		.amdhsa_system_sgpr_workgroup_id_x 1
		.amdhsa_system_sgpr_workgroup_id_y 0
		.amdhsa_system_sgpr_workgroup_id_z 0
		.amdhsa_system_sgpr_workgroup_info 0
		.amdhsa_system_vgpr_workitem_id 0
		.amdhsa_next_free_vgpr 154
		.amdhsa_next_free_sgpr 56
		.amdhsa_reserve_vcc 1
		.amdhsa_reserve_flat_scratch 0
		.amdhsa_float_round_mode_32 0
		.amdhsa_float_round_mode_16_64 0
		.amdhsa_float_denorm_mode_32 3
		.amdhsa_float_denorm_mode_16_64 3
		.amdhsa_dx10_clamp 1
		.amdhsa_ieee_mode 1
		.amdhsa_fp16_overflow 0
		.amdhsa_workgroup_processor_mode 1
		.amdhsa_memory_ordered 1
		.amdhsa_forward_progress 1
		.amdhsa_shared_vgpr_count 0
		.amdhsa_exception_fp_ieee_invalid_op 0
		.amdhsa_exception_fp_denorm_src 0
		.amdhsa_exception_fp_ieee_div_zero 0
		.amdhsa_exception_fp_ieee_overflow 0
		.amdhsa_exception_fp_ieee_underflow 0
		.amdhsa_exception_fp_ieee_inexact 0
		.amdhsa_exception_int_div_zero 0
	.end_amdhsa_kernel
	.section	.text._ZN9rocsolver6v33100L18getri_kernel_smallILi30E19rocblas_complex_numIdEPKPS3_EEvT1_iilPiilS8_bb,"axG",@progbits,_ZN9rocsolver6v33100L18getri_kernel_smallILi30E19rocblas_complex_numIdEPKPS3_EEvT1_iilPiilS8_bb,comdat
.Lfunc_end93:
	.size	_ZN9rocsolver6v33100L18getri_kernel_smallILi30E19rocblas_complex_numIdEPKPS3_EEvT1_iilPiilS8_bb, .Lfunc_end93-_ZN9rocsolver6v33100L18getri_kernel_smallILi30E19rocblas_complex_numIdEPKPS3_EEvT1_iilPiilS8_bb
                                        ; -- End function
	.set _ZN9rocsolver6v33100L18getri_kernel_smallILi30E19rocblas_complex_numIdEPKPS3_EEvT1_iilPiilS8_bb.num_vgpr, 154
	.set _ZN9rocsolver6v33100L18getri_kernel_smallILi30E19rocblas_complex_numIdEPKPS3_EEvT1_iilPiilS8_bb.num_agpr, 0
	.set _ZN9rocsolver6v33100L18getri_kernel_smallILi30E19rocblas_complex_numIdEPKPS3_EEvT1_iilPiilS8_bb.numbered_sgpr, 56
	.set _ZN9rocsolver6v33100L18getri_kernel_smallILi30E19rocblas_complex_numIdEPKPS3_EEvT1_iilPiilS8_bb.num_named_barrier, 0
	.set _ZN9rocsolver6v33100L18getri_kernel_smallILi30E19rocblas_complex_numIdEPKPS3_EEvT1_iilPiilS8_bb.private_seg_size, 512
	.set _ZN9rocsolver6v33100L18getri_kernel_smallILi30E19rocblas_complex_numIdEPKPS3_EEvT1_iilPiilS8_bb.uses_vcc, 1
	.set _ZN9rocsolver6v33100L18getri_kernel_smallILi30E19rocblas_complex_numIdEPKPS3_EEvT1_iilPiilS8_bb.uses_flat_scratch, 0
	.set _ZN9rocsolver6v33100L18getri_kernel_smallILi30E19rocblas_complex_numIdEPKPS3_EEvT1_iilPiilS8_bb.has_dyn_sized_stack, 0
	.set _ZN9rocsolver6v33100L18getri_kernel_smallILi30E19rocblas_complex_numIdEPKPS3_EEvT1_iilPiilS8_bb.has_recursion, 0
	.set _ZN9rocsolver6v33100L18getri_kernel_smallILi30E19rocblas_complex_numIdEPKPS3_EEvT1_iilPiilS8_bb.has_indirect_call, 0
	.section	.AMDGPU.csdata,"",@progbits
; Kernel info:
; codeLenInByte = 70608
; TotalNumSgprs: 58
; NumVgprs: 154
; ScratchSize: 512
; MemoryBound: 0
; FloatMode: 240
; IeeeMode: 1
; LDSByteSize: 968 bytes/workgroup (compile time only)
; SGPRBlocks: 0
; VGPRBlocks: 19
; NumSGPRsForWavesPerEU: 58
; NumVGPRsForWavesPerEU: 154
; Occupancy: 6
; WaveLimiterHint : 1
; COMPUTE_PGM_RSRC2:SCRATCH_EN: 1
; COMPUTE_PGM_RSRC2:USER_SGPR: 6
; COMPUTE_PGM_RSRC2:TRAP_HANDLER: 0
; COMPUTE_PGM_RSRC2:TGID_X_EN: 1
; COMPUTE_PGM_RSRC2:TGID_Y_EN: 0
; COMPUTE_PGM_RSRC2:TGID_Z_EN: 0
; COMPUTE_PGM_RSRC2:TIDIG_COMP_CNT: 0
	.section	.text._ZN9rocsolver6v33100L18getri_kernel_smallILi31E19rocblas_complex_numIdEPKPS3_EEvT1_iilPiilS8_bb,"axG",@progbits,_ZN9rocsolver6v33100L18getri_kernel_smallILi31E19rocblas_complex_numIdEPKPS3_EEvT1_iilPiilS8_bb,comdat
	.globl	_ZN9rocsolver6v33100L18getri_kernel_smallILi31E19rocblas_complex_numIdEPKPS3_EEvT1_iilPiilS8_bb ; -- Begin function _ZN9rocsolver6v33100L18getri_kernel_smallILi31E19rocblas_complex_numIdEPKPS3_EEvT1_iilPiilS8_bb
	.p2align	8
	.type	_ZN9rocsolver6v33100L18getri_kernel_smallILi31E19rocblas_complex_numIdEPKPS3_EEvT1_iilPiilS8_bb,@function
_ZN9rocsolver6v33100L18getri_kernel_smallILi31E19rocblas_complex_numIdEPKPS3_EEvT1_iilPiilS8_bb: ; @_ZN9rocsolver6v33100L18getri_kernel_smallILi31E19rocblas_complex_numIdEPKPS3_EEvT1_iilPiilS8_bb
; %bb.0:
	s_add_u32 s0, s0, s7
	s_addc_u32 s1, s1, 0
	s_mov_b32 s7, exec_lo
	v_cmpx_gt_u32_e32 31, v0
	s_cbranch_execz .LBB94_138
; %bb.1:
	s_clause 0x2
	s_load_dword s16, s[4:5], 0x38
	s_load_dwordx2 s[12:13], s[4:5], 0x0
	s_load_dwordx4 s[8:11], s[4:5], 0x28
	s_waitcnt lgkmcnt(0)
	s_bitcmp1_b32 s16, 8
	s_cselect_b32 s43, -1, 0
	s_ashr_i32 s7, s6, 31
	s_lshl_b64 s[14:15], s[6:7], 3
	s_add_u32 s12, s12, s14
	s_addc_u32 s13, s13, s15
	s_load_dwordx2 s[14:15], s[12:13], 0x0
	s_bfe_u32 s12, s16, 0x10008
	s_cmp_eq_u32 s12, 0
                                        ; implicit-def: $sgpr12_sgpr13
	s_cbranch_scc1 .LBB94_3
; %bb.2:
	s_clause 0x1
	s_load_dword s12, s[4:5], 0x20
	s_load_dwordx2 s[16:17], s[4:5], 0x18
	s_mul_i32 s13, s8, s7
	s_mul_hi_u32 s18, s8, s6
	s_mul_i32 s9, s9, s6
	s_add_i32 s13, s18, s13
	s_mul_i32 s8, s8, s6
	s_add_i32 s9, s13, s9
	s_lshl_b64 s[8:9], s[8:9], 2
	s_waitcnt lgkmcnt(0)
	s_ashr_i32 s13, s12, 31
	s_add_u32 s16, s16, s8
	s_addc_u32 s17, s17, s9
	s_lshl_b64 s[8:9], s[12:13], 2
	s_add_u32 s12, s16, s8
	s_addc_u32 s13, s17, s9
.LBB94_3:
	s_clause 0x1
	s_load_dwordx2 s[8:9], s[4:5], 0x8
	s_load_dword s44, s[4:5], 0x38
	v_lshlrev_b32_e32 v73, 4, v0
	s_movk_i32 s16, 0xa0
	s_movk_i32 s17, 0xb0
	;; [unrolled: 1-line block ×17, first 2 shown]
	s_waitcnt lgkmcnt(0)
	s_ashr_i32 s5, s8, 31
	s_mov_b32 s4, s8
	v_add3_u32 v7, s9, s9, v0
	s_lshl_b64 s[4:5], s[4:5], 4
	s_movk_i32 s53, 0x1b0
	s_add_u32 s8, s14, s4
	s_addc_u32 s14, s15, s5
	v_add_co_u32 v5, s4, s8, v73
	v_add_co_ci_u32_e64 v6, null, s14, 0, s4
	s_mov_b32 s4, s9
	s_ashr_i32 s5, s9, 31
	v_ashrrev_i32_e32 v8, 31, v7
	flat_load_dwordx4 v[1:4], v[5:6]
	s_lshl_b64 s[4:5], s[4:5], 4
	s_movk_i32 s15, 0x90
	v_add_co_u32 v59, vcc_lo, v5, s4
	v_add_co_ci_u32_e64 v60, null, s5, v6, vcc_lo
	v_lshlrev_b64 v[8:9], 4, v[7:8]
	v_add_nc_u32_e32 v7, s9, v7
	s_movk_i32 s4, 0x50
	s_movk_i32 s54, 0x1c0
	;; [unrolled: 1-line block ×4, first 2 shown]
	v_add_co_u32 v57, vcc_lo, s8, v8
	v_add_co_ci_u32_e64 v58, null, s14, v9, vcc_lo
	v_ashrrev_i32_e32 v8, 31, v7
	s_add_i32 s38, s4, 16
	s_add_i32 s34, s15, 16
	;; [unrolled: 1-line block ×4, first 2 shown]
	v_lshlrev_b64 v[8:9], 4, v[7:8]
	v_add_nc_u32_e32 v7, s9, v7
	s_add_i32 s30, s18, 16
	s_add_i32 s29, s19, 16
	;; [unrolled: 1-line block ×4, first 2 shown]
	v_add_co_u32 v53, vcc_lo, s8, v8
	v_add_co_ci_u32_e64 v54, null, s14, v9, vcc_lo
	v_ashrrev_i32_e32 v8, 31, v7
	s_add_i32 s26, s22, 16
	s_add_i32 s25, s23, 16
	;; [unrolled: 1-line block ×4, first 2 shown]
	v_lshlrev_b64 v[8:9], 4, v[7:8]
	v_add_nc_u32_e32 v7, s9, v7
	s_add_i32 s22, s46, 16
	s_add_i32 s21, s47, 16
	;; [unrolled: 1-line block ×4, first 2 shown]
	v_add_co_u32 v51, vcc_lo, s8, v8
	v_add_co_ci_u32_e64 v52, null, s14, v9, vcc_lo
	v_ashrrev_i32_e32 v8, 31, v7
	s_add_i32 s18, s50, 16
	s_add_i32 s17, s51, 16
	;; [unrolled: 1-line block ×4, first 2 shown]
	v_lshlrev_b64 v[8:9], 4, v[7:8]
	v_add_nc_u32_e32 v7, s9, v7
	s_mov_b32 s5, -1
	s_mov_b32 s42, 32
	s_mov_b32 s41, 48
	s_mov_b32 s40, 64
	v_add_co_u32 v49, vcc_lo, s8, v8
	v_add_co_ci_u32_e64 v50, null, s14, v9, vcc_lo
	v_ashrrev_i32_e32 v8, 31, v7
	s_movk_i32 s39, 0x50
	s_waitcnt vmcnt(0) lgkmcnt(0)
	buffer_store_dword v4, off, s[0:3], 0 offset:28
	buffer_store_dword v3, off, s[0:3], 0 offset:24
	buffer_store_dword v2, off, s[0:3], 0 offset:20
	buffer_store_dword v1, off, s[0:3], 0 offset:16
	flat_load_dwordx4 v[1:4], v[59:60]
	v_lshlrev_b64 v[8:9], 4, v[7:8]
	v_add_nc_u32_e32 v7, s9, v7
	s_waitcnt vmcnt(0) lgkmcnt(0)
	buffer_store_dword v4, off, s[0:3], 0 offset:44
	buffer_store_dword v3, off, s[0:3], 0 offset:40
	buffer_store_dword v2, off, s[0:3], 0 offset:36
	buffer_store_dword v1, off, s[0:3], 0 offset:32
	flat_load_dwordx4 v[1:4], v[57:58]
	v_add_co_u32 v47, vcc_lo, s8, v8
	v_add_co_ci_u32_e64 v48, null, s14, v9, vcc_lo
	v_ashrrev_i32_e32 v8, 31, v7
	s_waitcnt vmcnt(0) lgkmcnt(0)
	buffer_store_dword v4, off, s[0:3], 0 offset:60
	buffer_store_dword v3, off, s[0:3], 0 offset:56
	buffer_store_dword v2, off, s[0:3], 0 offset:52
	buffer_store_dword v1, off, s[0:3], 0 offset:48
	flat_load_dwordx4 v[1:4], v[53:54]
	v_lshlrev_b64 v[8:9], 4, v[7:8]
	v_add_nc_u32_e32 v7, s9, v7
	s_waitcnt vmcnt(0) lgkmcnt(0)
	buffer_store_dword v4, off, s[0:3], 0 offset:76
	buffer_store_dword v3, off, s[0:3], 0 offset:72
	buffer_store_dword v2, off, s[0:3], 0 offset:68
	buffer_store_dword v1, off, s[0:3], 0 offset:64
	flat_load_dwordx4 v[1:4], v[51:52]
	v_add_co_u32 v45, vcc_lo, s8, v8
	v_add_co_ci_u32_e64 v46, null, s14, v9, vcc_lo
	v_ashrrev_i32_e32 v8, 31, v7
	;; [unrolled: 17-line block ×4, first 2 shown]
	s_waitcnt vmcnt(0) lgkmcnt(0)
	buffer_store_dword v4, off, s[0:3], 0 offset:156
	buffer_store_dword v3, off, s[0:3], 0 offset:152
	;; [unrolled: 1-line block ×4, first 2 shown]
	flat_load_dwordx4 v[1:4], v[41:42]
	v_lshlrev_b64 v[8:9], 4, v[7:8]
	v_add_nc_u32_e32 v7, s9, v7
	s_waitcnt vmcnt(0) lgkmcnt(0)
	buffer_store_dword v4, off, s[0:3], 0 offset:172
	buffer_store_dword v3, off, s[0:3], 0 offset:168
	;; [unrolled: 1-line block ×4, first 2 shown]
	v_add_co_u32 v39, vcc_lo, s8, v8
	v_add_co_ci_u32_e64 v40, null, s14, v9, vcc_lo
	v_ashrrev_i32_e32 v8, 31, v7
	flat_load_dwordx4 v[1:4], v[39:40]
	s_waitcnt vmcnt(0) lgkmcnt(0)
	buffer_store_dword v4, off, s[0:3], 0 offset:188
	buffer_store_dword v3, off, s[0:3], 0 offset:184
	buffer_store_dword v2, off, s[0:3], 0 offset:180
	buffer_store_dword v1, off, s[0:3], 0 offset:176
	v_lshlrev_b64 v[8:9], 4, v[7:8]
	v_add_nc_u32_e32 v7, s9, v7
	v_add_co_u32 v37, vcc_lo, s8, v8
	v_add_co_ci_u32_e64 v38, null, s14, v9, vcc_lo
	v_ashrrev_i32_e32 v8, 31, v7
	flat_load_dwordx4 v[1:4], v[37:38]
	s_waitcnt vmcnt(0) lgkmcnt(0)
	buffer_store_dword v4, off, s[0:3], 0 offset:204
	buffer_store_dword v3, off, s[0:3], 0 offset:200
	buffer_store_dword v2, off, s[0:3], 0 offset:196
	buffer_store_dword v1, off, s[0:3], 0 offset:192
	v_lshlrev_b64 v[8:9], 4, v[7:8]
	v_add_nc_u32_e32 v7, s9, v7
	;; [unrolled: 11-line block ×13, first 2 shown]
	v_add_co_u32 v11, vcc_lo, s8, v8
	v_add_co_ci_u32_e64 v12, null, s14, v9, vcc_lo
	v_ashrrev_i32_e32 v8, 31, v7
	v_add_nc_u32_e32 v35, s9, v7
	flat_load_dwordx4 v[1:4], v[11:12]
	s_waitcnt vmcnt(0) lgkmcnt(0)
	buffer_store_dword v4, off, s[0:3], 0 offset:396
	buffer_store_dword v3, off, s[0:3], 0 offset:392
	;; [unrolled: 1-line block ×4, first 2 shown]
	v_lshlrev_b64 v[9:10], 4, v[7:8]
	v_ashrrev_i32_e32 v36, 31, v35
	v_add_nc_u32_e32 v55, s9, v35
	v_add_co_u32 v9, vcc_lo, s8, v9
	v_add_co_ci_u32_e64 v10, null, s14, v10, vcc_lo
	v_lshlrev_b64 v[7:8], 4, v[35:36]
	v_ashrrev_i32_e32 v56, 31, v55
	v_add_nc_u32_e32 v61, s9, v55
	flat_load_dwordx4 v[1:4], v[9:10]
	s_waitcnt vmcnt(0) lgkmcnt(0)
	buffer_store_dword v4, off, s[0:3], 0 offset:412
	buffer_store_dword v3, off, s[0:3], 0 offset:408
	buffer_store_dword v2, off, s[0:3], 0 offset:404
	buffer_store_dword v1, off, s[0:3], 0 offset:400
	v_add_co_u32 v7, vcc_lo, s8, v7
	v_add_co_ci_u32_e64 v8, null, s14, v8, vcc_lo
	v_lshlrev_b64 v[35:36], 4, v[55:56]
	v_ashrrev_i32_e32 v62, 31, v61
	v_add_nc_u32_e32 v63, s9, v61
	flat_load_dwordx4 v[1:4], v[7:8]
	s_waitcnt vmcnt(0) lgkmcnt(0)
	buffer_store_dword v4, off, s[0:3], 0 offset:428
	buffer_store_dword v3, off, s[0:3], 0 offset:424
	buffer_store_dword v2, off, s[0:3], 0 offset:420
	buffer_store_dword v1, off, s[0:3], 0 offset:416
	;; [unrolled: 11-line block ×3, first 2 shown]
	v_add_co_u32 v55, vcc_lo, s8, v55
	v_add_co_ci_u32_e64 v56, null, s14, v56, vcc_lo
	v_lshlrev_b64 v[61:62], 4, v[63:64]
	v_ashrrev_i32_e32 v66, 31, v65
	flat_load_dwordx4 v[1:4], v[55:56]
	s_waitcnt vmcnt(0) lgkmcnt(0)
	buffer_store_dword v4, off, s[0:3], 0 offset:460
	buffer_store_dword v3, off, s[0:3], 0 offset:456
	;; [unrolled: 1-line block ×4, first 2 shown]
	v_add_co_u32 v61, vcc_lo, s8, v61
	v_add_co_ci_u32_e64 v62, null, s14, v62, vcc_lo
	v_lshlrev_b64 v[63:64], 4, v[65:66]
	v_add_nc_u32_e32 v65, s9, v65
	s_movk_i32 s9, 0x70
	flat_load_dwordx4 v[1:4], v[61:62]
	s_add_i32 s36, s9, 16
	s_add_i32 s9, s55, 16
	v_add_co_u32 v63, vcc_lo, s8, v63
	v_add_co_ci_u32_e64 v64, null, s14, v64, vcc_lo
	v_ashrrev_i32_e32 v66, 31, v65
	s_waitcnt vmcnt(0) lgkmcnt(0)
	buffer_store_dword v4, off, s[0:3], 0 offset:476
	buffer_store_dword v3, off, s[0:3], 0 offset:472
	buffer_store_dword v2, off, s[0:3], 0 offset:468
	buffer_store_dword v1, off, s[0:3], 0 offset:464
	flat_load_dwordx4 v[1:4], v[63:64]
	v_lshlrev_b64 v[65:66], 4, v[65:66]
	s_waitcnt vmcnt(0) lgkmcnt(0)
	buffer_store_dword v4, off, s[0:3], 0 offset:492
	buffer_store_dword v3, off, s[0:3], 0 offset:488
	buffer_store_dword v2, off, s[0:3], 0 offset:484
	buffer_store_dword v1, off, s[0:3], 0 offset:480
	v_add_co_u32 v65, vcc_lo, s8, v65
	v_add_co_ci_u32_e64 v66, null, s14, v66, vcc_lo
	s_movk_i32 s8, 0x60
	s_movk_i32 s14, 0x80
	s_add_i32 s37, s8, 16
	flat_load_dwordx4 v[1:4], v[65:66]
	s_add_i32 s35, s14, 16
	s_add_i32 s14, s54, 16
	;; [unrolled: 1-line block ×3, first 2 shown]
	s_bitcmp0_b32 s44, 0
	s_waitcnt vmcnt(0) lgkmcnt(0)
	buffer_store_dword v4, off, s[0:3], 0 offset:508
	buffer_store_dword v3, off, s[0:3], 0 offset:504
	;; [unrolled: 1-line block ×4, first 2 shown]
	s_cbranch_scc1 .LBB94_136
; %bb.4:
	v_cmp_eq_u32_e64 s4, 0, v0
	s_and_saveexec_b32 s5, s4
; %bb.5:
	v_mov_b32_e32 v1, 0
	ds_write_b32 v1, v1 offset:992
; %bb.6:
	s_or_b32 exec_lo, exec_lo, s5
	v_lshl_add_u32 v74, v0, 4, 16
	s_waitcnt lgkmcnt(0)
	s_waitcnt_vscnt null, 0x0
	s_barrier
	buffer_gl0_inv
	s_clause 0x3
	buffer_load_dword v1, v74, s[0:3], 0 offen
	buffer_load_dword v2, v74, s[0:3], 0 offen offset:4
	buffer_load_dword v3, v74, s[0:3], 0 offen offset:8
	;; [unrolled: 1-line block ×3, first 2 shown]
	s_waitcnt vmcnt(2)
	v_cmp_eq_f64_e32 vcc_lo, 0, v[1:2]
	s_waitcnt vmcnt(0)
	v_cmp_eq_f64_e64 s5, 0, v[3:4]
	s_and_b32 s5, vcc_lo, s5
	s_and_saveexec_b32 s44, s5
	s_cbranch_execz .LBB94_10
; %bb.7:
	v_mov_b32_e32 v1, 0
	s_mov_b32 s45, 0
	ds_read_b32 v2, v1 offset:992
	s_waitcnt lgkmcnt(0)
	v_readfirstlane_b32 s5, v2
	v_add_nc_u32_e32 v2, 1, v0
	s_cmp_eq_u32 s5, 0
	v_cmp_gt_i32_e32 vcc_lo, s5, v2
	s_cselect_b32 s46, -1, 0
	s_or_b32 s46, s46, vcc_lo
	s_and_b32 exec_lo, exec_lo, s46
	s_cbranch_execz .LBB94_10
; %bb.8:
	v_mov_b32_e32 v3, s5
.LBB94_9:                               ; =>This Inner Loop Header: Depth=1
	ds_cmpst_rtn_b32 v3, v1, v3, v2 offset:992
	s_waitcnt lgkmcnt(0)
	v_cmp_ne_u32_e32 vcc_lo, 0, v3
	v_cmp_le_i32_e64 s5, v3, v2
	s_and_b32 s5, vcc_lo, s5
	s_and_b32 s5, exec_lo, s5
	s_or_b32 s45, s5, s45
	s_andn2_b32 exec_lo, exec_lo, s45
	s_cbranch_execnz .LBB94_9
.LBB94_10:
	s_or_b32 exec_lo, exec_lo, s44
	v_mov_b32_e32 v1, 0
	s_barrier
	buffer_gl0_inv
	ds_read_b32 v2, v1 offset:992
	s_and_saveexec_b32 s5, s4
	s_cbranch_execz .LBB94_12
; %bb.11:
	s_lshl_b64 s[44:45], s[6:7], 2
	s_add_u32 s44, s10, s44
	s_addc_u32 s45, s11, s45
	s_waitcnt lgkmcnt(0)
	global_store_dword v1, v2, s[44:45]
.LBB94_12:
	s_or_b32 exec_lo, exec_lo, s5
	s_waitcnt lgkmcnt(0)
	v_cmp_ne_u32_e32 vcc_lo, 0, v2
	s_mov_b32 s5, 0
	s_cbranch_vccnz .LBB94_136
; %bb.13:
	s_clause 0x3
	buffer_load_dword v69, v74, s[0:3], 0 offen
	buffer_load_dword v70, v74, s[0:3], 0 offen offset:4
	buffer_load_dword v71, v74, s[0:3], 0 offen offset:8
	;; [unrolled: 1-line block ×3, first 2 shown]
                                        ; implicit-def: $vgpr67_vgpr68
                                        ; implicit-def: $vgpr3_vgpr4
	s_waitcnt vmcnt(0)
	v_cmp_ngt_f64_e64 s5, |v[69:70]|, |v[71:72]|
	s_and_saveexec_b32 s44, s5
	s_xor_b32 s5, exec_lo, s44
	s_cbranch_execz .LBB94_15
; %bb.14:
	v_div_scale_f64 v[1:2], null, v[71:72], v[71:72], v[69:70]
	v_div_scale_f64 v[75:76], vcc_lo, v[69:70], v[71:72], v[69:70]
	v_rcp_f64_e32 v[3:4], v[1:2]
	v_fma_f64 v[67:68], -v[1:2], v[3:4], 1.0
	v_fma_f64 v[3:4], v[3:4], v[67:68], v[3:4]
	v_fma_f64 v[67:68], -v[1:2], v[3:4], 1.0
	v_fma_f64 v[3:4], v[3:4], v[67:68], v[3:4]
	v_mul_f64 v[67:68], v[75:76], v[3:4]
	v_fma_f64 v[1:2], -v[1:2], v[67:68], v[75:76]
	v_div_fmas_f64 v[1:2], v[1:2], v[3:4], v[67:68]
	v_div_fixup_f64 v[1:2], v[1:2], v[71:72], v[69:70]
	v_fma_f64 v[3:4], v[69:70], v[1:2], v[71:72]
	v_div_scale_f64 v[67:68], null, v[3:4], v[3:4], 1.0
	v_div_scale_f64 v[75:76], vcc_lo, 1.0, v[3:4], 1.0
	v_rcp_f64_e32 v[69:70], v[67:68]
	v_fma_f64 v[71:72], -v[67:68], v[69:70], 1.0
	v_fma_f64 v[69:70], v[69:70], v[71:72], v[69:70]
	v_fma_f64 v[71:72], -v[67:68], v[69:70], 1.0
	v_fma_f64 v[69:70], v[69:70], v[71:72], v[69:70]
	v_mul_f64 v[71:72], v[75:76], v[69:70]
	v_fma_f64 v[67:68], -v[67:68], v[71:72], v[75:76]
	v_div_fmas_f64 v[67:68], v[67:68], v[69:70], v[71:72]
                                        ; implicit-def: $vgpr69_vgpr70
                                        ; implicit-def: $vgpr71_vgpr72
	v_div_fixup_f64 v[3:4], v[67:68], v[3:4], 1.0
	v_mul_f64 v[67:68], v[1:2], v[3:4]
	v_xor_b32_e32 v4, 0x80000000, v4
	v_xor_b32_e32 v2, 0x80000000, v68
	v_mov_b32_e32 v1, v67
.LBB94_15:
	s_andn2_saveexec_b32 s5, s5
	s_cbranch_execz .LBB94_17
; %bb.16:
	v_div_scale_f64 v[1:2], null, v[69:70], v[69:70], v[71:72]
	v_div_scale_f64 v[75:76], vcc_lo, v[71:72], v[69:70], v[71:72]
	v_rcp_f64_e32 v[3:4], v[1:2]
	v_fma_f64 v[67:68], -v[1:2], v[3:4], 1.0
	v_fma_f64 v[3:4], v[3:4], v[67:68], v[3:4]
	v_fma_f64 v[67:68], -v[1:2], v[3:4], 1.0
	v_fma_f64 v[3:4], v[3:4], v[67:68], v[3:4]
	v_mul_f64 v[67:68], v[75:76], v[3:4]
	v_fma_f64 v[1:2], -v[1:2], v[67:68], v[75:76]
	v_div_fmas_f64 v[1:2], v[1:2], v[3:4], v[67:68]
	v_div_fixup_f64 v[1:2], v[1:2], v[69:70], v[71:72]
	v_fma_f64 v[3:4], v[71:72], v[1:2], v[69:70]
	v_div_scale_f64 v[67:68], null, v[3:4], v[3:4], 1.0
	v_rcp_f64_e32 v[69:70], v[67:68]
	v_fma_f64 v[71:72], -v[67:68], v[69:70], 1.0
	v_fma_f64 v[69:70], v[69:70], v[71:72], v[69:70]
	v_fma_f64 v[71:72], -v[67:68], v[69:70], 1.0
	v_fma_f64 v[69:70], v[69:70], v[71:72], v[69:70]
	v_div_scale_f64 v[71:72], vcc_lo, 1.0, v[3:4], 1.0
	v_mul_f64 v[75:76], v[71:72], v[69:70]
	v_fma_f64 v[67:68], -v[67:68], v[75:76], v[71:72]
	v_div_fmas_f64 v[67:68], v[67:68], v[69:70], v[75:76]
	v_div_fixup_f64 v[67:68], v[67:68], v[3:4], 1.0
	v_mul_f64 v[3:4], v[1:2], -v[67:68]
	v_xor_b32_e32 v2, 0x80000000, v68
	v_mov_b32_e32 v1, v67
.LBB94_17:
	s_or_b32 exec_lo, exec_lo, s5
	v_mov_b32_e32 v72, s42
	buffer_store_dword v68, v74, s[0:3], 0 offen offset:4
	buffer_store_dword v67, v74, s[0:3], 0 offen
	buffer_store_dword v4, v74, s[0:3], 0 offen offset:12
	buffer_store_dword v3, v74, s[0:3], 0 offen offset:8
	v_xor_b32_e32 v4, 0x80000000, v4
	v_add_nc_u32_e32 v67, 0x1f0, v73
	s_clause 0x3
	buffer_load_dword v71, v72, s[0:3], 0 offen offset:12
	buffer_load_dword v70, v72, s[0:3], 0 offen offset:8
	;; [unrolled: 1-line block ×3, first 2 shown]
	buffer_load_dword v68, v72, s[0:3], 0 offen
	ds_write_b128 v73, v[1:4]
	s_waitcnt vmcnt(0)
	ds_write_b128 v73, v[68:71] offset:496
	s_waitcnt lgkmcnt(0)
	s_waitcnt_vscnt null, 0x0
	s_barrier
	buffer_gl0_inv
	s_and_saveexec_b32 s5, s4
	s_cbranch_execz .LBB94_19
; %bb.18:
	s_clause 0x3
	buffer_load_dword v75, v74, s[0:3], 0 offen offset:8
	buffer_load_dword v76, v74, s[0:3], 0 offen offset:12
	buffer_load_dword v77, v74, s[0:3], 0 offen
	buffer_load_dword v78, v74, s[0:3], 0 offen offset:4
	ds_read_b128 v[1:4], v67
	v_mov_b32_e32 v68, 0
	ds_read_b128 v[68:71], v68 offset:16
	s_waitcnt vmcnt(2) lgkmcnt(1)
	v_mul_f64 v[79:80], v[1:2], v[75:76]
	v_mul_f64 v[75:76], v[3:4], v[75:76]
	s_waitcnt vmcnt(0)
	v_fma_f64 v[3:4], v[3:4], v[77:78], v[79:80]
	v_fma_f64 v[1:2], v[1:2], v[77:78], -v[75:76]
	v_add_f64 v[3:4], v[3:4], 0
	v_add_f64 v[1:2], v[1:2], 0
	s_waitcnt lgkmcnt(0)
	v_mul_f64 v[75:76], v[3:4], v[70:71]
	v_mul_f64 v[70:71], v[1:2], v[70:71]
	v_fma_f64 v[1:2], v[1:2], v[68:69], -v[75:76]
	v_fma_f64 v[3:4], v[3:4], v[68:69], v[70:71]
	buffer_store_dword v1, off, s[0:3], 0 offset:32
	buffer_store_dword v2, off, s[0:3], 0 offset:36
	;; [unrolled: 1-line block ×4, first 2 shown]
.LBB94_19:
	s_or_b32 exec_lo, exec_lo, s5
	v_mov_b32_e32 v4, s41
	s_waitcnt_vscnt null, 0x0
	s_barrier
	buffer_gl0_inv
	s_mov_b32 s5, exec_lo
	s_clause 0x3
	buffer_load_dword v1, v4, s[0:3], 0 offen
	buffer_load_dword v2, v4, s[0:3], 0 offen offset:4
	buffer_load_dword v3, v4, s[0:3], 0 offen offset:8
	;; [unrolled: 1-line block ×3, first 2 shown]
	s_waitcnt vmcnt(0)
	ds_write_b128 v67, v[1:4]
	s_waitcnt lgkmcnt(0)
	s_barrier
	buffer_gl0_inv
	v_cmpx_gt_u32_e32 2, v0
	s_cbranch_execz .LBB94_23
; %bb.20:
	s_clause 0x3
	buffer_load_dword v68, v74, s[0:3], 0 offen offset:8
	buffer_load_dword v69, v74, s[0:3], 0 offen offset:12
	buffer_load_dword v70, v74, s[0:3], 0 offen
	buffer_load_dword v71, v74, s[0:3], 0 offen offset:4
	ds_read_b128 v[1:4], v67
	s_waitcnt vmcnt(2) lgkmcnt(0)
	v_mul_f64 v[74:75], v[3:4], v[68:69]
	v_mul_f64 v[68:69], v[1:2], v[68:69]
	s_waitcnt vmcnt(0)
	v_fma_f64 v[1:2], v[1:2], v[70:71], -v[74:75]
	v_fma_f64 v[3:4], v[3:4], v[70:71], v[68:69]
	v_add_f64 v[1:2], v[1:2], 0
	v_add_f64 v[3:4], v[3:4], 0
	s_and_saveexec_b32 s44, s4
	s_cbranch_execz .LBB94_22
; %bb.21:
	s_clause 0x3
	buffer_load_dword v74, off, s[0:3], 0 offset:40
	buffer_load_dword v75, off, s[0:3], 0 offset:44
	;; [unrolled: 1-line block ×4, first 2 shown]
	v_mov_b32_e32 v68, 0
	ds_read_b128 v[68:71], v68 offset:512
	s_waitcnt vmcnt(2) lgkmcnt(0)
	v_mul_f64 v[78:79], v[68:69], v[74:75]
	v_mul_f64 v[74:75], v[70:71], v[74:75]
	s_waitcnt vmcnt(0)
	v_fma_f64 v[70:71], v[70:71], v[76:77], v[78:79]
	v_fma_f64 v[68:69], v[68:69], v[76:77], -v[74:75]
	v_add_f64 v[3:4], v[3:4], v[70:71]
	v_add_f64 v[1:2], v[1:2], v[68:69]
.LBB94_22:
	s_or_b32 exec_lo, exec_lo, s44
	v_mov_b32_e32 v68, 0
	ds_read_b128 v[68:71], v68 offset:32
	s_waitcnt lgkmcnt(0)
	v_mul_f64 v[74:75], v[3:4], v[70:71]
	v_mul_f64 v[70:71], v[1:2], v[70:71]
	v_fma_f64 v[1:2], v[1:2], v[68:69], -v[74:75]
	v_fma_f64 v[3:4], v[3:4], v[68:69], v[70:71]
	buffer_store_dword v2, off, s[0:3], 0 offset:52
	buffer_store_dword v1, off, s[0:3], 0 offset:48
	;; [unrolled: 1-line block ×4, first 2 shown]
.LBB94_23:
	s_or_b32 exec_lo, exec_lo, s5
	v_mov_b32_e32 v4, s40
	s_waitcnt_vscnt null, 0x0
	s_barrier
	buffer_gl0_inv
	v_add_nc_u32_e32 v68, -1, v0
	s_clause 0x3
	buffer_load_dword v1, v4, s[0:3], 0 offen
	buffer_load_dword v2, v4, s[0:3], 0 offen offset:4
	buffer_load_dword v3, v4, s[0:3], 0 offen offset:8
	;; [unrolled: 1-line block ×3, first 2 shown]
	s_mov_b32 s4, exec_lo
	s_waitcnt vmcnt(0)
	ds_write_b128 v67, v[1:4]
	s_waitcnt lgkmcnt(0)
	s_barrier
	buffer_gl0_inv
	v_cmpx_gt_u32_e32 3, v0
	s_cbranch_execz .LBB94_27
; %bb.24:
	v_mov_b32_e32 v1, 0
	v_mov_b32_e32 v3, 0
	v_add_nc_u32_e32 v69, -1, v0
	v_add_nc_u32_e32 v70, 0x1f0, v73
	v_mov_b32_e32 v2, 0
	v_mov_b32_e32 v4, 0
	v_add_nc_u32_e32 v71, 16, v73
	s_mov_b32 s5, 0
	.p2align	6
.LBB94_25:                              ; =>This Inner Loop Header: Depth=1
	s_clause 0x3
	buffer_load_dword v78, v71, s[0:3], 0 offen offset:8
	buffer_load_dword v79, v71, s[0:3], 0 offen offset:12
	buffer_load_dword v80, v71, s[0:3], 0 offen
	buffer_load_dword v81, v71, s[0:3], 0 offen offset:4
	ds_read_b128 v[74:77], v70
	v_add_nc_u32_e32 v69, 1, v69
	v_add_nc_u32_e32 v70, 16, v70
	;; [unrolled: 1-line block ×3, first 2 shown]
	v_cmp_lt_u32_e32 vcc_lo, 1, v69
	s_or_b32 s5, vcc_lo, s5
	s_waitcnt vmcnt(2) lgkmcnt(0)
	v_mul_f64 v[82:83], v[76:77], v[78:79]
	v_mul_f64 v[78:79], v[74:75], v[78:79]
	s_waitcnt vmcnt(0)
	v_fma_f64 v[74:75], v[74:75], v[80:81], -v[82:83]
	v_fma_f64 v[76:77], v[76:77], v[80:81], v[78:79]
	v_add_f64 v[3:4], v[3:4], v[74:75]
	v_add_f64 v[1:2], v[1:2], v[76:77]
	s_andn2_b32 exec_lo, exec_lo, s5
	s_cbranch_execnz .LBB94_25
; %bb.26:
	s_or_b32 exec_lo, exec_lo, s5
	v_mov_b32_e32 v69, 0
	ds_read_b128 v[69:72], v69 offset:48
	s_waitcnt lgkmcnt(0)
	v_mul_f64 v[74:75], v[1:2], v[71:72]
	v_mul_f64 v[71:72], v[3:4], v[71:72]
	v_fma_f64 v[3:4], v[3:4], v[69:70], -v[74:75]
	v_fma_f64 v[1:2], v[1:2], v[69:70], v[71:72]
	buffer_store_dword v4, off, s[0:3], 0 offset:68
	buffer_store_dword v3, off, s[0:3], 0 offset:64
	;; [unrolled: 1-line block ×4, first 2 shown]
.LBB94_27:
	s_or_b32 exec_lo, exec_lo, s4
	v_mov_b32_e32 v4, s39
	s_waitcnt_vscnt null, 0x0
	s_barrier
	buffer_gl0_inv
	s_mov_b32 s4, exec_lo
	s_clause 0x3
	buffer_load_dword v1, v4, s[0:3], 0 offen
	buffer_load_dword v2, v4, s[0:3], 0 offen offset:4
	buffer_load_dword v3, v4, s[0:3], 0 offen offset:8
	;; [unrolled: 1-line block ×3, first 2 shown]
	s_waitcnt vmcnt(0)
	ds_write_b128 v67, v[1:4]
	s_waitcnt lgkmcnt(0)
	s_barrier
	buffer_gl0_inv
	v_cmpx_gt_u32_e32 4, v0
	s_cbranch_execz .LBB94_31
; %bb.28:
	v_mov_b32_e32 v1, 0
	v_mov_b32_e32 v3, 0
	v_add_nc_u32_e32 v69, -1, v0
	v_add_nc_u32_e32 v70, 0x1f0, v73
	v_mov_b32_e32 v2, 0
	v_mov_b32_e32 v4, 0
	v_add_nc_u32_e32 v71, 16, v73
	s_mov_b32 s5, 0
	.p2align	6
.LBB94_29:                              ; =>This Inner Loop Header: Depth=1
	s_clause 0x3
	buffer_load_dword v78, v71, s[0:3], 0 offen offset:8
	buffer_load_dword v79, v71, s[0:3], 0 offen offset:12
	buffer_load_dword v80, v71, s[0:3], 0 offen
	buffer_load_dword v81, v71, s[0:3], 0 offen offset:4
	ds_read_b128 v[74:77], v70
	v_add_nc_u32_e32 v69, 1, v69
	v_add_nc_u32_e32 v70, 16, v70
	;; [unrolled: 1-line block ×3, first 2 shown]
	v_cmp_lt_u32_e32 vcc_lo, 2, v69
	s_or_b32 s5, vcc_lo, s5
	s_waitcnt vmcnt(2) lgkmcnt(0)
	v_mul_f64 v[82:83], v[76:77], v[78:79]
	v_mul_f64 v[78:79], v[74:75], v[78:79]
	s_waitcnt vmcnt(0)
	v_fma_f64 v[74:75], v[74:75], v[80:81], -v[82:83]
	v_fma_f64 v[76:77], v[76:77], v[80:81], v[78:79]
	v_add_f64 v[3:4], v[3:4], v[74:75]
	v_add_f64 v[1:2], v[1:2], v[76:77]
	s_andn2_b32 exec_lo, exec_lo, s5
	s_cbranch_execnz .LBB94_29
; %bb.30:
	s_or_b32 exec_lo, exec_lo, s5
	v_mov_b32_e32 v69, 0
	ds_read_b128 v[69:72], v69 offset:64
	s_waitcnt lgkmcnt(0)
	v_mul_f64 v[74:75], v[1:2], v[71:72]
	v_mul_f64 v[71:72], v[3:4], v[71:72]
	v_fma_f64 v[3:4], v[3:4], v[69:70], -v[74:75]
	v_fma_f64 v[1:2], v[1:2], v[69:70], v[71:72]
	buffer_store_dword v4, off, s[0:3], 0 offset:84
	buffer_store_dword v3, off, s[0:3], 0 offset:80
	;; [unrolled: 1-line block ×4, first 2 shown]
.LBB94_31:
	s_or_b32 exec_lo, exec_lo, s4
	v_mov_b32_e32 v4, s38
	s_waitcnt_vscnt null, 0x0
	s_barrier
	buffer_gl0_inv
	s_mov_b32 s4, exec_lo
	s_clause 0x3
	buffer_load_dword v1, v4, s[0:3], 0 offen
	buffer_load_dword v2, v4, s[0:3], 0 offen offset:4
	buffer_load_dword v3, v4, s[0:3], 0 offen offset:8
	;; [unrolled: 1-line block ×3, first 2 shown]
	s_waitcnt vmcnt(0)
	ds_write_b128 v67, v[1:4]
	s_waitcnt lgkmcnt(0)
	s_barrier
	buffer_gl0_inv
	v_cmpx_gt_u32_e32 5, v0
	s_cbranch_execz .LBB94_35
; %bb.32:
	v_mov_b32_e32 v1, 0
	v_mov_b32_e32 v3, 0
	v_add_nc_u32_e32 v69, -1, v0
	v_add_nc_u32_e32 v70, 0x1f0, v73
	v_mov_b32_e32 v2, 0
	v_mov_b32_e32 v4, 0
	v_add_nc_u32_e32 v71, 16, v73
	s_mov_b32 s5, 0
	.p2align	6
.LBB94_33:                              ; =>This Inner Loop Header: Depth=1
	s_clause 0x3
	buffer_load_dword v78, v71, s[0:3], 0 offen offset:8
	buffer_load_dword v79, v71, s[0:3], 0 offen offset:12
	buffer_load_dword v80, v71, s[0:3], 0 offen
	buffer_load_dword v81, v71, s[0:3], 0 offen offset:4
	ds_read_b128 v[74:77], v70
	v_add_nc_u32_e32 v69, 1, v69
	v_add_nc_u32_e32 v70, 16, v70
	;; [unrolled: 1-line block ×3, first 2 shown]
	v_cmp_lt_u32_e32 vcc_lo, 3, v69
	s_or_b32 s5, vcc_lo, s5
	s_waitcnt vmcnt(2) lgkmcnt(0)
	v_mul_f64 v[82:83], v[76:77], v[78:79]
	v_mul_f64 v[78:79], v[74:75], v[78:79]
	s_waitcnt vmcnt(0)
	v_fma_f64 v[74:75], v[74:75], v[80:81], -v[82:83]
	v_fma_f64 v[76:77], v[76:77], v[80:81], v[78:79]
	v_add_f64 v[3:4], v[3:4], v[74:75]
	v_add_f64 v[1:2], v[1:2], v[76:77]
	s_andn2_b32 exec_lo, exec_lo, s5
	s_cbranch_execnz .LBB94_33
; %bb.34:
	s_or_b32 exec_lo, exec_lo, s5
	v_mov_b32_e32 v69, 0
	ds_read_b128 v[69:72], v69 offset:80
	s_waitcnt lgkmcnt(0)
	v_mul_f64 v[74:75], v[1:2], v[71:72]
	v_mul_f64 v[71:72], v[3:4], v[71:72]
	v_fma_f64 v[3:4], v[3:4], v[69:70], -v[74:75]
	v_fma_f64 v[1:2], v[1:2], v[69:70], v[71:72]
	buffer_store_dword v4, off, s[0:3], 0 offset:100
	buffer_store_dword v3, off, s[0:3], 0 offset:96
	;; [unrolled: 1-line block ×4, first 2 shown]
.LBB94_35:
	s_or_b32 exec_lo, exec_lo, s4
	v_mov_b32_e32 v4, s37
	s_waitcnt_vscnt null, 0x0
	s_barrier
	buffer_gl0_inv
	s_mov_b32 s4, exec_lo
	s_clause 0x3
	buffer_load_dword v1, v4, s[0:3], 0 offen
	buffer_load_dword v2, v4, s[0:3], 0 offen offset:4
	buffer_load_dword v3, v4, s[0:3], 0 offen offset:8
	;; [unrolled: 1-line block ×3, first 2 shown]
	s_waitcnt vmcnt(0)
	ds_write_b128 v67, v[1:4]
	s_waitcnt lgkmcnt(0)
	s_barrier
	buffer_gl0_inv
	v_cmpx_gt_u32_e32 6, v0
	s_cbranch_execz .LBB94_39
; %bb.36:
	v_mov_b32_e32 v1, 0
	v_mov_b32_e32 v3, 0
	v_add_nc_u32_e32 v69, -1, v0
	v_add_nc_u32_e32 v70, 0x1f0, v73
	v_mov_b32_e32 v2, 0
	v_mov_b32_e32 v4, 0
	v_add_nc_u32_e32 v71, 16, v73
	s_mov_b32 s5, 0
	.p2align	6
.LBB94_37:                              ; =>This Inner Loop Header: Depth=1
	s_clause 0x3
	buffer_load_dword v78, v71, s[0:3], 0 offen offset:8
	buffer_load_dword v79, v71, s[0:3], 0 offen offset:12
	buffer_load_dword v80, v71, s[0:3], 0 offen
	buffer_load_dword v81, v71, s[0:3], 0 offen offset:4
	ds_read_b128 v[74:77], v70
	v_add_nc_u32_e32 v69, 1, v69
	v_add_nc_u32_e32 v70, 16, v70
	;; [unrolled: 1-line block ×3, first 2 shown]
	v_cmp_lt_u32_e32 vcc_lo, 4, v69
	s_or_b32 s5, vcc_lo, s5
	s_waitcnt vmcnt(2) lgkmcnt(0)
	v_mul_f64 v[82:83], v[76:77], v[78:79]
	v_mul_f64 v[78:79], v[74:75], v[78:79]
	s_waitcnt vmcnt(0)
	v_fma_f64 v[74:75], v[74:75], v[80:81], -v[82:83]
	v_fma_f64 v[76:77], v[76:77], v[80:81], v[78:79]
	v_add_f64 v[3:4], v[3:4], v[74:75]
	v_add_f64 v[1:2], v[1:2], v[76:77]
	s_andn2_b32 exec_lo, exec_lo, s5
	s_cbranch_execnz .LBB94_37
; %bb.38:
	s_or_b32 exec_lo, exec_lo, s5
	v_mov_b32_e32 v69, 0
	ds_read_b128 v[69:72], v69 offset:96
	s_waitcnt lgkmcnt(0)
	v_mul_f64 v[74:75], v[1:2], v[71:72]
	v_mul_f64 v[71:72], v[3:4], v[71:72]
	v_fma_f64 v[3:4], v[3:4], v[69:70], -v[74:75]
	v_fma_f64 v[1:2], v[1:2], v[69:70], v[71:72]
	buffer_store_dword v4, off, s[0:3], 0 offset:116
	buffer_store_dword v3, off, s[0:3], 0 offset:112
	;; [unrolled: 1-line block ×4, first 2 shown]
.LBB94_39:
	s_or_b32 exec_lo, exec_lo, s4
	v_mov_b32_e32 v4, s36
	s_waitcnt_vscnt null, 0x0
	s_barrier
	buffer_gl0_inv
	s_mov_b32 s4, exec_lo
	s_clause 0x3
	buffer_load_dword v1, v4, s[0:3], 0 offen
	buffer_load_dword v2, v4, s[0:3], 0 offen offset:4
	buffer_load_dword v3, v4, s[0:3], 0 offen offset:8
	;; [unrolled: 1-line block ×3, first 2 shown]
	s_waitcnt vmcnt(0)
	ds_write_b128 v67, v[1:4]
	s_waitcnt lgkmcnt(0)
	s_barrier
	buffer_gl0_inv
	v_cmpx_gt_u32_e32 7, v0
	s_cbranch_execz .LBB94_43
; %bb.40:
	v_mov_b32_e32 v1, 0
	v_mov_b32_e32 v3, 0
	v_add_nc_u32_e32 v69, -1, v0
	v_add_nc_u32_e32 v70, 0x1f0, v73
	v_mov_b32_e32 v2, 0
	v_mov_b32_e32 v4, 0
	v_add_nc_u32_e32 v71, 16, v73
	s_mov_b32 s5, 0
	.p2align	6
.LBB94_41:                              ; =>This Inner Loop Header: Depth=1
	s_clause 0x3
	buffer_load_dword v78, v71, s[0:3], 0 offen offset:8
	buffer_load_dword v79, v71, s[0:3], 0 offen offset:12
	buffer_load_dword v80, v71, s[0:3], 0 offen
	buffer_load_dword v81, v71, s[0:3], 0 offen offset:4
	ds_read_b128 v[74:77], v70
	v_add_nc_u32_e32 v69, 1, v69
	v_add_nc_u32_e32 v70, 16, v70
	;; [unrolled: 1-line block ×3, first 2 shown]
	v_cmp_lt_u32_e32 vcc_lo, 5, v69
	s_or_b32 s5, vcc_lo, s5
	s_waitcnt vmcnt(2) lgkmcnt(0)
	v_mul_f64 v[82:83], v[76:77], v[78:79]
	v_mul_f64 v[78:79], v[74:75], v[78:79]
	s_waitcnt vmcnt(0)
	v_fma_f64 v[74:75], v[74:75], v[80:81], -v[82:83]
	v_fma_f64 v[76:77], v[76:77], v[80:81], v[78:79]
	v_add_f64 v[3:4], v[3:4], v[74:75]
	v_add_f64 v[1:2], v[1:2], v[76:77]
	s_andn2_b32 exec_lo, exec_lo, s5
	s_cbranch_execnz .LBB94_41
; %bb.42:
	s_or_b32 exec_lo, exec_lo, s5
	v_mov_b32_e32 v69, 0
	ds_read_b128 v[69:72], v69 offset:112
	s_waitcnt lgkmcnt(0)
	v_mul_f64 v[74:75], v[1:2], v[71:72]
	v_mul_f64 v[71:72], v[3:4], v[71:72]
	v_fma_f64 v[3:4], v[3:4], v[69:70], -v[74:75]
	v_fma_f64 v[1:2], v[1:2], v[69:70], v[71:72]
	buffer_store_dword v4, off, s[0:3], 0 offset:132
	buffer_store_dword v3, off, s[0:3], 0 offset:128
	;; [unrolled: 1-line block ×4, first 2 shown]
.LBB94_43:
	s_or_b32 exec_lo, exec_lo, s4
	v_mov_b32_e32 v4, s35
	s_waitcnt_vscnt null, 0x0
	s_barrier
	buffer_gl0_inv
	s_mov_b32 s4, exec_lo
	s_clause 0x3
	buffer_load_dword v1, v4, s[0:3], 0 offen
	buffer_load_dword v2, v4, s[0:3], 0 offen offset:4
	buffer_load_dword v3, v4, s[0:3], 0 offen offset:8
	;; [unrolled: 1-line block ×3, first 2 shown]
	s_waitcnt vmcnt(0)
	ds_write_b128 v67, v[1:4]
	s_waitcnt lgkmcnt(0)
	s_barrier
	buffer_gl0_inv
	v_cmpx_gt_u32_e32 8, v0
	s_cbranch_execz .LBB94_47
; %bb.44:
	v_mov_b32_e32 v1, 0
	v_mov_b32_e32 v3, 0
	v_add_nc_u32_e32 v69, -1, v0
	v_add_nc_u32_e32 v70, 0x1f0, v73
	v_mov_b32_e32 v2, 0
	v_mov_b32_e32 v4, 0
	v_add_nc_u32_e32 v71, 16, v73
	s_mov_b32 s5, 0
	.p2align	6
.LBB94_45:                              ; =>This Inner Loop Header: Depth=1
	s_clause 0x3
	buffer_load_dword v78, v71, s[0:3], 0 offen offset:8
	buffer_load_dword v79, v71, s[0:3], 0 offen offset:12
	buffer_load_dword v80, v71, s[0:3], 0 offen
	buffer_load_dword v81, v71, s[0:3], 0 offen offset:4
	ds_read_b128 v[74:77], v70
	v_add_nc_u32_e32 v69, 1, v69
	v_add_nc_u32_e32 v70, 16, v70
	;; [unrolled: 1-line block ×3, first 2 shown]
	v_cmp_lt_u32_e32 vcc_lo, 6, v69
	s_or_b32 s5, vcc_lo, s5
	s_waitcnt vmcnt(2) lgkmcnt(0)
	v_mul_f64 v[82:83], v[76:77], v[78:79]
	v_mul_f64 v[78:79], v[74:75], v[78:79]
	s_waitcnt vmcnt(0)
	v_fma_f64 v[74:75], v[74:75], v[80:81], -v[82:83]
	v_fma_f64 v[76:77], v[76:77], v[80:81], v[78:79]
	v_add_f64 v[3:4], v[3:4], v[74:75]
	v_add_f64 v[1:2], v[1:2], v[76:77]
	s_andn2_b32 exec_lo, exec_lo, s5
	s_cbranch_execnz .LBB94_45
; %bb.46:
	s_or_b32 exec_lo, exec_lo, s5
	v_mov_b32_e32 v69, 0
	ds_read_b128 v[69:72], v69 offset:128
	s_waitcnt lgkmcnt(0)
	v_mul_f64 v[74:75], v[1:2], v[71:72]
	v_mul_f64 v[71:72], v[3:4], v[71:72]
	v_fma_f64 v[3:4], v[3:4], v[69:70], -v[74:75]
	v_fma_f64 v[1:2], v[1:2], v[69:70], v[71:72]
	buffer_store_dword v4, off, s[0:3], 0 offset:148
	buffer_store_dword v3, off, s[0:3], 0 offset:144
	;; [unrolled: 1-line block ×4, first 2 shown]
.LBB94_47:
	s_or_b32 exec_lo, exec_lo, s4
	v_mov_b32_e32 v4, s34
	s_waitcnt_vscnt null, 0x0
	s_barrier
	buffer_gl0_inv
	s_mov_b32 s4, exec_lo
	s_clause 0x3
	buffer_load_dword v1, v4, s[0:3], 0 offen
	buffer_load_dword v2, v4, s[0:3], 0 offen offset:4
	buffer_load_dword v3, v4, s[0:3], 0 offen offset:8
	;; [unrolled: 1-line block ×3, first 2 shown]
	s_waitcnt vmcnt(0)
	ds_write_b128 v67, v[1:4]
	s_waitcnt lgkmcnt(0)
	s_barrier
	buffer_gl0_inv
	v_cmpx_gt_u32_e32 9, v0
	s_cbranch_execz .LBB94_51
; %bb.48:
	v_mov_b32_e32 v1, 0
	v_mov_b32_e32 v3, 0
	v_add_nc_u32_e32 v69, -1, v0
	v_add_nc_u32_e32 v70, 0x1f0, v73
	v_mov_b32_e32 v2, 0
	v_mov_b32_e32 v4, 0
	v_add_nc_u32_e32 v71, 16, v73
	s_mov_b32 s5, 0
	.p2align	6
.LBB94_49:                              ; =>This Inner Loop Header: Depth=1
	s_clause 0x3
	buffer_load_dword v78, v71, s[0:3], 0 offen offset:8
	buffer_load_dword v79, v71, s[0:3], 0 offen offset:12
	buffer_load_dword v80, v71, s[0:3], 0 offen
	buffer_load_dword v81, v71, s[0:3], 0 offen offset:4
	ds_read_b128 v[74:77], v70
	v_add_nc_u32_e32 v69, 1, v69
	v_add_nc_u32_e32 v70, 16, v70
	;; [unrolled: 1-line block ×3, first 2 shown]
	v_cmp_lt_u32_e32 vcc_lo, 7, v69
	s_or_b32 s5, vcc_lo, s5
	s_waitcnt vmcnt(2) lgkmcnt(0)
	v_mul_f64 v[82:83], v[76:77], v[78:79]
	v_mul_f64 v[78:79], v[74:75], v[78:79]
	s_waitcnt vmcnt(0)
	v_fma_f64 v[74:75], v[74:75], v[80:81], -v[82:83]
	v_fma_f64 v[76:77], v[76:77], v[80:81], v[78:79]
	v_add_f64 v[3:4], v[3:4], v[74:75]
	v_add_f64 v[1:2], v[1:2], v[76:77]
	s_andn2_b32 exec_lo, exec_lo, s5
	s_cbranch_execnz .LBB94_49
; %bb.50:
	s_or_b32 exec_lo, exec_lo, s5
	v_mov_b32_e32 v69, 0
	ds_read_b128 v[69:72], v69 offset:144
	s_waitcnt lgkmcnt(0)
	v_mul_f64 v[74:75], v[1:2], v[71:72]
	v_mul_f64 v[71:72], v[3:4], v[71:72]
	v_fma_f64 v[3:4], v[3:4], v[69:70], -v[74:75]
	v_fma_f64 v[1:2], v[1:2], v[69:70], v[71:72]
	buffer_store_dword v4, off, s[0:3], 0 offset:164
	buffer_store_dword v3, off, s[0:3], 0 offset:160
	;; [unrolled: 1-line block ×4, first 2 shown]
.LBB94_51:
	s_or_b32 exec_lo, exec_lo, s4
	v_mov_b32_e32 v4, s33
	s_waitcnt_vscnt null, 0x0
	s_barrier
	buffer_gl0_inv
	s_mov_b32 s4, exec_lo
	s_clause 0x3
	buffer_load_dword v1, v4, s[0:3], 0 offen
	buffer_load_dword v2, v4, s[0:3], 0 offen offset:4
	buffer_load_dword v3, v4, s[0:3], 0 offen offset:8
	;; [unrolled: 1-line block ×3, first 2 shown]
	s_waitcnt vmcnt(0)
	ds_write_b128 v67, v[1:4]
	s_waitcnt lgkmcnt(0)
	s_barrier
	buffer_gl0_inv
	v_cmpx_gt_u32_e32 10, v0
	s_cbranch_execz .LBB94_55
; %bb.52:
	v_mov_b32_e32 v1, 0
	v_mov_b32_e32 v3, 0
	v_add_nc_u32_e32 v69, -1, v0
	v_add_nc_u32_e32 v70, 0x1f0, v73
	v_mov_b32_e32 v2, 0
	v_mov_b32_e32 v4, 0
	v_add_nc_u32_e32 v71, 16, v73
	s_mov_b32 s5, 0
	.p2align	6
.LBB94_53:                              ; =>This Inner Loop Header: Depth=1
	s_clause 0x3
	buffer_load_dword v78, v71, s[0:3], 0 offen offset:8
	buffer_load_dword v79, v71, s[0:3], 0 offen offset:12
	buffer_load_dword v80, v71, s[0:3], 0 offen
	buffer_load_dword v81, v71, s[0:3], 0 offen offset:4
	ds_read_b128 v[74:77], v70
	v_add_nc_u32_e32 v69, 1, v69
	v_add_nc_u32_e32 v70, 16, v70
	;; [unrolled: 1-line block ×3, first 2 shown]
	v_cmp_lt_u32_e32 vcc_lo, 8, v69
	s_or_b32 s5, vcc_lo, s5
	s_waitcnt vmcnt(2) lgkmcnt(0)
	v_mul_f64 v[82:83], v[76:77], v[78:79]
	v_mul_f64 v[78:79], v[74:75], v[78:79]
	s_waitcnt vmcnt(0)
	v_fma_f64 v[74:75], v[74:75], v[80:81], -v[82:83]
	v_fma_f64 v[76:77], v[76:77], v[80:81], v[78:79]
	v_add_f64 v[3:4], v[3:4], v[74:75]
	v_add_f64 v[1:2], v[1:2], v[76:77]
	s_andn2_b32 exec_lo, exec_lo, s5
	s_cbranch_execnz .LBB94_53
; %bb.54:
	s_or_b32 exec_lo, exec_lo, s5
	v_mov_b32_e32 v69, 0
	ds_read_b128 v[69:72], v69 offset:160
	s_waitcnt lgkmcnt(0)
	v_mul_f64 v[74:75], v[1:2], v[71:72]
	v_mul_f64 v[71:72], v[3:4], v[71:72]
	v_fma_f64 v[3:4], v[3:4], v[69:70], -v[74:75]
	v_fma_f64 v[1:2], v[1:2], v[69:70], v[71:72]
	buffer_store_dword v4, off, s[0:3], 0 offset:180
	buffer_store_dword v3, off, s[0:3], 0 offset:176
	;; [unrolled: 1-line block ×4, first 2 shown]
.LBB94_55:
	s_or_b32 exec_lo, exec_lo, s4
	v_mov_b32_e32 v4, s31
	s_waitcnt_vscnt null, 0x0
	s_barrier
	buffer_gl0_inv
	s_mov_b32 s4, exec_lo
	s_clause 0x3
	buffer_load_dword v1, v4, s[0:3], 0 offen
	buffer_load_dword v2, v4, s[0:3], 0 offen offset:4
	buffer_load_dword v3, v4, s[0:3], 0 offen offset:8
	;; [unrolled: 1-line block ×3, first 2 shown]
	s_waitcnt vmcnt(0)
	ds_write_b128 v67, v[1:4]
	s_waitcnt lgkmcnt(0)
	s_barrier
	buffer_gl0_inv
	v_cmpx_gt_u32_e32 11, v0
	s_cbranch_execz .LBB94_59
; %bb.56:
	v_mov_b32_e32 v1, 0
	v_mov_b32_e32 v3, 0
	v_add_nc_u32_e32 v69, -1, v0
	v_add_nc_u32_e32 v70, 0x1f0, v73
	v_mov_b32_e32 v2, 0
	v_mov_b32_e32 v4, 0
	v_add_nc_u32_e32 v71, 16, v73
	s_mov_b32 s5, 0
	.p2align	6
.LBB94_57:                              ; =>This Inner Loop Header: Depth=1
	s_clause 0x3
	buffer_load_dword v78, v71, s[0:3], 0 offen offset:8
	buffer_load_dword v79, v71, s[0:3], 0 offen offset:12
	buffer_load_dword v80, v71, s[0:3], 0 offen
	buffer_load_dword v81, v71, s[0:3], 0 offen offset:4
	ds_read_b128 v[74:77], v70
	v_add_nc_u32_e32 v69, 1, v69
	v_add_nc_u32_e32 v70, 16, v70
	;; [unrolled: 1-line block ×3, first 2 shown]
	v_cmp_lt_u32_e32 vcc_lo, 9, v69
	s_or_b32 s5, vcc_lo, s5
	s_waitcnt vmcnt(2) lgkmcnt(0)
	v_mul_f64 v[82:83], v[76:77], v[78:79]
	v_mul_f64 v[78:79], v[74:75], v[78:79]
	s_waitcnt vmcnt(0)
	v_fma_f64 v[74:75], v[74:75], v[80:81], -v[82:83]
	v_fma_f64 v[76:77], v[76:77], v[80:81], v[78:79]
	v_add_f64 v[3:4], v[3:4], v[74:75]
	v_add_f64 v[1:2], v[1:2], v[76:77]
	s_andn2_b32 exec_lo, exec_lo, s5
	s_cbranch_execnz .LBB94_57
; %bb.58:
	s_or_b32 exec_lo, exec_lo, s5
	v_mov_b32_e32 v69, 0
	ds_read_b128 v[69:72], v69 offset:176
	s_waitcnt lgkmcnt(0)
	v_mul_f64 v[74:75], v[1:2], v[71:72]
	v_mul_f64 v[71:72], v[3:4], v[71:72]
	v_fma_f64 v[3:4], v[3:4], v[69:70], -v[74:75]
	v_fma_f64 v[1:2], v[1:2], v[69:70], v[71:72]
	buffer_store_dword v4, off, s[0:3], 0 offset:196
	buffer_store_dword v3, off, s[0:3], 0 offset:192
	buffer_store_dword v2, off, s[0:3], 0 offset:204
	buffer_store_dword v1, off, s[0:3], 0 offset:200
.LBB94_59:
	s_or_b32 exec_lo, exec_lo, s4
	v_mov_b32_e32 v4, s30
	s_waitcnt_vscnt null, 0x0
	s_barrier
	buffer_gl0_inv
	s_mov_b32 s4, exec_lo
	s_clause 0x3
	buffer_load_dword v1, v4, s[0:3], 0 offen
	buffer_load_dword v2, v4, s[0:3], 0 offen offset:4
	buffer_load_dword v3, v4, s[0:3], 0 offen offset:8
	;; [unrolled: 1-line block ×3, first 2 shown]
	s_waitcnt vmcnt(0)
	ds_write_b128 v67, v[1:4]
	s_waitcnt lgkmcnt(0)
	s_barrier
	buffer_gl0_inv
	v_cmpx_gt_u32_e32 12, v0
	s_cbranch_execz .LBB94_63
; %bb.60:
	v_mov_b32_e32 v1, 0
	v_mov_b32_e32 v3, 0
	v_add_nc_u32_e32 v69, -1, v0
	v_add_nc_u32_e32 v70, 0x1f0, v73
	v_mov_b32_e32 v2, 0
	v_mov_b32_e32 v4, 0
	v_add_nc_u32_e32 v71, 16, v73
	s_mov_b32 s5, 0
	.p2align	6
.LBB94_61:                              ; =>This Inner Loop Header: Depth=1
	s_clause 0x3
	buffer_load_dword v78, v71, s[0:3], 0 offen offset:8
	buffer_load_dword v79, v71, s[0:3], 0 offen offset:12
	buffer_load_dword v80, v71, s[0:3], 0 offen
	buffer_load_dword v81, v71, s[0:3], 0 offen offset:4
	ds_read_b128 v[74:77], v70
	v_add_nc_u32_e32 v69, 1, v69
	v_add_nc_u32_e32 v70, 16, v70
	;; [unrolled: 1-line block ×3, first 2 shown]
	v_cmp_lt_u32_e32 vcc_lo, 10, v69
	s_or_b32 s5, vcc_lo, s5
	s_waitcnt vmcnt(2) lgkmcnt(0)
	v_mul_f64 v[82:83], v[76:77], v[78:79]
	v_mul_f64 v[78:79], v[74:75], v[78:79]
	s_waitcnt vmcnt(0)
	v_fma_f64 v[74:75], v[74:75], v[80:81], -v[82:83]
	v_fma_f64 v[76:77], v[76:77], v[80:81], v[78:79]
	v_add_f64 v[3:4], v[3:4], v[74:75]
	v_add_f64 v[1:2], v[1:2], v[76:77]
	s_andn2_b32 exec_lo, exec_lo, s5
	s_cbranch_execnz .LBB94_61
; %bb.62:
	s_or_b32 exec_lo, exec_lo, s5
	v_mov_b32_e32 v69, 0
	ds_read_b128 v[69:72], v69 offset:192
	s_waitcnt lgkmcnt(0)
	v_mul_f64 v[74:75], v[1:2], v[71:72]
	v_mul_f64 v[71:72], v[3:4], v[71:72]
	v_fma_f64 v[3:4], v[3:4], v[69:70], -v[74:75]
	v_fma_f64 v[1:2], v[1:2], v[69:70], v[71:72]
	buffer_store_dword v4, off, s[0:3], 0 offset:212
	buffer_store_dword v3, off, s[0:3], 0 offset:208
	;; [unrolled: 1-line block ×4, first 2 shown]
.LBB94_63:
	s_or_b32 exec_lo, exec_lo, s4
	v_mov_b32_e32 v4, s29
	s_waitcnt_vscnt null, 0x0
	s_barrier
	buffer_gl0_inv
	s_mov_b32 s4, exec_lo
	s_clause 0x3
	buffer_load_dword v1, v4, s[0:3], 0 offen
	buffer_load_dword v2, v4, s[0:3], 0 offen offset:4
	buffer_load_dword v3, v4, s[0:3], 0 offen offset:8
	;; [unrolled: 1-line block ×3, first 2 shown]
	s_waitcnt vmcnt(0)
	ds_write_b128 v67, v[1:4]
	s_waitcnt lgkmcnt(0)
	s_barrier
	buffer_gl0_inv
	v_cmpx_gt_u32_e32 13, v0
	s_cbranch_execz .LBB94_67
; %bb.64:
	v_mov_b32_e32 v1, 0
	v_mov_b32_e32 v3, 0
	v_add_nc_u32_e32 v69, -1, v0
	v_add_nc_u32_e32 v70, 0x1f0, v73
	v_mov_b32_e32 v2, 0
	v_mov_b32_e32 v4, 0
	v_add_nc_u32_e32 v71, 16, v73
	s_mov_b32 s5, 0
	.p2align	6
.LBB94_65:                              ; =>This Inner Loop Header: Depth=1
	s_clause 0x3
	buffer_load_dword v78, v71, s[0:3], 0 offen offset:8
	buffer_load_dword v79, v71, s[0:3], 0 offen offset:12
	buffer_load_dword v80, v71, s[0:3], 0 offen
	buffer_load_dword v81, v71, s[0:3], 0 offen offset:4
	ds_read_b128 v[74:77], v70
	v_add_nc_u32_e32 v69, 1, v69
	v_add_nc_u32_e32 v70, 16, v70
	;; [unrolled: 1-line block ×3, first 2 shown]
	v_cmp_lt_u32_e32 vcc_lo, 11, v69
	s_or_b32 s5, vcc_lo, s5
	s_waitcnt vmcnt(2) lgkmcnt(0)
	v_mul_f64 v[82:83], v[76:77], v[78:79]
	v_mul_f64 v[78:79], v[74:75], v[78:79]
	s_waitcnt vmcnt(0)
	v_fma_f64 v[74:75], v[74:75], v[80:81], -v[82:83]
	v_fma_f64 v[76:77], v[76:77], v[80:81], v[78:79]
	v_add_f64 v[3:4], v[3:4], v[74:75]
	v_add_f64 v[1:2], v[1:2], v[76:77]
	s_andn2_b32 exec_lo, exec_lo, s5
	s_cbranch_execnz .LBB94_65
; %bb.66:
	s_or_b32 exec_lo, exec_lo, s5
	v_mov_b32_e32 v69, 0
	ds_read_b128 v[69:72], v69 offset:208
	s_waitcnt lgkmcnt(0)
	v_mul_f64 v[74:75], v[1:2], v[71:72]
	v_mul_f64 v[71:72], v[3:4], v[71:72]
	v_fma_f64 v[3:4], v[3:4], v[69:70], -v[74:75]
	v_fma_f64 v[1:2], v[1:2], v[69:70], v[71:72]
	buffer_store_dword v4, off, s[0:3], 0 offset:228
	buffer_store_dword v3, off, s[0:3], 0 offset:224
	;; [unrolled: 1-line block ×4, first 2 shown]
.LBB94_67:
	s_or_b32 exec_lo, exec_lo, s4
	v_mov_b32_e32 v4, s28
	s_waitcnt_vscnt null, 0x0
	s_barrier
	buffer_gl0_inv
	s_mov_b32 s4, exec_lo
	s_clause 0x3
	buffer_load_dword v1, v4, s[0:3], 0 offen
	buffer_load_dword v2, v4, s[0:3], 0 offen offset:4
	buffer_load_dword v3, v4, s[0:3], 0 offen offset:8
	;; [unrolled: 1-line block ×3, first 2 shown]
	s_waitcnt vmcnt(0)
	ds_write_b128 v67, v[1:4]
	s_waitcnt lgkmcnt(0)
	s_barrier
	buffer_gl0_inv
	v_cmpx_gt_u32_e32 14, v0
	s_cbranch_execz .LBB94_71
; %bb.68:
	v_mov_b32_e32 v1, 0
	v_mov_b32_e32 v3, 0
	v_add_nc_u32_e32 v69, -1, v0
	v_add_nc_u32_e32 v70, 0x1f0, v73
	v_mov_b32_e32 v2, 0
	v_mov_b32_e32 v4, 0
	v_add_nc_u32_e32 v71, 16, v73
	s_mov_b32 s5, 0
	.p2align	6
.LBB94_69:                              ; =>This Inner Loop Header: Depth=1
	s_clause 0x3
	buffer_load_dword v78, v71, s[0:3], 0 offen offset:8
	buffer_load_dword v79, v71, s[0:3], 0 offen offset:12
	buffer_load_dword v80, v71, s[0:3], 0 offen
	buffer_load_dword v81, v71, s[0:3], 0 offen offset:4
	ds_read_b128 v[74:77], v70
	v_add_nc_u32_e32 v69, 1, v69
	v_add_nc_u32_e32 v70, 16, v70
	;; [unrolled: 1-line block ×3, first 2 shown]
	v_cmp_lt_u32_e32 vcc_lo, 12, v69
	s_or_b32 s5, vcc_lo, s5
	s_waitcnt vmcnt(2) lgkmcnt(0)
	v_mul_f64 v[82:83], v[76:77], v[78:79]
	v_mul_f64 v[78:79], v[74:75], v[78:79]
	s_waitcnt vmcnt(0)
	v_fma_f64 v[74:75], v[74:75], v[80:81], -v[82:83]
	v_fma_f64 v[76:77], v[76:77], v[80:81], v[78:79]
	v_add_f64 v[3:4], v[3:4], v[74:75]
	v_add_f64 v[1:2], v[1:2], v[76:77]
	s_andn2_b32 exec_lo, exec_lo, s5
	s_cbranch_execnz .LBB94_69
; %bb.70:
	s_or_b32 exec_lo, exec_lo, s5
	v_mov_b32_e32 v69, 0
	ds_read_b128 v[69:72], v69 offset:224
	s_waitcnt lgkmcnt(0)
	v_mul_f64 v[74:75], v[1:2], v[71:72]
	v_mul_f64 v[71:72], v[3:4], v[71:72]
	v_fma_f64 v[3:4], v[3:4], v[69:70], -v[74:75]
	v_fma_f64 v[1:2], v[1:2], v[69:70], v[71:72]
	buffer_store_dword v4, off, s[0:3], 0 offset:244
	buffer_store_dword v3, off, s[0:3], 0 offset:240
	;; [unrolled: 1-line block ×4, first 2 shown]
.LBB94_71:
	s_or_b32 exec_lo, exec_lo, s4
	v_mov_b32_e32 v4, s27
	s_waitcnt_vscnt null, 0x0
	s_barrier
	buffer_gl0_inv
	s_mov_b32 s4, exec_lo
	s_clause 0x3
	buffer_load_dword v1, v4, s[0:3], 0 offen
	buffer_load_dword v2, v4, s[0:3], 0 offen offset:4
	buffer_load_dword v3, v4, s[0:3], 0 offen offset:8
	;; [unrolled: 1-line block ×3, first 2 shown]
	s_waitcnt vmcnt(0)
	ds_write_b128 v67, v[1:4]
	s_waitcnt lgkmcnt(0)
	s_barrier
	buffer_gl0_inv
	v_cmpx_gt_u32_e32 15, v0
	s_cbranch_execz .LBB94_75
; %bb.72:
	v_mov_b32_e32 v1, 0
	v_mov_b32_e32 v3, 0
	v_add_nc_u32_e32 v69, -1, v0
	v_add_nc_u32_e32 v70, 0x1f0, v73
	v_mov_b32_e32 v2, 0
	v_mov_b32_e32 v4, 0
	v_add_nc_u32_e32 v71, 16, v73
	s_mov_b32 s5, 0
	.p2align	6
.LBB94_73:                              ; =>This Inner Loop Header: Depth=1
	s_clause 0x3
	buffer_load_dword v78, v71, s[0:3], 0 offen offset:8
	buffer_load_dword v79, v71, s[0:3], 0 offen offset:12
	buffer_load_dword v80, v71, s[0:3], 0 offen
	buffer_load_dword v81, v71, s[0:3], 0 offen offset:4
	ds_read_b128 v[74:77], v70
	v_add_nc_u32_e32 v69, 1, v69
	v_add_nc_u32_e32 v70, 16, v70
	;; [unrolled: 1-line block ×3, first 2 shown]
	v_cmp_lt_u32_e32 vcc_lo, 13, v69
	s_or_b32 s5, vcc_lo, s5
	s_waitcnt vmcnt(2) lgkmcnt(0)
	v_mul_f64 v[82:83], v[76:77], v[78:79]
	v_mul_f64 v[78:79], v[74:75], v[78:79]
	s_waitcnt vmcnt(0)
	v_fma_f64 v[74:75], v[74:75], v[80:81], -v[82:83]
	v_fma_f64 v[76:77], v[76:77], v[80:81], v[78:79]
	v_add_f64 v[3:4], v[3:4], v[74:75]
	v_add_f64 v[1:2], v[1:2], v[76:77]
	s_andn2_b32 exec_lo, exec_lo, s5
	s_cbranch_execnz .LBB94_73
; %bb.74:
	s_or_b32 exec_lo, exec_lo, s5
	v_mov_b32_e32 v69, 0
	ds_read_b128 v[69:72], v69 offset:240
	s_waitcnt lgkmcnt(0)
	v_mul_f64 v[74:75], v[1:2], v[71:72]
	v_mul_f64 v[71:72], v[3:4], v[71:72]
	v_fma_f64 v[3:4], v[3:4], v[69:70], -v[74:75]
	v_fma_f64 v[1:2], v[1:2], v[69:70], v[71:72]
	buffer_store_dword v4, off, s[0:3], 0 offset:260
	buffer_store_dword v3, off, s[0:3], 0 offset:256
	;; [unrolled: 1-line block ×4, first 2 shown]
.LBB94_75:
	s_or_b32 exec_lo, exec_lo, s4
	v_mov_b32_e32 v4, s26
	s_waitcnt_vscnt null, 0x0
	s_barrier
	buffer_gl0_inv
	s_mov_b32 s4, exec_lo
	s_clause 0x3
	buffer_load_dword v1, v4, s[0:3], 0 offen
	buffer_load_dword v2, v4, s[0:3], 0 offen offset:4
	buffer_load_dword v3, v4, s[0:3], 0 offen offset:8
	;; [unrolled: 1-line block ×3, first 2 shown]
	s_waitcnt vmcnt(0)
	ds_write_b128 v67, v[1:4]
	s_waitcnt lgkmcnt(0)
	s_barrier
	buffer_gl0_inv
	v_cmpx_gt_u32_e32 16, v0
	s_cbranch_execz .LBB94_79
; %bb.76:
	v_mov_b32_e32 v1, 0
	v_mov_b32_e32 v3, 0
	v_add_nc_u32_e32 v69, -1, v0
	v_add_nc_u32_e32 v70, 0x1f0, v73
	v_mov_b32_e32 v2, 0
	v_mov_b32_e32 v4, 0
	v_add_nc_u32_e32 v71, 16, v73
	s_mov_b32 s5, 0
	.p2align	6
.LBB94_77:                              ; =>This Inner Loop Header: Depth=1
	s_clause 0x3
	buffer_load_dword v78, v71, s[0:3], 0 offen offset:8
	buffer_load_dword v79, v71, s[0:3], 0 offen offset:12
	buffer_load_dword v80, v71, s[0:3], 0 offen
	buffer_load_dword v81, v71, s[0:3], 0 offen offset:4
	ds_read_b128 v[74:77], v70
	v_add_nc_u32_e32 v69, 1, v69
	v_add_nc_u32_e32 v70, 16, v70
	;; [unrolled: 1-line block ×3, first 2 shown]
	v_cmp_lt_u32_e32 vcc_lo, 14, v69
	s_or_b32 s5, vcc_lo, s5
	s_waitcnt vmcnt(2) lgkmcnt(0)
	v_mul_f64 v[82:83], v[76:77], v[78:79]
	v_mul_f64 v[78:79], v[74:75], v[78:79]
	s_waitcnt vmcnt(0)
	v_fma_f64 v[74:75], v[74:75], v[80:81], -v[82:83]
	v_fma_f64 v[76:77], v[76:77], v[80:81], v[78:79]
	v_add_f64 v[3:4], v[3:4], v[74:75]
	v_add_f64 v[1:2], v[1:2], v[76:77]
	s_andn2_b32 exec_lo, exec_lo, s5
	s_cbranch_execnz .LBB94_77
; %bb.78:
	s_or_b32 exec_lo, exec_lo, s5
	v_mov_b32_e32 v69, 0
	ds_read_b128 v[69:72], v69 offset:256
	s_waitcnt lgkmcnt(0)
	v_mul_f64 v[74:75], v[1:2], v[71:72]
	v_mul_f64 v[71:72], v[3:4], v[71:72]
	v_fma_f64 v[3:4], v[3:4], v[69:70], -v[74:75]
	v_fma_f64 v[1:2], v[1:2], v[69:70], v[71:72]
	buffer_store_dword v4, off, s[0:3], 0 offset:276
	buffer_store_dword v3, off, s[0:3], 0 offset:272
	;; [unrolled: 1-line block ×4, first 2 shown]
.LBB94_79:
	s_or_b32 exec_lo, exec_lo, s4
	v_mov_b32_e32 v4, s25
	s_waitcnt_vscnt null, 0x0
	s_barrier
	buffer_gl0_inv
	s_mov_b32 s4, exec_lo
	s_clause 0x3
	buffer_load_dword v1, v4, s[0:3], 0 offen
	buffer_load_dword v2, v4, s[0:3], 0 offen offset:4
	buffer_load_dword v3, v4, s[0:3], 0 offen offset:8
	;; [unrolled: 1-line block ×3, first 2 shown]
	s_waitcnt vmcnt(0)
	ds_write_b128 v67, v[1:4]
	s_waitcnt lgkmcnt(0)
	s_barrier
	buffer_gl0_inv
	v_cmpx_gt_u32_e32 17, v0
	s_cbranch_execz .LBB94_83
; %bb.80:
	v_mov_b32_e32 v1, 0
	v_mov_b32_e32 v3, 0
	v_add_nc_u32_e32 v69, -1, v0
	v_add_nc_u32_e32 v70, 0x1f0, v73
	v_mov_b32_e32 v2, 0
	v_mov_b32_e32 v4, 0
	v_add_nc_u32_e32 v71, 16, v73
	s_mov_b32 s5, 0
	.p2align	6
.LBB94_81:                              ; =>This Inner Loop Header: Depth=1
	s_clause 0x3
	buffer_load_dword v78, v71, s[0:3], 0 offen offset:8
	buffer_load_dword v79, v71, s[0:3], 0 offen offset:12
	buffer_load_dword v80, v71, s[0:3], 0 offen
	buffer_load_dword v81, v71, s[0:3], 0 offen offset:4
	ds_read_b128 v[74:77], v70
	v_add_nc_u32_e32 v69, 1, v69
	v_add_nc_u32_e32 v70, 16, v70
	;; [unrolled: 1-line block ×3, first 2 shown]
	v_cmp_lt_u32_e32 vcc_lo, 15, v69
	s_or_b32 s5, vcc_lo, s5
	s_waitcnt vmcnt(2) lgkmcnt(0)
	v_mul_f64 v[82:83], v[76:77], v[78:79]
	v_mul_f64 v[78:79], v[74:75], v[78:79]
	s_waitcnt vmcnt(0)
	v_fma_f64 v[74:75], v[74:75], v[80:81], -v[82:83]
	v_fma_f64 v[76:77], v[76:77], v[80:81], v[78:79]
	v_add_f64 v[3:4], v[3:4], v[74:75]
	v_add_f64 v[1:2], v[1:2], v[76:77]
	s_andn2_b32 exec_lo, exec_lo, s5
	s_cbranch_execnz .LBB94_81
; %bb.82:
	s_or_b32 exec_lo, exec_lo, s5
	v_mov_b32_e32 v69, 0
	ds_read_b128 v[69:72], v69 offset:272
	s_waitcnt lgkmcnt(0)
	v_mul_f64 v[74:75], v[1:2], v[71:72]
	v_mul_f64 v[71:72], v[3:4], v[71:72]
	v_fma_f64 v[3:4], v[3:4], v[69:70], -v[74:75]
	v_fma_f64 v[1:2], v[1:2], v[69:70], v[71:72]
	buffer_store_dword v4, off, s[0:3], 0 offset:292
	buffer_store_dword v3, off, s[0:3], 0 offset:288
	;; [unrolled: 1-line block ×4, first 2 shown]
.LBB94_83:
	s_or_b32 exec_lo, exec_lo, s4
	v_mov_b32_e32 v4, s24
	s_waitcnt_vscnt null, 0x0
	s_barrier
	buffer_gl0_inv
	s_mov_b32 s4, exec_lo
	s_clause 0x3
	buffer_load_dword v1, v4, s[0:3], 0 offen
	buffer_load_dword v2, v4, s[0:3], 0 offen offset:4
	buffer_load_dword v3, v4, s[0:3], 0 offen offset:8
	buffer_load_dword v4, v4, s[0:3], 0 offen offset:12
	s_waitcnt vmcnt(0)
	ds_write_b128 v67, v[1:4]
	s_waitcnt lgkmcnt(0)
	s_barrier
	buffer_gl0_inv
	v_cmpx_gt_u32_e32 18, v0
	s_cbranch_execz .LBB94_87
; %bb.84:
	v_mov_b32_e32 v1, 0
	v_mov_b32_e32 v3, 0
	v_add_nc_u32_e32 v69, -1, v0
	v_add_nc_u32_e32 v70, 0x1f0, v73
	v_mov_b32_e32 v2, 0
	v_mov_b32_e32 v4, 0
	v_add_nc_u32_e32 v71, 16, v73
	s_mov_b32 s5, 0
	.p2align	6
.LBB94_85:                              ; =>This Inner Loop Header: Depth=1
	s_clause 0x3
	buffer_load_dword v78, v71, s[0:3], 0 offen offset:8
	buffer_load_dword v79, v71, s[0:3], 0 offen offset:12
	buffer_load_dword v80, v71, s[0:3], 0 offen
	buffer_load_dword v81, v71, s[0:3], 0 offen offset:4
	ds_read_b128 v[74:77], v70
	v_add_nc_u32_e32 v69, 1, v69
	v_add_nc_u32_e32 v70, 16, v70
	;; [unrolled: 1-line block ×3, first 2 shown]
	v_cmp_lt_u32_e32 vcc_lo, 16, v69
	s_or_b32 s5, vcc_lo, s5
	s_waitcnt vmcnt(2) lgkmcnt(0)
	v_mul_f64 v[82:83], v[76:77], v[78:79]
	v_mul_f64 v[78:79], v[74:75], v[78:79]
	s_waitcnt vmcnt(0)
	v_fma_f64 v[74:75], v[74:75], v[80:81], -v[82:83]
	v_fma_f64 v[76:77], v[76:77], v[80:81], v[78:79]
	v_add_f64 v[3:4], v[3:4], v[74:75]
	v_add_f64 v[1:2], v[1:2], v[76:77]
	s_andn2_b32 exec_lo, exec_lo, s5
	s_cbranch_execnz .LBB94_85
; %bb.86:
	s_or_b32 exec_lo, exec_lo, s5
	v_mov_b32_e32 v69, 0
	ds_read_b128 v[69:72], v69 offset:288
	s_waitcnt lgkmcnt(0)
	v_mul_f64 v[74:75], v[1:2], v[71:72]
	v_mul_f64 v[71:72], v[3:4], v[71:72]
	v_fma_f64 v[3:4], v[3:4], v[69:70], -v[74:75]
	v_fma_f64 v[1:2], v[1:2], v[69:70], v[71:72]
	buffer_store_dword v4, off, s[0:3], 0 offset:308
	buffer_store_dword v3, off, s[0:3], 0 offset:304
	buffer_store_dword v2, off, s[0:3], 0 offset:316
	buffer_store_dword v1, off, s[0:3], 0 offset:312
.LBB94_87:
	s_or_b32 exec_lo, exec_lo, s4
	v_mov_b32_e32 v4, s23
	s_waitcnt_vscnt null, 0x0
	s_barrier
	buffer_gl0_inv
	s_mov_b32 s4, exec_lo
	s_clause 0x3
	buffer_load_dword v1, v4, s[0:3], 0 offen
	buffer_load_dword v2, v4, s[0:3], 0 offen offset:4
	buffer_load_dword v3, v4, s[0:3], 0 offen offset:8
	;; [unrolled: 1-line block ×3, first 2 shown]
	s_waitcnt vmcnt(0)
	ds_write_b128 v67, v[1:4]
	s_waitcnt lgkmcnt(0)
	s_barrier
	buffer_gl0_inv
	v_cmpx_gt_u32_e32 19, v0
	s_cbranch_execz .LBB94_91
; %bb.88:
	v_mov_b32_e32 v1, 0
	v_mov_b32_e32 v3, 0
	v_add_nc_u32_e32 v69, -1, v0
	v_add_nc_u32_e32 v70, 0x1f0, v73
	v_mov_b32_e32 v2, 0
	v_mov_b32_e32 v4, 0
	v_add_nc_u32_e32 v71, 16, v73
	s_mov_b32 s5, 0
	.p2align	6
.LBB94_89:                              ; =>This Inner Loop Header: Depth=1
	s_clause 0x3
	buffer_load_dword v78, v71, s[0:3], 0 offen offset:8
	buffer_load_dword v79, v71, s[0:3], 0 offen offset:12
	buffer_load_dword v80, v71, s[0:3], 0 offen
	buffer_load_dword v81, v71, s[0:3], 0 offen offset:4
	ds_read_b128 v[74:77], v70
	v_add_nc_u32_e32 v69, 1, v69
	v_add_nc_u32_e32 v70, 16, v70
	;; [unrolled: 1-line block ×3, first 2 shown]
	v_cmp_lt_u32_e32 vcc_lo, 17, v69
	s_or_b32 s5, vcc_lo, s5
	s_waitcnt vmcnt(2) lgkmcnt(0)
	v_mul_f64 v[82:83], v[76:77], v[78:79]
	v_mul_f64 v[78:79], v[74:75], v[78:79]
	s_waitcnt vmcnt(0)
	v_fma_f64 v[74:75], v[74:75], v[80:81], -v[82:83]
	v_fma_f64 v[76:77], v[76:77], v[80:81], v[78:79]
	v_add_f64 v[3:4], v[3:4], v[74:75]
	v_add_f64 v[1:2], v[1:2], v[76:77]
	s_andn2_b32 exec_lo, exec_lo, s5
	s_cbranch_execnz .LBB94_89
; %bb.90:
	s_or_b32 exec_lo, exec_lo, s5
	v_mov_b32_e32 v69, 0
	ds_read_b128 v[69:72], v69 offset:304
	s_waitcnt lgkmcnt(0)
	v_mul_f64 v[74:75], v[1:2], v[71:72]
	v_mul_f64 v[71:72], v[3:4], v[71:72]
	v_fma_f64 v[3:4], v[3:4], v[69:70], -v[74:75]
	v_fma_f64 v[1:2], v[1:2], v[69:70], v[71:72]
	buffer_store_dword v4, off, s[0:3], 0 offset:324
	buffer_store_dword v3, off, s[0:3], 0 offset:320
	;; [unrolled: 1-line block ×4, first 2 shown]
.LBB94_91:
	s_or_b32 exec_lo, exec_lo, s4
	v_mov_b32_e32 v4, s22
	s_waitcnt_vscnt null, 0x0
	s_barrier
	buffer_gl0_inv
	s_mov_b32 s4, exec_lo
	s_clause 0x3
	buffer_load_dword v1, v4, s[0:3], 0 offen
	buffer_load_dword v2, v4, s[0:3], 0 offen offset:4
	buffer_load_dword v3, v4, s[0:3], 0 offen offset:8
	;; [unrolled: 1-line block ×3, first 2 shown]
	s_waitcnt vmcnt(0)
	ds_write_b128 v67, v[1:4]
	s_waitcnt lgkmcnt(0)
	s_barrier
	buffer_gl0_inv
	v_cmpx_gt_u32_e32 20, v0
	s_cbranch_execz .LBB94_95
; %bb.92:
	v_mov_b32_e32 v1, 0
	v_mov_b32_e32 v3, 0
	v_add_nc_u32_e32 v69, -1, v0
	v_add_nc_u32_e32 v70, 0x1f0, v73
	v_mov_b32_e32 v2, 0
	v_mov_b32_e32 v4, 0
	v_add_nc_u32_e32 v71, 16, v73
	s_mov_b32 s5, 0
	.p2align	6
.LBB94_93:                              ; =>This Inner Loop Header: Depth=1
	s_clause 0x3
	buffer_load_dword v78, v71, s[0:3], 0 offen offset:8
	buffer_load_dword v79, v71, s[0:3], 0 offen offset:12
	buffer_load_dword v80, v71, s[0:3], 0 offen
	buffer_load_dword v81, v71, s[0:3], 0 offen offset:4
	ds_read_b128 v[74:77], v70
	v_add_nc_u32_e32 v69, 1, v69
	v_add_nc_u32_e32 v70, 16, v70
	;; [unrolled: 1-line block ×3, first 2 shown]
	v_cmp_lt_u32_e32 vcc_lo, 18, v69
	s_or_b32 s5, vcc_lo, s5
	s_waitcnt vmcnt(2) lgkmcnt(0)
	v_mul_f64 v[82:83], v[76:77], v[78:79]
	v_mul_f64 v[78:79], v[74:75], v[78:79]
	s_waitcnt vmcnt(0)
	v_fma_f64 v[74:75], v[74:75], v[80:81], -v[82:83]
	v_fma_f64 v[76:77], v[76:77], v[80:81], v[78:79]
	v_add_f64 v[3:4], v[3:4], v[74:75]
	v_add_f64 v[1:2], v[1:2], v[76:77]
	s_andn2_b32 exec_lo, exec_lo, s5
	s_cbranch_execnz .LBB94_93
; %bb.94:
	s_or_b32 exec_lo, exec_lo, s5
	v_mov_b32_e32 v69, 0
	ds_read_b128 v[69:72], v69 offset:320
	s_waitcnt lgkmcnt(0)
	v_mul_f64 v[74:75], v[1:2], v[71:72]
	v_mul_f64 v[71:72], v[3:4], v[71:72]
	v_fma_f64 v[3:4], v[3:4], v[69:70], -v[74:75]
	v_fma_f64 v[1:2], v[1:2], v[69:70], v[71:72]
	buffer_store_dword v4, off, s[0:3], 0 offset:340
	buffer_store_dword v3, off, s[0:3], 0 offset:336
	;; [unrolled: 1-line block ×4, first 2 shown]
.LBB94_95:
	s_or_b32 exec_lo, exec_lo, s4
	v_mov_b32_e32 v4, s21
	s_waitcnt_vscnt null, 0x0
	s_barrier
	buffer_gl0_inv
	s_mov_b32 s4, exec_lo
	s_clause 0x3
	buffer_load_dword v1, v4, s[0:3], 0 offen
	buffer_load_dword v2, v4, s[0:3], 0 offen offset:4
	buffer_load_dword v3, v4, s[0:3], 0 offen offset:8
	;; [unrolled: 1-line block ×3, first 2 shown]
	s_waitcnt vmcnt(0)
	ds_write_b128 v67, v[1:4]
	s_waitcnt lgkmcnt(0)
	s_barrier
	buffer_gl0_inv
	v_cmpx_gt_u32_e32 21, v0
	s_cbranch_execz .LBB94_99
; %bb.96:
	v_mov_b32_e32 v1, 0
	v_mov_b32_e32 v3, 0
	v_add_nc_u32_e32 v69, -1, v0
	v_add_nc_u32_e32 v70, 0x1f0, v73
	v_mov_b32_e32 v2, 0
	v_mov_b32_e32 v4, 0
	v_add_nc_u32_e32 v71, 16, v73
	s_mov_b32 s5, 0
	.p2align	6
.LBB94_97:                              ; =>This Inner Loop Header: Depth=1
	s_clause 0x3
	buffer_load_dword v78, v71, s[0:3], 0 offen offset:8
	buffer_load_dword v79, v71, s[0:3], 0 offen offset:12
	buffer_load_dword v80, v71, s[0:3], 0 offen
	buffer_load_dword v81, v71, s[0:3], 0 offen offset:4
	ds_read_b128 v[74:77], v70
	v_add_nc_u32_e32 v69, 1, v69
	v_add_nc_u32_e32 v70, 16, v70
	;; [unrolled: 1-line block ×3, first 2 shown]
	v_cmp_lt_u32_e32 vcc_lo, 19, v69
	s_or_b32 s5, vcc_lo, s5
	s_waitcnt vmcnt(2) lgkmcnt(0)
	v_mul_f64 v[82:83], v[76:77], v[78:79]
	v_mul_f64 v[78:79], v[74:75], v[78:79]
	s_waitcnt vmcnt(0)
	v_fma_f64 v[74:75], v[74:75], v[80:81], -v[82:83]
	v_fma_f64 v[76:77], v[76:77], v[80:81], v[78:79]
	v_add_f64 v[3:4], v[3:4], v[74:75]
	v_add_f64 v[1:2], v[1:2], v[76:77]
	s_andn2_b32 exec_lo, exec_lo, s5
	s_cbranch_execnz .LBB94_97
; %bb.98:
	s_or_b32 exec_lo, exec_lo, s5
	v_mov_b32_e32 v69, 0
	ds_read_b128 v[69:72], v69 offset:336
	s_waitcnt lgkmcnt(0)
	v_mul_f64 v[74:75], v[1:2], v[71:72]
	v_mul_f64 v[71:72], v[3:4], v[71:72]
	v_fma_f64 v[3:4], v[3:4], v[69:70], -v[74:75]
	v_fma_f64 v[1:2], v[1:2], v[69:70], v[71:72]
	buffer_store_dword v4, off, s[0:3], 0 offset:356
	buffer_store_dword v3, off, s[0:3], 0 offset:352
	;; [unrolled: 1-line block ×4, first 2 shown]
.LBB94_99:
	s_or_b32 exec_lo, exec_lo, s4
	v_mov_b32_e32 v4, s20
	s_waitcnt_vscnt null, 0x0
	s_barrier
	buffer_gl0_inv
	s_mov_b32 s4, exec_lo
	s_clause 0x3
	buffer_load_dword v1, v4, s[0:3], 0 offen
	buffer_load_dword v2, v4, s[0:3], 0 offen offset:4
	buffer_load_dword v3, v4, s[0:3], 0 offen offset:8
	;; [unrolled: 1-line block ×3, first 2 shown]
	s_waitcnt vmcnt(0)
	ds_write_b128 v67, v[1:4]
	s_waitcnt lgkmcnt(0)
	s_barrier
	buffer_gl0_inv
	v_cmpx_gt_u32_e32 22, v0
	s_cbranch_execz .LBB94_103
; %bb.100:
	v_mov_b32_e32 v1, 0
	v_mov_b32_e32 v3, 0
	v_add_nc_u32_e32 v69, -1, v0
	v_add_nc_u32_e32 v70, 0x1f0, v73
	v_mov_b32_e32 v2, 0
	v_mov_b32_e32 v4, 0
	v_add_nc_u32_e32 v71, 16, v73
	s_mov_b32 s5, 0
	.p2align	6
.LBB94_101:                             ; =>This Inner Loop Header: Depth=1
	s_clause 0x3
	buffer_load_dword v78, v71, s[0:3], 0 offen offset:8
	buffer_load_dword v79, v71, s[0:3], 0 offen offset:12
	buffer_load_dword v80, v71, s[0:3], 0 offen
	buffer_load_dword v81, v71, s[0:3], 0 offen offset:4
	ds_read_b128 v[74:77], v70
	v_add_nc_u32_e32 v69, 1, v69
	v_add_nc_u32_e32 v70, 16, v70
	;; [unrolled: 1-line block ×3, first 2 shown]
	v_cmp_lt_u32_e32 vcc_lo, 20, v69
	s_or_b32 s5, vcc_lo, s5
	s_waitcnt vmcnt(2) lgkmcnt(0)
	v_mul_f64 v[82:83], v[76:77], v[78:79]
	v_mul_f64 v[78:79], v[74:75], v[78:79]
	s_waitcnt vmcnt(0)
	v_fma_f64 v[74:75], v[74:75], v[80:81], -v[82:83]
	v_fma_f64 v[76:77], v[76:77], v[80:81], v[78:79]
	v_add_f64 v[3:4], v[3:4], v[74:75]
	v_add_f64 v[1:2], v[1:2], v[76:77]
	s_andn2_b32 exec_lo, exec_lo, s5
	s_cbranch_execnz .LBB94_101
; %bb.102:
	s_or_b32 exec_lo, exec_lo, s5
	v_mov_b32_e32 v69, 0
	ds_read_b128 v[69:72], v69 offset:352
	s_waitcnt lgkmcnt(0)
	v_mul_f64 v[74:75], v[1:2], v[71:72]
	v_mul_f64 v[71:72], v[3:4], v[71:72]
	v_fma_f64 v[3:4], v[3:4], v[69:70], -v[74:75]
	v_fma_f64 v[1:2], v[1:2], v[69:70], v[71:72]
	buffer_store_dword v4, off, s[0:3], 0 offset:372
	buffer_store_dword v3, off, s[0:3], 0 offset:368
	;; [unrolled: 1-line block ×4, first 2 shown]
.LBB94_103:
	s_or_b32 exec_lo, exec_lo, s4
	v_mov_b32_e32 v4, s19
	s_waitcnt_vscnt null, 0x0
	s_barrier
	buffer_gl0_inv
	s_mov_b32 s4, exec_lo
	s_clause 0x3
	buffer_load_dword v1, v4, s[0:3], 0 offen
	buffer_load_dword v2, v4, s[0:3], 0 offen offset:4
	buffer_load_dword v3, v4, s[0:3], 0 offen offset:8
	;; [unrolled: 1-line block ×3, first 2 shown]
	s_waitcnt vmcnt(0)
	ds_write_b128 v67, v[1:4]
	s_waitcnt lgkmcnt(0)
	s_barrier
	buffer_gl0_inv
	v_cmpx_gt_u32_e32 23, v0
	s_cbranch_execz .LBB94_107
; %bb.104:
	v_mov_b32_e32 v1, 0
	v_mov_b32_e32 v3, 0
	v_add_nc_u32_e32 v69, -1, v0
	v_add_nc_u32_e32 v70, 0x1f0, v73
	v_mov_b32_e32 v2, 0
	v_mov_b32_e32 v4, 0
	v_add_nc_u32_e32 v71, 16, v73
	s_mov_b32 s5, 0
	.p2align	6
.LBB94_105:                             ; =>This Inner Loop Header: Depth=1
	s_clause 0x3
	buffer_load_dword v78, v71, s[0:3], 0 offen offset:8
	buffer_load_dword v79, v71, s[0:3], 0 offen offset:12
	buffer_load_dword v80, v71, s[0:3], 0 offen
	buffer_load_dword v81, v71, s[0:3], 0 offen offset:4
	ds_read_b128 v[74:77], v70
	v_add_nc_u32_e32 v69, 1, v69
	v_add_nc_u32_e32 v70, 16, v70
	;; [unrolled: 1-line block ×3, first 2 shown]
	v_cmp_lt_u32_e32 vcc_lo, 21, v69
	s_or_b32 s5, vcc_lo, s5
	s_waitcnt vmcnt(2) lgkmcnt(0)
	v_mul_f64 v[82:83], v[76:77], v[78:79]
	v_mul_f64 v[78:79], v[74:75], v[78:79]
	s_waitcnt vmcnt(0)
	v_fma_f64 v[74:75], v[74:75], v[80:81], -v[82:83]
	v_fma_f64 v[76:77], v[76:77], v[80:81], v[78:79]
	v_add_f64 v[3:4], v[3:4], v[74:75]
	v_add_f64 v[1:2], v[1:2], v[76:77]
	s_andn2_b32 exec_lo, exec_lo, s5
	s_cbranch_execnz .LBB94_105
; %bb.106:
	s_or_b32 exec_lo, exec_lo, s5
	v_mov_b32_e32 v69, 0
	ds_read_b128 v[69:72], v69 offset:368
	s_waitcnt lgkmcnt(0)
	v_mul_f64 v[74:75], v[1:2], v[71:72]
	v_mul_f64 v[71:72], v[3:4], v[71:72]
	v_fma_f64 v[3:4], v[3:4], v[69:70], -v[74:75]
	v_fma_f64 v[1:2], v[1:2], v[69:70], v[71:72]
	buffer_store_dword v4, off, s[0:3], 0 offset:388
	buffer_store_dword v3, off, s[0:3], 0 offset:384
	;; [unrolled: 1-line block ×4, first 2 shown]
.LBB94_107:
	s_or_b32 exec_lo, exec_lo, s4
	v_mov_b32_e32 v4, s18
	s_waitcnt_vscnt null, 0x0
	s_barrier
	buffer_gl0_inv
	s_mov_b32 s4, exec_lo
	s_clause 0x3
	buffer_load_dword v1, v4, s[0:3], 0 offen
	buffer_load_dword v2, v4, s[0:3], 0 offen offset:4
	buffer_load_dword v3, v4, s[0:3], 0 offen offset:8
	;; [unrolled: 1-line block ×3, first 2 shown]
	s_waitcnt vmcnt(0)
	ds_write_b128 v67, v[1:4]
	s_waitcnt lgkmcnt(0)
	s_barrier
	buffer_gl0_inv
	v_cmpx_gt_u32_e32 24, v0
	s_cbranch_execz .LBB94_111
; %bb.108:
	v_mov_b32_e32 v1, 0
	v_mov_b32_e32 v3, 0
	v_add_nc_u32_e32 v69, -1, v0
	v_add_nc_u32_e32 v70, 0x1f0, v73
	v_mov_b32_e32 v2, 0
	v_mov_b32_e32 v4, 0
	v_add_nc_u32_e32 v71, 16, v73
	s_mov_b32 s5, 0
	.p2align	6
.LBB94_109:                             ; =>This Inner Loop Header: Depth=1
	s_clause 0x3
	buffer_load_dword v78, v71, s[0:3], 0 offen offset:8
	buffer_load_dword v79, v71, s[0:3], 0 offen offset:12
	buffer_load_dword v80, v71, s[0:3], 0 offen
	buffer_load_dword v81, v71, s[0:3], 0 offen offset:4
	ds_read_b128 v[74:77], v70
	v_add_nc_u32_e32 v69, 1, v69
	v_add_nc_u32_e32 v70, 16, v70
	;; [unrolled: 1-line block ×3, first 2 shown]
	v_cmp_lt_u32_e32 vcc_lo, 22, v69
	s_or_b32 s5, vcc_lo, s5
	s_waitcnt vmcnt(2) lgkmcnt(0)
	v_mul_f64 v[82:83], v[76:77], v[78:79]
	v_mul_f64 v[78:79], v[74:75], v[78:79]
	s_waitcnt vmcnt(0)
	v_fma_f64 v[74:75], v[74:75], v[80:81], -v[82:83]
	v_fma_f64 v[76:77], v[76:77], v[80:81], v[78:79]
	v_add_f64 v[3:4], v[3:4], v[74:75]
	v_add_f64 v[1:2], v[1:2], v[76:77]
	s_andn2_b32 exec_lo, exec_lo, s5
	s_cbranch_execnz .LBB94_109
; %bb.110:
	s_or_b32 exec_lo, exec_lo, s5
	v_mov_b32_e32 v69, 0
	ds_read_b128 v[69:72], v69 offset:384
	s_waitcnt lgkmcnt(0)
	v_mul_f64 v[74:75], v[1:2], v[71:72]
	v_mul_f64 v[71:72], v[3:4], v[71:72]
	v_fma_f64 v[3:4], v[3:4], v[69:70], -v[74:75]
	v_fma_f64 v[1:2], v[1:2], v[69:70], v[71:72]
	buffer_store_dword v4, off, s[0:3], 0 offset:404
	buffer_store_dword v3, off, s[0:3], 0 offset:400
	;; [unrolled: 1-line block ×4, first 2 shown]
.LBB94_111:
	s_or_b32 exec_lo, exec_lo, s4
	v_mov_b32_e32 v4, s17
	s_waitcnt_vscnt null, 0x0
	s_barrier
	buffer_gl0_inv
	s_mov_b32 s4, exec_lo
	s_clause 0x3
	buffer_load_dword v1, v4, s[0:3], 0 offen
	buffer_load_dword v2, v4, s[0:3], 0 offen offset:4
	buffer_load_dword v3, v4, s[0:3], 0 offen offset:8
	;; [unrolled: 1-line block ×3, first 2 shown]
	s_waitcnt vmcnt(0)
	ds_write_b128 v67, v[1:4]
	s_waitcnt lgkmcnt(0)
	s_barrier
	buffer_gl0_inv
	v_cmpx_gt_u32_e32 25, v0
	s_cbranch_execz .LBB94_115
; %bb.112:
	v_mov_b32_e32 v1, 0
	v_mov_b32_e32 v3, 0
	v_add_nc_u32_e32 v69, -1, v0
	v_add_nc_u32_e32 v70, 0x1f0, v73
	v_mov_b32_e32 v2, 0
	v_mov_b32_e32 v4, 0
	v_add_nc_u32_e32 v71, 16, v73
	s_mov_b32 s5, 0
	.p2align	6
.LBB94_113:                             ; =>This Inner Loop Header: Depth=1
	s_clause 0x3
	buffer_load_dword v78, v71, s[0:3], 0 offen offset:8
	buffer_load_dword v79, v71, s[0:3], 0 offen offset:12
	buffer_load_dword v80, v71, s[0:3], 0 offen
	buffer_load_dword v81, v71, s[0:3], 0 offen offset:4
	ds_read_b128 v[74:77], v70
	v_add_nc_u32_e32 v69, 1, v69
	v_add_nc_u32_e32 v70, 16, v70
	;; [unrolled: 1-line block ×3, first 2 shown]
	v_cmp_lt_u32_e32 vcc_lo, 23, v69
	s_or_b32 s5, vcc_lo, s5
	s_waitcnt vmcnt(2) lgkmcnt(0)
	v_mul_f64 v[82:83], v[76:77], v[78:79]
	v_mul_f64 v[78:79], v[74:75], v[78:79]
	s_waitcnt vmcnt(0)
	v_fma_f64 v[74:75], v[74:75], v[80:81], -v[82:83]
	v_fma_f64 v[76:77], v[76:77], v[80:81], v[78:79]
	v_add_f64 v[3:4], v[3:4], v[74:75]
	v_add_f64 v[1:2], v[1:2], v[76:77]
	s_andn2_b32 exec_lo, exec_lo, s5
	s_cbranch_execnz .LBB94_113
; %bb.114:
	s_or_b32 exec_lo, exec_lo, s5
	v_mov_b32_e32 v69, 0
	ds_read_b128 v[69:72], v69 offset:400
	s_waitcnt lgkmcnt(0)
	v_mul_f64 v[74:75], v[1:2], v[71:72]
	v_mul_f64 v[71:72], v[3:4], v[71:72]
	v_fma_f64 v[3:4], v[3:4], v[69:70], -v[74:75]
	v_fma_f64 v[1:2], v[1:2], v[69:70], v[71:72]
	buffer_store_dword v4, off, s[0:3], 0 offset:420
	buffer_store_dword v3, off, s[0:3], 0 offset:416
	;; [unrolled: 1-line block ×4, first 2 shown]
.LBB94_115:
	s_or_b32 exec_lo, exec_lo, s4
	v_mov_b32_e32 v4, s16
	s_waitcnt_vscnt null, 0x0
	s_barrier
	buffer_gl0_inv
	s_mov_b32 s4, exec_lo
	s_clause 0x3
	buffer_load_dword v1, v4, s[0:3], 0 offen
	buffer_load_dword v2, v4, s[0:3], 0 offen offset:4
	buffer_load_dword v3, v4, s[0:3], 0 offen offset:8
	;; [unrolled: 1-line block ×3, first 2 shown]
	s_waitcnt vmcnt(0)
	ds_write_b128 v67, v[1:4]
	s_waitcnt lgkmcnt(0)
	s_barrier
	buffer_gl0_inv
	v_cmpx_gt_u32_e32 26, v0
	s_cbranch_execz .LBB94_119
; %bb.116:
	v_mov_b32_e32 v1, 0
	v_mov_b32_e32 v3, 0
	v_add_nc_u32_e32 v69, -1, v0
	v_add_nc_u32_e32 v70, 0x1f0, v73
	v_mov_b32_e32 v2, 0
	v_mov_b32_e32 v4, 0
	v_add_nc_u32_e32 v71, 16, v73
	s_mov_b32 s5, 0
	.p2align	6
.LBB94_117:                             ; =>This Inner Loop Header: Depth=1
	s_clause 0x3
	buffer_load_dword v78, v71, s[0:3], 0 offen offset:8
	buffer_load_dword v79, v71, s[0:3], 0 offen offset:12
	buffer_load_dword v80, v71, s[0:3], 0 offen
	buffer_load_dword v81, v71, s[0:3], 0 offen offset:4
	ds_read_b128 v[74:77], v70
	v_add_nc_u32_e32 v69, 1, v69
	v_add_nc_u32_e32 v70, 16, v70
	;; [unrolled: 1-line block ×3, first 2 shown]
	v_cmp_lt_u32_e32 vcc_lo, 24, v69
	s_or_b32 s5, vcc_lo, s5
	s_waitcnt vmcnt(2) lgkmcnt(0)
	v_mul_f64 v[82:83], v[76:77], v[78:79]
	v_mul_f64 v[78:79], v[74:75], v[78:79]
	s_waitcnt vmcnt(0)
	v_fma_f64 v[74:75], v[74:75], v[80:81], -v[82:83]
	v_fma_f64 v[76:77], v[76:77], v[80:81], v[78:79]
	v_add_f64 v[3:4], v[3:4], v[74:75]
	v_add_f64 v[1:2], v[1:2], v[76:77]
	s_andn2_b32 exec_lo, exec_lo, s5
	s_cbranch_execnz .LBB94_117
; %bb.118:
	s_or_b32 exec_lo, exec_lo, s5
	v_mov_b32_e32 v69, 0
	ds_read_b128 v[69:72], v69 offset:416
	s_waitcnt lgkmcnt(0)
	v_mul_f64 v[74:75], v[1:2], v[71:72]
	v_mul_f64 v[71:72], v[3:4], v[71:72]
	v_fma_f64 v[3:4], v[3:4], v[69:70], -v[74:75]
	v_fma_f64 v[1:2], v[1:2], v[69:70], v[71:72]
	buffer_store_dword v4, off, s[0:3], 0 offset:436
	buffer_store_dword v3, off, s[0:3], 0 offset:432
	;; [unrolled: 1-line block ×4, first 2 shown]
.LBB94_119:
	s_or_b32 exec_lo, exec_lo, s4
	v_mov_b32_e32 v4, s15
	s_waitcnt_vscnt null, 0x0
	s_barrier
	buffer_gl0_inv
	s_mov_b32 s4, exec_lo
	s_clause 0x3
	buffer_load_dword v1, v4, s[0:3], 0 offen
	buffer_load_dword v2, v4, s[0:3], 0 offen offset:4
	buffer_load_dword v3, v4, s[0:3], 0 offen offset:8
	buffer_load_dword v4, v4, s[0:3], 0 offen offset:12
	s_waitcnt vmcnt(0)
	ds_write_b128 v67, v[1:4]
	s_waitcnt lgkmcnt(0)
	s_barrier
	buffer_gl0_inv
	v_cmpx_gt_u32_e32 27, v0
	s_cbranch_execz .LBB94_123
; %bb.120:
	v_mov_b32_e32 v1, 0
	v_mov_b32_e32 v3, 0
	v_add_nc_u32_e32 v69, -1, v0
	v_add_nc_u32_e32 v70, 0x1f0, v73
	v_mov_b32_e32 v2, 0
	v_mov_b32_e32 v4, 0
	v_add_nc_u32_e32 v71, 16, v73
	s_mov_b32 s5, 0
	.p2align	6
.LBB94_121:                             ; =>This Inner Loop Header: Depth=1
	s_clause 0x3
	buffer_load_dword v78, v71, s[0:3], 0 offen offset:8
	buffer_load_dword v79, v71, s[0:3], 0 offen offset:12
	buffer_load_dword v80, v71, s[0:3], 0 offen
	buffer_load_dword v81, v71, s[0:3], 0 offen offset:4
	ds_read_b128 v[74:77], v70
	v_add_nc_u32_e32 v69, 1, v69
	v_add_nc_u32_e32 v70, 16, v70
	;; [unrolled: 1-line block ×3, first 2 shown]
	v_cmp_lt_u32_e32 vcc_lo, 25, v69
	s_or_b32 s5, vcc_lo, s5
	s_waitcnt vmcnt(2) lgkmcnt(0)
	v_mul_f64 v[82:83], v[76:77], v[78:79]
	v_mul_f64 v[78:79], v[74:75], v[78:79]
	s_waitcnt vmcnt(0)
	v_fma_f64 v[74:75], v[74:75], v[80:81], -v[82:83]
	v_fma_f64 v[76:77], v[76:77], v[80:81], v[78:79]
	v_add_f64 v[3:4], v[3:4], v[74:75]
	v_add_f64 v[1:2], v[1:2], v[76:77]
	s_andn2_b32 exec_lo, exec_lo, s5
	s_cbranch_execnz .LBB94_121
; %bb.122:
	s_or_b32 exec_lo, exec_lo, s5
	v_mov_b32_e32 v69, 0
	ds_read_b128 v[69:72], v69 offset:432
	s_waitcnt lgkmcnt(0)
	v_mul_f64 v[74:75], v[1:2], v[71:72]
	v_mul_f64 v[71:72], v[3:4], v[71:72]
	v_fma_f64 v[3:4], v[3:4], v[69:70], -v[74:75]
	v_fma_f64 v[1:2], v[1:2], v[69:70], v[71:72]
	buffer_store_dword v4, off, s[0:3], 0 offset:452
	buffer_store_dword v3, off, s[0:3], 0 offset:448
	buffer_store_dword v2, off, s[0:3], 0 offset:460
	buffer_store_dword v1, off, s[0:3], 0 offset:456
.LBB94_123:
	s_or_b32 exec_lo, exec_lo, s4
	v_mov_b32_e32 v4, s14
	s_waitcnt_vscnt null, 0x0
	s_barrier
	buffer_gl0_inv
	s_mov_b32 s4, exec_lo
	s_clause 0x3
	buffer_load_dword v1, v4, s[0:3], 0 offen
	buffer_load_dword v2, v4, s[0:3], 0 offen offset:4
	buffer_load_dword v3, v4, s[0:3], 0 offen offset:8
	;; [unrolled: 1-line block ×3, first 2 shown]
	s_waitcnt vmcnt(0)
	ds_write_b128 v67, v[1:4]
	s_waitcnt lgkmcnt(0)
	s_barrier
	buffer_gl0_inv
	v_cmpx_gt_u32_e32 28, v0
	s_cbranch_execz .LBB94_127
; %bb.124:
	v_mov_b32_e32 v1, 0
	v_mov_b32_e32 v3, 0
	v_add_nc_u32_e32 v69, -1, v0
	v_add_nc_u32_e32 v70, 0x1f0, v73
	v_mov_b32_e32 v2, 0
	v_mov_b32_e32 v4, 0
	v_add_nc_u32_e32 v71, 16, v73
	s_mov_b32 s5, 0
	.p2align	6
.LBB94_125:                             ; =>This Inner Loop Header: Depth=1
	s_clause 0x3
	buffer_load_dword v78, v71, s[0:3], 0 offen offset:8
	buffer_load_dword v79, v71, s[0:3], 0 offen offset:12
	buffer_load_dword v80, v71, s[0:3], 0 offen
	buffer_load_dword v81, v71, s[0:3], 0 offen offset:4
	ds_read_b128 v[74:77], v70
	v_add_nc_u32_e32 v69, 1, v69
	v_add_nc_u32_e32 v70, 16, v70
	;; [unrolled: 1-line block ×3, first 2 shown]
	v_cmp_lt_u32_e32 vcc_lo, 26, v69
	s_or_b32 s5, vcc_lo, s5
	s_waitcnt vmcnt(2) lgkmcnt(0)
	v_mul_f64 v[82:83], v[76:77], v[78:79]
	v_mul_f64 v[78:79], v[74:75], v[78:79]
	s_waitcnt vmcnt(0)
	v_fma_f64 v[74:75], v[74:75], v[80:81], -v[82:83]
	v_fma_f64 v[76:77], v[76:77], v[80:81], v[78:79]
	v_add_f64 v[3:4], v[3:4], v[74:75]
	v_add_f64 v[1:2], v[1:2], v[76:77]
	s_andn2_b32 exec_lo, exec_lo, s5
	s_cbranch_execnz .LBB94_125
; %bb.126:
	s_or_b32 exec_lo, exec_lo, s5
	v_mov_b32_e32 v69, 0
	ds_read_b128 v[69:72], v69 offset:448
	s_waitcnt lgkmcnt(0)
	v_mul_f64 v[74:75], v[1:2], v[71:72]
	v_mul_f64 v[71:72], v[3:4], v[71:72]
	v_fma_f64 v[3:4], v[3:4], v[69:70], -v[74:75]
	v_fma_f64 v[1:2], v[1:2], v[69:70], v[71:72]
	buffer_store_dword v4, off, s[0:3], 0 offset:468
	buffer_store_dword v3, off, s[0:3], 0 offset:464
	;; [unrolled: 1-line block ×4, first 2 shown]
.LBB94_127:
	s_or_b32 exec_lo, exec_lo, s4
	v_mov_b32_e32 v4, s9
	s_waitcnt_vscnt null, 0x0
	s_barrier
	buffer_gl0_inv
	s_mov_b32 s4, exec_lo
	s_clause 0x3
	buffer_load_dword v1, v4, s[0:3], 0 offen
	buffer_load_dword v2, v4, s[0:3], 0 offen offset:4
	buffer_load_dword v3, v4, s[0:3], 0 offen offset:8
	;; [unrolled: 1-line block ×3, first 2 shown]
	s_waitcnt vmcnt(0)
	ds_write_b128 v67, v[1:4]
	s_waitcnt lgkmcnt(0)
	s_barrier
	buffer_gl0_inv
	v_cmpx_gt_u32_e32 29, v0
	s_cbranch_execz .LBB94_131
; %bb.128:
	v_mov_b32_e32 v1, 0
	v_mov_b32_e32 v3, 0
	v_add_nc_u32_e32 v69, -1, v0
	v_add_nc_u32_e32 v70, 0x1f0, v73
	v_mov_b32_e32 v2, 0
	v_mov_b32_e32 v4, 0
	v_add_nc_u32_e32 v71, 16, v73
	s_mov_b32 s5, 0
	.p2align	6
.LBB94_129:                             ; =>This Inner Loop Header: Depth=1
	s_clause 0x3
	buffer_load_dword v78, v71, s[0:3], 0 offen offset:8
	buffer_load_dword v79, v71, s[0:3], 0 offen offset:12
	buffer_load_dword v80, v71, s[0:3], 0 offen
	buffer_load_dword v81, v71, s[0:3], 0 offen offset:4
	ds_read_b128 v[74:77], v70
	v_add_nc_u32_e32 v69, 1, v69
	v_add_nc_u32_e32 v70, 16, v70
	;; [unrolled: 1-line block ×3, first 2 shown]
	v_cmp_lt_u32_e32 vcc_lo, 27, v69
	s_or_b32 s5, vcc_lo, s5
	s_waitcnt vmcnt(2) lgkmcnt(0)
	v_mul_f64 v[82:83], v[76:77], v[78:79]
	v_mul_f64 v[78:79], v[74:75], v[78:79]
	s_waitcnt vmcnt(0)
	v_fma_f64 v[74:75], v[74:75], v[80:81], -v[82:83]
	v_fma_f64 v[76:77], v[76:77], v[80:81], v[78:79]
	v_add_f64 v[3:4], v[3:4], v[74:75]
	v_add_f64 v[1:2], v[1:2], v[76:77]
	s_andn2_b32 exec_lo, exec_lo, s5
	s_cbranch_execnz .LBB94_129
; %bb.130:
	s_or_b32 exec_lo, exec_lo, s5
	v_mov_b32_e32 v69, 0
	ds_read_b128 v[69:72], v69 offset:464
	s_waitcnt lgkmcnt(0)
	v_mul_f64 v[74:75], v[1:2], v[71:72]
	v_mul_f64 v[71:72], v[3:4], v[71:72]
	v_fma_f64 v[3:4], v[3:4], v[69:70], -v[74:75]
	v_fma_f64 v[1:2], v[1:2], v[69:70], v[71:72]
	buffer_store_dword v4, off, s[0:3], 0 offset:484
	buffer_store_dword v3, off, s[0:3], 0 offset:480
	;; [unrolled: 1-line block ×4, first 2 shown]
.LBB94_131:
	s_or_b32 exec_lo, exec_lo, s4
	v_mov_b32_e32 v4, s8
	s_waitcnt_vscnt null, 0x0
	s_barrier
	buffer_gl0_inv
	s_mov_b32 s4, exec_lo
	s_clause 0x3
	buffer_load_dword v1, v4, s[0:3], 0 offen
	buffer_load_dword v2, v4, s[0:3], 0 offen offset:4
	buffer_load_dword v3, v4, s[0:3], 0 offen offset:8
	;; [unrolled: 1-line block ×3, first 2 shown]
	s_waitcnt vmcnt(0)
	ds_write_b128 v67, v[1:4]
	s_waitcnt lgkmcnt(0)
	s_barrier
	buffer_gl0_inv
	v_cmpx_ne_u32_e32 30, v0
	s_cbranch_execz .LBB94_135
; %bb.132:
	v_mov_b32_e32 v1, 0
	v_mov_b32_e32 v3, 0
	v_mov_b32_e32 v2, 0
	v_mov_b32_e32 v4, 0
	v_add_nc_u32_e32 v69, 16, v73
	s_mov_b32 s5, 0
	.p2align	6
.LBB94_133:                             ; =>This Inner Loop Header: Depth=1
	s_clause 0x3
	buffer_load_dword v74, v69, s[0:3], 0 offen offset:8
	buffer_load_dword v75, v69, s[0:3], 0 offen offset:12
	buffer_load_dword v76, v69, s[0:3], 0 offen
	buffer_load_dword v77, v69, s[0:3], 0 offen offset:4
	ds_read_b128 v[70:73], v67
	v_add_nc_u32_e32 v68, 1, v68
	v_add_nc_u32_e32 v67, 16, v67
	v_add_nc_u32_e32 v69, 16, v69
	v_cmp_lt_u32_e32 vcc_lo, 28, v68
	s_or_b32 s5, vcc_lo, s5
	s_waitcnt vmcnt(2) lgkmcnt(0)
	v_mul_f64 v[78:79], v[72:73], v[74:75]
	v_mul_f64 v[74:75], v[70:71], v[74:75]
	s_waitcnt vmcnt(0)
	v_fma_f64 v[70:71], v[70:71], v[76:77], -v[78:79]
	v_fma_f64 v[72:73], v[72:73], v[76:77], v[74:75]
	v_add_f64 v[3:4], v[3:4], v[70:71]
	v_add_f64 v[1:2], v[1:2], v[72:73]
	s_andn2_b32 exec_lo, exec_lo, s5
	s_cbranch_execnz .LBB94_133
; %bb.134:
	s_or_b32 exec_lo, exec_lo, s5
	v_mov_b32_e32 v67, 0
	ds_read_b128 v[67:70], v67 offset:480
	s_waitcnt lgkmcnt(0)
	v_mul_f64 v[71:72], v[1:2], v[69:70]
	v_mul_f64 v[69:70], v[3:4], v[69:70]
	v_fma_f64 v[3:4], v[3:4], v[67:68], -v[71:72]
	v_fma_f64 v[1:2], v[1:2], v[67:68], v[69:70]
	buffer_store_dword v4, off, s[0:3], 0 offset:500
	buffer_store_dword v3, off, s[0:3], 0 offset:496
	;; [unrolled: 1-line block ×4, first 2 shown]
.LBB94_135:
	s_or_b32 exec_lo, exec_lo, s4
	s_mov_b32 s5, -1
	s_waitcnt_vscnt null, 0x0
	s_barrier
	buffer_gl0_inv
.LBB94_136:
	s_and_b32 vcc_lo, exec_lo, s5
	s_cbranch_vccz .LBB94_138
; %bb.137:
	s_lshl_b64 s[4:5], s[6:7], 2
	v_mov_b32_e32 v1, 0
	s_add_u32 s4, s10, s4
	s_addc_u32 s5, s11, s5
	global_load_dword v1, v1, s[4:5]
	s_waitcnt vmcnt(0)
	v_cmp_ne_u32_e32 vcc_lo, 0, v1
	s_cbranch_vccz .LBB94_139
.LBB94_138:
	s_endpgm
.LBB94_139:
	v_lshl_add_u32 v67, v0, 4, 0x1f0
	s_mov_b32 s4, exec_lo
	v_cmpx_eq_u32_e32 30, v0
	s_cbranch_execz .LBB94_141
; %bb.140:
	v_mov_b32_e32 v4, s9
	v_mov_b32_e32 v68, 0
	s_clause 0x3
	buffer_load_dword v1, v4, s[0:3], 0 offen
	buffer_load_dword v2, v4, s[0:3], 0 offen offset:4
	buffer_load_dword v3, v4, s[0:3], 0 offen offset:8
	;; [unrolled: 1-line block ×3, first 2 shown]
	buffer_store_dword v68, off, s[0:3], 0 offset:480
	buffer_store_dword v68, off, s[0:3], 0 offset:484
	;; [unrolled: 1-line block ×4, first 2 shown]
	s_waitcnt vmcnt(0)
	ds_write_b128 v67, v[1:4]
.LBB94_141:
	s_or_b32 exec_lo, exec_lo, s4
	s_waitcnt lgkmcnt(0)
	s_waitcnt_vscnt null, 0x0
	s_barrier
	buffer_gl0_inv
	s_clause 0x7
	buffer_load_dword v2, off, s[0:3], 0 offset:504
	buffer_load_dword v3, off, s[0:3], 0 offset:508
	;; [unrolled: 1-line block ×8, first 2 shown]
	v_mov_b32_e32 v1, 0
	s_mov_b32 s4, exec_lo
	ds_read_b128 v[68:71], v1 offset:976
	s_waitcnt vmcnt(6) lgkmcnt(0)
	v_mul_f64 v[78:79], v[70:71], v[2:3]
	v_mul_f64 v[2:3], v[68:69], v[2:3]
	s_waitcnt vmcnt(4)
	v_fma_f64 v[68:69], v[68:69], v[72:73], -v[78:79]
	v_fma_f64 v[2:3], v[70:71], v[72:73], v[2:3]
	v_add_f64 v[68:69], v[68:69], 0
	v_add_f64 v[2:3], v[2:3], 0
	s_waitcnt vmcnt(2)
	v_add_f64 v[68:69], v[74:75], -v[68:69]
	s_waitcnt vmcnt(0)
	v_add_f64 v[2:3], v[76:77], -v[2:3]
	buffer_store_dword v68, off, s[0:3], 0 offset:480
	buffer_store_dword v69, off, s[0:3], 0 offset:484
	buffer_store_dword v2, off, s[0:3], 0 offset:488
	buffer_store_dword v3, off, s[0:3], 0 offset:492
	v_cmpx_lt_u32_e32 28, v0
	s_cbranch_execz .LBB94_143
; %bb.142:
	v_mov_b32_e32 v2, s14
	s_clause 0x3
	buffer_load_dword v68, v2, s[0:3], 0 offen
	buffer_load_dword v69, v2, s[0:3], 0 offen offset:4
	buffer_load_dword v70, v2, s[0:3], 0 offen offset:8
	;; [unrolled: 1-line block ×3, first 2 shown]
	buffer_store_dword v1, off, s[0:3], 0 offset:464
	buffer_store_dword v1, off, s[0:3], 0 offset:468
	;; [unrolled: 1-line block ×4, first 2 shown]
	s_waitcnt vmcnt(0)
	ds_write_b128 v67, v[68:71]
.LBB94_143:
	s_or_b32 exec_lo, exec_lo, s4
	s_waitcnt lgkmcnt(0)
	s_waitcnt_vscnt null, 0x0
	s_barrier
	buffer_gl0_inv
	s_clause 0xb
	buffer_load_dword v72, off, s[0:3], 0 offset:488
	buffer_load_dword v73, off, s[0:3], 0 offset:492
	;; [unrolled: 1-line block ×12, first 2 shown]
	ds_read_b128 v[68:71], v1 offset:960
	ds_read_b128 v[1:4], v1 offset:976
	s_mov_b32 s4, exec_lo
	s_waitcnt vmcnt(10) lgkmcnt(1)
	v_mul_f64 v[84:85], v[70:71], v[72:73]
	v_mul_f64 v[72:73], v[68:69], v[72:73]
	s_waitcnt vmcnt(8) lgkmcnt(0)
	v_mul_f64 v[86:87], v[3:4], v[74:75]
	v_mul_f64 v[74:75], v[1:2], v[74:75]
	s_waitcnt vmcnt(6)
	v_fma_f64 v[68:69], v[68:69], v[76:77], -v[84:85]
	v_fma_f64 v[70:71], v[70:71], v[76:77], v[72:73]
	s_waitcnt vmcnt(4)
	v_fma_f64 v[1:2], v[1:2], v[78:79], -v[86:87]
	v_fma_f64 v[3:4], v[3:4], v[78:79], v[74:75]
	v_add_f64 v[68:69], v[68:69], 0
	v_add_f64 v[70:71], v[70:71], 0
	;; [unrolled: 1-line block ×4, first 2 shown]
	s_waitcnt vmcnt(2)
	v_add_f64 v[1:2], v[80:81], -v[1:2]
	s_waitcnt vmcnt(0)
	v_add_f64 v[3:4], v[82:83], -v[3:4]
	buffer_store_dword v1, off, s[0:3], 0 offset:464
	buffer_store_dword v2, off, s[0:3], 0 offset:468
	;; [unrolled: 1-line block ×4, first 2 shown]
	v_cmpx_lt_u32_e32 27, v0
	s_cbranch_execz .LBB94_145
; %bb.144:
	v_mov_b32_e32 v4, s15
	v_mov_b32_e32 v68, 0
	s_clause 0x3
	buffer_load_dword v1, v4, s[0:3], 0 offen
	buffer_load_dword v2, v4, s[0:3], 0 offen offset:4
	buffer_load_dword v3, v4, s[0:3], 0 offen offset:8
	;; [unrolled: 1-line block ×3, first 2 shown]
	buffer_store_dword v68, off, s[0:3], 0 offset:448
	buffer_store_dword v68, off, s[0:3], 0 offset:452
	buffer_store_dword v68, off, s[0:3], 0 offset:456
	buffer_store_dword v68, off, s[0:3], 0 offset:460
	s_waitcnt vmcnt(0)
	ds_write_b128 v67, v[1:4]
.LBB94_145:
	s_or_b32 exec_lo, exec_lo, s4
	s_waitcnt lgkmcnt(0)
	s_waitcnt_vscnt null, 0x0
	s_barrier
	buffer_gl0_inv
	s_clause 0xf
	buffer_load_dword v2, off, s[0:3], 0 offset:472
	buffer_load_dword v3, off, s[0:3], 0 offset:476
	;; [unrolled: 1-line block ×16, first 2 shown]
	v_mov_b32_e32 v1, 0
	ds_read_b128 v[68:71], v1 offset:944
	ds_read_b128 v[72:75], v1 offset:960
	;; [unrolled: 1-line block ×3, first 2 shown]
	s_mov_b32 s4, exec_lo
	s_waitcnt vmcnt(14) lgkmcnt(2)
	v_mul_f64 v[94:95], v[70:71], v[2:3]
	v_mul_f64 v[2:3], v[68:69], v[2:3]
	s_waitcnt vmcnt(12) lgkmcnt(1)
	v_mul_f64 v[96:97], v[74:75], v[80:81]
	v_mul_f64 v[80:81], v[72:73], v[80:81]
	s_waitcnt vmcnt(10)
	v_fma_f64 v[68:69], v[68:69], v[82:83], -v[94:95]
	v_fma_f64 v[2:3], v[70:71], v[82:83], v[2:3]
	s_waitcnt vmcnt(8) lgkmcnt(0)
	v_mul_f64 v[82:83], v[78:79], v[84:85]
	s_waitcnt vmcnt(6)
	v_fma_f64 v[72:73], v[72:73], v[86:87], -v[96:97]
	v_mul_f64 v[70:71], v[76:77], v[84:85]
	v_fma_f64 v[74:75], v[74:75], v[86:87], v[80:81]
	v_add_f64 v[68:69], v[68:69], 0
	v_add_f64 v[2:3], v[2:3], 0
	s_waitcnt vmcnt(4)
	v_fma_f64 v[76:77], v[76:77], v[88:89], -v[82:83]
	v_fma_f64 v[70:71], v[78:79], v[88:89], v[70:71]
	v_add_f64 v[68:69], v[68:69], v[72:73]
	v_add_f64 v[2:3], v[2:3], v[74:75]
	v_add_f64 v[68:69], v[68:69], v[76:77]
	v_add_f64 v[2:3], v[2:3], v[70:71]
	s_waitcnt vmcnt(2)
	v_add_f64 v[68:69], v[90:91], -v[68:69]
	s_waitcnt vmcnt(0)
	v_add_f64 v[2:3], v[92:93], -v[2:3]
	buffer_store_dword v68, off, s[0:3], 0 offset:448
	buffer_store_dword v69, off, s[0:3], 0 offset:452
	;; [unrolled: 1-line block ×4, first 2 shown]
	v_cmpx_lt_u32_e32 26, v0
	s_cbranch_execz .LBB94_147
; %bb.146:
	v_mov_b32_e32 v2, s16
	s_clause 0x3
	buffer_load_dword v68, v2, s[0:3], 0 offen
	buffer_load_dword v69, v2, s[0:3], 0 offen offset:4
	buffer_load_dword v70, v2, s[0:3], 0 offen offset:8
	buffer_load_dword v71, v2, s[0:3], 0 offen offset:12
	buffer_store_dword v1, off, s[0:3], 0 offset:432
	buffer_store_dword v1, off, s[0:3], 0 offset:436
	;; [unrolled: 1-line block ×4, first 2 shown]
	s_waitcnt vmcnt(0)
	ds_write_b128 v67, v[68:71]
.LBB94_147:
	s_or_b32 exec_lo, exec_lo, s4
	s_waitcnt lgkmcnt(0)
	s_waitcnt_vscnt null, 0x0
	s_barrier
	buffer_gl0_inv
	s_clause 0x13
	buffer_load_dword v2, off, s[0:3], 0 offset:456
	buffer_load_dword v3, off, s[0:3], 0 offset:460
	;; [unrolled: 1-line block ×20, first 2 shown]
	ds_read_b128 v[68:71], v1 offset:928
	ds_read_b128 v[72:75], v1 offset:944
	;; [unrolled: 1-line block ×3, first 2 shown]
	s_mov_b32 s4, exec_lo
	s_waitcnt vmcnt(18) lgkmcnt(2)
	v_mul_f64 v[98:99], v[70:71], v[2:3]
	v_mul_f64 v[2:3], v[68:69], v[2:3]
	s_waitcnt vmcnt(16) lgkmcnt(1)
	v_mul_f64 v[100:101], v[74:75], v[80:81]
	v_mul_f64 v[80:81], v[72:73], v[80:81]
	s_waitcnt vmcnt(14)
	v_fma_f64 v[68:69], v[68:69], v[82:83], -v[98:99]
	v_fma_f64 v[70:71], v[70:71], v[82:83], v[2:3]
	s_waitcnt vmcnt(12) lgkmcnt(0)
	v_mul_f64 v[82:83], v[76:77], v[84:85]
	v_mul_f64 v[84:85], v[78:79], v[84:85]
	s_waitcnt vmcnt(10)
	v_fma_f64 v[72:73], v[72:73], v[86:87], -v[100:101]
	ds_read_b128 v[1:4], v1 offset:976
	v_fma_f64 v[74:75], v[74:75], v[86:87], v[80:81]
	v_add_f64 v[68:69], v[68:69], 0
	v_add_f64 v[70:71], v[70:71], 0
	s_waitcnt vmcnt(8) lgkmcnt(0)
	v_mul_f64 v[86:87], v[3:4], v[88:89]
	s_waitcnt vmcnt(6)
	v_fma_f64 v[76:77], v[76:77], v[90:91], -v[84:85]
	v_mul_f64 v[80:81], v[1:2], v[88:89]
	v_add_f64 v[68:69], v[68:69], v[72:73]
	v_fma_f64 v[72:73], v[78:79], v[90:91], v[82:83]
	v_add_f64 v[70:71], v[70:71], v[74:75]
	s_waitcnt vmcnt(4)
	v_fma_f64 v[1:2], v[1:2], v[92:93], -v[86:87]
	v_fma_f64 v[3:4], v[3:4], v[92:93], v[80:81]
	v_add_f64 v[68:69], v[68:69], v[76:77]
	v_add_f64 v[70:71], v[70:71], v[72:73]
	v_add_f64 v[1:2], v[68:69], v[1:2]
	v_add_f64 v[3:4], v[70:71], v[3:4]
	s_waitcnt vmcnt(2)
	v_add_f64 v[1:2], v[94:95], -v[1:2]
	s_waitcnt vmcnt(0)
	v_add_f64 v[3:4], v[96:97], -v[3:4]
	buffer_store_dword v1, off, s[0:3], 0 offset:432
	buffer_store_dword v2, off, s[0:3], 0 offset:436
	;; [unrolled: 1-line block ×4, first 2 shown]
	v_cmpx_lt_u32_e32 25, v0
	s_cbranch_execz .LBB94_149
; %bb.148:
	v_mov_b32_e32 v4, s17
	v_mov_b32_e32 v68, 0
	s_clause 0x3
	buffer_load_dword v1, v4, s[0:3], 0 offen
	buffer_load_dword v2, v4, s[0:3], 0 offen offset:4
	buffer_load_dword v3, v4, s[0:3], 0 offen offset:8
	;; [unrolled: 1-line block ×3, first 2 shown]
	buffer_store_dword v68, off, s[0:3], 0 offset:416
	buffer_store_dword v68, off, s[0:3], 0 offset:420
	;; [unrolled: 1-line block ×4, first 2 shown]
	s_waitcnt vmcnt(0)
	ds_write_b128 v67, v[1:4]
.LBB94_149:
	s_or_b32 exec_lo, exec_lo, s4
	s_waitcnt lgkmcnt(0)
	s_waitcnt_vscnt null, 0x0
	s_barrier
	buffer_gl0_inv
	s_clause 0x17
	buffer_load_dword v2, off, s[0:3], 0 offset:440
	buffer_load_dword v3, off, s[0:3], 0 offset:444
	;; [unrolled: 1-line block ×24, first 2 shown]
	v_mov_b32_e32 v1, 0
	ds_read_b128 v[68:71], v1 offset:912
	ds_read_b128 v[72:75], v1 offset:928
	;; [unrolled: 1-line block ×3, first 2 shown]
	s_mov_b32 s4, exec_lo
	s_waitcnt vmcnt(22) lgkmcnt(2)
	v_mul_f64 v[102:103], v[70:71], v[2:3]
	v_mul_f64 v[2:3], v[68:69], v[2:3]
	s_waitcnt vmcnt(20) lgkmcnt(1)
	v_mul_f64 v[104:105], v[74:75], v[80:81]
	v_mul_f64 v[80:81], v[72:73], v[80:81]
	s_waitcnt vmcnt(18)
	v_fma_f64 v[102:103], v[68:69], v[82:83], -v[102:103]
	v_fma_f64 v[2:3], v[70:71], v[82:83], v[2:3]
	ds_read_b128 v[68:71], v1 offset:960
	s_waitcnt vmcnt(16) lgkmcnt(1)
	v_mul_f64 v[82:83], v[76:77], v[84:85]
	v_mul_f64 v[84:85], v[78:79], v[84:85]
	s_waitcnt vmcnt(14)
	v_fma_f64 v[104:105], v[72:73], v[86:87], -v[104:105]
	v_fma_f64 v[80:81], v[74:75], v[86:87], v[80:81]
	ds_read_b128 v[72:75], v1 offset:976
	s_waitcnt vmcnt(10) lgkmcnt(1)
	v_mul_f64 v[86:87], v[68:69], v[88:89]
	v_add_f64 v[102:103], v[102:103], 0
	v_add_f64 v[2:3], v[2:3], 0
	v_mul_f64 v[88:89], v[70:71], v[88:89]
	s_waitcnt vmcnt(8)
	v_fma_f64 v[76:77], v[76:77], v[94:95], -v[84:85]
	v_fma_f64 v[78:79], v[78:79], v[94:95], v[82:83]
	s_waitcnt vmcnt(7) lgkmcnt(0)
	v_mul_f64 v[82:83], v[74:75], v[90:91]
	s_waitcnt vmcnt(5)
	v_fma_f64 v[70:71], v[70:71], v[96:97], v[86:87]
	v_add_f64 v[84:85], v[102:103], v[104:105]
	v_add_f64 v[2:3], v[2:3], v[80:81]
	v_fma_f64 v[68:69], v[68:69], v[96:97], -v[88:89]
	v_mul_f64 v[80:81], v[72:73], v[90:91]
	s_waitcnt vmcnt(4)
	v_fma_f64 v[72:73], v[72:73], v[92:93], -v[82:83]
	v_add_f64 v[76:77], v[84:85], v[76:77]
	v_add_f64 v[2:3], v[2:3], v[78:79]
	v_fma_f64 v[74:75], v[74:75], v[92:93], v[80:81]
	v_add_f64 v[68:69], v[76:77], v[68:69]
	v_add_f64 v[2:3], v[2:3], v[70:71]
	;; [unrolled: 1-line block ×4, first 2 shown]
	s_waitcnt vmcnt(2)
	v_add_f64 v[68:69], v[98:99], -v[68:69]
	s_waitcnt vmcnt(0)
	v_add_f64 v[2:3], v[100:101], -v[2:3]
	buffer_store_dword v69, off, s[0:3], 0 offset:420
	buffer_store_dword v68, off, s[0:3], 0 offset:416
	;; [unrolled: 1-line block ×4, first 2 shown]
	v_cmpx_lt_u32_e32 24, v0
	s_cbranch_execz .LBB94_151
; %bb.150:
	v_mov_b32_e32 v2, s18
	s_clause 0x3
	buffer_load_dword v68, v2, s[0:3], 0 offen
	buffer_load_dword v69, v2, s[0:3], 0 offen offset:4
	buffer_load_dword v70, v2, s[0:3], 0 offen offset:8
	;; [unrolled: 1-line block ×3, first 2 shown]
	buffer_store_dword v1, off, s[0:3], 0 offset:400
	buffer_store_dword v1, off, s[0:3], 0 offset:404
	;; [unrolled: 1-line block ×4, first 2 shown]
	s_waitcnt vmcnt(0)
	ds_write_b128 v67, v[68:71]
.LBB94_151:
	s_or_b32 exec_lo, exec_lo, s4
	s_waitcnt lgkmcnt(0)
	s_waitcnt_vscnt null, 0x0
	s_barrier
	buffer_gl0_inv
	s_clause 0x1b
	buffer_load_dword v2, off, s[0:3], 0 offset:424
	buffer_load_dword v3, off, s[0:3], 0 offset:428
	buffer_load_dword v80, off, s[0:3], 0 offset:440
	buffer_load_dword v81, off, s[0:3], 0 offset:444
	buffer_load_dword v82, off, s[0:3], 0 offset:416
	buffer_load_dword v83, off, s[0:3], 0 offset:420
	buffer_load_dword v84, off, s[0:3], 0 offset:456
	buffer_load_dword v85, off, s[0:3], 0 offset:460
	buffer_load_dword v86, off, s[0:3], 0 offset:432
	buffer_load_dword v87, off, s[0:3], 0 offset:436
	buffer_load_dword v89, off, s[0:3], 0 offset:476
	buffer_load_dword v90, off, s[0:3], 0 offset:488
	buffer_load_dword v92, off, s[0:3], 0 offset:480
	buffer_load_dword v88, off, s[0:3], 0 offset:472
	buffer_load_dword v94, off, s[0:3], 0 offset:448
	buffer_load_dword v95, off, s[0:3], 0 offset:452
	buffer_load_dword v91, off, s[0:3], 0 offset:492
	buffer_load_dword v97, off, s[0:3], 0 offset:468
	buffer_load_dword v96, off, s[0:3], 0 offset:464
	buffer_load_dword v99, off, s[0:3], 0 offset:508
	buffer_load_dword v98, off, s[0:3], 0 offset:504
	buffer_load_dword v93, off, s[0:3], 0 offset:484
	buffer_load_dword v101, off, s[0:3], 0 offset:500
	buffer_load_dword v100, off, s[0:3], 0 offset:496
	buffer_load_dword v102, off, s[0:3], 0 offset:400
	buffer_load_dword v103, off, s[0:3], 0 offset:404
	buffer_load_dword v104, off, s[0:3], 0 offset:408
	buffer_load_dword v105, off, s[0:3], 0 offset:412
	ds_read_b128 v[68:71], v1 offset:896
	ds_read_b128 v[72:75], v1 offset:912
	;; [unrolled: 1-line block ×3, first 2 shown]
	s_mov_b32 s4, exec_lo
	s_waitcnt vmcnt(26) lgkmcnt(2)
	v_mul_f64 v[106:107], v[70:71], v[2:3]
	v_mul_f64 v[2:3], v[68:69], v[2:3]
	s_waitcnt vmcnt(24) lgkmcnt(1)
	v_mul_f64 v[108:109], v[74:75], v[80:81]
	v_mul_f64 v[80:81], v[72:73], v[80:81]
	s_waitcnt vmcnt(22)
	v_fma_f64 v[106:107], v[68:69], v[82:83], -v[106:107]
	v_fma_f64 v[2:3], v[70:71], v[82:83], v[2:3]
	ds_read_b128 v[68:71], v1 offset:944
	s_waitcnt vmcnt(20) lgkmcnt(1)
	v_mul_f64 v[82:83], v[76:77], v[84:85]
	v_mul_f64 v[84:85], v[78:79], v[84:85]
	s_waitcnt vmcnt(18)
	v_fma_f64 v[108:109], v[72:73], v[86:87], -v[108:109]
	v_fma_f64 v[80:81], v[74:75], v[86:87], v[80:81]
	ds_read_b128 v[72:75], v1 offset:960
	s_waitcnt vmcnt(14) lgkmcnt(1)
	v_mul_f64 v[86:87], v[68:69], v[88:89]
	v_add_f64 v[106:107], v[106:107], 0
	v_add_f64 v[2:3], v[2:3], 0
	v_mul_f64 v[88:89], v[70:71], v[88:89]
	s_waitcnt vmcnt(12)
	v_fma_f64 v[76:77], v[76:77], v[94:95], -v[84:85]
	v_fma_f64 v[78:79], v[78:79], v[94:95], v[82:83]
	s_waitcnt vmcnt(11) lgkmcnt(0)
	v_mul_f64 v[82:83], v[72:73], v[90:91]
	v_mul_f64 v[90:91], v[74:75], v[90:91]
	s_waitcnt vmcnt(9)
	v_fma_f64 v[70:71], v[70:71], v[96:97], v[86:87]
	v_add_f64 v[84:85], v[106:107], v[108:109]
	v_add_f64 v[80:81], v[2:3], v[80:81]
	v_fma_f64 v[68:69], v[68:69], v[96:97], -v[88:89]
	ds_read_b128 v[1:4], v1 offset:976
	s_waitcnt vmcnt(6)
	v_fma_f64 v[74:75], v[74:75], v[92:93], v[82:83]
	v_fma_f64 v[72:73], v[72:73], v[92:93], -v[90:91]
	v_add_f64 v[76:77], v[84:85], v[76:77]
	v_add_f64 v[78:79], v[80:81], v[78:79]
	s_waitcnt lgkmcnt(0)
	v_mul_f64 v[84:85], v[3:4], v[98:99]
	v_mul_f64 v[80:81], v[1:2], v[98:99]
	v_add_f64 v[68:69], v[76:77], v[68:69]
	v_add_f64 v[70:71], v[78:79], v[70:71]
	s_waitcnt vmcnt(4)
	v_fma_f64 v[1:2], v[1:2], v[100:101], -v[84:85]
	v_fma_f64 v[3:4], v[3:4], v[100:101], v[80:81]
	v_add_f64 v[68:69], v[68:69], v[72:73]
	v_add_f64 v[70:71], v[70:71], v[74:75]
	;; [unrolled: 1-line block ×4, first 2 shown]
	s_waitcnt vmcnt(2)
	v_add_f64 v[1:2], v[102:103], -v[1:2]
	s_waitcnt vmcnt(0)
	v_add_f64 v[3:4], v[104:105], -v[3:4]
	buffer_store_dword v2, off, s[0:3], 0 offset:404
	buffer_store_dword v1, off, s[0:3], 0 offset:400
	buffer_store_dword v4, off, s[0:3], 0 offset:412
	buffer_store_dword v3, off, s[0:3], 0 offset:408
	v_cmpx_lt_u32_e32 23, v0
	s_cbranch_execz .LBB94_153
; %bb.152:
	v_mov_b32_e32 v4, s19
	v_mov_b32_e32 v68, 0
	s_clause 0x3
	buffer_load_dword v1, v4, s[0:3], 0 offen
	buffer_load_dword v2, v4, s[0:3], 0 offen offset:4
	buffer_load_dword v3, v4, s[0:3], 0 offen offset:8
	;; [unrolled: 1-line block ×3, first 2 shown]
	buffer_store_dword v68, off, s[0:3], 0 offset:384
	buffer_store_dword v68, off, s[0:3], 0 offset:388
	;; [unrolled: 1-line block ×4, first 2 shown]
	s_waitcnt vmcnt(0)
	ds_write_b128 v67, v[1:4]
.LBB94_153:
	s_or_b32 exec_lo, exec_lo, s4
	s_waitcnt lgkmcnt(0)
	s_waitcnt_vscnt null, 0x0
	s_barrier
	buffer_gl0_inv
	s_clause 0x1f
	buffer_load_dword v2, off, s[0:3], 0 offset:408
	buffer_load_dword v3, off, s[0:3], 0 offset:412
	;; [unrolled: 1-line block ×32, first 2 shown]
	v_mov_b32_e32 v1, 0
	ds_read_b128 v[68:71], v1 offset:880
	ds_read_b128 v[72:75], v1 offset:896
	;; [unrolled: 1-line block ×3, first 2 shown]
	s_mov_b32 s4, exec_lo
	s_waitcnt vmcnt(30) lgkmcnt(2)
	v_mul_f64 v[110:111], v[70:71], v[2:3]
	v_mul_f64 v[2:3], v[68:69], v[2:3]
	s_waitcnt vmcnt(28) lgkmcnt(1)
	v_mul_f64 v[112:113], v[74:75], v[80:81]
	v_mul_f64 v[80:81], v[72:73], v[80:81]
	s_waitcnt vmcnt(26)
	v_fma_f64 v[110:111], v[68:69], v[82:83], -v[110:111]
	v_fma_f64 v[2:3], v[70:71], v[82:83], v[2:3]
	ds_read_b128 v[68:71], v1 offset:928
	s_waitcnt vmcnt(24) lgkmcnt(1)
	v_mul_f64 v[82:83], v[76:77], v[84:85]
	v_mul_f64 v[84:85], v[78:79], v[84:85]
	s_waitcnt vmcnt(22)
	v_fma_f64 v[112:113], v[72:73], v[86:87], -v[112:113]
	v_fma_f64 v[80:81], v[74:75], v[86:87], v[80:81]
	ds_read_b128 v[72:75], v1 offset:944
	s_waitcnt vmcnt(18) lgkmcnt(1)
	v_mul_f64 v[86:87], v[68:69], v[88:89]
	v_add_f64 v[110:111], v[110:111], 0
	v_add_f64 v[2:3], v[2:3], 0
	v_mul_f64 v[88:89], v[70:71], v[88:89]
	s_waitcnt vmcnt(16)
	v_fma_f64 v[84:85], v[76:77], v[94:95], -v[84:85]
	v_fma_f64 v[82:83], v[78:79], v[94:95], v[82:83]
	ds_read_b128 v[76:79], v1 offset:960
	s_waitcnt vmcnt(13)
	v_fma_f64 v[86:87], v[70:71], v[96:97], v[86:87]
	v_add_f64 v[110:111], v[110:111], v[112:113]
	v_add_f64 v[2:3], v[2:3], v[80:81]
	s_waitcnt lgkmcnt(1)
	v_mul_f64 v[80:81], v[72:73], v[90:91]
	v_mul_f64 v[90:91], v[74:75], v[90:91]
	v_fma_f64 v[88:89], v[68:69], v[96:97], -v[88:89]
	s_waitcnt vmcnt(9) lgkmcnt(0)
	v_mul_f64 v[94:95], v[78:79], v[98:99]
	ds_read_b128 v[68:71], v1 offset:976
	v_add_f64 v[84:85], v[110:111], v[84:85]
	v_add_f64 v[2:3], v[2:3], v[82:83]
	v_mul_f64 v[82:83], v[76:77], v[98:99]
	s_waitcnt vmcnt(8)
	v_fma_f64 v[72:73], v[72:73], v[92:93], -v[90:91]
	v_fma_f64 v[74:75], v[74:75], v[92:93], v[80:81]
	s_waitcnt vmcnt(5)
	v_fma_f64 v[76:77], v[76:77], v[104:105], -v[94:95]
	s_waitcnt lgkmcnt(0)
	v_mul_f64 v[80:81], v[68:69], v[100:101]
	v_add_f64 v[84:85], v[84:85], v[88:89]
	v_add_f64 v[2:3], v[2:3], v[86:87]
	v_mul_f64 v[86:87], v[70:71], v[100:101]
	v_fma_f64 v[78:79], v[78:79], v[104:105], v[82:83]
	s_waitcnt vmcnt(4)
	v_fma_f64 v[70:71], v[70:71], v[102:103], v[80:81]
	v_add_f64 v[72:73], v[84:85], v[72:73]
	v_add_f64 v[2:3], v[2:3], v[74:75]
	v_fma_f64 v[68:69], v[68:69], v[102:103], -v[86:87]
	v_add_f64 v[72:73], v[72:73], v[76:77]
	v_add_f64 v[2:3], v[2:3], v[78:79]
	;; [unrolled: 1-line block ×4, first 2 shown]
	s_waitcnt vmcnt(2)
	v_add_f64 v[68:69], v[106:107], -v[68:69]
	s_waitcnt vmcnt(0)
	v_add_f64 v[2:3], v[108:109], -v[2:3]
	buffer_store_dword v69, off, s[0:3], 0 offset:388
	buffer_store_dword v68, off, s[0:3], 0 offset:384
	;; [unrolled: 1-line block ×4, first 2 shown]
	v_cmpx_lt_u32_e32 22, v0
	s_cbranch_execz .LBB94_155
; %bb.154:
	v_mov_b32_e32 v2, s20
	s_clause 0x3
	buffer_load_dword v68, v2, s[0:3], 0 offen
	buffer_load_dword v69, v2, s[0:3], 0 offen offset:4
	buffer_load_dword v70, v2, s[0:3], 0 offen offset:8
	;; [unrolled: 1-line block ×3, first 2 shown]
	buffer_store_dword v1, off, s[0:3], 0 offset:368
	buffer_store_dword v1, off, s[0:3], 0 offset:372
	buffer_store_dword v1, off, s[0:3], 0 offset:376
	buffer_store_dword v1, off, s[0:3], 0 offset:380
	s_waitcnt vmcnt(0)
	ds_write_b128 v67, v[68:71]
.LBB94_155:
	s_or_b32 exec_lo, exec_lo, s4
	s_waitcnt lgkmcnt(0)
	s_waitcnt_vscnt null, 0x0
	s_barrier
	buffer_gl0_inv
	s_clause 0x23
	buffer_load_dword v2, off, s[0:3], 0 offset:392
	buffer_load_dword v3, off, s[0:3], 0 offset:396
	buffer_load_dword v80, off, s[0:3], 0 offset:408
	buffer_load_dword v81, off, s[0:3], 0 offset:412
	buffer_load_dword v82, off, s[0:3], 0 offset:384
	buffer_load_dword v83, off, s[0:3], 0 offset:388
	buffer_load_dword v84, off, s[0:3], 0 offset:424
	buffer_load_dword v85, off, s[0:3], 0 offset:428
	buffer_load_dword v86, off, s[0:3], 0 offset:400
	buffer_load_dword v87, off, s[0:3], 0 offset:404
	buffer_load_dword v89, off, s[0:3], 0 offset:444
	buffer_load_dword v90, off, s[0:3], 0 offset:456
	buffer_load_dword v92, off, s[0:3], 0 offset:448
	buffer_load_dword v88, off, s[0:3], 0 offset:440
	buffer_load_dword v94, off, s[0:3], 0 offset:416
	buffer_load_dword v95, off, s[0:3], 0 offset:420
	buffer_load_dword v91, off, s[0:3], 0 offset:460
	buffer_load_dword v97, off, s[0:3], 0 offset:436
	buffer_load_dword v96, off, s[0:3], 0 offset:432
	buffer_load_dword v99, off, s[0:3], 0 offset:476
	buffer_load_dword v100, off, s[0:3], 0 offset:488
	buffer_load_dword v102, off, s[0:3], 0 offset:480
	buffer_load_dword v98, off, s[0:3], 0 offset:472
	buffer_load_dword v93, off, s[0:3], 0 offset:452
	buffer_load_dword v101, off, s[0:3], 0 offset:492
	buffer_load_dword v105, off, s[0:3], 0 offset:468
	buffer_load_dword v104, off, s[0:3], 0 offset:464
	buffer_load_dword v107, off, s[0:3], 0 offset:508
	buffer_load_dword v106, off, s[0:3], 0 offset:504
	buffer_load_dword v103, off, s[0:3], 0 offset:484
	buffer_load_dword v109, off, s[0:3], 0 offset:500
	buffer_load_dword v108, off, s[0:3], 0 offset:496
	buffer_load_dword v110, off, s[0:3], 0 offset:368
	buffer_load_dword v111, off, s[0:3], 0 offset:372
	buffer_load_dword v112, off, s[0:3], 0 offset:376
	buffer_load_dword v113, off, s[0:3], 0 offset:380
	ds_read_b128 v[68:71], v1 offset:864
	ds_read_b128 v[72:75], v1 offset:880
	;; [unrolled: 1-line block ×3, first 2 shown]
	s_mov_b32 s4, exec_lo
	s_waitcnt vmcnt(34) lgkmcnt(2)
	v_mul_f64 v[114:115], v[70:71], v[2:3]
	v_mul_f64 v[2:3], v[68:69], v[2:3]
	s_waitcnt vmcnt(32) lgkmcnt(1)
	v_mul_f64 v[116:117], v[74:75], v[80:81]
	v_mul_f64 v[80:81], v[72:73], v[80:81]
	s_waitcnt vmcnt(30)
	v_fma_f64 v[114:115], v[68:69], v[82:83], -v[114:115]
	v_fma_f64 v[2:3], v[70:71], v[82:83], v[2:3]
	ds_read_b128 v[68:71], v1 offset:912
	s_waitcnt vmcnt(28) lgkmcnt(1)
	v_mul_f64 v[82:83], v[76:77], v[84:85]
	v_mul_f64 v[84:85], v[78:79], v[84:85]
	s_waitcnt vmcnt(26)
	v_fma_f64 v[116:117], v[72:73], v[86:87], -v[116:117]
	v_fma_f64 v[80:81], v[74:75], v[86:87], v[80:81]
	ds_read_b128 v[72:75], v1 offset:928
	s_waitcnt vmcnt(22) lgkmcnt(1)
	v_mul_f64 v[86:87], v[68:69], v[88:89]
	v_add_f64 v[114:115], v[114:115], 0
	v_add_f64 v[2:3], v[2:3], 0
	v_mul_f64 v[88:89], v[70:71], v[88:89]
	s_waitcnt vmcnt(20)
	v_fma_f64 v[84:85], v[76:77], v[94:95], -v[84:85]
	v_fma_f64 v[82:83], v[78:79], v[94:95], v[82:83]
	ds_read_b128 v[76:79], v1 offset:944
	s_waitcnt vmcnt(17)
	v_fma_f64 v[86:87], v[70:71], v[96:97], v[86:87]
	v_add_f64 v[114:115], v[114:115], v[116:117]
	v_add_f64 v[2:3], v[2:3], v[80:81]
	s_waitcnt lgkmcnt(1)
	v_mul_f64 v[80:81], v[72:73], v[90:91]
	v_mul_f64 v[90:91], v[74:75], v[90:91]
	v_fma_f64 v[88:89], v[68:69], v[96:97], -v[88:89]
	s_waitcnt vmcnt(13) lgkmcnt(0)
	v_mul_f64 v[94:95], v[78:79], v[98:99]
	ds_read_b128 v[68:71], v1 offset:960
	v_add_f64 v[84:85], v[114:115], v[84:85]
	v_add_f64 v[2:3], v[2:3], v[82:83]
	v_mul_f64 v[82:83], v[76:77], v[98:99]
	s_waitcnt vmcnt(12)
	v_fma_f64 v[72:73], v[72:73], v[92:93], -v[90:91]
	v_fma_f64 v[74:75], v[74:75], v[92:93], v[80:81]
	s_waitcnt vmcnt(9)
	v_fma_f64 v[76:77], v[76:77], v[104:105], -v[94:95]
	v_add_f64 v[84:85], v[84:85], v[88:89]
	v_add_f64 v[80:81], v[2:3], v[86:87]
	s_waitcnt lgkmcnt(0)
	v_mul_f64 v[88:89], v[70:71], v[100:101]
	ds_read_b128 v[1:4], v1 offset:976
	v_mul_f64 v[86:87], v[68:69], v[100:101]
	v_fma_f64 v[78:79], v[78:79], v[104:105], v[82:83]
	v_add_f64 v[72:73], v[84:85], v[72:73]
	v_add_f64 v[74:75], v[80:81], v[74:75]
	s_waitcnt vmcnt(7) lgkmcnt(0)
	v_mul_f64 v[82:83], v[3:4], v[106:107]
	s_waitcnt vmcnt(6)
	v_fma_f64 v[68:69], v[68:69], v[102:103], -v[88:89]
	v_mul_f64 v[80:81], v[1:2], v[106:107]
	v_fma_f64 v[70:71], v[70:71], v[102:103], v[86:87]
	v_add_f64 v[72:73], v[72:73], v[76:77]
	v_add_f64 v[74:75], v[74:75], v[78:79]
	s_waitcnt vmcnt(4)
	v_fma_f64 v[1:2], v[1:2], v[108:109], -v[82:83]
	v_fma_f64 v[3:4], v[3:4], v[108:109], v[80:81]
	v_add_f64 v[68:69], v[72:73], v[68:69]
	v_add_f64 v[70:71], v[74:75], v[70:71]
	;; [unrolled: 1-line block ×4, first 2 shown]
	s_waitcnt vmcnt(2)
	v_add_f64 v[1:2], v[110:111], -v[1:2]
	s_waitcnt vmcnt(0)
	v_add_f64 v[3:4], v[112:113], -v[3:4]
	buffer_store_dword v2, off, s[0:3], 0 offset:372
	buffer_store_dword v1, off, s[0:3], 0 offset:368
	buffer_store_dword v4, off, s[0:3], 0 offset:380
	buffer_store_dword v3, off, s[0:3], 0 offset:376
	v_cmpx_lt_u32_e32 21, v0
	s_cbranch_execz .LBB94_157
; %bb.156:
	v_mov_b32_e32 v4, s21
	v_mov_b32_e32 v68, 0
	s_clause 0x3
	buffer_load_dword v1, v4, s[0:3], 0 offen
	buffer_load_dword v2, v4, s[0:3], 0 offen offset:4
	buffer_load_dword v3, v4, s[0:3], 0 offen offset:8
	;; [unrolled: 1-line block ×3, first 2 shown]
	buffer_store_dword v68, off, s[0:3], 0 offset:352
	buffer_store_dword v68, off, s[0:3], 0 offset:356
	;; [unrolled: 1-line block ×4, first 2 shown]
	s_waitcnt vmcnt(0)
	ds_write_b128 v67, v[1:4]
.LBB94_157:
	s_or_b32 exec_lo, exec_lo, s4
	s_waitcnt lgkmcnt(0)
	s_waitcnt_vscnt null, 0x0
	s_barrier
	buffer_gl0_inv
	s_clause 0x27
	buffer_load_dword v2, off, s[0:3], 0 offset:376
	buffer_load_dword v3, off, s[0:3], 0 offset:380
	;; [unrolled: 1-line block ×40, first 2 shown]
	v_mov_b32_e32 v1, 0
	ds_read_b128 v[68:71], v1 offset:848
	ds_read_b128 v[72:75], v1 offset:864
	;; [unrolled: 1-line block ×3, first 2 shown]
	s_mov_b32 s4, exec_lo
	s_waitcnt vmcnt(38) lgkmcnt(2)
	v_mul_f64 v[118:119], v[70:71], v[2:3]
	v_mul_f64 v[2:3], v[68:69], v[2:3]
	s_waitcnt vmcnt(36) lgkmcnt(1)
	v_mul_f64 v[120:121], v[74:75], v[80:81]
	v_mul_f64 v[80:81], v[72:73], v[80:81]
	s_waitcnt vmcnt(34)
	v_fma_f64 v[118:119], v[68:69], v[82:83], -v[118:119]
	v_fma_f64 v[2:3], v[70:71], v[82:83], v[2:3]
	ds_read_b128 v[68:71], v1 offset:896
	s_waitcnt vmcnt(32) lgkmcnt(1)
	v_mul_f64 v[82:83], v[76:77], v[84:85]
	v_mul_f64 v[84:85], v[78:79], v[84:85]
	s_waitcnt vmcnt(30)
	v_fma_f64 v[120:121], v[72:73], v[86:87], -v[120:121]
	v_fma_f64 v[80:81], v[74:75], v[86:87], v[80:81]
	ds_read_b128 v[72:75], v1 offset:912
	s_waitcnt vmcnt(26) lgkmcnt(1)
	v_mul_f64 v[86:87], v[68:69], v[88:89]
	v_add_f64 v[118:119], v[118:119], 0
	v_add_f64 v[2:3], v[2:3], 0
	v_mul_f64 v[88:89], v[70:71], v[88:89]
	s_waitcnt vmcnt(24)
	v_fma_f64 v[84:85], v[76:77], v[94:95], -v[84:85]
	v_fma_f64 v[82:83], v[78:79], v[94:95], v[82:83]
	ds_read_b128 v[76:79], v1 offset:928
	s_waitcnt vmcnt(21)
	v_fma_f64 v[86:87], v[70:71], v[96:97], v[86:87]
	v_add_f64 v[118:119], v[118:119], v[120:121]
	v_add_f64 v[2:3], v[2:3], v[80:81]
	s_waitcnt lgkmcnt(1)
	v_mul_f64 v[80:81], v[72:73], v[90:91]
	v_mul_f64 v[90:91], v[74:75], v[90:91]
	v_fma_f64 v[88:89], v[68:69], v[96:97], -v[88:89]
	s_waitcnt vmcnt(17) lgkmcnt(0)
	v_mul_f64 v[94:95], v[78:79], v[98:99]
	ds_read_b128 v[68:71], v1 offset:944
	v_add_f64 v[84:85], v[118:119], v[84:85]
	v_add_f64 v[2:3], v[2:3], v[82:83]
	v_mul_f64 v[82:83], v[76:77], v[98:99]
	s_waitcnt vmcnt(16)
	v_fma_f64 v[90:91], v[72:73], v[92:93], -v[90:91]
	v_fma_f64 v[80:81], v[74:75], v[92:93], v[80:81]
	ds_read_b128 v[72:75], v1 offset:960
	s_waitcnt vmcnt(13)
	v_fma_f64 v[92:93], v[76:77], v[104:105], -v[94:95]
	v_add_f64 v[84:85], v[84:85], v[88:89]
	v_add_f64 v[2:3], v[2:3], v[86:87]
	s_waitcnt lgkmcnt(1)
	v_mul_f64 v[88:89], v[70:71], v[100:101]
	v_mul_f64 v[86:87], v[68:69], v[100:101]
	v_fma_f64 v[82:83], v[78:79], v[104:105], v[82:83]
	ds_read_b128 v[76:79], v1 offset:976
	v_add_f64 v[84:85], v[84:85], v[90:91]
	v_add_f64 v[2:3], v[2:3], v[80:81]
	s_waitcnt vmcnt(9) lgkmcnt(1)
	v_mul_f64 v[90:91], v[74:75], v[106:107]
	s_waitcnt vmcnt(8)
	v_fma_f64 v[68:69], v[68:69], v[102:103], -v[88:89]
	v_mul_f64 v[80:81], v[72:73], v[106:107]
	v_fma_f64 v[70:71], v[70:71], v[102:103], v[86:87]
	s_waitcnt vmcnt(7) lgkmcnt(0)
	v_mul_f64 v[86:87], v[78:79], v[108:109]
	v_add_f64 v[84:85], v[84:85], v[92:93]
	v_add_f64 v[2:3], v[2:3], v[82:83]
	s_waitcnt vmcnt(5)
	v_fma_f64 v[72:73], v[72:73], v[112:113], -v[90:91]
	v_mul_f64 v[82:83], v[76:77], v[108:109]
	v_fma_f64 v[74:75], v[74:75], v[112:113], v[80:81]
	v_add_f64 v[68:69], v[84:85], v[68:69]
	v_add_f64 v[2:3], v[2:3], v[70:71]
	s_waitcnt vmcnt(4)
	v_fma_f64 v[70:71], v[76:77], v[110:111], -v[86:87]
	v_add_f64 v[68:69], v[68:69], v[72:73]
	v_fma_f64 v[72:73], v[78:79], v[110:111], v[82:83]
	v_add_f64 v[2:3], v[2:3], v[74:75]
	v_add_f64 v[68:69], v[68:69], v[70:71]
	;; [unrolled: 1-line block ×3, first 2 shown]
	s_waitcnt vmcnt(2)
	v_add_f64 v[68:69], v[114:115], -v[68:69]
	s_waitcnt vmcnt(0)
	v_add_f64 v[2:3], v[116:117], -v[2:3]
	buffer_store_dword v69, off, s[0:3], 0 offset:356
	buffer_store_dword v68, off, s[0:3], 0 offset:352
	;; [unrolled: 1-line block ×4, first 2 shown]
	v_cmpx_lt_u32_e32 20, v0
	s_cbranch_execz .LBB94_159
; %bb.158:
	v_mov_b32_e32 v2, s22
	s_clause 0x3
	buffer_load_dword v68, v2, s[0:3], 0 offen
	buffer_load_dword v69, v2, s[0:3], 0 offen offset:4
	buffer_load_dword v70, v2, s[0:3], 0 offen offset:8
	buffer_load_dword v71, v2, s[0:3], 0 offen offset:12
	buffer_store_dword v1, off, s[0:3], 0 offset:336
	buffer_store_dword v1, off, s[0:3], 0 offset:340
	;; [unrolled: 1-line block ×4, first 2 shown]
	s_waitcnt vmcnt(0)
	ds_write_b128 v67, v[68:71]
.LBB94_159:
	s_or_b32 exec_lo, exec_lo, s4
	s_waitcnt lgkmcnt(0)
	s_waitcnt_vscnt null, 0x0
	s_barrier
	buffer_gl0_inv
	s_clause 0x2b
	buffer_load_dword v2, off, s[0:3], 0 offset:360
	buffer_load_dword v3, off, s[0:3], 0 offset:364
	;; [unrolled: 1-line block ×44, first 2 shown]
	ds_read_b128 v[68:71], v1 offset:832
	ds_read_b128 v[72:75], v1 offset:848
	ds_read_b128 v[76:79], v1 offset:864
	s_mov_b32 s4, exec_lo
	s_waitcnt vmcnt(42) lgkmcnt(2)
	v_mul_f64 v[122:123], v[70:71], v[2:3]
	v_mul_f64 v[2:3], v[68:69], v[2:3]
	s_waitcnt vmcnt(40) lgkmcnt(1)
	v_mul_f64 v[124:125], v[74:75], v[80:81]
	v_mul_f64 v[80:81], v[72:73], v[80:81]
	s_waitcnt vmcnt(38)
	v_fma_f64 v[122:123], v[68:69], v[82:83], -v[122:123]
	v_fma_f64 v[2:3], v[70:71], v[82:83], v[2:3]
	ds_read_b128 v[68:71], v1 offset:880
	s_waitcnt vmcnt(36) lgkmcnt(1)
	v_mul_f64 v[82:83], v[76:77], v[84:85]
	v_mul_f64 v[84:85], v[78:79], v[84:85]
	s_waitcnt vmcnt(34)
	v_fma_f64 v[124:125], v[72:73], v[86:87], -v[124:125]
	v_fma_f64 v[80:81], v[74:75], v[86:87], v[80:81]
	ds_read_b128 v[72:75], v1 offset:896
	s_waitcnt vmcnt(30) lgkmcnt(1)
	v_mul_f64 v[86:87], v[68:69], v[88:89]
	v_add_f64 v[122:123], v[122:123], 0
	v_add_f64 v[2:3], v[2:3], 0
	v_mul_f64 v[88:89], v[70:71], v[88:89]
	s_waitcnt vmcnt(28)
	v_fma_f64 v[84:85], v[76:77], v[94:95], -v[84:85]
	v_fma_f64 v[82:83], v[78:79], v[94:95], v[82:83]
	ds_read_b128 v[76:79], v1 offset:912
	s_waitcnt vmcnt(25)
	v_fma_f64 v[86:87], v[70:71], v[96:97], v[86:87]
	v_add_f64 v[122:123], v[122:123], v[124:125]
	v_add_f64 v[2:3], v[2:3], v[80:81]
	s_waitcnt lgkmcnt(1)
	v_mul_f64 v[80:81], v[72:73], v[90:91]
	v_mul_f64 v[90:91], v[74:75], v[90:91]
	v_fma_f64 v[88:89], v[68:69], v[96:97], -v[88:89]
	s_waitcnt vmcnt(21) lgkmcnt(0)
	v_mul_f64 v[94:95], v[78:79], v[98:99]
	ds_read_b128 v[68:71], v1 offset:928
	v_add_f64 v[84:85], v[122:123], v[84:85]
	v_add_f64 v[2:3], v[2:3], v[82:83]
	v_mul_f64 v[82:83], v[76:77], v[98:99]
	s_waitcnt vmcnt(20)
	v_fma_f64 v[90:91], v[72:73], v[92:93], -v[90:91]
	v_fma_f64 v[80:81], v[74:75], v[92:93], v[80:81]
	ds_read_b128 v[72:75], v1 offset:944
	s_waitcnt vmcnt(17)
	v_fma_f64 v[92:93], v[76:77], v[104:105], -v[94:95]
	v_add_f64 v[84:85], v[84:85], v[88:89]
	v_add_f64 v[2:3], v[2:3], v[86:87]
	s_waitcnt lgkmcnt(1)
	v_mul_f64 v[88:89], v[70:71], v[100:101]
	v_mul_f64 v[86:87], v[68:69], v[100:101]
	v_fma_f64 v[82:83], v[78:79], v[104:105], v[82:83]
	ds_read_b128 v[76:79], v1 offset:960
	v_add_f64 v[84:85], v[84:85], v[90:91]
	v_add_f64 v[2:3], v[2:3], v[80:81]
	s_waitcnt vmcnt(13) lgkmcnt(1)
	v_mul_f64 v[90:91], v[74:75], v[106:107]
	s_waitcnt vmcnt(12)
	v_fma_f64 v[68:69], v[68:69], v[102:103], -v[88:89]
	v_mul_f64 v[80:81], v[72:73], v[106:107]
	v_fma_f64 v[70:71], v[70:71], v[102:103], v[86:87]
	s_waitcnt vmcnt(11) lgkmcnt(0)
	v_mul_f64 v[88:89], v[78:79], v[108:109]
	v_mul_f64 v[86:87], v[76:77], v[108:109]
	v_add_f64 v[84:85], v[84:85], v[92:93]
	v_add_f64 v[82:83], v[2:3], v[82:83]
	s_waitcnt vmcnt(9)
	v_fma_f64 v[72:73], v[72:73], v[112:113], -v[90:91]
	ds_read_b128 v[1:4], v1 offset:976
	v_fma_f64 v[74:75], v[74:75], v[112:113], v[80:81]
	s_waitcnt vmcnt(6)
	v_fma_f64 v[76:77], v[76:77], v[110:111], -v[88:89]
	v_add_f64 v[68:69], v[84:85], v[68:69]
	v_add_f64 v[70:71], v[82:83], v[70:71]
	s_waitcnt lgkmcnt(0)
	v_mul_f64 v[82:83], v[3:4], v[114:115]
	v_mul_f64 v[80:81], v[1:2], v[114:115]
	v_add_f64 v[68:69], v[68:69], v[72:73]
	v_fma_f64 v[72:73], v[78:79], v[110:111], v[86:87]
	v_add_f64 v[70:71], v[70:71], v[74:75]
	s_waitcnt vmcnt(4)
	v_fma_f64 v[1:2], v[1:2], v[116:117], -v[82:83]
	v_fma_f64 v[3:4], v[3:4], v[116:117], v[80:81]
	v_add_f64 v[68:69], v[68:69], v[76:77]
	v_add_f64 v[70:71], v[70:71], v[72:73]
	;; [unrolled: 1-line block ×4, first 2 shown]
	s_waitcnt vmcnt(2)
	v_add_f64 v[1:2], v[118:119], -v[1:2]
	s_waitcnt vmcnt(0)
	v_add_f64 v[3:4], v[120:121], -v[3:4]
	buffer_store_dword v2, off, s[0:3], 0 offset:340
	buffer_store_dword v1, off, s[0:3], 0 offset:336
	;; [unrolled: 1-line block ×4, first 2 shown]
	v_cmpx_lt_u32_e32 19, v0
	s_cbranch_execz .LBB94_161
; %bb.160:
	v_mov_b32_e32 v4, s23
	v_mov_b32_e32 v68, 0
	s_clause 0x3
	buffer_load_dword v1, v4, s[0:3], 0 offen
	buffer_load_dword v2, v4, s[0:3], 0 offen offset:4
	buffer_load_dword v3, v4, s[0:3], 0 offen offset:8
	;; [unrolled: 1-line block ×3, first 2 shown]
	buffer_store_dword v68, off, s[0:3], 0 offset:320
	buffer_store_dword v68, off, s[0:3], 0 offset:324
	;; [unrolled: 1-line block ×4, first 2 shown]
	s_waitcnt vmcnt(0)
	ds_write_b128 v67, v[1:4]
.LBB94_161:
	s_or_b32 exec_lo, exec_lo, s4
	s_waitcnt lgkmcnt(0)
	s_waitcnt_vscnt null, 0x0
	s_barrier
	buffer_gl0_inv
	s_clause 0x2f
	buffer_load_dword v2, off, s[0:3], 0 offset:344
	buffer_load_dword v3, off, s[0:3], 0 offset:348
	;; [unrolled: 1-line block ×48, first 2 shown]
	v_mov_b32_e32 v1, 0
	ds_read_b128 v[68:71], v1 offset:816
	ds_read_b128 v[72:75], v1 offset:832
	;; [unrolled: 1-line block ×3, first 2 shown]
	s_mov_b32 s4, exec_lo
	s_waitcnt vmcnt(46) lgkmcnt(2)
	v_mul_f64 v[126:127], v[70:71], v[2:3]
	v_mul_f64 v[2:3], v[68:69], v[2:3]
	s_waitcnt vmcnt(44) lgkmcnt(1)
	v_mul_f64 v[128:129], v[74:75], v[80:81]
	v_mul_f64 v[80:81], v[72:73], v[80:81]
	s_waitcnt vmcnt(42)
	v_fma_f64 v[126:127], v[68:69], v[82:83], -v[126:127]
	v_fma_f64 v[2:3], v[70:71], v[82:83], v[2:3]
	ds_read_b128 v[68:71], v1 offset:864
	s_waitcnt vmcnt(40) lgkmcnt(1)
	v_mul_f64 v[82:83], v[76:77], v[84:85]
	v_mul_f64 v[84:85], v[78:79], v[84:85]
	s_waitcnt vmcnt(38)
	v_fma_f64 v[128:129], v[72:73], v[86:87], -v[128:129]
	v_fma_f64 v[80:81], v[74:75], v[86:87], v[80:81]
	ds_read_b128 v[72:75], v1 offset:880
	s_waitcnt vmcnt(34) lgkmcnt(1)
	v_mul_f64 v[86:87], v[68:69], v[88:89]
	v_add_f64 v[126:127], v[126:127], 0
	v_add_f64 v[2:3], v[2:3], 0
	v_mul_f64 v[88:89], v[70:71], v[88:89]
	s_waitcnt vmcnt(32)
	v_fma_f64 v[84:85], v[76:77], v[94:95], -v[84:85]
	v_fma_f64 v[82:83], v[78:79], v[94:95], v[82:83]
	ds_read_b128 v[76:79], v1 offset:896
	s_waitcnt vmcnt(29)
	v_fma_f64 v[86:87], v[70:71], v[96:97], v[86:87]
	v_add_f64 v[126:127], v[126:127], v[128:129]
	v_add_f64 v[2:3], v[2:3], v[80:81]
	s_waitcnt lgkmcnt(1)
	v_mul_f64 v[80:81], v[72:73], v[90:91]
	v_mul_f64 v[90:91], v[74:75], v[90:91]
	v_fma_f64 v[88:89], v[68:69], v[96:97], -v[88:89]
	s_waitcnt vmcnt(25) lgkmcnt(0)
	v_mul_f64 v[94:95], v[78:79], v[98:99]
	ds_read_b128 v[68:71], v1 offset:912
	v_add_f64 v[84:85], v[126:127], v[84:85]
	v_add_f64 v[2:3], v[2:3], v[82:83]
	v_mul_f64 v[82:83], v[76:77], v[98:99]
	s_waitcnt vmcnt(24)
	v_fma_f64 v[90:91], v[72:73], v[92:93], -v[90:91]
	v_fma_f64 v[80:81], v[74:75], v[92:93], v[80:81]
	ds_read_b128 v[72:75], v1 offset:928
	s_waitcnt vmcnt(21)
	v_fma_f64 v[92:93], v[76:77], v[104:105], -v[94:95]
	v_add_f64 v[84:85], v[84:85], v[88:89]
	v_add_f64 v[2:3], v[2:3], v[86:87]
	s_waitcnt lgkmcnt(1)
	v_mul_f64 v[88:89], v[70:71], v[100:101]
	v_mul_f64 v[86:87], v[68:69], v[100:101]
	v_fma_f64 v[82:83], v[78:79], v[104:105], v[82:83]
	ds_read_b128 v[76:79], v1 offset:944
	v_add_f64 v[84:85], v[84:85], v[90:91]
	v_add_f64 v[2:3], v[2:3], v[80:81]
	s_waitcnt vmcnt(17) lgkmcnt(1)
	v_mul_f64 v[90:91], v[74:75], v[106:107]
	s_waitcnt vmcnt(16)
	v_fma_f64 v[88:89], v[68:69], v[102:103], -v[88:89]
	v_mul_f64 v[80:81], v[72:73], v[106:107]
	v_fma_f64 v[86:87], v[70:71], v[102:103], v[86:87]
	ds_read_b128 v[68:71], v1 offset:960
	v_add_f64 v[84:85], v[84:85], v[92:93]
	v_add_f64 v[2:3], v[2:3], v[82:83]
	s_waitcnt vmcnt(15) lgkmcnt(1)
	v_mul_f64 v[92:93], v[78:79], v[108:109]
	s_waitcnt vmcnt(13)
	v_fma_f64 v[90:91], v[72:73], v[112:113], -v[90:91]
	;; [unrolled: 9-line block ×3, first 2 shown]
	v_mul_f64 v[86:87], v[68:69], v[114:115]
	v_fma_f64 v[78:79], v[78:79], v[110:111], v[82:83]
	s_waitcnt vmcnt(7) lgkmcnt(0)
	v_mul_f64 v[82:83], v[74:75], v[116:117]
	v_add_f64 v[84:85], v[84:85], v[90:91]
	v_add_f64 v[2:3], v[2:3], v[80:81]
	s_waitcnt vmcnt(5)
	v_fma_f64 v[68:69], v[68:69], v[120:121], -v[88:89]
	v_mul_f64 v[80:81], v[72:73], v[116:117]
	v_fma_f64 v[70:71], v[70:71], v[120:121], v[86:87]
	s_waitcnt vmcnt(4)
	v_fma_f64 v[72:73], v[72:73], v[118:119], -v[82:83]
	v_add_f64 v[76:77], v[84:85], v[76:77]
	v_add_f64 v[2:3], v[2:3], v[78:79]
	v_fma_f64 v[74:75], v[74:75], v[118:119], v[80:81]
	v_add_f64 v[68:69], v[76:77], v[68:69]
	v_add_f64 v[2:3], v[2:3], v[70:71]
	v_add_f64 v[68:69], v[68:69], v[72:73]
	v_add_f64 v[2:3], v[2:3], v[74:75]
	s_waitcnt vmcnt(2)
	v_add_f64 v[68:69], v[122:123], -v[68:69]
	s_waitcnt vmcnt(0)
	v_add_f64 v[2:3], v[124:125], -v[2:3]
	buffer_store_dword v69, off, s[0:3], 0 offset:324
	buffer_store_dword v68, off, s[0:3], 0 offset:320
	;; [unrolled: 1-line block ×4, first 2 shown]
	v_cmpx_lt_u32_e32 18, v0
	s_cbranch_execz .LBB94_163
; %bb.162:
	v_mov_b32_e32 v2, s24
	s_clause 0x3
	buffer_load_dword v68, v2, s[0:3], 0 offen
	buffer_load_dword v69, v2, s[0:3], 0 offen offset:4
	buffer_load_dword v70, v2, s[0:3], 0 offen offset:8
	;; [unrolled: 1-line block ×3, first 2 shown]
	buffer_store_dword v1, off, s[0:3], 0 offset:304
	buffer_store_dword v1, off, s[0:3], 0 offset:308
	;; [unrolled: 1-line block ×4, first 2 shown]
	s_waitcnt vmcnt(0)
	ds_write_b128 v67, v[68:71]
.LBB94_163:
	s_or_b32 exec_lo, exec_lo, s4
	s_waitcnt lgkmcnt(0)
	s_waitcnt_vscnt null, 0x0
	s_barrier
	buffer_gl0_inv
	s_clause 0x2f
	buffer_load_dword v2, off, s[0:3], 0 offset:328
	buffer_load_dword v3, off, s[0:3], 0 offset:332
	;; [unrolled: 1-line block ×48, first 2 shown]
	ds_read_b128 v[68:71], v1 offset:800
	s_clause 0x3
	buffer_load_dword v126, off, s[0:3], 0 offset:304
	buffer_load_dword v127, off, s[0:3], 0 offset:308
	buffer_load_dword v128, off, s[0:3], 0 offset:312
	buffer_load_dword v129, off, s[0:3], 0 offset:316
	ds_read_b128 v[72:75], v1 offset:816
	ds_read_b128 v[76:79], v1 offset:832
	s_mov_b32 s4, exec_lo
	s_waitcnt vmcnt(50) lgkmcnt(2)
	v_mul_f64 v[130:131], v[70:71], v[2:3]
	v_mul_f64 v[2:3], v[68:69], v[2:3]
	s_waitcnt vmcnt(48) lgkmcnt(1)
	v_mul_f64 v[132:133], v[74:75], v[80:81]
	v_mul_f64 v[80:81], v[72:73], v[80:81]
	s_waitcnt vmcnt(46)
	v_fma_f64 v[130:131], v[68:69], v[82:83], -v[130:131]
	v_fma_f64 v[2:3], v[70:71], v[82:83], v[2:3]
	s_waitcnt vmcnt(44) lgkmcnt(0)
	v_mul_f64 v[82:83], v[76:77], v[84:85]
	v_mul_f64 v[84:85], v[78:79], v[84:85]
	s_waitcnt vmcnt(42)
	v_fma_f64 v[132:133], v[72:73], v[86:87], -v[132:133]
	ds_read_b128 v[68:71], v1 offset:848
	v_fma_f64 v[80:81], v[74:75], v[86:87], v[80:81]
	ds_read_b128 v[72:75], v1 offset:864
	v_add_f64 v[130:131], v[130:131], 0
	v_add_f64 v[2:3], v[2:3], 0
	s_waitcnt vmcnt(36)
	v_fma_f64 v[82:83], v[78:79], v[94:95], v[82:83]
	s_waitcnt lgkmcnt(1)
	v_mul_f64 v[86:87], v[68:69], v[88:89]
	v_mul_f64 v[88:89], v[70:71], v[88:89]
	v_fma_f64 v[84:85], v[76:77], v[94:95], -v[84:85]
	ds_read_b128 v[76:79], v1 offset:880
	v_add_f64 v[130:131], v[130:131], v[132:133]
	v_add_f64 v[2:3], v[2:3], v[80:81]
	s_waitcnt vmcnt(35) lgkmcnt(1)
	v_mul_f64 v[80:81], v[72:73], v[90:91]
	v_mul_f64 v[90:91], v[74:75], v[90:91]
	s_waitcnt vmcnt(33)
	v_fma_f64 v[88:89], v[68:69], v[96:97], -v[88:89]
	v_fma_f64 v[86:87], v[70:71], v[96:97], v[86:87]
	ds_read_b128 v[68:71], v1 offset:896
	s_waitcnt vmcnt(29) lgkmcnt(1)
	v_mul_f64 v[94:95], v[78:79], v[98:99]
	v_add_f64 v[84:85], v[130:131], v[84:85]
	v_add_f64 v[2:3], v[2:3], v[82:83]
	v_mul_f64 v[82:83], v[76:77], v[98:99]
	s_waitcnt vmcnt(28)
	v_fma_f64 v[90:91], v[72:73], v[92:93], -v[90:91]
	v_fma_f64 v[80:81], v[74:75], v[92:93], v[80:81]
	ds_read_b128 v[72:75], v1 offset:912
	s_waitcnt vmcnt(25)
	v_fma_f64 v[92:93], v[76:77], v[104:105], -v[94:95]
	v_add_f64 v[84:85], v[84:85], v[88:89]
	v_add_f64 v[2:3], v[2:3], v[86:87]
	s_waitcnt lgkmcnt(1)
	v_mul_f64 v[88:89], v[70:71], v[100:101]
	v_mul_f64 v[86:87], v[68:69], v[100:101]
	v_fma_f64 v[82:83], v[78:79], v[104:105], v[82:83]
	ds_read_b128 v[76:79], v1 offset:928
	v_add_f64 v[84:85], v[84:85], v[90:91]
	v_add_f64 v[2:3], v[2:3], v[80:81]
	s_waitcnt vmcnt(21) lgkmcnt(1)
	v_mul_f64 v[90:91], v[74:75], v[106:107]
	s_waitcnt vmcnt(20)
	v_fma_f64 v[88:89], v[68:69], v[102:103], -v[88:89]
	v_mul_f64 v[80:81], v[72:73], v[106:107]
	v_fma_f64 v[86:87], v[70:71], v[102:103], v[86:87]
	ds_read_b128 v[68:71], v1 offset:944
	v_add_f64 v[84:85], v[84:85], v[92:93]
	v_add_f64 v[2:3], v[2:3], v[82:83]
	s_waitcnt vmcnt(19) lgkmcnt(1)
	v_mul_f64 v[92:93], v[78:79], v[108:109]
	s_waitcnt vmcnt(17)
	v_fma_f64 v[90:91], v[72:73], v[112:113], -v[90:91]
	;; [unrolled: 9-line block ×3, first 2 shown]
	v_mul_f64 v[86:87], v[68:69], v[114:115]
	v_fma_f64 v[78:79], v[78:79], v[110:111], v[82:83]
	s_waitcnt vmcnt(11) lgkmcnt(0)
	v_mul_f64 v[82:83], v[72:73], v[116:117]
	v_add_f64 v[84:85], v[84:85], v[90:91]
	v_add_f64 v[80:81], v[2:3], v[80:81]
	v_mul_f64 v[90:91], v[74:75], v[116:117]
	s_waitcnt vmcnt(9)
	v_fma_f64 v[68:69], v[68:69], v[120:121], -v[88:89]
	ds_read_b128 v[1:4], v1 offset:976
	v_fma_f64 v[70:71], v[70:71], v[120:121], v[86:87]
	s_waitcnt vmcnt(6)
	v_fma_f64 v[74:75], v[74:75], v[118:119], v[82:83]
	v_add_f64 v[76:77], v[84:85], v[76:77]
	v_add_f64 v[78:79], v[80:81], v[78:79]
	s_waitcnt lgkmcnt(0)
	v_mul_f64 v[84:85], v[3:4], v[122:123]
	v_fma_f64 v[72:73], v[72:73], v[118:119], -v[90:91]
	v_mul_f64 v[80:81], v[1:2], v[122:123]
	v_add_f64 v[68:69], v[76:77], v[68:69]
	v_add_f64 v[70:71], v[78:79], v[70:71]
	s_waitcnt vmcnt(4)
	v_fma_f64 v[1:2], v[1:2], v[124:125], -v[84:85]
	v_fma_f64 v[3:4], v[3:4], v[124:125], v[80:81]
	v_add_f64 v[68:69], v[68:69], v[72:73]
	v_add_f64 v[70:71], v[70:71], v[74:75]
	;; [unrolled: 1-line block ×4, first 2 shown]
	s_waitcnt vmcnt(2)
	v_add_f64 v[1:2], v[126:127], -v[1:2]
	s_waitcnt vmcnt(0)
	v_add_f64 v[3:4], v[128:129], -v[3:4]
	buffer_store_dword v2, off, s[0:3], 0 offset:308
	buffer_store_dword v1, off, s[0:3], 0 offset:304
	;; [unrolled: 1-line block ×4, first 2 shown]
	v_cmpx_lt_u32_e32 17, v0
	s_cbranch_execz .LBB94_165
; %bb.164:
	v_mov_b32_e32 v4, s25
	v_mov_b32_e32 v68, 0
	s_clause 0x3
	buffer_load_dword v1, v4, s[0:3], 0 offen
	buffer_load_dword v2, v4, s[0:3], 0 offen offset:4
	buffer_load_dword v3, v4, s[0:3], 0 offen offset:8
	;; [unrolled: 1-line block ×3, first 2 shown]
	buffer_store_dword v68, off, s[0:3], 0 offset:288
	buffer_store_dword v68, off, s[0:3], 0 offset:292
	buffer_store_dword v68, off, s[0:3], 0 offset:296
	buffer_store_dword v68, off, s[0:3], 0 offset:300
	s_waitcnt vmcnt(0)
	ds_write_b128 v67, v[1:4]
.LBB94_165:
	s_or_b32 exec_lo, exec_lo, s4
	s_waitcnt lgkmcnt(0)
	s_waitcnt_vscnt null, 0x0
	s_barrier
	buffer_gl0_inv
	s_clause 0x33
	buffer_load_dword v2, off, s[0:3], 0 offset:312
	buffer_load_dword v3, off, s[0:3], 0 offset:316
	;; [unrolled: 1-line block ×52, first 2 shown]
	v_mov_b32_e32 v1, 0
	ds_read_b128 v[68:71], v1 offset:784
	ds_read_b128 v[72:75], v1 offset:800
	s_clause 0x3
	buffer_load_dword v132, off, s[0:3], 0 offset:288
	buffer_load_dword v133, off, s[0:3], 0 offset:292
	buffer_load_dword v134, off, s[0:3], 0 offset:296
	buffer_load_dword v135, off, s[0:3], 0 offset:300
	ds_read_b128 v[76:79], v1 offset:816
	s_mov_b32 s4, exec_lo
	s_waitcnt vmcnt(54) lgkmcnt(2)
	v_mul_f64 v[130:131], v[70:71], v[2:3]
	v_mul_f64 v[2:3], v[68:69], v[2:3]
	s_waitcnt vmcnt(52) lgkmcnt(1)
	v_mul_f64 v[136:137], v[74:75], v[80:81]
	v_mul_f64 v[80:81], v[72:73], v[80:81]
	s_waitcnt vmcnt(50)
	v_fma_f64 v[130:131], v[68:69], v[82:83], -v[130:131]
	v_fma_f64 v[2:3], v[70:71], v[82:83], v[2:3]
	ds_read_b128 v[68:71], v1 offset:832
	s_waitcnt vmcnt(48) lgkmcnt(1)
	v_mul_f64 v[82:83], v[76:77], v[84:85]
	v_mul_f64 v[84:85], v[78:79], v[84:85]
	s_waitcnt vmcnt(46)
	v_fma_f64 v[136:137], v[72:73], v[86:87], -v[136:137]
	v_fma_f64 v[80:81], v[74:75], v[86:87], v[80:81]
	ds_read_b128 v[72:75], v1 offset:848
	s_waitcnt vmcnt(42) lgkmcnt(1)
	v_mul_f64 v[86:87], v[68:69], v[88:89]
	v_add_f64 v[130:131], v[130:131], 0
	v_add_f64 v[2:3], v[2:3], 0
	v_mul_f64 v[88:89], v[70:71], v[88:89]
	s_waitcnt vmcnt(40)
	v_fma_f64 v[84:85], v[76:77], v[94:95], -v[84:85]
	v_fma_f64 v[82:83], v[78:79], v[94:95], v[82:83]
	ds_read_b128 v[76:79], v1 offset:864
	s_waitcnt vmcnt(37)
	v_fma_f64 v[86:87], v[70:71], v[96:97], v[86:87]
	v_add_f64 v[130:131], v[130:131], v[136:137]
	v_add_f64 v[2:3], v[2:3], v[80:81]
	s_waitcnt lgkmcnt(1)
	v_mul_f64 v[80:81], v[72:73], v[90:91]
	v_mul_f64 v[90:91], v[74:75], v[90:91]
	v_fma_f64 v[88:89], v[68:69], v[96:97], -v[88:89]
	s_waitcnt vmcnt(33) lgkmcnt(0)
	v_mul_f64 v[94:95], v[78:79], v[98:99]
	ds_read_b128 v[68:71], v1 offset:880
	v_add_f64 v[84:85], v[130:131], v[84:85]
	v_add_f64 v[2:3], v[2:3], v[82:83]
	v_mul_f64 v[82:83], v[76:77], v[98:99]
	s_waitcnt vmcnt(32)
	v_fma_f64 v[90:91], v[72:73], v[92:93], -v[90:91]
	v_fma_f64 v[80:81], v[74:75], v[92:93], v[80:81]
	ds_read_b128 v[72:75], v1 offset:896
	s_waitcnt vmcnt(29)
	v_fma_f64 v[92:93], v[76:77], v[104:105], -v[94:95]
	v_add_f64 v[84:85], v[84:85], v[88:89]
	v_add_f64 v[2:3], v[2:3], v[86:87]
	s_waitcnt lgkmcnt(1)
	v_mul_f64 v[88:89], v[70:71], v[100:101]
	v_mul_f64 v[86:87], v[68:69], v[100:101]
	v_fma_f64 v[82:83], v[78:79], v[104:105], v[82:83]
	ds_read_b128 v[76:79], v1 offset:912
	v_add_f64 v[84:85], v[84:85], v[90:91]
	v_add_f64 v[2:3], v[2:3], v[80:81]
	s_waitcnt vmcnt(25) lgkmcnt(1)
	v_mul_f64 v[90:91], v[74:75], v[106:107]
	s_waitcnt vmcnt(24)
	v_fma_f64 v[88:89], v[68:69], v[102:103], -v[88:89]
	v_mul_f64 v[80:81], v[72:73], v[106:107]
	v_fma_f64 v[86:87], v[70:71], v[102:103], v[86:87]
	ds_read_b128 v[68:71], v1 offset:928
	v_add_f64 v[84:85], v[84:85], v[92:93]
	v_add_f64 v[2:3], v[2:3], v[82:83]
	s_waitcnt vmcnt(23) lgkmcnt(1)
	v_mul_f64 v[92:93], v[78:79], v[108:109]
	s_waitcnt vmcnt(21)
	v_fma_f64 v[90:91], v[72:73], v[112:113], -v[90:91]
	;; [unrolled: 9-line block ×5, first 2 shown]
	v_mul_f64 v[82:83], v[76:77], v[122:123]
	v_fma_f64 v[74:75], v[74:75], v[118:119], v[80:81]
	s_waitcnt vmcnt(7) lgkmcnt(0)
	v_mul_f64 v[80:81], v[68:69], v[124:125]
	v_add_f64 v[84:85], v[84:85], v[88:89]
	v_add_f64 v[2:3], v[2:3], v[86:87]
	v_mul_f64 v[86:87], v[70:71], v[124:125]
	s_waitcnt vmcnt(5)
	v_fma_f64 v[76:77], v[76:77], v[128:129], -v[92:93]
	v_fma_f64 v[78:79], v[78:79], v[128:129], v[82:83]
	s_waitcnt vmcnt(4)
	v_fma_f64 v[70:71], v[70:71], v[126:127], v[80:81]
	v_add_f64 v[72:73], v[84:85], v[72:73]
	v_add_f64 v[2:3], v[2:3], v[74:75]
	v_fma_f64 v[68:69], v[68:69], v[126:127], -v[86:87]
	v_add_f64 v[72:73], v[72:73], v[76:77]
	v_add_f64 v[2:3], v[2:3], v[78:79]
	;; [unrolled: 1-line block ×4, first 2 shown]
	s_waitcnt vmcnt(2)
	v_add_f64 v[68:69], v[132:133], -v[68:69]
	s_waitcnt vmcnt(0)
	v_add_f64 v[2:3], v[134:135], -v[2:3]
	buffer_store_dword v69, off, s[0:3], 0 offset:292
	buffer_store_dword v68, off, s[0:3], 0 offset:288
	;; [unrolled: 1-line block ×4, first 2 shown]
	v_cmpx_lt_u32_e32 16, v0
	s_cbranch_execz .LBB94_167
; %bb.166:
	v_mov_b32_e32 v2, s26
	s_clause 0x3
	buffer_load_dword v68, v2, s[0:3], 0 offen
	buffer_load_dword v69, v2, s[0:3], 0 offen offset:4
	buffer_load_dword v70, v2, s[0:3], 0 offen offset:8
	;; [unrolled: 1-line block ×3, first 2 shown]
	buffer_store_dword v1, off, s[0:3], 0 offset:272
	buffer_store_dword v1, off, s[0:3], 0 offset:276
	;; [unrolled: 1-line block ×4, first 2 shown]
	s_waitcnt vmcnt(0)
	ds_write_b128 v67, v[68:71]
.LBB94_167:
	s_or_b32 exec_lo, exec_lo, s4
	s_waitcnt lgkmcnt(0)
	s_waitcnt_vscnt null, 0x0
	s_barrier
	buffer_gl0_inv
	s_clause 0x35
	buffer_load_dword v2, off, s[0:3], 0 offset:296
	buffer_load_dword v3, off, s[0:3], 0 offset:300
	;; [unrolled: 1-line block ×54, first 2 shown]
	ds_read_b128 v[68:71], v1 offset:768
	s_clause 0x1
	buffer_load_dword v133, off, s[0:3], 0 offset:500
	buffer_load_dword v132, off, s[0:3], 0 offset:496
	ds_read_b128 v[72:75], v1 offset:784
	ds_read_b128 v[76:79], v1 offset:800
	s_mov_b32 s4, exec_lo
	s_waitcnt vmcnt(54) lgkmcnt(2)
	v_mul_f64 v[134:135], v[70:71], v[2:3]
	v_mul_f64 v[2:3], v[68:69], v[2:3]
	s_waitcnt vmcnt(52) lgkmcnt(1)
	v_mul_f64 v[136:137], v[74:75], v[80:81]
	v_mul_f64 v[80:81], v[72:73], v[80:81]
	;; [unrolled: 3-line block ×3, first 2 shown]
	v_fma_f64 v[134:135], v[68:69], v[82:83], -v[134:135]
	v_fma_f64 v[2:3], v[70:71], v[82:83], v[2:3]
	s_clause 0x3
	buffer_load_dword v82, off, s[0:3], 0 offset:272
	buffer_load_dword v83, off, s[0:3], 0 offset:276
	;; [unrolled: 1-line block ×4, first 2 shown]
	s_waitcnt vmcnt(50)
	v_fma_f64 v[136:137], v[72:73], v[86:87], -v[136:137]
	ds_read_b128 v[68:71], v1 offset:816
	v_fma_f64 v[80:81], v[74:75], v[86:87], v[80:81]
	ds_read_b128 v[72:75], v1 offset:832
	s_waitcnt vmcnt(44)
	v_fma_f64 v[84:85], v[76:77], v[94:95], -v[84:85]
	v_fma_f64 v[94:95], v[78:79], v[94:95], v[140:141]
	ds_read_b128 v[76:79], v1 offset:848
	v_add_f64 v[134:135], v[134:135], 0
	v_add_f64 v[2:3], v[2:3], 0
	s_waitcnt lgkmcnt(2)
	v_mul_f64 v[86:87], v[68:69], v[88:89]
	v_mul_f64 v[88:89], v[70:71], v[88:89]
	v_add_f64 v[134:135], v[134:135], v[136:137]
	v_add_f64 v[2:3], v[2:3], v[80:81]
	s_waitcnt vmcnt(43) lgkmcnt(1)
	v_mul_f64 v[80:81], v[72:73], v[90:91]
	v_mul_f64 v[90:91], v[74:75], v[90:91]
	s_waitcnt vmcnt(41)
	v_fma_f64 v[88:89], v[68:69], v[96:97], -v[88:89]
	v_fma_f64 v[86:87], v[70:71], v[96:97], v[86:87]
	ds_read_b128 v[68:71], v1 offset:864
	s_waitcnt vmcnt(37) lgkmcnt(1)
	v_mul_f64 v[96:97], v[78:79], v[98:99]
	v_add_f64 v[84:85], v[134:135], v[84:85]
	v_add_f64 v[2:3], v[2:3], v[94:95]
	v_mul_f64 v[94:95], v[76:77], v[98:99]
	s_waitcnt vmcnt(36)
	v_fma_f64 v[90:91], v[72:73], v[92:93], -v[90:91]
	v_fma_f64 v[80:81], v[74:75], v[92:93], v[80:81]
	ds_read_b128 v[72:75], v1 offset:880
	s_waitcnt vmcnt(33)
	v_fma_f64 v[92:93], v[76:77], v[104:105], -v[96:97]
	v_add_f64 v[84:85], v[84:85], v[88:89]
	v_add_f64 v[2:3], v[2:3], v[86:87]
	s_waitcnt lgkmcnt(1)
	v_mul_f64 v[88:89], v[70:71], v[100:101]
	v_mul_f64 v[86:87], v[68:69], v[100:101]
	v_add_f64 v[84:85], v[84:85], v[90:91]
	v_fma_f64 v[90:91], v[78:79], v[104:105], v[94:95]
	v_add_f64 v[2:3], v[2:3], v[80:81]
	ds_read_b128 v[76:79], v1 offset:896
	s_waitcnt vmcnt(29) lgkmcnt(1)
	v_mul_f64 v[94:95], v[74:75], v[106:107]
	s_waitcnt vmcnt(28)
	v_fma_f64 v[88:89], v[68:69], v[102:103], -v[88:89]
	v_mul_f64 v[80:81], v[72:73], v[106:107]
	v_fma_f64 v[86:87], v[70:71], v[102:103], v[86:87]
	ds_read_b128 v[68:71], v1 offset:912
	v_add_f64 v[84:85], v[84:85], v[92:93]
	s_waitcnt vmcnt(27) lgkmcnt(1)
	v_mul_f64 v[92:93], v[78:79], v[108:109]
	v_add_f64 v[2:3], v[2:3], v[90:91]
	v_mul_f64 v[90:91], v[76:77], v[108:109]
	s_waitcnt vmcnt(25)
	v_fma_f64 v[94:95], v[72:73], v[112:113], -v[94:95]
	v_fma_f64 v[80:81], v[74:75], v[112:113], v[80:81]
	ds_read_b128 v[72:75], v1 offset:928
	v_add_f64 v[84:85], v[84:85], v[88:89]
	s_waitcnt vmcnt(21) lgkmcnt(1)
	v_mul_f64 v[88:89], v[70:71], v[114:115]
	v_add_f64 v[2:3], v[2:3], v[86:87]
	s_waitcnt vmcnt(20)
	v_fma_f64 v[92:93], v[76:77], v[110:111], -v[92:93]
	v_mul_f64 v[86:87], v[68:69], v[114:115]
	v_fma_f64 v[90:91], v[78:79], v[110:111], v[90:91]
	ds_read_b128 v[76:79], v1 offset:944
	v_add_f64 v[84:85], v[84:85], v[94:95]
	s_waitcnt vmcnt(19) lgkmcnt(1)
	v_mul_f64 v[94:95], v[74:75], v[116:117]
	v_add_f64 v[2:3], v[2:3], v[80:81]
	s_waitcnt vmcnt(17)
	v_fma_f64 v[88:89], v[68:69], v[120:121], -v[88:89]
	v_mul_f64 v[80:81], v[72:73], v[116:117]
	v_fma_f64 v[86:87], v[70:71], v[120:121], v[86:87]
	ds_read_b128 v[68:71], v1 offset:960
	v_add_f64 v[84:85], v[84:85], v[92:93]
	s_waitcnt vmcnt(13) lgkmcnt(1)
	v_mul_f64 v[92:93], v[78:79], v[122:123]
	v_add_f64 v[2:3], v[2:3], v[90:91]
	s_waitcnt vmcnt(12)
	v_fma_f64 v[72:73], v[72:73], v[118:119], -v[94:95]
	v_mul_f64 v[90:91], v[76:77], v[122:123]
	v_fma_f64 v[74:75], v[74:75], v[118:119], v[80:81]
	v_add_f64 v[84:85], v[84:85], v[88:89]
	s_waitcnt vmcnt(11) lgkmcnt(0)
	v_mul_f64 v[88:89], v[70:71], v[124:125]
	v_add_f64 v[80:81], v[2:3], v[86:87]
	s_waitcnt vmcnt(9)
	v_fma_f64 v[76:77], v[76:77], v[128:129], -v[92:93]
	ds_read_b128 v[1:4], v1 offset:976
	v_mul_f64 v[86:87], v[68:69], v[124:125]
	v_fma_f64 v[78:79], v[78:79], v[128:129], v[90:91]
	v_add_f64 v[72:73], v[84:85], v[72:73]
	s_waitcnt vmcnt(6)
	v_fma_f64 v[68:69], v[68:69], v[126:127], -v[88:89]
	v_add_f64 v[74:75], v[80:81], v[74:75]
	s_waitcnt lgkmcnt(0)
	v_mul_f64 v[84:85], v[3:4], v[130:131]
	v_mul_f64 v[80:81], v[1:2], v[130:131]
	v_fma_f64 v[70:71], v[70:71], v[126:127], v[86:87]
	v_add_f64 v[72:73], v[72:73], v[76:77]
	v_add_f64 v[74:75], v[74:75], v[78:79]
	s_waitcnt vmcnt(4)
	v_fma_f64 v[1:2], v[1:2], v[132:133], -v[84:85]
	v_fma_f64 v[3:4], v[3:4], v[132:133], v[80:81]
	v_add_f64 v[68:69], v[72:73], v[68:69]
	v_add_f64 v[70:71], v[74:75], v[70:71]
	;; [unrolled: 1-line block ×4, first 2 shown]
	s_waitcnt vmcnt(2)
	v_add_f64 v[1:2], v[82:83], -v[1:2]
	s_waitcnt vmcnt(0)
	v_add_f64 v[3:4], v[138:139], -v[3:4]
	buffer_store_dword v2, off, s[0:3], 0 offset:276
	buffer_store_dword v1, off, s[0:3], 0 offset:272
	;; [unrolled: 1-line block ×4, first 2 shown]
	v_cmpx_lt_u32_e32 15, v0
	s_cbranch_execz .LBB94_169
; %bb.168:
	v_mov_b32_e32 v4, s27
	v_mov_b32_e32 v68, 0
	s_clause 0x3
	buffer_load_dword v1, v4, s[0:3], 0 offen
	buffer_load_dword v2, v4, s[0:3], 0 offen offset:4
	buffer_load_dword v3, v4, s[0:3], 0 offen offset:8
	;; [unrolled: 1-line block ×3, first 2 shown]
	buffer_store_dword v68, off, s[0:3], 0 offset:256
	buffer_store_dword v68, off, s[0:3], 0 offset:260
	;; [unrolled: 1-line block ×4, first 2 shown]
	s_waitcnt vmcnt(0)
	ds_write_b128 v67, v[1:4]
.LBB94_169:
	s_or_b32 exec_lo, exec_lo, s4
	s_waitcnt lgkmcnt(0)
	s_waitcnt_vscnt null, 0x0
	s_barrier
	buffer_gl0_inv
	s_clause 0x35
	buffer_load_dword v2, off, s[0:3], 0 offset:280
	buffer_load_dword v3, off, s[0:3], 0 offset:284
	;; [unrolled: 1-line block ×54, first 2 shown]
	v_mov_b32_e32 v1, 0
	s_mov_b32 s4, exec_lo
	ds_read_b128 v[68:71], v1 offset:752
	s_clause 0x3
	buffer_load_dword v132, off, s[0:3], 0 offset:504
	buffer_load_dword v133, off, s[0:3], 0 offset:508
	;; [unrolled: 1-line block ×4, first 2 shown]
	ds_read_b128 v[72:75], v1 offset:768
	s_clause 0x1
	buffer_load_dword v138, off, s[0:3], 0 offset:496
	buffer_load_dword v139, off, s[0:3], 0 offset:500
	ds_read_b128 v[76:79], v1 offset:784
	s_waitcnt vmcnt(58) lgkmcnt(2)
	v_mul_f64 v[136:137], v[70:71], v[2:3]
	v_mul_f64 v[2:3], v[68:69], v[2:3]
	s_waitcnt vmcnt(56) lgkmcnt(1)
	v_mul_f64 v[140:141], v[74:75], v[80:81]
	v_mul_f64 v[80:81], v[72:73], v[80:81]
	s_waitcnt vmcnt(54)
	v_fma_f64 v[136:137], v[68:69], v[82:83], -v[136:137]
	v_fma_f64 v[2:3], v[70:71], v[82:83], v[2:3]
	ds_read_b128 v[68:71], v1 offset:800
	s_waitcnt vmcnt(52) lgkmcnt(1)
	v_mul_f64 v[82:83], v[76:77], v[84:85]
	v_mul_f64 v[84:85], v[78:79], v[84:85]
	s_waitcnt vmcnt(50)
	v_fma_f64 v[140:141], v[72:73], v[86:87], -v[140:141]
	v_fma_f64 v[80:81], v[74:75], v[86:87], v[80:81]
	s_clause 0x3
	buffer_load_dword v86, off, s[0:3], 0 offset:256
	buffer_load_dword v87, off, s[0:3], 0 offset:260
	;; [unrolled: 1-line block ×4, first 2 shown]
	ds_read_b128 v[72:75], v1 offset:816
	s_waitcnt vmcnt(52) lgkmcnt(1)
	v_mul_f64 v[144:145], v[68:69], v[88:89]
	v_add_f64 v[136:137], v[136:137], 0
	v_add_f64 v[2:3], v[2:3], 0
	v_mul_f64 v[88:89], v[70:71], v[88:89]
	s_waitcnt vmcnt(50)
	v_fma_f64 v[84:85], v[76:77], v[90:91], -v[84:85]
	v_fma_f64 v[82:83], v[78:79], v[90:91], v[82:83]
	ds_read_b128 v[76:79], v1 offset:832
	s_waitcnt vmcnt(48) lgkmcnt(1)
	v_mul_f64 v[90:91], v[74:75], v[92:93]
	v_add_f64 v[136:137], v[136:137], v[140:141]
	v_add_f64 v[2:3], v[2:3], v[80:81]
	s_waitcnt vmcnt(46)
	v_fma_f64 v[88:89], v[68:69], v[94:95], -v[88:89]
	v_mul_f64 v[80:81], v[72:73], v[92:93]
	v_fma_f64 v[92:93], v[70:71], v[94:95], v[144:145]
	s_waitcnt vmcnt(44) lgkmcnt(0)
	v_mul_f64 v[94:95], v[78:79], v[96:97]
	s_waitcnt vmcnt(42)
	v_fma_f64 v[90:91], v[72:73], v[98:99], -v[90:91]
	ds_read_b128 v[68:71], v1 offset:848
	v_add_f64 v[84:85], v[136:137], v[84:85]
	v_add_f64 v[2:3], v[2:3], v[82:83]
	v_mul_f64 v[82:83], v[76:77], v[96:97]
	v_fma_f64 v[80:81], v[74:75], v[98:99], v[80:81]
	ds_read_b128 v[72:75], v1 offset:864
	s_waitcnt vmcnt(38)
	v_fma_f64 v[94:95], v[76:77], v[102:103], -v[94:95]
	v_add_f64 v[84:85], v[84:85], v[88:89]
	v_add_f64 v[2:3], v[2:3], v[92:93]
	s_waitcnt lgkmcnt(1)
	v_mul_f64 v[92:93], v[70:71], v[100:101]
	v_mul_f64 v[88:89], v[68:69], v[100:101]
	v_fma_f64 v[82:83], v[78:79], v[102:103], v[82:83]
	ds_read_b128 v[76:79], v1 offset:880
	v_add_f64 v[84:85], v[84:85], v[90:91]
	v_add_f64 v[2:3], v[2:3], v[80:81]
	s_waitcnt vmcnt(36) lgkmcnt(1)
	v_mul_f64 v[90:91], v[74:75], v[104:105]
	s_waitcnt vmcnt(34)
	v_fma_f64 v[92:93], v[68:69], v[106:107], -v[92:93]
	v_mul_f64 v[80:81], v[72:73], v[104:105]
	v_fma_f64 v[88:89], v[70:71], v[106:107], v[88:89]
	ds_read_b128 v[68:71], v1 offset:896
	v_add_f64 v[84:85], v[84:85], v[94:95]
	v_add_f64 v[2:3], v[2:3], v[82:83]
	s_waitcnt vmcnt(32) lgkmcnt(1)
	v_mul_f64 v[94:95], v[78:79], v[108:109]
	s_waitcnt vmcnt(30)
	v_fma_f64 v[90:91], v[72:73], v[110:111], -v[90:91]
	;; [unrolled: 9-line block ×7, first 2 shown]
	v_mul_f64 v[80:81], v[72:73], v[128:129]
	v_fma_f64 v[70:71], v[70:71], v[130:131], v[88:89]
	s_waitcnt vmcnt(8) lgkmcnt(0)
	v_mul_f64 v[88:89], v[78:79], v[132:133]
	v_add_f64 v[84:85], v[84:85], v[94:95]
	v_add_f64 v[2:3], v[2:3], v[82:83]
	s_waitcnt vmcnt(6)
	v_fma_f64 v[72:73], v[72:73], v[134:135], -v[90:91]
	v_mul_f64 v[82:83], v[76:77], v[132:133]
	v_fma_f64 v[74:75], v[74:75], v[134:135], v[80:81]
	v_add_f64 v[68:69], v[84:85], v[68:69]
	v_add_f64 v[2:3], v[2:3], v[70:71]
	s_waitcnt vmcnt(4)
	v_fma_f64 v[70:71], v[76:77], v[138:139], -v[88:89]
	v_add_f64 v[68:69], v[68:69], v[72:73]
	v_fma_f64 v[72:73], v[78:79], v[138:139], v[82:83]
	v_add_f64 v[2:3], v[2:3], v[74:75]
	v_add_f64 v[68:69], v[68:69], v[70:71]
	;; [unrolled: 1-line block ×3, first 2 shown]
	s_waitcnt vmcnt(2)
	v_add_f64 v[68:69], v[86:87], -v[68:69]
	s_waitcnt vmcnt(0)
	v_add_f64 v[2:3], v[142:143], -v[2:3]
	buffer_store_dword v69, off, s[0:3], 0 offset:260
	buffer_store_dword v68, off, s[0:3], 0 offset:256
	;; [unrolled: 1-line block ×4, first 2 shown]
	v_cmpx_lt_u32_e32 14, v0
	s_cbranch_execz .LBB94_171
; %bb.170:
	v_mov_b32_e32 v2, s28
	s_clause 0x3
	buffer_load_dword v68, v2, s[0:3], 0 offen
	buffer_load_dword v69, v2, s[0:3], 0 offen offset:4
	buffer_load_dword v70, v2, s[0:3], 0 offen offset:8
	;; [unrolled: 1-line block ×3, first 2 shown]
	buffer_store_dword v1, off, s[0:3], 0 offset:240
	buffer_store_dword v1, off, s[0:3], 0 offset:244
	;; [unrolled: 1-line block ×4, first 2 shown]
	s_waitcnt vmcnt(0)
	ds_write_b128 v67, v[68:71]
.LBB94_171:
	s_or_b32 exec_lo, exec_lo, s4
	s_waitcnt lgkmcnt(0)
	s_waitcnt_vscnt null, 0x0
	s_barrier
	buffer_gl0_inv
	s_clause 0x37
	buffer_load_dword v2, off, s[0:3], 0 offset:264
	buffer_load_dword v3, off, s[0:3], 0 offset:268
	;; [unrolled: 1-line block ×56, first 2 shown]
	ds_read_b128 v[68:71], v1 offset:736
	s_clause 0x2
	buffer_load_dword v133, off, s[0:3], 0 offset:492
	buffer_load_dword v137, off, s[0:3], 0 offset:468
	;; [unrolled: 1-line block ×3, first 2 shown]
	ds_read_b128 v[72:75], v1 offset:752
	s_clause 0x2
	buffer_load_dword v141, off, s[0:3], 0 offset:508
	buffer_load_dword v140, off, s[0:3], 0 offset:504
	;; [unrolled: 1-line block ×3, first 2 shown]
	ds_read_b128 v[76:79], v1 offset:768
	s_mov_b32 s4, exec_lo
	s_waitcnt vmcnt(60) lgkmcnt(2)
	v_mul_f64 v[138:139], v[70:71], v[2:3]
	v_mul_f64 v[2:3], v[68:69], v[2:3]
	s_waitcnt vmcnt(58) lgkmcnt(1)
	v_mul_f64 v[142:143], v[74:75], v[80:81]
	v_mul_f64 v[80:81], v[72:73], v[80:81]
	;; [unrolled: 3-line block ×3, first 2 shown]
	v_fma_f64 v[138:139], v[68:69], v[82:83], -v[138:139]
	v_fma_f64 v[2:3], v[70:71], v[82:83], v[2:3]
	s_clause 0x1
	buffer_load_dword v83, off, s[0:3], 0 offset:500
	buffer_load_dword v82, off, s[0:3], 0 offset:496
	s_waitcnt vmcnt(54)
	v_fma_f64 v[142:143], v[72:73], v[86:87], -v[142:143]
	ds_read_b128 v[68:71], v1 offset:784
	v_fma_f64 v[80:81], v[74:75], v[86:87], v[80:81]
	ds_read_b128 v[72:75], v1 offset:800
	s_waitcnt vmcnt(48)
	v_fma_f64 v[84:85], v[76:77], v[94:95], -v[84:85]
	v_fma_f64 v[94:95], v[78:79], v[94:95], v[144:145]
	v_add_f64 v[138:139], v[138:139], 0
	v_add_f64 v[2:3], v[2:3], 0
	s_waitcnt lgkmcnt(1)
	v_mul_f64 v[86:87], v[68:69], v[88:89]
	v_mul_f64 v[88:89], v[70:71], v[88:89]
	s_waitcnt vmcnt(47) lgkmcnt(0)
	v_mul_f64 v[144:145], v[72:73], v[90:91]
	v_mul_f64 v[90:91], v[74:75], v[90:91]
	v_add_f64 v[138:139], v[138:139], v[142:143]
	v_add_f64 v[2:3], v[2:3], v[80:81]
	s_clause 0x3
	buffer_load_dword v80, off, s[0:3], 0 offset:240
	buffer_load_dword v81, off, s[0:3], 0 offset:244
	;; [unrolled: 1-line block ×4, first 2 shown]
	s_waitcnt vmcnt(49)
	v_fma_f64 v[88:89], v[68:69], v[96:97], -v[88:89]
	ds_read_b128 v[76:79], v1 offset:816
	v_fma_f64 v[86:87], v[70:71], v[96:97], v[86:87]
	ds_read_b128 v[68:71], v1 offset:832
	s_waitcnt vmcnt(44)
	v_fma_f64 v[90:91], v[72:73], v[92:93], -v[90:91]
	v_add_f64 v[84:85], v[138:139], v[84:85]
	v_add_f64 v[2:3], v[2:3], v[94:95]
	s_waitcnt lgkmcnt(1)
	v_mul_f64 v[96:97], v[78:79], v[98:99]
	v_mul_f64 v[94:95], v[76:77], v[98:99]
	v_add_f64 v[84:85], v[84:85], v[88:89]
	v_fma_f64 v[88:89], v[74:75], v[92:93], v[144:145]
	v_add_f64 v[2:3], v[2:3], v[86:87]
	s_waitcnt vmcnt(43) lgkmcnt(0)
	v_mul_f64 v[92:93], v[70:71], v[100:101]
	s_waitcnt vmcnt(41)
	v_fma_f64 v[96:97], v[76:77], v[104:105], -v[96:97]
	ds_read_b128 v[72:75], v1 offset:848
	v_mul_f64 v[86:87], v[68:69], v[100:101]
	v_add_f64 v[84:85], v[84:85], v[90:91]
	v_fma_f64 v[90:91], v[78:79], v[104:105], v[94:95]
	v_add_f64 v[2:3], v[2:3], v[88:89]
	ds_read_b128 v[76:79], v1 offset:864
	s_waitcnt vmcnt(37) lgkmcnt(1)
	v_mul_f64 v[94:95], v[74:75], v[106:107]
	s_waitcnt vmcnt(36)
	v_fma_f64 v[92:93], v[68:69], v[102:103], -v[92:93]
	v_mul_f64 v[88:89], v[72:73], v[106:107]
	v_fma_f64 v[86:87], v[70:71], v[102:103], v[86:87]
	ds_read_b128 v[68:71], v1 offset:880
	v_add_f64 v[84:85], v[84:85], v[96:97]
	s_waitcnt vmcnt(35) lgkmcnt(1)
	v_mul_f64 v[96:97], v[78:79], v[108:109]
	v_add_f64 v[2:3], v[2:3], v[90:91]
	v_mul_f64 v[90:91], v[76:77], v[108:109]
	s_waitcnt vmcnt(33)
	v_fma_f64 v[94:95], v[72:73], v[112:113], -v[94:95]
	v_fma_f64 v[88:89], v[74:75], v[112:113], v[88:89]
	ds_read_b128 v[72:75], v1 offset:896
	v_add_f64 v[84:85], v[84:85], v[92:93]
	s_waitcnt vmcnt(29) lgkmcnt(1)
	v_mul_f64 v[92:93], v[70:71], v[114:115]
	v_add_f64 v[2:3], v[2:3], v[86:87]
	s_waitcnt vmcnt(28)
	v_fma_f64 v[96:97], v[76:77], v[110:111], -v[96:97]
	v_mul_f64 v[86:87], v[68:69], v[114:115]
	v_fma_f64 v[90:91], v[78:79], v[110:111], v[90:91]
	ds_read_b128 v[76:79], v1 offset:912
	v_add_f64 v[84:85], v[84:85], v[94:95]
	s_waitcnt vmcnt(27) lgkmcnt(1)
	v_mul_f64 v[94:95], v[74:75], v[116:117]
	v_add_f64 v[2:3], v[2:3], v[88:89]
	s_waitcnt vmcnt(25)
	v_fma_f64 v[92:93], v[68:69], v[120:121], -v[92:93]
	v_mul_f64 v[88:89], v[72:73], v[116:117]
	;; [unrolled: 9-line block ×5, first 2 shown]
	v_fma_f64 v[70:71], v[70:71], v[126:127], v[86:87]
	s_waitcnt vmcnt(11) lgkmcnt(0)
	v_mul_f64 v[92:93], v[78:79], v[132:133]
	v_add_f64 v[84:85], v[84:85], v[96:97]
	s_waitcnt vmcnt(9)
	v_fma_f64 v[72:73], v[72:73], v[136:137], -v[94:95]
	v_add_f64 v[86:87], v[2:3], v[90:91]
	ds_read_b128 v[1:4], v1 offset:976
	v_mul_f64 v[90:91], v[76:77], v[132:133]
	v_fma_f64 v[74:75], v[74:75], v[136:137], v[88:89]
	s_waitcnt vmcnt(6)
	v_fma_f64 v[76:77], v[76:77], v[134:135], -v[92:93]
	v_add_f64 v[68:69], v[84:85], v[68:69]
	s_waitcnt lgkmcnt(0)
	v_mul_f64 v[84:85], v[1:2], v[140:141]
	v_add_f64 v[70:71], v[86:87], v[70:71]
	v_mul_f64 v[86:87], v[3:4], v[140:141]
	v_add_f64 v[68:69], v[68:69], v[72:73]
	v_fma_f64 v[72:73], v[78:79], v[134:135], v[90:91]
	v_add_f64 v[70:71], v[70:71], v[74:75]
	s_waitcnt vmcnt(4)
	v_fma_f64 v[1:2], v[1:2], v[82:83], -v[86:87]
	v_fma_f64 v[3:4], v[3:4], v[82:83], v[84:85]
	v_add_f64 v[68:69], v[68:69], v[76:77]
	v_add_f64 v[70:71], v[70:71], v[72:73]
	;; [unrolled: 1-line block ×4, first 2 shown]
	s_waitcnt vmcnt(2)
	v_add_f64 v[1:2], v[80:81], -v[1:2]
	s_waitcnt vmcnt(0)
	v_add_f64 v[3:4], v[142:143], -v[3:4]
	buffer_store_dword v2, off, s[0:3], 0 offset:244
	buffer_store_dword v1, off, s[0:3], 0 offset:240
	;; [unrolled: 1-line block ×4, first 2 shown]
	v_cmpx_lt_u32_e32 13, v0
	s_cbranch_execz .LBB94_173
; %bb.172:
	v_mov_b32_e32 v4, s29
	v_mov_b32_e32 v68, 0
	s_clause 0x3
	buffer_load_dword v1, v4, s[0:3], 0 offen
	buffer_load_dword v2, v4, s[0:3], 0 offen offset:4
	buffer_load_dword v3, v4, s[0:3], 0 offen offset:8
	;; [unrolled: 1-line block ×3, first 2 shown]
	buffer_store_dword v68, off, s[0:3], 0 offset:224
	buffer_store_dword v68, off, s[0:3], 0 offset:228
	;; [unrolled: 1-line block ×4, first 2 shown]
	s_waitcnt vmcnt(0)
	ds_write_b128 v67, v[1:4]
.LBB94_173:
	s_or_b32 exec_lo, exec_lo, s4
	s_waitcnt lgkmcnt(0)
	s_waitcnt_vscnt null, 0x0
	s_barrier
	buffer_gl0_inv
	s_clause 0x37
	buffer_load_dword v2, off, s[0:3], 0 offset:248
	buffer_load_dword v3, off, s[0:3], 0 offset:252
	;; [unrolled: 1-line block ×56, first 2 shown]
	v_mov_b32_e32 v1, 0
	s_mov_b32 s4, exec_lo
	ds_read_b128 v[68:71], v1 offset:720
	s_clause 0x2
	buffer_load_dword v133, off, s[0:3], 0 offset:476
	buffer_load_dword v137, off, s[0:3], 0 offset:452
	;; [unrolled: 1-line block ×3, first 2 shown]
	ds_read_b128 v[72:75], v1 offset:736
	s_clause 0x4
	buffer_load_dword v141, off, s[0:3], 0 offset:492
	buffer_load_dword v142, off, s[0:3], 0 offset:504
	buffer_load_dword v144, off, s[0:3], 0 offset:496
	buffer_load_dword v140, off, s[0:3], 0 offset:488
	buffer_load_dword v135, off, s[0:3], 0 offset:468
	ds_read_b128 v[76:79], v1 offset:752
	s_waitcnt vmcnt(62) lgkmcnt(2)
	v_mul_f64 v[138:139], v[70:71], v[2:3]
	v_mul_f64 v[2:3], v[68:69], v[2:3]
	s_waitcnt vmcnt(60) lgkmcnt(1)
	v_mul_f64 v[145:146], v[74:75], v[80:81]
	v_mul_f64 v[80:81], v[72:73], v[80:81]
	;; [unrolled: 3-line block ×3, first 2 shown]
	v_fma_f64 v[138:139], v[68:69], v[82:83], -v[138:139]
	v_fma_f64 v[2:3], v[70:71], v[82:83], v[2:3]
	s_clause 0x2
	buffer_load_dword v143, off, s[0:3], 0 offset:508
	buffer_load_dword v83, off, s[0:3], 0 offset:484
	;; [unrolled: 1-line block ×3, first 2 shown]
	s_waitcnt vmcnt(57)
	v_fma_f64 v[149:150], v[72:73], v[86:87], -v[145:146]
	ds_read_b128 v[68:71], v1 offset:768
	v_fma_f64 v[80:81], v[74:75], v[86:87], v[80:81]
	buffer_load_dword v145, off, s[0:3], 0 offset:500
	ds_read_b128 v[72:75], v1 offset:784
	s_waitcnt vmcnt(52)
	v_fma_f64 v[84:85], v[76:77], v[94:95], -v[84:85]
	v_fma_f64 v[94:95], v[78:79], v[94:95], v[147:148]
	ds_read_b128 v[76:79], v1 offset:800
	v_add_f64 v[138:139], v[138:139], 0
	v_add_f64 v[2:3], v[2:3], 0
	s_waitcnt lgkmcnt(2)
	v_mul_f64 v[86:87], v[68:69], v[88:89]
	v_mul_f64 v[88:89], v[70:71], v[88:89]
	v_add_f64 v[138:139], v[138:139], v[149:150]
	v_add_f64 v[2:3], v[2:3], v[80:81]
	s_waitcnt vmcnt(51) lgkmcnt(1)
	v_mul_f64 v[80:81], v[72:73], v[90:91]
	v_mul_f64 v[90:91], v[74:75], v[90:91]
	s_waitcnt vmcnt(49)
	v_fma_f64 v[88:89], v[68:69], v[96:97], -v[88:89]
	v_fma_f64 v[86:87], v[70:71], v[96:97], v[86:87]
	v_add_f64 v[84:85], v[138:139], v[84:85]
	v_add_f64 v[2:3], v[2:3], v[94:95]
	s_clause 0x3
	buffer_load_dword v94, off, s[0:3], 0 offset:224
	buffer_load_dword v95, off, s[0:3], 0 offset:228
	buffer_load_dword v96, off, s[0:3], 0 offset:232
	buffer_load_dword v97, off, s[0:3], 0 offset:236
	s_waitcnt vmcnt(49) lgkmcnt(0)
	v_mul_f64 v[138:139], v[76:77], v[98:99]
	v_mul_f64 v[98:99], v[78:79], v[98:99]
	s_waitcnt vmcnt(48)
	v_fma_f64 v[90:91], v[72:73], v[92:93], -v[90:91]
	ds_read_b128 v[68:71], v1 offset:816
	v_fma_f64 v[80:81], v[74:75], v[92:93], v[80:81]
	ds_read_b128 v[72:75], v1 offset:832
	v_add_f64 v[84:85], v[84:85], v[88:89]
	v_add_f64 v[2:3], v[2:3], v[86:87]
	s_waitcnt vmcnt(47) lgkmcnt(1)
	v_mul_f64 v[88:89], v[70:71], v[100:101]
	s_waitcnt vmcnt(45)
	v_fma_f64 v[92:93], v[76:77], v[104:105], -v[98:99]
	v_mul_f64 v[86:87], v[68:69], v[100:101]
	s_waitcnt vmcnt(41) lgkmcnt(0)
	v_mul_f64 v[98:99], v[74:75], v[106:107]
	v_add_f64 v[84:85], v[84:85], v[90:91]
	v_fma_f64 v[90:91], v[78:79], v[104:105], v[138:139]
	v_add_f64 v[2:3], v[2:3], v[80:81]
	ds_read_b128 v[76:79], v1 offset:848
	s_waitcnt vmcnt(40)
	v_fma_f64 v[88:89], v[68:69], v[102:103], -v[88:89]
	v_mul_f64 v[80:81], v[72:73], v[106:107]
	v_fma_f64 v[86:87], v[70:71], v[102:103], v[86:87]
	ds_read_b128 v[68:71], v1 offset:864
	s_waitcnt vmcnt(37)
	v_fma_f64 v[98:99], v[72:73], v[112:113], -v[98:99]
	v_add_f64 v[84:85], v[84:85], v[92:93]
	s_waitcnt lgkmcnt(1)
	v_mul_f64 v[92:93], v[78:79], v[108:109]
	v_add_f64 v[2:3], v[2:3], v[90:91]
	v_mul_f64 v[90:91], v[76:77], v[108:109]
	v_fma_f64 v[80:81], v[74:75], v[112:113], v[80:81]
	ds_read_b128 v[72:75], v1 offset:880
	v_add_f64 v[84:85], v[84:85], v[88:89]
	s_waitcnt vmcnt(33) lgkmcnt(1)
	v_mul_f64 v[88:89], v[70:71], v[114:115]
	v_add_f64 v[2:3], v[2:3], v[86:87]
	s_waitcnt vmcnt(32)
	v_fma_f64 v[92:93], v[76:77], v[110:111], -v[92:93]
	v_mul_f64 v[86:87], v[68:69], v[114:115]
	v_fma_f64 v[90:91], v[78:79], v[110:111], v[90:91]
	ds_read_b128 v[76:79], v1 offset:896
	v_add_f64 v[84:85], v[84:85], v[98:99]
	s_waitcnt vmcnt(31) lgkmcnt(1)
	v_mul_f64 v[98:99], v[74:75], v[116:117]
	v_add_f64 v[2:3], v[2:3], v[80:81]
	s_waitcnt vmcnt(29)
	v_fma_f64 v[88:89], v[68:69], v[120:121], -v[88:89]
	;; [unrolled: 9-line block ×7, first 2 shown]
	v_mul_f64 v[86:87], v[68:69], v[140:141]
	v_fma_f64 v[78:79], v[78:79], v[134:135], v[90:91]
	v_add_f64 v[84:85], v[84:85], v[98:99]
	v_add_f64 v[2:3], v[2:3], v[80:81]
	s_waitcnt vmcnt(7) lgkmcnt(0)
	v_mul_f64 v[90:91], v[74:75], v[142:143]
	v_mul_f64 v[80:81], v[72:73], v[142:143]
	s_waitcnt vmcnt(5)
	v_fma_f64 v[68:69], v[68:69], v[82:83], -v[88:89]
	v_fma_f64 v[70:71], v[70:71], v[82:83], v[86:87]
	v_add_f64 v[76:77], v[84:85], v[76:77]
	v_add_f64 v[2:3], v[2:3], v[78:79]
	s_waitcnt vmcnt(4)
	v_fma_f64 v[72:73], v[72:73], v[144:145], -v[90:91]
	v_fma_f64 v[74:75], v[74:75], v[144:145], v[80:81]
	v_add_f64 v[68:69], v[76:77], v[68:69]
	v_add_f64 v[2:3], v[2:3], v[70:71]
	;; [unrolled: 1-line block ×4, first 2 shown]
	s_waitcnt vmcnt(2)
	v_add_f64 v[68:69], v[94:95], -v[68:69]
	s_waitcnt vmcnt(0)
	v_add_f64 v[2:3], v[96:97], -v[2:3]
	buffer_store_dword v69, off, s[0:3], 0 offset:228
	buffer_store_dword v68, off, s[0:3], 0 offset:224
	;; [unrolled: 1-line block ×4, first 2 shown]
	v_cmpx_lt_u32_e32 12, v0
	s_cbranch_execz .LBB94_175
; %bb.174:
	v_mov_b32_e32 v2, s30
	s_clause 0x3
	buffer_load_dword v68, v2, s[0:3], 0 offen
	buffer_load_dword v69, v2, s[0:3], 0 offen offset:4
	buffer_load_dword v70, v2, s[0:3], 0 offen offset:8
	;; [unrolled: 1-line block ×3, first 2 shown]
	buffer_store_dword v1, off, s[0:3], 0 offset:208
	buffer_store_dword v1, off, s[0:3], 0 offset:212
	;; [unrolled: 1-line block ×4, first 2 shown]
	s_waitcnt vmcnt(0)
	ds_write_b128 v67, v[68:71]
.LBB94_175:
	s_or_b32 exec_lo, exec_lo, s4
	s_waitcnt lgkmcnt(0)
	s_waitcnt_vscnt null, 0x0
	s_barrier
	buffer_gl0_inv
	s_clause 0x37
	buffer_load_dword v2, off, s[0:3], 0 offset:232
	buffer_load_dword v3, off, s[0:3], 0 offset:236
	;; [unrolled: 1-line block ×56, first 2 shown]
	ds_read_b128 v[68:71], v1 offset:704
	s_clause 0x2
	buffer_load_dword v133, off, s[0:3], 0 offset:460
	buffer_load_dword v137, off, s[0:3], 0 offset:436
	buffer_load_dword v136, off, s[0:3], 0 offset:432
	ds_read_b128 v[72:75], v1 offset:720
	s_clause 0x4
	buffer_load_dword v141, off, s[0:3], 0 offset:476
	buffer_load_dword v142, off, s[0:3], 0 offset:488
	;; [unrolled: 1-line block ×5, first 2 shown]
	ds_read_b128 v[76:79], v1 offset:736
	s_mov_b32 s4, exec_lo
	s_waitcnt vmcnt(62) lgkmcnt(2)
	v_mul_f64 v[138:139], v[70:71], v[2:3]
	v_mul_f64 v[2:3], v[68:69], v[2:3]
	s_waitcnt vmcnt(60) lgkmcnt(1)
	v_mul_f64 v[145:146], v[74:75], v[80:81]
	v_mul_f64 v[80:81], v[72:73], v[80:81]
	;; [unrolled: 3-line block ×3, first 2 shown]
	v_fma_f64 v[138:139], v[68:69], v[82:83], -v[138:139]
	v_fma_f64 v[2:3], v[70:71], v[82:83], v[2:3]
	s_clause 0x2
	buffer_load_dword v143, off, s[0:3], 0 offset:492
	buffer_load_dword v83, off, s[0:3], 0 offset:468
	;; [unrolled: 1-line block ×3, first 2 shown]
	s_waitcnt vmcnt(57)
	v_fma_f64 v[149:150], v[72:73], v[86:87], -v[145:146]
	ds_read_b128 v[68:71], v1 offset:752
	v_fma_f64 v[80:81], v[74:75], v[86:87], v[80:81]
	s_clause 0x2
	buffer_load_dword v87, off, s[0:3], 0 offset:508
	buffer_load_dword v86, off, s[0:3], 0 offset:504
	;; [unrolled: 1-line block ×3, first 2 shown]
	s_waitcnt vmcnt(54)
	v_fma_f64 v[84:85], v[76:77], v[94:95], -v[84:85]
	ds_read_b128 v[72:75], v1 offset:768
	v_fma_f64 v[94:95], v[78:79], v[94:95], v[147:148]
	v_add_f64 v[138:139], v[138:139], 0
	v_add_f64 v[2:3], v[2:3], 0
	s_waitcnt lgkmcnt(1)
	v_mul_f64 v[151:152], v[68:69], v[88:89]
	v_mul_f64 v[88:89], v[70:71], v[88:89]
	s_waitcnt vmcnt(53) lgkmcnt(0)
	v_mul_f64 v[146:147], v[72:73], v[90:91]
	v_mul_f64 v[90:91], v[74:75], v[90:91]
	v_add_f64 v[138:139], v[138:139], v[149:150]
	v_add_f64 v[2:3], v[2:3], v[80:81]
	s_clause 0x1
	buffer_load_dword v81, off, s[0:3], 0 offset:500
	buffer_load_dword v80, off, s[0:3], 0 offset:496
	s_waitcnt vmcnt(53)
	v_fma_f64 v[88:89], v[68:69], v[96:97], -v[88:89]
	ds_read_b128 v[76:79], v1 offset:784
	v_fma_f64 v[96:97], v[70:71], v[96:97], v[151:152]
	ds_read_b128 v[68:71], v1 offset:800
	s_waitcnt vmcnt(48)
	v_fma_f64 v[90:91], v[72:73], v[92:93], -v[90:91]
	v_add_f64 v[84:85], v[138:139], v[84:85]
	v_add_f64 v[2:3], v[2:3], v[94:95]
	s_waitcnt lgkmcnt(1)
	v_mul_f64 v[94:95], v[76:77], v[98:99]
	v_mul_f64 v[98:99], v[78:79], v[98:99]
	s_waitcnt vmcnt(47) lgkmcnt(0)
	v_mul_f64 v[138:139], v[68:69], v[100:101]
	v_mul_f64 v[100:101], v[70:71], v[100:101]
	v_add_f64 v[84:85], v[84:85], v[88:89]
	v_fma_f64 v[88:89], v[74:75], v[92:93], v[146:147]
	v_add_f64 v[2:3], v[2:3], v[96:97]
	s_clause 0x3
	buffer_load_dword v92, off, s[0:3], 0 offset:208
	buffer_load_dword v93, off, s[0:3], 0 offset:212
	;; [unrolled: 1-line block ×4, first 2 shown]
	s_waitcnt vmcnt(49)
	v_fma_f64 v[98:99], v[76:77], v[104:105], -v[98:99]
	ds_read_b128 v[72:75], v1 offset:816
	s_waitcnt vmcnt(44)
	v_fma_f64 v[100:101], v[68:69], v[102:103], -v[100:101]
	v_add_f64 v[84:85], v[84:85], v[90:91]
	v_fma_f64 v[90:91], v[78:79], v[104:105], v[94:95]
	v_add_f64 v[2:3], v[2:3], v[88:89]
	ds_read_b128 v[76:79], v1 offset:832
	s_waitcnt lgkmcnt(1)
	v_mul_f64 v[94:95], v[74:75], v[106:107]
	v_mul_f64 v[88:89], v[72:73], v[106:107]
	v_add_f64 v[84:85], v[84:85], v[98:99]
	v_fma_f64 v[98:99], v[70:71], v[102:103], v[138:139]
	v_add_f64 v[2:3], v[2:3], v[90:91]
	s_waitcnt vmcnt(43) lgkmcnt(0)
	v_mul_f64 v[102:103], v[78:79], v[108:109]
	s_waitcnt vmcnt(41)
	v_fma_f64 v[94:95], v[72:73], v[112:113], -v[94:95]
	ds_read_b128 v[68:71], v1 offset:848
	v_mul_f64 v[90:91], v[76:77], v[108:109]
	v_fma_f64 v[88:89], v[74:75], v[112:113], v[88:89]
	ds_read_b128 v[72:75], v1 offset:864
	v_add_f64 v[84:85], v[84:85], v[100:101]
	v_add_f64 v[2:3], v[2:3], v[98:99]
	s_waitcnt vmcnt(37) lgkmcnt(1)
	v_mul_f64 v[100:101], v[70:71], v[114:115]
	s_waitcnt vmcnt(36)
	v_fma_f64 v[102:103], v[76:77], v[110:111], -v[102:103]
	v_mul_f64 v[98:99], v[68:69], v[114:115]
	v_fma_f64 v[90:91], v[78:79], v[110:111], v[90:91]
	ds_read_b128 v[76:79], v1 offset:880
	v_add_f64 v[84:85], v[84:85], v[94:95]
	s_waitcnt vmcnt(35) lgkmcnt(1)
	v_mul_f64 v[94:95], v[74:75], v[116:117]
	v_add_f64 v[2:3], v[2:3], v[88:89]
	s_waitcnt vmcnt(33)
	v_fma_f64 v[100:101], v[68:69], v[120:121], -v[100:101]
	v_mul_f64 v[88:89], v[72:73], v[116:117]
	v_fma_f64 v[98:99], v[70:71], v[120:121], v[98:99]
	ds_read_b128 v[68:71], v1 offset:896
	v_add_f64 v[84:85], v[84:85], v[102:103]
	s_waitcnt vmcnt(29) lgkmcnt(1)
	v_mul_f64 v[102:103], v[78:79], v[122:123]
	v_add_f64 v[2:3], v[2:3], v[90:91]
	;; [unrolled: 9-line block ×6, first 2 shown]
	s_waitcnt vmcnt(12)
	v_fma_f64 v[76:77], v[76:77], v[134:135], -v[102:103]
	v_mul_f64 v[98:99], v[68:69], v[140:141]
	v_fma_f64 v[78:79], v[78:79], v[134:135], v[90:91]
	v_add_f64 v[84:85], v[84:85], v[94:95]
	v_add_f64 v[88:89], v[2:3], v[88:89]
	ds_read_b128 v[1:4], v1 offset:976
	s_waitcnt vmcnt(11) lgkmcnt(1)
	v_mul_f64 v[94:95], v[74:75], v[142:143]
	v_mul_f64 v[90:91], v[72:73], v[142:143]
	s_waitcnt vmcnt(9)
	v_fma_f64 v[68:69], v[68:69], v[82:83], -v[100:101]
	v_fma_f64 v[70:71], v[70:71], v[82:83], v[98:99]
	v_add_f64 v[76:77], v[84:85], v[76:77]
	s_waitcnt vmcnt(7) lgkmcnt(0)
	v_mul_f64 v[84:85], v[3:4], v[86:87]
	v_add_f64 v[78:79], v[88:89], v[78:79]
	v_mul_f64 v[82:83], v[1:2], v[86:87]
	s_waitcnt vmcnt(6)
	v_fma_f64 v[72:73], v[72:73], v[144:145], -v[94:95]
	v_fma_f64 v[74:75], v[74:75], v[144:145], v[90:91]
	v_add_f64 v[68:69], v[76:77], v[68:69]
	v_add_f64 v[70:71], v[78:79], v[70:71]
	s_waitcnt vmcnt(4)
	v_fma_f64 v[1:2], v[1:2], v[80:81], -v[84:85]
	v_fma_f64 v[3:4], v[3:4], v[80:81], v[82:83]
	v_add_f64 v[68:69], v[68:69], v[72:73]
	v_add_f64 v[70:71], v[70:71], v[74:75]
	;; [unrolled: 1-line block ×4, first 2 shown]
	s_waitcnt vmcnt(2)
	v_add_f64 v[1:2], v[92:93], -v[1:2]
	s_waitcnt vmcnt(0)
	v_add_f64 v[3:4], v[96:97], -v[3:4]
	buffer_store_dword v2, off, s[0:3], 0 offset:212
	buffer_store_dword v1, off, s[0:3], 0 offset:208
	;; [unrolled: 1-line block ×4, first 2 shown]
	v_cmpx_lt_u32_e32 11, v0
	s_cbranch_execz .LBB94_177
; %bb.176:
	v_mov_b32_e32 v4, s31
	v_mov_b32_e32 v68, 0
	s_clause 0x3
	buffer_load_dword v1, v4, s[0:3], 0 offen
	buffer_load_dword v2, v4, s[0:3], 0 offen offset:4
	buffer_load_dword v3, v4, s[0:3], 0 offen offset:8
	buffer_load_dword v4, v4, s[0:3], 0 offen offset:12
	buffer_store_dword v68, off, s[0:3], 0 offset:192
	buffer_store_dword v68, off, s[0:3], 0 offset:196
	;; [unrolled: 1-line block ×4, first 2 shown]
	s_waitcnt vmcnt(0)
	ds_write_b128 v67, v[1:4]
.LBB94_177:
	s_or_b32 exec_lo, exec_lo, s4
	s_waitcnt lgkmcnt(0)
	s_waitcnt_vscnt null, 0x0
	s_barrier
	buffer_gl0_inv
	s_clause 0x37
	buffer_load_dword v2, off, s[0:3], 0 offset:216
	buffer_load_dword v3, off, s[0:3], 0 offset:220
	;; [unrolled: 1-line block ×56, first 2 shown]
	v_mov_b32_e32 v1, 0
	s_mov_b32 s4, exec_lo
	ds_read_b128 v[68:71], v1 offset:688
	s_clause 0x2
	buffer_load_dword v133, off, s[0:3], 0 offset:444
	buffer_load_dword v137, off, s[0:3], 0 offset:420
	;; [unrolled: 1-line block ×3, first 2 shown]
	ds_read_b128 v[72:75], v1 offset:704
	s_clause 0x4
	buffer_load_dword v141, off, s[0:3], 0 offset:460
	buffer_load_dword v142, off, s[0:3], 0 offset:472
	;; [unrolled: 1-line block ×5, first 2 shown]
	ds_read_b128 v[76:79], v1 offset:720
	s_waitcnt vmcnt(62) lgkmcnt(2)
	v_mul_f64 v[138:139], v[70:71], v[2:3]
	v_mul_f64 v[2:3], v[68:69], v[2:3]
	s_waitcnt vmcnt(60) lgkmcnt(1)
	v_mul_f64 v[145:146], v[74:75], v[80:81]
	v_mul_f64 v[80:81], v[72:73], v[80:81]
	;; [unrolled: 3-line block ×3, first 2 shown]
	v_fma_f64 v[138:139], v[68:69], v[82:83], -v[138:139]
	v_fma_f64 v[2:3], v[70:71], v[82:83], v[2:3]
	s_clause 0x2
	buffer_load_dword v143, off, s[0:3], 0 offset:476
	buffer_load_dword v83, off, s[0:3], 0 offset:452
	;; [unrolled: 1-line block ×3, first 2 shown]
	s_waitcnt vmcnt(57)
	v_fma_f64 v[149:150], v[72:73], v[86:87], -v[145:146]
	ds_read_b128 v[68:71], v1 offset:736
	v_fma_f64 v[80:81], v[74:75], v[86:87], v[80:81]
	s_clause 0x4
	buffer_load_dword v87, off, s[0:3], 0 offset:492
	buffer_load_dword v146, off, s[0:3], 0 offset:504
	;; [unrolled: 1-line block ×5, first 2 shown]
	s_waitcnt vmcnt(56)
	v_fma_f64 v[84:85], v[76:77], v[94:95], -v[84:85]
	ds_read_b128 v[72:75], v1 offset:752
	v_fma_f64 v[94:95], v[78:79], v[94:95], v[147:148]
	v_add_f64 v[138:139], v[138:139], 0
	v_add_f64 v[2:3], v[2:3], 0
	s_waitcnt lgkmcnt(1)
	v_mul_f64 v[152:153], v[68:69], v[88:89]
	v_mul_f64 v[88:89], v[70:71], v[88:89]
	v_add_f64 v[138:139], v[138:139], v[149:150]
	v_add_f64 v[2:3], v[2:3], v[80:81]
	s_clause 0x2
	buffer_load_dword v147, off, s[0:3], 0 offset:508
	buffer_load_dword v81, off, s[0:3], 0 offset:484
	;; [unrolled: 1-line block ×3, first 2 shown]
	s_waitcnt vmcnt(58) lgkmcnt(0)
	v_mul_f64 v[148:149], v[72:73], v[90:91]
	v_mul_f64 v[90:91], v[74:75], v[90:91]
	s_waitcnt vmcnt(56)
	v_fma_f64 v[88:89], v[68:69], v[96:97], -v[88:89]
	ds_read_b128 v[76:79], v1 offset:768
	v_fma_f64 v[96:97], v[70:71], v[96:97], v[152:153]
	buffer_load_dword v152, off, s[0:3], 0 offset:500
	ds_read_b128 v[68:71], v1 offset:784
	v_add_f64 v[84:85], v[138:139], v[84:85]
	v_add_f64 v[2:3], v[2:3], v[94:95]
	s_waitcnt vmcnt(53) lgkmcnt(1)
	v_mul_f64 v[94:95], v[76:77], v[98:99]
	v_mul_f64 v[98:99], v[78:79], v[98:99]
	s_waitcnt vmcnt(52)
	v_fma_f64 v[90:91], v[72:73], v[92:93], -v[90:91]
	v_add_f64 v[84:85], v[84:85], v[88:89]
	v_fma_f64 v[88:89], v[74:75], v[92:93], v[148:149]
	v_add_f64 v[2:3], v[2:3], v[96:97]
	s_waitcnt vmcnt(51) lgkmcnt(0)
	v_mul_f64 v[96:97], v[70:71], v[100:101]
	ds_read_b128 v[72:75], v1 offset:800
	s_waitcnt vmcnt(49)
	v_fma_f64 v[98:99], v[76:77], v[104:105], -v[98:99]
	v_mul_f64 v[92:93], v[68:69], v[100:101]
	v_add_f64 v[84:85], v[84:85], v[90:91]
	v_fma_f64 v[90:91], v[78:79], v[104:105], v[94:95]
	v_add_f64 v[2:3], v[2:3], v[88:89]
	s_clause 0x3
	buffer_load_dword v88, off, s[0:3], 0 offset:192
	buffer_load_dword v89, off, s[0:3], 0 offset:196
	;; [unrolled: 1-line block ×4, first 2 shown]
	s_waitcnt vmcnt(49) lgkmcnt(0)
	v_mul_f64 v[104:105], v[74:75], v[106:107]
	s_waitcnt vmcnt(48)
	v_fma_f64 v[96:97], v[68:69], v[102:103], -v[96:97]
	ds_read_b128 v[76:79], v1 offset:816
	v_mul_f64 v[100:101], v[72:73], v[106:107]
	v_fma_f64 v[92:93], v[70:71], v[102:103], v[92:93]
	ds_read_b128 v[68:71], v1 offset:832
	v_add_f64 v[84:85], v[84:85], v[98:99]
	v_add_f64 v[2:3], v[2:3], v[90:91]
	s_waitcnt vmcnt(47) lgkmcnt(1)
	v_mul_f64 v[98:99], v[78:79], v[108:109]
	s_waitcnt vmcnt(45)
	v_fma_f64 v[102:103], v[72:73], v[112:113], -v[104:105]
	v_mul_f64 v[90:91], v[76:77], v[108:109]
	v_add_f64 v[84:85], v[84:85], v[96:97]
	v_fma_f64 v[96:97], v[74:75], v[112:113], v[100:101]
	v_add_f64 v[2:3], v[2:3], v[92:93]
	s_waitcnt vmcnt(41) lgkmcnt(0)
	v_mul_f64 v[100:101], v[70:71], v[114:115]
	s_waitcnt vmcnt(40)
	v_fma_f64 v[98:99], v[76:77], v[110:111], -v[98:99]
	ds_read_b128 v[72:75], v1 offset:848
	v_mul_f64 v[92:93], v[68:69], v[114:115]
	v_fma_f64 v[90:91], v[78:79], v[110:111], v[90:91]
	ds_read_b128 v[76:79], v1 offset:864
	v_add_f64 v[84:85], v[84:85], v[102:103]
	v_add_f64 v[2:3], v[2:3], v[96:97]
	s_waitcnt vmcnt(39) lgkmcnt(1)
	v_mul_f64 v[102:103], v[74:75], v[116:117]
	s_waitcnt vmcnt(37)
	v_fma_f64 v[100:101], v[68:69], v[120:121], -v[100:101]
	v_mul_f64 v[96:97], v[72:73], v[116:117]
	v_fma_f64 v[92:93], v[70:71], v[120:121], v[92:93]
	ds_read_b128 v[68:71], v1 offset:880
	v_add_f64 v[84:85], v[84:85], v[98:99]
	s_waitcnt vmcnt(33) lgkmcnt(1)
	v_mul_f64 v[98:99], v[78:79], v[122:123]
	v_add_f64 v[2:3], v[2:3], v[90:91]
	s_waitcnt vmcnt(32)
	v_fma_f64 v[102:103], v[72:73], v[118:119], -v[102:103]
	v_mul_f64 v[90:91], v[76:77], v[122:123]
	v_fma_f64 v[96:97], v[74:75], v[118:119], v[96:97]
	ds_read_b128 v[72:75], v1 offset:896
	v_add_f64 v[84:85], v[84:85], v[100:101]
	s_waitcnt vmcnt(31) lgkmcnt(1)
	v_mul_f64 v[100:101], v[70:71], v[124:125]
	v_add_f64 v[2:3], v[2:3], v[92:93]
	;; [unrolled: 9-line block ×5, first 2 shown]
	s_waitcnt vmcnt(16)
	v_fma_f64 v[98:99], v[76:77], v[134:135], -v[98:99]
	v_mul_f64 v[92:93], v[68:69], v[140:141]
	v_fma_f64 v[90:91], v[78:79], v[134:135], v[90:91]
	ds_read_b128 v[76:79], v1 offset:960
	v_add_f64 v[84:85], v[84:85], v[102:103]
	v_add_f64 v[2:3], v[2:3], v[96:97]
	s_waitcnt vmcnt(15) lgkmcnt(1)
	v_mul_f64 v[102:103], v[74:75], v[142:143]
	v_mul_f64 v[96:97], v[72:73], v[142:143]
	s_waitcnt vmcnt(13)
	v_fma_f64 v[100:101], v[68:69], v[82:83], -v[100:101]
	v_fma_f64 v[82:83], v[70:71], v[82:83], v[92:93]
	ds_read_b128 v[68:71], v1 offset:976
	v_add_f64 v[84:85], v[84:85], v[98:99]
	v_add_f64 v[2:3], v[2:3], v[90:91]
	s_waitcnt vmcnt(9) lgkmcnt(1)
	v_mul_f64 v[90:91], v[76:77], v[86:87]
	v_mul_f64 v[86:87], v[78:79], v[86:87]
	s_waitcnt vmcnt(8)
	v_fma_f64 v[72:73], v[72:73], v[144:145], -v[102:103]
	v_fma_f64 v[74:75], v[74:75], v[144:145], v[96:97]
	v_add_f64 v[84:85], v[84:85], v[100:101]
	v_add_f64 v[2:3], v[2:3], v[82:83]
	s_waitcnt vmcnt(7) lgkmcnt(0)
	v_mul_f64 v[92:93], v[70:71], v[146:147]
	v_mul_f64 v[82:83], v[68:69], v[146:147]
	s_waitcnt vmcnt(5)
	v_fma_f64 v[76:77], v[76:77], v[80:81], -v[86:87]
	v_fma_f64 v[78:79], v[78:79], v[80:81], v[90:91]
	v_add_f64 v[72:73], v[84:85], v[72:73]
	v_add_f64 v[2:3], v[2:3], v[74:75]
	s_waitcnt vmcnt(4)
	v_fma_f64 v[68:69], v[68:69], v[151:152], -v[92:93]
	v_fma_f64 v[70:71], v[70:71], v[151:152], v[82:83]
	v_add_f64 v[72:73], v[72:73], v[76:77]
	v_add_f64 v[2:3], v[2:3], v[78:79]
	;; [unrolled: 1-line block ×4, first 2 shown]
	s_waitcnt vmcnt(2)
	v_add_f64 v[68:69], v[88:89], -v[68:69]
	s_waitcnt vmcnt(0)
	v_add_f64 v[2:3], v[94:95], -v[2:3]
	buffer_store_dword v69, off, s[0:3], 0 offset:196
	buffer_store_dword v68, off, s[0:3], 0 offset:192
	;; [unrolled: 1-line block ×4, first 2 shown]
	v_cmpx_lt_u32_e32 10, v0
	s_cbranch_execz .LBB94_179
; %bb.178:
	v_mov_b32_e32 v2, s33
	s_clause 0x3
	buffer_load_dword v68, v2, s[0:3], 0 offen
	buffer_load_dword v69, v2, s[0:3], 0 offen offset:4
	buffer_load_dword v70, v2, s[0:3], 0 offen offset:8
	;; [unrolled: 1-line block ×3, first 2 shown]
	buffer_store_dword v1, off, s[0:3], 0 offset:176
	buffer_store_dword v1, off, s[0:3], 0 offset:180
	;; [unrolled: 1-line block ×4, first 2 shown]
	s_waitcnt vmcnt(0)
	ds_write_b128 v67, v[68:71]
.LBB94_179:
	s_or_b32 exec_lo, exec_lo, s4
	s_waitcnt lgkmcnt(0)
	s_waitcnt_vscnt null, 0x0
	s_barrier
	buffer_gl0_inv
	s_clause 0x37
	buffer_load_dword v2, off, s[0:3], 0 offset:200
	buffer_load_dword v3, off, s[0:3], 0 offset:204
	;; [unrolled: 1-line block ×56, first 2 shown]
	ds_read_b128 v[68:71], v1 offset:672
	s_clause 0x2
	buffer_load_dword v133, off, s[0:3], 0 offset:428
	buffer_load_dword v137, off, s[0:3], 0 offset:404
	;; [unrolled: 1-line block ×3, first 2 shown]
	ds_read_b128 v[72:75], v1 offset:688
	s_clause 0x4
	buffer_load_dword v141, off, s[0:3], 0 offset:444
	buffer_load_dword v142, off, s[0:3], 0 offset:456
	buffer_load_dword v144, off, s[0:3], 0 offset:448
	buffer_load_dword v140, off, s[0:3], 0 offset:440
	buffer_load_dword v135, off, s[0:3], 0 offset:420
	ds_read_b128 v[76:79], v1 offset:704
	s_mov_b32 s4, exec_lo
	s_waitcnt vmcnt(62) lgkmcnt(2)
	v_mul_f64 v[138:139], v[70:71], v[2:3]
	v_mul_f64 v[2:3], v[68:69], v[2:3]
	s_waitcnt vmcnt(60) lgkmcnt(1)
	v_mul_f64 v[145:146], v[74:75], v[80:81]
	v_mul_f64 v[80:81], v[72:73], v[80:81]
	;; [unrolled: 3-line block ×3, first 2 shown]
	v_fma_f64 v[138:139], v[68:69], v[82:83], -v[138:139]
	v_fma_f64 v[2:3], v[70:71], v[82:83], v[2:3]
	s_clause 0x2
	buffer_load_dword v143, off, s[0:3], 0 offset:460
	buffer_load_dword v83, off, s[0:3], 0 offset:436
	;; [unrolled: 1-line block ×3, first 2 shown]
	s_waitcnt vmcnt(57)
	v_fma_f64 v[149:150], v[72:73], v[86:87], -v[145:146]
	ds_read_b128 v[68:71], v1 offset:720
	v_fma_f64 v[80:81], v[74:75], v[86:87], v[80:81]
	s_clause 0x4
	buffer_load_dword v87, off, s[0:3], 0 offset:476
	buffer_load_dword v146, off, s[0:3], 0 offset:488
	;; [unrolled: 1-line block ×5, first 2 shown]
	s_waitcnt vmcnt(56)
	v_fma_f64 v[84:85], v[76:77], v[94:95], -v[84:85]
	ds_read_b128 v[72:75], v1 offset:736
	v_fma_f64 v[94:95], v[78:79], v[94:95], v[147:148]
	v_add_f64 v[138:139], v[138:139], 0
	v_add_f64 v[2:3], v[2:3], 0
	s_waitcnt lgkmcnt(1)
	v_mul_f64 v[152:153], v[68:69], v[88:89]
	v_mul_f64 v[88:89], v[70:71], v[88:89]
	v_add_f64 v[138:139], v[138:139], v[149:150]
	v_add_f64 v[2:3], v[2:3], v[80:81]
	s_clause 0x2
	buffer_load_dword v147, off, s[0:3], 0 offset:492
	buffer_load_dword v81, off, s[0:3], 0 offset:468
	;; [unrolled: 1-line block ×3, first 2 shown]
	s_waitcnt vmcnt(58) lgkmcnt(0)
	v_mul_f64 v[148:149], v[72:73], v[90:91]
	v_mul_f64 v[90:91], v[74:75], v[90:91]
	s_waitcnt vmcnt(56)
	v_fma_f64 v[88:89], v[68:69], v[96:97], -v[88:89]
	ds_read_b128 v[76:79], v1 offset:752
	v_fma_f64 v[96:97], v[70:71], v[96:97], v[152:153]
	v_add_f64 v[84:85], v[138:139], v[84:85]
	v_add_f64 v[2:3], v[2:3], v[94:95]
	s_clause 0x2
	buffer_load_dword v95, off, s[0:3], 0 offset:508
	buffer_load_dword v94, off, s[0:3], 0 offset:504
	;; [unrolled: 1-line block ×3, first 2 shown]
	ds_read_b128 v[68:71], v1 offset:768
	s_waitcnt vmcnt(55) lgkmcnt(1)
	v_mul_f64 v[138:139], v[76:77], v[98:99]
	v_mul_f64 v[98:99], v[78:79], v[98:99]
	s_waitcnt vmcnt(54)
	v_fma_f64 v[90:91], v[72:73], v[92:93], -v[90:91]
	v_add_f64 v[84:85], v[84:85], v[88:89]
	v_fma_f64 v[88:89], v[74:75], v[92:93], v[148:149]
	v_add_f64 v[2:3], v[2:3], v[96:97]
	s_clause 0x1
	buffer_load_dword v93, off, s[0:3], 0 offset:500
	buffer_load_dword v92, off, s[0:3], 0 offset:496
	s_waitcnt vmcnt(55) lgkmcnt(0)
	v_mul_f64 v[96:97], v[68:69], v[100:101]
	v_mul_f64 v[100:101], v[70:71], v[100:101]
	s_waitcnt vmcnt(53)
	v_fma_f64 v[98:99], v[76:77], v[104:105], -v[98:99]
	ds_read_b128 v[72:75], v1 offset:784
	v_add_f64 v[84:85], v[84:85], v[90:91]
	v_fma_f64 v[90:91], v[78:79], v[104:105], v[138:139]
	v_add_f64 v[2:3], v[2:3], v[88:89]
	ds_read_b128 v[76:79], v1 offset:800
	s_waitcnt vmcnt(48)
	v_fma_f64 v[96:97], v[70:71], v[102:103], v[96:97]
	s_waitcnt lgkmcnt(1)
	v_mul_f64 v[104:105], v[74:75], v[106:107]
	v_fma_f64 v[100:101], v[68:69], v[102:103], -v[100:101]
	v_mul_f64 v[88:89], v[72:73], v[106:107]
	v_add_f64 v[84:85], v[84:85], v[98:99]
	s_waitcnt vmcnt(47) lgkmcnt(0)
	v_mul_f64 v[106:107], v[78:79], v[108:109]
	v_add_f64 v[2:3], v[2:3], v[90:91]
	s_clause 0x3
	buffer_load_dword v90, off, s[0:3], 0 offset:176
	buffer_load_dword v91, off, s[0:3], 0 offset:180
	;; [unrolled: 1-line block ×4, first 2 shown]
	ds_read_b128 v[68:71], v1 offset:816
	s_waitcnt vmcnt(49)
	v_fma_f64 v[104:105], v[72:73], v[112:113], -v[104:105]
	v_mul_f64 v[102:103], v[76:77], v[108:109]
	v_fma_f64 v[88:89], v[74:75], v[112:113], v[88:89]
	ds_read_b128 v[72:75], v1 offset:832
	v_add_f64 v[84:85], v[84:85], v[100:101]
	s_waitcnt vmcnt(44)
	v_fma_f64 v[106:107], v[76:77], v[110:111], -v[106:107]
	v_add_f64 v[2:3], v[2:3], v[96:97]
	s_waitcnt lgkmcnt(1)
	v_mul_f64 v[100:101], v[70:71], v[114:115]
	v_mul_f64 v[96:97], v[68:69], v[114:115]
	v_fma_f64 v[102:103], v[78:79], v[110:111], v[102:103]
	ds_read_b128 v[76:79], v1 offset:848
	v_add_f64 v[84:85], v[84:85], v[104:105]
	s_waitcnt vmcnt(43) lgkmcnt(1)
	v_mul_f64 v[104:105], v[74:75], v[116:117]
	v_add_f64 v[2:3], v[2:3], v[88:89]
	s_waitcnt vmcnt(41)
	v_fma_f64 v[100:101], v[68:69], v[120:121], -v[100:101]
	v_mul_f64 v[88:89], v[72:73], v[116:117]
	v_fma_f64 v[96:97], v[70:71], v[120:121], v[96:97]
	ds_read_b128 v[68:71], v1 offset:864
	v_add_f64 v[84:85], v[84:85], v[106:107]
	s_waitcnt vmcnt(37) lgkmcnt(1)
	v_mul_f64 v[106:107], v[78:79], v[122:123]
	v_add_f64 v[2:3], v[2:3], v[102:103]
	s_waitcnt vmcnt(36)
	v_fma_f64 v[104:105], v[72:73], v[118:119], -v[104:105]
	v_mul_f64 v[102:103], v[76:77], v[122:123]
	v_fma_f64 v[88:89], v[74:75], v[118:119], v[88:89]
	ds_read_b128 v[72:75], v1 offset:880
	v_add_f64 v[84:85], v[84:85], v[100:101]
	s_waitcnt vmcnt(35) lgkmcnt(1)
	v_mul_f64 v[100:101], v[70:71], v[124:125]
	v_add_f64 v[2:3], v[2:3], v[96:97]
	s_waitcnt vmcnt(33)
	v_fma_f64 v[106:107], v[76:77], v[128:129], -v[106:107]
	v_mul_f64 v[96:97], v[68:69], v[124:125]
	v_fma_f64 v[102:103], v[78:79], v[128:129], v[102:103]
	ds_read_b128 v[76:79], v1 offset:896
	v_add_f64 v[84:85], v[84:85], v[104:105]
	s_waitcnt vmcnt(29) lgkmcnt(1)
	v_mul_f64 v[104:105], v[74:75], v[130:131]
	v_add_f64 v[2:3], v[2:3], v[88:89]
	s_waitcnt vmcnt(28)
	v_fma_f64 v[100:101], v[68:69], v[126:127], -v[100:101]
	v_mul_f64 v[88:89], v[72:73], v[130:131]
	v_fma_f64 v[96:97], v[70:71], v[126:127], v[96:97]
	ds_read_b128 v[68:71], v1 offset:912
	v_add_f64 v[84:85], v[84:85], v[106:107]
	s_waitcnt vmcnt(27) lgkmcnt(1)
	v_mul_f64 v[106:107], v[78:79], v[132:133]
	v_add_f64 v[2:3], v[2:3], v[102:103]
	s_waitcnt vmcnt(25)
	v_fma_f64 v[104:105], v[72:73], v[136:137], -v[104:105]
	v_mul_f64 v[102:103], v[76:77], v[132:133]
	v_fma_f64 v[88:89], v[74:75], v[136:137], v[88:89]
	ds_read_b128 v[72:75], v1 offset:928
	v_add_f64 v[84:85], v[84:85], v[100:101]
	s_waitcnt vmcnt(21) lgkmcnt(1)
	v_mul_f64 v[100:101], v[70:71], v[140:141]
	v_add_f64 v[2:3], v[2:3], v[96:97]
	s_waitcnt vmcnt(20)
	v_fma_f64 v[106:107], v[76:77], v[134:135], -v[106:107]
	v_mul_f64 v[96:97], v[68:69], v[140:141]
	v_fma_f64 v[102:103], v[78:79], v[134:135], v[102:103]
	ds_read_b128 v[76:79], v1 offset:944
	v_add_f64 v[84:85], v[84:85], v[104:105]
	v_add_f64 v[2:3], v[2:3], v[88:89]
	s_waitcnt vmcnt(19) lgkmcnt(1)
	v_mul_f64 v[104:105], v[74:75], v[142:143]
	v_mul_f64 v[88:89], v[72:73], v[142:143]
	s_waitcnt vmcnt(17)
	v_fma_f64 v[100:101], v[68:69], v[82:83], -v[100:101]
	v_fma_f64 v[82:83], v[70:71], v[82:83], v[96:97]
	ds_read_b128 v[68:71], v1 offset:960
	s_waitcnt vmcnt(13) lgkmcnt(1)
	v_mul_f64 v[96:97], v[76:77], v[86:87]
	v_mul_f64 v[86:87], v[78:79], v[86:87]
	v_add_f64 v[84:85], v[84:85], v[106:107]
	v_add_f64 v[2:3], v[2:3], v[102:103]
	s_waitcnt vmcnt(12)
	v_fma_f64 v[72:73], v[72:73], v[144:145], -v[104:105]
	v_fma_f64 v[74:75], v[74:75], v[144:145], v[88:89]
	v_add_f64 v[84:85], v[84:85], v[100:101]
	v_add_f64 v[82:83], v[2:3], v[82:83]
	ds_read_b128 v[1:4], v1 offset:976
	s_waitcnt vmcnt(11) lgkmcnt(1)
	v_mul_f64 v[100:101], v[70:71], v[146:147]
	v_mul_f64 v[88:89], v[68:69], v[146:147]
	s_waitcnt vmcnt(9)
	v_fma_f64 v[76:77], v[76:77], v[80:81], -v[86:87]
	v_fma_f64 v[78:79], v[78:79], v[80:81], v[96:97]
	v_add_f64 v[72:73], v[84:85], v[72:73]
	v_add_f64 v[74:75], v[82:83], v[74:75]
	s_waitcnt vmcnt(7) lgkmcnt(0)
	v_mul_f64 v[82:83], v[3:4], v[94:95]
	s_waitcnt vmcnt(6)
	v_fma_f64 v[68:69], v[68:69], v[151:152], -v[100:101]
	v_mul_f64 v[80:81], v[1:2], v[94:95]
	v_fma_f64 v[70:71], v[70:71], v[151:152], v[88:89]
	v_add_f64 v[72:73], v[72:73], v[76:77]
	v_add_f64 v[74:75], v[74:75], v[78:79]
	s_waitcnt vmcnt(4)
	v_fma_f64 v[1:2], v[1:2], v[92:93], -v[82:83]
	v_fma_f64 v[3:4], v[3:4], v[92:93], v[80:81]
	v_add_f64 v[68:69], v[72:73], v[68:69]
	v_add_f64 v[70:71], v[74:75], v[70:71]
	;; [unrolled: 1-line block ×4, first 2 shown]
	s_waitcnt vmcnt(2)
	v_add_f64 v[1:2], v[90:91], -v[1:2]
	s_waitcnt vmcnt(0)
	v_add_f64 v[3:4], v[98:99], -v[3:4]
	buffer_store_dword v2, off, s[0:3], 0 offset:180
	buffer_store_dword v1, off, s[0:3], 0 offset:176
	;; [unrolled: 1-line block ×4, first 2 shown]
	v_cmpx_lt_u32_e32 9, v0
	s_cbranch_execz .LBB94_181
; %bb.180:
	v_mov_b32_e32 v4, s34
	v_mov_b32_e32 v68, 0
	s_clause 0x3
	buffer_load_dword v1, v4, s[0:3], 0 offen
	buffer_load_dword v2, v4, s[0:3], 0 offen offset:4
	buffer_load_dword v3, v4, s[0:3], 0 offen offset:8
	buffer_load_dword v4, v4, s[0:3], 0 offen offset:12
	buffer_store_dword v68, off, s[0:3], 0 offset:160
	buffer_store_dword v68, off, s[0:3], 0 offset:164
	;; [unrolled: 1-line block ×4, first 2 shown]
	s_waitcnt vmcnt(0)
	ds_write_b128 v67, v[1:4]
.LBB94_181:
	s_or_b32 exec_lo, exec_lo, s4
	s_waitcnt lgkmcnt(0)
	s_waitcnt_vscnt null, 0x0
	s_barrier
	buffer_gl0_inv
	s_clause 0x37
	buffer_load_dword v2, off, s[0:3], 0 offset:184
	buffer_load_dword v3, off, s[0:3], 0 offset:188
	;; [unrolled: 1-line block ×56, first 2 shown]
	v_mov_b32_e32 v1, 0
	s_mov_b32 s4, exec_lo
	ds_read_b128 v[68:71], v1 offset:656
	s_clause 0x2
	buffer_load_dword v133, off, s[0:3], 0 offset:412
	buffer_load_dword v137, off, s[0:3], 0 offset:388
	;; [unrolled: 1-line block ×3, first 2 shown]
	ds_read_b128 v[72:75], v1 offset:672
	s_clause 0x4
	buffer_load_dword v141, off, s[0:3], 0 offset:428
	buffer_load_dword v142, off, s[0:3], 0 offset:440
	;; [unrolled: 1-line block ×5, first 2 shown]
	ds_read_b128 v[76:79], v1 offset:688
	s_waitcnt vmcnt(62) lgkmcnt(2)
	v_mul_f64 v[138:139], v[70:71], v[2:3]
	v_mul_f64 v[2:3], v[68:69], v[2:3]
	s_waitcnt vmcnt(60) lgkmcnt(1)
	v_mul_f64 v[145:146], v[74:75], v[80:81]
	v_mul_f64 v[80:81], v[72:73], v[80:81]
	;; [unrolled: 3-line block ×3, first 2 shown]
	v_fma_f64 v[138:139], v[68:69], v[82:83], -v[138:139]
	v_fma_f64 v[2:3], v[70:71], v[82:83], v[2:3]
	s_clause 0x2
	buffer_load_dword v143, off, s[0:3], 0 offset:444
	buffer_load_dword v83, off, s[0:3], 0 offset:420
	;; [unrolled: 1-line block ×3, first 2 shown]
	s_waitcnt vmcnt(57)
	v_fma_f64 v[149:150], v[72:73], v[86:87], -v[145:146]
	ds_read_b128 v[68:71], v1 offset:704
	v_fma_f64 v[80:81], v[74:75], v[86:87], v[80:81]
	s_clause 0x4
	buffer_load_dword v87, off, s[0:3], 0 offset:460
	buffer_load_dword v146, off, s[0:3], 0 offset:472
	;; [unrolled: 1-line block ×5, first 2 shown]
	s_waitcnt vmcnt(56)
	v_fma_f64 v[84:85], v[76:77], v[94:95], -v[84:85]
	ds_read_b128 v[72:75], v1 offset:720
	v_fma_f64 v[94:95], v[78:79], v[94:95], v[147:148]
	v_add_f64 v[138:139], v[138:139], 0
	v_add_f64 v[2:3], v[2:3], 0
	s_waitcnt lgkmcnt(1)
	v_mul_f64 v[152:153], v[68:69], v[88:89]
	v_mul_f64 v[88:89], v[70:71], v[88:89]
	v_add_f64 v[138:139], v[138:139], v[149:150]
	v_add_f64 v[2:3], v[2:3], v[80:81]
	s_clause 0x2
	buffer_load_dword v147, off, s[0:3], 0 offset:476
	buffer_load_dword v81, off, s[0:3], 0 offset:452
	buffer_load_dword v80, off, s[0:3], 0 offset:448
	s_waitcnt vmcnt(58) lgkmcnt(0)
	v_mul_f64 v[148:149], v[72:73], v[90:91]
	v_mul_f64 v[90:91], v[74:75], v[90:91]
	s_waitcnt vmcnt(56)
	v_fma_f64 v[88:89], v[68:69], v[96:97], -v[88:89]
	ds_read_b128 v[76:79], v1 offset:736
	v_fma_f64 v[96:97], v[70:71], v[96:97], v[152:153]
	v_add_f64 v[84:85], v[138:139], v[84:85]
	v_add_f64 v[2:3], v[2:3], v[94:95]
	s_clause 0x4
	buffer_load_dword v95, off, s[0:3], 0 offset:492
	buffer_load_dword v138, off, s[0:3], 0 offset:504
	;; [unrolled: 1-line block ×5, first 2 shown]
	ds_read_b128 v[68:71], v1 offset:752
	s_waitcnt vmcnt(57) lgkmcnt(1)
	v_mul_f64 v[154:155], v[76:77], v[98:99]
	v_mul_f64 v[98:99], v[78:79], v[98:99]
	s_waitcnt vmcnt(56)
	v_fma_f64 v[90:91], v[72:73], v[92:93], -v[90:91]
	v_add_f64 v[84:85], v[84:85], v[88:89]
	v_fma_f64 v[88:89], v[74:75], v[92:93], v[148:149]
	v_add_f64 v[2:3], v[2:3], v[96:97]
	s_clause 0x2
	buffer_load_dword v139, off, s[0:3], 0 offset:508
	buffer_load_dword v93, off, s[0:3], 0 offset:484
	;; [unrolled: 1-line block ×3, first 2 shown]
	s_waitcnt vmcnt(58) lgkmcnt(0)
	v_mul_f64 v[96:97], v[68:69], v[100:101]
	v_mul_f64 v[100:101], v[70:71], v[100:101]
	s_waitcnt vmcnt(56)
	v_fma_f64 v[98:99], v[76:77], v[104:105], -v[98:99]
	ds_read_b128 v[72:75], v1 offset:768
	v_add_f64 v[84:85], v[84:85], v[90:91]
	v_fma_f64 v[90:91], v[78:79], v[104:105], v[154:155]
	v_add_f64 v[2:3], v[2:3], v[88:89]
	buffer_load_dword v154, off, s[0:3], 0 offset:500
	ds_read_b128 v[76:79], v1 offset:784
	s_waitcnt vmcnt(53) lgkmcnt(1)
	v_mul_f64 v[104:105], v[74:75], v[106:107]
	s_waitcnt vmcnt(52)
	v_fma_f64 v[100:101], v[68:69], v[102:103], -v[100:101]
	v_mul_f64 v[88:89], v[72:73], v[106:107]
	v_fma_f64 v[96:97], v[70:71], v[102:103], v[96:97]
	ds_read_b128 v[68:71], v1 offset:800
	v_add_f64 v[84:85], v[84:85], v[98:99]
	v_add_f64 v[2:3], v[2:3], v[90:91]
	s_waitcnt vmcnt(51) lgkmcnt(1)
	v_mul_f64 v[98:99], v[78:79], v[108:109]
	v_mul_f64 v[90:91], v[76:77], v[108:109]
	s_waitcnt vmcnt(49)
	v_fma_f64 v[102:103], v[72:73], v[112:113], -v[104:105]
	v_fma_f64 v[88:89], v[74:75], v[112:113], v[88:89]
	s_waitcnt vmcnt(45) lgkmcnt(0)
	v_mul_f64 v[106:107], v[70:71], v[114:115]
	v_mul_f64 v[104:105], v[68:69], v[114:115]
	v_add_f64 v[84:85], v[84:85], v[100:101]
	v_add_f64 v[2:3], v[2:3], v[96:97]
	s_clause 0x3
	buffer_load_dword v96, off, s[0:3], 0 offset:160
	buffer_load_dword v97, off, s[0:3], 0 offset:164
	;; [unrolled: 1-line block ×4, first 2 shown]
	s_waitcnt vmcnt(48)
	v_fma_f64 v[98:99], v[76:77], v[110:111], -v[98:99]
	ds_read_b128 v[72:75], v1 offset:816
	v_fma_f64 v[90:91], v[78:79], v[110:111], v[90:91]
	ds_read_b128 v[76:79], v1 offset:832
	s_waitcnt vmcnt(45)
	v_fma_f64 v[106:107], v[68:69], v[120:121], -v[106:107]
	v_add_f64 v[84:85], v[84:85], v[102:103]
	v_add_f64 v[2:3], v[2:3], v[88:89]
	s_waitcnt lgkmcnt(1)
	v_mul_f64 v[102:103], v[74:75], v[116:117]
	v_mul_f64 v[88:89], v[72:73], v[116:117]
	v_add_f64 v[84:85], v[84:85], v[98:99]
	v_fma_f64 v[98:99], v[70:71], v[120:121], v[104:105]
	v_add_f64 v[2:3], v[2:3], v[90:91]
	s_waitcnt vmcnt(41) lgkmcnt(0)
	v_mul_f64 v[104:105], v[78:79], v[122:123]
	s_waitcnt vmcnt(40)
	v_fma_f64 v[102:103], v[72:73], v[118:119], -v[102:103]
	ds_read_b128 v[68:71], v1 offset:848
	v_mul_f64 v[90:91], v[76:77], v[122:123]
	v_fma_f64 v[88:89], v[74:75], v[118:119], v[88:89]
	ds_read_b128 v[72:75], v1 offset:864
	v_add_f64 v[84:85], v[84:85], v[106:107]
	v_add_f64 v[2:3], v[2:3], v[98:99]
	s_waitcnt vmcnt(39) lgkmcnt(1)
	v_mul_f64 v[106:107], v[70:71], v[124:125]
	s_waitcnt vmcnt(37)
	v_fma_f64 v[104:105], v[76:77], v[128:129], -v[104:105]
	v_mul_f64 v[98:99], v[68:69], v[124:125]
	v_fma_f64 v[90:91], v[78:79], v[128:129], v[90:91]
	ds_read_b128 v[76:79], v1 offset:880
	v_add_f64 v[84:85], v[84:85], v[102:103]
	s_waitcnt vmcnt(33) lgkmcnt(1)
	v_mul_f64 v[102:103], v[74:75], v[130:131]
	v_add_f64 v[2:3], v[2:3], v[88:89]
	s_waitcnt vmcnt(32)
	v_fma_f64 v[106:107], v[68:69], v[126:127], -v[106:107]
	v_mul_f64 v[88:89], v[72:73], v[130:131]
	v_fma_f64 v[98:99], v[70:71], v[126:127], v[98:99]
	ds_read_b128 v[68:71], v1 offset:896
	v_add_f64 v[84:85], v[84:85], v[104:105]
	s_waitcnt vmcnt(31) lgkmcnt(1)
	v_mul_f64 v[104:105], v[78:79], v[132:133]
	v_add_f64 v[2:3], v[2:3], v[90:91]
	;; [unrolled: 9-line block ×3, first 2 shown]
	s_waitcnt vmcnt(24)
	v_fma_f64 v[104:105], v[76:77], v[134:135], -v[104:105]
	v_mul_f64 v[98:99], v[68:69], v[140:141]
	v_fma_f64 v[90:91], v[78:79], v[134:135], v[90:91]
	ds_read_b128 v[76:79], v1 offset:928
	v_add_f64 v[84:85], v[84:85], v[102:103]
	v_add_f64 v[2:3], v[2:3], v[88:89]
	s_waitcnt vmcnt(23) lgkmcnt(1)
	v_mul_f64 v[102:103], v[74:75], v[142:143]
	v_mul_f64 v[88:89], v[72:73], v[142:143]
	s_waitcnt vmcnt(21)
	v_fma_f64 v[106:107], v[68:69], v[82:83], -v[106:107]
	v_fma_f64 v[82:83], v[70:71], v[82:83], v[98:99]
	ds_read_b128 v[68:71], v1 offset:944
	v_add_f64 v[84:85], v[84:85], v[104:105]
	v_add_f64 v[2:3], v[2:3], v[90:91]
	s_waitcnt vmcnt(17) lgkmcnt(1)
	v_mul_f64 v[90:91], v[76:77], v[86:87]
	v_mul_f64 v[86:87], v[78:79], v[86:87]
	s_waitcnt vmcnt(16)
	v_fma_f64 v[98:99], v[72:73], v[144:145], -v[102:103]
	;; [unrolled: 9-line block ×3, first 2 shown]
	v_fma_f64 v[80:81], v[78:79], v[80:81], v[90:91]
	ds_read_b128 v[76:79], v1 offset:976
	v_add_f64 v[84:85], v[84:85], v[98:99]
	v_add_f64 v[2:3], v[2:3], v[88:89]
	s_waitcnt vmcnt(9) lgkmcnt(1)
	v_mul_f64 v[90:91], v[74:75], v[94:95]
	s_waitcnt vmcnt(8)
	v_fma_f64 v[68:69], v[68:69], v[151:152], -v[102:103]
	v_mul_f64 v[88:89], v[72:73], v[94:95]
	v_fma_f64 v[70:71], v[70:71], v[151:152], v[82:83]
	v_add_f64 v[84:85], v[84:85], v[86:87]
	v_add_f64 v[2:3], v[2:3], v[80:81]
	s_waitcnt vmcnt(7) lgkmcnt(0)
	v_mul_f64 v[82:83], v[78:79], v[138:139]
	v_mul_f64 v[80:81], v[76:77], v[138:139]
	s_waitcnt vmcnt(5)
	v_fma_f64 v[72:73], v[72:73], v[92:93], -v[90:91]
	v_fma_f64 v[74:75], v[74:75], v[92:93], v[88:89]
	v_add_f64 v[68:69], v[84:85], v[68:69]
	v_add_f64 v[2:3], v[2:3], v[70:71]
	s_waitcnt vmcnt(4)
	v_fma_f64 v[70:71], v[76:77], v[153:154], -v[82:83]
	v_add_f64 v[68:69], v[68:69], v[72:73]
	v_fma_f64 v[72:73], v[78:79], v[153:154], v[80:81]
	v_add_f64 v[2:3], v[2:3], v[74:75]
	v_add_f64 v[68:69], v[68:69], v[70:71]
	;; [unrolled: 1-line block ×3, first 2 shown]
	s_waitcnt vmcnt(2)
	v_add_f64 v[68:69], v[96:97], -v[68:69]
	s_waitcnt vmcnt(0)
	v_add_f64 v[2:3], v[100:101], -v[2:3]
	buffer_store_dword v69, off, s[0:3], 0 offset:164
	buffer_store_dword v68, off, s[0:3], 0 offset:160
	;; [unrolled: 1-line block ×4, first 2 shown]
	v_cmpx_lt_u32_e32 8, v0
	s_cbranch_execz .LBB94_183
; %bb.182:
	v_mov_b32_e32 v2, s35
	s_clause 0x3
	buffer_load_dword v68, v2, s[0:3], 0 offen
	buffer_load_dword v69, v2, s[0:3], 0 offen offset:4
	buffer_load_dword v70, v2, s[0:3], 0 offen offset:8
	;; [unrolled: 1-line block ×3, first 2 shown]
	buffer_store_dword v1, off, s[0:3], 0 offset:144
	buffer_store_dword v1, off, s[0:3], 0 offset:148
	;; [unrolled: 1-line block ×4, first 2 shown]
	s_waitcnt vmcnt(0)
	ds_write_b128 v67, v[68:71]
.LBB94_183:
	s_or_b32 exec_lo, exec_lo, s4
	s_waitcnt lgkmcnt(0)
	s_waitcnt_vscnt null, 0x0
	s_barrier
	buffer_gl0_inv
	s_clause 0x37
	buffer_load_dword v2, off, s[0:3], 0 offset:168
	buffer_load_dword v3, off, s[0:3], 0 offset:172
	buffer_load_dword v80, off, s[0:3], 0 offset:184
	buffer_load_dword v81, off, s[0:3], 0 offset:188
	buffer_load_dword v82, off, s[0:3], 0 offset:160
	buffer_load_dword v83, off, s[0:3], 0 offset:164
	buffer_load_dword v84, off, s[0:3], 0 offset:200
	buffer_load_dword v85, off, s[0:3], 0 offset:204
	buffer_load_dword v86, off, s[0:3], 0 offset:176
	buffer_load_dword v87, off, s[0:3], 0 offset:180
	buffer_load_dword v89, off, s[0:3], 0 offset:220
	buffer_load_dword v90, off, s[0:3], 0 offset:232
	buffer_load_dword v92, off, s[0:3], 0 offset:224
	buffer_load_dword v88, off, s[0:3], 0 offset:216
	buffer_load_dword v94, off, s[0:3], 0 offset:192
	buffer_load_dword v95, off, s[0:3], 0 offset:196
	buffer_load_dword v91, off, s[0:3], 0 offset:236
	buffer_load_dword v97, off, s[0:3], 0 offset:212
	buffer_load_dword v96, off, s[0:3], 0 offset:208
	buffer_load_dword v99, off, s[0:3], 0 offset:252
	buffer_load_dword v100, off, s[0:3], 0 offset:264
	buffer_load_dword v102, off, s[0:3], 0 offset:256
	buffer_load_dword v98, off, s[0:3], 0 offset:248
	buffer_load_dword v93, off, s[0:3], 0 offset:228
	buffer_load_dword v101, off, s[0:3], 0 offset:268
	buffer_load_dword v105, off, s[0:3], 0 offset:244
	buffer_load_dword v104, off, s[0:3], 0 offset:240
	buffer_load_dword v107, off, s[0:3], 0 offset:284
	buffer_load_dword v108, off, s[0:3], 0 offset:296
	buffer_load_dword v110, off, s[0:3], 0 offset:288
	buffer_load_dword v106, off, s[0:3], 0 offset:280
	buffer_load_dword v103, off, s[0:3], 0 offset:260
	buffer_load_dword v109, off, s[0:3], 0 offset:300
	buffer_load_dword v113, off, s[0:3], 0 offset:276
	buffer_load_dword v112, off, s[0:3], 0 offset:272
	buffer_load_dword v115, off, s[0:3], 0 offset:316
	buffer_load_dword v116, off, s[0:3], 0 offset:328
	buffer_load_dword v118, off, s[0:3], 0 offset:320
	buffer_load_dword v114, off, s[0:3], 0 offset:312
	buffer_load_dword v111, off, s[0:3], 0 offset:292
	buffer_load_dword v117, off, s[0:3], 0 offset:332
	buffer_load_dword v121, off, s[0:3], 0 offset:308
	buffer_load_dword v120, off, s[0:3], 0 offset:304
	buffer_load_dword v123, off, s[0:3], 0 offset:348
	buffer_load_dword v124, off, s[0:3], 0 offset:360
	buffer_load_dword v126, off, s[0:3], 0 offset:352
	buffer_load_dword v122, off, s[0:3], 0 offset:344
	buffer_load_dword v119, off, s[0:3], 0 offset:324
	buffer_load_dword v125, off, s[0:3], 0 offset:364
	buffer_load_dword v129, off, s[0:3], 0 offset:340
	buffer_load_dword v128, off, s[0:3], 0 offset:336
	buffer_load_dword v131, off, s[0:3], 0 offset:380
	buffer_load_dword v132, off, s[0:3], 0 offset:392
	buffer_load_dword v134, off, s[0:3], 0 offset:384
	buffer_load_dword v130, off, s[0:3], 0 offset:376
	buffer_load_dword v127, off, s[0:3], 0 offset:356
	ds_read_b128 v[68:71], v1 offset:640
	s_clause 0x2
	buffer_load_dword v133, off, s[0:3], 0 offset:396
	buffer_load_dword v137, off, s[0:3], 0 offset:372
	;; [unrolled: 1-line block ×3, first 2 shown]
	ds_read_b128 v[72:75], v1 offset:656
	s_clause 0x4
	buffer_load_dword v141, off, s[0:3], 0 offset:412
	buffer_load_dword v142, off, s[0:3], 0 offset:424
	;; [unrolled: 1-line block ×5, first 2 shown]
	ds_read_b128 v[76:79], v1 offset:672
	s_mov_b32 s4, exec_lo
	s_waitcnt vmcnt(62) lgkmcnt(2)
	v_mul_f64 v[138:139], v[70:71], v[2:3]
	v_mul_f64 v[2:3], v[68:69], v[2:3]
	s_waitcnt vmcnt(60) lgkmcnt(1)
	v_mul_f64 v[145:146], v[74:75], v[80:81]
	v_mul_f64 v[80:81], v[72:73], v[80:81]
	;; [unrolled: 3-line block ×3, first 2 shown]
	v_fma_f64 v[138:139], v[68:69], v[82:83], -v[138:139]
	v_fma_f64 v[2:3], v[70:71], v[82:83], v[2:3]
	s_clause 0x2
	buffer_load_dword v143, off, s[0:3], 0 offset:428
	buffer_load_dword v83, off, s[0:3], 0 offset:404
	;; [unrolled: 1-line block ×3, first 2 shown]
	s_waitcnt vmcnt(57)
	v_fma_f64 v[149:150], v[72:73], v[86:87], -v[145:146]
	ds_read_b128 v[68:71], v1 offset:688
	v_fma_f64 v[80:81], v[74:75], v[86:87], v[80:81]
	s_clause 0x4
	buffer_load_dword v87, off, s[0:3], 0 offset:444
	buffer_load_dword v146, off, s[0:3], 0 offset:456
	;; [unrolled: 1-line block ×5, first 2 shown]
	s_waitcnt vmcnt(56)
	v_fma_f64 v[84:85], v[76:77], v[94:95], -v[84:85]
	ds_read_b128 v[72:75], v1 offset:704
	v_fma_f64 v[94:95], v[78:79], v[94:95], v[147:148]
	v_add_f64 v[138:139], v[138:139], 0
	v_add_f64 v[2:3], v[2:3], 0
	s_waitcnt lgkmcnt(1)
	v_mul_f64 v[152:153], v[68:69], v[88:89]
	v_mul_f64 v[88:89], v[70:71], v[88:89]
	v_add_f64 v[138:139], v[138:139], v[149:150]
	v_add_f64 v[2:3], v[2:3], v[80:81]
	s_clause 0x2
	buffer_load_dword v147, off, s[0:3], 0 offset:460
	buffer_load_dword v81, off, s[0:3], 0 offset:436
	;; [unrolled: 1-line block ×3, first 2 shown]
	s_waitcnt vmcnt(58) lgkmcnt(0)
	v_mul_f64 v[148:149], v[72:73], v[90:91]
	v_mul_f64 v[90:91], v[74:75], v[90:91]
	s_waitcnt vmcnt(56)
	v_fma_f64 v[88:89], v[68:69], v[96:97], -v[88:89]
	ds_read_b128 v[76:79], v1 offset:720
	v_fma_f64 v[96:97], v[70:71], v[96:97], v[152:153]
	v_add_f64 v[84:85], v[138:139], v[84:85]
	v_add_f64 v[2:3], v[2:3], v[94:95]
	s_clause 0x4
	buffer_load_dword v95, off, s[0:3], 0 offset:476
	buffer_load_dword v138, off, s[0:3], 0 offset:488
	;; [unrolled: 1-line block ×5, first 2 shown]
	ds_read_b128 v[68:71], v1 offset:736
	s_waitcnt vmcnt(57) lgkmcnt(1)
	v_mul_f64 v[154:155], v[76:77], v[98:99]
	v_mul_f64 v[98:99], v[78:79], v[98:99]
	s_waitcnt vmcnt(56)
	v_fma_f64 v[90:91], v[72:73], v[92:93], -v[90:91]
	v_add_f64 v[84:85], v[84:85], v[88:89]
	v_fma_f64 v[88:89], v[74:75], v[92:93], v[148:149]
	v_add_f64 v[2:3], v[2:3], v[96:97]
	s_clause 0x2
	buffer_load_dword v139, off, s[0:3], 0 offset:492
	buffer_load_dword v93, off, s[0:3], 0 offset:468
	;; [unrolled: 1-line block ×3, first 2 shown]
	s_waitcnt vmcnt(58) lgkmcnt(0)
	v_mul_f64 v[96:97], v[68:69], v[100:101]
	v_mul_f64 v[100:101], v[70:71], v[100:101]
	s_waitcnt vmcnt(56)
	v_fma_f64 v[98:99], v[76:77], v[104:105], -v[98:99]
	ds_read_b128 v[72:75], v1 offset:752
	v_add_f64 v[84:85], v[84:85], v[90:91]
	v_fma_f64 v[90:91], v[78:79], v[104:105], v[154:155]
	v_add_f64 v[2:3], v[2:3], v[88:89]
	s_clause 0x2
	buffer_load_dword v89, off, s[0:3], 0 offset:508
	buffer_load_dword v88, off, s[0:3], 0 offset:504
	;; [unrolled: 1-line block ×3, first 2 shown]
	ds_read_b128 v[76:79], v1 offset:768
	s_waitcnt vmcnt(55) lgkmcnt(1)
	v_mul_f64 v[104:105], v[72:73], v[106:107]
	v_mul_f64 v[106:107], v[74:75], v[106:107]
	s_waitcnt vmcnt(54)
	v_fma_f64 v[100:101], v[68:69], v[102:103], -v[100:101]
	v_fma_f64 v[96:97], v[70:71], v[102:103], v[96:97]
	v_add_f64 v[84:85], v[84:85], v[98:99]
	v_add_f64 v[2:3], v[2:3], v[90:91]
	s_clause 0x1
	buffer_load_dword v91, off, s[0:3], 0 offset:500
	buffer_load_dword v90, off, s[0:3], 0 offset:496
	s_waitcnt vmcnt(55) lgkmcnt(0)
	v_mul_f64 v[102:103], v[78:79], v[108:109]
	ds_read_b128 v[68:71], v1 offset:784
	s_waitcnt vmcnt(53)
	v_fma_f64 v[106:107], v[72:73], v[112:113], -v[106:107]
	v_mul_f64 v[98:99], v[76:77], v[108:109]
	v_add_f64 v[84:85], v[84:85], v[100:101]
	v_fma_f64 v[100:101], v[74:75], v[112:113], v[104:105]
	v_add_f64 v[2:3], v[2:3], v[96:97]
	ds_read_b128 v[72:75], v1 offset:800
	s_waitcnt vmcnt(49) lgkmcnt(1)
	v_mul_f64 v[104:105], v[70:71], v[114:115]
	s_waitcnt vmcnt(48)
	v_fma_f64 v[102:103], v[76:77], v[110:111], -v[102:103]
	v_mul_f64 v[96:97], v[68:69], v[114:115]
	v_fma_f64 v[98:99], v[78:79], v[110:111], v[98:99]
	v_add_f64 v[84:85], v[84:85], v[106:107]
	s_waitcnt vmcnt(47) lgkmcnt(0)
	v_mul_f64 v[110:111], v[74:75], v[116:117]
	v_add_f64 v[2:3], v[2:3], v[100:101]
	s_clause 0x3
	buffer_load_dword v100, off, s[0:3], 0 offset:144
	buffer_load_dword v101, off, s[0:3], 0 offset:148
	buffer_load_dword v106, off, s[0:3], 0 offset:152
	buffer_load_dword v107, off, s[0:3], 0 offset:156
	s_waitcnt vmcnt(49)
	v_fma_f64 v[104:105], v[68:69], v[120:121], -v[104:105]
	ds_read_b128 v[76:79], v1 offset:816
	v_mul_f64 v[108:109], v[72:73], v[116:117]
	v_fma_f64 v[96:97], v[70:71], v[120:121], v[96:97]
	ds_read_b128 v[68:71], v1 offset:832
	v_add_f64 v[84:85], v[84:85], v[102:103]
	s_waitcnt vmcnt(44)
	v_fma_f64 v[110:111], v[72:73], v[118:119], -v[110:111]
	v_add_f64 v[2:3], v[2:3], v[98:99]
	s_waitcnt lgkmcnt(1)
	v_mul_f64 v[102:103], v[78:79], v[122:123]
	v_mul_f64 v[98:99], v[76:77], v[122:123]
	v_add_f64 v[84:85], v[84:85], v[104:105]
	v_fma_f64 v[104:105], v[74:75], v[118:119], v[108:109]
	v_add_f64 v[2:3], v[2:3], v[96:97]
	s_waitcnt vmcnt(43) lgkmcnt(0)
	v_mul_f64 v[108:109], v[70:71], v[124:125]
	s_waitcnt vmcnt(41)
	v_fma_f64 v[102:103], v[76:77], v[128:129], -v[102:103]
	ds_read_b128 v[72:75], v1 offset:848
	v_mul_f64 v[96:97], v[68:69], v[124:125]
	v_fma_f64 v[98:99], v[78:79], v[128:129], v[98:99]
	ds_read_b128 v[76:79], v1 offset:864
	v_add_f64 v[84:85], v[84:85], v[110:111]
	v_add_f64 v[2:3], v[2:3], v[104:105]
	s_waitcnt vmcnt(37) lgkmcnt(1)
	v_mul_f64 v[110:111], v[74:75], v[130:131]
	s_waitcnt vmcnt(36)
	v_fma_f64 v[108:109], v[68:69], v[126:127], -v[108:109]
	v_mul_f64 v[104:105], v[72:73], v[130:131]
	v_fma_f64 v[96:97], v[70:71], v[126:127], v[96:97]
	ds_read_b128 v[68:71], v1 offset:880
	v_add_f64 v[84:85], v[84:85], v[102:103]
	s_waitcnt vmcnt(35) lgkmcnt(1)
	v_mul_f64 v[102:103], v[78:79], v[132:133]
	v_add_f64 v[2:3], v[2:3], v[98:99]
	s_waitcnt vmcnt(33)
	v_fma_f64 v[110:111], v[72:73], v[136:137], -v[110:111]
	v_mul_f64 v[98:99], v[76:77], v[132:133]
	v_fma_f64 v[104:105], v[74:75], v[136:137], v[104:105]
	ds_read_b128 v[72:75], v1 offset:896
	v_add_f64 v[84:85], v[84:85], v[108:109]
	s_waitcnt vmcnt(29) lgkmcnt(1)
	v_mul_f64 v[108:109], v[70:71], v[140:141]
	v_add_f64 v[2:3], v[2:3], v[96:97]
	s_waitcnt vmcnt(28)
	v_fma_f64 v[102:103], v[76:77], v[134:135], -v[102:103]
	v_mul_f64 v[96:97], v[68:69], v[140:141]
	v_fma_f64 v[98:99], v[78:79], v[134:135], v[98:99]
	ds_read_b128 v[76:79], v1 offset:912
	v_add_f64 v[84:85], v[84:85], v[110:111]
	v_add_f64 v[2:3], v[2:3], v[104:105]
	s_waitcnt vmcnt(27) lgkmcnt(1)
	v_mul_f64 v[110:111], v[74:75], v[142:143]
	v_mul_f64 v[104:105], v[72:73], v[142:143]
	s_waitcnt vmcnt(25)
	v_fma_f64 v[108:109], v[68:69], v[82:83], -v[108:109]
	v_fma_f64 v[82:83], v[70:71], v[82:83], v[96:97]
	ds_read_b128 v[68:71], v1 offset:928
	s_waitcnt vmcnt(21) lgkmcnt(1)
	v_mul_f64 v[96:97], v[76:77], v[86:87]
	v_mul_f64 v[86:87], v[78:79], v[86:87]
	v_add_f64 v[84:85], v[84:85], v[102:103]
	v_add_f64 v[2:3], v[2:3], v[98:99]
	s_waitcnt vmcnt(20)
	v_fma_f64 v[98:99], v[72:73], v[144:145], -v[110:111]
	v_fma_f64 v[102:103], v[74:75], v[144:145], v[104:105]
	ds_read_b128 v[72:75], v1 offset:944
	v_add_f64 v[84:85], v[84:85], v[108:109]
	v_add_f64 v[2:3], v[2:3], v[82:83]
	s_waitcnt vmcnt(19) lgkmcnt(1)
	v_mul_f64 v[104:105], v[70:71], v[146:147]
	v_mul_f64 v[82:83], v[68:69], v[146:147]
	s_waitcnt vmcnt(17)
	v_fma_f64 v[86:87], v[76:77], v[80:81], -v[86:87]
	v_fma_f64 v[80:81], v[78:79], v[80:81], v[96:97]
	ds_read_b128 v[76:79], v1 offset:960
	v_add_f64 v[84:85], v[84:85], v[98:99]
	v_add_f64 v[2:3], v[2:3], v[102:103]
	s_waitcnt vmcnt(13) lgkmcnt(1)
	v_mul_f64 v[96:97], v[72:73], v[94:95]
	v_mul_f64 v[94:95], v[74:75], v[94:95]
	s_waitcnt vmcnt(12)
	v_fma_f64 v[68:69], v[68:69], v[151:152], -v[104:105]
	v_fma_f64 v[70:71], v[70:71], v[151:152], v[82:83]
	v_add_f64 v[84:85], v[84:85], v[86:87]
	v_add_f64 v[80:81], v[2:3], v[80:81]
	ds_read_b128 v[1:4], v1 offset:976
	s_waitcnt vmcnt(11) lgkmcnt(1)
	v_mul_f64 v[86:87], v[78:79], v[138:139]
	v_mul_f64 v[82:83], v[76:77], v[138:139]
	s_waitcnt vmcnt(9)
	v_fma_f64 v[72:73], v[72:73], v[92:93], -v[94:95]
	v_fma_f64 v[74:75], v[74:75], v[92:93], v[96:97]
	v_add_f64 v[68:69], v[84:85], v[68:69]
	v_add_f64 v[70:71], v[80:81], v[70:71]
	s_waitcnt vmcnt(7) lgkmcnt(0)
	v_mul_f64 v[84:85], v[3:4], v[88:89]
	s_waitcnt vmcnt(6)
	v_fma_f64 v[76:77], v[76:77], v[153:154], -v[86:87]
	v_mul_f64 v[80:81], v[1:2], v[88:89]
	v_add_f64 v[68:69], v[68:69], v[72:73]
	v_fma_f64 v[72:73], v[78:79], v[153:154], v[82:83]
	v_add_f64 v[70:71], v[70:71], v[74:75]
	s_waitcnt vmcnt(4)
	v_fma_f64 v[1:2], v[1:2], v[90:91], -v[84:85]
	v_fma_f64 v[3:4], v[3:4], v[90:91], v[80:81]
	v_add_f64 v[68:69], v[68:69], v[76:77]
	v_add_f64 v[70:71], v[70:71], v[72:73]
	;; [unrolled: 1-line block ×4, first 2 shown]
	s_waitcnt vmcnt(2)
	v_add_f64 v[1:2], v[100:101], -v[1:2]
	s_waitcnt vmcnt(0)
	v_add_f64 v[3:4], v[106:107], -v[3:4]
	buffer_store_dword v2, off, s[0:3], 0 offset:148
	buffer_store_dword v1, off, s[0:3], 0 offset:144
	;; [unrolled: 1-line block ×4, first 2 shown]
	v_cmpx_lt_u32_e32 7, v0
	s_cbranch_execz .LBB94_185
; %bb.184:
	v_mov_b32_e32 v4, s36
	v_mov_b32_e32 v68, 0
	s_clause 0x3
	buffer_load_dword v1, v4, s[0:3], 0 offen
	buffer_load_dword v2, v4, s[0:3], 0 offen offset:4
	buffer_load_dword v3, v4, s[0:3], 0 offen offset:8
	;; [unrolled: 1-line block ×3, first 2 shown]
	buffer_store_dword v68, off, s[0:3], 0 offset:128
	buffer_store_dword v68, off, s[0:3], 0 offset:132
	;; [unrolled: 1-line block ×4, first 2 shown]
	s_waitcnt vmcnt(0)
	ds_write_b128 v67, v[1:4]
.LBB94_185:
	s_or_b32 exec_lo, exec_lo, s4
	s_waitcnt lgkmcnt(0)
	s_waitcnt_vscnt null, 0x0
	s_barrier
	buffer_gl0_inv
	s_clause 0x37
	buffer_load_dword v2, off, s[0:3], 0 offset:152
	buffer_load_dword v3, off, s[0:3], 0 offset:156
	;; [unrolled: 1-line block ×56, first 2 shown]
	v_mov_b32_e32 v1, 0
	s_mov_b32 s4, exec_lo
	ds_read_b128 v[68:71], v1 offset:624
	s_clause 0x2
	buffer_load_dword v133, off, s[0:3], 0 offset:380
	buffer_load_dword v137, off, s[0:3], 0 offset:356
	;; [unrolled: 1-line block ×3, first 2 shown]
	ds_read_b128 v[72:75], v1 offset:640
	s_clause 0x4
	buffer_load_dword v141, off, s[0:3], 0 offset:396
	buffer_load_dword v142, off, s[0:3], 0 offset:408
	;; [unrolled: 1-line block ×5, first 2 shown]
	ds_read_b128 v[76:79], v1 offset:656
	s_waitcnt vmcnt(62) lgkmcnt(2)
	v_mul_f64 v[138:139], v[70:71], v[2:3]
	v_mul_f64 v[2:3], v[68:69], v[2:3]
	s_waitcnt vmcnt(60) lgkmcnt(1)
	v_mul_f64 v[145:146], v[74:75], v[80:81]
	v_mul_f64 v[80:81], v[72:73], v[80:81]
	;; [unrolled: 3-line block ×3, first 2 shown]
	v_fma_f64 v[138:139], v[68:69], v[82:83], -v[138:139]
	v_fma_f64 v[2:3], v[70:71], v[82:83], v[2:3]
	s_clause 0x2
	buffer_load_dword v143, off, s[0:3], 0 offset:412
	buffer_load_dword v83, off, s[0:3], 0 offset:388
	;; [unrolled: 1-line block ×3, first 2 shown]
	s_waitcnt vmcnt(57)
	v_fma_f64 v[149:150], v[72:73], v[86:87], -v[145:146]
	ds_read_b128 v[68:71], v1 offset:672
	v_fma_f64 v[80:81], v[74:75], v[86:87], v[80:81]
	s_clause 0x4
	buffer_load_dword v87, off, s[0:3], 0 offset:428
	buffer_load_dword v146, off, s[0:3], 0 offset:440
	buffer_load_dword v151, off, s[0:3], 0 offset:432
	buffer_load_dword v86, off, s[0:3], 0 offset:424
	buffer_load_dword v145, off, s[0:3], 0 offset:404
	s_waitcnt vmcnt(56)
	v_fma_f64 v[84:85], v[76:77], v[94:95], -v[84:85]
	ds_read_b128 v[72:75], v1 offset:688
	v_fma_f64 v[94:95], v[78:79], v[94:95], v[147:148]
	v_add_f64 v[138:139], v[138:139], 0
	v_add_f64 v[2:3], v[2:3], 0
	s_waitcnt lgkmcnt(1)
	v_mul_f64 v[152:153], v[68:69], v[88:89]
	v_mul_f64 v[88:89], v[70:71], v[88:89]
	v_add_f64 v[138:139], v[138:139], v[149:150]
	v_add_f64 v[2:3], v[2:3], v[80:81]
	s_clause 0x2
	buffer_load_dword v147, off, s[0:3], 0 offset:444
	buffer_load_dword v81, off, s[0:3], 0 offset:420
	;; [unrolled: 1-line block ×3, first 2 shown]
	s_waitcnt vmcnt(58) lgkmcnt(0)
	v_mul_f64 v[148:149], v[72:73], v[90:91]
	v_mul_f64 v[90:91], v[74:75], v[90:91]
	s_waitcnt vmcnt(56)
	v_fma_f64 v[88:89], v[68:69], v[96:97], -v[88:89]
	ds_read_b128 v[76:79], v1 offset:704
	v_fma_f64 v[96:97], v[70:71], v[96:97], v[152:153]
	v_add_f64 v[84:85], v[138:139], v[84:85]
	v_add_f64 v[2:3], v[2:3], v[94:95]
	s_clause 0x4
	buffer_load_dword v95, off, s[0:3], 0 offset:460
	buffer_load_dword v138, off, s[0:3], 0 offset:472
	;; [unrolled: 1-line block ×5, first 2 shown]
	ds_read_b128 v[68:71], v1 offset:720
	s_waitcnt vmcnt(57) lgkmcnt(1)
	v_mul_f64 v[154:155], v[76:77], v[98:99]
	v_mul_f64 v[98:99], v[78:79], v[98:99]
	s_waitcnt vmcnt(56)
	v_fma_f64 v[90:91], v[72:73], v[92:93], -v[90:91]
	v_add_f64 v[84:85], v[84:85], v[88:89]
	v_fma_f64 v[88:89], v[74:75], v[92:93], v[148:149]
	v_add_f64 v[2:3], v[2:3], v[96:97]
	s_clause 0x2
	buffer_load_dword v139, off, s[0:3], 0 offset:476
	buffer_load_dword v93, off, s[0:3], 0 offset:452
	;; [unrolled: 1-line block ×3, first 2 shown]
	s_waitcnt vmcnt(58) lgkmcnt(0)
	v_mul_f64 v[96:97], v[68:69], v[100:101]
	v_mul_f64 v[100:101], v[70:71], v[100:101]
	s_waitcnt vmcnt(56)
	v_fma_f64 v[98:99], v[76:77], v[104:105], -v[98:99]
	ds_read_b128 v[72:75], v1 offset:736
	v_add_f64 v[84:85], v[84:85], v[90:91]
	v_fma_f64 v[90:91], v[78:79], v[104:105], v[154:155]
	v_add_f64 v[2:3], v[2:3], v[88:89]
	s_clause 0x4
	buffer_load_dword v89, off, s[0:3], 0 offset:492
	buffer_load_dword v104, off, s[0:3], 0 offset:504
	;; [unrolled: 1-line block ×5, first 2 shown]
	ds_read_b128 v[76:79], v1 offset:752
	s_waitcnt vmcnt(57) lgkmcnt(1)
	v_mul_f64 v[149:150], v[72:73], v[106:107]
	v_mul_f64 v[106:107], v[74:75], v[106:107]
	s_waitcnt vmcnt(56)
	v_fma_f64 v[100:101], v[68:69], v[102:103], -v[100:101]
	v_fma_f64 v[96:97], v[70:71], v[102:103], v[96:97]
	v_add_f64 v[84:85], v[84:85], v[98:99]
	v_add_f64 v[2:3], v[2:3], v[90:91]
	s_clause 0x2
	buffer_load_dword v105, off, s[0:3], 0 offset:508
	buffer_load_dword v91, off, s[0:3], 0 offset:484
	;; [unrolled: 1-line block ×3, first 2 shown]
	s_waitcnt vmcnt(58) lgkmcnt(0)
	v_mul_f64 v[102:103], v[78:79], v[108:109]
	ds_read_b128 v[68:71], v1 offset:768
	s_waitcnt vmcnt(56)
	v_fma_f64 v[106:107], v[72:73], v[112:113], -v[106:107]
	v_mul_f64 v[98:99], v[76:77], v[108:109]
	v_add_f64 v[84:85], v[84:85], v[100:101]
	v_fma_f64 v[100:101], v[74:75], v[112:113], v[149:150]
	v_add_f64 v[2:3], v[2:3], v[96:97]
	buffer_load_dword v149, off, s[0:3], 0 offset:500
	ds_read_b128 v[72:75], v1 offset:784
	s_waitcnt vmcnt(53) lgkmcnt(1)
	v_mul_f64 v[108:109], v[70:71], v[114:115]
	s_waitcnt vmcnt(52)
	v_fma_f64 v[102:103], v[76:77], v[110:111], -v[102:103]
	v_mul_f64 v[96:97], v[68:69], v[114:115]
	v_fma_f64 v[98:99], v[78:79], v[110:111], v[98:99]
	ds_read_b128 v[76:79], v1 offset:800
	v_add_f64 v[84:85], v[84:85], v[106:107]
	v_add_f64 v[2:3], v[2:3], v[100:101]
	s_waitcnt vmcnt(51) lgkmcnt(1)
	v_mul_f64 v[106:107], v[74:75], v[116:117]
	v_mul_f64 v[100:101], v[72:73], v[116:117]
	s_waitcnt vmcnt(49)
	v_fma_f64 v[108:109], v[68:69], v[120:121], -v[108:109]
	v_fma_f64 v[96:97], v[70:71], v[120:121], v[96:97]
	s_waitcnt vmcnt(45) lgkmcnt(0)
	v_mul_f64 v[112:113], v[78:79], v[122:123]
	v_mul_f64 v[110:111], v[76:77], v[122:123]
	v_add_f64 v[84:85], v[84:85], v[102:103]
	v_add_f64 v[2:3], v[2:3], v[98:99]
	s_clause 0x3
	buffer_load_dword v98, off, s[0:3], 0 offset:128
	buffer_load_dword v99, off, s[0:3], 0 offset:132
	;; [unrolled: 1-line block ×4, first 2 shown]
	s_waitcnt vmcnt(48)
	v_fma_f64 v[106:107], v[72:73], v[118:119], -v[106:107]
	ds_read_b128 v[68:71], v1 offset:816
	v_fma_f64 v[100:101], v[74:75], v[118:119], v[100:101]
	ds_read_b128 v[72:75], v1 offset:832
	s_waitcnt vmcnt(45)
	v_fma_f64 v[112:113], v[76:77], v[128:129], -v[112:113]
	v_add_f64 v[84:85], v[84:85], v[108:109]
	v_add_f64 v[2:3], v[2:3], v[96:97]
	s_waitcnt lgkmcnt(1)
	v_mul_f64 v[108:109], v[70:71], v[124:125]
	v_mul_f64 v[96:97], v[68:69], v[124:125]
	v_add_f64 v[84:85], v[84:85], v[106:107]
	v_fma_f64 v[106:107], v[78:79], v[128:129], v[110:111]
	v_add_f64 v[2:3], v[2:3], v[100:101]
	s_waitcnt vmcnt(41) lgkmcnt(0)
	v_mul_f64 v[110:111], v[74:75], v[130:131]
	s_waitcnt vmcnt(40)
	v_fma_f64 v[108:109], v[68:69], v[126:127], -v[108:109]
	ds_read_b128 v[76:79], v1 offset:848
	v_mul_f64 v[100:101], v[72:73], v[130:131]
	v_fma_f64 v[96:97], v[70:71], v[126:127], v[96:97]
	ds_read_b128 v[68:71], v1 offset:864
	v_add_f64 v[84:85], v[84:85], v[112:113]
	v_add_f64 v[2:3], v[2:3], v[106:107]
	s_waitcnt vmcnt(39) lgkmcnt(1)
	v_mul_f64 v[112:113], v[78:79], v[132:133]
	s_waitcnt vmcnt(37)
	v_fma_f64 v[110:111], v[72:73], v[136:137], -v[110:111]
	v_mul_f64 v[106:107], v[76:77], v[132:133]
	v_fma_f64 v[100:101], v[74:75], v[136:137], v[100:101]
	ds_read_b128 v[72:75], v1 offset:880
	v_add_f64 v[84:85], v[84:85], v[108:109]
	s_waitcnt vmcnt(33) lgkmcnt(1)
	v_mul_f64 v[108:109], v[70:71], v[140:141]
	v_add_f64 v[2:3], v[2:3], v[96:97]
	s_waitcnt vmcnt(32)
	v_fma_f64 v[112:113], v[76:77], v[134:135], -v[112:113]
	v_mul_f64 v[96:97], v[68:69], v[140:141]
	v_fma_f64 v[106:107], v[78:79], v[134:135], v[106:107]
	ds_read_b128 v[76:79], v1 offset:896
	v_add_f64 v[84:85], v[84:85], v[110:111]
	v_add_f64 v[2:3], v[2:3], v[100:101]
	s_waitcnt vmcnt(31) lgkmcnt(1)
	v_mul_f64 v[110:111], v[74:75], v[142:143]
	v_mul_f64 v[100:101], v[72:73], v[142:143]
	s_waitcnt vmcnt(29)
	v_fma_f64 v[108:109], v[68:69], v[82:83], -v[108:109]
	v_fma_f64 v[82:83], v[70:71], v[82:83], v[96:97]
	ds_read_b128 v[68:71], v1 offset:912
	s_waitcnt vmcnt(25) lgkmcnt(1)
	v_mul_f64 v[96:97], v[76:77], v[86:87]
	v_mul_f64 v[86:87], v[78:79], v[86:87]
	v_add_f64 v[84:85], v[84:85], v[112:113]
	v_add_f64 v[2:3], v[2:3], v[106:107]
	s_waitcnt vmcnt(24)
	v_fma_f64 v[106:107], v[72:73], v[144:145], -v[110:111]
	v_fma_f64 v[100:101], v[74:75], v[144:145], v[100:101]
	ds_read_b128 v[72:75], v1 offset:928
	v_add_f64 v[84:85], v[84:85], v[108:109]
	v_add_f64 v[2:3], v[2:3], v[82:83]
	s_waitcnt vmcnt(23) lgkmcnt(1)
	v_mul_f64 v[108:109], v[70:71], v[146:147]
	v_mul_f64 v[82:83], v[68:69], v[146:147]
	s_waitcnt vmcnt(21)
	v_fma_f64 v[86:87], v[76:77], v[80:81], -v[86:87]
	v_fma_f64 v[80:81], v[78:79], v[80:81], v[96:97]
	ds_read_b128 v[76:79], v1 offset:944
	v_add_f64 v[84:85], v[84:85], v[106:107]
	v_add_f64 v[2:3], v[2:3], v[100:101]
	s_waitcnt vmcnt(17) lgkmcnt(1)
	v_mul_f64 v[96:97], v[72:73], v[94:95]
	v_mul_f64 v[94:95], v[74:75], v[94:95]
	;; [unrolled: 9-line block ×4, first 2 shown]
	s_waitcnt vmcnt(8)
	v_fma_f64 v[76:77], v[76:77], v[153:154], -v[86:87]
	v_fma_f64 v[78:79], v[78:79], v[153:154], v[80:81]
	v_add_f64 v[84:85], v[84:85], v[94:95]
	v_add_f64 v[2:3], v[2:3], v[92:93]
	s_waitcnt vmcnt(7) lgkmcnt(0)
	v_mul_f64 v[86:87], v[74:75], v[104:105]
	v_mul_f64 v[80:81], v[72:73], v[104:105]
	s_waitcnt vmcnt(5)
	v_fma_f64 v[68:69], v[68:69], v[90:91], -v[88:89]
	v_fma_f64 v[70:71], v[70:71], v[90:91], v[82:83]
	v_add_f64 v[76:77], v[84:85], v[76:77]
	v_add_f64 v[2:3], v[2:3], v[78:79]
	s_waitcnt vmcnt(4)
	v_fma_f64 v[72:73], v[72:73], v[148:149], -v[86:87]
	v_fma_f64 v[74:75], v[74:75], v[148:149], v[80:81]
	v_add_f64 v[68:69], v[76:77], v[68:69]
	v_add_f64 v[2:3], v[2:3], v[70:71]
	;; [unrolled: 1-line block ×4, first 2 shown]
	s_waitcnt vmcnt(2)
	v_add_f64 v[68:69], v[98:99], -v[68:69]
	s_waitcnt vmcnt(0)
	v_add_f64 v[2:3], v[102:103], -v[2:3]
	buffer_store_dword v69, off, s[0:3], 0 offset:132
	buffer_store_dword v68, off, s[0:3], 0 offset:128
	;; [unrolled: 1-line block ×4, first 2 shown]
	v_cmpx_lt_u32_e32 6, v0
	s_cbranch_execz .LBB94_187
; %bb.186:
	v_mov_b32_e32 v2, s37
	s_clause 0x3
	buffer_load_dword v68, v2, s[0:3], 0 offen
	buffer_load_dword v69, v2, s[0:3], 0 offen offset:4
	buffer_load_dword v70, v2, s[0:3], 0 offen offset:8
	;; [unrolled: 1-line block ×3, first 2 shown]
	buffer_store_dword v1, off, s[0:3], 0 offset:112
	buffer_store_dword v1, off, s[0:3], 0 offset:116
	;; [unrolled: 1-line block ×4, first 2 shown]
	s_waitcnt vmcnt(0)
	ds_write_b128 v67, v[68:71]
.LBB94_187:
	s_or_b32 exec_lo, exec_lo, s4
	s_waitcnt lgkmcnt(0)
	s_waitcnt_vscnt null, 0x0
	s_barrier
	buffer_gl0_inv
	s_clause 0x37
	buffer_load_dword v2, off, s[0:3], 0 offset:136
	buffer_load_dword v3, off, s[0:3], 0 offset:140
	;; [unrolled: 1-line block ×56, first 2 shown]
	ds_read_b128 v[68:71], v1 offset:608
	s_clause 0x2
	buffer_load_dword v133, off, s[0:3], 0 offset:364
	buffer_load_dword v137, off, s[0:3], 0 offset:340
	;; [unrolled: 1-line block ×3, first 2 shown]
	ds_read_b128 v[72:75], v1 offset:624
	s_clause 0x4
	buffer_load_dword v141, off, s[0:3], 0 offset:380
	buffer_load_dword v142, off, s[0:3], 0 offset:392
	;; [unrolled: 1-line block ×5, first 2 shown]
	ds_read_b128 v[76:79], v1 offset:640
	s_mov_b32 s4, exec_lo
	s_waitcnt vmcnt(62) lgkmcnt(2)
	v_mul_f64 v[138:139], v[70:71], v[2:3]
	v_mul_f64 v[2:3], v[68:69], v[2:3]
	s_waitcnt vmcnt(60) lgkmcnt(1)
	v_mul_f64 v[145:146], v[74:75], v[80:81]
	v_mul_f64 v[80:81], v[72:73], v[80:81]
	s_waitcnt vmcnt(56) lgkmcnt(0)
	v_mul_f64 v[147:148], v[76:77], v[84:85]
	v_mul_f64 v[84:85], v[78:79], v[84:85]
	v_fma_f64 v[138:139], v[68:69], v[82:83], -v[138:139]
	v_fma_f64 v[2:3], v[70:71], v[82:83], v[2:3]
	s_clause 0x2
	buffer_load_dword v143, off, s[0:3], 0 offset:396
	buffer_load_dword v83, off, s[0:3], 0 offset:372
	buffer_load_dword v82, off, s[0:3], 0 offset:368
	s_waitcnt vmcnt(57)
	v_fma_f64 v[149:150], v[72:73], v[86:87], -v[145:146]
	ds_read_b128 v[68:71], v1 offset:656
	v_fma_f64 v[80:81], v[74:75], v[86:87], v[80:81]
	s_clause 0x4
	buffer_load_dword v87, off, s[0:3], 0 offset:412
	buffer_load_dword v146, off, s[0:3], 0 offset:424
	buffer_load_dword v151, off, s[0:3], 0 offset:416
	buffer_load_dword v86, off, s[0:3], 0 offset:408
	buffer_load_dword v145, off, s[0:3], 0 offset:388
	s_waitcnt vmcnt(56)
	v_fma_f64 v[84:85], v[76:77], v[94:95], -v[84:85]
	ds_read_b128 v[72:75], v1 offset:672
	v_fma_f64 v[94:95], v[78:79], v[94:95], v[147:148]
	v_add_f64 v[138:139], v[138:139], 0
	v_add_f64 v[2:3], v[2:3], 0
	s_waitcnt lgkmcnt(1)
	v_mul_f64 v[152:153], v[68:69], v[88:89]
	v_mul_f64 v[88:89], v[70:71], v[88:89]
	v_add_f64 v[138:139], v[138:139], v[149:150]
	v_add_f64 v[2:3], v[2:3], v[80:81]
	s_clause 0x2
	buffer_load_dword v147, off, s[0:3], 0 offset:428
	buffer_load_dword v81, off, s[0:3], 0 offset:404
	;; [unrolled: 1-line block ×3, first 2 shown]
	s_waitcnt vmcnt(58) lgkmcnt(0)
	v_mul_f64 v[148:149], v[72:73], v[90:91]
	v_mul_f64 v[90:91], v[74:75], v[90:91]
	s_waitcnt vmcnt(56)
	v_fma_f64 v[88:89], v[68:69], v[96:97], -v[88:89]
	ds_read_b128 v[76:79], v1 offset:688
	v_fma_f64 v[96:97], v[70:71], v[96:97], v[152:153]
	v_add_f64 v[84:85], v[138:139], v[84:85]
	v_add_f64 v[2:3], v[2:3], v[94:95]
	s_clause 0x4
	buffer_load_dword v95, off, s[0:3], 0 offset:444
	buffer_load_dword v138, off, s[0:3], 0 offset:456
	;; [unrolled: 1-line block ×5, first 2 shown]
	ds_read_b128 v[68:71], v1 offset:704
	s_waitcnt vmcnt(57) lgkmcnt(1)
	v_mul_f64 v[154:155], v[76:77], v[98:99]
	v_mul_f64 v[98:99], v[78:79], v[98:99]
	s_waitcnt vmcnt(56)
	v_fma_f64 v[90:91], v[72:73], v[92:93], -v[90:91]
	v_add_f64 v[84:85], v[84:85], v[88:89]
	v_fma_f64 v[88:89], v[74:75], v[92:93], v[148:149]
	v_add_f64 v[2:3], v[2:3], v[96:97]
	s_clause 0x2
	buffer_load_dword v139, off, s[0:3], 0 offset:460
	buffer_load_dword v93, off, s[0:3], 0 offset:436
	;; [unrolled: 1-line block ×3, first 2 shown]
	s_waitcnt vmcnt(58) lgkmcnt(0)
	v_mul_f64 v[96:97], v[68:69], v[100:101]
	v_mul_f64 v[100:101], v[70:71], v[100:101]
	s_waitcnt vmcnt(56)
	v_fma_f64 v[98:99], v[76:77], v[104:105], -v[98:99]
	ds_read_b128 v[72:75], v1 offset:720
	v_add_f64 v[84:85], v[84:85], v[90:91]
	v_fma_f64 v[90:91], v[78:79], v[104:105], v[154:155]
	v_add_f64 v[2:3], v[2:3], v[88:89]
	s_clause 0x4
	buffer_load_dword v89, off, s[0:3], 0 offset:476
	buffer_load_dword v104, off, s[0:3], 0 offset:488
	;; [unrolled: 1-line block ×5, first 2 shown]
	ds_read_b128 v[76:79], v1 offset:736
	s_waitcnt vmcnt(57) lgkmcnt(1)
	v_mul_f64 v[149:150], v[72:73], v[106:107]
	v_mul_f64 v[106:107], v[74:75], v[106:107]
	s_waitcnt vmcnt(56)
	v_fma_f64 v[100:101], v[68:69], v[102:103], -v[100:101]
	v_fma_f64 v[96:97], v[70:71], v[102:103], v[96:97]
	v_add_f64 v[84:85], v[84:85], v[98:99]
	v_add_f64 v[2:3], v[2:3], v[90:91]
	s_clause 0x2
	buffer_load_dword v105, off, s[0:3], 0 offset:492
	buffer_load_dword v91, off, s[0:3], 0 offset:468
	buffer_load_dword v90, off, s[0:3], 0 offset:464
	s_waitcnt vmcnt(58) lgkmcnt(0)
	v_mul_f64 v[102:103], v[78:79], v[108:109]
	ds_read_b128 v[68:71], v1 offset:752
	s_waitcnt vmcnt(56)
	v_fma_f64 v[106:107], v[72:73], v[112:113], -v[106:107]
	v_mul_f64 v[98:99], v[76:77], v[108:109]
	v_add_f64 v[84:85], v[84:85], v[100:101]
	v_fma_f64 v[100:101], v[74:75], v[112:113], v[149:150]
	v_add_f64 v[2:3], v[2:3], v[96:97]
	s_clause 0x2
	buffer_load_dword v97, off, s[0:3], 0 offset:508
	buffer_load_dword v96, off, s[0:3], 0 offset:504
	buffer_load_dword v149, off, s[0:3], 0 offset:484
	s_waitcnt vmcnt(55) lgkmcnt(0)
	v_mul_f64 v[112:113], v[70:71], v[114:115]
	s_waitcnt vmcnt(54)
	v_fma_f64 v[102:103], v[76:77], v[110:111], -v[102:103]
	ds_read_b128 v[72:75], v1 offset:768
	v_mul_f64 v[108:109], v[68:69], v[114:115]
	v_fma_f64 v[98:99], v[78:79], v[110:111], v[98:99]
	v_add_f64 v[84:85], v[84:85], v[106:107]
	v_add_f64 v[2:3], v[2:3], v[100:101]
	s_clause 0x1
	buffer_load_dword v101, off, s[0:3], 0 offset:500
	buffer_load_dword v100, off, s[0:3], 0 offset:496
	s_waitcnt vmcnt(55) lgkmcnt(0)
	v_mul_f64 v[110:111], v[74:75], v[116:117]
	s_waitcnt vmcnt(53)
	v_fma_f64 v[112:113], v[68:69], v[120:121], -v[112:113]
	ds_read_b128 v[76:79], v1 offset:784
	v_mul_f64 v[106:107], v[72:73], v[116:117]
	v_add_f64 v[84:85], v[84:85], v[102:103]
	v_fma_f64 v[102:103], v[70:71], v[120:121], v[108:109]
	v_add_f64 v[2:3], v[2:3], v[98:99]
	ds_read_b128 v[68:71], v1 offset:800
	s_waitcnt vmcnt(49) lgkmcnt(1)
	v_mul_f64 v[108:109], v[78:79], v[122:123]
	s_waitcnt vmcnt(48)
	v_fma_f64 v[110:111], v[72:73], v[118:119], -v[110:111]
	v_mul_f64 v[98:99], v[76:77], v[122:123]
	v_fma_f64 v[106:107], v[74:75], v[118:119], v[106:107]
	v_add_f64 v[84:85], v[84:85], v[112:113]
	s_waitcnt vmcnt(47) lgkmcnt(0)
	v_mul_f64 v[116:117], v[70:71], v[124:125]
	v_add_f64 v[2:3], v[2:3], v[102:103]
	s_clause 0x3
	buffer_load_dword v102, off, s[0:3], 0 offset:112
	buffer_load_dword v103, off, s[0:3], 0 offset:116
	;; [unrolled: 1-line block ×4, first 2 shown]
	s_waitcnt vmcnt(49)
	v_fma_f64 v[108:109], v[76:77], v[128:129], -v[108:109]
	ds_read_b128 v[72:75], v1 offset:816
	v_mul_f64 v[114:115], v[68:69], v[124:125]
	v_fma_f64 v[98:99], v[78:79], v[128:129], v[98:99]
	ds_read_b128 v[76:79], v1 offset:832
	v_add_f64 v[84:85], v[84:85], v[110:111]
	s_waitcnt vmcnt(44)
	v_fma_f64 v[116:117], v[68:69], v[126:127], -v[116:117]
	v_add_f64 v[2:3], v[2:3], v[106:107]
	s_waitcnt lgkmcnt(1)
	v_mul_f64 v[110:111], v[74:75], v[130:131]
	v_mul_f64 v[106:107], v[72:73], v[130:131]
	v_add_f64 v[84:85], v[84:85], v[108:109]
	v_fma_f64 v[108:109], v[70:71], v[126:127], v[114:115]
	v_add_f64 v[2:3], v[2:3], v[98:99]
	s_waitcnt vmcnt(43) lgkmcnt(0)
	v_mul_f64 v[114:115], v[78:79], v[132:133]
	s_waitcnt vmcnt(41)
	v_fma_f64 v[110:111], v[72:73], v[136:137], -v[110:111]
	ds_read_b128 v[68:71], v1 offset:848
	v_mul_f64 v[98:99], v[76:77], v[132:133]
	v_fma_f64 v[106:107], v[74:75], v[136:137], v[106:107]
	ds_read_b128 v[72:75], v1 offset:864
	v_add_f64 v[84:85], v[84:85], v[116:117]
	v_add_f64 v[2:3], v[2:3], v[108:109]
	s_waitcnt vmcnt(37) lgkmcnt(1)
	v_mul_f64 v[116:117], v[70:71], v[140:141]
	s_waitcnt vmcnt(36)
	v_fma_f64 v[114:115], v[76:77], v[134:135], -v[114:115]
	v_mul_f64 v[108:109], v[68:69], v[140:141]
	v_fma_f64 v[98:99], v[78:79], v[134:135], v[98:99]
	ds_read_b128 v[76:79], v1 offset:880
	v_add_f64 v[84:85], v[84:85], v[110:111]
	v_add_f64 v[2:3], v[2:3], v[106:107]
	s_waitcnt vmcnt(35) lgkmcnt(1)
	v_mul_f64 v[110:111], v[74:75], v[142:143]
	v_mul_f64 v[106:107], v[72:73], v[142:143]
	s_waitcnt vmcnt(33)
	v_fma_f64 v[116:117], v[68:69], v[82:83], -v[116:117]
	v_fma_f64 v[82:83], v[70:71], v[82:83], v[108:109]
	ds_read_b128 v[68:71], v1 offset:896
	v_add_f64 v[84:85], v[84:85], v[114:115]
	v_add_f64 v[2:3], v[2:3], v[98:99]
	s_waitcnt vmcnt(29) lgkmcnt(1)
	v_mul_f64 v[98:99], v[76:77], v[86:87]
	v_mul_f64 v[86:87], v[78:79], v[86:87]
	s_waitcnt vmcnt(28)
	v_fma_f64 v[108:109], v[72:73], v[144:145], -v[110:111]
	;; [unrolled: 9-line block ×6, first 2 shown]
	v_fma_f64 v[78:79], v[78:79], v[153:154], v[80:81]
	v_add_f64 v[84:85], v[84:85], v[94:95]
	v_add_f64 v[80:81], v[2:3], v[92:93]
	ds_read_b128 v[1:4], v1 offset:976
	s_waitcnt vmcnt(11) lgkmcnt(1)
	v_mul_f64 v[92:93], v[74:75], v[104:105]
	v_mul_f64 v[86:87], v[72:73], v[104:105]
	s_waitcnt vmcnt(9)
	v_fma_f64 v[68:69], v[68:69], v[90:91], -v[88:89]
	v_fma_f64 v[70:71], v[70:71], v[90:91], v[82:83]
	v_add_f64 v[76:77], v[84:85], v[76:77]
	v_add_f64 v[78:79], v[80:81], v[78:79]
	s_waitcnt vmcnt(7) lgkmcnt(0)
	v_mul_f64 v[82:83], v[3:4], v[96:97]
	s_waitcnt vmcnt(6)
	v_fma_f64 v[72:73], v[72:73], v[148:149], -v[92:93]
	v_mul_f64 v[80:81], v[1:2], v[96:97]
	v_fma_f64 v[74:75], v[74:75], v[148:149], v[86:87]
	v_add_f64 v[68:69], v[76:77], v[68:69]
	v_add_f64 v[70:71], v[78:79], v[70:71]
	s_waitcnt vmcnt(4)
	v_fma_f64 v[1:2], v[1:2], v[100:101], -v[82:83]
	v_fma_f64 v[3:4], v[3:4], v[100:101], v[80:81]
	v_add_f64 v[68:69], v[68:69], v[72:73]
	v_add_f64 v[70:71], v[70:71], v[74:75]
	;; [unrolled: 1-line block ×4, first 2 shown]
	s_waitcnt vmcnt(2)
	v_add_f64 v[1:2], v[102:103], -v[1:2]
	s_waitcnt vmcnt(0)
	v_add_f64 v[3:4], v[112:113], -v[3:4]
	buffer_store_dword v2, off, s[0:3], 0 offset:116
	buffer_store_dword v1, off, s[0:3], 0 offset:112
	;; [unrolled: 1-line block ×4, first 2 shown]
	v_cmpx_lt_u32_e32 5, v0
	s_cbranch_execz .LBB94_189
; %bb.188:
	v_mov_b32_e32 v4, s38
	v_mov_b32_e32 v68, 0
	s_clause 0x3
	buffer_load_dword v1, v4, s[0:3], 0 offen
	buffer_load_dword v2, v4, s[0:3], 0 offen offset:4
	buffer_load_dword v3, v4, s[0:3], 0 offen offset:8
	;; [unrolled: 1-line block ×3, first 2 shown]
	buffer_store_dword v68, off, s[0:3], 0 offset:96
	buffer_store_dword v68, off, s[0:3], 0 offset:100
	buffer_store_dword v68, off, s[0:3], 0 offset:104
	buffer_store_dword v68, off, s[0:3], 0 offset:108
	s_waitcnt vmcnt(0)
	ds_write_b128 v67, v[1:4]
.LBB94_189:
	s_or_b32 exec_lo, exec_lo, s4
	s_waitcnt lgkmcnt(0)
	s_waitcnt_vscnt null, 0x0
	s_barrier
	buffer_gl0_inv
	s_clause 0x37
	buffer_load_dword v2, off, s[0:3], 0 offset:120
	buffer_load_dword v3, off, s[0:3], 0 offset:124
	;; [unrolled: 1-line block ×56, first 2 shown]
	v_mov_b32_e32 v1, 0
	s_mov_b32 s4, exec_lo
	ds_read_b128 v[68:71], v1 offset:592
	s_clause 0x2
	buffer_load_dword v133, off, s[0:3], 0 offset:348
	buffer_load_dword v137, off, s[0:3], 0 offset:324
	;; [unrolled: 1-line block ×3, first 2 shown]
	ds_read_b128 v[72:75], v1 offset:608
	s_clause 0x4
	buffer_load_dword v141, off, s[0:3], 0 offset:364
	buffer_load_dword v142, off, s[0:3], 0 offset:376
	;; [unrolled: 1-line block ×5, first 2 shown]
	ds_read_b128 v[76:79], v1 offset:624
	s_waitcnt vmcnt(62) lgkmcnt(2)
	v_mul_f64 v[138:139], v[70:71], v[2:3]
	v_mul_f64 v[2:3], v[68:69], v[2:3]
	s_waitcnt vmcnt(60) lgkmcnt(1)
	v_mul_f64 v[145:146], v[74:75], v[80:81]
	v_mul_f64 v[80:81], v[72:73], v[80:81]
	;; [unrolled: 3-line block ×3, first 2 shown]
	v_fma_f64 v[138:139], v[68:69], v[82:83], -v[138:139]
	v_fma_f64 v[2:3], v[70:71], v[82:83], v[2:3]
	s_clause 0x2
	buffer_load_dword v143, off, s[0:3], 0 offset:380
	buffer_load_dword v83, off, s[0:3], 0 offset:356
	;; [unrolled: 1-line block ×3, first 2 shown]
	s_waitcnt vmcnt(57)
	v_fma_f64 v[149:150], v[72:73], v[86:87], -v[145:146]
	ds_read_b128 v[68:71], v1 offset:640
	v_fma_f64 v[80:81], v[74:75], v[86:87], v[80:81]
	s_clause 0x4
	buffer_load_dword v87, off, s[0:3], 0 offset:396
	buffer_load_dword v146, off, s[0:3], 0 offset:408
	buffer_load_dword v151, off, s[0:3], 0 offset:400
	buffer_load_dword v86, off, s[0:3], 0 offset:392
	buffer_load_dword v145, off, s[0:3], 0 offset:372
	s_waitcnt vmcnt(56)
	v_fma_f64 v[84:85], v[76:77], v[94:95], -v[84:85]
	ds_read_b128 v[72:75], v1 offset:656
	v_fma_f64 v[94:95], v[78:79], v[94:95], v[147:148]
	v_add_f64 v[138:139], v[138:139], 0
	v_add_f64 v[2:3], v[2:3], 0
	s_waitcnt lgkmcnt(1)
	v_mul_f64 v[152:153], v[68:69], v[88:89]
	v_mul_f64 v[88:89], v[70:71], v[88:89]
	v_add_f64 v[138:139], v[138:139], v[149:150]
	v_add_f64 v[2:3], v[2:3], v[80:81]
	s_clause 0x2
	buffer_load_dword v147, off, s[0:3], 0 offset:412
	buffer_load_dword v81, off, s[0:3], 0 offset:388
	;; [unrolled: 1-line block ×3, first 2 shown]
	s_waitcnt vmcnt(58) lgkmcnt(0)
	v_mul_f64 v[148:149], v[72:73], v[90:91]
	v_mul_f64 v[90:91], v[74:75], v[90:91]
	s_waitcnt vmcnt(56)
	v_fma_f64 v[88:89], v[68:69], v[96:97], -v[88:89]
	ds_read_b128 v[76:79], v1 offset:672
	v_fma_f64 v[96:97], v[70:71], v[96:97], v[152:153]
	v_add_f64 v[84:85], v[138:139], v[84:85]
	v_add_f64 v[2:3], v[2:3], v[94:95]
	s_clause 0x4
	buffer_load_dword v95, off, s[0:3], 0 offset:428
	buffer_load_dword v138, off, s[0:3], 0 offset:440
	;; [unrolled: 1-line block ×5, first 2 shown]
	ds_read_b128 v[68:71], v1 offset:688
	s_waitcnt vmcnt(57) lgkmcnt(1)
	v_mul_f64 v[154:155], v[76:77], v[98:99]
	v_mul_f64 v[98:99], v[78:79], v[98:99]
	s_waitcnt vmcnt(56)
	v_fma_f64 v[90:91], v[72:73], v[92:93], -v[90:91]
	v_add_f64 v[84:85], v[84:85], v[88:89]
	v_fma_f64 v[88:89], v[74:75], v[92:93], v[148:149]
	v_add_f64 v[2:3], v[2:3], v[96:97]
	s_clause 0x2
	buffer_load_dword v139, off, s[0:3], 0 offset:444
	buffer_load_dword v93, off, s[0:3], 0 offset:420
	buffer_load_dword v92, off, s[0:3], 0 offset:416
	s_waitcnt vmcnt(58) lgkmcnt(0)
	v_mul_f64 v[96:97], v[68:69], v[100:101]
	v_mul_f64 v[100:101], v[70:71], v[100:101]
	s_waitcnt vmcnt(56)
	v_fma_f64 v[98:99], v[76:77], v[104:105], -v[98:99]
	ds_read_b128 v[72:75], v1 offset:704
	v_add_f64 v[84:85], v[84:85], v[90:91]
	v_fma_f64 v[90:91], v[78:79], v[104:105], v[154:155]
	v_add_f64 v[2:3], v[2:3], v[88:89]
	s_clause 0x4
	buffer_load_dword v89, off, s[0:3], 0 offset:460
	buffer_load_dword v104, off, s[0:3], 0 offset:472
	;; [unrolled: 1-line block ×5, first 2 shown]
	ds_read_b128 v[76:79], v1 offset:720
	s_waitcnt vmcnt(57) lgkmcnt(1)
	v_mul_f64 v[149:150], v[72:73], v[106:107]
	v_mul_f64 v[106:107], v[74:75], v[106:107]
	s_waitcnt vmcnt(56)
	v_fma_f64 v[100:101], v[68:69], v[102:103], -v[100:101]
	v_fma_f64 v[96:97], v[70:71], v[102:103], v[96:97]
	v_add_f64 v[84:85], v[84:85], v[98:99]
	v_add_f64 v[2:3], v[2:3], v[90:91]
	s_clause 0x2
	buffer_load_dword v105, off, s[0:3], 0 offset:476
	buffer_load_dword v91, off, s[0:3], 0 offset:452
	buffer_load_dword v90, off, s[0:3], 0 offset:448
	s_waitcnt vmcnt(58) lgkmcnt(0)
	v_mul_f64 v[102:103], v[78:79], v[108:109]
	ds_read_b128 v[68:71], v1 offset:736
	s_waitcnt vmcnt(56)
	v_fma_f64 v[106:107], v[72:73], v[112:113], -v[106:107]
	v_mul_f64 v[98:99], v[76:77], v[108:109]
	v_add_f64 v[84:85], v[84:85], v[100:101]
	v_fma_f64 v[100:101], v[74:75], v[112:113], v[149:150]
	v_add_f64 v[2:3], v[2:3], v[96:97]
	s_clause 0x4
	buffer_load_dword v97, off, s[0:3], 0 offset:492
	buffer_load_dword v108, off, s[0:3], 0 offset:504
	;; [unrolled: 1-line block ×5, first 2 shown]
	s_waitcnt vmcnt(57) lgkmcnt(0)
	v_mul_f64 v[155:156], v[68:69], v[114:115]
	v_mul_f64 v[113:114], v[70:71], v[114:115]
	s_waitcnt vmcnt(56)
	v_fma_f64 v[102:103], v[76:77], v[110:111], -v[102:103]
	ds_read_b128 v[72:75], v1 offset:752
	v_fma_f64 v[98:99], v[78:79], v[110:111], v[98:99]
	v_add_f64 v[84:85], v[84:85], v[106:107]
	v_add_f64 v[2:3], v[2:3], v[100:101]
	s_clause 0x2
	buffer_load_dword v109, off, s[0:3], 0 offset:508
	buffer_load_dword v101, off, s[0:3], 0 offset:484
	;; [unrolled: 1-line block ×3, first 2 shown]
	ds_read_b128 v[76:79], v1 offset:768
	s_waitcnt vmcnt(58) lgkmcnt(1)
	v_mul_f64 v[110:111], v[74:75], v[116:117]
	s_waitcnt vmcnt(56)
	v_fma_f64 v[114:115], v[68:69], v[120:121], -v[113:114]
	v_mul_f64 v[106:107], v[72:73], v[116:117]
	buffer_load_dword v113, off, s[0:3], 0 offset:500
	v_add_f64 v[84:85], v[84:85], v[102:103]
	v_fma_f64 v[102:103], v[70:71], v[120:121], v[155:156]
	v_add_f64 v[2:3], v[2:3], v[98:99]
	ds_read_b128 v[68:71], v1 offset:784
	s_waitcnt vmcnt(53) lgkmcnt(1)
	v_mul_f64 v[116:117], v[78:79], v[122:123]
	s_waitcnt vmcnt(52)
	v_fma_f64 v[110:111], v[72:73], v[118:119], -v[110:111]
	v_mul_f64 v[98:99], v[76:77], v[122:123]
	v_fma_f64 v[106:107], v[74:75], v[118:119], v[106:107]
	ds_read_b128 v[72:75], v1 offset:800
	v_add_f64 v[84:85], v[84:85], v[114:115]
	s_waitcnt vmcnt(51) lgkmcnt(1)
	v_mul_f64 v[114:115], v[70:71], v[124:125]
	v_add_f64 v[2:3], v[2:3], v[102:103]
	v_mul_f64 v[102:103], v[68:69], v[124:125]
	s_waitcnt vmcnt(49)
	v_fma_f64 v[116:117], v[76:77], v[128:129], -v[116:117]
	v_fma_f64 v[98:99], v[78:79], v[128:129], v[98:99]
	s_waitcnt vmcnt(45) lgkmcnt(0)
	v_mul_f64 v[120:121], v[74:75], v[130:131]
	v_mul_f64 v[118:119], v[72:73], v[130:131]
	v_add_f64 v[84:85], v[84:85], v[110:111]
	s_waitcnt vmcnt(44)
	v_fma_f64 v[114:115], v[68:69], v[126:127], -v[114:115]
	v_add_f64 v[2:3], v[2:3], v[106:107]
	s_clause 0x3
	buffer_load_dword v106, off, s[0:3], 0 offset:96
	buffer_load_dword v107, off, s[0:3], 0 offset:100
	;; [unrolled: 1-line block ×4, first 2 shown]
	ds_read_b128 v[76:79], v1 offset:816
	v_fma_f64 v[102:103], v[70:71], v[126:127], v[102:103]
	ds_read_b128 v[68:71], v1 offset:832
	s_waitcnt vmcnt(45)
	v_fma_f64 v[120:121], v[72:73], v[136:137], -v[120:121]
	v_add_f64 v[84:85], v[84:85], v[116:117]
	v_add_f64 v[2:3], v[2:3], v[98:99]
	s_waitcnt lgkmcnt(1)
	v_mul_f64 v[116:117], v[78:79], v[132:133]
	v_mul_f64 v[98:99], v[76:77], v[132:133]
	v_add_f64 v[84:85], v[84:85], v[114:115]
	v_fma_f64 v[114:115], v[74:75], v[136:137], v[118:119]
	v_add_f64 v[2:3], v[2:3], v[102:103]
	s_waitcnt vmcnt(41) lgkmcnt(0)
	v_mul_f64 v[118:119], v[70:71], v[140:141]
	s_waitcnt vmcnt(40)
	v_fma_f64 v[116:117], v[76:77], v[134:135], -v[116:117]
	ds_read_b128 v[72:75], v1 offset:848
	v_mul_f64 v[102:103], v[68:69], v[140:141]
	v_fma_f64 v[98:99], v[78:79], v[134:135], v[98:99]
	ds_read_b128 v[76:79], v1 offset:864
	v_add_f64 v[84:85], v[84:85], v[120:121]
	v_add_f64 v[2:3], v[2:3], v[114:115]
	s_waitcnt vmcnt(39) lgkmcnt(1)
	v_mul_f64 v[120:121], v[74:75], v[142:143]
	v_mul_f64 v[114:115], v[72:73], v[142:143]
	s_waitcnt vmcnt(37)
	v_fma_f64 v[118:119], v[68:69], v[82:83], -v[118:119]
	v_fma_f64 v[82:83], v[70:71], v[82:83], v[102:103]
	ds_read_b128 v[68:71], v1 offset:880
	v_add_f64 v[84:85], v[84:85], v[116:117]
	v_add_f64 v[2:3], v[2:3], v[98:99]
	s_waitcnt vmcnt(33) lgkmcnt(1)
	v_mul_f64 v[98:99], v[76:77], v[86:87]
	v_mul_f64 v[86:87], v[78:79], v[86:87]
	s_waitcnt vmcnt(32)
	v_fma_f64 v[102:103], v[72:73], v[144:145], -v[120:121]
	;; [unrolled: 9-line block ×7, first 2 shown]
	v_fma_f64 v[82:83], v[70:71], v[90:91], v[82:83]
	ds_read_b128 v[68:71], v1 offset:976
	v_add_f64 v[84:85], v[84:85], v[86:87]
	v_add_f64 v[2:3], v[2:3], v[80:81]
	s_waitcnt vmcnt(9) lgkmcnt(1)
	v_mul_f64 v[86:87], v[78:79], v[96:97]
	s_waitcnt vmcnt(8)
	v_fma_f64 v[72:73], v[72:73], v[148:149], -v[94:95]
	v_mul_f64 v[80:81], v[76:77], v[96:97]
	v_fma_f64 v[74:75], v[74:75], v[148:149], v[92:93]
	v_add_f64 v[84:85], v[84:85], v[88:89]
	v_add_f64 v[2:3], v[2:3], v[82:83]
	s_waitcnt vmcnt(7) lgkmcnt(0)
	v_mul_f64 v[88:89], v[70:71], v[108:109]
	v_mul_f64 v[82:83], v[68:69], v[108:109]
	s_waitcnt vmcnt(5)
	v_fma_f64 v[76:77], v[76:77], v[100:101], -v[86:87]
	v_fma_f64 v[78:79], v[78:79], v[100:101], v[80:81]
	v_add_f64 v[72:73], v[84:85], v[72:73]
	v_add_f64 v[2:3], v[2:3], v[74:75]
	s_waitcnt vmcnt(4)
	v_fma_f64 v[68:69], v[68:69], v[112:113], -v[88:89]
	v_fma_f64 v[70:71], v[70:71], v[112:113], v[82:83]
	v_add_f64 v[72:73], v[72:73], v[76:77]
	v_add_f64 v[2:3], v[2:3], v[78:79]
	;; [unrolled: 1-line block ×4, first 2 shown]
	s_waitcnt vmcnt(2)
	v_add_f64 v[68:69], v[106:107], -v[68:69]
	s_waitcnt vmcnt(0)
	v_add_f64 v[2:3], v[110:111], -v[2:3]
	buffer_store_dword v69, off, s[0:3], 0 offset:100
	buffer_store_dword v68, off, s[0:3], 0 offset:96
	;; [unrolled: 1-line block ×4, first 2 shown]
	v_cmpx_lt_u32_e32 4, v0
	s_cbranch_execz .LBB94_191
; %bb.190:
	v_mov_b32_e32 v2, s39
	s_clause 0x3
	buffer_load_dword v68, v2, s[0:3], 0 offen
	buffer_load_dword v69, v2, s[0:3], 0 offen offset:4
	buffer_load_dword v70, v2, s[0:3], 0 offen offset:8
	;; [unrolled: 1-line block ×3, first 2 shown]
	buffer_store_dword v1, off, s[0:3], 0 offset:80
	buffer_store_dword v1, off, s[0:3], 0 offset:84
	buffer_store_dword v1, off, s[0:3], 0 offset:88
	buffer_store_dword v1, off, s[0:3], 0 offset:92
	s_waitcnt vmcnt(0)
	ds_write_b128 v67, v[68:71]
.LBB94_191:
	s_or_b32 exec_lo, exec_lo, s4
	s_waitcnt lgkmcnt(0)
	s_waitcnt_vscnt null, 0x0
	s_barrier
	buffer_gl0_inv
	s_clause 0x37
	buffer_load_dword v2, off, s[0:3], 0 offset:104
	buffer_load_dword v3, off, s[0:3], 0 offset:108
	;; [unrolled: 1-line block ×56, first 2 shown]
	ds_read_b128 v[68:71], v1 offset:576
	s_clause 0x2
	buffer_load_dword v133, off, s[0:3], 0 offset:332
	buffer_load_dword v137, off, s[0:3], 0 offset:308
	;; [unrolled: 1-line block ×3, first 2 shown]
	ds_read_b128 v[72:75], v1 offset:592
	s_clause 0x4
	buffer_load_dword v141, off, s[0:3], 0 offset:348
	buffer_load_dword v142, off, s[0:3], 0 offset:360
	;; [unrolled: 1-line block ×5, first 2 shown]
	ds_read_b128 v[76:79], v1 offset:608
	s_mov_b32 s4, exec_lo
	s_waitcnt vmcnt(62) lgkmcnt(2)
	v_mul_f64 v[138:139], v[70:71], v[2:3]
	v_mul_f64 v[2:3], v[68:69], v[2:3]
	s_waitcnt vmcnt(60) lgkmcnt(1)
	v_mul_f64 v[145:146], v[74:75], v[80:81]
	v_mul_f64 v[80:81], v[72:73], v[80:81]
	;; [unrolled: 3-line block ×3, first 2 shown]
	v_fma_f64 v[138:139], v[68:69], v[82:83], -v[138:139]
	v_fma_f64 v[2:3], v[70:71], v[82:83], v[2:3]
	s_clause 0x2
	buffer_load_dword v143, off, s[0:3], 0 offset:364
	buffer_load_dword v83, off, s[0:3], 0 offset:340
	;; [unrolled: 1-line block ×3, first 2 shown]
	s_waitcnt vmcnt(57)
	v_fma_f64 v[149:150], v[72:73], v[86:87], -v[145:146]
	ds_read_b128 v[68:71], v1 offset:624
	v_fma_f64 v[80:81], v[74:75], v[86:87], v[80:81]
	s_clause 0x4
	buffer_load_dword v87, off, s[0:3], 0 offset:380
	buffer_load_dword v146, off, s[0:3], 0 offset:392
	;; [unrolled: 1-line block ×5, first 2 shown]
	s_waitcnt vmcnt(56)
	v_fma_f64 v[84:85], v[76:77], v[94:95], -v[84:85]
	ds_read_b128 v[72:75], v1 offset:640
	v_fma_f64 v[94:95], v[78:79], v[94:95], v[147:148]
	v_add_f64 v[138:139], v[138:139], 0
	v_add_f64 v[2:3], v[2:3], 0
	s_waitcnt lgkmcnt(1)
	v_mul_f64 v[152:153], v[68:69], v[88:89]
	v_mul_f64 v[88:89], v[70:71], v[88:89]
	v_add_f64 v[138:139], v[138:139], v[149:150]
	v_add_f64 v[2:3], v[2:3], v[80:81]
	s_clause 0x2
	buffer_load_dword v147, off, s[0:3], 0 offset:396
	buffer_load_dword v81, off, s[0:3], 0 offset:372
	;; [unrolled: 1-line block ×3, first 2 shown]
	s_waitcnt vmcnt(58) lgkmcnt(0)
	v_mul_f64 v[148:149], v[72:73], v[90:91]
	v_mul_f64 v[90:91], v[74:75], v[90:91]
	s_waitcnt vmcnt(56)
	v_fma_f64 v[88:89], v[68:69], v[96:97], -v[88:89]
	ds_read_b128 v[76:79], v1 offset:656
	v_fma_f64 v[96:97], v[70:71], v[96:97], v[152:153]
	v_add_f64 v[84:85], v[138:139], v[84:85]
	v_add_f64 v[2:3], v[2:3], v[94:95]
	s_clause 0x4
	buffer_load_dword v95, off, s[0:3], 0 offset:412
	buffer_load_dword v138, off, s[0:3], 0 offset:424
	;; [unrolled: 1-line block ×5, first 2 shown]
	ds_read_b128 v[68:71], v1 offset:672
	s_waitcnt vmcnt(57) lgkmcnt(1)
	v_mul_f64 v[154:155], v[76:77], v[98:99]
	v_mul_f64 v[98:99], v[78:79], v[98:99]
	s_waitcnt vmcnt(56)
	v_fma_f64 v[90:91], v[72:73], v[92:93], -v[90:91]
	v_add_f64 v[84:85], v[84:85], v[88:89]
	v_fma_f64 v[88:89], v[74:75], v[92:93], v[148:149]
	v_add_f64 v[2:3], v[2:3], v[96:97]
	s_clause 0x2
	buffer_load_dword v139, off, s[0:3], 0 offset:428
	buffer_load_dword v93, off, s[0:3], 0 offset:404
	;; [unrolled: 1-line block ×3, first 2 shown]
	s_waitcnt vmcnt(58) lgkmcnt(0)
	v_mul_f64 v[96:97], v[68:69], v[100:101]
	v_mul_f64 v[100:101], v[70:71], v[100:101]
	s_waitcnt vmcnt(56)
	v_fma_f64 v[98:99], v[76:77], v[104:105], -v[98:99]
	ds_read_b128 v[72:75], v1 offset:688
	v_add_f64 v[84:85], v[84:85], v[90:91]
	v_fma_f64 v[90:91], v[78:79], v[104:105], v[154:155]
	v_add_f64 v[2:3], v[2:3], v[88:89]
	s_clause 0x4
	buffer_load_dword v89, off, s[0:3], 0 offset:444
	buffer_load_dword v104, off, s[0:3], 0 offset:456
	;; [unrolled: 1-line block ×5, first 2 shown]
	ds_read_b128 v[76:79], v1 offset:704
	s_waitcnt vmcnt(57) lgkmcnt(1)
	v_mul_f64 v[149:150], v[72:73], v[106:107]
	v_mul_f64 v[106:107], v[74:75], v[106:107]
	s_waitcnt vmcnt(56)
	v_fma_f64 v[100:101], v[68:69], v[102:103], -v[100:101]
	v_fma_f64 v[96:97], v[70:71], v[102:103], v[96:97]
	v_add_f64 v[84:85], v[84:85], v[98:99]
	v_add_f64 v[2:3], v[2:3], v[90:91]
	s_clause 0x2
	buffer_load_dword v105, off, s[0:3], 0 offset:460
	buffer_load_dword v91, off, s[0:3], 0 offset:436
	;; [unrolled: 1-line block ×3, first 2 shown]
	s_waitcnt vmcnt(58) lgkmcnt(0)
	v_mul_f64 v[102:103], v[78:79], v[108:109]
	ds_read_b128 v[68:71], v1 offset:720
	s_waitcnt vmcnt(56)
	v_fma_f64 v[106:107], v[72:73], v[112:113], -v[106:107]
	v_mul_f64 v[98:99], v[76:77], v[108:109]
	v_add_f64 v[84:85], v[84:85], v[100:101]
	v_fma_f64 v[100:101], v[74:75], v[112:113], v[149:150]
	v_add_f64 v[2:3], v[2:3], v[96:97]
	s_clause 0x4
	buffer_load_dword v97, off, s[0:3], 0 offset:476
	buffer_load_dword v108, off, s[0:3], 0 offset:488
	;; [unrolled: 1-line block ×5, first 2 shown]
	s_waitcnt vmcnt(57) lgkmcnt(0)
	v_mul_f64 v[155:156], v[68:69], v[114:115]
	v_mul_f64 v[113:114], v[70:71], v[114:115]
	s_waitcnt vmcnt(56)
	v_fma_f64 v[102:103], v[76:77], v[110:111], -v[102:103]
	ds_read_b128 v[72:75], v1 offset:736
	v_fma_f64 v[98:99], v[78:79], v[110:111], v[98:99]
	v_add_f64 v[84:85], v[84:85], v[106:107]
	v_add_f64 v[2:3], v[2:3], v[100:101]
	s_clause 0x2
	buffer_load_dword v109, off, s[0:3], 0 offset:492
	buffer_load_dword v101, off, s[0:3], 0 offset:468
	;; [unrolled: 1-line block ×3, first 2 shown]
	ds_read_b128 v[76:79], v1 offset:752
	s_waitcnt vmcnt(58) lgkmcnt(1)
	v_mul_f64 v[110:111], v[74:75], v[116:117]
	s_waitcnt vmcnt(56)
	v_fma_f64 v[114:115], v[68:69], v[120:121], -v[113:114]
	v_mul_f64 v[106:107], v[72:73], v[116:117]
	v_add_f64 v[84:85], v[84:85], v[102:103]
	v_fma_f64 v[102:103], v[70:71], v[120:121], v[155:156]
	v_add_f64 v[2:3], v[2:3], v[98:99]
	s_clause 0x2
	buffer_load_dword v99, off, s[0:3], 0 offset:508
	buffer_load_dword v98, off, s[0:3], 0 offset:504
	;; [unrolled: 1-line block ×3, first 2 shown]
	s_waitcnt vmcnt(55) lgkmcnt(0)
	v_mul_f64 v[120:121], v[78:79], v[122:123]
	s_waitcnt vmcnt(54)
	v_fma_f64 v[110:111], v[72:73], v[118:119], -v[110:111]
	ds_read_b128 v[68:71], v1 offset:768
	v_mul_f64 v[116:117], v[76:77], v[122:123]
	v_fma_f64 v[106:107], v[74:75], v[118:119], v[106:107]
	v_add_f64 v[84:85], v[84:85], v[114:115]
	v_add_f64 v[2:3], v[2:3], v[102:103]
	s_clause 0x1
	buffer_load_dword v103, off, s[0:3], 0 offset:500
	buffer_load_dword v102, off, s[0:3], 0 offset:496
	s_waitcnt vmcnt(55) lgkmcnt(0)
	v_mul_f64 v[118:119], v[70:71], v[124:125]
	s_waitcnt vmcnt(53)
	v_fma_f64 v[120:121], v[76:77], v[128:129], -v[120:121]
	ds_read_b128 v[72:75], v1 offset:784
	v_mul_f64 v[114:115], v[68:69], v[124:125]
	v_add_f64 v[84:85], v[84:85], v[110:111]
	v_fma_f64 v[110:111], v[78:79], v[128:129], v[116:117]
	v_add_f64 v[2:3], v[2:3], v[106:107]
	ds_read_b128 v[76:79], v1 offset:800
	s_waitcnt vmcnt(49) lgkmcnt(1)
	v_mul_f64 v[116:117], v[74:75], v[130:131]
	s_waitcnt vmcnt(48)
	v_fma_f64 v[118:119], v[68:69], v[126:127], -v[118:119]
	v_mul_f64 v[106:107], v[72:73], v[130:131]
	v_fma_f64 v[114:115], v[70:71], v[126:127], v[114:115]
	v_add_f64 v[84:85], v[84:85], v[120:121]
	s_waitcnt vmcnt(47) lgkmcnt(0)
	v_mul_f64 v[124:125], v[78:79], v[132:133]
	v_add_f64 v[2:3], v[2:3], v[110:111]
	s_clause 0x3
	buffer_load_dword v110, off, s[0:3], 0 offset:80
	buffer_load_dword v111, off, s[0:3], 0 offset:84
	;; [unrolled: 1-line block ×4, first 2 shown]
	s_waitcnt vmcnt(49)
	v_fma_f64 v[116:117], v[72:73], v[136:137], -v[116:117]
	ds_read_b128 v[68:71], v1 offset:816
	v_mul_f64 v[122:123], v[76:77], v[132:133]
	v_fma_f64 v[106:107], v[74:75], v[136:137], v[106:107]
	ds_read_b128 v[72:75], v1 offset:832
	v_add_f64 v[84:85], v[84:85], v[118:119]
	s_waitcnt vmcnt(44)
	v_fma_f64 v[124:125], v[76:77], v[134:135], -v[124:125]
	v_add_f64 v[2:3], v[2:3], v[114:115]
	s_waitcnt lgkmcnt(1)
	v_mul_f64 v[118:119], v[70:71], v[140:141]
	v_mul_f64 v[114:115], v[68:69], v[140:141]
	v_add_f64 v[84:85], v[84:85], v[116:117]
	v_fma_f64 v[116:117], v[78:79], v[134:135], v[122:123]
	v_add_f64 v[2:3], v[2:3], v[106:107]
	ds_read_b128 v[76:79], v1 offset:848
	s_waitcnt vmcnt(43) lgkmcnt(1)
	v_mul_f64 v[122:123], v[74:75], v[142:143]
	v_mul_f64 v[106:107], v[72:73], v[142:143]
	s_waitcnt vmcnt(41)
	v_fma_f64 v[118:119], v[68:69], v[82:83], -v[118:119]
	v_fma_f64 v[82:83], v[70:71], v[82:83], v[114:115]
	ds_read_b128 v[68:71], v1 offset:864
	v_add_f64 v[84:85], v[84:85], v[124:125]
	s_waitcnt vmcnt(37) lgkmcnt(1)
	v_mul_f64 v[114:115], v[76:77], v[86:87]
	v_add_f64 v[2:3], v[2:3], v[116:117]
	v_mul_f64 v[86:87], v[78:79], v[86:87]
	s_waitcnt vmcnt(36)
	v_fma_f64 v[116:117], v[72:73], v[144:145], -v[122:123]
	v_fma_f64 v[106:107], v[74:75], v[144:145], v[106:107]
	ds_read_b128 v[72:75], v1 offset:880
	v_add_f64 v[84:85], v[84:85], v[118:119]
	v_add_f64 v[2:3], v[2:3], v[82:83]
	s_waitcnt vmcnt(35) lgkmcnt(1)
	v_mul_f64 v[118:119], v[70:71], v[146:147]
	v_mul_f64 v[82:83], v[68:69], v[146:147]
	s_waitcnt vmcnt(33)
	v_fma_f64 v[86:87], v[76:77], v[80:81], -v[86:87]
	v_fma_f64 v[80:81], v[78:79], v[80:81], v[114:115]
	ds_read_b128 v[76:79], v1 offset:896
	v_add_f64 v[84:85], v[84:85], v[116:117]
	v_add_f64 v[2:3], v[2:3], v[106:107]
	s_waitcnt vmcnt(29) lgkmcnt(1)
	v_mul_f64 v[106:107], v[72:73], v[94:95]
	;; [unrolled: 9-line block ×6, first 2 shown]
	s_waitcnt vmcnt(12)
	v_fma_f64 v[72:73], v[72:73], v[148:149], -v[94:95]
	v_mul_f64 v[80:81], v[76:77], v[96:97]
	v_fma_f64 v[74:75], v[74:75], v[148:149], v[92:93]
	v_add_f64 v[84:85], v[84:85], v[88:89]
	v_add_f64 v[82:83], v[2:3], v[82:83]
	ds_read_b128 v[1:4], v1 offset:976
	s_waitcnt vmcnt(11) lgkmcnt(1)
	v_mul_f64 v[90:91], v[70:71], v[108:109]
	v_mul_f64 v[88:89], v[68:69], v[108:109]
	s_waitcnt vmcnt(9)
	v_fma_f64 v[76:77], v[76:77], v[100:101], -v[86:87]
	v_fma_f64 v[78:79], v[78:79], v[100:101], v[80:81]
	v_add_f64 v[72:73], v[84:85], v[72:73]
	v_add_f64 v[74:75], v[82:83], v[74:75]
	s_waitcnt vmcnt(7) lgkmcnt(0)
	v_mul_f64 v[82:83], v[3:4], v[98:99]
	s_waitcnt vmcnt(6)
	v_fma_f64 v[68:69], v[68:69], v[112:113], -v[90:91]
	v_mul_f64 v[80:81], v[1:2], v[98:99]
	v_fma_f64 v[70:71], v[70:71], v[112:113], v[88:89]
	v_add_f64 v[72:73], v[72:73], v[76:77]
	v_add_f64 v[74:75], v[74:75], v[78:79]
	s_waitcnt vmcnt(4)
	v_fma_f64 v[1:2], v[1:2], v[102:103], -v[82:83]
	v_fma_f64 v[3:4], v[3:4], v[102:103], v[80:81]
	v_add_f64 v[68:69], v[72:73], v[68:69]
	v_add_f64 v[70:71], v[74:75], v[70:71]
	;; [unrolled: 1-line block ×4, first 2 shown]
	s_waitcnt vmcnt(2)
	v_add_f64 v[1:2], v[110:111], -v[1:2]
	s_waitcnt vmcnt(0)
	v_add_f64 v[3:4], v[120:121], -v[3:4]
	buffer_store_dword v2, off, s[0:3], 0 offset:84
	buffer_store_dword v1, off, s[0:3], 0 offset:80
	;; [unrolled: 1-line block ×4, first 2 shown]
	v_cmpx_lt_u32_e32 3, v0
	s_cbranch_execz .LBB94_193
; %bb.192:
	v_mov_b32_e32 v4, s40
	v_mov_b32_e32 v68, 0
	s_clause 0x3
	buffer_load_dword v1, v4, s[0:3], 0 offen
	buffer_load_dword v2, v4, s[0:3], 0 offen offset:4
	buffer_load_dword v3, v4, s[0:3], 0 offen offset:8
	;; [unrolled: 1-line block ×3, first 2 shown]
	buffer_store_dword v68, off, s[0:3], 0 offset:64
	buffer_store_dword v68, off, s[0:3], 0 offset:68
	;; [unrolled: 1-line block ×4, first 2 shown]
	s_waitcnt vmcnt(0)
	ds_write_b128 v67, v[1:4]
.LBB94_193:
	s_or_b32 exec_lo, exec_lo, s4
	s_waitcnt lgkmcnt(0)
	s_waitcnt_vscnt null, 0x0
	s_barrier
	buffer_gl0_inv
	s_clause 0x37
	buffer_load_dword v2, off, s[0:3], 0 offset:88
	buffer_load_dword v3, off, s[0:3], 0 offset:92
	;; [unrolled: 1-line block ×56, first 2 shown]
	v_mov_b32_e32 v1, 0
	s_mov_b32 s4, exec_lo
	ds_read_b128 v[68:71], v1 offset:560
	s_clause 0x2
	buffer_load_dword v133, off, s[0:3], 0 offset:316
	buffer_load_dword v137, off, s[0:3], 0 offset:292
	;; [unrolled: 1-line block ×3, first 2 shown]
	ds_read_b128 v[72:75], v1 offset:576
	s_clause 0x4
	buffer_load_dword v141, off, s[0:3], 0 offset:332
	buffer_load_dword v142, off, s[0:3], 0 offset:344
	;; [unrolled: 1-line block ×5, first 2 shown]
	ds_read_b128 v[76:79], v1 offset:592
	s_waitcnt vmcnt(62) lgkmcnt(2)
	v_mul_f64 v[138:139], v[70:71], v[2:3]
	v_mul_f64 v[2:3], v[68:69], v[2:3]
	s_waitcnt vmcnt(60) lgkmcnt(1)
	v_mul_f64 v[145:146], v[74:75], v[80:81]
	v_mul_f64 v[80:81], v[72:73], v[80:81]
	;; [unrolled: 3-line block ×3, first 2 shown]
	v_fma_f64 v[138:139], v[68:69], v[82:83], -v[138:139]
	v_fma_f64 v[2:3], v[70:71], v[82:83], v[2:3]
	s_clause 0x2
	buffer_load_dword v143, off, s[0:3], 0 offset:348
	buffer_load_dword v83, off, s[0:3], 0 offset:324
	;; [unrolled: 1-line block ×3, first 2 shown]
	s_waitcnt vmcnt(57)
	v_fma_f64 v[149:150], v[72:73], v[86:87], -v[145:146]
	ds_read_b128 v[68:71], v1 offset:608
	v_fma_f64 v[80:81], v[74:75], v[86:87], v[80:81]
	s_clause 0x4
	buffer_load_dword v87, off, s[0:3], 0 offset:364
	buffer_load_dword v146, off, s[0:3], 0 offset:376
	;; [unrolled: 1-line block ×5, first 2 shown]
	s_waitcnt vmcnt(56)
	v_fma_f64 v[84:85], v[76:77], v[94:95], -v[84:85]
	ds_read_b128 v[72:75], v1 offset:624
	v_fma_f64 v[94:95], v[78:79], v[94:95], v[147:148]
	v_add_f64 v[138:139], v[138:139], 0
	v_add_f64 v[2:3], v[2:3], 0
	s_waitcnt lgkmcnt(1)
	v_mul_f64 v[152:153], v[68:69], v[88:89]
	v_mul_f64 v[88:89], v[70:71], v[88:89]
	v_add_f64 v[138:139], v[138:139], v[149:150]
	v_add_f64 v[2:3], v[2:3], v[80:81]
	s_clause 0x2
	buffer_load_dword v147, off, s[0:3], 0 offset:380
	buffer_load_dword v81, off, s[0:3], 0 offset:356
	;; [unrolled: 1-line block ×3, first 2 shown]
	s_waitcnt vmcnt(58) lgkmcnt(0)
	v_mul_f64 v[148:149], v[72:73], v[90:91]
	v_mul_f64 v[90:91], v[74:75], v[90:91]
	s_waitcnt vmcnt(56)
	v_fma_f64 v[88:89], v[68:69], v[96:97], -v[88:89]
	ds_read_b128 v[76:79], v1 offset:640
	v_fma_f64 v[96:97], v[70:71], v[96:97], v[152:153]
	v_add_f64 v[84:85], v[138:139], v[84:85]
	v_add_f64 v[2:3], v[2:3], v[94:95]
	s_clause 0x4
	buffer_load_dword v95, off, s[0:3], 0 offset:396
	buffer_load_dword v138, off, s[0:3], 0 offset:408
	;; [unrolled: 1-line block ×5, first 2 shown]
	ds_read_b128 v[68:71], v1 offset:656
	s_waitcnt vmcnt(57) lgkmcnt(1)
	v_mul_f64 v[154:155], v[76:77], v[98:99]
	v_mul_f64 v[98:99], v[78:79], v[98:99]
	s_waitcnt vmcnt(56)
	v_fma_f64 v[90:91], v[72:73], v[92:93], -v[90:91]
	v_add_f64 v[84:85], v[84:85], v[88:89]
	v_fma_f64 v[88:89], v[74:75], v[92:93], v[148:149]
	v_add_f64 v[2:3], v[2:3], v[96:97]
	s_clause 0x2
	buffer_load_dword v139, off, s[0:3], 0 offset:412
	buffer_load_dword v93, off, s[0:3], 0 offset:388
	;; [unrolled: 1-line block ×3, first 2 shown]
	s_waitcnt vmcnt(58) lgkmcnt(0)
	v_mul_f64 v[96:97], v[68:69], v[100:101]
	v_mul_f64 v[100:101], v[70:71], v[100:101]
	s_waitcnt vmcnt(56)
	v_fma_f64 v[98:99], v[76:77], v[104:105], -v[98:99]
	ds_read_b128 v[72:75], v1 offset:672
	v_add_f64 v[84:85], v[84:85], v[90:91]
	v_fma_f64 v[90:91], v[78:79], v[104:105], v[154:155]
	v_add_f64 v[2:3], v[2:3], v[88:89]
	s_clause 0x4
	buffer_load_dword v89, off, s[0:3], 0 offset:428
	buffer_load_dword v104, off, s[0:3], 0 offset:440
	;; [unrolled: 1-line block ×5, first 2 shown]
	ds_read_b128 v[76:79], v1 offset:688
	s_waitcnt vmcnt(57) lgkmcnt(1)
	v_mul_f64 v[149:150], v[72:73], v[106:107]
	v_mul_f64 v[106:107], v[74:75], v[106:107]
	s_waitcnt vmcnt(56)
	v_fma_f64 v[100:101], v[68:69], v[102:103], -v[100:101]
	v_fma_f64 v[96:97], v[70:71], v[102:103], v[96:97]
	v_add_f64 v[84:85], v[84:85], v[98:99]
	v_add_f64 v[2:3], v[2:3], v[90:91]
	s_clause 0x2
	buffer_load_dword v105, off, s[0:3], 0 offset:444
	buffer_load_dword v91, off, s[0:3], 0 offset:420
	;; [unrolled: 1-line block ×3, first 2 shown]
	s_waitcnt vmcnt(58) lgkmcnt(0)
	v_mul_f64 v[102:103], v[78:79], v[108:109]
	ds_read_b128 v[68:71], v1 offset:704
	s_waitcnt vmcnt(56)
	v_fma_f64 v[106:107], v[72:73], v[112:113], -v[106:107]
	v_mul_f64 v[98:99], v[76:77], v[108:109]
	v_add_f64 v[84:85], v[84:85], v[100:101]
	v_fma_f64 v[100:101], v[74:75], v[112:113], v[149:150]
	v_add_f64 v[2:3], v[2:3], v[96:97]
	s_clause 0x4
	buffer_load_dword v97, off, s[0:3], 0 offset:460
	buffer_load_dword v108, off, s[0:3], 0 offset:472
	;; [unrolled: 1-line block ×5, first 2 shown]
	s_waitcnt vmcnt(57) lgkmcnt(0)
	v_mul_f64 v[155:156], v[68:69], v[114:115]
	v_mul_f64 v[113:114], v[70:71], v[114:115]
	s_waitcnt vmcnt(56)
	v_fma_f64 v[102:103], v[76:77], v[110:111], -v[102:103]
	ds_read_b128 v[72:75], v1 offset:720
	v_fma_f64 v[98:99], v[78:79], v[110:111], v[98:99]
	v_add_f64 v[84:85], v[84:85], v[106:107]
	v_add_f64 v[2:3], v[2:3], v[100:101]
	s_clause 0x2
	buffer_load_dword v109, off, s[0:3], 0 offset:476
	buffer_load_dword v101, off, s[0:3], 0 offset:452
	;; [unrolled: 1-line block ×3, first 2 shown]
	ds_read_b128 v[76:79], v1 offset:736
	s_waitcnt vmcnt(58) lgkmcnt(1)
	v_mul_f64 v[110:111], v[74:75], v[116:117]
	s_waitcnt vmcnt(56)
	v_fma_f64 v[114:115], v[68:69], v[120:121], -v[113:114]
	v_mul_f64 v[106:107], v[72:73], v[116:117]
	v_add_f64 v[84:85], v[84:85], v[102:103]
	v_fma_f64 v[102:103], v[70:71], v[120:121], v[155:156]
	v_add_f64 v[2:3], v[2:3], v[98:99]
	s_clause 0x4
	buffer_load_dword v99, off, s[0:3], 0 offset:492
	buffer_load_dword v116, off, s[0:3], 0 offset:504
	;; [unrolled: 1-line block ×5, first 2 shown]
	s_waitcnt vmcnt(57) lgkmcnt(0)
	v_mul_f64 v[155:156], v[76:77], v[122:123]
	v_mul_f64 v[121:122], v[78:79], v[122:123]
	s_waitcnt vmcnt(56)
	v_fma_f64 v[110:111], v[72:73], v[118:119], -v[110:111]
	ds_read_b128 v[68:71], v1 offset:752
	v_fma_f64 v[106:107], v[74:75], v[118:119], v[106:107]
	v_add_f64 v[84:85], v[84:85], v[114:115]
	v_add_f64 v[2:3], v[2:3], v[102:103]
	s_clause 0x2
	buffer_load_dword v117, off, s[0:3], 0 offset:508
	buffer_load_dword v103, off, s[0:3], 0 offset:484
	;; [unrolled: 1-line block ×3, first 2 shown]
	ds_read_b128 v[72:75], v1 offset:768
	s_waitcnt vmcnt(58) lgkmcnt(1)
	v_mul_f64 v[118:119], v[70:71], v[124:125]
	s_waitcnt vmcnt(56)
	v_fma_f64 v[122:123], v[76:77], v[128:129], -v[121:122]
	v_mul_f64 v[114:115], v[68:69], v[124:125]
	buffer_load_dword v121, off, s[0:3], 0 offset:500
	v_add_f64 v[84:85], v[84:85], v[110:111]
	v_fma_f64 v[110:111], v[78:79], v[128:129], v[155:156]
	v_add_f64 v[2:3], v[2:3], v[106:107]
	ds_read_b128 v[76:79], v1 offset:784
	s_waitcnt vmcnt(53) lgkmcnt(1)
	v_mul_f64 v[124:125], v[74:75], v[130:131]
	s_waitcnt vmcnt(52)
	v_fma_f64 v[118:119], v[68:69], v[126:127], -v[118:119]
	v_mul_f64 v[106:107], v[72:73], v[130:131]
	v_fma_f64 v[114:115], v[70:71], v[126:127], v[114:115]
	ds_read_b128 v[68:71], v1 offset:800
	v_add_f64 v[84:85], v[84:85], v[122:123]
	s_waitcnt vmcnt(51) lgkmcnt(1)
	v_mul_f64 v[122:123], v[78:79], v[132:133]
	v_add_f64 v[2:3], v[2:3], v[110:111]
	v_mul_f64 v[110:111], v[76:77], v[132:133]
	s_waitcnt vmcnt(49)
	v_fma_f64 v[124:125], v[72:73], v[136:137], -v[124:125]
	v_fma_f64 v[106:107], v[74:75], v[136:137], v[106:107]
	s_waitcnt vmcnt(45) lgkmcnt(0)
	v_mul_f64 v[128:129], v[70:71], v[140:141]
	v_mul_f64 v[126:127], v[68:69], v[140:141]
	v_add_f64 v[84:85], v[84:85], v[118:119]
	s_waitcnt vmcnt(44)
	v_fma_f64 v[122:123], v[76:77], v[134:135], -v[122:123]
	v_add_f64 v[2:3], v[2:3], v[114:115]
	s_clause 0x3
	buffer_load_dword v114, off, s[0:3], 0 offset:64
	buffer_load_dword v115, off, s[0:3], 0 offset:68
	;; [unrolled: 1-line block ×4, first 2 shown]
	ds_read_b128 v[72:75], v1 offset:816
	v_fma_f64 v[110:111], v[78:79], v[134:135], v[110:111]
	ds_read_b128 v[76:79], v1 offset:832
	v_add_f64 v[84:85], v[84:85], v[124:125]
	v_add_f64 v[2:3], v[2:3], v[106:107]
	s_waitcnt vmcnt(47) lgkmcnt(1)
	v_mul_f64 v[124:125], v[74:75], v[142:143]
	v_mul_f64 v[106:107], v[72:73], v[142:143]
	s_waitcnt vmcnt(45)
	v_fma_f64 v[128:129], v[68:69], v[82:83], -v[128:129]
	v_fma_f64 v[82:83], v[70:71], v[82:83], v[126:127]
	ds_read_b128 v[68:71], v1 offset:848
	v_add_f64 v[84:85], v[84:85], v[122:123]
	v_add_f64 v[2:3], v[2:3], v[110:111]
	s_waitcnt vmcnt(41) lgkmcnt(1)
	v_mul_f64 v[110:111], v[76:77], v[86:87]
	v_mul_f64 v[86:87], v[78:79], v[86:87]
	s_waitcnt vmcnt(40)
	v_fma_f64 v[122:123], v[72:73], v[144:145], -v[124:125]
	;; [unrolled: 9-line block ×7, first 2 shown]
	v_fma_f64 v[82:83], v[70:71], v[90:91], v[82:83]
	ds_read_b128 v[68:71], v1 offset:944
	v_add_f64 v[84:85], v[84:85], v[86:87]
	v_add_f64 v[2:3], v[2:3], v[80:81]
	s_waitcnt vmcnt(17) lgkmcnt(1)
	v_mul_f64 v[86:87], v[78:79], v[96:97]
	s_waitcnt vmcnt(16)
	v_fma_f64 v[90:91], v[72:73], v[148:149], -v[94:95]
	v_mul_f64 v[80:81], v[76:77], v[96:97]
	v_add_f64 v[84:85], v[84:85], v[88:89]
	v_fma_f64 v[88:89], v[74:75], v[148:149], v[92:93]
	v_add_f64 v[2:3], v[2:3], v[82:83]
	ds_read_b128 v[72:75], v1 offset:960
	s_waitcnt vmcnt(15) lgkmcnt(1)
	v_mul_f64 v[92:93], v[70:71], v[108:109]
	v_mul_f64 v[82:83], v[68:69], v[108:109]
	s_waitcnt vmcnt(13)
	v_fma_f64 v[86:87], v[76:77], v[100:101], -v[86:87]
	v_fma_f64 v[80:81], v[78:79], v[100:101], v[80:81]
	ds_read_b128 v[76:79], v1 offset:976
	v_add_f64 v[84:85], v[84:85], v[90:91]
	v_add_f64 v[2:3], v[2:3], v[88:89]
	s_waitcnt vmcnt(9) lgkmcnt(1)
	v_mul_f64 v[90:91], v[74:75], v[98:99]
	s_waitcnt vmcnt(8)
	v_fma_f64 v[68:69], v[68:69], v[112:113], -v[92:93]
	v_mul_f64 v[88:89], v[72:73], v[98:99]
	v_fma_f64 v[70:71], v[70:71], v[112:113], v[82:83]
	v_add_f64 v[84:85], v[84:85], v[86:87]
	v_add_f64 v[2:3], v[2:3], v[80:81]
	s_waitcnt vmcnt(7) lgkmcnt(0)
	v_mul_f64 v[82:83], v[78:79], v[116:117]
	v_mul_f64 v[80:81], v[76:77], v[116:117]
	s_waitcnt vmcnt(5)
	v_fma_f64 v[72:73], v[72:73], v[102:103], -v[90:91]
	v_fma_f64 v[74:75], v[74:75], v[102:103], v[88:89]
	v_add_f64 v[68:69], v[84:85], v[68:69]
	v_add_f64 v[2:3], v[2:3], v[70:71]
	s_waitcnt vmcnt(4)
	v_fma_f64 v[70:71], v[76:77], v[120:121], -v[82:83]
	v_add_f64 v[68:69], v[68:69], v[72:73]
	v_fma_f64 v[72:73], v[78:79], v[120:121], v[80:81]
	v_add_f64 v[2:3], v[2:3], v[74:75]
	v_add_f64 v[68:69], v[68:69], v[70:71]
	;; [unrolled: 1-line block ×3, first 2 shown]
	s_waitcnt vmcnt(2)
	v_add_f64 v[68:69], v[114:115], -v[68:69]
	s_waitcnt vmcnt(0)
	v_add_f64 v[2:3], v[118:119], -v[2:3]
	buffer_store_dword v69, off, s[0:3], 0 offset:68
	buffer_store_dword v68, off, s[0:3], 0 offset:64
	;; [unrolled: 1-line block ×4, first 2 shown]
	v_cmpx_lt_u32_e32 2, v0
	s_cbranch_execz .LBB94_195
; %bb.194:
	v_mov_b32_e32 v2, s41
	s_clause 0x3
	buffer_load_dword v68, v2, s[0:3], 0 offen
	buffer_load_dword v69, v2, s[0:3], 0 offen offset:4
	buffer_load_dword v70, v2, s[0:3], 0 offen offset:8
	;; [unrolled: 1-line block ×3, first 2 shown]
	buffer_store_dword v1, off, s[0:3], 0 offset:48
	buffer_store_dword v1, off, s[0:3], 0 offset:52
	;; [unrolled: 1-line block ×4, first 2 shown]
	s_waitcnt vmcnt(0)
	ds_write_b128 v67, v[68:71]
.LBB94_195:
	s_or_b32 exec_lo, exec_lo, s4
	s_waitcnt lgkmcnt(0)
	s_waitcnt_vscnt null, 0x0
	s_barrier
	buffer_gl0_inv
	s_clause 0x37
	buffer_load_dword v2, off, s[0:3], 0 offset:72
	buffer_load_dword v3, off, s[0:3], 0 offset:76
	;; [unrolled: 1-line block ×56, first 2 shown]
	ds_read_b128 v[68:71], v1 offset:544
	s_clause 0x2
	buffer_load_dword v133, off, s[0:3], 0 offset:300
	buffer_load_dword v137, off, s[0:3], 0 offset:276
	;; [unrolled: 1-line block ×3, first 2 shown]
	ds_read_b128 v[72:75], v1 offset:560
	s_clause 0x4
	buffer_load_dword v141, off, s[0:3], 0 offset:316
	buffer_load_dword v142, off, s[0:3], 0 offset:328
	;; [unrolled: 1-line block ×5, first 2 shown]
	ds_read_b128 v[76:79], v1 offset:576
	s_mov_b32 s4, exec_lo
	s_waitcnt vmcnt(62) lgkmcnt(2)
	v_mul_f64 v[138:139], v[70:71], v[2:3]
	v_mul_f64 v[2:3], v[68:69], v[2:3]
	s_waitcnt vmcnt(60) lgkmcnt(1)
	v_mul_f64 v[145:146], v[74:75], v[80:81]
	v_mul_f64 v[80:81], v[72:73], v[80:81]
	;; [unrolled: 3-line block ×3, first 2 shown]
	v_fma_f64 v[138:139], v[68:69], v[82:83], -v[138:139]
	v_fma_f64 v[2:3], v[70:71], v[82:83], v[2:3]
	s_clause 0x2
	buffer_load_dword v143, off, s[0:3], 0 offset:332
	buffer_load_dword v83, off, s[0:3], 0 offset:308
	;; [unrolled: 1-line block ×3, first 2 shown]
	s_waitcnt vmcnt(57)
	v_fma_f64 v[149:150], v[72:73], v[86:87], -v[145:146]
	ds_read_b128 v[68:71], v1 offset:592
	v_fma_f64 v[80:81], v[74:75], v[86:87], v[80:81]
	s_clause 0x4
	buffer_load_dword v87, off, s[0:3], 0 offset:348
	buffer_load_dword v146, off, s[0:3], 0 offset:360
	;; [unrolled: 1-line block ×5, first 2 shown]
	s_waitcnt vmcnt(56)
	v_fma_f64 v[84:85], v[76:77], v[94:95], -v[84:85]
	ds_read_b128 v[72:75], v1 offset:608
	v_fma_f64 v[94:95], v[78:79], v[94:95], v[147:148]
	v_add_f64 v[138:139], v[138:139], 0
	v_add_f64 v[2:3], v[2:3], 0
	s_waitcnt lgkmcnt(1)
	v_mul_f64 v[152:153], v[68:69], v[88:89]
	v_mul_f64 v[88:89], v[70:71], v[88:89]
	v_add_f64 v[138:139], v[138:139], v[149:150]
	v_add_f64 v[2:3], v[2:3], v[80:81]
	s_clause 0x2
	buffer_load_dword v147, off, s[0:3], 0 offset:364
	buffer_load_dword v81, off, s[0:3], 0 offset:340
	;; [unrolled: 1-line block ×3, first 2 shown]
	s_waitcnt vmcnt(58) lgkmcnt(0)
	v_mul_f64 v[148:149], v[72:73], v[90:91]
	v_mul_f64 v[90:91], v[74:75], v[90:91]
	s_waitcnt vmcnt(56)
	v_fma_f64 v[88:89], v[68:69], v[96:97], -v[88:89]
	ds_read_b128 v[76:79], v1 offset:624
	v_fma_f64 v[96:97], v[70:71], v[96:97], v[152:153]
	v_add_f64 v[84:85], v[138:139], v[84:85]
	v_add_f64 v[2:3], v[2:3], v[94:95]
	s_clause 0x4
	buffer_load_dword v95, off, s[0:3], 0 offset:380
	buffer_load_dword v138, off, s[0:3], 0 offset:392
	;; [unrolled: 1-line block ×5, first 2 shown]
	ds_read_b128 v[68:71], v1 offset:640
	s_waitcnt vmcnt(57) lgkmcnt(1)
	v_mul_f64 v[154:155], v[76:77], v[98:99]
	v_mul_f64 v[98:99], v[78:79], v[98:99]
	s_waitcnt vmcnt(56)
	v_fma_f64 v[90:91], v[72:73], v[92:93], -v[90:91]
	v_add_f64 v[84:85], v[84:85], v[88:89]
	v_fma_f64 v[88:89], v[74:75], v[92:93], v[148:149]
	v_add_f64 v[2:3], v[2:3], v[96:97]
	s_clause 0x2
	buffer_load_dword v139, off, s[0:3], 0 offset:396
	buffer_load_dword v93, off, s[0:3], 0 offset:372
	;; [unrolled: 1-line block ×3, first 2 shown]
	s_waitcnt vmcnt(58) lgkmcnt(0)
	v_mul_f64 v[96:97], v[68:69], v[100:101]
	v_mul_f64 v[100:101], v[70:71], v[100:101]
	s_waitcnt vmcnt(56)
	v_fma_f64 v[98:99], v[76:77], v[104:105], -v[98:99]
	ds_read_b128 v[72:75], v1 offset:656
	v_add_f64 v[84:85], v[84:85], v[90:91]
	v_fma_f64 v[90:91], v[78:79], v[104:105], v[154:155]
	v_add_f64 v[2:3], v[2:3], v[88:89]
	s_clause 0x4
	buffer_load_dword v89, off, s[0:3], 0 offset:412
	buffer_load_dword v104, off, s[0:3], 0 offset:424
	;; [unrolled: 1-line block ×5, first 2 shown]
	ds_read_b128 v[76:79], v1 offset:672
	s_waitcnt vmcnt(57) lgkmcnt(1)
	v_mul_f64 v[149:150], v[72:73], v[106:107]
	v_mul_f64 v[106:107], v[74:75], v[106:107]
	s_waitcnt vmcnt(56)
	v_fma_f64 v[100:101], v[68:69], v[102:103], -v[100:101]
	v_fma_f64 v[96:97], v[70:71], v[102:103], v[96:97]
	v_add_f64 v[84:85], v[84:85], v[98:99]
	v_add_f64 v[2:3], v[2:3], v[90:91]
	s_clause 0x2
	buffer_load_dword v105, off, s[0:3], 0 offset:428
	buffer_load_dword v91, off, s[0:3], 0 offset:404
	;; [unrolled: 1-line block ×3, first 2 shown]
	s_waitcnt vmcnt(58) lgkmcnt(0)
	v_mul_f64 v[102:103], v[78:79], v[108:109]
	ds_read_b128 v[68:71], v1 offset:688
	s_waitcnt vmcnt(56)
	v_fma_f64 v[106:107], v[72:73], v[112:113], -v[106:107]
	v_mul_f64 v[98:99], v[76:77], v[108:109]
	v_add_f64 v[84:85], v[84:85], v[100:101]
	v_fma_f64 v[100:101], v[74:75], v[112:113], v[149:150]
	v_add_f64 v[2:3], v[2:3], v[96:97]
	s_clause 0x4
	buffer_load_dword v97, off, s[0:3], 0 offset:444
	buffer_load_dword v108, off, s[0:3], 0 offset:456
	;; [unrolled: 1-line block ×5, first 2 shown]
	s_waitcnt vmcnt(57) lgkmcnt(0)
	v_mul_f64 v[155:156], v[68:69], v[114:115]
	v_mul_f64 v[113:114], v[70:71], v[114:115]
	s_waitcnt vmcnt(56)
	v_fma_f64 v[102:103], v[76:77], v[110:111], -v[102:103]
	ds_read_b128 v[72:75], v1 offset:704
	v_fma_f64 v[98:99], v[78:79], v[110:111], v[98:99]
	v_add_f64 v[84:85], v[84:85], v[106:107]
	v_add_f64 v[2:3], v[2:3], v[100:101]
	s_clause 0x2
	buffer_load_dword v109, off, s[0:3], 0 offset:460
	buffer_load_dword v101, off, s[0:3], 0 offset:436
	;; [unrolled: 1-line block ×3, first 2 shown]
	ds_read_b128 v[76:79], v1 offset:720
	s_waitcnt vmcnt(58) lgkmcnt(1)
	v_mul_f64 v[110:111], v[74:75], v[116:117]
	s_waitcnt vmcnt(56)
	v_fma_f64 v[114:115], v[68:69], v[120:121], -v[113:114]
	v_mul_f64 v[106:107], v[72:73], v[116:117]
	v_add_f64 v[84:85], v[84:85], v[102:103]
	v_fma_f64 v[102:103], v[70:71], v[120:121], v[155:156]
	v_add_f64 v[2:3], v[2:3], v[98:99]
	s_clause 0x4
	buffer_load_dword v99, off, s[0:3], 0 offset:476
	buffer_load_dword v116, off, s[0:3], 0 offset:488
	;; [unrolled: 1-line block ×5, first 2 shown]
	s_waitcnt vmcnt(57) lgkmcnt(0)
	v_mul_f64 v[155:156], v[76:77], v[122:123]
	v_mul_f64 v[121:122], v[78:79], v[122:123]
	s_waitcnt vmcnt(56)
	v_fma_f64 v[110:111], v[72:73], v[118:119], -v[110:111]
	ds_read_b128 v[68:71], v1 offset:736
	v_fma_f64 v[106:107], v[74:75], v[118:119], v[106:107]
	v_add_f64 v[84:85], v[84:85], v[114:115]
	v_add_f64 v[2:3], v[2:3], v[102:103]
	s_clause 0x2
	buffer_load_dword v117, off, s[0:3], 0 offset:492
	buffer_load_dword v103, off, s[0:3], 0 offset:468
	buffer_load_dword v102, off, s[0:3], 0 offset:464
	ds_read_b128 v[72:75], v1 offset:752
	s_waitcnt vmcnt(58) lgkmcnt(1)
	v_mul_f64 v[118:119], v[70:71], v[124:125]
	s_waitcnt vmcnt(56)
	v_fma_f64 v[122:123], v[76:77], v[128:129], -v[121:122]
	v_mul_f64 v[114:115], v[68:69], v[124:125]
	v_add_f64 v[84:85], v[84:85], v[110:111]
	v_fma_f64 v[110:111], v[78:79], v[128:129], v[155:156]
	v_add_f64 v[2:3], v[2:3], v[106:107]
	s_clause 0x2
	buffer_load_dword v107, off, s[0:3], 0 offset:508
	buffer_load_dword v106, off, s[0:3], 0 offset:504
	buffer_load_dword v121, off, s[0:3], 0 offset:484
	s_waitcnt vmcnt(55) lgkmcnt(0)
	v_mul_f64 v[128:129], v[74:75], v[130:131]
	s_waitcnt vmcnt(54)
	v_fma_f64 v[118:119], v[68:69], v[126:127], -v[118:119]
	ds_read_b128 v[76:79], v1 offset:768
	v_mul_f64 v[124:125], v[72:73], v[130:131]
	v_fma_f64 v[114:115], v[70:71], v[126:127], v[114:115]
	v_add_f64 v[84:85], v[84:85], v[122:123]
	v_add_f64 v[2:3], v[2:3], v[110:111]
	s_clause 0x1
	buffer_load_dword v111, off, s[0:3], 0 offset:500
	buffer_load_dword v110, off, s[0:3], 0 offset:496
	s_waitcnt vmcnt(55) lgkmcnt(0)
	v_mul_f64 v[126:127], v[78:79], v[132:133]
	s_waitcnt vmcnt(53)
	v_fma_f64 v[128:129], v[72:73], v[136:137], -v[128:129]
	ds_read_b128 v[68:71], v1 offset:784
	v_mul_f64 v[122:123], v[76:77], v[132:133]
	v_add_f64 v[84:85], v[84:85], v[118:119]
	v_fma_f64 v[118:119], v[74:75], v[136:137], v[124:125]
	v_add_f64 v[2:3], v[2:3], v[114:115]
	ds_read_b128 v[72:75], v1 offset:800
	s_waitcnt vmcnt(49) lgkmcnt(1)
	v_mul_f64 v[124:125], v[70:71], v[140:141]
	s_waitcnt vmcnt(48)
	v_fma_f64 v[126:127], v[76:77], v[134:135], -v[126:127]
	v_mul_f64 v[114:115], v[68:69], v[140:141]
	v_fma_f64 v[122:123], v[78:79], v[134:135], v[122:123]
	v_add_f64 v[84:85], v[84:85], v[128:129]
	v_add_f64 v[2:3], v[2:3], v[118:119]
	s_clause 0x3
	buffer_load_dword v118, off, s[0:3], 0 offset:48
	buffer_load_dword v119, off, s[0:3], 0 offset:52
	;; [unrolled: 1-line block ×4, first 2 shown]
	ds_read_b128 v[76:79], v1 offset:816
	s_waitcnt vmcnt(51) lgkmcnt(1)
	v_mul_f64 v[132:133], v[74:75], v[142:143]
	v_mul_f64 v[130:131], v[72:73], v[142:143]
	s_waitcnt vmcnt(49)
	v_fma_f64 v[124:125], v[68:69], v[82:83], -v[124:125]
	v_fma_f64 v[82:83], v[70:71], v[82:83], v[114:115]
	ds_read_b128 v[68:71], v1 offset:832
	v_add_f64 v[84:85], v[84:85], v[126:127]
	v_add_f64 v[2:3], v[2:3], v[122:123]
	s_waitcnt vmcnt(45) lgkmcnt(1)
	v_mul_f64 v[114:115], v[76:77], v[86:87]
	v_mul_f64 v[86:87], v[78:79], v[86:87]
	s_waitcnt vmcnt(44)
	v_fma_f64 v[122:123], v[72:73], v[144:145], -v[132:133]
	v_add_f64 v[84:85], v[84:85], v[124:125]
	v_fma_f64 v[124:125], v[74:75], v[144:145], v[130:131]
	v_add_f64 v[2:3], v[2:3], v[82:83]
	ds_read_b128 v[72:75], v1 offset:848
	s_waitcnt vmcnt(43) lgkmcnt(1)
	v_mul_f64 v[126:127], v[70:71], v[146:147]
	v_mul_f64 v[82:83], v[68:69], v[146:147]
	s_waitcnt vmcnt(41)
	v_fma_f64 v[86:87], v[76:77], v[80:81], -v[86:87]
	v_fma_f64 v[80:81], v[78:79], v[80:81], v[114:115]
	ds_read_b128 v[76:79], v1 offset:864
	v_add_f64 v[84:85], v[84:85], v[122:123]
	v_add_f64 v[2:3], v[2:3], v[124:125]
	s_waitcnt vmcnt(37) lgkmcnt(1)
	v_mul_f64 v[114:115], v[72:73], v[94:95]
	v_mul_f64 v[94:95], v[74:75], v[94:95]
	s_waitcnt vmcnt(36)
	v_fma_f64 v[122:123], v[68:69], v[151:152], -v[126:127]
	v_fma_f64 v[82:83], v[70:71], v[151:152], v[82:83]
	ds_read_b128 v[68:71], v1 offset:880
	v_add_f64 v[84:85], v[84:85], v[86:87]
	v_add_f64 v[2:3], v[2:3], v[80:81]
	;; [unrolled: 9-line block ×5, first 2 shown]
	s_waitcnt vmcnt(21) lgkmcnt(1)
	v_mul_f64 v[86:87], v[78:79], v[96:97]
	s_waitcnt vmcnt(20)
	v_fma_f64 v[90:91], v[72:73], v[148:149], -v[94:95]
	v_mul_f64 v[80:81], v[76:77], v[96:97]
	v_add_f64 v[84:85], v[84:85], v[88:89]
	v_fma_f64 v[88:89], v[74:75], v[148:149], v[92:93]
	v_add_f64 v[2:3], v[2:3], v[82:83]
	ds_read_b128 v[72:75], v1 offset:944
	s_waitcnt vmcnt(19) lgkmcnt(1)
	v_mul_f64 v[92:93], v[70:71], v[108:109]
	v_mul_f64 v[82:83], v[68:69], v[108:109]
	s_waitcnt vmcnt(17)
	v_fma_f64 v[86:87], v[76:77], v[100:101], -v[86:87]
	v_fma_f64 v[80:81], v[78:79], v[100:101], v[80:81]
	ds_read_b128 v[76:79], v1 offset:960
	v_add_f64 v[84:85], v[84:85], v[90:91]
	v_add_f64 v[2:3], v[2:3], v[88:89]
	s_waitcnt vmcnt(13) lgkmcnt(1)
	v_mul_f64 v[90:91], v[74:75], v[98:99]
	s_waitcnt vmcnt(12)
	v_fma_f64 v[68:69], v[68:69], v[112:113], -v[92:93]
	v_mul_f64 v[88:89], v[72:73], v[98:99]
	v_fma_f64 v[70:71], v[70:71], v[112:113], v[82:83]
	v_add_f64 v[84:85], v[84:85], v[86:87]
	v_add_f64 v[80:81], v[2:3], v[80:81]
	ds_read_b128 v[1:4], v1 offset:976
	s_waitcnt vmcnt(11) lgkmcnt(1)
	v_mul_f64 v[86:87], v[78:79], v[116:117]
	v_mul_f64 v[82:83], v[76:77], v[116:117]
	s_waitcnt vmcnt(9)
	v_fma_f64 v[72:73], v[72:73], v[102:103], -v[90:91]
	v_fma_f64 v[74:75], v[74:75], v[102:103], v[88:89]
	v_add_f64 v[68:69], v[84:85], v[68:69]
	v_add_f64 v[70:71], v[80:81], v[70:71]
	s_waitcnt vmcnt(7) lgkmcnt(0)
	v_mul_f64 v[84:85], v[3:4], v[106:107]
	s_waitcnt vmcnt(6)
	v_fma_f64 v[76:77], v[76:77], v[120:121], -v[86:87]
	v_mul_f64 v[80:81], v[1:2], v[106:107]
	v_add_f64 v[68:69], v[68:69], v[72:73]
	v_fma_f64 v[72:73], v[78:79], v[120:121], v[82:83]
	v_add_f64 v[70:71], v[70:71], v[74:75]
	s_waitcnt vmcnt(4)
	v_fma_f64 v[1:2], v[1:2], v[110:111], -v[84:85]
	v_fma_f64 v[3:4], v[3:4], v[110:111], v[80:81]
	v_add_f64 v[68:69], v[68:69], v[76:77]
	v_add_f64 v[70:71], v[70:71], v[72:73]
	;; [unrolled: 1-line block ×4, first 2 shown]
	s_waitcnt vmcnt(2)
	v_add_f64 v[1:2], v[118:119], -v[1:2]
	s_waitcnt vmcnt(0)
	v_add_f64 v[3:4], v[128:129], -v[3:4]
	buffer_store_dword v2, off, s[0:3], 0 offset:52
	buffer_store_dword v1, off, s[0:3], 0 offset:48
	;; [unrolled: 1-line block ×4, first 2 shown]
	v_cmpx_lt_u32_e32 1, v0
	s_cbranch_execz .LBB94_197
; %bb.196:
	v_mov_b32_e32 v4, s42
	v_mov_b32_e32 v68, 0
	s_clause 0x3
	buffer_load_dword v1, v4, s[0:3], 0 offen
	buffer_load_dword v2, v4, s[0:3], 0 offen offset:4
	buffer_load_dword v3, v4, s[0:3], 0 offen offset:8
	;; [unrolled: 1-line block ×3, first 2 shown]
	buffer_store_dword v68, off, s[0:3], 0 offset:32
	buffer_store_dword v68, off, s[0:3], 0 offset:36
	buffer_store_dword v68, off, s[0:3], 0 offset:40
	buffer_store_dword v68, off, s[0:3], 0 offset:44
	s_waitcnt vmcnt(0)
	ds_write_b128 v67, v[1:4]
.LBB94_197:
	s_or_b32 exec_lo, exec_lo, s4
	s_waitcnt lgkmcnt(0)
	s_waitcnt_vscnt null, 0x0
	s_barrier
	buffer_gl0_inv
	s_clause 0x37
	buffer_load_dword v78, off, s[0:3], 0 offset:56
	buffer_load_dword v79, off, s[0:3], 0 offset:60
	;; [unrolled: 1-line block ×56, first 2 shown]
	v_mov_b32_e32 v73, 0
	s_mov_b32 s4, exec_lo
	ds_read_b128 v[68:71], v73 offset:528
	s_clause 0x2
	buffer_load_dword v131, off, s[0:3], 0 offset:284
	buffer_load_dword v135, off, s[0:3], 0 offset:260
	;; [unrolled: 1-line block ×3, first 2 shown]
	ds_read_b128 v[74:77], v73 offset:544
	s_clause 0x4
	buffer_load_dword v141, off, s[0:3], 0 offset:300
	buffer_load_dword v142, off, s[0:3], 0 offset:312
	;; [unrolled: 1-line block ×5, first 2 shown]
	s_waitcnt vmcnt(62) lgkmcnt(1)
	v_mul_f64 v[136:137], v[70:71], v[78:79]
	v_mul_f64 v[138:139], v[68:69], v[78:79]
	s_waitcnt vmcnt(60) lgkmcnt(0)
	v_mul_f64 v[145:146], v[76:77], v[82:83]
	ds_read_b128 v[78:81], v73 offset:560
	v_mul_f64 v[82:83], v[74:75], v[82:83]
	s_waitcnt vmcnt(58)
	v_fma_f64 v[136:137], v[68:69], v[84:85], -v[136:137]
	v_fma_f64 v[84:85], v[70:71], v[84:85], v[138:139]
	s_clause 0x2
	buffer_load_dword v143, off, s[0:3], 0 offset:316
	buffer_load_dword v139, off, s[0:3], 0 offset:292
	;; [unrolled: 1-line block ×3, first 2 shown]
	s_waitcnt vmcnt(59) lgkmcnt(0)
	v_mul_f64 v[149:150], v[80:81], v[3:4]
	s_waitcnt vmcnt(57)
	v_fma_f64 v[74:75], v[74:75], v[1:2], -v[145:146]
	ds_read_b128 v[68:71], v73 offset:576
	v_mul_f64 v[147:148], v[78:79], v[3:4]
	v_fma_f64 v[76:77], v[76:77], v[1:2], v[82:83]
	v_add_f64 v[136:137], v[136:137], 0
	v_add_f64 v[82:83], v[84:85], 0
	s_clause 0x4
	buffer_load_dword v85, off, s[0:3], 0 offset:332
	buffer_load_dword v146, off, s[0:3], 0 offset:344
	;; [unrolled: 1-line block ×5, first 2 shown]
	s_waitcnt vmcnt(58) lgkmcnt(0)
	v_mul_f64 v[152:153], v[68:69], v[86:87]
	v_mul_f64 v[86:87], v[70:71], v[86:87]
	s_waitcnt vmcnt(56)
	v_fma_f64 v[78:79], v[78:79], v[92:93], -v[149:150]
	ds_read_b128 v[1:4], v73 offset:592
	v_fma_f64 v[80:81], v[80:81], v[92:93], v[147:148]
	s_clause 0x2
	buffer_load_dword v147, off, s[0:3], 0 offset:348
	buffer_load_dword v93, off, s[0:3], 0 offset:324
	;; [unrolled: 1-line block ×3, first 2 shown]
	v_add_f64 v[136:137], v[136:137], v[74:75]
	v_add_f64 v[82:83], v[82:83], v[76:77]
	ds_read_b128 v[74:77], v73 offset:608
	s_waitcnt vmcnt(58) lgkmcnt(1)
	v_mul_f64 v[148:149], v[1:2], v[88:89]
	v_mul_f64 v[88:89], v[3:4], v[88:89]
	s_waitcnt vmcnt(56)
	v_fma_f64 v[86:87], v[68:69], v[94:95], -v[86:87]
	v_fma_f64 v[94:95], v[70:71], v[94:95], v[152:153]
	s_waitcnt vmcnt(52) lgkmcnt(0)
	v_mul_f64 v[154:155], v[74:75], v[96:97]
	v_add_f64 v[78:79], v[136:137], v[78:79]
	v_add_f64 v[80:81], v[82:83], v[80:81]
	s_clause 0x4
	buffer_load_dword v83, off, s[0:3], 0 offset:364
	buffer_load_dword v136, off, s[0:3], 0 offset:376
	;; [unrolled: 1-line block ×5, first 2 shown]
	v_mul_f64 v[96:97], v[76:77], v[96:97]
	s_waitcnt vmcnt(56)
	v_fma_f64 v[88:89], v[1:2], v[90:91], -v[88:89]
	ds_read_b128 v[68:71], v73 offset:624
	v_add_f64 v[78:79], v[78:79], v[86:87]
	v_fma_f64 v[86:87], v[3:4], v[90:91], v[148:149]
	v_add_f64 v[80:81], v[80:81], v[94:95]
	s_clause 0x2
	buffer_load_dword v137, off, s[0:3], 0 offset:380
	buffer_load_dword v91, off, s[0:3], 0 offset:356
	;; [unrolled: 1-line block ×3, first 2 shown]
	s_waitcnt vmcnt(58) lgkmcnt(0)
	v_mul_f64 v[94:95], v[68:69], v[98:99]
	v_mul_f64 v[98:99], v[70:71], v[98:99]
	s_waitcnt vmcnt(56)
	v_fma_f64 v[96:97], v[74:75], v[102:103], -v[96:97]
	ds_read_b128 v[1:4], v73 offset:640
	v_add_f64 v[78:79], v[78:79], v[88:89]
	v_fma_f64 v[88:89], v[76:77], v[102:103], v[154:155]
	v_add_f64 v[80:81], v[80:81], v[86:87]
	s_clause 0x4
	buffer_load_dword v87, off, s[0:3], 0 offset:396
	buffer_load_dword v102, off, s[0:3], 0 offset:408
	;; [unrolled: 1-line block ×5, first 2 shown]
	ds_read_b128 v[74:77], v73 offset:656
	s_waitcnt vmcnt(57) lgkmcnt(1)
	v_mul_f64 v[149:150], v[1:2], v[104:105]
	v_mul_f64 v[104:105], v[3:4], v[104:105]
	s_waitcnt vmcnt(56)
	v_fma_f64 v[98:99], v[68:69], v[100:101], -v[98:99]
	v_fma_f64 v[94:95], v[70:71], v[100:101], v[94:95]
	v_add_f64 v[78:79], v[78:79], v[96:97]
	v_add_f64 v[80:81], v[80:81], v[88:89]
	s_clause 0x2
	buffer_load_dword v103, off, s[0:3], 0 offset:412
	buffer_load_dword v89, off, s[0:3], 0 offset:388
	;; [unrolled: 1-line block ×3, first 2 shown]
	s_waitcnt vmcnt(58) lgkmcnt(0)
	v_mul_f64 v[100:101], v[76:77], v[106:107]
	ds_read_b128 v[68:71], v73 offset:672
	s_waitcnt vmcnt(56)
	v_fma_f64 v[104:105], v[1:2], v[110:111], -v[104:105]
	v_mul_f64 v[96:97], v[74:75], v[106:107]
	v_add_f64 v[78:79], v[78:79], v[98:99]
	v_fma_f64 v[98:99], v[3:4], v[110:111], v[149:150]
	v_add_f64 v[80:81], v[80:81], v[94:95]
	s_clause 0x4
	buffer_load_dword v95, off, s[0:3], 0 offset:428
	buffer_load_dword v106, off, s[0:3], 0 offset:440
	buffer_load_dword v110, off, s[0:3], 0 offset:432
	buffer_load_dword v94, off, s[0:3], 0 offset:424
	buffer_load_dword v149, off, s[0:3], 0 offset:404
	s_waitcnt vmcnt(57) lgkmcnt(0)
	v_mul_f64 v[155:156], v[68:69], v[112:113]
	v_mul_f64 v[111:112], v[70:71], v[112:113]
	s_waitcnt vmcnt(56)
	v_fma_f64 v[100:101], v[74:75], v[108:109], -v[100:101]
	ds_read_b128 v[1:4], v73 offset:688
	v_fma_f64 v[96:97], v[76:77], v[108:109], v[96:97]
	v_add_f64 v[78:79], v[78:79], v[104:105]
	v_add_f64 v[80:81], v[80:81], v[98:99]
	s_clause 0x2
	buffer_load_dword v107, off, s[0:3], 0 offset:444
	buffer_load_dword v99, off, s[0:3], 0 offset:420
	buffer_load_dword v98, off, s[0:3], 0 offset:416
	ds_read_b128 v[74:77], v73 offset:704
	s_waitcnt vmcnt(58) lgkmcnt(1)
	v_mul_f64 v[108:109], v[3:4], v[114:115]
	s_waitcnt vmcnt(56)
	v_fma_f64 v[112:113], v[68:69], v[118:119], -v[111:112]
	v_mul_f64 v[104:105], v[1:2], v[114:115]
	v_add_f64 v[78:79], v[78:79], v[100:101]
	v_fma_f64 v[100:101], v[70:71], v[118:119], v[155:156]
	v_add_f64 v[80:81], v[80:81], v[96:97]
	s_clause 0x4
	buffer_load_dword v97, off, s[0:3], 0 offset:460
	buffer_load_dword v114, off, s[0:3], 0 offset:472
	buffer_load_dword v118, off, s[0:3], 0 offset:464
	buffer_load_dword v96, off, s[0:3], 0 offset:456
	buffer_load_dword v111, off, s[0:3], 0 offset:436
	s_waitcnt vmcnt(57) lgkmcnt(0)
	v_mul_f64 v[155:156], v[74:75], v[120:121]
	v_mul_f64 v[119:120], v[76:77], v[120:121]
	s_waitcnt vmcnt(56)
	v_fma_f64 v[108:109], v[1:2], v[116:117], -v[108:109]
	ds_read_b128 v[68:71], v73 offset:720
	v_fma_f64 v[104:105], v[3:4], v[116:117], v[104:105]
	v_add_f64 v[78:79], v[78:79], v[112:113]
	v_add_f64 v[80:81], v[80:81], v[100:101]
	s_clause 0x2
	buffer_load_dword v115, off, s[0:3], 0 offset:476
	buffer_load_dword v101, off, s[0:3], 0 offset:452
	buffer_load_dword v100, off, s[0:3], 0 offset:448
	ds_read_b128 v[1:4], v73 offset:736
	s_waitcnt vmcnt(58) lgkmcnt(1)
	v_mul_f64 v[116:117], v[70:71], v[122:123]
	;; [unrolled: 28-line block ×3, first 2 shown]
	s_waitcnt vmcnt(56)
	v_fma_f64 v[128:129], v[1:2], v[134:135], -v[127:128]
	v_mul_f64 v[120:121], v[74:75], v[130:131]
	buffer_load_dword v127, off, s[0:3], 0 offset:500
	v_add_f64 v[78:79], v[78:79], v[116:117]
	v_fma_f64 v[116:117], v[3:4], v[134:135], v[155:156]
	v_add_f64 v[80:81], v[80:81], v[112:113]
	ds_read_b128 v[1:4], v73 offset:784
	s_waitcnt vmcnt(53) lgkmcnt(1)
	v_mul_f64 v[130:131], v[70:71], v[140:141]
	s_waitcnt vmcnt(52)
	v_fma_f64 v[124:125], v[74:75], v[132:133], -v[124:125]
	v_mul_f64 v[112:113], v[68:69], v[140:141]
	v_fma_f64 v[120:121], v[76:77], v[132:133], v[120:121]
	ds_read_b128 v[74:77], v73 offset:800
	v_add_f64 v[78:79], v[78:79], v[128:129]
	v_add_f64 v[80:81], v[80:81], v[116:117]
	s_waitcnt vmcnt(51) lgkmcnt(1)
	v_mul_f64 v[128:129], v[3:4], v[142:143]
	v_mul_f64 v[116:117], v[1:2], v[142:143]
	s_waitcnt vmcnt(49)
	v_fma_f64 v[130:131], v[68:69], v[138:139], -v[130:131]
	v_fma_f64 v[112:113], v[70:71], v[138:139], v[112:113]
	v_add_f64 v[78:79], v[78:79], v[124:125]
	v_add_f64 v[80:81], v[80:81], v[120:121]
	s_clause 0x3
	buffer_load_dword v120, off, s[0:3], 0 offset:32
	buffer_load_dword v121, off, s[0:3], 0 offset:36
	;; [unrolled: 1-line block ×4, first 2 shown]
	ds_read_b128 v[68:71], v73 offset:816
	s_waitcnt vmcnt(49) lgkmcnt(1)
	v_mul_f64 v[132:133], v[74:75], v[84:85]
	v_mul_f64 v[84:85], v[76:77], v[84:85]
	s_waitcnt vmcnt(48)
	v_fma_f64 v[128:129], v[1:2], v[144:145], -v[128:129]
	v_fma_f64 v[116:117], v[3:4], v[144:145], v[116:117]
	ds_read_b128 v[1:4], v73 offset:832
	v_add_f64 v[78:79], v[78:79], v[130:131]
	v_add_f64 v[80:81], v[80:81], v[112:113]
	s_waitcnt vmcnt(47) lgkmcnt(1)
	v_mul_f64 v[130:131], v[70:71], v[146:147]
	v_mul_f64 v[112:113], v[68:69], v[146:147]
	s_waitcnt vmcnt(45)
	v_fma_f64 v[84:85], v[74:75], v[92:93], -v[84:85]
	v_fma_f64 v[92:93], v[76:77], v[92:93], v[132:133]
	ds_read_b128 v[74:77], v73 offset:848
	v_add_f64 v[78:79], v[78:79], v[128:129]
	v_add_f64 v[80:81], v[80:81], v[116:117]
	s_waitcnt vmcnt(41) lgkmcnt(1)
	v_mul_f64 v[116:117], v[1:2], v[82:83]
	v_mul_f64 v[82:83], v[3:4], v[82:83]
	s_waitcnt vmcnt(40)
	v_fma_f64 v[128:129], v[68:69], v[151:152], -v[130:131]
	v_add_f64 v[78:79], v[78:79], v[84:85]
	v_fma_f64 v[84:85], v[70:71], v[151:152], v[112:113]
	v_add_f64 v[80:81], v[80:81], v[92:93]
	ds_read_b128 v[68:71], v73 offset:864
	s_waitcnt vmcnt(39) lgkmcnt(1)
	v_mul_f64 v[112:113], v[76:77], v[136:137]
	v_mul_f64 v[92:93], v[74:75], v[136:137]
	s_waitcnt vmcnt(37)
	v_fma_f64 v[82:83], v[1:2], v[90:91], -v[82:83]
	v_fma_f64 v[90:91], v[3:4], v[90:91], v[116:117]
	ds_read_b128 v[1:4], v73 offset:880
	v_add_f64 v[78:79], v[78:79], v[128:129]
	v_add_f64 v[80:81], v[80:81], v[84:85]
	s_waitcnt vmcnt(33) lgkmcnt(1)
	v_mul_f64 v[84:85], v[68:69], v[86:87]
	v_mul_f64 v[86:87], v[70:71], v[86:87]
	s_waitcnt vmcnt(32)
	v_fma_f64 v[112:113], v[74:75], v[153:154], -v[112:113]
	v_add_f64 v[78:79], v[78:79], v[82:83]
	v_fma_f64 v[82:83], v[76:77], v[153:154], v[92:93]
	v_add_f64 v[80:81], v[80:81], v[90:91]
	ds_read_b128 v[74:77], v73 offset:896
	s_waitcnt vmcnt(31) lgkmcnt(1)
	v_mul_f64 v[92:93], v[3:4], v[102:103]
	v_mul_f64 v[90:91], v[1:2], v[102:103]
	s_waitcnt vmcnt(29)
	v_fma_f64 v[86:87], v[68:69], v[88:89], -v[86:87]
	v_fma_f64 v[84:85], v[70:71], v[88:89], v[84:85]
	ds_read_b128 v[68:71], v73 offset:912
	v_add_f64 v[78:79], v[78:79], v[112:113]
	v_add_f64 v[80:81], v[80:81], v[82:83]
	s_waitcnt vmcnt(25) lgkmcnt(1)
	v_mul_f64 v[88:89], v[76:77], v[94:95]
	s_waitcnt vmcnt(24)
	v_fma_f64 v[92:93], v[1:2], v[148:149], -v[92:93]
	v_mul_f64 v[82:83], v[74:75], v[94:95]
	v_add_f64 v[78:79], v[78:79], v[86:87]
	v_fma_f64 v[86:87], v[3:4], v[148:149], v[90:91]
	v_add_f64 v[80:81], v[80:81], v[84:85]
	ds_read_b128 v[1:4], v73 offset:928
	s_waitcnt vmcnt(23) lgkmcnt(1)
	v_mul_f64 v[90:91], v[70:71], v[106:107]
	v_mul_f64 v[84:85], v[68:69], v[106:107]
	s_waitcnt vmcnt(21)
	v_fma_f64 v[88:89], v[74:75], v[98:99], -v[88:89]
	v_fma_f64 v[82:83], v[76:77], v[98:99], v[82:83]
	ds_read_b128 v[74:77], v73 offset:944
	v_add_f64 v[78:79], v[78:79], v[92:93]
	v_add_f64 v[80:81], v[80:81], v[86:87]
	s_waitcnt vmcnt(17) lgkmcnt(1)
	v_mul_f64 v[92:93], v[3:4], v[96:97]
	s_waitcnt vmcnt(16)
	v_fma_f64 v[90:91], v[68:69], v[110:111], -v[90:91]
	v_mul_f64 v[86:87], v[1:2], v[96:97]
	v_fma_f64 v[84:85], v[70:71], v[110:111], v[84:85]
	ds_read_b128 v[68:71], v73 offset:960
	v_add_f64 v[78:79], v[78:79], v[88:89]
	v_add_f64 v[80:81], v[80:81], v[82:83]
	s_waitcnt vmcnt(15) lgkmcnt(1)
	v_mul_f64 v[88:89], v[76:77], v[114:115]
	v_mul_f64 v[82:83], v[74:75], v[114:115]
	s_waitcnt vmcnt(13)
	v_fma_f64 v[92:93], v[1:2], v[100:101], -v[92:93]
	v_fma_f64 v[86:87], v[3:4], v[100:101], v[86:87]
	ds_read_b128 v[1:4], v73 offset:976
	v_add_f64 v[78:79], v[78:79], v[90:91]
	v_add_f64 v[80:81], v[80:81], v[84:85]
	s_waitcnt vmcnt(9) lgkmcnt(1)
	v_mul_f64 v[90:91], v[70:71], v[104:105]
	s_waitcnt vmcnt(8)
	v_fma_f64 v[74:75], v[74:75], v[118:119], -v[88:89]
	v_mul_f64 v[84:85], v[68:69], v[104:105]
	v_fma_f64 v[76:77], v[76:77], v[118:119], v[82:83]
	v_add_f64 v[78:79], v[78:79], v[92:93]
	v_add_f64 v[80:81], v[80:81], v[86:87]
	s_waitcnt vmcnt(7) lgkmcnt(0)
	v_mul_f64 v[86:87], v[3:4], v[122:123]
	v_mul_f64 v[82:83], v[1:2], v[122:123]
	s_waitcnt vmcnt(5)
	v_fma_f64 v[68:69], v[68:69], v[108:109], -v[90:91]
	v_fma_f64 v[70:71], v[70:71], v[108:109], v[84:85]
	v_add_f64 v[74:75], v[78:79], v[74:75]
	v_add_f64 v[76:77], v[80:81], v[76:77]
	s_waitcnt vmcnt(4)
	v_fma_f64 v[1:2], v[1:2], v[126:127], -v[86:87]
	v_fma_f64 v[3:4], v[3:4], v[126:127], v[82:83]
	v_add_f64 v[68:69], v[74:75], v[68:69]
	v_add_f64 v[70:71], v[76:77], v[70:71]
	v_add_f64 v[1:2], v[68:69], v[1:2]
	v_add_f64 v[3:4], v[70:71], v[3:4]
	s_waitcnt vmcnt(2)
	v_add_f64 v[1:2], v[120:121], -v[1:2]
	s_waitcnt vmcnt(0)
	v_add_f64 v[3:4], v[124:125], -v[3:4]
	buffer_store_dword v2, off, s[0:3], 0 offset:36
	buffer_store_dword v1, off, s[0:3], 0 offset:32
	buffer_store_dword v4, off, s[0:3], 0 offset:44
	buffer_store_dword v3, off, s[0:3], 0 offset:40
	v_cmpx_ne_u32_e32 0, v0
	s_cbranch_execz .LBB94_199
; %bb.198:
	s_clause 0x3
	buffer_load_dword v0, off, s[0:3], 0 offset:16
	buffer_load_dword v1, off, s[0:3], 0 offset:20
	;; [unrolled: 1-line block ×4, first 2 shown]
	buffer_store_dword v73, off, s[0:3], 0 offset:16
	buffer_store_dword v73, off, s[0:3], 0 offset:20
	;; [unrolled: 1-line block ×4, first 2 shown]
	s_waitcnt vmcnt(0)
	ds_write_b128 v67, v[0:3]
.LBB94_199:
	s_or_b32 exec_lo, exec_lo, s4
	s_waitcnt lgkmcnt(0)
	s_waitcnt_vscnt null, 0x0
	s_barrier
	buffer_gl0_inv
	s_clause 0x37
	buffer_load_dword v71, off, s[0:3], 0 offset:40
	buffer_load_dword v72, off, s[0:3], 0 offset:44
	;; [unrolled: 1-line block ×56, first 2 shown]
	ds_read_b128 v[74:77], v73 offset:512
	s_clause 0x2
	buffer_load_dword v131, off, s[0:3], 0 offset:268
	buffer_load_dword v135, off, s[0:3], 0 offset:244
	;; [unrolled: 1-line block ×3, first 2 shown]
	ds_read_b128 v[78:81], v73 offset:528
	s_clause 0x4
	buffer_load_dword v139, off, s[0:3], 0 offset:284
	buffer_load_dword v140, off, s[0:3], 0 offset:296
	buffer_load_dword v142, off, s[0:3], 0 offset:288
	buffer_load_dword v138, off, s[0:3], 0 offset:280
	buffer_load_dword v133, off, s[0:3], 0 offset:260
	ds_read_b128 v[82:85], v73 offset:544
	s_clause 0x2
	buffer_load_dword v141, off, s[0:3], 0 offset:300
	buffer_load_dword v146, off, s[0:3], 0 offset:276
	;; [unrolled: 1-line block ×3, first 2 shown]
	s_and_b32 vcc_lo, exec_lo, s43
	s_waitcnt vmcnt(62) lgkmcnt(2)
	v_mul_f64 v[136:137], v[76:77], v[71:72]
	v_mul_f64 v[71:72], v[74:75], v[71:72]
	s_waitcnt lgkmcnt(1)
	v_mul_f64 v[143:144], v[80:81], v[67:68]
	s_waitcnt vmcnt(59) lgkmcnt(0)
	v_mul_f64 v[147:148], v[84:85], v[2:3]
	v_fma_f64 v[74:75], v[74:75], v[69:70], -v[136:137]
	v_mul_f64 v[136:137], v[78:79], v[67:68]
	v_fma_f64 v[71:72], v[76:77], v[69:70], v[71:72]
	s_waitcnt vmcnt(57)
	v_fma_f64 v[78:79], v[78:79], v[0:1], -v[143:144]
	ds_read_b128 v[67:70], v73 offset:560
	v_mul_f64 v[76:77], v[82:83], v[2:3]
	s_waitcnt vmcnt(51)
	v_fma_f64 v[82:83], v[82:83], v[92:93], -v[147:148]
	v_add_f64 v[74:75], v[74:75], 0
	v_fma_f64 v[80:81], v[80:81], v[0:1], v[136:137]
	v_add_f64 v[71:72], v[71:72], 0
	s_clause 0x4
	buffer_load_dword v137, off, s[0:3], 0 offset:316
	buffer_load_dword v149, off, s[0:3], 0 offset:328
	buffer_load_dword v151, off, s[0:3], 0 offset:320
	buffer_load_dword v136, off, s[0:3], 0 offset:312
	buffer_load_dword v143, off, s[0:3], 0 offset:292
	s_waitcnt lgkmcnt(0)
	v_mul_f64 v[152:153], v[67:68], v[86:87]
	v_mul_f64 v[86:87], v[69:70], v[86:87]
	ds_read_b128 v[0:3], v73 offset:576
	v_fma_f64 v[84:85], v[84:85], v[92:93], v[76:77]
	v_add_f64 v[78:79], v[74:75], v[78:79]
	v_add_f64 v[71:72], v[71:72], v[80:81]
	s_clause 0x2
	buffer_load_dword v150, off, s[0:3], 0 offset:332
	buffer_load_dword v81, off, s[0:3], 0 offset:308
	;; [unrolled: 1-line block ×3, first 2 shown]
	s_waitcnt vmcnt(58) lgkmcnt(0)
	v_mul_f64 v[92:93], v[0:1], v[88:89]
	v_mul_f64 v[88:89], v[2:3], v[88:89]
	s_waitcnt vmcnt(56)
	v_fma_f64 v[86:87], v[67:68], v[94:95], -v[86:87]
	ds_read_b128 v[74:77], v73 offset:592
	v_add_f64 v[78:79], v[78:79], v[82:83]
	v_fma_f64 v[82:83], v[69:70], v[94:95], v[152:153]
	v_add_f64 v[71:72], v[71:72], v[84:85]
	s_clause 0x4
	buffer_load_dword v85, off, s[0:3], 0 offset:348
	buffer_load_dword v94, off, s[0:3], 0 offset:360
	;; [unrolled: 1-line block ×5, first 2 shown]
	ds_read_b128 v[67:70], v73 offset:608
	s_waitcnt vmcnt(57) lgkmcnt(1)
	v_mul_f64 v[153:154], v[74:75], v[96:97]
	v_mul_f64 v[96:97], v[76:77], v[96:97]
	s_waitcnt vmcnt(56)
	v_fma_f64 v[88:89], v[0:1], v[90:91], -v[88:89]
	v_add_f64 v[78:79], v[78:79], v[86:87]
	v_fma_f64 v[86:87], v[2:3], v[90:91], v[92:93]
	v_add_f64 v[71:72], v[71:72], v[82:83]
	s_clause 0x2
	buffer_load_dword v95, off, s[0:3], 0 offset:364
	buffer_load_dword v83, off, s[0:3], 0 offset:340
	;; [unrolled: 1-line block ×3, first 2 shown]
	s_waitcnt vmcnt(58) lgkmcnt(0)
	v_mul_f64 v[92:93], v[69:70], v[98:99]
	ds_read_b128 v[0:3], v73 offset:624
	s_waitcnt vmcnt(56)
	v_fma_f64 v[96:97], v[74:75], v[102:103], -v[96:97]
	v_mul_f64 v[90:91], v[67:68], v[98:99]
	v_add_f64 v[78:79], v[78:79], v[88:89]
	v_fma_f64 v[88:89], v[76:77], v[102:103], v[153:154]
	v_add_f64 v[71:72], v[71:72], v[86:87]
	s_clause 0x4
	buffer_load_dword v87, off, s[0:3], 0 offset:380
	buffer_load_dword v98, off, s[0:3], 0 offset:392
	buffer_load_dword v102, off, s[0:3], 0 offset:384
	buffer_load_dword v86, off, s[0:3], 0 offset:376
	buffer_load_dword v148, off, s[0:3], 0 offset:356
	s_waitcnt vmcnt(57) lgkmcnt(0)
	v_mul_f64 v[153:154], v[0:1], v[104:105]
	v_mul_f64 v[103:104], v[2:3], v[104:105]
	s_waitcnt vmcnt(56)
	v_fma_f64 v[92:93], v[67:68], v[100:101], -v[92:93]
	ds_read_b128 v[74:77], v73 offset:640
	v_fma_f64 v[90:91], v[69:70], v[100:101], v[90:91]
	v_add_f64 v[78:79], v[78:79], v[96:97]
	v_add_f64 v[71:72], v[71:72], v[88:89]
	s_clause 0x2
	buffer_load_dword v99, off, s[0:3], 0 offset:396
	buffer_load_dword v89, off, s[0:3], 0 offset:372
	buffer_load_dword v88, off, s[0:3], 0 offset:368
	ds_read_b128 v[67:70], v73 offset:656
	s_waitcnt vmcnt(58) lgkmcnt(1)
	v_mul_f64 v[100:101], v[76:77], v[106:107]
	s_waitcnt vmcnt(56)
	v_fma_f64 v[104:105], v[0:1], v[110:111], -v[103:104]
	v_mul_f64 v[96:97], v[74:75], v[106:107]
	v_add_f64 v[78:79], v[78:79], v[92:93]
	v_fma_f64 v[92:93], v[2:3], v[110:111], v[153:154]
	v_add_f64 v[71:72], v[71:72], v[90:91]
	s_clause 0x4
	buffer_load_dword v91, off, s[0:3], 0 offset:412
	buffer_load_dword v106, off, s[0:3], 0 offset:424
	buffer_load_dword v110, off, s[0:3], 0 offset:416
	buffer_load_dword v90, off, s[0:3], 0 offset:408
	buffer_load_dword v103, off, s[0:3], 0 offset:388
	s_waitcnt vmcnt(57) lgkmcnt(0)
	v_mul_f64 v[153:154], v[67:68], v[112:113]
	v_mul_f64 v[111:112], v[69:70], v[112:113]
	s_waitcnt vmcnt(56)
	v_fma_f64 v[100:101], v[74:75], v[108:109], -v[100:101]
	ds_read_b128 v[0:3], v73 offset:672
	v_fma_f64 v[96:97], v[76:77], v[108:109], v[96:97]
	v_add_f64 v[78:79], v[78:79], v[104:105]
	v_add_f64 v[71:72], v[71:72], v[92:93]
	s_clause 0x2
	buffer_load_dword v107, off, s[0:3], 0 offset:428
	buffer_load_dword v93, off, s[0:3], 0 offset:404
	buffer_load_dword v92, off, s[0:3], 0 offset:400
	ds_read_b128 v[74:77], v73 offset:688
	s_waitcnt vmcnt(58) lgkmcnt(1)
	v_mul_f64 v[108:109], v[2:3], v[114:115]
	;; [unrolled: 28-line block ×4, first 2 shown]
	s_waitcnt vmcnt(56)
	v_fma_f64 v[128:129], v[0:1], v[134:135], -v[127:128]
	v_mul_f64 v[120:121], v[74:75], v[130:131]
	v_add_f64 v[78:79], v[78:79], v[116:117]
	v_fma_f64 v[116:117], v[2:3], v[134:135], v[153:154]
	v_add_f64 v[71:72], v[71:72], v[112:113]
	s_clause 0x2
	buffer_load_dword v113, off, s[0:3], 0 offset:508
	buffer_load_dword v112, off, s[0:3], 0 offset:504
	;; [unrolled: 1-line block ×3, first 2 shown]
	s_waitcnt vmcnt(55) lgkmcnt(0)
	v_mul_f64 v[134:135], v[69:70], v[138:139]
	s_waitcnt vmcnt(54)
	v_fma_f64 v[124:125], v[74:75], v[132:133], -v[124:125]
	ds_read_b128 v[0:3], v73 offset:768
	v_mul_f64 v[130:131], v[67:68], v[138:139]
	v_fma_f64 v[120:121], v[76:77], v[132:133], v[120:121]
	v_add_f64 v[78:79], v[78:79], v[128:129]
	v_add_f64 v[71:72], v[71:72], v[116:117]
	s_clause 0x1
	buffer_load_dword v117, off, s[0:3], 0 offset:500
	buffer_load_dword v116, off, s[0:3], 0 offset:496
	s_waitcnt vmcnt(55) lgkmcnt(0)
	v_mul_f64 v[132:133], v[2:3], v[140:141]
	s_waitcnt vmcnt(53)
	v_fma_f64 v[134:135], v[67:68], v[145:146], -v[134:135]
	ds_read_b128 v[74:77], v73 offset:784
	v_mul_f64 v[128:129], v[0:1], v[140:141]
	v_add_f64 v[78:79], v[78:79], v[124:125]
	v_fma_f64 v[124:125], v[69:70], v[145:146], v[130:131]
	v_add_f64 v[71:72], v[71:72], v[120:121]
	ds_read_b128 v[67:70], v73 offset:800
	s_waitcnt vmcnt(49) lgkmcnt(1)
	v_mul_f64 v[130:131], v[76:77], v[136:137]
	s_waitcnt vmcnt(48)
	v_fma_f64 v[132:133], v[0:1], v[142:143], -v[132:133]
	v_mul_f64 v[120:121], v[74:75], v[136:137]
	v_fma_f64 v[128:129], v[2:3], v[142:143], v[128:129]
	v_add_f64 v[78:79], v[78:79], v[134:135]
	v_add_f64 v[71:72], v[71:72], v[124:125]
	s_clause 0x3
	buffer_load_dword v124, off, s[0:3], 0 offset:16
	buffer_load_dword v125, off, s[0:3], 0 offset:20
	;; [unrolled: 1-line block ×4, first 2 shown]
	ds_read_b128 v[0:3], v73 offset:816
	s_waitcnt vmcnt(51) lgkmcnt(1)
	v_mul_f64 v[138:139], v[69:70], v[149:150]
	v_mul_f64 v[136:137], v[67:68], v[149:150]
	s_waitcnt vmcnt(49)
	v_fma_f64 v[130:131], v[74:75], v[80:81], -v[130:131]
	v_fma_f64 v[80:81], v[76:77], v[80:81], v[120:121]
	ds_read_b128 v[74:77], v73 offset:832
	v_add_f64 v[78:79], v[78:79], v[132:133]
	v_add_f64 v[71:72], v[71:72], v[128:129]
	s_waitcnt vmcnt(45) lgkmcnt(1)
	v_mul_f64 v[120:121], v[0:1], v[84:85]
	v_mul_f64 v[84:85], v[2:3], v[84:85]
	s_waitcnt vmcnt(44)
	v_fma_f64 v[128:129], v[67:68], v[151:152], -v[138:139]
	v_add_f64 v[78:79], v[78:79], v[130:131]
	v_fma_f64 v[130:131], v[69:70], v[151:152], v[136:137]
	v_add_f64 v[71:72], v[71:72], v[80:81]
	ds_read_b128 v[67:70], v73 offset:848
	s_waitcnt vmcnt(43) lgkmcnt(1)
	v_mul_f64 v[80:81], v[74:75], v[94:95]
	v_mul_f64 v[94:95], v[76:77], v[94:95]
	s_waitcnt vmcnt(41)
	v_fma_f64 v[84:85], v[0:1], v[82:83], -v[84:85]
	v_fma_f64 v[82:83], v[2:3], v[82:83], v[120:121]
	ds_read_b128 v[0:3], v73 offset:864
	v_add_f64 v[78:79], v[78:79], v[128:129]
	v_add_f64 v[71:72], v[71:72], v[130:131]
	s_waitcnt vmcnt(37) lgkmcnt(1)
	v_mul_f64 v[120:121], v[67:68], v[86:87]
	v_mul_f64 v[86:87], v[69:70], v[86:87]
	s_waitcnt vmcnt(36)
	v_fma_f64 v[94:95], v[74:75], v[147:148], -v[94:95]
	v_fma_f64 v[80:81], v[76:77], v[147:148], v[80:81]
	ds_read_b128 v[74:77], v73 offset:880
	v_add_f64 v[78:79], v[78:79], v[84:85]
	v_add_f64 v[71:72], v[71:72], v[82:83]
	;; [unrolled: 9-line block ×5, first 2 shown]
	s_waitcnt vmcnt(21) lgkmcnt(1)
	v_mul_f64 v[84:85], v[2:3], v[96:97]
	s_waitcnt vmcnt(20)
	v_fma_f64 v[88:89], v[67:68], v[110:111], -v[88:89]
	v_mul_f64 v[82:83], v[0:1], v[96:97]
	v_fma_f64 v[86:87], v[69:70], v[110:111], v[86:87]
	ds_read_b128 v[67:70], v73 offset:944
	v_add_f64 v[78:79], v[78:79], v[90:91]
	v_add_f64 v[71:72], v[71:72], v[80:81]
	s_waitcnt vmcnt(19) lgkmcnt(1)
	v_mul_f64 v[90:91], v[76:77], v[114:115]
	v_mul_f64 v[80:81], v[74:75], v[114:115]
	s_waitcnt vmcnt(17)
	v_fma_f64 v[84:85], v[0:1], v[100:101], -v[84:85]
	v_fma_f64 v[82:83], v[2:3], v[100:101], v[82:83]
	ds_read_b128 v[0:3], v73 offset:960
	v_add_f64 v[78:79], v[78:79], v[88:89]
	v_add_f64 v[71:72], v[71:72], v[86:87]
	s_waitcnt vmcnt(13) lgkmcnt(1)
	v_mul_f64 v[88:89], v[69:70], v[104:105]
	s_waitcnt vmcnt(12)
	v_fma_f64 v[90:91], v[74:75], v[118:119], -v[90:91]
	v_mul_f64 v[86:87], v[67:68], v[104:105]
	v_fma_f64 v[75:76], v[76:77], v[118:119], v[80:81]
	v_add_f64 v[78:79], v[78:79], v[84:85]
	v_add_f64 v[80:81], v[71:72], v[82:83]
	ds_read_b128 v[71:74], v73 offset:976
	s_waitcnt vmcnt(11) lgkmcnt(1)
	v_mul_f64 v[84:85], v[2:3], v[122:123]
	v_mul_f64 v[82:83], v[0:1], v[122:123]
	s_waitcnt vmcnt(9)
	v_fma_f64 v[67:68], v[67:68], v[108:109], -v[88:89]
	v_fma_f64 v[69:70], v[69:70], v[108:109], v[86:87]
	v_add_f64 v[77:78], v[78:79], v[90:91]
	v_add_f64 v[75:76], v[80:81], v[75:76]
	s_waitcnt vmcnt(7) lgkmcnt(0)
	v_mul_f64 v[86:87], v[73:74], v[112:113]
	s_waitcnt vmcnt(6)
	v_fma_f64 v[0:1], v[0:1], v[126:127], -v[84:85]
	v_mul_f64 v[79:80], v[71:72], v[112:113]
	v_fma_f64 v[2:3], v[2:3], v[126:127], v[82:83]
	v_add_f64 v[67:68], v[77:78], v[67:68]
	v_add_f64 v[69:70], v[75:76], v[69:70]
	s_waitcnt vmcnt(4)
	v_fma_f64 v[71:72], v[71:72], v[116:117], -v[86:87]
	v_add_f64 v[0:1], v[67:68], v[0:1]
	v_fma_f64 v[67:68], v[73:74], v[116:117], v[79:80]
	v_add_f64 v[2:3], v[69:70], v[2:3]
	v_add_f64 v[0:1], v[0:1], v[71:72]
	;; [unrolled: 1-line block ×3, first 2 shown]
	s_waitcnt vmcnt(2)
	v_add_f64 v[0:1], v[124:125], -v[0:1]
	s_waitcnt vmcnt(0)
	v_add_f64 v[2:3], v[134:135], -v[2:3]
	buffer_store_dword v1, off, s[0:3], 0 offset:20
	buffer_store_dword v0, off, s[0:3], 0 offset:16
	;; [unrolled: 1-line block ×4, first 2 shown]
	s_cbranch_vccz .LBB94_260
; %bb.200:
	v_mov_b32_e32 v0, 0
	global_load_dword v1, v0, s[12:13] offset:116
	s_waitcnt vmcnt(0)
	v_add_nc_u32_e32 v1, -1, v1
	v_cmp_ne_u32_e32 vcc_lo, 29, v1
	s_cbranch_vccz .LBB94_202
; %bb.201:
	v_lshlrev_b32_e32 v1, 4, v1
	v_mov_b32_e32 v2, s9
	v_add_nc_u32_e32 v1, 16, v1
	s_clause 0x7
	buffer_load_dword v3, v1, s[0:3], 0 offen
	buffer_load_dword v4, v1, s[0:3], 0 offen offset:4
	buffer_load_dword v67, v1, s[0:3], 0 offen offset:8
	;; [unrolled: 1-line block ×6, first 2 shown]
	buffer_load_dword v72, v2, s[0:3], 0 offen
	s_waitcnt vmcnt(7)
	buffer_store_dword v3, v2, s[0:3], 0 offen
	s_waitcnt vmcnt(6)
	buffer_store_dword v4, v2, s[0:3], 0 offen offset:4
	s_waitcnt vmcnt(5)
	buffer_store_dword v67, v2, s[0:3], 0 offen offset:8
	;; [unrolled: 2-line block ×6, first 2 shown]
	s_waitcnt vmcnt(0)
	buffer_store_dword v72, v1, s[0:3], 0 offen
.LBB94_202:
	global_load_dword v0, v0, s[12:13] offset:112
	s_waitcnt vmcnt(0)
	v_add_nc_u32_e32 v0, -1, v0
	v_cmp_eq_u32_e32 vcc_lo, 28, v0
	s_cbranch_vccnz .LBB94_204
; %bb.203:
	v_lshlrev_b32_e32 v0, 4, v0
	v_mov_b32_e32 v1, s14
	v_add_nc_u32_e32 v0, 16, v0
	s_clause 0x7
	buffer_load_dword v2, v0, s[0:3], 0 offen
	buffer_load_dword v3, v0, s[0:3], 0 offen offset:4
	buffer_load_dword v4, v0, s[0:3], 0 offen offset:8
	;; [unrolled: 1-line block ×6, first 2 shown]
	buffer_load_dword v71, v1, s[0:3], 0 offen
	s_waitcnt vmcnt(7)
	buffer_store_dword v2, v1, s[0:3], 0 offen
	s_waitcnt vmcnt(6)
	buffer_store_dword v3, v1, s[0:3], 0 offen offset:4
	s_waitcnt vmcnt(5)
	buffer_store_dword v4, v1, s[0:3], 0 offen offset:8
	;; [unrolled: 2-line block ×6, first 2 shown]
	s_waitcnt vmcnt(0)
	buffer_store_dword v71, v0, s[0:3], 0 offen
.LBB94_204:
	v_mov_b32_e32 v0, 0
	global_load_dword v1, v0, s[12:13] offset:108
	s_waitcnt vmcnt(0)
	v_add_nc_u32_e32 v1, -1, v1
	v_cmp_eq_u32_e32 vcc_lo, 27, v1
	s_cbranch_vccnz .LBB94_206
; %bb.205:
	v_lshlrev_b32_e32 v1, 4, v1
	v_mov_b32_e32 v2, s15
	v_add_nc_u32_e32 v1, 16, v1
	s_clause 0x7
	buffer_load_dword v3, v1, s[0:3], 0 offen
	buffer_load_dword v4, v1, s[0:3], 0 offen offset:4
	buffer_load_dword v67, v1, s[0:3], 0 offen offset:8
	;; [unrolled: 1-line block ×6, first 2 shown]
	buffer_load_dword v72, v2, s[0:3], 0 offen
	s_waitcnt vmcnt(7)
	buffer_store_dword v3, v2, s[0:3], 0 offen
	s_waitcnt vmcnt(6)
	buffer_store_dword v4, v2, s[0:3], 0 offen offset:4
	s_waitcnt vmcnt(5)
	buffer_store_dword v67, v2, s[0:3], 0 offen offset:8
	;; [unrolled: 2-line block ×6, first 2 shown]
	s_waitcnt vmcnt(0)
	buffer_store_dword v72, v1, s[0:3], 0 offen
.LBB94_206:
	global_load_dword v0, v0, s[12:13] offset:104
	s_waitcnt vmcnt(0)
	v_add_nc_u32_e32 v0, -1, v0
	v_cmp_eq_u32_e32 vcc_lo, 26, v0
	s_cbranch_vccnz .LBB94_208
; %bb.207:
	v_lshlrev_b32_e32 v0, 4, v0
	v_mov_b32_e32 v1, s16
	v_add_nc_u32_e32 v0, 16, v0
	s_clause 0x7
	buffer_load_dword v2, v0, s[0:3], 0 offen
	buffer_load_dword v3, v0, s[0:3], 0 offen offset:4
	buffer_load_dword v4, v0, s[0:3], 0 offen offset:8
	;; [unrolled: 1-line block ×6, first 2 shown]
	buffer_load_dword v71, v1, s[0:3], 0 offen
	s_waitcnt vmcnt(7)
	buffer_store_dword v2, v1, s[0:3], 0 offen
	s_waitcnt vmcnt(6)
	buffer_store_dword v3, v1, s[0:3], 0 offen offset:4
	s_waitcnt vmcnt(5)
	buffer_store_dword v4, v1, s[0:3], 0 offen offset:8
	s_waitcnt vmcnt(4)
	buffer_store_dword v67, v1, s[0:3], 0 offen offset:12
	s_waitcnt vmcnt(3)
	buffer_store_dword v68, v0, s[0:3], 0 offen offset:12
	s_waitcnt vmcnt(2)
	buffer_store_dword v69, v0, s[0:3], 0 offen offset:8
	s_waitcnt vmcnt(1)
	buffer_store_dword v70, v0, s[0:3], 0 offen offset:4
	s_waitcnt vmcnt(0)
	buffer_store_dword v71, v0, s[0:3], 0 offen
.LBB94_208:
	v_mov_b32_e32 v0, 0
	global_load_dword v1, v0, s[12:13] offset:100
	s_waitcnt vmcnt(0)
	v_add_nc_u32_e32 v1, -1, v1
	v_cmp_eq_u32_e32 vcc_lo, 25, v1
	s_cbranch_vccnz .LBB94_210
; %bb.209:
	v_lshlrev_b32_e32 v1, 4, v1
	v_mov_b32_e32 v2, s17
	v_add_nc_u32_e32 v1, 16, v1
	s_clause 0x7
	buffer_load_dword v3, v1, s[0:3], 0 offen
	buffer_load_dword v4, v1, s[0:3], 0 offen offset:4
	buffer_load_dword v67, v1, s[0:3], 0 offen offset:8
	;; [unrolled: 1-line block ×6, first 2 shown]
	buffer_load_dword v72, v2, s[0:3], 0 offen
	s_waitcnt vmcnt(7)
	buffer_store_dword v3, v2, s[0:3], 0 offen
	s_waitcnt vmcnt(6)
	buffer_store_dword v4, v2, s[0:3], 0 offen offset:4
	s_waitcnt vmcnt(5)
	buffer_store_dword v67, v2, s[0:3], 0 offen offset:8
	;; [unrolled: 2-line block ×6, first 2 shown]
	s_waitcnt vmcnt(0)
	buffer_store_dword v72, v1, s[0:3], 0 offen
.LBB94_210:
	global_load_dword v0, v0, s[12:13] offset:96
	s_waitcnt vmcnt(0)
	v_add_nc_u32_e32 v0, -1, v0
	v_cmp_eq_u32_e32 vcc_lo, 24, v0
	s_cbranch_vccnz .LBB94_212
; %bb.211:
	v_lshlrev_b32_e32 v0, 4, v0
	v_mov_b32_e32 v1, s18
	v_add_nc_u32_e32 v0, 16, v0
	s_clause 0x7
	buffer_load_dword v2, v0, s[0:3], 0 offen
	buffer_load_dword v3, v0, s[0:3], 0 offen offset:4
	buffer_load_dword v4, v0, s[0:3], 0 offen offset:8
	;; [unrolled: 1-line block ×6, first 2 shown]
	buffer_load_dword v71, v1, s[0:3], 0 offen
	s_waitcnt vmcnt(7)
	buffer_store_dword v2, v1, s[0:3], 0 offen
	s_waitcnt vmcnt(6)
	buffer_store_dword v3, v1, s[0:3], 0 offen offset:4
	s_waitcnt vmcnt(5)
	buffer_store_dword v4, v1, s[0:3], 0 offen offset:8
	;; [unrolled: 2-line block ×6, first 2 shown]
	s_waitcnt vmcnt(0)
	buffer_store_dword v71, v0, s[0:3], 0 offen
.LBB94_212:
	v_mov_b32_e32 v0, 0
	global_load_dword v1, v0, s[12:13] offset:92
	s_waitcnt vmcnt(0)
	v_add_nc_u32_e32 v1, -1, v1
	v_cmp_eq_u32_e32 vcc_lo, 23, v1
	s_cbranch_vccnz .LBB94_214
; %bb.213:
	v_lshlrev_b32_e32 v1, 4, v1
	v_mov_b32_e32 v2, s19
	v_add_nc_u32_e32 v1, 16, v1
	s_clause 0x7
	buffer_load_dword v3, v1, s[0:3], 0 offen
	buffer_load_dword v4, v1, s[0:3], 0 offen offset:4
	buffer_load_dword v67, v1, s[0:3], 0 offen offset:8
	;; [unrolled: 1-line block ×6, first 2 shown]
	buffer_load_dword v72, v2, s[0:3], 0 offen
	s_waitcnt vmcnt(7)
	buffer_store_dword v3, v2, s[0:3], 0 offen
	s_waitcnt vmcnt(6)
	buffer_store_dword v4, v2, s[0:3], 0 offen offset:4
	s_waitcnt vmcnt(5)
	buffer_store_dword v67, v2, s[0:3], 0 offen offset:8
	;; [unrolled: 2-line block ×6, first 2 shown]
	s_waitcnt vmcnt(0)
	buffer_store_dword v72, v1, s[0:3], 0 offen
.LBB94_214:
	global_load_dword v0, v0, s[12:13] offset:88
	s_waitcnt vmcnt(0)
	v_add_nc_u32_e32 v0, -1, v0
	v_cmp_eq_u32_e32 vcc_lo, 22, v0
	s_cbranch_vccnz .LBB94_216
; %bb.215:
	v_lshlrev_b32_e32 v0, 4, v0
	v_mov_b32_e32 v1, s20
	v_add_nc_u32_e32 v0, 16, v0
	s_clause 0x7
	buffer_load_dword v2, v0, s[0:3], 0 offen
	buffer_load_dword v3, v0, s[0:3], 0 offen offset:4
	buffer_load_dword v4, v0, s[0:3], 0 offen offset:8
	;; [unrolled: 1-line block ×6, first 2 shown]
	buffer_load_dword v71, v1, s[0:3], 0 offen
	s_waitcnt vmcnt(7)
	buffer_store_dword v2, v1, s[0:3], 0 offen
	s_waitcnt vmcnt(6)
	buffer_store_dword v3, v1, s[0:3], 0 offen offset:4
	s_waitcnt vmcnt(5)
	buffer_store_dword v4, v1, s[0:3], 0 offen offset:8
	;; [unrolled: 2-line block ×6, first 2 shown]
	s_waitcnt vmcnt(0)
	buffer_store_dword v71, v0, s[0:3], 0 offen
.LBB94_216:
	v_mov_b32_e32 v0, 0
	global_load_dword v1, v0, s[12:13] offset:84
	s_waitcnt vmcnt(0)
	v_add_nc_u32_e32 v1, -1, v1
	v_cmp_eq_u32_e32 vcc_lo, 21, v1
	s_cbranch_vccnz .LBB94_218
; %bb.217:
	v_lshlrev_b32_e32 v1, 4, v1
	v_mov_b32_e32 v2, s21
	v_add_nc_u32_e32 v1, 16, v1
	s_clause 0x7
	buffer_load_dword v3, v1, s[0:3], 0 offen
	buffer_load_dword v4, v1, s[0:3], 0 offen offset:4
	buffer_load_dword v67, v1, s[0:3], 0 offen offset:8
	;; [unrolled: 1-line block ×6, first 2 shown]
	buffer_load_dword v72, v2, s[0:3], 0 offen
	s_waitcnt vmcnt(7)
	buffer_store_dword v3, v2, s[0:3], 0 offen
	s_waitcnt vmcnt(6)
	buffer_store_dword v4, v2, s[0:3], 0 offen offset:4
	s_waitcnt vmcnt(5)
	buffer_store_dword v67, v2, s[0:3], 0 offen offset:8
	;; [unrolled: 2-line block ×6, first 2 shown]
	s_waitcnt vmcnt(0)
	buffer_store_dword v72, v1, s[0:3], 0 offen
.LBB94_218:
	global_load_dword v0, v0, s[12:13] offset:80
	s_waitcnt vmcnt(0)
	v_add_nc_u32_e32 v0, -1, v0
	v_cmp_eq_u32_e32 vcc_lo, 20, v0
	s_cbranch_vccnz .LBB94_220
; %bb.219:
	v_lshlrev_b32_e32 v0, 4, v0
	v_mov_b32_e32 v1, s22
	v_add_nc_u32_e32 v0, 16, v0
	s_clause 0x7
	buffer_load_dword v2, v0, s[0:3], 0 offen
	buffer_load_dword v3, v0, s[0:3], 0 offen offset:4
	buffer_load_dword v4, v0, s[0:3], 0 offen offset:8
	buffer_load_dword v67, v0, s[0:3], 0 offen offset:12
	buffer_load_dword v68, v1, s[0:3], 0 offen offset:12
	buffer_load_dword v69, v1, s[0:3], 0 offen offset:8
	buffer_load_dword v70, v1, s[0:3], 0 offen offset:4
	buffer_load_dword v71, v1, s[0:3], 0 offen
	s_waitcnt vmcnt(7)
	buffer_store_dword v2, v1, s[0:3], 0 offen
	s_waitcnt vmcnt(6)
	buffer_store_dword v3, v1, s[0:3], 0 offen offset:4
	s_waitcnt vmcnt(5)
	buffer_store_dword v4, v1, s[0:3], 0 offen offset:8
	;; [unrolled: 2-line block ×6, first 2 shown]
	s_waitcnt vmcnt(0)
	buffer_store_dword v71, v0, s[0:3], 0 offen
.LBB94_220:
	v_mov_b32_e32 v0, 0
	global_load_dword v1, v0, s[12:13] offset:76
	s_waitcnt vmcnt(0)
	v_add_nc_u32_e32 v1, -1, v1
	v_cmp_eq_u32_e32 vcc_lo, 19, v1
	s_cbranch_vccnz .LBB94_222
; %bb.221:
	v_lshlrev_b32_e32 v1, 4, v1
	v_mov_b32_e32 v2, s23
	v_add_nc_u32_e32 v1, 16, v1
	s_clause 0x7
	buffer_load_dword v3, v1, s[0:3], 0 offen
	buffer_load_dword v4, v1, s[0:3], 0 offen offset:4
	buffer_load_dword v67, v1, s[0:3], 0 offen offset:8
	;; [unrolled: 1-line block ×6, first 2 shown]
	buffer_load_dword v72, v2, s[0:3], 0 offen
	s_waitcnt vmcnt(7)
	buffer_store_dword v3, v2, s[0:3], 0 offen
	s_waitcnt vmcnt(6)
	buffer_store_dword v4, v2, s[0:3], 0 offen offset:4
	s_waitcnt vmcnt(5)
	buffer_store_dword v67, v2, s[0:3], 0 offen offset:8
	;; [unrolled: 2-line block ×6, first 2 shown]
	s_waitcnt vmcnt(0)
	buffer_store_dword v72, v1, s[0:3], 0 offen
.LBB94_222:
	global_load_dword v0, v0, s[12:13] offset:72
	s_waitcnt vmcnt(0)
	v_add_nc_u32_e32 v0, -1, v0
	v_cmp_eq_u32_e32 vcc_lo, 18, v0
	s_cbranch_vccnz .LBB94_224
; %bb.223:
	v_lshlrev_b32_e32 v0, 4, v0
	v_mov_b32_e32 v1, s24
	v_add_nc_u32_e32 v0, 16, v0
	s_clause 0x7
	buffer_load_dword v2, v0, s[0:3], 0 offen
	buffer_load_dword v3, v0, s[0:3], 0 offen offset:4
	buffer_load_dword v4, v0, s[0:3], 0 offen offset:8
	;; [unrolled: 1-line block ×6, first 2 shown]
	buffer_load_dword v71, v1, s[0:3], 0 offen
	s_waitcnt vmcnt(7)
	buffer_store_dword v2, v1, s[0:3], 0 offen
	s_waitcnt vmcnt(6)
	buffer_store_dword v3, v1, s[0:3], 0 offen offset:4
	s_waitcnt vmcnt(5)
	buffer_store_dword v4, v1, s[0:3], 0 offen offset:8
	;; [unrolled: 2-line block ×6, first 2 shown]
	s_waitcnt vmcnt(0)
	buffer_store_dword v71, v0, s[0:3], 0 offen
.LBB94_224:
	v_mov_b32_e32 v0, 0
	global_load_dword v1, v0, s[12:13] offset:68
	s_waitcnt vmcnt(0)
	v_add_nc_u32_e32 v1, -1, v1
	v_cmp_eq_u32_e32 vcc_lo, 17, v1
	s_cbranch_vccnz .LBB94_226
; %bb.225:
	v_lshlrev_b32_e32 v1, 4, v1
	v_mov_b32_e32 v2, s25
	v_add_nc_u32_e32 v1, 16, v1
	s_clause 0x7
	buffer_load_dword v3, v1, s[0:3], 0 offen
	buffer_load_dword v4, v1, s[0:3], 0 offen offset:4
	buffer_load_dword v67, v1, s[0:3], 0 offen offset:8
	;; [unrolled: 1-line block ×6, first 2 shown]
	buffer_load_dword v72, v2, s[0:3], 0 offen
	s_waitcnt vmcnt(7)
	buffer_store_dword v3, v2, s[0:3], 0 offen
	s_waitcnt vmcnt(6)
	buffer_store_dword v4, v2, s[0:3], 0 offen offset:4
	s_waitcnt vmcnt(5)
	buffer_store_dword v67, v2, s[0:3], 0 offen offset:8
	;; [unrolled: 2-line block ×6, first 2 shown]
	s_waitcnt vmcnt(0)
	buffer_store_dword v72, v1, s[0:3], 0 offen
.LBB94_226:
	global_load_dword v0, v0, s[12:13] offset:64
	s_waitcnt vmcnt(0)
	v_add_nc_u32_e32 v0, -1, v0
	v_cmp_eq_u32_e32 vcc_lo, 16, v0
	s_cbranch_vccnz .LBB94_228
; %bb.227:
	v_lshlrev_b32_e32 v0, 4, v0
	v_mov_b32_e32 v1, s26
	v_add_nc_u32_e32 v0, 16, v0
	s_clause 0x7
	buffer_load_dword v2, v0, s[0:3], 0 offen
	buffer_load_dword v3, v0, s[0:3], 0 offen offset:4
	buffer_load_dword v4, v0, s[0:3], 0 offen offset:8
	buffer_load_dword v67, v0, s[0:3], 0 offen offset:12
	buffer_load_dword v68, v1, s[0:3], 0 offen offset:12
	buffer_load_dword v69, v1, s[0:3], 0 offen offset:8
	buffer_load_dword v70, v1, s[0:3], 0 offen offset:4
	buffer_load_dword v71, v1, s[0:3], 0 offen
	s_waitcnt vmcnt(7)
	buffer_store_dword v2, v1, s[0:3], 0 offen
	s_waitcnt vmcnt(6)
	buffer_store_dword v3, v1, s[0:3], 0 offen offset:4
	s_waitcnt vmcnt(5)
	buffer_store_dword v4, v1, s[0:3], 0 offen offset:8
	;; [unrolled: 2-line block ×6, first 2 shown]
	s_waitcnt vmcnt(0)
	buffer_store_dword v71, v0, s[0:3], 0 offen
.LBB94_228:
	v_mov_b32_e32 v0, 0
	global_load_dword v1, v0, s[12:13] offset:60
	s_waitcnt vmcnt(0)
	v_add_nc_u32_e32 v1, -1, v1
	v_cmp_eq_u32_e32 vcc_lo, 15, v1
	s_cbranch_vccnz .LBB94_230
; %bb.229:
	v_lshlrev_b32_e32 v1, 4, v1
	v_mov_b32_e32 v2, s27
	v_add_nc_u32_e32 v1, 16, v1
	s_clause 0x7
	buffer_load_dword v3, v1, s[0:3], 0 offen
	buffer_load_dword v4, v1, s[0:3], 0 offen offset:4
	buffer_load_dword v67, v1, s[0:3], 0 offen offset:8
	;; [unrolled: 1-line block ×6, first 2 shown]
	buffer_load_dword v72, v2, s[0:3], 0 offen
	s_waitcnt vmcnt(7)
	buffer_store_dword v3, v2, s[0:3], 0 offen
	s_waitcnt vmcnt(6)
	buffer_store_dword v4, v2, s[0:3], 0 offen offset:4
	s_waitcnt vmcnt(5)
	buffer_store_dword v67, v2, s[0:3], 0 offen offset:8
	;; [unrolled: 2-line block ×6, first 2 shown]
	s_waitcnt vmcnt(0)
	buffer_store_dword v72, v1, s[0:3], 0 offen
.LBB94_230:
	global_load_dword v0, v0, s[12:13] offset:56
	s_waitcnt vmcnt(0)
	v_add_nc_u32_e32 v0, -1, v0
	v_cmp_eq_u32_e32 vcc_lo, 14, v0
	s_cbranch_vccnz .LBB94_232
; %bb.231:
	v_lshlrev_b32_e32 v0, 4, v0
	v_mov_b32_e32 v1, s28
	v_add_nc_u32_e32 v0, 16, v0
	s_clause 0x7
	buffer_load_dword v2, v0, s[0:3], 0 offen
	buffer_load_dword v3, v0, s[0:3], 0 offen offset:4
	buffer_load_dword v4, v0, s[0:3], 0 offen offset:8
	;; [unrolled: 1-line block ×6, first 2 shown]
	buffer_load_dword v71, v1, s[0:3], 0 offen
	s_waitcnt vmcnt(7)
	buffer_store_dword v2, v1, s[0:3], 0 offen
	s_waitcnt vmcnt(6)
	buffer_store_dword v3, v1, s[0:3], 0 offen offset:4
	s_waitcnt vmcnt(5)
	buffer_store_dword v4, v1, s[0:3], 0 offen offset:8
	;; [unrolled: 2-line block ×6, first 2 shown]
	s_waitcnt vmcnt(0)
	buffer_store_dword v71, v0, s[0:3], 0 offen
.LBB94_232:
	v_mov_b32_e32 v0, 0
	global_load_dword v1, v0, s[12:13] offset:52
	s_waitcnt vmcnt(0)
	v_add_nc_u32_e32 v1, -1, v1
	v_cmp_eq_u32_e32 vcc_lo, 13, v1
	s_cbranch_vccnz .LBB94_234
; %bb.233:
	v_lshlrev_b32_e32 v1, 4, v1
	v_mov_b32_e32 v2, s29
	v_add_nc_u32_e32 v1, 16, v1
	s_clause 0x7
	buffer_load_dword v3, v1, s[0:3], 0 offen
	buffer_load_dword v4, v1, s[0:3], 0 offen offset:4
	buffer_load_dword v67, v1, s[0:3], 0 offen offset:8
	buffer_load_dword v68, v1, s[0:3], 0 offen offset:12
	buffer_load_dword v69, v2, s[0:3], 0 offen offset:12
	buffer_load_dword v70, v2, s[0:3], 0 offen offset:8
	buffer_load_dword v71, v2, s[0:3], 0 offen offset:4
	buffer_load_dword v72, v2, s[0:3], 0 offen
	s_waitcnt vmcnt(7)
	buffer_store_dword v3, v2, s[0:3], 0 offen
	s_waitcnt vmcnt(6)
	buffer_store_dword v4, v2, s[0:3], 0 offen offset:4
	s_waitcnt vmcnt(5)
	buffer_store_dword v67, v2, s[0:3], 0 offen offset:8
	;; [unrolled: 2-line block ×6, first 2 shown]
	s_waitcnt vmcnt(0)
	buffer_store_dword v72, v1, s[0:3], 0 offen
.LBB94_234:
	global_load_dword v0, v0, s[12:13] offset:48
	s_waitcnt vmcnt(0)
	v_add_nc_u32_e32 v0, -1, v0
	v_cmp_eq_u32_e32 vcc_lo, 12, v0
	s_cbranch_vccnz .LBB94_236
; %bb.235:
	v_lshlrev_b32_e32 v0, 4, v0
	v_mov_b32_e32 v1, s30
	v_add_nc_u32_e32 v0, 16, v0
	s_clause 0x7
	buffer_load_dword v2, v0, s[0:3], 0 offen
	buffer_load_dword v3, v0, s[0:3], 0 offen offset:4
	buffer_load_dword v4, v0, s[0:3], 0 offen offset:8
	;; [unrolled: 1-line block ×6, first 2 shown]
	buffer_load_dword v71, v1, s[0:3], 0 offen
	s_waitcnt vmcnt(7)
	buffer_store_dword v2, v1, s[0:3], 0 offen
	s_waitcnt vmcnt(6)
	buffer_store_dword v3, v1, s[0:3], 0 offen offset:4
	s_waitcnt vmcnt(5)
	buffer_store_dword v4, v1, s[0:3], 0 offen offset:8
	;; [unrolled: 2-line block ×6, first 2 shown]
	s_waitcnt vmcnt(0)
	buffer_store_dword v71, v0, s[0:3], 0 offen
.LBB94_236:
	v_mov_b32_e32 v0, 0
	global_load_dword v1, v0, s[12:13] offset:44
	s_waitcnt vmcnt(0)
	v_add_nc_u32_e32 v1, -1, v1
	v_cmp_eq_u32_e32 vcc_lo, 11, v1
	s_cbranch_vccnz .LBB94_238
; %bb.237:
	v_lshlrev_b32_e32 v1, 4, v1
	v_mov_b32_e32 v2, s31
	v_add_nc_u32_e32 v1, 16, v1
	s_clause 0x7
	buffer_load_dword v3, v1, s[0:3], 0 offen
	buffer_load_dword v4, v1, s[0:3], 0 offen offset:4
	buffer_load_dword v67, v1, s[0:3], 0 offen offset:8
	buffer_load_dword v68, v1, s[0:3], 0 offen offset:12
	buffer_load_dword v69, v2, s[0:3], 0 offen offset:12
	buffer_load_dword v70, v2, s[0:3], 0 offen offset:8
	buffer_load_dword v71, v2, s[0:3], 0 offen offset:4
	buffer_load_dword v72, v2, s[0:3], 0 offen
	s_waitcnt vmcnt(7)
	buffer_store_dword v3, v2, s[0:3], 0 offen
	s_waitcnt vmcnt(6)
	buffer_store_dword v4, v2, s[0:3], 0 offen offset:4
	s_waitcnt vmcnt(5)
	buffer_store_dword v67, v2, s[0:3], 0 offen offset:8
	;; [unrolled: 2-line block ×6, first 2 shown]
	s_waitcnt vmcnt(0)
	buffer_store_dword v72, v1, s[0:3], 0 offen
.LBB94_238:
	global_load_dword v0, v0, s[12:13] offset:40
	s_waitcnt vmcnt(0)
	v_add_nc_u32_e32 v0, -1, v0
	v_cmp_eq_u32_e32 vcc_lo, 10, v0
	s_cbranch_vccnz .LBB94_240
; %bb.239:
	v_lshlrev_b32_e32 v0, 4, v0
	v_mov_b32_e32 v1, s33
	v_add_nc_u32_e32 v0, 16, v0
	s_clause 0x7
	buffer_load_dword v2, v0, s[0:3], 0 offen
	buffer_load_dword v3, v0, s[0:3], 0 offen offset:4
	buffer_load_dword v4, v0, s[0:3], 0 offen offset:8
	;; [unrolled: 1-line block ×6, first 2 shown]
	buffer_load_dword v71, v1, s[0:3], 0 offen
	s_waitcnt vmcnt(7)
	buffer_store_dword v2, v1, s[0:3], 0 offen
	s_waitcnt vmcnt(6)
	buffer_store_dword v3, v1, s[0:3], 0 offen offset:4
	s_waitcnt vmcnt(5)
	buffer_store_dword v4, v1, s[0:3], 0 offen offset:8
	;; [unrolled: 2-line block ×6, first 2 shown]
	s_waitcnt vmcnt(0)
	buffer_store_dword v71, v0, s[0:3], 0 offen
.LBB94_240:
	v_mov_b32_e32 v0, 0
	global_load_dword v1, v0, s[12:13] offset:36
	s_waitcnt vmcnt(0)
	v_add_nc_u32_e32 v1, -1, v1
	v_cmp_eq_u32_e32 vcc_lo, 9, v1
	s_cbranch_vccnz .LBB94_242
; %bb.241:
	v_lshlrev_b32_e32 v1, 4, v1
	v_mov_b32_e32 v2, s34
	v_add_nc_u32_e32 v1, 16, v1
	s_clause 0x7
	buffer_load_dword v3, v1, s[0:3], 0 offen
	buffer_load_dword v4, v1, s[0:3], 0 offen offset:4
	buffer_load_dword v67, v1, s[0:3], 0 offen offset:8
	;; [unrolled: 1-line block ×6, first 2 shown]
	buffer_load_dword v72, v2, s[0:3], 0 offen
	s_waitcnt vmcnt(7)
	buffer_store_dword v3, v2, s[0:3], 0 offen
	s_waitcnt vmcnt(6)
	buffer_store_dword v4, v2, s[0:3], 0 offen offset:4
	s_waitcnt vmcnt(5)
	buffer_store_dword v67, v2, s[0:3], 0 offen offset:8
	;; [unrolled: 2-line block ×6, first 2 shown]
	s_waitcnt vmcnt(0)
	buffer_store_dword v72, v1, s[0:3], 0 offen
.LBB94_242:
	global_load_dword v0, v0, s[12:13] offset:32
	s_waitcnt vmcnt(0)
	v_add_nc_u32_e32 v0, -1, v0
	v_cmp_eq_u32_e32 vcc_lo, 8, v0
	s_cbranch_vccnz .LBB94_244
; %bb.243:
	v_lshlrev_b32_e32 v0, 4, v0
	v_mov_b32_e32 v1, s35
	v_add_nc_u32_e32 v0, 16, v0
	s_clause 0x7
	buffer_load_dword v2, v0, s[0:3], 0 offen
	buffer_load_dword v3, v0, s[0:3], 0 offen offset:4
	buffer_load_dword v4, v0, s[0:3], 0 offen offset:8
	buffer_load_dword v67, v0, s[0:3], 0 offen offset:12
	buffer_load_dword v68, v1, s[0:3], 0 offen offset:12
	buffer_load_dword v69, v1, s[0:3], 0 offen offset:8
	buffer_load_dword v70, v1, s[0:3], 0 offen offset:4
	buffer_load_dword v71, v1, s[0:3], 0 offen
	s_waitcnt vmcnt(7)
	buffer_store_dword v2, v1, s[0:3], 0 offen
	s_waitcnt vmcnt(6)
	buffer_store_dword v3, v1, s[0:3], 0 offen offset:4
	s_waitcnt vmcnt(5)
	buffer_store_dword v4, v1, s[0:3], 0 offen offset:8
	s_waitcnt vmcnt(4)
	buffer_store_dword v67, v1, s[0:3], 0 offen offset:12
	s_waitcnt vmcnt(3)
	buffer_store_dword v68, v0, s[0:3], 0 offen offset:12
	s_waitcnt vmcnt(2)
	buffer_store_dword v69, v0, s[0:3], 0 offen offset:8
	s_waitcnt vmcnt(1)
	buffer_store_dword v70, v0, s[0:3], 0 offen offset:4
	s_waitcnt vmcnt(0)
	buffer_store_dword v71, v0, s[0:3], 0 offen
.LBB94_244:
	v_mov_b32_e32 v0, 0
	global_load_dword v1, v0, s[12:13] offset:28
	s_waitcnt vmcnt(0)
	v_add_nc_u32_e32 v1, -1, v1
	v_cmp_eq_u32_e32 vcc_lo, 7, v1
	s_cbranch_vccnz .LBB94_246
; %bb.245:
	v_lshlrev_b32_e32 v1, 4, v1
	v_mov_b32_e32 v2, s36
	v_add_nc_u32_e32 v1, 16, v1
	s_clause 0x7
	buffer_load_dword v3, v1, s[0:3], 0 offen
	buffer_load_dword v4, v1, s[0:3], 0 offen offset:4
	buffer_load_dword v67, v1, s[0:3], 0 offen offset:8
	;; [unrolled: 1-line block ×6, first 2 shown]
	buffer_load_dword v72, v2, s[0:3], 0 offen
	s_waitcnt vmcnt(7)
	buffer_store_dword v3, v2, s[0:3], 0 offen
	s_waitcnt vmcnt(6)
	buffer_store_dword v4, v2, s[0:3], 0 offen offset:4
	s_waitcnt vmcnt(5)
	buffer_store_dword v67, v2, s[0:3], 0 offen offset:8
	;; [unrolled: 2-line block ×6, first 2 shown]
	s_waitcnt vmcnt(0)
	buffer_store_dword v72, v1, s[0:3], 0 offen
.LBB94_246:
	global_load_dword v0, v0, s[12:13] offset:24
	s_waitcnt vmcnt(0)
	v_add_nc_u32_e32 v0, -1, v0
	v_cmp_eq_u32_e32 vcc_lo, 6, v0
	s_cbranch_vccnz .LBB94_248
; %bb.247:
	v_lshlrev_b32_e32 v0, 4, v0
	v_mov_b32_e32 v1, s37
	v_add_nc_u32_e32 v0, 16, v0
	s_clause 0x7
	buffer_load_dword v2, v0, s[0:3], 0 offen
	buffer_load_dword v3, v0, s[0:3], 0 offen offset:4
	buffer_load_dword v4, v0, s[0:3], 0 offen offset:8
	;; [unrolled: 1-line block ×6, first 2 shown]
	buffer_load_dword v71, v1, s[0:3], 0 offen
	s_waitcnt vmcnt(7)
	buffer_store_dword v2, v1, s[0:3], 0 offen
	s_waitcnt vmcnt(6)
	buffer_store_dword v3, v1, s[0:3], 0 offen offset:4
	s_waitcnt vmcnt(5)
	buffer_store_dword v4, v1, s[0:3], 0 offen offset:8
	;; [unrolled: 2-line block ×6, first 2 shown]
	s_waitcnt vmcnt(0)
	buffer_store_dword v71, v0, s[0:3], 0 offen
.LBB94_248:
	v_mov_b32_e32 v0, 0
	global_load_dword v1, v0, s[12:13] offset:20
	s_waitcnt vmcnt(0)
	v_add_nc_u32_e32 v1, -1, v1
	v_cmp_eq_u32_e32 vcc_lo, 5, v1
	s_cbranch_vccnz .LBB94_250
; %bb.249:
	v_lshlrev_b32_e32 v1, 4, v1
	v_mov_b32_e32 v2, s38
	v_add_nc_u32_e32 v1, 16, v1
	s_clause 0x7
	buffer_load_dword v3, v1, s[0:3], 0 offen
	buffer_load_dword v4, v1, s[0:3], 0 offen offset:4
	buffer_load_dword v67, v1, s[0:3], 0 offen offset:8
	;; [unrolled: 1-line block ×6, first 2 shown]
	buffer_load_dword v72, v2, s[0:3], 0 offen
	s_waitcnt vmcnt(7)
	buffer_store_dword v3, v2, s[0:3], 0 offen
	s_waitcnt vmcnt(6)
	buffer_store_dword v4, v2, s[0:3], 0 offen offset:4
	s_waitcnt vmcnt(5)
	buffer_store_dword v67, v2, s[0:3], 0 offen offset:8
	;; [unrolled: 2-line block ×6, first 2 shown]
	s_waitcnt vmcnt(0)
	buffer_store_dword v72, v1, s[0:3], 0 offen
.LBB94_250:
	global_load_dword v0, v0, s[12:13] offset:16
	s_waitcnt vmcnt(0)
	v_add_nc_u32_e32 v0, -1, v0
	v_cmp_eq_u32_e32 vcc_lo, 4, v0
	s_cbranch_vccnz .LBB94_252
; %bb.251:
	v_lshlrev_b32_e32 v0, 4, v0
	v_mov_b32_e32 v1, s39
	v_add_nc_u32_e32 v0, 16, v0
	s_clause 0x7
	buffer_load_dword v2, v0, s[0:3], 0 offen
	buffer_load_dword v3, v0, s[0:3], 0 offen offset:4
	buffer_load_dword v4, v0, s[0:3], 0 offen offset:8
	;; [unrolled: 1-line block ×6, first 2 shown]
	buffer_load_dword v71, v1, s[0:3], 0 offen
	s_waitcnt vmcnt(7)
	buffer_store_dword v2, v1, s[0:3], 0 offen
	s_waitcnt vmcnt(6)
	buffer_store_dword v3, v1, s[0:3], 0 offen offset:4
	s_waitcnt vmcnt(5)
	buffer_store_dword v4, v1, s[0:3], 0 offen offset:8
	;; [unrolled: 2-line block ×6, first 2 shown]
	s_waitcnt vmcnt(0)
	buffer_store_dword v71, v0, s[0:3], 0 offen
.LBB94_252:
	v_mov_b32_e32 v0, 0
	global_load_dword v1, v0, s[12:13] offset:12
	s_waitcnt vmcnt(0)
	v_add_nc_u32_e32 v1, -1, v1
	v_cmp_eq_u32_e32 vcc_lo, 3, v1
	s_cbranch_vccnz .LBB94_254
; %bb.253:
	v_lshlrev_b32_e32 v1, 4, v1
	v_mov_b32_e32 v2, s40
	v_add_nc_u32_e32 v1, 16, v1
	s_clause 0x7
	buffer_load_dword v3, v1, s[0:3], 0 offen
	buffer_load_dword v4, v1, s[0:3], 0 offen offset:4
	buffer_load_dword v67, v1, s[0:3], 0 offen offset:8
	;; [unrolled: 1-line block ×6, first 2 shown]
	buffer_load_dword v72, v2, s[0:3], 0 offen
	s_waitcnt vmcnt(7)
	buffer_store_dword v3, v2, s[0:3], 0 offen
	s_waitcnt vmcnt(6)
	buffer_store_dword v4, v2, s[0:3], 0 offen offset:4
	s_waitcnt vmcnt(5)
	buffer_store_dword v67, v2, s[0:3], 0 offen offset:8
	;; [unrolled: 2-line block ×6, first 2 shown]
	s_waitcnt vmcnt(0)
	buffer_store_dword v72, v1, s[0:3], 0 offen
.LBB94_254:
	global_load_dword v0, v0, s[12:13] offset:8
	s_waitcnt vmcnt(0)
	v_add_nc_u32_e32 v0, -1, v0
	v_cmp_eq_u32_e32 vcc_lo, 2, v0
	s_cbranch_vccnz .LBB94_256
; %bb.255:
	v_lshlrev_b32_e32 v0, 4, v0
	v_mov_b32_e32 v1, s41
	v_add_nc_u32_e32 v0, 16, v0
	s_clause 0x7
	buffer_load_dword v2, v0, s[0:3], 0 offen
	buffer_load_dword v3, v0, s[0:3], 0 offen offset:4
	buffer_load_dword v4, v0, s[0:3], 0 offen offset:8
	;; [unrolled: 1-line block ×6, first 2 shown]
	buffer_load_dword v71, v1, s[0:3], 0 offen
	s_waitcnt vmcnt(7)
	buffer_store_dword v2, v1, s[0:3], 0 offen
	s_waitcnt vmcnt(6)
	buffer_store_dword v3, v1, s[0:3], 0 offen offset:4
	s_waitcnt vmcnt(5)
	buffer_store_dword v4, v1, s[0:3], 0 offen offset:8
	;; [unrolled: 2-line block ×6, first 2 shown]
	s_waitcnt vmcnt(0)
	buffer_store_dword v71, v0, s[0:3], 0 offen
.LBB94_256:
	v_mov_b32_e32 v0, 0
	global_load_dword v1, v0, s[12:13] offset:4
	s_waitcnt vmcnt(0)
	v_add_nc_u32_e32 v1, -1, v1
	v_cmp_eq_u32_e32 vcc_lo, 1, v1
	s_cbranch_vccnz .LBB94_258
; %bb.257:
	v_lshlrev_b32_e32 v1, 4, v1
	v_mov_b32_e32 v2, s42
	v_add_nc_u32_e32 v1, 16, v1
	s_clause 0x7
	buffer_load_dword v3, v1, s[0:3], 0 offen
	buffer_load_dword v4, v1, s[0:3], 0 offen offset:4
	buffer_load_dword v67, v1, s[0:3], 0 offen offset:8
	;; [unrolled: 1-line block ×6, first 2 shown]
	buffer_load_dword v72, v2, s[0:3], 0 offen
	s_waitcnt vmcnt(7)
	buffer_store_dword v3, v2, s[0:3], 0 offen
	s_waitcnt vmcnt(6)
	buffer_store_dword v4, v2, s[0:3], 0 offen offset:4
	s_waitcnt vmcnt(5)
	buffer_store_dword v67, v2, s[0:3], 0 offen offset:8
	;; [unrolled: 2-line block ×6, first 2 shown]
	s_waitcnt vmcnt(0)
	buffer_store_dword v72, v1, s[0:3], 0 offen
.LBB94_258:
	global_load_dword v0, v0, s[12:13]
	s_waitcnt vmcnt(0)
	v_add_nc_u32_e32 v0, -1, v0
	v_cmp_eq_u32_e32 vcc_lo, 0, v0
	s_cbranch_vccnz .LBB94_260
; %bb.259:
	v_lshlrev_b32_e32 v0, 4, v0
	v_add_nc_u32_e32 v0, 16, v0
	s_clause 0x7
	buffer_load_dword v1, v0, s[0:3], 0 offen
	buffer_load_dword v2, v0, s[0:3], 0 offen offset:4
	buffer_load_dword v3, v0, s[0:3], 0 offen offset:8
	;; [unrolled: 1-line block ×3, first 2 shown]
	buffer_load_dword v67, off, s[0:3], 0 offset:28
	buffer_load_dword v68, off, s[0:3], 0 offset:24
	;; [unrolled: 1-line block ×4, first 2 shown]
	s_waitcnt vmcnt(7)
	buffer_store_dword v1, off, s[0:3], 0 offset:16
	s_waitcnt vmcnt(6)
	buffer_store_dword v2, off, s[0:3], 0 offset:20
	;; [unrolled: 2-line block ×4, first 2 shown]
	s_waitcnt vmcnt(3)
	buffer_store_dword v67, v0, s[0:3], 0 offen offset:12
	s_waitcnt vmcnt(2)
	buffer_store_dword v68, v0, s[0:3], 0 offen offset:8
	;; [unrolled: 2-line block ×3, first 2 shown]
	s_waitcnt vmcnt(0)
	buffer_store_dword v70, v0, s[0:3], 0 offen
.LBB94_260:
	s_clause 0x3
	buffer_load_dword v0, off, s[0:3], 0 offset:16
	buffer_load_dword v1, off, s[0:3], 0 offset:20
	buffer_load_dword v2, off, s[0:3], 0 offset:24
	buffer_load_dword v3, off, s[0:3], 0 offset:28
	v_mov_b32_e32 v4, s42
	s_waitcnt vmcnt(0)
	flat_store_dwordx4 v[5:6], v[0:3]
	s_clause 0x3
	buffer_load_dword v0, v4, s[0:3], 0 offen
	buffer_load_dword v1, v4, s[0:3], 0 offen offset:4
	buffer_load_dword v2, v4, s[0:3], 0 offen offset:8
	buffer_load_dword v3, v4, s[0:3], 0 offen offset:12
	v_mov_b32_e32 v4, s41
	s_waitcnt vmcnt(0)
	flat_store_dwordx4 v[59:60], v[0:3]
	s_clause 0x3
	buffer_load_dword v0, v4, s[0:3], 0 offen
	buffer_load_dword v1, v4, s[0:3], 0 offen offset:4
	buffer_load_dword v2, v4, s[0:3], 0 offen offset:8
	buffer_load_dword v3, v4, s[0:3], 0 offen offset:12
	;; [unrolled: 8-line block ×30, first 2 shown]
	s_waitcnt vmcnt(0)
	flat_store_dwordx4 v[65:66], v[0:3]
	s_endpgm
	.section	.rodata,"a",@progbits
	.p2align	6, 0x0
	.amdhsa_kernel _ZN9rocsolver6v33100L18getri_kernel_smallILi31E19rocblas_complex_numIdEPKPS3_EEvT1_iilPiilS8_bb
		.amdhsa_group_segment_fixed_size 1000
		.amdhsa_private_segment_fixed_size 528
		.amdhsa_kernarg_size 60
		.amdhsa_user_sgpr_count 6
		.amdhsa_user_sgpr_private_segment_buffer 1
		.amdhsa_user_sgpr_dispatch_ptr 0
		.amdhsa_user_sgpr_queue_ptr 0
		.amdhsa_user_sgpr_kernarg_segment_ptr 1
		.amdhsa_user_sgpr_dispatch_id 0
		.amdhsa_user_sgpr_flat_scratch_init 0
		.amdhsa_user_sgpr_private_segment_size 0
		.amdhsa_wavefront_size32 1
		.amdhsa_uses_dynamic_stack 0
		.amdhsa_system_sgpr_private_segment_wavefront_offset 1
		.amdhsa_system_sgpr_workgroup_id_x 1
		.amdhsa_system_sgpr_workgroup_id_y 0
		.amdhsa_system_sgpr_workgroup_id_z 0
		.amdhsa_system_sgpr_workgroup_info 0
		.amdhsa_system_vgpr_workitem_id 0
		.amdhsa_next_free_vgpr 157
		.amdhsa_next_free_sgpr 57
		.amdhsa_reserve_vcc 1
		.amdhsa_reserve_flat_scratch 0
		.amdhsa_float_round_mode_32 0
		.amdhsa_float_round_mode_16_64 0
		.amdhsa_float_denorm_mode_32 3
		.amdhsa_float_denorm_mode_16_64 3
		.amdhsa_dx10_clamp 1
		.amdhsa_ieee_mode 1
		.amdhsa_fp16_overflow 0
		.amdhsa_workgroup_processor_mode 1
		.amdhsa_memory_ordered 1
		.amdhsa_forward_progress 1
		.amdhsa_shared_vgpr_count 0
		.amdhsa_exception_fp_ieee_invalid_op 0
		.amdhsa_exception_fp_denorm_src 0
		.amdhsa_exception_fp_ieee_div_zero 0
		.amdhsa_exception_fp_ieee_overflow 0
		.amdhsa_exception_fp_ieee_underflow 0
		.amdhsa_exception_fp_ieee_inexact 0
		.amdhsa_exception_int_div_zero 0
	.end_amdhsa_kernel
	.section	.text._ZN9rocsolver6v33100L18getri_kernel_smallILi31E19rocblas_complex_numIdEPKPS3_EEvT1_iilPiilS8_bb,"axG",@progbits,_ZN9rocsolver6v33100L18getri_kernel_smallILi31E19rocblas_complex_numIdEPKPS3_EEvT1_iilPiilS8_bb,comdat
.Lfunc_end94:
	.size	_ZN9rocsolver6v33100L18getri_kernel_smallILi31E19rocblas_complex_numIdEPKPS3_EEvT1_iilPiilS8_bb, .Lfunc_end94-_ZN9rocsolver6v33100L18getri_kernel_smallILi31E19rocblas_complex_numIdEPKPS3_EEvT1_iilPiilS8_bb
                                        ; -- End function
	.set _ZN9rocsolver6v33100L18getri_kernel_smallILi31E19rocblas_complex_numIdEPKPS3_EEvT1_iilPiilS8_bb.num_vgpr, 157
	.set _ZN9rocsolver6v33100L18getri_kernel_smallILi31E19rocblas_complex_numIdEPKPS3_EEvT1_iilPiilS8_bb.num_agpr, 0
	.set _ZN9rocsolver6v33100L18getri_kernel_smallILi31E19rocblas_complex_numIdEPKPS3_EEvT1_iilPiilS8_bb.numbered_sgpr, 57
	.set _ZN9rocsolver6v33100L18getri_kernel_smallILi31E19rocblas_complex_numIdEPKPS3_EEvT1_iilPiilS8_bb.num_named_barrier, 0
	.set _ZN9rocsolver6v33100L18getri_kernel_smallILi31E19rocblas_complex_numIdEPKPS3_EEvT1_iilPiilS8_bb.private_seg_size, 528
	.set _ZN9rocsolver6v33100L18getri_kernel_smallILi31E19rocblas_complex_numIdEPKPS3_EEvT1_iilPiilS8_bb.uses_vcc, 1
	.set _ZN9rocsolver6v33100L18getri_kernel_smallILi31E19rocblas_complex_numIdEPKPS3_EEvT1_iilPiilS8_bb.uses_flat_scratch, 0
	.set _ZN9rocsolver6v33100L18getri_kernel_smallILi31E19rocblas_complex_numIdEPKPS3_EEvT1_iilPiilS8_bb.has_dyn_sized_stack, 0
	.set _ZN9rocsolver6v33100L18getri_kernel_smallILi31E19rocblas_complex_numIdEPKPS3_EEvT1_iilPiilS8_bb.has_recursion, 0
	.set _ZN9rocsolver6v33100L18getri_kernel_smallILi31E19rocblas_complex_numIdEPKPS3_EEvT1_iilPiilS8_bb.has_indirect_call, 0
	.section	.AMDGPU.csdata,"",@progbits
; Kernel info:
; codeLenInByte = 74536
; TotalNumSgprs: 59
; NumVgprs: 157
; ScratchSize: 528
; MemoryBound: 0
; FloatMode: 240
; IeeeMode: 1
; LDSByteSize: 1000 bytes/workgroup (compile time only)
; SGPRBlocks: 0
; VGPRBlocks: 19
; NumSGPRsForWavesPerEU: 59
; NumVGPRsForWavesPerEU: 157
; Occupancy: 6
; WaveLimiterHint : 1
; COMPUTE_PGM_RSRC2:SCRATCH_EN: 1
; COMPUTE_PGM_RSRC2:USER_SGPR: 6
; COMPUTE_PGM_RSRC2:TRAP_HANDLER: 0
; COMPUTE_PGM_RSRC2:TGID_X_EN: 1
; COMPUTE_PGM_RSRC2:TGID_Y_EN: 0
; COMPUTE_PGM_RSRC2:TGID_Z_EN: 0
; COMPUTE_PGM_RSRC2:TIDIG_COMP_CNT: 0
	.section	.text._ZN9rocsolver6v33100L18getri_kernel_smallILi32E19rocblas_complex_numIdEPKPS3_EEvT1_iilPiilS8_bb,"axG",@progbits,_ZN9rocsolver6v33100L18getri_kernel_smallILi32E19rocblas_complex_numIdEPKPS3_EEvT1_iilPiilS8_bb,comdat
	.globl	_ZN9rocsolver6v33100L18getri_kernel_smallILi32E19rocblas_complex_numIdEPKPS3_EEvT1_iilPiilS8_bb ; -- Begin function _ZN9rocsolver6v33100L18getri_kernel_smallILi32E19rocblas_complex_numIdEPKPS3_EEvT1_iilPiilS8_bb
	.p2align	8
	.type	_ZN9rocsolver6v33100L18getri_kernel_smallILi32E19rocblas_complex_numIdEPKPS3_EEvT1_iilPiilS8_bb,@function
_ZN9rocsolver6v33100L18getri_kernel_smallILi32E19rocblas_complex_numIdEPKPS3_EEvT1_iilPiilS8_bb: ; @_ZN9rocsolver6v33100L18getri_kernel_smallILi32E19rocblas_complex_numIdEPKPS3_EEvT1_iilPiilS8_bb
; %bb.0:
	s_add_u32 s0, s0, s7
	s_addc_u32 s1, s1, 0
	s_mov_b32 s7, exec_lo
	v_cmpx_gt_u32_e32 32, v0
	s_cbranch_execz .LBB95_142
; %bb.1:
	s_clause 0x2
	s_load_dword s16, s[4:5], 0x38
	s_load_dwordx2 s[12:13], s[4:5], 0x0
	s_load_dwordx4 s[8:11], s[4:5], 0x28
	s_waitcnt lgkmcnt(0)
	s_bitcmp1_b32 s16, 8
	s_cselect_b32 s44, -1, 0
	s_ashr_i32 s7, s6, 31
	s_lshl_b64 s[14:15], s[6:7], 3
	s_add_u32 s12, s12, s14
	s_addc_u32 s13, s13, s15
	s_load_dwordx2 s[14:15], s[12:13], 0x0
	s_bfe_u32 s12, s16, 0x10008
	s_cmp_eq_u32 s12, 0
                                        ; implicit-def: $sgpr12_sgpr13
	s_cbranch_scc1 .LBB95_3
; %bb.2:
	s_clause 0x1
	s_load_dword s12, s[4:5], 0x20
	s_load_dwordx2 s[16:17], s[4:5], 0x18
	s_mul_i32 s13, s8, s7
	s_mul_hi_u32 s18, s8, s6
	s_mul_i32 s9, s9, s6
	s_add_i32 s13, s18, s13
	s_mul_i32 s8, s8, s6
	s_add_i32 s9, s13, s9
	s_lshl_b64 s[8:9], s[8:9], 2
	s_waitcnt lgkmcnt(0)
	s_ashr_i32 s13, s12, 31
	s_add_u32 s16, s16, s8
	s_addc_u32 s17, s17, s9
	s_lshl_b64 s[8:9], s[12:13], 2
	s_add_u32 s12, s16, s8
	s_addc_u32 s13, s17, s9
.LBB95_3:
	s_clause 0x1
	s_load_dwordx2 s[8:9], s[4:5], 0x8
	s_load_dword s45, s[4:5], 0x38
	v_lshlrev_b32_e32 v75, 4, v0
	s_movk_i32 s16, 0xa0
	s_movk_i32 s17, 0xb0
	;; [unrolled: 1-line block ×17, first 2 shown]
	s_waitcnt lgkmcnt(0)
	s_ashr_i32 s5, s8, 31
	s_mov_b32 s4, s8
	v_add3_u32 v7, s9, s9, v0
	s_lshl_b64 s[4:5], s[4:5], 4
	s_movk_i32 s54, 0x1b0
	s_add_u32 s8, s14, s4
	s_addc_u32 s14, s15, s5
	v_add_co_u32 v5, s4, s8, v75
	v_add_co_ci_u32_e64 v6, null, s14, 0, s4
	s_mov_b32 s4, s9
	s_ashr_i32 s5, s9, 31
	v_ashrrev_i32_e32 v8, 31, v7
	flat_load_dwordx4 v[1:4], v[5:6]
	s_lshl_b64 s[4:5], s[4:5], 4
	s_movk_i32 s15, 0x90
	v_add_co_u32 v59, vcc_lo, v5, s4
	v_add_co_ci_u32_e64 v60, null, s5, v6, vcc_lo
	v_lshlrev_b64 v[8:9], 4, v[7:8]
	v_add_nc_u32_e32 v7, s9, v7
	s_movk_i32 s4, 0x50
	s_movk_i32 s55, 0x1c0
	;; [unrolled: 1-line block ×4, first 2 shown]
	v_add_co_u32 v57, vcc_lo, s8, v8
	v_add_co_ci_u32_e64 v58, null, s14, v9, vcc_lo
	v_ashrrev_i32_e32 v8, 31, v7
	s_movk_i32 s58, 0x1f0
	s_add_i32 s39, s4, 16
	s_add_i32 s35, s15, 16
	;; [unrolled: 1-line block ×3, first 2 shown]
	v_lshlrev_b64 v[8:9], 4, v[7:8]
	v_add_nc_u32_e32 v7, s9, v7
	s_add_i32 s33, s17, 16
	s_add_i32 s31, s18, 16
	;; [unrolled: 1-line block ×4, first 2 shown]
	v_add_co_u32 v53, vcc_lo, s8, v8
	v_add_co_ci_u32_e64 v54, null, s14, v9, vcc_lo
	v_ashrrev_i32_e32 v8, 31, v7
	s_add_i32 s28, s21, 16
	s_add_i32 s27, s22, 16
	;; [unrolled: 1-line block ×4, first 2 shown]
	v_lshlrev_b64 v[8:9], 4, v[7:8]
	v_add_nc_u32_e32 v7, s9, v7
	s_add_i32 s24, s46, 16
	s_add_i32 s23, s47, 16
	;; [unrolled: 1-line block ×4, first 2 shown]
	v_add_co_u32 v51, vcc_lo, s8, v8
	v_add_co_ci_u32_e64 v52, null, s14, v9, vcc_lo
	v_ashrrev_i32_e32 v8, 31, v7
	s_add_i32 s20, s50, 16
	s_add_i32 s19, s51, 16
	;; [unrolled: 1-line block ×4, first 2 shown]
	v_lshlrev_b64 v[8:9], 4, v[7:8]
	v_add_nc_u32_e32 v7, s9, v7
	s_add_i32 s16, s54, 16
	s_add_i32 s15, s55, 16
	s_mov_b32 s5, -1
	s_mov_b32 s43, 32
	v_add_co_u32 v49, vcc_lo, s8, v8
	v_add_co_ci_u32_e64 v50, null, s14, v9, vcc_lo
	v_ashrrev_i32_e32 v8, 31, v7
	s_mov_b32 s42, 48
	s_mov_b32 s41, 64
	s_movk_i32 s40, 0x50
	s_waitcnt vmcnt(0) lgkmcnt(0)
	buffer_store_dword v4, off, s[0:3], 0 offset:28
	buffer_store_dword v3, off, s[0:3], 0 offset:24
	buffer_store_dword v2, off, s[0:3], 0 offset:20
	buffer_store_dword v1, off, s[0:3], 0 offset:16
	flat_load_dwordx4 v[1:4], v[59:60]
	v_lshlrev_b64 v[8:9], 4, v[7:8]
	v_add_nc_u32_e32 v7, s9, v7
	s_waitcnt vmcnt(0) lgkmcnt(0)
	buffer_store_dword v4, off, s[0:3], 0 offset:44
	buffer_store_dword v3, off, s[0:3], 0 offset:40
	buffer_store_dword v2, off, s[0:3], 0 offset:36
	buffer_store_dword v1, off, s[0:3], 0 offset:32
	flat_load_dwordx4 v[1:4], v[57:58]
	v_add_co_u32 v47, vcc_lo, s8, v8
	v_add_co_ci_u32_e64 v48, null, s14, v9, vcc_lo
	v_ashrrev_i32_e32 v8, 31, v7
	s_waitcnt vmcnt(0) lgkmcnt(0)
	buffer_store_dword v4, off, s[0:3], 0 offset:60
	buffer_store_dword v3, off, s[0:3], 0 offset:56
	buffer_store_dword v2, off, s[0:3], 0 offset:52
	buffer_store_dword v1, off, s[0:3], 0 offset:48
	flat_load_dwordx4 v[1:4], v[53:54]
	v_lshlrev_b64 v[8:9], 4, v[7:8]
	v_add_nc_u32_e32 v7, s9, v7
	s_waitcnt vmcnt(0) lgkmcnt(0)
	buffer_store_dword v4, off, s[0:3], 0 offset:76
	buffer_store_dword v3, off, s[0:3], 0 offset:72
	buffer_store_dword v2, off, s[0:3], 0 offset:68
	buffer_store_dword v1, off, s[0:3], 0 offset:64
	flat_load_dwordx4 v[1:4], v[51:52]
	v_add_co_u32 v45, vcc_lo, s8, v8
	v_add_co_ci_u32_e64 v46, null, s14, v9, vcc_lo
	v_ashrrev_i32_e32 v8, 31, v7
	;; [unrolled: 17-line block ×4, first 2 shown]
	s_waitcnt vmcnt(0) lgkmcnt(0)
	buffer_store_dword v4, off, s[0:3], 0 offset:156
	buffer_store_dword v3, off, s[0:3], 0 offset:152
	;; [unrolled: 1-line block ×4, first 2 shown]
	flat_load_dwordx4 v[1:4], v[41:42]
	v_lshlrev_b64 v[8:9], 4, v[7:8]
	v_add_nc_u32_e32 v7, s9, v7
	s_waitcnt vmcnt(0) lgkmcnt(0)
	buffer_store_dword v4, off, s[0:3], 0 offset:172
	buffer_store_dword v3, off, s[0:3], 0 offset:168
	;; [unrolled: 1-line block ×4, first 2 shown]
	v_add_co_u32 v39, vcc_lo, s8, v8
	v_add_co_ci_u32_e64 v40, null, s14, v9, vcc_lo
	v_ashrrev_i32_e32 v8, 31, v7
	flat_load_dwordx4 v[1:4], v[39:40]
	s_waitcnt vmcnt(0) lgkmcnt(0)
	buffer_store_dword v4, off, s[0:3], 0 offset:188
	buffer_store_dword v3, off, s[0:3], 0 offset:184
	buffer_store_dword v2, off, s[0:3], 0 offset:180
	buffer_store_dword v1, off, s[0:3], 0 offset:176
	v_lshlrev_b64 v[8:9], 4, v[7:8]
	v_add_nc_u32_e32 v7, s9, v7
	v_add_co_u32 v37, vcc_lo, s8, v8
	v_add_co_ci_u32_e64 v38, null, s14, v9, vcc_lo
	v_ashrrev_i32_e32 v8, 31, v7
	flat_load_dwordx4 v[1:4], v[37:38]
	s_waitcnt vmcnt(0) lgkmcnt(0)
	buffer_store_dword v4, off, s[0:3], 0 offset:204
	buffer_store_dword v3, off, s[0:3], 0 offset:200
	buffer_store_dword v2, off, s[0:3], 0 offset:196
	buffer_store_dword v1, off, s[0:3], 0 offset:192
	v_lshlrev_b64 v[8:9], 4, v[7:8]
	v_add_nc_u32_e32 v7, s9, v7
	v_add_co_u32 v33, vcc_lo, s8, v8
	v_add_co_ci_u32_e64 v34, null, s14, v9, vcc_lo
	v_ashrrev_i32_e32 v8, 31, v7
	flat_load_dwordx4 v[1:4], v[33:34]
	s_waitcnt vmcnt(0) lgkmcnt(0)
	buffer_store_dword v4, off, s[0:3], 0 offset:220
	buffer_store_dword v3, off, s[0:3], 0 offset:216
	buffer_store_dword v2, off, s[0:3], 0 offset:212
	buffer_store_dword v1, off, s[0:3], 0 offset:208
	v_lshlrev_b64 v[8:9], 4, v[7:8]
	v_add_nc_u32_e32 v7, s9, v7
	v_add_co_u32 v31, vcc_lo, s8, v8
	v_add_co_ci_u32_e64 v32, null, s14, v9, vcc_lo
	v_ashrrev_i32_e32 v8, 31, v7
	flat_load_dwordx4 v[1:4], v[31:32]
	s_waitcnt vmcnt(0) lgkmcnt(0)
	buffer_store_dword v4, off, s[0:3], 0 offset:236
	buffer_store_dword v3, off, s[0:3], 0 offset:232
	buffer_store_dword v2, off, s[0:3], 0 offset:228
	buffer_store_dword v1, off, s[0:3], 0 offset:224
	v_lshlrev_b64 v[8:9], 4, v[7:8]
	v_add_nc_u32_e32 v7, s9, v7
	v_add_co_u32 v29, vcc_lo, s8, v8
	v_add_co_ci_u32_e64 v30, null, s14, v9, vcc_lo
	v_ashrrev_i32_e32 v8, 31, v7
	flat_load_dwordx4 v[1:4], v[29:30]
	s_waitcnt vmcnt(0) lgkmcnt(0)
	buffer_store_dword v4, off, s[0:3], 0 offset:252
	buffer_store_dword v3, off, s[0:3], 0 offset:248
	buffer_store_dword v2, off, s[0:3], 0 offset:244
	buffer_store_dword v1, off, s[0:3], 0 offset:240
	v_lshlrev_b64 v[8:9], 4, v[7:8]
	v_add_nc_u32_e32 v7, s9, v7
	v_add_co_u32 v27, vcc_lo, s8, v8
	v_add_co_ci_u32_e64 v28, null, s14, v9, vcc_lo
	v_ashrrev_i32_e32 v8, 31, v7
	flat_load_dwordx4 v[1:4], v[27:28]
	s_waitcnt vmcnt(0) lgkmcnt(0)
	buffer_store_dword v4, off, s[0:3], 0 offset:268
	buffer_store_dword v3, off, s[0:3], 0 offset:264
	buffer_store_dword v2, off, s[0:3], 0 offset:260
	buffer_store_dword v1, off, s[0:3], 0 offset:256
	v_lshlrev_b64 v[8:9], 4, v[7:8]
	v_add_nc_u32_e32 v7, s9, v7
	v_add_co_u32 v25, vcc_lo, s8, v8
	v_add_co_ci_u32_e64 v26, null, s14, v9, vcc_lo
	v_ashrrev_i32_e32 v8, 31, v7
	flat_load_dwordx4 v[1:4], v[25:26]
	s_waitcnt vmcnt(0) lgkmcnt(0)
	buffer_store_dword v4, off, s[0:3], 0 offset:284
	buffer_store_dword v3, off, s[0:3], 0 offset:280
	buffer_store_dword v2, off, s[0:3], 0 offset:276
	buffer_store_dword v1, off, s[0:3], 0 offset:272
	v_lshlrev_b64 v[8:9], 4, v[7:8]
	v_add_nc_u32_e32 v7, s9, v7
	v_add_co_u32 v23, vcc_lo, s8, v8
	v_add_co_ci_u32_e64 v24, null, s14, v9, vcc_lo
	v_ashrrev_i32_e32 v8, 31, v7
	flat_load_dwordx4 v[1:4], v[23:24]
	s_waitcnt vmcnt(0) lgkmcnt(0)
	buffer_store_dword v4, off, s[0:3], 0 offset:300
	buffer_store_dword v3, off, s[0:3], 0 offset:296
	buffer_store_dword v2, off, s[0:3], 0 offset:292
	buffer_store_dword v1, off, s[0:3], 0 offset:288
	v_lshlrev_b64 v[8:9], 4, v[7:8]
	v_add_nc_u32_e32 v7, s9, v7
	v_add_co_u32 v21, vcc_lo, s8, v8
	v_add_co_ci_u32_e64 v22, null, s14, v9, vcc_lo
	v_ashrrev_i32_e32 v8, 31, v7
	flat_load_dwordx4 v[1:4], v[21:22]
	s_waitcnt vmcnt(0) lgkmcnt(0)
	buffer_store_dword v4, off, s[0:3], 0 offset:316
	buffer_store_dword v3, off, s[0:3], 0 offset:312
	buffer_store_dword v2, off, s[0:3], 0 offset:308
	buffer_store_dword v1, off, s[0:3], 0 offset:304
	v_lshlrev_b64 v[8:9], 4, v[7:8]
	v_add_nc_u32_e32 v7, s9, v7
	v_add_co_u32 v19, vcc_lo, s8, v8
	v_add_co_ci_u32_e64 v20, null, s14, v9, vcc_lo
	v_ashrrev_i32_e32 v8, 31, v7
	flat_load_dwordx4 v[1:4], v[19:20]
	s_waitcnt vmcnt(0) lgkmcnt(0)
	buffer_store_dword v4, off, s[0:3], 0 offset:332
	buffer_store_dword v3, off, s[0:3], 0 offset:328
	buffer_store_dword v2, off, s[0:3], 0 offset:324
	buffer_store_dword v1, off, s[0:3], 0 offset:320
	v_lshlrev_b64 v[8:9], 4, v[7:8]
	v_add_nc_u32_e32 v7, s9, v7
	v_add_co_u32 v17, vcc_lo, s8, v8
	v_add_co_ci_u32_e64 v18, null, s14, v9, vcc_lo
	v_ashrrev_i32_e32 v8, 31, v7
	flat_load_dwordx4 v[1:4], v[17:18]
	s_waitcnt vmcnt(0) lgkmcnt(0)
	buffer_store_dword v4, off, s[0:3], 0 offset:348
	buffer_store_dword v3, off, s[0:3], 0 offset:344
	buffer_store_dword v2, off, s[0:3], 0 offset:340
	buffer_store_dword v1, off, s[0:3], 0 offset:336
	v_lshlrev_b64 v[8:9], 4, v[7:8]
	v_add_nc_u32_e32 v7, s9, v7
	v_add_co_u32 v15, vcc_lo, s8, v8
	v_add_co_ci_u32_e64 v16, null, s14, v9, vcc_lo
	v_ashrrev_i32_e32 v8, 31, v7
	flat_load_dwordx4 v[1:4], v[15:16]
	s_waitcnt vmcnt(0) lgkmcnt(0)
	buffer_store_dword v4, off, s[0:3], 0 offset:364
	buffer_store_dword v3, off, s[0:3], 0 offset:360
	buffer_store_dword v2, off, s[0:3], 0 offset:356
	buffer_store_dword v1, off, s[0:3], 0 offset:352
	v_lshlrev_b64 v[8:9], 4, v[7:8]
	v_add_nc_u32_e32 v7, s9, v7
	v_add_co_u32 v13, vcc_lo, s8, v8
	v_add_co_ci_u32_e64 v14, null, s14, v9, vcc_lo
	v_ashrrev_i32_e32 v8, 31, v7
	flat_load_dwordx4 v[1:4], v[13:14]
	s_waitcnt vmcnt(0) lgkmcnt(0)
	buffer_store_dword v4, off, s[0:3], 0 offset:380
	buffer_store_dword v3, off, s[0:3], 0 offset:376
	buffer_store_dword v2, off, s[0:3], 0 offset:372
	buffer_store_dword v1, off, s[0:3], 0 offset:368
	v_lshlrev_b64 v[8:9], 4, v[7:8]
	v_add_nc_u32_e32 v7, s9, v7
	v_add_co_u32 v11, vcc_lo, s8, v8
	v_add_co_ci_u32_e64 v12, null, s14, v9, vcc_lo
	v_ashrrev_i32_e32 v8, 31, v7
	v_add_nc_u32_e32 v35, s9, v7
	flat_load_dwordx4 v[1:4], v[11:12]
	s_waitcnt vmcnt(0) lgkmcnt(0)
	buffer_store_dword v4, off, s[0:3], 0 offset:396
	buffer_store_dword v3, off, s[0:3], 0 offset:392
	;; [unrolled: 1-line block ×4, first 2 shown]
	v_lshlrev_b64 v[9:10], 4, v[7:8]
	v_ashrrev_i32_e32 v36, 31, v35
	v_add_nc_u32_e32 v55, s9, v35
	v_add_co_u32 v9, vcc_lo, s8, v9
	v_add_co_ci_u32_e64 v10, null, s14, v10, vcc_lo
	v_lshlrev_b64 v[7:8], 4, v[35:36]
	v_ashrrev_i32_e32 v56, 31, v55
	v_add_nc_u32_e32 v61, s9, v55
	flat_load_dwordx4 v[1:4], v[9:10]
	s_waitcnt vmcnt(0) lgkmcnt(0)
	buffer_store_dword v4, off, s[0:3], 0 offset:412
	buffer_store_dword v3, off, s[0:3], 0 offset:408
	buffer_store_dword v2, off, s[0:3], 0 offset:404
	buffer_store_dword v1, off, s[0:3], 0 offset:400
	v_add_co_u32 v7, vcc_lo, s8, v7
	v_add_co_ci_u32_e64 v8, null, s14, v8, vcc_lo
	v_lshlrev_b64 v[35:36], 4, v[55:56]
	v_ashrrev_i32_e32 v62, 31, v61
	v_add_nc_u32_e32 v63, s9, v61
	flat_load_dwordx4 v[1:4], v[7:8]
	s_waitcnt vmcnt(0) lgkmcnt(0)
	buffer_store_dword v4, off, s[0:3], 0 offset:428
	buffer_store_dword v3, off, s[0:3], 0 offset:424
	buffer_store_dword v2, off, s[0:3], 0 offset:420
	buffer_store_dword v1, off, s[0:3], 0 offset:416
	v_add_co_u32 v35, vcc_lo, s8, v35
	v_add_co_ci_u32_e64 v36, null, s14, v36, vcc_lo
	v_lshlrev_b64 v[55:56], 4, v[61:62]
	v_ashrrev_i32_e32 v64, 31, v63
	v_add_nc_u32_e32 v65, s9, v63
	flat_load_dwordx4 v[1:4], v[35:36]
	s_waitcnt vmcnt(0) lgkmcnt(0)
	buffer_store_dword v4, off, s[0:3], 0 offset:444
	buffer_store_dword v3, off, s[0:3], 0 offset:440
	buffer_store_dword v2, off, s[0:3], 0 offset:436
	buffer_store_dword v1, off, s[0:3], 0 offset:432
	v_add_co_u32 v55, vcc_lo, s8, v55
	v_add_co_ci_u32_e64 v56, null, s14, v56, vcc_lo
	v_lshlrev_b64 v[61:62], 4, v[63:64]
	v_ashrrev_i32_e32 v66, 31, v65
	v_add_nc_u32_e32 v67, s9, v65
	flat_load_dwordx4 v[1:4], v[55:56]
	s_waitcnt vmcnt(0) lgkmcnt(0)
	buffer_store_dword v4, off, s[0:3], 0 offset:460
	buffer_store_dword v3, off, s[0:3], 0 offset:456
	buffer_store_dword v2, off, s[0:3], 0 offset:452
	buffer_store_dword v1, off, s[0:3], 0 offset:448
	v_add_co_u32 v61, vcc_lo, s8, v61
	v_add_co_ci_u32_e64 v62, null, s14, v62, vcc_lo
	v_lshlrev_b64 v[63:64], 4, v[65:66]
	v_ashrrev_i32_e32 v68, 31, v67
	flat_load_dwordx4 v[1:4], v[61:62]
	s_waitcnt vmcnt(0) lgkmcnt(0)
	buffer_store_dword v4, off, s[0:3], 0 offset:476
	buffer_store_dword v3, off, s[0:3], 0 offset:472
	;; [unrolled: 1-line block ×4, first 2 shown]
	v_add_co_u32 v63, vcc_lo, s8, v63
	v_add_co_ci_u32_e64 v64, null, s14, v64, vcc_lo
	v_lshlrev_b64 v[65:66], 4, v[67:68]
	v_add_nc_u32_e32 v67, s9, v67
	s_movk_i32 s9, 0x70
	flat_load_dwordx4 v[1:4], v[63:64]
	s_add_i32 s37, s9, 16
	s_add_i32 s9, s57, 16
	v_add_co_u32 v65, vcc_lo, s8, v65
	v_add_co_ci_u32_e64 v66, null, s14, v66, vcc_lo
	v_ashrrev_i32_e32 v68, 31, v67
	s_waitcnt vmcnt(0) lgkmcnt(0)
	buffer_store_dword v4, off, s[0:3], 0 offset:492
	buffer_store_dword v3, off, s[0:3], 0 offset:488
	;; [unrolled: 1-line block ×4, first 2 shown]
	flat_load_dwordx4 v[1:4], v[65:66]
	v_lshlrev_b64 v[67:68], 4, v[67:68]
	s_waitcnt vmcnt(0) lgkmcnt(0)
	buffer_store_dword v4, off, s[0:3], 0 offset:508
	buffer_store_dword v3, off, s[0:3], 0 offset:504
	;; [unrolled: 1-line block ×4, first 2 shown]
	v_add_co_u32 v67, vcc_lo, s8, v67
	v_add_co_ci_u32_e64 v68, null, s14, v68, vcc_lo
	s_movk_i32 s8, 0x60
	s_movk_i32 s14, 0x80
	s_add_i32 s38, s8, 16
	flat_load_dwordx4 v[1:4], v[67:68]
	s_add_i32 s36, s14, 16
	s_add_i32 s14, s56, 16
	;; [unrolled: 1-line block ×3, first 2 shown]
	s_bitcmp0_b32 s45, 0
	s_waitcnt vmcnt(0) lgkmcnt(0)
	buffer_store_dword v4, off, s[0:3], 0 offset:524
	buffer_store_dword v3, off, s[0:3], 0 offset:520
	;; [unrolled: 1-line block ×4, first 2 shown]
	s_cbranch_scc1 .LBB95_140
; %bb.4:
	v_cmp_eq_u32_e64 s4, 0, v0
	s_and_saveexec_b32 s5, s4
; %bb.5:
	v_mov_b32_e32 v1, 0
	ds_write_b32 v1, v1 offset:1024
; %bb.6:
	s_or_b32 exec_lo, exec_lo, s5
	v_lshl_add_u32 v76, v0, 4, 16
	s_waitcnt lgkmcnt(0)
	s_waitcnt_vscnt null, 0x0
	s_barrier
	buffer_gl0_inv
	s_clause 0x3
	buffer_load_dword v1, v76, s[0:3], 0 offen
	buffer_load_dword v2, v76, s[0:3], 0 offen offset:4
	buffer_load_dword v3, v76, s[0:3], 0 offen offset:8
	;; [unrolled: 1-line block ×3, first 2 shown]
	s_waitcnt vmcnt(2)
	v_cmp_eq_f64_e32 vcc_lo, 0, v[1:2]
	s_waitcnt vmcnt(0)
	v_cmp_eq_f64_e64 s5, 0, v[3:4]
	s_and_b32 s5, vcc_lo, s5
	s_and_saveexec_b32 s45, s5
	s_cbranch_execz .LBB95_10
; %bb.7:
	v_mov_b32_e32 v1, 0
	s_mov_b32 s46, 0
	ds_read_b32 v2, v1 offset:1024
	s_waitcnt lgkmcnt(0)
	v_readfirstlane_b32 s5, v2
	v_add_nc_u32_e32 v2, 1, v0
	s_cmp_eq_u32 s5, 0
	v_cmp_gt_i32_e32 vcc_lo, s5, v2
	s_cselect_b32 s47, -1, 0
	s_or_b32 s47, s47, vcc_lo
	s_and_b32 exec_lo, exec_lo, s47
	s_cbranch_execz .LBB95_10
; %bb.8:
	v_mov_b32_e32 v3, s5
.LBB95_9:                               ; =>This Inner Loop Header: Depth=1
	ds_cmpst_rtn_b32 v3, v1, v3, v2 offset:1024
	s_waitcnt lgkmcnt(0)
	v_cmp_ne_u32_e32 vcc_lo, 0, v3
	v_cmp_le_i32_e64 s5, v3, v2
	s_and_b32 s5, vcc_lo, s5
	s_and_b32 s5, exec_lo, s5
	s_or_b32 s46, s5, s46
	s_andn2_b32 exec_lo, exec_lo, s46
	s_cbranch_execnz .LBB95_9
.LBB95_10:
	s_or_b32 exec_lo, exec_lo, s45
	v_mov_b32_e32 v1, 0
	s_barrier
	buffer_gl0_inv
	ds_read_b32 v2, v1 offset:1024
	s_and_saveexec_b32 s5, s4
	s_cbranch_execz .LBB95_12
; %bb.11:
	s_lshl_b64 s[46:47], s[6:7], 2
	s_add_u32 s46, s10, s46
	s_addc_u32 s47, s11, s47
	s_waitcnt lgkmcnt(0)
	global_store_dword v1, v2, s[46:47]
.LBB95_12:
	s_or_b32 exec_lo, exec_lo, s5
	s_waitcnt lgkmcnt(0)
	v_cmp_ne_u32_e32 vcc_lo, 0, v2
	s_mov_b32 s5, 0
	s_cbranch_vccnz .LBB95_140
; %bb.13:
	s_clause 0x3
	buffer_load_dword v71, v76, s[0:3], 0 offen
	buffer_load_dword v72, v76, s[0:3], 0 offen offset:4
	buffer_load_dword v73, v76, s[0:3], 0 offen offset:8
	;; [unrolled: 1-line block ×3, first 2 shown]
                                        ; implicit-def: $vgpr69_vgpr70
                                        ; implicit-def: $vgpr3_vgpr4
	s_waitcnt vmcnt(0)
	v_cmp_ngt_f64_e64 s5, |v[71:72]|, |v[73:74]|
	s_and_saveexec_b32 s45, s5
	s_xor_b32 s5, exec_lo, s45
	s_cbranch_execz .LBB95_15
; %bb.14:
	v_div_scale_f64 v[1:2], null, v[73:74], v[73:74], v[71:72]
	v_div_scale_f64 v[77:78], vcc_lo, v[71:72], v[73:74], v[71:72]
	v_rcp_f64_e32 v[3:4], v[1:2]
	v_fma_f64 v[69:70], -v[1:2], v[3:4], 1.0
	v_fma_f64 v[3:4], v[3:4], v[69:70], v[3:4]
	v_fma_f64 v[69:70], -v[1:2], v[3:4], 1.0
	v_fma_f64 v[3:4], v[3:4], v[69:70], v[3:4]
	v_mul_f64 v[69:70], v[77:78], v[3:4]
	v_fma_f64 v[1:2], -v[1:2], v[69:70], v[77:78]
	v_div_fmas_f64 v[1:2], v[1:2], v[3:4], v[69:70]
	v_div_fixup_f64 v[1:2], v[1:2], v[73:74], v[71:72]
	v_fma_f64 v[3:4], v[71:72], v[1:2], v[73:74]
	v_div_scale_f64 v[69:70], null, v[3:4], v[3:4], 1.0
	v_div_scale_f64 v[77:78], vcc_lo, 1.0, v[3:4], 1.0
	v_rcp_f64_e32 v[71:72], v[69:70]
	v_fma_f64 v[73:74], -v[69:70], v[71:72], 1.0
	v_fma_f64 v[71:72], v[71:72], v[73:74], v[71:72]
	v_fma_f64 v[73:74], -v[69:70], v[71:72], 1.0
	v_fma_f64 v[71:72], v[71:72], v[73:74], v[71:72]
	v_mul_f64 v[73:74], v[77:78], v[71:72]
	v_fma_f64 v[69:70], -v[69:70], v[73:74], v[77:78]
	v_div_fmas_f64 v[69:70], v[69:70], v[71:72], v[73:74]
                                        ; implicit-def: $vgpr71_vgpr72
                                        ; implicit-def: $vgpr73_vgpr74
	v_div_fixup_f64 v[3:4], v[69:70], v[3:4], 1.0
	v_mul_f64 v[69:70], v[1:2], v[3:4]
	v_xor_b32_e32 v4, 0x80000000, v4
	v_xor_b32_e32 v2, 0x80000000, v70
	v_mov_b32_e32 v1, v69
.LBB95_15:
	s_andn2_saveexec_b32 s5, s5
	s_cbranch_execz .LBB95_17
; %bb.16:
	v_div_scale_f64 v[1:2], null, v[71:72], v[71:72], v[73:74]
	v_div_scale_f64 v[77:78], vcc_lo, v[73:74], v[71:72], v[73:74]
	v_rcp_f64_e32 v[3:4], v[1:2]
	v_fma_f64 v[69:70], -v[1:2], v[3:4], 1.0
	v_fma_f64 v[3:4], v[3:4], v[69:70], v[3:4]
	v_fma_f64 v[69:70], -v[1:2], v[3:4], 1.0
	v_fma_f64 v[3:4], v[3:4], v[69:70], v[3:4]
	v_mul_f64 v[69:70], v[77:78], v[3:4]
	v_fma_f64 v[1:2], -v[1:2], v[69:70], v[77:78]
	v_div_fmas_f64 v[1:2], v[1:2], v[3:4], v[69:70]
	v_div_fixup_f64 v[1:2], v[1:2], v[71:72], v[73:74]
	v_fma_f64 v[3:4], v[73:74], v[1:2], v[71:72]
	v_div_scale_f64 v[69:70], null, v[3:4], v[3:4], 1.0
	v_rcp_f64_e32 v[71:72], v[69:70]
	v_fma_f64 v[73:74], -v[69:70], v[71:72], 1.0
	v_fma_f64 v[71:72], v[71:72], v[73:74], v[71:72]
	v_fma_f64 v[73:74], -v[69:70], v[71:72], 1.0
	v_fma_f64 v[71:72], v[71:72], v[73:74], v[71:72]
	v_div_scale_f64 v[73:74], vcc_lo, 1.0, v[3:4], 1.0
	v_mul_f64 v[77:78], v[73:74], v[71:72]
	v_fma_f64 v[69:70], -v[69:70], v[77:78], v[73:74]
	v_div_fmas_f64 v[69:70], v[69:70], v[71:72], v[77:78]
	v_div_fixup_f64 v[69:70], v[69:70], v[3:4], 1.0
	v_mul_f64 v[3:4], v[1:2], -v[69:70]
	v_xor_b32_e32 v2, 0x80000000, v70
	v_mov_b32_e32 v1, v69
.LBB95_17:
	s_or_b32 exec_lo, exec_lo, s5
	v_mov_b32_e32 v74, s43
	buffer_store_dword v70, v76, s[0:3], 0 offen offset:4
	buffer_store_dword v69, v76, s[0:3], 0 offen
	buffer_store_dword v4, v76, s[0:3], 0 offen offset:12
	buffer_store_dword v3, v76, s[0:3], 0 offen offset:8
	v_xor_b32_e32 v4, 0x80000000, v4
	v_add_nc_u32_e32 v69, 0x200, v75
	s_clause 0x3
	buffer_load_dword v73, v74, s[0:3], 0 offen offset:12
	buffer_load_dword v72, v74, s[0:3], 0 offen offset:8
	;; [unrolled: 1-line block ×3, first 2 shown]
	buffer_load_dword v70, v74, s[0:3], 0 offen
	ds_write_b128 v75, v[1:4]
	s_waitcnt vmcnt(0)
	ds_write_b128 v75, v[70:73] offset:512
	s_waitcnt lgkmcnt(0)
	s_waitcnt_vscnt null, 0x0
	s_barrier
	buffer_gl0_inv
	s_and_saveexec_b32 s5, s4
	s_cbranch_execz .LBB95_19
; %bb.18:
	s_clause 0x3
	buffer_load_dword v77, v76, s[0:3], 0 offen offset:8
	buffer_load_dword v78, v76, s[0:3], 0 offen offset:12
	buffer_load_dword v79, v76, s[0:3], 0 offen
	buffer_load_dword v80, v76, s[0:3], 0 offen offset:4
	ds_read_b128 v[1:4], v69
	v_mov_b32_e32 v70, 0
	ds_read_b128 v[70:73], v70 offset:16
	s_waitcnt vmcnt(2) lgkmcnt(1)
	v_mul_f64 v[81:82], v[1:2], v[77:78]
	v_mul_f64 v[77:78], v[3:4], v[77:78]
	s_waitcnt vmcnt(0)
	v_fma_f64 v[3:4], v[3:4], v[79:80], v[81:82]
	v_fma_f64 v[1:2], v[1:2], v[79:80], -v[77:78]
	v_add_f64 v[3:4], v[3:4], 0
	v_add_f64 v[1:2], v[1:2], 0
	s_waitcnt lgkmcnt(0)
	v_mul_f64 v[77:78], v[3:4], v[72:73]
	v_mul_f64 v[72:73], v[1:2], v[72:73]
	v_fma_f64 v[1:2], v[1:2], v[70:71], -v[77:78]
	v_fma_f64 v[3:4], v[3:4], v[70:71], v[72:73]
	buffer_store_dword v1, off, s[0:3], 0 offset:32
	buffer_store_dword v2, off, s[0:3], 0 offset:36
	;; [unrolled: 1-line block ×4, first 2 shown]
.LBB95_19:
	s_or_b32 exec_lo, exec_lo, s5
	v_mov_b32_e32 v4, s42
	s_waitcnt_vscnt null, 0x0
	s_barrier
	buffer_gl0_inv
	s_mov_b32 s5, exec_lo
	s_clause 0x3
	buffer_load_dword v1, v4, s[0:3], 0 offen
	buffer_load_dword v2, v4, s[0:3], 0 offen offset:4
	buffer_load_dword v3, v4, s[0:3], 0 offen offset:8
	;; [unrolled: 1-line block ×3, first 2 shown]
	s_waitcnt vmcnt(0)
	ds_write_b128 v69, v[1:4]
	s_waitcnt lgkmcnt(0)
	s_barrier
	buffer_gl0_inv
	v_cmpx_gt_u32_e32 2, v0
	s_cbranch_execz .LBB95_23
; %bb.20:
	s_clause 0x3
	buffer_load_dword v70, v76, s[0:3], 0 offen offset:8
	buffer_load_dword v71, v76, s[0:3], 0 offen offset:12
	buffer_load_dword v72, v76, s[0:3], 0 offen
	buffer_load_dword v73, v76, s[0:3], 0 offen offset:4
	ds_read_b128 v[1:4], v69
	s_waitcnt vmcnt(2) lgkmcnt(0)
	v_mul_f64 v[76:77], v[3:4], v[70:71]
	v_mul_f64 v[70:71], v[1:2], v[70:71]
	s_waitcnt vmcnt(0)
	v_fma_f64 v[1:2], v[1:2], v[72:73], -v[76:77]
	v_fma_f64 v[3:4], v[3:4], v[72:73], v[70:71]
	v_add_f64 v[1:2], v[1:2], 0
	v_add_f64 v[3:4], v[3:4], 0
	s_and_saveexec_b32 s45, s4
	s_cbranch_execz .LBB95_22
; %bb.21:
	s_clause 0x3
	buffer_load_dword v76, off, s[0:3], 0 offset:40
	buffer_load_dword v77, off, s[0:3], 0 offset:44
	;; [unrolled: 1-line block ×4, first 2 shown]
	v_mov_b32_e32 v70, 0
	ds_read_b128 v[70:73], v70 offset:528
	s_waitcnt vmcnt(2) lgkmcnt(0)
	v_mul_f64 v[80:81], v[70:71], v[76:77]
	v_mul_f64 v[76:77], v[72:73], v[76:77]
	s_waitcnt vmcnt(0)
	v_fma_f64 v[72:73], v[72:73], v[78:79], v[80:81]
	v_fma_f64 v[70:71], v[70:71], v[78:79], -v[76:77]
	v_add_f64 v[3:4], v[3:4], v[72:73]
	v_add_f64 v[1:2], v[1:2], v[70:71]
.LBB95_22:
	s_or_b32 exec_lo, exec_lo, s45
	v_mov_b32_e32 v70, 0
	ds_read_b128 v[70:73], v70 offset:32
	s_waitcnt lgkmcnt(0)
	v_mul_f64 v[76:77], v[3:4], v[72:73]
	v_mul_f64 v[72:73], v[1:2], v[72:73]
	v_fma_f64 v[1:2], v[1:2], v[70:71], -v[76:77]
	v_fma_f64 v[3:4], v[3:4], v[70:71], v[72:73]
	buffer_store_dword v2, off, s[0:3], 0 offset:52
	buffer_store_dword v1, off, s[0:3], 0 offset:48
	;; [unrolled: 1-line block ×4, first 2 shown]
.LBB95_23:
	s_or_b32 exec_lo, exec_lo, s5
	v_mov_b32_e32 v4, s41
	s_waitcnt_vscnt null, 0x0
	s_barrier
	buffer_gl0_inv
	v_add_nc_u32_e32 v70, -1, v0
	s_clause 0x3
	buffer_load_dword v1, v4, s[0:3], 0 offen
	buffer_load_dword v2, v4, s[0:3], 0 offen offset:4
	buffer_load_dword v3, v4, s[0:3], 0 offen offset:8
	buffer_load_dword v4, v4, s[0:3], 0 offen offset:12
	s_mov_b32 s4, exec_lo
	s_waitcnt vmcnt(0)
	ds_write_b128 v69, v[1:4]
	s_waitcnt lgkmcnt(0)
	s_barrier
	buffer_gl0_inv
	v_cmpx_gt_u32_e32 3, v0
	s_cbranch_execz .LBB95_27
; %bb.24:
	v_mov_b32_e32 v1, 0
	v_mov_b32_e32 v3, 0
	v_add_nc_u32_e32 v71, -1, v0
	v_add_nc_u32_e32 v72, 0x200, v75
	v_mov_b32_e32 v2, 0
	v_mov_b32_e32 v4, 0
	v_add_nc_u32_e32 v73, 16, v75
	s_mov_b32 s5, 0
	.p2align	6
.LBB95_25:                              ; =>This Inner Loop Header: Depth=1
	s_clause 0x3
	buffer_load_dword v80, v73, s[0:3], 0 offen offset:8
	buffer_load_dword v81, v73, s[0:3], 0 offen offset:12
	buffer_load_dword v82, v73, s[0:3], 0 offen
	buffer_load_dword v83, v73, s[0:3], 0 offen offset:4
	ds_read_b128 v[76:79], v72
	v_add_nc_u32_e32 v71, 1, v71
	v_add_nc_u32_e32 v72, 16, v72
	;; [unrolled: 1-line block ×3, first 2 shown]
	v_cmp_lt_u32_e32 vcc_lo, 1, v71
	s_or_b32 s5, vcc_lo, s5
	s_waitcnt vmcnt(2) lgkmcnt(0)
	v_mul_f64 v[84:85], v[78:79], v[80:81]
	v_mul_f64 v[80:81], v[76:77], v[80:81]
	s_waitcnt vmcnt(0)
	v_fma_f64 v[76:77], v[76:77], v[82:83], -v[84:85]
	v_fma_f64 v[78:79], v[78:79], v[82:83], v[80:81]
	v_add_f64 v[3:4], v[3:4], v[76:77]
	v_add_f64 v[1:2], v[1:2], v[78:79]
	s_andn2_b32 exec_lo, exec_lo, s5
	s_cbranch_execnz .LBB95_25
; %bb.26:
	s_or_b32 exec_lo, exec_lo, s5
	v_mov_b32_e32 v71, 0
	ds_read_b128 v[71:74], v71 offset:48
	s_waitcnt lgkmcnt(0)
	v_mul_f64 v[76:77], v[1:2], v[73:74]
	v_mul_f64 v[73:74], v[3:4], v[73:74]
	v_fma_f64 v[3:4], v[3:4], v[71:72], -v[76:77]
	v_fma_f64 v[1:2], v[1:2], v[71:72], v[73:74]
	buffer_store_dword v4, off, s[0:3], 0 offset:68
	buffer_store_dword v3, off, s[0:3], 0 offset:64
	;; [unrolled: 1-line block ×4, first 2 shown]
.LBB95_27:
	s_or_b32 exec_lo, exec_lo, s4
	v_mov_b32_e32 v4, s40
	s_waitcnt_vscnt null, 0x0
	s_barrier
	buffer_gl0_inv
	s_mov_b32 s4, exec_lo
	s_clause 0x3
	buffer_load_dword v1, v4, s[0:3], 0 offen
	buffer_load_dword v2, v4, s[0:3], 0 offen offset:4
	buffer_load_dword v3, v4, s[0:3], 0 offen offset:8
	;; [unrolled: 1-line block ×3, first 2 shown]
	s_waitcnt vmcnt(0)
	ds_write_b128 v69, v[1:4]
	s_waitcnt lgkmcnt(0)
	s_barrier
	buffer_gl0_inv
	v_cmpx_gt_u32_e32 4, v0
	s_cbranch_execz .LBB95_31
; %bb.28:
	v_mov_b32_e32 v1, 0
	v_mov_b32_e32 v3, 0
	v_add_nc_u32_e32 v71, -1, v0
	v_add_nc_u32_e32 v72, 0x200, v75
	v_mov_b32_e32 v2, 0
	v_mov_b32_e32 v4, 0
	v_add_nc_u32_e32 v73, 16, v75
	s_mov_b32 s5, 0
	.p2align	6
.LBB95_29:                              ; =>This Inner Loop Header: Depth=1
	s_clause 0x3
	buffer_load_dword v80, v73, s[0:3], 0 offen offset:8
	buffer_load_dword v81, v73, s[0:3], 0 offen offset:12
	buffer_load_dword v82, v73, s[0:3], 0 offen
	buffer_load_dword v83, v73, s[0:3], 0 offen offset:4
	ds_read_b128 v[76:79], v72
	v_add_nc_u32_e32 v71, 1, v71
	v_add_nc_u32_e32 v72, 16, v72
	;; [unrolled: 1-line block ×3, first 2 shown]
	v_cmp_lt_u32_e32 vcc_lo, 2, v71
	s_or_b32 s5, vcc_lo, s5
	s_waitcnt vmcnt(2) lgkmcnt(0)
	v_mul_f64 v[84:85], v[78:79], v[80:81]
	v_mul_f64 v[80:81], v[76:77], v[80:81]
	s_waitcnt vmcnt(0)
	v_fma_f64 v[76:77], v[76:77], v[82:83], -v[84:85]
	v_fma_f64 v[78:79], v[78:79], v[82:83], v[80:81]
	v_add_f64 v[3:4], v[3:4], v[76:77]
	v_add_f64 v[1:2], v[1:2], v[78:79]
	s_andn2_b32 exec_lo, exec_lo, s5
	s_cbranch_execnz .LBB95_29
; %bb.30:
	s_or_b32 exec_lo, exec_lo, s5
	v_mov_b32_e32 v71, 0
	ds_read_b128 v[71:74], v71 offset:64
	s_waitcnt lgkmcnt(0)
	v_mul_f64 v[76:77], v[1:2], v[73:74]
	v_mul_f64 v[73:74], v[3:4], v[73:74]
	v_fma_f64 v[3:4], v[3:4], v[71:72], -v[76:77]
	v_fma_f64 v[1:2], v[1:2], v[71:72], v[73:74]
	buffer_store_dword v4, off, s[0:3], 0 offset:84
	buffer_store_dword v3, off, s[0:3], 0 offset:80
	buffer_store_dword v2, off, s[0:3], 0 offset:92
	buffer_store_dword v1, off, s[0:3], 0 offset:88
.LBB95_31:
	s_or_b32 exec_lo, exec_lo, s4
	v_mov_b32_e32 v4, s39
	s_waitcnt_vscnt null, 0x0
	s_barrier
	buffer_gl0_inv
	s_mov_b32 s4, exec_lo
	s_clause 0x3
	buffer_load_dword v1, v4, s[0:3], 0 offen
	buffer_load_dword v2, v4, s[0:3], 0 offen offset:4
	buffer_load_dword v3, v4, s[0:3], 0 offen offset:8
	;; [unrolled: 1-line block ×3, first 2 shown]
	s_waitcnt vmcnt(0)
	ds_write_b128 v69, v[1:4]
	s_waitcnt lgkmcnt(0)
	s_barrier
	buffer_gl0_inv
	v_cmpx_gt_u32_e32 5, v0
	s_cbranch_execz .LBB95_35
; %bb.32:
	v_mov_b32_e32 v1, 0
	v_mov_b32_e32 v3, 0
	v_add_nc_u32_e32 v71, -1, v0
	v_add_nc_u32_e32 v72, 0x200, v75
	v_mov_b32_e32 v2, 0
	v_mov_b32_e32 v4, 0
	v_add_nc_u32_e32 v73, 16, v75
	s_mov_b32 s5, 0
	.p2align	6
.LBB95_33:                              ; =>This Inner Loop Header: Depth=1
	s_clause 0x3
	buffer_load_dword v80, v73, s[0:3], 0 offen offset:8
	buffer_load_dword v81, v73, s[0:3], 0 offen offset:12
	buffer_load_dword v82, v73, s[0:3], 0 offen
	buffer_load_dword v83, v73, s[0:3], 0 offen offset:4
	ds_read_b128 v[76:79], v72
	v_add_nc_u32_e32 v71, 1, v71
	v_add_nc_u32_e32 v72, 16, v72
	;; [unrolled: 1-line block ×3, first 2 shown]
	v_cmp_lt_u32_e32 vcc_lo, 3, v71
	s_or_b32 s5, vcc_lo, s5
	s_waitcnt vmcnt(2) lgkmcnt(0)
	v_mul_f64 v[84:85], v[78:79], v[80:81]
	v_mul_f64 v[80:81], v[76:77], v[80:81]
	s_waitcnt vmcnt(0)
	v_fma_f64 v[76:77], v[76:77], v[82:83], -v[84:85]
	v_fma_f64 v[78:79], v[78:79], v[82:83], v[80:81]
	v_add_f64 v[3:4], v[3:4], v[76:77]
	v_add_f64 v[1:2], v[1:2], v[78:79]
	s_andn2_b32 exec_lo, exec_lo, s5
	s_cbranch_execnz .LBB95_33
; %bb.34:
	s_or_b32 exec_lo, exec_lo, s5
	v_mov_b32_e32 v71, 0
	ds_read_b128 v[71:74], v71 offset:80
	s_waitcnt lgkmcnt(0)
	v_mul_f64 v[76:77], v[1:2], v[73:74]
	v_mul_f64 v[73:74], v[3:4], v[73:74]
	v_fma_f64 v[3:4], v[3:4], v[71:72], -v[76:77]
	v_fma_f64 v[1:2], v[1:2], v[71:72], v[73:74]
	buffer_store_dword v4, off, s[0:3], 0 offset:100
	buffer_store_dword v3, off, s[0:3], 0 offset:96
	;; [unrolled: 1-line block ×4, first 2 shown]
.LBB95_35:
	s_or_b32 exec_lo, exec_lo, s4
	v_mov_b32_e32 v4, s38
	s_waitcnt_vscnt null, 0x0
	s_barrier
	buffer_gl0_inv
	s_mov_b32 s4, exec_lo
	s_clause 0x3
	buffer_load_dword v1, v4, s[0:3], 0 offen
	buffer_load_dword v2, v4, s[0:3], 0 offen offset:4
	buffer_load_dword v3, v4, s[0:3], 0 offen offset:8
	;; [unrolled: 1-line block ×3, first 2 shown]
	s_waitcnt vmcnt(0)
	ds_write_b128 v69, v[1:4]
	s_waitcnt lgkmcnt(0)
	s_barrier
	buffer_gl0_inv
	v_cmpx_gt_u32_e32 6, v0
	s_cbranch_execz .LBB95_39
; %bb.36:
	v_mov_b32_e32 v1, 0
	v_mov_b32_e32 v3, 0
	v_add_nc_u32_e32 v71, -1, v0
	v_add_nc_u32_e32 v72, 0x200, v75
	v_mov_b32_e32 v2, 0
	v_mov_b32_e32 v4, 0
	v_add_nc_u32_e32 v73, 16, v75
	s_mov_b32 s5, 0
	.p2align	6
.LBB95_37:                              ; =>This Inner Loop Header: Depth=1
	s_clause 0x3
	buffer_load_dword v80, v73, s[0:3], 0 offen offset:8
	buffer_load_dword v81, v73, s[0:3], 0 offen offset:12
	buffer_load_dword v82, v73, s[0:3], 0 offen
	buffer_load_dword v83, v73, s[0:3], 0 offen offset:4
	ds_read_b128 v[76:79], v72
	v_add_nc_u32_e32 v71, 1, v71
	v_add_nc_u32_e32 v72, 16, v72
	;; [unrolled: 1-line block ×3, first 2 shown]
	v_cmp_lt_u32_e32 vcc_lo, 4, v71
	s_or_b32 s5, vcc_lo, s5
	s_waitcnt vmcnt(2) lgkmcnt(0)
	v_mul_f64 v[84:85], v[78:79], v[80:81]
	v_mul_f64 v[80:81], v[76:77], v[80:81]
	s_waitcnt vmcnt(0)
	v_fma_f64 v[76:77], v[76:77], v[82:83], -v[84:85]
	v_fma_f64 v[78:79], v[78:79], v[82:83], v[80:81]
	v_add_f64 v[3:4], v[3:4], v[76:77]
	v_add_f64 v[1:2], v[1:2], v[78:79]
	s_andn2_b32 exec_lo, exec_lo, s5
	s_cbranch_execnz .LBB95_37
; %bb.38:
	s_or_b32 exec_lo, exec_lo, s5
	v_mov_b32_e32 v71, 0
	ds_read_b128 v[71:74], v71 offset:96
	s_waitcnt lgkmcnt(0)
	v_mul_f64 v[76:77], v[1:2], v[73:74]
	v_mul_f64 v[73:74], v[3:4], v[73:74]
	v_fma_f64 v[3:4], v[3:4], v[71:72], -v[76:77]
	v_fma_f64 v[1:2], v[1:2], v[71:72], v[73:74]
	buffer_store_dword v4, off, s[0:3], 0 offset:116
	buffer_store_dword v3, off, s[0:3], 0 offset:112
	;; [unrolled: 1-line block ×4, first 2 shown]
.LBB95_39:
	s_or_b32 exec_lo, exec_lo, s4
	v_mov_b32_e32 v4, s37
	s_waitcnt_vscnt null, 0x0
	s_barrier
	buffer_gl0_inv
	s_mov_b32 s4, exec_lo
	s_clause 0x3
	buffer_load_dword v1, v4, s[0:3], 0 offen
	buffer_load_dword v2, v4, s[0:3], 0 offen offset:4
	buffer_load_dword v3, v4, s[0:3], 0 offen offset:8
	;; [unrolled: 1-line block ×3, first 2 shown]
	s_waitcnt vmcnt(0)
	ds_write_b128 v69, v[1:4]
	s_waitcnt lgkmcnt(0)
	s_barrier
	buffer_gl0_inv
	v_cmpx_gt_u32_e32 7, v0
	s_cbranch_execz .LBB95_43
; %bb.40:
	v_mov_b32_e32 v1, 0
	v_mov_b32_e32 v3, 0
	v_add_nc_u32_e32 v71, -1, v0
	v_add_nc_u32_e32 v72, 0x200, v75
	v_mov_b32_e32 v2, 0
	v_mov_b32_e32 v4, 0
	v_add_nc_u32_e32 v73, 16, v75
	s_mov_b32 s5, 0
	.p2align	6
.LBB95_41:                              ; =>This Inner Loop Header: Depth=1
	s_clause 0x3
	buffer_load_dword v80, v73, s[0:3], 0 offen offset:8
	buffer_load_dword v81, v73, s[0:3], 0 offen offset:12
	buffer_load_dword v82, v73, s[0:3], 0 offen
	buffer_load_dword v83, v73, s[0:3], 0 offen offset:4
	ds_read_b128 v[76:79], v72
	v_add_nc_u32_e32 v71, 1, v71
	v_add_nc_u32_e32 v72, 16, v72
	;; [unrolled: 1-line block ×3, first 2 shown]
	v_cmp_lt_u32_e32 vcc_lo, 5, v71
	s_or_b32 s5, vcc_lo, s5
	s_waitcnt vmcnt(2) lgkmcnt(0)
	v_mul_f64 v[84:85], v[78:79], v[80:81]
	v_mul_f64 v[80:81], v[76:77], v[80:81]
	s_waitcnt vmcnt(0)
	v_fma_f64 v[76:77], v[76:77], v[82:83], -v[84:85]
	v_fma_f64 v[78:79], v[78:79], v[82:83], v[80:81]
	v_add_f64 v[3:4], v[3:4], v[76:77]
	v_add_f64 v[1:2], v[1:2], v[78:79]
	s_andn2_b32 exec_lo, exec_lo, s5
	s_cbranch_execnz .LBB95_41
; %bb.42:
	s_or_b32 exec_lo, exec_lo, s5
	v_mov_b32_e32 v71, 0
	ds_read_b128 v[71:74], v71 offset:112
	s_waitcnt lgkmcnt(0)
	v_mul_f64 v[76:77], v[1:2], v[73:74]
	v_mul_f64 v[73:74], v[3:4], v[73:74]
	v_fma_f64 v[3:4], v[3:4], v[71:72], -v[76:77]
	v_fma_f64 v[1:2], v[1:2], v[71:72], v[73:74]
	buffer_store_dword v4, off, s[0:3], 0 offset:132
	buffer_store_dword v3, off, s[0:3], 0 offset:128
	;; [unrolled: 1-line block ×4, first 2 shown]
.LBB95_43:
	s_or_b32 exec_lo, exec_lo, s4
	v_mov_b32_e32 v4, s36
	s_waitcnt_vscnt null, 0x0
	s_barrier
	buffer_gl0_inv
	s_mov_b32 s4, exec_lo
	s_clause 0x3
	buffer_load_dword v1, v4, s[0:3], 0 offen
	buffer_load_dword v2, v4, s[0:3], 0 offen offset:4
	buffer_load_dword v3, v4, s[0:3], 0 offen offset:8
	;; [unrolled: 1-line block ×3, first 2 shown]
	s_waitcnt vmcnt(0)
	ds_write_b128 v69, v[1:4]
	s_waitcnt lgkmcnt(0)
	s_barrier
	buffer_gl0_inv
	v_cmpx_gt_u32_e32 8, v0
	s_cbranch_execz .LBB95_47
; %bb.44:
	v_mov_b32_e32 v1, 0
	v_mov_b32_e32 v3, 0
	v_add_nc_u32_e32 v71, -1, v0
	v_add_nc_u32_e32 v72, 0x200, v75
	v_mov_b32_e32 v2, 0
	v_mov_b32_e32 v4, 0
	v_add_nc_u32_e32 v73, 16, v75
	s_mov_b32 s5, 0
	.p2align	6
.LBB95_45:                              ; =>This Inner Loop Header: Depth=1
	s_clause 0x3
	buffer_load_dword v80, v73, s[0:3], 0 offen offset:8
	buffer_load_dword v81, v73, s[0:3], 0 offen offset:12
	buffer_load_dword v82, v73, s[0:3], 0 offen
	buffer_load_dword v83, v73, s[0:3], 0 offen offset:4
	ds_read_b128 v[76:79], v72
	v_add_nc_u32_e32 v71, 1, v71
	v_add_nc_u32_e32 v72, 16, v72
	;; [unrolled: 1-line block ×3, first 2 shown]
	v_cmp_lt_u32_e32 vcc_lo, 6, v71
	s_or_b32 s5, vcc_lo, s5
	s_waitcnt vmcnt(2) lgkmcnt(0)
	v_mul_f64 v[84:85], v[78:79], v[80:81]
	v_mul_f64 v[80:81], v[76:77], v[80:81]
	s_waitcnt vmcnt(0)
	v_fma_f64 v[76:77], v[76:77], v[82:83], -v[84:85]
	v_fma_f64 v[78:79], v[78:79], v[82:83], v[80:81]
	v_add_f64 v[3:4], v[3:4], v[76:77]
	v_add_f64 v[1:2], v[1:2], v[78:79]
	s_andn2_b32 exec_lo, exec_lo, s5
	s_cbranch_execnz .LBB95_45
; %bb.46:
	s_or_b32 exec_lo, exec_lo, s5
	v_mov_b32_e32 v71, 0
	ds_read_b128 v[71:74], v71 offset:128
	s_waitcnt lgkmcnt(0)
	v_mul_f64 v[76:77], v[1:2], v[73:74]
	v_mul_f64 v[73:74], v[3:4], v[73:74]
	v_fma_f64 v[3:4], v[3:4], v[71:72], -v[76:77]
	v_fma_f64 v[1:2], v[1:2], v[71:72], v[73:74]
	buffer_store_dword v4, off, s[0:3], 0 offset:148
	buffer_store_dword v3, off, s[0:3], 0 offset:144
	;; [unrolled: 1-line block ×4, first 2 shown]
.LBB95_47:
	s_or_b32 exec_lo, exec_lo, s4
	v_mov_b32_e32 v4, s35
	s_waitcnt_vscnt null, 0x0
	s_barrier
	buffer_gl0_inv
	s_mov_b32 s4, exec_lo
	s_clause 0x3
	buffer_load_dword v1, v4, s[0:3], 0 offen
	buffer_load_dword v2, v4, s[0:3], 0 offen offset:4
	buffer_load_dword v3, v4, s[0:3], 0 offen offset:8
	;; [unrolled: 1-line block ×3, first 2 shown]
	s_waitcnt vmcnt(0)
	ds_write_b128 v69, v[1:4]
	s_waitcnt lgkmcnt(0)
	s_barrier
	buffer_gl0_inv
	v_cmpx_gt_u32_e32 9, v0
	s_cbranch_execz .LBB95_51
; %bb.48:
	v_mov_b32_e32 v1, 0
	v_mov_b32_e32 v3, 0
	v_add_nc_u32_e32 v71, -1, v0
	v_add_nc_u32_e32 v72, 0x200, v75
	v_mov_b32_e32 v2, 0
	v_mov_b32_e32 v4, 0
	v_add_nc_u32_e32 v73, 16, v75
	s_mov_b32 s5, 0
	.p2align	6
.LBB95_49:                              ; =>This Inner Loop Header: Depth=1
	s_clause 0x3
	buffer_load_dword v80, v73, s[0:3], 0 offen offset:8
	buffer_load_dword v81, v73, s[0:3], 0 offen offset:12
	buffer_load_dword v82, v73, s[0:3], 0 offen
	buffer_load_dword v83, v73, s[0:3], 0 offen offset:4
	ds_read_b128 v[76:79], v72
	v_add_nc_u32_e32 v71, 1, v71
	v_add_nc_u32_e32 v72, 16, v72
	;; [unrolled: 1-line block ×3, first 2 shown]
	v_cmp_lt_u32_e32 vcc_lo, 7, v71
	s_or_b32 s5, vcc_lo, s5
	s_waitcnt vmcnt(2) lgkmcnt(0)
	v_mul_f64 v[84:85], v[78:79], v[80:81]
	v_mul_f64 v[80:81], v[76:77], v[80:81]
	s_waitcnt vmcnt(0)
	v_fma_f64 v[76:77], v[76:77], v[82:83], -v[84:85]
	v_fma_f64 v[78:79], v[78:79], v[82:83], v[80:81]
	v_add_f64 v[3:4], v[3:4], v[76:77]
	v_add_f64 v[1:2], v[1:2], v[78:79]
	s_andn2_b32 exec_lo, exec_lo, s5
	s_cbranch_execnz .LBB95_49
; %bb.50:
	s_or_b32 exec_lo, exec_lo, s5
	v_mov_b32_e32 v71, 0
	ds_read_b128 v[71:74], v71 offset:144
	s_waitcnt lgkmcnt(0)
	v_mul_f64 v[76:77], v[1:2], v[73:74]
	v_mul_f64 v[73:74], v[3:4], v[73:74]
	v_fma_f64 v[3:4], v[3:4], v[71:72], -v[76:77]
	v_fma_f64 v[1:2], v[1:2], v[71:72], v[73:74]
	buffer_store_dword v4, off, s[0:3], 0 offset:164
	buffer_store_dword v3, off, s[0:3], 0 offset:160
	;; [unrolled: 1-line block ×4, first 2 shown]
.LBB95_51:
	s_or_b32 exec_lo, exec_lo, s4
	v_mov_b32_e32 v4, s34
	s_waitcnt_vscnt null, 0x0
	s_barrier
	buffer_gl0_inv
	s_mov_b32 s4, exec_lo
	s_clause 0x3
	buffer_load_dword v1, v4, s[0:3], 0 offen
	buffer_load_dword v2, v4, s[0:3], 0 offen offset:4
	buffer_load_dword v3, v4, s[0:3], 0 offen offset:8
	;; [unrolled: 1-line block ×3, first 2 shown]
	s_waitcnt vmcnt(0)
	ds_write_b128 v69, v[1:4]
	s_waitcnt lgkmcnt(0)
	s_barrier
	buffer_gl0_inv
	v_cmpx_gt_u32_e32 10, v0
	s_cbranch_execz .LBB95_55
; %bb.52:
	v_mov_b32_e32 v1, 0
	v_mov_b32_e32 v3, 0
	v_add_nc_u32_e32 v71, -1, v0
	v_add_nc_u32_e32 v72, 0x200, v75
	v_mov_b32_e32 v2, 0
	v_mov_b32_e32 v4, 0
	v_add_nc_u32_e32 v73, 16, v75
	s_mov_b32 s5, 0
	.p2align	6
.LBB95_53:                              ; =>This Inner Loop Header: Depth=1
	s_clause 0x3
	buffer_load_dword v80, v73, s[0:3], 0 offen offset:8
	buffer_load_dword v81, v73, s[0:3], 0 offen offset:12
	buffer_load_dword v82, v73, s[0:3], 0 offen
	buffer_load_dword v83, v73, s[0:3], 0 offen offset:4
	ds_read_b128 v[76:79], v72
	v_add_nc_u32_e32 v71, 1, v71
	v_add_nc_u32_e32 v72, 16, v72
	v_add_nc_u32_e32 v73, 16, v73
	v_cmp_lt_u32_e32 vcc_lo, 8, v71
	s_or_b32 s5, vcc_lo, s5
	s_waitcnt vmcnt(2) lgkmcnt(0)
	v_mul_f64 v[84:85], v[78:79], v[80:81]
	v_mul_f64 v[80:81], v[76:77], v[80:81]
	s_waitcnt vmcnt(0)
	v_fma_f64 v[76:77], v[76:77], v[82:83], -v[84:85]
	v_fma_f64 v[78:79], v[78:79], v[82:83], v[80:81]
	v_add_f64 v[3:4], v[3:4], v[76:77]
	v_add_f64 v[1:2], v[1:2], v[78:79]
	s_andn2_b32 exec_lo, exec_lo, s5
	s_cbranch_execnz .LBB95_53
; %bb.54:
	s_or_b32 exec_lo, exec_lo, s5
	v_mov_b32_e32 v71, 0
	ds_read_b128 v[71:74], v71 offset:160
	s_waitcnt lgkmcnt(0)
	v_mul_f64 v[76:77], v[1:2], v[73:74]
	v_mul_f64 v[73:74], v[3:4], v[73:74]
	v_fma_f64 v[3:4], v[3:4], v[71:72], -v[76:77]
	v_fma_f64 v[1:2], v[1:2], v[71:72], v[73:74]
	buffer_store_dword v4, off, s[0:3], 0 offset:180
	buffer_store_dword v3, off, s[0:3], 0 offset:176
	;; [unrolled: 1-line block ×4, first 2 shown]
.LBB95_55:
	s_or_b32 exec_lo, exec_lo, s4
	v_mov_b32_e32 v4, s33
	s_waitcnt_vscnt null, 0x0
	s_barrier
	buffer_gl0_inv
	s_mov_b32 s4, exec_lo
	s_clause 0x3
	buffer_load_dword v1, v4, s[0:3], 0 offen
	buffer_load_dword v2, v4, s[0:3], 0 offen offset:4
	buffer_load_dword v3, v4, s[0:3], 0 offen offset:8
	;; [unrolled: 1-line block ×3, first 2 shown]
	s_waitcnt vmcnt(0)
	ds_write_b128 v69, v[1:4]
	s_waitcnt lgkmcnt(0)
	s_barrier
	buffer_gl0_inv
	v_cmpx_gt_u32_e32 11, v0
	s_cbranch_execz .LBB95_59
; %bb.56:
	v_mov_b32_e32 v1, 0
	v_mov_b32_e32 v3, 0
	v_add_nc_u32_e32 v71, -1, v0
	v_add_nc_u32_e32 v72, 0x200, v75
	v_mov_b32_e32 v2, 0
	v_mov_b32_e32 v4, 0
	v_add_nc_u32_e32 v73, 16, v75
	s_mov_b32 s5, 0
	.p2align	6
.LBB95_57:                              ; =>This Inner Loop Header: Depth=1
	s_clause 0x3
	buffer_load_dword v80, v73, s[0:3], 0 offen offset:8
	buffer_load_dword v81, v73, s[0:3], 0 offen offset:12
	buffer_load_dword v82, v73, s[0:3], 0 offen
	buffer_load_dword v83, v73, s[0:3], 0 offen offset:4
	ds_read_b128 v[76:79], v72
	v_add_nc_u32_e32 v71, 1, v71
	v_add_nc_u32_e32 v72, 16, v72
	;; [unrolled: 1-line block ×3, first 2 shown]
	v_cmp_lt_u32_e32 vcc_lo, 9, v71
	s_or_b32 s5, vcc_lo, s5
	s_waitcnt vmcnt(2) lgkmcnt(0)
	v_mul_f64 v[84:85], v[78:79], v[80:81]
	v_mul_f64 v[80:81], v[76:77], v[80:81]
	s_waitcnt vmcnt(0)
	v_fma_f64 v[76:77], v[76:77], v[82:83], -v[84:85]
	v_fma_f64 v[78:79], v[78:79], v[82:83], v[80:81]
	v_add_f64 v[3:4], v[3:4], v[76:77]
	v_add_f64 v[1:2], v[1:2], v[78:79]
	s_andn2_b32 exec_lo, exec_lo, s5
	s_cbranch_execnz .LBB95_57
; %bb.58:
	s_or_b32 exec_lo, exec_lo, s5
	v_mov_b32_e32 v71, 0
	ds_read_b128 v[71:74], v71 offset:176
	s_waitcnt lgkmcnt(0)
	v_mul_f64 v[76:77], v[1:2], v[73:74]
	v_mul_f64 v[73:74], v[3:4], v[73:74]
	v_fma_f64 v[3:4], v[3:4], v[71:72], -v[76:77]
	v_fma_f64 v[1:2], v[1:2], v[71:72], v[73:74]
	buffer_store_dword v4, off, s[0:3], 0 offset:196
	buffer_store_dword v3, off, s[0:3], 0 offset:192
	;; [unrolled: 1-line block ×4, first 2 shown]
.LBB95_59:
	s_or_b32 exec_lo, exec_lo, s4
	v_mov_b32_e32 v4, s31
	s_waitcnt_vscnt null, 0x0
	s_barrier
	buffer_gl0_inv
	s_mov_b32 s4, exec_lo
	s_clause 0x3
	buffer_load_dword v1, v4, s[0:3], 0 offen
	buffer_load_dword v2, v4, s[0:3], 0 offen offset:4
	buffer_load_dword v3, v4, s[0:3], 0 offen offset:8
	;; [unrolled: 1-line block ×3, first 2 shown]
	s_waitcnt vmcnt(0)
	ds_write_b128 v69, v[1:4]
	s_waitcnt lgkmcnt(0)
	s_barrier
	buffer_gl0_inv
	v_cmpx_gt_u32_e32 12, v0
	s_cbranch_execz .LBB95_63
; %bb.60:
	v_mov_b32_e32 v1, 0
	v_mov_b32_e32 v3, 0
	v_add_nc_u32_e32 v71, -1, v0
	v_add_nc_u32_e32 v72, 0x200, v75
	v_mov_b32_e32 v2, 0
	v_mov_b32_e32 v4, 0
	v_add_nc_u32_e32 v73, 16, v75
	s_mov_b32 s5, 0
	.p2align	6
.LBB95_61:                              ; =>This Inner Loop Header: Depth=1
	s_clause 0x3
	buffer_load_dword v80, v73, s[0:3], 0 offen offset:8
	buffer_load_dword v81, v73, s[0:3], 0 offen offset:12
	buffer_load_dword v82, v73, s[0:3], 0 offen
	buffer_load_dword v83, v73, s[0:3], 0 offen offset:4
	ds_read_b128 v[76:79], v72
	v_add_nc_u32_e32 v71, 1, v71
	v_add_nc_u32_e32 v72, 16, v72
	v_add_nc_u32_e32 v73, 16, v73
	v_cmp_lt_u32_e32 vcc_lo, 10, v71
	s_or_b32 s5, vcc_lo, s5
	s_waitcnt vmcnt(2) lgkmcnt(0)
	v_mul_f64 v[84:85], v[78:79], v[80:81]
	v_mul_f64 v[80:81], v[76:77], v[80:81]
	s_waitcnt vmcnt(0)
	v_fma_f64 v[76:77], v[76:77], v[82:83], -v[84:85]
	v_fma_f64 v[78:79], v[78:79], v[82:83], v[80:81]
	v_add_f64 v[3:4], v[3:4], v[76:77]
	v_add_f64 v[1:2], v[1:2], v[78:79]
	s_andn2_b32 exec_lo, exec_lo, s5
	s_cbranch_execnz .LBB95_61
; %bb.62:
	s_or_b32 exec_lo, exec_lo, s5
	v_mov_b32_e32 v71, 0
	ds_read_b128 v[71:74], v71 offset:192
	s_waitcnt lgkmcnt(0)
	v_mul_f64 v[76:77], v[1:2], v[73:74]
	v_mul_f64 v[73:74], v[3:4], v[73:74]
	v_fma_f64 v[3:4], v[3:4], v[71:72], -v[76:77]
	v_fma_f64 v[1:2], v[1:2], v[71:72], v[73:74]
	buffer_store_dword v4, off, s[0:3], 0 offset:212
	buffer_store_dword v3, off, s[0:3], 0 offset:208
	;; [unrolled: 1-line block ×4, first 2 shown]
.LBB95_63:
	s_or_b32 exec_lo, exec_lo, s4
	v_mov_b32_e32 v4, s30
	s_waitcnt_vscnt null, 0x0
	s_barrier
	buffer_gl0_inv
	s_mov_b32 s4, exec_lo
	s_clause 0x3
	buffer_load_dword v1, v4, s[0:3], 0 offen
	buffer_load_dword v2, v4, s[0:3], 0 offen offset:4
	buffer_load_dword v3, v4, s[0:3], 0 offen offset:8
	;; [unrolled: 1-line block ×3, first 2 shown]
	s_waitcnt vmcnt(0)
	ds_write_b128 v69, v[1:4]
	s_waitcnt lgkmcnt(0)
	s_barrier
	buffer_gl0_inv
	v_cmpx_gt_u32_e32 13, v0
	s_cbranch_execz .LBB95_67
; %bb.64:
	v_mov_b32_e32 v1, 0
	v_mov_b32_e32 v3, 0
	v_add_nc_u32_e32 v71, -1, v0
	v_add_nc_u32_e32 v72, 0x200, v75
	v_mov_b32_e32 v2, 0
	v_mov_b32_e32 v4, 0
	v_add_nc_u32_e32 v73, 16, v75
	s_mov_b32 s5, 0
	.p2align	6
.LBB95_65:                              ; =>This Inner Loop Header: Depth=1
	s_clause 0x3
	buffer_load_dword v80, v73, s[0:3], 0 offen offset:8
	buffer_load_dword v81, v73, s[0:3], 0 offen offset:12
	buffer_load_dword v82, v73, s[0:3], 0 offen
	buffer_load_dword v83, v73, s[0:3], 0 offen offset:4
	ds_read_b128 v[76:79], v72
	v_add_nc_u32_e32 v71, 1, v71
	v_add_nc_u32_e32 v72, 16, v72
	;; [unrolled: 1-line block ×3, first 2 shown]
	v_cmp_lt_u32_e32 vcc_lo, 11, v71
	s_or_b32 s5, vcc_lo, s5
	s_waitcnt vmcnt(2) lgkmcnt(0)
	v_mul_f64 v[84:85], v[78:79], v[80:81]
	v_mul_f64 v[80:81], v[76:77], v[80:81]
	s_waitcnt vmcnt(0)
	v_fma_f64 v[76:77], v[76:77], v[82:83], -v[84:85]
	v_fma_f64 v[78:79], v[78:79], v[82:83], v[80:81]
	v_add_f64 v[3:4], v[3:4], v[76:77]
	v_add_f64 v[1:2], v[1:2], v[78:79]
	s_andn2_b32 exec_lo, exec_lo, s5
	s_cbranch_execnz .LBB95_65
; %bb.66:
	s_or_b32 exec_lo, exec_lo, s5
	v_mov_b32_e32 v71, 0
	ds_read_b128 v[71:74], v71 offset:208
	s_waitcnt lgkmcnt(0)
	v_mul_f64 v[76:77], v[1:2], v[73:74]
	v_mul_f64 v[73:74], v[3:4], v[73:74]
	v_fma_f64 v[3:4], v[3:4], v[71:72], -v[76:77]
	v_fma_f64 v[1:2], v[1:2], v[71:72], v[73:74]
	buffer_store_dword v4, off, s[0:3], 0 offset:228
	buffer_store_dword v3, off, s[0:3], 0 offset:224
	;; [unrolled: 1-line block ×4, first 2 shown]
.LBB95_67:
	s_or_b32 exec_lo, exec_lo, s4
	v_mov_b32_e32 v4, s29
	s_waitcnt_vscnt null, 0x0
	s_barrier
	buffer_gl0_inv
	s_mov_b32 s4, exec_lo
	s_clause 0x3
	buffer_load_dword v1, v4, s[0:3], 0 offen
	buffer_load_dword v2, v4, s[0:3], 0 offen offset:4
	buffer_load_dword v3, v4, s[0:3], 0 offen offset:8
	;; [unrolled: 1-line block ×3, first 2 shown]
	s_waitcnt vmcnt(0)
	ds_write_b128 v69, v[1:4]
	s_waitcnt lgkmcnt(0)
	s_barrier
	buffer_gl0_inv
	v_cmpx_gt_u32_e32 14, v0
	s_cbranch_execz .LBB95_71
; %bb.68:
	v_mov_b32_e32 v1, 0
	v_mov_b32_e32 v3, 0
	v_add_nc_u32_e32 v71, -1, v0
	v_add_nc_u32_e32 v72, 0x200, v75
	v_mov_b32_e32 v2, 0
	v_mov_b32_e32 v4, 0
	v_add_nc_u32_e32 v73, 16, v75
	s_mov_b32 s5, 0
	.p2align	6
.LBB95_69:                              ; =>This Inner Loop Header: Depth=1
	s_clause 0x3
	buffer_load_dword v80, v73, s[0:3], 0 offen offset:8
	buffer_load_dword v81, v73, s[0:3], 0 offen offset:12
	buffer_load_dword v82, v73, s[0:3], 0 offen
	buffer_load_dword v83, v73, s[0:3], 0 offen offset:4
	ds_read_b128 v[76:79], v72
	v_add_nc_u32_e32 v71, 1, v71
	v_add_nc_u32_e32 v72, 16, v72
	;; [unrolled: 1-line block ×3, first 2 shown]
	v_cmp_lt_u32_e32 vcc_lo, 12, v71
	s_or_b32 s5, vcc_lo, s5
	s_waitcnt vmcnt(2) lgkmcnt(0)
	v_mul_f64 v[84:85], v[78:79], v[80:81]
	v_mul_f64 v[80:81], v[76:77], v[80:81]
	s_waitcnt vmcnt(0)
	v_fma_f64 v[76:77], v[76:77], v[82:83], -v[84:85]
	v_fma_f64 v[78:79], v[78:79], v[82:83], v[80:81]
	v_add_f64 v[3:4], v[3:4], v[76:77]
	v_add_f64 v[1:2], v[1:2], v[78:79]
	s_andn2_b32 exec_lo, exec_lo, s5
	s_cbranch_execnz .LBB95_69
; %bb.70:
	s_or_b32 exec_lo, exec_lo, s5
	v_mov_b32_e32 v71, 0
	ds_read_b128 v[71:74], v71 offset:224
	s_waitcnt lgkmcnt(0)
	v_mul_f64 v[76:77], v[1:2], v[73:74]
	v_mul_f64 v[73:74], v[3:4], v[73:74]
	v_fma_f64 v[3:4], v[3:4], v[71:72], -v[76:77]
	v_fma_f64 v[1:2], v[1:2], v[71:72], v[73:74]
	buffer_store_dword v4, off, s[0:3], 0 offset:244
	buffer_store_dword v3, off, s[0:3], 0 offset:240
	;; [unrolled: 1-line block ×4, first 2 shown]
.LBB95_71:
	s_or_b32 exec_lo, exec_lo, s4
	v_mov_b32_e32 v4, s28
	s_waitcnt_vscnt null, 0x0
	s_barrier
	buffer_gl0_inv
	s_mov_b32 s4, exec_lo
	s_clause 0x3
	buffer_load_dword v1, v4, s[0:3], 0 offen
	buffer_load_dword v2, v4, s[0:3], 0 offen offset:4
	buffer_load_dword v3, v4, s[0:3], 0 offen offset:8
	;; [unrolled: 1-line block ×3, first 2 shown]
	s_waitcnt vmcnt(0)
	ds_write_b128 v69, v[1:4]
	s_waitcnt lgkmcnt(0)
	s_barrier
	buffer_gl0_inv
	v_cmpx_gt_u32_e32 15, v0
	s_cbranch_execz .LBB95_75
; %bb.72:
	v_mov_b32_e32 v1, 0
	v_mov_b32_e32 v3, 0
	v_add_nc_u32_e32 v71, -1, v0
	v_add_nc_u32_e32 v72, 0x200, v75
	v_mov_b32_e32 v2, 0
	v_mov_b32_e32 v4, 0
	v_add_nc_u32_e32 v73, 16, v75
	s_mov_b32 s5, 0
	.p2align	6
.LBB95_73:                              ; =>This Inner Loop Header: Depth=1
	s_clause 0x3
	buffer_load_dword v80, v73, s[0:3], 0 offen offset:8
	buffer_load_dword v81, v73, s[0:3], 0 offen offset:12
	buffer_load_dword v82, v73, s[0:3], 0 offen
	buffer_load_dword v83, v73, s[0:3], 0 offen offset:4
	ds_read_b128 v[76:79], v72
	v_add_nc_u32_e32 v71, 1, v71
	v_add_nc_u32_e32 v72, 16, v72
	;; [unrolled: 1-line block ×3, first 2 shown]
	v_cmp_lt_u32_e32 vcc_lo, 13, v71
	s_or_b32 s5, vcc_lo, s5
	s_waitcnt vmcnt(2) lgkmcnt(0)
	v_mul_f64 v[84:85], v[78:79], v[80:81]
	v_mul_f64 v[80:81], v[76:77], v[80:81]
	s_waitcnt vmcnt(0)
	v_fma_f64 v[76:77], v[76:77], v[82:83], -v[84:85]
	v_fma_f64 v[78:79], v[78:79], v[82:83], v[80:81]
	v_add_f64 v[3:4], v[3:4], v[76:77]
	v_add_f64 v[1:2], v[1:2], v[78:79]
	s_andn2_b32 exec_lo, exec_lo, s5
	s_cbranch_execnz .LBB95_73
; %bb.74:
	s_or_b32 exec_lo, exec_lo, s5
	v_mov_b32_e32 v71, 0
	ds_read_b128 v[71:74], v71 offset:240
	s_waitcnt lgkmcnt(0)
	v_mul_f64 v[76:77], v[1:2], v[73:74]
	v_mul_f64 v[73:74], v[3:4], v[73:74]
	v_fma_f64 v[3:4], v[3:4], v[71:72], -v[76:77]
	v_fma_f64 v[1:2], v[1:2], v[71:72], v[73:74]
	buffer_store_dword v4, off, s[0:3], 0 offset:260
	buffer_store_dword v3, off, s[0:3], 0 offset:256
	;; [unrolled: 1-line block ×4, first 2 shown]
.LBB95_75:
	s_or_b32 exec_lo, exec_lo, s4
	v_mov_b32_e32 v4, s27
	s_waitcnt_vscnt null, 0x0
	s_barrier
	buffer_gl0_inv
	s_mov_b32 s4, exec_lo
	s_clause 0x3
	buffer_load_dword v1, v4, s[0:3], 0 offen
	buffer_load_dword v2, v4, s[0:3], 0 offen offset:4
	buffer_load_dword v3, v4, s[0:3], 0 offen offset:8
	;; [unrolled: 1-line block ×3, first 2 shown]
	s_waitcnt vmcnt(0)
	ds_write_b128 v69, v[1:4]
	s_waitcnt lgkmcnt(0)
	s_barrier
	buffer_gl0_inv
	v_cmpx_gt_u32_e32 16, v0
	s_cbranch_execz .LBB95_79
; %bb.76:
	v_mov_b32_e32 v1, 0
	v_mov_b32_e32 v3, 0
	v_add_nc_u32_e32 v71, -1, v0
	v_add_nc_u32_e32 v72, 0x200, v75
	v_mov_b32_e32 v2, 0
	v_mov_b32_e32 v4, 0
	v_add_nc_u32_e32 v73, 16, v75
	s_mov_b32 s5, 0
	.p2align	6
.LBB95_77:                              ; =>This Inner Loop Header: Depth=1
	s_clause 0x3
	buffer_load_dword v80, v73, s[0:3], 0 offen offset:8
	buffer_load_dword v81, v73, s[0:3], 0 offen offset:12
	buffer_load_dword v82, v73, s[0:3], 0 offen
	buffer_load_dword v83, v73, s[0:3], 0 offen offset:4
	ds_read_b128 v[76:79], v72
	v_add_nc_u32_e32 v71, 1, v71
	v_add_nc_u32_e32 v72, 16, v72
	;; [unrolled: 1-line block ×3, first 2 shown]
	v_cmp_lt_u32_e32 vcc_lo, 14, v71
	s_or_b32 s5, vcc_lo, s5
	s_waitcnt vmcnt(2) lgkmcnt(0)
	v_mul_f64 v[84:85], v[78:79], v[80:81]
	v_mul_f64 v[80:81], v[76:77], v[80:81]
	s_waitcnt vmcnt(0)
	v_fma_f64 v[76:77], v[76:77], v[82:83], -v[84:85]
	v_fma_f64 v[78:79], v[78:79], v[82:83], v[80:81]
	v_add_f64 v[3:4], v[3:4], v[76:77]
	v_add_f64 v[1:2], v[1:2], v[78:79]
	s_andn2_b32 exec_lo, exec_lo, s5
	s_cbranch_execnz .LBB95_77
; %bb.78:
	s_or_b32 exec_lo, exec_lo, s5
	v_mov_b32_e32 v71, 0
	ds_read_b128 v[71:74], v71 offset:256
	s_waitcnt lgkmcnt(0)
	v_mul_f64 v[76:77], v[1:2], v[73:74]
	v_mul_f64 v[73:74], v[3:4], v[73:74]
	v_fma_f64 v[3:4], v[3:4], v[71:72], -v[76:77]
	v_fma_f64 v[1:2], v[1:2], v[71:72], v[73:74]
	buffer_store_dword v4, off, s[0:3], 0 offset:276
	buffer_store_dword v3, off, s[0:3], 0 offset:272
	;; [unrolled: 1-line block ×4, first 2 shown]
.LBB95_79:
	s_or_b32 exec_lo, exec_lo, s4
	v_mov_b32_e32 v4, s26
	s_waitcnt_vscnt null, 0x0
	s_barrier
	buffer_gl0_inv
	s_mov_b32 s4, exec_lo
	s_clause 0x3
	buffer_load_dword v1, v4, s[0:3], 0 offen
	buffer_load_dword v2, v4, s[0:3], 0 offen offset:4
	buffer_load_dword v3, v4, s[0:3], 0 offen offset:8
	;; [unrolled: 1-line block ×3, first 2 shown]
	s_waitcnt vmcnt(0)
	ds_write_b128 v69, v[1:4]
	s_waitcnt lgkmcnt(0)
	s_barrier
	buffer_gl0_inv
	v_cmpx_gt_u32_e32 17, v0
	s_cbranch_execz .LBB95_83
; %bb.80:
	v_mov_b32_e32 v1, 0
	v_mov_b32_e32 v3, 0
	v_add_nc_u32_e32 v71, -1, v0
	v_add_nc_u32_e32 v72, 0x200, v75
	v_mov_b32_e32 v2, 0
	v_mov_b32_e32 v4, 0
	v_add_nc_u32_e32 v73, 16, v75
	s_mov_b32 s5, 0
	.p2align	6
.LBB95_81:                              ; =>This Inner Loop Header: Depth=1
	s_clause 0x3
	buffer_load_dword v80, v73, s[0:3], 0 offen offset:8
	buffer_load_dword v81, v73, s[0:3], 0 offen offset:12
	buffer_load_dword v82, v73, s[0:3], 0 offen
	buffer_load_dword v83, v73, s[0:3], 0 offen offset:4
	ds_read_b128 v[76:79], v72
	v_add_nc_u32_e32 v71, 1, v71
	v_add_nc_u32_e32 v72, 16, v72
	;; [unrolled: 1-line block ×3, first 2 shown]
	v_cmp_lt_u32_e32 vcc_lo, 15, v71
	s_or_b32 s5, vcc_lo, s5
	s_waitcnt vmcnt(2) lgkmcnt(0)
	v_mul_f64 v[84:85], v[78:79], v[80:81]
	v_mul_f64 v[80:81], v[76:77], v[80:81]
	s_waitcnt vmcnt(0)
	v_fma_f64 v[76:77], v[76:77], v[82:83], -v[84:85]
	v_fma_f64 v[78:79], v[78:79], v[82:83], v[80:81]
	v_add_f64 v[3:4], v[3:4], v[76:77]
	v_add_f64 v[1:2], v[1:2], v[78:79]
	s_andn2_b32 exec_lo, exec_lo, s5
	s_cbranch_execnz .LBB95_81
; %bb.82:
	s_or_b32 exec_lo, exec_lo, s5
	v_mov_b32_e32 v71, 0
	ds_read_b128 v[71:74], v71 offset:272
	s_waitcnt lgkmcnt(0)
	v_mul_f64 v[76:77], v[1:2], v[73:74]
	v_mul_f64 v[73:74], v[3:4], v[73:74]
	v_fma_f64 v[3:4], v[3:4], v[71:72], -v[76:77]
	v_fma_f64 v[1:2], v[1:2], v[71:72], v[73:74]
	buffer_store_dword v4, off, s[0:3], 0 offset:292
	buffer_store_dword v3, off, s[0:3], 0 offset:288
	;; [unrolled: 1-line block ×4, first 2 shown]
.LBB95_83:
	s_or_b32 exec_lo, exec_lo, s4
	v_mov_b32_e32 v4, s25
	s_waitcnt_vscnt null, 0x0
	s_barrier
	buffer_gl0_inv
	s_mov_b32 s4, exec_lo
	s_clause 0x3
	buffer_load_dword v1, v4, s[0:3], 0 offen
	buffer_load_dword v2, v4, s[0:3], 0 offen offset:4
	buffer_load_dword v3, v4, s[0:3], 0 offen offset:8
	;; [unrolled: 1-line block ×3, first 2 shown]
	s_waitcnt vmcnt(0)
	ds_write_b128 v69, v[1:4]
	s_waitcnt lgkmcnt(0)
	s_barrier
	buffer_gl0_inv
	v_cmpx_gt_u32_e32 18, v0
	s_cbranch_execz .LBB95_87
; %bb.84:
	v_mov_b32_e32 v1, 0
	v_mov_b32_e32 v3, 0
	v_add_nc_u32_e32 v71, -1, v0
	v_add_nc_u32_e32 v72, 0x200, v75
	v_mov_b32_e32 v2, 0
	v_mov_b32_e32 v4, 0
	v_add_nc_u32_e32 v73, 16, v75
	s_mov_b32 s5, 0
	.p2align	6
.LBB95_85:                              ; =>This Inner Loop Header: Depth=1
	s_clause 0x3
	buffer_load_dword v80, v73, s[0:3], 0 offen offset:8
	buffer_load_dword v81, v73, s[0:3], 0 offen offset:12
	buffer_load_dword v82, v73, s[0:3], 0 offen
	buffer_load_dword v83, v73, s[0:3], 0 offen offset:4
	ds_read_b128 v[76:79], v72
	v_add_nc_u32_e32 v71, 1, v71
	v_add_nc_u32_e32 v72, 16, v72
	;; [unrolled: 1-line block ×3, first 2 shown]
	v_cmp_lt_u32_e32 vcc_lo, 16, v71
	s_or_b32 s5, vcc_lo, s5
	s_waitcnt vmcnt(2) lgkmcnt(0)
	v_mul_f64 v[84:85], v[78:79], v[80:81]
	v_mul_f64 v[80:81], v[76:77], v[80:81]
	s_waitcnt vmcnt(0)
	v_fma_f64 v[76:77], v[76:77], v[82:83], -v[84:85]
	v_fma_f64 v[78:79], v[78:79], v[82:83], v[80:81]
	v_add_f64 v[3:4], v[3:4], v[76:77]
	v_add_f64 v[1:2], v[1:2], v[78:79]
	s_andn2_b32 exec_lo, exec_lo, s5
	s_cbranch_execnz .LBB95_85
; %bb.86:
	s_or_b32 exec_lo, exec_lo, s5
	v_mov_b32_e32 v71, 0
	ds_read_b128 v[71:74], v71 offset:288
	s_waitcnt lgkmcnt(0)
	v_mul_f64 v[76:77], v[1:2], v[73:74]
	v_mul_f64 v[73:74], v[3:4], v[73:74]
	v_fma_f64 v[3:4], v[3:4], v[71:72], -v[76:77]
	v_fma_f64 v[1:2], v[1:2], v[71:72], v[73:74]
	buffer_store_dword v4, off, s[0:3], 0 offset:308
	buffer_store_dword v3, off, s[0:3], 0 offset:304
	;; [unrolled: 1-line block ×4, first 2 shown]
.LBB95_87:
	s_or_b32 exec_lo, exec_lo, s4
	v_mov_b32_e32 v4, s24
	s_waitcnt_vscnt null, 0x0
	s_barrier
	buffer_gl0_inv
	s_mov_b32 s4, exec_lo
	s_clause 0x3
	buffer_load_dword v1, v4, s[0:3], 0 offen
	buffer_load_dword v2, v4, s[0:3], 0 offen offset:4
	buffer_load_dword v3, v4, s[0:3], 0 offen offset:8
	;; [unrolled: 1-line block ×3, first 2 shown]
	s_waitcnt vmcnt(0)
	ds_write_b128 v69, v[1:4]
	s_waitcnt lgkmcnt(0)
	s_barrier
	buffer_gl0_inv
	v_cmpx_gt_u32_e32 19, v0
	s_cbranch_execz .LBB95_91
; %bb.88:
	v_mov_b32_e32 v1, 0
	v_mov_b32_e32 v3, 0
	v_add_nc_u32_e32 v71, -1, v0
	v_add_nc_u32_e32 v72, 0x200, v75
	v_mov_b32_e32 v2, 0
	v_mov_b32_e32 v4, 0
	v_add_nc_u32_e32 v73, 16, v75
	s_mov_b32 s5, 0
	.p2align	6
.LBB95_89:                              ; =>This Inner Loop Header: Depth=1
	s_clause 0x3
	buffer_load_dword v80, v73, s[0:3], 0 offen offset:8
	buffer_load_dword v81, v73, s[0:3], 0 offen offset:12
	buffer_load_dword v82, v73, s[0:3], 0 offen
	buffer_load_dword v83, v73, s[0:3], 0 offen offset:4
	ds_read_b128 v[76:79], v72
	v_add_nc_u32_e32 v71, 1, v71
	v_add_nc_u32_e32 v72, 16, v72
	v_add_nc_u32_e32 v73, 16, v73
	v_cmp_lt_u32_e32 vcc_lo, 17, v71
	s_or_b32 s5, vcc_lo, s5
	s_waitcnt vmcnt(2) lgkmcnt(0)
	v_mul_f64 v[84:85], v[78:79], v[80:81]
	v_mul_f64 v[80:81], v[76:77], v[80:81]
	s_waitcnt vmcnt(0)
	v_fma_f64 v[76:77], v[76:77], v[82:83], -v[84:85]
	v_fma_f64 v[78:79], v[78:79], v[82:83], v[80:81]
	v_add_f64 v[3:4], v[3:4], v[76:77]
	v_add_f64 v[1:2], v[1:2], v[78:79]
	s_andn2_b32 exec_lo, exec_lo, s5
	s_cbranch_execnz .LBB95_89
; %bb.90:
	s_or_b32 exec_lo, exec_lo, s5
	v_mov_b32_e32 v71, 0
	ds_read_b128 v[71:74], v71 offset:304
	s_waitcnt lgkmcnt(0)
	v_mul_f64 v[76:77], v[1:2], v[73:74]
	v_mul_f64 v[73:74], v[3:4], v[73:74]
	v_fma_f64 v[3:4], v[3:4], v[71:72], -v[76:77]
	v_fma_f64 v[1:2], v[1:2], v[71:72], v[73:74]
	buffer_store_dword v4, off, s[0:3], 0 offset:324
	buffer_store_dword v3, off, s[0:3], 0 offset:320
	;; [unrolled: 1-line block ×4, first 2 shown]
.LBB95_91:
	s_or_b32 exec_lo, exec_lo, s4
	v_mov_b32_e32 v4, s23
	s_waitcnt_vscnt null, 0x0
	s_barrier
	buffer_gl0_inv
	s_mov_b32 s4, exec_lo
	s_clause 0x3
	buffer_load_dword v1, v4, s[0:3], 0 offen
	buffer_load_dword v2, v4, s[0:3], 0 offen offset:4
	buffer_load_dword v3, v4, s[0:3], 0 offen offset:8
	;; [unrolled: 1-line block ×3, first 2 shown]
	s_waitcnt vmcnt(0)
	ds_write_b128 v69, v[1:4]
	s_waitcnt lgkmcnt(0)
	s_barrier
	buffer_gl0_inv
	v_cmpx_gt_u32_e32 20, v0
	s_cbranch_execz .LBB95_95
; %bb.92:
	v_mov_b32_e32 v1, 0
	v_mov_b32_e32 v3, 0
	v_add_nc_u32_e32 v71, -1, v0
	v_add_nc_u32_e32 v72, 0x200, v75
	v_mov_b32_e32 v2, 0
	v_mov_b32_e32 v4, 0
	v_add_nc_u32_e32 v73, 16, v75
	s_mov_b32 s5, 0
	.p2align	6
.LBB95_93:                              ; =>This Inner Loop Header: Depth=1
	s_clause 0x3
	buffer_load_dword v80, v73, s[0:3], 0 offen offset:8
	buffer_load_dword v81, v73, s[0:3], 0 offen offset:12
	buffer_load_dword v82, v73, s[0:3], 0 offen
	buffer_load_dword v83, v73, s[0:3], 0 offen offset:4
	ds_read_b128 v[76:79], v72
	v_add_nc_u32_e32 v71, 1, v71
	v_add_nc_u32_e32 v72, 16, v72
	;; [unrolled: 1-line block ×3, first 2 shown]
	v_cmp_lt_u32_e32 vcc_lo, 18, v71
	s_or_b32 s5, vcc_lo, s5
	s_waitcnt vmcnt(2) lgkmcnt(0)
	v_mul_f64 v[84:85], v[78:79], v[80:81]
	v_mul_f64 v[80:81], v[76:77], v[80:81]
	s_waitcnt vmcnt(0)
	v_fma_f64 v[76:77], v[76:77], v[82:83], -v[84:85]
	v_fma_f64 v[78:79], v[78:79], v[82:83], v[80:81]
	v_add_f64 v[3:4], v[3:4], v[76:77]
	v_add_f64 v[1:2], v[1:2], v[78:79]
	s_andn2_b32 exec_lo, exec_lo, s5
	s_cbranch_execnz .LBB95_93
; %bb.94:
	s_or_b32 exec_lo, exec_lo, s5
	v_mov_b32_e32 v71, 0
	ds_read_b128 v[71:74], v71 offset:320
	s_waitcnt lgkmcnt(0)
	v_mul_f64 v[76:77], v[1:2], v[73:74]
	v_mul_f64 v[73:74], v[3:4], v[73:74]
	v_fma_f64 v[3:4], v[3:4], v[71:72], -v[76:77]
	v_fma_f64 v[1:2], v[1:2], v[71:72], v[73:74]
	buffer_store_dword v4, off, s[0:3], 0 offset:340
	buffer_store_dword v3, off, s[0:3], 0 offset:336
	;; [unrolled: 1-line block ×4, first 2 shown]
.LBB95_95:
	s_or_b32 exec_lo, exec_lo, s4
	v_mov_b32_e32 v4, s22
	s_waitcnt_vscnt null, 0x0
	s_barrier
	buffer_gl0_inv
	s_mov_b32 s4, exec_lo
	s_clause 0x3
	buffer_load_dword v1, v4, s[0:3], 0 offen
	buffer_load_dword v2, v4, s[0:3], 0 offen offset:4
	buffer_load_dword v3, v4, s[0:3], 0 offen offset:8
	;; [unrolled: 1-line block ×3, first 2 shown]
	s_waitcnt vmcnt(0)
	ds_write_b128 v69, v[1:4]
	s_waitcnt lgkmcnt(0)
	s_barrier
	buffer_gl0_inv
	v_cmpx_gt_u32_e32 21, v0
	s_cbranch_execz .LBB95_99
; %bb.96:
	v_mov_b32_e32 v1, 0
	v_mov_b32_e32 v3, 0
	v_add_nc_u32_e32 v71, -1, v0
	v_add_nc_u32_e32 v72, 0x200, v75
	v_mov_b32_e32 v2, 0
	v_mov_b32_e32 v4, 0
	v_add_nc_u32_e32 v73, 16, v75
	s_mov_b32 s5, 0
	.p2align	6
.LBB95_97:                              ; =>This Inner Loop Header: Depth=1
	s_clause 0x3
	buffer_load_dword v80, v73, s[0:3], 0 offen offset:8
	buffer_load_dword v81, v73, s[0:3], 0 offen offset:12
	buffer_load_dword v82, v73, s[0:3], 0 offen
	buffer_load_dword v83, v73, s[0:3], 0 offen offset:4
	ds_read_b128 v[76:79], v72
	v_add_nc_u32_e32 v71, 1, v71
	v_add_nc_u32_e32 v72, 16, v72
	;; [unrolled: 1-line block ×3, first 2 shown]
	v_cmp_lt_u32_e32 vcc_lo, 19, v71
	s_or_b32 s5, vcc_lo, s5
	s_waitcnt vmcnt(2) lgkmcnt(0)
	v_mul_f64 v[84:85], v[78:79], v[80:81]
	v_mul_f64 v[80:81], v[76:77], v[80:81]
	s_waitcnt vmcnt(0)
	v_fma_f64 v[76:77], v[76:77], v[82:83], -v[84:85]
	v_fma_f64 v[78:79], v[78:79], v[82:83], v[80:81]
	v_add_f64 v[3:4], v[3:4], v[76:77]
	v_add_f64 v[1:2], v[1:2], v[78:79]
	s_andn2_b32 exec_lo, exec_lo, s5
	s_cbranch_execnz .LBB95_97
; %bb.98:
	s_or_b32 exec_lo, exec_lo, s5
	v_mov_b32_e32 v71, 0
	ds_read_b128 v[71:74], v71 offset:336
	s_waitcnt lgkmcnt(0)
	v_mul_f64 v[76:77], v[1:2], v[73:74]
	v_mul_f64 v[73:74], v[3:4], v[73:74]
	v_fma_f64 v[3:4], v[3:4], v[71:72], -v[76:77]
	v_fma_f64 v[1:2], v[1:2], v[71:72], v[73:74]
	buffer_store_dword v4, off, s[0:3], 0 offset:356
	buffer_store_dword v3, off, s[0:3], 0 offset:352
	;; [unrolled: 1-line block ×4, first 2 shown]
.LBB95_99:
	s_or_b32 exec_lo, exec_lo, s4
	v_mov_b32_e32 v4, s21
	s_waitcnt_vscnt null, 0x0
	s_barrier
	buffer_gl0_inv
	s_mov_b32 s4, exec_lo
	s_clause 0x3
	buffer_load_dword v1, v4, s[0:3], 0 offen
	buffer_load_dword v2, v4, s[0:3], 0 offen offset:4
	buffer_load_dword v3, v4, s[0:3], 0 offen offset:8
	;; [unrolled: 1-line block ×3, first 2 shown]
	s_waitcnt vmcnt(0)
	ds_write_b128 v69, v[1:4]
	s_waitcnt lgkmcnt(0)
	s_barrier
	buffer_gl0_inv
	v_cmpx_gt_u32_e32 22, v0
	s_cbranch_execz .LBB95_103
; %bb.100:
	v_mov_b32_e32 v1, 0
	v_mov_b32_e32 v3, 0
	v_add_nc_u32_e32 v71, -1, v0
	v_add_nc_u32_e32 v72, 0x200, v75
	v_mov_b32_e32 v2, 0
	v_mov_b32_e32 v4, 0
	v_add_nc_u32_e32 v73, 16, v75
	s_mov_b32 s5, 0
	.p2align	6
.LBB95_101:                             ; =>This Inner Loop Header: Depth=1
	s_clause 0x3
	buffer_load_dword v80, v73, s[0:3], 0 offen offset:8
	buffer_load_dword v81, v73, s[0:3], 0 offen offset:12
	buffer_load_dword v82, v73, s[0:3], 0 offen
	buffer_load_dword v83, v73, s[0:3], 0 offen offset:4
	ds_read_b128 v[76:79], v72
	v_add_nc_u32_e32 v71, 1, v71
	v_add_nc_u32_e32 v72, 16, v72
	;; [unrolled: 1-line block ×3, first 2 shown]
	v_cmp_lt_u32_e32 vcc_lo, 20, v71
	s_or_b32 s5, vcc_lo, s5
	s_waitcnt vmcnt(2) lgkmcnt(0)
	v_mul_f64 v[84:85], v[78:79], v[80:81]
	v_mul_f64 v[80:81], v[76:77], v[80:81]
	s_waitcnt vmcnt(0)
	v_fma_f64 v[76:77], v[76:77], v[82:83], -v[84:85]
	v_fma_f64 v[78:79], v[78:79], v[82:83], v[80:81]
	v_add_f64 v[3:4], v[3:4], v[76:77]
	v_add_f64 v[1:2], v[1:2], v[78:79]
	s_andn2_b32 exec_lo, exec_lo, s5
	s_cbranch_execnz .LBB95_101
; %bb.102:
	s_or_b32 exec_lo, exec_lo, s5
	v_mov_b32_e32 v71, 0
	ds_read_b128 v[71:74], v71 offset:352
	s_waitcnt lgkmcnt(0)
	v_mul_f64 v[76:77], v[1:2], v[73:74]
	v_mul_f64 v[73:74], v[3:4], v[73:74]
	v_fma_f64 v[3:4], v[3:4], v[71:72], -v[76:77]
	v_fma_f64 v[1:2], v[1:2], v[71:72], v[73:74]
	buffer_store_dword v4, off, s[0:3], 0 offset:372
	buffer_store_dword v3, off, s[0:3], 0 offset:368
	buffer_store_dword v2, off, s[0:3], 0 offset:380
	buffer_store_dword v1, off, s[0:3], 0 offset:376
.LBB95_103:
	s_or_b32 exec_lo, exec_lo, s4
	v_mov_b32_e32 v4, s20
	s_waitcnt_vscnt null, 0x0
	s_barrier
	buffer_gl0_inv
	s_mov_b32 s4, exec_lo
	s_clause 0x3
	buffer_load_dword v1, v4, s[0:3], 0 offen
	buffer_load_dword v2, v4, s[0:3], 0 offen offset:4
	buffer_load_dword v3, v4, s[0:3], 0 offen offset:8
	;; [unrolled: 1-line block ×3, first 2 shown]
	s_waitcnt vmcnt(0)
	ds_write_b128 v69, v[1:4]
	s_waitcnt lgkmcnt(0)
	s_barrier
	buffer_gl0_inv
	v_cmpx_gt_u32_e32 23, v0
	s_cbranch_execz .LBB95_107
; %bb.104:
	v_mov_b32_e32 v1, 0
	v_mov_b32_e32 v3, 0
	v_add_nc_u32_e32 v71, -1, v0
	v_add_nc_u32_e32 v72, 0x200, v75
	v_mov_b32_e32 v2, 0
	v_mov_b32_e32 v4, 0
	v_add_nc_u32_e32 v73, 16, v75
	s_mov_b32 s5, 0
	.p2align	6
.LBB95_105:                             ; =>This Inner Loop Header: Depth=1
	s_clause 0x3
	buffer_load_dword v80, v73, s[0:3], 0 offen offset:8
	buffer_load_dword v81, v73, s[0:3], 0 offen offset:12
	buffer_load_dword v82, v73, s[0:3], 0 offen
	buffer_load_dword v83, v73, s[0:3], 0 offen offset:4
	ds_read_b128 v[76:79], v72
	v_add_nc_u32_e32 v71, 1, v71
	v_add_nc_u32_e32 v72, 16, v72
	v_add_nc_u32_e32 v73, 16, v73
	v_cmp_lt_u32_e32 vcc_lo, 21, v71
	s_or_b32 s5, vcc_lo, s5
	s_waitcnt vmcnt(2) lgkmcnt(0)
	v_mul_f64 v[84:85], v[78:79], v[80:81]
	v_mul_f64 v[80:81], v[76:77], v[80:81]
	s_waitcnt vmcnt(0)
	v_fma_f64 v[76:77], v[76:77], v[82:83], -v[84:85]
	v_fma_f64 v[78:79], v[78:79], v[82:83], v[80:81]
	v_add_f64 v[3:4], v[3:4], v[76:77]
	v_add_f64 v[1:2], v[1:2], v[78:79]
	s_andn2_b32 exec_lo, exec_lo, s5
	s_cbranch_execnz .LBB95_105
; %bb.106:
	s_or_b32 exec_lo, exec_lo, s5
	v_mov_b32_e32 v71, 0
	ds_read_b128 v[71:74], v71 offset:368
	s_waitcnt lgkmcnt(0)
	v_mul_f64 v[76:77], v[1:2], v[73:74]
	v_mul_f64 v[73:74], v[3:4], v[73:74]
	v_fma_f64 v[3:4], v[3:4], v[71:72], -v[76:77]
	v_fma_f64 v[1:2], v[1:2], v[71:72], v[73:74]
	buffer_store_dword v4, off, s[0:3], 0 offset:388
	buffer_store_dword v3, off, s[0:3], 0 offset:384
	;; [unrolled: 1-line block ×4, first 2 shown]
.LBB95_107:
	s_or_b32 exec_lo, exec_lo, s4
	v_mov_b32_e32 v4, s19
	s_waitcnt_vscnt null, 0x0
	s_barrier
	buffer_gl0_inv
	s_mov_b32 s4, exec_lo
	s_clause 0x3
	buffer_load_dword v1, v4, s[0:3], 0 offen
	buffer_load_dword v2, v4, s[0:3], 0 offen offset:4
	buffer_load_dword v3, v4, s[0:3], 0 offen offset:8
	;; [unrolled: 1-line block ×3, first 2 shown]
	s_waitcnt vmcnt(0)
	ds_write_b128 v69, v[1:4]
	s_waitcnt lgkmcnt(0)
	s_barrier
	buffer_gl0_inv
	v_cmpx_gt_u32_e32 24, v0
	s_cbranch_execz .LBB95_111
; %bb.108:
	v_mov_b32_e32 v1, 0
	v_mov_b32_e32 v3, 0
	v_add_nc_u32_e32 v71, -1, v0
	v_add_nc_u32_e32 v72, 0x200, v75
	v_mov_b32_e32 v2, 0
	v_mov_b32_e32 v4, 0
	v_add_nc_u32_e32 v73, 16, v75
	s_mov_b32 s5, 0
	.p2align	6
.LBB95_109:                             ; =>This Inner Loop Header: Depth=1
	s_clause 0x3
	buffer_load_dword v80, v73, s[0:3], 0 offen offset:8
	buffer_load_dword v81, v73, s[0:3], 0 offen offset:12
	buffer_load_dword v82, v73, s[0:3], 0 offen
	buffer_load_dword v83, v73, s[0:3], 0 offen offset:4
	ds_read_b128 v[76:79], v72
	v_add_nc_u32_e32 v71, 1, v71
	v_add_nc_u32_e32 v72, 16, v72
	;; [unrolled: 1-line block ×3, first 2 shown]
	v_cmp_lt_u32_e32 vcc_lo, 22, v71
	s_or_b32 s5, vcc_lo, s5
	s_waitcnt vmcnt(2) lgkmcnt(0)
	v_mul_f64 v[84:85], v[78:79], v[80:81]
	v_mul_f64 v[80:81], v[76:77], v[80:81]
	s_waitcnt vmcnt(0)
	v_fma_f64 v[76:77], v[76:77], v[82:83], -v[84:85]
	v_fma_f64 v[78:79], v[78:79], v[82:83], v[80:81]
	v_add_f64 v[3:4], v[3:4], v[76:77]
	v_add_f64 v[1:2], v[1:2], v[78:79]
	s_andn2_b32 exec_lo, exec_lo, s5
	s_cbranch_execnz .LBB95_109
; %bb.110:
	s_or_b32 exec_lo, exec_lo, s5
	v_mov_b32_e32 v71, 0
	ds_read_b128 v[71:74], v71 offset:384
	s_waitcnt lgkmcnt(0)
	v_mul_f64 v[76:77], v[1:2], v[73:74]
	v_mul_f64 v[73:74], v[3:4], v[73:74]
	v_fma_f64 v[3:4], v[3:4], v[71:72], -v[76:77]
	v_fma_f64 v[1:2], v[1:2], v[71:72], v[73:74]
	buffer_store_dword v4, off, s[0:3], 0 offset:404
	buffer_store_dword v3, off, s[0:3], 0 offset:400
	;; [unrolled: 1-line block ×4, first 2 shown]
.LBB95_111:
	s_or_b32 exec_lo, exec_lo, s4
	v_mov_b32_e32 v4, s18
	s_waitcnt_vscnt null, 0x0
	s_barrier
	buffer_gl0_inv
	s_mov_b32 s4, exec_lo
	s_clause 0x3
	buffer_load_dword v1, v4, s[0:3], 0 offen
	buffer_load_dword v2, v4, s[0:3], 0 offen offset:4
	buffer_load_dword v3, v4, s[0:3], 0 offen offset:8
	;; [unrolled: 1-line block ×3, first 2 shown]
	s_waitcnt vmcnt(0)
	ds_write_b128 v69, v[1:4]
	s_waitcnt lgkmcnt(0)
	s_barrier
	buffer_gl0_inv
	v_cmpx_gt_u32_e32 25, v0
	s_cbranch_execz .LBB95_115
; %bb.112:
	v_mov_b32_e32 v1, 0
	v_mov_b32_e32 v3, 0
	v_add_nc_u32_e32 v71, -1, v0
	v_add_nc_u32_e32 v72, 0x200, v75
	v_mov_b32_e32 v2, 0
	v_mov_b32_e32 v4, 0
	v_add_nc_u32_e32 v73, 16, v75
	s_mov_b32 s5, 0
	.p2align	6
.LBB95_113:                             ; =>This Inner Loop Header: Depth=1
	s_clause 0x3
	buffer_load_dword v80, v73, s[0:3], 0 offen offset:8
	buffer_load_dword v81, v73, s[0:3], 0 offen offset:12
	buffer_load_dword v82, v73, s[0:3], 0 offen
	buffer_load_dword v83, v73, s[0:3], 0 offen offset:4
	ds_read_b128 v[76:79], v72
	v_add_nc_u32_e32 v71, 1, v71
	v_add_nc_u32_e32 v72, 16, v72
	;; [unrolled: 1-line block ×3, first 2 shown]
	v_cmp_lt_u32_e32 vcc_lo, 23, v71
	s_or_b32 s5, vcc_lo, s5
	s_waitcnt vmcnt(2) lgkmcnt(0)
	v_mul_f64 v[84:85], v[78:79], v[80:81]
	v_mul_f64 v[80:81], v[76:77], v[80:81]
	s_waitcnt vmcnt(0)
	v_fma_f64 v[76:77], v[76:77], v[82:83], -v[84:85]
	v_fma_f64 v[78:79], v[78:79], v[82:83], v[80:81]
	v_add_f64 v[3:4], v[3:4], v[76:77]
	v_add_f64 v[1:2], v[1:2], v[78:79]
	s_andn2_b32 exec_lo, exec_lo, s5
	s_cbranch_execnz .LBB95_113
; %bb.114:
	s_or_b32 exec_lo, exec_lo, s5
	v_mov_b32_e32 v71, 0
	ds_read_b128 v[71:74], v71 offset:400
	s_waitcnt lgkmcnt(0)
	v_mul_f64 v[76:77], v[1:2], v[73:74]
	v_mul_f64 v[73:74], v[3:4], v[73:74]
	v_fma_f64 v[3:4], v[3:4], v[71:72], -v[76:77]
	v_fma_f64 v[1:2], v[1:2], v[71:72], v[73:74]
	buffer_store_dword v4, off, s[0:3], 0 offset:420
	buffer_store_dword v3, off, s[0:3], 0 offset:416
	;; [unrolled: 1-line block ×4, first 2 shown]
.LBB95_115:
	s_or_b32 exec_lo, exec_lo, s4
	v_mov_b32_e32 v4, s17
	s_waitcnt_vscnt null, 0x0
	s_barrier
	buffer_gl0_inv
	s_mov_b32 s4, exec_lo
	s_clause 0x3
	buffer_load_dword v1, v4, s[0:3], 0 offen
	buffer_load_dword v2, v4, s[0:3], 0 offen offset:4
	buffer_load_dword v3, v4, s[0:3], 0 offen offset:8
	buffer_load_dword v4, v4, s[0:3], 0 offen offset:12
	s_waitcnt vmcnt(0)
	ds_write_b128 v69, v[1:4]
	s_waitcnt lgkmcnt(0)
	s_barrier
	buffer_gl0_inv
	v_cmpx_gt_u32_e32 26, v0
	s_cbranch_execz .LBB95_119
; %bb.116:
	v_mov_b32_e32 v1, 0
	v_mov_b32_e32 v3, 0
	v_add_nc_u32_e32 v71, -1, v0
	v_add_nc_u32_e32 v72, 0x200, v75
	v_mov_b32_e32 v2, 0
	v_mov_b32_e32 v4, 0
	v_add_nc_u32_e32 v73, 16, v75
	s_mov_b32 s5, 0
	.p2align	6
.LBB95_117:                             ; =>This Inner Loop Header: Depth=1
	s_clause 0x3
	buffer_load_dword v80, v73, s[0:3], 0 offen offset:8
	buffer_load_dword v81, v73, s[0:3], 0 offen offset:12
	buffer_load_dword v82, v73, s[0:3], 0 offen
	buffer_load_dword v83, v73, s[0:3], 0 offen offset:4
	ds_read_b128 v[76:79], v72
	v_add_nc_u32_e32 v71, 1, v71
	v_add_nc_u32_e32 v72, 16, v72
	;; [unrolled: 1-line block ×3, first 2 shown]
	v_cmp_lt_u32_e32 vcc_lo, 24, v71
	s_or_b32 s5, vcc_lo, s5
	s_waitcnt vmcnt(2) lgkmcnt(0)
	v_mul_f64 v[84:85], v[78:79], v[80:81]
	v_mul_f64 v[80:81], v[76:77], v[80:81]
	s_waitcnt vmcnt(0)
	v_fma_f64 v[76:77], v[76:77], v[82:83], -v[84:85]
	v_fma_f64 v[78:79], v[78:79], v[82:83], v[80:81]
	v_add_f64 v[3:4], v[3:4], v[76:77]
	v_add_f64 v[1:2], v[1:2], v[78:79]
	s_andn2_b32 exec_lo, exec_lo, s5
	s_cbranch_execnz .LBB95_117
; %bb.118:
	s_or_b32 exec_lo, exec_lo, s5
	v_mov_b32_e32 v71, 0
	ds_read_b128 v[71:74], v71 offset:416
	s_waitcnt lgkmcnt(0)
	v_mul_f64 v[76:77], v[1:2], v[73:74]
	v_mul_f64 v[73:74], v[3:4], v[73:74]
	v_fma_f64 v[3:4], v[3:4], v[71:72], -v[76:77]
	v_fma_f64 v[1:2], v[1:2], v[71:72], v[73:74]
	buffer_store_dword v4, off, s[0:3], 0 offset:436
	buffer_store_dword v3, off, s[0:3], 0 offset:432
	buffer_store_dword v2, off, s[0:3], 0 offset:444
	buffer_store_dword v1, off, s[0:3], 0 offset:440
.LBB95_119:
	s_or_b32 exec_lo, exec_lo, s4
	v_mov_b32_e32 v4, s16
	s_waitcnt_vscnt null, 0x0
	s_barrier
	buffer_gl0_inv
	s_mov_b32 s4, exec_lo
	s_clause 0x3
	buffer_load_dword v1, v4, s[0:3], 0 offen
	buffer_load_dword v2, v4, s[0:3], 0 offen offset:4
	buffer_load_dword v3, v4, s[0:3], 0 offen offset:8
	;; [unrolled: 1-line block ×3, first 2 shown]
	s_waitcnt vmcnt(0)
	ds_write_b128 v69, v[1:4]
	s_waitcnt lgkmcnt(0)
	s_barrier
	buffer_gl0_inv
	v_cmpx_gt_u32_e32 27, v0
	s_cbranch_execz .LBB95_123
; %bb.120:
	v_mov_b32_e32 v1, 0
	v_mov_b32_e32 v3, 0
	v_add_nc_u32_e32 v71, -1, v0
	v_add_nc_u32_e32 v72, 0x200, v75
	v_mov_b32_e32 v2, 0
	v_mov_b32_e32 v4, 0
	v_add_nc_u32_e32 v73, 16, v75
	s_mov_b32 s5, 0
	.p2align	6
.LBB95_121:                             ; =>This Inner Loop Header: Depth=1
	s_clause 0x3
	buffer_load_dword v80, v73, s[0:3], 0 offen offset:8
	buffer_load_dword v81, v73, s[0:3], 0 offen offset:12
	buffer_load_dword v82, v73, s[0:3], 0 offen
	buffer_load_dword v83, v73, s[0:3], 0 offen offset:4
	ds_read_b128 v[76:79], v72
	v_add_nc_u32_e32 v71, 1, v71
	v_add_nc_u32_e32 v72, 16, v72
	;; [unrolled: 1-line block ×3, first 2 shown]
	v_cmp_lt_u32_e32 vcc_lo, 25, v71
	s_or_b32 s5, vcc_lo, s5
	s_waitcnt vmcnt(2) lgkmcnt(0)
	v_mul_f64 v[84:85], v[78:79], v[80:81]
	v_mul_f64 v[80:81], v[76:77], v[80:81]
	s_waitcnt vmcnt(0)
	v_fma_f64 v[76:77], v[76:77], v[82:83], -v[84:85]
	v_fma_f64 v[78:79], v[78:79], v[82:83], v[80:81]
	v_add_f64 v[3:4], v[3:4], v[76:77]
	v_add_f64 v[1:2], v[1:2], v[78:79]
	s_andn2_b32 exec_lo, exec_lo, s5
	s_cbranch_execnz .LBB95_121
; %bb.122:
	s_or_b32 exec_lo, exec_lo, s5
	v_mov_b32_e32 v71, 0
	ds_read_b128 v[71:74], v71 offset:432
	s_waitcnt lgkmcnt(0)
	v_mul_f64 v[76:77], v[1:2], v[73:74]
	v_mul_f64 v[73:74], v[3:4], v[73:74]
	v_fma_f64 v[3:4], v[3:4], v[71:72], -v[76:77]
	v_fma_f64 v[1:2], v[1:2], v[71:72], v[73:74]
	buffer_store_dword v4, off, s[0:3], 0 offset:452
	buffer_store_dword v3, off, s[0:3], 0 offset:448
	;; [unrolled: 1-line block ×4, first 2 shown]
.LBB95_123:
	s_or_b32 exec_lo, exec_lo, s4
	v_mov_b32_e32 v4, s15
	s_waitcnt_vscnt null, 0x0
	s_barrier
	buffer_gl0_inv
	s_mov_b32 s4, exec_lo
	s_clause 0x3
	buffer_load_dword v1, v4, s[0:3], 0 offen
	buffer_load_dword v2, v4, s[0:3], 0 offen offset:4
	buffer_load_dword v3, v4, s[0:3], 0 offen offset:8
	;; [unrolled: 1-line block ×3, first 2 shown]
	s_waitcnt vmcnt(0)
	ds_write_b128 v69, v[1:4]
	s_waitcnt lgkmcnt(0)
	s_barrier
	buffer_gl0_inv
	v_cmpx_gt_u32_e32 28, v0
	s_cbranch_execz .LBB95_127
; %bb.124:
	v_mov_b32_e32 v1, 0
	v_mov_b32_e32 v3, 0
	v_add_nc_u32_e32 v71, -1, v0
	v_add_nc_u32_e32 v72, 0x200, v75
	v_mov_b32_e32 v2, 0
	v_mov_b32_e32 v4, 0
	v_add_nc_u32_e32 v73, 16, v75
	s_mov_b32 s5, 0
	.p2align	6
.LBB95_125:                             ; =>This Inner Loop Header: Depth=1
	s_clause 0x3
	buffer_load_dword v80, v73, s[0:3], 0 offen offset:8
	buffer_load_dword v81, v73, s[0:3], 0 offen offset:12
	buffer_load_dword v82, v73, s[0:3], 0 offen
	buffer_load_dword v83, v73, s[0:3], 0 offen offset:4
	ds_read_b128 v[76:79], v72
	v_add_nc_u32_e32 v71, 1, v71
	v_add_nc_u32_e32 v72, 16, v72
	;; [unrolled: 1-line block ×3, first 2 shown]
	v_cmp_lt_u32_e32 vcc_lo, 26, v71
	s_or_b32 s5, vcc_lo, s5
	s_waitcnt vmcnt(2) lgkmcnt(0)
	v_mul_f64 v[84:85], v[78:79], v[80:81]
	v_mul_f64 v[80:81], v[76:77], v[80:81]
	s_waitcnt vmcnt(0)
	v_fma_f64 v[76:77], v[76:77], v[82:83], -v[84:85]
	v_fma_f64 v[78:79], v[78:79], v[82:83], v[80:81]
	v_add_f64 v[3:4], v[3:4], v[76:77]
	v_add_f64 v[1:2], v[1:2], v[78:79]
	s_andn2_b32 exec_lo, exec_lo, s5
	s_cbranch_execnz .LBB95_125
; %bb.126:
	s_or_b32 exec_lo, exec_lo, s5
	v_mov_b32_e32 v71, 0
	ds_read_b128 v[71:74], v71 offset:448
	s_waitcnt lgkmcnt(0)
	v_mul_f64 v[76:77], v[1:2], v[73:74]
	v_mul_f64 v[73:74], v[3:4], v[73:74]
	v_fma_f64 v[3:4], v[3:4], v[71:72], -v[76:77]
	v_fma_f64 v[1:2], v[1:2], v[71:72], v[73:74]
	buffer_store_dword v4, off, s[0:3], 0 offset:468
	buffer_store_dword v3, off, s[0:3], 0 offset:464
	;; [unrolled: 1-line block ×4, first 2 shown]
.LBB95_127:
	s_or_b32 exec_lo, exec_lo, s4
	v_mov_b32_e32 v4, s14
	s_waitcnt_vscnt null, 0x0
	s_barrier
	buffer_gl0_inv
	s_mov_b32 s4, exec_lo
	s_clause 0x3
	buffer_load_dword v1, v4, s[0:3], 0 offen
	buffer_load_dword v2, v4, s[0:3], 0 offen offset:4
	buffer_load_dword v3, v4, s[0:3], 0 offen offset:8
	;; [unrolled: 1-line block ×3, first 2 shown]
	s_waitcnt vmcnt(0)
	ds_write_b128 v69, v[1:4]
	s_waitcnt lgkmcnt(0)
	s_barrier
	buffer_gl0_inv
	v_cmpx_gt_u32_e32 29, v0
	s_cbranch_execz .LBB95_131
; %bb.128:
	v_mov_b32_e32 v1, 0
	v_mov_b32_e32 v3, 0
	v_add_nc_u32_e32 v71, -1, v0
	v_add_nc_u32_e32 v72, 0x200, v75
	v_mov_b32_e32 v2, 0
	v_mov_b32_e32 v4, 0
	v_add_nc_u32_e32 v73, 16, v75
	s_mov_b32 s5, 0
	.p2align	6
.LBB95_129:                             ; =>This Inner Loop Header: Depth=1
	s_clause 0x3
	buffer_load_dword v80, v73, s[0:3], 0 offen offset:8
	buffer_load_dword v81, v73, s[0:3], 0 offen offset:12
	buffer_load_dword v82, v73, s[0:3], 0 offen
	buffer_load_dword v83, v73, s[0:3], 0 offen offset:4
	ds_read_b128 v[76:79], v72
	v_add_nc_u32_e32 v71, 1, v71
	v_add_nc_u32_e32 v72, 16, v72
	;; [unrolled: 1-line block ×3, first 2 shown]
	v_cmp_lt_u32_e32 vcc_lo, 27, v71
	s_or_b32 s5, vcc_lo, s5
	s_waitcnt vmcnt(2) lgkmcnt(0)
	v_mul_f64 v[84:85], v[78:79], v[80:81]
	v_mul_f64 v[80:81], v[76:77], v[80:81]
	s_waitcnt vmcnt(0)
	v_fma_f64 v[76:77], v[76:77], v[82:83], -v[84:85]
	v_fma_f64 v[78:79], v[78:79], v[82:83], v[80:81]
	v_add_f64 v[3:4], v[3:4], v[76:77]
	v_add_f64 v[1:2], v[1:2], v[78:79]
	s_andn2_b32 exec_lo, exec_lo, s5
	s_cbranch_execnz .LBB95_129
; %bb.130:
	s_or_b32 exec_lo, exec_lo, s5
	v_mov_b32_e32 v71, 0
	ds_read_b128 v[71:74], v71 offset:464
	s_waitcnt lgkmcnt(0)
	v_mul_f64 v[76:77], v[1:2], v[73:74]
	v_mul_f64 v[73:74], v[3:4], v[73:74]
	v_fma_f64 v[3:4], v[3:4], v[71:72], -v[76:77]
	v_fma_f64 v[1:2], v[1:2], v[71:72], v[73:74]
	buffer_store_dword v4, off, s[0:3], 0 offset:484
	buffer_store_dword v3, off, s[0:3], 0 offset:480
	;; [unrolled: 1-line block ×4, first 2 shown]
.LBB95_131:
	s_or_b32 exec_lo, exec_lo, s4
	v_mov_b32_e32 v4, s9
	s_waitcnt_vscnt null, 0x0
	s_barrier
	buffer_gl0_inv
	s_mov_b32 s4, exec_lo
	s_clause 0x3
	buffer_load_dword v1, v4, s[0:3], 0 offen
	buffer_load_dword v2, v4, s[0:3], 0 offen offset:4
	buffer_load_dword v3, v4, s[0:3], 0 offen offset:8
	;; [unrolled: 1-line block ×3, first 2 shown]
	s_waitcnt vmcnt(0)
	ds_write_b128 v69, v[1:4]
	s_waitcnt lgkmcnt(0)
	s_barrier
	buffer_gl0_inv
	v_cmpx_gt_u32_e32 30, v0
	s_cbranch_execz .LBB95_135
; %bb.132:
	v_mov_b32_e32 v1, 0
	v_mov_b32_e32 v3, 0
	v_add_nc_u32_e32 v71, -1, v0
	v_add_nc_u32_e32 v72, 0x200, v75
	v_mov_b32_e32 v2, 0
	v_mov_b32_e32 v4, 0
	v_add_nc_u32_e32 v73, 16, v75
	s_mov_b32 s5, 0
	.p2align	6
.LBB95_133:                             ; =>This Inner Loop Header: Depth=1
	s_clause 0x3
	buffer_load_dword v80, v73, s[0:3], 0 offen offset:8
	buffer_load_dword v81, v73, s[0:3], 0 offen offset:12
	buffer_load_dword v82, v73, s[0:3], 0 offen
	buffer_load_dword v83, v73, s[0:3], 0 offen offset:4
	ds_read_b128 v[76:79], v72
	v_add_nc_u32_e32 v71, 1, v71
	v_add_nc_u32_e32 v72, 16, v72
	;; [unrolled: 1-line block ×3, first 2 shown]
	v_cmp_lt_u32_e32 vcc_lo, 28, v71
	s_or_b32 s5, vcc_lo, s5
	s_waitcnt vmcnt(2) lgkmcnt(0)
	v_mul_f64 v[84:85], v[78:79], v[80:81]
	v_mul_f64 v[80:81], v[76:77], v[80:81]
	s_waitcnt vmcnt(0)
	v_fma_f64 v[76:77], v[76:77], v[82:83], -v[84:85]
	v_fma_f64 v[78:79], v[78:79], v[82:83], v[80:81]
	v_add_f64 v[3:4], v[3:4], v[76:77]
	v_add_f64 v[1:2], v[1:2], v[78:79]
	s_andn2_b32 exec_lo, exec_lo, s5
	s_cbranch_execnz .LBB95_133
; %bb.134:
	s_or_b32 exec_lo, exec_lo, s5
	v_mov_b32_e32 v71, 0
	ds_read_b128 v[71:74], v71 offset:480
	s_waitcnt lgkmcnt(0)
	v_mul_f64 v[76:77], v[1:2], v[73:74]
	v_mul_f64 v[73:74], v[3:4], v[73:74]
	v_fma_f64 v[3:4], v[3:4], v[71:72], -v[76:77]
	v_fma_f64 v[1:2], v[1:2], v[71:72], v[73:74]
	buffer_store_dword v4, off, s[0:3], 0 offset:500
	buffer_store_dword v3, off, s[0:3], 0 offset:496
	;; [unrolled: 1-line block ×4, first 2 shown]
.LBB95_135:
	s_or_b32 exec_lo, exec_lo, s4
	v_mov_b32_e32 v4, s8
	s_waitcnt_vscnt null, 0x0
	s_barrier
	buffer_gl0_inv
	s_mov_b32 s4, exec_lo
	s_clause 0x3
	buffer_load_dword v1, v4, s[0:3], 0 offen
	buffer_load_dword v2, v4, s[0:3], 0 offen offset:4
	buffer_load_dword v3, v4, s[0:3], 0 offen offset:8
	buffer_load_dword v4, v4, s[0:3], 0 offen offset:12
	s_waitcnt vmcnt(0)
	ds_write_b128 v69, v[1:4]
	s_waitcnt lgkmcnt(0)
	s_barrier
	buffer_gl0_inv
	v_cmpx_ne_u32_e32 31, v0
	s_cbranch_execz .LBB95_139
; %bb.136:
	v_mov_b32_e32 v1, 0
	v_mov_b32_e32 v3, 0
	;; [unrolled: 1-line block ×4, first 2 shown]
	v_add_nc_u32_e32 v71, 16, v75
	s_mov_b32 s5, 0
	.p2align	6
.LBB95_137:                             ; =>This Inner Loop Header: Depth=1
	s_clause 0x3
	buffer_load_dword v76, v71, s[0:3], 0 offen offset:8
	buffer_load_dword v77, v71, s[0:3], 0 offen offset:12
	buffer_load_dword v78, v71, s[0:3], 0 offen
	buffer_load_dword v79, v71, s[0:3], 0 offen offset:4
	ds_read_b128 v[72:75], v69
	v_add_nc_u32_e32 v70, 1, v70
	v_add_nc_u32_e32 v69, 16, v69
	;; [unrolled: 1-line block ×3, first 2 shown]
	v_cmp_lt_u32_e32 vcc_lo, 29, v70
	s_or_b32 s5, vcc_lo, s5
	s_waitcnt vmcnt(2) lgkmcnt(0)
	v_mul_f64 v[80:81], v[74:75], v[76:77]
	v_mul_f64 v[76:77], v[72:73], v[76:77]
	s_waitcnt vmcnt(0)
	v_fma_f64 v[72:73], v[72:73], v[78:79], -v[80:81]
	v_fma_f64 v[74:75], v[74:75], v[78:79], v[76:77]
	v_add_f64 v[3:4], v[3:4], v[72:73]
	v_add_f64 v[1:2], v[1:2], v[74:75]
	s_andn2_b32 exec_lo, exec_lo, s5
	s_cbranch_execnz .LBB95_137
; %bb.138:
	s_or_b32 exec_lo, exec_lo, s5
	v_mov_b32_e32 v69, 0
	ds_read_b128 v[69:72], v69 offset:496
	s_waitcnt lgkmcnt(0)
	v_mul_f64 v[73:74], v[1:2], v[71:72]
	v_mul_f64 v[71:72], v[3:4], v[71:72]
	v_fma_f64 v[3:4], v[3:4], v[69:70], -v[73:74]
	v_fma_f64 v[1:2], v[1:2], v[69:70], v[71:72]
	buffer_store_dword v4, off, s[0:3], 0 offset:516
	buffer_store_dword v3, off, s[0:3], 0 offset:512
	;; [unrolled: 1-line block ×4, first 2 shown]
.LBB95_139:
	s_or_b32 exec_lo, exec_lo, s4
	s_mov_b32 s5, -1
	s_waitcnt_vscnt null, 0x0
	s_barrier
	buffer_gl0_inv
.LBB95_140:
	s_and_b32 vcc_lo, exec_lo, s5
	s_cbranch_vccz .LBB95_142
; %bb.141:
	s_lshl_b64 s[4:5], s[6:7], 2
	v_mov_b32_e32 v1, 0
	s_add_u32 s4, s10, s4
	s_addc_u32 s5, s11, s5
	global_load_dword v1, v1, s[4:5]
	s_waitcnt vmcnt(0)
	v_cmp_ne_u32_e32 vcc_lo, 0, v1
	s_cbranch_vccz .LBB95_143
.LBB95_142:
	s_endpgm
.LBB95_143:
	v_lshl_add_u32 v75, v0, 4, 0x200
	s_mov_b32 s4, exec_lo
	v_cmpx_eq_u32_e32 31, v0
	s_cbranch_execz .LBB95_145
; %bb.144:
	v_mov_b32_e32 v4, s9
	v_mov_b32_e32 v69, 0
	s_clause 0x3
	buffer_load_dword v1, v4, s[0:3], 0 offen
	buffer_load_dword v2, v4, s[0:3], 0 offen offset:4
	buffer_load_dword v3, v4, s[0:3], 0 offen offset:8
	;; [unrolled: 1-line block ×3, first 2 shown]
	buffer_store_dword v69, off, s[0:3], 0 offset:496
	buffer_store_dword v69, off, s[0:3], 0 offset:500
	;; [unrolled: 1-line block ×4, first 2 shown]
	s_waitcnt vmcnt(0)
	ds_write_b128 v75, v[1:4]
.LBB95_145:
	s_or_b32 exec_lo, exec_lo, s4
	s_waitcnt lgkmcnt(0)
	s_waitcnt_vscnt null, 0x0
	s_barrier
	buffer_gl0_inv
	s_clause 0x7
	buffer_load_dword v2, off, s[0:3], 0 offset:520
	buffer_load_dword v3, off, s[0:3], 0 offset:524
	;; [unrolled: 1-line block ×8, first 2 shown]
	v_mov_b32_e32 v1, 0
	s_mov_b32 s4, exec_lo
	ds_read_b128 v[69:72], v1 offset:1008
	s_waitcnt vmcnt(6) lgkmcnt(0)
	v_mul_f64 v[80:81], v[71:72], v[2:3]
	v_mul_f64 v[2:3], v[69:70], v[2:3]
	s_waitcnt vmcnt(4)
	v_fma_f64 v[69:70], v[69:70], v[73:74], -v[80:81]
	v_fma_f64 v[2:3], v[71:72], v[73:74], v[2:3]
	v_add_f64 v[69:70], v[69:70], 0
	v_add_f64 v[2:3], v[2:3], 0
	s_waitcnt vmcnt(2)
	v_add_f64 v[69:70], v[76:77], -v[69:70]
	s_waitcnt vmcnt(0)
	v_add_f64 v[2:3], v[78:79], -v[2:3]
	buffer_store_dword v69, off, s[0:3], 0 offset:496
	buffer_store_dword v70, off, s[0:3], 0 offset:500
	;; [unrolled: 1-line block ×4, first 2 shown]
	v_cmpx_lt_u32_e32 29, v0
	s_cbranch_execz .LBB95_147
; %bb.146:
	v_mov_b32_e32 v2, s14
	s_clause 0x3
	buffer_load_dword v69, v2, s[0:3], 0 offen
	buffer_load_dword v70, v2, s[0:3], 0 offen offset:4
	buffer_load_dword v71, v2, s[0:3], 0 offen offset:8
	;; [unrolled: 1-line block ×3, first 2 shown]
	buffer_store_dword v1, off, s[0:3], 0 offset:480
	buffer_store_dword v1, off, s[0:3], 0 offset:484
	;; [unrolled: 1-line block ×4, first 2 shown]
	s_waitcnt vmcnt(0)
	ds_write_b128 v75, v[69:72]
.LBB95_147:
	s_or_b32 exec_lo, exec_lo, s4
	s_waitcnt lgkmcnt(0)
	s_waitcnt_vscnt null, 0x0
	s_barrier
	buffer_gl0_inv
	s_clause 0xb
	buffer_load_dword v73, off, s[0:3], 0 offset:504
	buffer_load_dword v74, off, s[0:3], 0 offset:508
	;; [unrolled: 1-line block ×12, first 2 shown]
	ds_read_b128 v[69:72], v1 offset:992
	ds_read_b128 v[1:4], v1 offset:1008
	s_mov_b32 s4, exec_lo
	s_waitcnt vmcnt(10) lgkmcnt(1)
	v_mul_f64 v[86:87], v[71:72], v[73:74]
	v_mul_f64 v[73:74], v[69:70], v[73:74]
	s_waitcnt vmcnt(8) lgkmcnt(0)
	v_mul_f64 v[88:89], v[3:4], v[76:77]
	v_mul_f64 v[76:77], v[1:2], v[76:77]
	s_waitcnt vmcnt(6)
	v_fma_f64 v[69:70], v[69:70], v[78:79], -v[86:87]
	v_fma_f64 v[71:72], v[71:72], v[78:79], v[73:74]
	s_waitcnt vmcnt(4)
	v_fma_f64 v[1:2], v[1:2], v[80:81], -v[88:89]
	v_fma_f64 v[3:4], v[3:4], v[80:81], v[76:77]
	v_add_f64 v[69:70], v[69:70], 0
	v_add_f64 v[71:72], v[71:72], 0
	;; [unrolled: 1-line block ×4, first 2 shown]
	s_waitcnt vmcnt(2)
	v_add_f64 v[1:2], v[82:83], -v[1:2]
	s_waitcnt vmcnt(0)
	v_add_f64 v[3:4], v[84:85], -v[3:4]
	buffer_store_dword v1, off, s[0:3], 0 offset:480
	buffer_store_dword v2, off, s[0:3], 0 offset:484
	;; [unrolled: 1-line block ×4, first 2 shown]
	v_cmpx_lt_u32_e32 28, v0
	s_cbranch_execz .LBB95_149
; %bb.148:
	v_mov_b32_e32 v4, s15
	v_mov_b32_e32 v69, 0
	s_clause 0x3
	buffer_load_dword v1, v4, s[0:3], 0 offen
	buffer_load_dword v2, v4, s[0:3], 0 offen offset:4
	buffer_load_dword v3, v4, s[0:3], 0 offen offset:8
	;; [unrolled: 1-line block ×3, first 2 shown]
	buffer_store_dword v69, off, s[0:3], 0 offset:464
	buffer_store_dword v69, off, s[0:3], 0 offset:468
	;; [unrolled: 1-line block ×4, first 2 shown]
	s_waitcnt vmcnt(0)
	ds_write_b128 v75, v[1:4]
.LBB95_149:
	s_or_b32 exec_lo, exec_lo, s4
	s_waitcnt lgkmcnt(0)
	s_waitcnt_vscnt null, 0x0
	s_barrier
	buffer_gl0_inv
	s_clause 0xf
	buffer_load_dword v2, off, s[0:3], 0 offset:488
	buffer_load_dword v3, off, s[0:3], 0 offset:492
	;; [unrolled: 1-line block ×16, first 2 shown]
	v_mov_b32_e32 v1, 0
	ds_read_b128 v[69:72], v1 offset:976
	ds_read_b128 v[76:79], v1 offset:992
	ds_read_b128 v[80:83], v1 offset:1008
	s_mov_b32 s4, exec_lo
	s_waitcnt vmcnt(14) lgkmcnt(2)
	v_mul_f64 v[96:97], v[71:72], v[2:3]
	v_mul_f64 v[2:3], v[69:70], v[2:3]
	s_waitcnt vmcnt(12) lgkmcnt(1)
	v_mul_f64 v[98:99], v[78:79], v[73:74]
	v_mul_f64 v[73:74], v[76:77], v[73:74]
	s_waitcnt vmcnt(10)
	v_fma_f64 v[69:70], v[69:70], v[84:85], -v[96:97]
	v_fma_f64 v[2:3], v[71:72], v[84:85], v[2:3]
	s_waitcnt vmcnt(8) lgkmcnt(0)
	v_mul_f64 v[84:85], v[82:83], v[86:87]
	s_waitcnt vmcnt(6)
	v_fma_f64 v[76:77], v[76:77], v[88:89], -v[98:99]
	v_mul_f64 v[71:72], v[80:81], v[86:87]
	v_fma_f64 v[73:74], v[78:79], v[88:89], v[73:74]
	v_add_f64 v[69:70], v[69:70], 0
	v_add_f64 v[2:3], v[2:3], 0
	s_waitcnt vmcnt(4)
	v_fma_f64 v[78:79], v[80:81], v[90:91], -v[84:85]
	v_fma_f64 v[71:72], v[82:83], v[90:91], v[71:72]
	v_add_f64 v[69:70], v[69:70], v[76:77]
	v_add_f64 v[2:3], v[2:3], v[73:74]
	;; [unrolled: 1-line block ×4, first 2 shown]
	s_waitcnt vmcnt(2)
	v_add_f64 v[69:70], v[92:93], -v[69:70]
	s_waitcnt vmcnt(0)
	v_add_f64 v[2:3], v[94:95], -v[2:3]
	buffer_store_dword v69, off, s[0:3], 0 offset:464
	buffer_store_dword v70, off, s[0:3], 0 offset:468
	;; [unrolled: 1-line block ×4, first 2 shown]
	v_cmpx_lt_u32_e32 27, v0
	s_cbranch_execz .LBB95_151
; %bb.150:
	v_mov_b32_e32 v2, s16
	s_clause 0x3
	buffer_load_dword v69, v2, s[0:3], 0 offen
	buffer_load_dword v70, v2, s[0:3], 0 offen offset:4
	buffer_load_dword v71, v2, s[0:3], 0 offen offset:8
	;; [unrolled: 1-line block ×3, first 2 shown]
	buffer_store_dword v1, off, s[0:3], 0 offset:448
	buffer_store_dword v1, off, s[0:3], 0 offset:452
	;; [unrolled: 1-line block ×4, first 2 shown]
	s_waitcnt vmcnt(0)
	ds_write_b128 v75, v[69:72]
.LBB95_151:
	s_or_b32 exec_lo, exec_lo, s4
	s_waitcnt lgkmcnt(0)
	s_waitcnt_vscnt null, 0x0
	s_barrier
	buffer_gl0_inv
	s_clause 0x13
	buffer_load_dword v2, off, s[0:3], 0 offset:472
	buffer_load_dword v3, off, s[0:3], 0 offset:476
	;; [unrolled: 1-line block ×20, first 2 shown]
	ds_read_b128 v[69:72], v1 offset:960
	ds_read_b128 v[76:79], v1 offset:976
	;; [unrolled: 1-line block ×3, first 2 shown]
	s_mov_b32 s4, exec_lo
	s_waitcnt vmcnt(18) lgkmcnt(2)
	v_mul_f64 v[100:101], v[71:72], v[2:3]
	v_mul_f64 v[2:3], v[69:70], v[2:3]
	s_waitcnt vmcnt(16) lgkmcnt(1)
	v_mul_f64 v[102:103], v[78:79], v[73:74]
	v_mul_f64 v[73:74], v[76:77], v[73:74]
	s_waitcnt vmcnt(14)
	v_fma_f64 v[69:70], v[69:70], v[84:85], -v[100:101]
	v_fma_f64 v[71:72], v[71:72], v[84:85], v[2:3]
	s_waitcnt vmcnt(12) lgkmcnt(0)
	v_mul_f64 v[84:85], v[80:81], v[86:87]
	v_mul_f64 v[86:87], v[82:83], v[86:87]
	s_waitcnt vmcnt(10)
	v_fma_f64 v[76:77], v[76:77], v[88:89], -v[102:103]
	ds_read_b128 v[1:4], v1 offset:1008
	v_fma_f64 v[73:74], v[78:79], v[88:89], v[73:74]
	v_add_f64 v[69:70], v[69:70], 0
	v_add_f64 v[71:72], v[71:72], 0
	s_waitcnt vmcnt(8) lgkmcnt(0)
	v_mul_f64 v[88:89], v[3:4], v[90:91]
	s_waitcnt vmcnt(6)
	v_fma_f64 v[80:81], v[80:81], v[92:93], -v[86:87]
	v_mul_f64 v[78:79], v[1:2], v[90:91]
	v_add_f64 v[69:70], v[69:70], v[76:77]
	v_fma_f64 v[76:77], v[82:83], v[92:93], v[84:85]
	v_add_f64 v[71:72], v[71:72], v[73:74]
	s_waitcnt vmcnt(4)
	v_fma_f64 v[1:2], v[1:2], v[94:95], -v[88:89]
	v_fma_f64 v[3:4], v[3:4], v[94:95], v[78:79]
	v_add_f64 v[69:70], v[69:70], v[80:81]
	v_add_f64 v[71:72], v[71:72], v[76:77]
	;; [unrolled: 1-line block ×4, first 2 shown]
	s_waitcnt vmcnt(2)
	v_add_f64 v[1:2], v[96:97], -v[1:2]
	s_waitcnt vmcnt(0)
	v_add_f64 v[3:4], v[98:99], -v[3:4]
	buffer_store_dword v1, off, s[0:3], 0 offset:448
	buffer_store_dword v2, off, s[0:3], 0 offset:452
	;; [unrolled: 1-line block ×4, first 2 shown]
	v_cmpx_lt_u32_e32 26, v0
	s_cbranch_execz .LBB95_153
; %bb.152:
	v_mov_b32_e32 v4, s17
	v_mov_b32_e32 v69, 0
	s_clause 0x3
	buffer_load_dword v1, v4, s[0:3], 0 offen
	buffer_load_dword v2, v4, s[0:3], 0 offen offset:4
	buffer_load_dword v3, v4, s[0:3], 0 offen offset:8
	;; [unrolled: 1-line block ×3, first 2 shown]
	buffer_store_dword v69, off, s[0:3], 0 offset:432
	buffer_store_dword v69, off, s[0:3], 0 offset:436
	;; [unrolled: 1-line block ×4, first 2 shown]
	s_waitcnt vmcnt(0)
	ds_write_b128 v75, v[1:4]
.LBB95_153:
	s_or_b32 exec_lo, exec_lo, s4
	s_waitcnt lgkmcnt(0)
	s_waitcnt_vscnt null, 0x0
	s_barrier
	buffer_gl0_inv
	s_clause 0x17
	buffer_load_dword v2, off, s[0:3], 0 offset:456
	buffer_load_dword v3, off, s[0:3], 0 offset:460
	;; [unrolled: 1-line block ×24, first 2 shown]
	v_mov_b32_e32 v1, 0
	ds_read_b128 v[69:72], v1 offset:944
	ds_read_b128 v[76:79], v1 offset:960
	;; [unrolled: 1-line block ×3, first 2 shown]
	s_mov_b32 s4, exec_lo
	s_waitcnt vmcnt(22) lgkmcnt(2)
	v_mul_f64 v[104:105], v[71:72], v[2:3]
	v_mul_f64 v[2:3], v[69:70], v[2:3]
	s_waitcnt vmcnt(20) lgkmcnt(1)
	v_mul_f64 v[106:107], v[78:79], v[73:74]
	v_mul_f64 v[73:74], v[76:77], v[73:74]
	s_waitcnt vmcnt(18)
	v_fma_f64 v[104:105], v[69:70], v[84:85], -v[104:105]
	v_fma_f64 v[2:3], v[71:72], v[84:85], v[2:3]
	ds_read_b128 v[69:72], v1 offset:992
	s_waitcnt vmcnt(16) lgkmcnt(1)
	v_mul_f64 v[84:85], v[80:81], v[86:87]
	v_mul_f64 v[86:87], v[82:83], v[86:87]
	s_waitcnt vmcnt(14)
	v_fma_f64 v[106:107], v[76:77], v[88:89], -v[106:107]
	v_fma_f64 v[73:74], v[78:79], v[88:89], v[73:74]
	ds_read_b128 v[76:79], v1 offset:1008
	s_waitcnt vmcnt(10) lgkmcnt(1)
	v_mul_f64 v[88:89], v[69:70], v[90:91]
	v_add_f64 v[104:105], v[104:105], 0
	v_add_f64 v[2:3], v[2:3], 0
	v_mul_f64 v[90:91], v[71:72], v[90:91]
	s_waitcnt vmcnt(8)
	v_fma_f64 v[80:81], v[80:81], v[96:97], -v[86:87]
	v_fma_f64 v[82:83], v[82:83], v[96:97], v[84:85]
	s_waitcnt vmcnt(7) lgkmcnt(0)
	v_mul_f64 v[84:85], v[78:79], v[92:93]
	s_waitcnt vmcnt(5)
	v_fma_f64 v[71:72], v[71:72], v[98:99], v[88:89]
	v_add_f64 v[86:87], v[104:105], v[106:107]
	v_add_f64 v[2:3], v[2:3], v[73:74]
	v_fma_f64 v[69:70], v[69:70], v[98:99], -v[90:91]
	v_mul_f64 v[73:74], v[76:77], v[92:93]
	s_waitcnt vmcnt(4)
	v_fma_f64 v[76:77], v[76:77], v[94:95], -v[84:85]
	v_add_f64 v[80:81], v[86:87], v[80:81]
	v_add_f64 v[2:3], v[2:3], v[82:83]
	v_fma_f64 v[73:74], v[78:79], v[94:95], v[73:74]
	v_add_f64 v[69:70], v[80:81], v[69:70]
	v_add_f64 v[2:3], v[2:3], v[71:72]
	;; [unrolled: 1-line block ×4, first 2 shown]
	s_waitcnt vmcnt(2)
	v_add_f64 v[69:70], v[100:101], -v[69:70]
	s_waitcnt vmcnt(0)
	v_add_f64 v[2:3], v[102:103], -v[2:3]
	buffer_store_dword v70, off, s[0:3], 0 offset:436
	buffer_store_dword v69, off, s[0:3], 0 offset:432
	;; [unrolled: 1-line block ×4, first 2 shown]
	v_cmpx_lt_u32_e32 25, v0
	s_cbranch_execz .LBB95_155
; %bb.154:
	v_mov_b32_e32 v2, s18
	s_clause 0x3
	buffer_load_dword v69, v2, s[0:3], 0 offen
	buffer_load_dword v70, v2, s[0:3], 0 offen offset:4
	buffer_load_dword v71, v2, s[0:3], 0 offen offset:8
	;; [unrolled: 1-line block ×3, first 2 shown]
	buffer_store_dword v1, off, s[0:3], 0 offset:416
	buffer_store_dword v1, off, s[0:3], 0 offset:420
	;; [unrolled: 1-line block ×4, first 2 shown]
	s_waitcnt vmcnt(0)
	ds_write_b128 v75, v[69:72]
.LBB95_155:
	s_or_b32 exec_lo, exec_lo, s4
	s_waitcnt lgkmcnt(0)
	s_waitcnt_vscnt null, 0x0
	s_barrier
	buffer_gl0_inv
	s_clause 0x1b
	buffer_load_dword v2, off, s[0:3], 0 offset:440
	buffer_load_dword v3, off, s[0:3], 0 offset:444
	;; [unrolled: 1-line block ×28, first 2 shown]
	ds_read_b128 v[69:72], v1 offset:928
	ds_read_b128 v[76:79], v1 offset:944
	;; [unrolled: 1-line block ×3, first 2 shown]
	s_mov_b32 s4, exec_lo
	s_waitcnt vmcnt(26) lgkmcnt(2)
	v_mul_f64 v[108:109], v[71:72], v[2:3]
	v_mul_f64 v[2:3], v[69:70], v[2:3]
	s_waitcnt vmcnt(24) lgkmcnt(1)
	v_mul_f64 v[110:111], v[78:79], v[73:74]
	v_mul_f64 v[73:74], v[76:77], v[73:74]
	s_waitcnt vmcnt(22)
	v_fma_f64 v[108:109], v[69:70], v[84:85], -v[108:109]
	v_fma_f64 v[2:3], v[71:72], v[84:85], v[2:3]
	ds_read_b128 v[69:72], v1 offset:976
	s_waitcnt vmcnt(20) lgkmcnt(1)
	v_mul_f64 v[84:85], v[80:81], v[86:87]
	v_mul_f64 v[86:87], v[82:83], v[86:87]
	s_waitcnt vmcnt(18)
	v_fma_f64 v[110:111], v[76:77], v[88:89], -v[110:111]
	v_fma_f64 v[73:74], v[78:79], v[88:89], v[73:74]
	ds_read_b128 v[76:79], v1 offset:992
	s_waitcnt vmcnt(14) lgkmcnt(1)
	v_mul_f64 v[88:89], v[69:70], v[90:91]
	v_add_f64 v[108:109], v[108:109], 0
	v_add_f64 v[2:3], v[2:3], 0
	v_mul_f64 v[90:91], v[71:72], v[90:91]
	s_waitcnt vmcnt(12)
	v_fma_f64 v[80:81], v[80:81], v[96:97], -v[86:87]
	v_fma_f64 v[82:83], v[82:83], v[96:97], v[84:85]
	s_waitcnt vmcnt(11) lgkmcnt(0)
	v_mul_f64 v[84:85], v[76:77], v[92:93]
	v_mul_f64 v[92:93], v[78:79], v[92:93]
	s_waitcnt vmcnt(9)
	v_fma_f64 v[71:72], v[71:72], v[98:99], v[88:89]
	v_add_f64 v[86:87], v[108:109], v[110:111]
	v_add_f64 v[73:74], v[2:3], v[73:74]
	v_fma_f64 v[69:70], v[69:70], v[98:99], -v[90:91]
	ds_read_b128 v[1:4], v1 offset:1008
	s_waitcnt vmcnt(6)
	v_fma_f64 v[78:79], v[78:79], v[94:95], v[84:85]
	v_fma_f64 v[76:77], v[76:77], v[94:95], -v[92:93]
	v_add_f64 v[80:81], v[86:87], v[80:81]
	v_add_f64 v[73:74], v[73:74], v[82:83]
	s_waitcnt lgkmcnt(0)
	v_mul_f64 v[86:87], v[3:4], v[100:101]
	v_mul_f64 v[82:83], v[1:2], v[100:101]
	v_add_f64 v[69:70], v[80:81], v[69:70]
	v_add_f64 v[71:72], v[73:74], v[71:72]
	s_waitcnt vmcnt(4)
	v_fma_f64 v[1:2], v[1:2], v[102:103], -v[86:87]
	v_fma_f64 v[3:4], v[3:4], v[102:103], v[82:83]
	v_add_f64 v[69:70], v[69:70], v[76:77]
	v_add_f64 v[71:72], v[71:72], v[78:79]
	;; [unrolled: 1-line block ×4, first 2 shown]
	s_waitcnt vmcnt(2)
	v_add_f64 v[1:2], v[104:105], -v[1:2]
	s_waitcnt vmcnt(0)
	v_add_f64 v[3:4], v[106:107], -v[3:4]
	buffer_store_dword v2, off, s[0:3], 0 offset:420
	buffer_store_dword v1, off, s[0:3], 0 offset:416
	;; [unrolled: 1-line block ×4, first 2 shown]
	v_cmpx_lt_u32_e32 24, v0
	s_cbranch_execz .LBB95_157
; %bb.156:
	v_mov_b32_e32 v4, s19
	v_mov_b32_e32 v69, 0
	s_clause 0x3
	buffer_load_dword v1, v4, s[0:3], 0 offen
	buffer_load_dword v2, v4, s[0:3], 0 offen offset:4
	buffer_load_dword v3, v4, s[0:3], 0 offen offset:8
	;; [unrolled: 1-line block ×3, first 2 shown]
	buffer_store_dword v69, off, s[0:3], 0 offset:400
	buffer_store_dword v69, off, s[0:3], 0 offset:404
	;; [unrolled: 1-line block ×4, first 2 shown]
	s_waitcnt vmcnt(0)
	ds_write_b128 v75, v[1:4]
.LBB95_157:
	s_or_b32 exec_lo, exec_lo, s4
	s_waitcnt lgkmcnt(0)
	s_waitcnt_vscnt null, 0x0
	s_barrier
	buffer_gl0_inv
	s_clause 0x1f
	buffer_load_dword v2, off, s[0:3], 0 offset:424
	buffer_load_dword v3, off, s[0:3], 0 offset:428
	;; [unrolled: 1-line block ×32, first 2 shown]
	v_mov_b32_e32 v1, 0
	ds_read_b128 v[69:72], v1 offset:912
	ds_read_b128 v[76:79], v1 offset:928
	;; [unrolled: 1-line block ×3, first 2 shown]
	s_mov_b32 s4, exec_lo
	s_waitcnt vmcnt(30) lgkmcnt(2)
	v_mul_f64 v[112:113], v[71:72], v[2:3]
	v_mul_f64 v[2:3], v[69:70], v[2:3]
	s_waitcnt vmcnt(28) lgkmcnt(1)
	v_mul_f64 v[114:115], v[78:79], v[73:74]
	v_mul_f64 v[73:74], v[76:77], v[73:74]
	s_waitcnt vmcnt(26)
	v_fma_f64 v[112:113], v[69:70], v[84:85], -v[112:113]
	v_fma_f64 v[2:3], v[71:72], v[84:85], v[2:3]
	ds_read_b128 v[69:72], v1 offset:960
	s_waitcnt vmcnt(24) lgkmcnt(1)
	v_mul_f64 v[84:85], v[80:81], v[86:87]
	v_mul_f64 v[86:87], v[82:83], v[86:87]
	s_waitcnt vmcnt(22)
	v_fma_f64 v[114:115], v[76:77], v[88:89], -v[114:115]
	v_fma_f64 v[73:74], v[78:79], v[88:89], v[73:74]
	ds_read_b128 v[76:79], v1 offset:976
	s_waitcnt vmcnt(18) lgkmcnt(1)
	v_mul_f64 v[88:89], v[69:70], v[90:91]
	v_add_f64 v[112:113], v[112:113], 0
	v_add_f64 v[2:3], v[2:3], 0
	v_mul_f64 v[90:91], v[71:72], v[90:91]
	s_waitcnt vmcnt(16)
	v_fma_f64 v[86:87], v[80:81], v[96:97], -v[86:87]
	v_fma_f64 v[84:85], v[82:83], v[96:97], v[84:85]
	ds_read_b128 v[80:83], v1 offset:992
	s_waitcnt vmcnt(13)
	v_fma_f64 v[88:89], v[71:72], v[98:99], v[88:89]
	v_add_f64 v[112:113], v[112:113], v[114:115]
	v_add_f64 v[2:3], v[2:3], v[73:74]
	s_waitcnt lgkmcnt(1)
	v_mul_f64 v[73:74], v[76:77], v[92:93]
	v_mul_f64 v[92:93], v[78:79], v[92:93]
	v_fma_f64 v[90:91], v[69:70], v[98:99], -v[90:91]
	s_waitcnt vmcnt(9) lgkmcnt(0)
	v_mul_f64 v[96:97], v[82:83], v[100:101]
	ds_read_b128 v[69:72], v1 offset:1008
	v_add_f64 v[86:87], v[112:113], v[86:87]
	v_add_f64 v[2:3], v[2:3], v[84:85]
	v_mul_f64 v[84:85], v[80:81], v[100:101]
	s_waitcnt vmcnt(8)
	v_fma_f64 v[76:77], v[76:77], v[94:95], -v[92:93]
	v_fma_f64 v[73:74], v[78:79], v[94:95], v[73:74]
	s_waitcnt vmcnt(5)
	v_fma_f64 v[80:81], v[80:81], v[106:107], -v[96:97]
	s_waitcnt lgkmcnt(0)
	v_mul_f64 v[78:79], v[69:70], v[102:103]
	v_add_f64 v[86:87], v[86:87], v[90:91]
	v_add_f64 v[2:3], v[2:3], v[88:89]
	v_mul_f64 v[88:89], v[71:72], v[102:103]
	v_fma_f64 v[82:83], v[82:83], v[106:107], v[84:85]
	s_waitcnt vmcnt(4)
	v_fma_f64 v[71:72], v[71:72], v[104:105], v[78:79]
	v_add_f64 v[76:77], v[86:87], v[76:77]
	v_add_f64 v[2:3], v[2:3], v[73:74]
	v_fma_f64 v[69:70], v[69:70], v[104:105], -v[88:89]
	v_add_f64 v[73:74], v[76:77], v[80:81]
	v_add_f64 v[2:3], v[2:3], v[82:83]
	;; [unrolled: 1-line block ×4, first 2 shown]
	s_waitcnt vmcnt(2)
	v_add_f64 v[69:70], v[108:109], -v[69:70]
	s_waitcnt vmcnt(0)
	v_add_f64 v[2:3], v[110:111], -v[2:3]
	buffer_store_dword v70, off, s[0:3], 0 offset:404
	buffer_store_dword v69, off, s[0:3], 0 offset:400
	;; [unrolled: 1-line block ×4, first 2 shown]
	v_cmpx_lt_u32_e32 23, v0
	s_cbranch_execz .LBB95_159
; %bb.158:
	v_mov_b32_e32 v2, s20
	s_clause 0x3
	buffer_load_dword v69, v2, s[0:3], 0 offen
	buffer_load_dword v70, v2, s[0:3], 0 offen offset:4
	buffer_load_dword v71, v2, s[0:3], 0 offen offset:8
	;; [unrolled: 1-line block ×3, first 2 shown]
	buffer_store_dword v1, off, s[0:3], 0 offset:384
	buffer_store_dword v1, off, s[0:3], 0 offset:388
	;; [unrolled: 1-line block ×4, first 2 shown]
	s_waitcnt vmcnt(0)
	ds_write_b128 v75, v[69:72]
.LBB95_159:
	s_or_b32 exec_lo, exec_lo, s4
	s_waitcnt lgkmcnt(0)
	s_waitcnt_vscnt null, 0x0
	s_barrier
	buffer_gl0_inv
	s_clause 0x23
	buffer_load_dword v2, off, s[0:3], 0 offset:408
	buffer_load_dword v3, off, s[0:3], 0 offset:412
	;; [unrolled: 1-line block ×36, first 2 shown]
	ds_read_b128 v[69:72], v1 offset:896
	ds_read_b128 v[76:79], v1 offset:912
	;; [unrolled: 1-line block ×3, first 2 shown]
	s_mov_b32 s4, exec_lo
	s_waitcnt vmcnt(34) lgkmcnt(2)
	v_mul_f64 v[116:117], v[71:72], v[2:3]
	v_mul_f64 v[2:3], v[69:70], v[2:3]
	s_waitcnt vmcnt(32) lgkmcnt(1)
	v_mul_f64 v[118:119], v[78:79], v[73:74]
	v_mul_f64 v[73:74], v[76:77], v[73:74]
	s_waitcnt vmcnt(30)
	v_fma_f64 v[116:117], v[69:70], v[84:85], -v[116:117]
	v_fma_f64 v[2:3], v[71:72], v[84:85], v[2:3]
	ds_read_b128 v[69:72], v1 offset:944
	s_waitcnt vmcnt(28) lgkmcnt(1)
	v_mul_f64 v[84:85], v[80:81], v[86:87]
	v_mul_f64 v[86:87], v[82:83], v[86:87]
	s_waitcnt vmcnt(26)
	v_fma_f64 v[118:119], v[76:77], v[88:89], -v[118:119]
	v_fma_f64 v[73:74], v[78:79], v[88:89], v[73:74]
	ds_read_b128 v[76:79], v1 offset:960
	s_waitcnt vmcnt(22) lgkmcnt(1)
	v_mul_f64 v[88:89], v[69:70], v[90:91]
	v_add_f64 v[116:117], v[116:117], 0
	v_add_f64 v[2:3], v[2:3], 0
	v_mul_f64 v[90:91], v[71:72], v[90:91]
	s_waitcnt vmcnt(20)
	v_fma_f64 v[86:87], v[80:81], v[96:97], -v[86:87]
	v_fma_f64 v[84:85], v[82:83], v[96:97], v[84:85]
	ds_read_b128 v[80:83], v1 offset:976
	s_waitcnt vmcnt(17)
	v_fma_f64 v[88:89], v[71:72], v[98:99], v[88:89]
	v_add_f64 v[116:117], v[116:117], v[118:119]
	v_add_f64 v[2:3], v[2:3], v[73:74]
	s_waitcnt lgkmcnt(1)
	v_mul_f64 v[73:74], v[76:77], v[92:93]
	v_mul_f64 v[92:93], v[78:79], v[92:93]
	v_fma_f64 v[90:91], v[69:70], v[98:99], -v[90:91]
	s_waitcnt vmcnt(13) lgkmcnt(0)
	v_mul_f64 v[96:97], v[82:83], v[100:101]
	ds_read_b128 v[69:72], v1 offset:992
	v_add_f64 v[86:87], v[116:117], v[86:87]
	v_add_f64 v[2:3], v[2:3], v[84:85]
	v_mul_f64 v[84:85], v[80:81], v[100:101]
	s_waitcnt vmcnt(12)
	v_fma_f64 v[76:77], v[76:77], v[94:95], -v[92:93]
	v_fma_f64 v[73:74], v[78:79], v[94:95], v[73:74]
	s_waitcnt vmcnt(9)
	v_fma_f64 v[80:81], v[80:81], v[106:107], -v[96:97]
	v_add_f64 v[86:87], v[86:87], v[90:91]
	v_add_f64 v[78:79], v[2:3], v[88:89]
	s_waitcnt lgkmcnt(0)
	v_mul_f64 v[90:91], v[71:72], v[102:103]
	ds_read_b128 v[1:4], v1 offset:1008
	v_mul_f64 v[88:89], v[69:70], v[102:103]
	v_fma_f64 v[82:83], v[82:83], v[106:107], v[84:85]
	v_add_f64 v[76:77], v[86:87], v[76:77]
	v_add_f64 v[73:74], v[78:79], v[73:74]
	s_waitcnt vmcnt(7) lgkmcnt(0)
	v_mul_f64 v[84:85], v[3:4], v[108:109]
	s_waitcnt vmcnt(6)
	v_fma_f64 v[69:70], v[69:70], v[104:105], -v[90:91]
	v_mul_f64 v[78:79], v[1:2], v[108:109]
	v_fma_f64 v[71:72], v[71:72], v[104:105], v[88:89]
	v_add_f64 v[76:77], v[76:77], v[80:81]
	v_add_f64 v[73:74], v[73:74], v[82:83]
	s_waitcnt vmcnt(4)
	v_fma_f64 v[1:2], v[1:2], v[110:111], -v[84:85]
	v_fma_f64 v[3:4], v[3:4], v[110:111], v[78:79]
	v_add_f64 v[69:70], v[76:77], v[69:70]
	v_add_f64 v[71:72], v[73:74], v[71:72]
	;; [unrolled: 1-line block ×4, first 2 shown]
	s_waitcnt vmcnt(2)
	v_add_f64 v[1:2], v[112:113], -v[1:2]
	s_waitcnt vmcnt(0)
	v_add_f64 v[3:4], v[114:115], -v[3:4]
	buffer_store_dword v2, off, s[0:3], 0 offset:388
	buffer_store_dword v1, off, s[0:3], 0 offset:384
	;; [unrolled: 1-line block ×4, first 2 shown]
	v_cmpx_lt_u32_e32 22, v0
	s_cbranch_execz .LBB95_161
; %bb.160:
	v_mov_b32_e32 v4, s21
	v_mov_b32_e32 v69, 0
	s_clause 0x3
	buffer_load_dword v1, v4, s[0:3], 0 offen
	buffer_load_dword v2, v4, s[0:3], 0 offen offset:4
	buffer_load_dword v3, v4, s[0:3], 0 offen offset:8
	;; [unrolled: 1-line block ×3, first 2 shown]
	buffer_store_dword v69, off, s[0:3], 0 offset:368
	buffer_store_dword v69, off, s[0:3], 0 offset:372
	;; [unrolled: 1-line block ×4, first 2 shown]
	s_waitcnt vmcnt(0)
	ds_write_b128 v75, v[1:4]
.LBB95_161:
	s_or_b32 exec_lo, exec_lo, s4
	s_waitcnt lgkmcnt(0)
	s_waitcnt_vscnt null, 0x0
	s_barrier
	buffer_gl0_inv
	s_clause 0x27
	buffer_load_dword v2, off, s[0:3], 0 offset:392
	buffer_load_dword v3, off, s[0:3], 0 offset:396
	;; [unrolled: 1-line block ×40, first 2 shown]
	v_mov_b32_e32 v1, 0
	ds_read_b128 v[69:72], v1 offset:880
	ds_read_b128 v[76:79], v1 offset:896
	;; [unrolled: 1-line block ×3, first 2 shown]
	s_mov_b32 s4, exec_lo
	s_waitcnt vmcnt(38) lgkmcnt(2)
	v_mul_f64 v[120:121], v[71:72], v[2:3]
	v_mul_f64 v[2:3], v[69:70], v[2:3]
	s_waitcnt vmcnt(36) lgkmcnt(1)
	v_mul_f64 v[122:123], v[78:79], v[73:74]
	v_mul_f64 v[73:74], v[76:77], v[73:74]
	s_waitcnt vmcnt(34)
	v_fma_f64 v[120:121], v[69:70], v[84:85], -v[120:121]
	v_fma_f64 v[2:3], v[71:72], v[84:85], v[2:3]
	ds_read_b128 v[69:72], v1 offset:928
	s_waitcnt vmcnt(32) lgkmcnt(1)
	v_mul_f64 v[84:85], v[80:81], v[86:87]
	v_mul_f64 v[86:87], v[82:83], v[86:87]
	s_waitcnt vmcnt(30)
	v_fma_f64 v[122:123], v[76:77], v[88:89], -v[122:123]
	v_fma_f64 v[73:74], v[78:79], v[88:89], v[73:74]
	ds_read_b128 v[76:79], v1 offset:944
	s_waitcnt vmcnt(26) lgkmcnt(1)
	v_mul_f64 v[88:89], v[69:70], v[90:91]
	v_add_f64 v[120:121], v[120:121], 0
	v_add_f64 v[2:3], v[2:3], 0
	v_mul_f64 v[90:91], v[71:72], v[90:91]
	s_waitcnt vmcnt(24)
	v_fma_f64 v[86:87], v[80:81], v[96:97], -v[86:87]
	v_fma_f64 v[84:85], v[82:83], v[96:97], v[84:85]
	ds_read_b128 v[80:83], v1 offset:960
	s_waitcnt vmcnt(21)
	v_fma_f64 v[88:89], v[71:72], v[98:99], v[88:89]
	v_add_f64 v[120:121], v[120:121], v[122:123]
	v_add_f64 v[2:3], v[2:3], v[73:74]
	s_waitcnt lgkmcnt(1)
	v_mul_f64 v[73:74], v[76:77], v[92:93]
	v_mul_f64 v[92:93], v[78:79], v[92:93]
	v_fma_f64 v[90:91], v[69:70], v[98:99], -v[90:91]
	s_waitcnt vmcnt(17) lgkmcnt(0)
	v_mul_f64 v[96:97], v[82:83], v[100:101]
	ds_read_b128 v[69:72], v1 offset:976
	v_add_f64 v[86:87], v[120:121], v[86:87]
	v_add_f64 v[2:3], v[2:3], v[84:85]
	v_mul_f64 v[84:85], v[80:81], v[100:101]
	s_waitcnt vmcnt(16)
	v_fma_f64 v[92:93], v[76:77], v[94:95], -v[92:93]
	v_fma_f64 v[73:74], v[78:79], v[94:95], v[73:74]
	ds_read_b128 v[76:79], v1 offset:992
	s_waitcnt vmcnt(13)
	v_fma_f64 v[94:95], v[80:81], v[106:107], -v[96:97]
	v_add_f64 v[86:87], v[86:87], v[90:91]
	v_add_f64 v[2:3], v[2:3], v[88:89]
	s_waitcnt lgkmcnt(1)
	v_mul_f64 v[90:91], v[71:72], v[102:103]
	v_mul_f64 v[88:89], v[69:70], v[102:103]
	v_fma_f64 v[84:85], v[82:83], v[106:107], v[84:85]
	ds_read_b128 v[80:83], v1 offset:1008
	v_add_f64 v[86:87], v[86:87], v[92:93]
	v_add_f64 v[2:3], v[2:3], v[73:74]
	s_waitcnt vmcnt(9) lgkmcnt(1)
	v_mul_f64 v[92:93], v[78:79], v[108:109]
	s_waitcnt vmcnt(8)
	v_fma_f64 v[69:70], v[69:70], v[104:105], -v[90:91]
	v_mul_f64 v[73:74], v[76:77], v[108:109]
	v_fma_f64 v[71:72], v[71:72], v[104:105], v[88:89]
	s_waitcnt vmcnt(7) lgkmcnt(0)
	v_mul_f64 v[88:89], v[82:83], v[110:111]
	v_add_f64 v[86:87], v[86:87], v[94:95]
	v_add_f64 v[2:3], v[2:3], v[84:85]
	s_waitcnt vmcnt(5)
	v_fma_f64 v[76:77], v[76:77], v[114:115], -v[92:93]
	v_mul_f64 v[84:85], v[80:81], v[110:111]
	v_fma_f64 v[73:74], v[78:79], v[114:115], v[73:74]
	v_add_f64 v[69:70], v[86:87], v[69:70]
	v_add_f64 v[2:3], v[2:3], v[71:72]
	s_waitcnt vmcnt(4)
	v_fma_f64 v[71:72], v[80:81], v[112:113], -v[88:89]
	v_add_f64 v[69:70], v[69:70], v[76:77]
	v_fma_f64 v[76:77], v[82:83], v[112:113], v[84:85]
	v_add_f64 v[2:3], v[2:3], v[73:74]
	v_add_f64 v[69:70], v[69:70], v[71:72]
	;; [unrolled: 1-line block ×3, first 2 shown]
	s_waitcnt vmcnt(2)
	v_add_f64 v[69:70], v[116:117], -v[69:70]
	s_waitcnt vmcnt(0)
	v_add_f64 v[2:3], v[118:119], -v[2:3]
	buffer_store_dword v70, off, s[0:3], 0 offset:372
	buffer_store_dword v69, off, s[0:3], 0 offset:368
	;; [unrolled: 1-line block ×4, first 2 shown]
	v_cmpx_lt_u32_e32 21, v0
	s_cbranch_execz .LBB95_163
; %bb.162:
	v_mov_b32_e32 v2, s22
	s_clause 0x3
	buffer_load_dword v69, v2, s[0:3], 0 offen
	buffer_load_dword v70, v2, s[0:3], 0 offen offset:4
	buffer_load_dword v71, v2, s[0:3], 0 offen offset:8
	;; [unrolled: 1-line block ×3, first 2 shown]
	buffer_store_dword v1, off, s[0:3], 0 offset:352
	buffer_store_dword v1, off, s[0:3], 0 offset:356
	;; [unrolled: 1-line block ×4, first 2 shown]
	s_waitcnt vmcnt(0)
	ds_write_b128 v75, v[69:72]
.LBB95_163:
	s_or_b32 exec_lo, exec_lo, s4
	s_waitcnt lgkmcnt(0)
	s_waitcnt_vscnt null, 0x0
	s_barrier
	buffer_gl0_inv
	s_clause 0x2b
	buffer_load_dword v2, off, s[0:3], 0 offset:376
	buffer_load_dword v3, off, s[0:3], 0 offset:380
	;; [unrolled: 1-line block ×44, first 2 shown]
	ds_read_b128 v[69:72], v1 offset:864
	ds_read_b128 v[76:79], v1 offset:880
	;; [unrolled: 1-line block ×3, first 2 shown]
	s_mov_b32 s4, exec_lo
	s_waitcnt vmcnt(42) lgkmcnt(2)
	v_mul_f64 v[124:125], v[71:72], v[2:3]
	v_mul_f64 v[2:3], v[69:70], v[2:3]
	s_waitcnt vmcnt(40) lgkmcnt(1)
	v_mul_f64 v[126:127], v[78:79], v[73:74]
	v_mul_f64 v[73:74], v[76:77], v[73:74]
	s_waitcnt vmcnt(38)
	v_fma_f64 v[124:125], v[69:70], v[84:85], -v[124:125]
	v_fma_f64 v[2:3], v[71:72], v[84:85], v[2:3]
	ds_read_b128 v[69:72], v1 offset:912
	s_waitcnt vmcnt(36) lgkmcnt(1)
	v_mul_f64 v[84:85], v[80:81], v[86:87]
	v_mul_f64 v[86:87], v[82:83], v[86:87]
	s_waitcnt vmcnt(34)
	v_fma_f64 v[126:127], v[76:77], v[88:89], -v[126:127]
	v_fma_f64 v[73:74], v[78:79], v[88:89], v[73:74]
	ds_read_b128 v[76:79], v1 offset:928
	s_waitcnt vmcnt(30) lgkmcnt(1)
	v_mul_f64 v[88:89], v[69:70], v[90:91]
	v_add_f64 v[124:125], v[124:125], 0
	v_add_f64 v[2:3], v[2:3], 0
	v_mul_f64 v[90:91], v[71:72], v[90:91]
	s_waitcnt vmcnt(28)
	v_fma_f64 v[86:87], v[80:81], v[96:97], -v[86:87]
	v_fma_f64 v[84:85], v[82:83], v[96:97], v[84:85]
	ds_read_b128 v[80:83], v1 offset:944
	s_waitcnt vmcnt(25)
	v_fma_f64 v[88:89], v[71:72], v[98:99], v[88:89]
	v_add_f64 v[124:125], v[124:125], v[126:127]
	v_add_f64 v[2:3], v[2:3], v[73:74]
	s_waitcnt lgkmcnt(1)
	v_mul_f64 v[73:74], v[76:77], v[92:93]
	v_mul_f64 v[92:93], v[78:79], v[92:93]
	v_fma_f64 v[90:91], v[69:70], v[98:99], -v[90:91]
	s_waitcnt vmcnt(21) lgkmcnt(0)
	v_mul_f64 v[96:97], v[82:83], v[100:101]
	ds_read_b128 v[69:72], v1 offset:960
	v_add_f64 v[86:87], v[124:125], v[86:87]
	v_add_f64 v[2:3], v[2:3], v[84:85]
	v_mul_f64 v[84:85], v[80:81], v[100:101]
	s_waitcnt vmcnt(20)
	v_fma_f64 v[92:93], v[76:77], v[94:95], -v[92:93]
	v_fma_f64 v[73:74], v[78:79], v[94:95], v[73:74]
	ds_read_b128 v[76:79], v1 offset:976
	s_waitcnt vmcnt(17)
	v_fma_f64 v[94:95], v[80:81], v[106:107], -v[96:97]
	v_add_f64 v[86:87], v[86:87], v[90:91]
	v_add_f64 v[2:3], v[2:3], v[88:89]
	s_waitcnt lgkmcnt(1)
	v_mul_f64 v[90:91], v[71:72], v[102:103]
	v_mul_f64 v[88:89], v[69:70], v[102:103]
	v_fma_f64 v[84:85], v[82:83], v[106:107], v[84:85]
	ds_read_b128 v[80:83], v1 offset:992
	v_add_f64 v[86:87], v[86:87], v[92:93]
	v_add_f64 v[2:3], v[2:3], v[73:74]
	s_waitcnt vmcnt(13) lgkmcnt(1)
	v_mul_f64 v[92:93], v[78:79], v[108:109]
	s_waitcnt vmcnt(12)
	v_fma_f64 v[69:70], v[69:70], v[104:105], -v[90:91]
	v_mul_f64 v[73:74], v[76:77], v[108:109]
	v_fma_f64 v[71:72], v[71:72], v[104:105], v[88:89]
	s_waitcnt vmcnt(11) lgkmcnt(0)
	v_mul_f64 v[90:91], v[82:83], v[110:111]
	v_mul_f64 v[88:89], v[80:81], v[110:111]
	v_add_f64 v[86:87], v[86:87], v[94:95]
	v_add_f64 v[84:85], v[2:3], v[84:85]
	s_waitcnt vmcnt(9)
	v_fma_f64 v[76:77], v[76:77], v[114:115], -v[92:93]
	ds_read_b128 v[1:4], v1 offset:1008
	v_fma_f64 v[73:74], v[78:79], v[114:115], v[73:74]
	s_waitcnt vmcnt(6)
	v_fma_f64 v[80:81], v[80:81], v[112:113], -v[90:91]
	v_add_f64 v[69:70], v[86:87], v[69:70]
	v_add_f64 v[71:72], v[84:85], v[71:72]
	s_waitcnt lgkmcnt(0)
	v_mul_f64 v[84:85], v[3:4], v[116:117]
	v_mul_f64 v[78:79], v[1:2], v[116:117]
	v_add_f64 v[69:70], v[69:70], v[76:77]
	v_fma_f64 v[76:77], v[82:83], v[112:113], v[88:89]
	v_add_f64 v[71:72], v[71:72], v[73:74]
	s_waitcnt vmcnt(4)
	v_fma_f64 v[1:2], v[1:2], v[118:119], -v[84:85]
	v_fma_f64 v[3:4], v[3:4], v[118:119], v[78:79]
	v_add_f64 v[69:70], v[69:70], v[80:81]
	v_add_f64 v[71:72], v[71:72], v[76:77]
	;; [unrolled: 1-line block ×4, first 2 shown]
	s_waitcnt vmcnt(2)
	v_add_f64 v[1:2], v[120:121], -v[1:2]
	s_waitcnt vmcnt(0)
	v_add_f64 v[3:4], v[122:123], -v[3:4]
	buffer_store_dword v2, off, s[0:3], 0 offset:356
	buffer_store_dword v1, off, s[0:3], 0 offset:352
	;; [unrolled: 1-line block ×4, first 2 shown]
	v_cmpx_lt_u32_e32 20, v0
	s_cbranch_execz .LBB95_165
; %bb.164:
	v_mov_b32_e32 v4, s23
	v_mov_b32_e32 v69, 0
	s_clause 0x3
	buffer_load_dword v1, v4, s[0:3], 0 offen
	buffer_load_dword v2, v4, s[0:3], 0 offen offset:4
	buffer_load_dword v3, v4, s[0:3], 0 offen offset:8
	;; [unrolled: 1-line block ×3, first 2 shown]
	buffer_store_dword v69, off, s[0:3], 0 offset:336
	buffer_store_dword v69, off, s[0:3], 0 offset:340
	;; [unrolled: 1-line block ×4, first 2 shown]
	s_waitcnt vmcnt(0)
	ds_write_b128 v75, v[1:4]
.LBB95_165:
	s_or_b32 exec_lo, exec_lo, s4
	s_waitcnt lgkmcnt(0)
	s_waitcnt_vscnt null, 0x0
	s_barrier
	buffer_gl0_inv
	s_clause 0x2f
	buffer_load_dword v2, off, s[0:3], 0 offset:360
	buffer_load_dword v3, off, s[0:3], 0 offset:364
	;; [unrolled: 1-line block ×48, first 2 shown]
	v_mov_b32_e32 v1, 0
	ds_read_b128 v[69:72], v1 offset:848
	ds_read_b128 v[76:79], v1 offset:864
	;; [unrolled: 1-line block ×3, first 2 shown]
	s_mov_b32 s4, exec_lo
	s_waitcnt vmcnt(46) lgkmcnt(2)
	v_mul_f64 v[128:129], v[71:72], v[2:3]
	v_mul_f64 v[2:3], v[69:70], v[2:3]
	s_waitcnt vmcnt(44) lgkmcnt(1)
	v_mul_f64 v[130:131], v[78:79], v[73:74]
	v_mul_f64 v[73:74], v[76:77], v[73:74]
	s_waitcnt vmcnt(42)
	v_fma_f64 v[128:129], v[69:70], v[84:85], -v[128:129]
	v_fma_f64 v[2:3], v[71:72], v[84:85], v[2:3]
	ds_read_b128 v[69:72], v1 offset:896
	s_waitcnt vmcnt(40) lgkmcnt(1)
	v_mul_f64 v[84:85], v[80:81], v[86:87]
	v_mul_f64 v[86:87], v[82:83], v[86:87]
	s_waitcnt vmcnt(38)
	v_fma_f64 v[130:131], v[76:77], v[88:89], -v[130:131]
	v_fma_f64 v[73:74], v[78:79], v[88:89], v[73:74]
	ds_read_b128 v[76:79], v1 offset:912
	s_waitcnt vmcnt(34) lgkmcnt(1)
	v_mul_f64 v[88:89], v[69:70], v[90:91]
	v_add_f64 v[128:129], v[128:129], 0
	v_add_f64 v[2:3], v[2:3], 0
	v_mul_f64 v[90:91], v[71:72], v[90:91]
	s_waitcnt vmcnt(32)
	v_fma_f64 v[86:87], v[80:81], v[96:97], -v[86:87]
	v_fma_f64 v[84:85], v[82:83], v[96:97], v[84:85]
	ds_read_b128 v[80:83], v1 offset:928
	s_waitcnt vmcnt(29)
	v_fma_f64 v[88:89], v[71:72], v[98:99], v[88:89]
	v_add_f64 v[128:129], v[128:129], v[130:131]
	v_add_f64 v[2:3], v[2:3], v[73:74]
	s_waitcnt lgkmcnt(1)
	v_mul_f64 v[73:74], v[76:77], v[92:93]
	v_mul_f64 v[92:93], v[78:79], v[92:93]
	v_fma_f64 v[90:91], v[69:70], v[98:99], -v[90:91]
	s_waitcnt vmcnt(25) lgkmcnt(0)
	v_mul_f64 v[96:97], v[82:83], v[100:101]
	ds_read_b128 v[69:72], v1 offset:944
	v_add_f64 v[86:87], v[128:129], v[86:87]
	v_add_f64 v[2:3], v[2:3], v[84:85]
	v_mul_f64 v[84:85], v[80:81], v[100:101]
	s_waitcnt vmcnt(24)
	v_fma_f64 v[92:93], v[76:77], v[94:95], -v[92:93]
	v_fma_f64 v[73:74], v[78:79], v[94:95], v[73:74]
	ds_read_b128 v[76:79], v1 offset:960
	s_waitcnt vmcnt(21)
	v_fma_f64 v[94:95], v[80:81], v[106:107], -v[96:97]
	v_add_f64 v[86:87], v[86:87], v[90:91]
	v_add_f64 v[2:3], v[2:3], v[88:89]
	s_waitcnt lgkmcnt(1)
	v_mul_f64 v[90:91], v[71:72], v[102:103]
	v_mul_f64 v[88:89], v[69:70], v[102:103]
	v_fma_f64 v[84:85], v[82:83], v[106:107], v[84:85]
	ds_read_b128 v[80:83], v1 offset:976
	v_add_f64 v[86:87], v[86:87], v[92:93]
	v_add_f64 v[2:3], v[2:3], v[73:74]
	s_waitcnt vmcnt(17) lgkmcnt(1)
	v_mul_f64 v[92:93], v[78:79], v[108:109]
	s_waitcnt vmcnt(16)
	v_fma_f64 v[90:91], v[69:70], v[104:105], -v[90:91]
	v_mul_f64 v[73:74], v[76:77], v[108:109]
	v_fma_f64 v[88:89], v[71:72], v[104:105], v[88:89]
	ds_read_b128 v[69:72], v1 offset:992
	v_add_f64 v[86:87], v[86:87], v[94:95]
	v_add_f64 v[2:3], v[2:3], v[84:85]
	s_waitcnt vmcnt(15) lgkmcnt(1)
	v_mul_f64 v[94:95], v[82:83], v[110:111]
	s_waitcnt vmcnt(13)
	v_fma_f64 v[92:93], v[76:77], v[114:115], -v[92:93]
	;; [unrolled: 9-line block ×3, first 2 shown]
	v_mul_f64 v[88:89], v[69:70], v[116:117]
	v_fma_f64 v[82:83], v[82:83], v[112:113], v[84:85]
	s_waitcnt vmcnt(7) lgkmcnt(0)
	v_mul_f64 v[84:85], v[78:79], v[118:119]
	v_add_f64 v[86:87], v[86:87], v[92:93]
	v_add_f64 v[2:3], v[2:3], v[73:74]
	s_waitcnt vmcnt(5)
	v_fma_f64 v[69:70], v[69:70], v[122:123], -v[90:91]
	v_mul_f64 v[73:74], v[76:77], v[118:119]
	v_fma_f64 v[71:72], v[71:72], v[122:123], v[88:89]
	s_waitcnt vmcnt(4)
	v_fma_f64 v[76:77], v[76:77], v[120:121], -v[84:85]
	v_add_f64 v[80:81], v[86:87], v[80:81]
	v_add_f64 v[2:3], v[2:3], v[82:83]
	v_fma_f64 v[73:74], v[78:79], v[120:121], v[73:74]
	v_add_f64 v[69:70], v[80:81], v[69:70]
	v_add_f64 v[2:3], v[2:3], v[71:72]
	;; [unrolled: 1-line block ×4, first 2 shown]
	s_waitcnt vmcnt(2)
	v_add_f64 v[69:70], v[124:125], -v[69:70]
	s_waitcnt vmcnt(0)
	v_add_f64 v[2:3], v[126:127], -v[2:3]
	buffer_store_dword v70, off, s[0:3], 0 offset:340
	buffer_store_dword v69, off, s[0:3], 0 offset:336
	;; [unrolled: 1-line block ×4, first 2 shown]
	v_cmpx_lt_u32_e32 19, v0
	s_cbranch_execz .LBB95_167
; %bb.166:
	v_mov_b32_e32 v2, s24
	s_clause 0x3
	buffer_load_dword v69, v2, s[0:3], 0 offen
	buffer_load_dword v70, v2, s[0:3], 0 offen offset:4
	buffer_load_dword v71, v2, s[0:3], 0 offen offset:8
	;; [unrolled: 1-line block ×3, first 2 shown]
	buffer_store_dword v1, off, s[0:3], 0 offset:320
	buffer_store_dword v1, off, s[0:3], 0 offset:324
	;; [unrolled: 1-line block ×4, first 2 shown]
	s_waitcnt vmcnt(0)
	ds_write_b128 v75, v[69:72]
.LBB95_167:
	s_or_b32 exec_lo, exec_lo, s4
	s_waitcnt lgkmcnt(0)
	s_waitcnt_vscnt null, 0x0
	s_barrier
	buffer_gl0_inv
	s_clause 0x2f
	buffer_load_dword v2, off, s[0:3], 0 offset:344
	buffer_load_dword v3, off, s[0:3], 0 offset:348
	;; [unrolled: 1-line block ×48, first 2 shown]
	ds_read_b128 v[69:72], v1 offset:832
	s_clause 0x3
	buffer_load_dword v128, off, s[0:3], 0 offset:320
	buffer_load_dword v129, off, s[0:3], 0 offset:324
	;; [unrolled: 1-line block ×4, first 2 shown]
	ds_read_b128 v[76:79], v1 offset:848
	ds_read_b128 v[80:83], v1 offset:864
	s_mov_b32 s4, exec_lo
	s_waitcnt vmcnt(50) lgkmcnt(2)
	v_mul_f64 v[132:133], v[71:72], v[2:3]
	v_mul_f64 v[2:3], v[69:70], v[2:3]
	s_waitcnt vmcnt(48) lgkmcnt(1)
	v_mul_f64 v[134:135], v[78:79], v[73:74]
	v_mul_f64 v[73:74], v[76:77], v[73:74]
	s_waitcnt vmcnt(46)
	v_fma_f64 v[132:133], v[69:70], v[84:85], -v[132:133]
	v_fma_f64 v[2:3], v[71:72], v[84:85], v[2:3]
	s_waitcnt vmcnt(44) lgkmcnt(0)
	v_mul_f64 v[84:85], v[80:81], v[86:87]
	v_mul_f64 v[86:87], v[82:83], v[86:87]
	s_waitcnt vmcnt(42)
	v_fma_f64 v[134:135], v[76:77], v[88:89], -v[134:135]
	ds_read_b128 v[69:72], v1 offset:880
	v_fma_f64 v[73:74], v[78:79], v[88:89], v[73:74]
	ds_read_b128 v[76:79], v1 offset:896
	v_add_f64 v[132:133], v[132:133], 0
	v_add_f64 v[2:3], v[2:3], 0
	s_waitcnt vmcnt(36)
	v_fma_f64 v[84:85], v[82:83], v[96:97], v[84:85]
	s_waitcnt lgkmcnt(1)
	v_mul_f64 v[88:89], v[69:70], v[90:91]
	v_mul_f64 v[90:91], v[71:72], v[90:91]
	v_fma_f64 v[86:87], v[80:81], v[96:97], -v[86:87]
	ds_read_b128 v[80:83], v1 offset:912
	v_add_f64 v[132:133], v[132:133], v[134:135]
	v_add_f64 v[2:3], v[2:3], v[73:74]
	s_waitcnt vmcnt(35) lgkmcnt(1)
	v_mul_f64 v[73:74], v[76:77], v[92:93]
	v_mul_f64 v[92:93], v[78:79], v[92:93]
	s_waitcnt vmcnt(33)
	v_fma_f64 v[90:91], v[69:70], v[98:99], -v[90:91]
	v_fma_f64 v[88:89], v[71:72], v[98:99], v[88:89]
	ds_read_b128 v[69:72], v1 offset:928
	s_waitcnt vmcnt(29) lgkmcnt(1)
	v_mul_f64 v[96:97], v[82:83], v[100:101]
	v_add_f64 v[86:87], v[132:133], v[86:87]
	v_add_f64 v[2:3], v[2:3], v[84:85]
	v_mul_f64 v[84:85], v[80:81], v[100:101]
	s_waitcnt vmcnt(28)
	v_fma_f64 v[92:93], v[76:77], v[94:95], -v[92:93]
	v_fma_f64 v[73:74], v[78:79], v[94:95], v[73:74]
	ds_read_b128 v[76:79], v1 offset:944
	s_waitcnt vmcnt(25)
	v_fma_f64 v[94:95], v[80:81], v[106:107], -v[96:97]
	v_add_f64 v[86:87], v[86:87], v[90:91]
	v_add_f64 v[2:3], v[2:3], v[88:89]
	s_waitcnt lgkmcnt(1)
	v_mul_f64 v[90:91], v[71:72], v[102:103]
	v_mul_f64 v[88:89], v[69:70], v[102:103]
	v_fma_f64 v[84:85], v[82:83], v[106:107], v[84:85]
	ds_read_b128 v[80:83], v1 offset:960
	v_add_f64 v[86:87], v[86:87], v[92:93]
	v_add_f64 v[2:3], v[2:3], v[73:74]
	s_waitcnt vmcnt(21) lgkmcnt(1)
	v_mul_f64 v[92:93], v[78:79], v[108:109]
	s_waitcnt vmcnt(20)
	v_fma_f64 v[90:91], v[69:70], v[104:105], -v[90:91]
	v_mul_f64 v[73:74], v[76:77], v[108:109]
	v_fma_f64 v[88:89], v[71:72], v[104:105], v[88:89]
	ds_read_b128 v[69:72], v1 offset:976
	v_add_f64 v[86:87], v[86:87], v[94:95]
	v_add_f64 v[2:3], v[2:3], v[84:85]
	s_waitcnt vmcnt(19) lgkmcnt(1)
	v_mul_f64 v[94:95], v[82:83], v[110:111]
	s_waitcnt vmcnt(17)
	v_fma_f64 v[92:93], v[76:77], v[114:115], -v[92:93]
	;; [unrolled: 9-line block ×3, first 2 shown]
	v_mul_f64 v[88:89], v[69:70], v[116:117]
	v_fma_f64 v[82:83], v[82:83], v[112:113], v[84:85]
	s_waitcnt vmcnt(11) lgkmcnt(0)
	v_mul_f64 v[84:85], v[76:77], v[118:119]
	v_add_f64 v[86:87], v[86:87], v[92:93]
	v_add_f64 v[73:74], v[2:3], v[73:74]
	v_mul_f64 v[92:93], v[78:79], v[118:119]
	s_waitcnt vmcnt(9)
	v_fma_f64 v[69:70], v[69:70], v[122:123], -v[90:91]
	ds_read_b128 v[1:4], v1 offset:1008
	v_fma_f64 v[71:72], v[71:72], v[122:123], v[88:89]
	s_waitcnt vmcnt(6)
	v_fma_f64 v[78:79], v[78:79], v[120:121], v[84:85]
	v_add_f64 v[80:81], v[86:87], v[80:81]
	v_add_f64 v[73:74], v[73:74], v[82:83]
	s_waitcnt lgkmcnt(0)
	v_mul_f64 v[86:87], v[3:4], v[124:125]
	v_fma_f64 v[76:77], v[76:77], v[120:121], -v[92:93]
	v_mul_f64 v[82:83], v[1:2], v[124:125]
	v_add_f64 v[69:70], v[80:81], v[69:70]
	v_add_f64 v[71:72], v[73:74], v[71:72]
	s_waitcnt vmcnt(4)
	v_fma_f64 v[1:2], v[1:2], v[126:127], -v[86:87]
	v_fma_f64 v[3:4], v[3:4], v[126:127], v[82:83]
	v_add_f64 v[69:70], v[69:70], v[76:77]
	v_add_f64 v[71:72], v[71:72], v[78:79]
	;; [unrolled: 1-line block ×4, first 2 shown]
	s_waitcnt vmcnt(2)
	v_add_f64 v[1:2], v[128:129], -v[1:2]
	s_waitcnt vmcnt(0)
	v_add_f64 v[3:4], v[130:131], -v[3:4]
	buffer_store_dword v2, off, s[0:3], 0 offset:324
	buffer_store_dword v1, off, s[0:3], 0 offset:320
	;; [unrolled: 1-line block ×4, first 2 shown]
	v_cmpx_lt_u32_e32 18, v0
	s_cbranch_execz .LBB95_169
; %bb.168:
	v_mov_b32_e32 v4, s25
	v_mov_b32_e32 v69, 0
	s_clause 0x3
	buffer_load_dword v1, v4, s[0:3], 0 offen
	buffer_load_dword v2, v4, s[0:3], 0 offen offset:4
	buffer_load_dword v3, v4, s[0:3], 0 offen offset:8
	;; [unrolled: 1-line block ×3, first 2 shown]
	buffer_store_dword v69, off, s[0:3], 0 offset:304
	buffer_store_dword v69, off, s[0:3], 0 offset:308
	;; [unrolled: 1-line block ×4, first 2 shown]
	s_waitcnt vmcnt(0)
	ds_write_b128 v75, v[1:4]
.LBB95_169:
	s_or_b32 exec_lo, exec_lo, s4
	s_waitcnt lgkmcnt(0)
	s_waitcnt_vscnt null, 0x0
	s_barrier
	buffer_gl0_inv
	s_clause 0x33
	buffer_load_dword v2, off, s[0:3], 0 offset:328
	buffer_load_dword v3, off, s[0:3], 0 offset:332
	;; [unrolled: 1-line block ×52, first 2 shown]
	v_mov_b32_e32 v1, 0
	ds_read_b128 v[69:72], v1 offset:816
	ds_read_b128 v[76:79], v1 offset:832
	s_clause 0x3
	buffer_load_dword v134, off, s[0:3], 0 offset:304
	buffer_load_dword v135, off, s[0:3], 0 offset:308
	;; [unrolled: 1-line block ×4, first 2 shown]
	ds_read_b128 v[80:83], v1 offset:848
	s_mov_b32 s4, exec_lo
	s_waitcnt vmcnt(54) lgkmcnt(2)
	v_mul_f64 v[132:133], v[71:72], v[2:3]
	v_mul_f64 v[2:3], v[69:70], v[2:3]
	s_waitcnt vmcnt(52) lgkmcnt(1)
	v_mul_f64 v[138:139], v[78:79], v[73:74]
	v_mul_f64 v[73:74], v[76:77], v[73:74]
	s_waitcnt vmcnt(50)
	v_fma_f64 v[132:133], v[69:70], v[84:85], -v[132:133]
	v_fma_f64 v[2:3], v[71:72], v[84:85], v[2:3]
	ds_read_b128 v[69:72], v1 offset:864
	s_waitcnt vmcnt(48) lgkmcnt(1)
	v_mul_f64 v[84:85], v[80:81], v[86:87]
	v_mul_f64 v[86:87], v[82:83], v[86:87]
	s_waitcnt vmcnt(46)
	v_fma_f64 v[138:139], v[76:77], v[88:89], -v[138:139]
	v_fma_f64 v[73:74], v[78:79], v[88:89], v[73:74]
	ds_read_b128 v[76:79], v1 offset:880
	s_waitcnt vmcnt(42) lgkmcnt(1)
	v_mul_f64 v[88:89], v[69:70], v[90:91]
	v_add_f64 v[132:133], v[132:133], 0
	v_add_f64 v[2:3], v[2:3], 0
	v_mul_f64 v[90:91], v[71:72], v[90:91]
	s_waitcnt vmcnt(40)
	v_fma_f64 v[86:87], v[80:81], v[96:97], -v[86:87]
	v_fma_f64 v[84:85], v[82:83], v[96:97], v[84:85]
	ds_read_b128 v[80:83], v1 offset:896
	s_waitcnt vmcnt(37)
	v_fma_f64 v[88:89], v[71:72], v[98:99], v[88:89]
	v_add_f64 v[132:133], v[132:133], v[138:139]
	v_add_f64 v[2:3], v[2:3], v[73:74]
	s_waitcnt lgkmcnt(1)
	v_mul_f64 v[73:74], v[76:77], v[92:93]
	v_mul_f64 v[92:93], v[78:79], v[92:93]
	v_fma_f64 v[90:91], v[69:70], v[98:99], -v[90:91]
	s_waitcnt vmcnt(33) lgkmcnt(0)
	v_mul_f64 v[96:97], v[82:83], v[100:101]
	ds_read_b128 v[69:72], v1 offset:912
	v_add_f64 v[86:87], v[132:133], v[86:87]
	v_add_f64 v[2:3], v[2:3], v[84:85]
	v_mul_f64 v[84:85], v[80:81], v[100:101]
	s_waitcnt vmcnt(32)
	v_fma_f64 v[92:93], v[76:77], v[94:95], -v[92:93]
	v_fma_f64 v[73:74], v[78:79], v[94:95], v[73:74]
	ds_read_b128 v[76:79], v1 offset:928
	s_waitcnt vmcnt(29)
	v_fma_f64 v[94:95], v[80:81], v[106:107], -v[96:97]
	v_add_f64 v[86:87], v[86:87], v[90:91]
	v_add_f64 v[2:3], v[2:3], v[88:89]
	s_waitcnt lgkmcnt(1)
	v_mul_f64 v[90:91], v[71:72], v[102:103]
	v_mul_f64 v[88:89], v[69:70], v[102:103]
	v_fma_f64 v[84:85], v[82:83], v[106:107], v[84:85]
	ds_read_b128 v[80:83], v1 offset:944
	v_add_f64 v[86:87], v[86:87], v[92:93]
	v_add_f64 v[2:3], v[2:3], v[73:74]
	s_waitcnt vmcnt(25) lgkmcnt(1)
	v_mul_f64 v[92:93], v[78:79], v[108:109]
	s_waitcnt vmcnt(24)
	v_fma_f64 v[90:91], v[69:70], v[104:105], -v[90:91]
	v_mul_f64 v[73:74], v[76:77], v[108:109]
	v_fma_f64 v[88:89], v[71:72], v[104:105], v[88:89]
	ds_read_b128 v[69:72], v1 offset:960
	v_add_f64 v[86:87], v[86:87], v[94:95]
	v_add_f64 v[2:3], v[2:3], v[84:85]
	s_waitcnt vmcnt(23) lgkmcnt(1)
	v_mul_f64 v[94:95], v[82:83], v[110:111]
	s_waitcnt vmcnt(21)
	v_fma_f64 v[92:93], v[76:77], v[114:115], -v[92:93]
	v_mul_f64 v[84:85], v[80:81], v[110:111]
	v_fma_f64 v[73:74], v[78:79], v[114:115], v[73:74]
	ds_read_b128 v[76:79], v1 offset:976
	v_add_f64 v[86:87], v[86:87], v[90:91]
	v_add_f64 v[2:3], v[2:3], v[88:89]
	s_waitcnt vmcnt(17) lgkmcnt(1)
	v_mul_f64 v[90:91], v[71:72], v[116:117]
	s_waitcnt vmcnt(16)
	v_fma_f64 v[94:95], v[80:81], v[112:113], -v[94:95]
	v_mul_f64 v[88:89], v[69:70], v[116:117]
	v_fma_f64 v[84:85], v[82:83], v[112:113], v[84:85]
	ds_read_b128 v[80:83], v1 offset:992
	v_add_f64 v[86:87], v[86:87], v[92:93]
	v_add_f64 v[2:3], v[2:3], v[73:74]
	s_waitcnt vmcnt(15) lgkmcnt(1)
	v_mul_f64 v[92:93], v[78:79], v[118:119]
	s_waitcnt vmcnt(13)
	v_fma_f64 v[90:91], v[69:70], v[122:123], -v[90:91]
	v_mul_f64 v[73:74], v[76:77], v[118:119]
	v_fma_f64 v[88:89], v[71:72], v[122:123], v[88:89]
	ds_read_b128 v[69:72], v1 offset:1008
	v_add_f64 v[86:87], v[86:87], v[94:95]
	v_add_f64 v[2:3], v[2:3], v[84:85]
	s_waitcnt vmcnt(9) lgkmcnt(1)
	v_mul_f64 v[94:95], v[82:83], v[124:125]
	s_waitcnt vmcnt(8)
	v_fma_f64 v[76:77], v[76:77], v[120:121], -v[92:93]
	v_mul_f64 v[84:85], v[80:81], v[124:125]
	v_fma_f64 v[73:74], v[78:79], v[120:121], v[73:74]
	s_waitcnt vmcnt(7) lgkmcnt(0)
	v_mul_f64 v[78:79], v[69:70], v[126:127]
	v_add_f64 v[86:87], v[86:87], v[90:91]
	v_add_f64 v[2:3], v[2:3], v[88:89]
	v_mul_f64 v[88:89], v[71:72], v[126:127]
	s_waitcnt vmcnt(5)
	v_fma_f64 v[80:81], v[80:81], v[130:131], -v[94:95]
	v_fma_f64 v[82:83], v[82:83], v[130:131], v[84:85]
	s_waitcnt vmcnt(4)
	v_fma_f64 v[71:72], v[71:72], v[128:129], v[78:79]
	v_add_f64 v[76:77], v[86:87], v[76:77]
	v_add_f64 v[2:3], v[2:3], v[73:74]
	v_fma_f64 v[69:70], v[69:70], v[128:129], -v[88:89]
	v_add_f64 v[73:74], v[76:77], v[80:81]
	v_add_f64 v[2:3], v[2:3], v[82:83]
	;; [unrolled: 1-line block ×4, first 2 shown]
	s_waitcnt vmcnt(2)
	v_add_f64 v[69:70], v[134:135], -v[69:70]
	s_waitcnt vmcnt(0)
	v_add_f64 v[2:3], v[136:137], -v[2:3]
	buffer_store_dword v70, off, s[0:3], 0 offset:308
	buffer_store_dword v69, off, s[0:3], 0 offset:304
	;; [unrolled: 1-line block ×4, first 2 shown]
	v_cmpx_lt_u32_e32 17, v0
	s_cbranch_execz .LBB95_171
; %bb.170:
	v_mov_b32_e32 v2, s26
	s_clause 0x3
	buffer_load_dword v69, v2, s[0:3], 0 offen
	buffer_load_dword v70, v2, s[0:3], 0 offen offset:4
	buffer_load_dword v71, v2, s[0:3], 0 offen offset:8
	;; [unrolled: 1-line block ×3, first 2 shown]
	buffer_store_dword v1, off, s[0:3], 0 offset:288
	buffer_store_dword v1, off, s[0:3], 0 offset:292
	;; [unrolled: 1-line block ×4, first 2 shown]
	s_waitcnt vmcnt(0)
	ds_write_b128 v75, v[69:72]
.LBB95_171:
	s_or_b32 exec_lo, exec_lo, s4
	s_waitcnt lgkmcnt(0)
	s_waitcnt_vscnt null, 0x0
	s_barrier
	buffer_gl0_inv
	s_clause 0x35
	buffer_load_dword v2, off, s[0:3], 0 offset:312
	buffer_load_dword v3, off, s[0:3], 0 offset:316
	;; [unrolled: 1-line block ×54, first 2 shown]
	ds_read_b128 v[69:72], v1 offset:800
	s_clause 0x1
	buffer_load_dword v135, off, s[0:3], 0 offset:516
	buffer_load_dword v134, off, s[0:3], 0 offset:512
	ds_read_b128 v[76:79], v1 offset:816
	ds_read_b128 v[80:83], v1 offset:832
	s_mov_b32 s4, exec_lo
	s_waitcnt vmcnt(54) lgkmcnt(2)
	v_mul_f64 v[136:137], v[71:72], v[2:3]
	v_mul_f64 v[2:3], v[69:70], v[2:3]
	s_waitcnt vmcnt(52) lgkmcnt(1)
	v_mul_f64 v[138:139], v[78:79], v[73:74]
	v_mul_f64 v[73:74], v[76:77], v[73:74]
	;; [unrolled: 3-line block ×3, first 2 shown]
	v_fma_f64 v[136:137], v[69:70], v[84:85], -v[136:137]
	v_fma_f64 v[2:3], v[71:72], v[84:85], v[2:3]
	s_clause 0x3
	buffer_load_dword v84, off, s[0:3], 0 offset:288
	buffer_load_dword v85, off, s[0:3], 0 offset:292
	;; [unrolled: 1-line block ×4, first 2 shown]
	s_waitcnt vmcnt(50)
	v_fma_f64 v[138:139], v[76:77], v[88:89], -v[138:139]
	ds_read_b128 v[69:72], v1 offset:848
	v_fma_f64 v[73:74], v[78:79], v[88:89], v[73:74]
	ds_read_b128 v[76:79], v1 offset:864
	s_waitcnt vmcnt(46)
	v_fma_f64 v[86:87], v[80:81], v[92:93], -v[86:87]
	v_fma_f64 v[92:93], v[82:83], v[92:93], v[142:143]
	ds_read_b128 v[80:83], v1 offset:880
	v_add_f64 v[136:137], v[136:137], 0
	v_add_f64 v[2:3], v[2:3], 0
	s_waitcnt lgkmcnt(2)
	v_mul_f64 v[88:89], v[69:70], v[90:91]
	v_mul_f64 v[90:91], v[71:72], v[90:91]
	v_add_f64 v[136:137], v[136:137], v[138:139]
	v_add_f64 v[2:3], v[2:3], v[73:74]
	s_waitcnt vmcnt(44) lgkmcnt(1)
	v_mul_f64 v[73:74], v[76:77], v[94:95]
	v_mul_f64 v[94:95], v[78:79], v[94:95]
	s_waitcnt vmcnt(42)
	v_fma_f64 v[90:91], v[69:70], v[96:97], -v[90:91]
	v_fma_f64 v[88:89], v[71:72], v[96:97], v[88:89]
	ds_read_b128 v[69:72], v1 offset:896
	s_waitcnt vmcnt(40) lgkmcnt(1)
	v_mul_f64 v[96:97], v[82:83], v[98:99]
	v_add_f64 v[86:87], v[136:137], v[86:87]
	v_add_f64 v[2:3], v[2:3], v[92:93]
	v_mul_f64 v[92:93], v[80:81], v[98:99]
	s_waitcnt vmcnt(38)
	v_fma_f64 v[94:95], v[76:77], v[100:101], -v[94:95]
	v_fma_f64 v[73:74], v[78:79], v[100:101], v[73:74]
	ds_read_b128 v[76:79], v1 offset:912
	s_waitcnt vmcnt(34)
	v_fma_f64 v[96:97], v[80:81], v[104:105], -v[96:97]
	v_add_f64 v[86:87], v[86:87], v[90:91]
	v_add_f64 v[2:3], v[2:3], v[88:89]
	s_waitcnt lgkmcnt(1)
	v_mul_f64 v[90:91], v[71:72], v[102:103]
	v_mul_f64 v[88:89], v[69:70], v[102:103]
	v_fma_f64 v[92:93], v[82:83], v[104:105], v[92:93]
	ds_read_b128 v[80:83], v1 offset:928
	v_add_f64 v[86:87], v[86:87], v[94:95]
	v_add_f64 v[2:3], v[2:3], v[73:74]
	s_waitcnt vmcnt(32) lgkmcnt(1)
	v_mul_f64 v[94:95], v[78:79], v[106:107]
	s_waitcnt vmcnt(30)
	v_fma_f64 v[90:91], v[69:70], v[108:109], -v[90:91]
	v_mul_f64 v[73:74], v[76:77], v[106:107]
	v_fma_f64 v[88:89], v[71:72], v[108:109], v[88:89]
	ds_read_b128 v[69:72], v1 offset:944
	v_add_f64 v[86:87], v[86:87], v[96:97]
	v_add_f64 v[2:3], v[2:3], v[92:93]
	s_waitcnt vmcnt(28) lgkmcnt(1)
	v_mul_f64 v[96:97], v[82:83], v[110:111]
	s_waitcnt vmcnt(26)
	v_fma_f64 v[94:95], v[76:77], v[112:113], -v[94:95]
	;; [unrolled: 9-line block ×5, first 2 shown]
	v_mul_f64 v[92:93], v[80:81], v[122:123]
	v_fma_f64 v[73:74], v[78:79], v[124:125], v[73:74]
	v_add_f64 v[86:87], v[86:87], v[90:91]
	v_add_f64 v[78:79], v[2:3], v[88:89]
	s_waitcnt vmcnt(12) lgkmcnt(0)
	v_mul_f64 v[90:91], v[71:72], v[126:127]
	s_waitcnt vmcnt(10)
	v_fma_f64 v[80:81], v[80:81], v[128:129], -v[96:97]
	ds_read_b128 v[1:4], v1 offset:1008
	v_mul_f64 v[88:89], v[69:70], v[126:127]
	v_fma_f64 v[82:83], v[82:83], v[128:129], v[92:93]
	v_add_f64 v[76:77], v[86:87], v[76:77]
	v_add_f64 v[73:74], v[78:79], v[73:74]
	s_waitcnt vmcnt(8) lgkmcnt(0)
	v_mul_f64 v[86:87], v[3:4], v[130:131]
	s_waitcnt vmcnt(6)
	v_fma_f64 v[69:70], v[69:70], v[132:133], -v[90:91]
	v_mul_f64 v[78:79], v[1:2], v[130:131]
	v_fma_f64 v[71:72], v[71:72], v[132:133], v[88:89]
	v_add_f64 v[76:77], v[76:77], v[80:81]
	v_add_f64 v[73:74], v[73:74], v[82:83]
	s_waitcnt vmcnt(4)
	v_fma_f64 v[1:2], v[1:2], v[134:135], -v[86:87]
	v_fma_f64 v[3:4], v[3:4], v[134:135], v[78:79]
	v_add_f64 v[69:70], v[76:77], v[69:70]
	v_add_f64 v[71:72], v[73:74], v[71:72]
	;; [unrolled: 1-line block ×4, first 2 shown]
	s_waitcnt vmcnt(2)
	v_add_f64 v[1:2], v[84:85], -v[1:2]
	s_waitcnt vmcnt(0)
	v_add_f64 v[3:4], v[140:141], -v[3:4]
	buffer_store_dword v2, off, s[0:3], 0 offset:292
	buffer_store_dword v1, off, s[0:3], 0 offset:288
	;; [unrolled: 1-line block ×4, first 2 shown]
	v_cmpx_lt_u32_e32 16, v0
	s_cbranch_execz .LBB95_173
; %bb.172:
	v_mov_b32_e32 v4, s27
	v_mov_b32_e32 v69, 0
	s_clause 0x3
	buffer_load_dword v1, v4, s[0:3], 0 offen
	buffer_load_dword v2, v4, s[0:3], 0 offen offset:4
	buffer_load_dword v3, v4, s[0:3], 0 offen offset:8
	;; [unrolled: 1-line block ×3, first 2 shown]
	buffer_store_dword v69, off, s[0:3], 0 offset:272
	buffer_store_dword v69, off, s[0:3], 0 offset:276
	;; [unrolled: 1-line block ×4, first 2 shown]
	s_waitcnt vmcnt(0)
	ds_write_b128 v75, v[1:4]
.LBB95_173:
	s_or_b32 exec_lo, exec_lo, s4
	s_waitcnt lgkmcnt(0)
	s_waitcnt_vscnt null, 0x0
	s_barrier
	buffer_gl0_inv
	s_clause 0x37
	buffer_load_dword v2, off, s[0:3], 0 offset:296
	buffer_load_dword v3, off, s[0:3], 0 offset:300
	;; [unrolled: 1-line block ×56, first 2 shown]
	v_mov_b32_e32 v1, 0
	s_mov_b32 s4, exec_lo
	ds_read_b128 v[69:72], v1 offset:784
	s_clause 0x2
	buffer_load_dword v135, off, s[0:3], 0 offset:524
	buffer_load_dword v139, off, s[0:3], 0 offset:500
	;; [unrolled: 1-line block ×3, first 2 shown]
	ds_read_b128 v[76:79], v1 offset:800
	ds_read_b128 v[80:83], v1 offset:816
	buffer_load_dword v137, off, s[0:3], 0 offset:516
	s_waitcnt vmcnt(58) lgkmcnt(2)
	v_mul_f64 v[140:141], v[71:72], v[2:3]
	v_mul_f64 v[2:3], v[69:70], v[2:3]
	s_waitcnt vmcnt(56) lgkmcnt(1)
	v_mul_f64 v[142:143], v[78:79], v[73:74]
	v_mul_f64 v[73:74], v[76:77], v[73:74]
	s_waitcnt vmcnt(54)
	v_fma_f64 v[140:141], v[69:70], v[84:85], -v[140:141]
	v_fma_f64 v[2:3], v[71:72], v[84:85], v[2:3]
	s_waitcnt vmcnt(52) lgkmcnt(0)
	v_mul_f64 v[84:85], v[80:81], v[86:87]
	v_mul_f64 v[86:87], v[82:83], v[86:87]
	s_waitcnt vmcnt(50)
	v_fma_f64 v[142:143], v[76:77], v[88:89], -v[142:143]
	ds_read_b128 v[69:72], v1 offset:832
	v_fma_f64 v[73:74], v[78:79], v[88:89], v[73:74]
	s_clause 0x3
	buffer_load_dword v88, off, s[0:3], 0 offset:272
	buffer_load_dword v89, off, s[0:3], 0 offset:276
	;; [unrolled: 1-line block ×4, first 2 shown]
	ds_read_b128 v[76:79], v1 offset:848
	v_add_f64 v[140:141], v[140:141], 0
	v_add_f64 v[2:3], v[2:3], 0
	s_waitcnt vmcnt(48)
	v_fma_f64 v[84:85], v[82:83], v[96:97], v[84:85]
	s_waitcnt lgkmcnt(1)
	v_mul_f64 v[146:147], v[69:70], v[90:91]
	v_mul_f64 v[90:91], v[71:72], v[90:91]
	v_fma_f64 v[86:87], v[80:81], v[96:97], -v[86:87]
	ds_read_b128 v[80:83], v1 offset:864
	v_add_f64 v[140:141], v[140:141], v[142:143]
	v_add_f64 v[2:3], v[2:3], v[73:74]
	s_waitcnt vmcnt(47) lgkmcnt(1)
	v_mul_f64 v[73:74], v[76:77], v[92:93]
	v_mul_f64 v[92:93], v[78:79], v[92:93]
	s_waitcnt vmcnt(45)
	v_fma_f64 v[90:91], v[69:70], v[98:99], -v[90:91]
	v_fma_f64 v[96:97], v[71:72], v[98:99], v[146:147]
	s_waitcnt vmcnt(41) lgkmcnt(0)
	v_mul_f64 v[98:99], v[82:83], v[100:101]
	ds_read_b128 v[69:72], v1 offset:880
	v_add_f64 v[86:87], v[140:141], v[86:87]
	v_add_f64 v[2:3], v[2:3], v[84:85]
	v_mul_f64 v[84:85], v[80:81], v[100:101]
	s_waitcnt vmcnt(40)
	v_fma_f64 v[92:93], v[76:77], v[94:95], -v[92:93]
	v_fma_f64 v[73:74], v[78:79], v[94:95], v[73:74]
	ds_read_b128 v[76:79], v1 offset:896
	s_waitcnt vmcnt(39) lgkmcnt(1)
	v_mul_f64 v[94:95], v[71:72], v[102:103]
	v_add_f64 v[86:87], v[86:87], v[90:91]
	v_add_f64 v[2:3], v[2:3], v[96:97]
	s_waitcnt vmcnt(37)
	v_fma_f64 v[96:97], v[80:81], v[106:107], -v[98:99]
	v_mul_f64 v[90:91], v[69:70], v[102:103]
	v_fma_f64 v[84:85], v[82:83], v[106:107], v[84:85]
	ds_read_b128 v[80:83], v1 offset:912
	s_waitcnt vmcnt(32)
	v_fma_f64 v[94:95], v[69:70], v[104:105], -v[94:95]
	v_add_f64 v[86:87], v[86:87], v[92:93]
	v_add_f64 v[2:3], v[2:3], v[73:74]
	s_waitcnt lgkmcnt(1)
	v_mul_f64 v[92:93], v[78:79], v[108:109]
	v_mul_f64 v[73:74], v[76:77], v[108:109]
	v_fma_f64 v[90:91], v[71:72], v[104:105], v[90:91]
	ds_read_b128 v[69:72], v1 offset:928
	v_add_f64 v[86:87], v[86:87], v[96:97]
	v_add_f64 v[2:3], v[2:3], v[84:85]
	s_waitcnt vmcnt(31) lgkmcnt(1)
	v_mul_f64 v[96:97], v[82:83], v[110:111]
	s_waitcnt vmcnt(29)
	v_fma_f64 v[92:93], v[76:77], v[114:115], -v[92:93]
	v_mul_f64 v[84:85], v[80:81], v[110:111]
	v_fma_f64 v[73:74], v[78:79], v[114:115], v[73:74]
	ds_read_b128 v[76:79], v1 offset:944
	v_add_f64 v[86:87], v[86:87], v[94:95]
	v_add_f64 v[2:3], v[2:3], v[90:91]
	s_waitcnt vmcnt(25) lgkmcnt(1)
	v_mul_f64 v[94:95], v[71:72], v[116:117]
	s_waitcnt vmcnt(24)
	v_fma_f64 v[96:97], v[80:81], v[112:113], -v[96:97]
	;; [unrolled: 9-line block ×6, first 2 shown]
	v_mul_f64 v[73:74], v[76:77], v[132:133]
	v_fma_f64 v[71:72], v[71:72], v[128:129], v[90:91]
	s_waitcnt vmcnt(7) lgkmcnt(0)
	v_mul_f64 v[90:91], v[82:83], v[134:135]
	v_add_f64 v[86:87], v[86:87], v[96:97]
	v_add_f64 v[2:3], v[2:3], v[84:85]
	s_waitcnt vmcnt(5)
	v_fma_f64 v[76:77], v[76:77], v[138:139], -v[92:93]
	v_mul_f64 v[84:85], v[80:81], v[134:135]
	v_fma_f64 v[73:74], v[78:79], v[138:139], v[73:74]
	v_add_f64 v[69:70], v[86:87], v[69:70]
	v_add_f64 v[2:3], v[2:3], v[71:72]
	s_waitcnt vmcnt(4)
	v_fma_f64 v[71:72], v[80:81], v[136:137], -v[90:91]
	v_add_f64 v[69:70], v[69:70], v[76:77]
	v_fma_f64 v[76:77], v[82:83], v[136:137], v[84:85]
	v_add_f64 v[2:3], v[2:3], v[73:74]
	v_add_f64 v[69:70], v[69:70], v[71:72]
	;; [unrolled: 1-line block ×3, first 2 shown]
	s_waitcnt vmcnt(2)
	v_add_f64 v[69:70], v[88:89], -v[69:70]
	s_waitcnt vmcnt(0)
	v_add_f64 v[2:3], v[144:145], -v[2:3]
	buffer_store_dword v70, off, s[0:3], 0 offset:276
	buffer_store_dword v69, off, s[0:3], 0 offset:272
	;; [unrolled: 1-line block ×4, first 2 shown]
	v_cmpx_lt_u32_e32 15, v0
	s_cbranch_execz .LBB95_175
; %bb.174:
	v_mov_b32_e32 v2, s28
	s_clause 0x3
	buffer_load_dword v69, v2, s[0:3], 0 offen
	buffer_load_dword v70, v2, s[0:3], 0 offen offset:4
	buffer_load_dword v71, v2, s[0:3], 0 offen offset:8
	;; [unrolled: 1-line block ×3, first 2 shown]
	buffer_store_dword v1, off, s[0:3], 0 offset:256
	buffer_store_dword v1, off, s[0:3], 0 offset:260
	;; [unrolled: 1-line block ×4, first 2 shown]
	s_waitcnt vmcnt(0)
	ds_write_b128 v75, v[69:72]
.LBB95_175:
	s_or_b32 exec_lo, exec_lo, s4
	s_waitcnt lgkmcnt(0)
	s_waitcnt_vscnt null, 0x0
	s_barrier
	buffer_gl0_inv
	s_clause 0x37
	buffer_load_dword v2, off, s[0:3], 0 offset:280
	buffer_load_dword v3, off, s[0:3], 0 offset:284
	;; [unrolled: 1-line block ×56, first 2 shown]
	ds_read_b128 v[69:72], v1 offset:768
	s_clause 0x2
	buffer_load_dword v135, off, s[0:3], 0 offset:508
	buffer_load_dword v139, off, s[0:3], 0 offset:484
	;; [unrolled: 1-line block ×3, first 2 shown]
	ds_read_b128 v[76:79], v1 offset:784
	s_clause 0x2
	buffer_load_dword v143, off, s[0:3], 0 offset:524
	buffer_load_dword v142, off, s[0:3], 0 offset:520
	;; [unrolled: 1-line block ×3, first 2 shown]
	ds_read_b128 v[80:83], v1 offset:800
	s_mov_b32 s4, exec_lo
	s_waitcnt vmcnt(60) lgkmcnt(2)
	v_mul_f64 v[140:141], v[71:72], v[2:3]
	v_mul_f64 v[2:3], v[69:70], v[2:3]
	s_waitcnt vmcnt(58) lgkmcnt(1)
	v_mul_f64 v[144:145], v[78:79], v[73:74]
	v_mul_f64 v[73:74], v[76:77], v[73:74]
	;; [unrolled: 3-line block ×3, first 2 shown]
	v_fma_f64 v[140:141], v[69:70], v[84:85], -v[140:141]
	v_fma_f64 v[2:3], v[71:72], v[84:85], v[2:3]
	s_clause 0x1
	buffer_load_dword v85, off, s[0:3], 0 offset:516
	buffer_load_dword v84, off, s[0:3], 0 offset:512
	s_waitcnt vmcnt(54)
	v_fma_f64 v[144:145], v[76:77], v[88:89], -v[144:145]
	ds_read_b128 v[69:72], v1 offset:816
	v_fma_f64 v[73:74], v[78:79], v[88:89], v[73:74]
	ds_read_b128 v[76:79], v1 offset:832
	s_waitcnt vmcnt(48)
	v_fma_f64 v[86:87], v[80:81], v[96:97], -v[86:87]
	v_fma_f64 v[96:97], v[82:83], v[96:97], v[146:147]
	v_add_f64 v[140:141], v[140:141], 0
	v_add_f64 v[2:3], v[2:3], 0
	s_waitcnt lgkmcnt(1)
	v_mul_f64 v[88:89], v[69:70], v[90:91]
	v_mul_f64 v[90:91], v[71:72], v[90:91]
	s_waitcnt vmcnt(47) lgkmcnt(0)
	v_mul_f64 v[146:147], v[76:77], v[92:93]
	v_mul_f64 v[92:93], v[78:79], v[92:93]
	v_add_f64 v[140:141], v[140:141], v[144:145]
	v_add_f64 v[2:3], v[2:3], v[73:74]
	s_clause 0x3
	buffer_load_dword v73, off, s[0:3], 0 offset:256
	buffer_load_dword v74, off, s[0:3], 0 offset:260
	;; [unrolled: 1-line block ×4, first 2 shown]
	s_waitcnt vmcnt(49)
	v_fma_f64 v[90:91], v[69:70], v[98:99], -v[90:91]
	ds_read_b128 v[80:83], v1 offset:848
	v_fma_f64 v[88:89], v[71:72], v[98:99], v[88:89]
	ds_read_b128 v[69:72], v1 offset:864
	s_waitcnt vmcnt(44)
	v_fma_f64 v[92:93], v[76:77], v[94:95], -v[92:93]
	v_add_f64 v[86:87], v[140:141], v[86:87]
	v_add_f64 v[2:3], v[2:3], v[96:97]
	s_waitcnt lgkmcnt(1)
	v_mul_f64 v[98:99], v[82:83], v[100:101]
	v_mul_f64 v[96:97], v[80:81], v[100:101]
	v_add_f64 v[86:87], v[86:87], v[90:91]
	v_fma_f64 v[90:91], v[78:79], v[94:95], v[146:147]
	v_add_f64 v[2:3], v[2:3], v[88:89]
	s_waitcnt vmcnt(43) lgkmcnt(0)
	v_mul_f64 v[94:95], v[71:72], v[102:103]
	s_waitcnt vmcnt(41)
	v_fma_f64 v[98:99], v[80:81], v[106:107], -v[98:99]
	ds_read_b128 v[76:79], v1 offset:880
	v_mul_f64 v[88:89], v[69:70], v[102:103]
	v_add_f64 v[86:87], v[86:87], v[92:93]
	v_fma_f64 v[92:93], v[82:83], v[106:107], v[96:97]
	v_add_f64 v[2:3], v[2:3], v[90:91]
	ds_read_b128 v[80:83], v1 offset:896
	s_waitcnt vmcnt(37) lgkmcnt(1)
	v_mul_f64 v[96:97], v[78:79], v[108:109]
	s_waitcnt vmcnt(36)
	v_fma_f64 v[94:95], v[69:70], v[104:105], -v[94:95]
	v_mul_f64 v[90:91], v[76:77], v[108:109]
	v_fma_f64 v[88:89], v[71:72], v[104:105], v[88:89]
	ds_read_b128 v[69:72], v1 offset:912
	v_add_f64 v[86:87], v[86:87], v[98:99]
	s_waitcnt vmcnt(35) lgkmcnt(1)
	v_mul_f64 v[98:99], v[82:83], v[110:111]
	v_add_f64 v[2:3], v[2:3], v[92:93]
	v_mul_f64 v[92:93], v[80:81], v[110:111]
	s_waitcnt vmcnt(33)
	v_fma_f64 v[96:97], v[76:77], v[114:115], -v[96:97]
	v_fma_f64 v[90:91], v[78:79], v[114:115], v[90:91]
	ds_read_b128 v[76:79], v1 offset:928
	v_add_f64 v[86:87], v[86:87], v[94:95]
	s_waitcnt vmcnt(29) lgkmcnt(1)
	v_mul_f64 v[94:95], v[71:72], v[116:117]
	v_add_f64 v[2:3], v[2:3], v[88:89]
	s_waitcnt vmcnt(28)
	v_fma_f64 v[98:99], v[80:81], v[112:113], -v[98:99]
	v_mul_f64 v[88:89], v[69:70], v[116:117]
	v_fma_f64 v[92:93], v[82:83], v[112:113], v[92:93]
	ds_read_b128 v[80:83], v1 offset:944
	v_add_f64 v[86:87], v[86:87], v[96:97]
	s_waitcnt vmcnt(27) lgkmcnt(1)
	v_mul_f64 v[96:97], v[78:79], v[118:119]
	v_add_f64 v[2:3], v[2:3], v[90:91]
	s_waitcnt vmcnt(25)
	v_fma_f64 v[94:95], v[69:70], v[122:123], -v[94:95]
	v_mul_f64 v[90:91], v[76:77], v[118:119]
	;; [unrolled: 9-line block ×5, first 2 shown]
	v_fma_f64 v[71:72], v[71:72], v[128:129], v[88:89]
	s_waitcnt vmcnt(11) lgkmcnt(0)
	v_mul_f64 v[94:95], v[82:83], v[134:135]
	v_add_f64 v[86:87], v[86:87], v[98:99]
	s_waitcnt vmcnt(9)
	v_fma_f64 v[76:77], v[76:77], v[138:139], -v[96:97]
	v_add_f64 v[88:89], v[2:3], v[92:93]
	ds_read_b128 v[1:4], v1 offset:1008
	v_mul_f64 v[92:93], v[80:81], v[134:135]
	v_fma_f64 v[78:79], v[78:79], v[138:139], v[90:91]
	s_waitcnt vmcnt(6)
	v_fma_f64 v[80:81], v[80:81], v[136:137], -v[94:95]
	v_add_f64 v[69:70], v[86:87], v[69:70]
	s_waitcnt lgkmcnt(0)
	v_mul_f64 v[86:87], v[1:2], v[142:143]
	v_add_f64 v[71:72], v[88:89], v[71:72]
	v_mul_f64 v[88:89], v[3:4], v[142:143]
	v_add_f64 v[69:70], v[69:70], v[76:77]
	v_fma_f64 v[76:77], v[82:83], v[136:137], v[92:93]
	v_add_f64 v[71:72], v[71:72], v[78:79]
	s_waitcnt vmcnt(4)
	v_fma_f64 v[1:2], v[1:2], v[84:85], -v[88:89]
	v_fma_f64 v[3:4], v[3:4], v[84:85], v[86:87]
	v_add_f64 v[69:70], v[69:70], v[80:81]
	v_add_f64 v[71:72], v[71:72], v[76:77]
	;; [unrolled: 1-line block ×4, first 2 shown]
	s_waitcnt vmcnt(2)
	v_add_f64 v[1:2], v[73:74], -v[1:2]
	s_waitcnt vmcnt(0)
	v_add_f64 v[3:4], v[144:145], -v[3:4]
	buffer_store_dword v2, off, s[0:3], 0 offset:260
	buffer_store_dword v1, off, s[0:3], 0 offset:256
	;; [unrolled: 1-line block ×4, first 2 shown]
	v_cmpx_lt_u32_e32 14, v0
	s_cbranch_execz .LBB95_177
; %bb.176:
	v_mov_b32_e32 v4, s29
	v_mov_b32_e32 v69, 0
	s_clause 0x3
	buffer_load_dword v1, v4, s[0:3], 0 offen
	buffer_load_dword v2, v4, s[0:3], 0 offen offset:4
	buffer_load_dword v3, v4, s[0:3], 0 offen offset:8
	;; [unrolled: 1-line block ×3, first 2 shown]
	buffer_store_dword v69, off, s[0:3], 0 offset:240
	buffer_store_dword v69, off, s[0:3], 0 offset:244
	;; [unrolled: 1-line block ×4, first 2 shown]
	s_waitcnt vmcnt(0)
	ds_write_b128 v75, v[1:4]
.LBB95_177:
	s_or_b32 exec_lo, exec_lo, s4
	s_waitcnt lgkmcnt(0)
	s_waitcnt_vscnt null, 0x0
	s_barrier
	buffer_gl0_inv
	s_clause 0x37
	buffer_load_dword v2, off, s[0:3], 0 offset:264
	buffer_load_dword v3, off, s[0:3], 0 offset:268
	;; [unrolled: 1-line block ×56, first 2 shown]
	v_mov_b32_e32 v1, 0
	s_mov_b32 s4, exec_lo
	ds_read_b128 v[69:72], v1 offset:752
	s_clause 0x2
	buffer_load_dword v135, off, s[0:3], 0 offset:492
	buffer_load_dword v139, off, s[0:3], 0 offset:468
	;; [unrolled: 1-line block ×3, first 2 shown]
	ds_read_b128 v[76:79], v1 offset:768
	s_clause 0x4
	buffer_load_dword v143, off, s[0:3], 0 offset:508
	buffer_load_dword v144, off, s[0:3], 0 offset:520
	;; [unrolled: 1-line block ×5, first 2 shown]
	ds_read_b128 v[80:83], v1 offset:784
	s_waitcnt vmcnt(62) lgkmcnt(2)
	v_mul_f64 v[140:141], v[71:72], v[2:3]
	v_mul_f64 v[2:3], v[69:70], v[2:3]
	s_waitcnt vmcnt(60) lgkmcnt(1)
	v_mul_f64 v[147:148], v[78:79], v[73:74]
	v_mul_f64 v[73:74], v[76:77], v[73:74]
	;; [unrolled: 3-line block ×3, first 2 shown]
	v_fma_f64 v[140:141], v[69:70], v[84:85], -v[140:141]
	v_fma_f64 v[2:3], v[71:72], v[84:85], v[2:3]
	s_clause 0x2
	buffer_load_dword v145, off, s[0:3], 0 offset:524
	buffer_load_dword v85, off, s[0:3], 0 offset:500
	;; [unrolled: 1-line block ×3, first 2 shown]
	s_waitcnt vmcnt(57)
	v_fma_f64 v[151:152], v[76:77], v[88:89], -v[147:148]
	ds_read_b128 v[69:72], v1 offset:800
	v_fma_f64 v[73:74], v[78:79], v[88:89], v[73:74]
	buffer_load_dword v147, off, s[0:3], 0 offset:516
	ds_read_b128 v[76:79], v1 offset:816
	s_waitcnt vmcnt(52)
	v_fma_f64 v[86:87], v[80:81], v[96:97], -v[86:87]
	v_fma_f64 v[96:97], v[82:83], v[96:97], v[149:150]
	ds_read_b128 v[80:83], v1 offset:832
	v_add_f64 v[140:141], v[140:141], 0
	v_add_f64 v[2:3], v[2:3], 0
	s_waitcnt lgkmcnt(2)
	v_mul_f64 v[88:89], v[69:70], v[90:91]
	v_mul_f64 v[90:91], v[71:72], v[90:91]
	v_add_f64 v[140:141], v[140:141], v[151:152]
	v_add_f64 v[2:3], v[2:3], v[73:74]
	s_waitcnt vmcnt(51) lgkmcnt(1)
	v_mul_f64 v[73:74], v[76:77], v[92:93]
	v_mul_f64 v[92:93], v[78:79], v[92:93]
	s_waitcnt vmcnt(49)
	v_fma_f64 v[90:91], v[69:70], v[98:99], -v[90:91]
	v_fma_f64 v[88:89], v[71:72], v[98:99], v[88:89]
	v_add_f64 v[86:87], v[140:141], v[86:87]
	v_add_f64 v[2:3], v[2:3], v[96:97]
	s_clause 0x3
	buffer_load_dword v96, off, s[0:3], 0 offset:240
	buffer_load_dword v97, off, s[0:3], 0 offset:244
	;; [unrolled: 1-line block ×4, first 2 shown]
	s_waitcnt vmcnt(49) lgkmcnt(0)
	v_mul_f64 v[140:141], v[80:81], v[100:101]
	v_mul_f64 v[100:101], v[82:83], v[100:101]
	s_waitcnt vmcnt(48)
	v_fma_f64 v[92:93], v[76:77], v[94:95], -v[92:93]
	ds_read_b128 v[69:72], v1 offset:848
	v_fma_f64 v[73:74], v[78:79], v[94:95], v[73:74]
	ds_read_b128 v[76:79], v1 offset:864
	v_add_f64 v[86:87], v[86:87], v[90:91]
	v_add_f64 v[2:3], v[2:3], v[88:89]
	s_waitcnt vmcnt(47) lgkmcnt(1)
	v_mul_f64 v[90:91], v[71:72], v[102:103]
	s_waitcnt vmcnt(45)
	v_fma_f64 v[94:95], v[80:81], v[106:107], -v[100:101]
	v_mul_f64 v[88:89], v[69:70], v[102:103]
	s_waitcnt vmcnt(41) lgkmcnt(0)
	v_mul_f64 v[100:101], v[78:79], v[108:109]
	v_add_f64 v[86:87], v[86:87], v[92:93]
	v_fma_f64 v[92:93], v[82:83], v[106:107], v[140:141]
	v_add_f64 v[2:3], v[2:3], v[73:74]
	ds_read_b128 v[80:83], v1 offset:880
	s_waitcnt vmcnt(40)
	v_fma_f64 v[90:91], v[69:70], v[104:105], -v[90:91]
	v_mul_f64 v[73:74], v[76:77], v[108:109]
	v_fma_f64 v[88:89], v[71:72], v[104:105], v[88:89]
	ds_read_b128 v[69:72], v1 offset:896
	s_waitcnt vmcnt(37)
	v_fma_f64 v[100:101], v[76:77], v[114:115], -v[100:101]
	v_add_f64 v[86:87], v[86:87], v[94:95]
	s_waitcnt lgkmcnt(1)
	v_mul_f64 v[94:95], v[82:83], v[110:111]
	v_add_f64 v[2:3], v[2:3], v[92:93]
	v_mul_f64 v[92:93], v[80:81], v[110:111]
	v_fma_f64 v[73:74], v[78:79], v[114:115], v[73:74]
	ds_read_b128 v[76:79], v1 offset:912
	v_add_f64 v[86:87], v[86:87], v[90:91]
	s_waitcnt vmcnt(33) lgkmcnt(1)
	v_mul_f64 v[90:91], v[71:72], v[116:117]
	v_add_f64 v[2:3], v[2:3], v[88:89]
	s_waitcnt vmcnt(32)
	v_fma_f64 v[94:95], v[80:81], v[112:113], -v[94:95]
	v_mul_f64 v[88:89], v[69:70], v[116:117]
	v_fma_f64 v[92:93], v[82:83], v[112:113], v[92:93]
	ds_read_b128 v[80:83], v1 offset:928
	v_add_f64 v[86:87], v[86:87], v[100:101]
	s_waitcnt vmcnt(31) lgkmcnt(1)
	v_mul_f64 v[100:101], v[78:79], v[118:119]
	v_add_f64 v[2:3], v[2:3], v[73:74]
	s_waitcnt vmcnt(29)
	v_fma_f64 v[90:91], v[69:70], v[122:123], -v[90:91]
	;; [unrolled: 9-line block ×7, first 2 shown]
	v_mul_f64 v[88:89], v[69:70], v[142:143]
	v_fma_f64 v[82:83], v[82:83], v[136:137], v[92:93]
	v_add_f64 v[86:87], v[86:87], v[100:101]
	v_add_f64 v[2:3], v[2:3], v[73:74]
	s_waitcnt vmcnt(7) lgkmcnt(0)
	v_mul_f64 v[92:93], v[78:79], v[144:145]
	v_mul_f64 v[73:74], v[76:77], v[144:145]
	s_waitcnt vmcnt(5)
	v_fma_f64 v[69:70], v[69:70], v[84:85], -v[90:91]
	v_fma_f64 v[71:72], v[71:72], v[84:85], v[88:89]
	v_add_f64 v[80:81], v[86:87], v[80:81]
	v_add_f64 v[2:3], v[2:3], v[82:83]
	s_waitcnt vmcnt(4)
	v_fma_f64 v[76:77], v[76:77], v[146:147], -v[92:93]
	v_fma_f64 v[73:74], v[78:79], v[146:147], v[73:74]
	v_add_f64 v[69:70], v[80:81], v[69:70]
	v_add_f64 v[2:3], v[2:3], v[71:72]
	;; [unrolled: 1-line block ×4, first 2 shown]
	s_waitcnt vmcnt(2)
	v_add_f64 v[69:70], v[96:97], -v[69:70]
	s_waitcnt vmcnt(0)
	v_add_f64 v[2:3], v[98:99], -v[2:3]
	buffer_store_dword v70, off, s[0:3], 0 offset:244
	buffer_store_dword v69, off, s[0:3], 0 offset:240
	;; [unrolled: 1-line block ×4, first 2 shown]
	v_cmpx_lt_u32_e32 13, v0
	s_cbranch_execz .LBB95_179
; %bb.178:
	v_mov_b32_e32 v2, s30
	s_clause 0x3
	buffer_load_dword v69, v2, s[0:3], 0 offen
	buffer_load_dword v70, v2, s[0:3], 0 offen offset:4
	buffer_load_dword v71, v2, s[0:3], 0 offen offset:8
	;; [unrolled: 1-line block ×3, first 2 shown]
	buffer_store_dword v1, off, s[0:3], 0 offset:224
	buffer_store_dword v1, off, s[0:3], 0 offset:228
	buffer_store_dword v1, off, s[0:3], 0 offset:232
	buffer_store_dword v1, off, s[0:3], 0 offset:236
	s_waitcnt vmcnt(0)
	ds_write_b128 v75, v[69:72]
.LBB95_179:
	s_or_b32 exec_lo, exec_lo, s4
	s_waitcnt lgkmcnt(0)
	s_waitcnt_vscnt null, 0x0
	s_barrier
	buffer_gl0_inv
	s_clause 0x37
	buffer_load_dword v2, off, s[0:3], 0 offset:248
	buffer_load_dword v3, off, s[0:3], 0 offset:252
	;; [unrolled: 1-line block ×56, first 2 shown]
	ds_read_b128 v[69:72], v1 offset:736
	s_clause 0x2
	buffer_load_dword v135, off, s[0:3], 0 offset:476
	buffer_load_dword v139, off, s[0:3], 0 offset:452
	buffer_load_dword v138, off, s[0:3], 0 offset:448
	ds_read_b128 v[76:79], v1 offset:752
	s_clause 0x4
	buffer_load_dword v143, off, s[0:3], 0 offset:492
	buffer_load_dword v144, off, s[0:3], 0 offset:504
	;; [unrolled: 1-line block ×5, first 2 shown]
	ds_read_b128 v[80:83], v1 offset:768
	s_mov_b32 s4, exec_lo
	s_waitcnt vmcnt(62) lgkmcnt(2)
	v_mul_f64 v[140:141], v[71:72], v[2:3]
	v_mul_f64 v[2:3], v[69:70], v[2:3]
	s_waitcnt vmcnt(60) lgkmcnt(1)
	v_mul_f64 v[147:148], v[78:79], v[73:74]
	v_mul_f64 v[73:74], v[76:77], v[73:74]
	;; [unrolled: 3-line block ×3, first 2 shown]
	v_fma_f64 v[140:141], v[69:70], v[84:85], -v[140:141]
	v_fma_f64 v[2:3], v[71:72], v[84:85], v[2:3]
	s_clause 0x2
	buffer_load_dword v145, off, s[0:3], 0 offset:508
	buffer_load_dword v85, off, s[0:3], 0 offset:484
	;; [unrolled: 1-line block ×3, first 2 shown]
	s_waitcnt vmcnt(57)
	v_fma_f64 v[151:152], v[76:77], v[88:89], -v[147:148]
	ds_read_b128 v[69:72], v1 offset:784
	v_fma_f64 v[73:74], v[78:79], v[88:89], v[73:74]
	s_clause 0x2
	buffer_load_dword v89, off, s[0:3], 0 offset:524
	buffer_load_dword v88, off, s[0:3], 0 offset:520
	;; [unrolled: 1-line block ×3, first 2 shown]
	s_waitcnt vmcnt(54)
	v_fma_f64 v[86:87], v[80:81], v[96:97], -v[86:87]
	ds_read_b128 v[76:79], v1 offset:800
	v_fma_f64 v[96:97], v[82:83], v[96:97], v[149:150]
	v_add_f64 v[140:141], v[140:141], 0
	v_add_f64 v[2:3], v[2:3], 0
	s_waitcnt lgkmcnt(1)
	v_mul_f64 v[153:154], v[69:70], v[90:91]
	v_mul_f64 v[90:91], v[71:72], v[90:91]
	s_waitcnt vmcnt(53) lgkmcnt(0)
	v_mul_f64 v[148:149], v[76:77], v[92:93]
	v_mul_f64 v[92:93], v[78:79], v[92:93]
	v_add_f64 v[140:141], v[140:141], v[151:152]
	v_add_f64 v[2:3], v[2:3], v[73:74]
	s_clause 0x1
	buffer_load_dword v74, off, s[0:3], 0 offset:516
	buffer_load_dword v73, off, s[0:3], 0 offset:512
	s_waitcnt vmcnt(53)
	v_fma_f64 v[90:91], v[69:70], v[98:99], -v[90:91]
	ds_read_b128 v[80:83], v1 offset:816
	v_fma_f64 v[98:99], v[71:72], v[98:99], v[153:154]
	ds_read_b128 v[69:72], v1 offset:832
	s_waitcnt vmcnt(48)
	v_fma_f64 v[92:93], v[76:77], v[94:95], -v[92:93]
	v_add_f64 v[86:87], v[140:141], v[86:87]
	v_add_f64 v[2:3], v[2:3], v[96:97]
	s_waitcnt lgkmcnt(1)
	v_mul_f64 v[96:97], v[80:81], v[100:101]
	v_mul_f64 v[100:101], v[82:83], v[100:101]
	s_waitcnt vmcnt(47) lgkmcnt(0)
	v_mul_f64 v[140:141], v[69:70], v[102:103]
	v_mul_f64 v[102:103], v[71:72], v[102:103]
	v_add_f64 v[86:87], v[86:87], v[90:91]
	v_fma_f64 v[90:91], v[78:79], v[94:95], v[148:149]
	v_add_f64 v[2:3], v[2:3], v[98:99]
	s_clause 0x3
	buffer_load_dword v94, off, s[0:3], 0 offset:224
	buffer_load_dword v95, off, s[0:3], 0 offset:228
	;; [unrolled: 1-line block ×4, first 2 shown]
	s_waitcnt vmcnt(49)
	v_fma_f64 v[100:101], v[80:81], v[106:107], -v[100:101]
	ds_read_b128 v[76:79], v1 offset:848
	s_waitcnt vmcnt(44)
	v_fma_f64 v[102:103], v[69:70], v[104:105], -v[102:103]
	v_add_f64 v[86:87], v[86:87], v[92:93]
	v_fma_f64 v[92:93], v[82:83], v[106:107], v[96:97]
	v_add_f64 v[2:3], v[2:3], v[90:91]
	ds_read_b128 v[80:83], v1 offset:864
	s_waitcnt lgkmcnt(1)
	v_mul_f64 v[96:97], v[78:79], v[108:109]
	v_mul_f64 v[90:91], v[76:77], v[108:109]
	v_add_f64 v[86:87], v[86:87], v[100:101]
	v_fma_f64 v[100:101], v[71:72], v[104:105], v[140:141]
	v_add_f64 v[2:3], v[2:3], v[92:93]
	s_waitcnt vmcnt(43) lgkmcnt(0)
	v_mul_f64 v[104:105], v[82:83], v[110:111]
	s_waitcnt vmcnt(41)
	v_fma_f64 v[96:97], v[76:77], v[114:115], -v[96:97]
	ds_read_b128 v[69:72], v1 offset:880
	v_mul_f64 v[92:93], v[80:81], v[110:111]
	v_fma_f64 v[90:91], v[78:79], v[114:115], v[90:91]
	ds_read_b128 v[76:79], v1 offset:896
	v_add_f64 v[86:87], v[86:87], v[102:103]
	v_add_f64 v[2:3], v[2:3], v[100:101]
	s_waitcnt vmcnt(37) lgkmcnt(1)
	v_mul_f64 v[102:103], v[71:72], v[116:117]
	s_waitcnt vmcnt(36)
	v_fma_f64 v[104:105], v[80:81], v[112:113], -v[104:105]
	v_mul_f64 v[100:101], v[69:70], v[116:117]
	v_fma_f64 v[92:93], v[82:83], v[112:113], v[92:93]
	ds_read_b128 v[80:83], v1 offset:912
	v_add_f64 v[86:87], v[86:87], v[96:97]
	s_waitcnt vmcnt(35) lgkmcnt(1)
	v_mul_f64 v[96:97], v[78:79], v[118:119]
	v_add_f64 v[2:3], v[2:3], v[90:91]
	s_waitcnt vmcnt(33)
	v_fma_f64 v[102:103], v[69:70], v[122:123], -v[102:103]
	v_mul_f64 v[90:91], v[76:77], v[118:119]
	v_fma_f64 v[100:101], v[71:72], v[122:123], v[100:101]
	ds_read_b128 v[69:72], v1 offset:928
	v_add_f64 v[86:87], v[86:87], v[104:105]
	s_waitcnt vmcnt(29) lgkmcnt(1)
	v_mul_f64 v[104:105], v[82:83], v[124:125]
	v_add_f64 v[2:3], v[2:3], v[92:93]
	;; [unrolled: 9-line block ×6, first 2 shown]
	s_waitcnt vmcnt(12)
	v_fma_f64 v[80:81], v[80:81], v[136:137], -v[104:105]
	v_mul_f64 v[100:101], v[69:70], v[142:143]
	v_fma_f64 v[82:83], v[82:83], v[136:137], v[92:93]
	v_add_f64 v[86:87], v[86:87], v[96:97]
	v_add_f64 v[90:91], v[2:3], v[90:91]
	ds_read_b128 v[1:4], v1 offset:1008
	s_waitcnt vmcnt(11) lgkmcnt(1)
	v_mul_f64 v[96:97], v[78:79], v[144:145]
	v_mul_f64 v[92:93], v[76:77], v[144:145]
	s_waitcnt vmcnt(9)
	v_fma_f64 v[69:70], v[69:70], v[84:85], -v[102:103]
	v_fma_f64 v[71:72], v[71:72], v[84:85], v[100:101]
	v_add_f64 v[80:81], v[86:87], v[80:81]
	s_waitcnt vmcnt(7) lgkmcnt(0)
	v_mul_f64 v[86:87], v[3:4], v[88:89]
	v_add_f64 v[82:83], v[90:91], v[82:83]
	v_mul_f64 v[84:85], v[1:2], v[88:89]
	s_waitcnt vmcnt(6)
	v_fma_f64 v[76:77], v[76:77], v[146:147], -v[96:97]
	v_fma_f64 v[78:79], v[78:79], v[146:147], v[92:93]
	v_add_f64 v[69:70], v[80:81], v[69:70]
	v_add_f64 v[71:72], v[82:83], v[71:72]
	s_waitcnt vmcnt(4)
	v_fma_f64 v[1:2], v[1:2], v[73:74], -v[86:87]
	v_fma_f64 v[3:4], v[3:4], v[73:74], v[84:85]
	v_add_f64 v[69:70], v[69:70], v[76:77]
	v_add_f64 v[71:72], v[71:72], v[78:79]
	;; [unrolled: 1-line block ×4, first 2 shown]
	s_waitcnt vmcnt(2)
	v_add_f64 v[1:2], v[94:95], -v[1:2]
	s_waitcnt vmcnt(0)
	v_add_f64 v[3:4], v[98:99], -v[3:4]
	buffer_store_dword v2, off, s[0:3], 0 offset:228
	buffer_store_dword v1, off, s[0:3], 0 offset:224
	;; [unrolled: 1-line block ×4, first 2 shown]
	v_cmpx_lt_u32_e32 12, v0
	s_cbranch_execz .LBB95_181
; %bb.180:
	v_mov_b32_e32 v4, s31
	v_mov_b32_e32 v69, 0
	s_clause 0x3
	buffer_load_dword v1, v4, s[0:3], 0 offen
	buffer_load_dword v2, v4, s[0:3], 0 offen offset:4
	buffer_load_dword v3, v4, s[0:3], 0 offen offset:8
	;; [unrolled: 1-line block ×3, first 2 shown]
	buffer_store_dword v69, off, s[0:3], 0 offset:208
	buffer_store_dword v69, off, s[0:3], 0 offset:212
	;; [unrolled: 1-line block ×4, first 2 shown]
	s_waitcnt vmcnt(0)
	ds_write_b128 v75, v[1:4]
.LBB95_181:
	s_or_b32 exec_lo, exec_lo, s4
	s_waitcnt lgkmcnt(0)
	s_waitcnt_vscnt null, 0x0
	s_barrier
	buffer_gl0_inv
	s_clause 0x37
	buffer_load_dword v2, off, s[0:3], 0 offset:232
	buffer_load_dword v3, off, s[0:3], 0 offset:236
	;; [unrolled: 1-line block ×56, first 2 shown]
	v_mov_b32_e32 v1, 0
	s_mov_b32 s4, exec_lo
	ds_read_b128 v[69:72], v1 offset:720
	s_clause 0x2
	buffer_load_dword v135, off, s[0:3], 0 offset:460
	buffer_load_dword v139, off, s[0:3], 0 offset:436
	;; [unrolled: 1-line block ×3, first 2 shown]
	ds_read_b128 v[76:79], v1 offset:736
	s_clause 0x4
	buffer_load_dword v143, off, s[0:3], 0 offset:476
	buffer_load_dword v144, off, s[0:3], 0 offset:488
	;; [unrolled: 1-line block ×5, first 2 shown]
	ds_read_b128 v[80:83], v1 offset:752
	s_waitcnt vmcnt(62) lgkmcnt(2)
	v_mul_f64 v[140:141], v[71:72], v[2:3]
	v_mul_f64 v[2:3], v[69:70], v[2:3]
	s_waitcnt vmcnt(60) lgkmcnt(1)
	v_mul_f64 v[147:148], v[78:79], v[73:74]
	v_mul_f64 v[73:74], v[76:77], v[73:74]
	;; [unrolled: 3-line block ×3, first 2 shown]
	v_fma_f64 v[140:141], v[69:70], v[84:85], -v[140:141]
	v_fma_f64 v[2:3], v[71:72], v[84:85], v[2:3]
	s_clause 0x2
	buffer_load_dword v145, off, s[0:3], 0 offset:492
	buffer_load_dword v85, off, s[0:3], 0 offset:468
	;; [unrolled: 1-line block ×3, first 2 shown]
	s_waitcnt vmcnt(57)
	v_fma_f64 v[151:152], v[76:77], v[88:89], -v[147:148]
	ds_read_b128 v[69:72], v1 offset:768
	v_fma_f64 v[73:74], v[78:79], v[88:89], v[73:74]
	s_clause 0x4
	buffer_load_dword v89, off, s[0:3], 0 offset:508
	buffer_load_dword v148, off, s[0:3], 0 offset:520
	;; [unrolled: 1-line block ×5, first 2 shown]
	s_waitcnt vmcnt(56)
	v_fma_f64 v[86:87], v[80:81], v[96:97], -v[86:87]
	ds_read_b128 v[76:79], v1 offset:784
	v_fma_f64 v[96:97], v[82:83], v[96:97], v[149:150]
	v_add_f64 v[140:141], v[140:141], 0
	v_add_f64 v[2:3], v[2:3], 0
	s_waitcnt lgkmcnt(1)
	v_mul_f64 v[154:155], v[69:70], v[90:91]
	v_mul_f64 v[90:91], v[71:72], v[90:91]
	v_add_f64 v[140:141], v[140:141], v[151:152]
	v_add_f64 v[2:3], v[2:3], v[73:74]
	s_clause 0x2
	buffer_load_dword v149, off, s[0:3], 0 offset:524
	buffer_load_dword v74, off, s[0:3], 0 offset:500
	;; [unrolled: 1-line block ×3, first 2 shown]
	s_waitcnt vmcnt(58) lgkmcnt(0)
	v_mul_f64 v[150:151], v[76:77], v[92:93]
	v_mul_f64 v[92:93], v[78:79], v[92:93]
	s_waitcnt vmcnt(56)
	v_fma_f64 v[90:91], v[69:70], v[98:99], -v[90:91]
	ds_read_b128 v[80:83], v1 offset:800
	v_fma_f64 v[98:99], v[71:72], v[98:99], v[154:155]
	buffer_load_dword v154, off, s[0:3], 0 offset:516
	ds_read_b128 v[69:72], v1 offset:816
	v_add_f64 v[86:87], v[140:141], v[86:87]
	v_add_f64 v[2:3], v[2:3], v[96:97]
	s_waitcnt vmcnt(53) lgkmcnt(1)
	v_mul_f64 v[96:97], v[80:81], v[100:101]
	v_mul_f64 v[100:101], v[82:83], v[100:101]
	s_waitcnt vmcnt(52)
	v_fma_f64 v[92:93], v[76:77], v[94:95], -v[92:93]
	v_add_f64 v[86:87], v[86:87], v[90:91]
	v_fma_f64 v[90:91], v[78:79], v[94:95], v[150:151]
	v_add_f64 v[2:3], v[2:3], v[98:99]
	s_waitcnt vmcnt(51) lgkmcnt(0)
	v_mul_f64 v[98:99], v[71:72], v[102:103]
	ds_read_b128 v[76:79], v1 offset:832
	s_waitcnt vmcnt(49)
	v_fma_f64 v[100:101], v[80:81], v[106:107], -v[100:101]
	v_mul_f64 v[94:95], v[69:70], v[102:103]
	v_add_f64 v[86:87], v[86:87], v[92:93]
	v_fma_f64 v[92:93], v[82:83], v[106:107], v[96:97]
	v_add_f64 v[2:3], v[2:3], v[90:91]
	s_clause 0x3
	buffer_load_dword v90, off, s[0:3], 0 offset:208
	buffer_load_dword v91, off, s[0:3], 0 offset:212
	;; [unrolled: 1-line block ×4, first 2 shown]
	s_waitcnt vmcnt(49) lgkmcnt(0)
	v_mul_f64 v[106:107], v[78:79], v[108:109]
	s_waitcnt vmcnt(48)
	v_fma_f64 v[98:99], v[69:70], v[104:105], -v[98:99]
	ds_read_b128 v[80:83], v1 offset:848
	v_mul_f64 v[102:103], v[76:77], v[108:109]
	v_fma_f64 v[94:95], v[71:72], v[104:105], v[94:95]
	ds_read_b128 v[69:72], v1 offset:864
	v_add_f64 v[86:87], v[86:87], v[100:101]
	v_add_f64 v[2:3], v[2:3], v[92:93]
	s_waitcnt vmcnt(47) lgkmcnt(1)
	v_mul_f64 v[100:101], v[82:83], v[110:111]
	s_waitcnt vmcnt(45)
	v_fma_f64 v[104:105], v[76:77], v[114:115], -v[106:107]
	v_mul_f64 v[92:93], v[80:81], v[110:111]
	v_add_f64 v[86:87], v[86:87], v[98:99]
	v_fma_f64 v[98:99], v[78:79], v[114:115], v[102:103]
	v_add_f64 v[2:3], v[2:3], v[94:95]
	s_waitcnt vmcnt(41) lgkmcnt(0)
	v_mul_f64 v[102:103], v[71:72], v[116:117]
	s_waitcnt vmcnt(40)
	v_fma_f64 v[100:101], v[80:81], v[112:113], -v[100:101]
	ds_read_b128 v[76:79], v1 offset:880
	v_mul_f64 v[94:95], v[69:70], v[116:117]
	v_fma_f64 v[92:93], v[82:83], v[112:113], v[92:93]
	ds_read_b128 v[80:83], v1 offset:896
	v_add_f64 v[86:87], v[86:87], v[104:105]
	v_add_f64 v[2:3], v[2:3], v[98:99]
	s_waitcnt vmcnt(39) lgkmcnt(1)
	v_mul_f64 v[104:105], v[78:79], v[118:119]
	s_waitcnt vmcnt(37)
	v_fma_f64 v[102:103], v[69:70], v[122:123], -v[102:103]
	v_mul_f64 v[98:99], v[76:77], v[118:119]
	v_fma_f64 v[94:95], v[71:72], v[122:123], v[94:95]
	ds_read_b128 v[69:72], v1 offset:912
	v_add_f64 v[86:87], v[86:87], v[100:101]
	s_waitcnt vmcnt(33) lgkmcnt(1)
	v_mul_f64 v[100:101], v[82:83], v[124:125]
	v_add_f64 v[2:3], v[2:3], v[92:93]
	s_waitcnt vmcnt(32)
	v_fma_f64 v[104:105], v[76:77], v[120:121], -v[104:105]
	v_mul_f64 v[92:93], v[80:81], v[124:125]
	v_fma_f64 v[98:99], v[78:79], v[120:121], v[98:99]
	ds_read_b128 v[76:79], v1 offset:928
	v_add_f64 v[86:87], v[86:87], v[102:103]
	s_waitcnt vmcnt(31) lgkmcnt(1)
	v_mul_f64 v[102:103], v[71:72], v[126:127]
	v_add_f64 v[2:3], v[2:3], v[94:95]
	;; [unrolled: 9-line block ×5, first 2 shown]
	s_waitcnt vmcnt(16)
	v_fma_f64 v[100:101], v[80:81], v[136:137], -v[100:101]
	v_mul_f64 v[94:95], v[69:70], v[142:143]
	v_fma_f64 v[92:93], v[82:83], v[136:137], v[92:93]
	ds_read_b128 v[80:83], v1 offset:992
	v_add_f64 v[86:87], v[86:87], v[104:105]
	v_add_f64 v[2:3], v[2:3], v[98:99]
	s_waitcnt vmcnt(15) lgkmcnt(1)
	v_mul_f64 v[104:105], v[78:79], v[144:145]
	v_mul_f64 v[98:99], v[76:77], v[144:145]
	s_waitcnt vmcnt(13)
	v_fma_f64 v[102:103], v[69:70], v[84:85], -v[102:103]
	v_fma_f64 v[84:85], v[71:72], v[84:85], v[94:95]
	ds_read_b128 v[69:72], v1 offset:1008
	v_add_f64 v[86:87], v[86:87], v[100:101]
	v_add_f64 v[2:3], v[2:3], v[92:93]
	s_waitcnt vmcnt(9) lgkmcnt(1)
	v_mul_f64 v[92:93], v[80:81], v[88:89]
	v_mul_f64 v[88:89], v[82:83], v[88:89]
	s_waitcnt vmcnt(8)
	v_fma_f64 v[76:77], v[76:77], v[146:147], -v[104:105]
	v_fma_f64 v[78:79], v[78:79], v[146:147], v[98:99]
	v_add_f64 v[86:87], v[86:87], v[102:103]
	v_add_f64 v[2:3], v[2:3], v[84:85]
	s_waitcnt vmcnt(7) lgkmcnt(0)
	v_mul_f64 v[94:95], v[71:72], v[148:149]
	v_mul_f64 v[84:85], v[69:70], v[148:149]
	s_waitcnt vmcnt(5)
	v_fma_f64 v[80:81], v[80:81], v[73:74], -v[88:89]
	v_fma_f64 v[73:74], v[82:83], v[73:74], v[92:93]
	v_add_f64 v[76:77], v[86:87], v[76:77]
	v_add_f64 v[2:3], v[2:3], v[78:79]
	s_waitcnt vmcnt(4)
	v_fma_f64 v[69:70], v[69:70], v[153:154], -v[94:95]
	v_fma_f64 v[71:72], v[71:72], v[153:154], v[84:85]
	v_add_f64 v[76:77], v[76:77], v[80:81]
	v_add_f64 v[2:3], v[2:3], v[73:74]
	;; [unrolled: 1-line block ×4, first 2 shown]
	s_waitcnt vmcnt(2)
	v_add_f64 v[69:70], v[90:91], -v[69:70]
	s_waitcnt vmcnt(0)
	v_add_f64 v[2:3], v[96:97], -v[2:3]
	buffer_store_dword v70, off, s[0:3], 0 offset:212
	buffer_store_dword v69, off, s[0:3], 0 offset:208
	;; [unrolled: 1-line block ×4, first 2 shown]
	v_cmpx_lt_u32_e32 11, v0
	s_cbranch_execz .LBB95_183
; %bb.182:
	v_mov_b32_e32 v2, s33
	s_clause 0x3
	buffer_load_dword v69, v2, s[0:3], 0 offen
	buffer_load_dword v70, v2, s[0:3], 0 offen offset:4
	buffer_load_dword v71, v2, s[0:3], 0 offen offset:8
	;; [unrolled: 1-line block ×3, first 2 shown]
	buffer_store_dword v1, off, s[0:3], 0 offset:192
	buffer_store_dword v1, off, s[0:3], 0 offset:196
	;; [unrolled: 1-line block ×4, first 2 shown]
	s_waitcnt vmcnt(0)
	ds_write_b128 v75, v[69:72]
.LBB95_183:
	s_or_b32 exec_lo, exec_lo, s4
	s_waitcnt lgkmcnt(0)
	s_waitcnt_vscnt null, 0x0
	s_barrier
	buffer_gl0_inv
	s_clause 0x37
	buffer_load_dword v2, off, s[0:3], 0 offset:216
	buffer_load_dword v3, off, s[0:3], 0 offset:220
	;; [unrolled: 1-line block ×56, first 2 shown]
	ds_read_b128 v[69:72], v1 offset:704
	s_clause 0x2
	buffer_load_dword v135, off, s[0:3], 0 offset:444
	buffer_load_dword v139, off, s[0:3], 0 offset:420
	;; [unrolled: 1-line block ×3, first 2 shown]
	ds_read_b128 v[76:79], v1 offset:720
	s_clause 0x4
	buffer_load_dword v143, off, s[0:3], 0 offset:460
	buffer_load_dword v144, off, s[0:3], 0 offset:472
	;; [unrolled: 1-line block ×5, first 2 shown]
	ds_read_b128 v[80:83], v1 offset:736
	s_mov_b32 s4, exec_lo
	s_waitcnt vmcnt(62) lgkmcnt(2)
	v_mul_f64 v[140:141], v[71:72], v[2:3]
	v_mul_f64 v[2:3], v[69:70], v[2:3]
	s_waitcnt vmcnt(60) lgkmcnt(1)
	v_mul_f64 v[147:148], v[78:79], v[73:74]
	v_mul_f64 v[73:74], v[76:77], v[73:74]
	;; [unrolled: 3-line block ×3, first 2 shown]
	v_fma_f64 v[140:141], v[69:70], v[84:85], -v[140:141]
	v_fma_f64 v[2:3], v[71:72], v[84:85], v[2:3]
	s_clause 0x2
	buffer_load_dword v145, off, s[0:3], 0 offset:476
	buffer_load_dword v85, off, s[0:3], 0 offset:452
	;; [unrolled: 1-line block ×3, first 2 shown]
	s_waitcnt vmcnt(57)
	v_fma_f64 v[151:152], v[76:77], v[88:89], -v[147:148]
	ds_read_b128 v[69:72], v1 offset:752
	v_fma_f64 v[73:74], v[78:79], v[88:89], v[73:74]
	s_clause 0x4
	buffer_load_dword v89, off, s[0:3], 0 offset:492
	buffer_load_dword v148, off, s[0:3], 0 offset:504
	;; [unrolled: 1-line block ×5, first 2 shown]
	s_waitcnt vmcnt(56)
	v_fma_f64 v[86:87], v[80:81], v[96:97], -v[86:87]
	ds_read_b128 v[76:79], v1 offset:768
	v_fma_f64 v[96:97], v[82:83], v[96:97], v[149:150]
	v_add_f64 v[140:141], v[140:141], 0
	v_add_f64 v[2:3], v[2:3], 0
	s_waitcnt lgkmcnt(1)
	v_mul_f64 v[154:155], v[69:70], v[90:91]
	v_mul_f64 v[90:91], v[71:72], v[90:91]
	v_add_f64 v[140:141], v[140:141], v[151:152]
	v_add_f64 v[2:3], v[2:3], v[73:74]
	s_clause 0x2
	buffer_load_dword v149, off, s[0:3], 0 offset:508
	buffer_load_dword v74, off, s[0:3], 0 offset:484
	;; [unrolled: 1-line block ×3, first 2 shown]
	s_waitcnt vmcnt(58) lgkmcnt(0)
	v_mul_f64 v[150:151], v[76:77], v[92:93]
	v_mul_f64 v[92:93], v[78:79], v[92:93]
	s_waitcnt vmcnt(56)
	v_fma_f64 v[90:91], v[69:70], v[98:99], -v[90:91]
	ds_read_b128 v[80:83], v1 offset:784
	v_fma_f64 v[98:99], v[71:72], v[98:99], v[154:155]
	v_add_f64 v[86:87], v[140:141], v[86:87]
	v_add_f64 v[2:3], v[2:3], v[96:97]
	s_clause 0x2
	buffer_load_dword v97, off, s[0:3], 0 offset:524
	buffer_load_dword v96, off, s[0:3], 0 offset:520
	;; [unrolled: 1-line block ×3, first 2 shown]
	ds_read_b128 v[69:72], v1 offset:800
	s_waitcnt vmcnt(55) lgkmcnt(1)
	v_mul_f64 v[140:141], v[80:81], v[100:101]
	v_mul_f64 v[100:101], v[82:83], v[100:101]
	s_waitcnt vmcnt(54)
	v_fma_f64 v[92:93], v[76:77], v[94:95], -v[92:93]
	v_add_f64 v[86:87], v[86:87], v[90:91]
	v_fma_f64 v[90:91], v[78:79], v[94:95], v[150:151]
	v_add_f64 v[2:3], v[2:3], v[98:99]
	s_clause 0x1
	buffer_load_dword v95, off, s[0:3], 0 offset:516
	buffer_load_dword v94, off, s[0:3], 0 offset:512
	s_waitcnt vmcnt(55) lgkmcnt(0)
	v_mul_f64 v[98:99], v[69:70], v[102:103]
	v_mul_f64 v[102:103], v[71:72], v[102:103]
	s_waitcnt vmcnt(53)
	v_fma_f64 v[100:101], v[80:81], v[106:107], -v[100:101]
	ds_read_b128 v[76:79], v1 offset:816
	v_add_f64 v[86:87], v[86:87], v[92:93]
	v_fma_f64 v[92:93], v[82:83], v[106:107], v[140:141]
	v_add_f64 v[2:3], v[2:3], v[90:91]
	ds_read_b128 v[80:83], v1 offset:832
	s_waitcnt vmcnt(48)
	v_fma_f64 v[98:99], v[71:72], v[104:105], v[98:99]
	s_waitcnt lgkmcnt(1)
	v_mul_f64 v[106:107], v[78:79], v[108:109]
	v_fma_f64 v[102:103], v[69:70], v[104:105], -v[102:103]
	v_mul_f64 v[90:91], v[76:77], v[108:109]
	v_add_f64 v[86:87], v[86:87], v[100:101]
	s_waitcnt vmcnt(47) lgkmcnt(0)
	v_mul_f64 v[108:109], v[82:83], v[110:111]
	v_add_f64 v[2:3], v[2:3], v[92:93]
	s_clause 0x3
	buffer_load_dword v92, off, s[0:3], 0 offset:192
	buffer_load_dword v93, off, s[0:3], 0 offset:196
	;; [unrolled: 1-line block ×4, first 2 shown]
	ds_read_b128 v[69:72], v1 offset:848
	s_waitcnt vmcnt(49)
	v_fma_f64 v[106:107], v[76:77], v[114:115], -v[106:107]
	v_mul_f64 v[104:105], v[80:81], v[110:111]
	v_fma_f64 v[90:91], v[78:79], v[114:115], v[90:91]
	ds_read_b128 v[76:79], v1 offset:864
	v_add_f64 v[86:87], v[86:87], v[102:103]
	s_waitcnt vmcnt(44)
	v_fma_f64 v[108:109], v[80:81], v[112:113], -v[108:109]
	v_add_f64 v[2:3], v[2:3], v[98:99]
	s_waitcnt lgkmcnt(1)
	v_mul_f64 v[102:103], v[71:72], v[116:117]
	v_mul_f64 v[98:99], v[69:70], v[116:117]
	v_fma_f64 v[104:105], v[82:83], v[112:113], v[104:105]
	ds_read_b128 v[80:83], v1 offset:880
	v_add_f64 v[86:87], v[86:87], v[106:107]
	s_waitcnt vmcnt(43) lgkmcnt(1)
	v_mul_f64 v[106:107], v[78:79], v[118:119]
	v_add_f64 v[2:3], v[2:3], v[90:91]
	s_waitcnt vmcnt(41)
	v_fma_f64 v[102:103], v[69:70], v[122:123], -v[102:103]
	v_mul_f64 v[90:91], v[76:77], v[118:119]
	v_fma_f64 v[98:99], v[71:72], v[122:123], v[98:99]
	ds_read_b128 v[69:72], v1 offset:896
	v_add_f64 v[86:87], v[86:87], v[108:109]
	s_waitcnt vmcnt(37) lgkmcnt(1)
	v_mul_f64 v[108:109], v[82:83], v[124:125]
	v_add_f64 v[2:3], v[2:3], v[104:105]
	s_waitcnt vmcnt(36)
	v_fma_f64 v[106:107], v[76:77], v[120:121], -v[106:107]
	;; [unrolled: 9-line block ×6, first 2 shown]
	v_mul_f64 v[98:99], v[69:70], v[142:143]
	v_fma_f64 v[104:105], v[82:83], v[136:137], v[104:105]
	ds_read_b128 v[80:83], v1 offset:976
	v_add_f64 v[86:87], v[86:87], v[106:107]
	v_add_f64 v[2:3], v[2:3], v[90:91]
	s_waitcnt vmcnt(19) lgkmcnt(1)
	v_mul_f64 v[106:107], v[78:79], v[144:145]
	v_mul_f64 v[90:91], v[76:77], v[144:145]
	s_waitcnt vmcnt(17)
	v_fma_f64 v[102:103], v[69:70], v[84:85], -v[102:103]
	v_fma_f64 v[84:85], v[71:72], v[84:85], v[98:99]
	ds_read_b128 v[69:72], v1 offset:992
	s_waitcnt vmcnt(13) lgkmcnt(1)
	v_mul_f64 v[98:99], v[80:81], v[88:89]
	v_mul_f64 v[88:89], v[82:83], v[88:89]
	v_add_f64 v[86:87], v[86:87], v[108:109]
	v_add_f64 v[2:3], v[2:3], v[104:105]
	s_waitcnt vmcnt(12)
	v_fma_f64 v[76:77], v[76:77], v[146:147], -v[106:107]
	v_fma_f64 v[78:79], v[78:79], v[146:147], v[90:91]
	v_add_f64 v[86:87], v[86:87], v[102:103]
	v_add_f64 v[84:85], v[2:3], v[84:85]
	ds_read_b128 v[1:4], v1 offset:1008
	s_waitcnt vmcnt(11) lgkmcnt(1)
	v_mul_f64 v[102:103], v[71:72], v[148:149]
	v_mul_f64 v[90:91], v[69:70], v[148:149]
	s_waitcnt vmcnt(9)
	v_fma_f64 v[80:81], v[80:81], v[73:74], -v[88:89]
	v_fma_f64 v[73:74], v[82:83], v[73:74], v[98:99]
	v_add_f64 v[76:77], v[86:87], v[76:77]
	v_add_f64 v[78:79], v[84:85], v[78:79]
	s_waitcnt vmcnt(7) lgkmcnt(0)
	v_mul_f64 v[84:85], v[3:4], v[96:97]
	s_waitcnt vmcnt(6)
	v_fma_f64 v[69:70], v[69:70], v[153:154], -v[102:103]
	v_mul_f64 v[82:83], v[1:2], v[96:97]
	v_fma_f64 v[71:72], v[71:72], v[153:154], v[90:91]
	v_add_f64 v[76:77], v[76:77], v[80:81]
	v_add_f64 v[73:74], v[78:79], v[73:74]
	s_waitcnt vmcnt(4)
	v_fma_f64 v[1:2], v[1:2], v[94:95], -v[84:85]
	v_fma_f64 v[3:4], v[3:4], v[94:95], v[82:83]
	v_add_f64 v[69:70], v[76:77], v[69:70]
	v_add_f64 v[71:72], v[73:74], v[71:72]
	;; [unrolled: 1-line block ×4, first 2 shown]
	s_waitcnt vmcnt(2)
	v_add_f64 v[1:2], v[92:93], -v[1:2]
	s_waitcnt vmcnt(0)
	v_add_f64 v[3:4], v[100:101], -v[3:4]
	buffer_store_dword v2, off, s[0:3], 0 offset:196
	buffer_store_dword v1, off, s[0:3], 0 offset:192
	;; [unrolled: 1-line block ×4, first 2 shown]
	v_cmpx_lt_u32_e32 10, v0
	s_cbranch_execz .LBB95_185
; %bb.184:
	v_mov_b32_e32 v4, s34
	v_mov_b32_e32 v69, 0
	s_clause 0x3
	buffer_load_dword v1, v4, s[0:3], 0 offen
	buffer_load_dword v2, v4, s[0:3], 0 offen offset:4
	buffer_load_dword v3, v4, s[0:3], 0 offen offset:8
	;; [unrolled: 1-line block ×3, first 2 shown]
	buffer_store_dword v69, off, s[0:3], 0 offset:176
	buffer_store_dword v69, off, s[0:3], 0 offset:180
	;; [unrolled: 1-line block ×4, first 2 shown]
	s_waitcnt vmcnt(0)
	ds_write_b128 v75, v[1:4]
.LBB95_185:
	s_or_b32 exec_lo, exec_lo, s4
	s_waitcnt lgkmcnt(0)
	s_waitcnt_vscnt null, 0x0
	s_barrier
	buffer_gl0_inv
	s_clause 0x37
	buffer_load_dword v2, off, s[0:3], 0 offset:200
	buffer_load_dword v3, off, s[0:3], 0 offset:204
	;; [unrolled: 1-line block ×56, first 2 shown]
	v_mov_b32_e32 v1, 0
	s_mov_b32 s4, exec_lo
	ds_read_b128 v[69:72], v1 offset:688
	s_clause 0x2
	buffer_load_dword v135, off, s[0:3], 0 offset:428
	buffer_load_dword v139, off, s[0:3], 0 offset:404
	;; [unrolled: 1-line block ×3, first 2 shown]
	ds_read_b128 v[76:79], v1 offset:704
	s_clause 0x4
	buffer_load_dword v143, off, s[0:3], 0 offset:444
	buffer_load_dword v144, off, s[0:3], 0 offset:456
	buffer_load_dword v146, off, s[0:3], 0 offset:448
	buffer_load_dword v142, off, s[0:3], 0 offset:440
	buffer_load_dword v137, off, s[0:3], 0 offset:420
	ds_read_b128 v[80:83], v1 offset:720
	s_waitcnt vmcnt(62) lgkmcnt(2)
	v_mul_f64 v[140:141], v[71:72], v[2:3]
	v_mul_f64 v[2:3], v[69:70], v[2:3]
	s_waitcnt vmcnt(60) lgkmcnt(1)
	v_mul_f64 v[147:148], v[78:79], v[73:74]
	v_mul_f64 v[73:74], v[76:77], v[73:74]
	;; [unrolled: 3-line block ×3, first 2 shown]
	v_fma_f64 v[140:141], v[69:70], v[84:85], -v[140:141]
	v_fma_f64 v[2:3], v[71:72], v[84:85], v[2:3]
	s_clause 0x2
	buffer_load_dword v145, off, s[0:3], 0 offset:460
	buffer_load_dword v85, off, s[0:3], 0 offset:436
	;; [unrolled: 1-line block ×3, first 2 shown]
	s_waitcnt vmcnt(57)
	v_fma_f64 v[151:152], v[76:77], v[88:89], -v[147:148]
	ds_read_b128 v[69:72], v1 offset:736
	v_fma_f64 v[73:74], v[78:79], v[88:89], v[73:74]
	s_clause 0x4
	buffer_load_dword v89, off, s[0:3], 0 offset:476
	buffer_load_dword v148, off, s[0:3], 0 offset:488
	;; [unrolled: 1-line block ×5, first 2 shown]
	s_waitcnt vmcnt(56)
	v_fma_f64 v[86:87], v[80:81], v[96:97], -v[86:87]
	ds_read_b128 v[76:79], v1 offset:752
	v_fma_f64 v[96:97], v[82:83], v[96:97], v[149:150]
	v_add_f64 v[140:141], v[140:141], 0
	v_add_f64 v[2:3], v[2:3], 0
	s_waitcnt lgkmcnt(1)
	v_mul_f64 v[154:155], v[69:70], v[90:91]
	v_mul_f64 v[90:91], v[71:72], v[90:91]
	v_add_f64 v[140:141], v[140:141], v[151:152]
	v_add_f64 v[2:3], v[2:3], v[73:74]
	s_clause 0x2
	buffer_load_dword v149, off, s[0:3], 0 offset:492
	buffer_load_dword v74, off, s[0:3], 0 offset:468
	;; [unrolled: 1-line block ×3, first 2 shown]
	s_waitcnt vmcnt(58) lgkmcnt(0)
	v_mul_f64 v[150:151], v[76:77], v[92:93]
	v_mul_f64 v[92:93], v[78:79], v[92:93]
	s_waitcnt vmcnt(56)
	v_fma_f64 v[90:91], v[69:70], v[98:99], -v[90:91]
	ds_read_b128 v[80:83], v1 offset:768
	v_fma_f64 v[98:99], v[71:72], v[98:99], v[154:155]
	v_add_f64 v[86:87], v[140:141], v[86:87]
	v_add_f64 v[2:3], v[2:3], v[96:97]
	s_clause 0x4
	buffer_load_dword v97, off, s[0:3], 0 offset:508
	buffer_load_dword v140, off, s[0:3], 0 offset:520
	;; [unrolled: 1-line block ×5, first 2 shown]
	ds_read_b128 v[69:72], v1 offset:784
	s_waitcnt vmcnt(57) lgkmcnt(1)
	v_mul_f64 v[156:157], v[80:81], v[100:101]
	v_mul_f64 v[100:101], v[82:83], v[100:101]
	s_waitcnt vmcnt(56)
	v_fma_f64 v[92:93], v[76:77], v[94:95], -v[92:93]
	v_add_f64 v[86:87], v[86:87], v[90:91]
	v_fma_f64 v[90:91], v[78:79], v[94:95], v[150:151]
	v_add_f64 v[2:3], v[2:3], v[98:99]
	s_clause 0x2
	buffer_load_dword v141, off, s[0:3], 0 offset:524
	buffer_load_dword v95, off, s[0:3], 0 offset:500
	;; [unrolled: 1-line block ×3, first 2 shown]
	s_waitcnt vmcnt(58) lgkmcnt(0)
	v_mul_f64 v[98:99], v[69:70], v[102:103]
	v_mul_f64 v[102:103], v[71:72], v[102:103]
	s_waitcnt vmcnt(56)
	v_fma_f64 v[100:101], v[80:81], v[106:107], -v[100:101]
	ds_read_b128 v[76:79], v1 offset:800
	v_add_f64 v[86:87], v[86:87], v[92:93]
	v_fma_f64 v[92:93], v[82:83], v[106:107], v[156:157]
	v_add_f64 v[2:3], v[2:3], v[90:91]
	buffer_load_dword v156, off, s[0:3], 0 offset:516
	ds_read_b128 v[80:83], v1 offset:816
	s_waitcnt vmcnt(53) lgkmcnt(1)
	v_mul_f64 v[106:107], v[78:79], v[108:109]
	s_waitcnt vmcnt(52)
	v_fma_f64 v[102:103], v[69:70], v[104:105], -v[102:103]
	v_mul_f64 v[90:91], v[76:77], v[108:109]
	v_fma_f64 v[98:99], v[71:72], v[104:105], v[98:99]
	ds_read_b128 v[69:72], v1 offset:832
	v_add_f64 v[86:87], v[86:87], v[100:101]
	v_add_f64 v[2:3], v[2:3], v[92:93]
	s_waitcnt vmcnt(51) lgkmcnt(1)
	v_mul_f64 v[100:101], v[82:83], v[110:111]
	v_mul_f64 v[92:93], v[80:81], v[110:111]
	s_waitcnt vmcnt(49)
	v_fma_f64 v[104:105], v[76:77], v[114:115], -v[106:107]
	v_fma_f64 v[90:91], v[78:79], v[114:115], v[90:91]
	s_waitcnt vmcnt(45) lgkmcnt(0)
	v_mul_f64 v[108:109], v[71:72], v[116:117]
	v_mul_f64 v[106:107], v[69:70], v[116:117]
	v_add_f64 v[86:87], v[86:87], v[102:103]
	v_add_f64 v[2:3], v[2:3], v[98:99]
	s_clause 0x3
	buffer_load_dword v98, off, s[0:3], 0 offset:176
	buffer_load_dword v99, off, s[0:3], 0 offset:180
	;; [unrolled: 1-line block ×4, first 2 shown]
	s_waitcnt vmcnt(48)
	v_fma_f64 v[100:101], v[80:81], v[112:113], -v[100:101]
	ds_read_b128 v[76:79], v1 offset:848
	v_fma_f64 v[92:93], v[82:83], v[112:113], v[92:93]
	ds_read_b128 v[80:83], v1 offset:864
	s_waitcnt vmcnt(45)
	v_fma_f64 v[108:109], v[69:70], v[122:123], -v[108:109]
	v_add_f64 v[86:87], v[86:87], v[104:105]
	v_add_f64 v[2:3], v[2:3], v[90:91]
	s_waitcnt lgkmcnt(1)
	v_mul_f64 v[104:105], v[78:79], v[118:119]
	v_mul_f64 v[90:91], v[76:77], v[118:119]
	v_add_f64 v[86:87], v[86:87], v[100:101]
	v_fma_f64 v[100:101], v[71:72], v[122:123], v[106:107]
	v_add_f64 v[2:3], v[2:3], v[92:93]
	s_waitcnt vmcnt(41) lgkmcnt(0)
	v_mul_f64 v[106:107], v[82:83], v[124:125]
	s_waitcnt vmcnt(40)
	v_fma_f64 v[104:105], v[76:77], v[120:121], -v[104:105]
	ds_read_b128 v[69:72], v1 offset:880
	v_mul_f64 v[92:93], v[80:81], v[124:125]
	v_fma_f64 v[90:91], v[78:79], v[120:121], v[90:91]
	ds_read_b128 v[76:79], v1 offset:896
	v_add_f64 v[86:87], v[86:87], v[108:109]
	v_add_f64 v[2:3], v[2:3], v[100:101]
	s_waitcnt vmcnt(39) lgkmcnt(1)
	v_mul_f64 v[108:109], v[71:72], v[126:127]
	s_waitcnt vmcnt(37)
	v_fma_f64 v[106:107], v[80:81], v[130:131], -v[106:107]
	v_mul_f64 v[100:101], v[69:70], v[126:127]
	v_fma_f64 v[92:93], v[82:83], v[130:131], v[92:93]
	ds_read_b128 v[80:83], v1 offset:912
	v_add_f64 v[86:87], v[86:87], v[104:105]
	s_waitcnt vmcnt(33) lgkmcnt(1)
	v_mul_f64 v[104:105], v[78:79], v[132:133]
	v_add_f64 v[2:3], v[2:3], v[90:91]
	s_waitcnt vmcnt(32)
	v_fma_f64 v[108:109], v[69:70], v[128:129], -v[108:109]
	v_mul_f64 v[90:91], v[76:77], v[132:133]
	v_fma_f64 v[100:101], v[71:72], v[128:129], v[100:101]
	ds_read_b128 v[69:72], v1 offset:928
	v_add_f64 v[86:87], v[86:87], v[106:107]
	s_waitcnt vmcnt(31) lgkmcnt(1)
	v_mul_f64 v[106:107], v[82:83], v[134:135]
	v_add_f64 v[2:3], v[2:3], v[92:93]
	;; [unrolled: 9-line block ×3, first 2 shown]
	s_waitcnt vmcnt(24)
	v_fma_f64 v[106:107], v[80:81], v[136:137], -v[106:107]
	v_mul_f64 v[100:101], v[69:70], v[142:143]
	v_fma_f64 v[92:93], v[82:83], v[136:137], v[92:93]
	ds_read_b128 v[80:83], v1 offset:960
	v_add_f64 v[86:87], v[86:87], v[104:105]
	v_add_f64 v[2:3], v[2:3], v[90:91]
	s_waitcnt vmcnt(23) lgkmcnt(1)
	v_mul_f64 v[104:105], v[78:79], v[144:145]
	v_mul_f64 v[90:91], v[76:77], v[144:145]
	s_waitcnt vmcnt(21)
	v_fma_f64 v[108:109], v[69:70], v[84:85], -v[108:109]
	v_fma_f64 v[84:85], v[71:72], v[84:85], v[100:101]
	ds_read_b128 v[69:72], v1 offset:976
	v_add_f64 v[86:87], v[86:87], v[106:107]
	v_add_f64 v[2:3], v[2:3], v[92:93]
	s_waitcnt vmcnt(17) lgkmcnt(1)
	v_mul_f64 v[92:93], v[80:81], v[88:89]
	v_mul_f64 v[88:89], v[82:83], v[88:89]
	s_waitcnt vmcnt(16)
	v_fma_f64 v[100:101], v[76:77], v[146:147], -v[104:105]
	;; [unrolled: 9-line block ×3, first 2 shown]
	v_fma_f64 v[73:74], v[82:83], v[73:74], v[92:93]
	ds_read_b128 v[80:83], v1 offset:1008
	v_add_f64 v[86:87], v[86:87], v[100:101]
	v_add_f64 v[2:3], v[2:3], v[90:91]
	s_waitcnt vmcnt(9) lgkmcnt(1)
	v_mul_f64 v[92:93], v[78:79], v[96:97]
	s_waitcnt vmcnt(8)
	v_fma_f64 v[69:70], v[69:70], v[153:154], -v[104:105]
	v_mul_f64 v[90:91], v[76:77], v[96:97]
	v_fma_f64 v[71:72], v[71:72], v[153:154], v[84:85]
	v_add_f64 v[86:87], v[86:87], v[88:89]
	v_add_f64 v[2:3], v[2:3], v[73:74]
	s_waitcnt vmcnt(7) lgkmcnt(0)
	v_mul_f64 v[84:85], v[82:83], v[140:141]
	v_mul_f64 v[73:74], v[80:81], v[140:141]
	s_waitcnt vmcnt(5)
	v_fma_f64 v[76:77], v[76:77], v[94:95], -v[92:93]
	v_fma_f64 v[78:79], v[78:79], v[94:95], v[90:91]
	v_add_f64 v[69:70], v[86:87], v[69:70]
	v_add_f64 v[2:3], v[2:3], v[71:72]
	s_waitcnt vmcnt(4)
	v_fma_f64 v[71:72], v[80:81], v[155:156], -v[84:85]
	v_fma_f64 v[73:74], v[82:83], v[155:156], v[73:74]
	v_add_f64 v[69:70], v[69:70], v[76:77]
	v_add_f64 v[2:3], v[2:3], v[78:79]
	;; [unrolled: 1-line block ×4, first 2 shown]
	s_waitcnt vmcnt(2)
	v_add_f64 v[69:70], v[98:99], -v[69:70]
	s_waitcnt vmcnt(0)
	v_add_f64 v[2:3], v[102:103], -v[2:3]
	buffer_store_dword v70, off, s[0:3], 0 offset:180
	buffer_store_dword v69, off, s[0:3], 0 offset:176
	;; [unrolled: 1-line block ×4, first 2 shown]
	v_cmpx_lt_u32_e32 9, v0
	s_cbranch_execz .LBB95_187
; %bb.186:
	v_mov_b32_e32 v2, s35
	s_clause 0x3
	buffer_load_dword v69, v2, s[0:3], 0 offen
	buffer_load_dword v70, v2, s[0:3], 0 offen offset:4
	buffer_load_dword v71, v2, s[0:3], 0 offen offset:8
	;; [unrolled: 1-line block ×3, first 2 shown]
	buffer_store_dword v1, off, s[0:3], 0 offset:160
	buffer_store_dword v1, off, s[0:3], 0 offset:164
	;; [unrolled: 1-line block ×4, first 2 shown]
	s_waitcnt vmcnt(0)
	ds_write_b128 v75, v[69:72]
.LBB95_187:
	s_or_b32 exec_lo, exec_lo, s4
	s_waitcnt lgkmcnt(0)
	s_waitcnt_vscnt null, 0x0
	s_barrier
	buffer_gl0_inv
	s_clause 0x37
	buffer_load_dword v2, off, s[0:3], 0 offset:184
	buffer_load_dword v3, off, s[0:3], 0 offset:188
	;; [unrolled: 1-line block ×56, first 2 shown]
	ds_read_b128 v[69:72], v1 offset:672
	s_clause 0x2
	buffer_load_dword v135, off, s[0:3], 0 offset:412
	buffer_load_dword v139, off, s[0:3], 0 offset:388
	;; [unrolled: 1-line block ×3, first 2 shown]
	ds_read_b128 v[76:79], v1 offset:688
	s_clause 0x4
	buffer_load_dword v143, off, s[0:3], 0 offset:428
	buffer_load_dword v144, off, s[0:3], 0 offset:440
	;; [unrolled: 1-line block ×5, first 2 shown]
	ds_read_b128 v[80:83], v1 offset:704
	s_mov_b32 s4, exec_lo
	s_waitcnt vmcnt(62) lgkmcnt(2)
	v_mul_f64 v[140:141], v[71:72], v[2:3]
	v_mul_f64 v[2:3], v[69:70], v[2:3]
	s_waitcnt vmcnt(60) lgkmcnt(1)
	v_mul_f64 v[147:148], v[78:79], v[73:74]
	v_mul_f64 v[73:74], v[76:77], v[73:74]
	;; [unrolled: 3-line block ×3, first 2 shown]
	v_fma_f64 v[140:141], v[69:70], v[84:85], -v[140:141]
	v_fma_f64 v[2:3], v[71:72], v[84:85], v[2:3]
	s_clause 0x2
	buffer_load_dword v145, off, s[0:3], 0 offset:444
	buffer_load_dword v85, off, s[0:3], 0 offset:420
	;; [unrolled: 1-line block ×3, first 2 shown]
	s_waitcnt vmcnt(57)
	v_fma_f64 v[151:152], v[76:77], v[88:89], -v[147:148]
	ds_read_b128 v[69:72], v1 offset:720
	v_fma_f64 v[73:74], v[78:79], v[88:89], v[73:74]
	s_clause 0x4
	buffer_load_dword v89, off, s[0:3], 0 offset:460
	buffer_load_dword v148, off, s[0:3], 0 offset:472
	buffer_load_dword v153, off, s[0:3], 0 offset:464
	buffer_load_dword v88, off, s[0:3], 0 offset:456
	buffer_load_dword v147, off, s[0:3], 0 offset:436
	s_waitcnt vmcnt(56)
	v_fma_f64 v[86:87], v[80:81], v[96:97], -v[86:87]
	ds_read_b128 v[76:79], v1 offset:736
	v_fma_f64 v[96:97], v[82:83], v[96:97], v[149:150]
	v_add_f64 v[140:141], v[140:141], 0
	v_add_f64 v[2:3], v[2:3], 0
	s_waitcnt lgkmcnt(1)
	v_mul_f64 v[154:155], v[69:70], v[90:91]
	v_mul_f64 v[90:91], v[71:72], v[90:91]
	v_add_f64 v[140:141], v[140:141], v[151:152]
	v_add_f64 v[2:3], v[2:3], v[73:74]
	s_clause 0x2
	buffer_load_dword v149, off, s[0:3], 0 offset:476
	buffer_load_dword v74, off, s[0:3], 0 offset:452
	;; [unrolled: 1-line block ×3, first 2 shown]
	s_waitcnt vmcnt(58) lgkmcnt(0)
	v_mul_f64 v[150:151], v[76:77], v[92:93]
	v_mul_f64 v[92:93], v[78:79], v[92:93]
	s_waitcnt vmcnt(56)
	v_fma_f64 v[90:91], v[69:70], v[98:99], -v[90:91]
	ds_read_b128 v[80:83], v1 offset:752
	v_fma_f64 v[98:99], v[71:72], v[98:99], v[154:155]
	v_add_f64 v[86:87], v[140:141], v[86:87]
	v_add_f64 v[2:3], v[2:3], v[96:97]
	s_clause 0x4
	buffer_load_dword v97, off, s[0:3], 0 offset:492
	buffer_load_dword v140, off, s[0:3], 0 offset:504
	;; [unrolled: 1-line block ×5, first 2 shown]
	ds_read_b128 v[69:72], v1 offset:768
	s_waitcnt vmcnt(57) lgkmcnt(1)
	v_mul_f64 v[156:157], v[80:81], v[100:101]
	v_mul_f64 v[100:101], v[82:83], v[100:101]
	s_waitcnt vmcnt(56)
	v_fma_f64 v[92:93], v[76:77], v[94:95], -v[92:93]
	v_add_f64 v[86:87], v[86:87], v[90:91]
	v_fma_f64 v[90:91], v[78:79], v[94:95], v[150:151]
	v_add_f64 v[2:3], v[2:3], v[98:99]
	s_clause 0x2
	buffer_load_dword v141, off, s[0:3], 0 offset:508
	buffer_load_dword v95, off, s[0:3], 0 offset:484
	;; [unrolled: 1-line block ×3, first 2 shown]
	s_waitcnt vmcnt(58) lgkmcnt(0)
	v_mul_f64 v[98:99], v[69:70], v[102:103]
	v_mul_f64 v[102:103], v[71:72], v[102:103]
	s_waitcnt vmcnt(56)
	v_fma_f64 v[100:101], v[80:81], v[106:107], -v[100:101]
	ds_read_b128 v[76:79], v1 offset:784
	v_add_f64 v[86:87], v[86:87], v[92:93]
	v_fma_f64 v[92:93], v[82:83], v[106:107], v[156:157]
	v_add_f64 v[2:3], v[2:3], v[90:91]
	s_clause 0x2
	buffer_load_dword v91, off, s[0:3], 0 offset:524
	buffer_load_dword v90, off, s[0:3], 0 offset:520
	;; [unrolled: 1-line block ×3, first 2 shown]
	ds_read_b128 v[80:83], v1 offset:800
	s_waitcnt vmcnt(55) lgkmcnt(1)
	v_mul_f64 v[106:107], v[76:77], v[108:109]
	v_mul_f64 v[108:109], v[78:79], v[108:109]
	s_waitcnt vmcnt(54)
	v_fma_f64 v[102:103], v[69:70], v[104:105], -v[102:103]
	v_fma_f64 v[98:99], v[71:72], v[104:105], v[98:99]
	v_add_f64 v[86:87], v[86:87], v[100:101]
	v_add_f64 v[2:3], v[2:3], v[92:93]
	s_clause 0x1
	buffer_load_dword v93, off, s[0:3], 0 offset:516
	buffer_load_dword v92, off, s[0:3], 0 offset:512
	s_waitcnt vmcnt(55) lgkmcnt(0)
	v_mul_f64 v[104:105], v[82:83], v[110:111]
	ds_read_b128 v[69:72], v1 offset:816
	s_waitcnt vmcnt(53)
	v_fma_f64 v[108:109], v[76:77], v[114:115], -v[108:109]
	v_mul_f64 v[100:101], v[80:81], v[110:111]
	v_add_f64 v[86:87], v[86:87], v[102:103]
	v_fma_f64 v[102:103], v[78:79], v[114:115], v[106:107]
	v_add_f64 v[2:3], v[2:3], v[98:99]
	ds_read_b128 v[76:79], v1 offset:832
	s_waitcnt vmcnt(49) lgkmcnt(1)
	v_mul_f64 v[106:107], v[71:72], v[116:117]
	s_waitcnt vmcnt(48)
	v_fma_f64 v[104:105], v[80:81], v[112:113], -v[104:105]
	v_mul_f64 v[98:99], v[69:70], v[116:117]
	v_fma_f64 v[100:101], v[82:83], v[112:113], v[100:101]
	v_add_f64 v[86:87], v[86:87], v[108:109]
	s_waitcnt vmcnt(47) lgkmcnt(0)
	v_mul_f64 v[112:113], v[78:79], v[118:119]
	v_add_f64 v[2:3], v[2:3], v[102:103]
	s_clause 0x3
	buffer_load_dword v102, off, s[0:3], 0 offset:160
	buffer_load_dword v103, off, s[0:3], 0 offset:164
	;; [unrolled: 1-line block ×4, first 2 shown]
	s_waitcnt vmcnt(49)
	v_fma_f64 v[106:107], v[69:70], v[122:123], -v[106:107]
	ds_read_b128 v[80:83], v1 offset:848
	v_mul_f64 v[110:111], v[76:77], v[118:119]
	v_fma_f64 v[98:99], v[71:72], v[122:123], v[98:99]
	ds_read_b128 v[69:72], v1 offset:864
	v_add_f64 v[86:87], v[86:87], v[104:105]
	s_waitcnt vmcnt(44)
	v_fma_f64 v[112:113], v[76:77], v[120:121], -v[112:113]
	v_add_f64 v[2:3], v[2:3], v[100:101]
	s_waitcnt lgkmcnt(1)
	v_mul_f64 v[104:105], v[82:83], v[124:125]
	v_mul_f64 v[100:101], v[80:81], v[124:125]
	v_add_f64 v[86:87], v[86:87], v[106:107]
	v_fma_f64 v[106:107], v[78:79], v[120:121], v[110:111]
	v_add_f64 v[2:3], v[2:3], v[98:99]
	s_waitcnt vmcnt(43) lgkmcnt(0)
	v_mul_f64 v[110:111], v[71:72], v[126:127]
	s_waitcnt vmcnt(41)
	v_fma_f64 v[104:105], v[80:81], v[130:131], -v[104:105]
	ds_read_b128 v[76:79], v1 offset:880
	v_mul_f64 v[98:99], v[69:70], v[126:127]
	v_fma_f64 v[100:101], v[82:83], v[130:131], v[100:101]
	ds_read_b128 v[80:83], v1 offset:896
	v_add_f64 v[86:87], v[86:87], v[112:113]
	v_add_f64 v[2:3], v[2:3], v[106:107]
	s_waitcnt vmcnt(37) lgkmcnt(1)
	v_mul_f64 v[112:113], v[78:79], v[132:133]
	s_waitcnt vmcnt(36)
	v_fma_f64 v[110:111], v[69:70], v[128:129], -v[110:111]
	v_mul_f64 v[106:107], v[76:77], v[132:133]
	v_fma_f64 v[98:99], v[71:72], v[128:129], v[98:99]
	ds_read_b128 v[69:72], v1 offset:912
	v_add_f64 v[86:87], v[86:87], v[104:105]
	s_waitcnt vmcnt(35) lgkmcnt(1)
	v_mul_f64 v[104:105], v[82:83], v[134:135]
	v_add_f64 v[2:3], v[2:3], v[100:101]
	s_waitcnt vmcnt(33)
	v_fma_f64 v[112:113], v[76:77], v[138:139], -v[112:113]
	v_mul_f64 v[100:101], v[80:81], v[134:135]
	v_fma_f64 v[106:107], v[78:79], v[138:139], v[106:107]
	ds_read_b128 v[76:79], v1 offset:928
	v_add_f64 v[86:87], v[86:87], v[110:111]
	s_waitcnt vmcnt(29) lgkmcnt(1)
	v_mul_f64 v[110:111], v[71:72], v[142:143]
	v_add_f64 v[2:3], v[2:3], v[98:99]
	s_waitcnt vmcnt(28)
	v_fma_f64 v[104:105], v[80:81], v[136:137], -v[104:105]
	v_mul_f64 v[98:99], v[69:70], v[142:143]
	v_fma_f64 v[100:101], v[82:83], v[136:137], v[100:101]
	ds_read_b128 v[80:83], v1 offset:944
	v_add_f64 v[86:87], v[86:87], v[112:113]
	v_add_f64 v[2:3], v[2:3], v[106:107]
	s_waitcnt vmcnt(27) lgkmcnt(1)
	v_mul_f64 v[112:113], v[78:79], v[144:145]
	v_mul_f64 v[106:107], v[76:77], v[144:145]
	s_waitcnt vmcnt(25)
	v_fma_f64 v[110:111], v[69:70], v[84:85], -v[110:111]
	v_fma_f64 v[84:85], v[71:72], v[84:85], v[98:99]
	ds_read_b128 v[69:72], v1 offset:960
	s_waitcnt vmcnt(21) lgkmcnt(1)
	v_mul_f64 v[98:99], v[80:81], v[88:89]
	v_mul_f64 v[88:89], v[82:83], v[88:89]
	v_add_f64 v[86:87], v[86:87], v[104:105]
	v_add_f64 v[2:3], v[2:3], v[100:101]
	s_waitcnt vmcnt(20)
	v_fma_f64 v[100:101], v[76:77], v[146:147], -v[112:113]
	v_fma_f64 v[104:105], v[78:79], v[146:147], v[106:107]
	ds_read_b128 v[76:79], v1 offset:976
	v_add_f64 v[86:87], v[86:87], v[110:111]
	v_add_f64 v[2:3], v[2:3], v[84:85]
	s_waitcnt vmcnt(19) lgkmcnt(1)
	v_mul_f64 v[106:107], v[71:72], v[148:149]
	v_mul_f64 v[84:85], v[69:70], v[148:149]
	s_waitcnt vmcnt(17)
	v_fma_f64 v[88:89], v[80:81], v[73:74], -v[88:89]
	v_fma_f64 v[73:74], v[82:83], v[73:74], v[98:99]
	ds_read_b128 v[80:83], v1 offset:992
	v_add_f64 v[86:87], v[86:87], v[100:101]
	v_add_f64 v[2:3], v[2:3], v[104:105]
	s_waitcnt vmcnt(13) lgkmcnt(1)
	v_mul_f64 v[98:99], v[76:77], v[96:97]
	v_mul_f64 v[96:97], v[78:79], v[96:97]
	s_waitcnt vmcnt(12)
	v_fma_f64 v[69:70], v[69:70], v[153:154], -v[106:107]
	v_fma_f64 v[71:72], v[71:72], v[153:154], v[84:85]
	v_add_f64 v[86:87], v[86:87], v[88:89]
	v_add_f64 v[73:74], v[2:3], v[73:74]
	ds_read_b128 v[1:4], v1 offset:1008
	s_waitcnt vmcnt(11) lgkmcnt(1)
	v_mul_f64 v[88:89], v[82:83], v[140:141]
	v_mul_f64 v[84:85], v[80:81], v[140:141]
	s_waitcnt vmcnt(9)
	v_fma_f64 v[76:77], v[76:77], v[94:95], -v[96:97]
	v_fma_f64 v[78:79], v[78:79], v[94:95], v[98:99]
	v_add_f64 v[69:70], v[86:87], v[69:70]
	v_add_f64 v[71:72], v[73:74], v[71:72]
	s_waitcnt vmcnt(7) lgkmcnt(0)
	v_mul_f64 v[86:87], v[3:4], v[90:91]
	s_waitcnt vmcnt(6)
	v_fma_f64 v[80:81], v[80:81], v[155:156], -v[88:89]
	v_mul_f64 v[73:74], v[1:2], v[90:91]
	v_add_f64 v[69:70], v[69:70], v[76:77]
	v_fma_f64 v[76:77], v[82:83], v[155:156], v[84:85]
	v_add_f64 v[71:72], v[71:72], v[78:79]
	s_waitcnt vmcnt(4)
	v_fma_f64 v[1:2], v[1:2], v[92:93], -v[86:87]
	v_fma_f64 v[3:4], v[3:4], v[92:93], v[73:74]
	v_add_f64 v[69:70], v[69:70], v[80:81]
	v_add_f64 v[71:72], v[71:72], v[76:77]
	;; [unrolled: 1-line block ×4, first 2 shown]
	s_waitcnt vmcnt(2)
	v_add_f64 v[1:2], v[102:103], -v[1:2]
	s_waitcnt vmcnt(0)
	v_add_f64 v[3:4], v[108:109], -v[3:4]
	buffer_store_dword v2, off, s[0:3], 0 offset:164
	buffer_store_dword v1, off, s[0:3], 0 offset:160
	;; [unrolled: 1-line block ×4, first 2 shown]
	v_cmpx_lt_u32_e32 8, v0
	s_cbranch_execz .LBB95_189
; %bb.188:
	v_mov_b32_e32 v4, s36
	v_mov_b32_e32 v69, 0
	s_clause 0x3
	buffer_load_dword v1, v4, s[0:3], 0 offen
	buffer_load_dword v2, v4, s[0:3], 0 offen offset:4
	buffer_load_dword v3, v4, s[0:3], 0 offen offset:8
	;; [unrolled: 1-line block ×3, first 2 shown]
	buffer_store_dword v69, off, s[0:3], 0 offset:144
	buffer_store_dword v69, off, s[0:3], 0 offset:148
	;; [unrolled: 1-line block ×4, first 2 shown]
	s_waitcnt vmcnt(0)
	ds_write_b128 v75, v[1:4]
.LBB95_189:
	s_or_b32 exec_lo, exec_lo, s4
	s_waitcnt lgkmcnt(0)
	s_waitcnt_vscnt null, 0x0
	s_barrier
	buffer_gl0_inv
	s_clause 0x37
	buffer_load_dword v2, off, s[0:3], 0 offset:168
	buffer_load_dword v3, off, s[0:3], 0 offset:172
	;; [unrolled: 1-line block ×56, first 2 shown]
	v_mov_b32_e32 v1, 0
	s_mov_b32 s4, exec_lo
	ds_read_b128 v[69:72], v1 offset:656
	s_clause 0x2
	buffer_load_dword v135, off, s[0:3], 0 offset:396
	buffer_load_dword v139, off, s[0:3], 0 offset:372
	;; [unrolled: 1-line block ×3, first 2 shown]
	ds_read_b128 v[76:79], v1 offset:672
	s_clause 0x4
	buffer_load_dword v143, off, s[0:3], 0 offset:412
	buffer_load_dword v144, off, s[0:3], 0 offset:424
	;; [unrolled: 1-line block ×5, first 2 shown]
	ds_read_b128 v[80:83], v1 offset:688
	s_waitcnt vmcnt(62) lgkmcnt(2)
	v_mul_f64 v[140:141], v[71:72], v[2:3]
	v_mul_f64 v[2:3], v[69:70], v[2:3]
	s_waitcnt vmcnt(60) lgkmcnt(1)
	v_mul_f64 v[147:148], v[78:79], v[73:74]
	v_mul_f64 v[73:74], v[76:77], v[73:74]
	;; [unrolled: 3-line block ×3, first 2 shown]
	v_fma_f64 v[140:141], v[69:70], v[84:85], -v[140:141]
	v_fma_f64 v[2:3], v[71:72], v[84:85], v[2:3]
	s_clause 0x2
	buffer_load_dword v145, off, s[0:3], 0 offset:428
	buffer_load_dword v85, off, s[0:3], 0 offset:404
	;; [unrolled: 1-line block ×3, first 2 shown]
	s_waitcnt vmcnt(57)
	v_fma_f64 v[151:152], v[76:77], v[88:89], -v[147:148]
	ds_read_b128 v[69:72], v1 offset:704
	v_fma_f64 v[73:74], v[78:79], v[88:89], v[73:74]
	s_clause 0x4
	buffer_load_dword v89, off, s[0:3], 0 offset:444
	buffer_load_dword v148, off, s[0:3], 0 offset:456
	;; [unrolled: 1-line block ×5, first 2 shown]
	s_waitcnt vmcnt(56)
	v_fma_f64 v[86:87], v[80:81], v[96:97], -v[86:87]
	ds_read_b128 v[76:79], v1 offset:720
	v_fma_f64 v[96:97], v[82:83], v[96:97], v[149:150]
	v_add_f64 v[140:141], v[140:141], 0
	v_add_f64 v[2:3], v[2:3], 0
	s_waitcnt lgkmcnt(1)
	v_mul_f64 v[154:155], v[69:70], v[90:91]
	v_mul_f64 v[90:91], v[71:72], v[90:91]
	v_add_f64 v[140:141], v[140:141], v[151:152]
	v_add_f64 v[2:3], v[2:3], v[73:74]
	s_clause 0x2
	buffer_load_dword v149, off, s[0:3], 0 offset:460
	buffer_load_dword v74, off, s[0:3], 0 offset:436
	;; [unrolled: 1-line block ×3, first 2 shown]
	s_waitcnt vmcnt(58) lgkmcnt(0)
	v_mul_f64 v[150:151], v[76:77], v[92:93]
	v_mul_f64 v[92:93], v[78:79], v[92:93]
	s_waitcnt vmcnt(56)
	v_fma_f64 v[90:91], v[69:70], v[98:99], -v[90:91]
	ds_read_b128 v[80:83], v1 offset:736
	v_fma_f64 v[98:99], v[71:72], v[98:99], v[154:155]
	v_add_f64 v[86:87], v[140:141], v[86:87]
	v_add_f64 v[2:3], v[2:3], v[96:97]
	s_clause 0x4
	buffer_load_dword v97, off, s[0:3], 0 offset:476
	buffer_load_dword v140, off, s[0:3], 0 offset:488
	;; [unrolled: 1-line block ×5, first 2 shown]
	ds_read_b128 v[69:72], v1 offset:752
	s_waitcnt vmcnt(57) lgkmcnt(1)
	v_mul_f64 v[156:157], v[80:81], v[100:101]
	v_mul_f64 v[100:101], v[82:83], v[100:101]
	s_waitcnt vmcnt(56)
	v_fma_f64 v[92:93], v[76:77], v[94:95], -v[92:93]
	v_add_f64 v[86:87], v[86:87], v[90:91]
	v_fma_f64 v[90:91], v[78:79], v[94:95], v[150:151]
	v_add_f64 v[2:3], v[2:3], v[98:99]
	s_clause 0x2
	buffer_load_dword v141, off, s[0:3], 0 offset:492
	buffer_load_dword v95, off, s[0:3], 0 offset:468
	;; [unrolled: 1-line block ×3, first 2 shown]
	s_waitcnt vmcnt(58) lgkmcnt(0)
	v_mul_f64 v[98:99], v[69:70], v[102:103]
	v_mul_f64 v[102:103], v[71:72], v[102:103]
	s_waitcnt vmcnt(56)
	v_fma_f64 v[100:101], v[80:81], v[106:107], -v[100:101]
	ds_read_b128 v[76:79], v1 offset:768
	v_add_f64 v[86:87], v[86:87], v[92:93]
	v_fma_f64 v[92:93], v[82:83], v[106:107], v[156:157]
	v_add_f64 v[2:3], v[2:3], v[90:91]
	s_clause 0x4
	buffer_load_dword v91, off, s[0:3], 0 offset:508
	buffer_load_dword v106, off, s[0:3], 0 offset:520
	;; [unrolled: 1-line block ×5, first 2 shown]
	ds_read_b128 v[80:83], v1 offset:784
	s_waitcnt vmcnt(57) lgkmcnt(1)
	v_mul_f64 v[151:152], v[76:77], v[108:109]
	v_mul_f64 v[108:109], v[78:79], v[108:109]
	s_waitcnt vmcnt(56)
	v_fma_f64 v[102:103], v[69:70], v[104:105], -v[102:103]
	v_fma_f64 v[98:99], v[71:72], v[104:105], v[98:99]
	v_add_f64 v[86:87], v[86:87], v[100:101]
	v_add_f64 v[2:3], v[2:3], v[92:93]
	s_clause 0x2
	buffer_load_dword v107, off, s[0:3], 0 offset:524
	buffer_load_dword v93, off, s[0:3], 0 offset:500
	buffer_load_dword v92, off, s[0:3], 0 offset:496
	s_waitcnt vmcnt(58) lgkmcnt(0)
	v_mul_f64 v[104:105], v[82:83], v[110:111]
	ds_read_b128 v[69:72], v1 offset:800
	s_waitcnt vmcnt(56)
	v_fma_f64 v[108:109], v[76:77], v[114:115], -v[108:109]
	v_mul_f64 v[100:101], v[80:81], v[110:111]
	v_add_f64 v[86:87], v[86:87], v[102:103]
	v_fma_f64 v[102:103], v[78:79], v[114:115], v[151:152]
	v_add_f64 v[2:3], v[2:3], v[98:99]
	buffer_load_dword v151, off, s[0:3], 0 offset:516
	ds_read_b128 v[76:79], v1 offset:816
	s_waitcnt vmcnt(53) lgkmcnt(1)
	v_mul_f64 v[110:111], v[71:72], v[116:117]
	s_waitcnt vmcnt(52)
	v_fma_f64 v[104:105], v[80:81], v[112:113], -v[104:105]
	v_mul_f64 v[98:99], v[69:70], v[116:117]
	v_fma_f64 v[100:101], v[82:83], v[112:113], v[100:101]
	ds_read_b128 v[80:83], v1 offset:832
	v_add_f64 v[86:87], v[86:87], v[108:109]
	v_add_f64 v[2:3], v[2:3], v[102:103]
	s_waitcnt vmcnt(51) lgkmcnt(1)
	v_mul_f64 v[108:109], v[78:79], v[118:119]
	v_mul_f64 v[102:103], v[76:77], v[118:119]
	s_waitcnt vmcnt(49)
	v_fma_f64 v[110:111], v[69:70], v[122:123], -v[110:111]
	v_fma_f64 v[98:99], v[71:72], v[122:123], v[98:99]
	s_waitcnt vmcnt(45) lgkmcnt(0)
	v_mul_f64 v[114:115], v[82:83], v[124:125]
	v_mul_f64 v[112:113], v[80:81], v[124:125]
	v_add_f64 v[86:87], v[86:87], v[104:105]
	v_add_f64 v[2:3], v[2:3], v[100:101]
	s_clause 0x3
	buffer_load_dword v100, off, s[0:3], 0 offset:144
	buffer_load_dword v101, off, s[0:3], 0 offset:148
	;; [unrolled: 1-line block ×4, first 2 shown]
	s_waitcnt vmcnt(48)
	v_fma_f64 v[108:109], v[76:77], v[120:121], -v[108:109]
	ds_read_b128 v[69:72], v1 offset:848
	v_fma_f64 v[102:103], v[78:79], v[120:121], v[102:103]
	ds_read_b128 v[76:79], v1 offset:864
	s_waitcnt vmcnt(45)
	v_fma_f64 v[114:115], v[80:81], v[130:131], -v[114:115]
	v_add_f64 v[86:87], v[86:87], v[110:111]
	v_add_f64 v[2:3], v[2:3], v[98:99]
	s_waitcnt lgkmcnt(1)
	v_mul_f64 v[110:111], v[71:72], v[126:127]
	v_mul_f64 v[98:99], v[69:70], v[126:127]
	v_add_f64 v[86:87], v[86:87], v[108:109]
	v_fma_f64 v[108:109], v[82:83], v[130:131], v[112:113]
	v_add_f64 v[2:3], v[2:3], v[102:103]
	s_waitcnt vmcnt(41) lgkmcnt(0)
	v_mul_f64 v[112:113], v[78:79], v[132:133]
	s_waitcnt vmcnt(40)
	v_fma_f64 v[110:111], v[69:70], v[128:129], -v[110:111]
	ds_read_b128 v[80:83], v1 offset:880
	v_mul_f64 v[102:103], v[76:77], v[132:133]
	v_fma_f64 v[98:99], v[71:72], v[128:129], v[98:99]
	ds_read_b128 v[69:72], v1 offset:896
	v_add_f64 v[86:87], v[86:87], v[114:115]
	v_add_f64 v[2:3], v[2:3], v[108:109]
	s_waitcnt vmcnt(39) lgkmcnt(1)
	v_mul_f64 v[114:115], v[82:83], v[134:135]
	s_waitcnt vmcnt(37)
	v_fma_f64 v[112:113], v[76:77], v[138:139], -v[112:113]
	v_mul_f64 v[108:109], v[80:81], v[134:135]
	v_fma_f64 v[102:103], v[78:79], v[138:139], v[102:103]
	ds_read_b128 v[76:79], v1 offset:912
	v_add_f64 v[86:87], v[86:87], v[110:111]
	s_waitcnt vmcnt(33) lgkmcnt(1)
	v_mul_f64 v[110:111], v[71:72], v[142:143]
	v_add_f64 v[2:3], v[2:3], v[98:99]
	s_waitcnt vmcnt(32)
	v_fma_f64 v[114:115], v[80:81], v[136:137], -v[114:115]
	v_mul_f64 v[98:99], v[69:70], v[142:143]
	v_fma_f64 v[108:109], v[82:83], v[136:137], v[108:109]
	ds_read_b128 v[80:83], v1 offset:928
	v_add_f64 v[86:87], v[86:87], v[112:113]
	v_add_f64 v[2:3], v[2:3], v[102:103]
	s_waitcnt vmcnt(31) lgkmcnt(1)
	v_mul_f64 v[112:113], v[78:79], v[144:145]
	v_mul_f64 v[102:103], v[76:77], v[144:145]
	s_waitcnt vmcnt(29)
	v_fma_f64 v[110:111], v[69:70], v[84:85], -v[110:111]
	v_fma_f64 v[84:85], v[71:72], v[84:85], v[98:99]
	ds_read_b128 v[69:72], v1 offset:944
	s_waitcnt vmcnt(25) lgkmcnt(1)
	v_mul_f64 v[98:99], v[80:81], v[88:89]
	v_mul_f64 v[88:89], v[82:83], v[88:89]
	v_add_f64 v[86:87], v[86:87], v[114:115]
	v_add_f64 v[2:3], v[2:3], v[108:109]
	s_waitcnt vmcnt(24)
	v_fma_f64 v[108:109], v[76:77], v[146:147], -v[112:113]
	v_fma_f64 v[102:103], v[78:79], v[146:147], v[102:103]
	ds_read_b128 v[76:79], v1 offset:960
	v_add_f64 v[86:87], v[86:87], v[110:111]
	v_add_f64 v[2:3], v[2:3], v[84:85]
	s_waitcnt vmcnt(23) lgkmcnt(1)
	v_mul_f64 v[110:111], v[71:72], v[148:149]
	v_mul_f64 v[84:85], v[69:70], v[148:149]
	s_waitcnt vmcnt(21)
	v_fma_f64 v[88:89], v[80:81], v[73:74], -v[88:89]
	v_fma_f64 v[73:74], v[82:83], v[73:74], v[98:99]
	ds_read_b128 v[80:83], v1 offset:976
	v_add_f64 v[86:87], v[86:87], v[108:109]
	v_add_f64 v[2:3], v[2:3], v[102:103]
	s_waitcnt vmcnt(17) lgkmcnt(1)
	v_mul_f64 v[98:99], v[76:77], v[96:97]
	v_mul_f64 v[96:97], v[78:79], v[96:97]
	;; [unrolled: 9-line block ×4, first 2 shown]
	s_waitcnt vmcnt(8)
	v_fma_f64 v[80:81], v[80:81], v[155:156], -v[88:89]
	v_fma_f64 v[73:74], v[82:83], v[155:156], v[73:74]
	v_add_f64 v[86:87], v[86:87], v[96:97]
	v_add_f64 v[2:3], v[2:3], v[94:95]
	s_waitcnt vmcnt(7) lgkmcnt(0)
	v_mul_f64 v[88:89], v[78:79], v[106:107]
	v_mul_f64 v[82:83], v[76:77], v[106:107]
	s_waitcnt vmcnt(5)
	v_fma_f64 v[69:70], v[69:70], v[92:93], -v[90:91]
	v_fma_f64 v[71:72], v[71:72], v[92:93], v[84:85]
	v_add_f64 v[80:81], v[86:87], v[80:81]
	v_add_f64 v[2:3], v[2:3], v[73:74]
	s_waitcnt vmcnt(4)
	v_fma_f64 v[73:74], v[76:77], v[150:151], -v[88:89]
	v_fma_f64 v[76:77], v[78:79], v[150:151], v[82:83]
	v_add_f64 v[69:70], v[80:81], v[69:70]
	v_add_f64 v[2:3], v[2:3], v[71:72]
	;; [unrolled: 1-line block ×4, first 2 shown]
	s_waitcnt vmcnt(2)
	v_add_f64 v[69:70], v[100:101], -v[69:70]
	s_waitcnt vmcnt(0)
	v_add_f64 v[2:3], v[104:105], -v[2:3]
	buffer_store_dword v70, off, s[0:3], 0 offset:148
	buffer_store_dword v69, off, s[0:3], 0 offset:144
	buffer_store_dword v3, off, s[0:3], 0 offset:156
	buffer_store_dword v2, off, s[0:3], 0 offset:152
	v_cmpx_lt_u32_e32 7, v0
	s_cbranch_execz .LBB95_191
; %bb.190:
	v_mov_b32_e32 v2, s37
	s_clause 0x3
	buffer_load_dword v69, v2, s[0:3], 0 offen
	buffer_load_dword v70, v2, s[0:3], 0 offen offset:4
	buffer_load_dword v71, v2, s[0:3], 0 offen offset:8
	;; [unrolled: 1-line block ×3, first 2 shown]
	buffer_store_dword v1, off, s[0:3], 0 offset:128
	buffer_store_dword v1, off, s[0:3], 0 offset:132
	;; [unrolled: 1-line block ×4, first 2 shown]
	s_waitcnt vmcnt(0)
	ds_write_b128 v75, v[69:72]
.LBB95_191:
	s_or_b32 exec_lo, exec_lo, s4
	s_waitcnt lgkmcnt(0)
	s_waitcnt_vscnt null, 0x0
	s_barrier
	buffer_gl0_inv
	s_clause 0x37
	buffer_load_dword v2, off, s[0:3], 0 offset:152
	buffer_load_dword v3, off, s[0:3], 0 offset:156
	buffer_load_dword v73, off, s[0:3], 0 offset:168
	buffer_load_dword v74, off, s[0:3], 0 offset:172
	buffer_load_dword v84, off, s[0:3], 0 offset:144
	buffer_load_dword v85, off, s[0:3], 0 offset:148
	buffer_load_dword v86, off, s[0:3], 0 offset:184
	buffer_load_dword v87, off, s[0:3], 0 offset:188
	buffer_load_dword v88, off, s[0:3], 0 offset:160
	buffer_load_dword v89, off, s[0:3], 0 offset:164
	buffer_load_dword v91, off, s[0:3], 0 offset:204
	buffer_load_dword v92, off, s[0:3], 0 offset:216
	buffer_load_dword v94, off, s[0:3], 0 offset:208
	buffer_load_dword v90, off, s[0:3], 0 offset:200
	buffer_load_dword v96, off, s[0:3], 0 offset:176
	buffer_load_dword v97, off, s[0:3], 0 offset:180
	buffer_load_dword v93, off, s[0:3], 0 offset:220
	buffer_load_dword v99, off, s[0:3], 0 offset:196
	buffer_load_dword v98, off, s[0:3], 0 offset:192
	buffer_load_dword v101, off, s[0:3], 0 offset:236
	buffer_load_dword v102, off, s[0:3], 0 offset:248
	buffer_load_dword v104, off, s[0:3], 0 offset:240
	buffer_load_dword v100, off, s[0:3], 0 offset:232
	buffer_load_dword v95, off, s[0:3], 0 offset:212
	buffer_load_dword v103, off, s[0:3], 0 offset:252
	buffer_load_dword v107, off, s[0:3], 0 offset:228
	buffer_load_dword v106, off, s[0:3], 0 offset:224
	buffer_load_dword v109, off, s[0:3], 0 offset:268
	buffer_load_dword v110, off, s[0:3], 0 offset:280
	buffer_load_dword v112, off, s[0:3], 0 offset:272
	buffer_load_dword v108, off, s[0:3], 0 offset:264
	buffer_load_dword v105, off, s[0:3], 0 offset:244
	buffer_load_dword v111, off, s[0:3], 0 offset:284
	buffer_load_dword v115, off, s[0:3], 0 offset:260
	buffer_load_dword v114, off, s[0:3], 0 offset:256
	buffer_load_dword v117, off, s[0:3], 0 offset:300
	buffer_load_dword v118, off, s[0:3], 0 offset:312
	buffer_load_dword v120, off, s[0:3], 0 offset:304
	buffer_load_dword v116, off, s[0:3], 0 offset:296
	buffer_load_dword v113, off, s[0:3], 0 offset:276
	buffer_load_dword v119, off, s[0:3], 0 offset:316
	buffer_load_dword v123, off, s[0:3], 0 offset:292
	buffer_load_dword v122, off, s[0:3], 0 offset:288
	buffer_load_dword v125, off, s[0:3], 0 offset:332
	buffer_load_dword v126, off, s[0:3], 0 offset:344
	buffer_load_dword v128, off, s[0:3], 0 offset:336
	buffer_load_dword v124, off, s[0:3], 0 offset:328
	buffer_load_dword v121, off, s[0:3], 0 offset:308
	buffer_load_dword v127, off, s[0:3], 0 offset:348
	buffer_load_dword v131, off, s[0:3], 0 offset:324
	buffer_load_dword v130, off, s[0:3], 0 offset:320
	buffer_load_dword v133, off, s[0:3], 0 offset:364
	buffer_load_dword v134, off, s[0:3], 0 offset:376
	buffer_load_dword v136, off, s[0:3], 0 offset:368
	buffer_load_dword v132, off, s[0:3], 0 offset:360
	buffer_load_dword v129, off, s[0:3], 0 offset:340
	ds_read_b128 v[69:72], v1 offset:640
	s_clause 0x2
	buffer_load_dword v135, off, s[0:3], 0 offset:380
	buffer_load_dword v139, off, s[0:3], 0 offset:356
	;; [unrolled: 1-line block ×3, first 2 shown]
	ds_read_b128 v[76:79], v1 offset:656
	s_clause 0x4
	buffer_load_dword v143, off, s[0:3], 0 offset:396
	buffer_load_dword v144, off, s[0:3], 0 offset:408
	;; [unrolled: 1-line block ×5, first 2 shown]
	ds_read_b128 v[80:83], v1 offset:672
	s_mov_b32 s4, exec_lo
	s_waitcnt vmcnt(62) lgkmcnt(2)
	v_mul_f64 v[140:141], v[71:72], v[2:3]
	v_mul_f64 v[2:3], v[69:70], v[2:3]
	s_waitcnt vmcnt(60) lgkmcnt(1)
	v_mul_f64 v[147:148], v[78:79], v[73:74]
	v_mul_f64 v[73:74], v[76:77], v[73:74]
	;; [unrolled: 3-line block ×3, first 2 shown]
	v_fma_f64 v[140:141], v[69:70], v[84:85], -v[140:141]
	v_fma_f64 v[2:3], v[71:72], v[84:85], v[2:3]
	s_clause 0x2
	buffer_load_dword v145, off, s[0:3], 0 offset:412
	buffer_load_dword v85, off, s[0:3], 0 offset:388
	;; [unrolled: 1-line block ×3, first 2 shown]
	s_waitcnt vmcnt(57)
	v_fma_f64 v[151:152], v[76:77], v[88:89], -v[147:148]
	ds_read_b128 v[69:72], v1 offset:688
	v_fma_f64 v[73:74], v[78:79], v[88:89], v[73:74]
	s_clause 0x4
	buffer_load_dword v89, off, s[0:3], 0 offset:428
	buffer_load_dword v148, off, s[0:3], 0 offset:440
	;; [unrolled: 1-line block ×5, first 2 shown]
	s_waitcnt vmcnt(56)
	v_fma_f64 v[86:87], v[80:81], v[96:97], -v[86:87]
	ds_read_b128 v[76:79], v1 offset:704
	v_fma_f64 v[96:97], v[82:83], v[96:97], v[149:150]
	v_add_f64 v[140:141], v[140:141], 0
	v_add_f64 v[2:3], v[2:3], 0
	s_waitcnt lgkmcnt(1)
	v_mul_f64 v[154:155], v[69:70], v[90:91]
	v_mul_f64 v[90:91], v[71:72], v[90:91]
	v_add_f64 v[140:141], v[140:141], v[151:152]
	v_add_f64 v[2:3], v[2:3], v[73:74]
	s_clause 0x2
	buffer_load_dword v149, off, s[0:3], 0 offset:444
	buffer_load_dword v74, off, s[0:3], 0 offset:420
	buffer_load_dword v73, off, s[0:3], 0 offset:416
	s_waitcnt vmcnt(58) lgkmcnt(0)
	v_mul_f64 v[150:151], v[76:77], v[92:93]
	v_mul_f64 v[92:93], v[78:79], v[92:93]
	s_waitcnt vmcnt(56)
	v_fma_f64 v[90:91], v[69:70], v[98:99], -v[90:91]
	ds_read_b128 v[80:83], v1 offset:720
	v_fma_f64 v[98:99], v[71:72], v[98:99], v[154:155]
	v_add_f64 v[86:87], v[140:141], v[86:87]
	v_add_f64 v[2:3], v[2:3], v[96:97]
	s_clause 0x4
	buffer_load_dword v97, off, s[0:3], 0 offset:460
	buffer_load_dword v140, off, s[0:3], 0 offset:472
	;; [unrolled: 1-line block ×5, first 2 shown]
	ds_read_b128 v[69:72], v1 offset:736
	s_waitcnt vmcnt(57) lgkmcnt(1)
	v_mul_f64 v[156:157], v[80:81], v[100:101]
	v_mul_f64 v[100:101], v[82:83], v[100:101]
	s_waitcnt vmcnt(56)
	v_fma_f64 v[92:93], v[76:77], v[94:95], -v[92:93]
	v_add_f64 v[86:87], v[86:87], v[90:91]
	v_fma_f64 v[90:91], v[78:79], v[94:95], v[150:151]
	v_add_f64 v[2:3], v[2:3], v[98:99]
	s_clause 0x2
	buffer_load_dword v141, off, s[0:3], 0 offset:476
	buffer_load_dword v95, off, s[0:3], 0 offset:452
	;; [unrolled: 1-line block ×3, first 2 shown]
	s_waitcnt vmcnt(58) lgkmcnt(0)
	v_mul_f64 v[98:99], v[69:70], v[102:103]
	v_mul_f64 v[102:103], v[71:72], v[102:103]
	s_waitcnt vmcnt(56)
	v_fma_f64 v[100:101], v[80:81], v[106:107], -v[100:101]
	ds_read_b128 v[76:79], v1 offset:752
	v_add_f64 v[86:87], v[86:87], v[92:93]
	v_fma_f64 v[92:93], v[82:83], v[106:107], v[156:157]
	v_add_f64 v[2:3], v[2:3], v[90:91]
	s_clause 0x4
	buffer_load_dword v91, off, s[0:3], 0 offset:492
	buffer_load_dword v106, off, s[0:3], 0 offset:504
	;; [unrolled: 1-line block ×5, first 2 shown]
	ds_read_b128 v[80:83], v1 offset:768
	s_waitcnt vmcnt(57) lgkmcnt(1)
	v_mul_f64 v[151:152], v[76:77], v[108:109]
	v_mul_f64 v[108:109], v[78:79], v[108:109]
	s_waitcnt vmcnt(56)
	v_fma_f64 v[102:103], v[69:70], v[104:105], -v[102:103]
	v_fma_f64 v[98:99], v[71:72], v[104:105], v[98:99]
	v_add_f64 v[86:87], v[86:87], v[100:101]
	v_add_f64 v[2:3], v[2:3], v[92:93]
	s_clause 0x2
	buffer_load_dword v107, off, s[0:3], 0 offset:508
	buffer_load_dword v93, off, s[0:3], 0 offset:484
	;; [unrolled: 1-line block ×3, first 2 shown]
	s_waitcnt vmcnt(58) lgkmcnt(0)
	v_mul_f64 v[104:105], v[82:83], v[110:111]
	ds_read_b128 v[69:72], v1 offset:784
	s_waitcnt vmcnt(56)
	v_fma_f64 v[108:109], v[76:77], v[114:115], -v[108:109]
	v_mul_f64 v[100:101], v[80:81], v[110:111]
	v_add_f64 v[86:87], v[86:87], v[102:103]
	v_fma_f64 v[102:103], v[78:79], v[114:115], v[151:152]
	v_add_f64 v[2:3], v[2:3], v[98:99]
	s_clause 0x2
	buffer_load_dword v99, off, s[0:3], 0 offset:524
	buffer_load_dword v98, off, s[0:3], 0 offset:520
	;; [unrolled: 1-line block ×3, first 2 shown]
	s_waitcnt vmcnt(55) lgkmcnt(0)
	v_mul_f64 v[114:115], v[71:72], v[116:117]
	s_waitcnt vmcnt(54)
	v_fma_f64 v[104:105], v[80:81], v[112:113], -v[104:105]
	ds_read_b128 v[76:79], v1 offset:800
	v_mul_f64 v[110:111], v[69:70], v[116:117]
	v_fma_f64 v[100:101], v[82:83], v[112:113], v[100:101]
	v_add_f64 v[86:87], v[86:87], v[108:109]
	v_add_f64 v[2:3], v[2:3], v[102:103]
	s_clause 0x1
	buffer_load_dword v103, off, s[0:3], 0 offset:516
	buffer_load_dword v102, off, s[0:3], 0 offset:512
	s_waitcnt vmcnt(55) lgkmcnt(0)
	v_mul_f64 v[112:113], v[78:79], v[118:119]
	s_waitcnt vmcnt(53)
	v_fma_f64 v[114:115], v[69:70], v[122:123], -v[114:115]
	ds_read_b128 v[80:83], v1 offset:816
	v_mul_f64 v[108:109], v[76:77], v[118:119]
	v_add_f64 v[86:87], v[86:87], v[104:105]
	v_fma_f64 v[104:105], v[71:72], v[122:123], v[110:111]
	v_add_f64 v[2:3], v[2:3], v[100:101]
	ds_read_b128 v[69:72], v1 offset:832
	s_waitcnt vmcnt(49) lgkmcnt(1)
	v_mul_f64 v[110:111], v[82:83], v[124:125]
	s_waitcnt vmcnt(48)
	v_fma_f64 v[112:113], v[76:77], v[120:121], -v[112:113]
	v_mul_f64 v[100:101], v[80:81], v[124:125]
	v_fma_f64 v[108:109], v[78:79], v[120:121], v[108:109]
	v_add_f64 v[86:87], v[86:87], v[114:115]
	s_waitcnt vmcnt(47) lgkmcnt(0)
	v_mul_f64 v[118:119], v[71:72], v[126:127]
	v_add_f64 v[2:3], v[2:3], v[104:105]
	s_clause 0x3
	buffer_load_dword v104, off, s[0:3], 0 offset:128
	buffer_load_dword v105, off, s[0:3], 0 offset:132
	;; [unrolled: 1-line block ×4, first 2 shown]
	s_waitcnt vmcnt(49)
	v_fma_f64 v[110:111], v[80:81], v[130:131], -v[110:111]
	ds_read_b128 v[76:79], v1 offset:848
	v_mul_f64 v[116:117], v[69:70], v[126:127]
	v_fma_f64 v[100:101], v[82:83], v[130:131], v[100:101]
	ds_read_b128 v[80:83], v1 offset:864
	v_add_f64 v[86:87], v[86:87], v[112:113]
	s_waitcnt vmcnt(44)
	v_fma_f64 v[118:119], v[69:70], v[128:129], -v[118:119]
	v_add_f64 v[2:3], v[2:3], v[108:109]
	s_waitcnt lgkmcnt(1)
	v_mul_f64 v[112:113], v[78:79], v[132:133]
	v_mul_f64 v[108:109], v[76:77], v[132:133]
	v_add_f64 v[86:87], v[86:87], v[110:111]
	v_fma_f64 v[110:111], v[71:72], v[128:129], v[116:117]
	v_add_f64 v[2:3], v[2:3], v[100:101]
	s_waitcnt vmcnt(43) lgkmcnt(0)
	v_mul_f64 v[116:117], v[82:83], v[134:135]
	s_waitcnt vmcnt(41)
	v_fma_f64 v[112:113], v[76:77], v[138:139], -v[112:113]
	ds_read_b128 v[69:72], v1 offset:880
	v_mul_f64 v[100:101], v[80:81], v[134:135]
	v_fma_f64 v[108:109], v[78:79], v[138:139], v[108:109]
	ds_read_b128 v[76:79], v1 offset:896
	v_add_f64 v[86:87], v[86:87], v[118:119]
	v_add_f64 v[2:3], v[2:3], v[110:111]
	s_waitcnt vmcnt(37) lgkmcnt(1)
	v_mul_f64 v[118:119], v[71:72], v[142:143]
	s_waitcnt vmcnt(36)
	v_fma_f64 v[116:117], v[80:81], v[136:137], -v[116:117]
	v_mul_f64 v[110:111], v[69:70], v[142:143]
	v_fma_f64 v[100:101], v[82:83], v[136:137], v[100:101]
	ds_read_b128 v[80:83], v1 offset:912
	v_add_f64 v[86:87], v[86:87], v[112:113]
	v_add_f64 v[2:3], v[2:3], v[108:109]
	s_waitcnt vmcnt(35) lgkmcnt(1)
	v_mul_f64 v[112:113], v[78:79], v[144:145]
	v_mul_f64 v[108:109], v[76:77], v[144:145]
	s_waitcnt vmcnt(33)
	v_fma_f64 v[118:119], v[69:70], v[84:85], -v[118:119]
	v_fma_f64 v[84:85], v[71:72], v[84:85], v[110:111]
	ds_read_b128 v[69:72], v1 offset:928
	v_add_f64 v[86:87], v[86:87], v[116:117]
	v_add_f64 v[2:3], v[2:3], v[100:101]
	s_waitcnt vmcnt(29) lgkmcnt(1)
	v_mul_f64 v[100:101], v[80:81], v[88:89]
	v_mul_f64 v[88:89], v[82:83], v[88:89]
	s_waitcnt vmcnt(28)
	v_fma_f64 v[110:111], v[76:77], v[146:147], -v[112:113]
	;; [unrolled: 9-line block ×6, first 2 shown]
	v_fma_f64 v[73:74], v[82:83], v[155:156], v[73:74]
	v_add_f64 v[86:87], v[86:87], v[96:97]
	v_add_f64 v[82:83], v[2:3], v[94:95]
	ds_read_b128 v[1:4], v1 offset:1008
	s_waitcnt vmcnt(11) lgkmcnt(1)
	v_mul_f64 v[94:95], v[78:79], v[106:107]
	v_mul_f64 v[88:89], v[76:77], v[106:107]
	s_waitcnt vmcnt(9)
	v_fma_f64 v[69:70], v[69:70], v[92:93], -v[90:91]
	v_fma_f64 v[71:72], v[71:72], v[92:93], v[84:85]
	v_add_f64 v[80:81], v[86:87], v[80:81]
	v_add_f64 v[73:74], v[82:83], v[73:74]
	s_waitcnt vmcnt(7) lgkmcnt(0)
	v_mul_f64 v[84:85], v[3:4], v[98:99]
	s_waitcnt vmcnt(6)
	v_fma_f64 v[76:77], v[76:77], v[150:151], -v[94:95]
	v_mul_f64 v[82:83], v[1:2], v[98:99]
	v_fma_f64 v[78:79], v[78:79], v[150:151], v[88:89]
	v_add_f64 v[69:70], v[80:81], v[69:70]
	v_add_f64 v[71:72], v[73:74], v[71:72]
	s_waitcnt vmcnt(4)
	v_fma_f64 v[1:2], v[1:2], v[102:103], -v[84:85]
	v_fma_f64 v[3:4], v[3:4], v[102:103], v[82:83]
	v_add_f64 v[69:70], v[69:70], v[76:77]
	v_add_f64 v[71:72], v[71:72], v[78:79]
	;; [unrolled: 1-line block ×4, first 2 shown]
	s_waitcnt vmcnt(2)
	v_add_f64 v[1:2], v[104:105], -v[1:2]
	s_waitcnt vmcnt(0)
	v_add_f64 v[3:4], v[114:115], -v[3:4]
	buffer_store_dword v2, off, s[0:3], 0 offset:132
	buffer_store_dword v1, off, s[0:3], 0 offset:128
	;; [unrolled: 1-line block ×4, first 2 shown]
	v_cmpx_lt_u32_e32 6, v0
	s_cbranch_execz .LBB95_193
; %bb.192:
	v_mov_b32_e32 v4, s38
	v_mov_b32_e32 v69, 0
	s_clause 0x3
	buffer_load_dword v1, v4, s[0:3], 0 offen
	buffer_load_dword v2, v4, s[0:3], 0 offen offset:4
	buffer_load_dword v3, v4, s[0:3], 0 offen offset:8
	;; [unrolled: 1-line block ×3, first 2 shown]
	buffer_store_dword v69, off, s[0:3], 0 offset:112
	buffer_store_dword v69, off, s[0:3], 0 offset:116
	;; [unrolled: 1-line block ×4, first 2 shown]
	s_waitcnt vmcnt(0)
	ds_write_b128 v75, v[1:4]
.LBB95_193:
	s_or_b32 exec_lo, exec_lo, s4
	s_waitcnt lgkmcnt(0)
	s_waitcnt_vscnt null, 0x0
	s_barrier
	buffer_gl0_inv
	s_clause 0x37
	buffer_load_dword v2, off, s[0:3], 0 offset:136
	buffer_load_dword v3, off, s[0:3], 0 offset:140
	;; [unrolled: 1-line block ×56, first 2 shown]
	v_mov_b32_e32 v1, 0
	s_mov_b32 s4, exec_lo
	ds_read_b128 v[69:72], v1 offset:624
	s_clause 0x2
	buffer_load_dword v135, off, s[0:3], 0 offset:364
	buffer_load_dword v139, off, s[0:3], 0 offset:340
	;; [unrolled: 1-line block ×3, first 2 shown]
	ds_read_b128 v[76:79], v1 offset:640
	s_clause 0x4
	buffer_load_dword v143, off, s[0:3], 0 offset:380
	buffer_load_dword v144, off, s[0:3], 0 offset:392
	;; [unrolled: 1-line block ×5, first 2 shown]
	ds_read_b128 v[80:83], v1 offset:656
	s_waitcnt vmcnt(62) lgkmcnt(2)
	v_mul_f64 v[140:141], v[71:72], v[2:3]
	v_mul_f64 v[2:3], v[69:70], v[2:3]
	s_waitcnt vmcnt(60) lgkmcnt(1)
	v_mul_f64 v[147:148], v[78:79], v[73:74]
	v_mul_f64 v[73:74], v[76:77], v[73:74]
	;; [unrolled: 3-line block ×3, first 2 shown]
	v_fma_f64 v[140:141], v[69:70], v[84:85], -v[140:141]
	v_fma_f64 v[2:3], v[71:72], v[84:85], v[2:3]
	s_clause 0x2
	buffer_load_dword v145, off, s[0:3], 0 offset:396
	buffer_load_dword v85, off, s[0:3], 0 offset:372
	;; [unrolled: 1-line block ×3, first 2 shown]
	s_waitcnt vmcnt(57)
	v_fma_f64 v[151:152], v[76:77], v[88:89], -v[147:148]
	ds_read_b128 v[69:72], v1 offset:672
	v_fma_f64 v[73:74], v[78:79], v[88:89], v[73:74]
	s_clause 0x4
	buffer_load_dword v89, off, s[0:3], 0 offset:412
	buffer_load_dword v148, off, s[0:3], 0 offset:424
	;; [unrolled: 1-line block ×5, first 2 shown]
	s_waitcnt vmcnt(56)
	v_fma_f64 v[86:87], v[80:81], v[96:97], -v[86:87]
	ds_read_b128 v[76:79], v1 offset:688
	v_fma_f64 v[96:97], v[82:83], v[96:97], v[149:150]
	v_add_f64 v[140:141], v[140:141], 0
	v_add_f64 v[2:3], v[2:3], 0
	s_waitcnt lgkmcnt(1)
	v_mul_f64 v[154:155], v[69:70], v[90:91]
	v_mul_f64 v[90:91], v[71:72], v[90:91]
	v_add_f64 v[140:141], v[140:141], v[151:152]
	v_add_f64 v[2:3], v[2:3], v[73:74]
	s_clause 0x2
	buffer_load_dword v149, off, s[0:3], 0 offset:428
	buffer_load_dword v74, off, s[0:3], 0 offset:404
	;; [unrolled: 1-line block ×3, first 2 shown]
	s_waitcnt vmcnt(58) lgkmcnt(0)
	v_mul_f64 v[150:151], v[76:77], v[92:93]
	v_mul_f64 v[92:93], v[78:79], v[92:93]
	s_waitcnt vmcnt(56)
	v_fma_f64 v[90:91], v[69:70], v[98:99], -v[90:91]
	ds_read_b128 v[80:83], v1 offset:704
	v_fma_f64 v[98:99], v[71:72], v[98:99], v[154:155]
	v_add_f64 v[86:87], v[140:141], v[86:87]
	v_add_f64 v[2:3], v[2:3], v[96:97]
	s_clause 0x4
	buffer_load_dword v97, off, s[0:3], 0 offset:444
	buffer_load_dword v140, off, s[0:3], 0 offset:456
	;; [unrolled: 1-line block ×5, first 2 shown]
	ds_read_b128 v[69:72], v1 offset:720
	s_waitcnt vmcnt(57) lgkmcnt(1)
	v_mul_f64 v[156:157], v[80:81], v[100:101]
	v_mul_f64 v[100:101], v[82:83], v[100:101]
	s_waitcnt vmcnt(56)
	v_fma_f64 v[92:93], v[76:77], v[94:95], -v[92:93]
	v_add_f64 v[86:87], v[86:87], v[90:91]
	v_fma_f64 v[90:91], v[78:79], v[94:95], v[150:151]
	v_add_f64 v[2:3], v[2:3], v[98:99]
	s_clause 0x2
	buffer_load_dword v141, off, s[0:3], 0 offset:460
	buffer_load_dword v95, off, s[0:3], 0 offset:436
	;; [unrolled: 1-line block ×3, first 2 shown]
	s_waitcnt vmcnt(58) lgkmcnt(0)
	v_mul_f64 v[98:99], v[69:70], v[102:103]
	v_mul_f64 v[102:103], v[71:72], v[102:103]
	s_waitcnt vmcnt(56)
	v_fma_f64 v[100:101], v[80:81], v[106:107], -v[100:101]
	ds_read_b128 v[76:79], v1 offset:736
	v_add_f64 v[86:87], v[86:87], v[92:93]
	v_fma_f64 v[92:93], v[82:83], v[106:107], v[156:157]
	v_add_f64 v[2:3], v[2:3], v[90:91]
	s_clause 0x4
	buffer_load_dword v91, off, s[0:3], 0 offset:476
	buffer_load_dword v106, off, s[0:3], 0 offset:488
	buffer_load_dword v150, off, s[0:3], 0 offset:480
	buffer_load_dword v90, off, s[0:3], 0 offset:472
	buffer_load_dword v156, off, s[0:3], 0 offset:452
	ds_read_b128 v[80:83], v1 offset:752
	s_waitcnt vmcnt(57) lgkmcnt(1)
	v_mul_f64 v[151:152], v[76:77], v[108:109]
	v_mul_f64 v[108:109], v[78:79], v[108:109]
	s_waitcnt vmcnt(56)
	v_fma_f64 v[102:103], v[69:70], v[104:105], -v[102:103]
	v_fma_f64 v[98:99], v[71:72], v[104:105], v[98:99]
	v_add_f64 v[86:87], v[86:87], v[100:101]
	v_add_f64 v[2:3], v[2:3], v[92:93]
	s_clause 0x2
	buffer_load_dword v107, off, s[0:3], 0 offset:492
	buffer_load_dword v93, off, s[0:3], 0 offset:468
	;; [unrolled: 1-line block ×3, first 2 shown]
	s_waitcnt vmcnt(58) lgkmcnt(0)
	v_mul_f64 v[104:105], v[82:83], v[110:111]
	ds_read_b128 v[69:72], v1 offset:768
	s_waitcnt vmcnt(56)
	v_fma_f64 v[108:109], v[76:77], v[114:115], -v[108:109]
	v_mul_f64 v[100:101], v[80:81], v[110:111]
	v_add_f64 v[86:87], v[86:87], v[102:103]
	v_fma_f64 v[102:103], v[78:79], v[114:115], v[151:152]
	v_add_f64 v[2:3], v[2:3], v[98:99]
	s_clause 0x4
	buffer_load_dword v99, off, s[0:3], 0 offset:508
	buffer_load_dword v110, off, s[0:3], 0 offset:520
	;; [unrolled: 1-line block ×5, first 2 shown]
	s_waitcnt vmcnt(57) lgkmcnt(0)
	v_mul_f64 v[157:158], v[69:70], v[116:117]
	v_mul_f64 v[115:116], v[71:72], v[116:117]
	s_waitcnt vmcnt(56)
	v_fma_f64 v[104:105], v[80:81], v[112:113], -v[104:105]
	ds_read_b128 v[76:79], v1 offset:784
	v_fma_f64 v[100:101], v[82:83], v[112:113], v[100:101]
	v_add_f64 v[86:87], v[86:87], v[108:109]
	v_add_f64 v[2:3], v[2:3], v[102:103]
	s_clause 0x2
	buffer_load_dword v111, off, s[0:3], 0 offset:524
	buffer_load_dword v103, off, s[0:3], 0 offset:500
	;; [unrolled: 1-line block ×3, first 2 shown]
	ds_read_b128 v[80:83], v1 offset:800
	s_waitcnt vmcnt(58) lgkmcnt(1)
	v_mul_f64 v[112:113], v[78:79], v[118:119]
	s_waitcnt vmcnt(56)
	v_fma_f64 v[116:117], v[69:70], v[122:123], -v[115:116]
	v_mul_f64 v[108:109], v[76:77], v[118:119]
	buffer_load_dword v115, off, s[0:3], 0 offset:516
	v_add_f64 v[86:87], v[86:87], v[104:105]
	v_fma_f64 v[104:105], v[71:72], v[122:123], v[157:158]
	v_add_f64 v[2:3], v[2:3], v[100:101]
	ds_read_b128 v[69:72], v1 offset:816
	s_waitcnt vmcnt(53) lgkmcnt(1)
	v_mul_f64 v[118:119], v[82:83], v[124:125]
	s_waitcnt vmcnt(52)
	v_fma_f64 v[112:113], v[76:77], v[120:121], -v[112:113]
	v_mul_f64 v[100:101], v[80:81], v[124:125]
	v_fma_f64 v[108:109], v[78:79], v[120:121], v[108:109]
	ds_read_b128 v[76:79], v1 offset:832
	v_add_f64 v[86:87], v[86:87], v[116:117]
	s_waitcnt vmcnt(51) lgkmcnt(1)
	v_mul_f64 v[116:117], v[71:72], v[126:127]
	v_add_f64 v[2:3], v[2:3], v[104:105]
	v_mul_f64 v[104:105], v[69:70], v[126:127]
	s_waitcnt vmcnt(49)
	v_fma_f64 v[118:119], v[80:81], v[130:131], -v[118:119]
	v_fma_f64 v[100:101], v[82:83], v[130:131], v[100:101]
	s_waitcnt vmcnt(45) lgkmcnt(0)
	v_mul_f64 v[122:123], v[78:79], v[132:133]
	v_mul_f64 v[120:121], v[76:77], v[132:133]
	v_add_f64 v[86:87], v[86:87], v[112:113]
	s_waitcnt vmcnt(44)
	v_fma_f64 v[116:117], v[69:70], v[128:129], -v[116:117]
	v_add_f64 v[2:3], v[2:3], v[108:109]
	s_clause 0x3
	buffer_load_dword v108, off, s[0:3], 0 offset:112
	buffer_load_dword v109, off, s[0:3], 0 offset:116
	;; [unrolled: 1-line block ×4, first 2 shown]
	ds_read_b128 v[80:83], v1 offset:848
	v_fma_f64 v[104:105], v[71:72], v[128:129], v[104:105]
	ds_read_b128 v[69:72], v1 offset:864
	s_waitcnt vmcnt(45)
	v_fma_f64 v[122:123], v[76:77], v[138:139], -v[122:123]
	v_add_f64 v[86:87], v[86:87], v[118:119]
	v_add_f64 v[2:3], v[2:3], v[100:101]
	s_waitcnt lgkmcnt(1)
	v_mul_f64 v[118:119], v[82:83], v[134:135]
	v_mul_f64 v[100:101], v[80:81], v[134:135]
	v_add_f64 v[86:87], v[86:87], v[116:117]
	v_fma_f64 v[116:117], v[78:79], v[138:139], v[120:121]
	v_add_f64 v[2:3], v[2:3], v[104:105]
	s_waitcnt vmcnt(41) lgkmcnt(0)
	v_mul_f64 v[120:121], v[71:72], v[142:143]
	s_waitcnt vmcnt(40)
	v_fma_f64 v[118:119], v[80:81], v[136:137], -v[118:119]
	ds_read_b128 v[76:79], v1 offset:880
	v_mul_f64 v[104:105], v[69:70], v[142:143]
	v_fma_f64 v[100:101], v[82:83], v[136:137], v[100:101]
	ds_read_b128 v[80:83], v1 offset:896
	v_add_f64 v[86:87], v[86:87], v[122:123]
	v_add_f64 v[2:3], v[2:3], v[116:117]
	s_waitcnt vmcnt(39) lgkmcnt(1)
	v_mul_f64 v[122:123], v[78:79], v[144:145]
	v_mul_f64 v[116:117], v[76:77], v[144:145]
	s_waitcnt vmcnt(37)
	v_fma_f64 v[120:121], v[69:70], v[84:85], -v[120:121]
	v_fma_f64 v[84:85], v[71:72], v[84:85], v[104:105]
	ds_read_b128 v[69:72], v1 offset:912
	v_add_f64 v[86:87], v[86:87], v[118:119]
	v_add_f64 v[2:3], v[2:3], v[100:101]
	s_waitcnt vmcnt(33) lgkmcnt(1)
	v_mul_f64 v[100:101], v[80:81], v[88:89]
	v_mul_f64 v[88:89], v[82:83], v[88:89]
	s_waitcnt vmcnt(32)
	v_fma_f64 v[104:105], v[76:77], v[146:147], -v[122:123]
	;; [unrolled: 9-line block ×7, first 2 shown]
	v_fma_f64 v[84:85], v[71:72], v[92:93], v[84:85]
	ds_read_b128 v[69:72], v1 offset:1008
	v_add_f64 v[86:87], v[86:87], v[88:89]
	v_add_f64 v[2:3], v[2:3], v[73:74]
	s_waitcnt vmcnt(9) lgkmcnt(1)
	v_mul_f64 v[88:89], v[82:83], v[98:99]
	s_waitcnt vmcnt(8)
	v_fma_f64 v[76:77], v[76:77], v[150:151], -v[96:97]
	v_mul_f64 v[73:74], v[80:81], v[98:99]
	v_fma_f64 v[78:79], v[78:79], v[150:151], v[94:95]
	v_add_f64 v[86:87], v[86:87], v[90:91]
	v_add_f64 v[2:3], v[2:3], v[84:85]
	s_waitcnt vmcnt(7) lgkmcnt(0)
	v_mul_f64 v[90:91], v[71:72], v[110:111]
	v_mul_f64 v[84:85], v[69:70], v[110:111]
	s_waitcnt vmcnt(5)
	v_fma_f64 v[80:81], v[80:81], v[102:103], -v[88:89]
	v_fma_f64 v[73:74], v[82:83], v[102:103], v[73:74]
	v_add_f64 v[76:77], v[86:87], v[76:77]
	v_add_f64 v[2:3], v[2:3], v[78:79]
	s_waitcnt vmcnt(4)
	v_fma_f64 v[69:70], v[69:70], v[114:115], -v[90:91]
	v_fma_f64 v[71:72], v[71:72], v[114:115], v[84:85]
	v_add_f64 v[76:77], v[76:77], v[80:81]
	v_add_f64 v[2:3], v[2:3], v[73:74]
	;; [unrolled: 1-line block ×4, first 2 shown]
	s_waitcnt vmcnt(2)
	v_add_f64 v[69:70], v[108:109], -v[69:70]
	s_waitcnt vmcnt(0)
	v_add_f64 v[2:3], v[112:113], -v[2:3]
	buffer_store_dword v70, off, s[0:3], 0 offset:116
	buffer_store_dword v69, off, s[0:3], 0 offset:112
	;; [unrolled: 1-line block ×4, first 2 shown]
	v_cmpx_lt_u32_e32 5, v0
	s_cbranch_execz .LBB95_195
; %bb.194:
	v_mov_b32_e32 v2, s39
	s_clause 0x3
	buffer_load_dword v69, v2, s[0:3], 0 offen
	buffer_load_dword v70, v2, s[0:3], 0 offen offset:4
	buffer_load_dword v71, v2, s[0:3], 0 offen offset:8
	;; [unrolled: 1-line block ×3, first 2 shown]
	buffer_store_dword v1, off, s[0:3], 0 offset:96
	buffer_store_dword v1, off, s[0:3], 0 offset:100
	;; [unrolled: 1-line block ×4, first 2 shown]
	s_waitcnt vmcnt(0)
	ds_write_b128 v75, v[69:72]
.LBB95_195:
	s_or_b32 exec_lo, exec_lo, s4
	s_waitcnt lgkmcnt(0)
	s_waitcnt_vscnt null, 0x0
	s_barrier
	buffer_gl0_inv
	s_clause 0x37
	buffer_load_dword v2, off, s[0:3], 0 offset:120
	buffer_load_dword v3, off, s[0:3], 0 offset:124
	;; [unrolled: 1-line block ×56, first 2 shown]
	ds_read_b128 v[69:72], v1 offset:608
	s_clause 0x2
	buffer_load_dword v135, off, s[0:3], 0 offset:348
	buffer_load_dword v139, off, s[0:3], 0 offset:324
	;; [unrolled: 1-line block ×3, first 2 shown]
	ds_read_b128 v[76:79], v1 offset:624
	s_clause 0x4
	buffer_load_dword v143, off, s[0:3], 0 offset:364
	buffer_load_dword v144, off, s[0:3], 0 offset:376
	;; [unrolled: 1-line block ×5, first 2 shown]
	ds_read_b128 v[80:83], v1 offset:640
	s_mov_b32 s4, exec_lo
	s_waitcnt vmcnt(62) lgkmcnt(2)
	v_mul_f64 v[140:141], v[71:72], v[2:3]
	v_mul_f64 v[2:3], v[69:70], v[2:3]
	s_waitcnt vmcnt(60) lgkmcnt(1)
	v_mul_f64 v[147:148], v[78:79], v[73:74]
	v_mul_f64 v[73:74], v[76:77], v[73:74]
	;; [unrolled: 3-line block ×3, first 2 shown]
	v_fma_f64 v[140:141], v[69:70], v[84:85], -v[140:141]
	v_fma_f64 v[2:3], v[71:72], v[84:85], v[2:3]
	s_clause 0x2
	buffer_load_dword v145, off, s[0:3], 0 offset:380
	buffer_load_dword v85, off, s[0:3], 0 offset:356
	;; [unrolled: 1-line block ×3, first 2 shown]
	s_waitcnt vmcnt(57)
	v_fma_f64 v[151:152], v[76:77], v[88:89], -v[147:148]
	ds_read_b128 v[69:72], v1 offset:656
	v_fma_f64 v[73:74], v[78:79], v[88:89], v[73:74]
	s_clause 0x4
	buffer_load_dword v89, off, s[0:3], 0 offset:396
	buffer_load_dword v148, off, s[0:3], 0 offset:408
	;; [unrolled: 1-line block ×5, first 2 shown]
	s_waitcnt vmcnt(56)
	v_fma_f64 v[86:87], v[80:81], v[96:97], -v[86:87]
	ds_read_b128 v[76:79], v1 offset:672
	v_fma_f64 v[96:97], v[82:83], v[96:97], v[149:150]
	v_add_f64 v[140:141], v[140:141], 0
	v_add_f64 v[2:3], v[2:3], 0
	s_waitcnt lgkmcnt(1)
	v_mul_f64 v[154:155], v[69:70], v[90:91]
	v_mul_f64 v[90:91], v[71:72], v[90:91]
	v_add_f64 v[140:141], v[140:141], v[151:152]
	v_add_f64 v[2:3], v[2:3], v[73:74]
	s_clause 0x2
	buffer_load_dword v149, off, s[0:3], 0 offset:412
	buffer_load_dword v74, off, s[0:3], 0 offset:388
	;; [unrolled: 1-line block ×3, first 2 shown]
	s_waitcnt vmcnt(58) lgkmcnt(0)
	v_mul_f64 v[150:151], v[76:77], v[92:93]
	v_mul_f64 v[92:93], v[78:79], v[92:93]
	s_waitcnt vmcnt(56)
	v_fma_f64 v[90:91], v[69:70], v[98:99], -v[90:91]
	ds_read_b128 v[80:83], v1 offset:688
	v_fma_f64 v[98:99], v[71:72], v[98:99], v[154:155]
	v_add_f64 v[86:87], v[140:141], v[86:87]
	v_add_f64 v[2:3], v[2:3], v[96:97]
	s_clause 0x4
	buffer_load_dword v97, off, s[0:3], 0 offset:428
	buffer_load_dword v140, off, s[0:3], 0 offset:440
	;; [unrolled: 1-line block ×5, first 2 shown]
	ds_read_b128 v[69:72], v1 offset:704
	s_waitcnt vmcnt(57) lgkmcnt(1)
	v_mul_f64 v[156:157], v[80:81], v[100:101]
	v_mul_f64 v[100:101], v[82:83], v[100:101]
	s_waitcnt vmcnt(56)
	v_fma_f64 v[92:93], v[76:77], v[94:95], -v[92:93]
	v_add_f64 v[86:87], v[86:87], v[90:91]
	v_fma_f64 v[90:91], v[78:79], v[94:95], v[150:151]
	v_add_f64 v[2:3], v[2:3], v[98:99]
	s_clause 0x2
	buffer_load_dword v141, off, s[0:3], 0 offset:444
	buffer_load_dword v95, off, s[0:3], 0 offset:420
	;; [unrolled: 1-line block ×3, first 2 shown]
	s_waitcnt vmcnt(58) lgkmcnt(0)
	v_mul_f64 v[98:99], v[69:70], v[102:103]
	v_mul_f64 v[102:103], v[71:72], v[102:103]
	s_waitcnt vmcnt(56)
	v_fma_f64 v[100:101], v[80:81], v[106:107], -v[100:101]
	ds_read_b128 v[76:79], v1 offset:720
	v_add_f64 v[86:87], v[86:87], v[92:93]
	v_fma_f64 v[92:93], v[82:83], v[106:107], v[156:157]
	v_add_f64 v[2:3], v[2:3], v[90:91]
	s_clause 0x4
	buffer_load_dword v91, off, s[0:3], 0 offset:460
	buffer_load_dword v106, off, s[0:3], 0 offset:472
	;; [unrolled: 1-line block ×5, first 2 shown]
	ds_read_b128 v[80:83], v1 offset:736
	s_waitcnt vmcnt(57) lgkmcnt(1)
	v_mul_f64 v[151:152], v[76:77], v[108:109]
	v_mul_f64 v[108:109], v[78:79], v[108:109]
	s_waitcnt vmcnt(56)
	v_fma_f64 v[102:103], v[69:70], v[104:105], -v[102:103]
	v_fma_f64 v[98:99], v[71:72], v[104:105], v[98:99]
	v_add_f64 v[86:87], v[86:87], v[100:101]
	v_add_f64 v[2:3], v[2:3], v[92:93]
	s_clause 0x2
	buffer_load_dword v107, off, s[0:3], 0 offset:476
	buffer_load_dword v93, off, s[0:3], 0 offset:452
	;; [unrolled: 1-line block ×3, first 2 shown]
	s_waitcnt vmcnt(58) lgkmcnt(0)
	v_mul_f64 v[104:105], v[82:83], v[110:111]
	ds_read_b128 v[69:72], v1 offset:752
	s_waitcnt vmcnt(56)
	v_fma_f64 v[108:109], v[76:77], v[114:115], -v[108:109]
	v_mul_f64 v[100:101], v[80:81], v[110:111]
	v_add_f64 v[86:87], v[86:87], v[102:103]
	v_fma_f64 v[102:103], v[78:79], v[114:115], v[151:152]
	v_add_f64 v[2:3], v[2:3], v[98:99]
	s_clause 0x4
	buffer_load_dword v99, off, s[0:3], 0 offset:492
	buffer_load_dword v110, off, s[0:3], 0 offset:504
	;; [unrolled: 1-line block ×5, first 2 shown]
	s_waitcnt vmcnt(57) lgkmcnt(0)
	v_mul_f64 v[157:158], v[69:70], v[116:117]
	v_mul_f64 v[115:116], v[71:72], v[116:117]
	s_waitcnt vmcnt(56)
	v_fma_f64 v[104:105], v[80:81], v[112:113], -v[104:105]
	ds_read_b128 v[76:79], v1 offset:768
	v_fma_f64 v[100:101], v[82:83], v[112:113], v[100:101]
	v_add_f64 v[86:87], v[86:87], v[108:109]
	v_add_f64 v[2:3], v[2:3], v[102:103]
	s_clause 0x2
	buffer_load_dword v111, off, s[0:3], 0 offset:508
	buffer_load_dword v103, off, s[0:3], 0 offset:484
	;; [unrolled: 1-line block ×3, first 2 shown]
	ds_read_b128 v[80:83], v1 offset:784
	s_waitcnt vmcnt(58) lgkmcnt(1)
	v_mul_f64 v[112:113], v[78:79], v[118:119]
	s_waitcnt vmcnt(56)
	v_fma_f64 v[116:117], v[69:70], v[122:123], -v[115:116]
	v_mul_f64 v[108:109], v[76:77], v[118:119]
	v_add_f64 v[86:87], v[86:87], v[104:105]
	v_fma_f64 v[104:105], v[71:72], v[122:123], v[157:158]
	v_add_f64 v[2:3], v[2:3], v[100:101]
	s_clause 0x2
	buffer_load_dword v101, off, s[0:3], 0 offset:524
	buffer_load_dword v100, off, s[0:3], 0 offset:520
	;; [unrolled: 1-line block ×3, first 2 shown]
	s_waitcnt vmcnt(55) lgkmcnt(0)
	v_mul_f64 v[122:123], v[82:83], v[124:125]
	s_waitcnt vmcnt(54)
	v_fma_f64 v[112:113], v[76:77], v[120:121], -v[112:113]
	ds_read_b128 v[69:72], v1 offset:800
	v_mul_f64 v[118:119], v[80:81], v[124:125]
	v_fma_f64 v[108:109], v[78:79], v[120:121], v[108:109]
	v_add_f64 v[86:87], v[86:87], v[116:117]
	v_add_f64 v[2:3], v[2:3], v[104:105]
	s_clause 0x1
	buffer_load_dword v105, off, s[0:3], 0 offset:516
	buffer_load_dword v104, off, s[0:3], 0 offset:512
	s_waitcnt vmcnt(55) lgkmcnt(0)
	v_mul_f64 v[120:121], v[71:72], v[126:127]
	s_waitcnt vmcnt(53)
	v_fma_f64 v[122:123], v[80:81], v[130:131], -v[122:123]
	ds_read_b128 v[76:79], v1 offset:816
	v_mul_f64 v[116:117], v[69:70], v[126:127]
	v_add_f64 v[86:87], v[86:87], v[112:113]
	v_fma_f64 v[112:113], v[82:83], v[130:131], v[118:119]
	v_add_f64 v[2:3], v[2:3], v[108:109]
	ds_read_b128 v[80:83], v1 offset:832
	s_waitcnt vmcnt(49) lgkmcnt(1)
	v_mul_f64 v[118:119], v[78:79], v[132:133]
	s_waitcnt vmcnt(48)
	v_fma_f64 v[120:121], v[69:70], v[128:129], -v[120:121]
	v_mul_f64 v[108:109], v[76:77], v[132:133]
	v_fma_f64 v[116:117], v[71:72], v[128:129], v[116:117]
	v_add_f64 v[86:87], v[86:87], v[122:123]
	s_waitcnt vmcnt(47) lgkmcnt(0)
	v_mul_f64 v[126:127], v[82:83], v[134:135]
	v_add_f64 v[2:3], v[2:3], v[112:113]
	s_clause 0x3
	buffer_load_dword v112, off, s[0:3], 0 offset:96
	buffer_load_dword v113, off, s[0:3], 0 offset:100
	;; [unrolled: 1-line block ×4, first 2 shown]
	s_waitcnt vmcnt(49)
	v_fma_f64 v[118:119], v[76:77], v[138:139], -v[118:119]
	ds_read_b128 v[69:72], v1 offset:848
	v_mul_f64 v[124:125], v[80:81], v[134:135]
	v_fma_f64 v[108:109], v[78:79], v[138:139], v[108:109]
	ds_read_b128 v[76:79], v1 offset:864
	v_add_f64 v[86:87], v[86:87], v[120:121]
	s_waitcnt vmcnt(44)
	v_fma_f64 v[126:127], v[80:81], v[136:137], -v[126:127]
	v_add_f64 v[2:3], v[2:3], v[116:117]
	s_waitcnt lgkmcnt(1)
	v_mul_f64 v[120:121], v[71:72], v[142:143]
	v_mul_f64 v[116:117], v[69:70], v[142:143]
	v_add_f64 v[86:87], v[86:87], v[118:119]
	v_fma_f64 v[118:119], v[82:83], v[136:137], v[124:125]
	v_add_f64 v[2:3], v[2:3], v[108:109]
	ds_read_b128 v[80:83], v1 offset:880
	s_waitcnt vmcnt(43) lgkmcnt(1)
	v_mul_f64 v[124:125], v[78:79], v[144:145]
	v_mul_f64 v[108:109], v[76:77], v[144:145]
	s_waitcnt vmcnt(41)
	v_fma_f64 v[120:121], v[69:70], v[84:85], -v[120:121]
	v_fma_f64 v[84:85], v[71:72], v[84:85], v[116:117]
	ds_read_b128 v[69:72], v1 offset:896
	v_add_f64 v[86:87], v[86:87], v[126:127]
	s_waitcnt vmcnt(37) lgkmcnt(1)
	v_mul_f64 v[116:117], v[80:81], v[88:89]
	v_add_f64 v[2:3], v[2:3], v[118:119]
	v_mul_f64 v[88:89], v[82:83], v[88:89]
	s_waitcnt vmcnt(36)
	v_fma_f64 v[118:119], v[76:77], v[146:147], -v[124:125]
	v_fma_f64 v[108:109], v[78:79], v[146:147], v[108:109]
	ds_read_b128 v[76:79], v1 offset:912
	v_add_f64 v[86:87], v[86:87], v[120:121]
	v_add_f64 v[2:3], v[2:3], v[84:85]
	s_waitcnt vmcnt(35) lgkmcnt(1)
	v_mul_f64 v[120:121], v[71:72], v[148:149]
	v_mul_f64 v[84:85], v[69:70], v[148:149]
	s_waitcnt vmcnt(33)
	v_fma_f64 v[88:89], v[80:81], v[73:74], -v[88:89]
	v_fma_f64 v[73:74], v[82:83], v[73:74], v[116:117]
	ds_read_b128 v[80:83], v1 offset:928
	v_add_f64 v[86:87], v[86:87], v[118:119]
	v_add_f64 v[2:3], v[2:3], v[108:109]
	s_waitcnt vmcnt(29) lgkmcnt(1)
	v_mul_f64 v[108:109], v[76:77], v[96:97]
	;; [unrolled: 9-line block ×6, first 2 shown]
	s_waitcnt vmcnt(12)
	v_fma_f64 v[76:77], v[76:77], v[150:151], -v[96:97]
	v_mul_f64 v[73:74], v[80:81], v[98:99]
	v_fma_f64 v[78:79], v[78:79], v[150:151], v[94:95]
	v_add_f64 v[86:87], v[86:87], v[90:91]
	v_add_f64 v[84:85], v[2:3], v[84:85]
	ds_read_b128 v[1:4], v1 offset:1008
	s_waitcnt vmcnt(11) lgkmcnt(1)
	v_mul_f64 v[92:93], v[71:72], v[110:111]
	v_mul_f64 v[90:91], v[69:70], v[110:111]
	s_waitcnt vmcnt(9)
	v_fma_f64 v[80:81], v[80:81], v[102:103], -v[88:89]
	v_fma_f64 v[73:74], v[82:83], v[102:103], v[73:74]
	v_add_f64 v[76:77], v[86:87], v[76:77]
	v_add_f64 v[78:79], v[84:85], v[78:79]
	s_waitcnt vmcnt(7) lgkmcnt(0)
	v_mul_f64 v[84:85], v[3:4], v[100:101]
	s_waitcnt vmcnt(6)
	v_fma_f64 v[69:70], v[69:70], v[114:115], -v[92:93]
	v_mul_f64 v[82:83], v[1:2], v[100:101]
	v_fma_f64 v[71:72], v[71:72], v[114:115], v[90:91]
	v_add_f64 v[76:77], v[76:77], v[80:81]
	v_add_f64 v[73:74], v[78:79], v[73:74]
	s_waitcnt vmcnt(4)
	v_fma_f64 v[1:2], v[1:2], v[104:105], -v[84:85]
	v_fma_f64 v[3:4], v[3:4], v[104:105], v[82:83]
	v_add_f64 v[69:70], v[76:77], v[69:70]
	v_add_f64 v[71:72], v[73:74], v[71:72]
	v_add_f64 v[1:2], v[69:70], v[1:2]
	v_add_f64 v[3:4], v[71:72], v[3:4]
	s_waitcnt vmcnt(2)
	v_add_f64 v[1:2], v[112:113], -v[1:2]
	s_waitcnt vmcnt(0)
	v_add_f64 v[3:4], v[122:123], -v[3:4]
	buffer_store_dword v2, off, s[0:3], 0 offset:100
	buffer_store_dword v1, off, s[0:3], 0 offset:96
	;; [unrolled: 1-line block ×4, first 2 shown]
	v_cmpx_lt_u32_e32 4, v0
	s_cbranch_execz .LBB95_197
; %bb.196:
	v_mov_b32_e32 v4, s40
	v_mov_b32_e32 v69, 0
	s_clause 0x3
	buffer_load_dword v1, v4, s[0:3], 0 offen
	buffer_load_dword v2, v4, s[0:3], 0 offen offset:4
	buffer_load_dword v3, v4, s[0:3], 0 offen offset:8
	;; [unrolled: 1-line block ×3, first 2 shown]
	buffer_store_dword v69, off, s[0:3], 0 offset:80
	buffer_store_dword v69, off, s[0:3], 0 offset:84
	;; [unrolled: 1-line block ×4, first 2 shown]
	s_waitcnt vmcnt(0)
	ds_write_b128 v75, v[1:4]
.LBB95_197:
	s_or_b32 exec_lo, exec_lo, s4
	s_waitcnt lgkmcnt(0)
	s_waitcnt_vscnt null, 0x0
	s_barrier
	buffer_gl0_inv
	s_clause 0x37
	buffer_load_dword v2, off, s[0:3], 0 offset:104
	buffer_load_dword v3, off, s[0:3], 0 offset:108
	;; [unrolled: 1-line block ×56, first 2 shown]
	v_mov_b32_e32 v1, 0
	s_mov_b32 s4, exec_lo
	ds_read_b128 v[69:72], v1 offset:592
	s_clause 0x2
	buffer_load_dword v135, off, s[0:3], 0 offset:332
	buffer_load_dword v139, off, s[0:3], 0 offset:308
	;; [unrolled: 1-line block ×3, first 2 shown]
	ds_read_b128 v[76:79], v1 offset:608
	s_clause 0x4
	buffer_load_dword v143, off, s[0:3], 0 offset:348
	buffer_load_dword v144, off, s[0:3], 0 offset:360
	;; [unrolled: 1-line block ×5, first 2 shown]
	ds_read_b128 v[80:83], v1 offset:624
	s_waitcnt vmcnt(62) lgkmcnt(2)
	v_mul_f64 v[140:141], v[71:72], v[2:3]
	v_mul_f64 v[2:3], v[69:70], v[2:3]
	s_waitcnt vmcnt(60) lgkmcnt(1)
	v_mul_f64 v[147:148], v[78:79], v[73:74]
	v_mul_f64 v[73:74], v[76:77], v[73:74]
	;; [unrolled: 3-line block ×3, first 2 shown]
	v_fma_f64 v[140:141], v[69:70], v[84:85], -v[140:141]
	v_fma_f64 v[2:3], v[71:72], v[84:85], v[2:3]
	s_clause 0x2
	buffer_load_dword v145, off, s[0:3], 0 offset:364
	buffer_load_dword v85, off, s[0:3], 0 offset:340
	;; [unrolled: 1-line block ×3, first 2 shown]
	s_waitcnt vmcnt(57)
	v_fma_f64 v[151:152], v[76:77], v[88:89], -v[147:148]
	ds_read_b128 v[69:72], v1 offset:640
	v_fma_f64 v[73:74], v[78:79], v[88:89], v[73:74]
	s_clause 0x4
	buffer_load_dword v89, off, s[0:3], 0 offset:380
	buffer_load_dword v148, off, s[0:3], 0 offset:392
	;; [unrolled: 1-line block ×5, first 2 shown]
	s_waitcnt vmcnt(56)
	v_fma_f64 v[86:87], v[80:81], v[96:97], -v[86:87]
	ds_read_b128 v[76:79], v1 offset:656
	v_fma_f64 v[96:97], v[82:83], v[96:97], v[149:150]
	v_add_f64 v[140:141], v[140:141], 0
	v_add_f64 v[2:3], v[2:3], 0
	s_waitcnt lgkmcnt(1)
	v_mul_f64 v[154:155], v[69:70], v[90:91]
	v_mul_f64 v[90:91], v[71:72], v[90:91]
	v_add_f64 v[140:141], v[140:141], v[151:152]
	v_add_f64 v[2:3], v[2:3], v[73:74]
	s_clause 0x2
	buffer_load_dword v149, off, s[0:3], 0 offset:396
	buffer_load_dword v74, off, s[0:3], 0 offset:372
	buffer_load_dword v73, off, s[0:3], 0 offset:368
	s_waitcnt vmcnt(58) lgkmcnt(0)
	v_mul_f64 v[150:151], v[76:77], v[92:93]
	v_mul_f64 v[92:93], v[78:79], v[92:93]
	s_waitcnt vmcnt(56)
	v_fma_f64 v[90:91], v[69:70], v[98:99], -v[90:91]
	ds_read_b128 v[80:83], v1 offset:672
	v_fma_f64 v[98:99], v[71:72], v[98:99], v[154:155]
	v_add_f64 v[86:87], v[140:141], v[86:87]
	v_add_f64 v[2:3], v[2:3], v[96:97]
	s_clause 0x4
	buffer_load_dword v97, off, s[0:3], 0 offset:412
	buffer_load_dword v140, off, s[0:3], 0 offset:424
	;; [unrolled: 1-line block ×5, first 2 shown]
	ds_read_b128 v[69:72], v1 offset:688
	s_waitcnt vmcnt(57) lgkmcnt(1)
	v_mul_f64 v[156:157], v[80:81], v[100:101]
	v_mul_f64 v[100:101], v[82:83], v[100:101]
	s_waitcnt vmcnt(56)
	v_fma_f64 v[92:93], v[76:77], v[94:95], -v[92:93]
	v_add_f64 v[86:87], v[86:87], v[90:91]
	v_fma_f64 v[90:91], v[78:79], v[94:95], v[150:151]
	v_add_f64 v[2:3], v[2:3], v[98:99]
	s_clause 0x2
	buffer_load_dword v141, off, s[0:3], 0 offset:428
	buffer_load_dword v95, off, s[0:3], 0 offset:404
	buffer_load_dword v94, off, s[0:3], 0 offset:400
	s_waitcnt vmcnt(58) lgkmcnt(0)
	v_mul_f64 v[98:99], v[69:70], v[102:103]
	v_mul_f64 v[102:103], v[71:72], v[102:103]
	s_waitcnt vmcnt(56)
	v_fma_f64 v[100:101], v[80:81], v[106:107], -v[100:101]
	ds_read_b128 v[76:79], v1 offset:704
	v_add_f64 v[86:87], v[86:87], v[92:93]
	v_fma_f64 v[92:93], v[82:83], v[106:107], v[156:157]
	v_add_f64 v[2:3], v[2:3], v[90:91]
	s_clause 0x4
	buffer_load_dword v91, off, s[0:3], 0 offset:444
	buffer_load_dword v106, off, s[0:3], 0 offset:456
	;; [unrolled: 1-line block ×5, first 2 shown]
	ds_read_b128 v[80:83], v1 offset:720
	s_waitcnt vmcnt(57) lgkmcnt(1)
	v_mul_f64 v[151:152], v[76:77], v[108:109]
	v_mul_f64 v[108:109], v[78:79], v[108:109]
	s_waitcnt vmcnt(56)
	v_fma_f64 v[102:103], v[69:70], v[104:105], -v[102:103]
	v_fma_f64 v[98:99], v[71:72], v[104:105], v[98:99]
	v_add_f64 v[86:87], v[86:87], v[100:101]
	v_add_f64 v[2:3], v[2:3], v[92:93]
	s_clause 0x2
	buffer_load_dword v107, off, s[0:3], 0 offset:460
	buffer_load_dword v93, off, s[0:3], 0 offset:436
	;; [unrolled: 1-line block ×3, first 2 shown]
	s_waitcnt vmcnt(58) lgkmcnt(0)
	v_mul_f64 v[104:105], v[82:83], v[110:111]
	ds_read_b128 v[69:72], v1 offset:736
	s_waitcnt vmcnt(56)
	v_fma_f64 v[108:109], v[76:77], v[114:115], -v[108:109]
	v_mul_f64 v[100:101], v[80:81], v[110:111]
	v_add_f64 v[86:87], v[86:87], v[102:103]
	v_fma_f64 v[102:103], v[78:79], v[114:115], v[151:152]
	v_add_f64 v[2:3], v[2:3], v[98:99]
	s_clause 0x4
	buffer_load_dword v99, off, s[0:3], 0 offset:476
	buffer_load_dword v110, off, s[0:3], 0 offset:488
	;; [unrolled: 1-line block ×5, first 2 shown]
	s_waitcnt vmcnt(57) lgkmcnt(0)
	v_mul_f64 v[157:158], v[69:70], v[116:117]
	v_mul_f64 v[115:116], v[71:72], v[116:117]
	s_waitcnt vmcnt(56)
	v_fma_f64 v[104:105], v[80:81], v[112:113], -v[104:105]
	ds_read_b128 v[76:79], v1 offset:752
	v_fma_f64 v[100:101], v[82:83], v[112:113], v[100:101]
	v_add_f64 v[86:87], v[86:87], v[108:109]
	v_add_f64 v[2:3], v[2:3], v[102:103]
	s_clause 0x2
	buffer_load_dword v111, off, s[0:3], 0 offset:492
	buffer_load_dword v103, off, s[0:3], 0 offset:468
	;; [unrolled: 1-line block ×3, first 2 shown]
	ds_read_b128 v[80:83], v1 offset:768
	s_waitcnt vmcnt(58) lgkmcnt(1)
	v_mul_f64 v[112:113], v[78:79], v[118:119]
	s_waitcnt vmcnt(56)
	v_fma_f64 v[116:117], v[69:70], v[122:123], -v[115:116]
	v_mul_f64 v[108:109], v[76:77], v[118:119]
	v_add_f64 v[86:87], v[86:87], v[104:105]
	v_fma_f64 v[104:105], v[71:72], v[122:123], v[157:158]
	v_add_f64 v[2:3], v[2:3], v[100:101]
	s_clause 0x4
	buffer_load_dword v101, off, s[0:3], 0 offset:508
	buffer_load_dword v118, off, s[0:3], 0 offset:520
	;; [unrolled: 1-line block ×5, first 2 shown]
	s_waitcnt vmcnt(57) lgkmcnt(0)
	v_mul_f64 v[157:158], v[80:81], v[124:125]
	v_mul_f64 v[123:124], v[82:83], v[124:125]
	s_waitcnt vmcnt(56)
	v_fma_f64 v[112:113], v[76:77], v[120:121], -v[112:113]
	ds_read_b128 v[69:72], v1 offset:784
	v_fma_f64 v[108:109], v[78:79], v[120:121], v[108:109]
	v_add_f64 v[86:87], v[86:87], v[116:117]
	v_add_f64 v[2:3], v[2:3], v[104:105]
	s_clause 0x2
	buffer_load_dword v119, off, s[0:3], 0 offset:524
	buffer_load_dword v105, off, s[0:3], 0 offset:500
	;; [unrolled: 1-line block ×3, first 2 shown]
	ds_read_b128 v[76:79], v1 offset:800
	s_waitcnt vmcnt(58) lgkmcnt(1)
	v_mul_f64 v[120:121], v[71:72], v[126:127]
	s_waitcnt vmcnt(56)
	v_fma_f64 v[124:125], v[80:81], v[130:131], -v[123:124]
	v_mul_f64 v[116:117], v[69:70], v[126:127]
	buffer_load_dword v123, off, s[0:3], 0 offset:516
	v_add_f64 v[86:87], v[86:87], v[112:113]
	v_fma_f64 v[112:113], v[82:83], v[130:131], v[157:158]
	v_add_f64 v[2:3], v[2:3], v[108:109]
	ds_read_b128 v[80:83], v1 offset:816
	s_waitcnt vmcnt(53) lgkmcnt(1)
	v_mul_f64 v[126:127], v[78:79], v[132:133]
	s_waitcnt vmcnt(52)
	v_fma_f64 v[120:121], v[69:70], v[128:129], -v[120:121]
	v_mul_f64 v[108:109], v[76:77], v[132:133]
	v_fma_f64 v[116:117], v[71:72], v[128:129], v[116:117]
	ds_read_b128 v[69:72], v1 offset:832
	v_add_f64 v[86:87], v[86:87], v[124:125]
	s_waitcnt vmcnt(51) lgkmcnt(1)
	v_mul_f64 v[124:125], v[82:83], v[134:135]
	v_add_f64 v[2:3], v[2:3], v[112:113]
	v_mul_f64 v[112:113], v[80:81], v[134:135]
	s_waitcnt vmcnt(49)
	v_fma_f64 v[126:127], v[76:77], v[138:139], -v[126:127]
	v_fma_f64 v[108:109], v[78:79], v[138:139], v[108:109]
	s_waitcnt vmcnt(45) lgkmcnt(0)
	v_mul_f64 v[130:131], v[71:72], v[142:143]
	v_mul_f64 v[128:129], v[69:70], v[142:143]
	v_add_f64 v[86:87], v[86:87], v[120:121]
	s_waitcnt vmcnt(44)
	v_fma_f64 v[124:125], v[80:81], v[136:137], -v[124:125]
	v_add_f64 v[2:3], v[2:3], v[116:117]
	s_clause 0x3
	buffer_load_dword v116, off, s[0:3], 0 offset:80
	buffer_load_dword v117, off, s[0:3], 0 offset:84
	;; [unrolled: 1-line block ×4, first 2 shown]
	ds_read_b128 v[76:79], v1 offset:848
	v_fma_f64 v[112:113], v[82:83], v[136:137], v[112:113]
	ds_read_b128 v[80:83], v1 offset:864
	v_add_f64 v[86:87], v[86:87], v[126:127]
	v_add_f64 v[2:3], v[2:3], v[108:109]
	s_waitcnt vmcnt(47) lgkmcnt(1)
	v_mul_f64 v[126:127], v[78:79], v[144:145]
	v_mul_f64 v[108:109], v[76:77], v[144:145]
	s_waitcnt vmcnt(45)
	v_fma_f64 v[130:131], v[69:70], v[84:85], -v[130:131]
	v_fma_f64 v[84:85], v[71:72], v[84:85], v[128:129]
	ds_read_b128 v[69:72], v1 offset:880
	v_add_f64 v[86:87], v[86:87], v[124:125]
	v_add_f64 v[2:3], v[2:3], v[112:113]
	s_waitcnt vmcnt(41) lgkmcnt(1)
	v_mul_f64 v[112:113], v[80:81], v[88:89]
	v_mul_f64 v[88:89], v[82:83], v[88:89]
	s_waitcnt vmcnt(40)
	v_fma_f64 v[124:125], v[76:77], v[146:147], -v[126:127]
	;; [unrolled: 9-line block ×7, first 2 shown]
	v_fma_f64 v[84:85], v[71:72], v[92:93], v[84:85]
	ds_read_b128 v[69:72], v1 offset:976
	v_add_f64 v[86:87], v[86:87], v[88:89]
	v_add_f64 v[2:3], v[2:3], v[73:74]
	s_waitcnt vmcnt(17) lgkmcnt(1)
	v_mul_f64 v[88:89], v[82:83], v[98:99]
	s_waitcnt vmcnt(16)
	v_fma_f64 v[92:93], v[76:77], v[150:151], -v[96:97]
	v_mul_f64 v[73:74], v[80:81], v[98:99]
	v_add_f64 v[86:87], v[86:87], v[90:91]
	v_fma_f64 v[90:91], v[78:79], v[150:151], v[94:95]
	v_add_f64 v[2:3], v[2:3], v[84:85]
	ds_read_b128 v[76:79], v1 offset:992
	s_waitcnt vmcnt(15) lgkmcnt(1)
	v_mul_f64 v[94:95], v[71:72], v[110:111]
	v_mul_f64 v[84:85], v[69:70], v[110:111]
	s_waitcnt vmcnt(13)
	v_fma_f64 v[88:89], v[80:81], v[102:103], -v[88:89]
	v_fma_f64 v[73:74], v[82:83], v[102:103], v[73:74]
	ds_read_b128 v[80:83], v1 offset:1008
	v_add_f64 v[86:87], v[86:87], v[92:93]
	v_add_f64 v[2:3], v[2:3], v[90:91]
	s_waitcnt vmcnt(9) lgkmcnt(1)
	v_mul_f64 v[92:93], v[78:79], v[100:101]
	s_waitcnt vmcnt(8)
	v_fma_f64 v[69:70], v[69:70], v[114:115], -v[94:95]
	v_mul_f64 v[90:91], v[76:77], v[100:101]
	v_fma_f64 v[71:72], v[71:72], v[114:115], v[84:85]
	v_add_f64 v[86:87], v[86:87], v[88:89]
	v_add_f64 v[2:3], v[2:3], v[73:74]
	s_waitcnt vmcnt(7) lgkmcnt(0)
	v_mul_f64 v[84:85], v[82:83], v[118:119]
	v_mul_f64 v[73:74], v[80:81], v[118:119]
	s_waitcnt vmcnt(5)
	v_fma_f64 v[76:77], v[76:77], v[104:105], -v[92:93]
	v_fma_f64 v[78:79], v[78:79], v[104:105], v[90:91]
	v_add_f64 v[69:70], v[86:87], v[69:70]
	v_add_f64 v[2:3], v[2:3], v[71:72]
	s_waitcnt vmcnt(4)
	v_fma_f64 v[71:72], v[80:81], v[122:123], -v[84:85]
	v_fma_f64 v[73:74], v[82:83], v[122:123], v[73:74]
	v_add_f64 v[69:70], v[69:70], v[76:77]
	v_add_f64 v[2:3], v[2:3], v[78:79]
	;; [unrolled: 1-line block ×4, first 2 shown]
	s_waitcnt vmcnt(2)
	v_add_f64 v[69:70], v[116:117], -v[69:70]
	s_waitcnt vmcnt(0)
	v_add_f64 v[2:3], v[120:121], -v[2:3]
	buffer_store_dword v70, off, s[0:3], 0 offset:84
	buffer_store_dword v69, off, s[0:3], 0 offset:80
	buffer_store_dword v3, off, s[0:3], 0 offset:92
	buffer_store_dword v2, off, s[0:3], 0 offset:88
	v_cmpx_lt_u32_e32 3, v0
	s_cbranch_execz .LBB95_199
; %bb.198:
	v_mov_b32_e32 v2, s41
	s_clause 0x3
	buffer_load_dword v69, v2, s[0:3], 0 offen
	buffer_load_dword v70, v2, s[0:3], 0 offen offset:4
	buffer_load_dword v71, v2, s[0:3], 0 offen offset:8
	;; [unrolled: 1-line block ×3, first 2 shown]
	buffer_store_dword v1, off, s[0:3], 0 offset:64
	buffer_store_dword v1, off, s[0:3], 0 offset:68
	;; [unrolled: 1-line block ×4, first 2 shown]
	s_waitcnt vmcnt(0)
	ds_write_b128 v75, v[69:72]
.LBB95_199:
	s_or_b32 exec_lo, exec_lo, s4
	s_waitcnt lgkmcnt(0)
	s_waitcnt_vscnt null, 0x0
	s_barrier
	buffer_gl0_inv
	s_clause 0x37
	buffer_load_dword v2, off, s[0:3], 0 offset:88
	buffer_load_dword v3, off, s[0:3], 0 offset:92
	;; [unrolled: 1-line block ×56, first 2 shown]
	ds_read_b128 v[69:72], v1 offset:576
	s_clause 0x2
	buffer_load_dword v135, off, s[0:3], 0 offset:316
	buffer_load_dword v139, off, s[0:3], 0 offset:292
	;; [unrolled: 1-line block ×3, first 2 shown]
	ds_read_b128 v[76:79], v1 offset:592
	s_clause 0x4
	buffer_load_dword v143, off, s[0:3], 0 offset:332
	buffer_load_dword v144, off, s[0:3], 0 offset:344
	;; [unrolled: 1-line block ×5, first 2 shown]
	ds_read_b128 v[80:83], v1 offset:608
	s_mov_b32 s4, exec_lo
	s_waitcnt vmcnt(62) lgkmcnt(2)
	v_mul_f64 v[140:141], v[71:72], v[2:3]
	v_mul_f64 v[2:3], v[69:70], v[2:3]
	s_waitcnt vmcnt(60) lgkmcnt(1)
	v_mul_f64 v[147:148], v[78:79], v[73:74]
	v_mul_f64 v[73:74], v[76:77], v[73:74]
	;; [unrolled: 3-line block ×3, first 2 shown]
	v_fma_f64 v[140:141], v[69:70], v[84:85], -v[140:141]
	v_fma_f64 v[2:3], v[71:72], v[84:85], v[2:3]
	s_clause 0x2
	buffer_load_dword v145, off, s[0:3], 0 offset:348
	buffer_load_dword v85, off, s[0:3], 0 offset:324
	;; [unrolled: 1-line block ×3, first 2 shown]
	s_waitcnt vmcnt(57)
	v_fma_f64 v[151:152], v[76:77], v[88:89], -v[147:148]
	ds_read_b128 v[69:72], v1 offset:624
	v_fma_f64 v[73:74], v[78:79], v[88:89], v[73:74]
	s_clause 0x4
	buffer_load_dword v89, off, s[0:3], 0 offset:364
	buffer_load_dword v148, off, s[0:3], 0 offset:376
	;; [unrolled: 1-line block ×5, first 2 shown]
	s_waitcnt vmcnt(56)
	v_fma_f64 v[86:87], v[80:81], v[96:97], -v[86:87]
	ds_read_b128 v[76:79], v1 offset:640
	v_fma_f64 v[96:97], v[82:83], v[96:97], v[149:150]
	v_add_f64 v[140:141], v[140:141], 0
	v_add_f64 v[2:3], v[2:3], 0
	s_waitcnt lgkmcnt(1)
	v_mul_f64 v[154:155], v[69:70], v[90:91]
	v_mul_f64 v[90:91], v[71:72], v[90:91]
	v_add_f64 v[140:141], v[140:141], v[151:152]
	v_add_f64 v[2:3], v[2:3], v[73:74]
	s_clause 0x2
	buffer_load_dword v149, off, s[0:3], 0 offset:380
	buffer_load_dword v74, off, s[0:3], 0 offset:356
	;; [unrolled: 1-line block ×3, first 2 shown]
	s_waitcnt vmcnt(58) lgkmcnt(0)
	v_mul_f64 v[150:151], v[76:77], v[92:93]
	v_mul_f64 v[92:93], v[78:79], v[92:93]
	s_waitcnt vmcnt(56)
	v_fma_f64 v[90:91], v[69:70], v[98:99], -v[90:91]
	ds_read_b128 v[80:83], v1 offset:656
	v_fma_f64 v[98:99], v[71:72], v[98:99], v[154:155]
	v_add_f64 v[86:87], v[140:141], v[86:87]
	v_add_f64 v[2:3], v[2:3], v[96:97]
	s_clause 0x4
	buffer_load_dword v97, off, s[0:3], 0 offset:396
	buffer_load_dword v140, off, s[0:3], 0 offset:408
	;; [unrolled: 1-line block ×5, first 2 shown]
	ds_read_b128 v[69:72], v1 offset:672
	s_waitcnt vmcnt(57) lgkmcnt(1)
	v_mul_f64 v[156:157], v[80:81], v[100:101]
	v_mul_f64 v[100:101], v[82:83], v[100:101]
	s_waitcnt vmcnt(56)
	v_fma_f64 v[92:93], v[76:77], v[94:95], -v[92:93]
	v_add_f64 v[86:87], v[86:87], v[90:91]
	v_fma_f64 v[90:91], v[78:79], v[94:95], v[150:151]
	v_add_f64 v[2:3], v[2:3], v[98:99]
	s_clause 0x2
	buffer_load_dword v141, off, s[0:3], 0 offset:412
	buffer_load_dword v95, off, s[0:3], 0 offset:388
	;; [unrolled: 1-line block ×3, first 2 shown]
	s_waitcnt vmcnt(58) lgkmcnt(0)
	v_mul_f64 v[98:99], v[69:70], v[102:103]
	v_mul_f64 v[102:103], v[71:72], v[102:103]
	s_waitcnt vmcnt(56)
	v_fma_f64 v[100:101], v[80:81], v[106:107], -v[100:101]
	ds_read_b128 v[76:79], v1 offset:688
	v_add_f64 v[86:87], v[86:87], v[92:93]
	v_fma_f64 v[92:93], v[82:83], v[106:107], v[156:157]
	v_add_f64 v[2:3], v[2:3], v[90:91]
	s_clause 0x4
	buffer_load_dword v91, off, s[0:3], 0 offset:428
	buffer_load_dword v106, off, s[0:3], 0 offset:440
	buffer_load_dword v150, off, s[0:3], 0 offset:432
	buffer_load_dword v90, off, s[0:3], 0 offset:424
	buffer_load_dword v156, off, s[0:3], 0 offset:404
	ds_read_b128 v[80:83], v1 offset:704
	s_waitcnt vmcnt(57) lgkmcnt(1)
	v_mul_f64 v[151:152], v[76:77], v[108:109]
	v_mul_f64 v[108:109], v[78:79], v[108:109]
	s_waitcnt vmcnt(56)
	v_fma_f64 v[102:103], v[69:70], v[104:105], -v[102:103]
	v_fma_f64 v[98:99], v[71:72], v[104:105], v[98:99]
	v_add_f64 v[86:87], v[86:87], v[100:101]
	v_add_f64 v[2:3], v[2:3], v[92:93]
	s_clause 0x2
	buffer_load_dword v107, off, s[0:3], 0 offset:444
	buffer_load_dword v93, off, s[0:3], 0 offset:420
	;; [unrolled: 1-line block ×3, first 2 shown]
	s_waitcnt vmcnt(58) lgkmcnt(0)
	v_mul_f64 v[104:105], v[82:83], v[110:111]
	ds_read_b128 v[69:72], v1 offset:720
	s_waitcnt vmcnt(56)
	v_fma_f64 v[108:109], v[76:77], v[114:115], -v[108:109]
	v_mul_f64 v[100:101], v[80:81], v[110:111]
	v_add_f64 v[86:87], v[86:87], v[102:103]
	v_fma_f64 v[102:103], v[78:79], v[114:115], v[151:152]
	v_add_f64 v[2:3], v[2:3], v[98:99]
	s_clause 0x4
	buffer_load_dword v99, off, s[0:3], 0 offset:460
	buffer_load_dword v110, off, s[0:3], 0 offset:472
	;; [unrolled: 1-line block ×5, first 2 shown]
	s_waitcnt vmcnt(57) lgkmcnt(0)
	v_mul_f64 v[157:158], v[69:70], v[116:117]
	v_mul_f64 v[115:116], v[71:72], v[116:117]
	s_waitcnt vmcnt(56)
	v_fma_f64 v[104:105], v[80:81], v[112:113], -v[104:105]
	ds_read_b128 v[76:79], v1 offset:736
	v_fma_f64 v[100:101], v[82:83], v[112:113], v[100:101]
	v_add_f64 v[86:87], v[86:87], v[108:109]
	v_add_f64 v[2:3], v[2:3], v[102:103]
	s_clause 0x2
	buffer_load_dword v111, off, s[0:3], 0 offset:476
	buffer_load_dword v103, off, s[0:3], 0 offset:452
	buffer_load_dword v102, off, s[0:3], 0 offset:448
	ds_read_b128 v[80:83], v1 offset:752
	s_waitcnt vmcnt(58) lgkmcnt(1)
	v_mul_f64 v[112:113], v[78:79], v[118:119]
	s_waitcnt vmcnt(56)
	v_fma_f64 v[116:117], v[69:70], v[122:123], -v[115:116]
	v_mul_f64 v[108:109], v[76:77], v[118:119]
	v_add_f64 v[86:87], v[86:87], v[104:105]
	v_fma_f64 v[104:105], v[71:72], v[122:123], v[157:158]
	v_add_f64 v[2:3], v[2:3], v[100:101]
	s_clause 0x4
	buffer_load_dword v101, off, s[0:3], 0 offset:492
	buffer_load_dword v118, off, s[0:3], 0 offset:504
	;; [unrolled: 1-line block ×5, first 2 shown]
	s_waitcnt vmcnt(57) lgkmcnt(0)
	v_mul_f64 v[157:158], v[80:81], v[124:125]
	v_mul_f64 v[123:124], v[82:83], v[124:125]
	s_waitcnt vmcnt(56)
	v_fma_f64 v[112:113], v[76:77], v[120:121], -v[112:113]
	ds_read_b128 v[69:72], v1 offset:768
	v_fma_f64 v[108:109], v[78:79], v[120:121], v[108:109]
	v_add_f64 v[86:87], v[86:87], v[116:117]
	v_add_f64 v[2:3], v[2:3], v[104:105]
	s_clause 0x2
	buffer_load_dword v119, off, s[0:3], 0 offset:508
	buffer_load_dword v105, off, s[0:3], 0 offset:484
	;; [unrolled: 1-line block ×3, first 2 shown]
	ds_read_b128 v[76:79], v1 offset:784
	s_waitcnt vmcnt(58) lgkmcnt(1)
	v_mul_f64 v[120:121], v[71:72], v[126:127]
	s_waitcnt vmcnt(56)
	v_fma_f64 v[124:125], v[80:81], v[130:131], -v[123:124]
	v_mul_f64 v[116:117], v[69:70], v[126:127]
	v_add_f64 v[86:87], v[86:87], v[112:113]
	v_fma_f64 v[112:113], v[82:83], v[130:131], v[157:158]
	v_add_f64 v[2:3], v[2:3], v[108:109]
	s_clause 0x2
	buffer_load_dword v109, off, s[0:3], 0 offset:524
	buffer_load_dword v108, off, s[0:3], 0 offset:520
	;; [unrolled: 1-line block ×3, first 2 shown]
	s_waitcnt vmcnt(55) lgkmcnt(0)
	v_mul_f64 v[130:131], v[78:79], v[132:133]
	s_waitcnt vmcnt(54)
	v_fma_f64 v[120:121], v[69:70], v[128:129], -v[120:121]
	ds_read_b128 v[80:83], v1 offset:800
	v_mul_f64 v[126:127], v[76:77], v[132:133]
	v_fma_f64 v[116:117], v[71:72], v[128:129], v[116:117]
	v_add_f64 v[86:87], v[86:87], v[124:125]
	v_add_f64 v[2:3], v[2:3], v[112:113]
	s_clause 0x1
	buffer_load_dword v113, off, s[0:3], 0 offset:516
	buffer_load_dword v112, off, s[0:3], 0 offset:512
	s_waitcnt vmcnt(55) lgkmcnt(0)
	v_mul_f64 v[128:129], v[82:83], v[134:135]
	s_waitcnt vmcnt(53)
	v_fma_f64 v[130:131], v[76:77], v[138:139], -v[130:131]
	ds_read_b128 v[69:72], v1 offset:816
	v_mul_f64 v[124:125], v[80:81], v[134:135]
	v_add_f64 v[86:87], v[86:87], v[120:121]
	v_fma_f64 v[120:121], v[78:79], v[138:139], v[126:127]
	v_add_f64 v[2:3], v[2:3], v[116:117]
	ds_read_b128 v[76:79], v1 offset:832
	s_waitcnt vmcnt(49) lgkmcnt(1)
	v_mul_f64 v[126:127], v[71:72], v[142:143]
	s_waitcnt vmcnt(48)
	v_fma_f64 v[128:129], v[80:81], v[136:137], -v[128:129]
	v_mul_f64 v[116:117], v[69:70], v[142:143]
	v_fma_f64 v[124:125], v[82:83], v[136:137], v[124:125]
	v_add_f64 v[86:87], v[86:87], v[130:131]
	v_add_f64 v[2:3], v[2:3], v[120:121]
	s_clause 0x3
	buffer_load_dword v120, off, s[0:3], 0 offset:64
	buffer_load_dword v121, off, s[0:3], 0 offset:68
	;; [unrolled: 1-line block ×4, first 2 shown]
	ds_read_b128 v[80:83], v1 offset:848
	s_waitcnt vmcnt(51) lgkmcnt(1)
	v_mul_f64 v[134:135], v[78:79], v[144:145]
	v_mul_f64 v[132:133], v[76:77], v[144:145]
	s_waitcnt vmcnt(49)
	v_fma_f64 v[126:127], v[69:70], v[84:85], -v[126:127]
	v_fma_f64 v[84:85], v[71:72], v[84:85], v[116:117]
	ds_read_b128 v[69:72], v1 offset:864
	v_add_f64 v[86:87], v[86:87], v[128:129]
	v_add_f64 v[2:3], v[2:3], v[124:125]
	s_waitcnt vmcnt(45) lgkmcnt(1)
	v_mul_f64 v[116:117], v[80:81], v[88:89]
	v_mul_f64 v[88:89], v[82:83], v[88:89]
	s_waitcnt vmcnt(44)
	v_fma_f64 v[124:125], v[76:77], v[146:147], -v[134:135]
	v_add_f64 v[86:87], v[86:87], v[126:127]
	v_fma_f64 v[126:127], v[78:79], v[146:147], v[132:133]
	v_add_f64 v[2:3], v[2:3], v[84:85]
	ds_read_b128 v[76:79], v1 offset:880
	s_waitcnt vmcnt(43) lgkmcnt(1)
	v_mul_f64 v[128:129], v[71:72], v[148:149]
	v_mul_f64 v[84:85], v[69:70], v[148:149]
	s_waitcnt vmcnt(41)
	v_fma_f64 v[88:89], v[80:81], v[73:74], -v[88:89]
	v_fma_f64 v[73:74], v[82:83], v[73:74], v[116:117]
	ds_read_b128 v[80:83], v1 offset:896
	v_add_f64 v[86:87], v[86:87], v[124:125]
	v_add_f64 v[2:3], v[2:3], v[126:127]
	s_waitcnt vmcnt(37) lgkmcnt(1)
	v_mul_f64 v[116:117], v[76:77], v[96:97]
	v_mul_f64 v[96:97], v[78:79], v[96:97]
	s_waitcnt vmcnt(36)
	v_fma_f64 v[124:125], v[69:70], v[153:154], -v[128:129]
	v_fma_f64 v[84:85], v[71:72], v[153:154], v[84:85]
	ds_read_b128 v[69:72], v1 offset:912
	v_add_f64 v[86:87], v[86:87], v[88:89]
	v_add_f64 v[2:3], v[2:3], v[73:74]
	;; [unrolled: 9-line block ×5, first 2 shown]
	s_waitcnt vmcnt(21) lgkmcnt(1)
	v_mul_f64 v[88:89], v[82:83], v[98:99]
	s_waitcnt vmcnt(20)
	v_fma_f64 v[92:93], v[76:77], v[150:151], -v[96:97]
	v_mul_f64 v[73:74], v[80:81], v[98:99]
	v_add_f64 v[86:87], v[86:87], v[90:91]
	v_fma_f64 v[90:91], v[78:79], v[150:151], v[94:95]
	v_add_f64 v[2:3], v[2:3], v[84:85]
	ds_read_b128 v[76:79], v1 offset:976
	s_waitcnt vmcnt(19) lgkmcnt(1)
	v_mul_f64 v[94:95], v[71:72], v[110:111]
	v_mul_f64 v[84:85], v[69:70], v[110:111]
	s_waitcnt vmcnt(17)
	v_fma_f64 v[88:89], v[80:81], v[102:103], -v[88:89]
	v_fma_f64 v[73:74], v[82:83], v[102:103], v[73:74]
	ds_read_b128 v[80:83], v1 offset:992
	v_add_f64 v[86:87], v[86:87], v[92:93]
	v_add_f64 v[2:3], v[2:3], v[90:91]
	s_waitcnt vmcnt(13) lgkmcnt(1)
	v_mul_f64 v[92:93], v[78:79], v[100:101]
	s_waitcnt vmcnt(12)
	v_fma_f64 v[69:70], v[69:70], v[114:115], -v[94:95]
	v_mul_f64 v[90:91], v[76:77], v[100:101]
	v_fma_f64 v[71:72], v[71:72], v[114:115], v[84:85]
	v_add_f64 v[86:87], v[86:87], v[88:89]
	v_add_f64 v[73:74], v[2:3], v[73:74]
	ds_read_b128 v[1:4], v1 offset:1008
	s_waitcnt vmcnt(11) lgkmcnt(1)
	v_mul_f64 v[88:89], v[82:83], v[118:119]
	v_mul_f64 v[84:85], v[80:81], v[118:119]
	s_waitcnt vmcnt(9)
	v_fma_f64 v[76:77], v[76:77], v[104:105], -v[92:93]
	v_fma_f64 v[78:79], v[78:79], v[104:105], v[90:91]
	v_add_f64 v[69:70], v[86:87], v[69:70]
	v_add_f64 v[71:72], v[73:74], v[71:72]
	s_waitcnt vmcnt(7) lgkmcnt(0)
	v_mul_f64 v[86:87], v[3:4], v[108:109]
	s_waitcnt vmcnt(6)
	v_fma_f64 v[80:81], v[80:81], v[122:123], -v[88:89]
	v_mul_f64 v[73:74], v[1:2], v[108:109]
	v_add_f64 v[69:70], v[69:70], v[76:77]
	v_fma_f64 v[76:77], v[82:83], v[122:123], v[84:85]
	v_add_f64 v[71:72], v[71:72], v[78:79]
	s_waitcnt vmcnt(4)
	v_fma_f64 v[1:2], v[1:2], v[112:113], -v[86:87]
	v_fma_f64 v[3:4], v[3:4], v[112:113], v[73:74]
	v_add_f64 v[69:70], v[69:70], v[80:81]
	v_add_f64 v[71:72], v[71:72], v[76:77]
	;; [unrolled: 1-line block ×4, first 2 shown]
	s_waitcnt vmcnt(2)
	v_add_f64 v[1:2], v[120:121], -v[1:2]
	s_waitcnt vmcnt(0)
	v_add_f64 v[3:4], v[130:131], -v[3:4]
	buffer_store_dword v2, off, s[0:3], 0 offset:68
	buffer_store_dword v1, off, s[0:3], 0 offset:64
	;; [unrolled: 1-line block ×4, first 2 shown]
	v_cmpx_lt_u32_e32 2, v0
	s_cbranch_execz .LBB95_201
; %bb.200:
	v_mov_b32_e32 v4, s42
	v_mov_b32_e32 v69, 0
	s_clause 0x3
	buffer_load_dword v1, v4, s[0:3], 0 offen
	buffer_load_dword v2, v4, s[0:3], 0 offen offset:4
	buffer_load_dword v3, v4, s[0:3], 0 offen offset:8
	;; [unrolled: 1-line block ×3, first 2 shown]
	buffer_store_dword v69, off, s[0:3], 0 offset:48
	buffer_store_dword v69, off, s[0:3], 0 offset:52
	;; [unrolled: 1-line block ×4, first 2 shown]
	s_waitcnt vmcnt(0)
	ds_write_b128 v75, v[1:4]
.LBB95_201:
	s_or_b32 exec_lo, exec_lo, s4
	s_waitcnt lgkmcnt(0)
	s_waitcnt_vscnt null, 0x0
	s_barrier
	buffer_gl0_inv
	s_clause 0x37
	buffer_load_dword v73, off, s[0:3], 0 offset:72
	buffer_load_dword v74, off, s[0:3], 0 offset:76
	;; [unrolled: 1-line block ×56, first 2 shown]
	v_mov_b32_e32 v76, 0
	s_mov_b32 s4, exec_lo
	ds_read_b128 v[69:72], v76 offset:560
	s_clause 0x2
	buffer_load_dword v134, off, s[0:3], 0 offset:300
	buffer_load_dword v138, off, s[0:3], 0 offset:276
	;; [unrolled: 1-line block ×3, first 2 shown]
	ds_read_b128 v[77:80], v76 offset:576
	s_clause 0x4
	buffer_load_dword v142, off, s[0:3], 0 offset:316
	buffer_load_dword v143, off, s[0:3], 0 offset:328
	buffer_load_dword v145, off, s[0:3], 0 offset:320
	buffer_load_dword v141, off, s[0:3], 0 offset:312
	buffer_load_dword v136, off, s[0:3], 0 offset:292
	ds_read_b128 v[81:84], v76 offset:592
	s_waitcnt vmcnt(62) lgkmcnt(2)
	v_mul_f64 v[139:140], v[71:72], v[73:74]
	v_mul_f64 v[73:74], v[69:70], v[73:74]
	s_waitcnt vmcnt(60) lgkmcnt(1)
	v_mul_f64 v[146:147], v[79:80], v[85:86]
	v_mul_f64 v[85:86], v[77:78], v[85:86]
	;; [unrolled: 3-line block ×3, first 2 shown]
	v_fma_f64 v[139:140], v[69:70], v[87:88], -v[139:140]
	v_fma_f64 v[73:74], v[71:72], v[87:88], v[73:74]
	s_clause 0x2
	buffer_load_dword v144, off, s[0:3], 0 offset:332
	buffer_load_dword v88, off, s[0:3], 0 offset:308
	;; [unrolled: 1-line block ×3, first 2 shown]
	s_waitcnt vmcnt(57)
	v_fma_f64 v[77:78], v[77:78], v[1:2], -v[146:147]
	ds_read_b128 v[69:72], v76 offset:608
	v_fma_f64 v[79:80], v[79:80], v[1:2], v[85:86]
	s_clause 0x4
	buffer_load_dword v86, off, s[0:3], 0 offset:348
	buffer_load_dword v147, off, s[0:3], 0 offset:360
	;; [unrolled: 1-line block ×5, first 2 shown]
	s_waitcnt vmcnt(56)
	v_fma_f64 v[81:82], v[81:82], v[95:96], -v[150:151]
	ds_read_b128 v[1:4], v76 offset:624
	v_fma_f64 v[83:84], v[83:84], v[95:96], v[148:149]
	s_clause 0x2
	buffer_load_dword v148, off, s[0:3], 0 offset:364
	buffer_load_dword v96, off, s[0:3], 0 offset:340
	;; [unrolled: 1-line block ×3, first 2 shown]
	v_add_f64 v[139:140], v[139:140], 0
	v_add_f64 v[73:74], v[73:74], 0
	s_waitcnt lgkmcnt(1)
	v_mul_f64 v[153:154], v[69:70], v[89:90]
	v_mul_f64 v[89:90], v[71:72], v[89:90]
	s_waitcnt vmcnt(58) lgkmcnt(0)
	v_mul_f64 v[149:150], v[1:2], v[91:92]
	v_mul_f64 v[91:92], v[3:4], v[91:92]
	v_add_f64 v[139:140], v[139:140], v[77:78]
	v_add_f64 v[73:74], v[73:74], v[79:80]
	ds_read_b128 v[77:80], v76 offset:640
	s_waitcnt vmcnt(56)
	v_fma_f64 v[89:90], v[69:70], v[97:98], -v[89:90]
	v_fma_f64 v[97:98], v[71:72], v[97:98], v[153:154]
	s_waitcnt vmcnt(51)
	v_fma_f64 v[91:92], v[1:2], v[93:94], -v[91:92]
	s_waitcnt lgkmcnt(0)
	v_mul_f64 v[155:156], v[77:78], v[99:100]
	v_add_f64 v[81:82], v[139:140], v[81:82]
	v_add_f64 v[73:74], v[73:74], v[83:84]
	s_clause 0x4
	buffer_load_dword v84, off, s[0:3], 0 offset:380
	buffer_load_dword v139, off, s[0:3], 0 offset:392
	;; [unrolled: 1-line block ×5, first 2 shown]
	v_mul_f64 v[99:100], v[79:80], v[99:100]
	ds_read_b128 v[69:72], v76 offset:656
	v_add_f64 v[81:82], v[81:82], v[89:90]
	v_fma_f64 v[89:90], v[3:4], v[93:94], v[149:150]
	v_add_f64 v[73:74], v[73:74], v[97:98]
	s_clause 0x2
	buffer_load_dword v140, off, s[0:3], 0 offset:396
	buffer_load_dword v94, off, s[0:3], 0 offset:372
	;; [unrolled: 1-line block ×3, first 2 shown]
	s_waitcnt vmcnt(58) lgkmcnt(0)
	v_mul_f64 v[97:98], v[69:70], v[101:102]
	v_mul_f64 v[101:102], v[71:72], v[101:102]
	s_waitcnt vmcnt(56)
	v_fma_f64 v[99:100], v[77:78], v[105:106], -v[99:100]
	ds_read_b128 v[1:4], v76 offset:672
	v_add_f64 v[81:82], v[81:82], v[91:92]
	v_fma_f64 v[91:92], v[79:80], v[105:106], v[155:156]
	v_add_f64 v[73:74], v[73:74], v[89:90]
	s_clause 0x4
	buffer_load_dword v90, off, s[0:3], 0 offset:412
	buffer_load_dword v105, off, s[0:3], 0 offset:424
	;; [unrolled: 1-line block ×5, first 2 shown]
	ds_read_b128 v[77:80], v76 offset:688
	s_waitcnt vmcnt(57) lgkmcnt(1)
	v_mul_f64 v[150:151], v[1:2], v[107:108]
	v_mul_f64 v[107:108], v[3:4], v[107:108]
	s_waitcnt vmcnt(56)
	v_fma_f64 v[101:102], v[69:70], v[103:104], -v[101:102]
	v_fma_f64 v[97:98], v[71:72], v[103:104], v[97:98]
	v_add_f64 v[81:82], v[81:82], v[99:100]
	v_add_f64 v[73:74], v[73:74], v[91:92]
	s_clause 0x2
	buffer_load_dword v106, off, s[0:3], 0 offset:428
	buffer_load_dword v92, off, s[0:3], 0 offset:404
	;; [unrolled: 1-line block ×3, first 2 shown]
	s_waitcnt vmcnt(58) lgkmcnt(0)
	v_mul_f64 v[103:104], v[79:80], v[109:110]
	ds_read_b128 v[69:72], v76 offset:704
	s_waitcnt vmcnt(56)
	v_fma_f64 v[107:108], v[1:2], v[113:114], -v[107:108]
	v_mul_f64 v[99:100], v[77:78], v[109:110]
	v_add_f64 v[81:82], v[81:82], v[101:102]
	v_fma_f64 v[101:102], v[3:4], v[113:114], v[150:151]
	v_add_f64 v[73:74], v[73:74], v[97:98]
	s_clause 0x4
	buffer_load_dword v98, off, s[0:3], 0 offset:444
	buffer_load_dword v109, off, s[0:3], 0 offset:456
	buffer_load_dword v113, off, s[0:3], 0 offset:448
	buffer_load_dword v97, off, s[0:3], 0 offset:440
	buffer_load_dword v150, off, s[0:3], 0 offset:420
	s_waitcnt vmcnt(57) lgkmcnt(0)
	v_mul_f64 v[156:157], v[69:70], v[115:116]
	v_mul_f64 v[114:115], v[71:72], v[115:116]
	s_waitcnt vmcnt(56)
	v_fma_f64 v[103:104], v[77:78], v[111:112], -v[103:104]
	ds_read_b128 v[1:4], v76 offset:720
	v_fma_f64 v[99:100], v[79:80], v[111:112], v[99:100]
	v_add_f64 v[81:82], v[81:82], v[107:108]
	v_add_f64 v[73:74], v[73:74], v[101:102]
	s_clause 0x2
	buffer_load_dword v110, off, s[0:3], 0 offset:460
	buffer_load_dword v102, off, s[0:3], 0 offset:436
	buffer_load_dword v101, off, s[0:3], 0 offset:432
	ds_read_b128 v[77:80], v76 offset:736
	s_waitcnt vmcnt(58) lgkmcnt(1)
	v_mul_f64 v[111:112], v[3:4], v[117:118]
	s_waitcnt vmcnt(56)
	v_fma_f64 v[115:116], v[69:70], v[121:122], -v[114:115]
	v_mul_f64 v[107:108], v[1:2], v[117:118]
	v_add_f64 v[81:82], v[81:82], v[103:104]
	v_fma_f64 v[103:104], v[71:72], v[121:122], v[156:157]
	v_add_f64 v[73:74], v[73:74], v[99:100]
	s_clause 0x4
	buffer_load_dword v100, off, s[0:3], 0 offset:476
	buffer_load_dword v117, off, s[0:3], 0 offset:488
	buffer_load_dword v121, off, s[0:3], 0 offset:480
	buffer_load_dword v99, off, s[0:3], 0 offset:472
	buffer_load_dword v114, off, s[0:3], 0 offset:452
	s_waitcnt vmcnt(57) lgkmcnt(0)
	v_mul_f64 v[156:157], v[77:78], v[123:124]
	v_mul_f64 v[122:123], v[79:80], v[123:124]
	s_waitcnt vmcnt(56)
	v_fma_f64 v[111:112], v[1:2], v[119:120], -v[111:112]
	ds_read_b128 v[69:72], v76 offset:752
	v_fma_f64 v[107:108], v[3:4], v[119:120], v[107:108]
	v_add_f64 v[81:82], v[81:82], v[115:116]
	v_add_f64 v[73:74], v[73:74], v[103:104]
	s_clause 0x2
	buffer_load_dword v118, off, s[0:3], 0 offset:492
	buffer_load_dword v104, off, s[0:3], 0 offset:468
	buffer_load_dword v103, off, s[0:3], 0 offset:464
	ds_read_b128 v[1:4], v76 offset:768
	s_waitcnt vmcnt(58) lgkmcnt(1)
	v_mul_f64 v[119:120], v[71:72], v[125:126]
	;; [unrolled: 28-line block ×3, first 2 shown]
	s_waitcnt vmcnt(56)
	v_fma_f64 v[131:132], v[1:2], v[137:138], -v[130:131]
	v_mul_f64 v[123:124], v[77:78], v[133:134]
	buffer_load_dword v130, off, s[0:3], 0 offset:516
	v_add_f64 v[81:82], v[81:82], v[119:120]
	v_fma_f64 v[119:120], v[3:4], v[137:138], v[156:157]
	v_add_f64 v[73:74], v[73:74], v[115:116]
	ds_read_b128 v[1:4], v76 offset:816
	s_waitcnt vmcnt(53) lgkmcnt(1)
	v_mul_f64 v[133:134], v[71:72], v[141:142]
	s_waitcnt vmcnt(52)
	v_fma_f64 v[127:128], v[77:78], v[135:136], -v[127:128]
	v_mul_f64 v[115:116], v[69:70], v[141:142]
	v_fma_f64 v[123:124], v[79:80], v[135:136], v[123:124]
	ds_read_b128 v[77:80], v76 offset:832
	v_add_f64 v[81:82], v[81:82], v[131:132]
	v_add_f64 v[73:74], v[73:74], v[119:120]
	s_waitcnt vmcnt(51) lgkmcnt(1)
	v_mul_f64 v[131:132], v[3:4], v[143:144]
	v_mul_f64 v[119:120], v[1:2], v[143:144]
	s_waitcnt vmcnt(49)
	v_fma_f64 v[133:134], v[69:70], v[87:88], -v[133:134]
	v_fma_f64 v[87:88], v[71:72], v[87:88], v[115:116]
	v_add_f64 v[81:82], v[81:82], v[127:128]
	s_waitcnt vmcnt(45) lgkmcnt(0)
	v_mul_f64 v[127:128], v[77:78], v[85:86]
	v_add_f64 v[73:74], v[73:74], v[123:124]
	s_clause 0x3
	buffer_load_dword v115, off, s[0:3], 0 offset:48
	buffer_load_dword v116, off, s[0:3], 0 offset:52
	;; [unrolled: 1-line block ×4, first 2 shown]
	v_mul_f64 v[85:86], v[79:80], v[85:86]
	ds_read_b128 v[69:72], v76 offset:848
	s_waitcnt vmcnt(48)
	v_fma_f64 v[131:132], v[1:2], v[145:146], -v[131:132]
	v_fma_f64 v[119:120], v[3:4], v[145:146], v[119:120]
	ds_read_b128 v[1:4], v76 offset:864
	v_add_f64 v[81:82], v[81:82], v[133:134]
	v_add_f64 v[73:74], v[73:74], v[87:88]
	s_waitcnt vmcnt(47) lgkmcnt(1)
	v_mul_f64 v[133:134], v[71:72], v[147:148]
	s_waitcnt vmcnt(45)
	v_fma_f64 v[85:86], v[77:78], v[95:96], -v[85:86]
	v_mul_f64 v[87:88], v[69:70], v[147:148]
	v_fma_f64 v[95:96], v[79:80], v[95:96], v[127:128]
	ds_read_b128 v[77:80], v76 offset:880
	v_add_f64 v[81:82], v[81:82], v[131:132]
	v_add_f64 v[73:74], v[73:74], v[119:120]
	s_waitcnt vmcnt(41) lgkmcnt(1)
	v_mul_f64 v[119:120], v[1:2], v[83:84]
	v_mul_f64 v[83:84], v[3:4], v[83:84]
	s_waitcnt vmcnt(40)
	v_fma_f64 v[127:128], v[69:70], v[152:153], -v[133:134]
	v_add_f64 v[81:82], v[81:82], v[85:86]
	v_fma_f64 v[85:86], v[71:72], v[152:153], v[87:88]
	v_add_f64 v[73:74], v[73:74], v[95:96]
	ds_read_b128 v[69:72], v76 offset:896
	s_waitcnt vmcnt(39) lgkmcnt(1)
	v_mul_f64 v[95:96], v[79:80], v[139:140]
	v_mul_f64 v[87:88], v[77:78], v[139:140]
	s_waitcnt vmcnt(37)
	v_fma_f64 v[83:84], v[1:2], v[93:94], -v[83:84]
	v_fma_f64 v[93:94], v[3:4], v[93:94], v[119:120]
	ds_read_b128 v[1:4], v76 offset:912
	v_add_f64 v[81:82], v[81:82], v[127:128]
	v_add_f64 v[73:74], v[73:74], v[85:86]
	s_waitcnt vmcnt(33) lgkmcnt(1)
	v_mul_f64 v[85:86], v[69:70], v[89:90]
	v_mul_f64 v[89:90], v[71:72], v[89:90]
	s_waitcnt vmcnt(32)
	v_fma_f64 v[95:96], v[77:78], v[154:155], -v[95:96]
	v_add_f64 v[81:82], v[81:82], v[83:84]
	v_fma_f64 v[83:84], v[79:80], v[154:155], v[87:88]
	v_add_f64 v[73:74], v[73:74], v[93:94]
	ds_read_b128 v[77:80], v76 offset:928
	s_waitcnt vmcnt(31) lgkmcnt(1)
	v_mul_f64 v[93:94], v[3:4], v[105:106]
	v_mul_f64 v[87:88], v[1:2], v[105:106]
	s_waitcnt vmcnt(29)
	v_fma_f64 v[89:90], v[69:70], v[91:92], -v[89:90]
	v_fma_f64 v[85:86], v[71:72], v[91:92], v[85:86]
	ds_read_b128 v[69:72], v76 offset:944
	v_add_f64 v[81:82], v[81:82], v[95:96]
	v_add_f64 v[73:74], v[73:74], v[83:84]
	s_waitcnt vmcnt(25) lgkmcnt(1)
	v_mul_f64 v[91:92], v[79:80], v[97:98]
	s_waitcnt vmcnt(24)
	v_fma_f64 v[93:94], v[1:2], v[149:150], -v[93:94]
	v_mul_f64 v[83:84], v[77:78], v[97:98]
	v_fma_f64 v[87:88], v[3:4], v[149:150], v[87:88]
	ds_read_b128 v[1:4], v76 offset:960
	v_add_f64 v[81:82], v[81:82], v[89:90]
	v_add_f64 v[73:74], v[73:74], v[85:86]
	s_waitcnt vmcnt(23) lgkmcnt(1)
	v_mul_f64 v[89:90], v[71:72], v[109:110]
	v_mul_f64 v[85:86], v[69:70], v[109:110]
	s_waitcnt vmcnt(21)
	v_fma_f64 v[91:92], v[77:78], v[101:102], -v[91:92]
	v_fma_f64 v[83:84], v[79:80], v[101:102], v[83:84]
	ds_read_b128 v[77:80], v76 offset:976
	v_add_f64 v[81:82], v[81:82], v[93:94]
	v_add_f64 v[73:74], v[73:74], v[87:88]
	s_waitcnt vmcnt(17) lgkmcnt(1)
	v_mul_f64 v[93:94], v[3:4], v[99:100]
	s_waitcnt vmcnt(16)
	v_fma_f64 v[89:90], v[69:70], v[113:114], -v[89:90]
	v_mul_f64 v[87:88], v[1:2], v[99:100]
	v_fma_f64 v[85:86], v[71:72], v[113:114], v[85:86]
	ds_read_b128 v[69:72], v76 offset:992
	v_add_f64 v[81:82], v[81:82], v[91:92]
	v_add_f64 v[73:74], v[73:74], v[83:84]
	s_waitcnt vmcnt(15) lgkmcnt(1)
	v_mul_f64 v[91:92], v[79:80], v[117:118]
	v_mul_f64 v[83:84], v[77:78], v[117:118]
	s_waitcnt vmcnt(13)
	v_fma_f64 v[93:94], v[1:2], v[103:104], -v[93:94]
	v_fma_f64 v[87:88], v[3:4], v[103:104], v[87:88]
	ds_read_b128 v[1:4], v76 offset:1008
	v_add_f64 v[81:82], v[81:82], v[89:90]
	v_add_f64 v[73:74], v[73:74], v[85:86]
	s_waitcnt vmcnt(9) lgkmcnt(1)
	v_mul_f64 v[89:90], v[71:72], v[107:108]
	s_waitcnt vmcnt(8)
	v_fma_f64 v[77:78], v[77:78], v[121:122], -v[91:92]
	v_mul_f64 v[85:86], v[69:70], v[107:108]
	v_fma_f64 v[79:80], v[79:80], v[121:122], v[83:84]
	v_add_f64 v[81:82], v[81:82], v[93:94]
	v_add_f64 v[73:74], v[73:74], v[87:88]
	s_waitcnt vmcnt(7) lgkmcnt(0)
	v_mul_f64 v[87:88], v[3:4], v[125:126]
	v_mul_f64 v[83:84], v[1:2], v[125:126]
	s_waitcnt vmcnt(5)
	v_fma_f64 v[69:70], v[69:70], v[111:112], -v[89:90]
	v_fma_f64 v[71:72], v[71:72], v[111:112], v[85:86]
	v_add_f64 v[77:78], v[81:82], v[77:78]
	v_add_f64 v[73:74], v[73:74], v[79:80]
	s_waitcnt vmcnt(4)
	v_fma_f64 v[1:2], v[1:2], v[129:130], -v[87:88]
	v_fma_f64 v[3:4], v[3:4], v[129:130], v[83:84]
	v_add_f64 v[69:70], v[77:78], v[69:70]
	v_add_f64 v[71:72], v[73:74], v[71:72]
	v_add_f64 v[1:2], v[69:70], v[1:2]
	v_add_f64 v[3:4], v[71:72], v[3:4]
	s_waitcnt vmcnt(2)
	v_add_f64 v[1:2], v[115:116], -v[1:2]
	s_waitcnt vmcnt(0)
	v_add_f64 v[3:4], v[123:124], -v[3:4]
	buffer_store_dword v2, off, s[0:3], 0 offset:52
	buffer_store_dword v1, off, s[0:3], 0 offset:48
	;; [unrolled: 1-line block ×4, first 2 shown]
	v_cmpx_lt_u32_e32 1, v0
	s_cbranch_execz .LBB95_203
; %bb.202:
	v_mov_b32_e32 v4, s43
	s_clause 0x3
	buffer_load_dword v1, v4, s[0:3], 0 offen
	buffer_load_dword v2, v4, s[0:3], 0 offen offset:4
	buffer_load_dword v3, v4, s[0:3], 0 offen offset:8
	;; [unrolled: 1-line block ×3, first 2 shown]
	buffer_store_dword v76, off, s[0:3], 0 offset:32
	buffer_store_dword v76, off, s[0:3], 0 offset:36
	;; [unrolled: 1-line block ×4, first 2 shown]
	s_waitcnt vmcnt(0)
	ds_write_b128 v75, v[1:4]
.LBB95_203:
	s_or_b32 exec_lo, exec_lo, s4
	s_waitcnt lgkmcnt(0)
	s_waitcnt_vscnt null, 0x0
	s_barrier
	buffer_gl0_inv
	s_clause 0x37
	buffer_load_dword v73, off, s[0:3], 0 offset:56
	buffer_load_dword v74, off, s[0:3], 0 offset:60
	;; [unrolled: 1-line block ×56, first 2 shown]
	ds_read_b128 v[77:80], v76 offset:544
	s_clause 0x2
	buffer_load_dword v134, off, s[0:3], 0 offset:284
	buffer_load_dword v138, off, s[0:3], 0 offset:260
	;; [unrolled: 1-line block ×3, first 2 shown]
	ds_read_b128 v[81:84], v76 offset:560
	s_clause 0x4
	buffer_load_dword v142, off, s[0:3], 0 offset:300
	buffer_load_dword v143, off, s[0:3], 0 offset:312
	;; [unrolled: 1-line block ×5, first 2 shown]
	ds_read_b128 v[85:88], v76 offset:576
	s_clause 0x2
	buffer_load_dword v144, off, s[0:3], 0 offset:316
	buffer_load_dword v149, off, s[0:3], 0 offset:292
	buffer_load_dword v148, off, s[0:3], 0 offset:288
	s_mov_b32 s4, exec_lo
	s_waitcnt vmcnt(62) lgkmcnt(2)
	v_mul_f64 v[139:140], v[79:80], v[73:74]
	v_mul_f64 v[73:74], v[77:78], v[73:74]
	s_waitcnt lgkmcnt(1)
	v_mul_f64 v[146:147], v[83:84], v[69:70]
	s_waitcnt vmcnt(59) lgkmcnt(0)
	v_mul_f64 v[150:151], v[87:88], v[3:4]
	v_fma_f64 v[77:78], v[77:78], v[71:72], -v[139:140]
	v_mul_f64 v[139:140], v[81:82], v[69:70]
	v_fma_f64 v[73:74], v[79:80], v[71:72], v[73:74]
	s_waitcnt vmcnt(57)
	v_fma_f64 v[81:82], v[81:82], v[1:2], -v[146:147]
	ds_read_b128 v[69:72], v76 offset:592
	v_mul_f64 v[79:80], v[85:86], v[3:4]
	s_waitcnt vmcnt(51)
	v_fma_f64 v[85:86], v[85:86], v[95:96], -v[150:151]
	v_add_f64 v[77:78], v[77:78], 0
	v_fma_f64 v[83:84], v[83:84], v[1:2], v[139:140]
	v_add_f64 v[73:74], v[73:74], 0
	s_clause 0x4
	buffer_load_dword v140, off, s[0:3], 0 offset:332
	buffer_load_dword v152, off, s[0:3], 0 offset:344
	;; [unrolled: 1-line block ×5, first 2 shown]
	s_waitcnt lgkmcnt(0)
	v_mul_f64 v[155:156], v[69:70], v[89:90]
	v_mul_f64 v[89:90], v[71:72], v[89:90]
	ds_read_b128 v[1:4], v76 offset:608
	v_fma_f64 v[87:88], v[87:88], v[95:96], v[79:80]
	v_add_f64 v[81:82], v[77:78], v[81:82]
	v_add_f64 v[73:74], v[73:74], v[83:84]
	s_clause 0x2
	buffer_load_dword v153, off, s[0:3], 0 offset:348
	buffer_load_dword v84, off, s[0:3], 0 offset:324
	;; [unrolled: 1-line block ×3, first 2 shown]
	s_waitcnt vmcnt(58) lgkmcnt(0)
	v_mul_f64 v[95:96], v[1:2], v[91:92]
	v_mul_f64 v[91:92], v[3:4], v[91:92]
	s_waitcnt vmcnt(56)
	v_fma_f64 v[89:90], v[69:70], v[97:98], -v[89:90]
	ds_read_b128 v[77:80], v76 offset:624
	v_add_f64 v[81:82], v[81:82], v[85:86]
	v_fma_f64 v[85:86], v[71:72], v[97:98], v[155:156]
	v_add_f64 v[73:74], v[73:74], v[87:88]
	s_clause 0x4
	buffer_load_dword v88, off, s[0:3], 0 offset:364
	buffer_load_dword v97, off, s[0:3], 0 offset:376
	;; [unrolled: 1-line block ×5, first 2 shown]
	ds_read_b128 v[69:72], v76 offset:640
	s_waitcnt vmcnt(57) lgkmcnt(1)
	v_mul_f64 v[156:157], v[77:78], v[99:100]
	v_mul_f64 v[99:100], v[79:80], v[99:100]
	s_waitcnt vmcnt(56)
	v_fma_f64 v[91:92], v[1:2], v[93:94], -v[91:92]
	v_add_f64 v[81:82], v[81:82], v[89:90]
	v_fma_f64 v[89:90], v[3:4], v[93:94], v[95:96]
	v_add_f64 v[73:74], v[73:74], v[85:86]
	s_clause 0x2
	buffer_load_dword v98, off, s[0:3], 0 offset:380
	buffer_load_dword v86, off, s[0:3], 0 offset:356
	;; [unrolled: 1-line block ×3, first 2 shown]
	s_waitcnt vmcnt(58) lgkmcnt(0)
	v_mul_f64 v[95:96], v[71:72], v[101:102]
	ds_read_b128 v[1:4], v76 offset:656
	s_waitcnt vmcnt(56)
	v_fma_f64 v[99:100], v[77:78], v[105:106], -v[99:100]
	v_mul_f64 v[93:94], v[69:70], v[101:102]
	v_add_f64 v[81:82], v[81:82], v[91:92]
	v_fma_f64 v[91:92], v[79:80], v[105:106], v[156:157]
	v_add_f64 v[73:74], v[73:74], v[89:90]
	s_clause 0x4
	buffer_load_dword v90, off, s[0:3], 0 offset:396
	buffer_load_dword v101, off, s[0:3], 0 offset:408
	buffer_load_dword v105, off, s[0:3], 0 offset:400
	buffer_load_dword v89, off, s[0:3], 0 offset:392
	buffer_load_dword v151, off, s[0:3], 0 offset:372
	s_waitcnt vmcnt(57) lgkmcnt(0)
	v_mul_f64 v[156:157], v[1:2], v[107:108]
	v_mul_f64 v[106:107], v[3:4], v[107:108]
	s_waitcnt vmcnt(56)
	v_fma_f64 v[95:96], v[69:70], v[103:104], -v[95:96]
	ds_read_b128 v[77:80], v76 offset:672
	v_fma_f64 v[93:94], v[71:72], v[103:104], v[93:94]
	v_add_f64 v[81:82], v[81:82], v[99:100]
	v_add_f64 v[73:74], v[73:74], v[91:92]
	s_clause 0x2
	buffer_load_dword v102, off, s[0:3], 0 offset:412
	buffer_load_dword v92, off, s[0:3], 0 offset:388
	buffer_load_dword v91, off, s[0:3], 0 offset:384
	ds_read_b128 v[69:72], v76 offset:688
	s_waitcnt vmcnt(58) lgkmcnt(1)
	v_mul_f64 v[103:104], v[79:80], v[109:110]
	s_waitcnt vmcnt(56)
	v_fma_f64 v[107:108], v[1:2], v[113:114], -v[106:107]
	v_mul_f64 v[99:100], v[77:78], v[109:110]
	v_add_f64 v[81:82], v[81:82], v[95:96]
	v_fma_f64 v[95:96], v[3:4], v[113:114], v[156:157]
	v_add_f64 v[73:74], v[73:74], v[93:94]
	s_clause 0x4
	buffer_load_dword v94, off, s[0:3], 0 offset:428
	buffer_load_dword v109, off, s[0:3], 0 offset:440
	buffer_load_dword v113, off, s[0:3], 0 offset:432
	buffer_load_dword v93, off, s[0:3], 0 offset:424
	buffer_load_dword v106, off, s[0:3], 0 offset:404
	s_waitcnt vmcnt(57) lgkmcnt(0)
	v_mul_f64 v[156:157], v[69:70], v[115:116]
	v_mul_f64 v[114:115], v[71:72], v[115:116]
	s_waitcnt vmcnt(56)
	v_fma_f64 v[103:104], v[77:78], v[111:112], -v[103:104]
	ds_read_b128 v[1:4], v76 offset:704
	v_fma_f64 v[99:100], v[79:80], v[111:112], v[99:100]
	v_add_f64 v[81:82], v[81:82], v[107:108]
	v_add_f64 v[73:74], v[73:74], v[95:96]
	s_clause 0x2
	buffer_load_dword v110, off, s[0:3], 0 offset:444
	buffer_load_dword v96, off, s[0:3], 0 offset:420
	buffer_load_dword v95, off, s[0:3], 0 offset:416
	ds_read_b128 v[77:80], v76 offset:720
	s_waitcnt vmcnt(58) lgkmcnt(1)
	v_mul_f64 v[111:112], v[3:4], v[117:118]
	;; [unrolled: 28-line block ×4, first 2 shown]
	s_waitcnt vmcnt(56)
	v_fma_f64 v[131:132], v[1:2], v[137:138], -v[130:131]
	v_mul_f64 v[123:124], v[77:78], v[133:134]
	v_add_f64 v[81:82], v[81:82], v[119:120]
	v_fma_f64 v[119:120], v[3:4], v[137:138], v[156:157]
	v_add_f64 v[73:74], v[73:74], v[115:116]
	s_clause 0x2
	buffer_load_dword v116, off, s[0:3], 0 offset:524
	buffer_load_dword v115, off, s[0:3], 0 offset:520
	;; [unrolled: 1-line block ×3, first 2 shown]
	s_waitcnt vmcnt(55) lgkmcnt(0)
	v_mul_f64 v[137:138], v[71:72], v[141:142]
	s_waitcnt vmcnt(54)
	v_fma_f64 v[127:128], v[77:78], v[135:136], -v[127:128]
	ds_read_b128 v[1:4], v76 offset:800
	v_mul_f64 v[133:134], v[69:70], v[141:142]
	v_fma_f64 v[123:124], v[79:80], v[135:136], v[123:124]
	v_add_f64 v[81:82], v[81:82], v[131:132]
	v_add_f64 v[73:74], v[73:74], v[119:120]
	s_clause 0x1
	buffer_load_dword v120, off, s[0:3], 0 offset:516
	buffer_load_dword v119, off, s[0:3], 0 offset:512
	s_waitcnt vmcnt(55) lgkmcnt(0)
	v_mul_f64 v[135:136], v[3:4], v[143:144]
	s_waitcnt vmcnt(53)
	v_fma_f64 v[137:138], v[69:70], v[148:149], -v[137:138]
	ds_read_b128 v[77:80], v76 offset:816
	v_mul_f64 v[131:132], v[1:2], v[143:144]
	v_add_f64 v[81:82], v[81:82], v[127:128]
	v_fma_f64 v[127:128], v[71:72], v[148:149], v[133:134]
	v_add_f64 v[73:74], v[73:74], v[123:124]
	ds_read_b128 v[69:72], v76 offset:832
	s_waitcnt vmcnt(49) lgkmcnt(1)
	v_mul_f64 v[133:134], v[79:80], v[139:140]
	s_waitcnt vmcnt(48)
	v_fma_f64 v[135:136], v[1:2], v[145:146], -v[135:136]
	v_mul_f64 v[123:124], v[77:78], v[139:140]
	v_fma_f64 v[131:132], v[3:4], v[145:146], v[131:132]
	v_add_f64 v[81:82], v[81:82], v[137:138]
	v_add_f64 v[73:74], v[73:74], v[127:128]
	s_clause 0x3
	buffer_load_dword v127, off, s[0:3], 0 offset:32
	buffer_load_dword v128, off, s[0:3], 0 offset:36
	;; [unrolled: 1-line block ×4, first 2 shown]
	ds_read_b128 v[1:4], v76 offset:848
	s_waitcnt vmcnt(51) lgkmcnt(1)
	v_mul_f64 v[141:142], v[71:72], v[152:153]
	v_mul_f64 v[139:140], v[69:70], v[152:153]
	s_waitcnt vmcnt(49)
	v_fma_f64 v[133:134], v[77:78], v[83:84], -v[133:134]
	v_fma_f64 v[83:84], v[79:80], v[83:84], v[123:124]
	ds_read_b128 v[77:80], v76 offset:864
	v_add_f64 v[81:82], v[81:82], v[135:136]
	v_add_f64 v[73:74], v[73:74], v[131:132]
	s_waitcnt vmcnt(45) lgkmcnt(1)
	v_mul_f64 v[123:124], v[1:2], v[87:88]
	v_mul_f64 v[87:88], v[3:4], v[87:88]
	s_waitcnt vmcnt(44)
	v_fma_f64 v[131:132], v[69:70], v[154:155], -v[141:142]
	v_add_f64 v[81:82], v[81:82], v[133:134]
	v_fma_f64 v[133:134], v[71:72], v[154:155], v[139:140]
	v_add_f64 v[73:74], v[73:74], v[83:84]
	ds_read_b128 v[69:72], v76 offset:880
	s_waitcnt vmcnt(43) lgkmcnt(1)
	v_mul_f64 v[83:84], v[77:78], v[97:98]
	v_mul_f64 v[97:98], v[79:80], v[97:98]
	s_waitcnt vmcnt(41)
	v_fma_f64 v[87:88], v[1:2], v[85:86], -v[87:88]
	v_fma_f64 v[85:86], v[3:4], v[85:86], v[123:124]
	ds_read_b128 v[1:4], v76 offset:896
	v_add_f64 v[81:82], v[81:82], v[131:132]
	v_add_f64 v[73:74], v[73:74], v[133:134]
	s_waitcnt vmcnt(37) lgkmcnt(1)
	v_mul_f64 v[123:124], v[69:70], v[89:90]
	v_mul_f64 v[89:90], v[71:72], v[89:90]
	s_waitcnt vmcnt(36)
	v_fma_f64 v[97:98], v[77:78], v[150:151], -v[97:98]
	v_fma_f64 v[83:84], v[79:80], v[150:151], v[83:84]
	ds_read_b128 v[77:80], v76 offset:912
	v_add_f64 v[81:82], v[81:82], v[87:88]
	v_add_f64 v[73:74], v[73:74], v[85:86]
	;; [unrolled: 9-line block ×5, first 2 shown]
	s_waitcnt vmcnt(21) lgkmcnt(1)
	v_mul_f64 v[87:88], v[3:4], v[99:100]
	s_waitcnt vmcnt(20)
	v_fma_f64 v[91:92], v[69:70], v[113:114], -v[91:92]
	v_mul_f64 v[85:86], v[1:2], v[99:100]
	v_fma_f64 v[89:90], v[71:72], v[113:114], v[89:90]
	ds_read_b128 v[69:72], v76 offset:976
	v_add_f64 v[81:82], v[81:82], v[93:94]
	v_add_f64 v[73:74], v[73:74], v[83:84]
	s_waitcnt vmcnt(19) lgkmcnt(1)
	v_mul_f64 v[93:94], v[79:80], v[117:118]
	v_mul_f64 v[83:84], v[77:78], v[117:118]
	s_waitcnt vmcnt(17)
	v_fma_f64 v[87:88], v[1:2], v[103:104], -v[87:88]
	v_fma_f64 v[85:86], v[3:4], v[103:104], v[85:86]
	ds_read_b128 v[1:4], v76 offset:992
	v_add_f64 v[81:82], v[81:82], v[91:92]
	v_add_f64 v[73:74], v[73:74], v[89:90]
	s_waitcnt vmcnt(13) lgkmcnt(1)
	v_mul_f64 v[91:92], v[71:72], v[107:108]
	s_waitcnt vmcnt(12)
	v_fma_f64 v[93:94], v[77:78], v[121:122], -v[93:94]
	v_mul_f64 v[89:90], v[69:70], v[107:108]
	v_fma_f64 v[83:84], v[79:80], v[121:122], v[83:84]
	ds_read_b128 v[76:79], v76 offset:1008
	v_add_f64 v[81:82], v[81:82], v[87:88]
	v_add_f64 v[73:74], v[73:74], v[85:86]
	s_waitcnt vmcnt(11) lgkmcnt(1)
	v_mul_f64 v[87:88], v[3:4], v[125:126]
	v_mul_f64 v[85:86], v[1:2], v[125:126]
	s_waitcnt vmcnt(9)
	v_fma_f64 v[69:70], v[69:70], v[111:112], -v[91:92]
	v_fma_f64 v[71:72], v[71:72], v[111:112], v[89:90]
	v_add_f64 v[80:81], v[81:82], v[93:94]
	v_add_f64 v[73:74], v[73:74], v[83:84]
	s_waitcnt vmcnt(7) lgkmcnt(0)
	v_mul_f64 v[89:90], v[78:79], v[115:116]
	s_waitcnt vmcnt(6)
	v_fma_f64 v[1:2], v[1:2], v[129:130], -v[87:88]
	v_mul_f64 v[82:83], v[76:77], v[115:116]
	v_fma_f64 v[3:4], v[3:4], v[129:130], v[85:86]
	v_add_f64 v[69:70], v[80:81], v[69:70]
	v_add_f64 v[71:72], v[73:74], v[71:72]
	s_waitcnt vmcnt(4)
	v_fma_f64 v[73:74], v[76:77], v[119:120], -v[89:90]
	v_add_f64 v[1:2], v[69:70], v[1:2]
	v_fma_f64 v[69:70], v[78:79], v[119:120], v[82:83]
	v_add_f64 v[3:4], v[71:72], v[3:4]
	v_add_f64 v[1:2], v[1:2], v[73:74]
	;; [unrolled: 1-line block ×3, first 2 shown]
	s_waitcnt vmcnt(2)
	v_add_f64 v[1:2], v[127:128], -v[1:2]
	s_waitcnt vmcnt(0)
	v_add_f64 v[3:4], v[137:138], -v[3:4]
	buffer_store_dword v2, off, s[0:3], 0 offset:36
	buffer_store_dword v1, off, s[0:3], 0 offset:32
	buffer_store_dword v4, off, s[0:3], 0 offset:44
	buffer_store_dword v3, off, s[0:3], 0 offset:40
	v_cmpx_ne_u32_e32 0, v0
	s_cbranch_execz .LBB95_205
; %bb.204:
	s_clause 0x3
	buffer_load_dword v0, off, s[0:3], 0 offset:16
	buffer_load_dword v1, off, s[0:3], 0 offset:20
	;; [unrolled: 1-line block ×4, first 2 shown]
	v_mov_b32_e32 v4, 0
	buffer_store_dword v4, off, s[0:3], 0 offset:16
	buffer_store_dword v4, off, s[0:3], 0 offset:20
	;; [unrolled: 1-line block ×4, first 2 shown]
	s_waitcnt vmcnt(0)
	ds_write_b128 v75, v[0:3]
.LBB95_205:
	s_or_b32 exec_lo, exec_lo, s4
	s_waitcnt lgkmcnt(0)
	s_waitcnt_vscnt null, 0x0
	s_barrier
	buffer_gl0_inv
	s_clause 0x37
	buffer_load_dword v73, off, s[0:3], 0 offset:40
	buffer_load_dword v74, off, s[0:3], 0 offset:44
	;; [unrolled: 1-line block ×56, first 2 shown]
	v_mov_b32_e32 v4, 0
	s_and_b32 vcc_lo, exec_lo, s44
	ds_read_b128 v[81:84], v4 offset:528
	s_clause 0x2
	buffer_load_dword v132, off, s[0:3], 0 offset:268
	buffer_load_dword v136, off, s[0:3], 0 offset:244
	;; [unrolled: 1-line block ×3, first 2 shown]
	ds_read_b128 v[85:88], v4 offset:544
	s_clause 0x4
	buffer_load_dword v140, off, s[0:3], 0 offset:284
	buffer_load_dword v141, off, s[0:3], 0 offset:296
	;; [unrolled: 1-line block ×5, first 2 shown]
	ds_read_b128 v[89:92], v4 offset:560
	s_clause 0x2
	buffer_load_dword v142, off, s[0:3], 0 offset:300
	buffer_load_dword v147, off, s[0:3], 0 offset:276
	;; [unrolled: 1-line block ×3, first 2 shown]
	s_waitcnt vmcnt(62) lgkmcnt(2)
	v_mul_f64 v[137:138], v[83:84], v[73:74]
	v_mul_f64 v[73:74], v[81:82], v[73:74]
	s_waitcnt lgkmcnt(1)
	v_mul_f64 v[144:145], v[87:88], v[69:70]
	s_waitcnt vmcnt(59) lgkmcnt(0)
	v_mul_f64 v[148:149], v[91:92], v[2:3]
	v_fma_f64 v[81:82], v[81:82], v[71:72], -v[137:138]
	v_mul_f64 v[137:138], v[85:86], v[69:70]
	v_fma_f64 v[73:74], v[83:84], v[71:72], v[73:74]
	s_waitcnt vmcnt(57)
	v_fma_f64 v[85:86], v[85:86], v[0:1], -v[144:145]
	ds_read_b128 v[69:72], v4 offset:576
	v_mul_f64 v[83:84], v[89:90], v[2:3]
	s_waitcnt vmcnt(51)
	v_fma_f64 v[89:90], v[89:90], v[95:96], -v[148:149]
	v_add_f64 v[81:82], v[81:82], 0
	v_fma_f64 v[87:88], v[87:88], v[0:1], v[137:138]
	v_add_f64 v[73:74], v[73:74], 0
	s_clause 0x4
	buffer_load_dword v138, off, s[0:3], 0 offset:316
	buffer_load_dword v150, off, s[0:3], 0 offset:328
	buffer_load_dword v152, off, s[0:3], 0 offset:320
	buffer_load_dword v137, off, s[0:3], 0 offset:312
	buffer_load_dword v144, off, s[0:3], 0 offset:292
	s_waitcnt lgkmcnt(0)
	v_mul_f64 v[153:154], v[69:70], v[77:78]
	v_mul_f64 v[77:78], v[71:72], v[77:78]
	ds_read_b128 v[0:3], v4 offset:592
	v_fma_f64 v[91:92], v[91:92], v[95:96], v[83:84]
	v_add_f64 v[85:86], v[81:82], v[85:86]
	v_add_f64 v[73:74], v[73:74], v[87:88]
	s_clause 0x2
	buffer_load_dword v151, off, s[0:3], 0 offset:332
	buffer_load_dword v88, off, s[0:3], 0 offset:308
	;; [unrolled: 1-line block ×3, first 2 shown]
	s_waitcnt vmcnt(58) lgkmcnt(0)
	v_mul_f64 v[95:96], v[0:1], v[93:94]
	v_mul_f64 v[93:94], v[2:3], v[93:94]
	s_waitcnt vmcnt(56)
	v_fma_f64 v[77:78], v[69:70], v[97:98], -v[77:78]
	ds_read_b128 v[81:84], v4 offset:608
	v_add_f64 v[85:86], v[85:86], v[89:90]
	v_fma_f64 v[89:90], v[71:72], v[97:98], v[153:154]
	v_add_f64 v[73:74], v[73:74], v[91:92]
	s_clause 0x4
	buffer_load_dword v92, off, s[0:3], 0 offset:348
	buffer_load_dword v97, off, s[0:3], 0 offset:360
	;; [unrolled: 1-line block ×5, first 2 shown]
	ds_read_b128 v[69:72], v4 offset:624
	s_waitcnt vmcnt(57) lgkmcnt(1)
	v_mul_f64 v[154:155], v[81:82], v[99:100]
	v_mul_f64 v[99:100], v[83:84], v[99:100]
	s_waitcnt vmcnt(56)
	v_fma_f64 v[93:94], v[0:1], v[75:76], -v[93:94]
	v_fma_f64 v[75:76], v[2:3], v[75:76], v[95:96]
	v_add_f64 v[77:78], v[85:86], v[77:78]
	s_clause 0x2
	buffer_load_dword v98, off, s[0:3], 0 offset:364
	buffer_load_dword v86, off, s[0:3], 0 offset:340
	;; [unrolled: 1-line block ×3, first 2 shown]
	v_add_f64 v[73:74], v[73:74], v[89:90]
	s_waitcnt vmcnt(58) lgkmcnt(0)
	v_mul_f64 v[95:96], v[71:72], v[101:102]
	ds_read_b128 v[0:3], v4 offset:640
	v_mul_f64 v[89:90], v[69:70], v[101:102]
	s_waitcnt vmcnt(56)
	v_fma_f64 v[81:82], v[81:82], v[103:104], -v[99:100]
	v_fma_f64 v[83:84], v[83:84], v[103:104], v[154:155]
	s_clause 0x4
	buffer_load_dword v100, off, s[0:3], 0 offset:380
	buffer_load_dword v101, off, s[0:3], 0 offset:392
	;; [unrolled: 1-line block ×5, first 2 shown]
	v_add_f64 v[77:78], v[77:78], v[93:94]
	v_add_f64 v[93:94], v[73:74], v[75:76]
	s_waitcnt vmcnt(57) lgkmcnt(0)
	v_mul_f64 v[154:155], v[0:1], v[105:106]
	v_mul_f64 v[104:105], v[2:3], v[105:106]
	s_waitcnt vmcnt(56)
	v_fma_f64 v[95:96], v[69:70], v[79:80], -v[95:96]
	ds_read_b128 v[73:76], v4 offset:656
	v_fma_f64 v[79:80], v[71:72], v[79:80], v[89:90]
	v_add_f64 v[77:78], v[77:78], v[81:82]
	v_add_f64 v[81:82], v[93:94], v[83:84]
	s_clause 0x2
	buffer_load_dword v102, off, s[0:3], 0 offset:396
	buffer_load_dword v84, off, s[0:3], 0 offset:372
	;; [unrolled: 1-line block ×3, first 2 shown]
	s_waitcnt vmcnt(58) lgkmcnt(0)
	v_mul_f64 v[93:94], v[75:76], v[107:108]
	s_waitcnt vmcnt(56)
	v_fma_f64 v[105:106], v[0:1], v[111:112], -v[104:105]
	ds_read_b128 v[69:72], v4 offset:672
	v_mul_f64 v[89:90], v[73:74], v[107:108]
	v_add_f64 v[77:78], v[77:78], v[95:96]
	v_fma_f64 v[95:96], v[2:3], v[111:112], v[154:155]
	v_add_f64 v[79:80], v[81:82], v[79:80]
	s_clause 0x4
	buffer_load_dword v82, off, s[0:3], 0 offset:412
	buffer_load_dword v107, off, s[0:3], 0 offset:424
	buffer_load_dword v111, off, s[0:3], 0 offset:416
	buffer_load_dword v81, off, s[0:3], 0 offset:408
	buffer_load_dword v104, off, s[0:3], 0 offset:388
	s_waitcnt vmcnt(57) lgkmcnt(0)
	v_mul_f64 v[154:155], v[69:70], v[113:114]
	v_mul_f64 v[112:113], v[71:72], v[113:114]
	s_waitcnt vmcnt(56)
	v_fma_f64 v[93:94], v[73:74], v[109:110], -v[93:94]
	ds_read_b128 v[0:3], v4 offset:688
	v_fma_f64 v[89:90], v[75:76], v[109:110], v[89:90]
	v_add_f64 v[77:78], v[77:78], v[105:106]
	v_add_f64 v[79:80], v[79:80], v[95:96]
	s_clause 0x2
	buffer_load_dword v108, off, s[0:3], 0 offset:428
	buffer_load_dword v96, off, s[0:3], 0 offset:404
	buffer_load_dword v95, off, s[0:3], 0 offset:400
	ds_read_b128 v[73:76], v4 offset:704
	s_waitcnt vmcnt(58) lgkmcnt(1)
	v_mul_f64 v[109:110], v[2:3], v[115:116]
	s_waitcnt vmcnt(56)
	v_fma_f64 v[113:114], v[69:70], v[119:120], -v[112:113]
	v_mul_f64 v[105:106], v[0:1], v[115:116]
	v_add_f64 v[77:78], v[77:78], v[93:94]
	v_fma_f64 v[93:94], v[71:72], v[119:120], v[154:155]
	v_add_f64 v[79:80], v[79:80], v[89:90]
	s_clause 0x4
	buffer_load_dword v90, off, s[0:3], 0 offset:444
	buffer_load_dword v115, off, s[0:3], 0 offset:456
	buffer_load_dword v119, off, s[0:3], 0 offset:448
	buffer_load_dword v89, off, s[0:3], 0 offset:440
	buffer_load_dword v112, off, s[0:3], 0 offset:420
	s_waitcnt vmcnt(57) lgkmcnt(0)
	v_mul_f64 v[154:155], v[73:74], v[121:122]
	v_mul_f64 v[120:121], v[75:76], v[121:122]
	s_waitcnt vmcnt(56)
	v_fma_f64 v[109:110], v[0:1], v[117:118], -v[109:110]
	ds_read_b128 v[69:72], v4 offset:720
	v_fma_f64 v[105:106], v[2:3], v[117:118], v[105:106]
	v_add_f64 v[77:78], v[77:78], v[113:114]
	v_add_f64 v[79:80], v[79:80], v[93:94]
	s_clause 0x2
	buffer_load_dword v116, off, s[0:3], 0 offset:460
	buffer_load_dword v94, off, s[0:3], 0 offset:436
	buffer_load_dword v93, off, s[0:3], 0 offset:432
	ds_read_b128 v[0:3], v4 offset:736
	s_waitcnt vmcnt(58) lgkmcnt(1)
	v_mul_f64 v[117:118], v[71:72], v[123:124]
	s_waitcnt vmcnt(56)
	v_fma_f64 v[121:122], v[73:74], v[127:128], -v[120:121]
	;; [unrolled: 28-line block ×4, first 2 shown]
	v_mul_f64 v[129:130], v[0:1], v[141:142]
	buffer_load_dword v136, off, s[0:3], 0 offset:516
	v_add_f64 v[77:78], v[77:78], v[125:126]
	v_fma_f64 v[125:126], v[71:72], v[146:147], v[154:155]
	v_add_f64 v[79:80], v[79:80], v[121:122]
	ds_read_b128 v[69:72], v4 offset:816
	s_waitcnt vmcnt(53) lgkmcnt(1)
	v_mul_f64 v[121:122], v[73:74], v[137:138]
	v_mul_f64 v[137:138], v[75:76], v[137:138]
	s_waitcnt vmcnt(52)
	v_fma_f64 v[133:134], v[0:1], v[143:144], -v[133:134]
	v_fma_f64 v[129:130], v[2:3], v[143:144], v[129:130]
	ds_read_b128 v[0:3], v4 offset:832
	v_add_f64 v[77:78], v[77:78], v[139:140]
	v_add_f64 v[79:80], v[79:80], v[125:126]
	s_waitcnt vmcnt(51) lgkmcnt(1)
	v_mul_f64 v[139:140], v[71:72], v[150:151]
	v_mul_f64 v[125:126], v[69:70], v[150:151]
	s_waitcnt vmcnt(49)
	v_fma_f64 v[137:138], v[73:74], v[87:88], -v[137:138]
	v_fma_f64 v[87:88], v[75:76], v[87:88], v[121:122]
	v_add_f64 v[77:78], v[77:78], v[133:134]
	v_add_f64 v[79:80], v[79:80], v[129:130]
	s_clause 0x3
	buffer_load_dword v121, off, s[0:3], 0 offset:16
	buffer_load_dword v122, off, s[0:3], 0 offset:20
	;; [unrolled: 1-line block ×4, first 2 shown]
	ds_read_b128 v[73:76], v4 offset:848
	s_waitcnt vmcnt(49) lgkmcnt(1)
	v_mul_f64 v[133:134], v[0:1], v[91:92]
	v_mul_f64 v[91:92], v[2:3], v[91:92]
	s_waitcnt vmcnt(48)
	v_fma_f64 v[139:140], v[69:70], v[152:153], -v[139:140]
	v_fma_f64 v[125:126], v[71:72], v[152:153], v[125:126]
	ds_read_b128 v[69:72], v4 offset:864
	v_add_f64 v[77:78], v[77:78], v[137:138]
	v_add_f64 v[79:80], v[79:80], v[87:88]
	s_waitcnt vmcnt(47) lgkmcnt(1)
	v_mul_f64 v[87:88], v[73:74], v[97:98]
	v_mul_f64 v[97:98], v[75:76], v[97:98]
	s_waitcnt vmcnt(45)
	v_fma_f64 v[91:92], v[0:1], v[85:86], -v[91:92]
	v_fma_f64 v[85:86], v[2:3], v[85:86], v[133:134]
	ds_read_b128 v[0:3], v4 offset:880
	v_add_f64 v[77:78], v[77:78], v[139:140]
	v_add_f64 v[79:80], v[79:80], v[125:126]
	s_waitcnt vmcnt(41) lgkmcnt(1)
	v_mul_f64 v[125:126], v[69:70], v[99:100]
	v_mul_f64 v[99:100], v[71:72], v[99:100]
	s_waitcnt vmcnt(40)
	v_fma_f64 v[87:88], v[75:76], v[148:149], v[87:88]
	v_fma_f64 v[97:98], v[73:74], v[148:149], -v[97:98]
	ds_read_b128 v[73:76], v4 offset:896
	v_add_f64 v[77:78], v[77:78], v[91:92]
	v_add_f64 v[79:80], v[79:80], v[85:86]
	s_waitcnt vmcnt(39) lgkmcnt(1)
	v_mul_f64 v[91:92], v[2:3], v[101:102]
	v_mul_f64 v[85:86], v[0:1], v[101:102]
	s_waitcnt vmcnt(37)
	v_fma_f64 v[99:100], v[69:70], v[83:84], -v[99:100]
	v_fma_f64 v[83:84], v[71:72], v[83:84], v[125:126]
	ds_read_b128 v[69:72], v4 offset:912
	v_add_f64 v[77:78], v[77:78], v[97:98]
	v_add_f64 v[79:80], v[79:80], v[87:88]
	s_waitcnt vmcnt(33) lgkmcnt(1)
	v_mul_f64 v[87:88], v[73:74], v[81:82]
	v_mul_f64 v[81:82], v[75:76], v[81:82]
	s_waitcnt vmcnt(32)
	v_fma_f64 v[91:92], v[0:1], v[103:104], -v[91:92]
	v_fma_f64 v[85:86], v[2:3], v[103:104], v[85:86]
	;; [unrolled: 9-line block ×3, first 2 shown]
	ds_read_b128 v[73:76], v4 offset:944
	v_add_f64 v[77:78], v[77:78], v[91:92]
	v_add_f64 v[79:80], v[79:80], v[85:86]
	s_waitcnt vmcnt(25) lgkmcnt(1)
	v_mul_f64 v[85:86], v[0:1], v[89:90]
	v_mul_f64 v[89:90], v[2:3], v[89:90]
	s_waitcnt vmcnt(24)
	v_fma_f64 v[91:92], v[69:70], v[111:112], -v[97:98]
	v_add_f64 v[77:78], v[77:78], v[81:82]
	v_fma_f64 v[81:82], v[71:72], v[111:112], v[83:84]
	v_add_f64 v[79:80], v[79:80], v[87:88]
	ds_read_b128 v[69:72], v4 offset:960
	s_waitcnt vmcnt(23) lgkmcnt(1)
	v_mul_f64 v[87:88], v[75:76], v[115:116]
	v_mul_f64 v[83:84], v[73:74], v[115:116]
	s_waitcnt vmcnt(21)
	v_fma_f64 v[89:90], v[0:1], v[93:94], -v[89:90]
	v_fma_f64 v[85:86], v[2:3], v[93:94], v[85:86]
	ds_read_b128 v[0:3], v4 offset:976
	v_add_f64 v[77:78], v[77:78], v[91:92]
	v_add_f64 v[79:80], v[79:80], v[81:82]
	s_waitcnt vmcnt(17) lgkmcnt(1)
	v_mul_f64 v[91:92], v[71:72], v[105:106]
	s_waitcnt vmcnt(16)
	v_fma_f64 v[87:88], v[73:74], v[119:120], -v[87:88]
	v_mul_f64 v[81:82], v[69:70], v[105:106]
	v_fma_f64 v[83:84], v[75:76], v[119:120], v[83:84]
	ds_read_b128 v[73:76], v4 offset:992
	v_add_f64 v[77:78], v[77:78], v[89:90]
	v_add_f64 v[79:80], v[79:80], v[85:86]
	s_waitcnt vmcnt(15) lgkmcnt(1)
	v_mul_f64 v[89:90], v[2:3], v[123:124]
	v_mul_f64 v[85:86], v[0:1], v[123:124]
	s_waitcnt vmcnt(13)
	v_fma_f64 v[91:92], v[69:70], v[109:110], -v[91:92]
	v_fma_f64 v[81:82], v[71:72], v[109:110], v[81:82]
	ds_read_b128 v[69:72], v4 offset:1008
	v_add_f64 v[77:78], v[77:78], v[87:88]
	v_add_f64 v[79:80], v[79:80], v[83:84]
	s_waitcnt vmcnt(9) lgkmcnt(1)
	v_mul_f64 v[87:88], v[75:76], v[113:114]
	s_waitcnt vmcnt(8)
	v_fma_f64 v[0:1], v[0:1], v[127:128], -v[89:90]
	v_mul_f64 v[83:84], v[73:74], v[113:114]
	v_fma_f64 v[2:3], v[2:3], v[127:128], v[85:86]
	v_add_f64 v[77:78], v[77:78], v[91:92]
	v_add_f64 v[79:80], v[79:80], v[81:82]
	s_waitcnt vmcnt(7) lgkmcnt(0)
	v_mul_f64 v[85:86], v[71:72], v[131:132]
	v_mul_f64 v[81:82], v[69:70], v[131:132]
	s_waitcnt vmcnt(5)
	v_fma_f64 v[73:74], v[73:74], v[117:118], -v[87:88]
	v_fma_f64 v[75:76], v[75:76], v[117:118], v[83:84]
	v_add_f64 v[0:1], v[77:78], v[0:1]
	v_add_f64 v[2:3], v[79:80], v[2:3]
	s_waitcnt vmcnt(4)
	v_fma_f64 v[69:70], v[69:70], v[135:136], -v[85:86]
	v_fma_f64 v[71:72], v[71:72], v[135:136], v[81:82]
	v_add_f64 v[0:1], v[0:1], v[73:74]
	v_add_f64 v[2:3], v[2:3], v[75:76]
	;; [unrolled: 1-line block ×4, first 2 shown]
	s_waitcnt vmcnt(2)
	v_add_f64 v[0:1], v[121:122], -v[0:1]
	s_waitcnt vmcnt(0)
	v_add_f64 v[2:3], v[129:130], -v[2:3]
	buffer_store_dword v1, off, s[0:3], 0 offset:20
	buffer_store_dword v0, off, s[0:3], 0 offset:16
	;; [unrolled: 1-line block ×4, first 2 shown]
	s_cbranch_vccz .LBB95_268
; %bb.206:
	global_load_dword v0, v4, s[12:13] offset:120
	s_waitcnt vmcnt(0)
	v_add_nc_u32_e32 v0, -1, v0
	v_cmp_ne_u32_e32 vcc_lo, 30, v0
	s_cbranch_vccz .LBB95_208
; %bb.207:
	v_lshlrev_b32_e32 v0, 4, v0
	v_mov_b32_e32 v1, s9
	v_add_nc_u32_e32 v0, 16, v0
	s_clause 0x7
	buffer_load_dword v2, v0, s[0:3], 0 offen
	buffer_load_dword v3, v0, s[0:3], 0 offen offset:4
	buffer_load_dword v4, v0, s[0:3], 0 offen offset:8
	buffer_load_dword v69, v0, s[0:3], 0 offen offset:12
	buffer_load_dword v70, v1, s[0:3], 0 offen offset:12
	buffer_load_dword v71, v1, s[0:3], 0 offen offset:8
	buffer_load_dword v72, v1, s[0:3], 0 offen offset:4
	buffer_load_dword v73, v1, s[0:3], 0 offen
	s_waitcnt vmcnt(7)
	buffer_store_dword v2, v1, s[0:3], 0 offen
	s_waitcnt vmcnt(6)
	buffer_store_dword v3, v1, s[0:3], 0 offen offset:4
	s_waitcnt vmcnt(5)
	buffer_store_dword v4, v1, s[0:3], 0 offen offset:8
	;; [unrolled: 2-line block ×6, first 2 shown]
	s_waitcnt vmcnt(0)
	buffer_store_dword v73, v0, s[0:3], 0 offen
.LBB95_208:
	v_mov_b32_e32 v0, 0
	global_load_dword v1, v0, s[12:13] offset:116
	s_waitcnt vmcnt(0)
	v_add_nc_u32_e32 v1, -1, v1
	v_cmp_eq_u32_e32 vcc_lo, 29, v1
	s_cbranch_vccnz .LBB95_210
; %bb.209:
	v_lshlrev_b32_e32 v1, 4, v1
	v_mov_b32_e32 v2, s14
	v_add_nc_u32_e32 v1, 16, v1
	s_clause 0x7
	buffer_load_dword v3, v1, s[0:3], 0 offen
	buffer_load_dword v4, v1, s[0:3], 0 offen offset:4
	buffer_load_dword v69, v1, s[0:3], 0 offen offset:8
	;; [unrolled: 1-line block ×6, first 2 shown]
	buffer_load_dword v74, v2, s[0:3], 0 offen
	s_waitcnt vmcnt(7)
	buffer_store_dword v3, v2, s[0:3], 0 offen
	s_waitcnt vmcnt(6)
	buffer_store_dword v4, v2, s[0:3], 0 offen offset:4
	s_waitcnt vmcnt(5)
	buffer_store_dword v69, v2, s[0:3], 0 offen offset:8
	s_waitcnt vmcnt(4)
	buffer_store_dword v70, v2, s[0:3], 0 offen offset:12
	s_waitcnt vmcnt(3)
	buffer_store_dword v71, v1, s[0:3], 0 offen offset:12
	s_waitcnt vmcnt(2)
	buffer_store_dword v72, v1, s[0:3], 0 offen offset:8
	s_waitcnt vmcnt(1)
	buffer_store_dword v73, v1, s[0:3], 0 offen offset:4
	s_waitcnt vmcnt(0)
	buffer_store_dword v74, v1, s[0:3], 0 offen
.LBB95_210:
	global_load_dword v0, v0, s[12:13] offset:112
	s_waitcnt vmcnt(0)
	v_add_nc_u32_e32 v0, -1, v0
	v_cmp_eq_u32_e32 vcc_lo, 28, v0
	s_cbranch_vccnz .LBB95_212
; %bb.211:
	v_lshlrev_b32_e32 v0, 4, v0
	v_mov_b32_e32 v1, s15
	v_add_nc_u32_e32 v0, 16, v0
	s_clause 0x7
	buffer_load_dword v2, v0, s[0:3], 0 offen
	buffer_load_dword v3, v0, s[0:3], 0 offen offset:4
	buffer_load_dword v4, v0, s[0:3], 0 offen offset:8
	;; [unrolled: 1-line block ×6, first 2 shown]
	buffer_load_dword v73, v1, s[0:3], 0 offen
	s_waitcnt vmcnt(7)
	buffer_store_dword v2, v1, s[0:3], 0 offen
	s_waitcnt vmcnt(6)
	buffer_store_dword v3, v1, s[0:3], 0 offen offset:4
	s_waitcnt vmcnt(5)
	buffer_store_dword v4, v1, s[0:3], 0 offen offset:8
	;; [unrolled: 2-line block ×6, first 2 shown]
	s_waitcnt vmcnt(0)
	buffer_store_dword v73, v0, s[0:3], 0 offen
.LBB95_212:
	v_mov_b32_e32 v0, 0
	global_load_dword v1, v0, s[12:13] offset:108
	s_waitcnt vmcnt(0)
	v_add_nc_u32_e32 v1, -1, v1
	v_cmp_eq_u32_e32 vcc_lo, 27, v1
	s_cbranch_vccnz .LBB95_214
; %bb.213:
	v_lshlrev_b32_e32 v1, 4, v1
	v_mov_b32_e32 v2, s16
	v_add_nc_u32_e32 v1, 16, v1
	s_clause 0x7
	buffer_load_dword v3, v1, s[0:3], 0 offen
	buffer_load_dword v4, v1, s[0:3], 0 offen offset:4
	buffer_load_dword v69, v1, s[0:3], 0 offen offset:8
	;; [unrolled: 1-line block ×6, first 2 shown]
	buffer_load_dword v74, v2, s[0:3], 0 offen
	s_waitcnt vmcnt(7)
	buffer_store_dword v3, v2, s[0:3], 0 offen
	s_waitcnt vmcnt(6)
	buffer_store_dword v4, v2, s[0:3], 0 offen offset:4
	s_waitcnt vmcnt(5)
	buffer_store_dword v69, v2, s[0:3], 0 offen offset:8
	;; [unrolled: 2-line block ×6, first 2 shown]
	s_waitcnt vmcnt(0)
	buffer_store_dword v74, v1, s[0:3], 0 offen
.LBB95_214:
	global_load_dword v0, v0, s[12:13] offset:104
	s_waitcnt vmcnt(0)
	v_add_nc_u32_e32 v0, -1, v0
	v_cmp_eq_u32_e32 vcc_lo, 26, v0
	s_cbranch_vccnz .LBB95_216
; %bb.215:
	v_lshlrev_b32_e32 v0, 4, v0
	v_mov_b32_e32 v1, s17
	v_add_nc_u32_e32 v0, 16, v0
	s_clause 0x7
	buffer_load_dword v2, v0, s[0:3], 0 offen
	buffer_load_dword v3, v0, s[0:3], 0 offen offset:4
	buffer_load_dword v4, v0, s[0:3], 0 offen offset:8
	;; [unrolled: 1-line block ×6, first 2 shown]
	buffer_load_dword v73, v1, s[0:3], 0 offen
	s_waitcnt vmcnt(7)
	buffer_store_dword v2, v1, s[0:3], 0 offen
	s_waitcnt vmcnt(6)
	buffer_store_dword v3, v1, s[0:3], 0 offen offset:4
	s_waitcnt vmcnt(5)
	buffer_store_dword v4, v1, s[0:3], 0 offen offset:8
	;; [unrolled: 2-line block ×6, first 2 shown]
	s_waitcnt vmcnt(0)
	buffer_store_dword v73, v0, s[0:3], 0 offen
.LBB95_216:
	v_mov_b32_e32 v0, 0
	global_load_dword v1, v0, s[12:13] offset:100
	s_waitcnt vmcnt(0)
	v_add_nc_u32_e32 v1, -1, v1
	v_cmp_eq_u32_e32 vcc_lo, 25, v1
	s_cbranch_vccnz .LBB95_218
; %bb.217:
	v_lshlrev_b32_e32 v1, 4, v1
	v_mov_b32_e32 v2, s18
	v_add_nc_u32_e32 v1, 16, v1
	s_clause 0x7
	buffer_load_dword v3, v1, s[0:3], 0 offen
	buffer_load_dword v4, v1, s[0:3], 0 offen offset:4
	buffer_load_dword v69, v1, s[0:3], 0 offen offset:8
	;; [unrolled: 1-line block ×6, first 2 shown]
	buffer_load_dword v74, v2, s[0:3], 0 offen
	s_waitcnt vmcnt(7)
	buffer_store_dword v3, v2, s[0:3], 0 offen
	s_waitcnt vmcnt(6)
	buffer_store_dword v4, v2, s[0:3], 0 offen offset:4
	s_waitcnt vmcnt(5)
	buffer_store_dword v69, v2, s[0:3], 0 offen offset:8
	;; [unrolled: 2-line block ×6, first 2 shown]
	s_waitcnt vmcnt(0)
	buffer_store_dword v74, v1, s[0:3], 0 offen
.LBB95_218:
	global_load_dword v0, v0, s[12:13] offset:96
	s_waitcnt vmcnt(0)
	v_add_nc_u32_e32 v0, -1, v0
	v_cmp_eq_u32_e32 vcc_lo, 24, v0
	s_cbranch_vccnz .LBB95_220
; %bb.219:
	v_lshlrev_b32_e32 v0, 4, v0
	v_mov_b32_e32 v1, s19
	v_add_nc_u32_e32 v0, 16, v0
	s_clause 0x7
	buffer_load_dword v2, v0, s[0:3], 0 offen
	buffer_load_dword v3, v0, s[0:3], 0 offen offset:4
	buffer_load_dword v4, v0, s[0:3], 0 offen offset:8
	;; [unrolled: 1-line block ×6, first 2 shown]
	buffer_load_dword v73, v1, s[0:3], 0 offen
	s_waitcnt vmcnt(7)
	buffer_store_dword v2, v1, s[0:3], 0 offen
	s_waitcnt vmcnt(6)
	buffer_store_dword v3, v1, s[0:3], 0 offen offset:4
	s_waitcnt vmcnt(5)
	buffer_store_dword v4, v1, s[0:3], 0 offen offset:8
	;; [unrolled: 2-line block ×6, first 2 shown]
	s_waitcnt vmcnt(0)
	buffer_store_dword v73, v0, s[0:3], 0 offen
.LBB95_220:
	v_mov_b32_e32 v0, 0
	global_load_dword v1, v0, s[12:13] offset:92
	s_waitcnt vmcnt(0)
	v_add_nc_u32_e32 v1, -1, v1
	v_cmp_eq_u32_e32 vcc_lo, 23, v1
	s_cbranch_vccnz .LBB95_222
; %bb.221:
	v_lshlrev_b32_e32 v1, 4, v1
	v_mov_b32_e32 v2, s20
	v_add_nc_u32_e32 v1, 16, v1
	s_clause 0x7
	buffer_load_dword v3, v1, s[0:3], 0 offen
	buffer_load_dword v4, v1, s[0:3], 0 offen offset:4
	buffer_load_dword v69, v1, s[0:3], 0 offen offset:8
	;; [unrolled: 1-line block ×6, first 2 shown]
	buffer_load_dword v74, v2, s[0:3], 0 offen
	s_waitcnt vmcnt(7)
	buffer_store_dword v3, v2, s[0:3], 0 offen
	s_waitcnt vmcnt(6)
	buffer_store_dword v4, v2, s[0:3], 0 offen offset:4
	s_waitcnt vmcnt(5)
	buffer_store_dword v69, v2, s[0:3], 0 offen offset:8
	;; [unrolled: 2-line block ×6, first 2 shown]
	s_waitcnt vmcnt(0)
	buffer_store_dword v74, v1, s[0:3], 0 offen
.LBB95_222:
	global_load_dword v0, v0, s[12:13] offset:88
	s_waitcnt vmcnt(0)
	v_add_nc_u32_e32 v0, -1, v0
	v_cmp_eq_u32_e32 vcc_lo, 22, v0
	s_cbranch_vccnz .LBB95_224
; %bb.223:
	v_lshlrev_b32_e32 v0, 4, v0
	v_mov_b32_e32 v1, s21
	v_add_nc_u32_e32 v0, 16, v0
	s_clause 0x7
	buffer_load_dword v2, v0, s[0:3], 0 offen
	buffer_load_dword v3, v0, s[0:3], 0 offen offset:4
	buffer_load_dword v4, v0, s[0:3], 0 offen offset:8
	;; [unrolled: 1-line block ×6, first 2 shown]
	buffer_load_dword v73, v1, s[0:3], 0 offen
	s_waitcnt vmcnt(7)
	buffer_store_dword v2, v1, s[0:3], 0 offen
	s_waitcnt vmcnt(6)
	buffer_store_dword v3, v1, s[0:3], 0 offen offset:4
	s_waitcnt vmcnt(5)
	buffer_store_dword v4, v1, s[0:3], 0 offen offset:8
	;; [unrolled: 2-line block ×6, first 2 shown]
	s_waitcnt vmcnt(0)
	buffer_store_dword v73, v0, s[0:3], 0 offen
.LBB95_224:
	v_mov_b32_e32 v0, 0
	global_load_dword v1, v0, s[12:13] offset:84
	s_waitcnt vmcnt(0)
	v_add_nc_u32_e32 v1, -1, v1
	v_cmp_eq_u32_e32 vcc_lo, 21, v1
	s_cbranch_vccnz .LBB95_226
; %bb.225:
	v_lshlrev_b32_e32 v1, 4, v1
	v_mov_b32_e32 v2, s22
	v_add_nc_u32_e32 v1, 16, v1
	s_clause 0x7
	buffer_load_dword v3, v1, s[0:3], 0 offen
	buffer_load_dword v4, v1, s[0:3], 0 offen offset:4
	buffer_load_dword v69, v1, s[0:3], 0 offen offset:8
	;; [unrolled: 1-line block ×6, first 2 shown]
	buffer_load_dword v74, v2, s[0:3], 0 offen
	s_waitcnt vmcnt(7)
	buffer_store_dword v3, v2, s[0:3], 0 offen
	s_waitcnt vmcnt(6)
	buffer_store_dword v4, v2, s[0:3], 0 offen offset:4
	s_waitcnt vmcnt(5)
	buffer_store_dword v69, v2, s[0:3], 0 offen offset:8
	;; [unrolled: 2-line block ×6, first 2 shown]
	s_waitcnt vmcnt(0)
	buffer_store_dword v74, v1, s[0:3], 0 offen
.LBB95_226:
	global_load_dword v0, v0, s[12:13] offset:80
	s_waitcnt vmcnt(0)
	v_add_nc_u32_e32 v0, -1, v0
	v_cmp_eq_u32_e32 vcc_lo, 20, v0
	s_cbranch_vccnz .LBB95_228
; %bb.227:
	v_lshlrev_b32_e32 v0, 4, v0
	v_mov_b32_e32 v1, s23
	v_add_nc_u32_e32 v0, 16, v0
	s_clause 0x7
	buffer_load_dword v2, v0, s[0:3], 0 offen
	buffer_load_dword v3, v0, s[0:3], 0 offen offset:4
	buffer_load_dword v4, v0, s[0:3], 0 offen offset:8
	buffer_load_dword v69, v0, s[0:3], 0 offen offset:12
	buffer_load_dword v70, v1, s[0:3], 0 offen offset:12
	buffer_load_dword v71, v1, s[0:3], 0 offen offset:8
	buffer_load_dword v72, v1, s[0:3], 0 offen offset:4
	buffer_load_dword v73, v1, s[0:3], 0 offen
	s_waitcnt vmcnt(7)
	buffer_store_dword v2, v1, s[0:3], 0 offen
	s_waitcnt vmcnt(6)
	buffer_store_dword v3, v1, s[0:3], 0 offen offset:4
	s_waitcnt vmcnt(5)
	buffer_store_dword v4, v1, s[0:3], 0 offen offset:8
	s_waitcnt vmcnt(4)
	buffer_store_dword v69, v1, s[0:3], 0 offen offset:12
	s_waitcnt vmcnt(3)
	buffer_store_dword v70, v0, s[0:3], 0 offen offset:12
	s_waitcnt vmcnt(2)
	buffer_store_dword v71, v0, s[0:3], 0 offen offset:8
	s_waitcnt vmcnt(1)
	buffer_store_dword v72, v0, s[0:3], 0 offen offset:4
	s_waitcnt vmcnt(0)
	buffer_store_dword v73, v0, s[0:3], 0 offen
.LBB95_228:
	v_mov_b32_e32 v0, 0
	global_load_dword v1, v0, s[12:13] offset:76
	s_waitcnt vmcnt(0)
	v_add_nc_u32_e32 v1, -1, v1
	v_cmp_eq_u32_e32 vcc_lo, 19, v1
	s_cbranch_vccnz .LBB95_230
; %bb.229:
	v_lshlrev_b32_e32 v1, 4, v1
	v_mov_b32_e32 v2, s24
	v_add_nc_u32_e32 v1, 16, v1
	s_clause 0x7
	buffer_load_dword v3, v1, s[0:3], 0 offen
	buffer_load_dword v4, v1, s[0:3], 0 offen offset:4
	buffer_load_dword v69, v1, s[0:3], 0 offen offset:8
	;; [unrolled: 1-line block ×6, first 2 shown]
	buffer_load_dword v74, v2, s[0:3], 0 offen
	s_waitcnt vmcnt(7)
	buffer_store_dword v3, v2, s[0:3], 0 offen
	s_waitcnt vmcnt(6)
	buffer_store_dword v4, v2, s[0:3], 0 offen offset:4
	s_waitcnt vmcnt(5)
	buffer_store_dword v69, v2, s[0:3], 0 offen offset:8
	;; [unrolled: 2-line block ×6, first 2 shown]
	s_waitcnt vmcnt(0)
	buffer_store_dword v74, v1, s[0:3], 0 offen
.LBB95_230:
	global_load_dword v0, v0, s[12:13] offset:72
	s_waitcnt vmcnt(0)
	v_add_nc_u32_e32 v0, -1, v0
	v_cmp_eq_u32_e32 vcc_lo, 18, v0
	s_cbranch_vccnz .LBB95_232
; %bb.231:
	v_lshlrev_b32_e32 v0, 4, v0
	v_mov_b32_e32 v1, s25
	v_add_nc_u32_e32 v0, 16, v0
	s_clause 0x7
	buffer_load_dword v2, v0, s[0:3], 0 offen
	buffer_load_dword v3, v0, s[0:3], 0 offen offset:4
	buffer_load_dword v4, v0, s[0:3], 0 offen offset:8
	;; [unrolled: 1-line block ×6, first 2 shown]
	buffer_load_dword v73, v1, s[0:3], 0 offen
	s_waitcnt vmcnt(7)
	buffer_store_dword v2, v1, s[0:3], 0 offen
	s_waitcnt vmcnt(6)
	buffer_store_dword v3, v1, s[0:3], 0 offen offset:4
	s_waitcnt vmcnt(5)
	buffer_store_dword v4, v1, s[0:3], 0 offen offset:8
	;; [unrolled: 2-line block ×6, first 2 shown]
	s_waitcnt vmcnt(0)
	buffer_store_dword v73, v0, s[0:3], 0 offen
.LBB95_232:
	v_mov_b32_e32 v0, 0
	global_load_dword v1, v0, s[12:13] offset:68
	s_waitcnt vmcnt(0)
	v_add_nc_u32_e32 v1, -1, v1
	v_cmp_eq_u32_e32 vcc_lo, 17, v1
	s_cbranch_vccnz .LBB95_234
; %bb.233:
	v_lshlrev_b32_e32 v1, 4, v1
	v_mov_b32_e32 v2, s26
	v_add_nc_u32_e32 v1, 16, v1
	s_clause 0x7
	buffer_load_dword v3, v1, s[0:3], 0 offen
	buffer_load_dword v4, v1, s[0:3], 0 offen offset:4
	buffer_load_dword v69, v1, s[0:3], 0 offen offset:8
	;; [unrolled: 1-line block ×6, first 2 shown]
	buffer_load_dword v74, v2, s[0:3], 0 offen
	s_waitcnt vmcnt(7)
	buffer_store_dword v3, v2, s[0:3], 0 offen
	s_waitcnt vmcnt(6)
	buffer_store_dword v4, v2, s[0:3], 0 offen offset:4
	s_waitcnt vmcnt(5)
	buffer_store_dword v69, v2, s[0:3], 0 offen offset:8
	s_waitcnt vmcnt(4)
	buffer_store_dword v70, v2, s[0:3], 0 offen offset:12
	s_waitcnt vmcnt(3)
	buffer_store_dword v71, v1, s[0:3], 0 offen offset:12
	s_waitcnt vmcnt(2)
	buffer_store_dword v72, v1, s[0:3], 0 offen offset:8
	s_waitcnt vmcnt(1)
	buffer_store_dword v73, v1, s[0:3], 0 offen offset:4
	s_waitcnt vmcnt(0)
	buffer_store_dword v74, v1, s[0:3], 0 offen
.LBB95_234:
	global_load_dword v0, v0, s[12:13] offset:64
	s_waitcnt vmcnt(0)
	v_add_nc_u32_e32 v0, -1, v0
	v_cmp_eq_u32_e32 vcc_lo, 16, v0
	s_cbranch_vccnz .LBB95_236
; %bb.235:
	v_lshlrev_b32_e32 v0, 4, v0
	v_mov_b32_e32 v1, s27
	v_add_nc_u32_e32 v0, 16, v0
	s_clause 0x7
	buffer_load_dword v2, v0, s[0:3], 0 offen
	buffer_load_dword v3, v0, s[0:3], 0 offen offset:4
	buffer_load_dword v4, v0, s[0:3], 0 offen offset:8
	;; [unrolled: 1-line block ×6, first 2 shown]
	buffer_load_dword v73, v1, s[0:3], 0 offen
	s_waitcnt vmcnt(7)
	buffer_store_dword v2, v1, s[0:3], 0 offen
	s_waitcnt vmcnt(6)
	buffer_store_dword v3, v1, s[0:3], 0 offen offset:4
	s_waitcnt vmcnt(5)
	buffer_store_dword v4, v1, s[0:3], 0 offen offset:8
	;; [unrolled: 2-line block ×6, first 2 shown]
	s_waitcnt vmcnt(0)
	buffer_store_dword v73, v0, s[0:3], 0 offen
.LBB95_236:
	v_mov_b32_e32 v0, 0
	global_load_dword v1, v0, s[12:13] offset:60
	s_waitcnt vmcnt(0)
	v_add_nc_u32_e32 v1, -1, v1
	v_cmp_eq_u32_e32 vcc_lo, 15, v1
	s_cbranch_vccnz .LBB95_238
; %bb.237:
	v_lshlrev_b32_e32 v1, 4, v1
	v_mov_b32_e32 v2, s28
	v_add_nc_u32_e32 v1, 16, v1
	s_clause 0x7
	buffer_load_dword v3, v1, s[0:3], 0 offen
	buffer_load_dword v4, v1, s[0:3], 0 offen offset:4
	buffer_load_dword v69, v1, s[0:3], 0 offen offset:8
	buffer_load_dword v70, v1, s[0:3], 0 offen offset:12
	buffer_load_dword v71, v2, s[0:3], 0 offen offset:12
	buffer_load_dword v72, v2, s[0:3], 0 offen offset:8
	buffer_load_dword v73, v2, s[0:3], 0 offen offset:4
	buffer_load_dword v74, v2, s[0:3], 0 offen
	s_waitcnt vmcnt(7)
	buffer_store_dword v3, v2, s[0:3], 0 offen
	s_waitcnt vmcnt(6)
	buffer_store_dword v4, v2, s[0:3], 0 offen offset:4
	s_waitcnt vmcnt(5)
	buffer_store_dword v69, v2, s[0:3], 0 offen offset:8
	;; [unrolled: 2-line block ×6, first 2 shown]
	s_waitcnt vmcnt(0)
	buffer_store_dword v74, v1, s[0:3], 0 offen
.LBB95_238:
	global_load_dword v0, v0, s[12:13] offset:56
	s_waitcnt vmcnt(0)
	v_add_nc_u32_e32 v0, -1, v0
	v_cmp_eq_u32_e32 vcc_lo, 14, v0
	s_cbranch_vccnz .LBB95_240
; %bb.239:
	v_lshlrev_b32_e32 v0, 4, v0
	v_mov_b32_e32 v1, s29
	v_add_nc_u32_e32 v0, 16, v0
	s_clause 0x7
	buffer_load_dword v2, v0, s[0:3], 0 offen
	buffer_load_dword v3, v0, s[0:3], 0 offen offset:4
	buffer_load_dword v4, v0, s[0:3], 0 offen offset:8
	;; [unrolled: 1-line block ×6, first 2 shown]
	buffer_load_dword v73, v1, s[0:3], 0 offen
	s_waitcnt vmcnt(7)
	buffer_store_dword v2, v1, s[0:3], 0 offen
	s_waitcnt vmcnt(6)
	buffer_store_dword v3, v1, s[0:3], 0 offen offset:4
	s_waitcnt vmcnt(5)
	buffer_store_dword v4, v1, s[0:3], 0 offen offset:8
	;; [unrolled: 2-line block ×6, first 2 shown]
	s_waitcnt vmcnt(0)
	buffer_store_dword v73, v0, s[0:3], 0 offen
.LBB95_240:
	v_mov_b32_e32 v0, 0
	global_load_dword v1, v0, s[12:13] offset:52
	s_waitcnt vmcnt(0)
	v_add_nc_u32_e32 v1, -1, v1
	v_cmp_eq_u32_e32 vcc_lo, 13, v1
	s_cbranch_vccnz .LBB95_242
; %bb.241:
	v_lshlrev_b32_e32 v1, 4, v1
	v_mov_b32_e32 v2, s30
	v_add_nc_u32_e32 v1, 16, v1
	s_clause 0x7
	buffer_load_dword v3, v1, s[0:3], 0 offen
	buffer_load_dword v4, v1, s[0:3], 0 offen offset:4
	buffer_load_dword v69, v1, s[0:3], 0 offen offset:8
	;; [unrolled: 1-line block ×6, first 2 shown]
	buffer_load_dword v74, v2, s[0:3], 0 offen
	s_waitcnt vmcnt(7)
	buffer_store_dword v3, v2, s[0:3], 0 offen
	s_waitcnt vmcnt(6)
	buffer_store_dword v4, v2, s[0:3], 0 offen offset:4
	s_waitcnt vmcnt(5)
	buffer_store_dword v69, v2, s[0:3], 0 offen offset:8
	;; [unrolled: 2-line block ×6, first 2 shown]
	s_waitcnt vmcnt(0)
	buffer_store_dword v74, v1, s[0:3], 0 offen
.LBB95_242:
	global_load_dword v0, v0, s[12:13] offset:48
	s_waitcnt vmcnt(0)
	v_add_nc_u32_e32 v0, -1, v0
	v_cmp_eq_u32_e32 vcc_lo, 12, v0
	s_cbranch_vccnz .LBB95_244
; %bb.243:
	v_lshlrev_b32_e32 v0, 4, v0
	v_mov_b32_e32 v1, s31
	v_add_nc_u32_e32 v0, 16, v0
	s_clause 0x7
	buffer_load_dword v2, v0, s[0:3], 0 offen
	buffer_load_dword v3, v0, s[0:3], 0 offen offset:4
	buffer_load_dword v4, v0, s[0:3], 0 offen offset:8
	buffer_load_dword v69, v0, s[0:3], 0 offen offset:12
	buffer_load_dword v70, v1, s[0:3], 0 offen offset:12
	buffer_load_dword v71, v1, s[0:3], 0 offen offset:8
	buffer_load_dword v72, v1, s[0:3], 0 offen offset:4
	buffer_load_dword v73, v1, s[0:3], 0 offen
	s_waitcnt vmcnt(7)
	buffer_store_dword v2, v1, s[0:3], 0 offen
	s_waitcnt vmcnt(6)
	buffer_store_dword v3, v1, s[0:3], 0 offen offset:4
	s_waitcnt vmcnt(5)
	buffer_store_dword v4, v1, s[0:3], 0 offen offset:8
	;; [unrolled: 2-line block ×6, first 2 shown]
	s_waitcnt vmcnt(0)
	buffer_store_dword v73, v0, s[0:3], 0 offen
.LBB95_244:
	v_mov_b32_e32 v0, 0
	global_load_dword v1, v0, s[12:13] offset:44
	s_waitcnt vmcnt(0)
	v_add_nc_u32_e32 v1, -1, v1
	v_cmp_eq_u32_e32 vcc_lo, 11, v1
	s_cbranch_vccnz .LBB95_246
; %bb.245:
	v_lshlrev_b32_e32 v1, 4, v1
	v_mov_b32_e32 v2, s33
	v_add_nc_u32_e32 v1, 16, v1
	s_clause 0x7
	buffer_load_dword v3, v1, s[0:3], 0 offen
	buffer_load_dword v4, v1, s[0:3], 0 offen offset:4
	buffer_load_dword v69, v1, s[0:3], 0 offen offset:8
	buffer_load_dword v70, v1, s[0:3], 0 offen offset:12
	buffer_load_dword v71, v2, s[0:3], 0 offen offset:12
	buffer_load_dword v72, v2, s[0:3], 0 offen offset:8
	buffer_load_dword v73, v2, s[0:3], 0 offen offset:4
	buffer_load_dword v74, v2, s[0:3], 0 offen
	s_waitcnt vmcnt(7)
	buffer_store_dword v3, v2, s[0:3], 0 offen
	s_waitcnt vmcnt(6)
	buffer_store_dword v4, v2, s[0:3], 0 offen offset:4
	s_waitcnt vmcnt(5)
	buffer_store_dword v69, v2, s[0:3], 0 offen offset:8
	s_waitcnt vmcnt(4)
	buffer_store_dword v70, v2, s[0:3], 0 offen offset:12
	s_waitcnt vmcnt(3)
	buffer_store_dword v71, v1, s[0:3], 0 offen offset:12
	s_waitcnt vmcnt(2)
	buffer_store_dword v72, v1, s[0:3], 0 offen offset:8
	s_waitcnt vmcnt(1)
	buffer_store_dword v73, v1, s[0:3], 0 offen offset:4
	s_waitcnt vmcnt(0)
	buffer_store_dword v74, v1, s[0:3], 0 offen
.LBB95_246:
	global_load_dword v0, v0, s[12:13] offset:40
	s_waitcnt vmcnt(0)
	v_add_nc_u32_e32 v0, -1, v0
	v_cmp_eq_u32_e32 vcc_lo, 10, v0
	s_cbranch_vccnz .LBB95_248
; %bb.247:
	v_lshlrev_b32_e32 v0, 4, v0
	v_mov_b32_e32 v1, s34
	v_add_nc_u32_e32 v0, 16, v0
	s_clause 0x7
	buffer_load_dword v2, v0, s[0:3], 0 offen
	buffer_load_dword v3, v0, s[0:3], 0 offen offset:4
	buffer_load_dword v4, v0, s[0:3], 0 offen offset:8
	;; [unrolled: 1-line block ×6, first 2 shown]
	buffer_load_dword v73, v1, s[0:3], 0 offen
	s_waitcnt vmcnt(7)
	buffer_store_dword v2, v1, s[0:3], 0 offen
	s_waitcnt vmcnt(6)
	buffer_store_dword v3, v1, s[0:3], 0 offen offset:4
	s_waitcnt vmcnt(5)
	buffer_store_dword v4, v1, s[0:3], 0 offen offset:8
	;; [unrolled: 2-line block ×6, first 2 shown]
	s_waitcnt vmcnt(0)
	buffer_store_dword v73, v0, s[0:3], 0 offen
.LBB95_248:
	v_mov_b32_e32 v0, 0
	global_load_dword v1, v0, s[12:13] offset:36
	s_waitcnt vmcnt(0)
	v_add_nc_u32_e32 v1, -1, v1
	v_cmp_eq_u32_e32 vcc_lo, 9, v1
	s_cbranch_vccnz .LBB95_250
; %bb.249:
	v_lshlrev_b32_e32 v1, 4, v1
	v_mov_b32_e32 v2, s35
	v_add_nc_u32_e32 v1, 16, v1
	s_clause 0x7
	buffer_load_dword v3, v1, s[0:3], 0 offen
	buffer_load_dword v4, v1, s[0:3], 0 offen offset:4
	buffer_load_dword v69, v1, s[0:3], 0 offen offset:8
	;; [unrolled: 1-line block ×6, first 2 shown]
	buffer_load_dword v74, v2, s[0:3], 0 offen
	s_waitcnt vmcnt(7)
	buffer_store_dword v3, v2, s[0:3], 0 offen
	s_waitcnt vmcnt(6)
	buffer_store_dword v4, v2, s[0:3], 0 offen offset:4
	s_waitcnt vmcnt(5)
	buffer_store_dword v69, v2, s[0:3], 0 offen offset:8
	s_waitcnt vmcnt(4)
	buffer_store_dword v70, v2, s[0:3], 0 offen offset:12
	s_waitcnt vmcnt(3)
	buffer_store_dword v71, v1, s[0:3], 0 offen offset:12
	s_waitcnt vmcnt(2)
	buffer_store_dword v72, v1, s[0:3], 0 offen offset:8
	s_waitcnt vmcnt(1)
	buffer_store_dword v73, v1, s[0:3], 0 offen offset:4
	s_waitcnt vmcnt(0)
	buffer_store_dword v74, v1, s[0:3], 0 offen
.LBB95_250:
	global_load_dword v0, v0, s[12:13] offset:32
	s_waitcnt vmcnt(0)
	v_add_nc_u32_e32 v0, -1, v0
	v_cmp_eq_u32_e32 vcc_lo, 8, v0
	s_cbranch_vccnz .LBB95_252
; %bb.251:
	v_lshlrev_b32_e32 v0, 4, v0
	v_mov_b32_e32 v1, s36
	v_add_nc_u32_e32 v0, 16, v0
	s_clause 0x7
	buffer_load_dword v2, v0, s[0:3], 0 offen
	buffer_load_dword v3, v0, s[0:3], 0 offen offset:4
	buffer_load_dword v4, v0, s[0:3], 0 offen offset:8
	buffer_load_dword v69, v0, s[0:3], 0 offen offset:12
	buffer_load_dword v70, v1, s[0:3], 0 offen offset:12
	buffer_load_dword v71, v1, s[0:3], 0 offen offset:8
	buffer_load_dword v72, v1, s[0:3], 0 offen offset:4
	buffer_load_dword v73, v1, s[0:3], 0 offen
	s_waitcnt vmcnt(7)
	buffer_store_dword v2, v1, s[0:3], 0 offen
	s_waitcnt vmcnt(6)
	buffer_store_dword v3, v1, s[0:3], 0 offen offset:4
	s_waitcnt vmcnt(5)
	buffer_store_dword v4, v1, s[0:3], 0 offen offset:8
	s_waitcnt vmcnt(4)
	buffer_store_dword v69, v1, s[0:3], 0 offen offset:12
	s_waitcnt vmcnt(3)
	buffer_store_dword v70, v0, s[0:3], 0 offen offset:12
	s_waitcnt vmcnt(2)
	buffer_store_dword v71, v0, s[0:3], 0 offen offset:8
	s_waitcnt vmcnt(1)
	buffer_store_dword v72, v0, s[0:3], 0 offen offset:4
	s_waitcnt vmcnt(0)
	buffer_store_dword v73, v0, s[0:3], 0 offen
.LBB95_252:
	v_mov_b32_e32 v0, 0
	global_load_dword v1, v0, s[12:13] offset:28
	s_waitcnt vmcnt(0)
	v_add_nc_u32_e32 v1, -1, v1
	v_cmp_eq_u32_e32 vcc_lo, 7, v1
	s_cbranch_vccnz .LBB95_254
; %bb.253:
	v_lshlrev_b32_e32 v1, 4, v1
	v_mov_b32_e32 v2, s37
	v_add_nc_u32_e32 v1, 16, v1
	s_clause 0x7
	buffer_load_dword v3, v1, s[0:3], 0 offen
	buffer_load_dword v4, v1, s[0:3], 0 offen offset:4
	buffer_load_dword v69, v1, s[0:3], 0 offen offset:8
	;; [unrolled: 1-line block ×6, first 2 shown]
	buffer_load_dword v74, v2, s[0:3], 0 offen
	s_waitcnt vmcnt(7)
	buffer_store_dword v3, v2, s[0:3], 0 offen
	s_waitcnt vmcnt(6)
	buffer_store_dword v4, v2, s[0:3], 0 offen offset:4
	s_waitcnt vmcnt(5)
	buffer_store_dword v69, v2, s[0:3], 0 offen offset:8
	;; [unrolled: 2-line block ×6, first 2 shown]
	s_waitcnt vmcnt(0)
	buffer_store_dword v74, v1, s[0:3], 0 offen
.LBB95_254:
	global_load_dword v0, v0, s[12:13] offset:24
	s_waitcnt vmcnt(0)
	v_add_nc_u32_e32 v0, -1, v0
	v_cmp_eq_u32_e32 vcc_lo, 6, v0
	s_cbranch_vccnz .LBB95_256
; %bb.255:
	v_lshlrev_b32_e32 v0, 4, v0
	v_mov_b32_e32 v1, s38
	v_add_nc_u32_e32 v0, 16, v0
	s_clause 0x7
	buffer_load_dword v2, v0, s[0:3], 0 offen
	buffer_load_dword v3, v0, s[0:3], 0 offen offset:4
	buffer_load_dword v4, v0, s[0:3], 0 offen offset:8
	;; [unrolled: 1-line block ×6, first 2 shown]
	buffer_load_dword v73, v1, s[0:3], 0 offen
	s_waitcnt vmcnt(7)
	buffer_store_dword v2, v1, s[0:3], 0 offen
	s_waitcnt vmcnt(6)
	buffer_store_dword v3, v1, s[0:3], 0 offen offset:4
	s_waitcnt vmcnt(5)
	buffer_store_dword v4, v1, s[0:3], 0 offen offset:8
	;; [unrolled: 2-line block ×6, first 2 shown]
	s_waitcnt vmcnt(0)
	buffer_store_dword v73, v0, s[0:3], 0 offen
.LBB95_256:
	v_mov_b32_e32 v0, 0
	global_load_dword v1, v0, s[12:13] offset:20
	s_waitcnt vmcnt(0)
	v_add_nc_u32_e32 v1, -1, v1
	v_cmp_eq_u32_e32 vcc_lo, 5, v1
	s_cbranch_vccnz .LBB95_258
; %bb.257:
	v_lshlrev_b32_e32 v1, 4, v1
	v_mov_b32_e32 v2, s39
	v_add_nc_u32_e32 v1, 16, v1
	s_clause 0x7
	buffer_load_dword v3, v1, s[0:3], 0 offen
	buffer_load_dword v4, v1, s[0:3], 0 offen offset:4
	buffer_load_dword v69, v1, s[0:3], 0 offen offset:8
	;; [unrolled: 1-line block ×6, first 2 shown]
	buffer_load_dword v74, v2, s[0:3], 0 offen
	s_waitcnt vmcnt(7)
	buffer_store_dword v3, v2, s[0:3], 0 offen
	s_waitcnt vmcnt(6)
	buffer_store_dword v4, v2, s[0:3], 0 offen offset:4
	s_waitcnt vmcnt(5)
	buffer_store_dword v69, v2, s[0:3], 0 offen offset:8
	;; [unrolled: 2-line block ×6, first 2 shown]
	s_waitcnt vmcnt(0)
	buffer_store_dword v74, v1, s[0:3], 0 offen
.LBB95_258:
	global_load_dword v0, v0, s[12:13] offset:16
	s_waitcnt vmcnt(0)
	v_add_nc_u32_e32 v0, -1, v0
	v_cmp_eq_u32_e32 vcc_lo, 4, v0
	s_cbranch_vccnz .LBB95_260
; %bb.259:
	v_lshlrev_b32_e32 v0, 4, v0
	v_mov_b32_e32 v1, s40
	v_add_nc_u32_e32 v0, 16, v0
	s_clause 0x7
	buffer_load_dword v2, v0, s[0:3], 0 offen
	buffer_load_dword v3, v0, s[0:3], 0 offen offset:4
	buffer_load_dword v4, v0, s[0:3], 0 offen offset:8
	;; [unrolled: 1-line block ×6, first 2 shown]
	buffer_load_dword v73, v1, s[0:3], 0 offen
	s_waitcnt vmcnt(7)
	buffer_store_dword v2, v1, s[0:3], 0 offen
	s_waitcnt vmcnt(6)
	buffer_store_dword v3, v1, s[0:3], 0 offen offset:4
	s_waitcnt vmcnt(5)
	buffer_store_dword v4, v1, s[0:3], 0 offen offset:8
	;; [unrolled: 2-line block ×6, first 2 shown]
	s_waitcnt vmcnt(0)
	buffer_store_dword v73, v0, s[0:3], 0 offen
.LBB95_260:
	v_mov_b32_e32 v0, 0
	global_load_dword v1, v0, s[12:13] offset:12
	s_waitcnt vmcnt(0)
	v_add_nc_u32_e32 v1, -1, v1
	v_cmp_eq_u32_e32 vcc_lo, 3, v1
	s_cbranch_vccnz .LBB95_262
; %bb.261:
	v_lshlrev_b32_e32 v1, 4, v1
	v_mov_b32_e32 v2, s41
	v_add_nc_u32_e32 v1, 16, v1
	s_clause 0x7
	buffer_load_dword v3, v1, s[0:3], 0 offen
	buffer_load_dword v4, v1, s[0:3], 0 offen offset:4
	buffer_load_dword v69, v1, s[0:3], 0 offen offset:8
	;; [unrolled: 1-line block ×6, first 2 shown]
	buffer_load_dword v74, v2, s[0:3], 0 offen
	s_waitcnt vmcnt(7)
	buffer_store_dword v3, v2, s[0:3], 0 offen
	s_waitcnt vmcnt(6)
	buffer_store_dword v4, v2, s[0:3], 0 offen offset:4
	s_waitcnt vmcnt(5)
	buffer_store_dword v69, v2, s[0:3], 0 offen offset:8
	;; [unrolled: 2-line block ×6, first 2 shown]
	s_waitcnt vmcnt(0)
	buffer_store_dword v74, v1, s[0:3], 0 offen
.LBB95_262:
	global_load_dword v0, v0, s[12:13] offset:8
	s_waitcnt vmcnt(0)
	v_add_nc_u32_e32 v0, -1, v0
	v_cmp_eq_u32_e32 vcc_lo, 2, v0
	s_cbranch_vccnz .LBB95_264
; %bb.263:
	v_lshlrev_b32_e32 v0, 4, v0
	v_mov_b32_e32 v1, s42
	v_add_nc_u32_e32 v0, 16, v0
	s_clause 0x7
	buffer_load_dword v2, v0, s[0:3], 0 offen
	buffer_load_dword v3, v0, s[0:3], 0 offen offset:4
	buffer_load_dword v4, v0, s[0:3], 0 offen offset:8
	;; [unrolled: 1-line block ×6, first 2 shown]
	buffer_load_dword v73, v1, s[0:3], 0 offen
	s_waitcnt vmcnt(7)
	buffer_store_dword v2, v1, s[0:3], 0 offen
	s_waitcnt vmcnt(6)
	buffer_store_dword v3, v1, s[0:3], 0 offen offset:4
	s_waitcnt vmcnt(5)
	buffer_store_dword v4, v1, s[0:3], 0 offen offset:8
	;; [unrolled: 2-line block ×6, first 2 shown]
	s_waitcnt vmcnt(0)
	buffer_store_dword v73, v0, s[0:3], 0 offen
.LBB95_264:
	v_mov_b32_e32 v0, 0
	global_load_dword v1, v0, s[12:13] offset:4
	s_waitcnt vmcnt(0)
	v_add_nc_u32_e32 v1, -1, v1
	v_cmp_eq_u32_e32 vcc_lo, 1, v1
	s_cbranch_vccnz .LBB95_266
; %bb.265:
	v_lshlrev_b32_e32 v1, 4, v1
	v_mov_b32_e32 v2, s43
	v_add_nc_u32_e32 v1, 16, v1
	s_clause 0x7
	buffer_load_dword v3, v1, s[0:3], 0 offen
	buffer_load_dword v4, v1, s[0:3], 0 offen offset:4
	buffer_load_dword v69, v1, s[0:3], 0 offen offset:8
	;; [unrolled: 1-line block ×6, first 2 shown]
	buffer_load_dword v74, v2, s[0:3], 0 offen
	s_waitcnt vmcnt(7)
	buffer_store_dword v3, v2, s[0:3], 0 offen
	s_waitcnt vmcnt(6)
	buffer_store_dword v4, v2, s[0:3], 0 offen offset:4
	s_waitcnt vmcnt(5)
	buffer_store_dword v69, v2, s[0:3], 0 offen offset:8
	;; [unrolled: 2-line block ×6, first 2 shown]
	s_waitcnt vmcnt(0)
	buffer_store_dword v74, v1, s[0:3], 0 offen
.LBB95_266:
	global_load_dword v0, v0, s[12:13]
	s_waitcnt vmcnt(0)
	v_add_nc_u32_e32 v0, -1, v0
	v_cmp_eq_u32_e32 vcc_lo, 0, v0
	s_cbranch_vccnz .LBB95_268
; %bb.267:
	v_lshlrev_b32_e32 v0, 4, v0
	v_add_nc_u32_e32 v0, 16, v0
	s_clause 0x7
	buffer_load_dword v1, v0, s[0:3], 0 offen
	buffer_load_dword v2, v0, s[0:3], 0 offen offset:4
	buffer_load_dword v3, v0, s[0:3], 0 offen offset:8
	buffer_load_dword v4, v0, s[0:3], 0 offen offset:12
	buffer_load_dword v69, off, s[0:3], 0 offset:28
	buffer_load_dword v70, off, s[0:3], 0 offset:24
	;; [unrolled: 1-line block ×4, first 2 shown]
	s_waitcnt vmcnt(7)
	buffer_store_dword v1, off, s[0:3], 0 offset:16
	s_waitcnt vmcnt(6)
	buffer_store_dword v2, off, s[0:3], 0 offset:20
	;; [unrolled: 2-line block ×4, first 2 shown]
	s_waitcnt vmcnt(3)
	buffer_store_dword v69, v0, s[0:3], 0 offen offset:12
	s_waitcnt vmcnt(2)
	buffer_store_dword v70, v0, s[0:3], 0 offen offset:8
	;; [unrolled: 2-line block ×3, first 2 shown]
	s_waitcnt vmcnt(0)
	buffer_store_dword v72, v0, s[0:3], 0 offen
.LBB95_268:
	s_clause 0x3
	buffer_load_dword v0, off, s[0:3], 0 offset:16
	buffer_load_dword v1, off, s[0:3], 0 offset:20
	;; [unrolled: 1-line block ×4, first 2 shown]
	v_mov_b32_e32 v4, s43
	s_waitcnt vmcnt(0)
	flat_store_dwordx4 v[5:6], v[0:3]
	s_clause 0x3
	buffer_load_dword v0, v4, s[0:3], 0 offen
	buffer_load_dword v1, v4, s[0:3], 0 offen offset:4
	buffer_load_dword v2, v4, s[0:3], 0 offen offset:8
	buffer_load_dword v3, v4, s[0:3], 0 offen offset:12
	v_mov_b32_e32 v4, s42
	s_waitcnt vmcnt(0)
	flat_store_dwordx4 v[59:60], v[0:3]
	s_clause 0x3
	buffer_load_dword v0, v4, s[0:3], 0 offen
	buffer_load_dword v1, v4, s[0:3], 0 offen offset:4
	buffer_load_dword v2, v4, s[0:3], 0 offen offset:8
	buffer_load_dword v3, v4, s[0:3], 0 offen offset:12
	;; [unrolled: 8-line block ×31, first 2 shown]
	s_waitcnt vmcnt(0)
	flat_store_dwordx4 v[67:68], v[0:3]
	s_endpgm
	.section	.rodata,"a",@progbits
	.p2align	6, 0x0
	.amdhsa_kernel _ZN9rocsolver6v33100L18getri_kernel_smallILi32E19rocblas_complex_numIdEPKPS3_EEvT1_iilPiilS8_bb
		.amdhsa_group_segment_fixed_size 1032
		.amdhsa_private_segment_fixed_size 544
		.amdhsa_kernarg_size 60
		.amdhsa_user_sgpr_count 6
		.amdhsa_user_sgpr_private_segment_buffer 1
		.amdhsa_user_sgpr_dispatch_ptr 0
		.amdhsa_user_sgpr_queue_ptr 0
		.amdhsa_user_sgpr_kernarg_segment_ptr 1
		.amdhsa_user_sgpr_dispatch_id 0
		.amdhsa_user_sgpr_flat_scratch_init 0
		.amdhsa_user_sgpr_private_segment_size 0
		.amdhsa_wavefront_size32 1
		.amdhsa_uses_dynamic_stack 0
		.amdhsa_system_sgpr_private_segment_wavefront_offset 1
		.amdhsa_system_sgpr_workgroup_id_x 1
		.amdhsa_system_sgpr_workgroup_id_y 0
		.amdhsa_system_sgpr_workgroup_id_z 0
		.amdhsa_system_sgpr_workgroup_info 0
		.amdhsa_system_vgpr_workitem_id 0
		.amdhsa_next_free_vgpr 159
		.amdhsa_next_free_sgpr 59
		.amdhsa_reserve_vcc 1
		.amdhsa_reserve_flat_scratch 0
		.amdhsa_float_round_mode_32 0
		.amdhsa_float_round_mode_16_64 0
		.amdhsa_float_denorm_mode_32 3
		.amdhsa_float_denorm_mode_16_64 3
		.amdhsa_dx10_clamp 1
		.amdhsa_ieee_mode 1
		.amdhsa_fp16_overflow 0
		.amdhsa_workgroup_processor_mode 1
		.amdhsa_memory_ordered 1
		.amdhsa_forward_progress 1
		.amdhsa_shared_vgpr_count 0
		.amdhsa_exception_fp_ieee_invalid_op 0
		.amdhsa_exception_fp_denorm_src 0
		.amdhsa_exception_fp_ieee_div_zero 0
		.amdhsa_exception_fp_ieee_overflow 0
		.amdhsa_exception_fp_ieee_underflow 0
		.amdhsa_exception_fp_ieee_inexact 0
		.amdhsa_exception_int_div_zero 0
	.end_amdhsa_kernel
	.section	.text._ZN9rocsolver6v33100L18getri_kernel_smallILi32E19rocblas_complex_numIdEPKPS3_EEvT1_iilPiilS8_bb,"axG",@progbits,_ZN9rocsolver6v33100L18getri_kernel_smallILi32E19rocblas_complex_numIdEPKPS3_EEvT1_iilPiilS8_bb,comdat
.Lfunc_end95:
	.size	_ZN9rocsolver6v33100L18getri_kernel_smallILi32E19rocblas_complex_numIdEPKPS3_EEvT1_iilPiilS8_bb, .Lfunc_end95-_ZN9rocsolver6v33100L18getri_kernel_smallILi32E19rocblas_complex_numIdEPKPS3_EEvT1_iilPiilS8_bb
                                        ; -- End function
	.set _ZN9rocsolver6v33100L18getri_kernel_smallILi32E19rocblas_complex_numIdEPKPS3_EEvT1_iilPiilS8_bb.num_vgpr, 159
	.set _ZN9rocsolver6v33100L18getri_kernel_smallILi32E19rocblas_complex_numIdEPKPS3_EEvT1_iilPiilS8_bb.num_agpr, 0
	.set _ZN9rocsolver6v33100L18getri_kernel_smallILi32E19rocblas_complex_numIdEPKPS3_EEvT1_iilPiilS8_bb.numbered_sgpr, 59
	.set _ZN9rocsolver6v33100L18getri_kernel_smallILi32E19rocblas_complex_numIdEPKPS3_EEvT1_iilPiilS8_bb.num_named_barrier, 0
	.set _ZN9rocsolver6v33100L18getri_kernel_smallILi32E19rocblas_complex_numIdEPKPS3_EEvT1_iilPiilS8_bb.private_seg_size, 544
	.set _ZN9rocsolver6v33100L18getri_kernel_smallILi32E19rocblas_complex_numIdEPKPS3_EEvT1_iilPiilS8_bb.uses_vcc, 1
	.set _ZN9rocsolver6v33100L18getri_kernel_smallILi32E19rocblas_complex_numIdEPKPS3_EEvT1_iilPiilS8_bb.uses_flat_scratch, 0
	.set _ZN9rocsolver6v33100L18getri_kernel_smallILi32E19rocblas_complex_numIdEPKPS3_EEvT1_iilPiilS8_bb.has_dyn_sized_stack, 0
	.set _ZN9rocsolver6v33100L18getri_kernel_smallILi32E19rocblas_complex_numIdEPKPS3_EEvT1_iilPiilS8_bb.has_recursion, 0
	.set _ZN9rocsolver6v33100L18getri_kernel_smallILi32E19rocblas_complex_numIdEPKPS3_EEvT1_iilPiilS8_bb.has_indirect_call, 0
	.section	.AMDGPU.csdata,"",@progbits
; Kernel info:
; codeLenInByte = 78492
; TotalNumSgprs: 61
; NumVgprs: 159
; ScratchSize: 544
; MemoryBound: 0
; FloatMode: 240
; IeeeMode: 1
; LDSByteSize: 1032 bytes/workgroup (compile time only)
; SGPRBlocks: 0
; VGPRBlocks: 19
; NumSGPRsForWavesPerEU: 61
; NumVGPRsForWavesPerEU: 159
; Occupancy: 6
; WaveLimiterHint : 1
; COMPUTE_PGM_RSRC2:SCRATCH_EN: 1
; COMPUTE_PGM_RSRC2:USER_SGPR: 6
; COMPUTE_PGM_RSRC2:TRAP_HANDLER: 0
; COMPUTE_PGM_RSRC2:TGID_X_EN: 1
; COMPUTE_PGM_RSRC2:TGID_Y_EN: 0
; COMPUTE_PGM_RSRC2:TGID_Z_EN: 0
; COMPUTE_PGM_RSRC2:TIDIG_COMP_CNT: 0
	.section	.text._ZN9rocsolver6v33100L18getri_kernel_smallILi33E19rocblas_complex_numIdEPKPS3_EEvT1_iilPiilS8_bb,"axG",@progbits,_ZN9rocsolver6v33100L18getri_kernel_smallILi33E19rocblas_complex_numIdEPKPS3_EEvT1_iilPiilS8_bb,comdat
	.globl	_ZN9rocsolver6v33100L18getri_kernel_smallILi33E19rocblas_complex_numIdEPKPS3_EEvT1_iilPiilS8_bb ; -- Begin function _ZN9rocsolver6v33100L18getri_kernel_smallILi33E19rocblas_complex_numIdEPKPS3_EEvT1_iilPiilS8_bb
	.p2align	8
	.type	_ZN9rocsolver6v33100L18getri_kernel_smallILi33E19rocblas_complex_numIdEPKPS3_EEvT1_iilPiilS8_bb,@function
_ZN9rocsolver6v33100L18getri_kernel_smallILi33E19rocblas_complex_numIdEPKPS3_EEvT1_iilPiilS8_bb: ; @_ZN9rocsolver6v33100L18getri_kernel_smallILi33E19rocblas_complex_numIdEPKPS3_EEvT1_iilPiilS8_bb
; %bb.0:
	s_add_u32 s0, s0, s7
	s_addc_u32 s1, s1, 0
	s_mov_b32 s7, exec_lo
	v_cmpx_gt_u32_e32 33, v0
	s_cbranch_execz .LBB96_146
; %bb.1:
	s_clause 0x2
	s_load_dword s16, s[4:5], 0x38
	s_load_dwordx2 s[12:13], s[4:5], 0x0
	s_load_dwordx4 s[8:11], s[4:5], 0x28
	s_waitcnt lgkmcnt(0)
	s_bitcmp1_b32 s16, 8
	s_cselect_b32 s45, -1, 0
	s_ashr_i32 s7, s6, 31
	s_lshl_b64 s[14:15], s[6:7], 3
	s_add_u32 s12, s12, s14
	s_addc_u32 s13, s13, s15
	s_load_dwordx2 s[14:15], s[12:13], 0x0
	s_bfe_u32 s12, s16, 0x10008
	s_cmp_eq_u32 s12, 0
                                        ; implicit-def: $sgpr12_sgpr13
	s_cbranch_scc1 .LBB96_3
; %bb.2:
	s_clause 0x1
	s_load_dword s12, s[4:5], 0x20
	s_load_dwordx2 s[16:17], s[4:5], 0x18
	s_mul_i32 s13, s8, s7
	s_mul_hi_u32 s18, s8, s6
	s_mul_i32 s9, s9, s6
	s_add_i32 s13, s18, s13
	s_mul_i32 s8, s8, s6
	s_add_i32 s9, s13, s9
	s_lshl_b64 s[8:9], s[8:9], 2
	s_waitcnt lgkmcnt(0)
	s_ashr_i32 s13, s12, 31
	s_add_u32 s16, s16, s8
	s_addc_u32 s17, s17, s9
	s_lshl_b64 s[8:9], s[12:13], 2
	s_add_u32 s12, s16, s8
	s_addc_u32 s13, s17, s9
.LBB96_3:
	s_clause 0x1
	s_load_dwordx2 s[8:9], s[4:5], 0x8
	s_load_dword s46, s[4:5], 0x38
	v_lshlrev_b32_e32 v77, 4, v0
	s_movk_i32 s16, 0xa0
	s_movk_i32 s17, 0xb0
	;; [unrolled: 1-line block ×17, first 2 shown]
	s_waitcnt lgkmcnt(0)
	s_ashr_i32 s5, s8, 31
	s_mov_b32 s4, s8
	v_add3_u32 v7, s9, s9, v0
	s_lshl_b64 s[4:5], s[4:5], 4
	s_movk_i32 s54, 0x1b0
	s_add_u32 s8, s14, s4
	s_addc_u32 s14, s15, s5
	v_add_co_u32 v5, s4, s8, v77
	v_add_co_ci_u32_e64 v6, null, s14, 0, s4
	s_mov_b32 s4, s9
	s_ashr_i32 s5, s9, 31
	v_ashrrev_i32_e32 v8, 31, v7
	flat_load_dwordx4 v[1:4], v[5:6]
	s_lshl_b64 s[4:5], s[4:5], 4
	s_movk_i32 s15, 0x90
	v_add_co_u32 v59, vcc_lo, v5, s4
	v_add_co_ci_u32_e64 v60, null, s5, v6, vcc_lo
	v_lshlrev_b64 v[8:9], 4, v[7:8]
	v_add_nc_u32_e32 v7, s9, v7
	s_movk_i32 s4, 0x50
	s_movk_i32 s55, 0x1c0
	;; [unrolled: 1-line block ×4, first 2 shown]
	v_add_co_u32 v57, vcc_lo, s8, v8
	v_add_co_ci_u32_e64 v58, null, s14, v9, vcc_lo
	v_ashrrev_i32_e32 v8, 31, v7
	s_movk_i32 s58, 0x1f0
	s_movk_i32 s59, 0x200
	s_add_i32 s40, s4, 16
	s_add_i32 s36, s15, 16
	v_lshlrev_b64 v[8:9], 4, v[7:8]
	v_add_nc_u32_e32 v7, s9, v7
	s_add_i32 s35, s16, 16
	s_add_i32 s34, s17, 16
	;; [unrolled: 1-line block ×4, first 2 shown]
	v_add_co_u32 v53, vcc_lo, s8, v8
	v_add_co_ci_u32_e64 v54, null, s14, v9, vcc_lo
	v_ashrrev_i32_e32 v8, 31, v7
	s_add_i32 s30, s20, 16
	s_add_i32 s29, s21, 16
	;; [unrolled: 1-line block ×4, first 2 shown]
	v_lshlrev_b64 v[8:9], 4, v[7:8]
	v_add_nc_u32_e32 v7, s9, v7
	s_add_i32 s26, s24, 16
	s_add_i32 s25, s25, 16
	;; [unrolled: 1-line block ×4, first 2 shown]
	v_add_co_u32 v51, vcc_lo, s8, v8
	v_add_co_ci_u32_e64 v52, null, s14, v9, vcc_lo
	v_ashrrev_i32_e32 v8, 31, v7
	s_add_i32 s22, s49, 16
	s_add_i32 s21, s50, 16
	;; [unrolled: 1-line block ×4, first 2 shown]
	v_lshlrev_b64 v[8:9], 4, v[7:8]
	v_add_nc_u32_e32 v7, s9, v7
	s_add_i32 s18, s53, 16
	s_add_i32 s17, s54, 16
	;; [unrolled: 1-line block ×4, first 2 shown]
	v_add_co_u32 v49, vcc_lo, s8, v8
	v_add_co_ci_u32_e64 v50, null, s14, v9, vcc_lo
	v_ashrrev_i32_e32 v8, 31, v7
	s_mov_b32 s5, -1
	s_mov_b32 s44, 32
	s_mov_b32 s43, 48
	;; [unrolled: 1-line block ×3, first 2 shown]
	v_lshlrev_b64 v[8:9], 4, v[7:8]
	v_add_nc_u32_e32 v7, s9, v7
	s_movk_i32 s41, 0x50
	s_waitcnt vmcnt(0) lgkmcnt(0)
	buffer_store_dword v4, off, s[0:3], 0 offset:28
	buffer_store_dword v3, off, s[0:3], 0 offset:24
	buffer_store_dword v2, off, s[0:3], 0 offset:20
	buffer_store_dword v1, off, s[0:3], 0 offset:16
	flat_load_dwordx4 v[1:4], v[59:60]
	v_add_co_u32 v47, vcc_lo, s8, v8
	v_add_co_ci_u32_e64 v48, null, s14, v9, vcc_lo
	v_ashrrev_i32_e32 v8, 31, v7
	s_waitcnt vmcnt(0) lgkmcnt(0)
	buffer_store_dword v4, off, s[0:3], 0 offset:44
	buffer_store_dword v3, off, s[0:3], 0 offset:40
	buffer_store_dword v2, off, s[0:3], 0 offset:36
	buffer_store_dword v1, off, s[0:3], 0 offset:32
	flat_load_dwordx4 v[1:4], v[57:58]
	v_lshlrev_b64 v[8:9], 4, v[7:8]
	v_add_nc_u32_e32 v7, s9, v7
	s_waitcnt vmcnt(0) lgkmcnt(0)
	buffer_store_dword v4, off, s[0:3], 0 offset:60
	buffer_store_dword v3, off, s[0:3], 0 offset:56
	buffer_store_dword v2, off, s[0:3], 0 offset:52
	buffer_store_dword v1, off, s[0:3], 0 offset:48
	flat_load_dwordx4 v[1:4], v[53:54]
	v_add_co_u32 v45, vcc_lo, s8, v8
	v_add_co_ci_u32_e64 v46, null, s14, v9, vcc_lo
	v_ashrrev_i32_e32 v8, 31, v7
	s_waitcnt vmcnt(0) lgkmcnt(0)
	buffer_store_dword v4, off, s[0:3], 0 offset:76
	buffer_store_dword v3, off, s[0:3], 0 offset:72
	buffer_store_dword v2, off, s[0:3], 0 offset:68
	buffer_store_dword v1, off, s[0:3], 0 offset:64
	flat_load_dwordx4 v[1:4], v[51:52]
	v_lshlrev_b64 v[8:9], 4, v[7:8]
	v_add_nc_u32_e32 v7, s9, v7
	;; [unrolled: 17-line block ×5, first 2 shown]
	s_waitcnt vmcnt(0) lgkmcnt(0)
	buffer_store_dword v4, off, s[0:3], 0 offset:188
	buffer_store_dword v3, off, s[0:3], 0 offset:184
	;; [unrolled: 1-line block ×4, first 2 shown]
	v_add_co_u32 v37, vcc_lo, s8, v8
	v_add_co_ci_u32_e64 v38, null, s14, v9, vcc_lo
	v_ashrrev_i32_e32 v8, 31, v7
	flat_load_dwordx4 v[1:4], v[37:38]
	s_waitcnt vmcnt(0) lgkmcnt(0)
	buffer_store_dword v4, off, s[0:3], 0 offset:204
	buffer_store_dword v3, off, s[0:3], 0 offset:200
	buffer_store_dword v2, off, s[0:3], 0 offset:196
	buffer_store_dword v1, off, s[0:3], 0 offset:192
	v_lshlrev_b64 v[8:9], 4, v[7:8]
	v_add_nc_u32_e32 v7, s9, v7
	v_add_co_u32 v33, vcc_lo, s8, v8
	v_add_co_ci_u32_e64 v34, null, s14, v9, vcc_lo
	v_ashrrev_i32_e32 v8, 31, v7
	flat_load_dwordx4 v[1:4], v[33:34]
	s_waitcnt vmcnt(0) lgkmcnt(0)
	buffer_store_dword v4, off, s[0:3], 0 offset:220
	buffer_store_dword v3, off, s[0:3], 0 offset:216
	buffer_store_dword v2, off, s[0:3], 0 offset:212
	buffer_store_dword v1, off, s[0:3], 0 offset:208
	v_lshlrev_b64 v[8:9], 4, v[7:8]
	v_add_nc_u32_e32 v7, s9, v7
	v_add_co_u32 v31, vcc_lo, s8, v8
	v_add_co_ci_u32_e64 v32, null, s14, v9, vcc_lo
	v_ashrrev_i32_e32 v8, 31, v7
	flat_load_dwordx4 v[1:4], v[31:32]
	s_waitcnt vmcnt(0) lgkmcnt(0)
	buffer_store_dword v4, off, s[0:3], 0 offset:236
	buffer_store_dword v3, off, s[0:3], 0 offset:232
	buffer_store_dword v2, off, s[0:3], 0 offset:228
	buffer_store_dword v1, off, s[0:3], 0 offset:224
	v_lshlrev_b64 v[8:9], 4, v[7:8]
	v_add_nc_u32_e32 v7, s9, v7
	v_add_co_u32 v29, vcc_lo, s8, v8
	v_add_co_ci_u32_e64 v30, null, s14, v9, vcc_lo
	v_ashrrev_i32_e32 v8, 31, v7
	flat_load_dwordx4 v[1:4], v[29:30]
	s_waitcnt vmcnt(0) lgkmcnt(0)
	buffer_store_dword v4, off, s[0:3], 0 offset:252
	buffer_store_dword v3, off, s[0:3], 0 offset:248
	buffer_store_dword v2, off, s[0:3], 0 offset:244
	buffer_store_dword v1, off, s[0:3], 0 offset:240
	v_lshlrev_b64 v[8:9], 4, v[7:8]
	v_add_nc_u32_e32 v7, s9, v7
	v_add_co_u32 v27, vcc_lo, s8, v8
	v_add_co_ci_u32_e64 v28, null, s14, v9, vcc_lo
	v_ashrrev_i32_e32 v8, 31, v7
	flat_load_dwordx4 v[1:4], v[27:28]
	s_waitcnt vmcnt(0) lgkmcnt(0)
	buffer_store_dword v4, off, s[0:3], 0 offset:268
	buffer_store_dword v3, off, s[0:3], 0 offset:264
	buffer_store_dword v2, off, s[0:3], 0 offset:260
	buffer_store_dword v1, off, s[0:3], 0 offset:256
	v_lshlrev_b64 v[8:9], 4, v[7:8]
	v_add_nc_u32_e32 v7, s9, v7
	v_add_co_u32 v25, vcc_lo, s8, v8
	v_add_co_ci_u32_e64 v26, null, s14, v9, vcc_lo
	v_ashrrev_i32_e32 v8, 31, v7
	flat_load_dwordx4 v[1:4], v[25:26]
	s_waitcnt vmcnt(0) lgkmcnt(0)
	buffer_store_dword v4, off, s[0:3], 0 offset:284
	buffer_store_dword v3, off, s[0:3], 0 offset:280
	buffer_store_dword v2, off, s[0:3], 0 offset:276
	buffer_store_dword v1, off, s[0:3], 0 offset:272
	v_lshlrev_b64 v[8:9], 4, v[7:8]
	v_add_nc_u32_e32 v7, s9, v7
	v_add_co_u32 v23, vcc_lo, s8, v8
	v_add_co_ci_u32_e64 v24, null, s14, v9, vcc_lo
	v_ashrrev_i32_e32 v8, 31, v7
	flat_load_dwordx4 v[1:4], v[23:24]
	s_waitcnt vmcnt(0) lgkmcnt(0)
	buffer_store_dword v4, off, s[0:3], 0 offset:300
	buffer_store_dword v3, off, s[0:3], 0 offset:296
	buffer_store_dword v2, off, s[0:3], 0 offset:292
	buffer_store_dword v1, off, s[0:3], 0 offset:288
	v_lshlrev_b64 v[8:9], 4, v[7:8]
	v_add_nc_u32_e32 v7, s9, v7
	v_add_co_u32 v21, vcc_lo, s8, v8
	v_add_co_ci_u32_e64 v22, null, s14, v9, vcc_lo
	v_ashrrev_i32_e32 v8, 31, v7
	flat_load_dwordx4 v[1:4], v[21:22]
	s_waitcnt vmcnt(0) lgkmcnt(0)
	buffer_store_dword v4, off, s[0:3], 0 offset:316
	buffer_store_dword v3, off, s[0:3], 0 offset:312
	buffer_store_dword v2, off, s[0:3], 0 offset:308
	buffer_store_dword v1, off, s[0:3], 0 offset:304
	v_lshlrev_b64 v[8:9], 4, v[7:8]
	v_add_nc_u32_e32 v7, s9, v7
	v_add_co_u32 v19, vcc_lo, s8, v8
	v_add_co_ci_u32_e64 v20, null, s14, v9, vcc_lo
	v_ashrrev_i32_e32 v8, 31, v7
	flat_load_dwordx4 v[1:4], v[19:20]
	s_waitcnt vmcnt(0) lgkmcnt(0)
	buffer_store_dword v4, off, s[0:3], 0 offset:332
	buffer_store_dword v3, off, s[0:3], 0 offset:328
	buffer_store_dword v2, off, s[0:3], 0 offset:324
	buffer_store_dword v1, off, s[0:3], 0 offset:320
	v_lshlrev_b64 v[8:9], 4, v[7:8]
	v_add_nc_u32_e32 v7, s9, v7
	v_add_co_u32 v17, vcc_lo, s8, v8
	v_add_co_ci_u32_e64 v18, null, s14, v9, vcc_lo
	v_ashrrev_i32_e32 v8, 31, v7
	flat_load_dwordx4 v[1:4], v[17:18]
	s_waitcnt vmcnt(0) lgkmcnt(0)
	buffer_store_dword v4, off, s[0:3], 0 offset:348
	buffer_store_dword v3, off, s[0:3], 0 offset:344
	buffer_store_dword v2, off, s[0:3], 0 offset:340
	buffer_store_dword v1, off, s[0:3], 0 offset:336
	v_lshlrev_b64 v[8:9], 4, v[7:8]
	v_add_nc_u32_e32 v7, s9, v7
	v_add_co_u32 v15, vcc_lo, s8, v8
	v_add_co_ci_u32_e64 v16, null, s14, v9, vcc_lo
	v_ashrrev_i32_e32 v8, 31, v7
	flat_load_dwordx4 v[1:4], v[15:16]
	s_waitcnt vmcnt(0) lgkmcnt(0)
	buffer_store_dword v4, off, s[0:3], 0 offset:364
	buffer_store_dword v3, off, s[0:3], 0 offset:360
	buffer_store_dword v2, off, s[0:3], 0 offset:356
	buffer_store_dword v1, off, s[0:3], 0 offset:352
	v_lshlrev_b64 v[8:9], 4, v[7:8]
	v_add_nc_u32_e32 v7, s9, v7
	v_add_co_u32 v13, vcc_lo, s8, v8
	v_add_co_ci_u32_e64 v14, null, s14, v9, vcc_lo
	v_ashrrev_i32_e32 v8, 31, v7
	flat_load_dwordx4 v[1:4], v[13:14]
	s_waitcnt vmcnt(0) lgkmcnt(0)
	buffer_store_dword v4, off, s[0:3], 0 offset:380
	buffer_store_dword v3, off, s[0:3], 0 offset:376
	buffer_store_dword v2, off, s[0:3], 0 offset:372
	buffer_store_dword v1, off, s[0:3], 0 offset:368
	v_lshlrev_b64 v[8:9], 4, v[7:8]
	v_add_nc_u32_e32 v7, s9, v7
	v_add_co_u32 v11, vcc_lo, s8, v8
	v_add_co_ci_u32_e64 v12, null, s14, v9, vcc_lo
	v_ashrrev_i32_e32 v8, 31, v7
	v_add_nc_u32_e32 v35, s9, v7
	flat_load_dwordx4 v[1:4], v[11:12]
	s_waitcnt vmcnt(0) lgkmcnt(0)
	buffer_store_dword v4, off, s[0:3], 0 offset:396
	buffer_store_dword v3, off, s[0:3], 0 offset:392
	;; [unrolled: 1-line block ×4, first 2 shown]
	v_lshlrev_b64 v[9:10], 4, v[7:8]
	v_ashrrev_i32_e32 v36, 31, v35
	v_add_nc_u32_e32 v55, s9, v35
	v_add_co_u32 v9, vcc_lo, s8, v9
	v_add_co_ci_u32_e64 v10, null, s14, v10, vcc_lo
	v_lshlrev_b64 v[7:8], 4, v[35:36]
	v_ashrrev_i32_e32 v56, 31, v55
	v_add_nc_u32_e32 v61, s9, v55
	flat_load_dwordx4 v[1:4], v[9:10]
	s_waitcnt vmcnt(0) lgkmcnt(0)
	buffer_store_dword v4, off, s[0:3], 0 offset:412
	buffer_store_dword v3, off, s[0:3], 0 offset:408
	buffer_store_dword v2, off, s[0:3], 0 offset:404
	buffer_store_dword v1, off, s[0:3], 0 offset:400
	v_add_co_u32 v7, vcc_lo, s8, v7
	v_add_co_ci_u32_e64 v8, null, s14, v8, vcc_lo
	v_lshlrev_b64 v[35:36], 4, v[55:56]
	v_ashrrev_i32_e32 v62, 31, v61
	v_add_nc_u32_e32 v63, s9, v61
	flat_load_dwordx4 v[1:4], v[7:8]
	s_waitcnt vmcnt(0) lgkmcnt(0)
	buffer_store_dword v4, off, s[0:3], 0 offset:428
	buffer_store_dword v3, off, s[0:3], 0 offset:424
	buffer_store_dword v2, off, s[0:3], 0 offset:420
	buffer_store_dword v1, off, s[0:3], 0 offset:416
	;; [unrolled: 11-line block ×5, first 2 shown]
	v_add_co_u32 v63, vcc_lo, s8, v63
	v_add_co_ci_u32_e64 v64, null, s14, v64, vcc_lo
	v_lshlrev_b64 v[65:66], 4, v[67:68]
	v_ashrrev_i32_e32 v70, 31, v69
	flat_load_dwordx4 v[1:4], v[63:64]
	s_waitcnt vmcnt(0) lgkmcnt(0)
	buffer_store_dword v4, off, s[0:3], 0 offset:492
	buffer_store_dword v3, off, s[0:3], 0 offset:488
	;; [unrolled: 1-line block ×4, first 2 shown]
	v_add_co_u32 v65, vcc_lo, s8, v65
	v_add_co_ci_u32_e64 v66, null, s14, v66, vcc_lo
	v_lshlrev_b64 v[67:68], 4, v[69:70]
	v_add_nc_u32_e32 v69, s9, v69
	s_movk_i32 s9, 0x70
	flat_load_dwordx4 v[1:4], v[65:66]
	s_add_i32 s38, s9, 16
	s_add_i32 s9, s58, 16
	v_add_co_u32 v67, vcc_lo, s8, v67
	v_add_co_ci_u32_e64 v68, null, s14, v68, vcc_lo
	v_ashrrev_i32_e32 v70, 31, v69
	s_waitcnt vmcnt(0) lgkmcnt(0)
	buffer_store_dword v4, off, s[0:3], 0 offset:508
	buffer_store_dword v3, off, s[0:3], 0 offset:504
	;; [unrolled: 1-line block ×4, first 2 shown]
	flat_load_dwordx4 v[1:4], v[67:68]
	v_lshlrev_b64 v[69:70], 4, v[69:70]
	s_waitcnt vmcnt(0) lgkmcnt(0)
	buffer_store_dword v4, off, s[0:3], 0 offset:524
	buffer_store_dword v3, off, s[0:3], 0 offset:520
	;; [unrolled: 1-line block ×4, first 2 shown]
	v_add_co_u32 v69, vcc_lo, s8, v69
	v_add_co_ci_u32_e64 v70, null, s14, v70, vcc_lo
	s_movk_i32 s8, 0x60
	s_movk_i32 s14, 0x80
	s_add_i32 s39, s8, 16
	flat_load_dwordx4 v[1:4], v[69:70]
	s_add_i32 s37, s14, 16
	s_add_i32 s14, s57, 16
	s_add_i32 s8, s59, 16
	s_bitcmp0_b32 s46, 0
	s_waitcnt vmcnt(0) lgkmcnt(0)
	buffer_store_dword v4, off, s[0:3], 0 offset:540
	buffer_store_dword v3, off, s[0:3], 0 offset:536
	;; [unrolled: 1-line block ×4, first 2 shown]
	s_cbranch_scc1 .LBB96_144
; %bb.4:
	v_cmp_eq_u32_e64 s4, 0, v0
	s_and_saveexec_b32 s5, s4
; %bb.5:
	v_mov_b32_e32 v1, 0
	ds_write_b32 v1, v1 offset:1056
; %bb.6:
	s_or_b32 exec_lo, exec_lo, s5
	v_lshl_add_u32 v78, v0, 4, 16
	s_waitcnt lgkmcnt(0)
	s_waitcnt_vscnt null, 0x0
	s_barrier
	buffer_gl0_inv
	s_clause 0x3
	buffer_load_dword v1, v78, s[0:3], 0 offen
	buffer_load_dword v2, v78, s[0:3], 0 offen offset:4
	buffer_load_dword v3, v78, s[0:3], 0 offen offset:8
	;; [unrolled: 1-line block ×3, first 2 shown]
	s_waitcnt vmcnt(2)
	v_cmp_eq_f64_e32 vcc_lo, 0, v[1:2]
	s_waitcnt vmcnt(0)
	v_cmp_eq_f64_e64 s5, 0, v[3:4]
	s_and_b32 s5, vcc_lo, s5
	s_and_saveexec_b32 s46, s5
	s_cbranch_execz .LBB96_10
; %bb.7:
	v_mov_b32_e32 v1, 0
	s_mov_b32 s47, 0
	ds_read_b32 v2, v1 offset:1056
	s_waitcnt lgkmcnt(0)
	v_readfirstlane_b32 s5, v2
	v_add_nc_u32_e32 v2, 1, v0
	s_cmp_eq_u32 s5, 0
	v_cmp_gt_i32_e32 vcc_lo, s5, v2
	s_cselect_b32 s48, -1, 0
	s_or_b32 s48, s48, vcc_lo
	s_and_b32 exec_lo, exec_lo, s48
	s_cbranch_execz .LBB96_10
; %bb.8:
	v_mov_b32_e32 v3, s5
.LBB96_9:                               ; =>This Inner Loop Header: Depth=1
	ds_cmpst_rtn_b32 v3, v1, v3, v2 offset:1056
	s_waitcnt lgkmcnt(0)
	v_cmp_ne_u32_e32 vcc_lo, 0, v3
	v_cmp_le_i32_e64 s5, v3, v2
	s_and_b32 s5, vcc_lo, s5
	s_and_b32 s5, exec_lo, s5
	s_or_b32 s47, s5, s47
	s_andn2_b32 exec_lo, exec_lo, s47
	s_cbranch_execnz .LBB96_9
.LBB96_10:
	s_or_b32 exec_lo, exec_lo, s46
	v_mov_b32_e32 v1, 0
	s_barrier
	buffer_gl0_inv
	ds_read_b32 v2, v1 offset:1056
	s_and_saveexec_b32 s5, s4
	s_cbranch_execz .LBB96_12
; %bb.11:
	s_lshl_b64 s[46:47], s[6:7], 2
	s_add_u32 s46, s10, s46
	s_addc_u32 s47, s11, s47
	s_waitcnt lgkmcnt(0)
	global_store_dword v1, v2, s[46:47]
.LBB96_12:
	s_or_b32 exec_lo, exec_lo, s5
	s_waitcnt lgkmcnt(0)
	v_cmp_ne_u32_e32 vcc_lo, 0, v2
	s_mov_b32 s5, 0
	s_cbranch_vccnz .LBB96_144
; %bb.13:
	s_clause 0x3
	buffer_load_dword v73, v78, s[0:3], 0 offen
	buffer_load_dword v74, v78, s[0:3], 0 offen offset:4
	buffer_load_dword v75, v78, s[0:3], 0 offen offset:8
	;; [unrolled: 1-line block ×3, first 2 shown]
                                        ; implicit-def: $vgpr71_vgpr72
                                        ; implicit-def: $vgpr3_vgpr4
	s_waitcnt vmcnt(0)
	v_cmp_ngt_f64_e64 s5, |v[73:74]|, |v[75:76]|
	s_and_saveexec_b32 s46, s5
	s_xor_b32 s5, exec_lo, s46
	s_cbranch_execz .LBB96_15
; %bb.14:
	v_div_scale_f64 v[1:2], null, v[75:76], v[75:76], v[73:74]
	v_div_scale_f64 v[79:80], vcc_lo, v[73:74], v[75:76], v[73:74]
	v_rcp_f64_e32 v[3:4], v[1:2]
	v_fma_f64 v[71:72], -v[1:2], v[3:4], 1.0
	v_fma_f64 v[3:4], v[3:4], v[71:72], v[3:4]
	v_fma_f64 v[71:72], -v[1:2], v[3:4], 1.0
	v_fma_f64 v[3:4], v[3:4], v[71:72], v[3:4]
	v_mul_f64 v[71:72], v[79:80], v[3:4]
	v_fma_f64 v[1:2], -v[1:2], v[71:72], v[79:80]
	v_div_fmas_f64 v[1:2], v[1:2], v[3:4], v[71:72]
	v_div_fixup_f64 v[1:2], v[1:2], v[75:76], v[73:74]
	v_fma_f64 v[3:4], v[73:74], v[1:2], v[75:76]
	v_div_scale_f64 v[71:72], null, v[3:4], v[3:4], 1.0
	v_div_scale_f64 v[79:80], vcc_lo, 1.0, v[3:4], 1.0
	v_rcp_f64_e32 v[73:74], v[71:72]
	v_fma_f64 v[75:76], -v[71:72], v[73:74], 1.0
	v_fma_f64 v[73:74], v[73:74], v[75:76], v[73:74]
	v_fma_f64 v[75:76], -v[71:72], v[73:74], 1.0
	v_fma_f64 v[73:74], v[73:74], v[75:76], v[73:74]
	v_mul_f64 v[75:76], v[79:80], v[73:74]
	v_fma_f64 v[71:72], -v[71:72], v[75:76], v[79:80]
	v_div_fmas_f64 v[71:72], v[71:72], v[73:74], v[75:76]
                                        ; implicit-def: $vgpr73_vgpr74
                                        ; implicit-def: $vgpr75_vgpr76
	v_div_fixup_f64 v[3:4], v[71:72], v[3:4], 1.0
	v_mul_f64 v[71:72], v[1:2], v[3:4]
	v_xor_b32_e32 v4, 0x80000000, v4
	v_xor_b32_e32 v2, 0x80000000, v72
	v_mov_b32_e32 v1, v71
.LBB96_15:
	s_andn2_saveexec_b32 s5, s5
	s_cbranch_execz .LBB96_17
; %bb.16:
	v_div_scale_f64 v[1:2], null, v[73:74], v[73:74], v[75:76]
	v_div_scale_f64 v[79:80], vcc_lo, v[75:76], v[73:74], v[75:76]
	v_rcp_f64_e32 v[3:4], v[1:2]
	v_fma_f64 v[71:72], -v[1:2], v[3:4], 1.0
	v_fma_f64 v[3:4], v[3:4], v[71:72], v[3:4]
	v_fma_f64 v[71:72], -v[1:2], v[3:4], 1.0
	v_fma_f64 v[3:4], v[3:4], v[71:72], v[3:4]
	v_mul_f64 v[71:72], v[79:80], v[3:4]
	v_fma_f64 v[1:2], -v[1:2], v[71:72], v[79:80]
	v_div_fmas_f64 v[1:2], v[1:2], v[3:4], v[71:72]
	v_div_fixup_f64 v[1:2], v[1:2], v[73:74], v[75:76]
	v_fma_f64 v[3:4], v[75:76], v[1:2], v[73:74]
	v_div_scale_f64 v[71:72], null, v[3:4], v[3:4], 1.0
	v_rcp_f64_e32 v[73:74], v[71:72]
	v_fma_f64 v[75:76], -v[71:72], v[73:74], 1.0
	v_fma_f64 v[73:74], v[73:74], v[75:76], v[73:74]
	v_fma_f64 v[75:76], -v[71:72], v[73:74], 1.0
	v_fma_f64 v[73:74], v[73:74], v[75:76], v[73:74]
	v_div_scale_f64 v[75:76], vcc_lo, 1.0, v[3:4], 1.0
	v_mul_f64 v[79:80], v[75:76], v[73:74]
	v_fma_f64 v[71:72], -v[71:72], v[79:80], v[75:76]
	v_div_fmas_f64 v[71:72], v[71:72], v[73:74], v[79:80]
	v_div_fixup_f64 v[71:72], v[71:72], v[3:4], 1.0
	v_mul_f64 v[3:4], v[1:2], -v[71:72]
	v_xor_b32_e32 v2, 0x80000000, v72
	v_mov_b32_e32 v1, v71
.LBB96_17:
	s_or_b32 exec_lo, exec_lo, s5
	v_mov_b32_e32 v76, s44
	buffer_store_dword v72, v78, s[0:3], 0 offen offset:4
	buffer_store_dword v71, v78, s[0:3], 0 offen
	buffer_store_dword v4, v78, s[0:3], 0 offen offset:12
	buffer_store_dword v3, v78, s[0:3], 0 offen offset:8
	v_xor_b32_e32 v4, 0x80000000, v4
	v_add_nc_u32_e32 v71, 0x210, v77
	s_clause 0x3
	buffer_load_dword v75, v76, s[0:3], 0 offen offset:12
	buffer_load_dword v74, v76, s[0:3], 0 offen offset:8
	;; [unrolled: 1-line block ×3, first 2 shown]
	buffer_load_dword v72, v76, s[0:3], 0 offen
	ds_write_b128 v77, v[1:4]
	s_waitcnt vmcnt(0)
	ds_write_b128 v77, v[72:75] offset:528
	s_waitcnt lgkmcnt(0)
	s_waitcnt_vscnt null, 0x0
	s_barrier
	buffer_gl0_inv
	s_and_saveexec_b32 s5, s4
	s_cbranch_execz .LBB96_19
; %bb.18:
	s_clause 0x3
	buffer_load_dword v79, v78, s[0:3], 0 offen offset:8
	buffer_load_dword v80, v78, s[0:3], 0 offen offset:12
	buffer_load_dword v81, v78, s[0:3], 0 offen
	buffer_load_dword v82, v78, s[0:3], 0 offen offset:4
	ds_read_b128 v[1:4], v71
	v_mov_b32_e32 v72, 0
	ds_read_b128 v[72:75], v72 offset:16
	s_waitcnt vmcnt(2) lgkmcnt(1)
	v_mul_f64 v[83:84], v[1:2], v[79:80]
	v_mul_f64 v[79:80], v[3:4], v[79:80]
	s_waitcnt vmcnt(0)
	v_fma_f64 v[3:4], v[3:4], v[81:82], v[83:84]
	v_fma_f64 v[1:2], v[1:2], v[81:82], -v[79:80]
	v_add_f64 v[3:4], v[3:4], 0
	v_add_f64 v[1:2], v[1:2], 0
	s_waitcnt lgkmcnt(0)
	v_mul_f64 v[79:80], v[3:4], v[74:75]
	v_mul_f64 v[74:75], v[1:2], v[74:75]
	v_fma_f64 v[1:2], v[1:2], v[72:73], -v[79:80]
	v_fma_f64 v[3:4], v[3:4], v[72:73], v[74:75]
	buffer_store_dword v1, off, s[0:3], 0 offset:32
	buffer_store_dword v2, off, s[0:3], 0 offset:36
	;; [unrolled: 1-line block ×4, first 2 shown]
.LBB96_19:
	s_or_b32 exec_lo, exec_lo, s5
	v_mov_b32_e32 v4, s43
	s_waitcnt_vscnt null, 0x0
	s_barrier
	buffer_gl0_inv
	s_mov_b32 s5, exec_lo
	s_clause 0x3
	buffer_load_dword v1, v4, s[0:3], 0 offen
	buffer_load_dword v2, v4, s[0:3], 0 offen offset:4
	buffer_load_dword v3, v4, s[0:3], 0 offen offset:8
	;; [unrolled: 1-line block ×3, first 2 shown]
	s_waitcnt vmcnt(0)
	ds_write_b128 v71, v[1:4]
	s_waitcnt lgkmcnt(0)
	s_barrier
	buffer_gl0_inv
	v_cmpx_gt_u32_e32 2, v0
	s_cbranch_execz .LBB96_23
; %bb.20:
	s_clause 0x3
	buffer_load_dword v72, v78, s[0:3], 0 offen offset:8
	buffer_load_dword v73, v78, s[0:3], 0 offen offset:12
	buffer_load_dword v74, v78, s[0:3], 0 offen
	buffer_load_dword v75, v78, s[0:3], 0 offen offset:4
	ds_read_b128 v[1:4], v71
	s_waitcnt vmcnt(2) lgkmcnt(0)
	v_mul_f64 v[78:79], v[3:4], v[72:73]
	v_mul_f64 v[72:73], v[1:2], v[72:73]
	s_waitcnt vmcnt(0)
	v_fma_f64 v[1:2], v[1:2], v[74:75], -v[78:79]
	v_fma_f64 v[3:4], v[3:4], v[74:75], v[72:73]
	v_add_f64 v[1:2], v[1:2], 0
	v_add_f64 v[3:4], v[3:4], 0
	s_and_saveexec_b32 s46, s4
	s_cbranch_execz .LBB96_22
; %bb.21:
	s_clause 0x3
	buffer_load_dword v78, off, s[0:3], 0 offset:40
	buffer_load_dword v79, off, s[0:3], 0 offset:44
	;; [unrolled: 1-line block ×4, first 2 shown]
	v_mov_b32_e32 v72, 0
	ds_read_b128 v[72:75], v72 offset:544
	s_waitcnt vmcnt(2) lgkmcnt(0)
	v_mul_f64 v[82:83], v[72:73], v[78:79]
	v_mul_f64 v[78:79], v[74:75], v[78:79]
	s_waitcnt vmcnt(0)
	v_fma_f64 v[74:75], v[74:75], v[80:81], v[82:83]
	v_fma_f64 v[72:73], v[72:73], v[80:81], -v[78:79]
	v_add_f64 v[3:4], v[3:4], v[74:75]
	v_add_f64 v[1:2], v[1:2], v[72:73]
.LBB96_22:
	s_or_b32 exec_lo, exec_lo, s46
	v_mov_b32_e32 v72, 0
	ds_read_b128 v[72:75], v72 offset:32
	s_waitcnt lgkmcnt(0)
	v_mul_f64 v[78:79], v[3:4], v[74:75]
	v_mul_f64 v[74:75], v[1:2], v[74:75]
	v_fma_f64 v[1:2], v[1:2], v[72:73], -v[78:79]
	v_fma_f64 v[3:4], v[3:4], v[72:73], v[74:75]
	buffer_store_dword v2, off, s[0:3], 0 offset:52
	buffer_store_dword v1, off, s[0:3], 0 offset:48
	;; [unrolled: 1-line block ×4, first 2 shown]
.LBB96_23:
	s_or_b32 exec_lo, exec_lo, s5
	v_mov_b32_e32 v4, s42
	s_waitcnt_vscnt null, 0x0
	s_barrier
	buffer_gl0_inv
	v_add_nc_u32_e32 v72, -1, v0
	s_clause 0x3
	buffer_load_dword v1, v4, s[0:3], 0 offen
	buffer_load_dword v2, v4, s[0:3], 0 offen offset:4
	buffer_load_dword v3, v4, s[0:3], 0 offen offset:8
	;; [unrolled: 1-line block ×3, first 2 shown]
	s_mov_b32 s4, exec_lo
	s_waitcnt vmcnt(0)
	ds_write_b128 v71, v[1:4]
	s_waitcnt lgkmcnt(0)
	s_barrier
	buffer_gl0_inv
	v_cmpx_gt_u32_e32 3, v0
	s_cbranch_execz .LBB96_27
; %bb.24:
	v_mov_b32_e32 v1, 0
	v_mov_b32_e32 v3, 0
	v_add_nc_u32_e32 v73, -1, v0
	v_add_nc_u32_e32 v74, 0x210, v77
	v_mov_b32_e32 v2, 0
	v_mov_b32_e32 v4, 0
	v_add_nc_u32_e32 v75, 16, v77
	s_mov_b32 s5, 0
	.p2align	6
.LBB96_25:                              ; =>This Inner Loop Header: Depth=1
	s_clause 0x3
	buffer_load_dword v82, v75, s[0:3], 0 offen offset:8
	buffer_load_dword v83, v75, s[0:3], 0 offen offset:12
	buffer_load_dword v84, v75, s[0:3], 0 offen
	buffer_load_dword v85, v75, s[0:3], 0 offen offset:4
	ds_read_b128 v[78:81], v74
	v_add_nc_u32_e32 v73, 1, v73
	v_add_nc_u32_e32 v74, 16, v74
	;; [unrolled: 1-line block ×3, first 2 shown]
	v_cmp_lt_u32_e32 vcc_lo, 1, v73
	s_or_b32 s5, vcc_lo, s5
	s_waitcnt vmcnt(2) lgkmcnt(0)
	v_mul_f64 v[86:87], v[80:81], v[82:83]
	v_mul_f64 v[82:83], v[78:79], v[82:83]
	s_waitcnt vmcnt(0)
	v_fma_f64 v[78:79], v[78:79], v[84:85], -v[86:87]
	v_fma_f64 v[80:81], v[80:81], v[84:85], v[82:83]
	v_add_f64 v[3:4], v[3:4], v[78:79]
	v_add_f64 v[1:2], v[1:2], v[80:81]
	s_andn2_b32 exec_lo, exec_lo, s5
	s_cbranch_execnz .LBB96_25
; %bb.26:
	s_or_b32 exec_lo, exec_lo, s5
	v_mov_b32_e32 v73, 0
	ds_read_b128 v[73:76], v73 offset:48
	s_waitcnt lgkmcnt(0)
	v_mul_f64 v[78:79], v[1:2], v[75:76]
	v_mul_f64 v[75:76], v[3:4], v[75:76]
	v_fma_f64 v[3:4], v[3:4], v[73:74], -v[78:79]
	v_fma_f64 v[1:2], v[1:2], v[73:74], v[75:76]
	buffer_store_dword v4, off, s[0:3], 0 offset:68
	buffer_store_dword v3, off, s[0:3], 0 offset:64
	;; [unrolled: 1-line block ×4, first 2 shown]
.LBB96_27:
	s_or_b32 exec_lo, exec_lo, s4
	v_mov_b32_e32 v4, s41
	s_waitcnt_vscnt null, 0x0
	s_barrier
	buffer_gl0_inv
	s_mov_b32 s4, exec_lo
	s_clause 0x3
	buffer_load_dword v1, v4, s[0:3], 0 offen
	buffer_load_dword v2, v4, s[0:3], 0 offen offset:4
	buffer_load_dword v3, v4, s[0:3], 0 offen offset:8
	;; [unrolled: 1-line block ×3, first 2 shown]
	s_waitcnt vmcnt(0)
	ds_write_b128 v71, v[1:4]
	s_waitcnt lgkmcnt(0)
	s_barrier
	buffer_gl0_inv
	v_cmpx_gt_u32_e32 4, v0
	s_cbranch_execz .LBB96_31
; %bb.28:
	v_mov_b32_e32 v1, 0
	v_mov_b32_e32 v3, 0
	v_add_nc_u32_e32 v73, -1, v0
	v_add_nc_u32_e32 v74, 0x210, v77
	v_mov_b32_e32 v2, 0
	v_mov_b32_e32 v4, 0
	v_add_nc_u32_e32 v75, 16, v77
	s_mov_b32 s5, 0
	.p2align	6
.LBB96_29:                              ; =>This Inner Loop Header: Depth=1
	s_clause 0x3
	buffer_load_dword v82, v75, s[0:3], 0 offen offset:8
	buffer_load_dword v83, v75, s[0:3], 0 offen offset:12
	buffer_load_dword v84, v75, s[0:3], 0 offen
	buffer_load_dword v85, v75, s[0:3], 0 offen offset:4
	ds_read_b128 v[78:81], v74
	v_add_nc_u32_e32 v73, 1, v73
	v_add_nc_u32_e32 v74, 16, v74
	;; [unrolled: 1-line block ×3, first 2 shown]
	v_cmp_lt_u32_e32 vcc_lo, 2, v73
	s_or_b32 s5, vcc_lo, s5
	s_waitcnt vmcnt(2) lgkmcnt(0)
	v_mul_f64 v[86:87], v[80:81], v[82:83]
	v_mul_f64 v[82:83], v[78:79], v[82:83]
	s_waitcnt vmcnt(0)
	v_fma_f64 v[78:79], v[78:79], v[84:85], -v[86:87]
	v_fma_f64 v[80:81], v[80:81], v[84:85], v[82:83]
	v_add_f64 v[3:4], v[3:4], v[78:79]
	v_add_f64 v[1:2], v[1:2], v[80:81]
	s_andn2_b32 exec_lo, exec_lo, s5
	s_cbranch_execnz .LBB96_29
; %bb.30:
	s_or_b32 exec_lo, exec_lo, s5
	v_mov_b32_e32 v73, 0
	ds_read_b128 v[73:76], v73 offset:64
	s_waitcnt lgkmcnt(0)
	v_mul_f64 v[78:79], v[1:2], v[75:76]
	v_mul_f64 v[75:76], v[3:4], v[75:76]
	v_fma_f64 v[3:4], v[3:4], v[73:74], -v[78:79]
	v_fma_f64 v[1:2], v[1:2], v[73:74], v[75:76]
	buffer_store_dword v4, off, s[0:3], 0 offset:84
	buffer_store_dword v3, off, s[0:3], 0 offset:80
	buffer_store_dword v2, off, s[0:3], 0 offset:92
	buffer_store_dword v1, off, s[0:3], 0 offset:88
.LBB96_31:
	s_or_b32 exec_lo, exec_lo, s4
	v_mov_b32_e32 v4, s40
	s_waitcnt_vscnt null, 0x0
	s_barrier
	buffer_gl0_inv
	s_mov_b32 s4, exec_lo
	s_clause 0x3
	buffer_load_dword v1, v4, s[0:3], 0 offen
	buffer_load_dword v2, v4, s[0:3], 0 offen offset:4
	buffer_load_dword v3, v4, s[0:3], 0 offen offset:8
	;; [unrolled: 1-line block ×3, first 2 shown]
	s_waitcnt vmcnt(0)
	ds_write_b128 v71, v[1:4]
	s_waitcnt lgkmcnt(0)
	s_barrier
	buffer_gl0_inv
	v_cmpx_gt_u32_e32 5, v0
	s_cbranch_execz .LBB96_35
; %bb.32:
	v_mov_b32_e32 v1, 0
	v_mov_b32_e32 v3, 0
	v_add_nc_u32_e32 v73, -1, v0
	v_add_nc_u32_e32 v74, 0x210, v77
	v_mov_b32_e32 v2, 0
	v_mov_b32_e32 v4, 0
	v_add_nc_u32_e32 v75, 16, v77
	s_mov_b32 s5, 0
	.p2align	6
.LBB96_33:                              ; =>This Inner Loop Header: Depth=1
	s_clause 0x3
	buffer_load_dword v82, v75, s[0:3], 0 offen offset:8
	buffer_load_dword v83, v75, s[0:3], 0 offen offset:12
	buffer_load_dword v84, v75, s[0:3], 0 offen
	buffer_load_dword v85, v75, s[0:3], 0 offen offset:4
	ds_read_b128 v[78:81], v74
	v_add_nc_u32_e32 v73, 1, v73
	v_add_nc_u32_e32 v74, 16, v74
	v_add_nc_u32_e32 v75, 16, v75
	v_cmp_lt_u32_e32 vcc_lo, 3, v73
	s_or_b32 s5, vcc_lo, s5
	s_waitcnt vmcnt(2) lgkmcnt(0)
	v_mul_f64 v[86:87], v[80:81], v[82:83]
	v_mul_f64 v[82:83], v[78:79], v[82:83]
	s_waitcnt vmcnt(0)
	v_fma_f64 v[78:79], v[78:79], v[84:85], -v[86:87]
	v_fma_f64 v[80:81], v[80:81], v[84:85], v[82:83]
	v_add_f64 v[3:4], v[3:4], v[78:79]
	v_add_f64 v[1:2], v[1:2], v[80:81]
	s_andn2_b32 exec_lo, exec_lo, s5
	s_cbranch_execnz .LBB96_33
; %bb.34:
	s_or_b32 exec_lo, exec_lo, s5
	v_mov_b32_e32 v73, 0
	ds_read_b128 v[73:76], v73 offset:80
	s_waitcnt lgkmcnt(0)
	v_mul_f64 v[78:79], v[1:2], v[75:76]
	v_mul_f64 v[75:76], v[3:4], v[75:76]
	v_fma_f64 v[3:4], v[3:4], v[73:74], -v[78:79]
	v_fma_f64 v[1:2], v[1:2], v[73:74], v[75:76]
	buffer_store_dword v4, off, s[0:3], 0 offset:100
	buffer_store_dword v3, off, s[0:3], 0 offset:96
	;; [unrolled: 1-line block ×4, first 2 shown]
.LBB96_35:
	s_or_b32 exec_lo, exec_lo, s4
	v_mov_b32_e32 v4, s39
	s_waitcnt_vscnt null, 0x0
	s_barrier
	buffer_gl0_inv
	s_mov_b32 s4, exec_lo
	s_clause 0x3
	buffer_load_dword v1, v4, s[0:3], 0 offen
	buffer_load_dword v2, v4, s[0:3], 0 offen offset:4
	buffer_load_dword v3, v4, s[0:3], 0 offen offset:8
	;; [unrolled: 1-line block ×3, first 2 shown]
	s_waitcnt vmcnt(0)
	ds_write_b128 v71, v[1:4]
	s_waitcnt lgkmcnt(0)
	s_barrier
	buffer_gl0_inv
	v_cmpx_gt_u32_e32 6, v0
	s_cbranch_execz .LBB96_39
; %bb.36:
	v_mov_b32_e32 v1, 0
	v_mov_b32_e32 v3, 0
	v_add_nc_u32_e32 v73, -1, v0
	v_add_nc_u32_e32 v74, 0x210, v77
	v_mov_b32_e32 v2, 0
	v_mov_b32_e32 v4, 0
	v_add_nc_u32_e32 v75, 16, v77
	s_mov_b32 s5, 0
	.p2align	6
.LBB96_37:                              ; =>This Inner Loop Header: Depth=1
	s_clause 0x3
	buffer_load_dword v82, v75, s[0:3], 0 offen offset:8
	buffer_load_dword v83, v75, s[0:3], 0 offen offset:12
	buffer_load_dword v84, v75, s[0:3], 0 offen
	buffer_load_dword v85, v75, s[0:3], 0 offen offset:4
	ds_read_b128 v[78:81], v74
	v_add_nc_u32_e32 v73, 1, v73
	v_add_nc_u32_e32 v74, 16, v74
	;; [unrolled: 1-line block ×3, first 2 shown]
	v_cmp_lt_u32_e32 vcc_lo, 4, v73
	s_or_b32 s5, vcc_lo, s5
	s_waitcnt vmcnt(2) lgkmcnt(0)
	v_mul_f64 v[86:87], v[80:81], v[82:83]
	v_mul_f64 v[82:83], v[78:79], v[82:83]
	s_waitcnt vmcnt(0)
	v_fma_f64 v[78:79], v[78:79], v[84:85], -v[86:87]
	v_fma_f64 v[80:81], v[80:81], v[84:85], v[82:83]
	v_add_f64 v[3:4], v[3:4], v[78:79]
	v_add_f64 v[1:2], v[1:2], v[80:81]
	s_andn2_b32 exec_lo, exec_lo, s5
	s_cbranch_execnz .LBB96_37
; %bb.38:
	s_or_b32 exec_lo, exec_lo, s5
	v_mov_b32_e32 v73, 0
	ds_read_b128 v[73:76], v73 offset:96
	s_waitcnt lgkmcnt(0)
	v_mul_f64 v[78:79], v[1:2], v[75:76]
	v_mul_f64 v[75:76], v[3:4], v[75:76]
	v_fma_f64 v[3:4], v[3:4], v[73:74], -v[78:79]
	v_fma_f64 v[1:2], v[1:2], v[73:74], v[75:76]
	buffer_store_dword v4, off, s[0:3], 0 offset:116
	buffer_store_dword v3, off, s[0:3], 0 offset:112
	;; [unrolled: 1-line block ×4, first 2 shown]
.LBB96_39:
	s_or_b32 exec_lo, exec_lo, s4
	v_mov_b32_e32 v4, s38
	s_waitcnt_vscnt null, 0x0
	s_barrier
	buffer_gl0_inv
	s_mov_b32 s4, exec_lo
	s_clause 0x3
	buffer_load_dword v1, v4, s[0:3], 0 offen
	buffer_load_dword v2, v4, s[0:3], 0 offen offset:4
	buffer_load_dword v3, v4, s[0:3], 0 offen offset:8
	;; [unrolled: 1-line block ×3, first 2 shown]
	s_waitcnt vmcnt(0)
	ds_write_b128 v71, v[1:4]
	s_waitcnt lgkmcnt(0)
	s_barrier
	buffer_gl0_inv
	v_cmpx_gt_u32_e32 7, v0
	s_cbranch_execz .LBB96_43
; %bb.40:
	v_mov_b32_e32 v1, 0
	v_mov_b32_e32 v3, 0
	v_add_nc_u32_e32 v73, -1, v0
	v_add_nc_u32_e32 v74, 0x210, v77
	v_mov_b32_e32 v2, 0
	v_mov_b32_e32 v4, 0
	v_add_nc_u32_e32 v75, 16, v77
	s_mov_b32 s5, 0
	.p2align	6
.LBB96_41:                              ; =>This Inner Loop Header: Depth=1
	s_clause 0x3
	buffer_load_dword v82, v75, s[0:3], 0 offen offset:8
	buffer_load_dword v83, v75, s[0:3], 0 offen offset:12
	buffer_load_dword v84, v75, s[0:3], 0 offen
	buffer_load_dword v85, v75, s[0:3], 0 offen offset:4
	ds_read_b128 v[78:81], v74
	v_add_nc_u32_e32 v73, 1, v73
	v_add_nc_u32_e32 v74, 16, v74
	;; [unrolled: 1-line block ×3, first 2 shown]
	v_cmp_lt_u32_e32 vcc_lo, 5, v73
	s_or_b32 s5, vcc_lo, s5
	s_waitcnt vmcnt(2) lgkmcnt(0)
	v_mul_f64 v[86:87], v[80:81], v[82:83]
	v_mul_f64 v[82:83], v[78:79], v[82:83]
	s_waitcnt vmcnt(0)
	v_fma_f64 v[78:79], v[78:79], v[84:85], -v[86:87]
	v_fma_f64 v[80:81], v[80:81], v[84:85], v[82:83]
	v_add_f64 v[3:4], v[3:4], v[78:79]
	v_add_f64 v[1:2], v[1:2], v[80:81]
	s_andn2_b32 exec_lo, exec_lo, s5
	s_cbranch_execnz .LBB96_41
; %bb.42:
	s_or_b32 exec_lo, exec_lo, s5
	v_mov_b32_e32 v73, 0
	ds_read_b128 v[73:76], v73 offset:112
	s_waitcnt lgkmcnt(0)
	v_mul_f64 v[78:79], v[1:2], v[75:76]
	v_mul_f64 v[75:76], v[3:4], v[75:76]
	v_fma_f64 v[3:4], v[3:4], v[73:74], -v[78:79]
	v_fma_f64 v[1:2], v[1:2], v[73:74], v[75:76]
	buffer_store_dword v4, off, s[0:3], 0 offset:132
	buffer_store_dword v3, off, s[0:3], 0 offset:128
	;; [unrolled: 1-line block ×4, first 2 shown]
.LBB96_43:
	s_or_b32 exec_lo, exec_lo, s4
	v_mov_b32_e32 v4, s37
	s_waitcnt_vscnt null, 0x0
	s_barrier
	buffer_gl0_inv
	s_mov_b32 s4, exec_lo
	s_clause 0x3
	buffer_load_dword v1, v4, s[0:3], 0 offen
	buffer_load_dword v2, v4, s[0:3], 0 offen offset:4
	buffer_load_dword v3, v4, s[0:3], 0 offen offset:8
	;; [unrolled: 1-line block ×3, first 2 shown]
	s_waitcnt vmcnt(0)
	ds_write_b128 v71, v[1:4]
	s_waitcnt lgkmcnt(0)
	s_barrier
	buffer_gl0_inv
	v_cmpx_gt_u32_e32 8, v0
	s_cbranch_execz .LBB96_47
; %bb.44:
	v_mov_b32_e32 v1, 0
	v_mov_b32_e32 v3, 0
	v_add_nc_u32_e32 v73, -1, v0
	v_add_nc_u32_e32 v74, 0x210, v77
	v_mov_b32_e32 v2, 0
	v_mov_b32_e32 v4, 0
	v_add_nc_u32_e32 v75, 16, v77
	s_mov_b32 s5, 0
	.p2align	6
.LBB96_45:                              ; =>This Inner Loop Header: Depth=1
	s_clause 0x3
	buffer_load_dword v82, v75, s[0:3], 0 offen offset:8
	buffer_load_dword v83, v75, s[0:3], 0 offen offset:12
	buffer_load_dword v84, v75, s[0:3], 0 offen
	buffer_load_dword v85, v75, s[0:3], 0 offen offset:4
	ds_read_b128 v[78:81], v74
	v_add_nc_u32_e32 v73, 1, v73
	v_add_nc_u32_e32 v74, 16, v74
	;; [unrolled: 1-line block ×3, first 2 shown]
	v_cmp_lt_u32_e32 vcc_lo, 6, v73
	s_or_b32 s5, vcc_lo, s5
	s_waitcnt vmcnt(2) lgkmcnt(0)
	v_mul_f64 v[86:87], v[80:81], v[82:83]
	v_mul_f64 v[82:83], v[78:79], v[82:83]
	s_waitcnt vmcnt(0)
	v_fma_f64 v[78:79], v[78:79], v[84:85], -v[86:87]
	v_fma_f64 v[80:81], v[80:81], v[84:85], v[82:83]
	v_add_f64 v[3:4], v[3:4], v[78:79]
	v_add_f64 v[1:2], v[1:2], v[80:81]
	s_andn2_b32 exec_lo, exec_lo, s5
	s_cbranch_execnz .LBB96_45
; %bb.46:
	s_or_b32 exec_lo, exec_lo, s5
	v_mov_b32_e32 v73, 0
	ds_read_b128 v[73:76], v73 offset:128
	s_waitcnt lgkmcnt(0)
	v_mul_f64 v[78:79], v[1:2], v[75:76]
	v_mul_f64 v[75:76], v[3:4], v[75:76]
	v_fma_f64 v[3:4], v[3:4], v[73:74], -v[78:79]
	v_fma_f64 v[1:2], v[1:2], v[73:74], v[75:76]
	buffer_store_dword v4, off, s[0:3], 0 offset:148
	buffer_store_dword v3, off, s[0:3], 0 offset:144
	;; [unrolled: 1-line block ×4, first 2 shown]
.LBB96_47:
	s_or_b32 exec_lo, exec_lo, s4
	v_mov_b32_e32 v4, s36
	s_waitcnt_vscnt null, 0x0
	s_barrier
	buffer_gl0_inv
	s_mov_b32 s4, exec_lo
	s_clause 0x3
	buffer_load_dword v1, v4, s[0:3], 0 offen
	buffer_load_dword v2, v4, s[0:3], 0 offen offset:4
	buffer_load_dword v3, v4, s[0:3], 0 offen offset:8
	buffer_load_dword v4, v4, s[0:3], 0 offen offset:12
	s_waitcnt vmcnt(0)
	ds_write_b128 v71, v[1:4]
	s_waitcnt lgkmcnt(0)
	s_barrier
	buffer_gl0_inv
	v_cmpx_gt_u32_e32 9, v0
	s_cbranch_execz .LBB96_51
; %bb.48:
	v_mov_b32_e32 v1, 0
	v_mov_b32_e32 v3, 0
	v_add_nc_u32_e32 v73, -1, v0
	v_add_nc_u32_e32 v74, 0x210, v77
	v_mov_b32_e32 v2, 0
	v_mov_b32_e32 v4, 0
	v_add_nc_u32_e32 v75, 16, v77
	s_mov_b32 s5, 0
	.p2align	6
.LBB96_49:                              ; =>This Inner Loop Header: Depth=1
	s_clause 0x3
	buffer_load_dword v82, v75, s[0:3], 0 offen offset:8
	buffer_load_dword v83, v75, s[0:3], 0 offen offset:12
	buffer_load_dword v84, v75, s[0:3], 0 offen
	buffer_load_dword v85, v75, s[0:3], 0 offen offset:4
	ds_read_b128 v[78:81], v74
	v_add_nc_u32_e32 v73, 1, v73
	v_add_nc_u32_e32 v74, 16, v74
	;; [unrolled: 1-line block ×3, first 2 shown]
	v_cmp_lt_u32_e32 vcc_lo, 7, v73
	s_or_b32 s5, vcc_lo, s5
	s_waitcnt vmcnt(2) lgkmcnt(0)
	v_mul_f64 v[86:87], v[80:81], v[82:83]
	v_mul_f64 v[82:83], v[78:79], v[82:83]
	s_waitcnt vmcnt(0)
	v_fma_f64 v[78:79], v[78:79], v[84:85], -v[86:87]
	v_fma_f64 v[80:81], v[80:81], v[84:85], v[82:83]
	v_add_f64 v[3:4], v[3:4], v[78:79]
	v_add_f64 v[1:2], v[1:2], v[80:81]
	s_andn2_b32 exec_lo, exec_lo, s5
	s_cbranch_execnz .LBB96_49
; %bb.50:
	s_or_b32 exec_lo, exec_lo, s5
	v_mov_b32_e32 v73, 0
	ds_read_b128 v[73:76], v73 offset:144
	s_waitcnt lgkmcnt(0)
	v_mul_f64 v[78:79], v[1:2], v[75:76]
	v_mul_f64 v[75:76], v[3:4], v[75:76]
	v_fma_f64 v[3:4], v[3:4], v[73:74], -v[78:79]
	v_fma_f64 v[1:2], v[1:2], v[73:74], v[75:76]
	buffer_store_dword v4, off, s[0:3], 0 offset:164
	buffer_store_dword v3, off, s[0:3], 0 offset:160
	;; [unrolled: 1-line block ×4, first 2 shown]
.LBB96_51:
	s_or_b32 exec_lo, exec_lo, s4
	v_mov_b32_e32 v4, s35
	s_waitcnt_vscnt null, 0x0
	s_barrier
	buffer_gl0_inv
	s_mov_b32 s4, exec_lo
	s_clause 0x3
	buffer_load_dword v1, v4, s[0:3], 0 offen
	buffer_load_dword v2, v4, s[0:3], 0 offen offset:4
	buffer_load_dword v3, v4, s[0:3], 0 offen offset:8
	;; [unrolled: 1-line block ×3, first 2 shown]
	s_waitcnt vmcnt(0)
	ds_write_b128 v71, v[1:4]
	s_waitcnt lgkmcnt(0)
	s_barrier
	buffer_gl0_inv
	v_cmpx_gt_u32_e32 10, v0
	s_cbranch_execz .LBB96_55
; %bb.52:
	v_mov_b32_e32 v1, 0
	v_mov_b32_e32 v3, 0
	v_add_nc_u32_e32 v73, -1, v0
	v_add_nc_u32_e32 v74, 0x210, v77
	v_mov_b32_e32 v2, 0
	v_mov_b32_e32 v4, 0
	v_add_nc_u32_e32 v75, 16, v77
	s_mov_b32 s5, 0
	.p2align	6
.LBB96_53:                              ; =>This Inner Loop Header: Depth=1
	s_clause 0x3
	buffer_load_dword v82, v75, s[0:3], 0 offen offset:8
	buffer_load_dword v83, v75, s[0:3], 0 offen offset:12
	buffer_load_dword v84, v75, s[0:3], 0 offen
	buffer_load_dword v85, v75, s[0:3], 0 offen offset:4
	ds_read_b128 v[78:81], v74
	v_add_nc_u32_e32 v73, 1, v73
	v_add_nc_u32_e32 v74, 16, v74
	;; [unrolled: 1-line block ×3, first 2 shown]
	v_cmp_lt_u32_e32 vcc_lo, 8, v73
	s_or_b32 s5, vcc_lo, s5
	s_waitcnt vmcnt(2) lgkmcnt(0)
	v_mul_f64 v[86:87], v[80:81], v[82:83]
	v_mul_f64 v[82:83], v[78:79], v[82:83]
	s_waitcnt vmcnt(0)
	v_fma_f64 v[78:79], v[78:79], v[84:85], -v[86:87]
	v_fma_f64 v[80:81], v[80:81], v[84:85], v[82:83]
	v_add_f64 v[3:4], v[3:4], v[78:79]
	v_add_f64 v[1:2], v[1:2], v[80:81]
	s_andn2_b32 exec_lo, exec_lo, s5
	s_cbranch_execnz .LBB96_53
; %bb.54:
	s_or_b32 exec_lo, exec_lo, s5
	v_mov_b32_e32 v73, 0
	ds_read_b128 v[73:76], v73 offset:160
	s_waitcnt lgkmcnt(0)
	v_mul_f64 v[78:79], v[1:2], v[75:76]
	v_mul_f64 v[75:76], v[3:4], v[75:76]
	v_fma_f64 v[3:4], v[3:4], v[73:74], -v[78:79]
	v_fma_f64 v[1:2], v[1:2], v[73:74], v[75:76]
	buffer_store_dword v4, off, s[0:3], 0 offset:180
	buffer_store_dword v3, off, s[0:3], 0 offset:176
	buffer_store_dword v2, off, s[0:3], 0 offset:188
	buffer_store_dword v1, off, s[0:3], 0 offset:184
.LBB96_55:
	s_or_b32 exec_lo, exec_lo, s4
	v_mov_b32_e32 v4, s34
	s_waitcnt_vscnt null, 0x0
	s_barrier
	buffer_gl0_inv
	s_mov_b32 s4, exec_lo
	s_clause 0x3
	buffer_load_dword v1, v4, s[0:3], 0 offen
	buffer_load_dword v2, v4, s[0:3], 0 offen offset:4
	buffer_load_dword v3, v4, s[0:3], 0 offen offset:8
	;; [unrolled: 1-line block ×3, first 2 shown]
	s_waitcnt vmcnt(0)
	ds_write_b128 v71, v[1:4]
	s_waitcnt lgkmcnt(0)
	s_barrier
	buffer_gl0_inv
	v_cmpx_gt_u32_e32 11, v0
	s_cbranch_execz .LBB96_59
; %bb.56:
	v_mov_b32_e32 v1, 0
	v_mov_b32_e32 v3, 0
	v_add_nc_u32_e32 v73, -1, v0
	v_add_nc_u32_e32 v74, 0x210, v77
	v_mov_b32_e32 v2, 0
	v_mov_b32_e32 v4, 0
	v_add_nc_u32_e32 v75, 16, v77
	s_mov_b32 s5, 0
	.p2align	6
.LBB96_57:                              ; =>This Inner Loop Header: Depth=1
	s_clause 0x3
	buffer_load_dword v82, v75, s[0:3], 0 offen offset:8
	buffer_load_dword v83, v75, s[0:3], 0 offen offset:12
	buffer_load_dword v84, v75, s[0:3], 0 offen
	buffer_load_dword v85, v75, s[0:3], 0 offen offset:4
	ds_read_b128 v[78:81], v74
	v_add_nc_u32_e32 v73, 1, v73
	v_add_nc_u32_e32 v74, 16, v74
	v_add_nc_u32_e32 v75, 16, v75
	v_cmp_lt_u32_e32 vcc_lo, 9, v73
	s_or_b32 s5, vcc_lo, s5
	s_waitcnt vmcnt(2) lgkmcnt(0)
	v_mul_f64 v[86:87], v[80:81], v[82:83]
	v_mul_f64 v[82:83], v[78:79], v[82:83]
	s_waitcnt vmcnt(0)
	v_fma_f64 v[78:79], v[78:79], v[84:85], -v[86:87]
	v_fma_f64 v[80:81], v[80:81], v[84:85], v[82:83]
	v_add_f64 v[3:4], v[3:4], v[78:79]
	v_add_f64 v[1:2], v[1:2], v[80:81]
	s_andn2_b32 exec_lo, exec_lo, s5
	s_cbranch_execnz .LBB96_57
; %bb.58:
	s_or_b32 exec_lo, exec_lo, s5
	v_mov_b32_e32 v73, 0
	ds_read_b128 v[73:76], v73 offset:176
	s_waitcnt lgkmcnt(0)
	v_mul_f64 v[78:79], v[1:2], v[75:76]
	v_mul_f64 v[75:76], v[3:4], v[75:76]
	v_fma_f64 v[3:4], v[3:4], v[73:74], -v[78:79]
	v_fma_f64 v[1:2], v[1:2], v[73:74], v[75:76]
	buffer_store_dword v4, off, s[0:3], 0 offset:196
	buffer_store_dword v3, off, s[0:3], 0 offset:192
	;; [unrolled: 1-line block ×4, first 2 shown]
.LBB96_59:
	s_or_b32 exec_lo, exec_lo, s4
	v_mov_b32_e32 v4, s33
	s_waitcnt_vscnt null, 0x0
	s_barrier
	buffer_gl0_inv
	s_mov_b32 s4, exec_lo
	s_clause 0x3
	buffer_load_dword v1, v4, s[0:3], 0 offen
	buffer_load_dword v2, v4, s[0:3], 0 offen offset:4
	buffer_load_dword v3, v4, s[0:3], 0 offen offset:8
	;; [unrolled: 1-line block ×3, first 2 shown]
	s_waitcnt vmcnt(0)
	ds_write_b128 v71, v[1:4]
	s_waitcnt lgkmcnt(0)
	s_barrier
	buffer_gl0_inv
	v_cmpx_gt_u32_e32 12, v0
	s_cbranch_execz .LBB96_63
; %bb.60:
	v_mov_b32_e32 v1, 0
	v_mov_b32_e32 v3, 0
	v_add_nc_u32_e32 v73, -1, v0
	v_add_nc_u32_e32 v74, 0x210, v77
	v_mov_b32_e32 v2, 0
	v_mov_b32_e32 v4, 0
	v_add_nc_u32_e32 v75, 16, v77
	s_mov_b32 s5, 0
	.p2align	6
.LBB96_61:                              ; =>This Inner Loop Header: Depth=1
	s_clause 0x3
	buffer_load_dword v82, v75, s[0:3], 0 offen offset:8
	buffer_load_dword v83, v75, s[0:3], 0 offen offset:12
	buffer_load_dword v84, v75, s[0:3], 0 offen
	buffer_load_dword v85, v75, s[0:3], 0 offen offset:4
	ds_read_b128 v[78:81], v74
	v_add_nc_u32_e32 v73, 1, v73
	v_add_nc_u32_e32 v74, 16, v74
	;; [unrolled: 1-line block ×3, first 2 shown]
	v_cmp_lt_u32_e32 vcc_lo, 10, v73
	s_or_b32 s5, vcc_lo, s5
	s_waitcnt vmcnt(2) lgkmcnt(0)
	v_mul_f64 v[86:87], v[80:81], v[82:83]
	v_mul_f64 v[82:83], v[78:79], v[82:83]
	s_waitcnt vmcnt(0)
	v_fma_f64 v[78:79], v[78:79], v[84:85], -v[86:87]
	v_fma_f64 v[80:81], v[80:81], v[84:85], v[82:83]
	v_add_f64 v[3:4], v[3:4], v[78:79]
	v_add_f64 v[1:2], v[1:2], v[80:81]
	s_andn2_b32 exec_lo, exec_lo, s5
	s_cbranch_execnz .LBB96_61
; %bb.62:
	s_or_b32 exec_lo, exec_lo, s5
	v_mov_b32_e32 v73, 0
	ds_read_b128 v[73:76], v73 offset:192
	s_waitcnt lgkmcnt(0)
	v_mul_f64 v[78:79], v[1:2], v[75:76]
	v_mul_f64 v[75:76], v[3:4], v[75:76]
	v_fma_f64 v[3:4], v[3:4], v[73:74], -v[78:79]
	v_fma_f64 v[1:2], v[1:2], v[73:74], v[75:76]
	buffer_store_dword v4, off, s[0:3], 0 offset:212
	buffer_store_dword v3, off, s[0:3], 0 offset:208
	;; [unrolled: 1-line block ×4, first 2 shown]
.LBB96_63:
	s_or_b32 exec_lo, exec_lo, s4
	v_mov_b32_e32 v4, s31
	s_waitcnt_vscnt null, 0x0
	s_barrier
	buffer_gl0_inv
	s_mov_b32 s4, exec_lo
	s_clause 0x3
	buffer_load_dword v1, v4, s[0:3], 0 offen
	buffer_load_dword v2, v4, s[0:3], 0 offen offset:4
	buffer_load_dword v3, v4, s[0:3], 0 offen offset:8
	buffer_load_dword v4, v4, s[0:3], 0 offen offset:12
	s_waitcnt vmcnt(0)
	ds_write_b128 v71, v[1:4]
	s_waitcnt lgkmcnt(0)
	s_barrier
	buffer_gl0_inv
	v_cmpx_gt_u32_e32 13, v0
	s_cbranch_execz .LBB96_67
; %bb.64:
	v_mov_b32_e32 v1, 0
	v_mov_b32_e32 v3, 0
	v_add_nc_u32_e32 v73, -1, v0
	v_add_nc_u32_e32 v74, 0x210, v77
	v_mov_b32_e32 v2, 0
	v_mov_b32_e32 v4, 0
	v_add_nc_u32_e32 v75, 16, v77
	s_mov_b32 s5, 0
	.p2align	6
.LBB96_65:                              ; =>This Inner Loop Header: Depth=1
	s_clause 0x3
	buffer_load_dword v82, v75, s[0:3], 0 offen offset:8
	buffer_load_dword v83, v75, s[0:3], 0 offen offset:12
	buffer_load_dword v84, v75, s[0:3], 0 offen
	buffer_load_dword v85, v75, s[0:3], 0 offen offset:4
	ds_read_b128 v[78:81], v74
	v_add_nc_u32_e32 v73, 1, v73
	v_add_nc_u32_e32 v74, 16, v74
	;; [unrolled: 1-line block ×3, first 2 shown]
	v_cmp_lt_u32_e32 vcc_lo, 11, v73
	s_or_b32 s5, vcc_lo, s5
	s_waitcnt vmcnt(2) lgkmcnt(0)
	v_mul_f64 v[86:87], v[80:81], v[82:83]
	v_mul_f64 v[82:83], v[78:79], v[82:83]
	s_waitcnt vmcnt(0)
	v_fma_f64 v[78:79], v[78:79], v[84:85], -v[86:87]
	v_fma_f64 v[80:81], v[80:81], v[84:85], v[82:83]
	v_add_f64 v[3:4], v[3:4], v[78:79]
	v_add_f64 v[1:2], v[1:2], v[80:81]
	s_andn2_b32 exec_lo, exec_lo, s5
	s_cbranch_execnz .LBB96_65
; %bb.66:
	s_or_b32 exec_lo, exec_lo, s5
	v_mov_b32_e32 v73, 0
	ds_read_b128 v[73:76], v73 offset:208
	s_waitcnt lgkmcnt(0)
	v_mul_f64 v[78:79], v[1:2], v[75:76]
	v_mul_f64 v[75:76], v[3:4], v[75:76]
	v_fma_f64 v[3:4], v[3:4], v[73:74], -v[78:79]
	v_fma_f64 v[1:2], v[1:2], v[73:74], v[75:76]
	buffer_store_dword v4, off, s[0:3], 0 offset:228
	buffer_store_dword v3, off, s[0:3], 0 offset:224
	;; [unrolled: 1-line block ×4, first 2 shown]
.LBB96_67:
	s_or_b32 exec_lo, exec_lo, s4
	v_mov_b32_e32 v4, s30
	s_waitcnt_vscnt null, 0x0
	s_barrier
	buffer_gl0_inv
	s_mov_b32 s4, exec_lo
	s_clause 0x3
	buffer_load_dword v1, v4, s[0:3], 0 offen
	buffer_load_dword v2, v4, s[0:3], 0 offen offset:4
	buffer_load_dword v3, v4, s[0:3], 0 offen offset:8
	;; [unrolled: 1-line block ×3, first 2 shown]
	s_waitcnt vmcnt(0)
	ds_write_b128 v71, v[1:4]
	s_waitcnt lgkmcnt(0)
	s_barrier
	buffer_gl0_inv
	v_cmpx_gt_u32_e32 14, v0
	s_cbranch_execz .LBB96_71
; %bb.68:
	v_mov_b32_e32 v1, 0
	v_mov_b32_e32 v3, 0
	v_add_nc_u32_e32 v73, -1, v0
	v_add_nc_u32_e32 v74, 0x210, v77
	v_mov_b32_e32 v2, 0
	v_mov_b32_e32 v4, 0
	v_add_nc_u32_e32 v75, 16, v77
	s_mov_b32 s5, 0
	.p2align	6
.LBB96_69:                              ; =>This Inner Loop Header: Depth=1
	s_clause 0x3
	buffer_load_dword v82, v75, s[0:3], 0 offen offset:8
	buffer_load_dword v83, v75, s[0:3], 0 offen offset:12
	buffer_load_dword v84, v75, s[0:3], 0 offen
	buffer_load_dword v85, v75, s[0:3], 0 offen offset:4
	ds_read_b128 v[78:81], v74
	v_add_nc_u32_e32 v73, 1, v73
	v_add_nc_u32_e32 v74, 16, v74
	;; [unrolled: 1-line block ×3, first 2 shown]
	v_cmp_lt_u32_e32 vcc_lo, 12, v73
	s_or_b32 s5, vcc_lo, s5
	s_waitcnt vmcnt(2) lgkmcnt(0)
	v_mul_f64 v[86:87], v[80:81], v[82:83]
	v_mul_f64 v[82:83], v[78:79], v[82:83]
	s_waitcnt vmcnt(0)
	v_fma_f64 v[78:79], v[78:79], v[84:85], -v[86:87]
	v_fma_f64 v[80:81], v[80:81], v[84:85], v[82:83]
	v_add_f64 v[3:4], v[3:4], v[78:79]
	v_add_f64 v[1:2], v[1:2], v[80:81]
	s_andn2_b32 exec_lo, exec_lo, s5
	s_cbranch_execnz .LBB96_69
; %bb.70:
	s_or_b32 exec_lo, exec_lo, s5
	v_mov_b32_e32 v73, 0
	ds_read_b128 v[73:76], v73 offset:224
	s_waitcnt lgkmcnt(0)
	v_mul_f64 v[78:79], v[1:2], v[75:76]
	v_mul_f64 v[75:76], v[3:4], v[75:76]
	v_fma_f64 v[3:4], v[3:4], v[73:74], -v[78:79]
	v_fma_f64 v[1:2], v[1:2], v[73:74], v[75:76]
	buffer_store_dword v4, off, s[0:3], 0 offset:244
	buffer_store_dword v3, off, s[0:3], 0 offset:240
	;; [unrolled: 1-line block ×4, first 2 shown]
.LBB96_71:
	s_or_b32 exec_lo, exec_lo, s4
	v_mov_b32_e32 v4, s29
	s_waitcnt_vscnt null, 0x0
	s_barrier
	buffer_gl0_inv
	s_mov_b32 s4, exec_lo
	s_clause 0x3
	buffer_load_dword v1, v4, s[0:3], 0 offen
	buffer_load_dword v2, v4, s[0:3], 0 offen offset:4
	buffer_load_dword v3, v4, s[0:3], 0 offen offset:8
	;; [unrolled: 1-line block ×3, first 2 shown]
	s_waitcnt vmcnt(0)
	ds_write_b128 v71, v[1:4]
	s_waitcnt lgkmcnt(0)
	s_barrier
	buffer_gl0_inv
	v_cmpx_gt_u32_e32 15, v0
	s_cbranch_execz .LBB96_75
; %bb.72:
	v_mov_b32_e32 v1, 0
	v_mov_b32_e32 v3, 0
	v_add_nc_u32_e32 v73, -1, v0
	v_add_nc_u32_e32 v74, 0x210, v77
	v_mov_b32_e32 v2, 0
	v_mov_b32_e32 v4, 0
	v_add_nc_u32_e32 v75, 16, v77
	s_mov_b32 s5, 0
	.p2align	6
.LBB96_73:                              ; =>This Inner Loop Header: Depth=1
	s_clause 0x3
	buffer_load_dword v82, v75, s[0:3], 0 offen offset:8
	buffer_load_dword v83, v75, s[0:3], 0 offen offset:12
	buffer_load_dword v84, v75, s[0:3], 0 offen
	buffer_load_dword v85, v75, s[0:3], 0 offen offset:4
	ds_read_b128 v[78:81], v74
	v_add_nc_u32_e32 v73, 1, v73
	v_add_nc_u32_e32 v74, 16, v74
	;; [unrolled: 1-line block ×3, first 2 shown]
	v_cmp_lt_u32_e32 vcc_lo, 13, v73
	s_or_b32 s5, vcc_lo, s5
	s_waitcnt vmcnt(2) lgkmcnt(0)
	v_mul_f64 v[86:87], v[80:81], v[82:83]
	v_mul_f64 v[82:83], v[78:79], v[82:83]
	s_waitcnt vmcnt(0)
	v_fma_f64 v[78:79], v[78:79], v[84:85], -v[86:87]
	v_fma_f64 v[80:81], v[80:81], v[84:85], v[82:83]
	v_add_f64 v[3:4], v[3:4], v[78:79]
	v_add_f64 v[1:2], v[1:2], v[80:81]
	s_andn2_b32 exec_lo, exec_lo, s5
	s_cbranch_execnz .LBB96_73
; %bb.74:
	s_or_b32 exec_lo, exec_lo, s5
	v_mov_b32_e32 v73, 0
	ds_read_b128 v[73:76], v73 offset:240
	s_waitcnt lgkmcnt(0)
	v_mul_f64 v[78:79], v[1:2], v[75:76]
	v_mul_f64 v[75:76], v[3:4], v[75:76]
	v_fma_f64 v[3:4], v[3:4], v[73:74], -v[78:79]
	v_fma_f64 v[1:2], v[1:2], v[73:74], v[75:76]
	buffer_store_dword v4, off, s[0:3], 0 offset:260
	buffer_store_dword v3, off, s[0:3], 0 offset:256
	;; [unrolled: 1-line block ×4, first 2 shown]
.LBB96_75:
	s_or_b32 exec_lo, exec_lo, s4
	v_mov_b32_e32 v4, s28
	s_waitcnt_vscnt null, 0x0
	s_barrier
	buffer_gl0_inv
	s_mov_b32 s4, exec_lo
	s_clause 0x3
	buffer_load_dword v1, v4, s[0:3], 0 offen
	buffer_load_dword v2, v4, s[0:3], 0 offen offset:4
	buffer_load_dword v3, v4, s[0:3], 0 offen offset:8
	buffer_load_dword v4, v4, s[0:3], 0 offen offset:12
	s_waitcnt vmcnt(0)
	ds_write_b128 v71, v[1:4]
	s_waitcnt lgkmcnt(0)
	s_barrier
	buffer_gl0_inv
	v_cmpx_gt_u32_e32 16, v0
	s_cbranch_execz .LBB96_79
; %bb.76:
	v_mov_b32_e32 v1, 0
	v_mov_b32_e32 v3, 0
	v_add_nc_u32_e32 v73, -1, v0
	v_add_nc_u32_e32 v74, 0x210, v77
	v_mov_b32_e32 v2, 0
	v_mov_b32_e32 v4, 0
	v_add_nc_u32_e32 v75, 16, v77
	s_mov_b32 s5, 0
	.p2align	6
.LBB96_77:                              ; =>This Inner Loop Header: Depth=1
	s_clause 0x3
	buffer_load_dword v82, v75, s[0:3], 0 offen offset:8
	buffer_load_dword v83, v75, s[0:3], 0 offen offset:12
	buffer_load_dword v84, v75, s[0:3], 0 offen
	buffer_load_dword v85, v75, s[0:3], 0 offen offset:4
	ds_read_b128 v[78:81], v74
	v_add_nc_u32_e32 v73, 1, v73
	v_add_nc_u32_e32 v74, 16, v74
	;; [unrolled: 1-line block ×3, first 2 shown]
	v_cmp_lt_u32_e32 vcc_lo, 14, v73
	s_or_b32 s5, vcc_lo, s5
	s_waitcnt vmcnt(2) lgkmcnt(0)
	v_mul_f64 v[86:87], v[80:81], v[82:83]
	v_mul_f64 v[82:83], v[78:79], v[82:83]
	s_waitcnt vmcnt(0)
	v_fma_f64 v[78:79], v[78:79], v[84:85], -v[86:87]
	v_fma_f64 v[80:81], v[80:81], v[84:85], v[82:83]
	v_add_f64 v[3:4], v[3:4], v[78:79]
	v_add_f64 v[1:2], v[1:2], v[80:81]
	s_andn2_b32 exec_lo, exec_lo, s5
	s_cbranch_execnz .LBB96_77
; %bb.78:
	s_or_b32 exec_lo, exec_lo, s5
	v_mov_b32_e32 v73, 0
	ds_read_b128 v[73:76], v73 offset:256
	s_waitcnt lgkmcnt(0)
	v_mul_f64 v[78:79], v[1:2], v[75:76]
	v_mul_f64 v[75:76], v[3:4], v[75:76]
	v_fma_f64 v[3:4], v[3:4], v[73:74], -v[78:79]
	v_fma_f64 v[1:2], v[1:2], v[73:74], v[75:76]
	buffer_store_dword v4, off, s[0:3], 0 offset:276
	buffer_store_dword v3, off, s[0:3], 0 offset:272
	;; [unrolled: 1-line block ×4, first 2 shown]
.LBB96_79:
	s_or_b32 exec_lo, exec_lo, s4
	v_mov_b32_e32 v4, s27
	s_waitcnt_vscnt null, 0x0
	s_barrier
	buffer_gl0_inv
	s_mov_b32 s4, exec_lo
	s_clause 0x3
	buffer_load_dword v1, v4, s[0:3], 0 offen
	buffer_load_dword v2, v4, s[0:3], 0 offen offset:4
	buffer_load_dword v3, v4, s[0:3], 0 offen offset:8
	;; [unrolled: 1-line block ×3, first 2 shown]
	s_waitcnt vmcnt(0)
	ds_write_b128 v71, v[1:4]
	s_waitcnt lgkmcnt(0)
	s_barrier
	buffer_gl0_inv
	v_cmpx_gt_u32_e32 17, v0
	s_cbranch_execz .LBB96_83
; %bb.80:
	v_mov_b32_e32 v1, 0
	v_mov_b32_e32 v3, 0
	v_add_nc_u32_e32 v73, -1, v0
	v_add_nc_u32_e32 v74, 0x210, v77
	v_mov_b32_e32 v2, 0
	v_mov_b32_e32 v4, 0
	v_add_nc_u32_e32 v75, 16, v77
	s_mov_b32 s5, 0
	.p2align	6
.LBB96_81:                              ; =>This Inner Loop Header: Depth=1
	s_clause 0x3
	buffer_load_dword v82, v75, s[0:3], 0 offen offset:8
	buffer_load_dword v83, v75, s[0:3], 0 offen offset:12
	buffer_load_dword v84, v75, s[0:3], 0 offen
	buffer_load_dword v85, v75, s[0:3], 0 offen offset:4
	ds_read_b128 v[78:81], v74
	v_add_nc_u32_e32 v73, 1, v73
	v_add_nc_u32_e32 v74, 16, v74
	;; [unrolled: 1-line block ×3, first 2 shown]
	v_cmp_lt_u32_e32 vcc_lo, 15, v73
	s_or_b32 s5, vcc_lo, s5
	s_waitcnt vmcnt(2) lgkmcnt(0)
	v_mul_f64 v[86:87], v[80:81], v[82:83]
	v_mul_f64 v[82:83], v[78:79], v[82:83]
	s_waitcnt vmcnt(0)
	v_fma_f64 v[78:79], v[78:79], v[84:85], -v[86:87]
	v_fma_f64 v[80:81], v[80:81], v[84:85], v[82:83]
	v_add_f64 v[3:4], v[3:4], v[78:79]
	v_add_f64 v[1:2], v[1:2], v[80:81]
	s_andn2_b32 exec_lo, exec_lo, s5
	s_cbranch_execnz .LBB96_81
; %bb.82:
	s_or_b32 exec_lo, exec_lo, s5
	v_mov_b32_e32 v73, 0
	ds_read_b128 v[73:76], v73 offset:272
	s_waitcnt lgkmcnt(0)
	v_mul_f64 v[78:79], v[1:2], v[75:76]
	v_mul_f64 v[75:76], v[3:4], v[75:76]
	v_fma_f64 v[3:4], v[3:4], v[73:74], -v[78:79]
	v_fma_f64 v[1:2], v[1:2], v[73:74], v[75:76]
	buffer_store_dword v4, off, s[0:3], 0 offset:292
	buffer_store_dword v3, off, s[0:3], 0 offset:288
	;; [unrolled: 1-line block ×4, first 2 shown]
.LBB96_83:
	s_or_b32 exec_lo, exec_lo, s4
	v_mov_b32_e32 v4, s26
	s_waitcnt_vscnt null, 0x0
	s_barrier
	buffer_gl0_inv
	s_mov_b32 s4, exec_lo
	s_clause 0x3
	buffer_load_dword v1, v4, s[0:3], 0 offen
	buffer_load_dword v2, v4, s[0:3], 0 offen offset:4
	buffer_load_dword v3, v4, s[0:3], 0 offen offset:8
	;; [unrolled: 1-line block ×3, first 2 shown]
	s_waitcnt vmcnt(0)
	ds_write_b128 v71, v[1:4]
	s_waitcnt lgkmcnt(0)
	s_barrier
	buffer_gl0_inv
	v_cmpx_gt_u32_e32 18, v0
	s_cbranch_execz .LBB96_87
; %bb.84:
	v_mov_b32_e32 v1, 0
	v_mov_b32_e32 v3, 0
	v_add_nc_u32_e32 v73, -1, v0
	v_add_nc_u32_e32 v74, 0x210, v77
	v_mov_b32_e32 v2, 0
	v_mov_b32_e32 v4, 0
	v_add_nc_u32_e32 v75, 16, v77
	s_mov_b32 s5, 0
	.p2align	6
.LBB96_85:                              ; =>This Inner Loop Header: Depth=1
	s_clause 0x3
	buffer_load_dword v82, v75, s[0:3], 0 offen offset:8
	buffer_load_dword v83, v75, s[0:3], 0 offen offset:12
	buffer_load_dword v84, v75, s[0:3], 0 offen
	buffer_load_dword v85, v75, s[0:3], 0 offen offset:4
	ds_read_b128 v[78:81], v74
	v_add_nc_u32_e32 v73, 1, v73
	v_add_nc_u32_e32 v74, 16, v74
	;; [unrolled: 1-line block ×3, first 2 shown]
	v_cmp_lt_u32_e32 vcc_lo, 16, v73
	s_or_b32 s5, vcc_lo, s5
	s_waitcnt vmcnt(2) lgkmcnt(0)
	v_mul_f64 v[86:87], v[80:81], v[82:83]
	v_mul_f64 v[82:83], v[78:79], v[82:83]
	s_waitcnt vmcnt(0)
	v_fma_f64 v[78:79], v[78:79], v[84:85], -v[86:87]
	v_fma_f64 v[80:81], v[80:81], v[84:85], v[82:83]
	v_add_f64 v[3:4], v[3:4], v[78:79]
	v_add_f64 v[1:2], v[1:2], v[80:81]
	s_andn2_b32 exec_lo, exec_lo, s5
	s_cbranch_execnz .LBB96_85
; %bb.86:
	s_or_b32 exec_lo, exec_lo, s5
	v_mov_b32_e32 v73, 0
	ds_read_b128 v[73:76], v73 offset:288
	s_waitcnt lgkmcnt(0)
	v_mul_f64 v[78:79], v[1:2], v[75:76]
	v_mul_f64 v[75:76], v[3:4], v[75:76]
	v_fma_f64 v[3:4], v[3:4], v[73:74], -v[78:79]
	v_fma_f64 v[1:2], v[1:2], v[73:74], v[75:76]
	buffer_store_dword v4, off, s[0:3], 0 offset:308
	buffer_store_dword v3, off, s[0:3], 0 offset:304
	;; [unrolled: 1-line block ×4, first 2 shown]
.LBB96_87:
	s_or_b32 exec_lo, exec_lo, s4
	v_mov_b32_e32 v4, s25
	s_waitcnt_vscnt null, 0x0
	s_barrier
	buffer_gl0_inv
	s_mov_b32 s4, exec_lo
	s_clause 0x3
	buffer_load_dword v1, v4, s[0:3], 0 offen
	buffer_load_dword v2, v4, s[0:3], 0 offen offset:4
	buffer_load_dword v3, v4, s[0:3], 0 offen offset:8
	;; [unrolled: 1-line block ×3, first 2 shown]
	s_waitcnt vmcnt(0)
	ds_write_b128 v71, v[1:4]
	s_waitcnt lgkmcnt(0)
	s_barrier
	buffer_gl0_inv
	v_cmpx_gt_u32_e32 19, v0
	s_cbranch_execz .LBB96_91
; %bb.88:
	v_mov_b32_e32 v1, 0
	v_mov_b32_e32 v3, 0
	v_add_nc_u32_e32 v73, -1, v0
	v_add_nc_u32_e32 v74, 0x210, v77
	v_mov_b32_e32 v2, 0
	v_mov_b32_e32 v4, 0
	v_add_nc_u32_e32 v75, 16, v77
	s_mov_b32 s5, 0
	.p2align	6
.LBB96_89:                              ; =>This Inner Loop Header: Depth=1
	s_clause 0x3
	buffer_load_dword v82, v75, s[0:3], 0 offen offset:8
	buffer_load_dword v83, v75, s[0:3], 0 offen offset:12
	buffer_load_dword v84, v75, s[0:3], 0 offen
	buffer_load_dword v85, v75, s[0:3], 0 offen offset:4
	ds_read_b128 v[78:81], v74
	v_add_nc_u32_e32 v73, 1, v73
	v_add_nc_u32_e32 v74, 16, v74
	;; [unrolled: 1-line block ×3, first 2 shown]
	v_cmp_lt_u32_e32 vcc_lo, 17, v73
	s_or_b32 s5, vcc_lo, s5
	s_waitcnt vmcnt(2) lgkmcnt(0)
	v_mul_f64 v[86:87], v[80:81], v[82:83]
	v_mul_f64 v[82:83], v[78:79], v[82:83]
	s_waitcnt vmcnt(0)
	v_fma_f64 v[78:79], v[78:79], v[84:85], -v[86:87]
	v_fma_f64 v[80:81], v[80:81], v[84:85], v[82:83]
	v_add_f64 v[3:4], v[3:4], v[78:79]
	v_add_f64 v[1:2], v[1:2], v[80:81]
	s_andn2_b32 exec_lo, exec_lo, s5
	s_cbranch_execnz .LBB96_89
; %bb.90:
	s_or_b32 exec_lo, exec_lo, s5
	v_mov_b32_e32 v73, 0
	ds_read_b128 v[73:76], v73 offset:304
	s_waitcnt lgkmcnt(0)
	v_mul_f64 v[78:79], v[1:2], v[75:76]
	v_mul_f64 v[75:76], v[3:4], v[75:76]
	v_fma_f64 v[3:4], v[3:4], v[73:74], -v[78:79]
	v_fma_f64 v[1:2], v[1:2], v[73:74], v[75:76]
	buffer_store_dword v4, off, s[0:3], 0 offset:324
	buffer_store_dword v3, off, s[0:3], 0 offset:320
	;; [unrolled: 1-line block ×4, first 2 shown]
.LBB96_91:
	s_or_b32 exec_lo, exec_lo, s4
	v_mov_b32_e32 v4, s24
	s_waitcnt_vscnt null, 0x0
	s_barrier
	buffer_gl0_inv
	s_mov_b32 s4, exec_lo
	s_clause 0x3
	buffer_load_dword v1, v4, s[0:3], 0 offen
	buffer_load_dword v2, v4, s[0:3], 0 offen offset:4
	buffer_load_dword v3, v4, s[0:3], 0 offen offset:8
	;; [unrolled: 1-line block ×3, first 2 shown]
	s_waitcnt vmcnt(0)
	ds_write_b128 v71, v[1:4]
	s_waitcnt lgkmcnt(0)
	s_barrier
	buffer_gl0_inv
	v_cmpx_gt_u32_e32 20, v0
	s_cbranch_execz .LBB96_95
; %bb.92:
	v_mov_b32_e32 v1, 0
	v_mov_b32_e32 v3, 0
	v_add_nc_u32_e32 v73, -1, v0
	v_add_nc_u32_e32 v74, 0x210, v77
	v_mov_b32_e32 v2, 0
	v_mov_b32_e32 v4, 0
	v_add_nc_u32_e32 v75, 16, v77
	s_mov_b32 s5, 0
	.p2align	6
.LBB96_93:                              ; =>This Inner Loop Header: Depth=1
	s_clause 0x3
	buffer_load_dword v82, v75, s[0:3], 0 offen offset:8
	buffer_load_dword v83, v75, s[0:3], 0 offen offset:12
	buffer_load_dword v84, v75, s[0:3], 0 offen
	buffer_load_dword v85, v75, s[0:3], 0 offen offset:4
	ds_read_b128 v[78:81], v74
	v_add_nc_u32_e32 v73, 1, v73
	v_add_nc_u32_e32 v74, 16, v74
	;; [unrolled: 1-line block ×3, first 2 shown]
	v_cmp_lt_u32_e32 vcc_lo, 18, v73
	s_or_b32 s5, vcc_lo, s5
	s_waitcnt vmcnt(2) lgkmcnt(0)
	v_mul_f64 v[86:87], v[80:81], v[82:83]
	v_mul_f64 v[82:83], v[78:79], v[82:83]
	s_waitcnt vmcnt(0)
	v_fma_f64 v[78:79], v[78:79], v[84:85], -v[86:87]
	v_fma_f64 v[80:81], v[80:81], v[84:85], v[82:83]
	v_add_f64 v[3:4], v[3:4], v[78:79]
	v_add_f64 v[1:2], v[1:2], v[80:81]
	s_andn2_b32 exec_lo, exec_lo, s5
	s_cbranch_execnz .LBB96_93
; %bb.94:
	s_or_b32 exec_lo, exec_lo, s5
	v_mov_b32_e32 v73, 0
	ds_read_b128 v[73:76], v73 offset:320
	s_waitcnt lgkmcnt(0)
	v_mul_f64 v[78:79], v[1:2], v[75:76]
	v_mul_f64 v[75:76], v[3:4], v[75:76]
	v_fma_f64 v[3:4], v[3:4], v[73:74], -v[78:79]
	v_fma_f64 v[1:2], v[1:2], v[73:74], v[75:76]
	buffer_store_dword v4, off, s[0:3], 0 offset:340
	buffer_store_dword v3, off, s[0:3], 0 offset:336
	;; [unrolled: 1-line block ×4, first 2 shown]
.LBB96_95:
	s_or_b32 exec_lo, exec_lo, s4
	v_mov_b32_e32 v4, s23
	s_waitcnt_vscnt null, 0x0
	s_barrier
	buffer_gl0_inv
	s_mov_b32 s4, exec_lo
	s_clause 0x3
	buffer_load_dword v1, v4, s[0:3], 0 offen
	buffer_load_dword v2, v4, s[0:3], 0 offen offset:4
	buffer_load_dword v3, v4, s[0:3], 0 offen offset:8
	;; [unrolled: 1-line block ×3, first 2 shown]
	s_waitcnt vmcnt(0)
	ds_write_b128 v71, v[1:4]
	s_waitcnt lgkmcnt(0)
	s_barrier
	buffer_gl0_inv
	v_cmpx_gt_u32_e32 21, v0
	s_cbranch_execz .LBB96_99
; %bb.96:
	v_mov_b32_e32 v1, 0
	v_mov_b32_e32 v3, 0
	v_add_nc_u32_e32 v73, -1, v0
	v_add_nc_u32_e32 v74, 0x210, v77
	v_mov_b32_e32 v2, 0
	v_mov_b32_e32 v4, 0
	v_add_nc_u32_e32 v75, 16, v77
	s_mov_b32 s5, 0
	.p2align	6
.LBB96_97:                              ; =>This Inner Loop Header: Depth=1
	s_clause 0x3
	buffer_load_dword v82, v75, s[0:3], 0 offen offset:8
	buffer_load_dword v83, v75, s[0:3], 0 offen offset:12
	buffer_load_dword v84, v75, s[0:3], 0 offen
	buffer_load_dword v85, v75, s[0:3], 0 offen offset:4
	ds_read_b128 v[78:81], v74
	v_add_nc_u32_e32 v73, 1, v73
	v_add_nc_u32_e32 v74, 16, v74
	;; [unrolled: 1-line block ×3, first 2 shown]
	v_cmp_lt_u32_e32 vcc_lo, 19, v73
	s_or_b32 s5, vcc_lo, s5
	s_waitcnt vmcnt(2) lgkmcnt(0)
	v_mul_f64 v[86:87], v[80:81], v[82:83]
	v_mul_f64 v[82:83], v[78:79], v[82:83]
	s_waitcnt vmcnt(0)
	v_fma_f64 v[78:79], v[78:79], v[84:85], -v[86:87]
	v_fma_f64 v[80:81], v[80:81], v[84:85], v[82:83]
	v_add_f64 v[3:4], v[3:4], v[78:79]
	v_add_f64 v[1:2], v[1:2], v[80:81]
	s_andn2_b32 exec_lo, exec_lo, s5
	s_cbranch_execnz .LBB96_97
; %bb.98:
	s_or_b32 exec_lo, exec_lo, s5
	v_mov_b32_e32 v73, 0
	ds_read_b128 v[73:76], v73 offset:336
	s_waitcnt lgkmcnt(0)
	v_mul_f64 v[78:79], v[1:2], v[75:76]
	v_mul_f64 v[75:76], v[3:4], v[75:76]
	v_fma_f64 v[3:4], v[3:4], v[73:74], -v[78:79]
	v_fma_f64 v[1:2], v[1:2], v[73:74], v[75:76]
	buffer_store_dword v4, off, s[0:3], 0 offset:356
	buffer_store_dword v3, off, s[0:3], 0 offset:352
	;; [unrolled: 1-line block ×4, first 2 shown]
.LBB96_99:
	s_or_b32 exec_lo, exec_lo, s4
	v_mov_b32_e32 v4, s22
	s_waitcnt_vscnt null, 0x0
	s_barrier
	buffer_gl0_inv
	s_mov_b32 s4, exec_lo
	s_clause 0x3
	buffer_load_dword v1, v4, s[0:3], 0 offen
	buffer_load_dword v2, v4, s[0:3], 0 offen offset:4
	buffer_load_dword v3, v4, s[0:3], 0 offen offset:8
	;; [unrolled: 1-line block ×3, first 2 shown]
	s_waitcnt vmcnt(0)
	ds_write_b128 v71, v[1:4]
	s_waitcnt lgkmcnt(0)
	s_barrier
	buffer_gl0_inv
	v_cmpx_gt_u32_e32 22, v0
	s_cbranch_execz .LBB96_103
; %bb.100:
	v_mov_b32_e32 v1, 0
	v_mov_b32_e32 v3, 0
	v_add_nc_u32_e32 v73, -1, v0
	v_add_nc_u32_e32 v74, 0x210, v77
	v_mov_b32_e32 v2, 0
	v_mov_b32_e32 v4, 0
	v_add_nc_u32_e32 v75, 16, v77
	s_mov_b32 s5, 0
	.p2align	6
.LBB96_101:                             ; =>This Inner Loop Header: Depth=1
	s_clause 0x3
	buffer_load_dword v82, v75, s[0:3], 0 offen offset:8
	buffer_load_dword v83, v75, s[0:3], 0 offen offset:12
	buffer_load_dword v84, v75, s[0:3], 0 offen
	buffer_load_dword v85, v75, s[0:3], 0 offen offset:4
	ds_read_b128 v[78:81], v74
	v_add_nc_u32_e32 v73, 1, v73
	v_add_nc_u32_e32 v74, 16, v74
	v_add_nc_u32_e32 v75, 16, v75
	v_cmp_lt_u32_e32 vcc_lo, 20, v73
	s_or_b32 s5, vcc_lo, s5
	s_waitcnt vmcnt(2) lgkmcnt(0)
	v_mul_f64 v[86:87], v[80:81], v[82:83]
	v_mul_f64 v[82:83], v[78:79], v[82:83]
	s_waitcnt vmcnt(0)
	v_fma_f64 v[78:79], v[78:79], v[84:85], -v[86:87]
	v_fma_f64 v[80:81], v[80:81], v[84:85], v[82:83]
	v_add_f64 v[3:4], v[3:4], v[78:79]
	v_add_f64 v[1:2], v[1:2], v[80:81]
	s_andn2_b32 exec_lo, exec_lo, s5
	s_cbranch_execnz .LBB96_101
; %bb.102:
	s_or_b32 exec_lo, exec_lo, s5
	v_mov_b32_e32 v73, 0
	ds_read_b128 v[73:76], v73 offset:352
	s_waitcnt lgkmcnt(0)
	v_mul_f64 v[78:79], v[1:2], v[75:76]
	v_mul_f64 v[75:76], v[3:4], v[75:76]
	v_fma_f64 v[3:4], v[3:4], v[73:74], -v[78:79]
	v_fma_f64 v[1:2], v[1:2], v[73:74], v[75:76]
	buffer_store_dword v4, off, s[0:3], 0 offset:372
	buffer_store_dword v3, off, s[0:3], 0 offset:368
	;; [unrolled: 1-line block ×4, first 2 shown]
.LBB96_103:
	s_or_b32 exec_lo, exec_lo, s4
	v_mov_b32_e32 v4, s21
	s_waitcnt_vscnt null, 0x0
	s_barrier
	buffer_gl0_inv
	s_mov_b32 s4, exec_lo
	s_clause 0x3
	buffer_load_dword v1, v4, s[0:3], 0 offen
	buffer_load_dword v2, v4, s[0:3], 0 offen offset:4
	buffer_load_dword v3, v4, s[0:3], 0 offen offset:8
	;; [unrolled: 1-line block ×3, first 2 shown]
	s_waitcnt vmcnt(0)
	ds_write_b128 v71, v[1:4]
	s_waitcnt lgkmcnt(0)
	s_barrier
	buffer_gl0_inv
	v_cmpx_gt_u32_e32 23, v0
	s_cbranch_execz .LBB96_107
; %bb.104:
	v_mov_b32_e32 v1, 0
	v_mov_b32_e32 v3, 0
	v_add_nc_u32_e32 v73, -1, v0
	v_add_nc_u32_e32 v74, 0x210, v77
	v_mov_b32_e32 v2, 0
	v_mov_b32_e32 v4, 0
	v_add_nc_u32_e32 v75, 16, v77
	s_mov_b32 s5, 0
	.p2align	6
.LBB96_105:                             ; =>This Inner Loop Header: Depth=1
	s_clause 0x3
	buffer_load_dword v82, v75, s[0:3], 0 offen offset:8
	buffer_load_dword v83, v75, s[0:3], 0 offen offset:12
	buffer_load_dword v84, v75, s[0:3], 0 offen
	buffer_load_dword v85, v75, s[0:3], 0 offen offset:4
	ds_read_b128 v[78:81], v74
	v_add_nc_u32_e32 v73, 1, v73
	v_add_nc_u32_e32 v74, 16, v74
	;; [unrolled: 1-line block ×3, first 2 shown]
	v_cmp_lt_u32_e32 vcc_lo, 21, v73
	s_or_b32 s5, vcc_lo, s5
	s_waitcnt vmcnt(2) lgkmcnt(0)
	v_mul_f64 v[86:87], v[80:81], v[82:83]
	v_mul_f64 v[82:83], v[78:79], v[82:83]
	s_waitcnt vmcnt(0)
	v_fma_f64 v[78:79], v[78:79], v[84:85], -v[86:87]
	v_fma_f64 v[80:81], v[80:81], v[84:85], v[82:83]
	v_add_f64 v[3:4], v[3:4], v[78:79]
	v_add_f64 v[1:2], v[1:2], v[80:81]
	s_andn2_b32 exec_lo, exec_lo, s5
	s_cbranch_execnz .LBB96_105
; %bb.106:
	s_or_b32 exec_lo, exec_lo, s5
	v_mov_b32_e32 v73, 0
	ds_read_b128 v[73:76], v73 offset:368
	s_waitcnt lgkmcnt(0)
	v_mul_f64 v[78:79], v[1:2], v[75:76]
	v_mul_f64 v[75:76], v[3:4], v[75:76]
	v_fma_f64 v[3:4], v[3:4], v[73:74], -v[78:79]
	v_fma_f64 v[1:2], v[1:2], v[73:74], v[75:76]
	buffer_store_dword v4, off, s[0:3], 0 offset:388
	buffer_store_dword v3, off, s[0:3], 0 offset:384
	;; [unrolled: 1-line block ×4, first 2 shown]
.LBB96_107:
	s_or_b32 exec_lo, exec_lo, s4
	v_mov_b32_e32 v4, s20
	s_waitcnt_vscnt null, 0x0
	s_barrier
	buffer_gl0_inv
	s_mov_b32 s4, exec_lo
	s_clause 0x3
	buffer_load_dword v1, v4, s[0:3], 0 offen
	buffer_load_dword v2, v4, s[0:3], 0 offen offset:4
	buffer_load_dword v3, v4, s[0:3], 0 offen offset:8
	;; [unrolled: 1-line block ×3, first 2 shown]
	s_waitcnt vmcnt(0)
	ds_write_b128 v71, v[1:4]
	s_waitcnt lgkmcnt(0)
	s_barrier
	buffer_gl0_inv
	v_cmpx_gt_u32_e32 24, v0
	s_cbranch_execz .LBB96_111
; %bb.108:
	v_mov_b32_e32 v1, 0
	v_mov_b32_e32 v3, 0
	v_add_nc_u32_e32 v73, -1, v0
	v_add_nc_u32_e32 v74, 0x210, v77
	v_mov_b32_e32 v2, 0
	v_mov_b32_e32 v4, 0
	v_add_nc_u32_e32 v75, 16, v77
	s_mov_b32 s5, 0
	.p2align	6
.LBB96_109:                             ; =>This Inner Loop Header: Depth=1
	s_clause 0x3
	buffer_load_dword v82, v75, s[0:3], 0 offen offset:8
	buffer_load_dword v83, v75, s[0:3], 0 offen offset:12
	buffer_load_dword v84, v75, s[0:3], 0 offen
	buffer_load_dword v85, v75, s[0:3], 0 offen offset:4
	ds_read_b128 v[78:81], v74
	v_add_nc_u32_e32 v73, 1, v73
	v_add_nc_u32_e32 v74, 16, v74
	;; [unrolled: 1-line block ×3, first 2 shown]
	v_cmp_lt_u32_e32 vcc_lo, 22, v73
	s_or_b32 s5, vcc_lo, s5
	s_waitcnt vmcnt(2) lgkmcnt(0)
	v_mul_f64 v[86:87], v[80:81], v[82:83]
	v_mul_f64 v[82:83], v[78:79], v[82:83]
	s_waitcnt vmcnt(0)
	v_fma_f64 v[78:79], v[78:79], v[84:85], -v[86:87]
	v_fma_f64 v[80:81], v[80:81], v[84:85], v[82:83]
	v_add_f64 v[3:4], v[3:4], v[78:79]
	v_add_f64 v[1:2], v[1:2], v[80:81]
	s_andn2_b32 exec_lo, exec_lo, s5
	s_cbranch_execnz .LBB96_109
; %bb.110:
	s_or_b32 exec_lo, exec_lo, s5
	v_mov_b32_e32 v73, 0
	ds_read_b128 v[73:76], v73 offset:384
	s_waitcnt lgkmcnt(0)
	v_mul_f64 v[78:79], v[1:2], v[75:76]
	v_mul_f64 v[75:76], v[3:4], v[75:76]
	v_fma_f64 v[3:4], v[3:4], v[73:74], -v[78:79]
	v_fma_f64 v[1:2], v[1:2], v[73:74], v[75:76]
	buffer_store_dword v4, off, s[0:3], 0 offset:404
	buffer_store_dword v3, off, s[0:3], 0 offset:400
	;; [unrolled: 1-line block ×4, first 2 shown]
.LBB96_111:
	s_or_b32 exec_lo, exec_lo, s4
	v_mov_b32_e32 v4, s19
	s_waitcnt_vscnt null, 0x0
	s_barrier
	buffer_gl0_inv
	s_mov_b32 s4, exec_lo
	s_clause 0x3
	buffer_load_dword v1, v4, s[0:3], 0 offen
	buffer_load_dword v2, v4, s[0:3], 0 offen offset:4
	buffer_load_dword v3, v4, s[0:3], 0 offen offset:8
	;; [unrolled: 1-line block ×3, first 2 shown]
	s_waitcnt vmcnt(0)
	ds_write_b128 v71, v[1:4]
	s_waitcnt lgkmcnt(0)
	s_barrier
	buffer_gl0_inv
	v_cmpx_gt_u32_e32 25, v0
	s_cbranch_execz .LBB96_115
; %bb.112:
	v_mov_b32_e32 v1, 0
	v_mov_b32_e32 v3, 0
	v_add_nc_u32_e32 v73, -1, v0
	v_add_nc_u32_e32 v74, 0x210, v77
	v_mov_b32_e32 v2, 0
	v_mov_b32_e32 v4, 0
	v_add_nc_u32_e32 v75, 16, v77
	s_mov_b32 s5, 0
	.p2align	6
.LBB96_113:                             ; =>This Inner Loop Header: Depth=1
	s_clause 0x3
	buffer_load_dword v82, v75, s[0:3], 0 offen offset:8
	buffer_load_dword v83, v75, s[0:3], 0 offen offset:12
	buffer_load_dword v84, v75, s[0:3], 0 offen
	buffer_load_dword v85, v75, s[0:3], 0 offen offset:4
	ds_read_b128 v[78:81], v74
	v_add_nc_u32_e32 v73, 1, v73
	v_add_nc_u32_e32 v74, 16, v74
	;; [unrolled: 1-line block ×3, first 2 shown]
	v_cmp_lt_u32_e32 vcc_lo, 23, v73
	s_or_b32 s5, vcc_lo, s5
	s_waitcnt vmcnt(2) lgkmcnt(0)
	v_mul_f64 v[86:87], v[80:81], v[82:83]
	v_mul_f64 v[82:83], v[78:79], v[82:83]
	s_waitcnt vmcnt(0)
	v_fma_f64 v[78:79], v[78:79], v[84:85], -v[86:87]
	v_fma_f64 v[80:81], v[80:81], v[84:85], v[82:83]
	v_add_f64 v[3:4], v[3:4], v[78:79]
	v_add_f64 v[1:2], v[1:2], v[80:81]
	s_andn2_b32 exec_lo, exec_lo, s5
	s_cbranch_execnz .LBB96_113
; %bb.114:
	s_or_b32 exec_lo, exec_lo, s5
	v_mov_b32_e32 v73, 0
	ds_read_b128 v[73:76], v73 offset:400
	s_waitcnt lgkmcnt(0)
	v_mul_f64 v[78:79], v[1:2], v[75:76]
	v_mul_f64 v[75:76], v[3:4], v[75:76]
	v_fma_f64 v[3:4], v[3:4], v[73:74], -v[78:79]
	v_fma_f64 v[1:2], v[1:2], v[73:74], v[75:76]
	buffer_store_dword v4, off, s[0:3], 0 offset:420
	buffer_store_dword v3, off, s[0:3], 0 offset:416
	;; [unrolled: 1-line block ×4, first 2 shown]
.LBB96_115:
	s_or_b32 exec_lo, exec_lo, s4
	v_mov_b32_e32 v4, s18
	s_waitcnt_vscnt null, 0x0
	s_barrier
	buffer_gl0_inv
	s_mov_b32 s4, exec_lo
	s_clause 0x3
	buffer_load_dword v1, v4, s[0:3], 0 offen
	buffer_load_dword v2, v4, s[0:3], 0 offen offset:4
	buffer_load_dword v3, v4, s[0:3], 0 offen offset:8
	;; [unrolled: 1-line block ×3, first 2 shown]
	s_waitcnt vmcnt(0)
	ds_write_b128 v71, v[1:4]
	s_waitcnt lgkmcnt(0)
	s_barrier
	buffer_gl0_inv
	v_cmpx_gt_u32_e32 26, v0
	s_cbranch_execz .LBB96_119
; %bb.116:
	v_mov_b32_e32 v1, 0
	v_mov_b32_e32 v3, 0
	v_add_nc_u32_e32 v73, -1, v0
	v_add_nc_u32_e32 v74, 0x210, v77
	v_mov_b32_e32 v2, 0
	v_mov_b32_e32 v4, 0
	v_add_nc_u32_e32 v75, 16, v77
	s_mov_b32 s5, 0
	.p2align	6
.LBB96_117:                             ; =>This Inner Loop Header: Depth=1
	s_clause 0x3
	buffer_load_dword v82, v75, s[0:3], 0 offen offset:8
	buffer_load_dword v83, v75, s[0:3], 0 offen offset:12
	buffer_load_dword v84, v75, s[0:3], 0 offen
	buffer_load_dword v85, v75, s[0:3], 0 offen offset:4
	ds_read_b128 v[78:81], v74
	v_add_nc_u32_e32 v73, 1, v73
	v_add_nc_u32_e32 v74, 16, v74
	;; [unrolled: 1-line block ×3, first 2 shown]
	v_cmp_lt_u32_e32 vcc_lo, 24, v73
	s_or_b32 s5, vcc_lo, s5
	s_waitcnt vmcnt(2) lgkmcnt(0)
	v_mul_f64 v[86:87], v[80:81], v[82:83]
	v_mul_f64 v[82:83], v[78:79], v[82:83]
	s_waitcnt vmcnt(0)
	v_fma_f64 v[78:79], v[78:79], v[84:85], -v[86:87]
	v_fma_f64 v[80:81], v[80:81], v[84:85], v[82:83]
	v_add_f64 v[3:4], v[3:4], v[78:79]
	v_add_f64 v[1:2], v[1:2], v[80:81]
	s_andn2_b32 exec_lo, exec_lo, s5
	s_cbranch_execnz .LBB96_117
; %bb.118:
	s_or_b32 exec_lo, exec_lo, s5
	v_mov_b32_e32 v73, 0
	ds_read_b128 v[73:76], v73 offset:416
	s_waitcnt lgkmcnt(0)
	v_mul_f64 v[78:79], v[1:2], v[75:76]
	v_mul_f64 v[75:76], v[3:4], v[75:76]
	v_fma_f64 v[3:4], v[3:4], v[73:74], -v[78:79]
	v_fma_f64 v[1:2], v[1:2], v[73:74], v[75:76]
	buffer_store_dword v4, off, s[0:3], 0 offset:436
	buffer_store_dword v3, off, s[0:3], 0 offset:432
	;; [unrolled: 1-line block ×4, first 2 shown]
.LBB96_119:
	s_or_b32 exec_lo, exec_lo, s4
	v_mov_b32_e32 v4, s17
	s_waitcnt_vscnt null, 0x0
	s_barrier
	buffer_gl0_inv
	s_mov_b32 s4, exec_lo
	s_clause 0x3
	buffer_load_dword v1, v4, s[0:3], 0 offen
	buffer_load_dword v2, v4, s[0:3], 0 offen offset:4
	buffer_load_dword v3, v4, s[0:3], 0 offen offset:8
	;; [unrolled: 1-line block ×3, first 2 shown]
	s_waitcnt vmcnt(0)
	ds_write_b128 v71, v[1:4]
	s_waitcnt lgkmcnt(0)
	s_barrier
	buffer_gl0_inv
	v_cmpx_gt_u32_e32 27, v0
	s_cbranch_execz .LBB96_123
; %bb.120:
	v_mov_b32_e32 v1, 0
	v_mov_b32_e32 v3, 0
	v_add_nc_u32_e32 v73, -1, v0
	v_add_nc_u32_e32 v74, 0x210, v77
	v_mov_b32_e32 v2, 0
	v_mov_b32_e32 v4, 0
	v_add_nc_u32_e32 v75, 16, v77
	s_mov_b32 s5, 0
	.p2align	6
.LBB96_121:                             ; =>This Inner Loop Header: Depth=1
	s_clause 0x3
	buffer_load_dword v82, v75, s[0:3], 0 offen offset:8
	buffer_load_dword v83, v75, s[0:3], 0 offen offset:12
	buffer_load_dword v84, v75, s[0:3], 0 offen
	buffer_load_dword v85, v75, s[0:3], 0 offen offset:4
	ds_read_b128 v[78:81], v74
	v_add_nc_u32_e32 v73, 1, v73
	v_add_nc_u32_e32 v74, 16, v74
	;; [unrolled: 1-line block ×3, first 2 shown]
	v_cmp_lt_u32_e32 vcc_lo, 25, v73
	s_or_b32 s5, vcc_lo, s5
	s_waitcnt vmcnt(2) lgkmcnt(0)
	v_mul_f64 v[86:87], v[80:81], v[82:83]
	v_mul_f64 v[82:83], v[78:79], v[82:83]
	s_waitcnt vmcnt(0)
	v_fma_f64 v[78:79], v[78:79], v[84:85], -v[86:87]
	v_fma_f64 v[80:81], v[80:81], v[84:85], v[82:83]
	v_add_f64 v[3:4], v[3:4], v[78:79]
	v_add_f64 v[1:2], v[1:2], v[80:81]
	s_andn2_b32 exec_lo, exec_lo, s5
	s_cbranch_execnz .LBB96_121
; %bb.122:
	s_or_b32 exec_lo, exec_lo, s5
	v_mov_b32_e32 v73, 0
	ds_read_b128 v[73:76], v73 offset:432
	s_waitcnt lgkmcnt(0)
	v_mul_f64 v[78:79], v[1:2], v[75:76]
	v_mul_f64 v[75:76], v[3:4], v[75:76]
	v_fma_f64 v[3:4], v[3:4], v[73:74], -v[78:79]
	v_fma_f64 v[1:2], v[1:2], v[73:74], v[75:76]
	buffer_store_dword v4, off, s[0:3], 0 offset:452
	buffer_store_dword v3, off, s[0:3], 0 offset:448
	;; [unrolled: 1-line block ×4, first 2 shown]
.LBB96_123:
	s_or_b32 exec_lo, exec_lo, s4
	v_mov_b32_e32 v4, s16
	s_waitcnt_vscnt null, 0x0
	s_barrier
	buffer_gl0_inv
	s_mov_b32 s4, exec_lo
	s_clause 0x3
	buffer_load_dword v1, v4, s[0:3], 0 offen
	buffer_load_dword v2, v4, s[0:3], 0 offen offset:4
	buffer_load_dword v3, v4, s[0:3], 0 offen offset:8
	;; [unrolled: 1-line block ×3, first 2 shown]
	s_waitcnt vmcnt(0)
	ds_write_b128 v71, v[1:4]
	s_waitcnt lgkmcnt(0)
	s_barrier
	buffer_gl0_inv
	v_cmpx_gt_u32_e32 28, v0
	s_cbranch_execz .LBB96_127
; %bb.124:
	v_mov_b32_e32 v1, 0
	v_mov_b32_e32 v3, 0
	v_add_nc_u32_e32 v73, -1, v0
	v_add_nc_u32_e32 v74, 0x210, v77
	v_mov_b32_e32 v2, 0
	v_mov_b32_e32 v4, 0
	v_add_nc_u32_e32 v75, 16, v77
	s_mov_b32 s5, 0
	.p2align	6
.LBB96_125:                             ; =>This Inner Loop Header: Depth=1
	s_clause 0x3
	buffer_load_dword v82, v75, s[0:3], 0 offen offset:8
	buffer_load_dword v83, v75, s[0:3], 0 offen offset:12
	buffer_load_dword v84, v75, s[0:3], 0 offen
	buffer_load_dword v85, v75, s[0:3], 0 offen offset:4
	ds_read_b128 v[78:81], v74
	v_add_nc_u32_e32 v73, 1, v73
	v_add_nc_u32_e32 v74, 16, v74
	;; [unrolled: 1-line block ×3, first 2 shown]
	v_cmp_lt_u32_e32 vcc_lo, 26, v73
	s_or_b32 s5, vcc_lo, s5
	s_waitcnt vmcnt(2) lgkmcnt(0)
	v_mul_f64 v[86:87], v[80:81], v[82:83]
	v_mul_f64 v[82:83], v[78:79], v[82:83]
	s_waitcnt vmcnt(0)
	v_fma_f64 v[78:79], v[78:79], v[84:85], -v[86:87]
	v_fma_f64 v[80:81], v[80:81], v[84:85], v[82:83]
	v_add_f64 v[3:4], v[3:4], v[78:79]
	v_add_f64 v[1:2], v[1:2], v[80:81]
	s_andn2_b32 exec_lo, exec_lo, s5
	s_cbranch_execnz .LBB96_125
; %bb.126:
	s_or_b32 exec_lo, exec_lo, s5
	v_mov_b32_e32 v73, 0
	ds_read_b128 v[73:76], v73 offset:448
	s_waitcnt lgkmcnt(0)
	v_mul_f64 v[78:79], v[1:2], v[75:76]
	v_mul_f64 v[75:76], v[3:4], v[75:76]
	v_fma_f64 v[3:4], v[3:4], v[73:74], -v[78:79]
	v_fma_f64 v[1:2], v[1:2], v[73:74], v[75:76]
	buffer_store_dword v4, off, s[0:3], 0 offset:468
	buffer_store_dword v3, off, s[0:3], 0 offset:464
	;; [unrolled: 1-line block ×4, first 2 shown]
.LBB96_127:
	s_or_b32 exec_lo, exec_lo, s4
	v_mov_b32_e32 v4, s15
	s_waitcnt_vscnt null, 0x0
	s_barrier
	buffer_gl0_inv
	s_mov_b32 s4, exec_lo
	s_clause 0x3
	buffer_load_dword v1, v4, s[0:3], 0 offen
	buffer_load_dword v2, v4, s[0:3], 0 offen offset:4
	buffer_load_dword v3, v4, s[0:3], 0 offen offset:8
	;; [unrolled: 1-line block ×3, first 2 shown]
	s_waitcnt vmcnt(0)
	ds_write_b128 v71, v[1:4]
	s_waitcnt lgkmcnt(0)
	s_barrier
	buffer_gl0_inv
	v_cmpx_gt_u32_e32 29, v0
	s_cbranch_execz .LBB96_131
; %bb.128:
	v_mov_b32_e32 v1, 0
	v_mov_b32_e32 v3, 0
	v_add_nc_u32_e32 v73, -1, v0
	v_add_nc_u32_e32 v74, 0x210, v77
	v_mov_b32_e32 v2, 0
	v_mov_b32_e32 v4, 0
	v_add_nc_u32_e32 v75, 16, v77
	s_mov_b32 s5, 0
	.p2align	6
.LBB96_129:                             ; =>This Inner Loop Header: Depth=1
	s_clause 0x3
	buffer_load_dword v82, v75, s[0:3], 0 offen offset:8
	buffer_load_dword v83, v75, s[0:3], 0 offen offset:12
	buffer_load_dword v84, v75, s[0:3], 0 offen
	buffer_load_dword v85, v75, s[0:3], 0 offen offset:4
	ds_read_b128 v[78:81], v74
	v_add_nc_u32_e32 v73, 1, v73
	v_add_nc_u32_e32 v74, 16, v74
	;; [unrolled: 1-line block ×3, first 2 shown]
	v_cmp_lt_u32_e32 vcc_lo, 27, v73
	s_or_b32 s5, vcc_lo, s5
	s_waitcnt vmcnt(2) lgkmcnt(0)
	v_mul_f64 v[86:87], v[80:81], v[82:83]
	v_mul_f64 v[82:83], v[78:79], v[82:83]
	s_waitcnt vmcnt(0)
	v_fma_f64 v[78:79], v[78:79], v[84:85], -v[86:87]
	v_fma_f64 v[80:81], v[80:81], v[84:85], v[82:83]
	v_add_f64 v[3:4], v[3:4], v[78:79]
	v_add_f64 v[1:2], v[1:2], v[80:81]
	s_andn2_b32 exec_lo, exec_lo, s5
	s_cbranch_execnz .LBB96_129
; %bb.130:
	s_or_b32 exec_lo, exec_lo, s5
	v_mov_b32_e32 v73, 0
	ds_read_b128 v[73:76], v73 offset:464
	s_waitcnt lgkmcnt(0)
	v_mul_f64 v[78:79], v[1:2], v[75:76]
	v_mul_f64 v[75:76], v[3:4], v[75:76]
	v_fma_f64 v[3:4], v[3:4], v[73:74], -v[78:79]
	v_fma_f64 v[1:2], v[1:2], v[73:74], v[75:76]
	buffer_store_dword v4, off, s[0:3], 0 offset:484
	buffer_store_dword v3, off, s[0:3], 0 offset:480
	;; [unrolled: 1-line block ×4, first 2 shown]
.LBB96_131:
	s_or_b32 exec_lo, exec_lo, s4
	v_mov_b32_e32 v4, s14
	s_waitcnt_vscnt null, 0x0
	s_barrier
	buffer_gl0_inv
	s_mov_b32 s4, exec_lo
	s_clause 0x3
	buffer_load_dword v1, v4, s[0:3], 0 offen
	buffer_load_dword v2, v4, s[0:3], 0 offen offset:4
	buffer_load_dword v3, v4, s[0:3], 0 offen offset:8
	;; [unrolled: 1-line block ×3, first 2 shown]
	s_waitcnt vmcnt(0)
	ds_write_b128 v71, v[1:4]
	s_waitcnt lgkmcnt(0)
	s_barrier
	buffer_gl0_inv
	v_cmpx_gt_u32_e32 30, v0
	s_cbranch_execz .LBB96_135
; %bb.132:
	v_mov_b32_e32 v1, 0
	v_mov_b32_e32 v3, 0
	v_add_nc_u32_e32 v73, -1, v0
	v_add_nc_u32_e32 v74, 0x210, v77
	v_mov_b32_e32 v2, 0
	v_mov_b32_e32 v4, 0
	v_add_nc_u32_e32 v75, 16, v77
	s_mov_b32 s5, 0
	.p2align	6
.LBB96_133:                             ; =>This Inner Loop Header: Depth=1
	s_clause 0x3
	buffer_load_dword v82, v75, s[0:3], 0 offen offset:8
	buffer_load_dword v83, v75, s[0:3], 0 offen offset:12
	buffer_load_dword v84, v75, s[0:3], 0 offen
	buffer_load_dword v85, v75, s[0:3], 0 offen offset:4
	ds_read_b128 v[78:81], v74
	v_add_nc_u32_e32 v73, 1, v73
	v_add_nc_u32_e32 v74, 16, v74
	;; [unrolled: 1-line block ×3, first 2 shown]
	v_cmp_lt_u32_e32 vcc_lo, 28, v73
	s_or_b32 s5, vcc_lo, s5
	s_waitcnt vmcnt(2) lgkmcnt(0)
	v_mul_f64 v[86:87], v[80:81], v[82:83]
	v_mul_f64 v[82:83], v[78:79], v[82:83]
	s_waitcnt vmcnt(0)
	v_fma_f64 v[78:79], v[78:79], v[84:85], -v[86:87]
	v_fma_f64 v[80:81], v[80:81], v[84:85], v[82:83]
	v_add_f64 v[3:4], v[3:4], v[78:79]
	v_add_f64 v[1:2], v[1:2], v[80:81]
	s_andn2_b32 exec_lo, exec_lo, s5
	s_cbranch_execnz .LBB96_133
; %bb.134:
	s_or_b32 exec_lo, exec_lo, s5
	v_mov_b32_e32 v73, 0
	ds_read_b128 v[73:76], v73 offset:480
	s_waitcnt lgkmcnt(0)
	v_mul_f64 v[78:79], v[1:2], v[75:76]
	v_mul_f64 v[75:76], v[3:4], v[75:76]
	v_fma_f64 v[3:4], v[3:4], v[73:74], -v[78:79]
	v_fma_f64 v[1:2], v[1:2], v[73:74], v[75:76]
	buffer_store_dword v4, off, s[0:3], 0 offset:500
	buffer_store_dword v3, off, s[0:3], 0 offset:496
	;; [unrolled: 1-line block ×4, first 2 shown]
.LBB96_135:
	s_or_b32 exec_lo, exec_lo, s4
	v_mov_b32_e32 v4, s9
	s_waitcnt_vscnt null, 0x0
	s_barrier
	buffer_gl0_inv
	s_mov_b32 s4, exec_lo
	s_clause 0x3
	buffer_load_dword v1, v4, s[0:3], 0 offen
	buffer_load_dword v2, v4, s[0:3], 0 offen offset:4
	buffer_load_dword v3, v4, s[0:3], 0 offen offset:8
	;; [unrolled: 1-line block ×3, first 2 shown]
	s_waitcnt vmcnt(0)
	ds_write_b128 v71, v[1:4]
	s_waitcnt lgkmcnt(0)
	s_barrier
	buffer_gl0_inv
	v_cmpx_gt_u32_e32 31, v0
	s_cbranch_execz .LBB96_139
; %bb.136:
	v_mov_b32_e32 v1, 0
	v_mov_b32_e32 v3, 0
	v_add_nc_u32_e32 v73, -1, v0
	v_add_nc_u32_e32 v74, 0x210, v77
	v_mov_b32_e32 v2, 0
	v_mov_b32_e32 v4, 0
	v_add_nc_u32_e32 v75, 16, v77
	s_mov_b32 s5, 0
	.p2align	6
.LBB96_137:                             ; =>This Inner Loop Header: Depth=1
	s_clause 0x3
	buffer_load_dword v82, v75, s[0:3], 0 offen offset:8
	buffer_load_dword v83, v75, s[0:3], 0 offen offset:12
	buffer_load_dword v84, v75, s[0:3], 0 offen
	buffer_load_dword v85, v75, s[0:3], 0 offen offset:4
	ds_read_b128 v[78:81], v74
	v_add_nc_u32_e32 v73, 1, v73
	v_add_nc_u32_e32 v74, 16, v74
	;; [unrolled: 1-line block ×3, first 2 shown]
	v_cmp_lt_u32_e32 vcc_lo, 29, v73
	s_or_b32 s5, vcc_lo, s5
	s_waitcnt vmcnt(2) lgkmcnt(0)
	v_mul_f64 v[86:87], v[80:81], v[82:83]
	v_mul_f64 v[82:83], v[78:79], v[82:83]
	s_waitcnt vmcnt(0)
	v_fma_f64 v[78:79], v[78:79], v[84:85], -v[86:87]
	v_fma_f64 v[80:81], v[80:81], v[84:85], v[82:83]
	v_add_f64 v[3:4], v[3:4], v[78:79]
	v_add_f64 v[1:2], v[1:2], v[80:81]
	s_andn2_b32 exec_lo, exec_lo, s5
	s_cbranch_execnz .LBB96_137
; %bb.138:
	s_or_b32 exec_lo, exec_lo, s5
	v_mov_b32_e32 v73, 0
	ds_read_b128 v[73:76], v73 offset:496
	s_waitcnt lgkmcnt(0)
	v_mul_f64 v[78:79], v[1:2], v[75:76]
	v_mul_f64 v[75:76], v[3:4], v[75:76]
	v_fma_f64 v[3:4], v[3:4], v[73:74], -v[78:79]
	v_fma_f64 v[1:2], v[1:2], v[73:74], v[75:76]
	buffer_store_dword v4, off, s[0:3], 0 offset:516
	buffer_store_dword v3, off, s[0:3], 0 offset:512
	buffer_store_dword v2, off, s[0:3], 0 offset:524
	buffer_store_dword v1, off, s[0:3], 0 offset:520
.LBB96_139:
	s_or_b32 exec_lo, exec_lo, s4
	v_mov_b32_e32 v4, s8
	s_waitcnt_vscnt null, 0x0
	s_barrier
	buffer_gl0_inv
	s_mov_b32 s4, exec_lo
	s_clause 0x3
	buffer_load_dword v1, v4, s[0:3], 0 offen
	buffer_load_dword v2, v4, s[0:3], 0 offen offset:4
	buffer_load_dword v3, v4, s[0:3], 0 offen offset:8
	buffer_load_dword v4, v4, s[0:3], 0 offen offset:12
	s_waitcnt vmcnt(0)
	ds_write_b128 v71, v[1:4]
	s_waitcnt lgkmcnt(0)
	s_barrier
	buffer_gl0_inv
	v_cmpx_ne_u32_e32 32, v0
	s_cbranch_execz .LBB96_143
; %bb.140:
	v_mov_b32_e32 v1, 0
	v_mov_b32_e32 v3, 0
	;; [unrolled: 1-line block ×4, first 2 shown]
	v_add_nc_u32_e32 v73, 16, v77
	s_mov_b32 s5, 0
	.p2align	6
.LBB96_141:                             ; =>This Inner Loop Header: Depth=1
	s_clause 0x3
	buffer_load_dword v78, v73, s[0:3], 0 offen offset:8
	buffer_load_dword v79, v73, s[0:3], 0 offen offset:12
	buffer_load_dword v80, v73, s[0:3], 0 offen
	buffer_load_dword v81, v73, s[0:3], 0 offen offset:4
	ds_read_b128 v[74:77], v71
	v_add_nc_u32_e32 v72, 1, v72
	v_add_nc_u32_e32 v71, 16, v71
	;; [unrolled: 1-line block ×3, first 2 shown]
	v_cmp_lt_u32_e32 vcc_lo, 30, v72
	s_or_b32 s5, vcc_lo, s5
	s_waitcnt vmcnt(2) lgkmcnt(0)
	v_mul_f64 v[82:83], v[76:77], v[78:79]
	v_mul_f64 v[78:79], v[74:75], v[78:79]
	s_waitcnt vmcnt(0)
	v_fma_f64 v[74:75], v[74:75], v[80:81], -v[82:83]
	v_fma_f64 v[76:77], v[76:77], v[80:81], v[78:79]
	v_add_f64 v[3:4], v[3:4], v[74:75]
	v_add_f64 v[1:2], v[1:2], v[76:77]
	s_andn2_b32 exec_lo, exec_lo, s5
	s_cbranch_execnz .LBB96_141
; %bb.142:
	s_or_b32 exec_lo, exec_lo, s5
	v_mov_b32_e32 v71, 0
	ds_read_b128 v[71:74], v71 offset:512
	s_waitcnt lgkmcnt(0)
	v_mul_f64 v[75:76], v[1:2], v[73:74]
	v_mul_f64 v[73:74], v[3:4], v[73:74]
	v_fma_f64 v[3:4], v[3:4], v[71:72], -v[75:76]
	v_fma_f64 v[1:2], v[1:2], v[71:72], v[73:74]
	buffer_store_dword v4, off, s[0:3], 0 offset:532
	buffer_store_dword v3, off, s[0:3], 0 offset:528
	buffer_store_dword v2, off, s[0:3], 0 offset:540
	buffer_store_dword v1, off, s[0:3], 0 offset:536
.LBB96_143:
	s_or_b32 exec_lo, exec_lo, s4
	s_mov_b32 s5, -1
	s_waitcnt_vscnt null, 0x0
	s_barrier
	buffer_gl0_inv
.LBB96_144:
	s_and_b32 vcc_lo, exec_lo, s5
	s_cbranch_vccz .LBB96_146
; %bb.145:
	s_lshl_b64 s[4:5], s[6:7], 2
	v_mov_b32_e32 v1, 0
	s_add_u32 s4, s10, s4
	s_addc_u32 s5, s11, s5
	global_load_dword v1, v1, s[4:5]
	s_waitcnt vmcnt(0)
	v_cmp_ne_u32_e32 vcc_lo, 0, v1
	s_cbranch_vccz .LBB96_147
.LBB96_146:
	s_endpgm
.LBB96_147:
	v_lshl_add_u32 v83, v0, 4, 0x210
	s_mov_b32 s4, exec_lo
	v_cmpx_eq_u32_e32 32, v0
	s_cbranch_execz .LBB96_149
; %bb.148:
	v_mov_b32_e32 v4, s9
	v_mov_b32_e32 v71, 0
	s_clause 0x3
	buffer_load_dword v1, v4, s[0:3], 0 offen
	buffer_load_dword v2, v4, s[0:3], 0 offen offset:4
	buffer_load_dword v3, v4, s[0:3], 0 offen offset:8
	;; [unrolled: 1-line block ×3, first 2 shown]
	buffer_store_dword v71, off, s[0:3], 0 offset:512
	buffer_store_dword v71, off, s[0:3], 0 offset:516
	;; [unrolled: 1-line block ×4, first 2 shown]
	s_waitcnt vmcnt(0)
	ds_write_b128 v83, v[1:4]
.LBB96_149:
	s_or_b32 exec_lo, exec_lo, s4
	s_waitcnt lgkmcnt(0)
	s_waitcnt_vscnt null, 0x0
	s_barrier
	buffer_gl0_inv
	s_clause 0x7
	buffer_load_dword v2, off, s[0:3], 0 offset:536
	buffer_load_dword v3, off, s[0:3], 0 offset:540
	;; [unrolled: 1-line block ×8, first 2 shown]
	v_mov_b32_e32 v1, 0
	s_mov_b32 s4, exec_lo
	ds_read_b128 v[71:74], v1 offset:1040
	s_waitcnt vmcnt(6) lgkmcnt(0)
	v_mul_f64 v[81:82], v[73:74], v[2:3]
	v_mul_f64 v[2:3], v[71:72], v[2:3]
	s_waitcnt vmcnt(4)
	v_fma_f64 v[71:72], v[71:72], v[75:76], -v[81:82]
	v_fma_f64 v[2:3], v[73:74], v[75:76], v[2:3]
	v_add_f64 v[71:72], v[71:72], 0
	v_add_f64 v[2:3], v[2:3], 0
	s_waitcnt vmcnt(2)
	v_add_f64 v[71:72], v[77:78], -v[71:72]
	s_waitcnt vmcnt(0)
	v_add_f64 v[2:3], v[79:80], -v[2:3]
	buffer_store_dword v71, off, s[0:3], 0 offset:512
	buffer_store_dword v72, off, s[0:3], 0 offset:516
	;; [unrolled: 1-line block ×4, first 2 shown]
	v_cmpx_lt_u32_e32 30, v0
	s_cbranch_execz .LBB96_151
; %bb.150:
	v_mov_b32_e32 v2, s14
	s_clause 0x3
	buffer_load_dword v71, v2, s[0:3], 0 offen
	buffer_load_dword v72, v2, s[0:3], 0 offen offset:4
	buffer_load_dword v73, v2, s[0:3], 0 offen offset:8
	;; [unrolled: 1-line block ×3, first 2 shown]
	buffer_store_dword v1, off, s[0:3], 0 offset:496
	buffer_store_dword v1, off, s[0:3], 0 offset:500
	buffer_store_dword v1, off, s[0:3], 0 offset:504
	buffer_store_dword v1, off, s[0:3], 0 offset:508
	s_waitcnt vmcnt(0)
	ds_write_b128 v83, v[71:74]
.LBB96_151:
	s_or_b32 exec_lo, exec_lo, s4
	s_waitcnt lgkmcnt(0)
	s_waitcnt_vscnt null, 0x0
	s_barrier
	buffer_gl0_inv
	s_clause 0xb
	buffer_load_dword v75, off, s[0:3], 0 offset:520
	buffer_load_dword v76, off, s[0:3], 0 offset:524
	;; [unrolled: 1-line block ×12, first 2 shown]
	ds_read_b128 v[71:74], v1 offset:1024
	ds_read_b128 v[1:4], v1 offset:1040
	s_mov_b32 s4, exec_lo
	s_waitcnt vmcnt(10) lgkmcnt(1)
	v_mul_f64 v[88:89], v[73:74], v[75:76]
	v_mul_f64 v[75:76], v[71:72], v[75:76]
	s_waitcnt vmcnt(8) lgkmcnt(0)
	v_mul_f64 v[90:91], v[3:4], v[77:78]
	v_mul_f64 v[77:78], v[1:2], v[77:78]
	s_waitcnt vmcnt(6)
	v_fma_f64 v[71:72], v[71:72], v[79:80], -v[88:89]
	v_fma_f64 v[73:74], v[73:74], v[79:80], v[75:76]
	s_waitcnt vmcnt(4)
	v_fma_f64 v[1:2], v[1:2], v[81:82], -v[90:91]
	v_fma_f64 v[3:4], v[3:4], v[81:82], v[77:78]
	v_add_f64 v[71:72], v[71:72], 0
	v_add_f64 v[73:74], v[73:74], 0
	;; [unrolled: 1-line block ×4, first 2 shown]
	s_waitcnt vmcnt(2)
	v_add_f64 v[1:2], v[84:85], -v[1:2]
	s_waitcnt vmcnt(0)
	v_add_f64 v[3:4], v[86:87], -v[3:4]
	buffer_store_dword v1, off, s[0:3], 0 offset:496
	buffer_store_dword v2, off, s[0:3], 0 offset:500
	;; [unrolled: 1-line block ×4, first 2 shown]
	v_cmpx_lt_u32_e32 29, v0
	s_cbranch_execz .LBB96_153
; %bb.152:
	v_mov_b32_e32 v4, s15
	v_mov_b32_e32 v71, 0
	s_clause 0x3
	buffer_load_dword v1, v4, s[0:3], 0 offen
	buffer_load_dword v2, v4, s[0:3], 0 offen offset:4
	buffer_load_dword v3, v4, s[0:3], 0 offen offset:8
	;; [unrolled: 1-line block ×3, first 2 shown]
	buffer_store_dword v71, off, s[0:3], 0 offset:480
	buffer_store_dword v71, off, s[0:3], 0 offset:484
	;; [unrolled: 1-line block ×4, first 2 shown]
	s_waitcnt vmcnt(0)
	ds_write_b128 v83, v[1:4]
.LBB96_153:
	s_or_b32 exec_lo, exec_lo, s4
	s_waitcnt lgkmcnt(0)
	s_waitcnt_vscnt null, 0x0
	s_barrier
	buffer_gl0_inv
	s_clause 0xf
	buffer_load_dword v2, off, s[0:3], 0 offset:504
	buffer_load_dword v3, off, s[0:3], 0 offset:508
	;; [unrolled: 1-line block ×16, first 2 shown]
	v_mov_b32_e32 v1, 0
	ds_read_b128 v[71:74], v1 offset:1008
	ds_read_b128 v[75:78], v1 offset:1024
	;; [unrolled: 1-line block ×3, first 2 shown]
	s_mov_b32 s4, exec_lo
	s_waitcnt vmcnt(14) lgkmcnt(2)
	v_mul_f64 v[98:99], v[73:74], v[2:3]
	v_mul_f64 v[2:3], v[71:72], v[2:3]
	s_waitcnt vmcnt(12) lgkmcnt(1)
	v_mul_f64 v[100:101], v[77:78], v[84:85]
	v_mul_f64 v[84:85], v[75:76], v[84:85]
	s_waitcnt vmcnt(10)
	v_fma_f64 v[71:72], v[71:72], v[86:87], -v[98:99]
	v_fma_f64 v[2:3], v[73:74], v[86:87], v[2:3]
	s_waitcnt vmcnt(8) lgkmcnt(0)
	v_mul_f64 v[86:87], v[81:82], v[88:89]
	s_waitcnt vmcnt(6)
	v_fma_f64 v[75:76], v[75:76], v[90:91], -v[100:101]
	v_mul_f64 v[73:74], v[79:80], v[88:89]
	v_fma_f64 v[77:78], v[77:78], v[90:91], v[84:85]
	v_add_f64 v[71:72], v[71:72], 0
	v_add_f64 v[2:3], v[2:3], 0
	s_waitcnt vmcnt(4)
	v_fma_f64 v[79:80], v[79:80], v[92:93], -v[86:87]
	v_fma_f64 v[73:74], v[81:82], v[92:93], v[73:74]
	v_add_f64 v[71:72], v[71:72], v[75:76]
	v_add_f64 v[2:3], v[2:3], v[77:78]
	;; [unrolled: 1-line block ×4, first 2 shown]
	s_waitcnt vmcnt(2)
	v_add_f64 v[71:72], v[94:95], -v[71:72]
	s_waitcnt vmcnt(0)
	v_add_f64 v[2:3], v[96:97], -v[2:3]
	buffer_store_dword v71, off, s[0:3], 0 offset:480
	buffer_store_dword v72, off, s[0:3], 0 offset:484
	;; [unrolled: 1-line block ×4, first 2 shown]
	v_cmpx_lt_u32_e32 28, v0
	s_cbranch_execz .LBB96_155
; %bb.154:
	v_mov_b32_e32 v2, s16
	s_clause 0x3
	buffer_load_dword v71, v2, s[0:3], 0 offen
	buffer_load_dword v72, v2, s[0:3], 0 offen offset:4
	buffer_load_dword v73, v2, s[0:3], 0 offen offset:8
	;; [unrolled: 1-line block ×3, first 2 shown]
	buffer_store_dword v1, off, s[0:3], 0 offset:464
	buffer_store_dword v1, off, s[0:3], 0 offset:468
	;; [unrolled: 1-line block ×4, first 2 shown]
	s_waitcnt vmcnt(0)
	ds_write_b128 v83, v[71:74]
.LBB96_155:
	s_or_b32 exec_lo, exec_lo, s4
	s_waitcnt lgkmcnt(0)
	s_waitcnt_vscnt null, 0x0
	s_barrier
	buffer_gl0_inv
	s_clause 0x13
	buffer_load_dword v2, off, s[0:3], 0 offset:488
	buffer_load_dword v3, off, s[0:3], 0 offset:492
	;; [unrolled: 1-line block ×20, first 2 shown]
	ds_read_b128 v[71:74], v1 offset:992
	ds_read_b128 v[75:78], v1 offset:1008
	ds_read_b128 v[79:82], v1 offset:1024
	s_mov_b32 s4, exec_lo
	s_waitcnt vmcnt(18) lgkmcnt(2)
	v_mul_f64 v[102:103], v[73:74], v[2:3]
	v_mul_f64 v[2:3], v[71:72], v[2:3]
	s_waitcnt vmcnt(16) lgkmcnt(1)
	v_mul_f64 v[104:105], v[77:78], v[84:85]
	v_mul_f64 v[84:85], v[75:76], v[84:85]
	s_waitcnt vmcnt(14)
	v_fma_f64 v[71:72], v[71:72], v[86:87], -v[102:103]
	v_fma_f64 v[73:74], v[73:74], v[86:87], v[2:3]
	s_waitcnt vmcnt(12) lgkmcnt(0)
	v_mul_f64 v[86:87], v[79:80], v[88:89]
	v_mul_f64 v[88:89], v[81:82], v[88:89]
	s_waitcnt vmcnt(10)
	v_fma_f64 v[75:76], v[75:76], v[90:91], -v[104:105]
	ds_read_b128 v[1:4], v1 offset:1040
	v_fma_f64 v[77:78], v[77:78], v[90:91], v[84:85]
	v_add_f64 v[71:72], v[71:72], 0
	v_add_f64 v[73:74], v[73:74], 0
	s_waitcnt vmcnt(8) lgkmcnt(0)
	v_mul_f64 v[90:91], v[3:4], v[92:93]
	s_waitcnt vmcnt(6)
	v_fma_f64 v[79:80], v[79:80], v[94:95], -v[88:89]
	v_mul_f64 v[84:85], v[1:2], v[92:93]
	v_add_f64 v[71:72], v[71:72], v[75:76]
	v_fma_f64 v[75:76], v[81:82], v[94:95], v[86:87]
	v_add_f64 v[73:74], v[73:74], v[77:78]
	s_waitcnt vmcnt(4)
	v_fma_f64 v[1:2], v[1:2], v[96:97], -v[90:91]
	v_fma_f64 v[3:4], v[3:4], v[96:97], v[84:85]
	v_add_f64 v[71:72], v[71:72], v[79:80]
	v_add_f64 v[73:74], v[73:74], v[75:76]
	;; [unrolled: 1-line block ×4, first 2 shown]
	s_waitcnt vmcnt(2)
	v_add_f64 v[1:2], v[98:99], -v[1:2]
	s_waitcnt vmcnt(0)
	v_add_f64 v[3:4], v[100:101], -v[3:4]
	buffer_store_dword v1, off, s[0:3], 0 offset:464
	buffer_store_dword v2, off, s[0:3], 0 offset:468
	;; [unrolled: 1-line block ×4, first 2 shown]
	v_cmpx_lt_u32_e32 27, v0
	s_cbranch_execz .LBB96_157
; %bb.156:
	v_mov_b32_e32 v4, s17
	v_mov_b32_e32 v71, 0
	s_clause 0x3
	buffer_load_dword v1, v4, s[0:3], 0 offen
	buffer_load_dword v2, v4, s[0:3], 0 offen offset:4
	buffer_load_dword v3, v4, s[0:3], 0 offen offset:8
	;; [unrolled: 1-line block ×3, first 2 shown]
	buffer_store_dword v71, off, s[0:3], 0 offset:448
	buffer_store_dword v71, off, s[0:3], 0 offset:452
	;; [unrolled: 1-line block ×4, first 2 shown]
	s_waitcnt vmcnt(0)
	ds_write_b128 v83, v[1:4]
.LBB96_157:
	s_or_b32 exec_lo, exec_lo, s4
	s_waitcnt lgkmcnt(0)
	s_waitcnt_vscnt null, 0x0
	s_barrier
	buffer_gl0_inv
	s_clause 0x17
	buffer_load_dword v2, off, s[0:3], 0 offset:472
	buffer_load_dword v3, off, s[0:3], 0 offset:476
	;; [unrolled: 1-line block ×24, first 2 shown]
	v_mov_b32_e32 v1, 0
	ds_read_b128 v[71:74], v1 offset:976
	ds_read_b128 v[75:78], v1 offset:992
	;; [unrolled: 1-line block ×3, first 2 shown]
	s_mov_b32 s4, exec_lo
	s_waitcnt vmcnt(22) lgkmcnt(2)
	v_mul_f64 v[106:107], v[73:74], v[2:3]
	v_mul_f64 v[2:3], v[71:72], v[2:3]
	s_waitcnt vmcnt(20) lgkmcnt(1)
	v_mul_f64 v[108:109], v[77:78], v[84:85]
	v_mul_f64 v[84:85], v[75:76], v[84:85]
	s_waitcnt vmcnt(18)
	v_fma_f64 v[106:107], v[71:72], v[86:87], -v[106:107]
	v_fma_f64 v[2:3], v[73:74], v[86:87], v[2:3]
	ds_read_b128 v[71:74], v1 offset:1024
	s_waitcnt vmcnt(16) lgkmcnt(1)
	v_mul_f64 v[86:87], v[79:80], v[88:89]
	v_mul_f64 v[88:89], v[81:82], v[88:89]
	s_waitcnt vmcnt(14)
	v_fma_f64 v[108:109], v[75:76], v[90:91], -v[108:109]
	v_fma_f64 v[84:85], v[77:78], v[90:91], v[84:85]
	ds_read_b128 v[75:78], v1 offset:1040
	s_waitcnt vmcnt(10) lgkmcnt(1)
	v_mul_f64 v[90:91], v[71:72], v[92:93]
	v_add_f64 v[106:107], v[106:107], 0
	v_add_f64 v[2:3], v[2:3], 0
	v_mul_f64 v[92:93], v[73:74], v[92:93]
	s_waitcnt vmcnt(8)
	v_fma_f64 v[79:80], v[79:80], v[98:99], -v[88:89]
	v_fma_f64 v[81:82], v[81:82], v[98:99], v[86:87]
	s_waitcnt vmcnt(7) lgkmcnt(0)
	v_mul_f64 v[86:87], v[77:78], v[94:95]
	s_waitcnt vmcnt(5)
	v_fma_f64 v[73:74], v[73:74], v[100:101], v[90:91]
	v_add_f64 v[88:89], v[106:107], v[108:109]
	v_add_f64 v[2:3], v[2:3], v[84:85]
	v_fma_f64 v[71:72], v[71:72], v[100:101], -v[92:93]
	v_mul_f64 v[84:85], v[75:76], v[94:95]
	s_waitcnt vmcnt(4)
	v_fma_f64 v[75:76], v[75:76], v[96:97], -v[86:87]
	v_add_f64 v[79:80], v[88:89], v[79:80]
	v_add_f64 v[2:3], v[2:3], v[81:82]
	v_fma_f64 v[77:78], v[77:78], v[96:97], v[84:85]
	v_add_f64 v[71:72], v[79:80], v[71:72]
	v_add_f64 v[2:3], v[2:3], v[73:74]
	;; [unrolled: 1-line block ×4, first 2 shown]
	s_waitcnt vmcnt(2)
	v_add_f64 v[71:72], v[102:103], -v[71:72]
	s_waitcnt vmcnt(0)
	v_add_f64 v[2:3], v[104:105], -v[2:3]
	buffer_store_dword v72, off, s[0:3], 0 offset:452
	buffer_store_dword v71, off, s[0:3], 0 offset:448
	buffer_store_dword v3, off, s[0:3], 0 offset:460
	buffer_store_dword v2, off, s[0:3], 0 offset:456
	v_cmpx_lt_u32_e32 26, v0
	s_cbranch_execz .LBB96_159
; %bb.158:
	v_mov_b32_e32 v2, s18
	s_clause 0x3
	buffer_load_dword v71, v2, s[0:3], 0 offen
	buffer_load_dword v72, v2, s[0:3], 0 offen offset:4
	buffer_load_dword v73, v2, s[0:3], 0 offen offset:8
	;; [unrolled: 1-line block ×3, first 2 shown]
	buffer_store_dword v1, off, s[0:3], 0 offset:432
	buffer_store_dword v1, off, s[0:3], 0 offset:436
	buffer_store_dword v1, off, s[0:3], 0 offset:440
	buffer_store_dword v1, off, s[0:3], 0 offset:444
	s_waitcnt vmcnt(0)
	ds_write_b128 v83, v[71:74]
.LBB96_159:
	s_or_b32 exec_lo, exec_lo, s4
	s_waitcnt lgkmcnt(0)
	s_waitcnt_vscnt null, 0x0
	s_barrier
	buffer_gl0_inv
	s_clause 0x1b
	buffer_load_dword v2, off, s[0:3], 0 offset:456
	buffer_load_dword v3, off, s[0:3], 0 offset:460
	;; [unrolled: 1-line block ×28, first 2 shown]
	ds_read_b128 v[71:74], v1 offset:960
	ds_read_b128 v[75:78], v1 offset:976
	;; [unrolled: 1-line block ×3, first 2 shown]
	s_mov_b32 s4, exec_lo
	s_waitcnt vmcnt(26) lgkmcnt(2)
	v_mul_f64 v[110:111], v[73:74], v[2:3]
	v_mul_f64 v[2:3], v[71:72], v[2:3]
	s_waitcnt vmcnt(24) lgkmcnt(1)
	v_mul_f64 v[112:113], v[77:78], v[84:85]
	v_mul_f64 v[84:85], v[75:76], v[84:85]
	s_waitcnt vmcnt(22)
	v_fma_f64 v[110:111], v[71:72], v[86:87], -v[110:111]
	v_fma_f64 v[2:3], v[73:74], v[86:87], v[2:3]
	ds_read_b128 v[71:74], v1 offset:1008
	s_waitcnt vmcnt(20) lgkmcnt(1)
	v_mul_f64 v[86:87], v[79:80], v[88:89]
	v_mul_f64 v[88:89], v[81:82], v[88:89]
	s_waitcnt vmcnt(18)
	v_fma_f64 v[112:113], v[75:76], v[90:91], -v[112:113]
	v_fma_f64 v[84:85], v[77:78], v[90:91], v[84:85]
	ds_read_b128 v[75:78], v1 offset:1024
	s_waitcnt vmcnt(14) lgkmcnt(1)
	v_mul_f64 v[90:91], v[71:72], v[92:93]
	v_add_f64 v[110:111], v[110:111], 0
	v_add_f64 v[2:3], v[2:3], 0
	v_mul_f64 v[92:93], v[73:74], v[92:93]
	s_waitcnt vmcnt(12)
	v_fma_f64 v[79:80], v[79:80], v[98:99], -v[88:89]
	v_fma_f64 v[81:82], v[81:82], v[98:99], v[86:87]
	s_waitcnt vmcnt(11) lgkmcnt(0)
	v_mul_f64 v[86:87], v[75:76], v[94:95]
	v_mul_f64 v[94:95], v[77:78], v[94:95]
	s_waitcnt vmcnt(9)
	v_fma_f64 v[73:74], v[73:74], v[100:101], v[90:91]
	v_add_f64 v[88:89], v[110:111], v[112:113]
	v_add_f64 v[84:85], v[2:3], v[84:85]
	v_fma_f64 v[71:72], v[71:72], v[100:101], -v[92:93]
	ds_read_b128 v[1:4], v1 offset:1040
	s_waitcnt vmcnt(6)
	v_fma_f64 v[77:78], v[77:78], v[96:97], v[86:87]
	v_fma_f64 v[75:76], v[75:76], v[96:97], -v[94:95]
	v_add_f64 v[79:80], v[88:89], v[79:80]
	v_add_f64 v[81:82], v[84:85], v[81:82]
	s_waitcnt lgkmcnt(0)
	v_mul_f64 v[88:89], v[3:4], v[102:103]
	v_mul_f64 v[84:85], v[1:2], v[102:103]
	v_add_f64 v[71:72], v[79:80], v[71:72]
	v_add_f64 v[73:74], v[81:82], v[73:74]
	s_waitcnt vmcnt(4)
	v_fma_f64 v[1:2], v[1:2], v[104:105], -v[88:89]
	v_fma_f64 v[3:4], v[3:4], v[104:105], v[84:85]
	v_add_f64 v[71:72], v[71:72], v[75:76]
	v_add_f64 v[73:74], v[73:74], v[77:78]
	;; [unrolled: 1-line block ×4, first 2 shown]
	s_waitcnt vmcnt(2)
	v_add_f64 v[1:2], v[106:107], -v[1:2]
	s_waitcnt vmcnt(0)
	v_add_f64 v[3:4], v[108:109], -v[3:4]
	buffer_store_dword v2, off, s[0:3], 0 offset:436
	buffer_store_dword v1, off, s[0:3], 0 offset:432
	;; [unrolled: 1-line block ×4, first 2 shown]
	v_cmpx_lt_u32_e32 25, v0
	s_cbranch_execz .LBB96_161
; %bb.160:
	v_mov_b32_e32 v4, s19
	v_mov_b32_e32 v71, 0
	s_clause 0x3
	buffer_load_dword v1, v4, s[0:3], 0 offen
	buffer_load_dword v2, v4, s[0:3], 0 offen offset:4
	buffer_load_dword v3, v4, s[0:3], 0 offen offset:8
	;; [unrolled: 1-line block ×3, first 2 shown]
	buffer_store_dword v71, off, s[0:3], 0 offset:416
	buffer_store_dword v71, off, s[0:3], 0 offset:420
	;; [unrolled: 1-line block ×4, first 2 shown]
	s_waitcnt vmcnt(0)
	ds_write_b128 v83, v[1:4]
.LBB96_161:
	s_or_b32 exec_lo, exec_lo, s4
	s_waitcnt lgkmcnt(0)
	s_waitcnt_vscnt null, 0x0
	s_barrier
	buffer_gl0_inv
	s_clause 0x1f
	buffer_load_dword v2, off, s[0:3], 0 offset:440
	buffer_load_dword v3, off, s[0:3], 0 offset:444
	;; [unrolled: 1-line block ×32, first 2 shown]
	v_mov_b32_e32 v1, 0
	ds_read_b128 v[71:74], v1 offset:944
	ds_read_b128 v[75:78], v1 offset:960
	;; [unrolled: 1-line block ×3, first 2 shown]
	s_mov_b32 s4, exec_lo
	s_waitcnt vmcnt(30) lgkmcnt(2)
	v_mul_f64 v[114:115], v[73:74], v[2:3]
	v_mul_f64 v[2:3], v[71:72], v[2:3]
	s_waitcnt vmcnt(28) lgkmcnt(1)
	v_mul_f64 v[116:117], v[77:78], v[84:85]
	v_mul_f64 v[84:85], v[75:76], v[84:85]
	s_waitcnt vmcnt(26)
	v_fma_f64 v[114:115], v[71:72], v[86:87], -v[114:115]
	v_fma_f64 v[2:3], v[73:74], v[86:87], v[2:3]
	ds_read_b128 v[71:74], v1 offset:992
	s_waitcnt vmcnt(24) lgkmcnt(1)
	v_mul_f64 v[86:87], v[79:80], v[88:89]
	v_mul_f64 v[88:89], v[81:82], v[88:89]
	s_waitcnt vmcnt(22)
	v_fma_f64 v[116:117], v[75:76], v[90:91], -v[116:117]
	v_fma_f64 v[84:85], v[77:78], v[90:91], v[84:85]
	ds_read_b128 v[75:78], v1 offset:1008
	s_waitcnt vmcnt(18) lgkmcnt(1)
	v_mul_f64 v[90:91], v[71:72], v[92:93]
	v_add_f64 v[114:115], v[114:115], 0
	v_add_f64 v[2:3], v[2:3], 0
	v_mul_f64 v[92:93], v[73:74], v[92:93]
	s_waitcnt vmcnt(16)
	v_fma_f64 v[88:89], v[79:80], v[98:99], -v[88:89]
	v_fma_f64 v[86:87], v[81:82], v[98:99], v[86:87]
	ds_read_b128 v[79:82], v1 offset:1024
	s_waitcnt vmcnt(13)
	v_fma_f64 v[90:91], v[73:74], v[100:101], v[90:91]
	v_add_f64 v[114:115], v[114:115], v[116:117]
	v_add_f64 v[2:3], v[2:3], v[84:85]
	s_waitcnt lgkmcnt(1)
	v_mul_f64 v[84:85], v[75:76], v[94:95]
	v_mul_f64 v[94:95], v[77:78], v[94:95]
	v_fma_f64 v[92:93], v[71:72], v[100:101], -v[92:93]
	s_waitcnt vmcnt(9) lgkmcnt(0)
	v_mul_f64 v[98:99], v[81:82], v[102:103]
	ds_read_b128 v[71:74], v1 offset:1040
	v_add_f64 v[88:89], v[114:115], v[88:89]
	v_add_f64 v[2:3], v[2:3], v[86:87]
	v_mul_f64 v[86:87], v[79:80], v[102:103]
	s_waitcnt vmcnt(8)
	v_fma_f64 v[75:76], v[75:76], v[96:97], -v[94:95]
	v_fma_f64 v[77:78], v[77:78], v[96:97], v[84:85]
	s_waitcnt vmcnt(5)
	v_fma_f64 v[79:80], v[79:80], v[108:109], -v[98:99]
	s_waitcnt lgkmcnt(0)
	v_mul_f64 v[84:85], v[71:72], v[104:105]
	v_add_f64 v[88:89], v[88:89], v[92:93]
	v_add_f64 v[2:3], v[2:3], v[90:91]
	v_mul_f64 v[90:91], v[73:74], v[104:105]
	v_fma_f64 v[81:82], v[81:82], v[108:109], v[86:87]
	s_waitcnt vmcnt(4)
	v_fma_f64 v[73:74], v[73:74], v[106:107], v[84:85]
	v_add_f64 v[75:76], v[88:89], v[75:76]
	v_add_f64 v[2:3], v[2:3], v[77:78]
	v_fma_f64 v[71:72], v[71:72], v[106:107], -v[90:91]
	v_add_f64 v[75:76], v[75:76], v[79:80]
	v_add_f64 v[2:3], v[2:3], v[81:82]
	;; [unrolled: 1-line block ×4, first 2 shown]
	s_waitcnt vmcnt(2)
	v_add_f64 v[71:72], v[110:111], -v[71:72]
	s_waitcnt vmcnt(0)
	v_add_f64 v[2:3], v[112:113], -v[2:3]
	buffer_store_dword v72, off, s[0:3], 0 offset:420
	buffer_store_dword v71, off, s[0:3], 0 offset:416
	;; [unrolled: 1-line block ×4, first 2 shown]
	v_cmpx_lt_u32_e32 24, v0
	s_cbranch_execz .LBB96_163
; %bb.162:
	v_mov_b32_e32 v2, s20
	s_clause 0x3
	buffer_load_dword v71, v2, s[0:3], 0 offen
	buffer_load_dword v72, v2, s[0:3], 0 offen offset:4
	buffer_load_dword v73, v2, s[0:3], 0 offen offset:8
	;; [unrolled: 1-line block ×3, first 2 shown]
	buffer_store_dword v1, off, s[0:3], 0 offset:400
	buffer_store_dword v1, off, s[0:3], 0 offset:404
	;; [unrolled: 1-line block ×4, first 2 shown]
	s_waitcnt vmcnt(0)
	ds_write_b128 v83, v[71:74]
.LBB96_163:
	s_or_b32 exec_lo, exec_lo, s4
	s_waitcnt lgkmcnt(0)
	s_waitcnt_vscnt null, 0x0
	s_barrier
	buffer_gl0_inv
	s_clause 0x23
	buffer_load_dword v2, off, s[0:3], 0 offset:424
	buffer_load_dword v3, off, s[0:3], 0 offset:428
	;; [unrolled: 1-line block ×36, first 2 shown]
	ds_read_b128 v[71:74], v1 offset:928
	ds_read_b128 v[75:78], v1 offset:944
	ds_read_b128 v[79:82], v1 offset:960
	s_mov_b32 s4, exec_lo
	s_waitcnt vmcnt(34) lgkmcnt(2)
	v_mul_f64 v[118:119], v[73:74], v[2:3]
	v_mul_f64 v[2:3], v[71:72], v[2:3]
	s_waitcnt vmcnt(32) lgkmcnt(1)
	v_mul_f64 v[120:121], v[77:78], v[84:85]
	v_mul_f64 v[84:85], v[75:76], v[84:85]
	s_waitcnt vmcnt(30)
	v_fma_f64 v[118:119], v[71:72], v[86:87], -v[118:119]
	v_fma_f64 v[2:3], v[73:74], v[86:87], v[2:3]
	ds_read_b128 v[71:74], v1 offset:976
	s_waitcnt vmcnt(28) lgkmcnt(1)
	v_mul_f64 v[86:87], v[79:80], v[88:89]
	v_mul_f64 v[88:89], v[81:82], v[88:89]
	s_waitcnt vmcnt(26)
	v_fma_f64 v[120:121], v[75:76], v[90:91], -v[120:121]
	v_fma_f64 v[84:85], v[77:78], v[90:91], v[84:85]
	ds_read_b128 v[75:78], v1 offset:992
	s_waitcnt vmcnt(22) lgkmcnt(1)
	v_mul_f64 v[90:91], v[71:72], v[92:93]
	v_add_f64 v[118:119], v[118:119], 0
	v_add_f64 v[2:3], v[2:3], 0
	v_mul_f64 v[92:93], v[73:74], v[92:93]
	s_waitcnt vmcnt(20)
	v_fma_f64 v[88:89], v[79:80], v[98:99], -v[88:89]
	v_fma_f64 v[86:87], v[81:82], v[98:99], v[86:87]
	ds_read_b128 v[79:82], v1 offset:1008
	s_waitcnt vmcnt(17)
	v_fma_f64 v[90:91], v[73:74], v[100:101], v[90:91]
	v_add_f64 v[118:119], v[118:119], v[120:121]
	v_add_f64 v[2:3], v[2:3], v[84:85]
	s_waitcnt lgkmcnt(1)
	v_mul_f64 v[84:85], v[75:76], v[94:95]
	v_mul_f64 v[94:95], v[77:78], v[94:95]
	v_fma_f64 v[92:93], v[71:72], v[100:101], -v[92:93]
	s_waitcnt vmcnt(13) lgkmcnt(0)
	v_mul_f64 v[98:99], v[81:82], v[102:103]
	ds_read_b128 v[71:74], v1 offset:1024
	v_add_f64 v[88:89], v[118:119], v[88:89]
	v_add_f64 v[2:3], v[2:3], v[86:87]
	v_mul_f64 v[86:87], v[79:80], v[102:103]
	s_waitcnt vmcnt(12)
	v_fma_f64 v[75:76], v[75:76], v[96:97], -v[94:95]
	v_fma_f64 v[77:78], v[77:78], v[96:97], v[84:85]
	s_waitcnt vmcnt(9)
	v_fma_f64 v[79:80], v[79:80], v[108:109], -v[98:99]
	v_add_f64 v[88:89], v[88:89], v[92:93]
	v_add_f64 v[84:85], v[2:3], v[90:91]
	s_waitcnt lgkmcnt(0)
	v_mul_f64 v[92:93], v[73:74], v[104:105]
	ds_read_b128 v[1:4], v1 offset:1040
	v_mul_f64 v[90:91], v[71:72], v[104:105]
	v_fma_f64 v[81:82], v[81:82], v[108:109], v[86:87]
	v_add_f64 v[75:76], v[88:89], v[75:76]
	v_add_f64 v[77:78], v[84:85], v[77:78]
	s_waitcnt vmcnt(7) lgkmcnt(0)
	v_mul_f64 v[86:87], v[3:4], v[110:111]
	s_waitcnt vmcnt(6)
	v_fma_f64 v[71:72], v[71:72], v[106:107], -v[92:93]
	v_mul_f64 v[84:85], v[1:2], v[110:111]
	v_fma_f64 v[73:74], v[73:74], v[106:107], v[90:91]
	v_add_f64 v[75:76], v[75:76], v[79:80]
	v_add_f64 v[77:78], v[77:78], v[81:82]
	s_waitcnt vmcnt(4)
	v_fma_f64 v[1:2], v[1:2], v[112:113], -v[86:87]
	v_fma_f64 v[3:4], v[3:4], v[112:113], v[84:85]
	v_add_f64 v[71:72], v[75:76], v[71:72]
	v_add_f64 v[73:74], v[77:78], v[73:74]
	;; [unrolled: 1-line block ×4, first 2 shown]
	s_waitcnt vmcnt(2)
	v_add_f64 v[1:2], v[114:115], -v[1:2]
	s_waitcnt vmcnt(0)
	v_add_f64 v[3:4], v[116:117], -v[3:4]
	buffer_store_dword v2, off, s[0:3], 0 offset:404
	buffer_store_dword v1, off, s[0:3], 0 offset:400
	;; [unrolled: 1-line block ×4, first 2 shown]
	v_cmpx_lt_u32_e32 23, v0
	s_cbranch_execz .LBB96_165
; %bb.164:
	v_mov_b32_e32 v4, s21
	v_mov_b32_e32 v71, 0
	s_clause 0x3
	buffer_load_dword v1, v4, s[0:3], 0 offen
	buffer_load_dword v2, v4, s[0:3], 0 offen offset:4
	buffer_load_dword v3, v4, s[0:3], 0 offen offset:8
	;; [unrolled: 1-line block ×3, first 2 shown]
	buffer_store_dword v71, off, s[0:3], 0 offset:384
	buffer_store_dword v71, off, s[0:3], 0 offset:388
	;; [unrolled: 1-line block ×4, first 2 shown]
	s_waitcnt vmcnt(0)
	ds_write_b128 v83, v[1:4]
.LBB96_165:
	s_or_b32 exec_lo, exec_lo, s4
	s_waitcnt lgkmcnt(0)
	s_waitcnt_vscnt null, 0x0
	s_barrier
	buffer_gl0_inv
	s_clause 0x27
	buffer_load_dword v2, off, s[0:3], 0 offset:408
	buffer_load_dword v3, off, s[0:3], 0 offset:412
	;; [unrolled: 1-line block ×40, first 2 shown]
	v_mov_b32_e32 v1, 0
	ds_read_b128 v[71:74], v1 offset:912
	ds_read_b128 v[75:78], v1 offset:928
	ds_read_b128 v[79:82], v1 offset:944
	s_mov_b32 s4, exec_lo
	s_waitcnt vmcnt(38) lgkmcnt(2)
	v_mul_f64 v[122:123], v[73:74], v[2:3]
	v_mul_f64 v[2:3], v[71:72], v[2:3]
	s_waitcnt vmcnt(36) lgkmcnt(1)
	v_mul_f64 v[124:125], v[77:78], v[84:85]
	v_mul_f64 v[84:85], v[75:76], v[84:85]
	s_waitcnt vmcnt(34)
	v_fma_f64 v[122:123], v[71:72], v[86:87], -v[122:123]
	v_fma_f64 v[2:3], v[73:74], v[86:87], v[2:3]
	ds_read_b128 v[71:74], v1 offset:960
	s_waitcnt vmcnt(32) lgkmcnt(1)
	v_mul_f64 v[86:87], v[79:80], v[88:89]
	v_mul_f64 v[88:89], v[81:82], v[88:89]
	s_waitcnt vmcnt(30)
	v_fma_f64 v[124:125], v[75:76], v[90:91], -v[124:125]
	v_fma_f64 v[84:85], v[77:78], v[90:91], v[84:85]
	ds_read_b128 v[75:78], v1 offset:976
	s_waitcnt vmcnt(26) lgkmcnt(1)
	v_mul_f64 v[90:91], v[71:72], v[92:93]
	v_add_f64 v[122:123], v[122:123], 0
	v_add_f64 v[2:3], v[2:3], 0
	v_mul_f64 v[92:93], v[73:74], v[92:93]
	s_waitcnt vmcnt(24)
	v_fma_f64 v[88:89], v[79:80], v[98:99], -v[88:89]
	v_fma_f64 v[86:87], v[81:82], v[98:99], v[86:87]
	ds_read_b128 v[79:82], v1 offset:992
	s_waitcnt vmcnt(21)
	v_fma_f64 v[90:91], v[73:74], v[100:101], v[90:91]
	v_add_f64 v[122:123], v[122:123], v[124:125]
	v_add_f64 v[2:3], v[2:3], v[84:85]
	s_waitcnt lgkmcnt(1)
	v_mul_f64 v[84:85], v[75:76], v[94:95]
	v_mul_f64 v[94:95], v[77:78], v[94:95]
	v_fma_f64 v[92:93], v[71:72], v[100:101], -v[92:93]
	s_waitcnt vmcnt(17) lgkmcnt(0)
	v_mul_f64 v[98:99], v[81:82], v[102:103]
	ds_read_b128 v[71:74], v1 offset:1008
	v_add_f64 v[88:89], v[122:123], v[88:89]
	v_add_f64 v[2:3], v[2:3], v[86:87]
	v_mul_f64 v[86:87], v[79:80], v[102:103]
	s_waitcnt vmcnt(16)
	v_fma_f64 v[94:95], v[75:76], v[96:97], -v[94:95]
	v_fma_f64 v[84:85], v[77:78], v[96:97], v[84:85]
	ds_read_b128 v[75:78], v1 offset:1024
	s_waitcnt vmcnt(13)
	v_fma_f64 v[96:97], v[79:80], v[108:109], -v[98:99]
	v_add_f64 v[88:89], v[88:89], v[92:93]
	v_add_f64 v[2:3], v[2:3], v[90:91]
	s_waitcnt lgkmcnt(1)
	v_mul_f64 v[92:93], v[73:74], v[104:105]
	v_mul_f64 v[90:91], v[71:72], v[104:105]
	v_fma_f64 v[86:87], v[81:82], v[108:109], v[86:87]
	ds_read_b128 v[79:82], v1 offset:1040
	v_add_f64 v[88:89], v[88:89], v[94:95]
	v_add_f64 v[2:3], v[2:3], v[84:85]
	s_waitcnt vmcnt(9) lgkmcnt(1)
	v_mul_f64 v[94:95], v[77:78], v[110:111]
	s_waitcnt vmcnt(8)
	v_fma_f64 v[71:72], v[71:72], v[106:107], -v[92:93]
	v_mul_f64 v[84:85], v[75:76], v[110:111]
	v_fma_f64 v[73:74], v[73:74], v[106:107], v[90:91]
	s_waitcnt vmcnt(7) lgkmcnt(0)
	v_mul_f64 v[90:91], v[81:82], v[112:113]
	v_add_f64 v[88:89], v[88:89], v[96:97]
	v_add_f64 v[2:3], v[2:3], v[86:87]
	s_waitcnt vmcnt(5)
	v_fma_f64 v[75:76], v[75:76], v[116:117], -v[94:95]
	v_mul_f64 v[86:87], v[79:80], v[112:113]
	v_fma_f64 v[77:78], v[77:78], v[116:117], v[84:85]
	v_add_f64 v[71:72], v[88:89], v[71:72]
	v_add_f64 v[2:3], v[2:3], v[73:74]
	s_waitcnt vmcnt(4)
	v_fma_f64 v[73:74], v[79:80], v[114:115], -v[90:91]
	v_add_f64 v[71:72], v[71:72], v[75:76]
	v_fma_f64 v[75:76], v[81:82], v[114:115], v[86:87]
	v_add_f64 v[2:3], v[2:3], v[77:78]
	v_add_f64 v[71:72], v[71:72], v[73:74]
	;; [unrolled: 1-line block ×3, first 2 shown]
	s_waitcnt vmcnt(2)
	v_add_f64 v[71:72], v[118:119], -v[71:72]
	s_waitcnt vmcnt(0)
	v_add_f64 v[2:3], v[120:121], -v[2:3]
	buffer_store_dword v72, off, s[0:3], 0 offset:388
	buffer_store_dword v71, off, s[0:3], 0 offset:384
	;; [unrolled: 1-line block ×4, first 2 shown]
	v_cmpx_lt_u32_e32 22, v0
	s_cbranch_execz .LBB96_167
; %bb.166:
	v_mov_b32_e32 v2, s22
	s_clause 0x3
	buffer_load_dword v71, v2, s[0:3], 0 offen
	buffer_load_dword v72, v2, s[0:3], 0 offen offset:4
	buffer_load_dword v73, v2, s[0:3], 0 offen offset:8
	;; [unrolled: 1-line block ×3, first 2 shown]
	buffer_store_dword v1, off, s[0:3], 0 offset:368
	buffer_store_dword v1, off, s[0:3], 0 offset:372
	;; [unrolled: 1-line block ×4, first 2 shown]
	s_waitcnt vmcnt(0)
	ds_write_b128 v83, v[71:74]
.LBB96_167:
	s_or_b32 exec_lo, exec_lo, s4
	s_waitcnt lgkmcnt(0)
	s_waitcnt_vscnt null, 0x0
	s_barrier
	buffer_gl0_inv
	s_clause 0x2b
	buffer_load_dword v2, off, s[0:3], 0 offset:392
	buffer_load_dword v3, off, s[0:3], 0 offset:396
	;; [unrolled: 1-line block ×44, first 2 shown]
	ds_read_b128 v[71:74], v1 offset:896
	ds_read_b128 v[75:78], v1 offset:912
	;; [unrolled: 1-line block ×3, first 2 shown]
	s_mov_b32 s4, exec_lo
	s_waitcnt vmcnt(42) lgkmcnt(2)
	v_mul_f64 v[126:127], v[73:74], v[2:3]
	v_mul_f64 v[2:3], v[71:72], v[2:3]
	s_waitcnt vmcnt(40) lgkmcnt(1)
	v_mul_f64 v[128:129], v[77:78], v[84:85]
	v_mul_f64 v[84:85], v[75:76], v[84:85]
	s_waitcnt vmcnt(38)
	v_fma_f64 v[126:127], v[71:72], v[86:87], -v[126:127]
	v_fma_f64 v[2:3], v[73:74], v[86:87], v[2:3]
	ds_read_b128 v[71:74], v1 offset:944
	s_waitcnt vmcnt(36) lgkmcnt(1)
	v_mul_f64 v[86:87], v[79:80], v[88:89]
	v_mul_f64 v[88:89], v[81:82], v[88:89]
	s_waitcnt vmcnt(34)
	v_fma_f64 v[128:129], v[75:76], v[90:91], -v[128:129]
	v_fma_f64 v[84:85], v[77:78], v[90:91], v[84:85]
	ds_read_b128 v[75:78], v1 offset:960
	s_waitcnt vmcnt(30) lgkmcnt(1)
	v_mul_f64 v[90:91], v[71:72], v[92:93]
	v_add_f64 v[126:127], v[126:127], 0
	v_add_f64 v[2:3], v[2:3], 0
	v_mul_f64 v[92:93], v[73:74], v[92:93]
	s_waitcnt vmcnt(28)
	v_fma_f64 v[88:89], v[79:80], v[98:99], -v[88:89]
	v_fma_f64 v[86:87], v[81:82], v[98:99], v[86:87]
	ds_read_b128 v[79:82], v1 offset:976
	s_waitcnt vmcnt(25)
	v_fma_f64 v[90:91], v[73:74], v[100:101], v[90:91]
	v_add_f64 v[126:127], v[126:127], v[128:129]
	v_add_f64 v[2:3], v[2:3], v[84:85]
	s_waitcnt lgkmcnt(1)
	v_mul_f64 v[84:85], v[75:76], v[94:95]
	v_mul_f64 v[94:95], v[77:78], v[94:95]
	v_fma_f64 v[92:93], v[71:72], v[100:101], -v[92:93]
	s_waitcnt vmcnt(21) lgkmcnt(0)
	v_mul_f64 v[98:99], v[81:82], v[102:103]
	ds_read_b128 v[71:74], v1 offset:992
	v_add_f64 v[88:89], v[126:127], v[88:89]
	v_add_f64 v[2:3], v[2:3], v[86:87]
	v_mul_f64 v[86:87], v[79:80], v[102:103]
	s_waitcnt vmcnt(20)
	v_fma_f64 v[94:95], v[75:76], v[96:97], -v[94:95]
	v_fma_f64 v[84:85], v[77:78], v[96:97], v[84:85]
	ds_read_b128 v[75:78], v1 offset:1008
	s_waitcnt vmcnt(17)
	v_fma_f64 v[96:97], v[79:80], v[108:109], -v[98:99]
	v_add_f64 v[88:89], v[88:89], v[92:93]
	v_add_f64 v[2:3], v[2:3], v[90:91]
	s_waitcnt lgkmcnt(1)
	v_mul_f64 v[92:93], v[73:74], v[104:105]
	v_mul_f64 v[90:91], v[71:72], v[104:105]
	v_fma_f64 v[86:87], v[81:82], v[108:109], v[86:87]
	ds_read_b128 v[79:82], v1 offset:1024
	v_add_f64 v[88:89], v[88:89], v[94:95]
	v_add_f64 v[2:3], v[2:3], v[84:85]
	s_waitcnt vmcnt(13) lgkmcnt(1)
	v_mul_f64 v[94:95], v[77:78], v[110:111]
	s_waitcnt vmcnt(12)
	v_fma_f64 v[71:72], v[71:72], v[106:107], -v[92:93]
	v_mul_f64 v[84:85], v[75:76], v[110:111]
	v_fma_f64 v[73:74], v[73:74], v[106:107], v[90:91]
	s_waitcnt vmcnt(11) lgkmcnt(0)
	v_mul_f64 v[92:93], v[81:82], v[112:113]
	v_mul_f64 v[90:91], v[79:80], v[112:113]
	v_add_f64 v[88:89], v[88:89], v[96:97]
	v_add_f64 v[86:87], v[2:3], v[86:87]
	s_waitcnt vmcnt(9)
	v_fma_f64 v[75:76], v[75:76], v[116:117], -v[94:95]
	ds_read_b128 v[1:4], v1 offset:1040
	v_fma_f64 v[77:78], v[77:78], v[116:117], v[84:85]
	s_waitcnt vmcnt(6)
	v_fma_f64 v[79:80], v[79:80], v[114:115], -v[92:93]
	v_add_f64 v[71:72], v[88:89], v[71:72]
	v_add_f64 v[73:74], v[86:87], v[73:74]
	s_waitcnt lgkmcnt(0)
	v_mul_f64 v[86:87], v[3:4], v[118:119]
	v_mul_f64 v[84:85], v[1:2], v[118:119]
	v_add_f64 v[71:72], v[71:72], v[75:76]
	v_fma_f64 v[75:76], v[81:82], v[114:115], v[90:91]
	v_add_f64 v[73:74], v[73:74], v[77:78]
	s_waitcnt vmcnt(4)
	v_fma_f64 v[1:2], v[1:2], v[120:121], -v[86:87]
	v_fma_f64 v[3:4], v[3:4], v[120:121], v[84:85]
	v_add_f64 v[71:72], v[71:72], v[79:80]
	v_add_f64 v[73:74], v[73:74], v[75:76]
	;; [unrolled: 1-line block ×4, first 2 shown]
	s_waitcnt vmcnt(2)
	v_add_f64 v[1:2], v[122:123], -v[1:2]
	s_waitcnt vmcnt(0)
	v_add_f64 v[3:4], v[124:125], -v[3:4]
	buffer_store_dword v2, off, s[0:3], 0 offset:372
	buffer_store_dword v1, off, s[0:3], 0 offset:368
	;; [unrolled: 1-line block ×4, first 2 shown]
	v_cmpx_lt_u32_e32 21, v0
	s_cbranch_execz .LBB96_169
; %bb.168:
	v_mov_b32_e32 v4, s23
	v_mov_b32_e32 v71, 0
	s_clause 0x3
	buffer_load_dword v1, v4, s[0:3], 0 offen
	buffer_load_dword v2, v4, s[0:3], 0 offen offset:4
	buffer_load_dword v3, v4, s[0:3], 0 offen offset:8
	;; [unrolled: 1-line block ×3, first 2 shown]
	buffer_store_dword v71, off, s[0:3], 0 offset:352
	buffer_store_dword v71, off, s[0:3], 0 offset:356
	;; [unrolled: 1-line block ×4, first 2 shown]
	s_waitcnt vmcnt(0)
	ds_write_b128 v83, v[1:4]
.LBB96_169:
	s_or_b32 exec_lo, exec_lo, s4
	s_waitcnt lgkmcnt(0)
	s_waitcnt_vscnt null, 0x0
	s_barrier
	buffer_gl0_inv
	s_clause 0x2f
	buffer_load_dword v2, off, s[0:3], 0 offset:376
	buffer_load_dword v3, off, s[0:3], 0 offset:380
	;; [unrolled: 1-line block ×48, first 2 shown]
	v_mov_b32_e32 v1, 0
	ds_read_b128 v[71:74], v1 offset:880
	ds_read_b128 v[75:78], v1 offset:896
	;; [unrolled: 1-line block ×3, first 2 shown]
	s_mov_b32 s4, exec_lo
	s_waitcnt vmcnt(46) lgkmcnt(2)
	v_mul_f64 v[130:131], v[73:74], v[2:3]
	v_mul_f64 v[2:3], v[71:72], v[2:3]
	s_waitcnt vmcnt(44) lgkmcnt(1)
	v_mul_f64 v[132:133], v[77:78], v[84:85]
	v_mul_f64 v[84:85], v[75:76], v[84:85]
	s_waitcnt vmcnt(42)
	v_fma_f64 v[130:131], v[71:72], v[86:87], -v[130:131]
	v_fma_f64 v[2:3], v[73:74], v[86:87], v[2:3]
	ds_read_b128 v[71:74], v1 offset:928
	s_waitcnt vmcnt(40) lgkmcnt(1)
	v_mul_f64 v[86:87], v[79:80], v[88:89]
	v_mul_f64 v[88:89], v[81:82], v[88:89]
	s_waitcnt vmcnt(38)
	v_fma_f64 v[132:133], v[75:76], v[90:91], -v[132:133]
	v_fma_f64 v[84:85], v[77:78], v[90:91], v[84:85]
	ds_read_b128 v[75:78], v1 offset:944
	s_waitcnt vmcnt(34) lgkmcnt(1)
	v_mul_f64 v[90:91], v[71:72], v[92:93]
	v_add_f64 v[130:131], v[130:131], 0
	v_add_f64 v[2:3], v[2:3], 0
	v_mul_f64 v[92:93], v[73:74], v[92:93]
	s_waitcnt vmcnt(32)
	v_fma_f64 v[88:89], v[79:80], v[98:99], -v[88:89]
	v_fma_f64 v[86:87], v[81:82], v[98:99], v[86:87]
	ds_read_b128 v[79:82], v1 offset:960
	s_waitcnt vmcnt(29)
	v_fma_f64 v[90:91], v[73:74], v[100:101], v[90:91]
	v_add_f64 v[130:131], v[130:131], v[132:133]
	v_add_f64 v[2:3], v[2:3], v[84:85]
	s_waitcnt lgkmcnt(1)
	v_mul_f64 v[84:85], v[75:76], v[94:95]
	v_mul_f64 v[94:95], v[77:78], v[94:95]
	v_fma_f64 v[92:93], v[71:72], v[100:101], -v[92:93]
	s_waitcnt vmcnt(25) lgkmcnt(0)
	v_mul_f64 v[98:99], v[81:82], v[102:103]
	ds_read_b128 v[71:74], v1 offset:976
	v_add_f64 v[88:89], v[130:131], v[88:89]
	v_add_f64 v[2:3], v[2:3], v[86:87]
	v_mul_f64 v[86:87], v[79:80], v[102:103]
	s_waitcnt vmcnt(24)
	v_fma_f64 v[94:95], v[75:76], v[96:97], -v[94:95]
	v_fma_f64 v[84:85], v[77:78], v[96:97], v[84:85]
	ds_read_b128 v[75:78], v1 offset:992
	s_waitcnt vmcnt(21)
	v_fma_f64 v[96:97], v[79:80], v[108:109], -v[98:99]
	v_add_f64 v[88:89], v[88:89], v[92:93]
	v_add_f64 v[2:3], v[2:3], v[90:91]
	s_waitcnt lgkmcnt(1)
	v_mul_f64 v[92:93], v[73:74], v[104:105]
	v_mul_f64 v[90:91], v[71:72], v[104:105]
	v_fma_f64 v[86:87], v[81:82], v[108:109], v[86:87]
	ds_read_b128 v[79:82], v1 offset:1008
	v_add_f64 v[88:89], v[88:89], v[94:95]
	v_add_f64 v[2:3], v[2:3], v[84:85]
	s_waitcnt vmcnt(17) lgkmcnt(1)
	v_mul_f64 v[94:95], v[77:78], v[110:111]
	s_waitcnt vmcnt(16)
	v_fma_f64 v[92:93], v[71:72], v[106:107], -v[92:93]
	v_mul_f64 v[84:85], v[75:76], v[110:111]
	v_fma_f64 v[90:91], v[73:74], v[106:107], v[90:91]
	ds_read_b128 v[71:74], v1 offset:1024
	v_add_f64 v[88:89], v[88:89], v[96:97]
	v_add_f64 v[2:3], v[2:3], v[86:87]
	s_waitcnt vmcnt(15) lgkmcnt(1)
	v_mul_f64 v[96:97], v[81:82], v[112:113]
	s_waitcnt vmcnt(13)
	v_fma_f64 v[94:95], v[75:76], v[116:117], -v[94:95]
	;; [unrolled: 9-line block ×3, first 2 shown]
	v_mul_f64 v[90:91], v[71:72], v[118:119]
	v_fma_f64 v[81:82], v[81:82], v[114:115], v[86:87]
	s_waitcnt vmcnt(7) lgkmcnt(0)
	v_mul_f64 v[86:87], v[77:78], v[120:121]
	v_add_f64 v[88:89], v[88:89], v[94:95]
	v_add_f64 v[2:3], v[2:3], v[84:85]
	s_waitcnt vmcnt(5)
	v_fma_f64 v[71:72], v[71:72], v[124:125], -v[92:93]
	v_mul_f64 v[84:85], v[75:76], v[120:121]
	v_fma_f64 v[73:74], v[73:74], v[124:125], v[90:91]
	s_waitcnt vmcnt(4)
	v_fma_f64 v[75:76], v[75:76], v[122:123], -v[86:87]
	v_add_f64 v[79:80], v[88:89], v[79:80]
	v_add_f64 v[2:3], v[2:3], v[81:82]
	v_fma_f64 v[77:78], v[77:78], v[122:123], v[84:85]
	v_add_f64 v[71:72], v[79:80], v[71:72]
	v_add_f64 v[2:3], v[2:3], v[73:74]
	;; [unrolled: 1-line block ×4, first 2 shown]
	s_waitcnt vmcnt(2)
	v_add_f64 v[71:72], v[126:127], -v[71:72]
	s_waitcnt vmcnt(0)
	v_add_f64 v[2:3], v[128:129], -v[2:3]
	buffer_store_dword v72, off, s[0:3], 0 offset:356
	buffer_store_dword v71, off, s[0:3], 0 offset:352
	;; [unrolled: 1-line block ×4, first 2 shown]
	v_cmpx_lt_u32_e32 20, v0
	s_cbranch_execz .LBB96_171
; %bb.170:
	v_mov_b32_e32 v2, s24
	s_clause 0x3
	buffer_load_dword v71, v2, s[0:3], 0 offen
	buffer_load_dword v72, v2, s[0:3], 0 offen offset:4
	buffer_load_dword v73, v2, s[0:3], 0 offen offset:8
	;; [unrolled: 1-line block ×3, first 2 shown]
	buffer_store_dword v1, off, s[0:3], 0 offset:336
	buffer_store_dword v1, off, s[0:3], 0 offset:340
	;; [unrolled: 1-line block ×4, first 2 shown]
	s_waitcnt vmcnt(0)
	ds_write_b128 v83, v[71:74]
.LBB96_171:
	s_or_b32 exec_lo, exec_lo, s4
	s_waitcnt lgkmcnt(0)
	s_waitcnt_vscnt null, 0x0
	s_barrier
	buffer_gl0_inv
	s_clause 0x2f
	buffer_load_dword v2, off, s[0:3], 0 offset:360
	buffer_load_dword v3, off, s[0:3], 0 offset:364
	;; [unrolled: 1-line block ×48, first 2 shown]
	ds_read_b128 v[71:74], v1 offset:864
	s_clause 0x3
	buffer_load_dword v130, off, s[0:3], 0 offset:336
	buffer_load_dword v131, off, s[0:3], 0 offset:340
	;; [unrolled: 1-line block ×4, first 2 shown]
	ds_read_b128 v[75:78], v1 offset:880
	ds_read_b128 v[79:82], v1 offset:896
	s_mov_b32 s4, exec_lo
	s_waitcnt vmcnt(50) lgkmcnt(2)
	v_mul_f64 v[134:135], v[73:74], v[2:3]
	v_mul_f64 v[2:3], v[71:72], v[2:3]
	s_waitcnt vmcnt(48) lgkmcnt(1)
	v_mul_f64 v[136:137], v[77:78], v[84:85]
	v_mul_f64 v[84:85], v[75:76], v[84:85]
	s_waitcnt vmcnt(46)
	v_fma_f64 v[134:135], v[71:72], v[86:87], -v[134:135]
	v_fma_f64 v[2:3], v[73:74], v[86:87], v[2:3]
	s_waitcnt vmcnt(44) lgkmcnt(0)
	v_mul_f64 v[86:87], v[79:80], v[88:89]
	v_mul_f64 v[88:89], v[81:82], v[88:89]
	s_waitcnt vmcnt(42)
	v_fma_f64 v[136:137], v[75:76], v[90:91], -v[136:137]
	ds_read_b128 v[71:74], v1 offset:912
	v_fma_f64 v[84:85], v[77:78], v[90:91], v[84:85]
	ds_read_b128 v[75:78], v1 offset:928
	v_add_f64 v[134:135], v[134:135], 0
	v_add_f64 v[2:3], v[2:3], 0
	s_waitcnt vmcnt(36)
	v_fma_f64 v[86:87], v[81:82], v[98:99], v[86:87]
	s_waitcnt lgkmcnt(1)
	v_mul_f64 v[90:91], v[71:72], v[92:93]
	v_mul_f64 v[92:93], v[73:74], v[92:93]
	v_fma_f64 v[88:89], v[79:80], v[98:99], -v[88:89]
	ds_read_b128 v[79:82], v1 offset:944
	v_add_f64 v[134:135], v[134:135], v[136:137]
	v_add_f64 v[2:3], v[2:3], v[84:85]
	s_waitcnt vmcnt(35) lgkmcnt(1)
	v_mul_f64 v[84:85], v[75:76], v[94:95]
	v_mul_f64 v[94:95], v[77:78], v[94:95]
	s_waitcnt vmcnt(33)
	v_fma_f64 v[92:93], v[71:72], v[100:101], -v[92:93]
	v_fma_f64 v[90:91], v[73:74], v[100:101], v[90:91]
	ds_read_b128 v[71:74], v1 offset:960
	s_waitcnt vmcnt(29) lgkmcnt(1)
	v_mul_f64 v[98:99], v[81:82], v[102:103]
	v_add_f64 v[88:89], v[134:135], v[88:89]
	v_add_f64 v[2:3], v[2:3], v[86:87]
	v_mul_f64 v[86:87], v[79:80], v[102:103]
	s_waitcnt vmcnt(28)
	v_fma_f64 v[94:95], v[75:76], v[96:97], -v[94:95]
	v_fma_f64 v[84:85], v[77:78], v[96:97], v[84:85]
	ds_read_b128 v[75:78], v1 offset:976
	s_waitcnt vmcnt(25)
	v_fma_f64 v[96:97], v[79:80], v[108:109], -v[98:99]
	v_add_f64 v[88:89], v[88:89], v[92:93]
	v_add_f64 v[2:3], v[2:3], v[90:91]
	s_waitcnt lgkmcnt(1)
	v_mul_f64 v[92:93], v[73:74], v[104:105]
	v_mul_f64 v[90:91], v[71:72], v[104:105]
	v_fma_f64 v[86:87], v[81:82], v[108:109], v[86:87]
	ds_read_b128 v[79:82], v1 offset:992
	v_add_f64 v[88:89], v[88:89], v[94:95]
	v_add_f64 v[2:3], v[2:3], v[84:85]
	s_waitcnt vmcnt(21) lgkmcnt(1)
	v_mul_f64 v[94:95], v[77:78], v[110:111]
	s_waitcnt vmcnt(20)
	v_fma_f64 v[92:93], v[71:72], v[106:107], -v[92:93]
	v_mul_f64 v[84:85], v[75:76], v[110:111]
	v_fma_f64 v[90:91], v[73:74], v[106:107], v[90:91]
	ds_read_b128 v[71:74], v1 offset:1008
	v_add_f64 v[88:89], v[88:89], v[96:97]
	v_add_f64 v[2:3], v[2:3], v[86:87]
	s_waitcnt vmcnt(19) lgkmcnt(1)
	v_mul_f64 v[96:97], v[81:82], v[112:113]
	s_waitcnt vmcnt(17)
	v_fma_f64 v[94:95], v[75:76], v[116:117], -v[94:95]
	;; [unrolled: 9-line block ×3, first 2 shown]
	v_mul_f64 v[90:91], v[71:72], v[118:119]
	v_fma_f64 v[81:82], v[81:82], v[114:115], v[86:87]
	s_waitcnt vmcnt(11) lgkmcnt(0)
	v_mul_f64 v[86:87], v[75:76], v[120:121]
	v_add_f64 v[88:89], v[88:89], v[94:95]
	v_add_f64 v[84:85], v[2:3], v[84:85]
	v_mul_f64 v[94:95], v[77:78], v[120:121]
	s_waitcnt vmcnt(9)
	v_fma_f64 v[71:72], v[71:72], v[124:125], -v[92:93]
	ds_read_b128 v[1:4], v1 offset:1040
	v_fma_f64 v[73:74], v[73:74], v[124:125], v[90:91]
	s_waitcnt vmcnt(6)
	v_fma_f64 v[77:78], v[77:78], v[122:123], v[86:87]
	v_add_f64 v[79:80], v[88:89], v[79:80]
	v_add_f64 v[81:82], v[84:85], v[81:82]
	s_waitcnt lgkmcnt(0)
	v_mul_f64 v[88:89], v[3:4], v[126:127]
	v_fma_f64 v[75:76], v[75:76], v[122:123], -v[94:95]
	v_mul_f64 v[84:85], v[1:2], v[126:127]
	v_add_f64 v[71:72], v[79:80], v[71:72]
	v_add_f64 v[73:74], v[81:82], v[73:74]
	s_waitcnt vmcnt(4)
	v_fma_f64 v[1:2], v[1:2], v[128:129], -v[88:89]
	v_fma_f64 v[3:4], v[3:4], v[128:129], v[84:85]
	v_add_f64 v[71:72], v[71:72], v[75:76]
	v_add_f64 v[73:74], v[73:74], v[77:78]
	;; [unrolled: 1-line block ×4, first 2 shown]
	s_waitcnt vmcnt(2)
	v_add_f64 v[1:2], v[130:131], -v[1:2]
	s_waitcnt vmcnt(0)
	v_add_f64 v[3:4], v[132:133], -v[3:4]
	buffer_store_dword v2, off, s[0:3], 0 offset:340
	buffer_store_dword v1, off, s[0:3], 0 offset:336
	buffer_store_dword v4, off, s[0:3], 0 offset:348
	buffer_store_dword v3, off, s[0:3], 0 offset:344
	v_cmpx_lt_u32_e32 19, v0
	s_cbranch_execz .LBB96_173
; %bb.172:
	v_mov_b32_e32 v4, s25
	v_mov_b32_e32 v71, 0
	s_clause 0x3
	buffer_load_dword v1, v4, s[0:3], 0 offen
	buffer_load_dword v2, v4, s[0:3], 0 offen offset:4
	buffer_load_dword v3, v4, s[0:3], 0 offen offset:8
	buffer_load_dword v4, v4, s[0:3], 0 offen offset:12
	buffer_store_dword v71, off, s[0:3], 0 offset:320
	buffer_store_dword v71, off, s[0:3], 0 offset:324
	;; [unrolled: 1-line block ×4, first 2 shown]
	s_waitcnt vmcnt(0)
	ds_write_b128 v83, v[1:4]
.LBB96_173:
	s_or_b32 exec_lo, exec_lo, s4
	s_waitcnt lgkmcnt(0)
	s_waitcnt_vscnt null, 0x0
	s_barrier
	buffer_gl0_inv
	s_clause 0x33
	buffer_load_dword v2, off, s[0:3], 0 offset:344
	buffer_load_dword v3, off, s[0:3], 0 offset:348
	buffer_load_dword v84, off, s[0:3], 0 offset:360
	buffer_load_dword v85, off, s[0:3], 0 offset:364
	buffer_load_dword v86, off, s[0:3], 0 offset:336
	buffer_load_dword v87, off, s[0:3], 0 offset:340
	buffer_load_dword v88, off, s[0:3], 0 offset:376
	buffer_load_dword v89, off, s[0:3], 0 offset:380
	buffer_load_dword v90, off, s[0:3], 0 offset:352
	buffer_load_dword v91, off, s[0:3], 0 offset:356
	buffer_load_dword v93, off, s[0:3], 0 offset:396
	buffer_load_dword v94, off, s[0:3], 0 offset:408
	buffer_load_dword v96, off, s[0:3], 0 offset:400
	buffer_load_dword v92, off, s[0:3], 0 offset:392
	buffer_load_dword v98, off, s[0:3], 0 offset:368
	buffer_load_dword v99, off, s[0:3], 0 offset:372
	buffer_load_dword v95, off, s[0:3], 0 offset:412
	buffer_load_dword v101, off, s[0:3], 0 offset:388
	buffer_load_dword v100, off, s[0:3], 0 offset:384
	buffer_load_dword v103, off, s[0:3], 0 offset:428
	buffer_load_dword v104, off, s[0:3], 0 offset:440
	buffer_load_dword v106, off, s[0:3], 0 offset:432
	buffer_load_dword v102, off, s[0:3], 0 offset:424
	buffer_load_dword v97, off, s[0:3], 0 offset:404
	buffer_load_dword v105, off, s[0:3], 0 offset:444
	buffer_load_dword v109, off, s[0:3], 0 offset:420
	buffer_load_dword v108, off, s[0:3], 0 offset:416
	buffer_load_dword v111, off, s[0:3], 0 offset:460
	buffer_load_dword v112, off, s[0:3], 0 offset:472
	buffer_load_dword v114, off, s[0:3], 0 offset:464
	buffer_load_dword v110, off, s[0:3], 0 offset:456
	buffer_load_dword v107, off, s[0:3], 0 offset:436
	buffer_load_dword v113, off, s[0:3], 0 offset:476
	buffer_load_dword v117, off, s[0:3], 0 offset:452
	buffer_load_dword v116, off, s[0:3], 0 offset:448
	buffer_load_dword v119, off, s[0:3], 0 offset:492
	buffer_load_dword v120, off, s[0:3], 0 offset:504
	buffer_load_dword v122, off, s[0:3], 0 offset:496
	buffer_load_dword v118, off, s[0:3], 0 offset:488
	buffer_load_dword v115, off, s[0:3], 0 offset:468
	buffer_load_dword v121, off, s[0:3], 0 offset:508
	buffer_load_dword v125, off, s[0:3], 0 offset:484
	buffer_load_dword v124, off, s[0:3], 0 offset:480
	buffer_load_dword v127, off, s[0:3], 0 offset:524
	buffer_load_dword v128, off, s[0:3], 0 offset:536
	buffer_load_dword v130, off, s[0:3], 0 offset:528
	buffer_load_dword v126, off, s[0:3], 0 offset:520
	buffer_load_dword v123, off, s[0:3], 0 offset:500
	buffer_load_dword v129, off, s[0:3], 0 offset:540
	buffer_load_dword v133, off, s[0:3], 0 offset:516
	buffer_load_dword v132, off, s[0:3], 0 offset:512
	buffer_load_dword v131, off, s[0:3], 0 offset:532
	v_mov_b32_e32 v1, 0
	ds_read_b128 v[71:74], v1 offset:848
	ds_read_b128 v[75:78], v1 offset:864
	s_clause 0x3
	buffer_load_dword v136, off, s[0:3], 0 offset:320
	buffer_load_dword v137, off, s[0:3], 0 offset:324
	;; [unrolled: 1-line block ×4, first 2 shown]
	ds_read_b128 v[79:82], v1 offset:880
	s_mov_b32 s4, exec_lo
	s_waitcnt vmcnt(54) lgkmcnt(2)
	v_mul_f64 v[134:135], v[73:74], v[2:3]
	v_mul_f64 v[2:3], v[71:72], v[2:3]
	s_waitcnt vmcnt(52) lgkmcnt(1)
	v_mul_f64 v[140:141], v[77:78], v[84:85]
	v_mul_f64 v[84:85], v[75:76], v[84:85]
	s_waitcnt vmcnt(50)
	v_fma_f64 v[134:135], v[71:72], v[86:87], -v[134:135]
	v_fma_f64 v[2:3], v[73:74], v[86:87], v[2:3]
	ds_read_b128 v[71:74], v1 offset:896
	s_waitcnt vmcnt(48) lgkmcnt(1)
	v_mul_f64 v[86:87], v[79:80], v[88:89]
	v_mul_f64 v[88:89], v[81:82], v[88:89]
	s_waitcnt vmcnt(46)
	v_fma_f64 v[140:141], v[75:76], v[90:91], -v[140:141]
	v_fma_f64 v[84:85], v[77:78], v[90:91], v[84:85]
	ds_read_b128 v[75:78], v1 offset:912
	s_waitcnt vmcnt(42) lgkmcnt(1)
	v_mul_f64 v[90:91], v[71:72], v[92:93]
	v_add_f64 v[134:135], v[134:135], 0
	v_add_f64 v[2:3], v[2:3], 0
	v_mul_f64 v[92:93], v[73:74], v[92:93]
	s_waitcnt vmcnt(40)
	v_fma_f64 v[88:89], v[79:80], v[98:99], -v[88:89]
	v_fma_f64 v[86:87], v[81:82], v[98:99], v[86:87]
	ds_read_b128 v[79:82], v1 offset:928
	s_waitcnt vmcnt(37)
	v_fma_f64 v[90:91], v[73:74], v[100:101], v[90:91]
	v_add_f64 v[134:135], v[134:135], v[140:141]
	v_add_f64 v[2:3], v[2:3], v[84:85]
	s_waitcnt lgkmcnt(1)
	v_mul_f64 v[84:85], v[75:76], v[94:95]
	v_mul_f64 v[94:95], v[77:78], v[94:95]
	v_fma_f64 v[92:93], v[71:72], v[100:101], -v[92:93]
	s_waitcnt vmcnt(33) lgkmcnt(0)
	v_mul_f64 v[98:99], v[81:82], v[102:103]
	ds_read_b128 v[71:74], v1 offset:944
	v_add_f64 v[88:89], v[134:135], v[88:89]
	v_add_f64 v[2:3], v[2:3], v[86:87]
	v_mul_f64 v[86:87], v[79:80], v[102:103]
	s_waitcnt vmcnt(32)
	v_fma_f64 v[94:95], v[75:76], v[96:97], -v[94:95]
	v_fma_f64 v[84:85], v[77:78], v[96:97], v[84:85]
	ds_read_b128 v[75:78], v1 offset:960
	s_waitcnt vmcnt(29)
	v_fma_f64 v[96:97], v[79:80], v[108:109], -v[98:99]
	v_add_f64 v[88:89], v[88:89], v[92:93]
	v_add_f64 v[2:3], v[2:3], v[90:91]
	s_waitcnt lgkmcnt(1)
	v_mul_f64 v[92:93], v[73:74], v[104:105]
	v_mul_f64 v[90:91], v[71:72], v[104:105]
	v_fma_f64 v[86:87], v[81:82], v[108:109], v[86:87]
	ds_read_b128 v[79:82], v1 offset:976
	v_add_f64 v[88:89], v[88:89], v[94:95]
	v_add_f64 v[2:3], v[2:3], v[84:85]
	s_waitcnt vmcnt(25) lgkmcnt(1)
	v_mul_f64 v[94:95], v[77:78], v[110:111]
	s_waitcnt vmcnt(24)
	v_fma_f64 v[92:93], v[71:72], v[106:107], -v[92:93]
	v_mul_f64 v[84:85], v[75:76], v[110:111]
	v_fma_f64 v[90:91], v[73:74], v[106:107], v[90:91]
	ds_read_b128 v[71:74], v1 offset:992
	v_add_f64 v[88:89], v[88:89], v[96:97]
	v_add_f64 v[2:3], v[2:3], v[86:87]
	s_waitcnt vmcnt(23) lgkmcnt(1)
	v_mul_f64 v[96:97], v[81:82], v[112:113]
	s_waitcnt vmcnt(21)
	v_fma_f64 v[94:95], v[75:76], v[116:117], -v[94:95]
	;; [unrolled: 9-line block ×5, first 2 shown]
	v_mul_f64 v[86:87], v[79:80], v[126:127]
	v_fma_f64 v[77:78], v[77:78], v[122:123], v[84:85]
	s_waitcnt vmcnt(7) lgkmcnt(0)
	v_mul_f64 v[84:85], v[71:72], v[128:129]
	v_add_f64 v[88:89], v[88:89], v[92:93]
	v_add_f64 v[2:3], v[2:3], v[90:91]
	v_mul_f64 v[90:91], v[73:74], v[128:129]
	s_waitcnt vmcnt(5)
	v_fma_f64 v[79:80], v[79:80], v[132:133], -v[96:97]
	v_fma_f64 v[81:82], v[81:82], v[132:133], v[86:87]
	s_waitcnt vmcnt(4)
	v_fma_f64 v[73:74], v[73:74], v[130:131], v[84:85]
	v_add_f64 v[75:76], v[88:89], v[75:76]
	v_add_f64 v[2:3], v[2:3], v[77:78]
	v_fma_f64 v[71:72], v[71:72], v[130:131], -v[90:91]
	v_add_f64 v[75:76], v[75:76], v[79:80]
	v_add_f64 v[2:3], v[2:3], v[81:82]
	;; [unrolled: 1-line block ×4, first 2 shown]
	s_waitcnt vmcnt(2)
	v_add_f64 v[71:72], v[136:137], -v[71:72]
	s_waitcnt vmcnt(0)
	v_add_f64 v[2:3], v[138:139], -v[2:3]
	buffer_store_dword v72, off, s[0:3], 0 offset:324
	buffer_store_dword v71, off, s[0:3], 0 offset:320
	;; [unrolled: 1-line block ×4, first 2 shown]
	v_cmpx_lt_u32_e32 18, v0
	s_cbranch_execz .LBB96_175
; %bb.174:
	v_mov_b32_e32 v2, s26
	s_clause 0x3
	buffer_load_dword v71, v2, s[0:3], 0 offen
	buffer_load_dword v72, v2, s[0:3], 0 offen offset:4
	buffer_load_dword v73, v2, s[0:3], 0 offen offset:8
	;; [unrolled: 1-line block ×3, first 2 shown]
	buffer_store_dword v1, off, s[0:3], 0 offset:304
	buffer_store_dword v1, off, s[0:3], 0 offset:308
	;; [unrolled: 1-line block ×4, first 2 shown]
	s_waitcnt vmcnt(0)
	ds_write_b128 v83, v[71:74]
.LBB96_175:
	s_or_b32 exec_lo, exec_lo, s4
	s_waitcnt lgkmcnt(0)
	s_waitcnt_vscnt null, 0x0
	s_barrier
	buffer_gl0_inv
	s_clause 0x35
	buffer_load_dword v2, off, s[0:3], 0 offset:328
	buffer_load_dword v3, off, s[0:3], 0 offset:332
	;; [unrolled: 1-line block ×54, first 2 shown]
	ds_read_b128 v[71:74], v1 offset:832
	s_clause 0x1
	buffer_load_dword v137, off, s[0:3], 0 offset:532
	buffer_load_dword v136, off, s[0:3], 0 offset:528
	ds_read_b128 v[75:78], v1 offset:848
	ds_read_b128 v[79:82], v1 offset:864
	s_mov_b32 s4, exec_lo
	s_waitcnt vmcnt(54) lgkmcnt(2)
	v_mul_f64 v[138:139], v[73:74], v[2:3]
	v_mul_f64 v[2:3], v[71:72], v[2:3]
	s_waitcnt vmcnt(52) lgkmcnt(1)
	v_mul_f64 v[140:141], v[77:78], v[84:85]
	v_mul_f64 v[84:85], v[75:76], v[84:85]
	;; [unrolled: 3-line block ×3, first 2 shown]
	v_fma_f64 v[138:139], v[71:72], v[86:87], -v[138:139]
	v_fma_f64 v[2:3], v[73:74], v[86:87], v[2:3]
	s_clause 0x3
	buffer_load_dword v86, off, s[0:3], 0 offset:304
	buffer_load_dword v87, off, s[0:3], 0 offset:308
	;; [unrolled: 1-line block ×4, first 2 shown]
	s_waitcnt vmcnt(50)
	v_fma_f64 v[140:141], v[75:76], v[90:91], -v[140:141]
	ds_read_b128 v[71:74], v1 offset:880
	v_fma_f64 v[84:85], v[77:78], v[90:91], v[84:85]
	ds_read_b128 v[75:78], v1 offset:896
	s_waitcnt vmcnt(46)
	v_fma_f64 v[88:89], v[79:80], v[94:95], -v[88:89]
	v_fma_f64 v[94:95], v[81:82], v[94:95], v[144:145]
	ds_read_b128 v[79:82], v1 offset:912
	v_add_f64 v[138:139], v[138:139], 0
	v_add_f64 v[2:3], v[2:3], 0
	s_waitcnt lgkmcnt(2)
	v_mul_f64 v[90:91], v[71:72], v[92:93]
	v_mul_f64 v[92:93], v[73:74], v[92:93]
	v_add_f64 v[138:139], v[138:139], v[140:141]
	v_add_f64 v[2:3], v[2:3], v[84:85]
	s_waitcnt vmcnt(44) lgkmcnt(1)
	v_mul_f64 v[84:85], v[75:76], v[96:97]
	v_mul_f64 v[96:97], v[77:78], v[96:97]
	s_waitcnt vmcnt(42)
	v_fma_f64 v[92:93], v[71:72], v[98:99], -v[92:93]
	v_fma_f64 v[90:91], v[73:74], v[98:99], v[90:91]
	ds_read_b128 v[71:74], v1 offset:928
	s_waitcnt vmcnt(40) lgkmcnt(1)
	v_mul_f64 v[98:99], v[81:82], v[100:101]
	v_add_f64 v[88:89], v[138:139], v[88:89]
	v_add_f64 v[2:3], v[2:3], v[94:95]
	v_mul_f64 v[94:95], v[79:80], v[100:101]
	s_waitcnt vmcnt(38)
	v_fma_f64 v[96:97], v[75:76], v[102:103], -v[96:97]
	v_fma_f64 v[84:85], v[77:78], v[102:103], v[84:85]
	ds_read_b128 v[75:78], v1 offset:944
	s_waitcnt vmcnt(34)
	v_fma_f64 v[98:99], v[79:80], v[106:107], -v[98:99]
	v_add_f64 v[88:89], v[88:89], v[92:93]
	v_add_f64 v[2:3], v[2:3], v[90:91]
	s_waitcnt lgkmcnt(1)
	v_mul_f64 v[92:93], v[73:74], v[104:105]
	v_mul_f64 v[90:91], v[71:72], v[104:105]
	v_fma_f64 v[94:95], v[81:82], v[106:107], v[94:95]
	ds_read_b128 v[79:82], v1 offset:960
	v_add_f64 v[88:89], v[88:89], v[96:97]
	v_add_f64 v[2:3], v[2:3], v[84:85]
	s_waitcnt vmcnt(32) lgkmcnt(1)
	v_mul_f64 v[96:97], v[77:78], v[108:109]
	s_waitcnt vmcnt(30)
	v_fma_f64 v[92:93], v[71:72], v[110:111], -v[92:93]
	v_mul_f64 v[84:85], v[75:76], v[108:109]
	v_fma_f64 v[90:91], v[73:74], v[110:111], v[90:91]
	ds_read_b128 v[71:74], v1 offset:976
	v_add_f64 v[88:89], v[88:89], v[98:99]
	v_add_f64 v[2:3], v[2:3], v[94:95]
	s_waitcnt vmcnt(28) lgkmcnt(1)
	v_mul_f64 v[98:99], v[81:82], v[112:113]
	s_waitcnt vmcnt(26)
	v_fma_f64 v[96:97], v[75:76], v[114:115], -v[96:97]
	;; [unrolled: 9-line block ×5, first 2 shown]
	v_mul_f64 v[94:95], v[79:80], v[124:125]
	v_fma_f64 v[77:78], v[77:78], v[126:127], v[84:85]
	v_add_f64 v[88:89], v[88:89], v[92:93]
	v_add_f64 v[84:85], v[2:3], v[90:91]
	s_waitcnt vmcnt(12) lgkmcnt(0)
	v_mul_f64 v[92:93], v[73:74], v[128:129]
	s_waitcnt vmcnt(10)
	v_fma_f64 v[79:80], v[79:80], v[130:131], -v[98:99]
	ds_read_b128 v[1:4], v1 offset:1040
	v_mul_f64 v[90:91], v[71:72], v[128:129]
	v_fma_f64 v[81:82], v[81:82], v[130:131], v[94:95]
	v_add_f64 v[75:76], v[88:89], v[75:76]
	v_add_f64 v[77:78], v[84:85], v[77:78]
	s_waitcnt vmcnt(8) lgkmcnt(0)
	v_mul_f64 v[88:89], v[3:4], v[132:133]
	s_waitcnt vmcnt(6)
	v_fma_f64 v[71:72], v[71:72], v[134:135], -v[92:93]
	v_mul_f64 v[84:85], v[1:2], v[132:133]
	v_fma_f64 v[73:74], v[73:74], v[134:135], v[90:91]
	v_add_f64 v[75:76], v[75:76], v[79:80]
	v_add_f64 v[77:78], v[77:78], v[81:82]
	s_waitcnt vmcnt(4)
	v_fma_f64 v[1:2], v[1:2], v[136:137], -v[88:89]
	v_fma_f64 v[3:4], v[3:4], v[136:137], v[84:85]
	v_add_f64 v[71:72], v[75:76], v[71:72]
	v_add_f64 v[73:74], v[77:78], v[73:74]
	;; [unrolled: 1-line block ×4, first 2 shown]
	s_waitcnt vmcnt(2)
	v_add_f64 v[1:2], v[86:87], -v[1:2]
	s_waitcnt vmcnt(0)
	v_add_f64 v[3:4], v[142:143], -v[3:4]
	buffer_store_dword v2, off, s[0:3], 0 offset:308
	buffer_store_dword v1, off, s[0:3], 0 offset:304
	buffer_store_dword v4, off, s[0:3], 0 offset:316
	buffer_store_dword v3, off, s[0:3], 0 offset:312
	v_cmpx_lt_u32_e32 17, v0
	s_cbranch_execz .LBB96_177
; %bb.176:
	v_mov_b32_e32 v4, s27
	v_mov_b32_e32 v71, 0
	s_clause 0x3
	buffer_load_dword v1, v4, s[0:3], 0 offen
	buffer_load_dword v2, v4, s[0:3], 0 offen offset:4
	buffer_load_dword v3, v4, s[0:3], 0 offen offset:8
	;; [unrolled: 1-line block ×3, first 2 shown]
	buffer_store_dword v71, off, s[0:3], 0 offset:288
	buffer_store_dword v71, off, s[0:3], 0 offset:292
	;; [unrolled: 1-line block ×4, first 2 shown]
	s_waitcnt vmcnt(0)
	ds_write_b128 v83, v[1:4]
.LBB96_177:
	s_or_b32 exec_lo, exec_lo, s4
	s_waitcnt lgkmcnt(0)
	s_waitcnt_vscnt null, 0x0
	s_barrier
	buffer_gl0_inv
	s_clause 0x37
	buffer_load_dword v2, off, s[0:3], 0 offset:312
	buffer_load_dword v3, off, s[0:3], 0 offset:316
	;; [unrolled: 1-line block ×56, first 2 shown]
	v_mov_b32_e32 v1, 0
	s_mov_b32 s4, exec_lo
	ds_read_b128 v[71:74], v1 offset:816
	s_clause 0x2
	buffer_load_dword v137, off, s[0:3], 0 offset:540
	buffer_load_dword v141, off, s[0:3], 0 offset:516
	buffer_load_dword v140, off, s[0:3], 0 offset:512
	ds_read_b128 v[75:78], v1 offset:832
	ds_read_b128 v[79:82], v1 offset:848
	buffer_load_dword v139, off, s[0:3], 0 offset:532
	s_waitcnt vmcnt(58) lgkmcnt(2)
	v_mul_f64 v[142:143], v[73:74], v[2:3]
	v_mul_f64 v[2:3], v[71:72], v[2:3]
	s_waitcnt vmcnt(56) lgkmcnt(1)
	v_mul_f64 v[144:145], v[77:78], v[84:85]
	v_mul_f64 v[84:85], v[75:76], v[84:85]
	s_waitcnt vmcnt(54)
	v_fma_f64 v[142:143], v[71:72], v[86:87], -v[142:143]
	v_fma_f64 v[2:3], v[73:74], v[86:87], v[2:3]
	s_waitcnt vmcnt(52) lgkmcnt(0)
	v_mul_f64 v[86:87], v[79:80], v[88:89]
	v_mul_f64 v[88:89], v[81:82], v[88:89]
	s_waitcnt vmcnt(50)
	v_fma_f64 v[144:145], v[75:76], v[90:91], -v[144:145]
	ds_read_b128 v[71:74], v1 offset:864
	v_fma_f64 v[84:85], v[77:78], v[90:91], v[84:85]
	s_clause 0x3
	buffer_load_dword v90, off, s[0:3], 0 offset:288
	buffer_load_dword v91, off, s[0:3], 0 offset:292
	;; [unrolled: 1-line block ×4, first 2 shown]
	ds_read_b128 v[75:78], v1 offset:880
	v_add_f64 v[142:143], v[142:143], 0
	v_add_f64 v[2:3], v[2:3], 0
	s_waitcnt vmcnt(48)
	v_fma_f64 v[86:87], v[81:82], v[98:99], v[86:87]
	s_waitcnt lgkmcnt(1)
	v_mul_f64 v[148:149], v[71:72], v[92:93]
	v_mul_f64 v[92:93], v[73:74], v[92:93]
	v_fma_f64 v[88:89], v[79:80], v[98:99], -v[88:89]
	ds_read_b128 v[79:82], v1 offset:896
	v_add_f64 v[142:143], v[142:143], v[144:145]
	v_add_f64 v[2:3], v[2:3], v[84:85]
	s_waitcnt vmcnt(47) lgkmcnt(1)
	v_mul_f64 v[84:85], v[75:76], v[94:95]
	v_mul_f64 v[94:95], v[77:78], v[94:95]
	s_waitcnt vmcnt(45)
	v_fma_f64 v[92:93], v[71:72], v[100:101], -v[92:93]
	v_fma_f64 v[98:99], v[73:74], v[100:101], v[148:149]
	s_waitcnt vmcnt(41) lgkmcnt(0)
	v_mul_f64 v[100:101], v[81:82], v[102:103]
	ds_read_b128 v[71:74], v1 offset:912
	v_add_f64 v[88:89], v[142:143], v[88:89]
	v_add_f64 v[2:3], v[2:3], v[86:87]
	v_mul_f64 v[86:87], v[79:80], v[102:103]
	s_waitcnt vmcnt(40)
	v_fma_f64 v[94:95], v[75:76], v[96:97], -v[94:95]
	v_fma_f64 v[84:85], v[77:78], v[96:97], v[84:85]
	ds_read_b128 v[75:78], v1 offset:928
	s_waitcnt vmcnt(39) lgkmcnt(1)
	v_mul_f64 v[96:97], v[73:74], v[104:105]
	v_add_f64 v[88:89], v[88:89], v[92:93]
	v_add_f64 v[2:3], v[2:3], v[98:99]
	s_waitcnt vmcnt(37)
	v_fma_f64 v[98:99], v[79:80], v[108:109], -v[100:101]
	v_mul_f64 v[92:93], v[71:72], v[104:105]
	v_fma_f64 v[86:87], v[81:82], v[108:109], v[86:87]
	ds_read_b128 v[79:82], v1 offset:944
	s_waitcnt vmcnt(32)
	v_fma_f64 v[96:97], v[71:72], v[106:107], -v[96:97]
	v_add_f64 v[88:89], v[88:89], v[94:95]
	v_add_f64 v[2:3], v[2:3], v[84:85]
	s_waitcnt lgkmcnt(1)
	v_mul_f64 v[94:95], v[77:78], v[110:111]
	v_mul_f64 v[84:85], v[75:76], v[110:111]
	v_fma_f64 v[92:93], v[73:74], v[106:107], v[92:93]
	ds_read_b128 v[71:74], v1 offset:960
	v_add_f64 v[88:89], v[88:89], v[98:99]
	v_add_f64 v[2:3], v[2:3], v[86:87]
	s_waitcnt vmcnt(31) lgkmcnt(1)
	v_mul_f64 v[98:99], v[81:82], v[112:113]
	s_waitcnt vmcnt(29)
	v_fma_f64 v[94:95], v[75:76], v[116:117], -v[94:95]
	v_mul_f64 v[86:87], v[79:80], v[112:113]
	v_fma_f64 v[84:85], v[77:78], v[116:117], v[84:85]
	ds_read_b128 v[75:78], v1 offset:976
	v_add_f64 v[88:89], v[88:89], v[96:97]
	v_add_f64 v[2:3], v[2:3], v[92:93]
	s_waitcnt vmcnt(25) lgkmcnt(1)
	v_mul_f64 v[96:97], v[73:74], v[118:119]
	s_waitcnt vmcnt(24)
	v_fma_f64 v[98:99], v[79:80], v[114:115], -v[98:99]
	;; [unrolled: 9-line block ×6, first 2 shown]
	v_mul_f64 v[84:85], v[75:76], v[134:135]
	v_fma_f64 v[73:74], v[73:74], v[130:131], v[92:93]
	s_waitcnt vmcnt(7) lgkmcnt(0)
	v_mul_f64 v[92:93], v[81:82], v[136:137]
	v_add_f64 v[88:89], v[88:89], v[98:99]
	v_add_f64 v[2:3], v[2:3], v[86:87]
	s_waitcnt vmcnt(5)
	v_fma_f64 v[75:76], v[75:76], v[140:141], -v[94:95]
	v_mul_f64 v[86:87], v[79:80], v[136:137]
	v_fma_f64 v[77:78], v[77:78], v[140:141], v[84:85]
	v_add_f64 v[71:72], v[88:89], v[71:72]
	v_add_f64 v[2:3], v[2:3], v[73:74]
	s_waitcnt vmcnt(4)
	v_fma_f64 v[73:74], v[79:80], v[138:139], -v[92:93]
	v_add_f64 v[71:72], v[71:72], v[75:76]
	v_fma_f64 v[75:76], v[81:82], v[138:139], v[86:87]
	v_add_f64 v[2:3], v[2:3], v[77:78]
	v_add_f64 v[71:72], v[71:72], v[73:74]
	;; [unrolled: 1-line block ×3, first 2 shown]
	s_waitcnt vmcnt(2)
	v_add_f64 v[71:72], v[90:91], -v[71:72]
	s_waitcnt vmcnt(0)
	v_add_f64 v[2:3], v[146:147], -v[2:3]
	buffer_store_dword v72, off, s[0:3], 0 offset:292
	buffer_store_dword v71, off, s[0:3], 0 offset:288
	;; [unrolled: 1-line block ×4, first 2 shown]
	v_cmpx_lt_u32_e32 16, v0
	s_cbranch_execz .LBB96_179
; %bb.178:
	v_mov_b32_e32 v2, s28
	s_clause 0x3
	buffer_load_dword v71, v2, s[0:3], 0 offen
	buffer_load_dword v72, v2, s[0:3], 0 offen offset:4
	buffer_load_dword v73, v2, s[0:3], 0 offen offset:8
	;; [unrolled: 1-line block ×3, first 2 shown]
	buffer_store_dword v1, off, s[0:3], 0 offset:272
	buffer_store_dword v1, off, s[0:3], 0 offset:276
	;; [unrolled: 1-line block ×4, first 2 shown]
	s_waitcnt vmcnt(0)
	ds_write_b128 v83, v[71:74]
.LBB96_179:
	s_or_b32 exec_lo, exec_lo, s4
	s_waitcnt lgkmcnt(0)
	s_waitcnt_vscnt null, 0x0
	s_barrier
	buffer_gl0_inv
	s_clause 0x37
	buffer_load_dword v2, off, s[0:3], 0 offset:296
	buffer_load_dword v3, off, s[0:3], 0 offset:300
	;; [unrolled: 1-line block ×56, first 2 shown]
	ds_read_b128 v[71:74], v1 offset:800
	s_clause 0x2
	buffer_load_dword v137, off, s[0:3], 0 offset:524
	buffer_load_dword v141, off, s[0:3], 0 offset:500
	;; [unrolled: 1-line block ×3, first 2 shown]
	ds_read_b128 v[75:78], v1 offset:816
	s_clause 0x2
	buffer_load_dword v145, off, s[0:3], 0 offset:540
	buffer_load_dword v144, off, s[0:3], 0 offset:536
	;; [unrolled: 1-line block ×3, first 2 shown]
	ds_read_b128 v[79:82], v1 offset:832
	s_mov_b32 s4, exec_lo
	s_waitcnt vmcnt(60) lgkmcnt(2)
	v_mul_f64 v[142:143], v[73:74], v[2:3]
	v_mul_f64 v[2:3], v[71:72], v[2:3]
	s_waitcnt vmcnt(58) lgkmcnt(1)
	v_mul_f64 v[146:147], v[77:78], v[84:85]
	v_mul_f64 v[84:85], v[75:76], v[84:85]
	;; [unrolled: 3-line block ×3, first 2 shown]
	v_fma_f64 v[142:143], v[71:72], v[86:87], -v[142:143]
	v_fma_f64 v[2:3], v[73:74], v[86:87], v[2:3]
	s_clause 0x1
	buffer_load_dword v87, off, s[0:3], 0 offset:532
	buffer_load_dword v86, off, s[0:3], 0 offset:528
	s_waitcnt vmcnt(54)
	v_fma_f64 v[146:147], v[75:76], v[90:91], -v[146:147]
	ds_read_b128 v[71:74], v1 offset:848
	v_fma_f64 v[84:85], v[77:78], v[90:91], v[84:85]
	ds_read_b128 v[75:78], v1 offset:864
	s_waitcnt vmcnt(48)
	v_fma_f64 v[88:89], v[79:80], v[98:99], -v[88:89]
	v_fma_f64 v[98:99], v[81:82], v[98:99], v[148:149]
	v_add_f64 v[142:143], v[142:143], 0
	v_add_f64 v[2:3], v[2:3], 0
	s_waitcnt lgkmcnt(1)
	v_mul_f64 v[90:91], v[71:72], v[92:93]
	v_mul_f64 v[92:93], v[73:74], v[92:93]
	s_waitcnt vmcnt(47) lgkmcnt(0)
	v_mul_f64 v[148:149], v[75:76], v[94:95]
	v_mul_f64 v[94:95], v[77:78], v[94:95]
	v_add_f64 v[142:143], v[142:143], v[146:147]
	v_add_f64 v[2:3], v[2:3], v[84:85]
	s_clause 0x3
	buffer_load_dword v84, off, s[0:3], 0 offset:272
	buffer_load_dword v85, off, s[0:3], 0 offset:276
	;; [unrolled: 1-line block ×4, first 2 shown]
	s_waitcnt vmcnt(49)
	v_fma_f64 v[92:93], v[71:72], v[100:101], -v[92:93]
	ds_read_b128 v[79:82], v1 offset:880
	v_fma_f64 v[90:91], v[73:74], v[100:101], v[90:91]
	ds_read_b128 v[71:74], v1 offset:896
	s_waitcnt vmcnt(44)
	v_fma_f64 v[94:95], v[75:76], v[96:97], -v[94:95]
	v_add_f64 v[88:89], v[142:143], v[88:89]
	v_add_f64 v[2:3], v[2:3], v[98:99]
	s_waitcnt lgkmcnt(1)
	v_mul_f64 v[100:101], v[81:82], v[102:103]
	v_mul_f64 v[98:99], v[79:80], v[102:103]
	v_add_f64 v[88:89], v[88:89], v[92:93]
	v_fma_f64 v[92:93], v[77:78], v[96:97], v[148:149]
	v_add_f64 v[2:3], v[2:3], v[90:91]
	s_waitcnt vmcnt(43) lgkmcnt(0)
	v_mul_f64 v[96:97], v[73:74], v[104:105]
	s_waitcnt vmcnt(41)
	v_fma_f64 v[100:101], v[79:80], v[108:109], -v[100:101]
	ds_read_b128 v[75:78], v1 offset:912
	v_mul_f64 v[90:91], v[71:72], v[104:105]
	v_add_f64 v[88:89], v[88:89], v[94:95]
	v_fma_f64 v[94:95], v[81:82], v[108:109], v[98:99]
	v_add_f64 v[2:3], v[2:3], v[92:93]
	ds_read_b128 v[79:82], v1 offset:928
	s_waitcnt vmcnt(37) lgkmcnt(1)
	v_mul_f64 v[98:99], v[77:78], v[110:111]
	s_waitcnt vmcnt(36)
	v_fma_f64 v[96:97], v[71:72], v[106:107], -v[96:97]
	v_mul_f64 v[92:93], v[75:76], v[110:111]
	v_fma_f64 v[90:91], v[73:74], v[106:107], v[90:91]
	ds_read_b128 v[71:74], v1 offset:944
	v_add_f64 v[88:89], v[88:89], v[100:101]
	s_waitcnt vmcnt(35) lgkmcnt(1)
	v_mul_f64 v[100:101], v[81:82], v[112:113]
	v_add_f64 v[2:3], v[2:3], v[94:95]
	v_mul_f64 v[94:95], v[79:80], v[112:113]
	s_waitcnt vmcnt(33)
	v_fma_f64 v[98:99], v[75:76], v[116:117], -v[98:99]
	v_fma_f64 v[92:93], v[77:78], v[116:117], v[92:93]
	ds_read_b128 v[75:78], v1 offset:960
	v_add_f64 v[88:89], v[88:89], v[96:97]
	s_waitcnt vmcnt(29) lgkmcnt(1)
	v_mul_f64 v[96:97], v[73:74], v[118:119]
	v_add_f64 v[2:3], v[2:3], v[90:91]
	s_waitcnt vmcnt(28)
	v_fma_f64 v[100:101], v[79:80], v[114:115], -v[100:101]
	v_mul_f64 v[90:91], v[71:72], v[118:119]
	v_fma_f64 v[94:95], v[81:82], v[114:115], v[94:95]
	ds_read_b128 v[79:82], v1 offset:976
	v_add_f64 v[88:89], v[88:89], v[98:99]
	s_waitcnt vmcnt(27) lgkmcnt(1)
	v_mul_f64 v[98:99], v[77:78], v[120:121]
	v_add_f64 v[2:3], v[2:3], v[92:93]
	s_waitcnt vmcnt(25)
	v_fma_f64 v[96:97], v[71:72], v[124:125], -v[96:97]
	v_mul_f64 v[92:93], v[75:76], v[120:121]
	;; [unrolled: 9-line block ×5, first 2 shown]
	v_fma_f64 v[73:74], v[73:74], v[130:131], v[90:91]
	s_waitcnt vmcnt(11) lgkmcnt(0)
	v_mul_f64 v[96:97], v[81:82], v[136:137]
	v_add_f64 v[88:89], v[88:89], v[100:101]
	s_waitcnt vmcnt(9)
	v_fma_f64 v[75:76], v[75:76], v[140:141], -v[98:99]
	v_add_f64 v[90:91], v[2:3], v[94:95]
	ds_read_b128 v[1:4], v1 offset:1040
	v_mul_f64 v[94:95], v[79:80], v[136:137]
	v_fma_f64 v[77:78], v[77:78], v[140:141], v[92:93]
	s_waitcnt vmcnt(6)
	v_fma_f64 v[79:80], v[79:80], v[138:139], -v[96:97]
	v_add_f64 v[71:72], v[88:89], v[71:72]
	s_waitcnt lgkmcnt(0)
	v_mul_f64 v[88:89], v[1:2], v[144:145]
	v_add_f64 v[73:74], v[90:91], v[73:74]
	v_mul_f64 v[90:91], v[3:4], v[144:145]
	v_add_f64 v[71:72], v[71:72], v[75:76]
	v_fma_f64 v[75:76], v[81:82], v[138:139], v[94:95]
	v_add_f64 v[73:74], v[73:74], v[77:78]
	s_waitcnt vmcnt(4)
	v_fma_f64 v[1:2], v[1:2], v[86:87], -v[90:91]
	v_fma_f64 v[3:4], v[3:4], v[86:87], v[88:89]
	v_add_f64 v[71:72], v[71:72], v[79:80]
	v_add_f64 v[73:74], v[73:74], v[75:76]
	v_add_f64 v[1:2], v[71:72], v[1:2]
	v_add_f64 v[3:4], v[73:74], v[3:4]
	s_waitcnt vmcnt(2)
	v_add_f64 v[1:2], v[84:85], -v[1:2]
	s_waitcnt vmcnt(0)
	v_add_f64 v[3:4], v[146:147], -v[3:4]
	buffer_store_dword v2, off, s[0:3], 0 offset:276
	buffer_store_dword v1, off, s[0:3], 0 offset:272
	;; [unrolled: 1-line block ×4, first 2 shown]
	v_cmpx_lt_u32_e32 15, v0
	s_cbranch_execz .LBB96_181
; %bb.180:
	v_mov_b32_e32 v4, s29
	v_mov_b32_e32 v71, 0
	s_clause 0x3
	buffer_load_dword v1, v4, s[0:3], 0 offen
	buffer_load_dword v2, v4, s[0:3], 0 offen offset:4
	buffer_load_dword v3, v4, s[0:3], 0 offen offset:8
	;; [unrolled: 1-line block ×3, first 2 shown]
	buffer_store_dword v71, off, s[0:3], 0 offset:256
	buffer_store_dword v71, off, s[0:3], 0 offset:260
	;; [unrolled: 1-line block ×4, first 2 shown]
	s_waitcnt vmcnt(0)
	ds_write_b128 v83, v[1:4]
.LBB96_181:
	s_or_b32 exec_lo, exec_lo, s4
	s_waitcnt lgkmcnt(0)
	s_waitcnt_vscnt null, 0x0
	s_barrier
	buffer_gl0_inv
	s_clause 0x37
	buffer_load_dword v2, off, s[0:3], 0 offset:280
	buffer_load_dword v3, off, s[0:3], 0 offset:284
	;; [unrolled: 1-line block ×56, first 2 shown]
	v_mov_b32_e32 v1, 0
	s_mov_b32 s4, exec_lo
	ds_read_b128 v[71:74], v1 offset:784
	s_clause 0x2
	buffer_load_dword v137, off, s[0:3], 0 offset:508
	buffer_load_dword v141, off, s[0:3], 0 offset:484
	;; [unrolled: 1-line block ×3, first 2 shown]
	ds_read_b128 v[75:78], v1 offset:800
	s_clause 0x4
	buffer_load_dword v145, off, s[0:3], 0 offset:524
	buffer_load_dword v146, off, s[0:3], 0 offset:536
	;; [unrolled: 1-line block ×5, first 2 shown]
	ds_read_b128 v[79:82], v1 offset:816
	s_waitcnt vmcnt(62) lgkmcnt(2)
	v_mul_f64 v[142:143], v[73:74], v[2:3]
	v_mul_f64 v[2:3], v[71:72], v[2:3]
	s_waitcnt vmcnt(60) lgkmcnt(1)
	v_mul_f64 v[149:150], v[77:78], v[84:85]
	v_mul_f64 v[84:85], v[75:76], v[84:85]
	;; [unrolled: 3-line block ×3, first 2 shown]
	v_fma_f64 v[142:143], v[71:72], v[86:87], -v[142:143]
	v_fma_f64 v[2:3], v[73:74], v[86:87], v[2:3]
	s_clause 0x2
	buffer_load_dword v147, off, s[0:3], 0 offset:540
	buffer_load_dword v87, off, s[0:3], 0 offset:516
	;; [unrolled: 1-line block ×3, first 2 shown]
	s_waitcnt vmcnt(57)
	v_fma_f64 v[153:154], v[75:76], v[90:91], -v[149:150]
	ds_read_b128 v[71:74], v1 offset:832
	v_fma_f64 v[84:85], v[77:78], v[90:91], v[84:85]
	buffer_load_dword v149, off, s[0:3], 0 offset:532
	ds_read_b128 v[75:78], v1 offset:848
	s_waitcnt vmcnt(52)
	v_fma_f64 v[88:89], v[79:80], v[98:99], -v[88:89]
	v_fma_f64 v[98:99], v[81:82], v[98:99], v[151:152]
	ds_read_b128 v[79:82], v1 offset:864
	v_add_f64 v[142:143], v[142:143], 0
	v_add_f64 v[2:3], v[2:3], 0
	s_waitcnt lgkmcnt(2)
	v_mul_f64 v[90:91], v[71:72], v[92:93]
	v_mul_f64 v[92:93], v[73:74], v[92:93]
	v_add_f64 v[142:143], v[142:143], v[153:154]
	v_add_f64 v[2:3], v[2:3], v[84:85]
	s_waitcnt vmcnt(51) lgkmcnt(1)
	v_mul_f64 v[84:85], v[75:76], v[94:95]
	v_mul_f64 v[94:95], v[77:78], v[94:95]
	s_waitcnt vmcnt(49)
	v_fma_f64 v[92:93], v[71:72], v[100:101], -v[92:93]
	v_fma_f64 v[90:91], v[73:74], v[100:101], v[90:91]
	v_add_f64 v[88:89], v[142:143], v[88:89]
	v_add_f64 v[2:3], v[2:3], v[98:99]
	s_clause 0x3
	buffer_load_dword v98, off, s[0:3], 0 offset:256
	buffer_load_dword v99, off, s[0:3], 0 offset:260
	;; [unrolled: 1-line block ×4, first 2 shown]
	s_waitcnt vmcnt(49) lgkmcnt(0)
	v_mul_f64 v[142:143], v[79:80], v[102:103]
	v_mul_f64 v[102:103], v[81:82], v[102:103]
	s_waitcnt vmcnt(48)
	v_fma_f64 v[94:95], v[75:76], v[96:97], -v[94:95]
	ds_read_b128 v[71:74], v1 offset:880
	v_fma_f64 v[84:85], v[77:78], v[96:97], v[84:85]
	ds_read_b128 v[75:78], v1 offset:896
	v_add_f64 v[88:89], v[88:89], v[92:93]
	v_add_f64 v[2:3], v[2:3], v[90:91]
	s_waitcnt vmcnt(47) lgkmcnt(1)
	v_mul_f64 v[92:93], v[73:74], v[104:105]
	s_waitcnt vmcnt(45)
	v_fma_f64 v[96:97], v[79:80], v[108:109], -v[102:103]
	v_mul_f64 v[90:91], v[71:72], v[104:105]
	s_waitcnt vmcnt(41) lgkmcnt(0)
	v_mul_f64 v[102:103], v[77:78], v[110:111]
	v_add_f64 v[88:89], v[88:89], v[94:95]
	v_fma_f64 v[94:95], v[81:82], v[108:109], v[142:143]
	v_add_f64 v[2:3], v[2:3], v[84:85]
	ds_read_b128 v[79:82], v1 offset:912
	s_waitcnt vmcnt(40)
	v_fma_f64 v[92:93], v[71:72], v[106:107], -v[92:93]
	v_mul_f64 v[84:85], v[75:76], v[110:111]
	v_fma_f64 v[90:91], v[73:74], v[106:107], v[90:91]
	ds_read_b128 v[71:74], v1 offset:928
	s_waitcnt vmcnt(37)
	v_fma_f64 v[102:103], v[75:76], v[116:117], -v[102:103]
	v_add_f64 v[88:89], v[88:89], v[96:97]
	s_waitcnt lgkmcnt(1)
	v_mul_f64 v[96:97], v[81:82], v[112:113]
	v_add_f64 v[2:3], v[2:3], v[94:95]
	v_mul_f64 v[94:95], v[79:80], v[112:113]
	v_fma_f64 v[84:85], v[77:78], v[116:117], v[84:85]
	ds_read_b128 v[75:78], v1 offset:944
	v_add_f64 v[88:89], v[88:89], v[92:93]
	s_waitcnt vmcnt(33) lgkmcnt(1)
	v_mul_f64 v[92:93], v[73:74], v[118:119]
	v_add_f64 v[2:3], v[2:3], v[90:91]
	s_waitcnt vmcnt(32)
	v_fma_f64 v[96:97], v[79:80], v[114:115], -v[96:97]
	v_mul_f64 v[90:91], v[71:72], v[118:119]
	v_fma_f64 v[94:95], v[81:82], v[114:115], v[94:95]
	ds_read_b128 v[79:82], v1 offset:960
	v_add_f64 v[88:89], v[88:89], v[102:103]
	s_waitcnt vmcnt(31) lgkmcnt(1)
	v_mul_f64 v[102:103], v[77:78], v[120:121]
	v_add_f64 v[2:3], v[2:3], v[84:85]
	s_waitcnt vmcnt(29)
	v_fma_f64 v[92:93], v[71:72], v[124:125], -v[92:93]
	;; [unrolled: 9-line block ×7, first 2 shown]
	v_mul_f64 v[90:91], v[71:72], v[144:145]
	v_fma_f64 v[81:82], v[81:82], v[138:139], v[94:95]
	v_add_f64 v[88:89], v[88:89], v[102:103]
	v_add_f64 v[2:3], v[2:3], v[84:85]
	s_waitcnt vmcnt(7) lgkmcnt(0)
	v_mul_f64 v[94:95], v[77:78], v[146:147]
	v_mul_f64 v[84:85], v[75:76], v[146:147]
	s_waitcnt vmcnt(5)
	v_fma_f64 v[71:72], v[71:72], v[86:87], -v[92:93]
	v_fma_f64 v[73:74], v[73:74], v[86:87], v[90:91]
	v_add_f64 v[79:80], v[88:89], v[79:80]
	v_add_f64 v[2:3], v[2:3], v[81:82]
	s_waitcnt vmcnt(4)
	v_fma_f64 v[75:76], v[75:76], v[148:149], -v[94:95]
	v_fma_f64 v[77:78], v[77:78], v[148:149], v[84:85]
	v_add_f64 v[71:72], v[79:80], v[71:72]
	v_add_f64 v[2:3], v[2:3], v[73:74]
	;; [unrolled: 1-line block ×4, first 2 shown]
	s_waitcnt vmcnt(2)
	v_add_f64 v[71:72], v[98:99], -v[71:72]
	s_waitcnt vmcnt(0)
	v_add_f64 v[2:3], v[100:101], -v[2:3]
	buffer_store_dword v72, off, s[0:3], 0 offset:260
	buffer_store_dword v71, off, s[0:3], 0 offset:256
	;; [unrolled: 1-line block ×4, first 2 shown]
	v_cmpx_lt_u32_e32 14, v0
	s_cbranch_execz .LBB96_183
; %bb.182:
	v_mov_b32_e32 v2, s30
	s_clause 0x3
	buffer_load_dword v71, v2, s[0:3], 0 offen
	buffer_load_dword v72, v2, s[0:3], 0 offen offset:4
	buffer_load_dword v73, v2, s[0:3], 0 offen offset:8
	;; [unrolled: 1-line block ×3, first 2 shown]
	buffer_store_dword v1, off, s[0:3], 0 offset:240
	buffer_store_dword v1, off, s[0:3], 0 offset:244
	;; [unrolled: 1-line block ×4, first 2 shown]
	s_waitcnt vmcnt(0)
	ds_write_b128 v83, v[71:74]
.LBB96_183:
	s_or_b32 exec_lo, exec_lo, s4
	s_waitcnt lgkmcnt(0)
	s_waitcnt_vscnt null, 0x0
	s_barrier
	buffer_gl0_inv
	s_clause 0x37
	buffer_load_dword v2, off, s[0:3], 0 offset:264
	buffer_load_dword v3, off, s[0:3], 0 offset:268
	;; [unrolled: 1-line block ×56, first 2 shown]
	ds_read_b128 v[71:74], v1 offset:768
	s_clause 0x2
	buffer_load_dword v137, off, s[0:3], 0 offset:492
	buffer_load_dword v141, off, s[0:3], 0 offset:468
	buffer_load_dword v140, off, s[0:3], 0 offset:464
	ds_read_b128 v[75:78], v1 offset:784
	s_clause 0x4
	buffer_load_dword v145, off, s[0:3], 0 offset:508
	buffer_load_dword v146, off, s[0:3], 0 offset:520
	;; [unrolled: 1-line block ×5, first 2 shown]
	ds_read_b128 v[79:82], v1 offset:800
	s_mov_b32 s4, exec_lo
	s_waitcnt vmcnt(62) lgkmcnt(2)
	v_mul_f64 v[142:143], v[73:74], v[2:3]
	v_mul_f64 v[2:3], v[71:72], v[2:3]
	s_waitcnt vmcnt(60) lgkmcnt(1)
	v_mul_f64 v[149:150], v[77:78], v[84:85]
	v_mul_f64 v[84:85], v[75:76], v[84:85]
	;; [unrolled: 3-line block ×3, first 2 shown]
	v_fma_f64 v[142:143], v[71:72], v[86:87], -v[142:143]
	v_fma_f64 v[2:3], v[73:74], v[86:87], v[2:3]
	s_clause 0x2
	buffer_load_dword v147, off, s[0:3], 0 offset:524
	buffer_load_dword v87, off, s[0:3], 0 offset:500
	;; [unrolled: 1-line block ×3, first 2 shown]
	s_waitcnt vmcnt(57)
	v_fma_f64 v[153:154], v[75:76], v[90:91], -v[149:150]
	ds_read_b128 v[71:74], v1 offset:816
	v_fma_f64 v[84:85], v[77:78], v[90:91], v[84:85]
	s_clause 0x2
	buffer_load_dword v91, off, s[0:3], 0 offset:540
	buffer_load_dword v90, off, s[0:3], 0 offset:536
	;; [unrolled: 1-line block ×3, first 2 shown]
	s_waitcnt vmcnt(54)
	v_fma_f64 v[88:89], v[79:80], v[98:99], -v[88:89]
	ds_read_b128 v[75:78], v1 offset:832
	v_fma_f64 v[98:99], v[81:82], v[98:99], v[151:152]
	v_add_f64 v[142:143], v[142:143], 0
	v_add_f64 v[2:3], v[2:3], 0
	s_waitcnt lgkmcnt(1)
	v_mul_f64 v[155:156], v[71:72], v[92:93]
	v_mul_f64 v[92:93], v[73:74], v[92:93]
	s_waitcnt vmcnt(53) lgkmcnt(0)
	v_mul_f64 v[150:151], v[75:76], v[94:95]
	v_mul_f64 v[94:95], v[77:78], v[94:95]
	v_add_f64 v[142:143], v[142:143], v[153:154]
	v_add_f64 v[2:3], v[2:3], v[84:85]
	s_clause 0x1
	buffer_load_dword v85, off, s[0:3], 0 offset:532
	buffer_load_dword v84, off, s[0:3], 0 offset:528
	s_waitcnt vmcnt(53)
	v_fma_f64 v[92:93], v[71:72], v[100:101], -v[92:93]
	ds_read_b128 v[79:82], v1 offset:848
	v_fma_f64 v[100:101], v[73:74], v[100:101], v[155:156]
	ds_read_b128 v[71:74], v1 offset:864
	s_waitcnt vmcnt(48)
	v_fma_f64 v[94:95], v[75:76], v[96:97], -v[94:95]
	v_add_f64 v[88:89], v[142:143], v[88:89]
	v_add_f64 v[2:3], v[2:3], v[98:99]
	s_waitcnt lgkmcnt(1)
	v_mul_f64 v[98:99], v[79:80], v[102:103]
	v_mul_f64 v[102:103], v[81:82], v[102:103]
	s_waitcnt vmcnt(47) lgkmcnt(0)
	v_mul_f64 v[142:143], v[71:72], v[104:105]
	v_mul_f64 v[104:105], v[73:74], v[104:105]
	v_add_f64 v[88:89], v[88:89], v[92:93]
	v_fma_f64 v[92:93], v[77:78], v[96:97], v[150:151]
	v_add_f64 v[2:3], v[2:3], v[100:101]
	s_clause 0x3
	buffer_load_dword v96, off, s[0:3], 0 offset:240
	buffer_load_dword v97, off, s[0:3], 0 offset:244
	;; [unrolled: 1-line block ×4, first 2 shown]
	s_waitcnt vmcnt(49)
	v_fma_f64 v[102:103], v[79:80], v[108:109], -v[102:103]
	ds_read_b128 v[75:78], v1 offset:880
	s_waitcnt vmcnt(44)
	v_fma_f64 v[104:105], v[71:72], v[106:107], -v[104:105]
	v_add_f64 v[88:89], v[88:89], v[94:95]
	v_fma_f64 v[94:95], v[81:82], v[108:109], v[98:99]
	v_add_f64 v[2:3], v[2:3], v[92:93]
	ds_read_b128 v[79:82], v1 offset:896
	s_waitcnt lgkmcnt(1)
	v_mul_f64 v[98:99], v[77:78], v[110:111]
	v_mul_f64 v[92:93], v[75:76], v[110:111]
	v_add_f64 v[88:89], v[88:89], v[102:103]
	v_fma_f64 v[102:103], v[73:74], v[106:107], v[142:143]
	v_add_f64 v[2:3], v[2:3], v[94:95]
	s_waitcnt vmcnt(43) lgkmcnt(0)
	v_mul_f64 v[106:107], v[81:82], v[112:113]
	s_waitcnt vmcnt(41)
	v_fma_f64 v[98:99], v[75:76], v[116:117], -v[98:99]
	ds_read_b128 v[71:74], v1 offset:912
	v_mul_f64 v[94:95], v[79:80], v[112:113]
	v_fma_f64 v[92:93], v[77:78], v[116:117], v[92:93]
	ds_read_b128 v[75:78], v1 offset:928
	v_add_f64 v[88:89], v[88:89], v[104:105]
	v_add_f64 v[2:3], v[2:3], v[102:103]
	s_waitcnt vmcnt(37) lgkmcnt(1)
	v_mul_f64 v[104:105], v[73:74], v[118:119]
	s_waitcnt vmcnt(36)
	v_fma_f64 v[106:107], v[79:80], v[114:115], -v[106:107]
	v_mul_f64 v[102:103], v[71:72], v[118:119]
	v_fma_f64 v[94:95], v[81:82], v[114:115], v[94:95]
	ds_read_b128 v[79:82], v1 offset:944
	v_add_f64 v[88:89], v[88:89], v[98:99]
	s_waitcnt vmcnt(35) lgkmcnt(1)
	v_mul_f64 v[98:99], v[77:78], v[120:121]
	v_add_f64 v[2:3], v[2:3], v[92:93]
	s_waitcnt vmcnt(33)
	v_fma_f64 v[104:105], v[71:72], v[124:125], -v[104:105]
	v_mul_f64 v[92:93], v[75:76], v[120:121]
	v_fma_f64 v[102:103], v[73:74], v[124:125], v[102:103]
	ds_read_b128 v[71:74], v1 offset:960
	v_add_f64 v[88:89], v[88:89], v[106:107]
	s_waitcnt vmcnt(29) lgkmcnt(1)
	v_mul_f64 v[106:107], v[81:82], v[126:127]
	v_add_f64 v[2:3], v[2:3], v[94:95]
	;; [unrolled: 9-line block ×6, first 2 shown]
	s_waitcnt vmcnt(12)
	v_fma_f64 v[79:80], v[79:80], v[138:139], -v[106:107]
	v_mul_f64 v[102:103], v[71:72], v[144:145]
	v_fma_f64 v[81:82], v[81:82], v[138:139], v[94:95]
	v_add_f64 v[88:89], v[88:89], v[98:99]
	v_add_f64 v[92:93], v[2:3], v[92:93]
	ds_read_b128 v[1:4], v1 offset:1040
	s_waitcnt vmcnt(11) lgkmcnt(1)
	v_mul_f64 v[98:99], v[77:78], v[146:147]
	v_mul_f64 v[94:95], v[75:76], v[146:147]
	s_waitcnt vmcnt(9)
	v_fma_f64 v[71:72], v[71:72], v[86:87], -v[104:105]
	v_fma_f64 v[73:74], v[73:74], v[86:87], v[102:103]
	v_add_f64 v[79:80], v[88:89], v[79:80]
	s_waitcnt vmcnt(7) lgkmcnt(0)
	v_mul_f64 v[88:89], v[3:4], v[90:91]
	v_add_f64 v[81:82], v[92:93], v[81:82]
	v_mul_f64 v[86:87], v[1:2], v[90:91]
	s_waitcnt vmcnt(6)
	v_fma_f64 v[75:76], v[75:76], v[148:149], -v[98:99]
	v_fma_f64 v[77:78], v[77:78], v[148:149], v[94:95]
	v_add_f64 v[71:72], v[79:80], v[71:72]
	v_add_f64 v[73:74], v[81:82], v[73:74]
	s_waitcnt vmcnt(4)
	v_fma_f64 v[1:2], v[1:2], v[84:85], -v[88:89]
	v_fma_f64 v[3:4], v[3:4], v[84:85], v[86:87]
	v_add_f64 v[71:72], v[71:72], v[75:76]
	v_add_f64 v[73:74], v[73:74], v[77:78]
	;; [unrolled: 1-line block ×4, first 2 shown]
	s_waitcnt vmcnt(2)
	v_add_f64 v[1:2], v[96:97], -v[1:2]
	s_waitcnt vmcnt(0)
	v_add_f64 v[3:4], v[100:101], -v[3:4]
	buffer_store_dword v2, off, s[0:3], 0 offset:244
	buffer_store_dword v1, off, s[0:3], 0 offset:240
	;; [unrolled: 1-line block ×4, first 2 shown]
	v_cmpx_lt_u32_e32 13, v0
	s_cbranch_execz .LBB96_185
; %bb.184:
	v_mov_b32_e32 v4, s31
	v_mov_b32_e32 v71, 0
	s_clause 0x3
	buffer_load_dword v1, v4, s[0:3], 0 offen
	buffer_load_dword v2, v4, s[0:3], 0 offen offset:4
	buffer_load_dword v3, v4, s[0:3], 0 offen offset:8
	;; [unrolled: 1-line block ×3, first 2 shown]
	buffer_store_dword v71, off, s[0:3], 0 offset:224
	buffer_store_dword v71, off, s[0:3], 0 offset:228
	;; [unrolled: 1-line block ×4, first 2 shown]
	s_waitcnt vmcnt(0)
	ds_write_b128 v83, v[1:4]
.LBB96_185:
	s_or_b32 exec_lo, exec_lo, s4
	s_waitcnt lgkmcnt(0)
	s_waitcnt_vscnt null, 0x0
	s_barrier
	buffer_gl0_inv
	s_clause 0x37
	buffer_load_dword v2, off, s[0:3], 0 offset:248
	buffer_load_dword v3, off, s[0:3], 0 offset:252
	;; [unrolled: 1-line block ×56, first 2 shown]
	v_mov_b32_e32 v1, 0
	s_mov_b32 s4, exec_lo
	ds_read_b128 v[71:74], v1 offset:752
	s_clause 0x2
	buffer_load_dword v137, off, s[0:3], 0 offset:476
	buffer_load_dword v141, off, s[0:3], 0 offset:452
	;; [unrolled: 1-line block ×3, first 2 shown]
	ds_read_b128 v[75:78], v1 offset:768
	s_clause 0x4
	buffer_load_dword v145, off, s[0:3], 0 offset:492
	buffer_load_dword v146, off, s[0:3], 0 offset:504
	;; [unrolled: 1-line block ×5, first 2 shown]
	ds_read_b128 v[79:82], v1 offset:784
	s_waitcnt vmcnt(62) lgkmcnt(2)
	v_mul_f64 v[142:143], v[73:74], v[2:3]
	v_mul_f64 v[2:3], v[71:72], v[2:3]
	s_waitcnt vmcnt(60) lgkmcnt(1)
	v_mul_f64 v[149:150], v[77:78], v[84:85]
	v_mul_f64 v[84:85], v[75:76], v[84:85]
	;; [unrolled: 3-line block ×3, first 2 shown]
	v_fma_f64 v[142:143], v[71:72], v[86:87], -v[142:143]
	v_fma_f64 v[2:3], v[73:74], v[86:87], v[2:3]
	s_clause 0x2
	buffer_load_dword v147, off, s[0:3], 0 offset:508
	buffer_load_dword v87, off, s[0:3], 0 offset:484
	;; [unrolled: 1-line block ×3, first 2 shown]
	s_waitcnt vmcnt(57)
	v_fma_f64 v[153:154], v[75:76], v[90:91], -v[149:150]
	ds_read_b128 v[71:74], v1 offset:800
	v_fma_f64 v[84:85], v[77:78], v[90:91], v[84:85]
	s_clause 0x4
	buffer_load_dword v91, off, s[0:3], 0 offset:524
	buffer_load_dword v150, off, s[0:3], 0 offset:536
	;; [unrolled: 1-line block ×5, first 2 shown]
	s_waitcnt vmcnt(56)
	v_fma_f64 v[88:89], v[79:80], v[98:99], -v[88:89]
	ds_read_b128 v[75:78], v1 offset:816
	v_fma_f64 v[98:99], v[81:82], v[98:99], v[151:152]
	v_add_f64 v[142:143], v[142:143], 0
	v_add_f64 v[2:3], v[2:3], 0
	s_waitcnt lgkmcnt(1)
	v_mul_f64 v[156:157], v[71:72], v[92:93]
	v_mul_f64 v[92:93], v[73:74], v[92:93]
	v_add_f64 v[142:143], v[142:143], v[153:154]
	v_add_f64 v[2:3], v[2:3], v[84:85]
	s_clause 0x2
	buffer_load_dword v151, off, s[0:3], 0 offset:540
	buffer_load_dword v85, off, s[0:3], 0 offset:516
	;; [unrolled: 1-line block ×3, first 2 shown]
	s_waitcnt vmcnt(58) lgkmcnt(0)
	v_mul_f64 v[152:153], v[75:76], v[94:95]
	v_mul_f64 v[94:95], v[77:78], v[94:95]
	s_waitcnt vmcnt(56)
	v_fma_f64 v[92:93], v[71:72], v[100:101], -v[92:93]
	ds_read_b128 v[79:82], v1 offset:832
	v_fma_f64 v[100:101], v[73:74], v[100:101], v[156:157]
	buffer_load_dword v156, off, s[0:3], 0 offset:532
	ds_read_b128 v[71:74], v1 offset:848
	v_add_f64 v[88:89], v[142:143], v[88:89]
	v_add_f64 v[2:3], v[2:3], v[98:99]
	s_waitcnt vmcnt(53) lgkmcnt(1)
	v_mul_f64 v[98:99], v[79:80], v[102:103]
	v_mul_f64 v[102:103], v[81:82], v[102:103]
	s_waitcnt vmcnt(52)
	v_fma_f64 v[94:95], v[75:76], v[96:97], -v[94:95]
	v_add_f64 v[88:89], v[88:89], v[92:93]
	v_fma_f64 v[92:93], v[77:78], v[96:97], v[152:153]
	v_add_f64 v[2:3], v[2:3], v[100:101]
	s_waitcnt vmcnt(51) lgkmcnt(0)
	v_mul_f64 v[100:101], v[73:74], v[104:105]
	ds_read_b128 v[75:78], v1 offset:864
	s_waitcnt vmcnt(49)
	v_fma_f64 v[102:103], v[79:80], v[108:109], -v[102:103]
	v_mul_f64 v[96:97], v[71:72], v[104:105]
	v_add_f64 v[88:89], v[88:89], v[94:95]
	v_fma_f64 v[94:95], v[81:82], v[108:109], v[98:99]
	v_add_f64 v[2:3], v[2:3], v[92:93]
	s_clause 0x3
	buffer_load_dword v92, off, s[0:3], 0 offset:224
	buffer_load_dword v93, off, s[0:3], 0 offset:228
	;; [unrolled: 1-line block ×4, first 2 shown]
	s_waitcnt vmcnt(49) lgkmcnt(0)
	v_mul_f64 v[108:109], v[77:78], v[110:111]
	s_waitcnt vmcnt(48)
	v_fma_f64 v[100:101], v[71:72], v[106:107], -v[100:101]
	ds_read_b128 v[79:82], v1 offset:880
	v_mul_f64 v[104:105], v[75:76], v[110:111]
	v_fma_f64 v[96:97], v[73:74], v[106:107], v[96:97]
	ds_read_b128 v[71:74], v1 offset:896
	v_add_f64 v[88:89], v[88:89], v[102:103]
	v_add_f64 v[2:3], v[2:3], v[94:95]
	s_waitcnt vmcnt(47) lgkmcnt(1)
	v_mul_f64 v[102:103], v[81:82], v[112:113]
	s_waitcnt vmcnt(45)
	v_fma_f64 v[106:107], v[75:76], v[116:117], -v[108:109]
	v_mul_f64 v[94:95], v[79:80], v[112:113]
	v_add_f64 v[88:89], v[88:89], v[100:101]
	v_fma_f64 v[100:101], v[77:78], v[116:117], v[104:105]
	v_add_f64 v[2:3], v[2:3], v[96:97]
	s_waitcnt vmcnt(41) lgkmcnt(0)
	v_mul_f64 v[104:105], v[73:74], v[118:119]
	s_waitcnt vmcnt(40)
	v_fma_f64 v[102:103], v[79:80], v[114:115], -v[102:103]
	ds_read_b128 v[75:78], v1 offset:912
	v_mul_f64 v[96:97], v[71:72], v[118:119]
	v_fma_f64 v[94:95], v[81:82], v[114:115], v[94:95]
	ds_read_b128 v[79:82], v1 offset:928
	v_add_f64 v[88:89], v[88:89], v[106:107]
	v_add_f64 v[2:3], v[2:3], v[100:101]
	s_waitcnt vmcnt(39) lgkmcnt(1)
	v_mul_f64 v[106:107], v[77:78], v[120:121]
	s_waitcnt vmcnt(37)
	v_fma_f64 v[104:105], v[71:72], v[124:125], -v[104:105]
	v_mul_f64 v[100:101], v[75:76], v[120:121]
	v_fma_f64 v[96:97], v[73:74], v[124:125], v[96:97]
	ds_read_b128 v[71:74], v1 offset:944
	v_add_f64 v[88:89], v[88:89], v[102:103]
	s_waitcnt vmcnt(33) lgkmcnt(1)
	v_mul_f64 v[102:103], v[81:82], v[126:127]
	v_add_f64 v[2:3], v[2:3], v[94:95]
	s_waitcnt vmcnt(32)
	v_fma_f64 v[106:107], v[75:76], v[122:123], -v[106:107]
	v_mul_f64 v[94:95], v[79:80], v[126:127]
	v_fma_f64 v[100:101], v[77:78], v[122:123], v[100:101]
	ds_read_b128 v[75:78], v1 offset:960
	v_add_f64 v[88:89], v[88:89], v[104:105]
	s_waitcnt vmcnt(31) lgkmcnt(1)
	v_mul_f64 v[104:105], v[73:74], v[128:129]
	v_add_f64 v[2:3], v[2:3], v[96:97]
	s_waitcnt vmcnt(29)
	v_fma_f64 v[102:103], v[79:80], v[132:133], -v[102:103]
	v_mul_f64 v[96:97], v[71:72], v[128:129]
	v_fma_f64 v[94:95], v[81:82], v[132:133], v[94:95]
	ds_read_b128 v[79:82], v1 offset:976
	v_add_f64 v[88:89], v[88:89], v[106:107]
	s_waitcnt vmcnt(25) lgkmcnt(1)
	v_mul_f64 v[106:107], v[77:78], v[134:135]
	v_add_f64 v[2:3], v[2:3], v[100:101]
	s_waitcnt vmcnt(24)
	v_fma_f64 v[104:105], v[71:72], v[130:131], -v[104:105]
	v_mul_f64 v[100:101], v[75:76], v[134:135]
	v_fma_f64 v[96:97], v[73:74], v[130:131], v[96:97]
	ds_read_b128 v[71:74], v1 offset:992
	v_add_f64 v[88:89], v[88:89], v[102:103]
	s_waitcnt vmcnt(23) lgkmcnt(1)
	v_mul_f64 v[102:103], v[81:82], v[136:137]
	v_add_f64 v[2:3], v[2:3], v[94:95]
	s_waitcnt vmcnt(21)
	v_fma_f64 v[106:107], v[75:76], v[140:141], -v[106:107]
	v_mul_f64 v[94:95], v[79:80], v[136:137]
	v_fma_f64 v[100:101], v[77:78], v[140:141], v[100:101]
	ds_read_b128 v[75:78], v1 offset:1008
	v_add_f64 v[88:89], v[88:89], v[104:105]
	s_waitcnt vmcnt(17) lgkmcnt(1)
	v_mul_f64 v[104:105], v[73:74], v[144:145]
	v_add_f64 v[2:3], v[2:3], v[96:97]
	s_waitcnt vmcnt(16)
	v_fma_f64 v[102:103], v[79:80], v[138:139], -v[102:103]
	v_mul_f64 v[96:97], v[71:72], v[144:145]
	v_fma_f64 v[94:95], v[81:82], v[138:139], v[94:95]
	ds_read_b128 v[79:82], v1 offset:1024
	v_add_f64 v[88:89], v[88:89], v[106:107]
	v_add_f64 v[2:3], v[2:3], v[100:101]
	s_waitcnt vmcnt(15) lgkmcnt(1)
	v_mul_f64 v[106:107], v[77:78], v[146:147]
	v_mul_f64 v[100:101], v[75:76], v[146:147]
	s_waitcnt vmcnt(13)
	v_fma_f64 v[104:105], v[71:72], v[86:87], -v[104:105]
	v_fma_f64 v[86:87], v[73:74], v[86:87], v[96:97]
	ds_read_b128 v[71:74], v1 offset:1040
	v_add_f64 v[88:89], v[88:89], v[102:103]
	v_add_f64 v[2:3], v[2:3], v[94:95]
	s_waitcnt vmcnt(9) lgkmcnt(1)
	v_mul_f64 v[94:95], v[79:80], v[90:91]
	v_mul_f64 v[90:91], v[81:82], v[90:91]
	s_waitcnt vmcnt(8)
	v_fma_f64 v[75:76], v[75:76], v[148:149], -v[106:107]
	v_fma_f64 v[77:78], v[77:78], v[148:149], v[100:101]
	v_add_f64 v[88:89], v[88:89], v[104:105]
	v_add_f64 v[2:3], v[2:3], v[86:87]
	s_waitcnt vmcnt(7) lgkmcnt(0)
	v_mul_f64 v[96:97], v[73:74], v[150:151]
	v_mul_f64 v[86:87], v[71:72], v[150:151]
	s_waitcnt vmcnt(5)
	v_fma_f64 v[79:80], v[79:80], v[84:85], -v[90:91]
	v_fma_f64 v[81:82], v[81:82], v[84:85], v[94:95]
	v_add_f64 v[75:76], v[88:89], v[75:76]
	v_add_f64 v[2:3], v[2:3], v[77:78]
	s_waitcnt vmcnt(4)
	v_fma_f64 v[71:72], v[71:72], v[155:156], -v[96:97]
	v_fma_f64 v[73:74], v[73:74], v[155:156], v[86:87]
	v_add_f64 v[75:76], v[75:76], v[79:80]
	v_add_f64 v[2:3], v[2:3], v[81:82]
	;; [unrolled: 1-line block ×4, first 2 shown]
	s_waitcnt vmcnt(2)
	v_add_f64 v[71:72], v[92:93], -v[71:72]
	s_waitcnt vmcnt(0)
	v_add_f64 v[2:3], v[98:99], -v[2:3]
	buffer_store_dword v72, off, s[0:3], 0 offset:228
	buffer_store_dword v71, off, s[0:3], 0 offset:224
	;; [unrolled: 1-line block ×4, first 2 shown]
	v_cmpx_lt_u32_e32 12, v0
	s_cbranch_execz .LBB96_187
; %bb.186:
	v_mov_b32_e32 v2, s33
	s_clause 0x3
	buffer_load_dword v71, v2, s[0:3], 0 offen
	buffer_load_dword v72, v2, s[0:3], 0 offen offset:4
	buffer_load_dword v73, v2, s[0:3], 0 offen offset:8
	;; [unrolled: 1-line block ×3, first 2 shown]
	buffer_store_dword v1, off, s[0:3], 0 offset:208
	buffer_store_dword v1, off, s[0:3], 0 offset:212
	;; [unrolled: 1-line block ×4, first 2 shown]
	s_waitcnt vmcnt(0)
	ds_write_b128 v83, v[71:74]
.LBB96_187:
	s_or_b32 exec_lo, exec_lo, s4
	s_waitcnt lgkmcnt(0)
	s_waitcnt_vscnt null, 0x0
	s_barrier
	buffer_gl0_inv
	s_clause 0x37
	buffer_load_dword v2, off, s[0:3], 0 offset:232
	buffer_load_dword v3, off, s[0:3], 0 offset:236
	;; [unrolled: 1-line block ×56, first 2 shown]
	ds_read_b128 v[71:74], v1 offset:736
	s_clause 0x2
	buffer_load_dword v137, off, s[0:3], 0 offset:460
	buffer_load_dword v141, off, s[0:3], 0 offset:436
	;; [unrolled: 1-line block ×3, first 2 shown]
	ds_read_b128 v[75:78], v1 offset:752
	s_clause 0x4
	buffer_load_dword v145, off, s[0:3], 0 offset:476
	buffer_load_dword v146, off, s[0:3], 0 offset:488
	buffer_load_dword v148, off, s[0:3], 0 offset:480
	buffer_load_dword v144, off, s[0:3], 0 offset:472
	buffer_load_dword v139, off, s[0:3], 0 offset:452
	ds_read_b128 v[79:82], v1 offset:768
	s_mov_b32 s4, exec_lo
	s_waitcnt vmcnt(62) lgkmcnt(2)
	v_mul_f64 v[142:143], v[73:74], v[2:3]
	v_mul_f64 v[2:3], v[71:72], v[2:3]
	s_waitcnt vmcnt(60) lgkmcnt(1)
	v_mul_f64 v[149:150], v[77:78], v[84:85]
	v_mul_f64 v[84:85], v[75:76], v[84:85]
	;; [unrolled: 3-line block ×3, first 2 shown]
	v_fma_f64 v[142:143], v[71:72], v[86:87], -v[142:143]
	v_fma_f64 v[2:3], v[73:74], v[86:87], v[2:3]
	s_clause 0x2
	buffer_load_dword v147, off, s[0:3], 0 offset:492
	buffer_load_dword v87, off, s[0:3], 0 offset:468
	;; [unrolled: 1-line block ×3, first 2 shown]
	s_waitcnt vmcnt(57)
	v_fma_f64 v[153:154], v[75:76], v[90:91], -v[149:150]
	ds_read_b128 v[71:74], v1 offset:784
	v_fma_f64 v[84:85], v[77:78], v[90:91], v[84:85]
	s_clause 0x4
	buffer_load_dword v91, off, s[0:3], 0 offset:508
	buffer_load_dword v150, off, s[0:3], 0 offset:520
	;; [unrolled: 1-line block ×5, first 2 shown]
	s_waitcnt vmcnt(56)
	v_fma_f64 v[88:89], v[79:80], v[98:99], -v[88:89]
	ds_read_b128 v[75:78], v1 offset:800
	v_fma_f64 v[98:99], v[81:82], v[98:99], v[151:152]
	v_add_f64 v[142:143], v[142:143], 0
	v_add_f64 v[2:3], v[2:3], 0
	s_waitcnt lgkmcnt(1)
	v_mul_f64 v[156:157], v[71:72], v[92:93]
	v_mul_f64 v[92:93], v[73:74], v[92:93]
	v_add_f64 v[142:143], v[142:143], v[153:154]
	v_add_f64 v[2:3], v[2:3], v[84:85]
	s_clause 0x2
	buffer_load_dword v151, off, s[0:3], 0 offset:524
	buffer_load_dword v85, off, s[0:3], 0 offset:500
	;; [unrolled: 1-line block ×3, first 2 shown]
	s_waitcnt vmcnt(58) lgkmcnt(0)
	v_mul_f64 v[152:153], v[75:76], v[94:95]
	v_mul_f64 v[94:95], v[77:78], v[94:95]
	s_waitcnt vmcnt(56)
	v_fma_f64 v[92:93], v[71:72], v[100:101], -v[92:93]
	ds_read_b128 v[79:82], v1 offset:816
	v_fma_f64 v[100:101], v[73:74], v[100:101], v[156:157]
	v_add_f64 v[88:89], v[142:143], v[88:89]
	v_add_f64 v[2:3], v[2:3], v[98:99]
	s_clause 0x2
	buffer_load_dword v99, off, s[0:3], 0 offset:540
	buffer_load_dword v98, off, s[0:3], 0 offset:536
	;; [unrolled: 1-line block ×3, first 2 shown]
	ds_read_b128 v[71:74], v1 offset:832
	s_waitcnt vmcnt(55) lgkmcnt(1)
	v_mul_f64 v[142:143], v[79:80], v[102:103]
	v_mul_f64 v[102:103], v[81:82], v[102:103]
	s_waitcnt vmcnt(54)
	v_fma_f64 v[94:95], v[75:76], v[96:97], -v[94:95]
	v_add_f64 v[88:89], v[88:89], v[92:93]
	v_fma_f64 v[92:93], v[77:78], v[96:97], v[152:153]
	v_add_f64 v[2:3], v[2:3], v[100:101]
	s_clause 0x1
	buffer_load_dword v97, off, s[0:3], 0 offset:532
	buffer_load_dword v96, off, s[0:3], 0 offset:528
	s_waitcnt vmcnt(55) lgkmcnt(0)
	v_mul_f64 v[100:101], v[71:72], v[104:105]
	v_mul_f64 v[104:105], v[73:74], v[104:105]
	s_waitcnt vmcnt(53)
	v_fma_f64 v[102:103], v[79:80], v[108:109], -v[102:103]
	ds_read_b128 v[75:78], v1 offset:848
	v_add_f64 v[88:89], v[88:89], v[94:95]
	v_fma_f64 v[94:95], v[81:82], v[108:109], v[142:143]
	v_add_f64 v[2:3], v[2:3], v[92:93]
	ds_read_b128 v[79:82], v1 offset:864
	s_waitcnt vmcnt(48)
	v_fma_f64 v[100:101], v[73:74], v[106:107], v[100:101]
	s_waitcnt lgkmcnt(1)
	v_mul_f64 v[108:109], v[77:78], v[110:111]
	v_fma_f64 v[104:105], v[71:72], v[106:107], -v[104:105]
	v_mul_f64 v[92:93], v[75:76], v[110:111]
	v_add_f64 v[88:89], v[88:89], v[102:103]
	s_waitcnt vmcnt(47) lgkmcnt(0)
	v_mul_f64 v[110:111], v[81:82], v[112:113]
	v_add_f64 v[2:3], v[2:3], v[94:95]
	s_clause 0x3
	buffer_load_dword v94, off, s[0:3], 0 offset:208
	buffer_load_dword v95, off, s[0:3], 0 offset:212
	;; [unrolled: 1-line block ×4, first 2 shown]
	ds_read_b128 v[71:74], v1 offset:880
	s_waitcnt vmcnt(49)
	v_fma_f64 v[108:109], v[75:76], v[116:117], -v[108:109]
	v_mul_f64 v[106:107], v[79:80], v[112:113]
	v_fma_f64 v[92:93], v[77:78], v[116:117], v[92:93]
	ds_read_b128 v[75:78], v1 offset:896
	v_add_f64 v[88:89], v[88:89], v[104:105]
	s_waitcnt vmcnt(44)
	v_fma_f64 v[110:111], v[79:80], v[114:115], -v[110:111]
	v_add_f64 v[2:3], v[2:3], v[100:101]
	s_waitcnt lgkmcnt(1)
	v_mul_f64 v[104:105], v[73:74], v[118:119]
	v_mul_f64 v[100:101], v[71:72], v[118:119]
	v_fma_f64 v[106:107], v[81:82], v[114:115], v[106:107]
	ds_read_b128 v[79:82], v1 offset:912
	v_add_f64 v[88:89], v[88:89], v[108:109]
	s_waitcnt vmcnt(43) lgkmcnt(1)
	v_mul_f64 v[108:109], v[77:78], v[120:121]
	v_add_f64 v[2:3], v[2:3], v[92:93]
	s_waitcnt vmcnt(41)
	v_fma_f64 v[104:105], v[71:72], v[124:125], -v[104:105]
	v_mul_f64 v[92:93], v[75:76], v[120:121]
	v_fma_f64 v[100:101], v[73:74], v[124:125], v[100:101]
	ds_read_b128 v[71:74], v1 offset:928
	v_add_f64 v[88:89], v[88:89], v[110:111]
	s_waitcnt vmcnt(37) lgkmcnt(1)
	v_mul_f64 v[110:111], v[81:82], v[126:127]
	v_add_f64 v[2:3], v[2:3], v[106:107]
	s_waitcnt vmcnt(36)
	v_fma_f64 v[108:109], v[75:76], v[122:123], -v[108:109]
	;; [unrolled: 9-line block ×6, first 2 shown]
	v_mul_f64 v[100:101], v[71:72], v[144:145]
	v_fma_f64 v[106:107], v[81:82], v[138:139], v[106:107]
	ds_read_b128 v[79:82], v1 offset:1008
	v_add_f64 v[88:89], v[88:89], v[108:109]
	v_add_f64 v[2:3], v[2:3], v[92:93]
	s_waitcnt vmcnt(19) lgkmcnt(1)
	v_mul_f64 v[108:109], v[77:78], v[146:147]
	v_mul_f64 v[92:93], v[75:76], v[146:147]
	s_waitcnt vmcnt(17)
	v_fma_f64 v[104:105], v[71:72], v[86:87], -v[104:105]
	v_fma_f64 v[86:87], v[73:74], v[86:87], v[100:101]
	ds_read_b128 v[71:74], v1 offset:1024
	s_waitcnt vmcnt(13) lgkmcnt(1)
	v_mul_f64 v[100:101], v[79:80], v[90:91]
	v_mul_f64 v[90:91], v[81:82], v[90:91]
	v_add_f64 v[88:89], v[88:89], v[110:111]
	v_add_f64 v[2:3], v[2:3], v[106:107]
	s_waitcnt vmcnt(12)
	v_fma_f64 v[75:76], v[75:76], v[148:149], -v[108:109]
	v_fma_f64 v[77:78], v[77:78], v[148:149], v[92:93]
	v_add_f64 v[88:89], v[88:89], v[104:105]
	v_add_f64 v[86:87], v[2:3], v[86:87]
	ds_read_b128 v[1:4], v1 offset:1040
	s_waitcnt vmcnt(11) lgkmcnt(1)
	v_mul_f64 v[104:105], v[73:74], v[150:151]
	v_mul_f64 v[92:93], v[71:72], v[150:151]
	s_waitcnt vmcnt(9)
	v_fma_f64 v[79:80], v[79:80], v[84:85], -v[90:91]
	v_fma_f64 v[81:82], v[81:82], v[84:85], v[100:101]
	v_add_f64 v[75:76], v[88:89], v[75:76]
	v_add_f64 v[77:78], v[86:87], v[77:78]
	s_waitcnt vmcnt(7) lgkmcnt(0)
	v_mul_f64 v[86:87], v[3:4], v[98:99]
	s_waitcnt vmcnt(6)
	v_fma_f64 v[71:72], v[71:72], v[155:156], -v[104:105]
	v_mul_f64 v[84:85], v[1:2], v[98:99]
	v_fma_f64 v[73:74], v[73:74], v[155:156], v[92:93]
	v_add_f64 v[75:76], v[75:76], v[79:80]
	v_add_f64 v[77:78], v[77:78], v[81:82]
	s_waitcnt vmcnt(4)
	v_fma_f64 v[1:2], v[1:2], v[96:97], -v[86:87]
	v_fma_f64 v[3:4], v[3:4], v[96:97], v[84:85]
	v_add_f64 v[71:72], v[75:76], v[71:72]
	v_add_f64 v[73:74], v[77:78], v[73:74]
	;; [unrolled: 1-line block ×4, first 2 shown]
	s_waitcnt vmcnt(2)
	v_add_f64 v[1:2], v[94:95], -v[1:2]
	s_waitcnt vmcnt(0)
	v_add_f64 v[3:4], v[102:103], -v[3:4]
	buffer_store_dword v2, off, s[0:3], 0 offset:212
	buffer_store_dword v1, off, s[0:3], 0 offset:208
	;; [unrolled: 1-line block ×4, first 2 shown]
	v_cmpx_lt_u32_e32 11, v0
	s_cbranch_execz .LBB96_189
; %bb.188:
	v_mov_b32_e32 v4, s34
	v_mov_b32_e32 v71, 0
	s_clause 0x3
	buffer_load_dword v1, v4, s[0:3], 0 offen
	buffer_load_dword v2, v4, s[0:3], 0 offen offset:4
	buffer_load_dword v3, v4, s[0:3], 0 offen offset:8
	;; [unrolled: 1-line block ×3, first 2 shown]
	buffer_store_dword v71, off, s[0:3], 0 offset:192
	buffer_store_dword v71, off, s[0:3], 0 offset:196
	;; [unrolled: 1-line block ×4, first 2 shown]
	s_waitcnt vmcnt(0)
	ds_write_b128 v83, v[1:4]
.LBB96_189:
	s_or_b32 exec_lo, exec_lo, s4
	s_waitcnt lgkmcnt(0)
	s_waitcnt_vscnt null, 0x0
	s_barrier
	buffer_gl0_inv
	s_clause 0x37
	buffer_load_dword v2, off, s[0:3], 0 offset:216
	buffer_load_dword v3, off, s[0:3], 0 offset:220
	;; [unrolled: 1-line block ×56, first 2 shown]
	v_mov_b32_e32 v1, 0
	s_mov_b32 s4, exec_lo
	ds_read_b128 v[71:74], v1 offset:720
	s_clause 0x2
	buffer_load_dword v137, off, s[0:3], 0 offset:444
	buffer_load_dword v141, off, s[0:3], 0 offset:420
	;; [unrolled: 1-line block ×3, first 2 shown]
	ds_read_b128 v[75:78], v1 offset:736
	s_clause 0x4
	buffer_load_dword v145, off, s[0:3], 0 offset:460
	buffer_load_dword v146, off, s[0:3], 0 offset:472
	;; [unrolled: 1-line block ×5, first 2 shown]
	ds_read_b128 v[79:82], v1 offset:752
	s_waitcnt vmcnt(62) lgkmcnt(2)
	v_mul_f64 v[142:143], v[73:74], v[2:3]
	v_mul_f64 v[2:3], v[71:72], v[2:3]
	s_waitcnt vmcnt(60) lgkmcnt(1)
	v_mul_f64 v[149:150], v[77:78], v[84:85]
	v_mul_f64 v[84:85], v[75:76], v[84:85]
	;; [unrolled: 3-line block ×3, first 2 shown]
	v_fma_f64 v[142:143], v[71:72], v[86:87], -v[142:143]
	v_fma_f64 v[2:3], v[73:74], v[86:87], v[2:3]
	s_clause 0x2
	buffer_load_dword v147, off, s[0:3], 0 offset:476
	buffer_load_dword v87, off, s[0:3], 0 offset:452
	;; [unrolled: 1-line block ×3, first 2 shown]
	s_waitcnt vmcnt(57)
	v_fma_f64 v[153:154], v[75:76], v[90:91], -v[149:150]
	ds_read_b128 v[71:74], v1 offset:768
	v_fma_f64 v[84:85], v[77:78], v[90:91], v[84:85]
	s_clause 0x4
	buffer_load_dword v91, off, s[0:3], 0 offset:492
	buffer_load_dword v150, off, s[0:3], 0 offset:504
	;; [unrolled: 1-line block ×5, first 2 shown]
	s_waitcnt vmcnt(56)
	v_fma_f64 v[88:89], v[79:80], v[98:99], -v[88:89]
	ds_read_b128 v[75:78], v1 offset:784
	v_fma_f64 v[98:99], v[81:82], v[98:99], v[151:152]
	v_add_f64 v[142:143], v[142:143], 0
	v_add_f64 v[2:3], v[2:3], 0
	s_waitcnt lgkmcnt(1)
	v_mul_f64 v[156:157], v[71:72], v[92:93]
	v_mul_f64 v[92:93], v[73:74], v[92:93]
	v_add_f64 v[142:143], v[142:143], v[153:154]
	v_add_f64 v[2:3], v[2:3], v[84:85]
	s_clause 0x2
	buffer_load_dword v151, off, s[0:3], 0 offset:508
	buffer_load_dword v85, off, s[0:3], 0 offset:484
	;; [unrolled: 1-line block ×3, first 2 shown]
	s_waitcnt vmcnt(58) lgkmcnt(0)
	v_mul_f64 v[152:153], v[75:76], v[94:95]
	v_mul_f64 v[94:95], v[77:78], v[94:95]
	s_waitcnt vmcnt(56)
	v_fma_f64 v[92:93], v[71:72], v[100:101], -v[92:93]
	ds_read_b128 v[79:82], v1 offset:800
	v_fma_f64 v[100:101], v[73:74], v[100:101], v[156:157]
	v_add_f64 v[88:89], v[142:143], v[88:89]
	v_add_f64 v[2:3], v[2:3], v[98:99]
	s_clause 0x4
	buffer_load_dword v99, off, s[0:3], 0 offset:524
	buffer_load_dword v142, off, s[0:3], 0 offset:536
	;; [unrolled: 1-line block ×5, first 2 shown]
	ds_read_b128 v[71:74], v1 offset:816
	s_waitcnt vmcnt(57) lgkmcnt(1)
	v_mul_f64 v[158:159], v[79:80], v[102:103]
	v_mul_f64 v[102:103], v[81:82], v[102:103]
	s_waitcnt vmcnt(56)
	v_fma_f64 v[94:95], v[75:76], v[96:97], -v[94:95]
	v_add_f64 v[88:89], v[88:89], v[92:93]
	v_fma_f64 v[92:93], v[77:78], v[96:97], v[152:153]
	v_add_f64 v[2:3], v[2:3], v[100:101]
	s_clause 0x2
	buffer_load_dword v143, off, s[0:3], 0 offset:540
	buffer_load_dword v97, off, s[0:3], 0 offset:516
	;; [unrolled: 1-line block ×3, first 2 shown]
	s_waitcnt vmcnt(58) lgkmcnt(0)
	v_mul_f64 v[100:101], v[71:72], v[104:105]
	v_mul_f64 v[104:105], v[73:74], v[104:105]
	s_waitcnt vmcnt(56)
	v_fma_f64 v[102:103], v[79:80], v[108:109], -v[102:103]
	ds_read_b128 v[75:78], v1 offset:832
	v_add_f64 v[88:89], v[88:89], v[94:95]
	v_fma_f64 v[94:95], v[81:82], v[108:109], v[158:159]
	v_add_f64 v[2:3], v[2:3], v[92:93]
	buffer_load_dword v158, off, s[0:3], 0 offset:532
	ds_read_b128 v[79:82], v1 offset:848
	s_waitcnt vmcnt(53) lgkmcnt(1)
	v_mul_f64 v[108:109], v[77:78], v[110:111]
	s_waitcnt vmcnt(52)
	v_fma_f64 v[104:105], v[71:72], v[106:107], -v[104:105]
	v_mul_f64 v[92:93], v[75:76], v[110:111]
	v_fma_f64 v[100:101], v[73:74], v[106:107], v[100:101]
	ds_read_b128 v[71:74], v1 offset:864
	v_add_f64 v[88:89], v[88:89], v[102:103]
	v_add_f64 v[2:3], v[2:3], v[94:95]
	s_waitcnt vmcnt(51) lgkmcnt(1)
	v_mul_f64 v[102:103], v[81:82], v[112:113]
	v_mul_f64 v[94:95], v[79:80], v[112:113]
	s_waitcnt vmcnt(49)
	v_fma_f64 v[106:107], v[75:76], v[116:117], -v[108:109]
	v_fma_f64 v[92:93], v[77:78], v[116:117], v[92:93]
	s_waitcnt vmcnt(45) lgkmcnt(0)
	v_mul_f64 v[110:111], v[73:74], v[118:119]
	v_mul_f64 v[108:109], v[71:72], v[118:119]
	v_add_f64 v[88:89], v[88:89], v[104:105]
	v_add_f64 v[2:3], v[2:3], v[100:101]
	s_clause 0x3
	buffer_load_dword v100, off, s[0:3], 0 offset:192
	buffer_load_dword v101, off, s[0:3], 0 offset:196
	;; [unrolled: 1-line block ×4, first 2 shown]
	s_waitcnt vmcnt(48)
	v_fma_f64 v[102:103], v[79:80], v[114:115], -v[102:103]
	ds_read_b128 v[75:78], v1 offset:880
	v_fma_f64 v[94:95], v[81:82], v[114:115], v[94:95]
	ds_read_b128 v[79:82], v1 offset:896
	s_waitcnt vmcnt(45)
	v_fma_f64 v[110:111], v[71:72], v[124:125], -v[110:111]
	v_add_f64 v[88:89], v[88:89], v[106:107]
	v_add_f64 v[2:3], v[2:3], v[92:93]
	s_waitcnt lgkmcnt(1)
	v_mul_f64 v[106:107], v[77:78], v[120:121]
	v_mul_f64 v[92:93], v[75:76], v[120:121]
	v_add_f64 v[88:89], v[88:89], v[102:103]
	v_fma_f64 v[102:103], v[73:74], v[124:125], v[108:109]
	v_add_f64 v[2:3], v[2:3], v[94:95]
	s_waitcnt vmcnt(41) lgkmcnt(0)
	v_mul_f64 v[108:109], v[81:82], v[126:127]
	s_waitcnt vmcnt(40)
	v_fma_f64 v[106:107], v[75:76], v[122:123], -v[106:107]
	ds_read_b128 v[71:74], v1 offset:912
	v_mul_f64 v[94:95], v[79:80], v[126:127]
	v_fma_f64 v[92:93], v[77:78], v[122:123], v[92:93]
	ds_read_b128 v[75:78], v1 offset:928
	v_add_f64 v[88:89], v[88:89], v[110:111]
	v_add_f64 v[2:3], v[2:3], v[102:103]
	s_waitcnt vmcnt(39) lgkmcnt(1)
	v_mul_f64 v[110:111], v[73:74], v[128:129]
	s_waitcnt vmcnt(37)
	v_fma_f64 v[108:109], v[79:80], v[132:133], -v[108:109]
	v_mul_f64 v[102:103], v[71:72], v[128:129]
	v_fma_f64 v[94:95], v[81:82], v[132:133], v[94:95]
	ds_read_b128 v[79:82], v1 offset:944
	v_add_f64 v[88:89], v[88:89], v[106:107]
	s_waitcnt vmcnt(33) lgkmcnt(1)
	v_mul_f64 v[106:107], v[77:78], v[134:135]
	v_add_f64 v[2:3], v[2:3], v[92:93]
	s_waitcnt vmcnt(32)
	v_fma_f64 v[110:111], v[71:72], v[130:131], -v[110:111]
	v_mul_f64 v[92:93], v[75:76], v[134:135]
	v_fma_f64 v[102:103], v[73:74], v[130:131], v[102:103]
	ds_read_b128 v[71:74], v1 offset:960
	v_add_f64 v[88:89], v[88:89], v[108:109]
	s_waitcnt vmcnt(31) lgkmcnt(1)
	v_mul_f64 v[108:109], v[81:82], v[136:137]
	v_add_f64 v[2:3], v[2:3], v[94:95]
	;; [unrolled: 9-line block ×3, first 2 shown]
	s_waitcnt vmcnt(24)
	v_fma_f64 v[108:109], v[79:80], v[138:139], -v[108:109]
	v_mul_f64 v[102:103], v[71:72], v[144:145]
	v_fma_f64 v[94:95], v[81:82], v[138:139], v[94:95]
	ds_read_b128 v[79:82], v1 offset:992
	v_add_f64 v[88:89], v[88:89], v[106:107]
	v_add_f64 v[2:3], v[2:3], v[92:93]
	s_waitcnt vmcnt(23) lgkmcnt(1)
	v_mul_f64 v[106:107], v[77:78], v[146:147]
	v_mul_f64 v[92:93], v[75:76], v[146:147]
	s_waitcnt vmcnt(21)
	v_fma_f64 v[110:111], v[71:72], v[86:87], -v[110:111]
	v_fma_f64 v[86:87], v[73:74], v[86:87], v[102:103]
	ds_read_b128 v[71:74], v1 offset:1008
	v_add_f64 v[88:89], v[88:89], v[108:109]
	v_add_f64 v[2:3], v[2:3], v[94:95]
	s_waitcnt vmcnt(17) lgkmcnt(1)
	v_mul_f64 v[94:95], v[79:80], v[90:91]
	v_mul_f64 v[90:91], v[81:82], v[90:91]
	s_waitcnt vmcnt(16)
	v_fma_f64 v[102:103], v[75:76], v[148:149], -v[106:107]
	;; [unrolled: 9-line block ×3, first 2 shown]
	v_fma_f64 v[84:85], v[81:82], v[84:85], v[94:95]
	ds_read_b128 v[79:82], v1 offset:1040
	v_add_f64 v[88:89], v[88:89], v[102:103]
	v_add_f64 v[2:3], v[2:3], v[92:93]
	s_waitcnt vmcnt(9) lgkmcnt(1)
	v_mul_f64 v[94:95], v[77:78], v[98:99]
	s_waitcnt vmcnt(8)
	v_fma_f64 v[71:72], v[71:72], v[155:156], -v[106:107]
	v_mul_f64 v[92:93], v[75:76], v[98:99]
	v_fma_f64 v[73:74], v[73:74], v[155:156], v[86:87]
	v_add_f64 v[88:89], v[88:89], v[90:91]
	v_add_f64 v[2:3], v[2:3], v[84:85]
	s_waitcnt vmcnt(7) lgkmcnt(0)
	v_mul_f64 v[86:87], v[81:82], v[142:143]
	v_mul_f64 v[84:85], v[79:80], v[142:143]
	s_waitcnt vmcnt(5)
	v_fma_f64 v[75:76], v[75:76], v[96:97], -v[94:95]
	v_fma_f64 v[77:78], v[77:78], v[96:97], v[92:93]
	v_add_f64 v[71:72], v[88:89], v[71:72]
	v_add_f64 v[2:3], v[2:3], v[73:74]
	s_waitcnt vmcnt(4)
	v_fma_f64 v[73:74], v[79:80], v[157:158], -v[86:87]
	v_add_f64 v[71:72], v[71:72], v[75:76]
	v_fma_f64 v[75:76], v[81:82], v[157:158], v[84:85]
	v_add_f64 v[2:3], v[2:3], v[77:78]
	v_add_f64 v[71:72], v[71:72], v[73:74]
	;; [unrolled: 1-line block ×3, first 2 shown]
	s_waitcnt vmcnt(2)
	v_add_f64 v[71:72], v[100:101], -v[71:72]
	s_waitcnt vmcnt(0)
	v_add_f64 v[2:3], v[104:105], -v[2:3]
	buffer_store_dword v72, off, s[0:3], 0 offset:196
	buffer_store_dword v71, off, s[0:3], 0 offset:192
	;; [unrolled: 1-line block ×4, first 2 shown]
	v_cmpx_lt_u32_e32 10, v0
	s_cbranch_execz .LBB96_191
; %bb.190:
	v_mov_b32_e32 v2, s35
	s_clause 0x3
	buffer_load_dword v71, v2, s[0:3], 0 offen
	buffer_load_dword v72, v2, s[0:3], 0 offen offset:4
	buffer_load_dword v73, v2, s[0:3], 0 offen offset:8
	;; [unrolled: 1-line block ×3, first 2 shown]
	buffer_store_dword v1, off, s[0:3], 0 offset:176
	buffer_store_dword v1, off, s[0:3], 0 offset:180
	buffer_store_dword v1, off, s[0:3], 0 offset:184
	buffer_store_dword v1, off, s[0:3], 0 offset:188
	s_waitcnt vmcnt(0)
	ds_write_b128 v83, v[71:74]
.LBB96_191:
	s_or_b32 exec_lo, exec_lo, s4
	s_waitcnt lgkmcnt(0)
	s_waitcnt_vscnt null, 0x0
	s_barrier
	buffer_gl0_inv
	s_clause 0x37
	buffer_load_dword v2, off, s[0:3], 0 offset:200
	buffer_load_dword v3, off, s[0:3], 0 offset:204
	;; [unrolled: 1-line block ×56, first 2 shown]
	ds_read_b128 v[71:74], v1 offset:704
	s_clause 0x2
	buffer_load_dword v137, off, s[0:3], 0 offset:428
	buffer_load_dword v141, off, s[0:3], 0 offset:404
	;; [unrolled: 1-line block ×3, first 2 shown]
	ds_read_b128 v[75:78], v1 offset:720
	s_clause 0x4
	buffer_load_dword v145, off, s[0:3], 0 offset:444
	buffer_load_dword v146, off, s[0:3], 0 offset:456
	;; [unrolled: 1-line block ×5, first 2 shown]
	ds_read_b128 v[79:82], v1 offset:736
	s_mov_b32 s4, exec_lo
	s_waitcnt vmcnt(62) lgkmcnt(2)
	v_mul_f64 v[142:143], v[73:74], v[2:3]
	v_mul_f64 v[2:3], v[71:72], v[2:3]
	s_waitcnt vmcnt(60) lgkmcnt(1)
	v_mul_f64 v[149:150], v[77:78], v[84:85]
	v_mul_f64 v[84:85], v[75:76], v[84:85]
	;; [unrolled: 3-line block ×3, first 2 shown]
	v_fma_f64 v[142:143], v[71:72], v[86:87], -v[142:143]
	v_fma_f64 v[2:3], v[73:74], v[86:87], v[2:3]
	s_clause 0x2
	buffer_load_dword v147, off, s[0:3], 0 offset:460
	buffer_load_dword v87, off, s[0:3], 0 offset:436
	;; [unrolled: 1-line block ×3, first 2 shown]
	s_waitcnt vmcnt(57)
	v_fma_f64 v[153:154], v[75:76], v[90:91], -v[149:150]
	ds_read_b128 v[71:74], v1 offset:752
	v_fma_f64 v[84:85], v[77:78], v[90:91], v[84:85]
	s_clause 0x4
	buffer_load_dword v91, off, s[0:3], 0 offset:476
	buffer_load_dword v150, off, s[0:3], 0 offset:488
	;; [unrolled: 1-line block ×5, first 2 shown]
	s_waitcnt vmcnt(56)
	v_fma_f64 v[88:89], v[79:80], v[98:99], -v[88:89]
	ds_read_b128 v[75:78], v1 offset:768
	v_fma_f64 v[98:99], v[81:82], v[98:99], v[151:152]
	v_add_f64 v[142:143], v[142:143], 0
	v_add_f64 v[2:3], v[2:3], 0
	s_waitcnt lgkmcnt(1)
	v_mul_f64 v[156:157], v[71:72], v[92:93]
	v_mul_f64 v[92:93], v[73:74], v[92:93]
	v_add_f64 v[142:143], v[142:143], v[153:154]
	v_add_f64 v[2:3], v[2:3], v[84:85]
	s_clause 0x2
	buffer_load_dword v151, off, s[0:3], 0 offset:492
	buffer_load_dword v85, off, s[0:3], 0 offset:468
	;; [unrolled: 1-line block ×3, first 2 shown]
	s_waitcnt vmcnt(58) lgkmcnt(0)
	v_mul_f64 v[152:153], v[75:76], v[94:95]
	v_mul_f64 v[94:95], v[77:78], v[94:95]
	s_waitcnt vmcnt(56)
	v_fma_f64 v[92:93], v[71:72], v[100:101], -v[92:93]
	ds_read_b128 v[79:82], v1 offset:784
	v_fma_f64 v[100:101], v[73:74], v[100:101], v[156:157]
	v_add_f64 v[88:89], v[142:143], v[88:89]
	v_add_f64 v[2:3], v[2:3], v[98:99]
	s_clause 0x4
	buffer_load_dword v99, off, s[0:3], 0 offset:508
	buffer_load_dword v142, off, s[0:3], 0 offset:520
	;; [unrolled: 1-line block ×5, first 2 shown]
	ds_read_b128 v[71:74], v1 offset:800
	s_waitcnt vmcnt(57) lgkmcnt(1)
	v_mul_f64 v[158:159], v[79:80], v[102:103]
	v_mul_f64 v[102:103], v[81:82], v[102:103]
	s_waitcnt vmcnt(56)
	v_fma_f64 v[94:95], v[75:76], v[96:97], -v[94:95]
	v_add_f64 v[88:89], v[88:89], v[92:93]
	v_fma_f64 v[92:93], v[77:78], v[96:97], v[152:153]
	v_add_f64 v[2:3], v[2:3], v[100:101]
	s_clause 0x2
	buffer_load_dword v143, off, s[0:3], 0 offset:524
	buffer_load_dword v97, off, s[0:3], 0 offset:500
	;; [unrolled: 1-line block ×3, first 2 shown]
	s_waitcnt vmcnt(58) lgkmcnt(0)
	v_mul_f64 v[100:101], v[71:72], v[104:105]
	v_mul_f64 v[104:105], v[73:74], v[104:105]
	s_waitcnt vmcnt(56)
	v_fma_f64 v[102:103], v[79:80], v[108:109], -v[102:103]
	ds_read_b128 v[75:78], v1 offset:816
	v_add_f64 v[88:89], v[88:89], v[94:95]
	v_fma_f64 v[94:95], v[81:82], v[108:109], v[158:159]
	v_add_f64 v[2:3], v[2:3], v[92:93]
	s_clause 0x2
	buffer_load_dword v93, off, s[0:3], 0 offset:540
	buffer_load_dword v92, off, s[0:3], 0 offset:536
	;; [unrolled: 1-line block ×3, first 2 shown]
	ds_read_b128 v[79:82], v1 offset:832
	s_waitcnt vmcnt(55) lgkmcnt(1)
	v_mul_f64 v[108:109], v[75:76], v[110:111]
	v_mul_f64 v[110:111], v[77:78], v[110:111]
	s_waitcnt vmcnt(54)
	v_fma_f64 v[104:105], v[71:72], v[106:107], -v[104:105]
	v_fma_f64 v[100:101], v[73:74], v[106:107], v[100:101]
	v_add_f64 v[88:89], v[88:89], v[102:103]
	v_add_f64 v[2:3], v[2:3], v[94:95]
	s_clause 0x1
	buffer_load_dword v95, off, s[0:3], 0 offset:532
	buffer_load_dword v94, off, s[0:3], 0 offset:528
	s_waitcnt vmcnt(55) lgkmcnt(0)
	v_mul_f64 v[106:107], v[81:82], v[112:113]
	ds_read_b128 v[71:74], v1 offset:848
	s_waitcnt vmcnt(53)
	v_fma_f64 v[110:111], v[75:76], v[116:117], -v[110:111]
	v_mul_f64 v[102:103], v[79:80], v[112:113]
	v_add_f64 v[88:89], v[88:89], v[104:105]
	v_fma_f64 v[104:105], v[77:78], v[116:117], v[108:109]
	v_add_f64 v[2:3], v[2:3], v[100:101]
	ds_read_b128 v[75:78], v1 offset:864
	s_waitcnt vmcnt(49) lgkmcnt(1)
	v_mul_f64 v[108:109], v[73:74], v[118:119]
	s_waitcnt vmcnt(48)
	v_fma_f64 v[106:107], v[79:80], v[114:115], -v[106:107]
	v_mul_f64 v[100:101], v[71:72], v[118:119]
	v_fma_f64 v[102:103], v[81:82], v[114:115], v[102:103]
	v_add_f64 v[88:89], v[88:89], v[110:111]
	s_waitcnt vmcnt(47) lgkmcnt(0)
	v_mul_f64 v[114:115], v[77:78], v[120:121]
	v_add_f64 v[2:3], v[2:3], v[104:105]
	s_clause 0x3
	buffer_load_dword v104, off, s[0:3], 0 offset:176
	buffer_load_dword v105, off, s[0:3], 0 offset:180
	;; [unrolled: 1-line block ×4, first 2 shown]
	s_waitcnt vmcnt(49)
	v_fma_f64 v[108:109], v[71:72], v[124:125], -v[108:109]
	ds_read_b128 v[79:82], v1 offset:880
	v_mul_f64 v[112:113], v[75:76], v[120:121]
	v_fma_f64 v[100:101], v[73:74], v[124:125], v[100:101]
	ds_read_b128 v[71:74], v1 offset:896
	v_add_f64 v[88:89], v[88:89], v[106:107]
	s_waitcnt vmcnt(44)
	v_fma_f64 v[114:115], v[75:76], v[122:123], -v[114:115]
	v_add_f64 v[2:3], v[2:3], v[102:103]
	s_waitcnt lgkmcnt(1)
	v_mul_f64 v[106:107], v[81:82], v[126:127]
	v_mul_f64 v[102:103], v[79:80], v[126:127]
	v_add_f64 v[88:89], v[88:89], v[108:109]
	v_fma_f64 v[108:109], v[77:78], v[122:123], v[112:113]
	v_add_f64 v[2:3], v[2:3], v[100:101]
	s_waitcnt vmcnt(43) lgkmcnt(0)
	v_mul_f64 v[112:113], v[73:74], v[128:129]
	s_waitcnt vmcnt(41)
	v_fma_f64 v[106:107], v[79:80], v[132:133], -v[106:107]
	ds_read_b128 v[75:78], v1 offset:912
	v_mul_f64 v[100:101], v[71:72], v[128:129]
	v_fma_f64 v[102:103], v[81:82], v[132:133], v[102:103]
	ds_read_b128 v[79:82], v1 offset:928
	v_add_f64 v[88:89], v[88:89], v[114:115]
	v_add_f64 v[2:3], v[2:3], v[108:109]
	s_waitcnt vmcnt(37) lgkmcnt(1)
	v_mul_f64 v[114:115], v[77:78], v[134:135]
	s_waitcnt vmcnt(36)
	v_fma_f64 v[112:113], v[71:72], v[130:131], -v[112:113]
	v_mul_f64 v[108:109], v[75:76], v[134:135]
	v_fma_f64 v[100:101], v[73:74], v[130:131], v[100:101]
	ds_read_b128 v[71:74], v1 offset:944
	v_add_f64 v[88:89], v[88:89], v[106:107]
	s_waitcnt vmcnt(35) lgkmcnt(1)
	v_mul_f64 v[106:107], v[81:82], v[136:137]
	v_add_f64 v[2:3], v[2:3], v[102:103]
	s_waitcnt vmcnt(33)
	v_fma_f64 v[114:115], v[75:76], v[140:141], -v[114:115]
	v_mul_f64 v[102:103], v[79:80], v[136:137]
	v_fma_f64 v[108:109], v[77:78], v[140:141], v[108:109]
	ds_read_b128 v[75:78], v1 offset:960
	v_add_f64 v[88:89], v[88:89], v[112:113]
	s_waitcnt vmcnt(29) lgkmcnt(1)
	v_mul_f64 v[112:113], v[73:74], v[144:145]
	v_add_f64 v[2:3], v[2:3], v[100:101]
	s_waitcnt vmcnt(28)
	v_fma_f64 v[106:107], v[79:80], v[138:139], -v[106:107]
	v_mul_f64 v[100:101], v[71:72], v[144:145]
	v_fma_f64 v[102:103], v[81:82], v[138:139], v[102:103]
	ds_read_b128 v[79:82], v1 offset:976
	v_add_f64 v[88:89], v[88:89], v[114:115]
	v_add_f64 v[2:3], v[2:3], v[108:109]
	s_waitcnt vmcnt(27) lgkmcnt(1)
	v_mul_f64 v[114:115], v[77:78], v[146:147]
	v_mul_f64 v[108:109], v[75:76], v[146:147]
	s_waitcnt vmcnt(25)
	v_fma_f64 v[112:113], v[71:72], v[86:87], -v[112:113]
	v_fma_f64 v[86:87], v[73:74], v[86:87], v[100:101]
	ds_read_b128 v[71:74], v1 offset:992
	s_waitcnt vmcnt(21) lgkmcnt(1)
	v_mul_f64 v[100:101], v[79:80], v[90:91]
	v_mul_f64 v[90:91], v[81:82], v[90:91]
	v_add_f64 v[88:89], v[88:89], v[106:107]
	v_add_f64 v[2:3], v[2:3], v[102:103]
	s_waitcnt vmcnt(20)
	v_fma_f64 v[102:103], v[75:76], v[148:149], -v[114:115]
	v_fma_f64 v[106:107], v[77:78], v[148:149], v[108:109]
	ds_read_b128 v[75:78], v1 offset:1008
	v_add_f64 v[88:89], v[88:89], v[112:113]
	v_add_f64 v[2:3], v[2:3], v[86:87]
	s_waitcnt vmcnt(19) lgkmcnt(1)
	v_mul_f64 v[108:109], v[73:74], v[150:151]
	v_mul_f64 v[86:87], v[71:72], v[150:151]
	s_waitcnt vmcnt(17)
	v_fma_f64 v[90:91], v[79:80], v[84:85], -v[90:91]
	v_fma_f64 v[84:85], v[81:82], v[84:85], v[100:101]
	ds_read_b128 v[79:82], v1 offset:1024
	v_add_f64 v[88:89], v[88:89], v[102:103]
	v_add_f64 v[2:3], v[2:3], v[106:107]
	s_waitcnt vmcnt(13) lgkmcnt(1)
	v_mul_f64 v[100:101], v[75:76], v[98:99]
	v_mul_f64 v[98:99], v[77:78], v[98:99]
	s_waitcnt vmcnt(12)
	v_fma_f64 v[71:72], v[71:72], v[155:156], -v[108:109]
	v_fma_f64 v[73:74], v[73:74], v[155:156], v[86:87]
	v_add_f64 v[88:89], v[88:89], v[90:91]
	v_add_f64 v[84:85], v[2:3], v[84:85]
	ds_read_b128 v[1:4], v1 offset:1040
	s_waitcnt vmcnt(11) lgkmcnt(1)
	v_mul_f64 v[90:91], v[81:82], v[142:143]
	v_mul_f64 v[86:87], v[79:80], v[142:143]
	s_waitcnt vmcnt(9)
	v_fma_f64 v[75:76], v[75:76], v[96:97], -v[98:99]
	v_fma_f64 v[77:78], v[77:78], v[96:97], v[100:101]
	v_add_f64 v[71:72], v[88:89], v[71:72]
	v_add_f64 v[73:74], v[84:85], v[73:74]
	s_waitcnt vmcnt(7) lgkmcnt(0)
	v_mul_f64 v[88:89], v[3:4], v[92:93]
	s_waitcnt vmcnt(6)
	v_fma_f64 v[79:80], v[79:80], v[157:158], -v[90:91]
	v_mul_f64 v[84:85], v[1:2], v[92:93]
	v_add_f64 v[71:72], v[71:72], v[75:76]
	v_fma_f64 v[75:76], v[81:82], v[157:158], v[86:87]
	v_add_f64 v[73:74], v[73:74], v[77:78]
	s_waitcnt vmcnt(4)
	v_fma_f64 v[1:2], v[1:2], v[94:95], -v[88:89]
	v_fma_f64 v[3:4], v[3:4], v[94:95], v[84:85]
	v_add_f64 v[71:72], v[71:72], v[79:80]
	v_add_f64 v[73:74], v[73:74], v[75:76]
	;; [unrolled: 1-line block ×4, first 2 shown]
	s_waitcnt vmcnt(2)
	v_add_f64 v[1:2], v[104:105], -v[1:2]
	s_waitcnt vmcnt(0)
	v_add_f64 v[3:4], v[110:111], -v[3:4]
	buffer_store_dword v2, off, s[0:3], 0 offset:180
	buffer_store_dword v1, off, s[0:3], 0 offset:176
	;; [unrolled: 1-line block ×4, first 2 shown]
	v_cmpx_lt_u32_e32 9, v0
	s_cbranch_execz .LBB96_193
; %bb.192:
	v_mov_b32_e32 v4, s36
	v_mov_b32_e32 v71, 0
	s_clause 0x3
	buffer_load_dword v1, v4, s[0:3], 0 offen
	buffer_load_dword v2, v4, s[0:3], 0 offen offset:4
	buffer_load_dword v3, v4, s[0:3], 0 offen offset:8
	;; [unrolled: 1-line block ×3, first 2 shown]
	buffer_store_dword v71, off, s[0:3], 0 offset:160
	buffer_store_dword v71, off, s[0:3], 0 offset:164
	;; [unrolled: 1-line block ×4, first 2 shown]
	s_waitcnt vmcnt(0)
	ds_write_b128 v83, v[1:4]
.LBB96_193:
	s_or_b32 exec_lo, exec_lo, s4
	s_waitcnt lgkmcnt(0)
	s_waitcnt_vscnt null, 0x0
	s_barrier
	buffer_gl0_inv
	s_clause 0x37
	buffer_load_dword v2, off, s[0:3], 0 offset:184
	buffer_load_dword v3, off, s[0:3], 0 offset:188
	;; [unrolled: 1-line block ×56, first 2 shown]
	v_mov_b32_e32 v1, 0
	s_mov_b32 s4, exec_lo
	ds_read_b128 v[71:74], v1 offset:688
	s_clause 0x2
	buffer_load_dword v137, off, s[0:3], 0 offset:412
	buffer_load_dword v141, off, s[0:3], 0 offset:388
	;; [unrolled: 1-line block ×3, first 2 shown]
	ds_read_b128 v[75:78], v1 offset:704
	s_clause 0x4
	buffer_load_dword v145, off, s[0:3], 0 offset:428
	buffer_load_dword v146, off, s[0:3], 0 offset:440
	;; [unrolled: 1-line block ×5, first 2 shown]
	ds_read_b128 v[79:82], v1 offset:720
	s_waitcnt vmcnt(62) lgkmcnt(2)
	v_mul_f64 v[142:143], v[73:74], v[2:3]
	v_mul_f64 v[2:3], v[71:72], v[2:3]
	s_waitcnt vmcnt(60) lgkmcnt(1)
	v_mul_f64 v[149:150], v[77:78], v[84:85]
	v_mul_f64 v[84:85], v[75:76], v[84:85]
	;; [unrolled: 3-line block ×3, first 2 shown]
	v_fma_f64 v[142:143], v[71:72], v[86:87], -v[142:143]
	v_fma_f64 v[2:3], v[73:74], v[86:87], v[2:3]
	s_clause 0x2
	buffer_load_dword v147, off, s[0:3], 0 offset:444
	buffer_load_dword v87, off, s[0:3], 0 offset:420
	;; [unrolled: 1-line block ×3, first 2 shown]
	s_waitcnt vmcnt(57)
	v_fma_f64 v[153:154], v[75:76], v[90:91], -v[149:150]
	ds_read_b128 v[71:74], v1 offset:736
	v_fma_f64 v[84:85], v[77:78], v[90:91], v[84:85]
	s_clause 0x4
	buffer_load_dword v91, off, s[0:3], 0 offset:460
	buffer_load_dword v150, off, s[0:3], 0 offset:472
	buffer_load_dword v155, off, s[0:3], 0 offset:464
	buffer_load_dword v90, off, s[0:3], 0 offset:456
	buffer_load_dword v149, off, s[0:3], 0 offset:436
	s_waitcnt vmcnt(56)
	v_fma_f64 v[88:89], v[79:80], v[98:99], -v[88:89]
	ds_read_b128 v[75:78], v1 offset:752
	v_fma_f64 v[98:99], v[81:82], v[98:99], v[151:152]
	v_add_f64 v[142:143], v[142:143], 0
	v_add_f64 v[2:3], v[2:3], 0
	s_waitcnt lgkmcnt(1)
	v_mul_f64 v[156:157], v[71:72], v[92:93]
	v_mul_f64 v[92:93], v[73:74], v[92:93]
	v_add_f64 v[142:143], v[142:143], v[153:154]
	v_add_f64 v[2:3], v[2:3], v[84:85]
	s_clause 0x2
	buffer_load_dword v151, off, s[0:3], 0 offset:476
	buffer_load_dword v85, off, s[0:3], 0 offset:452
	;; [unrolled: 1-line block ×3, first 2 shown]
	s_waitcnt vmcnt(58) lgkmcnt(0)
	v_mul_f64 v[152:153], v[75:76], v[94:95]
	v_mul_f64 v[94:95], v[77:78], v[94:95]
	s_waitcnt vmcnt(56)
	v_fma_f64 v[92:93], v[71:72], v[100:101], -v[92:93]
	ds_read_b128 v[79:82], v1 offset:768
	v_fma_f64 v[100:101], v[73:74], v[100:101], v[156:157]
	v_add_f64 v[88:89], v[142:143], v[88:89]
	v_add_f64 v[2:3], v[2:3], v[98:99]
	s_clause 0x4
	buffer_load_dword v99, off, s[0:3], 0 offset:492
	buffer_load_dword v142, off, s[0:3], 0 offset:504
	;; [unrolled: 1-line block ×5, first 2 shown]
	ds_read_b128 v[71:74], v1 offset:784
	s_waitcnt vmcnt(57) lgkmcnt(1)
	v_mul_f64 v[158:159], v[79:80], v[102:103]
	v_mul_f64 v[102:103], v[81:82], v[102:103]
	s_waitcnt vmcnt(56)
	v_fma_f64 v[94:95], v[75:76], v[96:97], -v[94:95]
	v_add_f64 v[88:89], v[88:89], v[92:93]
	v_fma_f64 v[92:93], v[77:78], v[96:97], v[152:153]
	v_add_f64 v[2:3], v[2:3], v[100:101]
	s_clause 0x2
	buffer_load_dword v143, off, s[0:3], 0 offset:508
	buffer_load_dword v97, off, s[0:3], 0 offset:484
	buffer_load_dword v96, off, s[0:3], 0 offset:480
	s_waitcnt vmcnt(58) lgkmcnt(0)
	v_mul_f64 v[100:101], v[71:72], v[104:105]
	v_mul_f64 v[104:105], v[73:74], v[104:105]
	s_waitcnt vmcnt(56)
	v_fma_f64 v[102:103], v[79:80], v[108:109], -v[102:103]
	ds_read_b128 v[75:78], v1 offset:800
	v_add_f64 v[88:89], v[88:89], v[94:95]
	v_fma_f64 v[94:95], v[81:82], v[108:109], v[158:159]
	v_add_f64 v[2:3], v[2:3], v[92:93]
	s_clause 0x4
	buffer_load_dword v93, off, s[0:3], 0 offset:524
	buffer_load_dword v108, off, s[0:3], 0 offset:536
	;; [unrolled: 1-line block ×5, first 2 shown]
	ds_read_b128 v[79:82], v1 offset:816
	s_waitcnt vmcnt(57) lgkmcnt(1)
	v_mul_f64 v[153:154], v[75:76], v[110:111]
	v_mul_f64 v[110:111], v[77:78], v[110:111]
	s_waitcnt vmcnt(56)
	v_fma_f64 v[104:105], v[71:72], v[106:107], -v[104:105]
	v_fma_f64 v[100:101], v[73:74], v[106:107], v[100:101]
	v_add_f64 v[88:89], v[88:89], v[102:103]
	v_add_f64 v[2:3], v[2:3], v[94:95]
	s_clause 0x2
	buffer_load_dword v109, off, s[0:3], 0 offset:540
	buffer_load_dword v95, off, s[0:3], 0 offset:516
	;; [unrolled: 1-line block ×3, first 2 shown]
	s_waitcnt vmcnt(58) lgkmcnt(0)
	v_mul_f64 v[106:107], v[81:82], v[112:113]
	ds_read_b128 v[71:74], v1 offset:832
	s_waitcnt vmcnt(56)
	v_fma_f64 v[110:111], v[75:76], v[116:117], -v[110:111]
	v_mul_f64 v[102:103], v[79:80], v[112:113]
	v_add_f64 v[88:89], v[88:89], v[104:105]
	v_fma_f64 v[104:105], v[77:78], v[116:117], v[153:154]
	v_add_f64 v[2:3], v[2:3], v[100:101]
	buffer_load_dword v153, off, s[0:3], 0 offset:532
	ds_read_b128 v[75:78], v1 offset:848
	s_waitcnt vmcnt(53) lgkmcnt(1)
	v_mul_f64 v[112:113], v[73:74], v[118:119]
	s_waitcnt vmcnt(52)
	v_fma_f64 v[106:107], v[79:80], v[114:115], -v[106:107]
	v_mul_f64 v[100:101], v[71:72], v[118:119]
	v_fma_f64 v[102:103], v[81:82], v[114:115], v[102:103]
	ds_read_b128 v[79:82], v1 offset:864
	v_add_f64 v[88:89], v[88:89], v[110:111]
	v_add_f64 v[2:3], v[2:3], v[104:105]
	s_waitcnt vmcnt(51) lgkmcnt(1)
	v_mul_f64 v[110:111], v[77:78], v[120:121]
	v_mul_f64 v[104:105], v[75:76], v[120:121]
	s_waitcnt vmcnt(49)
	v_fma_f64 v[112:113], v[71:72], v[124:125], -v[112:113]
	v_fma_f64 v[100:101], v[73:74], v[124:125], v[100:101]
	s_waitcnt vmcnt(45) lgkmcnt(0)
	v_mul_f64 v[116:117], v[81:82], v[126:127]
	v_mul_f64 v[114:115], v[79:80], v[126:127]
	v_add_f64 v[88:89], v[88:89], v[106:107]
	v_add_f64 v[2:3], v[2:3], v[102:103]
	s_clause 0x3
	buffer_load_dword v102, off, s[0:3], 0 offset:160
	buffer_load_dword v103, off, s[0:3], 0 offset:164
	;; [unrolled: 1-line block ×4, first 2 shown]
	s_waitcnt vmcnt(48)
	v_fma_f64 v[110:111], v[75:76], v[122:123], -v[110:111]
	ds_read_b128 v[71:74], v1 offset:880
	v_fma_f64 v[104:105], v[77:78], v[122:123], v[104:105]
	ds_read_b128 v[75:78], v1 offset:896
	s_waitcnt vmcnt(45)
	v_fma_f64 v[116:117], v[79:80], v[132:133], -v[116:117]
	v_add_f64 v[88:89], v[88:89], v[112:113]
	v_add_f64 v[2:3], v[2:3], v[100:101]
	s_waitcnt lgkmcnt(1)
	v_mul_f64 v[112:113], v[73:74], v[128:129]
	v_mul_f64 v[100:101], v[71:72], v[128:129]
	v_add_f64 v[88:89], v[88:89], v[110:111]
	v_fma_f64 v[110:111], v[81:82], v[132:133], v[114:115]
	v_add_f64 v[2:3], v[2:3], v[104:105]
	s_waitcnt vmcnt(41) lgkmcnt(0)
	v_mul_f64 v[114:115], v[77:78], v[134:135]
	s_waitcnt vmcnt(40)
	v_fma_f64 v[112:113], v[71:72], v[130:131], -v[112:113]
	ds_read_b128 v[79:82], v1 offset:912
	v_mul_f64 v[104:105], v[75:76], v[134:135]
	v_fma_f64 v[100:101], v[73:74], v[130:131], v[100:101]
	ds_read_b128 v[71:74], v1 offset:928
	v_add_f64 v[88:89], v[88:89], v[116:117]
	v_add_f64 v[2:3], v[2:3], v[110:111]
	s_waitcnt vmcnt(39) lgkmcnt(1)
	v_mul_f64 v[116:117], v[81:82], v[136:137]
	s_waitcnt vmcnt(37)
	v_fma_f64 v[114:115], v[75:76], v[140:141], -v[114:115]
	v_mul_f64 v[110:111], v[79:80], v[136:137]
	v_fma_f64 v[104:105], v[77:78], v[140:141], v[104:105]
	ds_read_b128 v[75:78], v1 offset:944
	v_add_f64 v[88:89], v[88:89], v[112:113]
	s_waitcnt vmcnt(33) lgkmcnt(1)
	v_mul_f64 v[112:113], v[73:74], v[144:145]
	v_add_f64 v[2:3], v[2:3], v[100:101]
	s_waitcnt vmcnt(32)
	v_fma_f64 v[116:117], v[79:80], v[138:139], -v[116:117]
	v_mul_f64 v[100:101], v[71:72], v[144:145]
	v_fma_f64 v[110:111], v[81:82], v[138:139], v[110:111]
	ds_read_b128 v[79:82], v1 offset:960
	v_add_f64 v[88:89], v[88:89], v[114:115]
	v_add_f64 v[2:3], v[2:3], v[104:105]
	s_waitcnt vmcnt(31) lgkmcnt(1)
	v_mul_f64 v[114:115], v[77:78], v[146:147]
	v_mul_f64 v[104:105], v[75:76], v[146:147]
	s_waitcnt vmcnt(29)
	v_fma_f64 v[112:113], v[71:72], v[86:87], -v[112:113]
	v_fma_f64 v[86:87], v[73:74], v[86:87], v[100:101]
	ds_read_b128 v[71:74], v1 offset:976
	s_waitcnt vmcnt(25) lgkmcnt(1)
	v_mul_f64 v[100:101], v[79:80], v[90:91]
	v_mul_f64 v[90:91], v[81:82], v[90:91]
	v_add_f64 v[88:89], v[88:89], v[116:117]
	v_add_f64 v[2:3], v[2:3], v[110:111]
	s_waitcnt vmcnt(24)
	v_fma_f64 v[110:111], v[75:76], v[148:149], -v[114:115]
	v_fma_f64 v[104:105], v[77:78], v[148:149], v[104:105]
	ds_read_b128 v[75:78], v1 offset:992
	v_add_f64 v[88:89], v[88:89], v[112:113]
	v_add_f64 v[2:3], v[2:3], v[86:87]
	s_waitcnt vmcnt(23) lgkmcnt(1)
	v_mul_f64 v[112:113], v[73:74], v[150:151]
	v_mul_f64 v[86:87], v[71:72], v[150:151]
	s_waitcnt vmcnt(21)
	v_fma_f64 v[90:91], v[79:80], v[84:85], -v[90:91]
	v_fma_f64 v[84:85], v[81:82], v[84:85], v[100:101]
	ds_read_b128 v[79:82], v1 offset:1008
	v_add_f64 v[88:89], v[88:89], v[110:111]
	v_add_f64 v[2:3], v[2:3], v[104:105]
	s_waitcnt vmcnt(17) lgkmcnt(1)
	v_mul_f64 v[100:101], v[75:76], v[98:99]
	v_mul_f64 v[98:99], v[77:78], v[98:99]
	;; [unrolled: 9-line block ×4, first 2 shown]
	s_waitcnt vmcnt(8)
	v_fma_f64 v[79:80], v[79:80], v[157:158], -v[90:91]
	v_fma_f64 v[81:82], v[81:82], v[157:158], v[84:85]
	v_add_f64 v[88:89], v[88:89], v[98:99]
	v_add_f64 v[2:3], v[2:3], v[96:97]
	s_waitcnt vmcnt(7) lgkmcnt(0)
	v_mul_f64 v[90:91], v[77:78], v[108:109]
	v_mul_f64 v[84:85], v[75:76], v[108:109]
	s_waitcnt vmcnt(5)
	v_fma_f64 v[71:72], v[71:72], v[94:95], -v[92:93]
	v_fma_f64 v[73:74], v[73:74], v[94:95], v[86:87]
	v_add_f64 v[79:80], v[88:89], v[79:80]
	v_add_f64 v[2:3], v[2:3], v[81:82]
	s_waitcnt vmcnt(4)
	v_fma_f64 v[75:76], v[75:76], v[152:153], -v[90:91]
	v_fma_f64 v[77:78], v[77:78], v[152:153], v[84:85]
	v_add_f64 v[71:72], v[79:80], v[71:72]
	v_add_f64 v[2:3], v[2:3], v[73:74]
	;; [unrolled: 1-line block ×4, first 2 shown]
	s_waitcnt vmcnt(2)
	v_add_f64 v[71:72], v[102:103], -v[71:72]
	s_waitcnt vmcnt(0)
	v_add_f64 v[2:3], v[106:107], -v[2:3]
	buffer_store_dword v72, off, s[0:3], 0 offset:164
	buffer_store_dword v71, off, s[0:3], 0 offset:160
	;; [unrolled: 1-line block ×4, first 2 shown]
	v_cmpx_lt_u32_e32 8, v0
	s_cbranch_execz .LBB96_195
; %bb.194:
	v_mov_b32_e32 v2, s37
	s_clause 0x3
	buffer_load_dword v71, v2, s[0:3], 0 offen
	buffer_load_dword v72, v2, s[0:3], 0 offen offset:4
	buffer_load_dword v73, v2, s[0:3], 0 offen offset:8
	;; [unrolled: 1-line block ×3, first 2 shown]
	buffer_store_dword v1, off, s[0:3], 0 offset:144
	buffer_store_dword v1, off, s[0:3], 0 offset:148
	;; [unrolled: 1-line block ×4, first 2 shown]
	s_waitcnt vmcnt(0)
	ds_write_b128 v83, v[71:74]
.LBB96_195:
	s_or_b32 exec_lo, exec_lo, s4
	s_waitcnt lgkmcnt(0)
	s_waitcnt_vscnt null, 0x0
	s_barrier
	buffer_gl0_inv
	s_clause 0x37
	buffer_load_dword v2, off, s[0:3], 0 offset:168
	buffer_load_dword v3, off, s[0:3], 0 offset:172
	;; [unrolled: 1-line block ×56, first 2 shown]
	ds_read_b128 v[71:74], v1 offset:672
	s_clause 0x2
	buffer_load_dword v137, off, s[0:3], 0 offset:396
	buffer_load_dword v141, off, s[0:3], 0 offset:372
	;; [unrolled: 1-line block ×3, first 2 shown]
	ds_read_b128 v[75:78], v1 offset:688
	s_clause 0x4
	buffer_load_dword v145, off, s[0:3], 0 offset:412
	buffer_load_dword v146, off, s[0:3], 0 offset:424
	;; [unrolled: 1-line block ×5, first 2 shown]
	ds_read_b128 v[79:82], v1 offset:704
	s_mov_b32 s4, exec_lo
	s_waitcnt vmcnt(62) lgkmcnt(2)
	v_mul_f64 v[142:143], v[73:74], v[2:3]
	v_mul_f64 v[2:3], v[71:72], v[2:3]
	s_waitcnt vmcnt(60) lgkmcnt(1)
	v_mul_f64 v[149:150], v[77:78], v[84:85]
	v_mul_f64 v[84:85], v[75:76], v[84:85]
	;; [unrolled: 3-line block ×3, first 2 shown]
	v_fma_f64 v[142:143], v[71:72], v[86:87], -v[142:143]
	v_fma_f64 v[2:3], v[73:74], v[86:87], v[2:3]
	s_clause 0x2
	buffer_load_dword v147, off, s[0:3], 0 offset:428
	buffer_load_dword v87, off, s[0:3], 0 offset:404
	;; [unrolled: 1-line block ×3, first 2 shown]
	s_waitcnt vmcnt(57)
	v_fma_f64 v[153:154], v[75:76], v[90:91], -v[149:150]
	ds_read_b128 v[71:74], v1 offset:720
	v_fma_f64 v[84:85], v[77:78], v[90:91], v[84:85]
	s_clause 0x4
	buffer_load_dword v91, off, s[0:3], 0 offset:444
	buffer_load_dword v150, off, s[0:3], 0 offset:456
	;; [unrolled: 1-line block ×5, first 2 shown]
	s_waitcnt vmcnt(56)
	v_fma_f64 v[88:89], v[79:80], v[98:99], -v[88:89]
	ds_read_b128 v[75:78], v1 offset:736
	v_fma_f64 v[98:99], v[81:82], v[98:99], v[151:152]
	v_add_f64 v[142:143], v[142:143], 0
	v_add_f64 v[2:3], v[2:3], 0
	s_waitcnt lgkmcnt(1)
	v_mul_f64 v[156:157], v[71:72], v[92:93]
	v_mul_f64 v[92:93], v[73:74], v[92:93]
	v_add_f64 v[142:143], v[142:143], v[153:154]
	v_add_f64 v[2:3], v[2:3], v[84:85]
	s_clause 0x2
	buffer_load_dword v151, off, s[0:3], 0 offset:460
	buffer_load_dword v85, off, s[0:3], 0 offset:436
	;; [unrolled: 1-line block ×3, first 2 shown]
	s_waitcnt vmcnt(58) lgkmcnt(0)
	v_mul_f64 v[152:153], v[75:76], v[94:95]
	v_mul_f64 v[94:95], v[77:78], v[94:95]
	s_waitcnt vmcnt(56)
	v_fma_f64 v[92:93], v[71:72], v[100:101], -v[92:93]
	ds_read_b128 v[79:82], v1 offset:752
	v_fma_f64 v[100:101], v[73:74], v[100:101], v[156:157]
	v_add_f64 v[88:89], v[142:143], v[88:89]
	v_add_f64 v[2:3], v[2:3], v[98:99]
	s_clause 0x4
	buffer_load_dword v99, off, s[0:3], 0 offset:476
	buffer_load_dword v142, off, s[0:3], 0 offset:488
	;; [unrolled: 1-line block ×5, first 2 shown]
	ds_read_b128 v[71:74], v1 offset:768
	s_waitcnt vmcnt(57) lgkmcnt(1)
	v_mul_f64 v[158:159], v[79:80], v[102:103]
	v_mul_f64 v[102:103], v[81:82], v[102:103]
	s_waitcnt vmcnt(56)
	v_fma_f64 v[94:95], v[75:76], v[96:97], -v[94:95]
	v_add_f64 v[88:89], v[88:89], v[92:93]
	v_fma_f64 v[92:93], v[77:78], v[96:97], v[152:153]
	v_add_f64 v[2:3], v[2:3], v[100:101]
	s_clause 0x2
	buffer_load_dword v143, off, s[0:3], 0 offset:492
	buffer_load_dword v97, off, s[0:3], 0 offset:468
	;; [unrolled: 1-line block ×3, first 2 shown]
	s_waitcnt vmcnt(58) lgkmcnt(0)
	v_mul_f64 v[100:101], v[71:72], v[104:105]
	v_mul_f64 v[104:105], v[73:74], v[104:105]
	s_waitcnt vmcnt(56)
	v_fma_f64 v[102:103], v[79:80], v[108:109], -v[102:103]
	ds_read_b128 v[75:78], v1 offset:784
	v_add_f64 v[88:89], v[88:89], v[94:95]
	v_fma_f64 v[94:95], v[81:82], v[108:109], v[158:159]
	v_add_f64 v[2:3], v[2:3], v[92:93]
	s_clause 0x4
	buffer_load_dword v93, off, s[0:3], 0 offset:508
	buffer_load_dword v108, off, s[0:3], 0 offset:520
	;; [unrolled: 1-line block ×5, first 2 shown]
	ds_read_b128 v[79:82], v1 offset:800
	s_waitcnt vmcnt(57) lgkmcnt(1)
	v_mul_f64 v[153:154], v[75:76], v[110:111]
	v_mul_f64 v[110:111], v[77:78], v[110:111]
	s_waitcnt vmcnt(56)
	v_fma_f64 v[104:105], v[71:72], v[106:107], -v[104:105]
	v_fma_f64 v[100:101], v[73:74], v[106:107], v[100:101]
	v_add_f64 v[88:89], v[88:89], v[102:103]
	v_add_f64 v[2:3], v[2:3], v[94:95]
	s_clause 0x2
	buffer_load_dword v109, off, s[0:3], 0 offset:524
	buffer_load_dword v95, off, s[0:3], 0 offset:500
	;; [unrolled: 1-line block ×3, first 2 shown]
	s_waitcnt vmcnt(58) lgkmcnt(0)
	v_mul_f64 v[106:107], v[81:82], v[112:113]
	ds_read_b128 v[71:74], v1 offset:816
	s_waitcnt vmcnt(56)
	v_fma_f64 v[110:111], v[75:76], v[116:117], -v[110:111]
	v_mul_f64 v[102:103], v[79:80], v[112:113]
	v_add_f64 v[88:89], v[88:89], v[104:105]
	v_fma_f64 v[104:105], v[77:78], v[116:117], v[153:154]
	v_add_f64 v[2:3], v[2:3], v[100:101]
	s_clause 0x2
	buffer_load_dword v101, off, s[0:3], 0 offset:540
	buffer_load_dword v100, off, s[0:3], 0 offset:536
	;; [unrolled: 1-line block ×3, first 2 shown]
	s_waitcnt vmcnt(55) lgkmcnt(0)
	v_mul_f64 v[116:117], v[73:74], v[118:119]
	s_waitcnt vmcnt(54)
	v_fma_f64 v[106:107], v[79:80], v[114:115], -v[106:107]
	ds_read_b128 v[75:78], v1 offset:832
	v_mul_f64 v[112:113], v[71:72], v[118:119]
	v_fma_f64 v[102:103], v[81:82], v[114:115], v[102:103]
	v_add_f64 v[88:89], v[88:89], v[110:111]
	v_add_f64 v[2:3], v[2:3], v[104:105]
	s_clause 0x1
	buffer_load_dword v105, off, s[0:3], 0 offset:532
	buffer_load_dword v104, off, s[0:3], 0 offset:528
	s_waitcnt vmcnt(55) lgkmcnt(0)
	v_mul_f64 v[114:115], v[77:78], v[120:121]
	s_waitcnt vmcnt(53)
	v_fma_f64 v[116:117], v[71:72], v[124:125], -v[116:117]
	ds_read_b128 v[79:82], v1 offset:848
	v_mul_f64 v[110:111], v[75:76], v[120:121]
	v_add_f64 v[88:89], v[88:89], v[106:107]
	v_fma_f64 v[106:107], v[73:74], v[124:125], v[112:113]
	v_add_f64 v[2:3], v[2:3], v[102:103]
	ds_read_b128 v[71:74], v1 offset:864
	s_waitcnt vmcnt(49) lgkmcnt(1)
	v_mul_f64 v[112:113], v[81:82], v[126:127]
	s_waitcnt vmcnt(48)
	v_fma_f64 v[114:115], v[75:76], v[122:123], -v[114:115]
	v_mul_f64 v[102:103], v[79:80], v[126:127]
	v_fma_f64 v[110:111], v[77:78], v[122:123], v[110:111]
	v_add_f64 v[88:89], v[88:89], v[116:117]
	s_waitcnt vmcnt(47) lgkmcnt(0)
	v_mul_f64 v[120:121], v[73:74], v[128:129]
	v_add_f64 v[2:3], v[2:3], v[106:107]
	s_clause 0x3
	buffer_load_dword v106, off, s[0:3], 0 offset:144
	buffer_load_dword v107, off, s[0:3], 0 offset:148
	;; [unrolled: 1-line block ×4, first 2 shown]
	s_waitcnt vmcnt(49)
	v_fma_f64 v[112:113], v[79:80], v[132:133], -v[112:113]
	ds_read_b128 v[75:78], v1 offset:880
	v_mul_f64 v[118:119], v[71:72], v[128:129]
	v_fma_f64 v[102:103], v[81:82], v[132:133], v[102:103]
	ds_read_b128 v[79:82], v1 offset:896
	v_add_f64 v[88:89], v[88:89], v[114:115]
	s_waitcnt vmcnt(44)
	v_fma_f64 v[120:121], v[71:72], v[130:131], -v[120:121]
	v_add_f64 v[2:3], v[2:3], v[110:111]
	s_waitcnt lgkmcnt(1)
	v_mul_f64 v[114:115], v[77:78], v[134:135]
	v_mul_f64 v[110:111], v[75:76], v[134:135]
	v_add_f64 v[88:89], v[88:89], v[112:113]
	v_fma_f64 v[112:113], v[73:74], v[130:131], v[118:119]
	v_add_f64 v[2:3], v[2:3], v[102:103]
	s_waitcnt vmcnt(43) lgkmcnt(0)
	v_mul_f64 v[118:119], v[81:82], v[136:137]
	s_waitcnt vmcnt(41)
	v_fma_f64 v[114:115], v[75:76], v[140:141], -v[114:115]
	ds_read_b128 v[71:74], v1 offset:912
	v_mul_f64 v[102:103], v[79:80], v[136:137]
	v_fma_f64 v[110:111], v[77:78], v[140:141], v[110:111]
	ds_read_b128 v[75:78], v1 offset:928
	v_add_f64 v[88:89], v[88:89], v[120:121]
	v_add_f64 v[2:3], v[2:3], v[112:113]
	s_waitcnt vmcnt(37) lgkmcnt(1)
	v_mul_f64 v[120:121], v[73:74], v[144:145]
	s_waitcnt vmcnt(36)
	v_fma_f64 v[118:119], v[79:80], v[138:139], -v[118:119]
	v_mul_f64 v[112:113], v[71:72], v[144:145]
	v_fma_f64 v[102:103], v[81:82], v[138:139], v[102:103]
	ds_read_b128 v[79:82], v1 offset:944
	v_add_f64 v[88:89], v[88:89], v[114:115]
	v_add_f64 v[2:3], v[2:3], v[110:111]
	s_waitcnt vmcnt(35) lgkmcnt(1)
	v_mul_f64 v[114:115], v[77:78], v[146:147]
	v_mul_f64 v[110:111], v[75:76], v[146:147]
	s_waitcnt vmcnt(33)
	v_fma_f64 v[120:121], v[71:72], v[86:87], -v[120:121]
	v_fma_f64 v[86:87], v[73:74], v[86:87], v[112:113]
	ds_read_b128 v[71:74], v1 offset:960
	v_add_f64 v[88:89], v[88:89], v[118:119]
	v_add_f64 v[2:3], v[2:3], v[102:103]
	s_waitcnt vmcnt(29) lgkmcnt(1)
	v_mul_f64 v[102:103], v[79:80], v[90:91]
	v_mul_f64 v[90:91], v[81:82], v[90:91]
	s_waitcnt vmcnt(28)
	v_fma_f64 v[112:113], v[75:76], v[148:149], -v[114:115]
	;; [unrolled: 9-line block ×6, first 2 shown]
	v_fma_f64 v[81:82], v[81:82], v[157:158], v[84:85]
	v_add_f64 v[88:89], v[88:89], v[98:99]
	v_add_f64 v[84:85], v[2:3], v[96:97]
	ds_read_b128 v[1:4], v1 offset:1040
	s_waitcnt vmcnt(11) lgkmcnt(1)
	v_mul_f64 v[96:97], v[77:78], v[108:109]
	v_mul_f64 v[90:91], v[75:76], v[108:109]
	s_waitcnt vmcnt(9)
	v_fma_f64 v[71:72], v[71:72], v[94:95], -v[92:93]
	v_fma_f64 v[73:74], v[73:74], v[94:95], v[86:87]
	v_add_f64 v[79:80], v[88:89], v[79:80]
	v_add_f64 v[81:82], v[84:85], v[81:82]
	s_waitcnt vmcnt(7) lgkmcnt(0)
	v_mul_f64 v[86:87], v[3:4], v[100:101]
	s_waitcnt vmcnt(6)
	v_fma_f64 v[75:76], v[75:76], v[152:153], -v[96:97]
	v_mul_f64 v[84:85], v[1:2], v[100:101]
	v_fma_f64 v[77:78], v[77:78], v[152:153], v[90:91]
	v_add_f64 v[71:72], v[79:80], v[71:72]
	v_add_f64 v[73:74], v[81:82], v[73:74]
	s_waitcnt vmcnt(4)
	v_fma_f64 v[1:2], v[1:2], v[104:105], -v[86:87]
	v_fma_f64 v[3:4], v[3:4], v[104:105], v[84:85]
	v_add_f64 v[71:72], v[71:72], v[75:76]
	v_add_f64 v[73:74], v[73:74], v[77:78]
	;; [unrolled: 1-line block ×4, first 2 shown]
	s_waitcnt vmcnt(2)
	v_add_f64 v[1:2], v[106:107], -v[1:2]
	s_waitcnt vmcnt(0)
	v_add_f64 v[3:4], v[116:117], -v[3:4]
	buffer_store_dword v2, off, s[0:3], 0 offset:148
	buffer_store_dword v1, off, s[0:3], 0 offset:144
	;; [unrolled: 1-line block ×4, first 2 shown]
	v_cmpx_lt_u32_e32 7, v0
	s_cbranch_execz .LBB96_197
; %bb.196:
	v_mov_b32_e32 v4, s38
	v_mov_b32_e32 v71, 0
	s_clause 0x3
	buffer_load_dword v1, v4, s[0:3], 0 offen
	buffer_load_dword v2, v4, s[0:3], 0 offen offset:4
	buffer_load_dword v3, v4, s[0:3], 0 offen offset:8
	;; [unrolled: 1-line block ×3, first 2 shown]
	buffer_store_dword v71, off, s[0:3], 0 offset:128
	buffer_store_dword v71, off, s[0:3], 0 offset:132
	;; [unrolled: 1-line block ×4, first 2 shown]
	s_waitcnt vmcnt(0)
	ds_write_b128 v83, v[1:4]
.LBB96_197:
	s_or_b32 exec_lo, exec_lo, s4
	s_waitcnt lgkmcnt(0)
	s_waitcnt_vscnt null, 0x0
	s_barrier
	buffer_gl0_inv
	s_clause 0x37
	buffer_load_dword v2, off, s[0:3], 0 offset:152
	buffer_load_dword v3, off, s[0:3], 0 offset:156
	;; [unrolled: 1-line block ×56, first 2 shown]
	v_mov_b32_e32 v1, 0
	s_mov_b32 s4, exec_lo
	ds_read_b128 v[71:74], v1 offset:656
	s_clause 0x2
	buffer_load_dword v137, off, s[0:3], 0 offset:380
	buffer_load_dword v141, off, s[0:3], 0 offset:356
	;; [unrolled: 1-line block ×3, first 2 shown]
	ds_read_b128 v[75:78], v1 offset:672
	s_clause 0x4
	buffer_load_dword v145, off, s[0:3], 0 offset:396
	buffer_load_dword v146, off, s[0:3], 0 offset:408
	;; [unrolled: 1-line block ×5, first 2 shown]
	ds_read_b128 v[79:82], v1 offset:688
	s_waitcnt vmcnt(62) lgkmcnt(2)
	v_mul_f64 v[142:143], v[73:74], v[2:3]
	v_mul_f64 v[2:3], v[71:72], v[2:3]
	s_waitcnt vmcnt(60) lgkmcnt(1)
	v_mul_f64 v[149:150], v[77:78], v[84:85]
	v_mul_f64 v[84:85], v[75:76], v[84:85]
	;; [unrolled: 3-line block ×3, first 2 shown]
	v_fma_f64 v[142:143], v[71:72], v[86:87], -v[142:143]
	v_fma_f64 v[2:3], v[73:74], v[86:87], v[2:3]
	s_clause 0x2
	buffer_load_dword v147, off, s[0:3], 0 offset:412
	buffer_load_dword v87, off, s[0:3], 0 offset:388
	;; [unrolled: 1-line block ×3, first 2 shown]
	s_waitcnt vmcnt(57)
	v_fma_f64 v[153:154], v[75:76], v[90:91], -v[149:150]
	ds_read_b128 v[71:74], v1 offset:704
	v_fma_f64 v[84:85], v[77:78], v[90:91], v[84:85]
	s_clause 0x4
	buffer_load_dword v91, off, s[0:3], 0 offset:428
	buffer_load_dword v150, off, s[0:3], 0 offset:440
	;; [unrolled: 1-line block ×5, first 2 shown]
	s_waitcnt vmcnt(56)
	v_fma_f64 v[88:89], v[79:80], v[98:99], -v[88:89]
	ds_read_b128 v[75:78], v1 offset:720
	v_fma_f64 v[98:99], v[81:82], v[98:99], v[151:152]
	v_add_f64 v[142:143], v[142:143], 0
	v_add_f64 v[2:3], v[2:3], 0
	s_waitcnt lgkmcnt(1)
	v_mul_f64 v[156:157], v[71:72], v[92:93]
	v_mul_f64 v[92:93], v[73:74], v[92:93]
	v_add_f64 v[142:143], v[142:143], v[153:154]
	v_add_f64 v[2:3], v[2:3], v[84:85]
	s_clause 0x2
	buffer_load_dword v151, off, s[0:3], 0 offset:444
	buffer_load_dword v85, off, s[0:3], 0 offset:420
	;; [unrolled: 1-line block ×3, first 2 shown]
	s_waitcnt vmcnt(58) lgkmcnt(0)
	v_mul_f64 v[152:153], v[75:76], v[94:95]
	v_mul_f64 v[94:95], v[77:78], v[94:95]
	s_waitcnt vmcnt(56)
	v_fma_f64 v[92:93], v[71:72], v[100:101], -v[92:93]
	ds_read_b128 v[79:82], v1 offset:736
	v_fma_f64 v[100:101], v[73:74], v[100:101], v[156:157]
	v_add_f64 v[88:89], v[142:143], v[88:89]
	v_add_f64 v[2:3], v[2:3], v[98:99]
	s_clause 0x4
	buffer_load_dword v99, off, s[0:3], 0 offset:460
	buffer_load_dword v142, off, s[0:3], 0 offset:472
	;; [unrolled: 1-line block ×5, first 2 shown]
	ds_read_b128 v[71:74], v1 offset:752
	s_waitcnt vmcnt(57) lgkmcnt(1)
	v_mul_f64 v[158:159], v[79:80], v[102:103]
	v_mul_f64 v[102:103], v[81:82], v[102:103]
	s_waitcnt vmcnt(56)
	v_fma_f64 v[94:95], v[75:76], v[96:97], -v[94:95]
	v_add_f64 v[88:89], v[88:89], v[92:93]
	v_fma_f64 v[92:93], v[77:78], v[96:97], v[152:153]
	v_add_f64 v[2:3], v[2:3], v[100:101]
	s_clause 0x2
	buffer_load_dword v143, off, s[0:3], 0 offset:476
	buffer_load_dword v97, off, s[0:3], 0 offset:452
	;; [unrolled: 1-line block ×3, first 2 shown]
	s_waitcnt vmcnt(58) lgkmcnt(0)
	v_mul_f64 v[100:101], v[71:72], v[104:105]
	v_mul_f64 v[104:105], v[73:74], v[104:105]
	s_waitcnt vmcnt(56)
	v_fma_f64 v[102:103], v[79:80], v[108:109], -v[102:103]
	ds_read_b128 v[75:78], v1 offset:768
	v_add_f64 v[88:89], v[88:89], v[94:95]
	v_fma_f64 v[94:95], v[81:82], v[108:109], v[158:159]
	v_add_f64 v[2:3], v[2:3], v[92:93]
	s_clause 0x4
	buffer_load_dword v93, off, s[0:3], 0 offset:492
	buffer_load_dword v108, off, s[0:3], 0 offset:504
	;; [unrolled: 1-line block ×5, first 2 shown]
	ds_read_b128 v[79:82], v1 offset:784
	s_waitcnt vmcnt(57) lgkmcnt(1)
	v_mul_f64 v[153:154], v[75:76], v[110:111]
	v_mul_f64 v[110:111], v[77:78], v[110:111]
	s_waitcnt vmcnt(56)
	v_fma_f64 v[104:105], v[71:72], v[106:107], -v[104:105]
	v_fma_f64 v[100:101], v[73:74], v[106:107], v[100:101]
	v_add_f64 v[88:89], v[88:89], v[102:103]
	v_add_f64 v[2:3], v[2:3], v[94:95]
	s_clause 0x2
	buffer_load_dword v109, off, s[0:3], 0 offset:508
	buffer_load_dword v95, off, s[0:3], 0 offset:484
	;; [unrolled: 1-line block ×3, first 2 shown]
	s_waitcnt vmcnt(58) lgkmcnt(0)
	v_mul_f64 v[106:107], v[81:82], v[112:113]
	ds_read_b128 v[71:74], v1 offset:800
	s_waitcnt vmcnt(56)
	v_fma_f64 v[110:111], v[75:76], v[116:117], -v[110:111]
	v_mul_f64 v[102:103], v[79:80], v[112:113]
	v_add_f64 v[88:89], v[88:89], v[104:105]
	v_fma_f64 v[104:105], v[77:78], v[116:117], v[153:154]
	v_add_f64 v[2:3], v[2:3], v[100:101]
	s_clause 0x4
	buffer_load_dword v101, off, s[0:3], 0 offset:524
	buffer_load_dword v112, off, s[0:3], 0 offset:536
	;; [unrolled: 1-line block ×5, first 2 shown]
	s_waitcnt vmcnt(57) lgkmcnt(0)
	v_mul_f64 v[159:160], v[71:72], v[118:119]
	v_mul_f64 v[117:118], v[73:74], v[118:119]
	s_waitcnt vmcnt(56)
	v_fma_f64 v[106:107], v[79:80], v[114:115], -v[106:107]
	ds_read_b128 v[75:78], v1 offset:816
	v_fma_f64 v[102:103], v[81:82], v[114:115], v[102:103]
	v_add_f64 v[88:89], v[88:89], v[110:111]
	v_add_f64 v[2:3], v[2:3], v[104:105]
	s_clause 0x2
	buffer_load_dword v113, off, s[0:3], 0 offset:540
	buffer_load_dword v105, off, s[0:3], 0 offset:516
	;; [unrolled: 1-line block ×3, first 2 shown]
	ds_read_b128 v[79:82], v1 offset:832
	s_waitcnt vmcnt(58) lgkmcnt(1)
	v_mul_f64 v[114:115], v[77:78], v[120:121]
	s_waitcnt vmcnt(56)
	v_fma_f64 v[118:119], v[71:72], v[124:125], -v[117:118]
	v_mul_f64 v[110:111], v[75:76], v[120:121]
	buffer_load_dword v117, off, s[0:3], 0 offset:532
	v_add_f64 v[88:89], v[88:89], v[106:107]
	v_fma_f64 v[106:107], v[73:74], v[124:125], v[159:160]
	v_add_f64 v[2:3], v[2:3], v[102:103]
	ds_read_b128 v[71:74], v1 offset:848
	s_waitcnt vmcnt(53) lgkmcnt(1)
	v_mul_f64 v[120:121], v[81:82], v[126:127]
	s_waitcnt vmcnt(52)
	v_fma_f64 v[114:115], v[75:76], v[122:123], -v[114:115]
	v_mul_f64 v[102:103], v[79:80], v[126:127]
	v_fma_f64 v[110:111], v[77:78], v[122:123], v[110:111]
	ds_read_b128 v[75:78], v1 offset:864
	v_add_f64 v[88:89], v[88:89], v[118:119]
	s_waitcnt vmcnt(51) lgkmcnt(1)
	v_mul_f64 v[118:119], v[73:74], v[128:129]
	v_add_f64 v[2:3], v[2:3], v[106:107]
	v_mul_f64 v[106:107], v[71:72], v[128:129]
	s_waitcnt vmcnt(49)
	v_fma_f64 v[120:121], v[79:80], v[132:133], -v[120:121]
	v_fma_f64 v[102:103], v[81:82], v[132:133], v[102:103]
	s_waitcnt vmcnt(45) lgkmcnt(0)
	v_mul_f64 v[124:125], v[77:78], v[134:135]
	v_mul_f64 v[122:123], v[75:76], v[134:135]
	v_add_f64 v[88:89], v[88:89], v[114:115]
	s_waitcnt vmcnt(44)
	v_fma_f64 v[118:119], v[71:72], v[130:131], -v[118:119]
	v_add_f64 v[2:3], v[2:3], v[110:111]
	s_clause 0x3
	buffer_load_dword v110, off, s[0:3], 0 offset:128
	buffer_load_dword v111, off, s[0:3], 0 offset:132
	;; [unrolled: 1-line block ×4, first 2 shown]
	ds_read_b128 v[79:82], v1 offset:880
	v_fma_f64 v[106:107], v[73:74], v[130:131], v[106:107]
	ds_read_b128 v[71:74], v1 offset:896
	s_waitcnt vmcnt(45)
	v_fma_f64 v[124:125], v[75:76], v[140:141], -v[124:125]
	v_add_f64 v[88:89], v[88:89], v[120:121]
	v_add_f64 v[2:3], v[2:3], v[102:103]
	s_waitcnt lgkmcnt(1)
	v_mul_f64 v[120:121], v[81:82], v[136:137]
	v_mul_f64 v[102:103], v[79:80], v[136:137]
	v_add_f64 v[88:89], v[88:89], v[118:119]
	v_fma_f64 v[118:119], v[77:78], v[140:141], v[122:123]
	v_add_f64 v[2:3], v[2:3], v[106:107]
	s_waitcnt vmcnt(41) lgkmcnt(0)
	v_mul_f64 v[122:123], v[73:74], v[144:145]
	s_waitcnt vmcnt(40)
	v_fma_f64 v[120:121], v[79:80], v[138:139], -v[120:121]
	ds_read_b128 v[75:78], v1 offset:912
	v_mul_f64 v[106:107], v[71:72], v[144:145]
	v_fma_f64 v[102:103], v[81:82], v[138:139], v[102:103]
	ds_read_b128 v[79:82], v1 offset:928
	v_add_f64 v[88:89], v[88:89], v[124:125]
	v_add_f64 v[2:3], v[2:3], v[118:119]
	s_waitcnt vmcnt(39) lgkmcnt(1)
	v_mul_f64 v[124:125], v[77:78], v[146:147]
	v_mul_f64 v[118:119], v[75:76], v[146:147]
	s_waitcnt vmcnt(37)
	v_fma_f64 v[122:123], v[71:72], v[86:87], -v[122:123]
	v_fma_f64 v[86:87], v[73:74], v[86:87], v[106:107]
	ds_read_b128 v[71:74], v1 offset:944
	v_add_f64 v[88:89], v[88:89], v[120:121]
	v_add_f64 v[2:3], v[2:3], v[102:103]
	s_waitcnt vmcnt(33) lgkmcnt(1)
	v_mul_f64 v[102:103], v[79:80], v[90:91]
	v_mul_f64 v[90:91], v[81:82], v[90:91]
	s_waitcnt vmcnt(32)
	v_fma_f64 v[106:107], v[75:76], v[148:149], -v[124:125]
	v_fma_f64 v[118:119], v[77:78], v[148:149], v[118:119]
	ds_read_b128 v[75:78], v1 offset:960
	v_add_f64 v[88:89], v[88:89], v[122:123]
	v_add_f64 v[2:3], v[2:3], v[86:87]
	s_waitcnt vmcnt(31) lgkmcnt(1)
	v_mul_f64 v[120:121], v[73:74], v[150:151]
	v_mul_f64 v[86:87], v[71:72], v[150:151]
	s_waitcnt vmcnt(29)
	v_fma_f64 v[90:91], v[79:80], v[84:85], -v[90:91]
	v_fma_f64 v[84:85], v[81:82], v[84:85], v[102:103]
	ds_read_b128 v[79:82], v1 offset:976
	v_add_f64 v[88:89], v[88:89], v[106:107]
	v_add_f64 v[2:3], v[2:3], v[118:119]
	s_waitcnt vmcnt(25) lgkmcnt(1)
	v_mul_f64 v[102:103], v[75:76], v[98:99]
	v_mul_f64 v[98:99], v[77:78], v[98:99]
	s_waitcnt vmcnt(24)
	v_fma_f64 v[106:107], v[71:72], v[155:156], -v[120:121]
	v_fma_f64 v[86:87], v[73:74], v[155:156], v[86:87]
	ds_read_b128 v[71:74], v1 offset:992
	v_add_f64 v[88:89], v[88:89], v[90:91]
	v_add_f64 v[2:3], v[2:3], v[84:85]
	s_waitcnt vmcnt(23) lgkmcnt(1)
	v_mul_f64 v[90:91], v[81:82], v[142:143]
	v_mul_f64 v[84:85], v[79:80], v[142:143]
	s_waitcnt vmcnt(21)
	v_fma_f64 v[98:99], v[75:76], v[96:97], -v[98:99]
	v_fma_f64 v[96:97], v[77:78], v[96:97], v[102:103]
	ds_read_b128 v[75:78], v1 offset:1008
	v_add_f64 v[88:89], v[88:89], v[106:107]
	v_add_f64 v[2:3], v[2:3], v[86:87]
	s_waitcnt vmcnt(17) lgkmcnt(1)
	v_mul_f64 v[86:87], v[71:72], v[92:93]
	v_mul_f64 v[92:93], v[73:74], v[92:93]
	s_waitcnt vmcnt(16)
	v_fma_f64 v[90:91], v[79:80], v[157:158], -v[90:91]
	v_fma_f64 v[84:85], v[81:82], v[157:158], v[84:85]
	ds_read_b128 v[79:82], v1 offset:1024
	v_add_f64 v[88:89], v[88:89], v[98:99]
	v_add_f64 v[2:3], v[2:3], v[96:97]
	s_waitcnt vmcnt(15) lgkmcnt(1)
	v_mul_f64 v[98:99], v[77:78], v[108:109]
	v_mul_f64 v[96:97], v[75:76], v[108:109]
	s_waitcnt vmcnt(13)
	v_fma_f64 v[92:93], v[71:72], v[94:95], -v[92:93]
	v_fma_f64 v[86:87], v[73:74], v[94:95], v[86:87]
	ds_read_b128 v[71:74], v1 offset:1040
	v_add_f64 v[88:89], v[88:89], v[90:91]
	v_add_f64 v[2:3], v[2:3], v[84:85]
	s_waitcnt vmcnt(9) lgkmcnt(1)
	v_mul_f64 v[90:91], v[81:82], v[100:101]
	s_waitcnt vmcnt(8)
	v_fma_f64 v[75:76], v[75:76], v[152:153], -v[98:99]
	v_mul_f64 v[84:85], v[79:80], v[100:101]
	v_fma_f64 v[77:78], v[77:78], v[152:153], v[96:97]
	v_add_f64 v[88:89], v[88:89], v[92:93]
	v_add_f64 v[2:3], v[2:3], v[86:87]
	s_waitcnt vmcnt(7) lgkmcnt(0)
	v_mul_f64 v[92:93], v[73:74], v[112:113]
	v_mul_f64 v[86:87], v[71:72], v[112:113]
	s_waitcnt vmcnt(5)
	v_fma_f64 v[79:80], v[79:80], v[104:105], -v[90:91]
	v_fma_f64 v[81:82], v[81:82], v[104:105], v[84:85]
	v_add_f64 v[75:76], v[88:89], v[75:76]
	v_add_f64 v[2:3], v[2:3], v[77:78]
	s_waitcnt vmcnt(4)
	v_fma_f64 v[71:72], v[71:72], v[116:117], -v[92:93]
	v_fma_f64 v[73:74], v[73:74], v[116:117], v[86:87]
	v_add_f64 v[75:76], v[75:76], v[79:80]
	v_add_f64 v[2:3], v[2:3], v[81:82]
	;; [unrolled: 1-line block ×4, first 2 shown]
	s_waitcnt vmcnt(2)
	v_add_f64 v[71:72], v[110:111], -v[71:72]
	s_waitcnt vmcnt(0)
	v_add_f64 v[2:3], v[114:115], -v[2:3]
	buffer_store_dword v72, off, s[0:3], 0 offset:132
	buffer_store_dword v71, off, s[0:3], 0 offset:128
	buffer_store_dword v3, off, s[0:3], 0 offset:140
	buffer_store_dword v2, off, s[0:3], 0 offset:136
	v_cmpx_lt_u32_e32 6, v0
	s_cbranch_execz .LBB96_199
; %bb.198:
	v_mov_b32_e32 v2, s39
	s_clause 0x3
	buffer_load_dword v71, v2, s[0:3], 0 offen
	buffer_load_dword v72, v2, s[0:3], 0 offen offset:4
	buffer_load_dword v73, v2, s[0:3], 0 offen offset:8
	;; [unrolled: 1-line block ×3, first 2 shown]
	buffer_store_dword v1, off, s[0:3], 0 offset:112
	buffer_store_dword v1, off, s[0:3], 0 offset:116
	;; [unrolled: 1-line block ×4, first 2 shown]
	s_waitcnt vmcnt(0)
	ds_write_b128 v83, v[71:74]
.LBB96_199:
	s_or_b32 exec_lo, exec_lo, s4
	s_waitcnt lgkmcnt(0)
	s_waitcnt_vscnt null, 0x0
	s_barrier
	buffer_gl0_inv
	s_clause 0x37
	buffer_load_dword v2, off, s[0:3], 0 offset:136
	buffer_load_dword v3, off, s[0:3], 0 offset:140
	buffer_load_dword v84, off, s[0:3], 0 offset:152
	buffer_load_dword v85, off, s[0:3], 0 offset:156
	buffer_load_dword v86, off, s[0:3], 0 offset:128
	buffer_load_dword v87, off, s[0:3], 0 offset:132
	buffer_load_dword v88, off, s[0:3], 0 offset:168
	buffer_load_dword v89, off, s[0:3], 0 offset:172
	buffer_load_dword v90, off, s[0:3], 0 offset:144
	buffer_load_dword v91, off, s[0:3], 0 offset:148
	buffer_load_dword v93, off, s[0:3], 0 offset:188
	buffer_load_dword v94, off, s[0:3], 0 offset:200
	buffer_load_dword v96, off, s[0:3], 0 offset:192
	buffer_load_dword v92, off, s[0:3], 0 offset:184
	buffer_load_dword v98, off, s[0:3], 0 offset:160
	buffer_load_dword v99, off, s[0:3], 0 offset:164
	buffer_load_dword v95, off, s[0:3], 0 offset:204
	buffer_load_dword v101, off, s[0:3], 0 offset:180
	buffer_load_dword v100, off, s[0:3], 0 offset:176
	buffer_load_dword v103, off, s[0:3], 0 offset:220
	buffer_load_dword v104, off, s[0:3], 0 offset:232
	buffer_load_dword v106, off, s[0:3], 0 offset:224
	buffer_load_dword v102, off, s[0:3], 0 offset:216
	buffer_load_dword v97, off, s[0:3], 0 offset:196
	buffer_load_dword v105, off, s[0:3], 0 offset:236
	buffer_load_dword v109, off, s[0:3], 0 offset:212
	buffer_load_dword v108, off, s[0:3], 0 offset:208
	buffer_load_dword v111, off, s[0:3], 0 offset:252
	buffer_load_dword v112, off, s[0:3], 0 offset:264
	buffer_load_dword v114, off, s[0:3], 0 offset:256
	buffer_load_dword v110, off, s[0:3], 0 offset:248
	buffer_load_dword v107, off, s[0:3], 0 offset:228
	buffer_load_dword v113, off, s[0:3], 0 offset:268
	buffer_load_dword v117, off, s[0:3], 0 offset:244
	buffer_load_dword v116, off, s[0:3], 0 offset:240
	buffer_load_dword v119, off, s[0:3], 0 offset:284
	buffer_load_dword v120, off, s[0:3], 0 offset:296
	buffer_load_dword v122, off, s[0:3], 0 offset:288
	buffer_load_dword v118, off, s[0:3], 0 offset:280
	buffer_load_dword v115, off, s[0:3], 0 offset:260
	buffer_load_dword v121, off, s[0:3], 0 offset:300
	buffer_load_dword v125, off, s[0:3], 0 offset:276
	buffer_load_dword v124, off, s[0:3], 0 offset:272
	buffer_load_dword v127, off, s[0:3], 0 offset:316
	buffer_load_dword v128, off, s[0:3], 0 offset:328
	buffer_load_dword v130, off, s[0:3], 0 offset:320
	buffer_load_dword v126, off, s[0:3], 0 offset:312
	buffer_load_dword v123, off, s[0:3], 0 offset:292
	buffer_load_dword v129, off, s[0:3], 0 offset:332
	buffer_load_dword v133, off, s[0:3], 0 offset:308
	buffer_load_dword v132, off, s[0:3], 0 offset:304
	buffer_load_dword v135, off, s[0:3], 0 offset:348
	buffer_load_dword v136, off, s[0:3], 0 offset:360
	buffer_load_dword v138, off, s[0:3], 0 offset:352
	buffer_load_dword v134, off, s[0:3], 0 offset:344
	buffer_load_dword v131, off, s[0:3], 0 offset:324
	ds_read_b128 v[71:74], v1 offset:640
	s_clause 0x2
	buffer_load_dword v137, off, s[0:3], 0 offset:364
	buffer_load_dword v141, off, s[0:3], 0 offset:340
	;; [unrolled: 1-line block ×3, first 2 shown]
	ds_read_b128 v[75:78], v1 offset:656
	s_clause 0x4
	buffer_load_dword v145, off, s[0:3], 0 offset:380
	buffer_load_dword v146, off, s[0:3], 0 offset:392
	;; [unrolled: 1-line block ×5, first 2 shown]
	ds_read_b128 v[79:82], v1 offset:672
	s_mov_b32 s4, exec_lo
	s_waitcnt vmcnt(62) lgkmcnt(2)
	v_mul_f64 v[142:143], v[73:74], v[2:3]
	v_mul_f64 v[2:3], v[71:72], v[2:3]
	s_waitcnt vmcnt(60) lgkmcnt(1)
	v_mul_f64 v[149:150], v[77:78], v[84:85]
	v_mul_f64 v[84:85], v[75:76], v[84:85]
	;; [unrolled: 3-line block ×3, first 2 shown]
	v_fma_f64 v[142:143], v[71:72], v[86:87], -v[142:143]
	v_fma_f64 v[2:3], v[73:74], v[86:87], v[2:3]
	s_clause 0x2
	buffer_load_dword v147, off, s[0:3], 0 offset:396
	buffer_load_dword v87, off, s[0:3], 0 offset:372
	;; [unrolled: 1-line block ×3, first 2 shown]
	s_waitcnt vmcnt(57)
	v_fma_f64 v[153:154], v[75:76], v[90:91], -v[149:150]
	ds_read_b128 v[71:74], v1 offset:688
	v_fma_f64 v[84:85], v[77:78], v[90:91], v[84:85]
	s_clause 0x4
	buffer_load_dword v91, off, s[0:3], 0 offset:412
	buffer_load_dword v150, off, s[0:3], 0 offset:424
	;; [unrolled: 1-line block ×5, first 2 shown]
	s_waitcnt vmcnt(56)
	v_fma_f64 v[88:89], v[79:80], v[98:99], -v[88:89]
	ds_read_b128 v[75:78], v1 offset:704
	v_fma_f64 v[98:99], v[81:82], v[98:99], v[151:152]
	v_add_f64 v[142:143], v[142:143], 0
	v_add_f64 v[2:3], v[2:3], 0
	s_waitcnt lgkmcnt(1)
	v_mul_f64 v[156:157], v[71:72], v[92:93]
	v_mul_f64 v[92:93], v[73:74], v[92:93]
	v_add_f64 v[142:143], v[142:143], v[153:154]
	v_add_f64 v[2:3], v[2:3], v[84:85]
	s_clause 0x2
	buffer_load_dword v151, off, s[0:3], 0 offset:428
	buffer_load_dword v85, off, s[0:3], 0 offset:404
	;; [unrolled: 1-line block ×3, first 2 shown]
	s_waitcnt vmcnt(58) lgkmcnt(0)
	v_mul_f64 v[152:153], v[75:76], v[94:95]
	v_mul_f64 v[94:95], v[77:78], v[94:95]
	s_waitcnt vmcnt(56)
	v_fma_f64 v[92:93], v[71:72], v[100:101], -v[92:93]
	ds_read_b128 v[79:82], v1 offset:720
	v_fma_f64 v[100:101], v[73:74], v[100:101], v[156:157]
	v_add_f64 v[88:89], v[142:143], v[88:89]
	v_add_f64 v[2:3], v[2:3], v[98:99]
	s_clause 0x4
	buffer_load_dword v99, off, s[0:3], 0 offset:444
	buffer_load_dword v142, off, s[0:3], 0 offset:456
	;; [unrolled: 1-line block ×5, first 2 shown]
	ds_read_b128 v[71:74], v1 offset:736
	s_waitcnt vmcnt(57) lgkmcnt(1)
	v_mul_f64 v[158:159], v[79:80], v[102:103]
	v_mul_f64 v[102:103], v[81:82], v[102:103]
	s_waitcnt vmcnt(56)
	v_fma_f64 v[94:95], v[75:76], v[96:97], -v[94:95]
	v_add_f64 v[88:89], v[88:89], v[92:93]
	v_fma_f64 v[92:93], v[77:78], v[96:97], v[152:153]
	v_add_f64 v[2:3], v[2:3], v[100:101]
	s_clause 0x2
	buffer_load_dword v143, off, s[0:3], 0 offset:460
	buffer_load_dword v97, off, s[0:3], 0 offset:436
	;; [unrolled: 1-line block ×3, first 2 shown]
	s_waitcnt vmcnt(58) lgkmcnt(0)
	v_mul_f64 v[100:101], v[71:72], v[104:105]
	v_mul_f64 v[104:105], v[73:74], v[104:105]
	s_waitcnt vmcnt(56)
	v_fma_f64 v[102:103], v[79:80], v[108:109], -v[102:103]
	ds_read_b128 v[75:78], v1 offset:752
	v_add_f64 v[88:89], v[88:89], v[94:95]
	v_fma_f64 v[94:95], v[81:82], v[108:109], v[158:159]
	v_add_f64 v[2:3], v[2:3], v[92:93]
	s_clause 0x4
	buffer_load_dword v93, off, s[0:3], 0 offset:476
	buffer_load_dword v108, off, s[0:3], 0 offset:488
	;; [unrolled: 1-line block ×5, first 2 shown]
	ds_read_b128 v[79:82], v1 offset:768
	s_waitcnt vmcnt(57) lgkmcnt(1)
	v_mul_f64 v[153:154], v[75:76], v[110:111]
	v_mul_f64 v[110:111], v[77:78], v[110:111]
	s_waitcnt vmcnt(56)
	v_fma_f64 v[104:105], v[71:72], v[106:107], -v[104:105]
	v_fma_f64 v[100:101], v[73:74], v[106:107], v[100:101]
	v_add_f64 v[88:89], v[88:89], v[102:103]
	v_add_f64 v[2:3], v[2:3], v[94:95]
	s_clause 0x2
	buffer_load_dword v109, off, s[0:3], 0 offset:492
	buffer_load_dword v95, off, s[0:3], 0 offset:468
	buffer_load_dword v94, off, s[0:3], 0 offset:464
	s_waitcnt vmcnt(58) lgkmcnt(0)
	v_mul_f64 v[106:107], v[81:82], v[112:113]
	ds_read_b128 v[71:74], v1 offset:784
	s_waitcnt vmcnt(56)
	v_fma_f64 v[110:111], v[75:76], v[116:117], -v[110:111]
	v_mul_f64 v[102:103], v[79:80], v[112:113]
	v_add_f64 v[88:89], v[88:89], v[104:105]
	v_fma_f64 v[104:105], v[77:78], v[116:117], v[153:154]
	v_add_f64 v[2:3], v[2:3], v[100:101]
	s_clause 0x4
	buffer_load_dword v101, off, s[0:3], 0 offset:508
	buffer_load_dword v112, off, s[0:3], 0 offset:520
	;; [unrolled: 1-line block ×5, first 2 shown]
	s_waitcnt vmcnt(57) lgkmcnt(0)
	v_mul_f64 v[159:160], v[71:72], v[118:119]
	v_mul_f64 v[117:118], v[73:74], v[118:119]
	s_waitcnt vmcnt(56)
	v_fma_f64 v[106:107], v[79:80], v[114:115], -v[106:107]
	ds_read_b128 v[75:78], v1 offset:800
	v_fma_f64 v[102:103], v[81:82], v[114:115], v[102:103]
	v_add_f64 v[88:89], v[88:89], v[110:111]
	v_add_f64 v[2:3], v[2:3], v[104:105]
	s_clause 0x2
	buffer_load_dword v113, off, s[0:3], 0 offset:524
	buffer_load_dword v105, off, s[0:3], 0 offset:500
	;; [unrolled: 1-line block ×3, first 2 shown]
	ds_read_b128 v[79:82], v1 offset:816
	s_waitcnt vmcnt(58) lgkmcnt(1)
	v_mul_f64 v[114:115], v[77:78], v[120:121]
	s_waitcnt vmcnt(56)
	v_fma_f64 v[118:119], v[71:72], v[124:125], -v[117:118]
	v_mul_f64 v[110:111], v[75:76], v[120:121]
	v_add_f64 v[88:89], v[88:89], v[106:107]
	v_fma_f64 v[106:107], v[73:74], v[124:125], v[159:160]
	v_add_f64 v[2:3], v[2:3], v[102:103]
	s_clause 0x2
	buffer_load_dword v103, off, s[0:3], 0 offset:540
	buffer_load_dword v102, off, s[0:3], 0 offset:536
	;; [unrolled: 1-line block ×3, first 2 shown]
	s_waitcnt vmcnt(55) lgkmcnt(0)
	v_mul_f64 v[124:125], v[81:82], v[126:127]
	s_waitcnt vmcnt(54)
	v_fma_f64 v[114:115], v[75:76], v[122:123], -v[114:115]
	ds_read_b128 v[71:74], v1 offset:832
	v_mul_f64 v[120:121], v[79:80], v[126:127]
	v_fma_f64 v[110:111], v[77:78], v[122:123], v[110:111]
	v_add_f64 v[88:89], v[88:89], v[118:119]
	v_add_f64 v[2:3], v[2:3], v[106:107]
	s_clause 0x1
	buffer_load_dword v107, off, s[0:3], 0 offset:532
	buffer_load_dword v106, off, s[0:3], 0 offset:528
	s_waitcnt vmcnt(55) lgkmcnt(0)
	v_mul_f64 v[122:123], v[73:74], v[128:129]
	s_waitcnt vmcnt(53)
	v_fma_f64 v[124:125], v[79:80], v[132:133], -v[124:125]
	ds_read_b128 v[75:78], v1 offset:848
	v_mul_f64 v[118:119], v[71:72], v[128:129]
	v_add_f64 v[88:89], v[88:89], v[114:115]
	v_fma_f64 v[114:115], v[81:82], v[132:133], v[120:121]
	v_add_f64 v[2:3], v[2:3], v[110:111]
	ds_read_b128 v[79:82], v1 offset:864
	s_waitcnt vmcnt(49) lgkmcnt(1)
	v_mul_f64 v[120:121], v[77:78], v[134:135]
	s_waitcnt vmcnt(48)
	v_fma_f64 v[122:123], v[71:72], v[130:131], -v[122:123]
	v_mul_f64 v[110:111], v[75:76], v[134:135]
	v_fma_f64 v[118:119], v[73:74], v[130:131], v[118:119]
	v_add_f64 v[88:89], v[88:89], v[124:125]
	s_waitcnt vmcnt(47) lgkmcnt(0)
	v_mul_f64 v[128:129], v[81:82], v[136:137]
	v_add_f64 v[2:3], v[2:3], v[114:115]
	s_clause 0x3
	buffer_load_dword v114, off, s[0:3], 0 offset:112
	buffer_load_dword v115, off, s[0:3], 0 offset:116
	;; [unrolled: 1-line block ×4, first 2 shown]
	s_waitcnt vmcnt(49)
	v_fma_f64 v[120:121], v[75:76], v[140:141], -v[120:121]
	ds_read_b128 v[71:74], v1 offset:880
	v_mul_f64 v[126:127], v[79:80], v[136:137]
	v_fma_f64 v[110:111], v[77:78], v[140:141], v[110:111]
	ds_read_b128 v[75:78], v1 offset:896
	v_add_f64 v[88:89], v[88:89], v[122:123]
	s_waitcnt vmcnt(44)
	v_fma_f64 v[128:129], v[79:80], v[138:139], -v[128:129]
	v_add_f64 v[2:3], v[2:3], v[118:119]
	s_waitcnt lgkmcnt(1)
	v_mul_f64 v[122:123], v[73:74], v[144:145]
	v_mul_f64 v[118:119], v[71:72], v[144:145]
	v_add_f64 v[88:89], v[88:89], v[120:121]
	v_fma_f64 v[120:121], v[81:82], v[138:139], v[126:127]
	v_add_f64 v[2:3], v[2:3], v[110:111]
	ds_read_b128 v[79:82], v1 offset:912
	s_waitcnt vmcnt(43) lgkmcnt(1)
	v_mul_f64 v[126:127], v[77:78], v[146:147]
	v_mul_f64 v[110:111], v[75:76], v[146:147]
	s_waitcnt vmcnt(41)
	v_fma_f64 v[122:123], v[71:72], v[86:87], -v[122:123]
	v_fma_f64 v[86:87], v[73:74], v[86:87], v[118:119]
	ds_read_b128 v[71:74], v1 offset:928
	v_add_f64 v[88:89], v[88:89], v[128:129]
	s_waitcnt vmcnt(37) lgkmcnt(1)
	v_mul_f64 v[118:119], v[79:80], v[90:91]
	v_add_f64 v[2:3], v[2:3], v[120:121]
	v_mul_f64 v[90:91], v[81:82], v[90:91]
	s_waitcnt vmcnt(36)
	v_fma_f64 v[120:121], v[75:76], v[148:149], -v[126:127]
	v_fma_f64 v[110:111], v[77:78], v[148:149], v[110:111]
	ds_read_b128 v[75:78], v1 offset:944
	v_add_f64 v[88:89], v[88:89], v[122:123]
	v_add_f64 v[2:3], v[2:3], v[86:87]
	s_waitcnt vmcnt(35) lgkmcnt(1)
	v_mul_f64 v[122:123], v[73:74], v[150:151]
	v_mul_f64 v[86:87], v[71:72], v[150:151]
	s_waitcnt vmcnt(33)
	v_fma_f64 v[90:91], v[79:80], v[84:85], -v[90:91]
	v_fma_f64 v[84:85], v[81:82], v[84:85], v[118:119]
	ds_read_b128 v[79:82], v1 offset:960
	v_add_f64 v[88:89], v[88:89], v[120:121]
	v_add_f64 v[2:3], v[2:3], v[110:111]
	s_waitcnt vmcnt(29) lgkmcnt(1)
	v_mul_f64 v[110:111], v[75:76], v[98:99]
	v_mul_f64 v[98:99], v[77:78], v[98:99]
	s_waitcnt vmcnt(28)
	v_fma_f64 v[118:119], v[71:72], v[155:156], -v[122:123]
	v_fma_f64 v[86:87], v[73:74], v[155:156], v[86:87]
	ds_read_b128 v[71:74], v1 offset:976
	v_add_f64 v[88:89], v[88:89], v[90:91]
	v_add_f64 v[2:3], v[2:3], v[84:85]
	s_waitcnt vmcnt(27) lgkmcnt(1)
	v_mul_f64 v[90:91], v[81:82], v[142:143]
	v_mul_f64 v[84:85], v[79:80], v[142:143]
	s_waitcnt vmcnt(25)
	v_fma_f64 v[98:99], v[75:76], v[96:97], -v[98:99]
	v_fma_f64 v[96:97], v[77:78], v[96:97], v[110:111]
	ds_read_b128 v[75:78], v1 offset:992
	v_add_f64 v[88:89], v[88:89], v[118:119]
	v_add_f64 v[2:3], v[2:3], v[86:87]
	s_waitcnt vmcnt(21) lgkmcnt(1)
	v_mul_f64 v[86:87], v[71:72], v[92:93]
	v_mul_f64 v[92:93], v[73:74], v[92:93]
	s_waitcnt vmcnt(20)
	v_fma_f64 v[90:91], v[79:80], v[157:158], -v[90:91]
	v_fma_f64 v[84:85], v[81:82], v[157:158], v[84:85]
	ds_read_b128 v[79:82], v1 offset:1008
	v_add_f64 v[88:89], v[88:89], v[98:99]
	v_add_f64 v[2:3], v[2:3], v[96:97]
	s_waitcnt vmcnt(19) lgkmcnt(1)
	v_mul_f64 v[98:99], v[77:78], v[108:109]
	v_mul_f64 v[96:97], v[75:76], v[108:109]
	s_waitcnt vmcnt(17)
	v_fma_f64 v[92:93], v[71:72], v[94:95], -v[92:93]
	v_fma_f64 v[86:87], v[73:74], v[94:95], v[86:87]
	ds_read_b128 v[71:74], v1 offset:1024
	v_add_f64 v[88:89], v[88:89], v[90:91]
	v_add_f64 v[2:3], v[2:3], v[84:85]
	s_waitcnt vmcnt(13) lgkmcnt(1)
	v_mul_f64 v[90:91], v[81:82], v[100:101]
	s_waitcnt vmcnt(12)
	v_fma_f64 v[75:76], v[75:76], v[152:153], -v[98:99]
	v_mul_f64 v[84:85], v[79:80], v[100:101]
	v_fma_f64 v[77:78], v[77:78], v[152:153], v[96:97]
	v_add_f64 v[88:89], v[88:89], v[92:93]
	v_add_f64 v[86:87], v[2:3], v[86:87]
	ds_read_b128 v[1:4], v1 offset:1040
	s_waitcnt vmcnt(11) lgkmcnt(1)
	v_mul_f64 v[94:95], v[73:74], v[112:113]
	v_mul_f64 v[92:93], v[71:72], v[112:113]
	s_waitcnt vmcnt(9)
	v_fma_f64 v[79:80], v[79:80], v[104:105], -v[90:91]
	v_fma_f64 v[81:82], v[81:82], v[104:105], v[84:85]
	v_add_f64 v[75:76], v[88:89], v[75:76]
	v_add_f64 v[77:78], v[86:87], v[77:78]
	s_waitcnt vmcnt(7) lgkmcnt(0)
	v_mul_f64 v[86:87], v[3:4], v[102:103]
	s_waitcnt vmcnt(6)
	v_fma_f64 v[71:72], v[71:72], v[116:117], -v[94:95]
	v_mul_f64 v[84:85], v[1:2], v[102:103]
	v_fma_f64 v[73:74], v[73:74], v[116:117], v[92:93]
	v_add_f64 v[75:76], v[75:76], v[79:80]
	v_add_f64 v[77:78], v[77:78], v[81:82]
	s_waitcnt vmcnt(4)
	v_fma_f64 v[1:2], v[1:2], v[106:107], -v[86:87]
	v_fma_f64 v[3:4], v[3:4], v[106:107], v[84:85]
	v_add_f64 v[71:72], v[75:76], v[71:72]
	v_add_f64 v[73:74], v[77:78], v[73:74]
	;; [unrolled: 1-line block ×4, first 2 shown]
	s_waitcnt vmcnt(2)
	v_add_f64 v[1:2], v[114:115], -v[1:2]
	s_waitcnt vmcnt(0)
	v_add_f64 v[3:4], v[124:125], -v[3:4]
	buffer_store_dword v2, off, s[0:3], 0 offset:116
	buffer_store_dword v1, off, s[0:3], 0 offset:112
	;; [unrolled: 1-line block ×4, first 2 shown]
	v_cmpx_lt_u32_e32 5, v0
	s_cbranch_execz .LBB96_201
; %bb.200:
	v_mov_b32_e32 v4, s40
	v_mov_b32_e32 v71, 0
	s_clause 0x3
	buffer_load_dword v1, v4, s[0:3], 0 offen
	buffer_load_dword v2, v4, s[0:3], 0 offen offset:4
	buffer_load_dword v3, v4, s[0:3], 0 offen offset:8
	;; [unrolled: 1-line block ×3, first 2 shown]
	buffer_store_dword v71, off, s[0:3], 0 offset:96
	buffer_store_dword v71, off, s[0:3], 0 offset:100
	;; [unrolled: 1-line block ×4, first 2 shown]
	s_waitcnt vmcnt(0)
	ds_write_b128 v83, v[1:4]
.LBB96_201:
	s_or_b32 exec_lo, exec_lo, s4
	s_waitcnt lgkmcnt(0)
	s_waitcnt_vscnt null, 0x0
	s_barrier
	buffer_gl0_inv
	s_clause 0x37
	buffer_load_dword v2, off, s[0:3], 0 offset:120
	buffer_load_dword v3, off, s[0:3], 0 offset:124
	;; [unrolled: 1-line block ×56, first 2 shown]
	v_mov_b32_e32 v1, 0
	s_mov_b32 s4, exec_lo
	ds_read_b128 v[71:74], v1 offset:624
	s_clause 0x2
	buffer_load_dword v137, off, s[0:3], 0 offset:348
	buffer_load_dword v141, off, s[0:3], 0 offset:324
	;; [unrolled: 1-line block ×3, first 2 shown]
	ds_read_b128 v[75:78], v1 offset:640
	s_clause 0x4
	buffer_load_dword v145, off, s[0:3], 0 offset:364
	buffer_load_dword v146, off, s[0:3], 0 offset:376
	;; [unrolled: 1-line block ×5, first 2 shown]
	ds_read_b128 v[79:82], v1 offset:656
	s_waitcnt vmcnt(62) lgkmcnt(2)
	v_mul_f64 v[142:143], v[73:74], v[2:3]
	v_mul_f64 v[2:3], v[71:72], v[2:3]
	s_waitcnt vmcnt(60) lgkmcnt(1)
	v_mul_f64 v[149:150], v[77:78], v[84:85]
	v_mul_f64 v[84:85], v[75:76], v[84:85]
	;; [unrolled: 3-line block ×3, first 2 shown]
	v_fma_f64 v[142:143], v[71:72], v[86:87], -v[142:143]
	v_fma_f64 v[2:3], v[73:74], v[86:87], v[2:3]
	s_clause 0x2
	buffer_load_dword v147, off, s[0:3], 0 offset:380
	buffer_load_dword v87, off, s[0:3], 0 offset:356
	;; [unrolled: 1-line block ×3, first 2 shown]
	s_waitcnt vmcnt(57)
	v_fma_f64 v[153:154], v[75:76], v[90:91], -v[149:150]
	ds_read_b128 v[71:74], v1 offset:672
	v_fma_f64 v[84:85], v[77:78], v[90:91], v[84:85]
	s_clause 0x4
	buffer_load_dword v91, off, s[0:3], 0 offset:396
	buffer_load_dword v150, off, s[0:3], 0 offset:408
	;; [unrolled: 1-line block ×5, first 2 shown]
	s_waitcnt vmcnt(56)
	v_fma_f64 v[88:89], v[79:80], v[98:99], -v[88:89]
	ds_read_b128 v[75:78], v1 offset:688
	v_fma_f64 v[98:99], v[81:82], v[98:99], v[151:152]
	v_add_f64 v[142:143], v[142:143], 0
	v_add_f64 v[2:3], v[2:3], 0
	s_waitcnt lgkmcnt(1)
	v_mul_f64 v[156:157], v[71:72], v[92:93]
	v_mul_f64 v[92:93], v[73:74], v[92:93]
	v_add_f64 v[142:143], v[142:143], v[153:154]
	v_add_f64 v[2:3], v[2:3], v[84:85]
	s_clause 0x2
	buffer_load_dword v151, off, s[0:3], 0 offset:412
	buffer_load_dword v85, off, s[0:3], 0 offset:388
	;; [unrolled: 1-line block ×3, first 2 shown]
	s_waitcnt vmcnt(58) lgkmcnt(0)
	v_mul_f64 v[152:153], v[75:76], v[94:95]
	v_mul_f64 v[94:95], v[77:78], v[94:95]
	s_waitcnt vmcnt(56)
	v_fma_f64 v[92:93], v[71:72], v[100:101], -v[92:93]
	ds_read_b128 v[79:82], v1 offset:704
	v_fma_f64 v[100:101], v[73:74], v[100:101], v[156:157]
	v_add_f64 v[88:89], v[142:143], v[88:89]
	v_add_f64 v[2:3], v[2:3], v[98:99]
	s_clause 0x4
	buffer_load_dword v99, off, s[0:3], 0 offset:428
	buffer_load_dword v142, off, s[0:3], 0 offset:440
	;; [unrolled: 1-line block ×5, first 2 shown]
	ds_read_b128 v[71:74], v1 offset:720
	s_waitcnt vmcnt(57) lgkmcnt(1)
	v_mul_f64 v[158:159], v[79:80], v[102:103]
	v_mul_f64 v[102:103], v[81:82], v[102:103]
	s_waitcnt vmcnt(56)
	v_fma_f64 v[94:95], v[75:76], v[96:97], -v[94:95]
	v_add_f64 v[88:89], v[88:89], v[92:93]
	v_fma_f64 v[92:93], v[77:78], v[96:97], v[152:153]
	v_add_f64 v[2:3], v[2:3], v[100:101]
	s_clause 0x2
	buffer_load_dword v143, off, s[0:3], 0 offset:444
	buffer_load_dword v97, off, s[0:3], 0 offset:420
	;; [unrolled: 1-line block ×3, first 2 shown]
	s_waitcnt vmcnt(58) lgkmcnt(0)
	v_mul_f64 v[100:101], v[71:72], v[104:105]
	v_mul_f64 v[104:105], v[73:74], v[104:105]
	s_waitcnt vmcnt(56)
	v_fma_f64 v[102:103], v[79:80], v[108:109], -v[102:103]
	ds_read_b128 v[75:78], v1 offset:736
	v_add_f64 v[88:89], v[88:89], v[94:95]
	v_fma_f64 v[94:95], v[81:82], v[108:109], v[158:159]
	v_add_f64 v[2:3], v[2:3], v[92:93]
	s_clause 0x4
	buffer_load_dword v93, off, s[0:3], 0 offset:460
	buffer_load_dword v108, off, s[0:3], 0 offset:472
	;; [unrolled: 1-line block ×5, first 2 shown]
	ds_read_b128 v[79:82], v1 offset:752
	s_waitcnt vmcnt(57) lgkmcnt(1)
	v_mul_f64 v[153:154], v[75:76], v[110:111]
	v_mul_f64 v[110:111], v[77:78], v[110:111]
	s_waitcnt vmcnt(56)
	v_fma_f64 v[104:105], v[71:72], v[106:107], -v[104:105]
	v_fma_f64 v[100:101], v[73:74], v[106:107], v[100:101]
	v_add_f64 v[88:89], v[88:89], v[102:103]
	v_add_f64 v[2:3], v[2:3], v[94:95]
	s_clause 0x2
	buffer_load_dword v109, off, s[0:3], 0 offset:476
	buffer_load_dword v95, off, s[0:3], 0 offset:452
	;; [unrolled: 1-line block ×3, first 2 shown]
	s_waitcnt vmcnt(58) lgkmcnt(0)
	v_mul_f64 v[106:107], v[81:82], v[112:113]
	ds_read_b128 v[71:74], v1 offset:768
	s_waitcnt vmcnt(56)
	v_fma_f64 v[110:111], v[75:76], v[116:117], -v[110:111]
	v_mul_f64 v[102:103], v[79:80], v[112:113]
	v_add_f64 v[88:89], v[88:89], v[104:105]
	v_fma_f64 v[104:105], v[77:78], v[116:117], v[153:154]
	v_add_f64 v[2:3], v[2:3], v[100:101]
	s_clause 0x4
	buffer_load_dword v101, off, s[0:3], 0 offset:492
	buffer_load_dword v112, off, s[0:3], 0 offset:504
	;; [unrolled: 1-line block ×5, first 2 shown]
	s_waitcnt vmcnt(57) lgkmcnt(0)
	v_mul_f64 v[159:160], v[71:72], v[118:119]
	v_mul_f64 v[117:118], v[73:74], v[118:119]
	s_waitcnt vmcnt(56)
	v_fma_f64 v[106:107], v[79:80], v[114:115], -v[106:107]
	ds_read_b128 v[75:78], v1 offset:784
	v_fma_f64 v[102:103], v[81:82], v[114:115], v[102:103]
	v_add_f64 v[88:89], v[88:89], v[110:111]
	v_add_f64 v[2:3], v[2:3], v[104:105]
	s_clause 0x2
	buffer_load_dword v113, off, s[0:3], 0 offset:508
	buffer_load_dword v105, off, s[0:3], 0 offset:484
	;; [unrolled: 1-line block ×3, first 2 shown]
	ds_read_b128 v[79:82], v1 offset:800
	s_waitcnt vmcnt(58) lgkmcnt(1)
	v_mul_f64 v[114:115], v[77:78], v[120:121]
	s_waitcnt vmcnt(56)
	v_fma_f64 v[118:119], v[71:72], v[124:125], -v[117:118]
	v_mul_f64 v[110:111], v[75:76], v[120:121]
	v_add_f64 v[88:89], v[88:89], v[106:107]
	v_fma_f64 v[106:107], v[73:74], v[124:125], v[159:160]
	v_add_f64 v[2:3], v[2:3], v[102:103]
	s_clause 0x4
	buffer_load_dword v103, off, s[0:3], 0 offset:524
	buffer_load_dword v120, off, s[0:3], 0 offset:536
	;; [unrolled: 1-line block ×5, first 2 shown]
	s_waitcnt vmcnt(57) lgkmcnt(0)
	v_mul_f64 v[159:160], v[79:80], v[126:127]
	v_mul_f64 v[125:126], v[81:82], v[126:127]
	s_waitcnt vmcnt(56)
	v_fma_f64 v[114:115], v[75:76], v[122:123], -v[114:115]
	ds_read_b128 v[71:74], v1 offset:816
	v_fma_f64 v[110:111], v[77:78], v[122:123], v[110:111]
	v_add_f64 v[88:89], v[88:89], v[118:119]
	v_add_f64 v[2:3], v[2:3], v[106:107]
	s_clause 0x2
	buffer_load_dword v121, off, s[0:3], 0 offset:540
	buffer_load_dword v107, off, s[0:3], 0 offset:516
	;; [unrolled: 1-line block ×3, first 2 shown]
	ds_read_b128 v[75:78], v1 offset:832
	s_waitcnt vmcnt(58) lgkmcnt(1)
	v_mul_f64 v[122:123], v[73:74], v[128:129]
	s_waitcnt vmcnt(56)
	v_fma_f64 v[126:127], v[79:80], v[132:133], -v[125:126]
	v_mul_f64 v[118:119], v[71:72], v[128:129]
	buffer_load_dword v125, off, s[0:3], 0 offset:532
	v_add_f64 v[88:89], v[88:89], v[114:115]
	v_fma_f64 v[114:115], v[81:82], v[132:133], v[159:160]
	v_add_f64 v[2:3], v[2:3], v[110:111]
	ds_read_b128 v[79:82], v1 offset:848
	s_waitcnt vmcnt(53) lgkmcnt(1)
	v_mul_f64 v[128:129], v[77:78], v[134:135]
	s_waitcnt vmcnt(52)
	v_fma_f64 v[122:123], v[71:72], v[130:131], -v[122:123]
	v_mul_f64 v[110:111], v[75:76], v[134:135]
	v_fma_f64 v[118:119], v[73:74], v[130:131], v[118:119]
	ds_read_b128 v[71:74], v1 offset:864
	v_add_f64 v[88:89], v[88:89], v[126:127]
	s_waitcnt vmcnt(51) lgkmcnt(1)
	v_mul_f64 v[126:127], v[81:82], v[136:137]
	v_add_f64 v[2:3], v[2:3], v[114:115]
	v_mul_f64 v[114:115], v[79:80], v[136:137]
	s_waitcnt vmcnt(49)
	v_fma_f64 v[128:129], v[75:76], v[140:141], -v[128:129]
	v_fma_f64 v[110:111], v[77:78], v[140:141], v[110:111]
	s_waitcnt vmcnt(45) lgkmcnt(0)
	v_mul_f64 v[132:133], v[73:74], v[144:145]
	v_mul_f64 v[130:131], v[71:72], v[144:145]
	v_add_f64 v[88:89], v[88:89], v[122:123]
	s_waitcnt vmcnt(44)
	v_fma_f64 v[126:127], v[79:80], v[138:139], -v[126:127]
	v_add_f64 v[2:3], v[2:3], v[118:119]
	s_clause 0x3
	buffer_load_dword v118, off, s[0:3], 0 offset:96
	buffer_load_dword v119, off, s[0:3], 0 offset:100
	;; [unrolled: 1-line block ×4, first 2 shown]
	ds_read_b128 v[75:78], v1 offset:880
	v_fma_f64 v[114:115], v[81:82], v[138:139], v[114:115]
	ds_read_b128 v[79:82], v1 offset:896
	v_add_f64 v[88:89], v[88:89], v[128:129]
	v_add_f64 v[2:3], v[2:3], v[110:111]
	s_waitcnt vmcnt(47) lgkmcnt(1)
	v_mul_f64 v[128:129], v[77:78], v[146:147]
	v_mul_f64 v[110:111], v[75:76], v[146:147]
	s_waitcnt vmcnt(45)
	v_fma_f64 v[132:133], v[71:72], v[86:87], -v[132:133]
	v_fma_f64 v[86:87], v[73:74], v[86:87], v[130:131]
	ds_read_b128 v[71:74], v1 offset:912
	v_add_f64 v[88:89], v[88:89], v[126:127]
	v_add_f64 v[2:3], v[2:3], v[114:115]
	s_waitcnt vmcnt(41) lgkmcnt(1)
	v_mul_f64 v[114:115], v[79:80], v[90:91]
	v_mul_f64 v[90:91], v[81:82], v[90:91]
	s_waitcnt vmcnt(40)
	v_fma_f64 v[126:127], v[75:76], v[148:149], -v[128:129]
	;; [unrolled: 9-line block ×7, first 2 shown]
	v_fma_f64 v[86:87], v[73:74], v[94:95], v[86:87]
	ds_read_b128 v[71:74], v1 offset:1008
	v_add_f64 v[88:89], v[88:89], v[90:91]
	v_add_f64 v[2:3], v[2:3], v[84:85]
	s_waitcnt vmcnt(17) lgkmcnt(1)
	v_mul_f64 v[90:91], v[81:82], v[100:101]
	s_waitcnt vmcnt(16)
	v_fma_f64 v[94:95], v[75:76], v[152:153], -v[98:99]
	v_mul_f64 v[84:85], v[79:80], v[100:101]
	v_add_f64 v[88:89], v[88:89], v[92:93]
	v_fma_f64 v[92:93], v[77:78], v[152:153], v[96:97]
	v_add_f64 v[2:3], v[2:3], v[86:87]
	ds_read_b128 v[75:78], v1 offset:1024
	s_waitcnt vmcnt(15) lgkmcnt(1)
	v_mul_f64 v[96:97], v[73:74], v[112:113]
	v_mul_f64 v[86:87], v[71:72], v[112:113]
	s_waitcnt vmcnt(13)
	v_fma_f64 v[90:91], v[79:80], v[104:105], -v[90:91]
	v_fma_f64 v[84:85], v[81:82], v[104:105], v[84:85]
	ds_read_b128 v[79:82], v1 offset:1040
	v_add_f64 v[88:89], v[88:89], v[94:95]
	v_add_f64 v[2:3], v[2:3], v[92:93]
	s_waitcnt vmcnt(9) lgkmcnt(1)
	v_mul_f64 v[94:95], v[77:78], v[102:103]
	s_waitcnt vmcnt(8)
	v_fma_f64 v[71:72], v[71:72], v[116:117], -v[96:97]
	v_mul_f64 v[92:93], v[75:76], v[102:103]
	v_fma_f64 v[73:74], v[73:74], v[116:117], v[86:87]
	v_add_f64 v[88:89], v[88:89], v[90:91]
	v_add_f64 v[2:3], v[2:3], v[84:85]
	s_waitcnt vmcnt(7) lgkmcnt(0)
	v_mul_f64 v[86:87], v[81:82], v[120:121]
	v_mul_f64 v[84:85], v[79:80], v[120:121]
	s_waitcnt vmcnt(5)
	v_fma_f64 v[75:76], v[75:76], v[106:107], -v[94:95]
	v_fma_f64 v[77:78], v[77:78], v[106:107], v[92:93]
	v_add_f64 v[71:72], v[88:89], v[71:72]
	v_add_f64 v[2:3], v[2:3], v[73:74]
	s_waitcnt vmcnt(4)
	v_fma_f64 v[73:74], v[79:80], v[124:125], -v[86:87]
	v_add_f64 v[71:72], v[71:72], v[75:76]
	v_fma_f64 v[75:76], v[81:82], v[124:125], v[84:85]
	v_add_f64 v[2:3], v[2:3], v[77:78]
	v_add_f64 v[71:72], v[71:72], v[73:74]
	;; [unrolled: 1-line block ×3, first 2 shown]
	s_waitcnt vmcnt(2)
	v_add_f64 v[71:72], v[118:119], -v[71:72]
	s_waitcnt vmcnt(0)
	v_add_f64 v[2:3], v[122:123], -v[2:3]
	buffer_store_dword v72, off, s[0:3], 0 offset:100
	buffer_store_dword v71, off, s[0:3], 0 offset:96
	;; [unrolled: 1-line block ×4, first 2 shown]
	v_cmpx_lt_u32_e32 4, v0
	s_cbranch_execz .LBB96_203
; %bb.202:
	v_mov_b32_e32 v2, s41
	s_clause 0x3
	buffer_load_dword v71, v2, s[0:3], 0 offen
	buffer_load_dword v72, v2, s[0:3], 0 offen offset:4
	buffer_load_dword v73, v2, s[0:3], 0 offen offset:8
	;; [unrolled: 1-line block ×3, first 2 shown]
	buffer_store_dword v1, off, s[0:3], 0 offset:80
	buffer_store_dword v1, off, s[0:3], 0 offset:84
	;; [unrolled: 1-line block ×4, first 2 shown]
	s_waitcnt vmcnt(0)
	ds_write_b128 v83, v[71:74]
.LBB96_203:
	s_or_b32 exec_lo, exec_lo, s4
	s_waitcnt lgkmcnt(0)
	s_waitcnt_vscnt null, 0x0
	s_barrier
	buffer_gl0_inv
	s_clause 0x37
	buffer_load_dword v2, off, s[0:3], 0 offset:104
	buffer_load_dword v3, off, s[0:3], 0 offset:108
	;; [unrolled: 1-line block ×56, first 2 shown]
	ds_read_b128 v[71:74], v1 offset:608
	s_clause 0x2
	buffer_load_dword v137, off, s[0:3], 0 offset:332
	buffer_load_dword v141, off, s[0:3], 0 offset:308
	;; [unrolled: 1-line block ×3, first 2 shown]
	ds_read_b128 v[75:78], v1 offset:624
	s_clause 0x4
	buffer_load_dword v145, off, s[0:3], 0 offset:348
	buffer_load_dword v146, off, s[0:3], 0 offset:360
	;; [unrolled: 1-line block ×5, first 2 shown]
	ds_read_b128 v[79:82], v1 offset:640
	s_mov_b32 s4, exec_lo
	s_waitcnt vmcnt(62) lgkmcnt(2)
	v_mul_f64 v[142:143], v[73:74], v[2:3]
	v_mul_f64 v[2:3], v[71:72], v[2:3]
	s_waitcnt vmcnt(60) lgkmcnt(1)
	v_mul_f64 v[149:150], v[77:78], v[84:85]
	v_mul_f64 v[84:85], v[75:76], v[84:85]
	;; [unrolled: 3-line block ×3, first 2 shown]
	v_fma_f64 v[142:143], v[71:72], v[86:87], -v[142:143]
	v_fma_f64 v[2:3], v[73:74], v[86:87], v[2:3]
	s_clause 0x2
	buffer_load_dword v147, off, s[0:3], 0 offset:364
	buffer_load_dword v87, off, s[0:3], 0 offset:340
	;; [unrolled: 1-line block ×3, first 2 shown]
	s_waitcnt vmcnt(57)
	v_fma_f64 v[153:154], v[75:76], v[90:91], -v[149:150]
	ds_read_b128 v[71:74], v1 offset:656
	v_fma_f64 v[84:85], v[77:78], v[90:91], v[84:85]
	s_clause 0x4
	buffer_load_dword v91, off, s[0:3], 0 offset:380
	buffer_load_dword v150, off, s[0:3], 0 offset:392
	;; [unrolled: 1-line block ×5, first 2 shown]
	s_waitcnt vmcnt(56)
	v_fma_f64 v[88:89], v[79:80], v[98:99], -v[88:89]
	ds_read_b128 v[75:78], v1 offset:672
	v_fma_f64 v[98:99], v[81:82], v[98:99], v[151:152]
	v_add_f64 v[142:143], v[142:143], 0
	v_add_f64 v[2:3], v[2:3], 0
	s_waitcnt lgkmcnt(1)
	v_mul_f64 v[156:157], v[71:72], v[92:93]
	v_mul_f64 v[92:93], v[73:74], v[92:93]
	v_add_f64 v[142:143], v[142:143], v[153:154]
	v_add_f64 v[2:3], v[2:3], v[84:85]
	s_clause 0x2
	buffer_load_dword v151, off, s[0:3], 0 offset:396
	buffer_load_dword v85, off, s[0:3], 0 offset:372
	;; [unrolled: 1-line block ×3, first 2 shown]
	s_waitcnt vmcnt(58) lgkmcnt(0)
	v_mul_f64 v[152:153], v[75:76], v[94:95]
	v_mul_f64 v[94:95], v[77:78], v[94:95]
	s_waitcnt vmcnt(56)
	v_fma_f64 v[92:93], v[71:72], v[100:101], -v[92:93]
	ds_read_b128 v[79:82], v1 offset:688
	v_fma_f64 v[100:101], v[73:74], v[100:101], v[156:157]
	v_add_f64 v[88:89], v[142:143], v[88:89]
	v_add_f64 v[2:3], v[2:3], v[98:99]
	s_clause 0x4
	buffer_load_dword v99, off, s[0:3], 0 offset:412
	buffer_load_dword v142, off, s[0:3], 0 offset:424
	buffer_load_dword v157, off, s[0:3], 0 offset:416
	buffer_load_dword v98, off, s[0:3], 0 offset:408
	buffer_load_dword v156, off, s[0:3], 0 offset:388
	ds_read_b128 v[71:74], v1 offset:704
	s_waitcnt vmcnt(57) lgkmcnt(1)
	v_mul_f64 v[158:159], v[79:80], v[102:103]
	v_mul_f64 v[102:103], v[81:82], v[102:103]
	s_waitcnt vmcnt(56)
	v_fma_f64 v[94:95], v[75:76], v[96:97], -v[94:95]
	v_add_f64 v[88:89], v[88:89], v[92:93]
	v_fma_f64 v[92:93], v[77:78], v[96:97], v[152:153]
	v_add_f64 v[2:3], v[2:3], v[100:101]
	s_clause 0x2
	buffer_load_dword v143, off, s[0:3], 0 offset:428
	buffer_load_dword v97, off, s[0:3], 0 offset:404
	;; [unrolled: 1-line block ×3, first 2 shown]
	s_waitcnt vmcnt(58) lgkmcnt(0)
	v_mul_f64 v[100:101], v[71:72], v[104:105]
	v_mul_f64 v[104:105], v[73:74], v[104:105]
	s_waitcnt vmcnt(56)
	v_fma_f64 v[102:103], v[79:80], v[108:109], -v[102:103]
	ds_read_b128 v[75:78], v1 offset:720
	v_add_f64 v[88:89], v[88:89], v[94:95]
	v_fma_f64 v[94:95], v[81:82], v[108:109], v[158:159]
	v_add_f64 v[2:3], v[2:3], v[92:93]
	s_clause 0x4
	buffer_load_dword v93, off, s[0:3], 0 offset:444
	buffer_load_dword v108, off, s[0:3], 0 offset:456
	;; [unrolled: 1-line block ×5, first 2 shown]
	ds_read_b128 v[79:82], v1 offset:736
	s_waitcnt vmcnt(57) lgkmcnt(1)
	v_mul_f64 v[153:154], v[75:76], v[110:111]
	v_mul_f64 v[110:111], v[77:78], v[110:111]
	s_waitcnt vmcnt(56)
	v_fma_f64 v[104:105], v[71:72], v[106:107], -v[104:105]
	v_fma_f64 v[100:101], v[73:74], v[106:107], v[100:101]
	v_add_f64 v[88:89], v[88:89], v[102:103]
	v_add_f64 v[2:3], v[2:3], v[94:95]
	s_clause 0x2
	buffer_load_dword v109, off, s[0:3], 0 offset:460
	buffer_load_dword v95, off, s[0:3], 0 offset:436
	buffer_load_dword v94, off, s[0:3], 0 offset:432
	s_waitcnt vmcnt(58) lgkmcnt(0)
	v_mul_f64 v[106:107], v[81:82], v[112:113]
	ds_read_b128 v[71:74], v1 offset:752
	s_waitcnt vmcnt(56)
	v_fma_f64 v[110:111], v[75:76], v[116:117], -v[110:111]
	v_mul_f64 v[102:103], v[79:80], v[112:113]
	v_add_f64 v[88:89], v[88:89], v[104:105]
	v_fma_f64 v[104:105], v[77:78], v[116:117], v[153:154]
	v_add_f64 v[2:3], v[2:3], v[100:101]
	s_clause 0x4
	buffer_load_dword v101, off, s[0:3], 0 offset:476
	buffer_load_dword v112, off, s[0:3], 0 offset:488
	;; [unrolled: 1-line block ×5, first 2 shown]
	s_waitcnt vmcnt(57) lgkmcnt(0)
	v_mul_f64 v[159:160], v[71:72], v[118:119]
	v_mul_f64 v[117:118], v[73:74], v[118:119]
	s_waitcnt vmcnt(56)
	v_fma_f64 v[106:107], v[79:80], v[114:115], -v[106:107]
	ds_read_b128 v[75:78], v1 offset:768
	v_fma_f64 v[102:103], v[81:82], v[114:115], v[102:103]
	v_add_f64 v[88:89], v[88:89], v[110:111]
	v_add_f64 v[2:3], v[2:3], v[104:105]
	s_clause 0x2
	buffer_load_dword v113, off, s[0:3], 0 offset:492
	buffer_load_dword v105, off, s[0:3], 0 offset:468
	;; [unrolled: 1-line block ×3, first 2 shown]
	ds_read_b128 v[79:82], v1 offset:784
	s_waitcnt vmcnt(58) lgkmcnt(1)
	v_mul_f64 v[114:115], v[77:78], v[120:121]
	s_waitcnt vmcnt(56)
	v_fma_f64 v[118:119], v[71:72], v[124:125], -v[117:118]
	v_mul_f64 v[110:111], v[75:76], v[120:121]
	v_add_f64 v[88:89], v[88:89], v[106:107]
	v_fma_f64 v[106:107], v[73:74], v[124:125], v[159:160]
	v_add_f64 v[2:3], v[2:3], v[102:103]
	s_clause 0x4
	buffer_load_dword v103, off, s[0:3], 0 offset:508
	buffer_load_dword v120, off, s[0:3], 0 offset:520
	buffer_load_dword v124, off, s[0:3], 0 offset:512
	buffer_load_dword v102, off, s[0:3], 0 offset:504
	buffer_load_dword v117, off, s[0:3], 0 offset:484
	s_waitcnt vmcnt(57) lgkmcnt(0)
	v_mul_f64 v[159:160], v[79:80], v[126:127]
	v_mul_f64 v[125:126], v[81:82], v[126:127]
	s_waitcnt vmcnt(56)
	v_fma_f64 v[114:115], v[75:76], v[122:123], -v[114:115]
	ds_read_b128 v[71:74], v1 offset:800
	v_fma_f64 v[110:111], v[77:78], v[122:123], v[110:111]
	v_add_f64 v[88:89], v[88:89], v[118:119]
	v_add_f64 v[2:3], v[2:3], v[106:107]
	s_clause 0x2
	buffer_load_dword v121, off, s[0:3], 0 offset:524
	buffer_load_dword v107, off, s[0:3], 0 offset:500
	;; [unrolled: 1-line block ×3, first 2 shown]
	ds_read_b128 v[75:78], v1 offset:816
	s_waitcnt vmcnt(58) lgkmcnt(1)
	v_mul_f64 v[122:123], v[73:74], v[128:129]
	s_waitcnt vmcnt(56)
	v_fma_f64 v[126:127], v[79:80], v[132:133], -v[125:126]
	v_mul_f64 v[118:119], v[71:72], v[128:129]
	v_add_f64 v[88:89], v[88:89], v[114:115]
	v_fma_f64 v[114:115], v[81:82], v[132:133], v[159:160]
	v_add_f64 v[2:3], v[2:3], v[110:111]
	s_clause 0x2
	buffer_load_dword v111, off, s[0:3], 0 offset:540
	buffer_load_dword v110, off, s[0:3], 0 offset:536
	;; [unrolled: 1-line block ×3, first 2 shown]
	s_waitcnt vmcnt(55) lgkmcnt(0)
	v_mul_f64 v[132:133], v[77:78], v[134:135]
	s_waitcnt vmcnt(54)
	v_fma_f64 v[122:123], v[71:72], v[130:131], -v[122:123]
	ds_read_b128 v[79:82], v1 offset:832
	v_mul_f64 v[128:129], v[75:76], v[134:135]
	v_fma_f64 v[118:119], v[73:74], v[130:131], v[118:119]
	v_add_f64 v[88:89], v[88:89], v[126:127]
	v_add_f64 v[2:3], v[2:3], v[114:115]
	s_clause 0x1
	buffer_load_dword v115, off, s[0:3], 0 offset:532
	buffer_load_dword v114, off, s[0:3], 0 offset:528
	s_waitcnt vmcnt(55) lgkmcnt(0)
	v_mul_f64 v[130:131], v[81:82], v[136:137]
	s_waitcnt vmcnt(53)
	v_fma_f64 v[132:133], v[75:76], v[140:141], -v[132:133]
	ds_read_b128 v[71:74], v1 offset:848
	v_mul_f64 v[126:127], v[79:80], v[136:137]
	v_add_f64 v[88:89], v[88:89], v[122:123]
	v_fma_f64 v[122:123], v[77:78], v[140:141], v[128:129]
	v_add_f64 v[2:3], v[2:3], v[118:119]
	ds_read_b128 v[75:78], v1 offset:864
	s_waitcnt vmcnt(49) lgkmcnt(1)
	v_mul_f64 v[128:129], v[73:74], v[144:145]
	s_waitcnt vmcnt(48)
	v_fma_f64 v[130:131], v[79:80], v[138:139], -v[130:131]
	v_mul_f64 v[118:119], v[71:72], v[144:145]
	v_fma_f64 v[126:127], v[81:82], v[138:139], v[126:127]
	v_add_f64 v[88:89], v[88:89], v[132:133]
	v_add_f64 v[2:3], v[2:3], v[122:123]
	s_clause 0x3
	buffer_load_dword v122, off, s[0:3], 0 offset:80
	buffer_load_dword v123, off, s[0:3], 0 offset:84
	buffer_load_dword v132, off, s[0:3], 0 offset:88
	buffer_load_dword v133, off, s[0:3], 0 offset:92
	ds_read_b128 v[79:82], v1 offset:880
	s_waitcnt vmcnt(51) lgkmcnt(1)
	v_mul_f64 v[136:137], v[77:78], v[146:147]
	v_mul_f64 v[134:135], v[75:76], v[146:147]
	s_waitcnt vmcnt(49)
	v_fma_f64 v[128:129], v[71:72], v[86:87], -v[128:129]
	v_fma_f64 v[86:87], v[73:74], v[86:87], v[118:119]
	ds_read_b128 v[71:74], v1 offset:896
	v_add_f64 v[88:89], v[88:89], v[130:131]
	v_add_f64 v[2:3], v[2:3], v[126:127]
	s_waitcnt vmcnt(45) lgkmcnt(1)
	v_mul_f64 v[118:119], v[79:80], v[90:91]
	v_mul_f64 v[90:91], v[81:82], v[90:91]
	s_waitcnt vmcnt(44)
	v_fma_f64 v[126:127], v[75:76], v[148:149], -v[136:137]
	v_add_f64 v[88:89], v[88:89], v[128:129]
	v_fma_f64 v[128:129], v[77:78], v[148:149], v[134:135]
	v_add_f64 v[2:3], v[2:3], v[86:87]
	ds_read_b128 v[75:78], v1 offset:912
	s_waitcnt vmcnt(43) lgkmcnt(1)
	v_mul_f64 v[130:131], v[73:74], v[150:151]
	v_mul_f64 v[86:87], v[71:72], v[150:151]
	s_waitcnt vmcnt(41)
	v_fma_f64 v[90:91], v[79:80], v[84:85], -v[90:91]
	v_fma_f64 v[84:85], v[81:82], v[84:85], v[118:119]
	ds_read_b128 v[79:82], v1 offset:928
	v_add_f64 v[88:89], v[88:89], v[126:127]
	v_add_f64 v[2:3], v[2:3], v[128:129]
	s_waitcnt vmcnt(37) lgkmcnt(1)
	v_mul_f64 v[118:119], v[75:76], v[98:99]
	v_mul_f64 v[98:99], v[77:78], v[98:99]
	s_waitcnt vmcnt(36)
	v_fma_f64 v[126:127], v[71:72], v[155:156], -v[130:131]
	v_fma_f64 v[86:87], v[73:74], v[155:156], v[86:87]
	ds_read_b128 v[71:74], v1 offset:944
	v_add_f64 v[88:89], v[88:89], v[90:91]
	v_add_f64 v[2:3], v[2:3], v[84:85]
	;; [unrolled: 9-line block ×5, first 2 shown]
	s_waitcnt vmcnt(21) lgkmcnt(1)
	v_mul_f64 v[90:91], v[81:82], v[100:101]
	s_waitcnt vmcnt(20)
	v_fma_f64 v[94:95], v[75:76], v[152:153], -v[98:99]
	v_mul_f64 v[84:85], v[79:80], v[100:101]
	v_add_f64 v[88:89], v[88:89], v[92:93]
	v_fma_f64 v[92:93], v[77:78], v[152:153], v[96:97]
	v_add_f64 v[2:3], v[2:3], v[86:87]
	ds_read_b128 v[75:78], v1 offset:1008
	s_waitcnt vmcnt(19) lgkmcnt(1)
	v_mul_f64 v[96:97], v[73:74], v[112:113]
	v_mul_f64 v[86:87], v[71:72], v[112:113]
	s_waitcnt vmcnt(17)
	v_fma_f64 v[90:91], v[79:80], v[104:105], -v[90:91]
	v_fma_f64 v[84:85], v[81:82], v[104:105], v[84:85]
	ds_read_b128 v[79:82], v1 offset:1024
	v_add_f64 v[88:89], v[88:89], v[94:95]
	v_add_f64 v[2:3], v[2:3], v[92:93]
	s_waitcnt vmcnt(13) lgkmcnt(1)
	v_mul_f64 v[94:95], v[77:78], v[102:103]
	s_waitcnt vmcnt(12)
	v_fma_f64 v[71:72], v[71:72], v[116:117], -v[96:97]
	v_mul_f64 v[92:93], v[75:76], v[102:103]
	v_fma_f64 v[73:74], v[73:74], v[116:117], v[86:87]
	v_add_f64 v[88:89], v[88:89], v[90:91]
	v_add_f64 v[84:85], v[2:3], v[84:85]
	ds_read_b128 v[1:4], v1 offset:1040
	s_waitcnt vmcnt(11) lgkmcnt(1)
	v_mul_f64 v[90:91], v[81:82], v[120:121]
	v_mul_f64 v[86:87], v[79:80], v[120:121]
	s_waitcnt vmcnt(9)
	v_fma_f64 v[75:76], v[75:76], v[106:107], -v[94:95]
	v_fma_f64 v[77:78], v[77:78], v[106:107], v[92:93]
	v_add_f64 v[71:72], v[88:89], v[71:72]
	v_add_f64 v[73:74], v[84:85], v[73:74]
	s_waitcnt vmcnt(7) lgkmcnt(0)
	v_mul_f64 v[88:89], v[3:4], v[110:111]
	s_waitcnt vmcnt(6)
	v_fma_f64 v[79:80], v[79:80], v[124:125], -v[90:91]
	v_mul_f64 v[84:85], v[1:2], v[110:111]
	v_add_f64 v[71:72], v[71:72], v[75:76]
	v_fma_f64 v[75:76], v[81:82], v[124:125], v[86:87]
	v_add_f64 v[73:74], v[73:74], v[77:78]
	s_waitcnt vmcnt(4)
	v_fma_f64 v[1:2], v[1:2], v[114:115], -v[88:89]
	v_fma_f64 v[3:4], v[3:4], v[114:115], v[84:85]
	v_add_f64 v[71:72], v[71:72], v[79:80]
	v_add_f64 v[73:74], v[73:74], v[75:76]
	;; [unrolled: 1-line block ×4, first 2 shown]
	s_waitcnt vmcnt(2)
	v_add_f64 v[1:2], v[122:123], -v[1:2]
	s_waitcnt vmcnt(0)
	v_add_f64 v[3:4], v[132:133], -v[3:4]
	buffer_store_dword v2, off, s[0:3], 0 offset:84
	buffer_store_dword v1, off, s[0:3], 0 offset:80
	buffer_store_dword v4, off, s[0:3], 0 offset:92
	buffer_store_dword v3, off, s[0:3], 0 offset:88
	v_cmpx_lt_u32_e32 3, v0
	s_cbranch_execz .LBB96_205
; %bb.204:
	v_mov_b32_e32 v4, s42
	v_mov_b32_e32 v71, 0
	s_clause 0x3
	buffer_load_dword v1, v4, s[0:3], 0 offen
	buffer_load_dword v2, v4, s[0:3], 0 offen offset:4
	buffer_load_dword v3, v4, s[0:3], 0 offen offset:8
	;; [unrolled: 1-line block ×3, first 2 shown]
	buffer_store_dword v71, off, s[0:3], 0 offset:64
	buffer_store_dword v71, off, s[0:3], 0 offset:68
	;; [unrolled: 1-line block ×4, first 2 shown]
	s_waitcnt vmcnt(0)
	ds_write_b128 v83, v[1:4]
.LBB96_205:
	s_or_b32 exec_lo, exec_lo, s4
	s_waitcnt lgkmcnt(0)
	s_waitcnt_vscnt null, 0x0
	s_barrier
	buffer_gl0_inv
	s_clause 0x37
	buffer_load_dword v75, off, s[0:3], 0 offset:88
	buffer_load_dword v76, off, s[0:3], 0 offset:92
	;; [unrolled: 1-line block ×56, first 2 shown]
	v_mov_b32_e32 v77, 0
	s_mov_b32 s4, exec_lo
	ds_read_b128 v[71:74], v77 offset:592
	s_clause 0x2
	buffer_load_dword v137, off, s[0:3], 0 offset:316
	buffer_load_dword v141, off, s[0:3], 0 offset:292
	;; [unrolled: 1-line block ×3, first 2 shown]
	ds_read_b128 v[78:81], v77 offset:608
	s_clause 0x4
	buffer_load_dword v145, off, s[0:3], 0 offset:332
	buffer_load_dword v146, off, s[0:3], 0 offset:344
	;; [unrolled: 1-line block ×5, first 2 shown]
	ds_read_b128 v[84:87], v77 offset:624
	s_waitcnt vmcnt(62) lgkmcnt(2)
	v_mul_f64 v[142:143], v[73:74], v[75:76]
	v_mul_f64 v[75:76], v[71:72], v[75:76]
	s_waitcnt vmcnt(60) lgkmcnt(1)
	v_mul_f64 v[149:150], v[80:81], v[88:89]
	v_mul_f64 v[88:89], v[78:79], v[88:89]
	;; [unrolled: 3-line block ×3, first 2 shown]
	v_fma_f64 v[142:143], v[71:72], v[90:91], -v[142:143]
	v_fma_f64 v[75:76], v[73:74], v[90:91], v[75:76]
	s_clause 0x2
	buffer_load_dword v147, off, s[0:3], 0 offset:348
	buffer_load_dword v91, off, s[0:3], 0 offset:324
	buffer_load_dword v90, off, s[0:3], 0 offset:320
	s_waitcnt vmcnt(57)
	v_fma_f64 v[78:79], v[78:79], v[1:2], -v[149:150]
	ds_read_b128 v[71:74], v77 offset:640
	v_fma_f64 v[80:81], v[80:81], v[1:2], v[88:89]
	s_clause 0x4
	buffer_load_dword v89, off, s[0:3], 0 offset:364
	buffer_load_dword v150, off, s[0:3], 0 offset:376
	buffer_load_dword v155, off, s[0:3], 0 offset:368
	buffer_load_dword v88, off, s[0:3], 0 offset:360
	buffer_load_dword v149, off, s[0:3], 0 offset:340
	s_waitcnt vmcnt(56)
	v_fma_f64 v[84:85], v[84:85], v[98:99], -v[153:154]
	ds_read_b128 v[1:4], v77 offset:656
	v_fma_f64 v[86:87], v[86:87], v[98:99], v[151:152]
	s_clause 0x2
	buffer_load_dword v151, off, s[0:3], 0 offset:380
	buffer_load_dword v99, off, s[0:3], 0 offset:356
	buffer_load_dword v98, off, s[0:3], 0 offset:352
	v_add_f64 v[142:143], v[142:143], 0
	v_add_f64 v[75:76], v[75:76], 0
	s_waitcnt lgkmcnt(1)
	v_mul_f64 v[156:157], v[71:72], v[92:93]
	v_mul_f64 v[92:93], v[73:74], v[92:93]
	s_waitcnt vmcnt(58) lgkmcnt(0)
	v_mul_f64 v[152:153], v[1:2], v[94:95]
	v_mul_f64 v[94:95], v[3:4], v[94:95]
	v_add_f64 v[142:143], v[142:143], v[78:79]
	v_add_f64 v[75:76], v[75:76], v[80:81]
	ds_read_b128 v[78:81], v77 offset:672
	s_waitcnt vmcnt(56)
	v_fma_f64 v[92:93], v[71:72], v[100:101], -v[92:93]
	v_fma_f64 v[100:101], v[73:74], v[100:101], v[156:157]
	s_waitcnt vmcnt(51)
	v_fma_f64 v[94:95], v[1:2], v[96:97], -v[94:95]
	s_waitcnt lgkmcnt(0)
	v_mul_f64 v[158:159], v[78:79], v[102:103]
	v_add_f64 v[84:85], v[142:143], v[84:85]
	v_add_f64 v[75:76], v[75:76], v[86:87]
	s_clause 0x4
	buffer_load_dword v87, off, s[0:3], 0 offset:396
	buffer_load_dword v142, off, s[0:3], 0 offset:408
	;; [unrolled: 1-line block ×5, first 2 shown]
	v_mul_f64 v[102:103], v[80:81], v[102:103]
	ds_read_b128 v[71:74], v77 offset:688
	v_add_f64 v[84:85], v[84:85], v[92:93]
	v_fma_f64 v[92:93], v[3:4], v[96:97], v[152:153]
	v_add_f64 v[75:76], v[75:76], v[100:101]
	s_clause 0x2
	buffer_load_dword v143, off, s[0:3], 0 offset:412
	buffer_load_dword v97, off, s[0:3], 0 offset:388
	;; [unrolled: 1-line block ×3, first 2 shown]
	s_waitcnt vmcnt(58) lgkmcnt(0)
	v_mul_f64 v[100:101], v[71:72], v[104:105]
	v_mul_f64 v[104:105], v[73:74], v[104:105]
	s_waitcnt vmcnt(56)
	v_fma_f64 v[102:103], v[78:79], v[108:109], -v[102:103]
	ds_read_b128 v[1:4], v77 offset:704
	v_add_f64 v[84:85], v[84:85], v[94:95]
	v_fma_f64 v[94:95], v[80:81], v[108:109], v[158:159]
	v_add_f64 v[75:76], v[75:76], v[92:93]
	s_clause 0x4
	buffer_load_dword v93, off, s[0:3], 0 offset:428
	buffer_load_dword v108, off, s[0:3], 0 offset:440
	;; [unrolled: 1-line block ×5, first 2 shown]
	ds_read_b128 v[78:81], v77 offset:720
	s_waitcnt vmcnt(57) lgkmcnt(1)
	v_mul_f64 v[153:154], v[1:2], v[110:111]
	v_mul_f64 v[110:111], v[3:4], v[110:111]
	s_waitcnt vmcnt(56)
	v_fma_f64 v[104:105], v[71:72], v[106:107], -v[104:105]
	v_fma_f64 v[100:101], v[73:74], v[106:107], v[100:101]
	v_add_f64 v[84:85], v[84:85], v[102:103]
	v_add_f64 v[75:76], v[75:76], v[94:95]
	s_clause 0x2
	buffer_load_dword v109, off, s[0:3], 0 offset:444
	buffer_load_dword v95, off, s[0:3], 0 offset:420
	;; [unrolled: 1-line block ×3, first 2 shown]
	s_waitcnt vmcnt(58) lgkmcnt(0)
	v_mul_f64 v[106:107], v[80:81], v[112:113]
	ds_read_b128 v[71:74], v77 offset:736
	s_waitcnt vmcnt(56)
	v_fma_f64 v[110:111], v[1:2], v[116:117], -v[110:111]
	v_mul_f64 v[102:103], v[78:79], v[112:113]
	v_add_f64 v[84:85], v[84:85], v[104:105]
	v_fma_f64 v[104:105], v[3:4], v[116:117], v[153:154]
	v_add_f64 v[75:76], v[75:76], v[100:101]
	s_clause 0x4
	buffer_load_dword v101, off, s[0:3], 0 offset:460
	buffer_load_dword v112, off, s[0:3], 0 offset:472
	buffer_load_dword v116, off, s[0:3], 0 offset:464
	buffer_load_dword v100, off, s[0:3], 0 offset:456
	buffer_load_dword v153, off, s[0:3], 0 offset:436
	s_waitcnt vmcnt(57) lgkmcnt(0)
	v_mul_f64 v[159:160], v[71:72], v[118:119]
	v_mul_f64 v[117:118], v[73:74], v[118:119]
	s_waitcnt vmcnt(56)
	v_fma_f64 v[106:107], v[78:79], v[114:115], -v[106:107]
	ds_read_b128 v[1:4], v77 offset:752
	v_fma_f64 v[102:103], v[80:81], v[114:115], v[102:103]
	v_add_f64 v[84:85], v[84:85], v[110:111]
	v_add_f64 v[75:76], v[75:76], v[104:105]
	s_clause 0x2
	buffer_load_dword v113, off, s[0:3], 0 offset:476
	buffer_load_dword v105, off, s[0:3], 0 offset:452
	buffer_load_dword v104, off, s[0:3], 0 offset:448
	ds_read_b128 v[78:81], v77 offset:768
	s_waitcnt vmcnt(58) lgkmcnt(1)
	v_mul_f64 v[114:115], v[3:4], v[120:121]
	s_waitcnt vmcnt(56)
	v_fma_f64 v[118:119], v[71:72], v[124:125], -v[117:118]
	v_mul_f64 v[110:111], v[1:2], v[120:121]
	v_add_f64 v[84:85], v[84:85], v[106:107]
	v_fma_f64 v[106:107], v[73:74], v[124:125], v[159:160]
	v_add_f64 v[75:76], v[75:76], v[102:103]
	s_clause 0x4
	buffer_load_dword v103, off, s[0:3], 0 offset:492
	buffer_load_dword v120, off, s[0:3], 0 offset:504
	buffer_load_dword v124, off, s[0:3], 0 offset:496
	buffer_load_dword v102, off, s[0:3], 0 offset:488
	buffer_load_dword v117, off, s[0:3], 0 offset:468
	s_waitcnt vmcnt(57) lgkmcnt(0)
	v_mul_f64 v[159:160], v[78:79], v[126:127]
	v_mul_f64 v[125:126], v[80:81], v[126:127]
	s_waitcnt vmcnt(56)
	v_fma_f64 v[114:115], v[1:2], v[122:123], -v[114:115]
	ds_read_b128 v[71:74], v77 offset:784
	v_fma_f64 v[110:111], v[3:4], v[122:123], v[110:111]
	v_add_f64 v[84:85], v[84:85], v[118:119]
	v_add_f64 v[75:76], v[75:76], v[106:107]
	s_clause 0x2
	buffer_load_dword v121, off, s[0:3], 0 offset:508
	buffer_load_dword v107, off, s[0:3], 0 offset:484
	buffer_load_dword v106, off, s[0:3], 0 offset:480
	ds_read_b128 v[1:4], v77 offset:800
	s_waitcnt vmcnt(58) lgkmcnt(1)
	v_mul_f64 v[122:123], v[73:74], v[128:129]
	;; [unrolled: 28-line block ×3, first 2 shown]
	s_waitcnt vmcnt(56)
	v_fma_f64 v[134:135], v[1:2], v[140:141], -v[133:134]
	v_mul_f64 v[126:127], v[78:79], v[136:137]
	buffer_load_dword v133, off, s[0:3], 0 offset:532
	v_add_f64 v[84:85], v[84:85], v[122:123]
	v_fma_f64 v[122:123], v[3:4], v[140:141], v[159:160]
	v_add_f64 v[75:76], v[75:76], v[118:119]
	ds_read_b128 v[1:4], v77 offset:848
	s_waitcnt vmcnt(53) lgkmcnt(1)
	v_mul_f64 v[136:137], v[73:74], v[144:145]
	s_waitcnt vmcnt(52)
	v_fma_f64 v[130:131], v[78:79], v[138:139], -v[130:131]
	v_mul_f64 v[118:119], v[71:72], v[144:145]
	v_fma_f64 v[126:127], v[80:81], v[138:139], v[126:127]
	ds_read_b128 v[78:81], v77 offset:864
	v_add_f64 v[84:85], v[84:85], v[134:135]
	v_add_f64 v[75:76], v[75:76], v[122:123]
	s_waitcnt vmcnt(51) lgkmcnt(1)
	v_mul_f64 v[134:135], v[3:4], v[146:147]
	v_mul_f64 v[122:123], v[1:2], v[146:147]
	s_waitcnt vmcnt(49)
	v_fma_f64 v[136:137], v[71:72], v[90:91], -v[136:137]
	v_fma_f64 v[90:91], v[73:74], v[90:91], v[118:119]
	v_add_f64 v[84:85], v[84:85], v[130:131]
	s_waitcnt vmcnt(45) lgkmcnt(0)
	v_mul_f64 v[130:131], v[78:79], v[88:89]
	v_add_f64 v[75:76], v[75:76], v[126:127]
	s_clause 0x3
	buffer_load_dword v118, off, s[0:3], 0 offset:64
	buffer_load_dword v119, off, s[0:3], 0 offset:68
	;; [unrolled: 1-line block ×4, first 2 shown]
	v_mul_f64 v[88:89], v[80:81], v[88:89]
	ds_read_b128 v[71:74], v77 offset:880
	s_waitcnt vmcnt(48)
	v_fma_f64 v[134:135], v[1:2], v[148:149], -v[134:135]
	v_fma_f64 v[122:123], v[3:4], v[148:149], v[122:123]
	ds_read_b128 v[1:4], v77 offset:896
	v_add_f64 v[84:85], v[84:85], v[136:137]
	v_add_f64 v[75:76], v[75:76], v[90:91]
	s_waitcnt vmcnt(47) lgkmcnt(1)
	v_mul_f64 v[136:137], v[73:74], v[150:151]
	s_waitcnt vmcnt(45)
	v_fma_f64 v[88:89], v[78:79], v[98:99], -v[88:89]
	v_mul_f64 v[90:91], v[71:72], v[150:151]
	v_fma_f64 v[98:99], v[80:81], v[98:99], v[130:131]
	ds_read_b128 v[78:81], v77 offset:912
	v_add_f64 v[84:85], v[84:85], v[134:135]
	v_add_f64 v[75:76], v[75:76], v[122:123]
	s_waitcnt vmcnt(41) lgkmcnt(1)
	v_mul_f64 v[122:123], v[1:2], v[86:87]
	v_mul_f64 v[86:87], v[3:4], v[86:87]
	s_waitcnt vmcnt(40)
	v_fma_f64 v[130:131], v[71:72], v[155:156], -v[136:137]
	v_add_f64 v[84:85], v[84:85], v[88:89]
	v_fma_f64 v[88:89], v[73:74], v[155:156], v[90:91]
	v_add_f64 v[75:76], v[75:76], v[98:99]
	ds_read_b128 v[71:74], v77 offset:928
	s_waitcnt vmcnt(39) lgkmcnt(1)
	v_mul_f64 v[98:99], v[80:81], v[142:143]
	v_mul_f64 v[90:91], v[78:79], v[142:143]
	s_waitcnt vmcnt(37)
	v_fma_f64 v[86:87], v[1:2], v[96:97], -v[86:87]
	v_fma_f64 v[96:97], v[3:4], v[96:97], v[122:123]
	ds_read_b128 v[1:4], v77 offset:944
	v_add_f64 v[84:85], v[84:85], v[130:131]
	v_add_f64 v[75:76], v[75:76], v[88:89]
	s_waitcnt vmcnt(33) lgkmcnt(1)
	v_mul_f64 v[88:89], v[71:72], v[92:93]
	v_mul_f64 v[92:93], v[73:74], v[92:93]
	s_waitcnt vmcnt(32)
	v_fma_f64 v[98:99], v[78:79], v[157:158], -v[98:99]
	v_add_f64 v[84:85], v[84:85], v[86:87]
	v_fma_f64 v[86:87], v[80:81], v[157:158], v[90:91]
	v_add_f64 v[75:76], v[75:76], v[96:97]
	ds_read_b128 v[78:81], v77 offset:960
	s_waitcnt vmcnt(31) lgkmcnt(1)
	v_mul_f64 v[96:97], v[3:4], v[108:109]
	v_mul_f64 v[90:91], v[1:2], v[108:109]
	s_waitcnt vmcnt(29)
	v_fma_f64 v[92:93], v[71:72], v[94:95], -v[92:93]
	v_fma_f64 v[88:89], v[73:74], v[94:95], v[88:89]
	ds_read_b128 v[71:74], v77 offset:976
	v_add_f64 v[84:85], v[84:85], v[98:99]
	v_add_f64 v[75:76], v[75:76], v[86:87]
	s_waitcnt vmcnt(25) lgkmcnt(1)
	v_mul_f64 v[94:95], v[80:81], v[100:101]
	s_waitcnt vmcnt(24)
	v_fma_f64 v[96:97], v[1:2], v[152:153], -v[96:97]
	v_mul_f64 v[86:87], v[78:79], v[100:101]
	v_fma_f64 v[90:91], v[3:4], v[152:153], v[90:91]
	ds_read_b128 v[1:4], v77 offset:992
	v_add_f64 v[84:85], v[84:85], v[92:93]
	v_add_f64 v[75:76], v[75:76], v[88:89]
	s_waitcnt vmcnt(23) lgkmcnt(1)
	v_mul_f64 v[92:93], v[73:74], v[112:113]
	v_mul_f64 v[88:89], v[71:72], v[112:113]
	s_waitcnt vmcnt(21)
	v_fma_f64 v[94:95], v[78:79], v[104:105], -v[94:95]
	v_fma_f64 v[86:87], v[80:81], v[104:105], v[86:87]
	ds_read_b128 v[78:81], v77 offset:1008
	v_add_f64 v[84:85], v[84:85], v[96:97]
	v_add_f64 v[75:76], v[75:76], v[90:91]
	s_waitcnt vmcnt(17) lgkmcnt(1)
	v_mul_f64 v[96:97], v[3:4], v[102:103]
	s_waitcnt vmcnt(16)
	v_fma_f64 v[92:93], v[71:72], v[116:117], -v[92:93]
	v_mul_f64 v[90:91], v[1:2], v[102:103]
	v_fma_f64 v[88:89], v[73:74], v[116:117], v[88:89]
	ds_read_b128 v[71:74], v77 offset:1024
	v_add_f64 v[84:85], v[84:85], v[94:95]
	v_add_f64 v[75:76], v[75:76], v[86:87]
	s_waitcnt vmcnt(15) lgkmcnt(1)
	v_mul_f64 v[94:95], v[80:81], v[120:121]
	v_mul_f64 v[86:87], v[78:79], v[120:121]
	s_waitcnt vmcnt(13)
	v_fma_f64 v[96:97], v[1:2], v[106:107], -v[96:97]
	v_fma_f64 v[90:91], v[3:4], v[106:107], v[90:91]
	ds_read_b128 v[1:4], v77 offset:1040
	v_add_f64 v[84:85], v[84:85], v[92:93]
	v_add_f64 v[75:76], v[75:76], v[88:89]
	s_waitcnt vmcnt(9) lgkmcnt(1)
	v_mul_f64 v[92:93], v[73:74], v[110:111]
	s_waitcnt vmcnt(8)
	v_fma_f64 v[78:79], v[78:79], v[124:125], -v[94:95]
	v_mul_f64 v[88:89], v[71:72], v[110:111]
	v_fma_f64 v[80:81], v[80:81], v[124:125], v[86:87]
	v_add_f64 v[84:85], v[84:85], v[96:97]
	v_add_f64 v[75:76], v[75:76], v[90:91]
	s_waitcnt vmcnt(7) lgkmcnt(0)
	v_mul_f64 v[90:91], v[3:4], v[128:129]
	v_mul_f64 v[86:87], v[1:2], v[128:129]
	s_waitcnt vmcnt(5)
	v_fma_f64 v[71:72], v[71:72], v[114:115], -v[92:93]
	v_fma_f64 v[73:74], v[73:74], v[114:115], v[88:89]
	v_add_f64 v[78:79], v[84:85], v[78:79]
	v_add_f64 v[75:76], v[75:76], v[80:81]
	s_waitcnt vmcnt(4)
	v_fma_f64 v[1:2], v[1:2], v[132:133], -v[90:91]
	v_fma_f64 v[3:4], v[3:4], v[132:133], v[86:87]
	v_add_f64 v[71:72], v[78:79], v[71:72]
	v_add_f64 v[73:74], v[75:76], v[73:74]
	;; [unrolled: 1-line block ×4, first 2 shown]
	s_waitcnt vmcnt(2)
	v_add_f64 v[1:2], v[118:119], -v[1:2]
	s_waitcnt vmcnt(0)
	v_add_f64 v[3:4], v[126:127], -v[3:4]
	buffer_store_dword v2, off, s[0:3], 0 offset:68
	buffer_store_dword v1, off, s[0:3], 0 offset:64
	;; [unrolled: 1-line block ×4, first 2 shown]
	v_cmpx_lt_u32_e32 2, v0
	s_cbranch_execz .LBB96_207
; %bb.206:
	v_mov_b32_e32 v4, s43
	s_clause 0x3
	buffer_load_dword v1, v4, s[0:3], 0 offen
	buffer_load_dword v2, v4, s[0:3], 0 offen offset:4
	buffer_load_dword v3, v4, s[0:3], 0 offen offset:8
	;; [unrolled: 1-line block ×3, first 2 shown]
	buffer_store_dword v77, off, s[0:3], 0 offset:48
	buffer_store_dword v77, off, s[0:3], 0 offset:52
	;; [unrolled: 1-line block ×4, first 2 shown]
	s_waitcnt vmcnt(0)
	ds_write_b128 v83, v[1:4]
.LBB96_207:
	s_or_b32 exec_lo, exec_lo, s4
	s_waitcnt lgkmcnt(0)
	s_waitcnt_vscnt null, 0x0
	s_barrier
	buffer_gl0_inv
	s_clause 0x37
	buffer_load_dword v75, off, s[0:3], 0 offset:72
	buffer_load_dword v76, off, s[0:3], 0 offset:76
	;; [unrolled: 1-line block ×56, first 2 shown]
	ds_read_b128 v[78:81], v77 offset:576
	s_clause 0x2
	buffer_load_dword v137, off, s[0:3], 0 offset:300
	buffer_load_dword v141, off, s[0:3], 0 offset:276
	;; [unrolled: 1-line block ×3, first 2 shown]
	ds_read_b128 v[84:87], v77 offset:592
	s_clause 0x4
	buffer_load_dword v145, off, s[0:3], 0 offset:316
	buffer_load_dword v146, off, s[0:3], 0 offset:328
	;; [unrolled: 1-line block ×5, first 2 shown]
	ds_read_b128 v[88:91], v77 offset:608
	s_clause 0x2
	buffer_load_dword v147, off, s[0:3], 0 offset:332
	buffer_load_dword v152, off, s[0:3], 0 offset:308
	;; [unrolled: 1-line block ×3, first 2 shown]
	s_mov_b32 s4, exec_lo
	s_waitcnt vmcnt(62) lgkmcnt(2)
	v_mul_f64 v[142:143], v[80:81], v[75:76]
	v_mul_f64 v[75:76], v[78:79], v[75:76]
	s_waitcnt lgkmcnt(1)
	v_mul_f64 v[149:150], v[86:87], v[71:72]
	s_waitcnt vmcnt(59) lgkmcnt(0)
	v_mul_f64 v[153:154], v[90:91], v[3:4]
	v_fma_f64 v[78:79], v[78:79], v[73:74], -v[142:143]
	v_mul_f64 v[142:143], v[84:85], v[71:72]
	v_fma_f64 v[75:76], v[80:81], v[73:74], v[75:76]
	s_waitcnt vmcnt(57)
	v_fma_f64 v[84:85], v[84:85], v[1:2], -v[149:150]
	ds_read_b128 v[71:74], v77 offset:624
	v_mul_f64 v[80:81], v[88:89], v[3:4]
	s_waitcnt vmcnt(51)
	v_fma_f64 v[88:89], v[88:89], v[98:99], -v[153:154]
	v_add_f64 v[78:79], v[78:79], 0
	v_fma_f64 v[86:87], v[86:87], v[1:2], v[142:143]
	v_add_f64 v[75:76], v[75:76], 0
	s_clause 0x4
	buffer_load_dword v143, off, s[0:3], 0 offset:348
	buffer_load_dword v155, off, s[0:3], 0 offset:360
	;; [unrolled: 1-line block ×5, first 2 shown]
	s_waitcnt lgkmcnt(0)
	v_mul_f64 v[158:159], v[71:72], v[92:93]
	v_mul_f64 v[92:93], v[73:74], v[92:93]
	ds_read_b128 v[1:4], v77 offset:640
	v_fma_f64 v[90:91], v[90:91], v[98:99], v[80:81]
	v_add_f64 v[84:85], v[78:79], v[84:85]
	v_add_f64 v[75:76], v[75:76], v[86:87]
	s_clause 0x2
	buffer_load_dword v156, off, s[0:3], 0 offset:364
	buffer_load_dword v87, off, s[0:3], 0 offset:340
	;; [unrolled: 1-line block ×3, first 2 shown]
	s_waitcnt vmcnt(58) lgkmcnt(0)
	v_mul_f64 v[98:99], v[1:2], v[94:95]
	v_mul_f64 v[94:95], v[3:4], v[94:95]
	s_waitcnt vmcnt(56)
	v_fma_f64 v[92:93], v[71:72], v[100:101], -v[92:93]
	ds_read_b128 v[78:81], v77 offset:656
	v_add_f64 v[84:85], v[84:85], v[88:89]
	v_fma_f64 v[88:89], v[73:74], v[100:101], v[158:159]
	v_add_f64 v[75:76], v[75:76], v[90:91]
	s_clause 0x4
	buffer_load_dword v91, off, s[0:3], 0 offset:380
	buffer_load_dword v100, off, s[0:3], 0 offset:392
	;; [unrolled: 1-line block ×5, first 2 shown]
	ds_read_b128 v[71:74], v77 offset:672
	s_waitcnt vmcnt(57) lgkmcnt(1)
	v_mul_f64 v[159:160], v[78:79], v[102:103]
	v_mul_f64 v[102:103], v[80:81], v[102:103]
	s_waitcnt vmcnt(56)
	v_fma_f64 v[94:95], v[1:2], v[96:97], -v[94:95]
	v_add_f64 v[84:85], v[84:85], v[92:93]
	v_fma_f64 v[92:93], v[3:4], v[96:97], v[98:99]
	v_add_f64 v[75:76], v[75:76], v[88:89]
	s_clause 0x2
	buffer_load_dword v101, off, s[0:3], 0 offset:396
	buffer_load_dword v89, off, s[0:3], 0 offset:372
	;; [unrolled: 1-line block ×3, first 2 shown]
	s_waitcnt vmcnt(58) lgkmcnt(0)
	v_mul_f64 v[98:99], v[73:74], v[104:105]
	ds_read_b128 v[1:4], v77 offset:688
	s_waitcnt vmcnt(56)
	v_fma_f64 v[102:103], v[78:79], v[108:109], -v[102:103]
	v_mul_f64 v[96:97], v[71:72], v[104:105]
	v_add_f64 v[84:85], v[84:85], v[94:95]
	v_fma_f64 v[94:95], v[80:81], v[108:109], v[159:160]
	v_add_f64 v[75:76], v[75:76], v[92:93]
	s_clause 0x4
	buffer_load_dword v93, off, s[0:3], 0 offset:412
	buffer_load_dword v104, off, s[0:3], 0 offset:424
	buffer_load_dword v108, off, s[0:3], 0 offset:416
	buffer_load_dword v92, off, s[0:3], 0 offset:408
	buffer_load_dword v154, off, s[0:3], 0 offset:388
	s_waitcnt vmcnt(57) lgkmcnt(0)
	v_mul_f64 v[159:160], v[1:2], v[110:111]
	v_mul_f64 v[109:110], v[3:4], v[110:111]
	s_waitcnt vmcnt(56)
	v_fma_f64 v[98:99], v[71:72], v[106:107], -v[98:99]
	ds_read_b128 v[78:81], v77 offset:704
	v_fma_f64 v[96:97], v[73:74], v[106:107], v[96:97]
	v_add_f64 v[84:85], v[84:85], v[102:103]
	v_add_f64 v[75:76], v[75:76], v[94:95]
	s_clause 0x2
	buffer_load_dword v105, off, s[0:3], 0 offset:428
	buffer_load_dword v95, off, s[0:3], 0 offset:404
	buffer_load_dword v94, off, s[0:3], 0 offset:400
	ds_read_b128 v[71:74], v77 offset:720
	s_waitcnt vmcnt(58) lgkmcnt(1)
	v_mul_f64 v[106:107], v[80:81], v[112:113]
	s_waitcnt vmcnt(56)
	v_fma_f64 v[110:111], v[1:2], v[116:117], -v[109:110]
	v_mul_f64 v[102:103], v[78:79], v[112:113]
	v_add_f64 v[84:85], v[84:85], v[98:99]
	v_fma_f64 v[98:99], v[3:4], v[116:117], v[159:160]
	v_add_f64 v[75:76], v[75:76], v[96:97]
	s_clause 0x4
	buffer_load_dword v97, off, s[0:3], 0 offset:444
	buffer_load_dword v112, off, s[0:3], 0 offset:456
	buffer_load_dword v116, off, s[0:3], 0 offset:448
	buffer_load_dword v96, off, s[0:3], 0 offset:440
	buffer_load_dword v109, off, s[0:3], 0 offset:420
	s_waitcnt vmcnt(57) lgkmcnt(0)
	v_mul_f64 v[159:160], v[71:72], v[118:119]
	v_mul_f64 v[117:118], v[73:74], v[118:119]
	s_waitcnt vmcnt(56)
	v_fma_f64 v[106:107], v[78:79], v[114:115], -v[106:107]
	ds_read_b128 v[1:4], v77 offset:736
	v_fma_f64 v[102:103], v[80:81], v[114:115], v[102:103]
	v_add_f64 v[84:85], v[84:85], v[110:111]
	v_add_f64 v[75:76], v[75:76], v[98:99]
	s_clause 0x2
	buffer_load_dword v113, off, s[0:3], 0 offset:460
	buffer_load_dword v99, off, s[0:3], 0 offset:436
	buffer_load_dword v98, off, s[0:3], 0 offset:432
	ds_read_b128 v[78:81], v77 offset:752
	s_waitcnt vmcnt(58) lgkmcnt(1)
	v_mul_f64 v[114:115], v[3:4], v[120:121]
	;; [unrolled: 28-line block ×4, first 2 shown]
	s_waitcnt vmcnt(56)
	v_fma_f64 v[134:135], v[1:2], v[140:141], -v[133:134]
	v_mul_f64 v[126:127], v[78:79], v[136:137]
	v_add_f64 v[84:85], v[84:85], v[122:123]
	v_fma_f64 v[122:123], v[3:4], v[140:141], v[159:160]
	v_add_f64 v[75:76], v[75:76], v[118:119]
	s_clause 0x2
	buffer_load_dword v119, off, s[0:3], 0 offset:540
	buffer_load_dword v118, off, s[0:3], 0 offset:536
	;; [unrolled: 1-line block ×3, first 2 shown]
	s_waitcnt vmcnt(55) lgkmcnt(0)
	v_mul_f64 v[140:141], v[73:74], v[144:145]
	s_waitcnt vmcnt(54)
	v_fma_f64 v[130:131], v[78:79], v[138:139], -v[130:131]
	ds_read_b128 v[1:4], v77 offset:832
	v_mul_f64 v[136:137], v[71:72], v[144:145]
	v_fma_f64 v[126:127], v[80:81], v[138:139], v[126:127]
	v_add_f64 v[84:85], v[84:85], v[134:135]
	v_add_f64 v[75:76], v[75:76], v[122:123]
	s_clause 0x1
	buffer_load_dword v123, off, s[0:3], 0 offset:532
	buffer_load_dword v122, off, s[0:3], 0 offset:528
	s_waitcnt vmcnt(55) lgkmcnt(0)
	v_mul_f64 v[138:139], v[3:4], v[146:147]
	s_waitcnt vmcnt(53)
	v_fma_f64 v[140:141], v[71:72], v[151:152], -v[140:141]
	ds_read_b128 v[78:81], v77 offset:848
	v_mul_f64 v[134:135], v[1:2], v[146:147]
	v_add_f64 v[84:85], v[84:85], v[130:131]
	v_fma_f64 v[130:131], v[73:74], v[151:152], v[136:137]
	v_add_f64 v[75:76], v[75:76], v[126:127]
	ds_read_b128 v[71:74], v77 offset:864
	s_waitcnt vmcnt(49) lgkmcnt(1)
	v_mul_f64 v[136:137], v[80:81], v[142:143]
	s_waitcnt vmcnt(48)
	v_fma_f64 v[138:139], v[1:2], v[148:149], -v[138:139]
	v_mul_f64 v[126:127], v[78:79], v[142:143]
	v_fma_f64 v[134:135], v[3:4], v[148:149], v[134:135]
	v_add_f64 v[84:85], v[84:85], v[140:141]
	v_add_f64 v[75:76], v[75:76], v[130:131]
	s_clause 0x3
	buffer_load_dword v130, off, s[0:3], 0 offset:48
	buffer_load_dword v131, off, s[0:3], 0 offset:52
	buffer_load_dword v140, off, s[0:3], 0 offset:56
	buffer_load_dword v141, off, s[0:3], 0 offset:60
	ds_read_b128 v[1:4], v77 offset:880
	s_waitcnt vmcnt(51) lgkmcnt(1)
	v_mul_f64 v[144:145], v[73:74], v[155:156]
	v_mul_f64 v[142:143], v[71:72], v[155:156]
	s_waitcnt vmcnt(49)
	v_fma_f64 v[136:137], v[78:79], v[86:87], -v[136:137]
	v_fma_f64 v[86:87], v[80:81], v[86:87], v[126:127]
	ds_read_b128 v[78:81], v77 offset:896
	v_add_f64 v[84:85], v[84:85], v[138:139]
	v_add_f64 v[75:76], v[75:76], v[134:135]
	s_waitcnt vmcnt(45) lgkmcnt(1)
	v_mul_f64 v[126:127], v[1:2], v[90:91]
	v_mul_f64 v[90:91], v[3:4], v[90:91]
	s_waitcnt vmcnt(44)
	v_fma_f64 v[134:135], v[71:72], v[157:158], -v[144:145]
	v_add_f64 v[84:85], v[84:85], v[136:137]
	v_fma_f64 v[136:137], v[73:74], v[157:158], v[142:143]
	v_add_f64 v[75:76], v[75:76], v[86:87]
	ds_read_b128 v[71:74], v77 offset:912
	s_waitcnt vmcnt(43) lgkmcnt(1)
	v_mul_f64 v[86:87], v[78:79], v[100:101]
	v_mul_f64 v[100:101], v[80:81], v[100:101]
	s_waitcnt vmcnt(41)
	v_fma_f64 v[90:91], v[1:2], v[88:89], -v[90:91]
	v_fma_f64 v[88:89], v[3:4], v[88:89], v[126:127]
	ds_read_b128 v[1:4], v77 offset:928
	v_add_f64 v[84:85], v[84:85], v[134:135]
	v_add_f64 v[75:76], v[75:76], v[136:137]
	s_waitcnt vmcnt(37) lgkmcnt(1)
	v_mul_f64 v[126:127], v[71:72], v[92:93]
	v_mul_f64 v[92:93], v[73:74], v[92:93]
	s_waitcnt vmcnt(36)
	v_fma_f64 v[100:101], v[78:79], v[153:154], -v[100:101]
	v_fma_f64 v[86:87], v[80:81], v[153:154], v[86:87]
	ds_read_b128 v[78:81], v77 offset:944
	v_add_f64 v[84:85], v[84:85], v[90:91]
	v_add_f64 v[75:76], v[75:76], v[88:89]
	;; [unrolled: 9-line block ×5, first 2 shown]
	s_waitcnt vmcnt(21) lgkmcnt(1)
	v_mul_f64 v[90:91], v[3:4], v[102:103]
	s_waitcnt vmcnt(20)
	v_fma_f64 v[94:95], v[71:72], v[116:117], -v[94:95]
	v_mul_f64 v[88:89], v[1:2], v[102:103]
	v_fma_f64 v[92:93], v[73:74], v[116:117], v[92:93]
	ds_read_b128 v[71:74], v77 offset:1008
	v_add_f64 v[84:85], v[84:85], v[96:97]
	v_add_f64 v[75:76], v[75:76], v[86:87]
	s_waitcnt vmcnt(19) lgkmcnt(1)
	v_mul_f64 v[96:97], v[80:81], v[120:121]
	v_mul_f64 v[86:87], v[78:79], v[120:121]
	s_waitcnt vmcnt(17)
	v_fma_f64 v[90:91], v[1:2], v[106:107], -v[90:91]
	v_fma_f64 v[88:89], v[3:4], v[106:107], v[88:89]
	ds_read_b128 v[1:4], v77 offset:1024
	v_add_f64 v[84:85], v[84:85], v[94:95]
	v_add_f64 v[75:76], v[75:76], v[92:93]
	s_waitcnt vmcnt(13) lgkmcnt(1)
	v_mul_f64 v[94:95], v[73:74], v[110:111]
	s_waitcnt vmcnt(12)
	v_fma_f64 v[96:97], v[78:79], v[124:125], -v[96:97]
	v_mul_f64 v[92:93], v[71:72], v[110:111]
	v_fma_f64 v[79:80], v[80:81], v[124:125], v[86:87]
	v_add_f64 v[84:85], v[84:85], v[90:91]
	v_add_f64 v[81:82], v[75:76], v[88:89]
	ds_read_b128 v[75:78], v77 offset:1040
	s_waitcnt vmcnt(11) lgkmcnt(1)
	v_mul_f64 v[88:89], v[3:4], v[128:129]
	v_mul_f64 v[86:87], v[1:2], v[128:129]
	s_waitcnt vmcnt(9)
	v_fma_f64 v[71:72], v[71:72], v[114:115], -v[94:95]
	v_fma_f64 v[73:74], v[73:74], v[114:115], v[92:93]
	v_add_f64 v[84:85], v[84:85], v[96:97]
	v_add_f64 v[79:80], v[81:82], v[79:80]
	s_waitcnt vmcnt(7) lgkmcnt(0)
	v_mul_f64 v[90:91], v[77:78], v[118:119]
	s_waitcnt vmcnt(6)
	v_fma_f64 v[1:2], v[1:2], v[132:133], -v[88:89]
	v_mul_f64 v[81:82], v[75:76], v[118:119]
	v_fma_f64 v[3:4], v[3:4], v[132:133], v[86:87]
	v_add_f64 v[71:72], v[84:85], v[71:72]
	v_add_f64 v[73:74], v[79:80], v[73:74]
	s_waitcnt vmcnt(4)
	v_fma_f64 v[75:76], v[75:76], v[122:123], -v[90:91]
	v_add_f64 v[1:2], v[71:72], v[1:2]
	v_fma_f64 v[71:72], v[77:78], v[122:123], v[81:82]
	v_add_f64 v[3:4], v[73:74], v[3:4]
	v_add_f64 v[1:2], v[1:2], v[75:76]
	;; [unrolled: 1-line block ×3, first 2 shown]
	s_waitcnt vmcnt(2)
	v_add_f64 v[1:2], v[130:131], -v[1:2]
	s_waitcnt vmcnt(0)
	v_add_f64 v[3:4], v[140:141], -v[3:4]
	buffer_store_dword v2, off, s[0:3], 0 offset:52
	buffer_store_dword v1, off, s[0:3], 0 offset:48
	buffer_store_dword v4, off, s[0:3], 0 offset:60
	buffer_store_dword v3, off, s[0:3], 0 offset:56
	v_cmpx_lt_u32_e32 1, v0
	s_cbranch_execz .LBB96_209
; %bb.208:
	v_mov_b32_e32 v4, s44
	v_mov_b32_e32 v71, 0
	s_clause 0x3
	buffer_load_dword v1, v4, s[0:3], 0 offen
	buffer_load_dword v2, v4, s[0:3], 0 offen offset:4
	buffer_load_dword v3, v4, s[0:3], 0 offen offset:8
	;; [unrolled: 1-line block ×3, first 2 shown]
	buffer_store_dword v71, off, s[0:3], 0 offset:32
	buffer_store_dword v71, off, s[0:3], 0 offset:36
	;; [unrolled: 1-line block ×4, first 2 shown]
	s_waitcnt vmcnt(0)
	ds_write_b128 v83, v[1:4]
.LBB96_209:
	s_or_b32 exec_lo, exec_lo, s4
	s_waitcnt lgkmcnt(0)
	s_waitcnt_vscnt null, 0x0
	s_barrier
	buffer_gl0_inv
	s_clause 0x37
	buffer_load_dword v75, off, s[0:3], 0 offset:56
	buffer_load_dword v76, off, s[0:3], 0 offset:60
	;; [unrolled: 1-line block ×56, first 2 shown]
	v_mov_b32_e32 v95, 0
	s_mov_b32 s4, exec_lo
	ds_read_b128 v[84:87], v95 offset:560
	s_clause 0x2
	buffer_load_dword v137, off, s[0:3], 0 offset:284
	buffer_load_dword v141, off, s[0:3], 0 offset:260
	;; [unrolled: 1-line block ×3, first 2 shown]
	ds_read_b128 v[88:91], v95 offset:576
	s_clause 0x4
	buffer_load_dword v145, off, s[0:3], 0 offset:300
	buffer_load_dword v146, off, s[0:3], 0 offset:312
	;; [unrolled: 1-line block ×5, first 2 shown]
	ds_read_b128 v[96:99], v95 offset:592
	s_clause 0x2
	buffer_load_dword v147, off, s[0:3], 0 offset:316
	buffer_load_dword v152, off, s[0:3], 0 offset:292
	;; [unrolled: 1-line block ×3, first 2 shown]
	s_waitcnt vmcnt(62) lgkmcnt(2)
	v_mul_f64 v[142:143], v[86:87], v[75:76]
	v_mul_f64 v[75:76], v[84:85], v[75:76]
	s_waitcnt lgkmcnt(1)
	v_mul_f64 v[149:150], v[90:91], v[71:72]
	s_waitcnt vmcnt(59) lgkmcnt(0)
	v_mul_f64 v[153:154], v[98:99], v[3:4]
	v_fma_f64 v[84:85], v[84:85], v[73:74], -v[142:143]
	v_mul_f64 v[142:143], v[88:89], v[71:72]
	v_fma_f64 v[75:76], v[86:87], v[73:74], v[75:76]
	s_waitcnt vmcnt(57)
	v_fma_f64 v[88:89], v[88:89], v[1:2], -v[149:150]
	ds_read_b128 v[71:74], v95 offset:608
	v_mul_f64 v[86:87], v[96:97], v[3:4]
	s_waitcnt vmcnt(51)
	v_fma_f64 v[96:97], v[96:97], v[100:101], -v[153:154]
	v_add_f64 v[84:85], v[84:85], 0
	v_fma_f64 v[90:91], v[90:91], v[1:2], v[142:143]
	v_add_f64 v[75:76], v[75:76], 0
	s_clause 0x4
	buffer_load_dword v143, off, s[0:3], 0 offset:332
	buffer_load_dword v155, off, s[0:3], 0 offset:344
	;; [unrolled: 1-line block ×5, first 2 shown]
	s_waitcnt lgkmcnt(0)
	v_mul_f64 v[158:159], v[71:72], v[79:80]
	v_mul_f64 v[79:80], v[73:74], v[79:80]
	ds_read_b128 v[1:4], v95 offset:624
	v_fma_f64 v[98:99], v[98:99], v[100:101], v[86:87]
	v_add_f64 v[88:89], v[84:85], v[88:89]
	v_add_f64 v[75:76], v[75:76], v[90:91]
	s_clause 0x2
	buffer_load_dword v156, off, s[0:3], 0 offset:348
	buffer_load_dword v91, off, s[0:3], 0 offset:324
	;; [unrolled: 1-line block ×3, first 2 shown]
	s_waitcnt vmcnt(58) lgkmcnt(0)
	v_mul_f64 v[100:101], v[1:2], v[92:93]
	v_mul_f64 v[92:93], v[3:4], v[92:93]
	s_waitcnt vmcnt(56)
	v_fma_f64 v[79:80], v[71:72], v[102:103], -v[79:80]
	ds_read_b128 v[84:87], v95 offset:640
	v_add_f64 v[88:89], v[88:89], v[96:97]
	v_fma_f64 v[96:97], v[73:74], v[102:103], v[158:159]
	v_add_f64 v[75:76], v[75:76], v[98:99]
	s_clause 0x4
	buffer_load_dword v99, off, s[0:3], 0 offset:364
	buffer_load_dword v102, off, s[0:3], 0 offset:376
	buffer_load_dword v153, off, s[0:3], 0 offset:368
	buffer_load_dword v98, off, s[0:3], 0 offset:360
	buffer_load_dword v158, off, s[0:3], 0 offset:340
	ds_read_b128 v[71:74], v95 offset:656
	s_waitcnt vmcnt(57) lgkmcnt(1)
	v_mul_f64 v[159:160], v[84:85], v[104:105]
	v_mul_f64 v[104:105], v[86:87], v[104:105]
	s_waitcnt vmcnt(56)
	v_fma_f64 v[92:93], v[1:2], v[77:78], -v[92:93]
	v_fma_f64 v[77:78], v[3:4], v[77:78], v[100:101]
	v_add_f64 v[79:80], v[88:89], v[79:80]
	s_clause 0x2
	buffer_load_dword v103, off, s[0:3], 0 offset:380
	buffer_load_dword v89, off, s[0:3], 0 offset:356
	;; [unrolled: 1-line block ×3, first 2 shown]
	v_add_f64 v[75:76], v[75:76], v[96:97]
	s_waitcnt vmcnt(58) lgkmcnt(0)
	v_mul_f64 v[100:101], v[73:74], v[106:107]
	ds_read_b128 v[1:4], v95 offset:672
	v_mul_f64 v[96:97], v[71:72], v[106:107]
	s_waitcnt vmcnt(56)
	v_fma_f64 v[84:85], v[84:85], v[108:109], -v[104:105]
	v_fma_f64 v[86:87], v[86:87], v[108:109], v[159:160]
	s_clause 0x4
	buffer_load_dword v105, off, s[0:3], 0 offset:396
	buffer_load_dword v106, off, s[0:3], 0 offset:408
	;; [unrolled: 1-line block ×5, first 2 shown]
	v_add_f64 v[79:80], v[79:80], v[92:93]
	v_add_f64 v[92:93], v[75:76], v[77:78]
	s_waitcnt vmcnt(57) lgkmcnt(0)
	v_mul_f64 v[159:160], v[1:2], v[110:111]
	v_mul_f64 v[109:110], v[3:4], v[110:111]
	s_waitcnt vmcnt(56)
	v_fma_f64 v[100:101], v[71:72], v[81:82], -v[100:101]
	ds_read_b128 v[75:78], v95 offset:688
	v_fma_f64 v[81:82], v[73:74], v[81:82], v[96:97]
	v_add_f64 v[79:80], v[79:80], v[84:85]
	v_add_f64 v[84:85], v[92:93], v[86:87]
	s_clause 0x2
	buffer_load_dword v107, off, s[0:3], 0 offset:412
	buffer_load_dword v87, off, s[0:3], 0 offset:388
	buffer_load_dword v86, off, s[0:3], 0 offset:384
	s_waitcnt vmcnt(58) lgkmcnt(0)
	v_mul_f64 v[96:97], v[77:78], v[112:113]
	s_waitcnt vmcnt(56)
	v_fma_f64 v[110:111], v[1:2], v[116:117], -v[109:110]
	ds_read_b128 v[71:74], v95 offset:704
	v_mul_f64 v[92:93], v[75:76], v[112:113]
	v_add_f64 v[79:80], v[79:80], v[100:101]
	v_fma_f64 v[100:101], v[3:4], v[116:117], v[159:160]
	v_add_f64 v[81:82], v[84:85], v[81:82]
	s_clause 0x4
	buffer_load_dword v85, off, s[0:3], 0 offset:428
	buffer_load_dword v112, off, s[0:3], 0 offset:440
	buffer_load_dword v116, off, s[0:3], 0 offset:432
	buffer_load_dword v84, off, s[0:3], 0 offset:424
	buffer_load_dword v109, off, s[0:3], 0 offset:404
	s_waitcnt vmcnt(57) lgkmcnt(0)
	v_mul_f64 v[159:160], v[71:72], v[118:119]
	v_mul_f64 v[117:118], v[73:74], v[118:119]
	s_waitcnt vmcnt(56)
	v_fma_f64 v[96:97], v[75:76], v[114:115], -v[96:97]
	ds_read_b128 v[1:4], v95 offset:720
	v_fma_f64 v[92:93], v[77:78], v[114:115], v[92:93]
	v_add_f64 v[79:80], v[79:80], v[110:111]
	v_add_f64 v[81:82], v[81:82], v[100:101]
	s_clause 0x2
	buffer_load_dword v113, off, s[0:3], 0 offset:444
	buffer_load_dword v101, off, s[0:3], 0 offset:420
	buffer_load_dword v100, off, s[0:3], 0 offset:416
	ds_read_b128 v[75:78], v95 offset:736
	s_waitcnt vmcnt(58) lgkmcnt(1)
	v_mul_f64 v[114:115], v[3:4], v[120:121]
	s_waitcnt vmcnt(56)
	v_fma_f64 v[118:119], v[71:72], v[124:125], -v[117:118]
	v_mul_f64 v[110:111], v[1:2], v[120:121]
	v_add_f64 v[79:80], v[79:80], v[96:97]
	v_fma_f64 v[96:97], v[73:74], v[124:125], v[159:160]
	v_add_f64 v[81:82], v[81:82], v[92:93]
	s_clause 0x4
	buffer_load_dword v93, off, s[0:3], 0 offset:460
	buffer_load_dword v120, off, s[0:3], 0 offset:472
	buffer_load_dword v124, off, s[0:3], 0 offset:464
	buffer_load_dword v92, off, s[0:3], 0 offset:456
	buffer_load_dword v117, off, s[0:3], 0 offset:436
	s_waitcnt vmcnt(57) lgkmcnt(0)
	v_mul_f64 v[159:160], v[75:76], v[126:127]
	v_mul_f64 v[125:126], v[77:78], v[126:127]
	s_waitcnt vmcnt(56)
	v_fma_f64 v[114:115], v[1:2], v[122:123], -v[114:115]
	ds_read_b128 v[71:74], v95 offset:752
	v_fma_f64 v[110:111], v[3:4], v[122:123], v[110:111]
	v_add_f64 v[79:80], v[79:80], v[118:119]
	v_add_f64 v[81:82], v[81:82], v[96:97]
	s_clause 0x2
	buffer_load_dword v121, off, s[0:3], 0 offset:476
	buffer_load_dword v97, off, s[0:3], 0 offset:452
	buffer_load_dword v96, off, s[0:3], 0 offset:448
	ds_read_b128 v[1:4], v95 offset:768
	s_waitcnt vmcnt(58) lgkmcnt(1)
	v_mul_f64 v[122:123], v[73:74], v[128:129]
	s_waitcnt vmcnt(56)
	v_fma_f64 v[126:127], v[75:76], v[132:133], -v[125:126]
	;; [unrolled: 28-line block ×4, first 2 shown]
	v_mul_f64 v[134:135], v[1:2], v[146:147]
	buffer_load_dword v141, off, s[0:3], 0 offset:532
	v_add_f64 v[79:80], v[79:80], v[130:131]
	v_fma_f64 v[130:131], v[73:74], v[151:152], v[159:160]
	v_add_f64 v[81:82], v[81:82], v[126:127]
	ds_read_b128 v[71:74], v95 offset:848
	s_waitcnt vmcnt(53) lgkmcnt(1)
	v_mul_f64 v[126:127], v[75:76], v[142:143]
	v_mul_f64 v[142:143], v[77:78], v[142:143]
	s_waitcnt vmcnt(52)
	v_fma_f64 v[138:139], v[1:2], v[148:149], -v[138:139]
	v_fma_f64 v[134:135], v[3:4], v[148:149], v[134:135]
	ds_read_b128 v[1:4], v95 offset:864
	v_add_f64 v[79:80], v[79:80], v[144:145]
	v_add_f64 v[81:82], v[81:82], v[130:131]
	s_waitcnt vmcnt(51) lgkmcnt(1)
	v_mul_f64 v[144:145], v[73:74], v[155:156]
	v_mul_f64 v[130:131], v[71:72], v[155:156]
	s_waitcnt vmcnt(49)
	v_fma_f64 v[142:143], v[75:76], v[90:91], -v[142:143]
	v_fma_f64 v[90:91], v[77:78], v[90:91], v[126:127]
	v_add_f64 v[79:80], v[79:80], v[138:139]
	v_add_f64 v[81:82], v[81:82], v[134:135]
	s_clause 0x3
	buffer_load_dword v126, off, s[0:3], 0 offset:32
	buffer_load_dword v127, off, s[0:3], 0 offset:36
	;; [unrolled: 1-line block ×4, first 2 shown]
	ds_read_b128 v[75:78], v95 offset:880
	s_waitcnt vmcnt(49) lgkmcnt(1)
	v_mul_f64 v[138:139], v[1:2], v[98:99]
	v_mul_f64 v[98:99], v[3:4], v[98:99]
	s_waitcnt vmcnt(48)
	v_fma_f64 v[144:145], v[71:72], v[157:158], -v[144:145]
	v_fma_f64 v[130:131], v[73:74], v[157:158], v[130:131]
	ds_read_b128 v[71:74], v95 offset:896
	v_add_f64 v[79:80], v[79:80], v[142:143]
	v_add_f64 v[81:82], v[81:82], v[90:91]
	s_waitcnt vmcnt(47) lgkmcnt(1)
	v_mul_f64 v[90:91], v[75:76], v[102:103]
	v_mul_f64 v[102:103], v[77:78], v[102:103]
	s_waitcnt vmcnt(45)
	v_fma_f64 v[98:99], v[1:2], v[88:89], -v[98:99]
	v_fma_f64 v[88:89], v[3:4], v[88:89], v[138:139]
	ds_read_b128 v[1:4], v95 offset:912
	v_add_f64 v[79:80], v[79:80], v[144:145]
	v_add_f64 v[81:82], v[81:82], v[130:131]
	s_waitcnt vmcnt(41) lgkmcnt(1)
	v_mul_f64 v[130:131], v[71:72], v[104:105]
	v_mul_f64 v[104:105], v[73:74], v[104:105]
	s_waitcnt vmcnt(40)
	v_fma_f64 v[90:91], v[77:78], v[153:154], v[90:91]
	v_fma_f64 v[102:103], v[75:76], v[153:154], -v[102:103]
	ds_read_b128 v[75:78], v95 offset:928
	v_add_f64 v[79:80], v[79:80], v[98:99]
	v_add_f64 v[81:82], v[81:82], v[88:89]
	s_waitcnt vmcnt(39) lgkmcnt(1)
	v_mul_f64 v[98:99], v[3:4], v[106:107]
	v_mul_f64 v[88:89], v[1:2], v[106:107]
	s_waitcnt vmcnt(37)
	v_fma_f64 v[104:105], v[71:72], v[86:87], -v[104:105]
	v_fma_f64 v[86:87], v[73:74], v[86:87], v[130:131]
	ds_read_b128 v[71:74], v95 offset:944
	v_add_f64 v[79:80], v[79:80], v[102:103]
	v_add_f64 v[81:82], v[81:82], v[90:91]
	s_waitcnt vmcnt(33) lgkmcnt(1)
	v_mul_f64 v[90:91], v[75:76], v[84:85]
	v_mul_f64 v[84:85], v[77:78], v[84:85]
	s_waitcnt vmcnt(32)
	v_fma_f64 v[98:99], v[1:2], v[108:109], -v[98:99]
	v_fma_f64 v[88:89], v[3:4], v[108:109], v[88:89]
	;; [unrolled: 9-line block ×3, first 2 shown]
	ds_read_b128 v[75:78], v95 offset:976
	v_add_f64 v[79:80], v[79:80], v[98:99]
	v_add_f64 v[81:82], v[81:82], v[88:89]
	s_waitcnt vmcnt(25) lgkmcnt(1)
	v_mul_f64 v[88:89], v[1:2], v[92:93]
	v_mul_f64 v[92:93], v[3:4], v[92:93]
	s_waitcnt vmcnt(24)
	v_fma_f64 v[98:99], v[71:72], v[116:117], -v[102:103]
	v_add_f64 v[79:80], v[79:80], v[84:85]
	v_fma_f64 v[84:85], v[73:74], v[116:117], v[86:87]
	v_add_f64 v[81:82], v[81:82], v[90:91]
	ds_read_b128 v[71:74], v95 offset:992
	s_waitcnt vmcnt(23) lgkmcnt(1)
	v_mul_f64 v[90:91], v[77:78], v[120:121]
	v_mul_f64 v[86:87], v[75:76], v[120:121]
	s_waitcnt vmcnt(21)
	v_fma_f64 v[92:93], v[1:2], v[96:97], -v[92:93]
	v_fma_f64 v[88:89], v[3:4], v[96:97], v[88:89]
	ds_read_b128 v[1:4], v95 offset:1008
	v_add_f64 v[79:80], v[79:80], v[98:99]
	v_add_f64 v[81:82], v[81:82], v[84:85]
	s_waitcnt vmcnt(17) lgkmcnt(1)
	v_mul_f64 v[96:97], v[73:74], v[110:111]
	s_waitcnt vmcnt(16)
	v_fma_f64 v[90:91], v[75:76], v[124:125], -v[90:91]
	v_mul_f64 v[84:85], v[71:72], v[110:111]
	v_fma_f64 v[86:87], v[77:78], v[124:125], v[86:87]
	ds_read_b128 v[75:78], v95 offset:1024
	v_add_f64 v[79:80], v[79:80], v[92:93]
	v_add_f64 v[81:82], v[81:82], v[88:89]
	s_waitcnt vmcnt(15) lgkmcnt(1)
	v_mul_f64 v[92:93], v[3:4], v[128:129]
	v_mul_f64 v[88:89], v[1:2], v[128:129]
	s_waitcnt vmcnt(13)
	v_fma_f64 v[96:97], v[71:72], v[114:115], -v[96:97]
	v_fma_f64 v[84:85], v[73:74], v[114:115], v[84:85]
	ds_read_b128 v[71:74], v95 offset:1040
	v_add_f64 v[79:80], v[79:80], v[90:91]
	v_add_f64 v[81:82], v[81:82], v[86:87]
	s_waitcnt vmcnt(9) lgkmcnt(1)
	v_mul_f64 v[90:91], v[77:78], v[118:119]
	s_waitcnt vmcnt(8)
	v_fma_f64 v[1:2], v[1:2], v[132:133], -v[92:93]
	v_mul_f64 v[86:87], v[75:76], v[118:119]
	v_fma_f64 v[3:4], v[3:4], v[132:133], v[88:89]
	v_add_f64 v[79:80], v[79:80], v[96:97]
	v_add_f64 v[81:82], v[81:82], v[84:85]
	s_waitcnt vmcnt(7) lgkmcnt(0)
	v_mul_f64 v[88:89], v[73:74], v[136:137]
	v_mul_f64 v[84:85], v[71:72], v[136:137]
	s_waitcnt vmcnt(5)
	v_fma_f64 v[75:76], v[75:76], v[122:123], -v[90:91]
	v_fma_f64 v[77:78], v[77:78], v[122:123], v[86:87]
	v_add_f64 v[1:2], v[79:80], v[1:2]
	v_add_f64 v[3:4], v[81:82], v[3:4]
	s_waitcnt vmcnt(4)
	v_fma_f64 v[71:72], v[71:72], v[140:141], -v[88:89]
	v_fma_f64 v[73:74], v[73:74], v[140:141], v[84:85]
	v_add_f64 v[1:2], v[1:2], v[75:76]
	v_add_f64 v[3:4], v[3:4], v[77:78]
	;; [unrolled: 1-line block ×4, first 2 shown]
	s_waitcnt vmcnt(2)
	v_add_f64 v[1:2], v[126:127], -v[1:2]
	s_waitcnt vmcnt(0)
	v_add_f64 v[3:4], v[134:135], -v[3:4]
	buffer_store_dword v2, off, s[0:3], 0 offset:36
	buffer_store_dword v1, off, s[0:3], 0 offset:32
	;; [unrolled: 1-line block ×4, first 2 shown]
	v_cmpx_ne_u32_e32 0, v0
	s_cbranch_execz .LBB96_211
; %bb.210:
	s_clause 0x3
	buffer_load_dword v0, off, s[0:3], 0 offset:16
	buffer_load_dword v1, off, s[0:3], 0 offset:20
	;; [unrolled: 1-line block ×4, first 2 shown]
	buffer_store_dword v95, off, s[0:3], 0 offset:16
	buffer_store_dword v95, off, s[0:3], 0 offset:20
	;; [unrolled: 1-line block ×4, first 2 shown]
	s_waitcnt vmcnt(0)
	ds_write_b128 v83, v[0:3]
.LBB96_211:
	s_or_b32 exec_lo, exec_lo, s4
	s_waitcnt lgkmcnt(0)
	s_waitcnt_vscnt null, 0x0
	s_barrier
	buffer_gl0_inv
	s_clause 0x37
	buffer_load_dword v75, off, s[0:3], 0 offset:40
	buffer_load_dword v76, off, s[0:3], 0 offset:44
	;; [unrolled: 1-line block ×56, first 2 shown]
	ds_read_b128 v[96:99], v95 offset:544
	s_clause 0x2
	buffer_load_dword v135, off, s[0:3], 0 offset:268
	buffer_load_dword v139, off, s[0:3], 0 offset:244
	;; [unrolled: 1-line block ×3, first 2 shown]
	ds_read_b128 v[100:103], v95 offset:560
	s_clause 0x4
	buffer_load_dword v143, off, s[0:3], 0 offset:284
	buffer_load_dword v144, off, s[0:3], 0 offset:296
	;; [unrolled: 1-line block ×5, first 2 shown]
	ds_read_b128 v[104:107], v95 offset:576
	s_clause 0x2
	buffer_load_dword v145, off, s[0:3], 0 offset:300
	buffer_load_dword v150, off, s[0:3], 0 offset:276
	;; [unrolled: 1-line block ×3, first 2 shown]
	s_and_b32 vcc_lo, exec_lo, s45
	s_waitcnt vmcnt(62) lgkmcnt(2)
	v_mul_f64 v[140:141], v[98:99], v[75:76]
	v_mul_f64 v[75:76], v[96:97], v[75:76]
	s_waitcnt lgkmcnt(1)
	v_mul_f64 v[147:148], v[102:103], v[71:72]
	s_waitcnt vmcnt(59) lgkmcnt(0)
	v_mul_f64 v[151:152], v[106:107], v[2:3]
	v_fma_f64 v[96:97], v[96:97], v[73:74], -v[140:141]
	v_mul_f64 v[140:141], v[100:101], v[71:72]
	v_fma_f64 v[75:76], v[98:99], v[73:74], v[75:76]
	s_waitcnt vmcnt(57)
	v_fma_f64 v[100:101], v[100:101], v[0:1], -v[147:148]
	ds_read_b128 v[71:74], v95 offset:592
	v_mul_f64 v[98:99], v[104:105], v[2:3]
	s_waitcnt vmcnt(51)
	v_fma_f64 v[104:105], v[104:105], v[91:92], -v[151:152]
	v_add_f64 v[96:97], v[96:97], 0
	v_fma_f64 v[102:103], v[102:103], v[0:1], v[140:141]
	v_add_f64 v[75:76], v[75:76], 0
	s_clause 0x4
	buffer_load_dword v141, off, s[0:3], 0 offset:316
	buffer_load_dword v153, off, s[0:3], 0 offset:328
	;; [unrolled: 1-line block ×5, first 2 shown]
	s_waitcnt lgkmcnt(0)
	v_mul_f64 v[156:157], v[71:72], v[79:80]
	v_mul_f64 v[79:80], v[73:74], v[79:80]
	ds_read_b128 v[0:3], v95 offset:608
	v_fma_f64 v[91:92], v[106:107], v[91:92], v[98:99]
	v_add_f64 v[100:101], v[96:97], v[100:101]
	v_add_f64 v[75:76], v[75:76], v[102:103]
	s_clause 0x2
	buffer_load_dword v154, off, s[0:3], 0 offset:332
	buffer_load_dword v103, off, s[0:3], 0 offset:308
	;; [unrolled: 1-line block ×3, first 2 shown]
	s_waitcnt vmcnt(58) lgkmcnt(0)
	v_mul_f64 v[106:107], v[0:1], v[83:84]
	v_mul_f64 v[83:84], v[2:3], v[83:84]
	s_waitcnt vmcnt(56)
	v_fma_f64 v[79:80], v[71:72], v[85:86], -v[79:80]
	ds_read_b128 v[96:99], v95 offset:624
	v_fma_f64 v[85:86], v[73:74], v[85:86], v[156:157]
	v_add_f64 v[100:101], v[100:101], v[104:105]
	v_add_f64 v[75:76], v[75:76], v[91:92]
	s_clause 0x4
	buffer_load_dword v92, off, s[0:3], 0 offset:348
	buffer_load_dword v104, off, s[0:3], 0 offset:360
	buffer_load_dword v151, off, s[0:3], 0 offset:352
	buffer_load_dword v91, off, s[0:3], 0 offset:344
	buffer_load_dword v156, off, s[0:3], 0 offset:324
	ds_read_b128 v[71:74], v95 offset:640
	s_waitcnt vmcnt(57) lgkmcnt(1)
	v_mul_f64 v[157:158], v[96:97], v[87:88]
	v_mul_f64 v[87:88], v[98:99], v[87:88]
	s_waitcnt vmcnt(56)
	v_fma_f64 v[83:84], v[0:1], v[77:78], -v[83:84]
	v_fma_f64 v[77:78], v[2:3], v[77:78], v[106:107]
	v_add_f64 v[79:80], v[100:101], v[79:80]
	v_add_f64 v[75:76], v[75:76], v[85:86]
	s_clause 0x2
	buffer_load_dword v105, off, s[0:3], 0 offset:364
	buffer_load_dword v86, off, s[0:3], 0 offset:340
	;; [unrolled: 1-line block ×3, first 2 shown]
	s_waitcnt vmcnt(58) lgkmcnt(0)
	v_mul_f64 v[100:101], v[71:72], v[93:94]
	v_mul_f64 v[93:94], v[73:74], v[93:94]
	s_waitcnt vmcnt(56)
	v_fma_f64 v[87:88], v[96:97], v[108:109], -v[87:88]
	ds_read_b128 v[0:3], v95 offset:656
	v_add_f64 v[79:80], v[79:80], v[83:84]
	v_fma_f64 v[83:84], v[98:99], v[108:109], v[157:158]
	v_add_f64 v[96:97], v[75:76], v[77:78]
	s_clause 0x4
	buffer_load_dword v99, off, s[0:3], 0 offset:380
	buffer_load_dword v106, off, s[0:3], 0 offset:392
	;; [unrolled: 1-line block ×5, first 2 shown]
	ds_read_b128 v[75:78], v95 offset:672
	s_waitcnt vmcnt(57) lgkmcnt(1)
	v_mul_f64 v[157:158], v[0:1], v[110:111]
	v_mul_f64 v[109:110], v[2:3], v[110:111]
	s_waitcnt vmcnt(56)
	v_fma_f64 v[93:94], v[71:72], v[81:82], -v[93:94]
	v_fma_f64 v[81:82], v[73:74], v[81:82], v[100:101]
	v_add_f64 v[79:80], v[79:80], v[87:88]
	s_clause 0x2
	buffer_load_dword v107, off, s[0:3], 0 offset:396
	buffer_load_dword v88, off, s[0:3], 0 offset:372
	;; [unrolled: 1-line block ×3, first 2 shown]
	v_add_f64 v[83:84], v[96:97], v[83:84]
	s_waitcnt vmcnt(58) lgkmcnt(0)
	v_mul_f64 v[100:101], v[77:78], v[112:113]
	ds_read_b128 v[71:74], v95 offset:688
	v_mul_f64 v[96:97], v[75:76], v[112:113]
	s_waitcnt vmcnt(56)
	v_fma_f64 v[110:111], v[0:1], v[114:115], -v[109:110]
	v_add_f64 v[79:80], v[79:80], v[93:94]
	v_fma_f64 v[93:94], v[2:3], v[114:115], v[157:158]
	v_add_f64 v[81:82], v[83:84], v[81:82]
	s_clause 0x4
	buffer_load_dword v84, off, s[0:3], 0 offset:412
	buffer_load_dword v112, off, s[0:3], 0 offset:424
	buffer_load_dword v114, off, s[0:3], 0 offset:416
	buffer_load_dword v83, off, s[0:3], 0 offset:408
	buffer_load_dword v109, off, s[0:3], 0 offset:388
	s_waitcnt vmcnt(57) lgkmcnt(0)
	v_mul_f64 v[157:158], v[71:72], v[116:117]
	v_mul_f64 v[115:116], v[73:74], v[116:117]
	s_waitcnt vmcnt(56)
	v_fma_f64 v[100:101], v[75:76], v[89:90], -v[100:101]
	ds_read_b128 v[0:3], v95 offset:704
	v_fma_f64 v[89:90], v[77:78], v[89:90], v[96:97]
	v_add_f64 v[79:80], v[79:80], v[110:111]
	v_add_f64 v[81:82], v[81:82], v[93:94]
	s_clause 0x2
	buffer_load_dword v113, off, s[0:3], 0 offset:428
	buffer_load_dword v94, off, s[0:3], 0 offset:404
	buffer_load_dword v93, off, s[0:3], 0 offset:400
	ds_read_b128 v[75:78], v95 offset:720
	s_waitcnt vmcnt(58) lgkmcnt(1)
	v_mul_f64 v[110:111], v[2:3], v[118:119]
	s_waitcnt vmcnt(56)
	v_fma_f64 v[116:117], v[71:72], v[122:123], -v[115:116]
	v_mul_f64 v[96:97], v[0:1], v[118:119]
	v_add_f64 v[79:80], v[79:80], v[100:101]
	v_fma_f64 v[100:101], v[73:74], v[122:123], v[157:158]
	v_add_f64 v[81:82], v[81:82], v[89:90]
	s_clause 0x4
	buffer_load_dword v90, off, s[0:3], 0 offset:444
	buffer_load_dword v118, off, s[0:3], 0 offset:456
	buffer_load_dword v122, off, s[0:3], 0 offset:448
	buffer_load_dword v89, off, s[0:3], 0 offset:440
	buffer_load_dword v115, off, s[0:3], 0 offset:420
	s_waitcnt vmcnt(57) lgkmcnt(0)
	v_mul_f64 v[157:158], v[75:76], v[124:125]
	v_mul_f64 v[123:124], v[77:78], v[124:125]
	s_waitcnt vmcnt(56)
	v_fma_f64 v[110:111], v[0:1], v[120:121], -v[110:111]
	ds_read_b128 v[71:74], v95 offset:736
	v_fma_f64 v[96:97], v[2:3], v[120:121], v[96:97]
	v_add_f64 v[79:80], v[79:80], v[116:117]
	v_add_f64 v[81:82], v[81:82], v[100:101]
	s_clause 0x2
	buffer_load_dword v119, off, s[0:3], 0 offset:460
	buffer_load_dword v101, off, s[0:3], 0 offset:436
	buffer_load_dword v100, off, s[0:3], 0 offset:432
	ds_read_b128 v[0:3], v95 offset:752
	s_waitcnt vmcnt(58) lgkmcnt(1)
	v_mul_f64 v[120:121], v[73:74], v[126:127]
	s_waitcnt vmcnt(56)
	v_fma_f64 v[124:125], v[75:76], v[130:131], -v[123:124]
	v_mul_f64 v[116:117], v[71:72], v[126:127]
	;; [unrolled: 28-line block ×4, first 2 shown]
	v_add_f64 v[79:80], v[79:80], v[128:129]
	v_fma_f64 v[128:129], v[73:74], v[149:150], v[157:158]
	v_add_f64 v[81:82], v[81:82], v[124:125]
	s_clause 0x2
	buffer_load_dword v125, off, s[0:3], 0 offset:540
	buffer_load_dword v124, off, s[0:3], 0 offset:536
	;; [unrolled: 1-line block ×3, first 2 shown]
	ds_read_b128 v[71:74], v95 offset:832
	s_waitcnt vmcnt(55) lgkmcnt(1)
	v_mul_f64 v[144:145], v[75:76], v[140:141]
	v_mul_f64 v[140:141], v[77:78], v[140:141]
	s_waitcnt vmcnt(54)
	v_fma_f64 v[136:137], v[0:1], v[146:147], -v[136:137]
	v_fma_f64 v[132:133], v[2:3], v[146:147], v[132:133]
	v_add_f64 v[79:80], v[79:80], v[142:143]
	v_add_f64 v[81:82], v[81:82], v[128:129]
	s_clause 0x1
	buffer_load_dword v129, off, s[0:3], 0 offset:532
	buffer_load_dword v128, off, s[0:3], 0 offset:528
	ds_read_b128 v[0:3], v95 offset:848
	s_waitcnt vmcnt(55) lgkmcnt(1)
	v_mul_f64 v[146:147], v[73:74], v[153:154]
	v_mul_f64 v[142:143], v[71:72], v[153:154]
	s_waitcnt vmcnt(53)
	v_fma_f64 v[140:141], v[75:76], v[102:103], -v[140:141]
	v_fma_f64 v[102:103], v[77:78], v[102:103], v[144:145]
	ds_read_b128 v[75:78], v95 offset:864
	v_add_f64 v[79:80], v[79:80], v[136:137]
	v_add_f64 v[81:82], v[81:82], v[132:133]
	s_waitcnt vmcnt(49) lgkmcnt(1)
	v_mul_f64 v[132:133], v[0:1], v[91:92]
	v_mul_f64 v[91:92], v[2:3], v[91:92]
	s_waitcnt vmcnt(48)
	v_fma_f64 v[136:137], v[71:72], v[155:156], -v[146:147]
	v_add_f64 v[79:80], v[79:80], v[140:141]
	v_fma_f64 v[140:141], v[73:74], v[155:156], v[142:143]
	v_add_f64 v[81:82], v[81:82], v[102:103]
	s_clause 0x3
	buffer_load_dword v102, off, s[0:3], 0 offset:16
	buffer_load_dword v103, off, s[0:3], 0 offset:20
	;; [unrolled: 1-line block ×4, first 2 shown]
	ds_read_b128 v[71:74], v95 offset:880
	s_waitcnt vmcnt(51) lgkmcnt(1)
	v_mul_f64 v[144:145], v[75:76], v[104:105]
	v_mul_f64 v[104:105], v[77:78], v[104:105]
	s_waitcnt vmcnt(49)
	v_fma_f64 v[91:92], v[0:1], v[85:86], -v[91:92]
	v_fma_f64 v[85:86], v[2:3], v[85:86], v[132:133]
	ds_read_b128 v[0:3], v95 offset:896
	v_add_f64 v[79:80], v[79:80], v[136:137]
	v_add_f64 v[81:82], v[81:82], v[140:141]
	s_waitcnt vmcnt(45) lgkmcnt(1)
	v_mul_f64 v[132:133], v[71:72], v[98:99]
	v_mul_f64 v[98:99], v[73:74], v[98:99]
	s_waitcnt vmcnt(44)
	v_fma_f64 v[104:105], v[75:76], v[151:152], -v[104:105]
	v_add_f64 v[79:80], v[79:80], v[91:92]
	v_fma_f64 v[91:92], v[77:78], v[151:152], v[144:145]
	v_add_f64 v[81:82], v[81:82], v[85:86]
	ds_read_b128 v[75:78], v95 offset:912
	s_waitcnt vmcnt(43) lgkmcnt(1)
	v_mul_f64 v[85:86], v[0:1], v[106:107]
	v_mul_f64 v[106:107], v[2:3], v[106:107]
	s_waitcnt vmcnt(41)
	v_fma_f64 v[98:99], v[71:72], v[87:88], -v[98:99]
	v_fma_f64 v[87:88], v[73:74], v[87:88], v[132:133]
	ds_read_b128 v[71:74], v95 offset:928
	v_add_f64 v[79:80], v[79:80], v[104:105]
	v_add_f64 v[81:82], v[81:82], v[91:92]
	s_waitcnt vmcnt(37) lgkmcnt(1)
	v_mul_f64 v[91:92], v[75:76], v[83:84]
	v_mul_f64 v[83:84], v[77:78], v[83:84]
	s_waitcnt vmcnt(36)
	v_fma_f64 v[104:105], v[0:1], v[108:109], -v[106:107]
	v_fma_f64 v[85:86], v[2:3], v[108:109], v[85:86]
	ds_read_b128 v[0:3], v95 offset:944
	v_add_f64 v[79:80], v[79:80], v[98:99]
	v_add_f64 v[81:82], v[81:82], v[87:88]
	;; [unrolled: 9-line block ×3, first 2 shown]
	s_waitcnt vmcnt(29) lgkmcnt(1)
	v_mul_f64 v[85:86], v[0:1], v[89:90]
	v_mul_f64 v[89:90], v[2:3], v[89:90]
	s_waitcnt vmcnt(28)
	v_fma_f64 v[93:94], v[71:72], v[114:115], -v[98:99]
	v_add_f64 v[79:80], v[79:80], v[83:84]
	v_fma_f64 v[83:84], v[73:74], v[114:115], v[87:88]
	v_add_f64 v[81:82], v[81:82], v[91:92]
	ds_read_b128 v[71:74], v95 offset:976
	s_waitcnt vmcnt(27) lgkmcnt(1)
	v_mul_f64 v[91:92], v[77:78], v[118:119]
	v_mul_f64 v[87:88], v[75:76], v[118:119]
	s_waitcnt vmcnt(25)
	v_fma_f64 v[89:90], v[0:1], v[100:101], -v[89:90]
	v_fma_f64 v[85:86], v[2:3], v[100:101], v[85:86]
	ds_read_b128 v[0:3], v95 offset:992
	v_add_f64 v[79:80], v[79:80], v[93:94]
	v_add_f64 v[81:82], v[81:82], v[83:84]
	s_waitcnt vmcnt(21) lgkmcnt(1)
	v_mul_f64 v[93:94], v[73:74], v[96:97]
	s_waitcnt vmcnt(20)
	v_fma_f64 v[91:92], v[75:76], v[122:123], -v[91:92]
	v_mul_f64 v[83:84], v[71:72], v[96:97]
	v_fma_f64 v[87:88], v[77:78], v[122:123], v[87:88]
	ds_read_b128 v[75:78], v95 offset:1008
	v_add_f64 v[79:80], v[79:80], v[89:90]
	v_add_f64 v[81:82], v[81:82], v[85:86]
	s_waitcnt vmcnt(19) lgkmcnt(1)
	v_mul_f64 v[89:90], v[2:3], v[126:127]
	v_mul_f64 v[85:86], v[0:1], v[126:127]
	s_waitcnt vmcnt(17)
	v_fma_f64 v[93:94], v[71:72], v[110:111], -v[93:94]
	v_fma_f64 v[83:84], v[73:74], v[110:111], v[83:84]
	ds_read_b128 v[71:74], v95 offset:1024
	v_add_f64 v[79:80], v[79:80], v[91:92]
	v_add_f64 v[81:82], v[81:82], v[87:88]
	s_waitcnt vmcnt(13) lgkmcnt(1)
	v_mul_f64 v[91:92], v[77:78], v[116:117]
	s_waitcnt vmcnt(12)
	v_fma_f64 v[89:90], v[0:1], v[130:131], -v[89:90]
	v_mul_f64 v[87:88], v[75:76], v[116:117]
	v_fma_f64 v[85:86], v[2:3], v[130:131], v[85:86]
	ds_read_b128 v[0:3], v95 offset:1040
	v_add_f64 v[79:80], v[79:80], v[93:94]
	v_add_f64 v[81:82], v[81:82], v[83:84]
	s_waitcnt vmcnt(11) lgkmcnt(1)
	v_mul_f64 v[93:94], v[73:74], v[134:135]
	v_mul_f64 v[83:84], v[71:72], v[134:135]
	s_waitcnt vmcnt(9)
	v_fma_f64 v[75:76], v[75:76], v[120:121], -v[91:92]
	v_fma_f64 v[77:78], v[77:78], v[120:121], v[87:88]
	v_add_f64 v[79:80], v[79:80], v[89:90]
	v_add_f64 v[81:82], v[81:82], v[85:86]
	s_waitcnt vmcnt(7) lgkmcnt(0)
	v_mul_f64 v[87:88], v[2:3], v[124:125]
	s_waitcnt vmcnt(6)
	v_fma_f64 v[71:72], v[71:72], v[138:139], -v[93:94]
	v_mul_f64 v[85:86], v[0:1], v[124:125]
	v_fma_f64 v[73:74], v[73:74], v[138:139], v[83:84]
	v_add_f64 v[75:76], v[79:80], v[75:76]
	v_add_f64 v[77:78], v[81:82], v[77:78]
	s_waitcnt vmcnt(4)
	v_fma_f64 v[0:1], v[0:1], v[128:129], -v[87:88]
	v_fma_f64 v[2:3], v[2:3], v[128:129], v[85:86]
	v_add_f64 v[71:72], v[75:76], v[71:72]
	v_add_f64 v[73:74], v[77:78], v[73:74]
	;; [unrolled: 1-line block ×4, first 2 shown]
	s_waitcnt vmcnt(2)
	v_add_f64 v[0:1], v[102:103], -v[0:1]
	s_waitcnt vmcnt(0)
	v_add_f64 v[2:3], v[142:143], -v[2:3]
	buffer_store_dword v1, off, s[0:3], 0 offset:20
	buffer_store_dword v0, off, s[0:3], 0 offset:16
	;; [unrolled: 1-line block ×4, first 2 shown]
	s_cbranch_vccz .LBB96_276
; %bb.212:
	v_mov_b32_e32 v0, 0
	global_load_dword v1, v0, s[12:13] offset:124
	s_waitcnt vmcnt(0)
	v_add_nc_u32_e32 v1, -1, v1
	v_cmp_ne_u32_e32 vcc_lo, 31, v1
	s_cbranch_vccz .LBB96_214
; %bb.213:
	v_lshlrev_b32_e32 v1, 4, v1
	v_mov_b32_e32 v2, s9
	v_add_nc_u32_e32 v1, 16, v1
	s_clause 0x7
	buffer_load_dword v3, v1, s[0:3], 0 offen
	buffer_load_dword v4, v1, s[0:3], 0 offen offset:4
	buffer_load_dword v71, v1, s[0:3], 0 offen offset:8
	;; [unrolled: 1-line block ×6, first 2 shown]
	buffer_load_dword v76, v2, s[0:3], 0 offen
	s_waitcnt vmcnt(7)
	buffer_store_dword v3, v2, s[0:3], 0 offen
	s_waitcnt vmcnt(6)
	buffer_store_dword v4, v2, s[0:3], 0 offen offset:4
	s_waitcnt vmcnt(5)
	buffer_store_dword v71, v2, s[0:3], 0 offen offset:8
	;; [unrolled: 2-line block ×6, first 2 shown]
	s_waitcnt vmcnt(0)
	buffer_store_dword v76, v1, s[0:3], 0 offen
.LBB96_214:
	global_load_dword v0, v0, s[12:13] offset:120
	s_waitcnt vmcnt(0)
	v_add_nc_u32_e32 v0, -1, v0
	v_cmp_eq_u32_e32 vcc_lo, 30, v0
	s_cbranch_vccnz .LBB96_216
; %bb.215:
	v_lshlrev_b32_e32 v0, 4, v0
	v_mov_b32_e32 v1, s14
	v_add_nc_u32_e32 v0, 16, v0
	s_clause 0x7
	buffer_load_dword v2, v0, s[0:3], 0 offen
	buffer_load_dword v3, v0, s[0:3], 0 offen offset:4
	buffer_load_dword v4, v0, s[0:3], 0 offen offset:8
	;; [unrolled: 1-line block ×6, first 2 shown]
	buffer_load_dword v75, v1, s[0:3], 0 offen
	s_waitcnt vmcnt(7)
	buffer_store_dword v2, v1, s[0:3], 0 offen
	s_waitcnt vmcnt(6)
	buffer_store_dword v3, v1, s[0:3], 0 offen offset:4
	s_waitcnt vmcnt(5)
	buffer_store_dword v4, v1, s[0:3], 0 offen offset:8
	s_waitcnt vmcnt(4)
	buffer_store_dword v71, v1, s[0:3], 0 offen offset:12
	s_waitcnt vmcnt(3)
	buffer_store_dword v72, v0, s[0:3], 0 offen offset:12
	s_waitcnt vmcnt(2)
	buffer_store_dword v73, v0, s[0:3], 0 offen offset:8
	s_waitcnt vmcnt(1)
	buffer_store_dword v74, v0, s[0:3], 0 offen offset:4
	s_waitcnt vmcnt(0)
	buffer_store_dword v75, v0, s[0:3], 0 offen
.LBB96_216:
	v_mov_b32_e32 v0, 0
	global_load_dword v1, v0, s[12:13] offset:116
	s_waitcnt vmcnt(0)
	v_add_nc_u32_e32 v1, -1, v1
	v_cmp_eq_u32_e32 vcc_lo, 29, v1
	s_cbranch_vccnz .LBB96_218
; %bb.217:
	v_lshlrev_b32_e32 v1, 4, v1
	v_mov_b32_e32 v2, s15
	v_add_nc_u32_e32 v1, 16, v1
	s_clause 0x7
	buffer_load_dword v3, v1, s[0:3], 0 offen
	buffer_load_dword v4, v1, s[0:3], 0 offen offset:4
	buffer_load_dword v71, v1, s[0:3], 0 offen offset:8
	;; [unrolled: 1-line block ×6, first 2 shown]
	buffer_load_dword v76, v2, s[0:3], 0 offen
	s_waitcnt vmcnt(7)
	buffer_store_dword v3, v2, s[0:3], 0 offen
	s_waitcnt vmcnt(6)
	buffer_store_dword v4, v2, s[0:3], 0 offen offset:4
	s_waitcnt vmcnt(5)
	buffer_store_dword v71, v2, s[0:3], 0 offen offset:8
	;; [unrolled: 2-line block ×6, first 2 shown]
	s_waitcnt vmcnt(0)
	buffer_store_dword v76, v1, s[0:3], 0 offen
.LBB96_218:
	global_load_dword v0, v0, s[12:13] offset:112
	s_waitcnt vmcnt(0)
	v_add_nc_u32_e32 v0, -1, v0
	v_cmp_eq_u32_e32 vcc_lo, 28, v0
	s_cbranch_vccnz .LBB96_220
; %bb.219:
	v_lshlrev_b32_e32 v0, 4, v0
	v_mov_b32_e32 v1, s16
	v_add_nc_u32_e32 v0, 16, v0
	s_clause 0x7
	buffer_load_dword v2, v0, s[0:3], 0 offen
	buffer_load_dword v3, v0, s[0:3], 0 offen offset:4
	buffer_load_dword v4, v0, s[0:3], 0 offen offset:8
	buffer_load_dword v71, v0, s[0:3], 0 offen offset:12
	buffer_load_dword v72, v1, s[0:3], 0 offen offset:12
	buffer_load_dword v73, v1, s[0:3], 0 offen offset:8
	buffer_load_dword v74, v1, s[0:3], 0 offen offset:4
	buffer_load_dword v75, v1, s[0:3], 0 offen
	s_waitcnt vmcnt(7)
	buffer_store_dword v2, v1, s[0:3], 0 offen
	s_waitcnt vmcnt(6)
	buffer_store_dword v3, v1, s[0:3], 0 offen offset:4
	s_waitcnt vmcnt(5)
	buffer_store_dword v4, v1, s[0:3], 0 offen offset:8
	;; [unrolled: 2-line block ×6, first 2 shown]
	s_waitcnt vmcnt(0)
	buffer_store_dword v75, v0, s[0:3], 0 offen
.LBB96_220:
	v_mov_b32_e32 v0, 0
	global_load_dword v1, v0, s[12:13] offset:108
	s_waitcnt vmcnt(0)
	v_add_nc_u32_e32 v1, -1, v1
	v_cmp_eq_u32_e32 vcc_lo, 27, v1
	s_cbranch_vccnz .LBB96_222
; %bb.221:
	v_lshlrev_b32_e32 v1, 4, v1
	v_mov_b32_e32 v2, s17
	v_add_nc_u32_e32 v1, 16, v1
	s_clause 0x7
	buffer_load_dword v3, v1, s[0:3], 0 offen
	buffer_load_dword v4, v1, s[0:3], 0 offen offset:4
	buffer_load_dword v71, v1, s[0:3], 0 offen offset:8
	;; [unrolled: 1-line block ×6, first 2 shown]
	buffer_load_dword v76, v2, s[0:3], 0 offen
	s_waitcnt vmcnt(7)
	buffer_store_dword v3, v2, s[0:3], 0 offen
	s_waitcnt vmcnt(6)
	buffer_store_dword v4, v2, s[0:3], 0 offen offset:4
	s_waitcnt vmcnt(5)
	buffer_store_dword v71, v2, s[0:3], 0 offen offset:8
	;; [unrolled: 2-line block ×6, first 2 shown]
	s_waitcnt vmcnt(0)
	buffer_store_dword v76, v1, s[0:3], 0 offen
.LBB96_222:
	global_load_dword v0, v0, s[12:13] offset:104
	s_waitcnt vmcnt(0)
	v_add_nc_u32_e32 v0, -1, v0
	v_cmp_eq_u32_e32 vcc_lo, 26, v0
	s_cbranch_vccnz .LBB96_224
; %bb.223:
	v_lshlrev_b32_e32 v0, 4, v0
	v_mov_b32_e32 v1, s18
	v_add_nc_u32_e32 v0, 16, v0
	s_clause 0x7
	buffer_load_dword v2, v0, s[0:3], 0 offen
	buffer_load_dword v3, v0, s[0:3], 0 offen offset:4
	buffer_load_dword v4, v0, s[0:3], 0 offen offset:8
	;; [unrolled: 1-line block ×6, first 2 shown]
	buffer_load_dword v75, v1, s[0:3], 0 offen
	s_waitcnt vmcnt(7)
	buffer_store_dword v2, v1, s[0:3], 0 offen
	s_waitcnt vmcnt(6)
	buffer_store_dword v3, v1, s[0:3], 0 offen offset:4
	s_waitcnt vmcnt(5)
	buffer_store_dword v4, v1, s[0:3], 0 offen offset:8
	;; [unrolled: 2-line block ×6, first 2 shown]
	s_waitcnt vmcnt(0)
	buffer_store_dword v75, v0, s[0:3], 0 offen
.LBB96_224:
	v_mov_b32_e32 v0, 0
	global_load_dword v1, v0, s[12:13] offset:100
	s_waitcnt vmcnt(0)
	v_add_nc_u32_e32 v1, -1, v1
	v_cmp_eq_u32_e32 vcc_lo, 25, v1
	s_cbranch_vccnz .LBB96_226
; %bb.225:
	v_lshlrev_b32_e32 v1, 4, v1
	v_mov_b32_e32 v2, s19
	v_add_nc_u32_e32 v1, 16, v1
	s_clause 0x7
	buffer_load_dword v3, v1, s[0:3], 0 offen
	buffer_load_dword v4, v1, s[0:3], 0 offen offset:4
	buffer_load_dword v71, v1, s[0:3], 0 offen offset:8
	;; [unrolled: 1-line block ×6, first 2 shown]
	buffer_load_dword v76, v2, s[0:3], 0 offen
	s_waitcnt vmcnt(7)
	buffer_store_dword v3, v2, s[0:3], 0 offen
	s_waitcnt vmcnt(6)
	buffer_store_dword v4, v2, s[0:3], 0 offen offset:4
	s_waitcnt vmcnt(5)
	buffer_store_dword v71, v2, s[0:3], 0 offen offset:8
	;; [unrolled: 2-line block ×6, first 2 shown]
	s_waitcnt vmcnt(0)
	buffer_store_dword v76, v1, s[0:3], 0 offen
.LBB96_226:
	global_load_dword v0, v0, s[12:13] offset:96
	s_waitcnt vmcnt(0)
	v_add_nc_u32_e32 v0, -1, v0
	v_cmp_eq_u32_e32 vcc_lo, 24, v0
	s_cbranch_vccnz .LBB96_228
; %bb.227:
	v_lshlrev_b32_e32 v0, 4, v0
	v_mov_b32_e32 v1, s20
	v_add_nc_u32_e32 v0, 16, v0
	s_clause 0x7
	buffer_load_dword v2, v0, s[0:3], 0 offen
	buffer_load_dword v3, v0, s[0:3], 0 offen offset:4
	buffer_load_dword v4, v0, s[0:3], 0 offen offset:8
	;; [unrolled: 1-line block ×6, first 2 shown]
	buffer_load_dword v75, v1, s[0:3], 0 offen
	s_waitcnt vmcnt(7)
	buffer_store_dword v2, v1, s[0:3], 0 offen
	s_waitcnt vmcnt(6)
	buffer_store_dword v3, v1, s[0:3], 0 offen offset:4
	s_waitcnt vmcnt(5)
	buffer_store_dword v4, v1, s[0:3], 0 offen offset:8
	;; [unrolled: 2-line block ×6, first 2 shown]
	s_waitcnt vmcnt(0)
	buffer_store_dword v75, v0, s[0:3], 0 offen
.LBB96_228:
	v_mov_b32_e32 v0, 0
	global_load_dword v1, v0, s[12:13] offset:92
	s_waitcnt vmcnt(0)
	v_add_nc_u32_e32 v1, -1, v1
	v_cmp_eq_u32_e32 vcc_lo, 23, v1
	s_cbranch_vccnz .LBB96_230
; %bb.229:
	v_lshlrev_b32_e32 v1, 4, v1
	v_mov_b32_e32 v2, s21
	v_add_nc_u32_e32 v1, 16, v1
	s_clause 0x7
	buffer_load_dword v3, v1, s[0:3], 0 offen
	buffer_load_dword v4, v1, s[0:3], 0 offen offset:4
	buffer_load_dword v71, v1, s[0:3], 0 offen offset:8
	;; [unrolled: 1-line block ×6, first 2 shown]
	buffer_load_dword v76, v2, s[0:3], 0 offen
	s_waitcnt vmcnt(7)
	buffer_store_dword v3, v2, s[0:3], 0 offen
	s_waitcnt vmcnt(6)
	buffer_store_dword v4, v2, s[0:3], 0 offen offset:4
	s_waitcnt vmcnt(5)
	buffer_store_dword v71, v2, s[0:3], 0 offen offset:8
	s_waitcnt vmcnt(4)
	buffer_store_dword v72, v2, s[0:3], 0 offen offset:12
	s_waitcnt vmcnt(3)
	buffer_store_dword v73, v1, s[0:3], 0 offen offset:12
	s_waitcnt vmcnt(2)
	buffer_store_dword v74, v1, s[0:3], 0 offen offset:8
	s_waitcnt vmcnt(1)
	buffer_store_dword v75, v1, s[0:3], 0 offen offset:4
	s_waitcnt vmcnt(0)
	buffer_store_dword v76, v1, s[0:3], 0 offen
.LBB96_230:
	global_load_dword v0, v0, s[12:13] offset:88
	s_waitcnt vmcnt(0)
	v_add_nc_u32_e32 v0, -1, v0
	v_cmp_eq_u32_e32 vcc_lo, 22, v0
	s_cbranch_vccnz .LBB96_232
; %bb.231:
	v_lshlrev_b32_e32 v0, 4, v0
	v_mov_b32_e32 v1, s22
	v_add_nc_u32_e32 v0, 16, v0
	s_clause 0x7
	buffer_load_dword v2, v0, s[0:3], 0 offen
	buffer_load_dword v3, v0, s[0:3], 0 offen offset:4
	buffer_load_dword v4, v0, s[0:3], 0 offen offset:8
	;; [unrolled: 1-line block ×6, first 2 shown]
	buffer_load_dword v75, v1, s[0:3], 0 offen
	s_waitcnt vmcnt(7)
	buffer_store_dword v2, v1, s[0:3], 0 offen
	s_waitcnt vmcnt(6)
	buffer_store_dword v3, v1, s[0:3], 0 offen offset:4
	s_waitcnt vmcnt(5)
	buffer_store_dword v4, v1, s[0:3], 0 offen offset:8
	;; [unrolled: 2-line block ×6, first 2 shown]
	s_waitcnt vmcnt(0)
	buffer_store_dword v75, v0, s[0:3], 0 offen
.LBB96_232:
	v_mov_b32_e32 v0, 0
	global_load_dword v1, v0, s[12:13] offset:84
	s_waitcnt vmcnt(0)
	v_add_nc_u32_e32 v1, -1, v1
	v_cmp_eq_u32_e32 vcc_lo, 21, v1
	s_cbranch_vccnz .LBB96_234
; %bb.233:
	v_lshlrev_b32_e32 v1, 4, v1
	v_mov_b32_e32 v2, s23
	v_add_nc_u32_e32 v1, 16, v1
	s_clause 0x7
	buffer_load_dword v3, v1, s[0:3], 0 offen
	buffer_load_dword v4, v1, s[0:3], 0 offen offset:4
	buffer_load_dword v71, v1, s[0:3], 0 offen offset:8
	;; [unrolled: 1-line block ×6, first 2 shown]
	buffer_load_dword v76, v2, s[0:3], 0 offen
	s_waitcnt vmcnt(7)
	buffer_store_dword v3, v2, s[0:3], 0 offen
	s_waitcnt vmcnt(6)
	buffer_store_dword v4, v2, s[0:3], 0 offen offset:4
	s_waitcnt vmcnt(5)
	buffer_store_dword v71, v2, s[0:3], 0 offen offset:8
	s_waitcnt vmcnt(4)
	buffer_store_dword v72, v2, s[0:3], 0 offen offset:12
	s_waitcnt vmcnt(3)
	buffer_store_dword v73, v1, s[0:3], 0 offen offset:12
	s_waitcnt vmcnt(2)
	buffer_store_dword v74, v1, s[0:3], 0 offen offset:8
	s_waitcnt vmcnt(1)
	buffer_store_dword v75, v1, s[0:3], 0 offen offset:4
	s_waitcnt vmcnt(0)
	buffer_store_dword v76, v1, s[0:3], 0 offen
.LBB96_234:
	global_load_dword v0, v0, s[12:13] offset:80
	s_waitcnt vmcnt(0)
	v_add_nc_u32_e32 v0, -1, v0
	v_cmp_eq_u32_e32 vcc_lo, 20, v0
	s_cbranch_vccnz .LBB96_236
; %bb.235:
	v_lshlrev_b32_e32 v0, 4, v0
	v_mov_b32_e32 v1, s24
	v_add_nc_u32_e32 v0, 16, v0
	s_clause 0x7
	buffer_load_dword v2, v0, s[0:3], 0 offen
	buffer_load_dword v3, v0, s[0:3], 0 offen offset:4
	buffer_load_dword v4, v0, s[0:3], 0 offen offset:8
	;; [unrolled: 1-line block ×6, first 2 shown]
	buffer_load_dword v75, v1, s[0:3], 0 offen
	s_waitcnt vmcnt(7)
	buffer_store_dword v2, v1, s[0:3], 0 offen
	s_waitcnt vmcnt(6)
	buffer_store_dword v3, v1, s[0:3], 0 offen offset:4
	s_waitcnt vmcnt(5)
	buffer_store_dword v4, v1, s[0:3], 0 offen offset:8
	;; [unrolled: 2-line block ×6, first 2 shown]
	s_waitcnt vmcnt(0)
	buffer_store_dword v75, v0, s[0:3], 0 offen
.LBB96_236:
	v_mov_b32_e32 v0, 0
	global_load_dword v1, v0, s[12:13] offset:76
	s_waitcnt vmcnt(0)
	v_add_nc_u32_e32 v1, -1, v1
	v_cmp_eq_u32_e32 vcc_lo, 19, v1
	s_cbranch_vccnz .LBB96_238
; %bb.237:
	v_lshlrev_b32_e32 v1, 4, v1
	v_mov_b32_e32 v2, s25
	v_add_nc_u32_e32 v1, 16, v1
	s_clause 0x7
	buffer_load_dword v3, v1, s[0:3], 0 offen
	buffer_load_dword v4, v1, s[0:3], 0 offen offset:4
	buffer_load_dword v71, v1, s[0:3], 0 offen offset:8
	;; [unrolled: 1-line block ×6, first 2 shown]
	buffer_load_dword v76, v2, s[0:3], 0 offen
	s_waitcnt vmcnt(7)
	buffer_store_dword v3, v2, s[0:3], 0 offen
	s_waitcnt vmcnt(6)
	buffer_store_dword v4, v2, s[0:3], 0 offen offset:4
	s_waitcnt vmcnt(5)
	buffer_store_dword v71, v2, s[0:3], 0 offen offset:8
	;; [unrolled: 2-line block ×6, first 2 shown]
	s_waitcnt vmcnt(0)
	buffer_store_dword v76, v1, s[0:3], 0 offen
.LBB96_238:
	global_load_dword v0, v0, s[12:13] offset:72
	s_waitcnt vmcnt(0)
	v_add_nc_u32_e32 v0, -1, v0
	v_cmp_eq_u32_e32 vcc_lo, 18, v0
	s_cbranch_vccnz .LBB96_240
; %bb.239:
	v_lshlrev_b32_e32 v0, 4, v0
	v_mov_b32_e32 v1, s26
	v_add_nc_u32_e32 v0, 16, v0
	s_clause 0x7
	buffer_load_dword v2, v0, s[0:3], 0 offen
	buffer_load_dword v3, v0, s[0:3], 0 offen offset:4
	buffer_load_dword v4, v0, s[0:3], 0 offen offset:8
	;; [unrolled: 1-line block ×6, first 2 shown]
	buffer_load_dword v75, v1, s[0:3], 0 offen
	s_waitcnt vmcnt(7)
	buffer_store_dword v2, v1, s[0:3], 0 offen
	s_waitcnt vmcnt(6)
	buffer_store_dword v3, v1, s[0:3], 0 offen offset:4
	s_waitcnt vmcnt(5)
	buffer_store_dword v4, v1, s[0:3], 0 offen offset:8
	;; [unrolled: 2-line block ×6, first 2 shown]
	s_waitcnt vmcnt(0)
	buffer_store_dword v75, v0, s[0:3], 0 offen
.LBB96_240:
	v_mov_b32_e32 v0, 0
	global_load_dword v1, v0, s[12:13] offset:68
	s_waitcnt vmcnt(0)
	v_add_nc_u32_e32 v1, -1, v1
	v_cmp_eq_u32_e32 vcc_lo, 17, v1
	s_cbranch_vccnz .LBB96_242
; %bb.241:
	v_lshlrev_b32_e32 v1, 4, v1
	v_mov_b32_e32 v2, s27
	v_add_nc_u32_e32 v1, 16, v1
	s_clause 0x7
	buffer_load_dword v3, v1, s[0:3], 0 offen
	buffer_load_dword v4, v1, s[0:3], 0 offen offset:4
	buffer_load_dword v71, v1, s[0:3], 0 offen offset:8
	;; [unrolled: 1-line block ×6, first 2 shown]
	buffer_load_dword v76, v2, s[0:3], 0 offen
	s_waitcnt vmcnt(7)
	buffer_store_dword v3, v2, s[0:3], 0 offen
	s_waitcnt vmcnt(6)
	buffer_store_dword v4, v2, s[0:3], 0 offen offset:4
	s_waitcnt vmcnt(5)
	buffer_store_dword v71, v2, s[0:3], 0 offen offset:8
	;; [unrolled: 2-line block ×6, first 2 shown]
	s_waitcnt vmcnt(0)
	buffer_store_dword v76, v1, s[0:3], 0 offen
.LBB96_242:
	global_load_dword v0, v0, s[12:13] offset:64
	s_waitcnt vmcnt(0)
	v_add_nc_u32_e32 v0, -1, v0
	v_cmp_eq_u32_e32 vcc_lo, 16, v0
	s_cbranch_vccnz .LBB96_244
; %bb.243:
	v_lshlrev_b32_e32 v0, 4, v0
	v_mov_b32_e32 v1, s28
	v_add_nc_u32_e32 v0, 16, v0
	s_clause 0x7
	buffer_load_dword v2, v0, s[0:3], 0 offen
	buffer_load_dword v3, v0, s[0:3], 0 offen offset:4
	buffer_load_dword v4, v0, s[0:3], 0 offen offset:8
	;; [unrolled: 1-line block ×6, first 2 shown]
	buffer_load_dword v75, v1, s[0:3], 0 offen
	s_waitcnt vmcnt(7)
	buffer_store_dword v2, v1, s[0:3], 0 offen
	s_waitcnt vmcnt(6)
	buffer_store_dword v3, v1, s[0:3], 0 offen offset:4
	s_waitcnt vmcnt(5)
	buffer_store_dword v4, v1, s[0:3], 0 offen offset:8
	;; [unrolled: 2-line block ×6, first 2 shown]
	s_waitcnt vmcnt(0)
	buffer_store_dword v75, v0, s[0:3], 0 offen
.LBB96_244:
	v_mov_b32_e32 v0, 0
	global_load_dword v1, v0, s[12:13] offset:60
	s_waitcnt vmcnt(0)
	v_add_nc_u32_e32 v1, -1, v1
	v_cmp_eq_u32_e32 vcc_lo, 15, v1
	s_cbranch_vccnz .LBB96_246
; %bb.245:
	v_lshlrev_b32_e32 v1, 4, v1
	v_mov_b32_e32 v2, s29
	v_add_nc_u32_e32 v1, 16, v1
	s_clause 0x7
	buffer_load_dword v3, v1, s[0:3], 0 offen
	buffer_load_dword v4, v1, s[0:3], 0 offen offset:4
	buffer_load_dword v71, v1, s[0:3], 0 offen offset:8
	;; [unrolled: 1-line block ×6, first 2 shown]
	buffer_load_dword v76, v2, s[0:3], 0 offen
	s_waitcnt vmcnt(7)
	buffer_store_dword v3, v2, s[0:3], 0 offen
	s_waitcnt vmcnt(6)
	buffer_store_dword v4, v2, s[0:3], 0 offen offset:4
	s_waitcnt vmcnt(5)
	buffer_store_dword v71, v2, s[0:3], 0 offen offset:8
	;; [unrolled: 2-line block ×6, first 2 shown]
	s_waitcnt vmcnt(0)
	buffer_store_dword v76, v1, s[0:3], 0 offen
.LBB96_246:
	global_load_dword v0, v0, s[12:13] offset:56
	s_waitcnt vmcnt(0)
	v_add_nc_u32_e32 v0, -1, v0
	v_cmp_eq_u32_e32 vcc_lo, 14, v0
	s_cbranch_vccnz .LBB96_248
; %bb.247:
	v_lshlrev_b32_e32 v0, 4, v0
	v_mov_b32_e32 v1, s30
	v_add_nc_u32_e32 v0, 16, v0
	s_clause 0x7
	buffer_load_dword v2, v0, s[0:3], 0 offen
	buffer_load_dword v3, v0, s[0:3], 0 offen offset:4
	buffer_load_dword v4, v0, s[0:3], 0 offen offset:8
	;; [unrolled: 1-line block ×6, first 2 shown]
	buffer_load_dword v75, v1, s[0:3], 0 offen
	s_waitcnt vmcnt(7)
	buffer_store_dword v2, v1, s[0:3], 0 offen
	s_waitcnt vmcnt(6)
	buffer_store_dword v3, v1, s[0:3], 0 offen offset:4
	s_waitcnt vmcnt(5)
	buffer_store_dword v4, v1, s[0:3], 0 offen offset:8
	s_waitcnt vmcnt(4)
	buffer_store_dword v71, v1, s[0:3], 0 offen offset:12
	s_waitcnt vmcnt(3)
	buffer_store_dword v72, v0, s[0:3], 0 offen offset:12
	s_waitcnt vmcnt(2)
	buffer_store_dword v73, v0, s[0:3], 0 offen offset:8
	s_waitcnt vmcnt(1)
	buffer_store_dword v74, v0, s[0:3], 0 offen offset:4
	s_waitcnt vmcnt(0)
	buffer_store_dword v75, v0, s[0:3], 0 offen
.LBB96_248:
	v_mov_b32_e32 v0, 0
	global_load_dword v1, v0, s[12:13] offset:52
	s_waitcnt vmcnt(0)
	v_add_nc_u32_e32 v1, -1, v1
	v_cmp_eq_u32_e32 vcc_lo, 13, v1
	s_cbranch_vccnz .LBB96_250
; %bb.249:
	v_lshlrev_b32_e32 v1, 4, v1
	v_mov_b32_e32 v2, s31
	v_add_nc_u32_e32 v1, 16, v1
	s_clause 0x7
	buffer_load_dword v3, v1, s[0:3], 0 offen
	buffer_load_dword v4, v1, s[0:3], 0 offen offset:4
	buffer_load_dword v71, v1, s[0:3], 0 offen offset:8
	;; [unrolled: 1-line block ×6, first 2 shown]
	buffer_load_dword v76, v2, s[0:3], 0 offen
	s_waitcnt vmcnt(7)
	buffer_store_dword v3, v2, s[0:3], 0 offen
	s_waitcnt vmcnt(6)
	buffer_store_dword v4, v2, s[0:3], 0 offen offset:4
	s_waitcnt vmcnt(5)
	buffer_store_dword v71, v2, s[0:3], 0 offen offset:8
	;; [unrolled: 2-line block ×6, first 2 shown]
	s_waitcnt vmcnt(0)
	buffer_store_dword v76, v1, s[0:3], 0 offen
.LBB96_250:
	global_load_dword v0, v0, s[12:13] offset:48
	s_waitcnt vmcnt(0)
	v_add_nc_u32_e32 v0, -1, v0
	v_cmp_eq_u32_e32 vcc_lo, 12, v0
	s_cbranch_vccnz .LBB96_252
; %bb.251:
	v_lshlrev_b32_e32 v0, 4, v0
	v_mov_b32_e32 v1, s33
	v_add_nc_u32_e32 v0, 16, v0
	s_clause 0x7
	buffer_load_dword v2, v0, s[0:3], 0 offen
	buffer_load_dword v3, v0, s[0:3], 0 offen offset:4
	buffer_load_dword v4, v0, s[0:3], 0 offen offset:8
	;; [unrolled: 1-line block ×6, first 2 shown]
	buffer_load_dword v75, v1, s[0:3], 0 offen
	s_waitcnt vmcnt(7)
	buffer_store_dword v2, v1, s[0:3], 0 offen
	s_waitcnt vmcnt(6)
	buffer_store_dword v3, v1, s[0:3], 0 offen offset:4
	s_waitcnt vmcnt(5)
	buffer_store_dword v4, v1, s[0:3], 0 offen offset:8
	;; [unrolled: 2-line block ×6, first 2 shown]
	s_waitcnt vmcnt(0)
	buffer_store_dword v75, v0, s[0:3], 0 offen
.LBB96_252:
	v_mov_b32_e32 v0, 0
	global_load_dword v1, v0, s[12:13] offset:44
	s_waitcnt vmcnt(0)
	v_add_nc_u32_e32 v1, -1, v1
	v_cmp_eq_u32_e32 vcc_lo, 11, v1
	s_cbranch_vccnz .LBB96_254
; %bb.253:
	v_lshlrev_b32_e32 v1, 4, v1
	v_mov_b32_e32 v2, s34
	v_add_nc_u32_e32 v1, 16, v1
	s_clause 0x7
	buffer_load_dword v3, v1, s[0:3], 0 offen
	buffer_load_dword v4, v1, s[0:3], 0 offen offset:4
	buffer_load_dword v71, v1, s[0:3], 0 offen offset:8
	;; [unrolled: 1-line block ×6, first 2 shown]
	buffer_load_dword v76, v2, s[0:3], 0 offen
	s_waitcnt vmcnt(7)
	buffer_store_dword v3, v2, s[0:3], 0 offen
	s_waitcnt vmcnt(6)
	buffer_store_dword v4, v2, s[0:3], 0 offen offset:4
	s_waitcnt vmcnt(5)
	buffer_store_dword v71, v2, s[0:3], 0 offen offset:8
	;; [unrolled: 2-line block ×6, first 2 shown]
	s_waitcnt vmcnt(0)
	buffer_store_dword v76, v1, s[0:3], 0 offen
.LBB96_254:
	global_load_dword v0, v0, s[12:13] offset:40
	s_waitcnt vmcnt(0)
	v_add_nc_u32_e32 v0, -1, v0
	v_cmp_eq_u32_e32 vcc_lo, 10, v0
	s_cbranch_vccnz .LBB96_256
; %bb.255:
	v_lshlrev_b32_e32 v0, 4, v0
	v_mov_b32_e32 v1, s35
	v_add_nc_u32_e32 v0, 16, v0
	s_clause 0x7
	buffer_load_dword v2, v0, s[0:3], 0 offen
	buffer_load_dword v3, v0, s[0:3], 0 offen offset:4
	buffer_load_dword v4, v0, s[0:3], 0 offen offset:8
	;; [unrolled: 1-line block ×6, first 2 shown]
	buffer_load_dword v75, v1, s[0:3], 0 offen
	s_waitcnt vmcnt(7)
	buffer_store_dword v2, v1, s[0:3], 0 offen
	s_waitcnt vmcnt(6)
	buffer_store_dword v3, v1, s[0:3], 0 offen offset:4
	s_waitcnt vmcnt(5)
	buffer_store_dword v4, v1, s[0:3], 0 offen offset:8
	;; [unrolled: 2-line block ×6, first 2 shown]
	s_waitcnt vmcnt(0)
	buffer_store_dword v75, v0, s[0:3], 0 offen
.LBB96_256:
	v_mov_b32_e32 v0, 0
	global_load_dword v1, v0, s[12:13] offset:36
	s_waitcnt vmcnt(0)
	v_add_nc_u32_e32 v1, -1, v1
	v_cmp_eq_u32_e32 vcc_lo, 9, v1
	s_cbranch_vccnz .LBB96_258
; %bb.257:
	v_lshlrev_b32_e32 v1, 4, v1
	v_mov_b32_e32 v2, s36
	v_add_nc_u32_e32 v1, 16, v1
	s_clause 0x7
	buffer_load_dword v3, v1, s[0:3], 0 offen
	buffer_load_dword v4, v1, s[0:3], 0 offen offset:4
	buffer_load_dword v71, v1, s[0:3], 0 offen offset:8
	buffer_load_dword v72, v1, s[0:3], 0 offen offset:12
	buffer_load_dword v73, v2, s[0:3], 0 offen offset:12
	buffer_load_dword v74, v2, s[0:3], 0 offen offset:8
	buffer_load_dword v75, v2, s[0:3], 0 offen offset:4
	buffer_load_dword v76, v2, s[0:3], 0 offen
	s_waitcnt vmcnt(7)
	buffer_store_dword v3, v2, s[0:3], 0 offen
	s_waitcnt vmcnt(6)
	buffer_store_dword v4, v2, s[0:3], 0 offen offset:4
	s_waitcnt vmcnt(5)
	buffer_store_dword v71, v2, s[0:3], 0 offen offset:8
	;; [unrolled: 2-line block ×6, first 2 shown]
	s_waitcnt vmcnt(0)
	buffer_store_dword v76, v1, s[0:3], 0 offen
.LBB96_258:
	global_load_dword v0, v0, s[12:13] offset:32
	s_waitcnt vmcnt(0)
	v_add_nc_u32_e32 v0, -1, v0
	v_cmp_eq_u32_e32 vcc_lo, 8, v0
	s_cbranch_vccnz .LBB96_260
; %bb.259:
	v_lshlrev_b32_e32 v0, 4, v0
	v_mov_b32_e32 v1, s37
	v_add_nc_u32_e32 v0, 16, v0
	s_clause 0x7
	buffer_load_dword v2, v0, s[0:3], 0 offen
	buffer_load_dword v3, v0, s[0:3], 0 offen offset:4
	buffer_load_dword v4, v0, s[0:3], 0 offen offset:8
	;; [unrolled: 1-line block ×6, first 2 shown]
	buffer_load_dword v75, v1, s[0:3], 0 offen
	s_waitcnt vmcnt(7)
	buffer_store_dword v2, v1, s[0:3], 0 offen
	s_waitcnt vmcnt(6)
	buffer_store_dword v3, v1, s[0:3], 0 offen offset:4
	s_waitcnt vmcnt(5)
	buffer_store_dword v4, v1, s[0:3], 0 offen offset:8
	;; [unrolled: 2-line block ×6, first 2 shown]
	s_waitcnt vmcnt(0)
	buffer_store_dword v75, v0, s[0:3], 0 offen
.LBB96_260:
	v_mov_b32_e32 v0, 0
	global_load_dword v1, v0, s[12:13] offset:28
	s_waitcnt vmcnt(0)
	v_add_nc_u32_e32 v1, -1, v1
	v_cmp_eq_u32_e32 vcc_lo, 7, v1
	s_cbranch_vccnz .LBB96_262
; %bb.261:
	v_lshlrev_b32_e32 v1, 4, v1
	v_mov_b32_e32 v2, s38
	v_add_nc_u32_e32 v1, 16, v1
	s_clause 0x7
	buffer_load_dword v3, v1, s[0:3], 0 offen
	buffer_load_dword v4, v1, s[0:3], 0 offen offset:4
	buffer_load_dword v71, v1, s[0:3], 0 offen offset:8
	;; [unrolled: 1-line block ×6, first 2 shown]
	buffer_load_dword v76, v2, s[0:3], 0 offen
	s_waitcnt vmcnt(7)
	buffer_store_dword v3, v2, s[0:3], 0 offen
	s_waitcnt vmcnt(6)
	buffer_store_dword v4, v2, s[0:3], 0 offen offset:4
	s_waitcnt vmcnt(5)
	buffer_store_dword v71, v2, s[0:3], 0 offen offset:8
	;; [unrolled: 2-line block ×6, first 2 shown]
	s_waitcnt vmcnt(0)
	buffer_store_dword v76, v1, s[0:3], 0 offen
.LBB96_262:
	global_load_dword v0, v0, s[12:13] offset:24
	s_waitcnt vmcnt(0)
	v_add_nc_u32_e32 v0, -1, v0
	v_cmp_eq_u32_e32 vcc_lo, 6, v0
	s_cbranch_vccnz .LBB96_264
; %bb.263:
	v_lshlrev_b32_e32 v0, 4, v0
	v_mov_b32_e32 v1, s39
	v_add_nc_u32_e32 v0, 16, v0
	s_clause 0x7
	buffer_load_dword v2, v0, s[0:3], 0 offen
	buffer_load_dword v3, v0, s[0:3], 0 offen offset:4
	buffer_load_dword v4, v0, s[0:3], 0 offen offset:8
	buffer_load_dword v71, v0, s[0:3], 0 offen offset:12
	buffer_load_dword v72, v1, s[0:3], 0 offen offset:12
	buffer_load_dword v73, v1, s[0:3], 0 offen offset:8
	buffer_load_dword v74, v1, s[0:3], 0 offen offset:4
	buffer_load_dword v75, v1, s[0:3], 0 offen
	s_waitcnt vmcnt(7)
	buffer_store_dword v2, v1, s[0:3], 0 offen
	s_waitcnt vmcnt(6)
	buffer_store_dword v3, v1, s[0:3], 0 offen offset:4
	s_waitcnt vmcnt(5)
	buffer_store_dword v4, v1, s[0:3], 0 offen offset:8
	;; [unrolled: 2-line block ×6, first 2 shown]
	s_waitcnt vmcnt(0)
	buffer_store_dword v75, v0, s[0:3], 0 offen
.LBB96_264:
	v_mov_b32_e32 v0, 0
	global_load_dword v1, v0, s[12:13] offset:20
	s_waitcnt vmcnt(0)
	v_add_nc_u32_e32 v1, -1, v1
	v_cmp_eq_u32_e32 vcc_lo, 5, v1
	s_cbranch_vccnz .LBB96_266
; %bb.265:
	v_lshlrev_b32_e32 v1, 4, v1
	v_mov_b32_e32 v2, s40
	v_add_nc_u32_e32 v1, 16, v1
	s_clause 0x7
	buffer_load_dword v3, v1, s[0:3], 0 offen
	buffer_load_dword v4, v1, s[0:3], 0 offen offset:4
	buffer_load_dword v71, v1, s[0:3], 0 offen offset:8
	;; [unrolled: 1-line block ×6, first 2 shown]
	buffer_load_dword v76, v2, s[0:3], 0 offen
	s_waitcnt vmcnt(7)
	buffer_store_dword v3, v2, s[0:3], 0 offen
	s_waitcnt vmcnt(6)
	buffer_store_dword v4, v2, s[0:3], 0 offen offset:4
	s_waitcnt vmcnt(5)
	buffer_store_dword v71, v2, s[0:3], 0 offen offset:8
	;; [unrolled: 2-line block ×6, first 2 shown]
	s_waitcnt vmcnt(0)
	buffer_store_dword v76, v1, s[0:3], 0 offen
.LBB96_266:
	global_load_dword v0, v0, s[12:13] offset:16
	s_waitcnt vmcnt(0)
	v_add_nc_u32_e32 v0, -1, v0
	v_cmp_eq_u32_e32 vcc_lo, 4, v0
	s_cbranch_vccnz .LBB96_268
; %bb.267:
	v_lshlrev_b32_e32 v0, 4, v0
	v_mov_b32_e32 v1, s41
	v_add_nc_u32_e32 v0, 16, v0
	s_clause 0x7
	buffer_load_dword v2, v0, s[0:3], 0 offen
	buffer_load_dword v3, v0, s[0:3], 0 offen offset:4
	buffer_load_dword v4, v0, s[0:3], 0 offen offset:8
	;; [unrolled: 1-line block ×6, first 2 shown]
	buffer_load_dword v75, v1, s[0:3], 0 offen
	s_waitcnt vmcnt(7)
	buffer_store_dword v2, v1, s[0:3], 0 offen
	s_waitcnt vmcnt(6)
	buffer_store_dword v3, v1, s[0:3], 0 offen offset:4
	s_waitcnt vmcnt(5)
	buffer_store_dword v4, v1, s[0:3], 0 offen offset:8
	;; [unrolled: 2-line block ×6, first 2 shown]
	s_waitcnt vmcnt(0)
	buffer_store_dword v75, v0, s[0:3], 0 offen
.LBB96_268:
	v_mov_b32_e32 v0, 0
	global_load_dword v1, v0, s[12:13] offset:12
	s_waitcnt vmcnt(0)
	v_add_nc_u32_e32 v1, -1, v1
	v_cmp_eq_u32_e32 vcc_lo, 3, v1
	s_cbranch_vccnz .LBB96_270
; %bb.269:
	v_lshlrev_b32_e32 v1, 4, v1
	v_mov_b32_e32 v2, s42
	v_add_nc_u32_e32 v1, 16, v1
	s_clause 0x7
	buffer_load_dword v3, v1, s[0:3], 0 offen
	buffer_load_dword v4, v1, s[0:3], 0 offen offset:4
	buffer_load_dword v71, v1, s[0:3], 0 offen offset:8
	;; [unrolled: 1-line block ×6, first 2 shown]
	buffer_load_dword v76, v2, s[0:3], 0 offen
	s_waitcnt vmcnt(7)
	buffer_store_dword v3, v2, s[0:3], 0 offen
	s_waitcnt vmcnt(6)
	buffer_store_dword v4, v2, s[0:3], 0 offen offset:4
	s_waitcnt vmcnt(5)
	buffer_store_dword v71, v2, s[0:3], 0 offen offset:8
	;; [unrolled: 2-line block ×6, first 2 shown]
	s_waitcnt vmcnt(0)
	buffer_store_dword v76, v1, s[0:3], 0 offen
.LBB96_270:
	global_load_dword v0, v0, s[12:13] offset:8
	s_waitcnt vmcnt(0)
	v_add_nc_u32_e32 v0, -1, v0
	v_cmp_eq_u32_e32 vcc_lo, 2, v0
	s_cbranch_vccnz .LBB96_272
; %bb.271:
	v_lshlrev_b32_e32 v0, 4, v0
	v_mov_b32_e32 v1, s43
	v_add_nc_u32_e32 v0, 16, v0
	s_clause 0x7
	buffer_load_dword v2, v0, s[0:3], 0 offen
	buffer_load_dword v3, v0, s[0:3], 0 offen offset:4
	buffer_load_dword v4, v0, s[0:3], 0 offen offset:8
	;; [unrolled: 1-line block ×6, first 2 shown]
	buffer_load_dword v75, v1, s[0:3], 0 offen
	s_waitcnt vmcnt(7)
	buffer_store_dword v2, v1, s[0:3], 0 offen
	s_waitcnt vmcnt(6)
	buffer_store_dword v3, v1, s[0:3], 0 offen offset:4
	s_waitcnt vmcnt(5)
	buffer_store_dword v4, v1, s[0:3], 0 offen offset:8
	;; [unrolled: 2-line block ×6, first 2 shown]
	s_waitcnt vmcnt(0)
	buffer_store_dword v75, v0, s[0:3], 0 offen
.LBB96_272:
	v_mov_b32_e32 v0, 0
	global_load_dword v1, v0, s[12:13] offset:4
	s_waitcnt vmcnt(0)
	v_add_nc_u32_e32 v1, -1, v1
	v_cmp_eq_u32_e32 vcc_lo, 1, v1
	s_cbranch_vccnz .LBB96_274
; %bb.273:
	v_lshlrev_b32_e32 v1, 4, v1
	v_mov_b32_e32 v2, s44
	v_add_nc_u32_e32 v1, 16, v1
	s_clause 0x7
	buffer_load_dword v3, v1, s[0:3], 0 offen
	buffer_load_dword v4, v1, s[0:3], 0 offen offset:4
	buffer_load_dword v71, v1, s[0:3], 0 offen offset:8
	buffer_load_dword v72, v1, s[0:3], 0 offen offset:12
	buffer_load_dword v73, v2, s[0:3], 0 offen offset:12
	buffer_load_dword v74, v2, s[0:3], 0 offen offset:8
	buffer_load_dword v75, v2, s[0:3], 0 offen offset:4
	buffer_load_dword v76, v2, s[0:3], 0 offen
	s_waitcnt vmcnt(7)
	buffer_store_dword v3, v2, s[0:3], 0 offen
	s_waitcnt vmcnt(6)
	buffer_store_dword v4, v2, s[0:3], 0 offen offset:4
	s_waitcnt vmcnt(5)
	buffer_store_dword v71, v2, s[0:3], 0 offen offset:8
	s_waitcnt vmcnt(4)
	buffer_store_dword v72, v2, s[0:3], 0 offen offset:12
	s_waitcnt vmcnt(3)
	buffer_store_dword v73, v1, s[0:3], 0 offen offset:12
	s_waitcnt vmcnt(2)
	buffer_store_dword v74, v1, s[0:3], 0 offen offset:8
	s_waitcnt vmcnt(1)
	buffer_store_dword v75, v1, s[0:3], 0 offen offset:4
	s_waitcnt vmcnt(0)
	buffer_store_dword v76, v1, s[0:3], 0 offen
.LBB96_274:
	global_load_dword v0, v0, s[12:13]
	s_waitcnt vmcnt(0)
	v_add_nc_u32_e32 v0, -1, v0
	v_cmp_eq_u32_e32 vcc_lo, 0, v0
	s_cbranch_vccnz .LBB96_276
; %bb.275:
	v_lshlrev_b32_e32 v0, 4, v0
	v_add_nc_u32_e32 v0, 16, v0
	s_clause 0x7
	buffer_load_dword v1, v0, s[0:3], 0 offen
	buffer_load_dword v2, v0, s[0:3], 0 offen offset:4
	buffer_load_dword v3, v0, s[0:3], 0 offen offset:8
	;; [unrolled: 1-line block ×3, first 2 shown]
	buffer_load_dword v71, off, s[0:3], 0 offset:28
	buffer_load_dword v72, off, s[0:3], 0 offset:24
	;; [unrolled: 1-line block ×4, first 2 shown]
	s_waitcnt vmcnt(7)
	buffer_store_dword v1, off, s[0:3], 0 offset:16
	s_waitcnt vmcnt(6)
	buffer_store_dword v2, off, s[0:3], 0 offset:20
	;; [unrolled: 2-line block ×4, first 2 shown]
	s_waitcnt vmcnt(3)
	buffer_store_dword v71, v0, s[0:3], 0 offen offset:12
	s_waitcnt vmcnt(2)
	buffer_store_dword v72, v0, s[0:3], 0 offen offset:8
	;; [unrolled: 2-line block ×3, first 2 shown]
	s_waitcnt vmcnt(0)
	buffer_store_dword v74, v0, s[0:3], 0 offen
.LBB96_276:
	s_clause 0x3
	buffer_load_dword v0, off, s[0:3], 0 offset:16
	buffer_load_dword v1, off, s[0:3], 0 offset:20
	;; [unrolled: 1-line block ×4, first 2 shown]
	v_mov_b32_e32 v4, s44
	s_waitcnt vmcnt(0)
	flat_store_dwordx4 v[5:6], v[0:3]
	s_clause 0x3
	buffer_load_dword v0, v4, s[0:3], 0 offen
	buffer_load_dword v1, v4, s[0:3], 0 offen offset:4
	buffer_load_dword v2, v4, s[0:3], 0 offen offset:8
	buffer_load_dword v3, v4, s[0:3], 0 offen offset:12
	v_mov_b32_e32 v4, s43
	s_waitcnt vmcnt(0)
	flat_store_dwordx4 v[59:60], v[0:3]
	s_clause 0x3
	buffer_load_dword v0, v4, s[0:3], 0 offen
	buffer_load_dword v1, v4, s[0:3], 0 offen offset:4
	buffer_load_dword v2, v4, s[0:3], 0 offen offset:8
	buffer_load_dword v3, v4, s[0:3], 0 offen offset:12
	v_mov_b32_e32 v4, s42
	s_waitcnt vmcnt(0)
	flat_store_dwordx4 v[57:58], v[0:3]
	s_clause 0x3
	buffer_load_dword v0, v4, s[0:3], 0 offen
	buffer_load_dword v1, v4, s[0:3], 0 offen offset:4
	buffer_load_dword v2, v4, s[0:3], 0 offen offset:8
	buffer_load_dword v3, v4, s[0:3], 0 offen offset:12
	v_mov_b32_e32 v4, s41
	s_waitcnt vmcnt(0)
	flat_store_dwordx4 v[53:54], v[0:3]
	s_clause 0x3
	buffer_load_dword v0, v4, s[0:3], 0 offen
	buffer_load_dword v1, v4, s[0:3], 0 offen offset:4
	buffer_load_dword v2, v4, s[0:3], 0 offen offset:8
	buffer_load_dword v3, v4, s[0:3], 0 offen offset:12
	v_mov_b32_e32 v4, s40
	s_waitcnt vmcnt(0)
	flat_store_dwordx4 v[51:52], v[0:3]
	s_clause 0x3
	buffer_load_dword v0, v4, s[0:3], 0 offen
	buffer_load_dword v1, v4, s[0:3], 0 offen offset:4
	buffer_load_dword v2, v4, s[0:3], 0 offen offset:8
	buffer_load_dword v3, v4, s[0:3], 0 offen offset:12
	v_mov_b32_e32 v4, s39
	s_waitcnt vmcnt(0)
	flat_store_dwordx4 v[49:50], v[0:3]
	s_clause 0x3
	buffer_load_dword v0, v4, s[0:3], 0 offen
	buffer_load_dword v1, v4, s[0:3], 0 offen offset:4
	buffer_load_dword v2, v4, s[0:3], 0 offen offset:8
	buffer_load_dword v3, v4, s[0:3], 0 offen offset:12
	v_mov_b32_e32 v4, s38
	s_waitcnt vmcnt(0)
	flat_store_dwordx4 v[47:48], v[0:3]
	s_clause 0x3
	buffer_load_dword v0, v4, s[0:3], 0 offen
	buffer_load_dword v1, v4, s[0:3], 0 offen offset:4
	buffer_load_dword v2, v4, s[0:3], 0 offen offset:8
	buffer_load_dword v3, v4, s[0:3], 0 offen offset:12
	v_mov_b32_e32 v4, s37
	s_waitcnt vmcnt(0)
	flat_store_dwordx4 v[45:46], v[0:3]
	s_clause 0x3
	buffer_load_dword v0, v4, s[0:3], 0 offen
	buffer_load_dword v1, v4, s[0:3], 0 offen offset:4
	buffer_load_dword v2, v4, s[0:3], 0 offen offset:8
	buffer_load_dword v3, v4, s[0:3], 0 offen offset:12
	v_mov_b32_e32 v4, s36
	s_waitcnt vmcnt(0)
	flat_store_dwordx4 v[43:44], v[0:3]
	s_clause 0x3
	buffer_load_dword v0, v4, s[0:3], 0 offen
	buffer_load_dword v1, v4, s[0:3], 0 offen offset:4
	buffer_load_dword v2, v4, s[0:3], 0 offen offset:8
	buffer_load_dword v3, v4, s[0:3], 0 offen offset:12
	v_mov_b32_e32 v4, s35
	s_waitcnt vmcnt(0)
	flat_store_dwordx4 v[41:42], v[0:3]
	s_clause 0x3
	buffer_load_dword v0, v4, s[0:3], 0 offen
	buffer_load_dword v1, v4, s[0:3], 0 offen offset:4
	buffer_load_dword v2, v4, s[0:3], 0 offen offset:8
	buffer_load_dword v3, v4, s[0:3], 0 offen offset:12
	v_mov_b32_e32 v4, s34
	s_waitcnt vmcnt(0)
	flat_store_dwordx4 v[39:40], v[0:3]
	s_clause 0x3
	buffer_load_dword v0, v4, s[0:3], 0 offen
	buffer_load_dword v1, v4, s[0:3], 0 offen offset:4
	buffer_load_dword v2, v4, s[0:3], 0 offen offset:8
	buffer_load_dword v3, v4, s[0:3], 0 offen offset:12
	v_mov_b32_e32 v4, s33
	s_waitcnt vmcnt(0)
	flat_store_dwordx4 v[37:38], v[0:3]
	s_clause 0x3
	buffer_load_dword v0, v4, s[0:3], 0 offen
	buffer_load_dword v1, v4, s[0:3], 0 offen offset:4
	buffer_load_dword v2, v4, s[0:3], 0 offen offset:8
	buffer_load_dword v3, v4, s[0:3], 0 offen offset:12
	v_mov_b32_e32 v4, s31
	s_waitcnt vmcnt(0)
	flat_store_dwordx4 v[33:34], v[0:3]
	s_clause 0x3
	buffer_load_dword v0, v4, s[0:3], 0 offen
	buffer_load_dword v1, v4, s[0:3], 0 offen offset:4
	buffer_load_dword v2, v4, s[0:3], 0 offen offset:8
	buffer_load_dword v3, v4, s[0:3], 0 offen offset:12
	v_mov_b32_e32 v4, s30
	s_waitcnt vmcnt(0)
	flat_store_dwordx4 v[31:32], v[0:3]
	s_clause 0x3
	buffer_load_dword v0, v4, s[0:3], 0 offen
	buffer_load_dword v1, v4, s[0:3], 0 offen offset:4
	buffer_load_dword v2, v4, s[0:3], 0 offen offset:8
	buffer_load_dword v3, v4, s[0:3], 0 offen offset:12
	v_mov_b32_e32 v4, s29
	s_waitcnt vmcnt(0)
	flat_store_dwordx4 v[29:30], v[0:3]
	s_clause 0x3
	buffer_load_dword v0, v4, s[0:3], 0 offen
	buffer_load_dword v1, v4, s[0:3], 0 offen offset:4
	buffer_load_dword v2, v4, s[0:3], 0 offen offset:8
	buffer_load_dword v3, v4, s[0:3], 0 offen offset:12
	v_mov_b32_e32 v4, s28
	s_waitcnt vmcnt(0)
	flat_store_dwordx4 v[27:28], v[0:3]
	s_clause 0x3
	buffer_load_dword v0, v4, s[0:3], 0 offen
	buffer_load_dword v1, v4, s[0:3], 0 offen offset:4
	buffer_load_dword v2, v4, s[0:3], 0 offen offset:8
	buffer_load_dword v3, v4, s[0:3], 0 offen offset:12
	v_mov_b32_e32 v4, s27
	s_waitcnt vmcnt(0)
	flat_store_dwordx4 v[25:26], v[0:3]
	s_clause 0x3
	buffer_load_dword v0, v4, s[0:3], 0 offen
	buffer_load_dword v1, v4, s[0:3], 0 offen offset:4
	buffer_load_dword v2, v4, s[0:3], 0 offen offset:8
	buffer_load_dword v3, v4, s[0:3], 0 offen offset:12
	v_mov_b32_e32 v4, s26
	s_waitcnt vmcnt(0)
	flat_store_dwordx4 v[23:24], v[0:3]
	s_clause 0x3
	buffer_load_dword v0, v4, s[0:3], 0 offen
	buffer_load_dword v1, v4, s[0:3], 0 offen offset:4
	buffer_load_dword v2, v4, s[0:3], 0 offen offset:8
	buffer_load_dword v3, v4, s[0:3], 0 offen offset:12
	v_mov_b32_e32 v4, s25
	s_waitcnt vmcnt(0)
	flat_store_dwordx4 v[21:22], v[0:3]
	s_clause 0x3
	buffer_load_dword v0, v4, s[0:3], 0 offen
	buffer_load_dword v1, v4, s[0:3], 0 offen offset:4
	buffer_load_dword v2, v4, s[0:3], 0 offen offset:8
	buffer_load_dword v3, v4, s[0:3], 0 offen offset:12
	v_mov_b32_e32 v4, s24
	s_waitcnt vmcnt(0)
	flat_store_dwordx4 v[19:20], v[0:3]
	s_clause 0x3
	buffer_load_dword v0, v4, s[0:3], 0 offen
	buffer_load_dword v1, v4, s[0:3], 0 offen offset:4
	buffer_load_dword v2, v4, s[0:3], 0 offen offset:8
	buffer_load_dword v3, v4, s[0:3], 0 offen offset:12
	v_mov_b32_e32 v4, s23
	s_waitcnt vmcnt(0)
	flat_store_dwordx4 v[17:18], v[0:3]
	s_clause 0x3
	buffer_load_dword v0, v4, s[0:3], 0 offen
	buffer_load_dword v1, v4, s[0:3], 0 offen offset:4
	buffer_load_dword v2, v4, s[0:3], 0 offen offset:8
	buffer_load_dword v3, v4, s[0:3], 0 offen offset:12
	v_mov_b32_e32 v4, s22
	s_waitcnt vmcnt(0)
	flat_store_dwordx4 v[15:16], v[0:3]
	s_clause 0x3
	buffer_load_dword v0, v4, s[0:3], 0 offen
	buffer_load_dword v1, v4, s[0:3], 0 offen offset:4
	buffer_load_dword v2, v4, s[0:3], 0 offen offset:8
	buffer_load_dword v3, v4, s[0:3], 0 offen offset:12
	v_mov_b32_e32 v4, s21
	s_waitcnt vmcnt(0)
	flat_store_dwordx4 v[13:14], v[0:3]
	s_clause 0x3
	buffer_load_dword v0, v4, s[0:3], 0 offen
	buffer_load_dword v1, v4, s[0:3], 0 offen offset:4
	buffer_load_dword v2, v4, s[0:3], 0 offen offset:8
	buffer_load_dword v3, v4, s[0:3], 0 offen offset:12
	v_mov_b32_e32 v4, s20
	s_waitcnt vmcnt(0)
	flat_store_dwordx4 v[11:12], v[0:3]
	s_clause 0x3
	buffer_load_dword v0, v4, s[0:3], 0 offen
	buffer_load_dword v1, v4, s[0:3], 0 offen offset:4
	buffer_load_dword v2, v4, s[0:3], 0 offen offset:8
	buffer_load_dword v3, v4, s[0:3], 0 offen offset:12
	v_mov_b32_e32 v4, s19
	s_waitcnt vmcnt(0)
	flat_store_dwordx4 v[9:10], v[0:3]
	s_clause 0x3
	buffer_load_dword v0, v4, s[0:3], 0 offen
	buffer_load_dword v1, v4, s[0:3], 0 offen offset:4
	buffer_load_dword v2, v4, s[0:3], 0 offen offset:8
	buffer_load_dword v3, v4, s[0:3], 0 offen offset:12
	v_mov_b32_e32 v4, s18
	s_waitcnt vmcnt(0)
	flat_store_dwordx4 v[7:8], v[0:3]
	s_clause 0x3
	buffer_load_dword v0, v4, s[0:3], 0 offen
	buffer_load_dword v1, v4, s[0:3], 0 offen offset:4
	buffer_load_dword v2, v4, s[0:3], 0 offen offset:8
	buffer_load_dword v3, v4, s[0:3], 0 offen offset:12
	v_mov_b32_e32 v4, s17
	s_waitcnt vmcnt(0)
	flat_store_dwordx4 v[35:36], v[0:3]
	s_clause 0x3
	buffer_load_dword v0, v4, s[0:3], 0 offen
	buffer_load_dword v1, v4, s[0:3], 0 offen offset:4
	buffer_load_dword v2, v4, s[0:3], 0 offen offset:8
	buffer_load_dword v3, v4, s[0:3], 0 offen offset:12
	v_mov_b32_e32 v4, s16
	s_waitcnt vmcnt(0)
	flat_store_dwordx4 v[55:56], v[0:3]
	s_clause 0x3
	buffer_load_dword v0, v4, s[0:3], 0 offen
	buffer_load_dword v1, v4, s[0:3], 0 offen offset:4
	buffer_load_dword v2, v4, s[0:3], 0 offen offset:8
	buffer_load_dword v3, v4, s[0:3], 0 offen offset:12
	v_mov_b32_e32 v4, s15
	s_waitcnt vmcnt(0)
	flat_store_dwordx4 v[61:62], v[0:3]
	s_clause 0x3
	buffer_load_dword v0, v4, s[0:3], 0 offen
	buffer_load_dword v1, v4, s[0:3], 0 offen offset:4
	buffer_load_dword v2, v4, s[0:3], 0 offen offset:8
	buffer_load_dword v3, v4, s[0:3], 0 offen offset:12
	v_mov_b32_e32 v4, s14
	s_waitcnt vmcnt(0)
	flat_store_dwordx4 v[63:64], v[0:3]
	s_clause 0x3
	buffer_load_dword v0, v4, s[0:3], 0 offen
	buffer_load_dword v1, v4, s[0:3], 0 offen offset:4
	buffer_load_dword v2, v4, s[0:3], 0 offen offset:8
	buffer_load_dword v3, v4, s[0:3], 0 offen offset:12
	v_mov_b32_e32 v4, s9
	s_waitcnt vmcnt(0)
	flat_store_dwordx4 v[65:66], v[0:3]
	s_clause 0x3
	buffer_load_dword v0, v4, s[0:3], 0 offen
	buffer_load_dword v1, v4, s[0:3], 0 offen offset:4
	buffer_load_dword v2, v4, s[0:3], 0 offen offset:8
	buffer_load_dword v3, v4, s[0:3], 0 offen offset:12
	v_mov_b32_e32 v4, s8
	s_waitcnt vmcnt(0)
	flat_store_dwordx4 v[67:68], v[0:3]
	s_clause 0x3
	buffer_load_dword v0, v4, s[0:3], 0 offen
	buffer_load_dword v1, v4, s[0:3], 0 offen offset:4
	buffer_load_dword v2, v4, s[0:3], 0 offen offset:8
	buffer_load_dword v3, v4, s[0:3], 0 offen offset:12
	s_waitcnt vmcnt(0)
	flat_store_dwordx4 v[69:70], v[0:3]
	s_endpgm
	.section	.rodata,"a",@progbits
	.p2align	6, 0x0
	.amdhsa_kernel _ZN9rocsolver6v33100L18getri_kernel_smallILi33E19rocblas_complex_numIdEPKPS3_EEvT1_iilPiilS8_bb
		.amdhsa_group_segment_fixed_size 1064
		.amdhsa_private_segment_fixed_size 560
		.amdhsa_kernarg_size 60
		.amdhsa_user_sgpr_count 6
		.amdhsa_user_sgpr_private_segment_buffer 1
		.amdhsa_user_sgpr_dispatch_ptr 0
		.amdhsa_user_sgpr_queue_ptr 0
		.amdhsa_user_sgpr_kernarg_segment_ptr 1
		.amdhsa_user_sgpr_dispatch_id 0
		.amdhsa_user_sgpr_flat_scratch_init 0
		.amdhsa_user_sgpr_private_segment_size 0
		.amdhsa_wavefront_size32 1
		.amdhsa_uses_dynamic_stack 0
		.amdhsa_system_sgpr_private_segment_wavefront_offset 1
		.amdhsa_system_sgpr_workgroup_id_x 1
		.amdhsa_system_sgpr_workgroup_id_y 0
		.amdhsa_system_sgpr_workgroup_id_z 0
		.amdhsa_system_sgpr_workgroup_info 0
		.amdhsa_system_vgpr_workitem_id 0
		.amdhsa_next_free_vgpr 161
		.amdhsa_next_free_sgpr 60
		.amdhsa_reserve_vcc 1
		.amdhsa_reserve_flat_scratch 0
		.amdhsa_float_round_mode_32 0
		.amdhsa_float_round_mode_16_64 0
		.amdhsa_float_denorm_mode_32 3
		.amdhsa_float_denorm_mode_16_64 3
		.amdhsa_dx10_clamp 1
		.amdhsa_ieee_mode 1
		.amdhsa_fp16_overflow 0
		.amdhsa_workgroup_processor_mode 1
		.amdhsa_memory_ordered 1
		.amdhsa_forward_progress 1
		.amdhsa_shared_vgpr_count 0
		.amdhsa_exception_fp_ieee_invalid_op 0
		.amdhsa_exception_fp_denorm_src 0
		.amdhsa_exception_fp_ieee_div_zero 0
		.amdhsa_exception_fp_ieee_overflow 0
		.amdhsa_exception_fp_ieee_underflow 0
		.amdhsa_exception_fp_ieee_inexact 0
		.amdhsa_exception_int_div_zero 0
	.end_amdhsa_kernel
	.section	.text._ZN9rocsolver6v33100L18getri_kernel_smallILi33E19rocblas_complex_numIdEPKPS3_EEvT1_iilPiilS8_bb,"axG",@progbits,_ZN9rocsolver6v33100L18getri_kernel_smallILi33E19rocblas_complex_numIdEPKPS3_EEvT1_iilPiilS8_bb,comdat
.Lfunc_end96:
	.size	_ZN9rocsolver6v33100L18getri_kernel_smallILi33E19rocblas_complex_numIdEPKPS3_EEvT1_iilPiilS8_bb, .Lfunc_end96-_ZN9rocsolver6v33100L18getri_kernel_smallILi33E19rocblas_complex_numIdEPKPS3_EEvT1_iilPiilS8_bb
                                        ; -- End function
	.set _ZN9rocsolver6v33100L18getri_kernel_smallILi33E19rocblas_complex_numIdEPKPS3_EEvT1_iilPiilS8_bb.num_vgpr, 161
	.set _ZN9rocsolver6v33100L18getri_kernel_smallILi33E19rocblas_complex_numIdEPKPS3_EEvT1_iilPiilS8_bb.num_agpr, 0
	.set _ZN9rocsolver6v33100L18getri_kernel_smallILi33E19rocblas_complex_numIdEPKPS3_EEvT1_iilPiilS8_bb.numbered_sgpr, 60
	.set _ZN9rocsolver6v33100L18getri_kernel_smallILi33E19rocblas_complex_numIdEPKPS3_EEvT1_iilPiilS8_bb.num_named_barrier, 0
	.set _ZN9rocsolver6v33100L18getri_kernel_smallILi33E19rocblas_complex_numIdEPKPS3_EEvT1_iilPiilS8_bb.private_seg_size, 560
	.set _ZN9rocsolver6v33100L18getri_kernel_smallILi33E19rocblas_complex_numIdEPKPS3_EEvT1_iilPiilS8_bb.uses_vcc, 1
	.set _ZN9rocsolver6v33100L18getri_kernel_smallILi33E19rocblas_complex_numIdEPKPS3_EEvT1_iilPiilS8_bb.uses_flat_scratch, 0
	.set _ZN9rocsolver6v33100L18getri_kernel_smallILi33E19rocblas_complex_numIdEPKPS3_EEvT1_iilPiilS8_bb.has_dyn_sized_stack, 0
	.set _ZN9rocsolver6v33100L18getri_kernel_smallILi33E19rocblas_complex_numIdEPKPS3_EEvT1_iilPiilS8_bb.has_recursion, 0
	.set _ZN9rocsolver6v33100L18getri_kernel_smallILi33E19rocblas_complex_numIdEPKPS3_EEvT1_iilPiilS8_bb.has_indirect_call, 0
	.section	.AMDGPU.csdata,"",@progbits
; Kernel info:
; codeLenInByte = 82556
; TotalNumSgprs: 62
; NumVgprs: 161
; ScratchSize: 560
; MemoryBound: 0
; FloatMode: 240
; IeeeMode: 1
; LDSByteSize: 1064 bytes/workgroup (compile time only)
; SGPRBlocks: 0
; VGPRBlocks: 20
; NumSGPRsForWavesPerEU: 62
; NumVGPRsForWavesPerEU: 161
; Occupancy: 5
; WaveLimiterHint : 1
; COMPUTE_PGM_RSRC2:SCRATCH_EN: 1
; COMPUTE_PGM_RSRC2:USER_SGPR: 6
; COMPUTE_PGM_RSRC2:TRAP_HANDLER: 0
; COMPUTE_PGM_RSRC2:TGID_X_EN: 1
; COMPUTE_PGM_RSRC2:TGID_Y_EN: 0
; COMPUTE_PGM_RSRC2:TGID_Z_EN: 0
; COMPUTE_PGM_RSRC2:TIDIG_COMP_CNT: 0
	.section	.text._ZN9rocsolver6v33100L18getri_kernel_smallILi34E19rocblas_complex_numIdEPKPS3_EEvT1_iilPiilS8_bb,"axG",@progbits,_ZN9rocsolver6v33100L18getri_kernel_smallILi34E19rocblas_complex_numIdEPKPS3_EEvT1_iilPiilS8_bb,comdat
	.globl	_ZN9rocsolver6v33100L18getri_kernel_smallILi34E19rocblas_complex_numIdEPKPS3_EEvT1_iilPiilS8_bb ; -- Begin function _ZN9rocsolver6v33100L18getri_kernel_smallILi34E19rocblas_complex_numIdEPKPS3_EEvT1_iilPiilS8_bb
	.p2align	8
	.type	_ZN9rocsolver6v33100L18getri_kernel_smallILi34E19rocblas_complex_numIdEPKPS3_EEvT1_iilPiilS8_bb,@function
_ZN9rocsolver6v33100L18getri_kernel_smallILi34E19rocblas_complex_numIdEPKPS3_EEvT1_iilPiilS8_bb: ; @_ZN9rocsolver6v33100L18getri_kernel_smallILi34E19rocblas_complex_numIdEPKPS3_EEvT1_iilPiilS8_bb
; %bb.0:
	s_add_u32 s0, s0, s7
	s_addc_u32 s1, s1, 0
	s_mov_b32 s7, exec_lo
	v_cmpx_gt_u32_e32 34, v0
	s_cbranch_execz .LBB97_150
; %bb.1:
	s_clause 0x2
	s_load_dword s16, s[4:5], 0x38
	s_load_dwordx2 s[12:13], s[4:5], 0x0
	s_load_dwordx4 s[8:11], s[4:5], 0x28
	s_waitcnt lgkmcnt(0)
	s_bitcmp1_b32 s16, 8
	s_cselect_b32 s46, -1, 0
	s_ashr_i32 s7, s6, 31
	s_lshl_b64 s[14:15], s[6:7], 3
	s_add_u32 s12, s12, s14
	s_addc_u32 s13, s13, s15
	s_load_dwordx2 s[14:15], s[12:13], 0x0
	s_bfe_u32 s12, s16, 0x10008
	s_cmp_eq_u32 s12, 0
                                        ; implicit-def: $sgpr12_sgpr13
	s_cbranch_scc1 .LBB97_3
; %bb.2:
	s_clause 0x1
	s_load_dword s12, s[4:5], 0x20
	s_load_dwordx2 s[16:17], s[4:5], 0x18
	s_mul_i32 s13, s8, s7
	s_mul_hi_u32 s18, s8, s6
	s_mul_i32 s9, s9, s6
	s_add_i32 s13, s18, s13
	s_mul_i32 s8, s8, s6
	s_add_i32 s9, s13, s9
	s_lshl_b64 s[8:9], s[8:9], 2
	s_waitcnt lgkmcnt(0)
	s_ashr_i32 s13, s12, 31
	s_add_u32 s16, s16, s8
	s_addc_u32 s17, s17, s9
	s_lshl_b64 s[8:9], s[12:13], 2
	s_add_u32 s12, s16, s8
	s_addc_u32 s13, s17, s9
.LBB97_3:
	s_clause 0x1
	s_load_dwordx2 s[8:9], s[4:5], 0x8
	s_load_dword s47, s[4:5], 0x38
	v_lshlrev_b32_e32 v79, 4, v0
	s_movk_i32 s16, 0xa0
	s_movk_i32 s17, 0xb0
	;; [unrolled: 1-line block ×17, first 2 shown]
	s_waitcnt lgkmcnt(0)
	s_ashr_i32 s5, s8, 31
	s_mov_b32 s4, s8
	v_add3_u32 v7, s9, s9, v0
	s_lshl_b64 s[4:5], s[4:5], 4
	s_movk_i32 s55, 0x1b0
	s_add_u32 s8, s14, s4
	s_addc_u32 s14, s15, s5
	v_add_co_u32 v5, s4, s8, v79
	v_add_co_ci_u32_e64 v6, null, s14, 0, s4
	s_mov_b32 s4, s9
	s_ashr_i32 s5, s9, 31
	v_ashrrev_i32_e32 v8, 31, v7
	flat_load_dwordx4 v[1:4], v[5:6]
	s_lshl_b64 s[4:5], s[4:5], 4
	s_movk_i32 s15, 0x90
	v_add_co_u32 v59, vcc_lo, v5, s4
	v_add_co_ci_u32_e64 v60, null, s5, v6, vcc_lo
	v_lshlrev_b64 v[8:9], 4, v[7:8]
	v_add_nc_u32_e32 v7, s9, v7
	s_movk_i32 s4, 0x50
	s_movk_i32 s56, 0x1c0
	;; [unrolled: 1-line block ×4, first 2 shown]
	v_add_co_u32 v57, vcc_lo, s8, v8
	v_add_co_ci_u32_e64 v58, null, s14, v9, vcc_lo
	v_ashrrev_i32_e32 v8, 31, v7
	s_movk_i32 s59, 0x1f0
	s_movk_i32 s60, 0x200
	;; [unrolled: 1-line block ×3, first 2 shown]
	s_add_i32 s41, s4, 16
	v_lshlrev_b64 v[8:9], 4, v[7:8]
	v_add_nc_u32_e32 v7, s9, v7
	s_add_i32 s37, s15, 16
	s_add_i32 s36, s16, 16
	;; [unrolled: 1-line block ×4, first 2 shown]
	v_add_co_u32 v53, vcc_lo, s8, v8
	v_add_co_ci_u32_e64 v54, null, s14, v9, vcc_lo
	v_ashrrev_i32_e32 v8, 31, v7
	s_add_i32 s33, s19, 16
	s_add_i32 s31, s20, 16
	;; [unrolled: 1-line block ×4, first 2 shown]
	v_lshlrev_b64 v[8:9], 4, v[7:8]
	v_add_nc_u32_e32 v7, s9, v7
	s_add_i32 s28, s23, 16
	s_add_i32 s27, s24, 16
	;; [unrolled: 1-line block ×4, first 2 shown]
	v_add_co_u32 v51, vcc_lo, s8, v8
	v_add_co_ci_u32_e64 v52, null, s14, v9, vcc_lo
	v_ashrrev_i32_e32 v8, 31, v7
	s_add_i32 s24, s49, 16
	s_add_i32 s23, s50, 16
	;; [unrolled: 1-line block ×4, first 2 shown]
	v_lshlrev_b64 v[8:9], 4, v[7:8]
	v_add_nc_u32_e32 v7, s9, v7
	s_add_i32 s20, s53, 16
	s_add_i32 s19, s54, 16
	;; [unrolled: 1-line block ×4, first 2 shown]
	v_add_co_u32 v49, vcc_lo, s8, v8
	v_add_co_ci_u32_e64 v50, null, s14, v9, vcc_lo
	v_ashrrev_i32_e32 v8, 31, v7
	s_add_i32 s16, s57, 16
	s_add_i32 s15, s58, 16
	s_mov_b32 s5, -1
	s_mov_b32 s45, 32
	v_lshlrev_b64 v[8:9], 4, v[7:8]
	v_add_nc_u32_e32 v7, s9, v7
	s_mov_b32 s44, 48
	s_mov_b32 s43, 64
	s_movk_i32 s42, 0x50
	s_waitcnt vmcnt(0) lgkmcnt(0)
	buffer_store_dword v4, off, s[0:3], 0 offset:28
	buffer_store_dword v3, off, s[0:3], 0 offset:24
	buffer_store_dword v2, off, s[0:3], 0 offset:20
	buffer_store_dword v1, off, s[0:3], 0 offset:16
	flat_load_dwordx4 v[1:4], v[59:60]
	v_add_co_u32 v47, vcc_lo, s8, v8
	v_add_co_ci_u32_e64 v48, null, s14, v9, vcc_lo
	v_ashrrev_i32_e32 v8, 31, v7
	s_waitcnt vmcnt(0) lgkmcnt(0)
	buffer_store_dword v4, off, s[0:3], 0 offset:44
	buffer_store_dword v3, off, s[0:3], 0 offset:40
	buffer_store_dword v2, off, s[0:3], 0 offset:36
	buffer_store_dword v1, off, s[0:3], 0 offset:32
	flat_load_dwordx4 v[1:4], v[57:58]
	v_lshlrev_b64 v[8:9], 4, v[7:8]
	v_add_nc_u32_e32 v7, s9, v7
	s_waitcnt vmcnt(0) lgkmcnt(0)
	buffer_store_dword v4, off, s[0:3], 0 offset:60
	buffer_store_dword v3, off, s[0:3], 0 offset:56
	buffer_store_dword v2, off, s[0:3], 0 offset:52
	buffer_store_dword v1, off, s[0:3], 0 offset:48
	flat_load_dwordx4 v[1:4], v[53:54]
	v_add_co_u32 v45, vcc_lo, s8, v8
	v_add_co_ci_u32_e64 v46, null, s14, v9, vcc_lo
	v_ashrrev_i32_e32 v8, 31, v7
	s_waitcnt vmcnt(0) lgkmcnt(0)
	buffer_store_dword v4, off, s[0:3], 0 offset:76
	buffer_store_dword v3, off, s[0:3], 0 offset:72
	buffer_store_dword v2, off, s[0:3], 0 offset:68
	buffer_store_dword v1, off, s[0:3], 0 offset:64
	flat_load_dwordx4 v[1:4], v[51:52]
	v_lshlrev_b64 v[8:9], 4, v[7:8]
	v_add_nc_u32_e32 v7, s9, v7
	;; [unrolled: 17-line block ×5, first 2 shown]
	s_waitcnt vmcnt(0) lgkmcnt(0)
	buffer_store_dword v4, off, s[0:3], 0 offset:188
	buffer_store_dword v3, off, s[0:3], 0 offset:184
	;; [unrolled: 1-line block ×4, first 2 shown]
	v_add_co_u32 v37, vcc_lo, s8, v8
	v_add_co_ci_u32_e64 v38, null, s14, v9, vcc_lo
	v_ashrrev_i32_e32 v8, 31, v7
	flat_load_dwordx4 v[1:4], v[37:38]
	s_waitcnt vmcnt(0) lgkmcnt(0)
	buffer_store_dword v4, off, s[0:3], 0 offset:204
	buffer_store_dword v3, off, s[0:3], 0 offset:200
	buffer_store_dword v2, off, s[0:3], 0 offset:196
	buffer_store_dword v1, off, s[0:3], 0 offset:192
	v_lshlrev_b64 v[8:9], 4, v[7:8]
	v_add_nc_u32_e32 v7, s9, v7
	v_add_co_u32 v33, vcc_lo, s8, v8
	v_add_co_ci_u32_e64 v34, null, s14, v9, vcc_lo
	v_ashrrev_i32_e32 v8, 31, v7
	flat_load_dwordx4 v[1:4], v[33:34]
	s_waitcnt vmcnt(0) lgkmcnt(0)
	buffer_store_dword v4, off, s[0:3], 0 offset:220
	buffer_store_dword v3, off, s[0:3], 0 offset:216
	buffer_store_dword v2, off, s[0:3], 0 offset:212
	buffer_store_dword v1, off, s[0:3], 0 offset:208
	v_lshlrev_b64 v[8:9], 4, v[7:8]
	v_add_nc_u32_e32 v7, s9, v7
	v_add_co_u32 v31, vcc_lo, s8, v8
	v_add_co_ci_u32_e64 v32, null, s14, v9, vcc_lo
	v_ashrrev_i32_e32 v8, 31, v7
	flat_load_dwordx4 v[1:4], v[31:32]
	s_waitcnt vmcnt(0) lgkmcnt(0)
	buffer_store_dword v4, off, s[0:3], 0 offset:236
	buffer_store_dword v3, off, s[0:3], 0 offset:232
	buffer_store_dword v2, off, s[0:3], 0 offset:228
	buffer_store_dword v1, off, s[0:3], 0 offset:224
	v_lshlrev_b64 v[8:9], 4, v[7:8]
	v_add_nc_u32_e32 v7, s9, v7
	v_add_co_u32 v29, vcc_lo, s8, v8
	v_add_co_ci_u32_e64 v30, null, s14, v9, vcc_lo
	v_ashrrev_i32_e32 v8, 31, v7
	flat_load_dwordx4 v[1:4], v[29:30]
	s_waitcnt vmcnt(0) lgkmcnt(0)
	buffer_store_dword v4, off, s[0:3], 0 offset:252
	buffer_store_dword v3, off, s[0:3], 0 offset:248
	buffer_store_dword v2, off, s[0:3], 0 offset:244
	buffer_store_dword v1, off, s[0:3], 0 offset:240
	v_lshlrev_b64 v[8:9], 4, v[7:8]
	v_add_nc_u32_e32 v7, s9, v7
	v_add_co_u32 v27, vcc_lo, s8, v8
	v_add_co_ci_u32_e64 v28, null, s14, v9, vcc_lo
	v_ashrrev_i32_e32 v8, 31, v7
	flat_load_dwordx4 v[1:4], v[27:28]
	s_waitcnt vmcnt(0) lgkmcnt(0)
	buffer_store_dword v4, off, s[0:3], 0 offset:268
	buffer_store_dword v3, off, s[0:3], 0 offset:264
	buffer_store_dword v2, off, s[0:3], 0 offset:260
	buffer_store_dword v1, off, s[0:3], 0 offset:256
	v_lshlrev_b64 v[8:9], 4, v[7:8]
	v_add_nc_u32_e32 v7, s9, v7
	v_add_co_u32 v25, vcc_lo, s8, v8
	v_add_co_ci_u32_e64 v26, null, s14, v9, vcc_lo
	v_ashrrev_i32_e32 v8, 31, v7
	flat_load_dwordx4 v[1:4], v[25:26]
	s_waitcnt vmcnt(0) lgkmcnt(0)
	buffer_store_dword v4, off, s[0:3], 0 offset:284
	buffer_store_dword v3, off, s[0:3], 0 offset:280
	buffer_store_dword v2, off, s[0:3], 0 offset:276
	buffer_store_dword v1, off, s[0:3], 0 offset:272
	v_lshlrev_b64 v[8:9], 4, v[7:8]
	v_add_nc_u32_e32 v7, s9, v7
	v_add_co_u32 v23, vcc_lo, s8, v8
	v_add_co_ci_u32_e64 v24, null, s14, v9, vcc_lo
	v_ashrrev_i32_e32 v8, 31, v7
	flat_load_dwordx4 v[1:4], v[23:24]
	s_waitcnt vmcnt(0) lgkmcnt(0)
	buffer_store_dword v4, off, s[0:3], 0 offset:300
	buffer_store_dword v3, off, s[0:3], 0 offset:296
	buffer_store_dword v2, off, s[0:3], 0 offset:292
	buffer_store_dword v1, off, s[0:3], 0 offset:288
	v_lshlrev_b64 v[8:9], 4, v[7:8]
	v_add_nc_u32_e32 v7, s9, v7
	v_add_co_u32 v21, vcc_lo, s8, v8
	v_add_co_ci_u32_e64 v22, null, s14, v9, vcc_lo
	v_ashrrev_i32_e32 v8, 31, v7
	flat_load_dwordx4 v[1:4], v[21:22]
	s_waitcnt vmcnt(0) lgkmcnt(0)
	buffer_store_dword v4, off, s[0:3], 0 offset:316
	buffer_store_dword v3, off, s[0:3], 0 offset:312
	buffer_store_dword v2, off, s[0:3], 0 offset:308
	buffer_store_dword v1, off, s[0:3], 0 offset:304
	v_lshlrev_b64 v[8:9], 4, v[7:8]
	v_add_nc_u32_e32 v7, s9, v7
	v_add_co_u32 v19, vcc_lo, s8, v8
	v_add_co_ci_u32_e64 v20, null, s14, v9, vcc_lo
	v_ashrrev_i32_e32 v8, 31, v7
	flat_load_dwordx4 v[1:4], v[19:20]
	s_waitcnt vmcnt(0) lgkmcnt(0)
	buffer_store_dword v4, off, s[0:3], 0 offset:332
	buffer_store_dword v3, off, s[0:3], 0 offset:328
	buffer_store_dword v2, off, s[0:3], 0 offset:324
	buffer_store_dword v1, off, s[0:3], 0 offset:320
	v_lshlrev_b64 v[8:9], 4, v[7:8]
	v_add_nc_u32_e32 v7, s9, v7
	v_add_co_u32 v17, vcc_lo, s8, v8
	v_add_co_ci_u32_e64 v18, null, s14, v9, vcc_lo
	v_ashrrev_i32_e32 v8, 31, v7
	flat_load_dwordx4 v[1:4], v[17:18]
	s_waitcnt vmcnt(0) lgkmcnt(0)
	buffer_store_dword v4, off, s[0:3], 0 offset:348
	buffer_store_dword v3, off, s[0:3], 0 offset:344
	buffer_store_dword v2, off, s[0:3], 0 offset:340
	buffer_store_dword v1, off, s[0:3], 0 offset:336
	v_lshlrev_b64 v[8:9], 4, v[7:8]
	v_add_nc_u32_e32 v7, s9, v7
	v_add_co_u32 v15, vcc_lo, s8, v8
	v_add_co_ci_u32_e64 v16, null, s14, v9, vcc_lo
	v_ashrrev_i32_e32 v8, 31, v7
	flat_load_dwordx4 v[1:4], v[15:16]
	s_waitcnt vmcnt(0) lgkmcnt(0)
	buffer_store_dword v4, off, s[0:3], 0 offset:364
	buffer_store_dword v3, off, s[0:3], 0 offset:360
	buffer_store_dword v2, off, s[0:3], 0 offset:356
	buffer_store_dword v1, off, s[0:3], 0 offset:352
	v_lshlrev_b64 v[8:9], 4, v[7:8]
	v_add_nc_u32_e32 v7, s9, v7
	v_add_co_u32 v13, vcc_lo, s8, v8
	v_add_co_ci_u32_e64 v14, null, s14, v9, vcc_lo
	v_ashrrev_i32_e32 v8, 31, v7
	flat_load_dwordx4 v[1:4], v[13:14]
	s_waitcnt vmcnt(0) lgkmcnt(0)
	buffer_store_dword v4, off, s[0:3], 0 offset:380
	buffer_store_dword v3, off, s[0:3], 0 offset:376
	buffer_store_dword v2, off, s[0:3], 0 offset:372
	buffer_store_dword v1, off, s[0:3], 0 offset:368
	v_lshlrev_b64 v[8:9], 4, v[7:8]
	v_add_nc_u32_e32 v7, s9, v7
	v_add_co_u32 v11, vcc_lo, s8, v8
	v_add_co_ci_u32_e64 v12, null, s14, v9, vcc_lo
	v_ashrrev_i32_e32 v8, 31, v7
	v_add_nc_u32_e32 v35, s9, v7
	flat_load_dwordx4 v[1:4], v[11:12]
	s_waitcnt vmcnt(0) lgkmcnt(0)
	buffer_store_dword v4, off, s[0:3], 0 offset:396
	buffer_store_dword v3, off, s[0:3], 0 offset:392
	;; [unrolled: 1-line block ×4, first 2 shown]
	v_lshlrev_b64 v[9:10], 4, v[7:8]
	v_ashrrev_i32_e32 v36, 31, v35
	v_add_nc_u32_e32 v55, s9, v35
	v_add_co_u32 v9, vcc_lo, s8, v9
	v_add_co_ci_u32_e64 v10, null, s14, v10, vcc_lo
	v_lshlrev_b64 v[7:8], 4, v[35:36]
	v_ashrrev_i32_e32 v56, 31, v55
	v_add_nc_u32_e32 v61, s9, v55
	flat_load_dwordx4 v[1:4], v[9:10]
	s_waitcnt vmcnt(0) lgkmcnt(0)
	buffer_store_dword v4, off, s[0:3], 0 offset:412
	buffer_store_dword v3, off, s[0:3], 0 offset:408
	buffer_store_dword v2, off, s[0:3], 0 offset:404
	buffer_store_dword v1, off, s[0:3], 0 offset:400
	v_add_co_u32 v7, vcc_lo, s8, v7
	v_add_co_ci_u32_e64 v8, null, s14, v8, vcc_lo
	v_lshlrev_b64 v[35:36], 4, v[55:56]
	v_ashrrev_i32_e32 v62, 31, v61
	v_add_nc_u32_e32 v63, s9, v61
	flat_load_dwordx4 v[1:4], v[7:8]
	s_waitcnt vmcnt(0) lgkmcnt(0)
	buffer_store_dword v4, off, s[0:3], 0 offset:428
	buffer_store_dword v3, off, s[0:3], 0 offset:424
	buffer_store_dword v2, off, s[0:3], 0 offset:420
	buffer_store_dword v1, off, s[0:3], 0 offset:416
	;; [unrolled: 11-line block ×6, first 2 shown]
	v_add_co_u32 v65, vcc_lo, s8, v65
	v_add_co_ci_u32_e64 v66, null, s14, v66, vcc_lo
	v_lshlrev_b64 v[67:68], 4, v[69:70]
	v_ashrrev_i32_e32 v72, 31, v71
	flat_load_dwordx4 v[1:4], v[65:66]
	s_waitcnt vmcnt(0) lgkmcnt(0)
	buffer_store_dword v4, off, s[0:3], 0 offset:508
	buffer_store_dword v3, off, s[0:3], 0 offset:504
	;; [unrolled: 1-line block ×4, first 2 shown]
	v_add_co_u32 v67, vcc_lo, s8, v67
	v_add_co_ci_u32_e64 v68, null, s14, v68, vcc_lo
	v_lshlrev_b64 v[69:70], 4, v[71:72]
	v_add_nc_u32_e32 v71, s9, v71
	s_movk_i32 s9, 0x70
	flat_load_dwordx4 v[1:4], v[67:68]
	s_add_i32 s39, s9, 16
	s_add_i32 s9, s60, 16
	v_add_co_u32 v69, vcc_lo, s8, v69
	v_add_co_ci_u32_e64 v70, null, s14, v70, vcc_lo
	v_ashrrev_i32_e32 v72, 31, v71
	s_waitcnt vmcnt(0) lgkmcnt(0)
	buffer_store_dword v4, off, s[0:3], 0 offset:524
	buffer_store_dword v3, off, s[0:3], 0 offset:520
	buffer_store_dword v2, off, s[0:3], 0 offset:516
	buffer_store_dword v1, off, s[0:3], 0 offset:512
	flat_load_dwordx4 v[1:4], v[69:70]
	v_lshlrev_b64 v[71:72], 4, v[71:72]
	s_waitcnt vmcnt(0) lgkmcnt(0)
	buffer_store_dword v4, off, s[0:3], 0 offset:540
	buffer_store_dword v3, off, s[0:3], 0 offset:536
	;; [unrolled: 1-line block ×4, first 2 shown]
	v_add_co_u32 v71, vcc_lo, s8, v71
	v_add_co_ci_u32_e64 v72, null, s14, v72, vcc_lo
	s_movk_i32 s8, 0x60
	s_movk_i32 s14, 0x80
	s_add_i32 s40, s8, 16
	flat_load_dwordx4 v[1:4], v[71:72]
	s_add_i32 s38, s14, 16
	s_add_i32 s14, s59, 16
	;; [unrolled: 1-line block ×3, first 2 shown]
	s_bitcmp0_b32 s47, 0
	s_waitcnt vmcnt(0) lgkmcnt(0)
	buffer_store_dword v4, off, s[0:3], 0 offset:556
	buffer_store_dword v3, off, s[0:3], 0 offset:552
	;; [unrolled: 1-line block ×4, first 2 shown]
	s_cbranch_scc1 .LBB97_148
; %bb.4:
	v_cmp_eq_u32_e64 s4, 0, v0
	s_and_saveexec_b32 s5, s4
; %bb.5:
	v_mov_b32_e32 v1, 0
	ds_write_b32 v1, v1 offset:1088
; %bb.6:
	s_or_b32 exec_lo, exec_lo, s5
	v_lshl_add_u32 v80, v0, 4, 16
	s_waitcnt lgkmcnt(0)
	s_waitcnt_vscnt null, 0x0
	s_barrier
	buffer_gl0_inv
	s_clause 0x3
	buffer_load_dword v1, v80, s[0:3], 0 offen
	buffer_load_dword v2, v80, s[0:3], 0 offen offset:4
	buffer_load_dword v3, v80, s[0:3], 0 offen offset:8
	buffer_load_dword v4, v80, s[0:3], 0 offen offset:12
	s_waitcnt vmcnt(2)
	v_cmp_eq_f64_e32 vcc_lo, 0, v[1:2]
	s_waitcnt vmcnt(0)
	v_cmp_eq_f64_e64 s5, 0, v[3:4]
	s_and_b32 s5, vcc_lo, s5
	s_and_saveexec_b32 s47, s5
	s_cbranch_execz .LBB97_10
; %bb.7:
	v_mov_b32_e32 v1, 0
	s_mov_b32 s48, 0
	ds_read_b32 v2, v1 offset:1088
	s_waitcnt lgkmcnt(0)
	v_readfirstlane_b32 s5, v2
	v_add_nc_u32_e32 v2, 1, v0
	s_cmp_eq_u32 s5, 0
	v_cmp_gt_i32_e32 vcc_lo, s5, v2
	s_cselect_b32 s49, -1, 0
	s_or_b32 s49, s49, vcc_lo
	s_and_b32 exec_lo, exec_lo, s49
	s_cbranch_execz .LBB97_10
; %bb.8:
	v_mov_b32_e32 v3, s5
.LBB97_9:                               ; =>This Inner Loop Header: Depth=1
	ds_cmpst_rtn_b32 v3, v1, v3, v2 offset:1088
	s_waitcnt lgkmcnt(0)
	v_cmp_ne_u32_e32 vcc_lo, 0, v3
	v_cmp_le_i32_e64 s5, v3, v2
	s_and_b32 s5, vcc_lo, s5
	s_and_b32 s5, exec_lo, s5
	s_or_b32 s48, s5, s48
	s_andn2_b32 exec_lo, exec_lo, s48
	s_cbranch_execnz .LBB97_9
.LBB97_10:
	s_or_b32 exec_lo, exec_lo, s47
	v_mov_b32_e32 v1, 0
	s_barrier
	buffer_gl0_inv
	ds_read_b32 v2, v1 offset:1088
	s_and_saveexec_b32 s5, s4
	s_cbranch_execz .LBB97_12
; %bb.11:
	s_lshl_b64 s[48:49], s[6:7], 2
	s_add_u32 s48, s10, s48
	s_addc_u32 s49, s11, s49
	s_waitcnt lgkmcnt(0)
	global_store_dword v1, v2, s[48:49]
.LBB97_12:
	s_or_b32 exec_lo, exec_lo, s5
	s_waitcnt lgkmcnt(0)
	v_cmp_ne_u32_e32 vcc_lo, 0, v2
	s_mov_b32 s5, 0
	s_cbranch_vccnz .LBB97_148
; %bb.13:
	s_clause 0x3
	buffer_load_dword v75, v80, s[0:3], 0 offen
	buffer_load_dword v76, v80, s[0:3], 0 offen offset:4
	buffer_load_dword v77, v80, s[0:3], 0 offen offset:8
	buffer_load_dword v78, v80, s[0:3], 0 offen offset:12
                                        ; implicit-def: $vgpr73_vgpr74
                                        ; implicit-def: $vgpr3_vgpr4
	s_waitcnt vmcnt(0)
	v_cmp_ngt_f64_e64 s5, |v[75:76]|, |v[77:78]|
	s_and_saveexec_b32 s47, s5
	s_xor_b32 s5, exec_lo, s47
	s_cbranch_execz .LBB97_15
; %bb.14:
	v_div_scale_f64 v[1:2], null, v[77:78], v[77:78], v[75:76]
	v_div_scale_f64 v[81:82], vcc_lo, v[75:76], v[77:78], v[75:76]
	v_rcp_f64_e32 v[3:4], v[1:2]
	v_fma_f64 v[73:74], -v[1:2], v[3:4], 1.0
	v_fma_f64 v[3:4], v[3:4], v[73:74], v[3:4]
	v_fma_f64 v[73:74], -v[1:2], v[3:4], 1.0
	v_fma_f64 v[3:4], v[3:4], v[73:74], v[3:4]
	v_mul_f64 v[73:74], v[81:82], v[3:4]
	v_fma_f64 v[1:2], -v[1:2], v[73:74], v[81:82]
	v_div_fmas_f64 v[1:2], v[1:2], v[3:4], v[73:74]
	v_div_fixup_f64 v[1:2], v[1:2], v[77:78], v[75:76]
	v_fma_f64 v[3:4], v[75:76], v[1:2], v[77:78]
	v_div_scale_f64 v[73:74], null, v[3:4], v[3:4], 1.0
	v_div_scale_f64 v[81:82], vcc_lo, 1.0, v[3:4], 1.0
	v_rcp_f64_e32 v[75:76], v[73:74]
	v_fma_f64 v[77:78], -v[73:74], v[75:76], 1.0
	v_fma_f64 v[75:76], v[75:76], v[77:78], v[75:76]
	v_fma_f64 v[77:78], -v[73:74], v[75:76], 1.0
	v_fma_f64 v[75:76], v[75:76], v[77:78], v[75:76]
	v_mul_f64 v[77:78], v[81:82], v[75:76]
	v_fma_f64 v[73:74], -v[73:74], v[77:78], v[81:82]
	v_div_fmas_f64 v[73:74], v[73:74], v[75:76], v[77:78]
                                        ; implicit-def: $vgpr75_vgpr76
                                        ; implicit-def: $vgpr77_vgpr78
	v_div_fixup_f64 v[3:4], v[73:74], v[3:4], 1.0
	v_mul_f64 v[73:74], v[1:2], v[3:4]
	v_xor_b32_e32 v4, 0x80000000, v4
	v_xor_b32_e32 v2, 0x80000000, v74
	v_mov_b32_e32 v1, v73
.LBB97_15:
	s_andn2_saveexec_b32 s5, s5
	s_cbranch_execz .LBB97_17
; %bb.16:
	v_div_scale_f64 v[1:2], null, v[75:76], v[75:76], v[77:78]
	v_div_scale_f64 v[81:82], vcc_lo, v[77:78], v[75:76], v[77:78]
	v_rcp_f64_e32 v[3:4], v[1:2]
	v_fma_f64 v[73:74], -v[1:2], v[3:4], 1.0
	v_fma_f64 v[3:4], v[3:4], v[73:74], v[3:4]
	v_fma_f64 v[73:74], -v[1:2], v[3:4], 1.0
	v_fma_f64 v[3:4], v[3:4], v[73:74], v[3:4]
	v_mul_f64 v[73:74], v[81:82], v[3:4]
	v_fma_f64 v[1:2], -v[1:2], v[73:74], v[81:82]
	v_div_fmas_f64 v[1:2], v[1:2], v[3:4], v[73:74]
	v_div_fixup_f64 v[1:2], v[1:2], v[75:76], v[77:78]
	v_fma_f64 v[3:4], v[77:78], v[1:2], v[75:76]
	v_div_scale_f64 v[73:74], null, v[3:4], v[3:4], 1.0
	v_rcp_f64_e32 v[75:76], v[73:74]
	v_fma_f64 v[77:78], -v[73:74], v[75:76], 1.0
	v_fma_f64 v[75:76], v[75:76], v[77:78], v[75:76]
	v_fma_f64 v[77:78], -v[73:74], v[75:76], 1.0
	v_fma_f64 v[75:76], v[75:76], v[77:78], v[75:76]
	v_div_scale_f64 v[77:78], vcc_lo, 1.0, v[3:4], 1.0
	v_mul_f64 v[81:82], v[77:78], v[75:76]
	v_fma_f64 v[73:74], -v[73:74], v[81:82], v[77:78]
	v_div_fmas_f64 v[73:74], v[73:74], v[75:76], v[81:82]
	v_div_fixup_f64 v[73:74], v[73:74], v[3:4], 1.0
	v_mul_f64 v[3:4], v[1:2], -v[73:74]
	v_xor_b32_e32 v2, 0x80000000, v74
	v_mov_b32_e32 v1, v73
.LBB97_17:
	s_or_b32 exec_lo, exec_lo, s5
	v_mov_b32_e32 v78, s45
	buffer_store_dword v74, v80, s[0:3], 0 offen offset:4
	buffer_store_dword v73, v80, s[0:3], 0 offen
	buffer_store_dword v4, v80, s[0:3], 0 offen offset:12
	buffer_store_dword v3, v80, s[0:3], 0 offen offset:8
	v_xor_b32_e32 v4, 0x80000000, v4
	v_add_nc_u32_e32 v73, 0x220, v79
	s_clause 0x3
	buffer_load_dword v77, v78, s[0:3], 0 offen offset:12
	buffer_load_dword v76, v78, s[0:3], 0 offen offset:8
	;; [unrolled: 1-line block ×3, first 2 shown]
	buffer_load_dword v74, v78, s[0:3], 0 offen
	ds_write_b128 v79, v[1:4]
	s_waitcnt vmcnt(0)
	ds_write_b128 v79, v[74:77] offset:544
	s_waitcnt lgkmcnt(0)
	s_waitcnt_vscnt null, 0x0
	s_barrier
	buffer_gl0_inv
	s_and_saveexec_b32 s5, s4
	s_cbranch_execz .LBB97_19
; %bb.18:
	s_clause 0x3
	buffer_load_dword v81, v80, s[0:3], 0 offen offset:8
	buffer_load_dword v82, v80, s[0:3], 0 offen offset:12
	buffer_load_dword v83, v80, s[0:3], 0 offen
	buffer_load_dword v84, v80, s[0:3], 0 offen offset:4
	ds_read_b128 v[1:4], v73
	v_mov_b32_e32 v74, 0
	ds_read_b128 v[74:77], v74 offset:16
	s_waitcnt vmcnt(2) lgkmcnt(1)
	v_mul_f64 v[85:86], v[1:2], v[81:82]
	v_mul_f64 v[81:82], v[3:4], v[81:82]
	s_waitcnt vmcnt(0)
	v_fma_f64 v[3:4], v[3:4], v[83:84], v[85:86]
	v_fma_f64 v[1:2], v[1:2], v[83:84], -v[81:82]
	v_add_f64 v[3:4], v[3:4], 0
	v_add_f64 v[1:2], v[1:2], 0
	s_waitcnt lgkmcnt(0)
	v_mul_f64 v[81:82], v[3:4], v[76:77]
	v_mul_f64 v[76:77], v[1:2], v[76:77]
	v_fma_f64 v[1:2], v[1:2], v[74:75], -v[81:82]
	v_fma_f64 v[3:4], v[3:4], v[74:75], v[76:77]
	buffer_store_dword v1, off, s[0:3], 0 offset:32
	buffer_store_dword v2, off, s[0:3], 0 offset:36
	;; [unrolled: 1-line block ×4, first 2 shown]
.LBB97_19:
	s_or_b32 exec_lo, exec_lo, s5
	v_mov_b32_e32 v4, s44
	s_waitcnt_vscnt null, 0x0
	s_barrier
	buffer_gl0_inv
	s_mov_b32 s5, exec_lo
	s_clause 0x3
	buffer_load_dword v1, v4, s[0:3], 0 offen
	buffer_load_dword v2, v4, s[0:3], 0 offen offset:4
	buffer_load_dword v3, v4, s[0:3], 0 offen offset:8
	buffer_load_dword v4, v4, s[0:3], 0 offen offset:12
	s_waitcnt vmcnt(0)
	ds_write_b128 v73, v[1:4]
	s_waitcnt lgkmcnt(0)
	s_barrier
	buffer_gl0_inv
	v_cmpx_gt_u32_e32 2, v0
	s_cbranch_execz .LBB97_23
; %bb.20:
	s_clause 0x3
	buffer_load_dword v74, v80, s[0:3], 0 offen offset:8
	buffer_load_dword v75, v80, s[0:3], 0 offen offset:12
	buffer_load_dword v76, v80, s[0:3], 0 offen
	buffer_load_dword v77, v80, s[0:3], 0 offen offset:4
	ds_read_b128 v[1:4], v73
	s_waitcnt vmcnt(2) lgkmcnt(0)
	v_mul_f64 v[80:81], v[3:4], v[74:75]
	v_mul_f64 v[74:75], v[1:2], v[74:75]
	s_waitcnt vmcnt(0)
	v_fma_f64 v[1:2], v[1:2], v[76:77], -v[80:81]
	v_fma_f64 v[3:4], v[3:4], v[76:77], v[74:75]
	v_add_f64 v[1:2], v[1:2], 0
	v_add_f64 v[3:4], v[3:4], 0
	s_and_saveexec_b32 s47, s4
	s_cbranch_execz .LBB97_22
; %bb.21:
	s_clause 0x3
	buffer_load_dword v80, off, s[0:3], 0 offset:40
	buffer_load_dword v81, off, s[0:3], 0 offset:44
	;; [unrolled: 1-line block ×4, first 2 shown]
	v_mov_b32_e32 v74, 0
	ds_read_b128 v[74:77], v74 offset:560
	s_waitcnt vmcnt(2) lgkmcnt(0)
	v_mul_f64 v[84:85], v[74:75], v[80:81]
	v_mul_f64 v[80:81], v[76:77], v[80:81]
	s_waitcnt vmcnt(0)
	v_fma_f64 v[76:77], v[76:77], v[82:83], v[84:85]
	v_fma_f64 v[74:75], v[74:75], v[82:83], -v[80:81]
	v_add_f64 v[3:4], v[3:4], v[76:77]
	v_add_f64 v[1:2], v[1:2], v[74:75]
.LBB97_22:
	s_or_b32 exec_lo, exec_lo, s47
	v_mov_b32_e32 v74, 0
	ds_read_b128 v[74:77], v74 offset:32
	s_waitcnt lgkmcnt(0)
	v_mul_f64 v[80:81], v[3:4], v[76:77]
	v_mul_f64 v[76:77], v[1:2], v[76:77]
	v_fma_f64 v[1:2], v[1:2], v[74:75], -v[80:81]
	v_fma_f64 v[3:4], v[3:4], v[74:75], v[76:77]
	buffer_store_dword v2, off, s[0:3], 0 offset:52
	buffer_store_dword v1, off, s[0:3], 0 offset:48
	buffer_store_dword v4, off, s[0:3], 0 offset:60
	buffer_store_dword v3, off, s[0:3], 0 offset:56
.LBB97_23:
	s_or_b32 exec_lo, exec_lo, s5
	v_mov_b32_e32 v4, s43
	s_waitcnt_vscnt null, 0x0
	s_barrier
	buffer_gl0_inv
	v_add_nc_u32_e32 v74, -1, v0
	s_clause 0x3
	buffer_load_dword v1, v4, s[0:3], 0 offen
	buffer_load_dword v2, v4, s[0:3], 0 offen offset:4
	buffer_load_dword v3, v4, s[0:3], 0 offen offset:8
	;; [unrolled: 1-line block ×3, first 2 shown]
	s_mov_b32 s4, exec_lo
	s_waitcnt vmcnt(0)
	ds_write_b128 v73, v[1:4]
	s_waitcnt lgkmcnt(0)
	s_barrier
	buffer_gl0_inv
	v_cmpx_gt_u32_e32 3, v0
	s_cbranch_execz .LBB97_27
; %bb.24:
	v_mov_b32_e32 v1, 0
	v_mov_b32_e32 v3, 0
	v_add_nc_u32_e32 v75, -1, v0
	v_add_nc_u32_e32 v76, 0x220, v79
	v_mov_b32_e32 v2, 0
	v_mov_b32_e32 v4, 0
	v_add_nc_u32_e32 v77, 16, v79
	s_mov_b32 s5, 0
	.p2align	6
.LBB97_25:                              ; =>This Inner Loop Header: Depth=1
	s_clause 0x3
	buffer_load_dword v84, v77, s[0:3], 0 offen offset:8
	buffer_load_dword v85, v77, s[0:3], 0 offen offset:12
	buffer_load_dword v86, v77, s[0:3], 0 offen
	buffer_load_dword v87, v77, s[0:3], 0 offen offset:4
	ds_read_b128 v[80:83], v76
	v_add_nc_u32_e32 v75, 1, v75
	v_add_nc_u32_e32 v76, 16, v76
	;; [unrolled: 1-line block ×3, first 2 shown]
	v_cmp_lt_u32_e32 vcc_lo, 1, v75
	s_or_b32 s5, vcc_lo, s5
	s_waitcnt vmcnt(2) lgkmcnt(0)
	v_mul_f64 v[88:89], v[82:83], v[84:85]
	v_mul_f64 v[84:85], v[80:81], v[84:85]
	s_waitcnt vmcnt(0)
	v_fma_f64 v[80:81], v[80:81], v[86:87], -v[88:89]
	v_fma_f64 v[82:83], v[82:83], v[86:87], v[84:85]
	v_add_f64 v[3:4], v[3:4], v[80:81]
	v_add_f64 v[1:2], v[1:2], v[82:83]
	s_andn2_b32 exec_lo, exec_lo, s5
	s_cbranch_execnz .LBB97_25
; %bb.26:
	s_or_b32 exec_lo, exec_lo, s5
	v_mov_b32_e32 v75, 0
	ds_read_b128 v[75:78], v75 offset:48
	s_waitcnt lgkmcnt(0)
	v_mul_f64 v[80:81], v[1:2], v[77:78]
	v_mul_f64 v[77:78], v[3:4], v[77:78]
	v_fma_f64 v[3:4], v[3:4], v[75:76], -v[80:81]
	v_fma_f64 v[1:2], v[1:2], v[75:76], v[77:78]
	buffer_store_dword v4, off, s[0:3], 0 offset:68
	buffer_store_dword v3, off, s[0:3], 0 offset:64
	;; [unrolled: 1-line block ×4, first 2 shown]
.LBB97_27:
	s_or_b32 exec_lo, exec_lo, s4
	v_mov_b32_e32 v4, s42
	s_waitcnt_vscnt null, 0x0
	s_barrier
	buffer_gl0_inv
	s_mov_b32 s4, exec_lo
	s_clause 0x3
	buffer_load_dword v1, v4, s[0:3], 0 offen
	buffer_load_dword v2, v4, s[0:3], 0 offen offset:4
	buffer_load_dword v3, v4, s[0:3], 0 offen offset:8
	;; [unrolled: 1-line block ×3, first 2 shown]
	s_waitcnt vmcnt(0)
	ds_write_b128 v73, v[1:4]
	s_waitcnt lgkmcnt(0)
	s_barrier
	buffer_gl0_inv
	v_cmpx_gt_u32_e32 4, v0
	s_cbranch_execz .LBB97_31
; %bb.28:
	v_mov_b32_e32 v1, 0
	v_mov_b32_e32 v3, 0
	v_add_nc_u32_e32 v75, -1, v0
	v_add_nc_u32_e32 v76, 0x220, v79
	v_mov_b32_e32 v2, 0
	v_mov_b32_e32 v4, 0
	v_add_nc_u32_e32 v77, 16, v79
	s_mov_b32 s5, 0
	.p2align	6
.LBB97_29:                              ; =>This Inner Loop Header: Depth=1
	s_clause 0x3
	buffer_load_dword v84, v77, s[0:3], 0 offen offset:8
	buffer_load_dword v85, v77, s[0:3], 0 offen offset:12
	buffer_load_dword v86, v77, s[0:3], 0 offen
	buffer_load_dword v87, v77, s[0:3], 0 offen offset:4
	ds_read_b128 v[80:83], v76
	v_add_nc_u32_e32 v75, 1, v75
	v_add_nc_u32_e32 v76, 16, v76
	v_add_nc_u32_e32 v77, 16, v77
	v_cmp_lt_u32_e32 vcc_lo, 2, v75
	s_or_b32 s5, vcc_lo, s5
	s_waitcnt vmcnt(2) lgkmcnt(0)
	v_mul_f64 v[88:89], v[82:83], v[84:85]
	v_mul_f64 v[84:85], v[80:81], v[84:85]
	s_waitcnt vmcnt(0)
	v_fma_f64 v[80:81], v[80:81], v[86:87], -v[88:89]
	v_fma_f64 v[82:83], v[82:83], v[86:87], v[84:85]
	v_add_f64 v[3:4], v[3:4], v[80:81]
	v_add_f64 v[1:2], v[1:2], v[82:83]
	s_andn2_b32 exec_lo, exec_lo, s5
	s_cbranch_execnz .LBB97_29
; %bb.30:
	s_or_b32 exec_lo, exec_lo, s5
	v_mov_b32_e32 v75, 0
	ds_read_b128 v[75:78], v75 offset:64
	s_waitcnt lgkmcnt(0)
	v_mul_f64 v[80:81], v[1:2], v[77:78]
	v_mul_f64 v[77:78], v[3:4], v[77:78]
	v_fma_f64 v[3:4], v[3:4], v[75:76], -v[80:81]
	v_fma_f64 v[1:2], v[1:2], v[75:76], v[77:78]
	buffer_store_dword v4, off, s[0:3], 0 offset:84
	buffer_store_dword v3, off, s[0:3], 0 offset:80
	;; [unrolled: 1-line block ×4, first 2 shown]
.LBB97_31:
	s_or_b32 exec_lo, exec_lo, s4
	v_mov_b32_e32 v4, s41
	s_waitcnt_vscnt null, 0x0
	s_barrier
	buffer_gl0_inv
	s_mov_b32 s4, exec_lo
	s_clause 0x3
	buffer_load_dword v1, v4, s[0:3], 0 offen
	buffer_load_dword v2, v4, s[0:3], 0 offen offset:4
	buffer_load_dword v3, v4, s[0:3], 0 offen offset:8
	;; [unrolled: 1-line block ×3, first 2 shown]
	s_waitcnt vmcnt(0)
	ds_write_b128 v73, v[1:4]
	s_waitcnt lgkmcnt(0)
	s_barrier
	buffer_gl0_inv
	v_cmpx_gt_u32_e32 5, v0
	s_cbranch_execz .LBB97_35
; %bb.32:
	v_mov_b32_e32 v1, 0
	v_mov_b32_e32 v3, 0
	v_add_nc_u32_e32 v75, -1, v0
	v_add_nc_u32_e32 v76, 0x220, v79
	v_mov_b32_e32 v2, 0
	v_mov_b32_e32 v4, 0
	v_add_nc_u32_e32 v77, 16, v79
	s_mov_b32 s5, 0
	.p2align	6
.LBB97_33:                              ; =>This Inner Loop Header: Depth=1
	s_clause 0x3
	buffer_load_dword v84, v77, s[0:3], 0 offen offset:8
	buffer_load_dword v85, v77, s[0:3], 0 offen offset:12
	buffer_load_dword v86, v77, s[0:3], 0 offen
	buffer_load_dword v87, v77, s[0:3], 0 offen offset:4
	ds_read_b128 v[80:83], v76
	v_add_nc_u32_e32 v75, 1, v75
	v_add_nc_u32_e32 v76, 16, v76
	;; [unrolled: 1-line block ×3, first 2 shown]
	v_cmp_lt_u32_e32 vcc_lo, 3, v75
	s_or_b32 s5, vcc_lo, s5
	s_waitcnt vmcnt(2) lgkmcnt(0)
	v_mul_f64 v[88:89], v[82:83], v[84:85]
	v_mul_f64 v[84:85], v[80:81], v[84:85]
	s_waitcnt vmcnt(0)
	v_fma_f64 v[80:81], v[80:81], v[86:87], -v[88:89]
	v_fma_f64 v[82:83], v[82:83], v[86:87], v[84:85]
	v_add_f64 v[3:4], v[3:4], v[80:81]
	v_add_f64 v[1:2], v[1:2], v[82:83]
	s_andn2_b32 exec_lo, exec_lo, s5
	s_cbranch_execnz .LBB97_33
; %bb.34:
	s_or_b32 exec_lo, exec_lo, s5
	v_mov_b32_e32 v75, 0
	ds_read_b128 v[75:78], v75 offset:80
	s_waitcnt lgkmcnt(0)
	v_mul_f64 v[80:81], v[1:2], v[77:78]
	v_mul_f64 v[77:78], v[3:4], v[77:78]
	v_fma_f64 v[3:4], v[3:4], v[75:76], -v[80:81]
	v_fma_f64 v[1:2], v[1:2], v[75:76], v[77:78]
	buffer_store_dword v4, off, s[0:3], 0 offset:100
	buffer_store_dword v3, off, s[0:3], 0 offset:96
	;; [unrolled: 1-line block ×4, first 2 shown]
.LBB97_35:
	s_or_b32 exec_lo, exec_lo, s4
	v_mov_b32_e32 v4, s40
	s_waitcnt_vscnt null, 0x0
	s_barrier
	buffer_gl0_inv
	s_mov_b32 s4, exec_lo
	s_clause 0x3
	buffer_load_dword v1, v4, s[0:3], 0 offen
	buffer_load_dword v2, v4, s[0:3], 0 offen offset:4
	buffer_load_dword v3, v4, s[0:3], 0 offen offset:8
	;; [unrolled: 1-line block ×3, first 2 shown]
	s_waitcnt vmcnt(0)
	ds_write_b128 v73, v[1:4]
	s_waitcnt lgkmcnt(0)
	s_barrier
	buffer_gl0_inv
	v_cmpx_gt_u32_e32 6, v0
	s_cbranch_execz .LBB97_39
; %bb.36:
	v_mov_b32_e32 v1, 0
	v_mov_b32_e32 v3, 0
	v_add_nc_u32_e32 v75, -1, v0
	v_add_nc_u32_e32 v76, 0x220, v79
	v_mov_b32_e32 v2, 0
	v_mov_b32_e32 v4, 0
	v_add_nc_u32_e32 v77, 16, v79
	s_mov_b32 s5, 0
	.p2align	6
.LBB97_37:                              ; =>This Inner Loop Header: Depth=1
	s_clause 0x3
	buffer_load_dword v84, v77, s[0:3], 0 offen offset:8
	buffer_load_dword v85, v77, s[0:3], 0 offen offset:12
	buffer_load_dword v86, v77, s[0:3], 0 offen
	buffer_load_dword v87, v77, s[0:3], 0 offen offset:4
	ds_read_b128 v[80:83], v76
	v_add_nc_u32_e32 v75, 1, v75
	v_add_nc_u32_e32 v76, 16, v76
	v_add_nc_u32_e32 v77, 16, v77
	v_cmp_lt_u32_e32 vcc_lo, 4, v75
	s_or_b32 s5, vcc_lo, s5
	s_waitcnt vmcnt(2) lgkmcnt(0)
	v_mul_f64 v[88:89], v[82:83], v[84:85]
	v_mul_f64 v[84:85], v[80:81], v[84:85]
	s_waitcnt vmcnt(0)
	v_fma_f64 v[80:81], v[80:81], v[86:87], -v[88:89]
	v_fma_f64 v[82:83], v[82:83], v[86:87], v[84:85]
	v_add_f64 v[3:4], v[3:4], v[80:81]
	v_add_f64 v[1:2], v[1:2], v[82:83]
	s_andn2_b32 exec_lo, exec_lo, s5
	s_cbranch_execnz .LBB97_37
; %bb.38:
	s_or_b32 exec_lo, exec_lo, s5
	v_mov_b32_e32 v75, 0
	ds_read_b128 v[75:78], v75 offset:96
	s_waitcnt lgkmcnt(0)
	v_mul_f64 v[80:81], v[1:2], v[77:78]
	v_mul_f64 v[77:78], v[3:4], v[77:78]
	v_fma_f64 v[3:4], v[3:4], v[75:76], -v[80:81]
	v_fma_f64 v[1:2], v[1:2], v[75:76], v[77:78]
	buffer_store_dword v4, off, s[0:3], 0 offset:116
	buffer_store_dword v3, off, s[0:3], 0 offset:112
	;; [unrolled: 1-line block ×4, first 2 shown]
.LBB97_39:
	s_or_b32 exec_lo, exec_lo, s4
	v_mov_b32_e32 v4, s39
	s_waitcnt_vscnt null, 0x0
	s_barrier
	buffer_gl0_inv
	s_mov_b32 s4, exec_lo
	s_clause 0x3
	buffer_load_dword v1, v4, s[0:3], 0 offen
	buffer_load_dword v2, v4, s[0:3], 0 offen offset:4
	buffer_load_dword v3, v4, s[0:3], 0 offen offset:8
	;; [unrolled: 1-line block ×3, first 2 shown]
	s_waitcnt vmcnt(0)
	ds_write_b128 v73, v[1:4]
	s_waitcnt lgkmcnt(0)
	s_barrier
	buffer_gl0_inv
	v_cmpx_gt_u32_e32 7, v0
	s_cbranch_execz .LBB97_43
; %bb.40:
	v_mov_b32_e32 v1, 0
	v_mov_b32_e32 v3, 0
	v_add_nc_u32_e32 v75, -1, v0
	v_add_nc_u32_e32 v76, 0x220, v79
	v_mov_b32_e32 v2, 0
	v_mov_b32_e32 v4, 0
	v_add_nc_u32_e32 v77, 16, v79
	s_mov_b32 s5, 0
	.p2align	6
.LBB97_41:                              ; =>This Inner Loop Header: Depth=1
	s_clause 0x3
	buffer_load_dword v84, v77, s[0:3], 0 offen offset:8
	buffer_load_dword v85, v77, s[0:3], 0 offen offset:12
	buffer_load_dword v86, v77, s[0:3], 0 offen
	buffer_load_dword v87, v77, s[0:3], 0 offen offset:4
	ds_read_b128 v[80:83], v76
	v_add_nc_u32_e32 v75, 1, v75
	v_add_nc_u32_e32 v76, 16, v76
	;; [unrolled: 1-line block ×3, first 2 shown]
	v_cmp_lt_u32_e32 vcc_lo, 5, v75
	s_or_b32 s5, vcc_lo, s5
	s_waitcnt vmcnt(2) lgkmcnt(0)
	v_mul_f64 v[88:89], v[82:83], v[84:85]
	v_mul_f64 v[84:85], v[80:81], v[84:85]
	s_waitcnt vmcnt(0)
	v_fma_f64 v[80:81], v[80:81], v[86:87], -v[88:89]
	v_fma_f64 v[82:83], v[82:83], v[86:87], v[84:85]
	v_add_f64 v[3:4], v[3:4], v[80:81]
	v_add_f64 v[1:2], v[1:2], v[82:83]
	s_andn2_b32 exec_lo, exec_lo, s5
	s_cbranch_execnz .LBB97_41
; %bb.42:
	s_or_b32 exec_lo, exec_lo, s5
	v_mov_b32_e32 v75, 0
	ds_read_b128 v[75:78], v75 offset:112
	s_waitcnt lgkmcnt(0)
	v_mul_f64 v[80:81], v[1:2], v[77:78]
	v_mul_f64 v[77:78], v[3:4], v[77:78]
	v_fma_f64 v[3:4], v[3:4], v[75:76], -v[80:81]
	v_fma_f64 v[1:2], v[1:2], v[75:76], v[77:78]
	buffer_store_dword v4, off, s[0:3], 0 offset:132
	buffer_store_dword v3, off, s[0:3], 0 offset:128
	;; [unrolled: 1-line block ×4, first 2 shown]
.LBB97_43:
	s_or_b32 exec_lo, exec_lo, s4
	v_mov_b32_e32 v4, s38
	s_waitcnt_vscnt null, 0x0
	s_barrier
	buffer_gl0_inv
	s_mov_b32 s4, exec_lo
	s_clause 0x3
	buffer_load_dword v1, v4, s[0:3], 0 offen
	buffer_load_dword v2, v4, s[0:3], 0 offen offset:4
	buffer_load_dword v3, v4, s[0:3], 0 offen offset:8
	;; [unrolled: 1-line block ×3, first 2 shown]
	s_waitcnt vmcnt(0)
	ds_write_b128 v73, v[1:4]
	s_waitcnt lgkmcnt(0)
	s_barrier
	buffer_gl0_inv
	v_cmpx_gt_u32_e32 8, v0
	s_cbranch_execz .LBB97_47
; %bb.44:
	v_mov_b32_e32 v1, 0
	v_mov_b32_e32 v3, 0
	v_add_nc_u32_e32 v75, -1, v0
	v_add_nc_u32_e32 v76, 0x220, v79
	v_mov_b32_e32 v2, 0
	v_mov_b32_e32 v4, 0
	v_add_nc_u32_e32 v77, 16, v79
	s_mov_b32 s5, 0
	.p2align	6
.LBB97_45:                              ; =>This Inner Loop Header: Depth=1
	s_clause 0x3
	buffer_load_dword v84, v77, s[0:3], 0 offen offset:8
	buffer_load_dword v85, v77, s[0:3], 0 offen offset:12
	buffer_load_dword v86, v77, s[0:3], 0 offen
	buffer_load_dword v87, v77, s[0:3], 0 offen offset:4
	ds_read_b128 v[80:83], v76
	v_add_nc_u32_e32 v75, 1, v75
	v_add_nc_u32_e32 v76, 16, v76
	;; [unrolled: 1-line block ×3, first 2 shown]
	v_cmp_lt_u32_e32 vcc_lo, 6, v75
	s_or_b32 s5, vcc_lo, s5
	s_waitcnt vmcnt(2) lgkmcnt(0)
	v_mul_f64 v[88:89], v[82:83], v[84:85]
	v_mul_f64 v[84:85], v[80:81], v[84:85]
	s_waitcnt vmcnt(0)
	v_fma_f64 v[80:81], v[80:81], v[86:87], -v[88:89]
	v_fma_f64 v[82:83], v[82:83], v[86:87], v[84:85]
	v_add_f64 v[3:4], v[3:4], v[80:81]
	v_add_f64 v[1:2], v[1:2], v[82:83]
	s_andn2_b32 exec_lo, exec_lo, s5
	s_cbranch_execnz .LBB97_45
; %bb.46:
	s_or_b32 exec_lo, exec_lo, s5
	v_mov_b32_e32 v75, 0
	ds_read_b128 v[75:78], v75 offset:128
	s_waitcnt lgkmcnt(0)
	v_mul_f64 v[80:81], v[1:2], v[77:78]
	v_mul_f64 v[77:78], v[3:4], v[77:78]
	v_fma_f64 v[3:4], v[3:4], v[75:76], -v[80:81]
	v_fma_f64 v[1:2], v[1:2], v[75:76], v[77:78]
	buffer_store_dword v4, off, s[0:3], 0 offset:148
	buffer_store_dword v3, off, s[0:3], 0 offset:144
	;; [unrolled: 1-line block ×4, first 2 shown]
.LBB97_47:
	s_or_b32 exec_lo, exec_lo, s4
	v_mov_b32_e32 v4, s37
	s_waitcnt_vscnt null, 0x0
	s_barrier
	buffer_gl0_inv
	s_mov_b32 s4, exec_lo
	s_clause 0x3
	buffer_load_dword v1, v4, s[0:3], 0 offen
	buffer_load_dword v2, v4, s[0:3], 0 offen offset:4
	buffer_load_dword v3, v4, s[0:3], 0 offen offset:8
	;; [unrolled: 1-line block ×3, first 2 shown]
	s_waitcnt vmcnt(0)
	ds_write_b128 v73, v[1:4]
	s_waitcnt lgkmcnt(0)
	s_barrier
	buffer_gl0_inv
	v_cmpx_gt_u32_e32 9, v0
	s_cbranch_execz .LBB97_51
; %bb.48:
	v_mov_b32_e32 v1, 0
	v_mov_b32_e32 v3, 0
	v_add_nc_u32_e32 v75, -1, v0
	v_add_nc_u32_e32 v76, 0x220, v79
	v_mov_b32_e32 v2, 0
	v_mov_b32_e32 v4, 0
	v_add_nc_u32_e32 v77, 16, v79
	s_mov_b32 s5, 0
	.p2align	6
.LBB97_49:                              ; =>This Inner Loop Header: Depth=1
	s_clause 0x3
	buffer_load_dword v84, v77, s[0:3], 0 offen offset:8
	buffer_load_dword v85, v77, s[0:3], 0 offen offset:12
	buffer_load_dword v86, v77, s[0:3], 0 offen
	buffer_load_dword v87, v77, s[0:3], 0 offen offset:4
	ds_read_b128 v[80:83], v76
	v_add_nc_u32_e32 v75, 1, v75
	v_add_nc_u32_e32 v76, 16, v76
	;; [unrolled: 1-line block ×3, first 2 shown]
	v_cmp_lt_u32_e32 vcc_lo, 7, v75
	s_or_b32 s5, vcc_lo, s5
	s_waitcnt vmcnt(2) lgkmcnt(0)
	v_mul_f64 v[88:89], v[82:83], v[84:85]
	v_mul_f64 v[84:85], v[80:81], v[84:85]
	s_waitcnt vmcnt(0)
	v_fma_f64 v[80:81], v[80:81], v[86:87], -v[88:89]
	v_fma_f64 v[82:83], v[82:83], v[86:87], v[84:85]
	v_add_f64 v[3:4], v[3:4], v[80:81]
	v_add_f64 v[1:2], v[1:2], v[82:83]
	s_andn2_b32 exec_lo, exec_lo, s5
	s_cbranch_execnz .LBB97_49
; %bb.50:
	s_or_b32 exec_lo, exec_lo, s5
	v_mov_b32_e32 v75, 0
	ds_read_b128 v[75:78], v75 offset:144
	s_waitcnt lgkmcnt(0)
	v_mul_f64 v[80:81], v[1:2], v[77:78]
	v_mul_f64 v[77:78], v[3:4], v[77:78]
	v_fma_f64 v[3:4], v[3:4], v[75:76], -v[80:81]
	v_fma_f64 v[1:2], v[1:2], v[75:76], v[77:78]
	buffer_store_dword v4, off, s[0:3], 0 offset:164
	buffer_store_dword v3, off, s[0:3], 0 offset:160
	;; [unrolled: 1-line block ×4, first 2 shown]
.LBB97_51:
	s_or_b32 exec_lo, exec_lo, s4
	v_mov_b32_e32 v4, s36
	s_waitcnt_vscnt null, 0x0
	s_barrier
	buffer_gl0_inv
	s_mov_b32 s4, exec_lo
	s_clause 0x3
	buffer_load_dword v1, v4, s[0:3], 0 offen
	buffer_load_dword v2, v4, s[0:3], 0 offen offset:4
	buffer_load_dword v3, v4, s[0:3], 0 offen offset:8
	buffer_load_dword v4, v4, s[0:3], 0 offen offset:12
	s_waitcnt vmcnt(0)
	ds_write_b128 v73, v[1:4]
	s_waitcnt lgkmcnt(0)
	s_barrier
	buffer_gl0_inv
	v_cmpx_gt_u32_e32 10, v0
	s_cbranch_execz .LBB97_55
; %bb.52:
	v_mov_b32_e32 v1, 0
	v_mov_b32_e32 v3, 0
	v_add_nc_u32_e32 v75, -1, v0
	v_add_nc_u32_e32 v76, 0x220, v79
	v_mov_b32_e32 v2, 0
	v_mov_b32_e32 v4, 0
	v_add_nc_u32_e32 v77, 16, v79
	s_mov_b32 s5, 0
	.p2align	6
.LBB97_53:                              ; =>This Inner Loop Header: Depth=1
	s_clause 0x3
	buffer_load_dword v84, v77, s[0:3], 0 offen offset:8
	buffer_load_dword v85, v77, s[0:3], 0 offen offset:12
	buffer_load_dword v86, v77, s[0:3], 0 offen
	buffer_load_dword v87, v77, s[0:3], 0 offen offset:4
	ds_read_b128 v[80:83], v76
	v_add_nc_u32_e32 v75, 1, v75
	v_add_nc_u32_e32 v76, 16, v76
	;; [unrolled: 1-line block ×3, first 2 shown]
	v_cmp_lt_u32_e32 vcc_lo, 8, v75
	s_or_b32 s5, vcc_lo, s5
	s_waitcnt vmcnt(2) lgkmcnt(0)
	v_mul_f64 v[88:89], v[82:83], v[84:85]
	v_mul_f64 v[84:85], v[80:81], v[84:85]
	s_waitcnt vmcnt(0)
	v_fma_f64 v[80:81], v[80:81], v[86:87], -v[88:89]
	v_fma_f64 v[82:83], v[82:83], v[86:87], v[84:85]
	v_add_f64 v[3:4], v[3:4], v[80:81]
	v_add_f64 v[1:2], v[1:2], v[82:83]
	s_andn2_b32 exec_lo, exec_lo, s5
	s_cbranch_execnz .LBB97_53
; %bb.54:
	s_or_b32 exec_lo, exec_lo, s5
	v_mov_b32_e32 v75, 0
	ds_read_b128 v[75:78], v75 offset:160
	s_waitcnt lgkmcnt(0)
	v_mul_f64 v[80:81], v[1:2], v[77:78]
	v_mul_f64 v[77:78], v[3:4], v[77:78]
	v_fma_f64 v[3:4], v[3:4], v[75:76], -v[80:81]
	v_fma_f64 v[1:2], v[1:2], v[75:76], v[77:78]
	buffer_store_dword v4, off, s[0:3], 0 offset:180
	buffer_store_dword v3, off, s[0:3], 0 offset:176
	;; [unrolled: 1-line block ×4, first 2 shown]
.LBB97_55:
	s_or_b32 exec_lo, exec_lo, s4
	v_mov_b32_e32 v4, s35
	s_waitcnt_vscnt null, 0x0
	s_barrier
	buffer_gl0_inv
	s_mov_b32 s4, exec_lo
	s_clause 0x3
	buffer_load_dword v1, v4, s[0:3], 0 offen
	buffer_load_dword v2, v4, s[0:3], 0 offen offset:4
	buffer_load_dword v3, v4, s[0:3], 0 offen offset:8
	buffer_load_dword v4, v4, s[0:3], 0 offen offset:12
	s_waitcnt vmcnt(0)
	ds_write_b128 v73, v[1:4]
	s_waitcnt lgkmcnt(0)
	s_barrier
	buffer_gl0_inv
	v_cmpx_gt_u32_e32 11, v0
	s_cbranch_execz .LBB97_59
; %bb.56:
	v_mov_b32_e32 v1, 0
	v_mov_b32_e32 v3, 0
	v_add_nc_u32_e32 v75, -1, v0
	v_add_nc_u32_e32 v76, 0x220, v79
	v_mov_b32_e32 v2, 0
	v_mov_b32_e32 v4, 0
	v_add_nc_u32_e32 v77, 16, v79
	s_mov_b32 s5, 0
	.p2align	6
.LBB97_57:                              ; =>This Inner Loop Header: Depth=1
	s_clause 0x3
	buffer_load_dword v84, v77, s[0:3], 0 offen offset:8
	buffer_load_dword v85, v77, s[0:3], 0 offen offset:12
	buffer_load_dword v86, v77, s[0:3], 0 offen
	buffer_load_dword v87, v77, s[0:3], 0 offen offset:4
	ds_read_b128 v[80:83], v76
	v_add_nc_u32_e32 v75, 1, v75
	v_add_nc_u32_e32 v76, 16, v76
	;; [unrolled: 1-line block ×3, first 2 shown]
	v_cmp_lt_u32_e32 vcc_lo, 9, v75
	s_or_b32 s5, vcc_lo, s5
	s_waitcnt vmcnt(2) lgkmcnt(0)
	v_mul_f64 v[88:89], v[82:83], v[84:85]
	v_mul_f64 v[84:85], v[80:81], v[84:85]
	s_waitcnt vmcnt(0)
	v_fma_f64 v[80:81], v[80:81], v[86:87], -v[88:89]
	v_fma_f64 v[82:83], v[82:83], v[86:87], v[84:85]
	v_add_f64 v[3:4], v[3:4], v[80:81]
	v_add_f64 v[1:2], v[1:2], v[82:83]
	s_andn2_b32 exec_lo, exec_lo, s5
	s_cbranch_execnz .LBB97_57
; %bb.58:
	s_or_b32 exec_lo, exec_lo, s5
	v_mov_b32_e32 v75, 0
	ds_read_b128 v[75:78], v75 offset:176
	s_waitcnt lgkmcnt(0)
	v_mul_f64 v[80:81], v[1:2], v[77:78]
	v_mul_f64 v[77:78], v[3:4], v[77:78]
	v_fma_f64 v[3:4], v[3:4], v[75:76], -v[80:81]
	v_fma_f64 v[1:2], v[1:2], v[75:76], v[77:78]
	buffer_store_dword v4, off, s[0:3], 0 offset:196
	buffer_store_dword v3, off, s[0:3], 0 offset:192
	;; [unrolled: 1-line block ×4, first 2 shown]
.LBB97_59:
	s_or_b32 exec_lo, exec_lo, s4
	v_mov_b32_e32 v4, s34
	s_waitcnt_vscnt null, 0x0
	s_barrier
	buffer_gl0_inv
	s_mov_b32 s4, exec_lo
	s_clause 0x3
	buffer_load_dword v1, v4, s[0:3], 0 offen
	buffer_load_dword v2, v4, s[0:3], 0 offen offset:4
	buffer_load_dword v3, v4, s[0:3], 0 offen offset:8
	;; [unrolled: 1-line block ×3, first 2 shown]
	s_waitcnt vmcnt(0)
	ds_write_b128 v73, v[1:4]
	s_waitcnt lgkmcnt(0)
	s_barrier
	buffer_gl0_inv
	v_cmpx_gt_u32_e32 12, v0
	s_cbranch_execz .LBB97_63
; %bb.60:
	v_mov_b32_e32 v1, 0
	v_mov_b32_e32 v3, 0
	v_add_nc_u32_e32 v75, -1, v0
	v_add_nc_u32_e32 v76, 0x220, v79
	v_mov_b32_e32 v2, 0
	v_mov_b32_e32 v4, 0
	v_add_nc_u32_e32 v77, 16, v79
	s_mov_b32 s5, 0
	.p2align	6
.LBB97_61:                              ; =>This Inner Loop Header: Depth=1
	s_clause 0x3
	buffer_load_dword v84, v77, s[0:3], 0 offen offset:8
	buffer_load_dword v85, v77, s[0:3], 0 offen offset:12
	buffer_load_dword v86, v77, s[0:3], 0 offen
	buffer_load_dword v87, v77, s[0:3], 0 offen offset:4
	ds_read_b128 v[80:83], v76
	v_add_nc_u32_e32 v75, 1, v75
	v_add_nc_u32_e32 v76, 16, v76
	v_add_nc_u32_e32 v77, 16, v77
	v_cmp_lt_u32_e32 vcc_lo, 10, v75
	s_or_b32 s5, vcc_lo, s5
	s_waitcnt vmcnt(2) lgkmcnt(0)
	v_mul_f64 v[88:89], v[82:83], v[84:85]
	v_mul_f64 v[84:85], v[80:81], v[84:85]
	s_waitcnt vmcnt(0)
	v_fma_f64 v[80:81], v[80:81], v[86:87], -v[88:89]
	v_fma_f64 v[82:83], v[82:83], v[86:87], v[84:85]
	v_add_f64 v[3:4], v[3:4], v[80:81]
	v_add_f64 v[1:2], v[1:2], v[82:83]
	s_andn2_b32 exec_lo, exec_lo, s5
	s_cbranch_execnz .LBB97_61
; %bb.62:
	s_or_b32 exec_lo, exec_lo, s5
	v_mov_b32_e32 v75, 0
	ds_read_b128 v[75:78], v75 offset:192
	s_waitcnt lgkmcnt(0)
	v_mul_f64 v[80:81], v[1:2], v[77:78]
	v_mul_f64 v[77:78], v[3:4], v[77:78]
	v_fma_f64 v[3:4], v[3:4], v[75:76], -v[80:81]
	v_fma_f64 v[1:2], v[1:2], v[75:76], v[77:78]
	buffer_store_dword v4, off, s[0:3], 0 offset:212
	buffer_store_dword v3, off, s[0:3], 0 offset:208
	;; [unrolled: 1-line block ×4, first 2 shown]
.LBB97_63:
	s_or_b32 exec_lo, exec_lo, s4
	v_mov_b32_e32 v4, s33
	s_waitcnt_vscnt null, 0x0
	s_barrier
	buffer_gl0_inv
	s_mov_b32 s4, exec_lo
	s_clause 0x3
	buffer_load_dword v1, v4, s[0:3], 0 offen
	buffer_load_dword v2, v4, s[0:3], 0 offen offset:4
	buffer_load_dword v3, v4, s[0:3], 0 offen offset:8
	buffer_load_dword v4, v4, s[0:3], 0 offen offset:12
	s_waitcnt vmcnt(0)
	ds_write_b128 v73, v[1:4]
	s_waitcnt lgkmcnt(0)
	s_barrier
	buffer_gl0_inv
	v_cmpx_gt_u32_e32 13, v0
	s_cbranch_execz .LBB97_67
; %bb.64:
	v_mov_b32_e32 v1, 0
	v_mov_b32_e32 v3, 0
	v_add_nc_u32_e32 v75, -1, v0
	v_add_nc_u32_e32 v76, 0x220, v79
	v_mov_b32_e32 v2, 0
	v_mov_b32_e32 v4, 0
	v_add_nc_u32_e32 v77, 16, v79
	s_mov_b32 s5, 0
	.p2align	6
.LBB97_65:                              ; =>This Inner Loop Header: Depth=1
	s_clause 0x3
	buffer_load_dword v84, v77, s[0:3], 0 offen offset:8
	buffer_load_dword v85, v77, s[0:3], 0 offen offset:12
	buffer_load_dword v86, v77, s[0:3], 0 offen
	buffer_load_dword v87, v77, s[0:3], 0 offen offset:4
	ds_read_b128 v[80:83], v76
	v_add_nc_u32_e32 v75, 1, v75
	v_add_nc_u32_e32 v76, 16, v76
	;; [unrolled: 1-line block ×3, first 2 shown]
	v_cmp_lt_u32_e32 vcc_lo, 11, v75
	s_or_b32 s5, vcc_lo, s5
	s_waitcnt vmcnt(2) lgkmcnt(0)
	v_mul_f64 v[88:89], v[82:83], v[84:85]
	v_mul_f64 v[84:85], v[80:81], v[84:85]
	s_waitcnt vmcnt(0)
	v_fma_f64 v[80:81], v[80:81], v[86:87], -v[88:89]
	v_fma_f64 v[82:83], v[82:83], v[86:87], v[84:85]
	v_add_f64 v[3:4], v[3:4], v[80:81]
	v_add_f64 v[1:2], v[1:2], v[82:83]
	s_andn2_b32 exec_lo, exec_lo, s5
	s_cbranch_execnz .LBB97_65
; %bb.66:
	s_or_b32 exec_lo, exec_lo, s5
	v_mov_b32_e32 v75, 0
	ds_read_b128 v[75:78], v75 offset:208
	s_waitcnt lgkmcnt(0)
	v_mul_f64 v[80:81], v[1:2], v[77:78]
	v_mul_f64 v[77:78], v[3:4], v[77:78]
	v_fma_f64 v[3:4], v[3:4], v[75:76], -v[80:81]
	v_fma_f64 v[1:2], v[1:2], v[75:76], v[77:78]
	buffer_store_dword v4, off, s[0:3], 0 offset:228
	buffer_store_dword v3, off, s[0:3], 0 offset:224
	;; [unrolled: 1-line block ×4, first 2 shown]
.LBB97_67:
	s_or_b32 exec_lo, exec_lo, s4
	v_mov_b32_e32 v4, s31
	s_waitcnt_vscnt null, 0x0
	s_barrier
	buffer_gl0_inv
	s_mov_b32 s4, exec_lo
	s_clause 0x3
	buffer_load_dword v1, v4, s[0:3], 0 offen
	buffer_load_dword v2, v4, s[0:3], 0 offen offset:4
	buffer_load_dword v3, v4, s[0:3], 0 offen offset:8
	;; [unrolled: 1-line block ×3, first 2 shown]
	s_waitcnt vmcnt(0)
	ds_write_b128 v73, v[1:4]
	s_waitcnt lgkmcnt(0)
	s_barrier
	buffer_gl0_inv
	v_cmpx_gt_u32_e32 14, v0
	s_cbranch_execz .LBB97_71
; %bb.68:
	v_mov_b32_e32 v1, 0
	v_mov_b32_e32 v3, 0
	v_add_nc_u32_e32 v75, -1, v0
	v_add_nc_u32_e32 v76, 0x220, v79
	v_mov_b32_e32 v2, 0
	v_mov_b32_e32 v4, 0
	v_add_nc_u32_e32 v77, 16, v79
	s_mov_b32 s5, 0
	.p2align	6
.LBB97_69:                              ; =>This Inner Loop Header: Depth=1
	s_clause 0x3
	buffer_load_dword v84, v77, s[0:3], 0 offen offset:8
	buffer_load_dword v85, v77, s[0:3], 0 offen offset:12
	buffer_load_dword v86, v77, s[0:3], 0 offen
	buffer_load_dword v87, v77, s[0:3], 0 offen offset:4
	ds_read_b128 v[80:83], v76
	v_add_nc_u32_e32 v75, 1, v75
	v_add_nc_u32_e32 v76, 16, v76
	;; [unrolled: 1-line block ×3, first 2 shown]
	v_cmp_lt_u32_e32 vcc_lo, 12, v75
	s_or_b32 s5, vcc_lo, s5
	s_waitcnt vmcnt(2) lgkmcnt(0)
	v_mul_f64 v[88:89], v[82:83], v[84:85]
	v_mul_f64 v[84:85], v[80:81], v[84:85]
	s_waitcnt vmcnt(0)
	v_fma_f64 v[80:81], v[80:81], v[86:87], -v[88:89]
	v_fma_f64 v[82:83], v[82:83], v[86:87], v[84:85]
	v_add_f64 v[3:4], v[3:4], v[80:81]
	v_add_f64 v[1:2], v[1:2], v[82:83]
	s_andn2_b32 exec_lo, exec_lo, s5
	s_cbranch_execnz .LBB97_69
; %bb.70:
	s_or_b32 exec_lo, exec_lo, s5
	v_mov_b32_e32 v75, 0
	ds_read_b128 v[75:78], v75 offset:224
	s_waitcnt lgkmcnt(0)
	v_mul_f64 v[80:81], v[1:2], v[77:78]
	v_mul_f64 v[77:78], v[3:4], v[77:78]
	v_fma_f64 v[3:4], v[3:4], v[75:76], -v[80:81]
	v_fma_f64 v[1:2], v[1:2], v[75:76], v[77:78]
	buffer_store_dword v4, off, s[0:3], 0 offset:244
	buffer_store_dword v3, off, s[0:3], 0 offset:240
	;; [unrolled: 1-line block ×4, first 2 shown]
.LBB97_71:
	s_or_b32 exec_lo, exec_lo, s4
	v_mov_b32_e32 v4, s30
	s_waitcnt_vscnt null, 0x0
	s_barrier
	buffer_gl0_inv
	s_mov_b32 s4, exec_lo
	s_clause 0x3
	buffer_load_dword v1, v4, s[0:3], 0 offen
	buffer_load_dword v2, v4, s[0:3], 0 offen offset:4
	buffer_load_dword v3, v4, s[0:3], 0 offen offset:8
	;; [unrolled: 1-line block ×3, first 2 shown]
	s_waitcnt vmcnt(0)
	ds_write_b128 v73, v[1:4]
	s_waitcnt lgkmcnt(0)
	s_barrier
	buffer_gl0_inv
	v_cmpx_gt_u32_e32 15, v0
	s_cbranch_execz .LBB97_75
; %bb.72:
	v_mov_b32_e32 v1, 0
	v_mov_b32_e32 v3, 0
	v_add_nc_u32_e32 v75, -1, v0
	v_add_nc_u32_e32 v76, 0x220, v79
	v_mov_b32_e32 v2, 0
	v_mov_b32_e32 v4, 0
	v_add_nc_u32_e32 v77, 16, v79
	s_mov_b32 s5, 0
	.p2align	6
.LBB97_73:                              ; =>This Inner Loop Header: Depth=1
	s_clause 0x3
	buffer_load_dword v84, v77, s[0:3], 0 offen offset:8
	buffer_load_dword v85, v77, s[0:3], 0 offen offset:12
	buffer_load_dword v86, v77, s[0:3], 0 offen
	buffer_load_dword v87, v77, s[0:3], 0 offen offset:4
	ds_read_b128 v[80:83], v76
	v_add_nc_u32_e32 v75, 1, v75
	v_add_nc_u32_e32 v76, 16, v76
	;; [unrolled: 1-line block ×3, first 2 shown]
	v_cmp_lt_u32_e32 vcc_lo, 13, v75
	s_or_b32 s5, vcc_lo, s5
	s_waitcnt vmcnt(2) lgkmcnt(0)
	v_mul_f64 v[88:89], v[82:83], v[84:85]
	v_mul_f64 v[84:85], v[80:81], v[84:85]
	s_waitcnt vmcnt(0)
	v_fma_f64 v[80:81], v[80:81], v[86:87], -v[88:89]
	v_fma_f64 v[82:83], v[82:83], v[86:87], v[84:85]
	v_add_f64 v[3:4], v[3:4], v[80:81]
	v_add_f64 v[1:2], v[1:2], v[82:83]
	s_andn2_b32 exec_lo, exec_lo, s5
	s_cbranch_execnz .LBB97_73
; %bb.74:
	s_or_b32 exec_lo, exec_lo, s5
	v_mov_b32_e32 v75, 0
	ds_read_b128 v[75:78], v75 offset:240
	s_waitcnt lgkmcnt(0)
	v_mul_f64 v[80:81], v[1:2], v[77:78]
	v_mul_f64 v[77:78], v[3:4], v[77:78]
	v_fma_f64 v[3:4], v[3:4], v[75:76], -v[80:81]
	v_fma_f64 v[1:2], v[1:2], v[75:76], v[77:78]
	buffer_store_dword v4, off, s[0:3], 0 offset:260
	buffer_store_dword v3, off, s[0:3], 0 offset:256
	;; [unrolled: 1-line block ×4, first 2 shown]
.LBB97_75:
	s_or_b32 exec_lo, exec_lo, s4
	v_mov_b32_e32 v4, s29
	s_waitcnt_vscnt null, 0x0
	s_barrier
	buffer_gl0_inv
	s_mov_b32 s4, exec_lo
	s_clause 0x3
	buffer_load_dword v1, v4, s[0:3], 0 offen
	buffer_load_dword v2, v4, s[0:3], 0 offen offset:4
	buffer_load_dword v3, v4, s[0:3], 0 offen offset:8
	;; [unrolled: 1-line block ×3, first 2 shown]
	s_waitcnt vmcnt(0)
	ds_write_b128 v73, v[1:4]
	s_waitcnt lgkmcnt(0)
	s_barrier
	buffer_gl0_inv
	v_cmpx_gt_u32_e32 16, v0
	s_cbranch_execz .LBB97_79
; %bb.76:
	v_mov_b32_e32 v1, 0
	v_mov_b32_e32 v3, 0
	v_add_nc_u32_e32 v75, -1, v0
	v_add_nc_u32_e32 v76, 0x220, v79
	v_mov_b32_e32 v2, 0
	v_mov_b32_e32 v4, 0
	v_add_nc_u32_e32 v77, 16, v79
	s_mov_b32 s5, 0
	.p2align	6
.LBB97_77:                              ; =>This Inner Loop Header: Depth=1
	s_clause 0x3
	buffer_load_dword v84, v77, s[0:3], 0 offen offset:8
	buffer_load_dword v85, v77, s[0:3], 0 offen offset:12
	buffer_load_dword v86, v77, s[0:3], 0 offen
	buffer_load_dword v87, v77, s[0:3], 0 offen offset:4
	ds_read_b128 v[80:83], v76
	v_add_nc_u32_e32 v75, 1, v75
	v_add_nc_u32_e32 v76, 16, v76
	;; [unrolled: 1-line block ×3, first 2 shown]
	v_cmp_lt_u32_e32 vcc_lo, 14, v75
	s_or_b32 s5, vcc_lo, s5
	s_waitcnt vmcnt(2) lgkmcnt(0)
	v_mul_f64 v[88:89], v[82:83], v[84:85]
	v_mul_f64 v[84:85], v[80:81], v[84:85]
	s_waitcnt vmcnt(0)
	v_fma_f64 v[80:81], v[80:81], v[86:87], -v[88:89]
	v_fma_f64 v[82:83], v[82:83], v[86:87], v[84:85]
	v_add_f64 v[3:4], v[3:4], v[80:81]
	v_add_f64 v[1:2], v[1:2], v[82:83]
	s_andn2_b32 exec_lo, exec_lo, s5
	s_cbranch_execnz .LBB97_77
; %bb.78:
	s_or_b32 exec_lo, exec_lo, s5
	v_mov_b32_e32 v75, 0
	ds_read_b128 v[75:78], v75 offset:256
	s_waitcnt lgkmcnt(0)
	v_mul_f64 v[80:81], v[1:2], v[77:78]
	v_mul_f64 v[77:78], v[3:4], v[77:78]
	v_fma_f64 v[3:4], v[3:4], v[75:76], -v[80:81]
	v_fma_f64 v[1:2], v[1:2], v[75:76], v[77:78]
	buffer_store_dword v4, off, s[0:3], 0 offset:276
	buffer_store_dword v3, off, s[0:3], 0 offset:272
	;; [unrolled: 1-line block ×4, first 2 shown]
.LBB97_79:
	s_or_b32 exec_lo, exec_lo, s4
	v_mov_b32_e32 v4, s28
	s_waitcnt_vscnt null, 0x0
	s_barrier
	buffer_gl0_inv
	s_mov_b32 s4, exec_lo
	s_clause 0x3
	buffer_load_dword v1, v4, s[0:3], 0 offen
	buffer_load_dword v2, v4, s[0:3], 0 offen offset:4
	buffer_load_dword v3, v4, s[0:3], 0 offen offset:8
	;; [unrolled: 1-line block ×3, first 2 shown]
	s_waitcnt vmcnt(0)
	ds_write_b128 v73, v[1:4]
	s_waitcnt lgkmcnt(0)
	s_barrier
	buffer_gl0_inv
	v_cmpx_gt_u32_e32 17, v0
	s_cbranch_execz .LBB97_83
; %bb.80:
	v_mov_b32_e32 v1, 0
	v_mov_b32_e32 v3, 0
	v_add_nc_u32_e32 v75, -1, v0
	v_add_nc_u32_e32 v76, 0x220, v79
	v_mov_b32_e32 v2, 0
	v_mov_b32_e32 v4, 0
	v_add_nc_u32_e32 v77, 16, v79
	s_mov_b32 s5, 0
	.p2align	6
.LBB97_81:                              ; =>This Inner Loop Header: Depth=1
	s_clause 0x3
	buffer_load_dword v84, v77, s[0:3], 0 offen offset:8
	buffer_load_dword v85, v77, s[0:3], 0 offen offset:12
	buffer_load_dword v86, v77, s[0:3], 0 offen
	buffer_load_dword v87, v77, s[0:3], 0 offen offset:4
	ds_read_b128 v[80:83], v76
	v_add_nc_u32_e32 v75, 1, v75
	v_add_nc_u32_e32 v76, 16, v76
	;; [unrolled: 1-line block ×3, first 2 shown]
	v_cmp_lt_u32_e32 vcc_lo, 15, v75
	s_or_b32 s5, vcc_lo, s5
	s_waitcnt vmcnt(2) lgkmcnt(0)
	v_mul_f64 v[88:89], v[82:83], v[84:85]
	v_mul_f64 v[84:85], v[80:81], v[84:85]
	s_waitcnt vmcnt(0)
	v_fma_f64 v[80:81], v[80:81], v[86:87], -v[88:89]
	v_fma_f64 v[82:83], v[82:83], v[86:87], v[84:85]
	v_add_f64 v[3:4], v[3:4], v[80:81]
	v_add_f64 v[1:2], v[1:2], v[82:83]
	s_andn2_b32 exec_lo, exec_lo, s5
	s_cbranch_execnz .LBB97_81
; %bb.82:
	s_or_b32 exec_lo, exec_lo, s5
	v_mov_b32_e32 v75, 0
	ds_read_b128 v[75:78], v75 offset:272
	s_waitcnt lgkmcnt(0)
	v_mul_f64 v[80:81], v[1:2], v[77:78]
	v_mul_f64 v[77:78], v[3:4], v[77:78]
	v_fma_f64 v[3:4], v[3:4], v[75:76], -v[80:81]
	v_fma_f64 v[1:2], v[1:2], v[75:76], v[77:78]
	buffer_store_dword v4, off, s[0:3], 0 offset:292
	buffer_store_dword v3, off, s[0:3], 0 offset:288
	;; [unrolled: 1-line block ×4, first 2 shown]
.LBB97_83:
	s_or_b32 exec_lo, exec_lo, s4
	v_mov_b32_e32 v4, s27
	s_waitcnt_vscnt null, 0x0
	s_barrier
	buffer_gl0_inv
	s_mov_b32 s4, exec_lo
	s_clause 0x3
	buffer_load_dword v1, v4, s[0:3], 0 offen
	buffer_load_dword v2, v4, s[0:3], 0 offen offset:4
	buffer_load_dword v3, v4, s[0:3], 0 offen offset:8
	buffer_load_dword v4, v4, s[0:3], 0 offen offset:12
	s_waitcnt vmcnt(0)
	ds_write_b128 v73, v[1:4]
	s_waitcnt lgkmcnt(0)
	s_barrier
	buffer_gl0_inv
	v_cmpx_gt_u32_e32 18, v0
	s_cbranch_execz .LBB97_87
; %bb.84:
	v_mov_b32_e32 v1, 0
	v_mov_b32_e32 v3, 0
	v_add_nc_u32_e32 v75, -1, v0
	v_add_nc_u32_e32 v76, 0x220, v79
	v_mov_b32_e32 v2, 0
	v_mov_b32_e32 v4, 0
	v_add_nc_u32_e32 v77, 16, v79
	s_mov_b32 s5, 0
	.p2align	6
.LBB97_85:                              ; =>This Inner Loop Header: Depth=1
	s_clause 0x3
	buffer_load_dword v84, v77, s[0:3], 0 offen offset:8
	buffer_load_dword v85, v77, s[0:3], 0 offen offset:12
	buffer_load_dword v86, v77, s[0:3], 0 offen
	buffer_load_dword v87, v77, s[0:3], 0 offen offset:4
	ds_read_b128 v[80:83], v76
	v_add_nc_u32_e32 v75, 1, v75
	v_add_nc_u32_e32 v76, 16, v76
	;; [unrolled: 1-line block ×3, first 2 shown]
	v_cmp_lt_u32_e32 vcc_lo, 16, v75
	s_or_b32 s5, vcc_lo, s5
	s_waitcnt vmcnt(2) lgkmcnt(0)
	v_mul_f64 v[88:89], v[82:83], v[84:85]
	v_mul_f64 v[84:85], v[80:81], v[84:85]
	s_waitcnt vmcnt(0)
	v_fma_f64 v[80:81], v[80:81], v[86:87], -v[88:89]
	v_fma_f64 v[82:83], v[82:83], v[86:87], v[84:85]
	v_add_f64 v[3:4], v[3:4], v[80:81]
	v_add_f64 v[1:2], v[1:2], v[82:83]
	s_andn2_b32 exec_lo, exec_lo, s5
	s_cbranch_execnz .LBB97_85
; %bb.86:
	s_or_b32 exec_lo, exec_lo, s5
	v_mov_b32_e32 v75, 0
	ds_read_b128 v[75:78], v75 offset:288
	s_waitcnt lgkmcnt(0)
	v_mul_f64 v[80:81], v[1:2], v[77:78]
	v_mul_f64 v[77:78], v[3:4], v[77:78]
	v_fma_f64 v[3:4], v[3:4], v[75:76], -v[80:81]
	v_fma_f64 v[1:2], v[1:2], v[75:76], v[77:78]
	buffer_store_dword v4, off, s[0:3], 0 offset:308
	buffer_store_dword v3, off, s[0:3], 0 offset:304
	;; [unrolled: 1-line block ×4, first 2 shown]
.LBB97_87:
	s_or_b32 exec_lo, exec_lo, s4
	v_mov_b32_e32 v4, s26
	s_waitcnt_vscnt null, 0x0
	s_barrier
	buffer_gl0_inv
	s_mov_b32 s4, exec_lo
	s_clause 0x3
	buffer_load_dword v1, v4, s[0:3], 0 offen
	buffer_load_dword v2, v4, s[0:3], 0 offen offset:4
	buffer_load_dword v3, v4, s[0:3], 0 offen offset:8
	buffer_load_dword v4, v4, s[0:3], 0 offen offset:12
	s_waitcnt vmcnt(0)
	ds_write_b128 v73, v[1:4]
	s_waitcnt lgkmcnt(0)
	s_barrier
	buffer_gl0_inv
	v_cmpx_gt_u32_e32 19, v0
	s_cbranch_execz .LBB97_91
; %bb.88:
	v_mov_b32_e32 v1, 0
	v_mov_b32_e32 v3, 0
	v_add_nc_u32_e32 v75, -1, v0
	v_add_nc_u32_e32 v76, 0x220, v79
	v_mov_b32_e32 v2, 0
	v_mov_b32_e32 v4, 0
	v_add_nc_u32_e32 v77, 16, v79
	s_mov_b32 s5, 0
	.p2align	6
.LBB97_89:                              ; =>This Inner Loop Header: Depth=1
	s_clause 0x3
	buffer_load_dword v84, v77, s[0:3], 0 offen offset:8
	buffer_load_dword v85, v77, s[0:3], 0 offen offset:12
	buffer_load_dword v86, v77, s[0:3], 0 offen
	buffer_load_dword v87, v77, s[0:3], 0 offen offset:4
	ds_read_b128 v[80:83], v76
	v_add_nc_u32_e32 v75, 1, v75
	v_add_nc_u32_e32 v76, 16, v76
	;; [unrolled: 1-line block ×3, first 2 shown]
	v_cmp_lt_u32_e32 vcc_lo, 17, v75
	s_or_b32 s5, vcc_lo, s5
	s_waitcnt vmcnt(2) lgkmcnt(0)
	v_mul_f64 v[88:89], v[82:83], v[84:85]
	v_mul_f64 v[84:85], v[80:81], v[84:85]
	s_waitcnt vmcnt(0)
	v_fma_f64 v[80:81], v[80:81], v[86:87], -v[88:89]
	v_fma_f64 v[82:83], v[82:83], v[86:87], v[84:85]
	v_add_f64 v[3:4], v[3:4], v[80:81]
	v_add_f64 v[1:2], v[1:2], v[82:83]
	s_andn2_b32 exec_lo, exec_lo, s5
	s_cbranch_execnz .LBB97_89
; %bb.90:
	s_or_b32 exec_lo, exec_lo, s5
	v_mov_b32_e32 v75, 0
	ds_read_b128 v[75:78], v75 offset:304
	s_waitcnt lgkmcnt(0)
	v_mul_f64 v[80:81], v[1:2], v[77:78]
	v_mul_f64 v[77:78], v[3:4], v[77:78]
	v_fma_f64 v[3:4], v[3:4], v[75:76], -v[80:81]
	v_fma_f64 v[1:2], v[1:2], v[75:76], v[77:78]
	buffer_store_dword v4, off, s[0:3], 0 offset:324
	buffer_store_dword v3, off, s[0:3], 0 offset:320
	;; [unrolled: 1-line block ×4, first 2 shown]
.LBB97_91:
	s_or_b32 exec_lo, exec_lo, s4
	v_mov_b32_e32 v4, s25
	s_waitcnt_vscnt null, 0x0
	s_barrier
	buffer_gl0_inv
	s_mov_b32 s4, exec_lo
	s_clause 0x3
	buffer_load_dword v1, v4, s[0:3], 0 offen
	buffer_load_dword v2, v4, s[0:3], 0 offen offset:4
	buffer_load_dword v3, v4, s[0:3], 0 offen offset:8
	;; [unrolled: 1-line block ×3, first 2 shown]
	s_waitcnt vmcnt(0)
	ds_write_b128 v73, v[1:4]
	s_waitcnt lgkmcnt(0)
	s_barrier
	buffer_gl0_inv
	v_cmpx_gt_u32_e32 20, v0
	s_cbranch_execz .LBB97_95
; %bb.92:
	v_mov_b32_e32 v1, 0
	v_mov_b32_e32 v3, 0
	v_add_nc_u32_e32 v75, -1, v0
	v_add_nc_u32_e32 v76, 0x220, v79
	v_mov_b32_e32 v2, 0
	v_mov_b32_e32 v4, 0
	v_add_nc_u32_e32 v77, 16, v79
	s_mov_b32 s5, 0
	.p2align	6
.LBB97_93:                              ; =>This Inner Loop Header: Depth=1
	s_clause 0x3
	buffer_load_dword v84, v77, s[0:3], 0 offen offset:8
	buffer_load_dword v85, v77, s[0:3], 0 offen offset:12
	buffer_load_dword v86, v77, s[0:3], 0 offen
	buffer_load_dword v87, v77, s[0:3], 0 offen offset:4
	ds_read_b128 v[80:83], v76
	v_add_nc_u32_e32 v75, 1, v75
	v_add_nc_u32_e32 v76, 16, v76
	;; [unrolled: 1-line block ×3, first 2 shown]
	v_cmp_lt_u32_e32 vcc_lo, 18, v75
	s_or_b32 s5, vcc_lo, s5
	s_waitcnt vmcnt(2) lgkmcnt(0)
	v_mul_f64 v[88:89], v[82:83], v[84:85]
	v_mul_f64 v[84:85], v[80:81], v[84:85]
	s_waitcnt vmcnt(0)
	v_fma_f64 v[80:81], v[80:81], v[86:87], -v[88:89]
	v_fma_f64 v[82:83], v[82:83], v[86:87], v[84:85]
	v_add_f64 v[3:4], v[3:4], v[80:81]
	v_add_f64 v[1:2], v[1:2], v[82:83]
	s_andn2_b32 exec_lo, exec_lo, s5
	s_cbranch_execnz .LBB97_93
; %bb.94:
	s_or_b32 exec_lo, exec_lo, s5
	v_mov_b32_e32 v75, 0
	ds_read_b128 v[75:78], v75 offset:320
	s_waitcnt lgkmcnt(0)
	v_mul_f64 v[80:81], v[1:2], v[77:78]
	v_mul_f64 v[77:78], v[3:4], v[77:78]
	v_fma_f64 v[3:4], v[3:4], v[75:76], -v[80:81]
	v_fma_f64 v[1:2], v[1:2], v[75:76], v[77:78]
	buffer_store_dword v4, off, s[0:3], 0 offset:340
	buffer_store_dword v3, off, s[0:3], 0 offset:336
	;; [unrolled: 1-line block ×4, first 2 shown]
.LBB97_95:
	s_or_b32 exec_lo, exec_lo, s4
	v_mov_b32_e32 v4, s24
	s_waitcnt_vscnt null, 0x0
	s_barrier
	buffer_gl0_inv
	s_mov_b32 s4, exec_lo
	s_clause 0x3
	buffer_load_dword v1, v4, s[0:3], 0 offen
	buffer_load_dword v2, v4, s[0:3], 0 offen offset:4
	buffer_load_dword v3, v4, s[0:3], 0 offen offset:8
	;; [unrolled: 1-line block ×3, first 2 shown]
	s_waitcnt vmcnt(0)
	ds_write_b128 v73, v[1:4]
	s_waitcnt lgkmcnt(0)
	s_barrier
	buffer_gl0_inv
	v_cmpx_gt_u32_e32 21, v0
	s_cbranch_execz .LBB97_99
; %bb.96:
	v_mov_b32_e32 v1, 0
	v_mov_b32_e32 v3, 0
	v_add_nc_u32_e32 v75, -1, v0
	v_add_nc_u32_e32 v76, 0x220, v79
	v_mov_b32_e32 v2, 0
	v_mov_b32_e32 v4, 0
	v_add_nc_u32_e32 v77, 16, v79
	s_mov_b32 s5, 0
	.p2align	6
.LBB97_97:                              ; =>This Inner Loop Header: Depth=1
	s_clause 0x3
	buffer_load_dword v84, v77, s[0:3], 0 offen offset:8
	buffer_load_dword v85, v77, s[0:3], 0 offen offset:12
	buffer_load_dword v86, v77, s[0:3], 0 offen
	buffer_load_dword v87, v77, s[0:3], 0 offen offset:4
	ds_read_b128 v[80:83], v76
	v_add_nc_u32_e32 v75, 1, v75
	v_add_nc_u32_e32 v76, 16, v76
	;; [unrolled: 1-line block ×3, first 2 shown]
	v_cmp_lt_u32_e32 vcc_lo, 19, v75
	s_or_b32 s5, vcc_lo, s5
	s_waitcnt vmcnt(2) lgkmcnt(0)
	v_mul_f64 v[88:89], v[82:83], v[84:85]
	v_mul_f64 v[84:85], v[80:81], v[84:85]
	s_waitcnt vmcnt(0)
	v_fma_f64 v[80:81], v[80:81], v[86:87], -v[88:89]
	v_fma_f64 v[82:83], v[82:83], v[86:87], v[84:85]
	v_add_f64 v[3:4], v[3:4], v[80:81]
	v_add_f64 v[1:2], v[1:2], v[82:83]
	s_andn2_b32 exec_lo, exec_lo, s5
	s_cbranch_execnz .LBB97_97
; %bb.98:
	s_or_b32 exec_lo, exec_lo, s5
	v_mov_b32_e32 v75, 0
	ds_read_b128 v[75:78], v75 offset:336
	s_waitcnt lgkmcnt(0)
	v_mul_f64 v[80:81], v[1:2], v[77:78]
	v_mul_f64 v[77:78], v[3:4], v[77:78]
	v_fma_f64 v[3:4], v[3:4], v[75:76], -v[80:81]
	v_fma_f64 v[1:2], v[1:2], v[75:76], v[77:78]
	buffer_store_dword v4, off, s[0:3], 0 offset:356
	buffer_store_dword v3, off, s[0:3], 0 offset:352
	;; [unrolled: 1-line block ×4, first 2 shown]
.LBB97_99:
	s_or_b32 exec_lo, exec_lo, s4
	v_mov_b32_e32 v4, s23
	s_waitcnt_vscnt null, 0x0
	s_barrier
	buffer_gl0_inv
	s_mov_b32 s4, exec_lo
	s_clause 0x3
	buffer_load_dword v1, v4, s[0:3], 0 offen
	buffer_load_dword v2, v4, s[0:3], 0 offen offset:4
	buffer_load_dword v3, v4, s[0:3], 0 offen offset:8
	;; [unrolled: 1-line block ×3, first 2 shown]
	s_waitcnt vmcnt(0)
	ds_write_b128 v73, v[1:4]
	s_waitcnt lgkmcnt(0)
	s_barrier
	buffer_gl0_inv
	v_cmpx_gt_u32_e32 22, v0
	s_cbranch_execz .LBB97_103
; %bb.100:
	v_mov_b32_e32 v1, 0
	v_mov_b32_e32 v3, 0
	v_add_nc_u32_e32 v75, -1, v0
	v_add_nc_u32_e32 v76, 0x220, v79
	v_mov_b32_e32 v2, 0
	v_mov_b32_e32 v4, 0
	v_add_nc_u32_e32 v77, 16, v79
	s_mov_b32 s5, 0
	.p2align	6
.LBB97_101:                             ; =>This Inner Loop Header: Depth=1
	s_clause 0x3
	buffer_load_dword v84, v77, s[0:3], 0 offen offset:8
	buffer_load_dword v85, v77, s[0:3], 0 offen offset:12
	buffer_load_dword v86, v77, s[0:3], 0 offen
	buffer_load_dword v87, v77, s[0:3], 0 offen offset:4
	ds_read_b128 v[80:83], v76
	v_add_nc_u32_e32 v75, 1, v75
	v_add_nc_u32_e32 v76, 16, v76
	;; [unrolled: 1-line block ×3, first 2 shown]
	v_cmp_lt_u32_e32 vcc_lo, 20, v75
	s_or_b32 s5, vcc_lo, s5
	s_waitcnt vmcnt(2) lgkmcnt(0)
	v_mul_f64 v[88:89], v[82:83], v[84:85]
	v_mul_f64 v[84:85], v[80:81], v[84:85]
	s_waitcnt vmcnt(0)
	v_fma_f64 v[80:81], v[80:81], v[86:87], -v[88:89]
	v_fma_f64 v[82:83], v[82:83], v[86:87], v[84:85]
	v_add_f64 v[3:4], v[3:4], v[80:81]
	v_add_f64 v[1:2], v[1:2], v[82:83]
	s_andn2_b32 exec_lo, exec_lo, s5
	s_cbranch_execnz .LBB97_101
; %bb.102:
	s_or_b32 exec_lo, exec_lo, s5
	v_mov_b32_e32 v75, 0
	ds_read_b128 v[75:78], v75 offset:352
	s_waitcnt lgkmcnt(0)
	v_mul_f64 v[80:81], v[1:2], v[77:78]
	v_mul_f64 v[77:78], v[3:4], v[77:78]
	v_fma_f64 v[3:4], v[3:4], v[75:76], -v[80:81]
	v_fma_f64 v[1:2], v[1:2], v[75:76], v[77:78]
	buffer_store_dword v4, off, s[0:3], 0 offset:372
	buffer_store_dword v3, off, s[0:3], 0 offset:368
	;; [unrolled: 1-line block ×4, first 2 shown]
.LBB97_103:
	s_or_b32 exec_lo, exec_lo, s4
	v_mov_b32_e32 v4, s22
	s_waitcnt_vscnt null, 0x0
	s_barrier
	buffer_gl0_inv
	s_mov_b32 s4, exec_lo
	s_clause 0x3
	buffer_load_dword v1, v4, s[0:3], 0 offen
	buffer_load_dword v2, v4, s[0:3], 0 offen offset:4
	buffer_load_dword v3, v4, s[0:3], 0 offen offset:8
	;; [unrolled: 1-line block ×3, first 2 shown]
	s_waitcnt vmcnt(0)
	ds_write_b128 v73, v[1:4]
	s_waitcnt lgkmcnt(0)
	s_barrier
	buffer_gl0_inv
	v_cmpx_gt_u32_e32 23, v0
	s_cbranch_execz .LBB97_107
; %bb.104:
	v_mov_b32_e32 v1, 0
	v_mov_b32_e32 v3, 0
	v_add_nc_u32_e32 v75, -1, v0
	v_add_nc_u32_e32 v76, 0x220, v79
	v_mov_b32_e32 v2, 0
	v_mov_b32_e32 v4, 0
	v_add_nc_u32_e32 v77, 16, v79
	s_mov_b32 s5, 0
	.p2align	6
.LBB97_105:                             ; =>This Inner Loop Header: Depth=1
	s_clause 0x3
	buffer_load_dword v84, v77, s[0:3], 0 offen offset:8
	buffer_load_dword v85, v77, s[0:3], 0 offen offset:12
	buffer_load_dword v86, v77, s[0:3], 0 offen
	buffer_load_dword v87, v77, s[0:3], 0 offen offset:4
	ds_read_b128 v[80:83], v76
	v_add_nc_u32_e32 v75, 1, v75
	v_add_nc_u32_e32 v76, 16, v76
	;; [unrolled: 1-line block ×3, first 2 shown]
	v_cmp_lt_u32_e32 vcc_lo, 21, v75
	s_or_b32 s5, vcc_lo, s5
	s_waitcnt vmcnt(2) lgkmcnt(0)
	v_mul_f64 v[88:89], v[82:83], v[84:85]
	v_mul_f64 v[84:85], v[80:81], v[84:85]
	s_waitcnt vmcnt(0)
	v_fma_f64 v[80:81], v[80:81], v[86:87], -v[88:89]
	v_fma_f64 v[82:83], v[82:83], v[86:87], v[84:85]
	v_add_f64 v[3:4], v[3:4], v[80:81]
	v_add_f64 v[1:2], v[1:2], v[82:83]
	s_andn2_b32 exec_lo, exec_lo, s5
	s_cbranch_execnz .LBB97_105
; %bb.106:
	s_or_b32 exec_lo, exec_lo, s5
	v_mov_b32_e32 v75, 0
	ds_read_b128 v[75:78], v75 offset:368
	s_waitcnt lgkmcnt(0)
	v_mul_f64 v[80:81], v[1:2], v[77:78]
	v_mul_f64 v[77:78], v[3:4], v[77:78]
	v_fma_f64 v[3:4], v[3:4], v[75:76], -v[80:81]
	v_fma_f64 v[1:2], v[1:2], v[75:76], v[77:78]
	buffer_store_dword v4, off, s[0:3], 0 offset:388
	buffer_store_dword v3, off, s[0:3], 0 offset:384
	;; [unrolled: 1-line block ×4, first 2 shown]
.LBB97_107:
	s_or_b32 exec_lo, exec_lo, s4
	v_mov_b32_e32 v4, s21
	s_waitcnt_vscnt null, 0x0
	s_barrier
	buffer_gl0_inv
	s_mov_b32 s4, exec_lo
	s_clause 0x3
	buffer_load_dword v1, v4, s[0:3], 0 offen
	buffer_load_dword v2, v4, s[0:3], 0 offen offset:4
	buffer_load_dword v3, v4, s[0:3], 0 offen offset:8
	;; [unrolled: 1-line block ×3, first 2 shown]
	s_waitcnt vmcnt(0)
	ds_write_b128 v73, v[1:4]
	s_waitcnt lgkmcnt(0)
	s_barrier
	buffer_gl0_inv
	v_cmpx_gt_u32_e32 24, v0
	s_cbranch_execz .LBB97_111
; %bb.108:
	v_mov_b32_e32 v1, 0
	v_mov_b32_e32 v3, 0
	v_add_nc_u32_e32 v75, -1, v0
	v_add_nc_u32_e32 v76, 0x220, v79
	v_mov_b32_e32 v2, 0
	v_mov_b32_e32 v4, 0
	v_add_nc_u32_e32 v77, 16, v79
	s_mov_b32 s5, 0
	.p2align	6
.LBB97_109:                             ; =>This Inner Loop Header: Depth=1
	s_clause 0x3
	buffer_load_dword v84, v77, s[0:3], 0 offen offset:8
	buffer_load_dword v85, v77, s[0:3], 0 offen offset:12
	buffer_load_dword v86, v77, s[0:3], 0 offen
	buffer_load_dword v87, v77, s[0:3], 0 offen offset:4
	ds_read_b128 v[80:83], v76
	v_add_nc_u32_e32 v75, 1, v75
	v_add_nc_u32_e32 v76, 16, v76
	;; [unrolled: 1-line block ×3, first 2 shown]
	v_cmp_lt_u32_e32 vcc_lo, 22, v75
	s_or_b32 s5, vcc_lo, s5
	s_waitcnt vmcnt(2) lgkmcnt(0)
	v_mul_f64 v[88:89], v[82:83], v[84:85]
	v_mul_f64 v[84:85], v[80:81], v[84:85]
	s_waitcnt vmcnt(0)
	v_fma_f64 v[80:81], v[80:81], v[86:87], -v[88:89]
	v_fma_f64 v[82:83], v[82:83], v[86:87], v[84:85]
	v_add_f64 v[3:4], v[3:4], v[80:81]
	v_add_f64 v[1:2], v[1:2], v[82:83]
	s_andn2_b32 exec_lo, exec_lo, s5
	s_cbranch_execnz .LBB97_109
; %bb.110:
	s_or_b32 exec_lo, exec_lo, s5
	v_mov_b32_e32 v75, 0
	ds_read_b128 v[75:78], v75 offset:384
	s_waitcnt lgkmcnt(0)
	v_mul_f64 v[80:81], v[1:2], v[77:78]
	v_mul_f64 v[77:78], v[3:4], v[77:78]
	v_fma_f64 v[3:4], v[3:4], v[75:76], -v[80:81]
	v_fma_f64 v[1:2], v[1:2], v[75:76], v[77:78]
	buffer_store_dword v4, off, s[0:3], 0 offset:404
	buffer_store_dword v3, off, s[0:3], 0 offset:400
	;; [unrolled: 1-line block ×4, first 2 shown]
.LBB97_111:
	s_or_b32 exec_lo, exec_lo, s4
	v_mov_b32_e32 v4, s20
	s_waitcnt_vscnt null, 0x0
	s_barrier
	buffer_gl0_inv
	s_mov_b32 s4, exec_lo
	s_clause 0x3
	buffer_load_dword v1, v4, s[0:3], 0 offen
	buffer_load_dword v2, v4, s[0:3], 0 offen offset:4
	buffer_load_dword v3, v4, s[0:3], 0 offen offset:8
	;; [unrolled: 1-line block ×3, first 2 shown]
	s_waitcnt vmcnt(0)
	ds_write_b128 v73, v[1:4]
	s_waitcnt lgkmcnt(0)
	s_barrier
	buffer_gl0_inv
	v_cmpx_gt_u32_e32 25, v0
	s_cbranch_execz .LBB97_115
; %bb.112:
	v_mov_b32_e32 v1, 0
	v_mov_b32_e32 v3, 0
	v_add_nc_u32_e32 v75, -1, v0
	v_add_nc_u32_e32 v76, 0x220, v79
	v_mov_b32_e32 v2, 0
	v_mov_b32_e32 v4, 0
	v_add_nc_u32_e32 v77, 16, v79
	s_mov_b32 s5, 0
	.p2align	6
.LBB97_113:                             ; =>This Inner Loop Header: Depth=1
	s_clause 0x3
	buffer_load_dword v84, v77, s[0:3], 0 offen offset:8
	buffer_load_dword v85, v77, s[0:3], 0 offen offset:12
	buffer_load_dword v86, v77, s[0:3], 0 offen
	buffer_load_dword v87, v77, s[0:3], 0 offen offset:4
	ds_read_b128 v[80:83], v76
	v_add_nc_u32_e32 v75, 1, v75
	v_add_nc_u32_e32 v76, 16, v76
	;; [unrolled: 1-line block ×3, first 2 shown]
	v_cmp_lt_u32_e32 vcc_lo, 23, v75
	s_or_b32 s5, vcc_lo, s5
	s_waitcnt vmcnt(2) lgkmcnt(0)
	v_mul_f64 v[88:89], v[82:83], v[84:85]
	v_mul_f64 v[84:85], v[80:81], v[84:85]
	s_waitcnt vmcnt(0)
	v_fma_f64 v[80:81], v[80:81], v[86:87], -v[88:89]
	v_fma_f64 v[82:83], v[82:83], v[86:87], v[84:85]
	v_add_f64 v[3:4], v[3:4], v[80:81]
	v_add_f64 v[1:2], v[1:2], v[82:83]
	s_andn2_b32 exec_lo, exec_lo, s5
	s_cbranch_execnz .LBB97_113
; %bb.114:
	s_or_b32 exec_lo, exec_lo, s5
	v_mov_b32_e32 v75, 0
	ds_read_b128 v[75:78], v75 offset:400
	s_waitcnt lgkmcnt(0)
	v_mul_f64 v[80:81], v[1:2], v[77:78]
	v_mul_f64 v[77:78], v[3:4], v[77:78]
	v_fma_f64 v[3:4], v[3:4], v[75:76], -v[80:81]
	v_fma_f64 v[1:2], v[1:2], v[75:76], v[77:78]
	buffer_store_dword v4, off, s[0:3], 0 offset:420
	buffer_store_dword v3, off, s[0:3], 0 offset:416
	;; [unrolled: 1-line block ×4, first 2 shown]
.LBB97_115:
	s_or_b32 exec_lo, exec_lo, s4
	v_mov_b32_e32 v4, s19
	s_waitcnt_vscnt null, 0x0
	s_barrier
	buffer_gl0_inv
	s_mov_b32 s4, exec_lo
	s_clause 0x3
	buffer_load_dword v1, v4, s[0:3], 0 offen
	buffer_load_dword v2, v4, s[0:3], 0 offen offset:4
	buffer_load_dword v3, v4, s[0:3], 0 offen offset:8
	;; [unrolled: 1-line block ×3, first 2 shown]
	s_waitcnt vmcnt(0)
	ds_write_b128 v73, v[1:4]
	s_waitcnt lgkmcnt(0)
	s_barrier
	buffer_gl0_inv
	v_cmpx_gt_u32_e32 26, v0
	s_cbranch_execz .LBB97_119
; %bb.116:
	v_mov_b32_e32 v1, 0
	v_mov_b32_e32 v3, 0
	v_add_nc_u32_e32 v75, -1, v0
	v_add_nc_u32_e32 v76, 0x220, v79
	v_mov_b32_e32 v2, 0
	v_mov_b32_e32 v4, 0
	v_add_nc_u32_e32 v77, 16, v79
	s_mov_b32 s5, 0
	.p2align	6
.LBB97_117:                             ; =>This Inner Loop Header: Depth=1
	s_clause 0x3
	buffer_load_dword v84, v77, s[0:3], 0 offen offset:8
	buffer_load_dword v85, v77, s[0:3], 0 offen offset:12
	buffer_load_dword v86, v77, s[0:3], 0 offen
	buffer_load_dword v87, v77, s[0:3], 0 offen offset:4
	ds_read_b128 v[80:83], v76
	v_add_nc_u32_e32 v75, 1, v75
	v_add_nc_u32_e32 v76, 16, v76
	;; [unrolled: 1-line block ×3, first 2 shown]
	v_cmp_lt_u32_e32 vcc_lo, 24, v75
	s_or_b32 s5, vcc_lo, s5
	s_waitcnt vmcnt(2) lgkmcnt(0)
	v_mul_f64 v[88:89], v[82:83], v[84:85]
	v_mul_f64 v[84:85], v[80:81], v[84:85]
	s_waitcnt vmcnt(0)
	v_fma_f64 v[80:81], v[80:81], v[86:87], -v[88:89]
	v_fma_f64 v[82:83], v[82:83], v[86:87], v[84:85]
	v_add_f64 v[3:4], v[3:4], v[80:81]
	v_add_f64 v[1:2], v[1:2], v[82:83]
	s_andn2_b32 exec_lo, exec_lo, s5
	s_cbranch_execnz .LBB97_117
; %bb.118:
	s_or_b32 exec_lo, exec_lo, s5
	v_mov_b32_e32 v75, 0
	ds_read_b128 v[75:78], v75 offset:416
	s_waitcnt lgkmcnt(0)
	v_mul_f64 v[80:81], v[1:2], v[77:78]
	v_mul_f64 v[77:78], v[3:4], v[77:78]
	v_fma_f64 v[3:4], v[3:4], v[75:76], -v[80:81]
	v_fma_f64 v[1:2], v[1:2], v[75:76], v[77:78]
	buffer_store_dword v4, off, s[0:3], 0 offset:436
	buffer_store_dword v3, off, s[0:3], 0 offset:432
	;; [unrolled: 1-line block ×4, first 2 shown]
.LBB97_119:
	s_or_b32 exec_lo, exec_lo, s4
	v_mov_b32_e32 v4, s18
	s_waitcnt_vscnt null, 0x0
	s_barrier
	buffer_gl0_inv
	s_mov_b32 s4, exec_lo
	s_clause 0x3
	buffer_load_dword v1, v4, s[0:3], 0 offen
	buffer_load_dword v2, v4, s[0:3], 0 offen offset:4
	buffer_load_dword v3, v4, s[0:3], 0 offen offset:8
	;; [unrolled: 1-line block ×3, first 2 shown]
	s_waitcnt vmcnt(0)
	ds_write_b128 v73, v[1:4]
	s_waitcnt lgkmcnt(0)
	s_barrier
	buffer_gl0_inv
	v_cmpx_gt_u32_e32 27, v0
	s_cbranch_execz .LBB97_123
; %bb.120:
	v_mov_b32_e32 v1, 0
	v_mov_b32_e32 v3, 0
	v_add_nc_u32_e32 v75, -1, v0
	v_add_nc_u32_e32 v76, 0x220, v79
	v_mov_b32_e32 v2, 0
	v_mov_b32_e32 v4, 0
	v_add_nc_u32_e32 v77, 16, v79
	s_mov_b32 s5, 0
	.p2align	6
.LBB97_121:                             ; =>This Inner Loop Header: Depth=1
	s_clause 0x3
	buffer_load_dword v84, v77, s[0:3], 0 offen offset:8
	buffer_load_dword v85, v77, s[0:3], 0 offen offset:12
	buffer_load_dword v86, v77, s[0:3], 0 offen
	buffer_load_dword v87, v77, s[0:3], 0 offen offset:4
	ds_read_b128 v[80:83], v76
	v_add_nc_u32_e32 v75, 1, v75
	v_add_nc_u32_e32 v76, 16, v76
	;; [unrolled: 1-line block ×3, first 2 shown]
	v_cmp_lt_u32_e32 vcc_lo, 25, v75
	s_or_b32 s5, vcc_lo, s5
	s_waitcnt vmcnt(2) lgkmcnt(0)
	v_mul_f64 v[88:89], v[82:83], v[84:85]
	v_mul_f64 v[84:85], v[80:81], v[84:85]
	s_waitcnt vmcnt(0)
	v_fma_f64 v[80:81], v[80:81], v[86:87], -v[88:89]
	v_fma_f64 v[82:83], v[82:83], v[86:87], v[84:85]
	v_add_f64 v[3:4], v[3:4], v[80:81]
	v_add_f64 v[1:2], v[1:2], v[82:83]
	s_andn2_b32 exec_lo, exec_lo, s5
	s_cbranch_execnz .LBB97_121
; %bb.122:
	s_or_b32 exec_lo, exec_lo, s5
	v_mov_b32_e32 v75, 0
	ds_read_b128 v[75:78], v75 offset:432
	s_waitcnt lgkmcnt(0)
	v_mul_f64 v[80:81], v[1:2], v[77:78]
	v_mul_f64 v[77:78], v[3:4], v[77:78]
	v_fma_f64 v[3:4], v[3:4], v[75:76], -v[80:81]
	v_fma_f64 v[1:2], v[1:2], v[75:76], v[77:78]
	buffer_store_dword v4, off, s[0:3], 0 offset:452
	buffer_store_dword v3, off, s[0:3], 0 offset:448
	;; [unrolled: 1-line block ×4, first 2 shown]
.LBB97_123:
	s_or_b32 exec_lo, exec_lo, s4
	v_mov_b32_e32 v4, s17
	s_waitcnt_vscnt null, 0x0
	s_barrier
	buffer_gl0_inv
	s_mov_b32 s4, exec_lo
	s_clause 0x3
	buffer_load_dword v1, v4, s[0:3], 0 offen
	buffer_load_dword v2, v4, s[0:3], 0 offen offset:4
	buffer_load_dword v3, v4, s[0:3], 0 offen offset:8
	;; [unrolled: 1-line block ×3, first 2 shown]
	s_waitcnt vmcnt(0)
	ds_write_b128 v73, v[1:4]
	s_waitcnt lgkmcnt(0)
	s_barrier
	buffer_gl0_inv
	v_cmpx_gt_u32_e32 28, v0
	s_cbranch_execz .LBB97_127
; %bb.124:
	v_mov_b32_e32 v1, 0
	v_mov_b32_e32 v3, 0
	v_add_nc_u32_e32 v75, -1, v0
	v_add_nc_u32_e32 v76, 0x220, v79
	v_mov_b32_e32 v2, 0
	v_mov_b32_e32 v4, 0
	v_add_nc_u32_e32 v77, 16, v79
	s_mov_b32 s5, 0
	.p2align	6
.LBB97_125:                             ; =>This Inner Loop Header: Depth=1
	s_clause 0x3
	buffer_load_dword v84, v77, s[0:3], 0 offen offset:8
	buffer_load_dword v85, v77, s[0:3], 0 offen offset:12
	buffer_load_dword v86, v77, s[0:3], 0 offen
	buffer_load_dword v87, v77, s[0:3], 0 offen offset:4
	ds_read_b128 v[80:83], v76
	v_add_nc_u32_e32 v75, 1, v75
	v_add_nc_u32_e32 v76, 16, v76
	;; [unrolled: 1-line block ×3, first 2 shown]
	v_cmp_lt_u32_e32 vcc_lo, 26, v75
	s_or_b32 s5, vcc_lo, s5
	s_waitcnt vmcnt(2) lgkmcnt(0)
	v_mul_f64 v[88:89], v[82:83], v[84:85]
	v_mul_f64 v[84:85], v[80:81], v[84:85]
	s_waitcnt vmcnt(0)
	v_fma_f64 v[80:81], v[80:81], v[86:87], -v[88:89]
	v_fma_f64 v[82:83], v[82:83], v[86:87], v[84:85]
	v_add_f64 v[3:4], v[3:4], v[80:81]
	v_add_f64 v[1:2], v[1:2], v[82:83]
	s_andn2_b32 exec_lo, exec_lo, s5
	s_cbranch_execnz .LBB97_125
; %bb.126:
	s_or_b32 exec_lo, exec_lo, s5
	v_mov_b32_e32 v75, 0
	ds_read_b128 v[75:78], v75 offset:448
	s_waitcnt lgkmcnt(0)
	v_mul_f64 v[80:81], v[1:2], v[77:78]
	v_mul_f64 v[77:78], v[3:4], v[77:78]
	v_fma_f64 v[3:4], v[3:4], v[75:76], -v[80:81]
	v_fma_f64 v[1:2], v[1:2], v[75:76], v[77:78]
	buffer_store_dword v4, off, s[0:3], 0 offset:468
	buffer_store_dword v3, off, s[0:3], 0 offset:464
	;; [unrolled: 1-line block ×4, first 2 shown]
.LBB97_127:
	s_or_b32 exec_lo, exec_lo, s4
	v_mov_b32_e32 v4, s16
	s_waitcnt_vscnt null, 0x0
	s_barrier
	buffer_gl0_inv
	s_mov_b32 s4, exec_lo
	s_clause 0x3
	buffer_load_dword v1, v4, s[0:3], 0 offen
	buffer_load_dword v2, v4, s[0:3], 0 offen offset:4
	buffer_load_dword v3, v4, s[0:3], 0 offen offset:8
	;; [unrolled: 1-line block ×3, first 2 shown]
	s_waitcnt vmcnt(0)
	ds_write_b128 v73, v[1:4]
	s_waitcnt lgkmcnt(0)
	s_barrier
	buffer_gl0_inv
	v_cmpx_gt_u32_e32 29, v0
	s_cbranch_execz .LBB97_131
; %bb.128:
	v_mov_b32_e32 v1, 0
	v_mov_b32_e32 v3, 0
	v_add_nc_u32_e32 v75, -1, v0
	v_add_nc_u32_e32 v76, 0x220, v79
	v_mov_b32_e32 v2, 0
	v_mov_b32_e32 v4, 0
	v_add_nc_u32_e32 v77, 16, v79
	s_mov_b32 s5, 0
	.p2align	6
.LBB97_129:                             ; =>This Inner Loop Header: Depth=1
	s_clause 0x3
	buffer_load_dword v84, v77, s[0:3], 0 offen offset:8
	buffer_load_dword v85, v77, s[0:3], 0 offen offset:12
	buffer_load_dword v86, v77, s[0:3], 0 offen
	buffer_load_dword v87, v77, s[0:3], 0 offen offset:4
	ds_read_b128 v[80:83], v76
	v_add_nc_u32_e32 v75, 1, v75
	v_add_nc_u32_e32 v76, 16, v76
	;; [unrolled: 1-line block ×3, first 2 shown]
	v_cmp_lt_u32_e32 vcc_lo, 27, v75
	s_or_b32 s5, vcc_lo, s5
	s_waitcnt vmcnt(2) lgkmcnt(0)
	v_mul_f64 v[88:89], v[82:83], v[84:85]
	v_mul_f64 v[84:85], v[80:81], v[84:85]
	s_waitcnt vmcnt(0)
	v_fma_f64 v[80:81], v[80:81], v[86:87], -v[88:89]
	v_fma_f64 v[82:83], v[82:83], v[86:87], v[84:85]
	v_add_f64 v[3:4], v[3:4], v[80:81]
	v_add_f64 v[1:2], v[1:2], v[82:83]
	s_andn2_b32 exec_lo, exec_lo, s5
	s_cbranch_execnz .LBB97_129
; %bb.130:
	s_or_b32 exec_lo, exec_lo, s5
	v_mov_b32_e32 v75, 0
	ds_read_b128 v[75:78], v75 offset:464
	s_waitcnt lgkmcnt(0)
	v_mul_f64 v[80:81], v[1:2], v[77:78]
	v_mul_f64 v[77:78], v[3:4], v[77:78]
	v_fma_f64 v[3:4], v[3:4], v[75:76], -v[80:81]
	v_fma_f64 v[1:2], v[1:2], v[75:76], v[77:78]
	buffer_store_dword v4, off, s[0:3], 0 offset:484
	buffer_store_dword v3, off, s[0:3], 0 offset:480
	;; [unrolled: 1-line block ×4, first 2 shown]
.LBB97_131:
	s_or_b32 exec_lo, exec_lo, s4
	v_mov_b32_e32 v4, s15
	s_waitcnt_vscnt null, 0x0
	s_barrier
	buffer_gl0_inv
	s_mov_b32 s4, exec_lo
	s_clause 0x3
	buffer_load_dword v1, v4, s[0:3], 0 offen
	buffer_load_dword v2, v4, s[0:3], 0 offen offset:4
	buffer_load_dword v3, v4, s[0:3], 0 offen offset:8
	;; [unrolled: 1-line block ×3, first 2 shown]
	s_waitcnt vmcnt(0)
	ds_write_b128 v73, v[1:4]
	s_waitcnt lgkmcnt(0)
	s_barrier
	buffer_gl0_inv
	v_cmpx_gt_u32_e32 30, v0
	s_cbranch_execz .LBB97_135
; %bb.132:
	v_mov_b32_e32 v1, 0
	v_mov_b32_e32 v3, 0
	v_add_nc_u32_e32 v75, -1, v0
	v_add_nc_u32_e32 v76, 0x220, v79
	v_mov_b32_e32 v2, 0
	v_mov_b32_e32 v4, 0
	v_add_nc_u32_e32 v77, 16, v79
	s_mov_b32 s5, 0
	.p2align	6
.LBB97_133:                             ; =>This Inner Loop Header: Depth=1
	s_clause 0x3
	buffer_load_dword v84, v77, s[0:3], 0 offen offset:8
	buffer_load_dword v85, v77, s[0:3], 0 offen offset:12
	buffer_load_dword v86, v77, s[0:3], 0 offen
	buffer_load_dword v87, v77, s[0:3], 0 offen offset:4
	ds_read_b128 v[80:83], v76
	v_add_nc_u32_e32 v75, 1, v75
	v_add_nc_u32_e32 v76, 16, v76
	;; [unrolled: 1-line block ×3, first 2 shown]
	v_cmp_lt_u32_e32 vcc_lo, 28, v75
	s_or_b32 s5, vcc_lo, s5
	s_waitcnt vmcnt(2) lgkmcnt(0)
	v_mul_f64 v[88:89], v[82:83], v[84:85]
	v_mul_f64 v[84:85], v[80:81], v[84:85]
	s_waitcnt vmcnt(0)
	v_fma_f64 v[80:81], v[80:81], v[86:87], -v[88:89]
	v_fma_f64 v[82:83], v[82:83], v[86:87], v[84:85]
	v_add_f64 v[3:4], v[3:4], v[80:81]
	v_add_f64 v[1:2], v[1:2], v[82:83]
	s_andn2_b32 exec_lo, exec_lo, s5
	s_cbranch_execnz .LBB97_133
; %bb.134:
	s_or_b32 exec_lo, exec_lo, s5
	v_mov_b32_e32 v75, 0
	ds_read_b128 v[75:78], v75 offset:480
	s_waitcnt lgkmcnt(0)
	v_mul_f64 v[80:81], v[1:2], v[77:78]
	v_mul_f64 v[77:78], v[3:4], v[77:78]
	v_fma_f64 v[3:4], v[3:4], v[75:76], -v[80:81]
	v_fma_f64 v[1:2], v[1:2], v[75:76], v[77:78]
	buffer_store_dword v4, off, s[0:3], 0 offset:500
	buffer_store_dword v3, off, s[0:3], 0 offset:496
	;; [unrolled: 1-line block ×4, first 2 shown]
.LBB97_135:
	s_or_b32 exec_lo, exec_lo, s4
	v_mov_b32_e32 v4, s14
	s_waitcnt_vscnt null, 0x0
	s_barrier
	buffer_gl0_inv
	s_mov_b32 s4, exec_lo
	s_clause 0x3
	buffer_load_dword v1, v4, s[0:3], 0 offen
	buffer_load_dword v2, v4, s[0:3], 0 offen offset:4
	buffer_load_dword v3, v4, s[0:3], 0 offen offset:8
	;; [unrolled: 1-line block ×3, first 2 shown]
	s_waitcnt vmcnt(0)
	ds_write_b128 v73, v[1:4]
	s_waitcnt lgkmcnt(0)
	s_barrier
	buffer_gl0_inv
	v_cmpx_gt_u32_e32 31, v0
	s_cbranch_execz .LBB97_139
; %bb.136:
	v_mov_b32_e32 v1, 0
	v_mov_b32_e32 v3, 0
	v_add_nc_u32_e32 v75, -1, v0
	v_add_nc_u32_e32 v76, 0x220, v79
	v_mov_b32_e32 v2, 0
	v_mov_b32_e32 v4, 0
	v_add_nc_u32_e32 v77, 16, v79
	s_mov_b32 s5, 0
	.p2align	6
.LBB97_137:                             ; =>This Inner Loop Header: Depth=1
	s_clause 0x3
	buffer_load_dword v84, v77, s[0:3], 0 offen offset:8
	buffer_load_dword v85, v77, s[0:3], 0 offen offset:12
	buffer_load_dword v86, v77, s[0:3], 0 offen
	buffer_load_dword v87, v77, s[0:3], 0 offen offset:4
	ds_read_b128 v[80:83], v76
	v_add_nc_u32_e32 v75, 1, v75
	v_add_nc_u32_e32 v76, 16, v76
	v_add_nc_u32_e32 v77, 16, v77
	v_cmp_lt_u32_e32 vcc_lo, 29, v75
	s_or_b32 s5, vcc_lo, s5
	s_waitcnt vmcnt(2) lgkmcnt(0)
	v_mul_f64 v[88:89], v[82:83], v[84:85]
	v_mul_f64 v[84:85], v[80:81], v[84:85]
	s_waitcnt vmcnt(0)
	v_fma_f64 v[80:81], v[80:81], v[86:87], -v[88:89]
	v_fma_f64 v[82:83], v[82:83], v[86:87], v[84:85]
	v_add_f64 v[3:4], v[3:4], v[80:81]
	v_add_f64 v[1:2], v[1:2], v[82:83]
	s_andn2_b32 exec_lo, exec_lo, s5
	s_cbranch_execnz .LBB97_137
; %bb.138:
	s_or_b32 exec_lo, exec_lo, s5
	v_mov_b32_e32 v75, 0
	ds_read_b128 v[75:78], v75 offset:496
	s_waitcnt lgkmcnt(0)
	v_mul_f64 v[80:81], v[1:2], v[77:78]
	v_mul_f64 v[77:78], v[3:4], v[77:78]
	v_fma_f64 v[3:4], v[3:4], v[75:76], -v[80:81]
	v_fma_f64 v[1:2], v[1:2], v[75:76], v[77:78]
	buffer_store_dword v4, off, s[0:3], 0 offset:516
	buffer_store_dword v3, off, s[0:3], 0 offset:512
	;; [unrolled: 1-line block ×4, first 2 shown]
.LBB97_139:
	s_or_b32 exec_lo, exec_lo, s4
	v_mov_b32_e32 v4, s9
	s_waitcnt_vscnt null, 0x0
	s_barrier
	buffer_gl0_inv
	s_mov_b32 s4, exec_lo
	s_clause 0x3
	buffer_load_dword v1, v4, s[0:3], 0 offen
	buffer_load_dword v2, v4, s[0:3], 0 offen offset:4
	buffer_load_dword v3, v4, s[0:3], 0 offen offset:8
	;; [unrolled: 1-line block ×3, first 2 shown]
	s_waitcnt vmcnt(0)
	ds_write_b128 v73, v[1:4]
	s_waitcnt lgkmcnt(0)
	s_barrier
	buffer_gl0_inv
	v_cmpx_gt_u32_e32 32, v0
	s_cbranch_execz .LBB97_143
; %bb.140:
	v_mov_b32_e32 v1, 0
	v_mov_b32_e32 v3, 0
	v_add_nc_u32_e32 v75, -1, v0
	v_add_nc_u32_e32 v76, 0x220, v79
	v_mov_b32_e32 v2, 0
	v_mov_b32_e32 v4, 0
	v_add_nc_u32_e32 v77, 16, v79
	s_mov_b32 s5, 0
	.p2align	6
.LBB97_141:                             ; =>This Inner Loop Header: Depth=1
	s_clause 0x3
	buffer_load_dword v84, v77, s[0:3], 0 offen offset:8
	buffer_load_dword v85, v77, s[0:3], 0 offen offset:12
	buffer_load_dword v86, v77, s[0:3], 0 offen
	buffer_load_dword v87, v77, s[0:3], 0 offen offset:4
	ds_read_b128 v[80:83], v76
	v_add_nc_u32_e32 v75, 1, v75
	v_add_nc_u32_e32 v76, 16, v76
	;; [unrolled: 1-line block ×3, first 2 shown]
	v_cmp_lt_u32_e32 vcc_lo, 30, v75
	s_or_b32 s5, vcc_lo, s5
	s_waitcnt vmcnt(2) lgkmcnt(0)
	v_mul_f64 v[88:89], v[82:83], v[84:85]
	v_mul_f64 v[84:85], v[80:81], v[84:85]
	s_waitcnt vmcnt(0)
	v_fma_f64 v[80:81], v[80:81], v[86:87], -v[88:89]
	v_fma_f64 v[82:83], v[82:83], v[86:87], v[84:85]
	v_add_f64 v[3:4], v[3:4], v[80:81]
	v_add_f64 v[1:2], v[1:2], v[82:83]
	s_andn2_b32 exec_lo, exec_lo, s5
	s_cbranch_execnz .LBB97_141
; %bb.142:
	s_or_b32 exec_lo, exec_lo, s5
	v_mov_b32_e32 v75, 0
	ds_read_b128 v[75:78], v75 offset:512
	s_waitcnt lgkmcnt(0)
	v_mul_f64 v[80:81], v[1:2], v[77:78]
	v_mul_f64 v[77:78], v[3:4], v[77:78]
	v_fma_f64 v[3:4], v[3:4], v[75:76], -v[80:81]
	v_fma_f64 v[1:2], v[1:2], v[75:76], v[77:78]
	buffer_store_dword v4, off, s[0:3], 0 offset:532
	buffer_store_dword v3, off, s[0:3], 0 offset:528
	;; [unrolled: 1-line block ×4, first 2 shown]
.LBB97_143:
	s_or_b32 exec_lo, exec_lo, s4
	v_mov_b32_e32 v4, s8
	s_waitcnt_vscnt null, 0x0
	s_barrier
	buffer_gl0_inv
	s_mov_b32 s4, exec_lo
	s_clause 0x3
	buffer_load_dword v1, v4, s[0:3], 0 offen
	buffer_load_dword v2, v4, s[0:3], 0 offen offset:4
	buffer_load_dword v3, v4, s[0:3], 0 offen offset:8
	;; [unrolled: 1-line block ×3, first 2 shown]
	s_waitcnt vmcnt(0)
	ds_write_b128 v73, v[1:4]
	s_waitcnt lgkmcnt(0)
	s_barrier
	buffer_gl0_inv
	v_cmpx_ne_u32_e32 33, v0
	s_cbranch_execz .LBB97_147
; %bb.144:
	v_mov_b32_e32 v1, 0
	v_mov_b32_e32 v3, 0
	;; [unrolled: 1-line block ×4, first 2 shown]
	v_add_nc_u32_e32 v75, 16, v79
	s_mov_b32 s5, 0
	.p2align	6
.LBB97_145:                             ; =>This Inner Loop Header: Depth=1
	s_clause 0x3
	buffer_load_dword v80, v75, s[0:3], 0 offen offset:8
	buffer_load_dword v81, v75, s[0:3], 0 offen offset:12
	buffer_load_dword v82, v75, s[0:3], 0 offen
	buffer_load_dword v83, v75, s[0:3], 0 offen offset:4
	ds_read_b128 v[76:79], v73
	v_add_nc_u32_e32 v74, 1, v74
	v_add_nc_u32_e32 v73, 16, v73
	;; [unrolled: 1-line block ×3, first 2 shown]
	v_cmp_lt_u32_e32 vcc_lo, 31, v74
	s_or_b32 s5, vcc_lo, s5
	s_waitcnt vmcnt(2) lgkmcnt(0)
	v_mul_f64 v[84:85], v[78:79], v[80:81]
	v_mul_f64 v[80:81], v[76:77], v[80:81]
	s_waitcnt vmcnt(0)
	v_fma_f64 v[76:77], v[76:77], v[82:83], -v[84:85]
	v_fma_f64 v[78:79], v[78:79], v[82:83], v[80:81]
	v_add_f64 v[3:4], v[3:4], v[76:77]
	v_add_f64 v[1:2], v[1:2], v[78:79]
	s_andn2_b32 exec_lo, exec_lo, s5
	s_cbranch_execnz .LBB97_145
; %bb.146:
	s_or_b32 exec_lo, exec_lo, s5
	v_mov_b32_e32 v73, 0
	ds_read_b128 v[73:76], v73 offset:528
	s_waitcnt lgkmcnt(0)
	v_mul_f64 v[77:78], v[1:2], v[75:76]
	v_mul_f64 v[75:76], v[3:4], v[75:76]
	v_fma_f64 v[3:4], v[3:4], v[73:74], -v[77:78]
	v_fma_f64 v[1:2], v[1:2], v[73:74], v[75:76]
	buffer_store_dword v4, off, s[0:3], 0 offset:548
	buffer_store_dword v3, off, s[0:3], 0 offset:544
	;; [unrolled: 1-line block ×4, first 2 shown]
.LBB97_147:
	s_or_b32 exec_lo, exec_lo, s4
	s_mov_b32 s5, -1
	s_waitcnt_vscnt null, 0x0
	s_barrier
	buffer_gl0_inv
.LBB97_148:
	s_and_b32 vcc_lo, exec_lo, s5
	s_cbranch_vccz .LBB97_150
; %bb.149:
	s_lshl_b64 s[4:5], s[6:7], 2
	v_mov_b32_e32 v1, 0
	s_add_u32 s4, s10, s4
	s_addc_u32 s5, s11, s5
	global_load_dword v1, v1, s[4:5]
	s_waitcnt vmcnt(0)
	v_cmp_ne_u32_e32 vcc_lo, 0, v1
	s_cbranch_vccz .LBB97_151
.LBB97_150:
	s_endpgm
.LBB97_151:
	v_lshl_add_u32 v101, v0, 4, 0x220
	s_mov_b32 s4, exec_lo
	v_cmpx_eq_u32_e32 33, v0
	s_cbranch_execz .LBB97_153
; %bb.152:
	v_mov_b32_e32 v4, s9
	v_mov_b32_e32 v73, 0
	s_clause 0x3
	buffer_load_dword v1, v4, s[0:3], 0 offen
	buffer_load_dword v2, v4, s[0:3], 0 offen offset:4
	buffer_load_dword v3, v4, s[0:3], 0 offen offset:8
	;; [unrolled: 1-line block ×3, first 2 shown]
	buffer_store_dword v73, off, s[0:3], 0 offset:528
	buffer_store_dword v73, off, s[0:3], 0 offset:532
	;; [unrolled: 1-line block ×4, first 2 shown]
	s_waitcnt vmcnt(0)
	ds_write_b128 v101, v[1:4]
.LBB97_153:
	s_or_b32 exec_lo, exec_lo, s4
	s_waitcnt lgkmcnt(0)
	s_waitcnt_vscnt null, 0x0
	s_barrier
	buffer_gl0_inv
	s_clause 0x7
	buffer_load_dword v2, off, s[0:3], 0 offset:552
	buffer_load_dword v3, off, s[0:3], 0 offset:556
	;; [unrolled: 1-line block ×8, first 2 shown]
	v_mov_b32_e32 v1, 0
	s_mov_b32 s4, exec_lo
	ds_read_b128 v[73:76], v1 offset:1072
	s_waitcnt vmcnt(6) lgkmcnt(0)
	v_mul_f64 v[83:84], v[75:76], v[2:3]
	v_mul_f64 v[2:3], v[73:74], v[2:3]
	s_waitcnt vmcnt(4)
	v_fma_f64 v[73:74], v[73:74], v[77:78], -v[83:84]
	v_fma_f64 v[2:3], v[75:76], v[77:78], v[2:3]
	v_add_f64 v[73:74], v[73:74], 0
	v_add_f64 v[2:3], v[2:3], 0
	s_waitcnt vmcnt(2)
	v_add_f64 v[73:74], v[79:80], -v[73:74]
	s_waitcnt vmcnt(0)
	v_add_f64 v[2:3], v[81:82], -v[2:3]
	buffer_store_dword v73, off, s[0:3], 0 offset:528
	buffer_store_dword v74, off, s[0:3], 0 offset:532
	buffer_store_dword v2, off, s[0:3], 0 offset:536
	buffer_store_dword v3, off, s[0:3], 0 offset:540
	v_cmpx_lt_u32_e32 31, v0
	s_cbranch_execz .LBB97_155
; %bb.154:
	v_mov_b32_e32 v2, s14
	s_clause 0x3
	buffer_load_dword v73, v2, s[0:3], 0 offen
	buffer_load_dword v74, v2, s[0:3], 0 offen offset:4
	buffer_load_dword v75, v2, s[0:3], 0 offen offset:8
	;; [unrolled: 1-line block ×3, first 2 shown]
	buffer_store_dword v1, off, s[0:3], 0 offset:512
	buffer_store_dword v1, off, s[0:3], 0 offset:516
	;; [unrolled: 1-line block ×4, first 2 shown]
	s_waitcnt vmcnt(0)
	ds_write_b128 v101, v[73:76]
.LBB97_155:
	s_or_b32 exec_lo, exec_lo, s4
	s_waitcnt lgkmcnt(0)
	s_waitcnt_vscnt null, 0x0
	s_barrier
	buffer_gl0_inv
	s_clause 0xb
	buffer_load_dword v77, off, s[0:3], 0 offset:536
	buffer_load_dword v78, off, s[0:3], 0 offset:540
	;; [unrolled: 1-line block ×12, first 2 shown]
	ds_read_b128 v[73:76], v1 offset:1056
	ds_read_b128 v[1:4], v1 offset:1072
	s_mov_b32 s4, exec_lo
	s_waitcnt vmcnt(10) lgkmcnt(1)
	v_mul_f64 v[89:90], v[75:76], v[77:78]
	v_mul_f64 v[77:78], v[73:74], v[77:78]
	s_waitcnt vmcnt(8) lgkmcnt(0)
	v_mul_f64 v[91:92], v[3:4], v[79:80]
	v_mul_f64 v[79:80], v[1:2], v[79:80]
	s_waitcnt vmcnt(6)
	v_fma_f64 v[73:74], v[73:74], v[81:82], -v[89:90]
	v_fma_f64 v[75:76], v[75:76], v[81:82], v[77:78]
	s_waitcnt vmcnt(4)
	v_fma_f64 v[1:2], v[1:2], v[83:84], -v[91:92]
	v_fma_f64 v[3:4], v[3:4], v[83:84], v[79:80]
	v_add_f64 v[73:74], v[73:74], 0
	v_add_f64 v[75:76], v[75:76], 0
	;; [unrolled: 1-line block ×4, first 2 shown]
	s_waitcnt vmcnt(2)
	v_add_f64 v[1:2], v[85:86], -v[1:2]
	s_waitcnt vmcnt(0)
	v_add_f64 v[3:4], v[87:88], -v[3:4]
	buffer_store_dword v1, off, s[0:3], 0 offset:512
	buffer_store_dword v2, off, s[0:3], 0 offset:516
	;; [unrolled: 1-line block ×4, first 2 shown]
	v_cmpx_lt_u32_e32 30, v0
	s_cbranch_execz .LBB97_157
; %bb.156:
	v_mov_b32_e32 v4, s15
	v_mov_b32_e32 v73, 0
	s_clause 0x3
	buffer_load_dword v1, v4, s[0:3], 0 offen
	buffer_load_dword v2, v4, s[0:3], 0 offen offset:4
	buffer_load_dword v3, v4, s[0:3], 0 offen offset:8
	;; [unrolled: 1-line block ×3, first 2 shown]
	buffer_store_dword v73, off, s[0:3], 0 offset:496
	buffer_store_dword v73, off, s[0:3], 0 offset:500
	;; [unrolled: 1-line block ×4, first 2 shown]
	s_waitcnt vmcnt(0)
	ds_write_b128 v101, v[1:4]
.LBB97_157:
	s_or_b32 exec_lo, exec_lo, s4
	s_waitcnt lgkmcnt(0)
	s_waitcnt_vscnt null, 0x0
	s_barrier
	buffer_gl0_inv
	s_clause 0xf
	buffer_load_dword v2, off, s[0:3], 0 offset:520
	buffer_load_dword v3, off, s[0:3], 0 offset:524
	;; [unrolled: 1-line block ×16, first 2 shown]
	v_mov_b32_e32 v1, 0
	ds_read_b128 v[73:76], v1 offset:1040
	ds_read_b128 v[77:80], v1 offset:1056
	;; [unrolled: 1-line block ×3, first 2 shown]
	s_mov_b32 s4, exec_lo
	s_waitcnt vmcnt(14) lgkmcnt(2)
	v_mul_f64 v[99:100], v[75:76], v[2:3]
	v_mul_f64 v[2:3], v[73:74], v[2:3]
	s_waitcnt vmcnt(12) lgkmcnt(1)
	v_mul_f64 v[102:103], v[79:80], v[85:86]
	v_mul_f64 v[85:86], v[77:78], v[85:86]
	s_waitcnt vmcnt(10)
	v_fma_f64 v[73:74], v[73:74], v[87:88], -v[99:100]
	v_fma_f64 v[2:3], v[75:76], v[87:88], v[2:3]
	s_waitcnt vmcnt(8) lgkmcnt(0)
	v_mul_f64 v[87:88], v[83:84], v[89:90]
	s_waitcnt vmcnt(6)
	v_fma_f64 v[77:78], v[77:78], v[91:92], -v[102:103]
	v_mul_f64 v[75:76], v[81:82], v[89:90]
	v_fma_f64 v[79:80], v[79:80], v[91:92], v[85:86]
	v_add_f64 v[73:74], v[73:74], 0
	v_add_f64 v[2:3], v[2:3], 0
	s_waitcnt vmcnt(4)
	v_fma_f64 v[81:82], v[81:82], v[93:94], -v[87:88]
	v_fma_f64 v[75:76], v[83:84], v[93:94], v[75:76]
	v_add_f64 v[73:74], v[73:74], v[77:78]
	v_add_f64 v[2:3], v[2:3], v[79:80]
	;; [unrolled: 1-line block ×4, first 2 shown]
	s_waitcnt vmcnt(2)
	v_add_f64 v[73:74], v[95:96], -v[73:74]
	s_waitcnt vmcnt(0)
	v_add_f64 v[2:3], v[97:98], -v[2:3]
	buffer_store_dword v73, off, s[0:3], 0 offset:496
	buffer_store_dword v74, off, s[0:3], 0 offset:500
	;; [unrolled: 1-line block ×4, first 2 shown]
	v_cmpx_lt_u32_e32 29, v0
	s_cbranch_execz .LBB97_159
; %bb.158:
	v_mov_b32_e32 v2, s16
	s_clause 0x3
	buffer_load_dword v73, v2, s[0:3], 0 offen
	buffer_load_dword v74, v2, s[0:3], 0 offen offset:4
	buffer_load_dword v75, v2, s[0:3], 0 offen offset:8
	buffer_load_dword v76, v2, s[0:3], 0 offen offset:12
	buffer_store_dword v1, off, s[0:3], 0 offset:480
	buffer_store_dword v1, off, s[0:3], 0 offset:484
	;; [unrolled: 1-line block ×4, first 2 shown]
	s_waitcnt vmcnt(0)
	ds_write_b128 v101, v[73:76]
.LBB97_159:
	s_or_b32 exec_lo, exec_lo, s4
	s_waitcnt lgkmcnt(0)
	s_waitcnt_vscnt null, 0x0
	s_barrier
	buffer_gl0_inv
	s_clause 0x13
	buffer_load_dword v2, off, s[0:3], 0 offset:504
	buffer_load_dword v3, off, s[0:3], 0 offset:508
	;; [unrolled: 1-line block ×20, first 2 shown]
	ds_read_b128 v[73:76], v1 offset:1024
	ds_read_b128 v[77:80], v1 offset:1040
	;; [unrolled: 1-line block ×3, first 2 shown]
	s_mov_b32 s4, exec_lo
	s_waitcnt vmcnt(18) lgkmcnt(2)
	v_mul_f64 v[104:105], v[75:76], v[2:3]
	v_mul_f64 v[2:3], v[73:74], v[2:3]
	s_waitcnt vmcnt(16) lgkmcnt(1)
	v_mul_f64 v[106:107], v[79:80], v[85:86]
	v_mul_f64 v[85:86], v[77:78], v[85:86]
	s_waitcnt vmcnt(14)
	v_fma_f64 v[73:74], v[73:74], v[87:88], -v[104:105]
	v_fma_f64 v[75:76], v[75:76], v[87:88], v[2:3]
	s_waitcnt vmcnt(12) lgkmcnt(0)
	v_mul_f64 v[87:88], v[81:82], v[89:90]
	v_mul_f64 v[89:90], v[83:84], v[89:90]
	s_waitcnt vmcnt(10)
	v_fma_f64 v[77:78], v[77:78], v[91:92], -v[106:107]
	ds_read_b128 v[1:4], v1 offset:1072
	v_fma_f64 v[79:80], v[79:80], v[91:92], v[85:86]
	v_add_f64 v[73:74], v[73:74], 0
	v_add_f64 v[75:76], v[75:76], 0
	s_waitcnt vmcnt(8) lgkmcnt(0)
	v_mul_f64 v[91:92], v[3:4], v[93:94]
	s_waitcnt vmcnt(6)
	v_fma_f64 v[81:82], v[81:82], v[95:96], -v[89:90]
	v_mul_f64 v[85:86], v[1:2], v[93:94]
	v_add_f64 v[73:74], v[73:74], v[77:78]
	v_fma_f64 v[77:78], v[83:84], v[95:96], v[87:88]
	v_add_f64 v[75:76], v[75:76], v[79:80]
	s_waitcnt vmcnt(4)
	v_fma_f64 v[1:2], v[1:2], v[97:98], -v[91:92]
	v_fma_f64 v[3:4], v[3:4], v[97:98], v[85:86]
	v_add_f64 v[73:74], v[73:74], v[81:82]
	v_add_f64 v[75:76], v[75:76], v[77:78]
	;; [unrolled: 1-line block ×4, first 2 shown]
	s_waitcnt vmcnt(2)
	v_add_f64 v[1:2], v[99:100], -v[1:2]
	s_waitcnt vmcnt(0)
	v_add_f64 v[3:4], v[102:103], -v[3:4]
	buffer_store_dword v1, off, s[0:3], 0 offset:480
	buffer_store_dword v2, off, s[0:3], 0 offset:484
	;; [unrolled: 1-line block ×4, first 2 shown]
	v_cmpx_lt_u32_e32 28, v0
	s_cbranch_execz .LBB97_161
; %bb.160:
	v_mov_b32_e32 v4, s17
	v_mov_b32_e32 v73, 0
	s_clause 0x3
	buffer_load_dword v1, v4, s[0:3], 0 offen
	buffer_load_dword v2, v4, s[0:3], 0 offen offset:4
	buffer_load_dword v3, v4, s[0:3], 0 offen offset:8
	;; [unrolled: 1-line block ×3, first 2 shown]
	buffer_store_dword v73, off, s[0:3], 0 offset:464
	buffer_store_dword v73, off, s[0:3], 0 offset:468
	buffer_store_dword v73, off, s[0:3], 0 offset:472
	buffer_store_dword v73, off, s[0:3], 0 offset:476
	s_waitcnt vmcnt(0)
	ds_write_b128 v101, v[1:4]
.LBB97_161:
	s_or_b32 exec_lo, exec_lo, s4
	s_waitcnt lgkmcnt(0)
	s_waitcnt_vscnt null, 0x0
	s_barrier
	buffer_gl0_inv
	s_clause 0x17
	buffer_load_dword v2, off, s[0:3], 0 offset:488
	buffer_load_dword v3, off, s[0:3], 0 offset:492
	;; [unrolled: 1-line block ×24, first 2 shown]
	v_mov_b32_e32 v1, 0
	ds_read_b128 v[73:76], v1 offset:1008
	ds_read_b128 v[77:80], v1 offset:1024
	;; [unrolled: 1-line block ×3, first 2 shown]
	s_mov_b32 s4, exec_lo
	s_waitcnt vmcnt(22) lgkmcnt(2)
	v_mul_f64 v[108:109], v[75:76], v[2:3]
	v_mul_f64 v[2:3], v[73:74], v[2:3]
	s_waitcnt vmcnt(20) lgkmcnt(1)
	v_mul_f64 v[110:111], v[79:80], v[85:86]
	v_mul_f64 v[85:86], v[77:78], v[85:86]
	s_waitcnt vmcnt(18)
	v_fma_f64 v[108:109], v[73:74], v[87:88], -v[108:109]
	v_fma_f64 v[2:3], v[75:76], v[87:88], v[2:3]
	ds_read_b128 v[73:76], v1 offset:1056
	s_waitcnt vmcnt(16) lgkmcnt(1)
	v_mul_f64 v[87:88], v[81:82], v[89:90]
	v_mul_f64 v[89:90], v[83:84], v[89:90]
	s_waitcnt vmcnt(14)
	v_fma_f64 v[110:111], v[77:78], v[91:92], -v[110:111]
	v_fma_f64 v[85:86], v[79:80], v[91:92], v[85:86]
	ds_read_b128 v[77:80], v1 offset:1072
	s_waitcnt vmcnt(10) lgkmcnt(1)
	v_mul_f64 v[91:92], v[73:74], v[93:94]
	v_add_f64 v[108:109], v[108:109], 0
	v_add_f64 v[2:3], v[2:3], 0
	v_mul_f64 v[93:94], v[75:76], v[93:94]
	s_waitcnt vmcnt(8)
	v_fma_f64 v[81:82], v[81:82], v[99:100], -v[89:90]
	v_fma_f64 v[83:84], v[83:84], v[99:100], v[87:88]
	s_waitcnt vmcnt(7) lgkmcnt(0)
	v_mul_f64 v[87:88], v[79:80], v[95:96]
	s_waitcnt vmcnt(5)
	v_fma_f64 v[75:76], v[75:76], v[102:103], v[91:92]
	v_add_f64 v[89:90], v[108:109], v[110:111]
	v_add_f64 v[2:3], v[2:3], v[85:86]
	v_fma_f64 v[73:74], v[73:74], v[102:103], -v[93:94]
	v_mul_f64 v[85:86], v[77:78], v[95:96]
	s_waitcnt vmcnt(4)
	v_fma_f64 v[77:78], v[77:78], v[97:98], -v[87:88]
	v_add_f64 v[81:82], v[89:90], v[81:82]
	v_add_f64 v[2:3], v[2:3], v[83:84]
	v_fma_f64 v[79:80], v[79:80], v[97:98], v[85:86]
	v_add_f64 v[73:74], v[81:82], v[73:74]
	v_add_f64 v[2:3], v[2:3], v[75:76]
	;; [unrolled: 1-line block ×4, first 2 shown]
	s_waitcnt vmcnt(2)
	v_add_f64 v[73:74], v[104:105], -v[73:74]
	s_waitcnt vmcnt(0)
	v_add_f64 v[2:3], v[106:107], -v[2:3]
	buffer_store_dword v74, off, s[0:3], 0 offset:468
	buffer_store_dword v73, off, s[0:3], 0 offset:464
	buffer_store_dword v3, off, s[0:3], 0 offset:476
	buffer_store_dword v2, off, s[0:3], 0 offset:472
	v_cmpx_lt_u32_e32 27, v0
	s_cbranch_execz .LBB97_163
; %bb.162:
	v_mov_b32_e32 v2, s18
	s_clause 0x3
	buffer_load_dword v73, v2, s[0:3], 0 offen
	buffer_load_dword v74, v2, s[0:3], 0 offen offset:4
	buffer_load_dword v75, v2, s[0:3], 0 offen offset:8
	;; [unrolled: 1-line block ×3, first 2 shown]
	buffer_store_dword v1, off, s[0:3], 0 offset:448
	buffer_store_dword v1, off, s[0:3], 0 offset:452
	;; [unrolled: 1-line block ×4, first 2 shown]
	s_waitcnt vmcnt(0)
	ds_write_b128 v101, v[73:76]
.LBB97_163:
	s_or_b32 exec_lo, exec_lo, s4
	s_waitcnt lgkmcnt(0)
	s_waitcnt_vscnt null, 0x0
	s_barrier
	buffer_gl0_inv
	s_clause 0x1b
	buffer_load_dword v2, off, s[0:3], 0 offset:472
	buffer_load_dword v3, off, s[0:3], 0 offset:476
	buffer_load_dword v85, off, s[0:3], 0 offset:488
	buffer_load_dword v86, off, s[0:3], 0 offset:492
	buffer_load_dword v87, off, s[0:3], 0 offset:464
	buffer_load_dword v88, off, s[0:3], 0 offset:468
	buffer_load_dword v89, off, s[0:3], 0 offset:504
	buffer_load_dword v90, off, s[0:3], 0 offset:508
	buffer_load_dword v91, off, s[0:3], 0 offset:480
	buffer_load_dword v92, off, s[0:3], 0 offset:484
	buffer_load_dword v94, off, s[0:3], 0 offset:524
	buffer_load_dword v95, off, s[0:3], 0 offset:536
	buffer_load_dword v97, off, s[0:3], 0 offset:528
	buffer_load_dword v93, off, s[0:3], 0 offset:520
	buffer_load_dword v99, off, s[0:3], 0 offset:496
	buffer_load_dword v100, off, s[0:3], 0 offset:500
	buffer_load_dword v96, off, s[0:3], 0 offset:540
	buffer_load_dword v103, off, s[0:3], 0 offset:516
	buffer_load_dword v102, off, s[0:3], 0 offset:512
	buffer_load_dword v105, off, s[0:3], 0 offset:556
	buffer_load_dword v104, off, s[0:3], 0 offset:552
	buffer_load_dword v98, off, s[0:3], 0 offset:532
	buffer_load_dword v107, off, s[0:3], 0 offset:548
	buffer_load_dword v106, off, s[0:3], 0 offset:544
	buffer_load_dword v108, off, s[0:3], 0 offset:448
	buffer_load_dword v109, off, s[0:3], 0 offset:452
	buffer_load_dword v110, off, s[0:3], 0 offset:456
	buffer_load_dword v111, off, s[0:3], 0 offset:460
	ds_read_b128 v[73:76], v1 offset:992
	ds_read_b128 v[77:80], v1 offset:1008
	;; [unrolled: 1-line block ×3, first 2 shown]
	s_mov_b32 s4, exec_lo
	s_waitcnt vmcnt(26) lgkmcnt(2)
	v_mul_f64 v[112:113], v[75:76], v[2:3]
	v_mul_f64 v[2:3], v[73:74], v[2:3]
	s_waitcnt vmcnt(24) lgkmcnt(1)
	v_mul_f64 v[114:115], v[79:80], v[85:86]
	v_mul_f64 v[85:86], v[77:78], v[85:86]
	s_waitcnt vmcnt(22)
	v_fma_f64 v[112:113], v[73:74], v[87:88], -v[112:113]
	v_fma_f64 v[2:3], v[75:76], v[87:88], v[2:3]
	ds_read_b128 v[73:76], v1 offset:1040
	s_waitcnt vmcnt(20) lgkmcnt(1)
	v_mul_f64 v[87:88], v[81:82], v[89:90]
	v_mul_f64 v[89:90], v[83:84], v[89:90]
	s_waitcnt vmcnt(18)
	v_fma_f64 v[114:115], v[77:78], v[91:92], -v[114:115]
	v_fma_f64 v[85:86], v[79:80], v[91:92], v[85:86]
	ds_read_b128 v[77:80], v1 offset:1056
	s_waitcnt vmcnt(14) lgkmcnt(1)
	v_mul_f64 v[91:92], v[73:74], v[93:94]
	v_add_f64 v[112:113], v[112:113], 0
	v_add_f64 v[2:3], v[2:3], 0
	v_mul_f64 v[93:94], v[75:76], v[93:94]
	s_waitcnt vmcnt(12)
	v_fma_f64 v[81:82], v[81:82], v[99:100], -v[89:90]
	v_fma_f64 v[83:84], v[83:84], v[99:100], v[87:88]
	s_waitcnt vmcnt(11) lgkmcnt(0)
	v_mul_f64 v[87:88], v[77:78], v[95:96]
	v_mul_f64 v[95:96], v[79:80], v[95:96]
	s_waitcnt vmcnt(9)
	v_fma_f64 v[75:76], v[75:76], v[102:103], v[91:92]
	v_add_f64 v[89:90], v[112:113], v[114:115]
	v_add_f64 v[85:86], v[2:3], v[85:86]
	v_fma_f64 v[73:74], v[73:74], v[102:103], -v[93:94]
	ds_read_b128 v[1:4], v1 offset:1072
	s_waitcnt vmcnt(6)
	v_fma_f64 v[79:80], v[79:80], v[97:98], v[87:88]
	v_fma_f64 v[77:78], v[77:78], v[97:98], -v[95:96]
	v_add_f64 v[81:82], v[89:90], v[81:82]
	v_add_f64 v[83:84], v[85:86], v[83:84]
	s_waitcnt lgkmcnt(0)
	v_mul_f64 v[89:90], v[3:4], v[104:105]
	v_mul_f64 v[85:86], v[1:2], v[104:105]
	v_add_f64 v[73:74], v[81:82], v[73:74]
	v_add_f64 v[75:76], v[83:84], v[75:76]
	s_waitcnt vmcnt(4)
	v_fma_f64 v[1:2], v[1:2], v[106:107], -v[89:90]
	v_fma_f64 v[3:4], v[3:4], v[106:107], v[85:86]
	v_add_f64 v[73:74], v[73:74], v[77:78]
	v_add_f64 v[75:76], v[75:76], v[79:80]
	;; [unrolled: 1-line block ×4, first 2 shown]
	s_waitcnt vmcnt(2)
	v_add_f64 v[1:2], v[108:109], -v[1:2]
	s_waitcnt vmcnt(0)
	v_add_f64 v[3:4], v[110:111], -v[3:4]
	buffer_store_dword v2, off, s[0:3], 0 offset:452
	buffer_store_dword v1, off, s[0:3], 0 offset:448
	;; [unrolled: 1-line block ×4, first 2 shown]
	v_cmpx_lt_u32_e32 26, v0
	s_cbranch_execz .LBB97_165
; %bb.164:
	v_mov_b32_e32 v4, s19
	v_mov_b32_e32 v73, 0
	s_clause 0x3
	buffer_load_dword v1, v4, s[0:3], 0 offen
	buffer_load_dword v2, v4, s[0:3], 0 offen offset:4
	buffer_load_dword v3, v4, s[0:3], 0 offen offset:8
	;; [unrolled: 1-line block ×3, first 2 shown]
	buffer_store_dword v73, off, s[0:3], 0 offset:432
	buffer_store_dword v73, off, s[0:3], 0 offset:436
	;; [unrolled: 1-line block ×4, first 2 shown]
	s_waitcnt vmcnt(0)
	ds_write_b128 v101, v[1:4]
.LBB97_165:
	s_or_b32 exec_lo, exec_lo, s4
	s_waitcnt lgkmcnt(0)
	s_waitcnt_vscnt null, 0x0
	s_barrier
	buffer_gl0_inv
	s_clause 0x1f
	buffer_load_dword v2, off, s[0:3], 0 offset:456
	buffer_load_dword v3, off, s[0:3], 0 offset:460
	;; [unrolled: 1-line block ×32, first 2 shown]
	v_mov_b32_e32 v1, 0
	ds_read_b128 v[73:76], v1 offset:976
	ds_read_b128 v[77:80], v1 offset:992
	;; [unrolled: 1-line block ×3, first 2 shown]
	s_mov_b32 s4, exec_lo
	s_waitcnt vmcnt(30) lgkmcnt(2)
	v_mul_f64 v[116:117], v[75:76], v[2:3]
	v_mul_f64 v[2:3], v[73:74], v[2:3]
	s_waitcnt vmcnt(28) lgkmcnt(1)
	v_mul_f64 v[118:119], v[79:80], v[85:86]
	v_mul_f64 v[85:86], v[77:78], v[85:86]
	s_waitcnt vmcnt(26)
	v_fma_f64 v[116:117], v[73:74], v[87:88], -v[116:117]
	v_fma_f64 v[2:3], v[75:76], v[87:88], v[2:3]
	ds_read_b128 v[73:76], v1 offset:1024
	s_waitcnt vmcnt(24) lgkmcnt(1)
	v_mul_f64 v[87:88], v[81:82], v[89:90]
	v_mul_f64 v[89:90], v[83:84], v[89:90]
	s_waitcnt vmcnt(22)
	v_fma_f64 v[118:119], v[77:78], v[91:92], -v[118:119]
	v_fma_f64 v[85:86], v[79:80], v[91:92], v[85:86]
	ds_read_b128 v[77:80], v1 offset:1040
	s_waitcnt vmcnt(18) lgkmcnt(1)
	v_mul_f64 v[91:92], v[73:74], v[93:94]
	v_add_f64 v[116:117], v[116:117], 0
	v_add_f64 v[2:3], v[2:3], 0
	v_mul_f64 v[93:94], v[75:76], v[93:94]
	s_waitcnt vmcnt(16)
	v_fma_f64 v[89:90], v[81:82], v[99:100], -v[89:90]
	v_fma_f64 v[87:88], v[83:84], v[99:100], v[87:88]
	ds_read_b128 v[81:84], v1 offset:1056
	s_waitcnt vmcnt(13)
	v_fma_f64 v[91:92], v[75:76], v[102:103], v[91:92]
	v_add_f64 v[116:117], v[116:117], v[118:119]
	v_add_f64 v[2:3], v[2:3], v[85:86]
	s_waitcnt lgkmcnt(1)
	v_mul_f64 v[85:86], v[77:78], v[95:96]
	v_mul_f64 v[95:96], v[79:80], v[95:96]
	v_fma_f64 v[93:94], v[73:74], v[102:103], -v[93:94]
	s_waitcnt vmcnt(9) lgkmcnt(0)
	v_mul_f64 v[99:100], v[83:84], v[104:105]
	ds_read_b128 v[73:76], v1 offset:1072
	v_add_f64 v[89:90], v[116:117], v[89:90]
	v_add_f64 v[2:3], v[2:3], v[87:88]
	v_mul_f64 v[87:88], v[81:82], v[104:105]
	s_waitcnt vmcnt(8)
	v_fma_f64 v[77:78], v[77:78], v[97:98], -v[95:96]
	v_fma_f64 v[79:80], v[79:80], v[97:98], v[85:86]
	s_waitcnt vmcnt(5)
	v_fma_f64 v[81:82], v[81:82], v[110:111], -v[99:100]
	s_waitcnt lgkmcnt(0)
	v_mul_f64 v[85:86], v[73:74], v[106:107]
	v_add_f64 v[89:90], v[89:90], v[93:94]
	v_add_f64 v[2:3], v[2:3], v[91:92]
	v_mul_f64 v[91:92], v[75:76], v[106:107]
	v_fma_f64 v[83:84], v[83:84], v[110:111], v[87:88]
	s_waitcnt vmcnt(4)
	v_fma_f64 v[75:76], v[75:76], v[108:109], v[85:86]
	v_add_f64 v[77:78], v[89:90], v[77:78]
	v_add_f64 v[2:3], v[2:3], v[79:80]
	v_fma_f64 v[73:74], v[73:74], v[108:109], -v[91:92]
	v_add_f64 v[77:78], v[77:78], v[81:82]
	v_add_f64 v[2:3], v[2:3], v[83:84]
	;; [unrolled: 1-line block ×4, first 2 shown]
	s_waitcnt vmcnt(2)
	v_add_f64 v[73:74], v[112:113], -v[73:74]
	s_waitcnt vmcnt(0)
	v_add_f64 v[2:3], v[114:115], -v[2:3]
	buffer_store_dword v74, off, s[0:3], 0 offset:436
	buffer_store_dword v73, off, s[0:3], 0 offset:432
	;; [unrolled: 1-line block ×4, first 2 shown]
	v_cmpx_lt_u32_e32 25, v0
	s_cbranch_execz .LBB97_167
; %bb.166:
	v_mov_b32_e32 v2, s20
	s_clause 0x3
	buffer_load_dword v73, v2, s[0:3], 0 offen
	buffer_load_dword v74, v2, s[0:3], 0 offen offset:4
	buffer_load_dword v75, v2, s[0:3], 0 offen offset:8
	;; [unrolled: 1-line block ×3, first 2 shown]
	buffer_store_dword v1, off, s[0:3], 0 offset:416
	buffer_store_dword v1, off, s[0:3], 0 offset:420
	;; [unrolled: 1-line block ×4, first 2 shown]
	s_waitcnt vmcnt(0)
	ds_write_b128 v101, v[73:76]
.LBB97_167:
	s_or_b32 exec_lo, exec_lo, s4
	s_waitcnt lgkmcnt(0)
	s_waitcnt_vscnt null, 0x0
	s_barrier
	buffer_gl0_inv
	s_clause 0x23
	buffer_load_dword v2, off, s[0:3], 0 offset:440
	buffer_load_dword v3, off, s[0:3], 0 offset:444
	buffer_load_dword v85, off, s[0:3], 0 offset:456
	buffer_load_dword v86, off, s[0:3], 0 offset:460
	buffer_load_dword v87, off, s[0:3], 0 offset:432
	buffer_load_dword v88, off, s[0:3], 0 offset:436
	buffer_load_dword v89, off, s[0:3], 0 offset:472
	buffer_load_dword v90, off, s[0:3], 0 offset:476
	buffer_load_dword v91, off, s[0:3], 0 offset:448
	buffer_load_dword v92, off, s[0:3], 0 offset:452
	buffer_load_dword v94, off, s[0:3], 0 offset:492
	buffer_load_dword v95, off, s[0:3], 0 offset:504
	buffer_load_dword v97, off, s[0:3], 0 offset:496
	buffer_load_dword v93, off, s[0:3], 0 offset:488
	buffer_load_dword v99, off, s[0:3], 0 offset:464
	buffer_load_dword v100, off, s[0:3], 0 offset:468
	buffer_load_dword v96, off, s[0:3], 0 offset:508
	buffer_load_dword v103, off, s[0:3], 0 offset:484
	buffer_load_dword v102, off, s[0:3], 0 offset:480
	buffer_load_dword v105, off, s[0:3], 0 offset:524
	buffer_load_dword v106, off, s[0:3], 0 offset:536
	buffer_load_dword v108, off, s[0:3], 0 offset:528
	buffer_load_dword v104, off, s[0:3], 0 offset:520
	buffer_load_dword v98, off, s[0:3], 0 offset:500
	buffer_load_dword v107, off, s[0:3], 0 offset:540
	buffer_load_dword v111, off, s[0:3], 0 offset:516
	buffer_load_dword v110, off, s[0:3], 0 offset:512
	buffer_load_dword v113, off, s[0:3], 0 offset:556
	buffer_load_dword v112, off, s[0:3], 0 offset:552
	buffer_load_dword v109, off, s[0:3], 0 offset:532
	buffer_load_dword v115, off, s[0:3], 0 offset:548
	buffer_load_dword v114, off, s[0:3], 0 offset:544
	buffer_load_dword v116, off, s[0:3], 0 offset:416
	buffer_load_dword v117, off, s[0:3], 0 offset:420
	buffer_load_dword v118, off, s[0:3], 0 offset:424
	buffer_load_dword v119, off, s[0:3], 0 offset:428
	ds_read_b128 v[73:76], v1 offset:960
	ds_read_b128 v[77:80], v1 offset:976
	;; [unrolled: 1-line block ×3, first 2 shown]
	s_mov_b32 s4, exec_lo
	s_waitcnt vmcnt(34) lgkmcnt(2)
	v_mul_f64 v[120:121], v[75:76], v[2:3]
	v_mul_f64 v[2:3], v[73:74], v[2:3]
	s_waitcnt vmcnt(32) lgkmcnt(1)
	v_mul_f64 v[122:123], v[79:80], v[85:86]
	v_mul_f64 v[85:86], v[77:78], v[85:86]
	s_waitcnt vmcnt(30)
	v_fma_f64 v[120:121], v[73:74], v[87:88], -v[120:121]
	v_fma_f64 v[2:3], v[75:76], v[87:88], v[2:3]
	ds_read_b128 v[73:76], v1 offset:1008
	s_waitcnt vmcnt(28) lgkmcnt(1)
	v_mul_f64 v[87:88], v[81:82], v[89:90]
	v_mul_f64 v[89:90], v[83:84], v[89:90]
	s_waitcnt vmcnt(26)
	v_fma_f64 v[122:123], v[77:78], v[91:92], -v[122:123]
	v_fma_f64 v[85:86], v[79:80], v[91:92], v[85:86]
	ds_read_b128 v[77:80], v1 offset:1024
	s_waitcnt vmcnt(22) lgkmcnt(1)
	v_mul_f64 v[91:92], v[73:74], v[93:94]
	v_add_f64 v[120:121], v[120:121], 0
	v_add_f64 v[2:3], v[2:3], 0
	v_mul_f64 v[93:94], v[75:76], v[93:94]
	s_waitcnt vmcnt(20)
	v_fma_f64 v[89:90], v[81:82], v[99:100], -v[89:90]
	v_fma_f64 v[87:88], v[83:84], v[99:100], v[87:88]
	ds_read_b128 v[81:84], v1 offset:1040
	s_waitcnt vmcnt(17)
	v_fma_f64 v[91:92], v[75:76], v[102:103], v[91:92]
	v_add_f64 v[120:121], v[120:121], v[122:123]
	v_add_f64 v[2:3], v[2:3], v[85:86]
	s_waitcnt lgkmcnt(1)
	v_mul_f64 v[85:86], v[77:78], v[95:96]
	v_mul_f64 v[95:96], v[79:80], v[95:96]
	v_fma_f64 v[93:94], v[73:74], v[102:103], -v[93:94]
	s_waitcnt vmcnt(13) lgkmcnt(0)
	v_mul_f64 v[99:100], v[83:84], v[104:105]
	ds_read_b128 v[73:76], v1 offset:1056
	v_add_f64 v[89:90], v[120:121], v[89:90]
	v_add_f64 v[2:3], v[2:3], v[87:88]
	v_mul_f64 v[87:88], v[81:82], v[104:105]
	s_waitcnt vmcnt(12)
	v_fma_f64 v[77:78], v[77:78], v[97:98], -v[95:96]
	v_fma_f64 v[79:80], v[79:80], v[97:98], v[85:86]
	s_waitcnt vmcnt(9)
	v_fma_f64 v[81:82], v[81:82], v[110:111], -v[99:100]
	v_add_f64 v[89:90], v[89:90], v[93:94]
	v_add_f64 v[85:86], v[2:3], v[91:92]
	s_waitcnt lgkmcnt(0)
	v_mul_f64 v[93:94], v[75:76], v[106:107]
	ds_read_b128 v[1:4], v1 offset:1072
	v_mul_f64 v[91:92], v[73:74], v[106:107]
	v_fma_f64 v[83:84], v[83:84], v[110:111], v[87:88]
	v_add_f64 v[77:78], v[89:90], v[77:78]
	v_add_f64 v[79:80], v[85:86], v[79:80]
	s_waitcnt vmcnt(7) lgkmcnt(0)
	v_mul_f64 v[87:88], v[3:4], v[112:113]
	s_waitcnt vmcnt(6)
	v_fma_f64 v[73:74], v[73:74], v[108:109], -v[93:94]
	v_mul_f64 v[85:86], v[1:2], v[112:113]
	v_fma_f64 v[75:76], v[75:76], v[108:109], v[91:92]
	v_add_f64 v[77:78], v[77:78], v[81:82]
	v_add_f64 v[79:80], v[79:80], v[83:84]
	s_waitcnt vmcnt(4)
	v_fma_f64 v[1:2], v[1:2], v[114:115], -v[87:88]
	v_fma_f64 v[3:4], v[3:4], v[114:115], v[85:86]
	v_add_f64 v[73:74], v[77:78], v[73:74]
	v_add_f64 v[75:76], v[79:80], v[75:76]
	;; [unrolled: 1-line block ×4, first 2 shown]
	s_waitcnt vmcnt(2)
	v_add_f64 v[1:2], v[116:117], -v[1:2]
	s_waitcnt vmcnt(0)
	v_add_f64 v[3:4], v[118:119], -v[3:4]
	buffer_store_dword v2, off, s[0:3], 0 offset:420
	buffer_store_dword v1, off, s[0:3], 0 offset:416
	;; [unrolled: 1-line block ×4, first 2 shown]
	v_cmpx_lt_u32_e32 24, v0
	s_cbranch_execz .LBB97_169
; %bb.168:
	v_mov_b32_e32 v4, s21
	v_mov_b32_e32 v73, 0
	s_clause 0x3
	buffer_load_dword v1, v4, s[0:3], 0 offen
	buffer_load_dword v2, v4, s[0:3], 0 offen offset:4
	buffer_load_dword v3, v4, s[0:3], 0 offen offset:8
	;; [unrolled: 1-line block ×3, first 2 shown]
	buffer_store_dword v73, off, s[0:3], 0 offset:400
	buffer_store_dword v73, off, s[0:3], 0 offset:404
	;; [unrolled: 1-line block ×4, first 2 shown]
	s_waitcnt vmcnt(0)
	ds_write_b128 v101, v[1:4]
.LBB97_169:
	s_or_b32 exec_lo, exec_lo, s4
	s_waitcnt lgkmcnt(0)
	s_waitcnt_vscnt null, 0x0
	s_barrier
	buffer_gl0_inv
	s_clause 0x27
	buffer_load_dword v2, off, s[0:3], 0 offset:424
	buffer_load_dword v3, off, s[0:3], 0 offset:428
	buffer_load_dword v85, off, s[0:3], 0 offset:440
	buffer_load_dword v86, off, s[0:3], 0 offset:444
	buffer_load_dword v87, off, s[0:3], 0 offset:416
	buffer_load_dword v88, off, s[0:3], 0 offset:420
	buffer_load_dword v89, off, s[0:3], 0 offset:456
	buffer_load_dword v90, off, s[0:3], 0 offset:460
	buffer_load_dword v91, off, s[0:3], 0 offset:432
	buffer_load_dword v92, off, s[0:3], 0 offset:436
	buffer_load_dword v94, off, s[0:3], 0 offset:476
	buffer_load_dword v95, off, s[0:3], 0 offset:488
	buffer_load_dword v97, off, s[0:3], 0 offset:480
	buffer_load_dword v93, off, s[0:3], 0 offset:472
	buffer_load_dword v99, off, s[0:3], 0 offset:448
	buffer_load_dword v100, off, s[0:3], 0 offset:452
	buffer_load_dword v96, off, s[0:3], 0 offset:492
	buffer_load_dword v103, off, s[0:3], 0 offset:468
	buffer_load_dword v102, off, s[0:3], 0 offset:464
	buffer_load_dword v105, off, s[0:3], 0 offset:508
	buffer_load_dword v106, off, s[0:3], 0 offset:520
	buffer_load_dword v108, off, s[0:3], 0 offset:512
	buffer_load_dword v104, off, s[0:3], 0 offset:504
	buffer_load_dword v98, off, s[0:3], 0 offset:484
	buffer_load_dword v107, off, s[0:3], 0 offset:524
	buffer_load_dword v111, off, s[0:3], 0 offset:500
	buffer_load_dword v110, off, s[0:3], 0 offset:496
	buffer_load_dword v113, off, s[0:3], 0 offset:540
	buffer_load_dword v114, off, s[0:3], 0 offset:552
	buffer_load_dword v116, off, s[0:3], 0 offset:544
	buffer_load_dword v112, off, s[0:3], 0 offset:536
	buffer_load_dword v109, off, s[0:3], 0 offset:516
	buffer_load_dword v115, off, s[0:3], 0 offset:556
	buffer_load_dword v119, off, s[0:3], 0 offset:532
	buffer_load_dword v118, off, s[0:3], 0 offset:528
	buffer_load_dword v117, off, s[0:3], 0 offset:548
	buffer_load_dword v120, off, s[0:3], 0 offset:400
	buffer_load_dword v121, off, s[0:3], 0 offset:404
	buffer_load_dword v122, off, s[0:3], 0 offset:408
	buffer_load_dword v123, off, s[0:3], 0 offset:412
	v_mov_b32_e32 v1, 0
	ds_read_b128 v[73:76], v1 offset:944
	ds_read_b128 v[77:80], v1 offset:960
	;; [unrolled: 1-line block ×3, first 2 shown]
	s_mov_b32 s4, exec_lo
	s_waitcnt vmcnt(38) lgkmcnt(2)
	v_mul_f64 v[124:125], v[75:76], v[2:3]
	v_mul_f64 v[2:3], v[73:74], v[2:3]
	s_waitcnt vmcnt(36) lgkmcnt(1)
	v_mul_f64 v[126:127], v[79:80], v[85:86]
	v_mul_f64 v[85:86], v[77:78], v[85:86]
	s_waitcnt vmcnt(34)
	v_fma_f64 v[124:125], v[73:74], v[87:88], -v[124:125]
	v_fma_f64 v[2:3], v[75:76], v[87:88], v[2:3]
	ds_read_b128 v[73:76], v1 offset:992
	s_waitcnt vmcnt(32) lgkmcnt(1)
	v_mul_f64 v[87:88], v[81:82], v[89:90]
	v_mul_f64 v[89:90], v[83:84], v[89:90]
	s_waitcnt vmcnt(30)
	v_fma_f64 v[126:127], v[77:78], v[91:92], -v[126:127]
	v_fma_f64 v[85:86], v[79:80], v[91:92], v[85:86]
	ds_read_b128 v[77:80], v1 offset:1008
	s_waitcnt vmcnt(26) lgkmcnt(1)
	v_mul_f64 v[91:92], v[73:74], v[93:94]
	v_add_f64 v[124:125], v[124:125], 0
	v_add_f64 v[2:3], v[2:3], 0
	v_mul_f64 v[93:94], v[75:76], v[93:94]
	s_waitcnt vmcnt(24)
	v_fma_f64 v[89:90], v[81:82], v[99:100], -v[89:90]
	v_fma_f64 v[87:88], v[83:84], v[99:100], v[87:88]
	ds_read_b128 v[81:84], v1 offset:1024
	s_waitcnt vmcnt(21)
	v_fma_f64 v[91:92], v[75:76], v[102:103], v[91:92]
	v_add_f64 v[124:125], v[124:125], v[126:127]
	v_add_f64 v[2:3], v[2:3], v[85:86]
	s_waitcnt lgkmcnt(1)
	v_mul_f64 v[85:86], v[77:78], v[95:96]
	v_mul_f64 v[95:96], v[79:80], v[95:96]
	v_fma_f64 v[93:94], v[73:74], v[102:103], -v[93:94]
	s_waitcnt vmcnt(17) lgkmcnt(0)
	v_mul_f64 v[99:100], v[83:84], v[104:105]
	ds_read_b128 v[73:76], v1 offset:1040
	v_add_f64 v[89:90], v[124:125], v[89:90]
	v_add_f64 v[2:3], v[2:3], v[87:88]
	v_mul_f64 v[87:88], v[81:82], v[104:105]
	s_waitcnt vmcnt(16)
	v_fma_f64 v[95:96], v[77:78], v[97:98], -v[95:96]
	v_fma_f64 v[85:86], v[79:80], v[97:98], v[85:86]
	ds_read_b128 v[77:80], v1 offset:1056
	s_waitcnt vmcnt(13)
	v_fma_f64 v[97:98], v[81:82], v[110:111], -v[99:100]
	v_add_f64 v[89:90], v[89:90], v[93:94]
	v_add_f64 v[2:3], v[2:3], v[91:92]
	s_waitcnt lgkmcnt(1)
	v_mul_f64 v[93:94], v[75:76], v[106:107]
	v_mul_f64 v[91:92], v[73:74], v[106:107]
	v_fma_f64 v[87:88], v[83:84], v[110:111], v[87:88]
	ds_read_b128 v[81:84], v1 offset:1072
	v_add_f64 v[89:90], v[89:90], v[95:96]
	v_add_f64 v[2:3], v[2:3], v[85:86]
	s_waitcnt vmcnt(9) lgkmcnt(1)
	v_mul_f64 v[95:96], v[79:80], v[112:113]
	s_waitcnt vmcnt(8)
	v_fma_f64 v[73:74], v[73:74], v[108:109], -v[93:94]
	v_mul_f64 v[85:86], v[77:78], v[112:113]
	v_fma_f64 v[75:76], v[75:76], v[108:109], v[91:92]
	s_waitcnt vmcnt(7) lgkmcnt(0)
	v_mul_f64 v[91:92], v[83:84], v[114:115]
	v_add_f64 v[89:90], v[89:90], v[97:98]
	v_add_f64 v[2:3], v[2:3], v[87:88]
	s_waitcnt vmcnt(5)
	v_fma_f64 v[77:78], v[77:78], v[118:119], -v[95:96]
	v_mul_f64 v[87:88], v[81:82], v[114:115]
	v_fma_f64 v[79:80], v[79:80], v[118:119], v[85:86]
	v_add_f64 v[73:74], v[89:90], v[73:74]
	v_add_f64 v[2:3], v[2:3], v[75:76]
	s_waitcnt vmcnt(4)
	v_fma_f64 v[75:76], v[81:82], v[116:117], -v[91:92]
	v_add_f64 v[73:74], v[73:74], v[77:78]
	v_fma_f64 v[77:78], v[83:84], v[116:117], v[87:88]
	v_add_f64 v[2:3], v[2:3], v[79:80]
	v_add_f64 v[73:74], v[73:74], v[75:76]
	;; [unrolled: 1-line block ×3, first 2 shown]
	s_waitcnt vmcnt(2)
	v_add_f64 v[73:74], v[120:121], -v[73:74]
	s_waitcnt vmcnt(0)
	v_add_f64 v[2:3], v[122:123], -v[2:3]
	buffer_store_dword v74, off, s[0:3], 0 offset:404
	buffer_store_dword v73, off, s[0:3], 0 offset:400
	buffer_store_dword v3, off, s[0:3], 0 offset:412
	buffer_store_dword v2, off, s[0:3], 0 offset:408
	v_cmpx_lt_u32_e32 23, v0
	s_cbranch_execz .LBB97_171
; %bb.170:
	v_mov_b32_e32 v2, s22
	s_clause 0x3
	buffer_load_dword v73, v2, s[0:3], 0 offen
	buffer_load_dword v74, v2, s[0:3], 0 offen offset:4
	buffer_load_dword v75, v2, s[0:3], 0 offen offset:8
	;; [unrolled: 1-line block ×3, first 2 shown]
	buffer_store_dword v1, off, s[0:3], 0 offset:384
	buffer_store_dword v1, off, s[0:3], 0 offset:388
	buffer_store_dword v1, off, s[0:3], 0 offset:392
	buffer_store_dword v1, off, s[0:3], 0 offset:396
	s_waitcnt vmcnt(0)
	ds_write_b128 v101, v[73:76]
.LBB97_171:
	s_or_b32 exec_lo, exec_lo, s4
	s_waitcnt lgkmcnt(0)
	s_waitcnt_vscnt null, 0x0
	s_barrier
	buffer_gl0_inv
	s_clause 0x2b
	buffer_load_dword v2, off, s[0:3], 0 offset:408
	buffer_load_dword v3, off, s[0:3], 0 offset:412
	;; [unrolled: 1-line block ×44, first 2 shown]
	ds_read_b128 v[73:76], v1 offset:928
	ds_read_b128 v[77:80], v1 offset:944
	;; [unrolled: 1-line block ×3, first 2 shown]
	s_mov_b32 s4, exec_lo
	s_waitcnt vmcnt(42) lgkmcnt(2)
	v_mul_f64 v[128:129], v[75:76], v[2:3]
	v_mul_f64 v[2:3], v[73:74], v[2:3]
	s_waitcnt vmcnt(40) lgkmcnt(1)
	v_mul_f64 v[130:131], v[79:80], v[85:86]
	v_mul_f64 v[85:86], v[77:78], v[85:86]
	s_waitcnt vmcnt(38)
	v_fma_f64 v[128:129], v[73:74], v[87:88], -v[128:129]
	v_fma_f64 v[2:3], v[75:76], v[87:88], v[2:3]
	ds_read_b128 v[73:76], v1 offset:976
	s_waitcnt vmcnt(36) lgkmcnt(1)
	v_mul_f64 v[87:88], v[81:82], v[89:90]
	v_mul_f64 v[89:90], v[83:84], v[89:90]
	s_waitcnt vmcnt(34)
	v_fma_f64 v[130:131], v[77:78], v[91:92], -v[130:131]
	v_fma_f64 v[85:86], v[79:80], v[91:92], v[85:86]
	ds_read_b128 v[77:80], v1 offset:992
	s_waitcnt vmcnt(30) lgkmcnt(1)
	v_mul_f64 v[91:92], v[73:74], v[93:94]
	v_add_f64 v[128:129], v[128:129], 0
	v_add_f64 v[2:3], v[2:3], 0
	v_mul_f64 v[93:94], v[75:76], v[93:94]
	s_waitcnt vmcnt(28)
	v_fma_f64 v[89:90], v[81:82], v[99:100], -v[89:90]
	v_fma_f64 v[87:88], v[83:84], v[99:100], v[87:88]
	ds_read_b128 v[81:84], v1 offset:1008
	s_waitcnt vmcnt(25)
	v_fma_f64 v[91:92], v[75:76], v[102:103], v[91:92]
	v_add_f64 v[128:129], v[128:129], v[130:131]
	v_add_f64 v[2:3], v[2:3], v[85:86]
	s_waitcnt lgkmcnt(1)
	v_mul_f64 v[85:86], v[77:78], v[95:96]
	v_mul_f64 v[95:96], v[79:80], v[95:96]
	v_fma_f64 v[93:94], v[73:74], v[102:103], -v[93:94]
	s_waitcnt vmcnt(21) lgkmcnt(0)
	v_mul_f64 v[99:100], v[83:84], v[104:105]
	ds_read_b128 v[73:76], v1 offset:1024
	v_add_f64 v[89:90], v[128:129], v[89:90]
	v_add_f64 v[2:3], v[2:3], v[87:88]
	v_mul_f64 v[87:88], v[81:82], v[104:105]
	s_waitcnt vmcnt(20)
	v_fma_f64 v[95:96], v[77:78], v[97:98], -v[95:96]
	v_fma_f64 v[85:86], v[79:80], v[97:98], v[85:86]
	ds_read_b128 v[77:80], v1 offset:1040
	s_waitcnt vmcnt(17)
	v_fma_f64 v[97:98], v[81:82], v[110:111], -v[99:100]
	v_add_f64 v[89:90], v[89:90], v[93:94]
	v_add_f64 v[2:3], v[2:3], v[91:92]
	s_waitcnt lgkmcnt(1)
	v_mul_f64 v[93:94], v[75:76], v[106:107]
	v_mul_f64 v[91:92], v[73:74], v[106:107]
	v_fma_f64 v[87:88], v[83:84], v[110:111], v[87:88]
	ds_read_b128 v[81:84], v1 offset:1056
	v_add_f64 v[89:90], v[89:90], v[95:96]
	v_add_f64 v[2:3], v[2:3], v[85:86]
	s_waitcnt vmcnt(13) lgkmcnt(1)
	v_mul_f64 v[95:96], v[79:80], v[112:113]
	s_waitcnt vmcnt(12)
	v_fma_f64 v[73:74], v[73:74], v[108:109], -v[93:94]
	v_mul_f64 v[85:86], v[77:78], v[112:113]
	v_fma_f64 v[75:76], v[75:76], v[108:109], v[91:92]
	s_waitcnt vmcnt(11) lgkmcnt(0)
	v_mul_f64 v[93:94], v[83:84], v[114:115]
	v_mul_f64 v[91:92], v[81:82], v[114:115]
	v_add_f64 v[89:90], v[89:90], v[97:98]
	v_add_f64 v[87:88], v[2:3], v[87:88]
	s_waitcnt vmcnt(9)
	v_fma_f64 v[77:78], v[77:78], v[118:119], -v[95:96]
	ds_read_b128 v[1:4], v1 offset:1072
	v_fma_f64 v[79:80], v[79:80], v[118:119], v[85:86]
	s_waitcnt vmcnt(6)
	v_fma_f64 v[81:82], v[81:82], v[116:117], -v[93:94]
	v_add_f64 v[73:74], v[89:90], v[73:74]
	v_add_f64 v[75:76], v[87:88], v[75:76]
	s_waitcnt lgkmcnt(0)
	v_mul_f64 v[87:88], v[3:4], v[120:121]
	v_mul_f64 v[85:86], v[1:2], v[120:121]
	v_add_f64 v[73:74], v[73:74], v[77:78]
	v_fma_f64 v[77:78], v[83:84], v[116:117], v[91:92]
	v_add_f64 v[75:76], v[75:76], v[79:80]
	s_waitcnt vmcnt(4)
	v_fma_f64 v[1:2], v[1:2], v[122:123], -v[87:88]
	v_fma_f64 v[3:4], v[3:4], v[122:123], v[85:86]
	v_add_f64 v[73:74], v[73:74], v[81:82]
	v_add_f64 v[75:76], v[75:76], v[77:78]
	;; [unrolled: 1-line block ×4, first 2 shown]
	s_waitcnt vmcnt(2)
	v_add_f64 v[1:2], v[124:125], -v[1:2]
	s_waitcnt vmcnt(0)
	v_add_f64 v[3:4], v[126:127], -v[3:4]
	buffer_store_dword v2, off, s[0:3], 0 offset:388
	buffer_store_dword v1, off, s[0:3], 0 offset:384
	;; [unrolled: 1-line block ×4, first 2 shown]
	v_cmpx_lt_u32_e32 22, v0
	s_cbranch_execz .LBB97_173
; %bb.172:
	v_mov_b32_e32 v4, s23
	v_mov_b32_e32 v73, 0
	s_clause 0x3
	buffer_load_dword v1, v4, s[0:3], 0 offen
	buffer_load_dword v2, v4, s[0:3], 0 offen offset:4
	buffer_load_dword v3, v4, s[0:3], 0 offen offset:8
	;; [unrolled: 1-line block ×3, first 2 shown]
	buffer_store_dword v73, off, s[0:3], 0 offset:368
	buffer_store_dword v73, off, s[0:3], 0 offset:372
	;; [unrolled: 1-line block ×4, first 2 shown]
	s_waitcnt vmcnt(0)
	ds_write_b128 v101, v[1:4]
.LBB97_173:
	s_or_b32 exec_lo, exec_lo, s4
	s_waitcnt lgkmcnt(0)
	s_waitcnt_vscnt null, 0x0
	s_barrier
	buffer_gl0_inv
	s_clause 0x2f
	buffer_load_dword v2, off, s[0:3], 0 offset:392
	buffer_load_dword v3, off, s[0:3], 0 offset:396
	;; [unrolled: 1-line block ×48, first 2 shown]
	v_mov_b32_e32 v1, 0
	ds_read_b128 v[73:76], v1 offset:912
	ds_read_b128 v[77:80], v1 offset:928
	;; [unrolled: 1-line block ×3, first 2 shown]
	s_mov_b32 s4, exec_lo
	s_waitcnt vmcnt(46) lgkmcnt(2)
	v_mul_f64 v[132:133], v[75:76], v[2:3]
	v_mul_f64 v[2:3], v[73:74], v[2:3]
	s_waitcnt vmcnt(44) lgkmcnt(1)
	v_mul_f64 v[134:135], v[79:80], v[85:86]
	v_mul_f64 v[85:86], v[77:78], v[85:86]
	s_waitcnt vmcnt(42)
	v_fma_f64 v[132:133], v[73:74], v[87:88], -v[132:133]
	v_fma_f64 v[2:3], v[75:76], v[87:88], v[2:3]
	ds_read_b128 v[73:76], v1 offset:960
	s_waitcnt vmcnt(40) lgkmcnt(1)
	v_mul_f64 v[87:88], v[81:82], v[89:90]
	v_mul_f64 v[89:90], v[83:84], v[89:90]
	s_waitcnt vmcnt(38)
	v_fma_f64 v[134:135], v[77:78], v[91:92], -v[134:135]
	v_fma_f64 v[85:86], v[79:80], v[91:92], v[85:86]
	ds_read_b128 v[77:80], v1 offset:976
	s_waitcnt vmcnt(34) lgkmcnt(1)
	v_mul_f64 v[91:92], v[73:74], v[93:94]
	v_add_f64 v[132:133], v[132:133], 0
	v_add_f64 v[2:3], v[2:3], 0
	v_mul_f64 v[93:94], v[75:76], v[93:94]
	s_waitcnt vmcnt(32)
	v_fma_f64 v[89:90], v[81:82], v[99:100], -v[89:90]
	v_fma_f64 v[87:88], v[83:84], v[99:100], v[87:88]
	ds_read_b128 v[81:84], v1 offset:992
	s_waitcnt vmcnt(29)
	v_fma_f64 v[91:92], v[75:76], v[102:103], v[91:92]
	v_add_f64 v[132:133], v[132:133], v[134:135]
	v_add_f64 v[2:3], v[2:3], v[85:86]
	s_waitcnt lgkmcnt(1)
	v_mul_f64 v[85:86], v[77:78], v[95:96]
	v_mul_f64 v[95:96], v[79:80], v[95:96]
	v_fma_f64 v[93:94], v[73:74], v[102:103], -v[93:94]
	s_waitcnt vmcnt(25) lgkmcnt(0)
	v_mul_f64 v[99:100], v[83:84], v[104:105]
	ds_read_b128 v[73:76], v1 offset:1008
	v_add_f64 v[89:90], v[132:133], v[89:90]
	v_add_f64 v[2:3], v[2:3], v[87:88]
	v_mul_f64 v[87:88], v[81:82], v[104:105]
	s_waitcnt vmcnt(24)
	v_fma_f64 v[95:96], v[77:78], v[97:98], -v[95:96]
	v_fma_f64 v[85:86], v[79:80], v[97:98], v[85:86]
	ds_read_b128 v[77:80], v1 offset:1024
	s_waitcnt vmcnt(21)
	v_fma_f64 v[97:98], v[81:82], v[110:111], -v[99:100]
	v_add_f64 v[89:90], v[89:90], v[93:94]
	v_add_f64 v[2:3], v[2:3], v[91:92]
	s_waitcnt lgkmcnt(1)
	v_mul_f64 v[93:94], v[75:76], v[106:107]
	v_mul_f64 v[91:92], v[73:74], v[106:107]
	v_fma_f64 v[87:88], v[83:84], v[110:111], v[87:88]
	ds_read_b128 v[81:84], v1 offset:1040
	v_add_f64 v[89:90], v[89:90], v[95:96]
	v_add_f64 v[2:3], v[2:3], v[85:86]
	s_waitcnt vmcnt(17) lgkmcnt(1)
	v_mul_f64 v[95:96], v[79:80], v[112:113]
	s_waitcnt vmcnt(16)
	v_fma_f64 v[93:94], v[73:74], v[108:109], -v[93:94]
	v_mul_f64 v[85:86], v[77:78], v[112:113]
	v_fma_f64 v[91:92], v[75:76], v[108:109], v[91:92]
	ds_read_b128 v[73:76], v1 offset:1056
	v_add_f64 v[89:90], v[89:90], v[97:98]
	v_add_f64 v[2:3], v[2:3], v[87:88]
	s_waitcnt vmcnt(15) lgkmcnt(1)
	v_mul_f64 v[97:98], v[83:84], v[114:115]
	s_waitcnt vmcnt(13)
	v_fma_f64 v[95:96], v[77:78], v[118:119], -v[95:96]
	;; [unrolled: 9-line block ×3, first 2 shown]
	v_mul_f64 v[91:92], v[73:74], v[120:121]
	v_fma_f64 v[83:84], v[83:84], v[116:117], v[87:88]
	s_waitcnt vmcnt(7) lgkmcnt(0)
	v_mul_f64 v[87:88], v[79:80], v[122:123]
	v_add_f64 v[89:90], v[89:90], v[95:96]
	v_add_f64 v[2:3], v[2:3], v[85:86]
	s_waitcnt vmcnt(5)
	v_fma_f64 v[73:74], v[73:74], v[126:127], -v[93:94]
	v_mul_f64 v[85:86], v[77:78], v[122:123]
	v_fma_f64 v[75:76], v[75:76], v[126:127], v[91:92]
	s_waitcnt vmcnt(4)
	v_fma_f64 v[77:78], v[77:78], v[124:125], -v[87:88]
	v_add_f64 v[81:82], v[89:90], v[81:82]
	v_add_f64 v[2:3], v[2:3], v[83:84]
	v_fma_f64 v[79:80], v[79:80], v[124:125], v[85:86]
	v_add_f64 v[73:74], v[81:82], v[73:74]
	v_add_f64 v[2:3], v[2:3], v[75:76]
	;; [unrolled: 1-line block ×4, first 2 shown]
	s_waitcnt vmcnt(2)
	v_add_f64 v[73:74], v[128:129], -v[73:74]
	s_waitcnt vmcnt(0)
	v_add_f64 v[2:3], v[130:131], -v[2:3]
	buffer_store_dword v74, off, s[0:3], 0 offset:372
	buffer_store_dword v73, off, s[0:3], 0 offset:368
	;; [unrolled: 1-line block ×4, first 2 shown]
	v_cmpx_lt_u32_e32 21, v0
	s_cbranch_execz .LBB97_175
; %bb.174:
	v_mov_b32_e32 v2, s24
	s_clause 0x3
	buffer_load_dword v73, v2, s[0:3], 0 offen
	buffer_load_dword v74, v2, s[0:3], 0 offen offset:4
	buffer_load_dword v75, v2, s[0:3], 0 offen offset:8
	;; [unrolled: 1-line block ×3, first 2 shown]
	buffer_store_dword v1, off, s[0:3], 0 offset:352
	buffer_store_dword v1, off, s[0:3], 0 offset:356
	buffer_store_dword v1, off, s[0:3], 0 offset:360
	buffer_store_dword v1, off, s[0:3], 0 offset:364
	s_waitcnt vmcnt(0)
	ds_write_b128 v101, v[73:76]
.LBB97_175:
	s_or_b32 exec_lo, exec_lo, s4
	s_waitcnt lgkmcnt(0)
	s_waitcnt_vscnt null, 0x0
	s_barrier
	buffer_gl0_inv
	s_clause 0x2f
	buffer_load_dword v2, off, s[0:3], 0 offset:376
	buffer_load_dword v3, off, s[0:3], 0 offset:380
	;; [unrolled: 1-line block ×48, first 2 shown]
	ds_read_b128 v[73:76], v1 offset:896
	s_clause 0x3
	buffer_load_dword v132, off, s[0:3], 0 offset:352
	buffer_load_dword v133, off, s[0:3], 0 offset:356
	;; [unrolled: 1-line block ×4, first 2 shown]
	ds_read_b128 v[77:80], v1 offset:912
	ds_read_b128 v[81:84], v1 offset:928
	s_mov_b32 s4, exec_lo
	s_waitcnt vmcnt(50) lgkmcnt(2)
	v_mul_f64 v[136:137], v[75:76], v[2:3]
	v_mul_f64 v[2:3], v[73:74], v[2:3]
	s_waitcnt vmcnt(48) lgkmcnt(1)
	v_mul_f64 v[138:139], v[79:80], v[85:86]
	v_mul_f64 v[85:86], v[77:78], v[85:86]
	s_waitcnt vmcnt(46)
	v_fma_f64 v[136:137], v[73:74], v[87:88], -v[136:137]
	v_fma_f64 v[2:3], v[75:76], v[87:88], v[2:3]
	s_waitcnt vmcnt(44) lgkmcnt(0)
	v_mul_f64 v[87:88], v[81:82], v[89:90]
	v_mul_f64 v[89:90], v[83:84], v[89:90]
	s_waitcnt vmcnt(42)
	v_fma_f64 v[138:139], v[77:78], v[91:92], -v[138:139]
	ds_read_b128 v[73:76], v1 offset:944
	v_fma_f64 v[85:86], v[79:80], v[91:92], v[85:86]
	ds_read_b128 v[77:80], v1 offset:960
	v_add_f64 v[136:137], v[136:137], 0
	v_add_f64 v[2:3], v[2:3], 0
	s_waitcnt vmcnt(36)
	v_fma_f64 v[87:88], v[83:84], v[99:100], v[87:88]
	s_waitcnt lgkmcnt(1)
	v_mul_f64 v[91:92], v[73:74], v[93:94]
	v_mul_f64 v[93:94], v[75:76], v[93:94]
	v_fma_f64 v[89:90], v[81:82], v[99:100], -v[89:90]
	ds_read_b128 v[81:84], v1 offset:976
	v_add_f64 v[136:137], v[136:137], v[138:139]
	v_add_f64 v[2:3], v[2:3], v[85:86]
	s_waitcnt vmcnt(35) lgkmcnt(1)
	v_mul_f64 v[85:86], v[77:78], v[95:96]
	v_mul_f64 v[95:96], v[79:80], v[95:96]
	s_waitcnt vmcnt(33)
	v_fma_f64 v[93:94], v[73:74], v[102:103], -v[93:94]
	v_fma_f64 v[91:92], v[75:76], v[102:103], v[91:92]
	ds_read_b128 v[73:76], v1 offset:992
	s_waitcnt vmcnt(29) lgkmcnt(1)
	v_mul_f64 v[99:100], v[83:84], v[104:105]
	v_add_f64 v[89:90], v[136:137], v[89:90]
	v_add_f64 v[2:3], v[2:3], v[87:88]
	v_mul_f64 v[87:88], v[81:82], v[104:105]
	s_waitcnt vmcnt(28)
	v_fma_f64 v[95:96], v[77:78], v[97:98], -v[95:96]
	v_fma_f64 v[85:86], v[79:80], v[97:98], v[85:86]
	ds_read_b128 v[77:80], v1 offset:1008
	s_waitcnt vmcnt(25)
	v_fma_f64 v[97:98], v[81:82], v[110:111], -v[99:100]
	v_add_f64 v[89:90], v[89:90], v[93:94]
	v_add_f64 v[2:3], v[2:3], v[91:92]
	s_waitcnt lgkmcnt(1)
	v_mul_f64 v[93:94], v[75:76], v[106:107]
	v_mul_f64 v[91:92], v[73:74], v[106:107]
	v_fma_f64 v[87:88], v[83:84], v[110:111], v[87:88]
	ds_read_b128 v[81:84], v1 offset:1024
	v_add_f64 v[89:90], v[89:90], v[95:96]
	v_add_f64 v[2:3], v[2:3], v[85:86]
	s_waitcnt vmcnt(21) lgkmcnt(1)
	v_mul_f64 v[95:96], v[79:80], v[112:113]
	s_waitcnt vmcnt(20)
	v_fma_f64 v[93:94], v[73:74], v[108:109], -v[93:94]
	v_mul_f64 v[85:86], v[77:78], v[112:113]
	v_fma_f64 v[91:92], v[75:76], v[108:109], v[91:92]
	ds_read_b128 v[73:76], v1 offset:1040
	v_add_f64 v[89:90], v[89:90], v[97:98]
	v_add_f64 v[2:3], v[2:3], v[87:88]
	s_waitcnt vmcnt(19) lgkmcnt(1)
	v_mul_f64 v[97:98], v[83:84], v[114:115]
	s_waitcnt vmcnt(17)
	v_fma_f64 v[95:96], v[77:78], v[118:119], -v[95:96]
	;; [unrolled: 9-line block ×3, first 2 shown]
	v_mul_f64 v[91:92], v[73:74], v[120:121]
	v_fma_f64 v[83:84], v[83:84], v[116:117], v[87:88]
	s_waitcnt vmcnt(11) lgkmcnt(0)
	v_mul_f64 v[87:88], v[77:78], v[122:123]
	v_add_f64 v[89:90], v[89:90], v[95:96]
	v_add_f64 v[85:86], v[2:3], v[85:86]
	v_mul_f64 v[95:96], v[79:80], v[122:123]
	s_waitcnt vmcnt(9)
	v_fma_f64 v[73:74], v[73:74], v[126:127], -v[93:94]
	ds_read_b128 v[1:4], v1 offset:1072
	v_fma_f64 v[75:76], v[75:76], v[126:127], v[91:92]
	s_waitcnt vmcnt(6)
	v_fma_f64 v[79:80], v[79:80], v[124:125], v[87:88]
	v_add_f64 v[81:82], v[89:90], v[81:82]
	v_add_f64 v[83:84], v[85:86], v[83:84]
	s_waitcnt lgkmcnt(0)
	v_mul_f64 v[89:90], v[3:4], v[128:129]
	v_fma_f64 v[77:78], v[77:78], v[124:125], -v[95:96]
	v_mul_f64 v[85:86], v[1:2], v[128:129]
	v_add_f64 v[73:74], v[81:82], v[73:74]
	v_add_f64 v[75:76], v[83:84], v[75:76]
	s_waitcnt vmcnt(4)
	v_fma_f64 v[1:2], v[1:2], v[130:131], -v[89:90]
	v_fma_f64 v[3:4], v[3:4], v[130:131], v[85:86]
	v_add_f64 v[73:74], v[73:74], v[77:78]
	v_add_f64 v[75:76], v[75:76], v[79:80]
	;; [unrolled: 1-line block ×4, first 2 shown]
	s_waitcnt vmcnt(2)
	v_add_f64 v[1:2], v[132:133], -v[1:2]
	s_waitcnt vmcnt(0)
	v_add_f64 v[3:4], v[134:135], -v[3:4]
	buffer_store_dword v2, off, s[0:3], 0 offset:356
	buffer_store_dword v1, off, s[0:3], 0 offset:352
	;; [unrolled: 1-line block ×4, first 2 shown]
	v_cmpx_lt_u32_e32 20, v0
	s_cbranch_execz .LBB97_177
; %bb.176:
	v_mov_b32_e32 v4, s25
	v_mov_b32_e32 v73, 0
	s_clause 0x3
	buffer_load_dword v1, v4, s[0:3], 0 offen
	buffer_load_dword v2, v4, s[0:3], 0 offen offset:4
	buffer_load_dword v3, v4, s[0:3], 0 offen offset:8
	;; [unrolled: 1-line block ×3, first 2 shown]
	buffer_store_dword v73, off, s[0:3], 0 offset:336
	buffer_store_dword v73, off, s[0:3], 0 offset:340
	;; [unrolled: 1-line block ×4, first 2 shown]
	s_waitcnt vmcnt(0)
	ds_write_b128 v101, v[1:4]
.LBB97_177:
	s_or_b32 exec_lo, exec_lo, s4
	s_waitcnt lgkmcnt(0)
	s_waitcnt_vscnt null, 0x0
	s_barrier
	buffer_gl0_inv
	s_clause 0x33
	buffer_load_dword v2, off, s[0:3], 0 offset:360
	buffer_load_dword v3, off, s[0:3], 0 offset:364
	;; [unrolled: 1-line block ×52, first 2 shown]
	v_mov_b32_e32 v1, 0
	ds_read_b128 v[73:76], v1 offset:880
	ds_read_b128 v[77:80], v1 offset:896
	s_clause 0x3
	buffer_load_dword v138, off, s[0:3], 0 offset:336
	buffer_load_dword v139, off, s[0:3], 0 offset:340
	;; [unrolled: 1-line block ×4, first 2 shown]
	ds_read_b128 v[81:84], v1 offset:912
	s_mov_b32 s4, exec_lo
	s_waitcnt vmcnt(54) lgkmcnt(2)
	v_mul_f64 v[136:137], v[75:76], v[2:3]
	v_mul_f64 v[2:3], v[73:74], v[2:3]
	s_waitcnt vmcnt(52) lgkmcnt(1)
	v_mul_f64 v[142:143], v[79:80], v[85:86]
	v_mul_f64 v[85:86], v[77:78], v[85:86]
	s_waitcnt vmcnt(50)
	v_fma_f64 v[136:137], v[73:74], v[87:88], -v[136:137]
	v_fma_f64 v[2:3], v[75:76], v[87:88], v[2:3]
	ds_read_b128 v[73:76], v1 offset:928
	s_waitcnt vmcnt(48) lgkmcnt(1)
	v_mul_f64 v[87:88], v[81:82], v[89:90]
	v_mul_f64 v[89:90], v[83:84], v[89:90]
	s_waitcnt vmcnt(46)
	v_fma_f64 v[142:143], v[77:78], v[91:92], -v[142:143]
	v_fma_f64 v[85:86], v[79:80], v[91:92], v[85:86]
	ds_read_b128 v[77:80], v1 offset:944
	s_waitcnt vmcnt(42) lgkmcnt(1)
	v_mul_f64 v[91:92], v[73:74], v[93:94]
	v_add_f64 v[136:137], v[136:137], 0
	v_add_f64 v[2:3], v[2:3], 0
	v_mul_f64 v[93:94], v[75:76], v[93:94]
	s_waitcnt vmcnt(40)
	v_fma_f64 v[89:90], v[81:82], v[99:100], -v[89:90]
	v_fma_f64 v[87:88], v[83:84], v[99:100], v[87:88]
	ds_read_b128 v[81:84], v1 offset:960
	s_waitcnt vmcnt(37)
	v_fma_f64 v[91:92], v[75:76], v[102:103], v[91:92]
	v_add_f64 v[136:137], v[136:137], v[142:143]
	v_add_f64 v[2:3], v[2:3], v[85:86]
	s_waitcnt lgkmcnt(1)
	v_mul_f64 v[85:86], v[77:78], v[95:96]
	v_mul_f64 v[95:96], v[79:80], v[95:96]
	v_fma_f64 v[93:94], v[73:74], v[102:103], -v[93:94]
	s_waitcnt vmcnt(33) lgkmcnt(0)
	v_mul_f64 v[99:100], v[83:84], v[104:105]
	ds_read_b128 v[73:76], v1 offset:976
	v_add_f64 v[89:90], v[136:137], v[89:90]
	v_add_f64 v[2:3], v[2:3], v[87:88]
	v_mul_f64 v[87:88], v[81:82], v[104:105]
	s_waitcnt vmcnt(32)
	v_fma_f64 v[95:96], v[77:78], v[97:98], -v[95:96]
	v_fma_f64 v[85:86], v[79:80], v[97:98], v[85:86]
	ds_read_b128 v[77:80], v1 offset:992
	s_waitcnt vmcnt(29)
	v_fma_f64 v[97:98], v[81:82], v[110:111], -v[99:100]
	v_add_f64 v[89:90], v[89:90], v[93:94]
	v_add_f64 v[2:3], v[2:3], v[91:92]
	s_waitcnt lgkmcnt(1)
	v_mul_f64 v[93:94], v[75:76], v[106:107]
	v_mul_f64 v[91:92], v[73:74], v[106:107]
	v_fma_f64 v[87:88], v[83:84], v[110:111], v[87:88]
	ds_read_b128 v[81:84], v1 offset:1008
	v_add_f64 v[89:90], v[89:90], v[95:96]
	v_add_f64 v[2:3], v[2:3], v[85:86]
	s_waitcnt vmcnt(25) lgkmcnt(1)
	v_mul_f64 v[95:96], v[79:80], v[112:113]
	s_waitcnt vmcnt(24)
	v_fma_f64 v[93:94], v[73:74], v[108:109], -v[93:94]
	v_mul_f64 v[85:86], v[77:78], v[112:113]
	v_fma_f64 v[91:92], v[75:76], v[108:109], v[91:92]
	ds_read_b128 v[73:76], v1 offset:1024
	v_add_f64 v[89:90], v[89:90], v[97:98]
	v_add_f64 v[2:3], v[2:3], v[87:88]
	s_waitcnt vmcnt(23) lgkmcnt(1)
	v_mul_f64 v[97:98], v[83:84], v[114:115]
	s_waitcnt vmcnt(21)
	v_fma_f64 v[95:96], v[77:78], v[118:119], -v[95:96]
	;; [unrolled: 9-line block ×5, first 2 shown]
	v_mul_f64 v[87:88], v[81:82], v[128:129]
	v_fma_f64 v[79:80], v[79:80], v[124:125], v[85:86]
	s_waitcnt vmcnt(7) lgkmcnt(0)
	v_mul_f64 v[85:86], v[73:74], v[130:131]
	v_add_f64 v[89:90], v[89:90], v[93:94]
	v_add_f64 v[2:3], v[2:3], v[91:92]
	v_mul_f64 v[91:92], v[75:76], v[130:131]
	s_waitcnt vmcnt(5)
	v_fma_f64 v[81:82], v[81:82], v[134:135], -v[97:98]
	v_fma_f64 v[83:84], v[83:84], v[134:135], v[87:88]
	s_waitcnt vmcnt(4)
	v_fma_f64 v[75:76], v[75:76], v[132:133], v[85:86]
	v_add_f64 v[77:78], v[89:90], v[77:78]
	v_add_f64 v[2:3], v[2:3], v[79:80]
	v_fma_f64 v[73:74], v[73:74], v[132:133], -v[91:92]
	v_add_f64 v[77:78], v[77:78], v[81:82]
	v_add_f64 v[2:3], v[2:3], v[83:84]
	;; [unrolled: 1-line block ×4, first 2 shown]
	s_waitcnt vmcnt(2)
	v_add_f64 v[73:74], v[138:139], -v[73:74]
	s_waitcnt vmcnt(0)
	v_add_f64 v[2:3], v[140:141], -v[2:3]
	buffer_store_dword v74, off, s[0:3], 0 offset:340
	buffer_store_dword v73, off, s[0:3], 0 offset:336
	;; [unrolled: 1-line block ×4, first 2 shown]
	v_cmpx_lt_u32_e32 19, v0
	s_cbranch_execz .LBB97_179
; %bb.178:
	v_mov_b32_e32 v2, s26
	s_clause 0x3
	buffer_load_dword v73, v2, s[0:3], 0 offen
	buffer_load_dword v74, v2, s[0:3], 0 offen offset:4
	buffer_load_dword v75, v2, s[0:3], 0 offen offset:8
	;; [unrolled: 1-line block ×3, first 2 shown]
	buffer_store_dword v1, off, s[0:3], 0 offset:320
	buffer_store_dword v1, off, s[0:3], 0 offset:324
	;; [unrolled: 1-line block ×4, first 2 shown]
	s_waitcnt vmcnt(0)
	ds_write_b128 v101, v[73:76]
.LBB97_179:
	s_or_b32 exec_lo, exec_lo, s4
	s_waitcnt lgkmcnt(0)
	s_waitcnt_vscnt null, 0x0
	s_barrier
	buffer_gl0_inv
	s_clause 0x35
	buffer_load_dword v2, off, s[0:3], 0 offset:344
	buffer_load_dword v3, off, s[0:3], 0 offset:348
	buffer_load_dword v85, off, s[0:3], 0 offset:360
	buffer_load_dword v86, off, s[0:3], 0 offset:364
	buffer_load_dword v87, off, s[0:3], 0 offset:336
	buffer_load_dword v88, off, s[0:3], 0 offset:340
	buffer_load_dword v89, off, s[0:3], 0 offset:376
	buffer_load_dword v90, off, s[0:3], 0 offset:380
	buffer_load_dword v91, off, s[0:3], 0 offset:352
	buffer_load_dword v92, off, s[0:3], 0 offset:356
	buffer_load_dword v94, off, s[0:3], 0 offset:396
	buffer_load_dword v95, off, s[0:3], 0 offset:408
	buffer_load_dword v97, off, s[0:3], 0 offset:400
	buffer_load_dword v93, off, s[0:3], 0 offset:392
	buffer_load_dword v99, off, s[0:3], 0 offset:368
	buffer_load_dword v100, off, s[0:3], 0 offset:372
	buffer_load_dword v96, off, s[0:3], 0 offset:412
	buffer_load_dword v103, off, s[0:3], 0 offset:388
	buffer_load_dword v102, off, s[0:3], 0 offset:384
	buffer_load_dword v105, off, s[0:3], 0 offset:428
	buffer_load_dword v106, off, s[0:3], 0 offset:440
	buffer_load_dword v108, off, s[0:3], 0 offset:432
	buffer_load_dword v104, off, s[0:3], 0 offset:424
	buffer_load_dword v98, off, s[0:3], 0 offset:404
	buffer_load_dword v107, off, s[0:3], 0 offset:444
	buffer_load_dword v111, off, s[0:3], 0 offset:420
	buffer_load_dword v110, off, s[0:3], 0 offset:416
	buffer_load_dword v113, off, s[0:3], 0 offset:460
	buffer_load_dword v114, off, s[0:3], 0 offset:472
	buffer_load_dword v116, off, s[0:3], 0 offset:464
	buffer_load_dword v112, off, s[0:3], 0 offset:456
	buffer_load_dword v109, off, s[0:3], 0 offset:436
	buffer_load_dword v115, off, s[0:3], 0 offset:476
	buffer_load_dword v119, off, s[0:3], 0 offset:452
	buffer_load_dword v118, off, s[0:3], 0 offset:448
	buffer_load_dword v121, off, s[0:3], 0 offset:492
	buffer_load_dword v122, off, s[0:3], 0 offset:504
	buffer_load_dword v124, off, s[0:3], 0 offset:496
	buffer_load_dword v120, off, s[0:3], 0 offset:488
	buffer_load_dword v117, off, s[0:3], 0 offset:468
	buffer_load_dword v123, off, s[0:3], 0 offset:508
	buffer_load_dword v127, off, s[0:3], 0 offset:484
	buffer_load_dword v126, off, s[0:3], 0 offset:480
	buffer_load_dword v129, off, s[0:3], 0 offset:524
	buffer_load_dword v130, off, s[0:3], 0 offset:536
	buffer_load_dword v132, off, s[0:3], 0 offset:528
	buffer_load_dword v128, off, s[0:3], 0 offset:520
	buffer_load_dword v125, off, s[0:3], 0 offset:500
	buffer_load_dword v131, off, s[0:3], 0 offset:540
	buffer_load_dword v135, off, s[0:3], 0 offset:516
	buffer_load_dword v134, off, s[0:3], 0 offset:512
	buffer_load_dword v137, off, s[0:3], 0 offset:556
	buffer_load_dword v136, off, s[0:3], 0 offset:552
	buffer_load_dword v133, off, s[0:3], 0 offset:532
	ds_read_b128 v[73:76], v1 offset:864
	s_clause 0x1
	buffer_load_dword v139, off, s[0:3], 0 offset:548
	buffer_load_dword v138, off, s[0:3], 0 offset:544
	ds_read_b128 v[77:80], v1 offset:880
	ds_read_b128 v[81:84], v1 offset:896
	s_mov_b32 s4, exec_lo
	s_waitcnt vmcnt(54) lgkmcnt(2)
	v_mul_f64 v[140:141], v[75:76], v[2:3]
	v_mul_f64 v[2:3], v[73:74], v[2:3]
	s_waitcnt vmcnt(52) lgkmcnt(1)
	v_mul_f64 v[142:143], v[79:80], v[85:86]
	v_mul_f64 v[85:86], v[77:78], v[85:86]
	;; [unrolled: 3-line block ×3, first 2 shown]
	v_fma_f64 v[140:141], v[73:74], v[87:88], -v[140:141]
	v_fma_f64 v[2:3], v[75:76], v[87:88], v[2:3]
	s_clause 0x3
	buffer_load_dword v87, off, s[0:3], 0 offset:320
	buffer_load_dword v88, off, s[0:3], 0 offset:324
	;; [unrolled: 1-line block ×4, first 2 shown]
	s_waitcnt vmcnt(50)
	v_fma_f64 v[142:143], v[77:78], v[91:92], -v[142:143]
	ds_read_b128 v[73:76], v1 offset:912
	v_fma_f64 v[85:86], v[79:80], v[91:92], v[85:86]
	ds_read_b128 v[77:80], v1 offset:928
	s_waitcnt vmcnt(44)
	v_fma_f64 v[89:90], v[81:82], v[99:100], -v[89:90]
	v_fma_f64 v[99:100], v[83:84], v[99:100], v[146:147]
	ds_read_b128 v[81:84], v1 offset:944
	v_add_f64 v[140:141], v[140:141], 0
	v_add_f64 v[2:3], v[2:3], 0
	s_waitcnt lgkmcnt(2)
	v_mul_f64 v[91:92], v[73:74], v[93:94]
	v_mul_f64 v[93:94], v[75:76], v[93:94]
	v_add_f64 v[140:141], v[140:141], v[142:143]
	v_add_f64 v[2:3], v[2:3], v[85:86]
	s_waitcnt vmcnt(43) lgkmcnt(1)
	v_mul_f64 v[85:86], v[77:78], v[95:96]
	v_mul_f64 v[95:96], v[79:80], v[95:96]
	s_waitcnt vmcnt(41)
	v_fma_f64 v[93:94], v[73:74], v[102:103], -v[93:94]
	v_fma_f64 v[91:92], v[75:76], v[102:103], v[91:92]
	ds_read_b128 v[73:76], v1 offset:960
	s_waitcnt vmcnt(37) lgkmcnt(1)
	v_mul_f64 v[102:103], v[83:84], v[104:105]
	v_add_f64 v[89:90], v[140:141], v[89:90]
	v_add_f64 v[2:3], v[2:3], v[99:100]
	v_mul_f64 v[99:100], v[81:82], v[104:105]
	s_waitcnt vmcnt(36)
	v_fma_f64 v[95:96], v[77:78], v[97:98], -v[95:96]
	v_fma_f64 v[85:86], v[79:80], v[97:98], v[85:86]
	ds_read_b128 v[77:80], v1 offset:976
	s_waitcnt vmcnt(33)
	v_fma_f64 v[97:98], v[81:82], v[110:111], -v[102:103]
	v_add_f64 v[89:90], v[89:90], v[93:94]
	v_add_f64 v[2:3], v[2:3], v[91:92]
	s_waitcnt lgkmcnt(1)
	v_mul_f64 v[93:94], v[75:76], v[106:107]
	v_mul_f64 v[91:92], v[73:74], v[106:107]
	v_add_f64 v[89:90], v[89:90], v[95:96]
	v_fma_f64 v[95:96], v[83:84], v[110:111], v[99:100]
	v_add_f64 v[2:3], v[2:3], v[85:86]
	ds_read_b128 v[81:84], v1 offset:992
	s_waitcnt vmcnt(29) lgkmcnt(1)
	v_mul_f64 v[99:100], v[79:80], v[112:113]
	s_waitcnt vmcnt(28)
	v_fma_f64 v[93:94], v[73:74], v[108:109], -v[93:94]
	v_mul_f64 v[85:86], v[77:78], v[112:113]
	v_fma_f64 v[91:92], v[75:76], v[108:109], v[91:92]
	ds_read_b128 v[73:76], v1 offset:1008
	v_add_f64 v[89:90], v[89:90], v[97:98]
	s_waitcnt vmcnt(27) lgkmcnt(1)
	v_mul_f64 v[97:98], v[83:84], v[114:115]
	v_add_f64 v[2:3], v[2:3], v[95:96]
	v_mul_f64 v[95:96], v[81:82], v[114:115]
	s_waitcnt vmcnt(25)
	v_fma_f64 v[99:100], v[77:78], v[118:119], -v[99:100]
	v_fma_f64 v[85:86], v[79:80], v[118:119], v[85:86]
	ds_read_b128 v[77:80], v1 offset:1024
	v_add_f64 v[89:90], v[89:90], v[93:94]
	s_waitcnt vmcnt(21) lgkmcnt(1)
	v_mul_f64 v[93:94], v[75:76], v[120:121]
	v_add_f64 v[2:3], v[2:3], v[91:92]
	s_waitcnt vmcnt(20)
	v_fma_f64 v[97:98], v[81:82], v[116:117], -v[97:98]
	v_mul_f64 v[91:92], v[73:74], v[120:121]
	v_fma_f64 v[95:96], v[83:84], v[116:117], v[95:96]
	ds_read_b128 v[81:84], v1 offset:1040
	v_add_f64 v[89:90], v[89:90], v[99:100]
	s_waitcnt vmcnt(19) lgkmcnt(1)
	v_mul_f64 v[99:100], v[79:80], v[122:123]
	v_add_f64 v[2:3], v[2:3], v[85:86]
	s_waitcnt vmcnt(17)
	v_fma_f64 v[93:94], v[73:74], v[126:127], -v[93:94]
	v_mul_f64 v[85:86], v[77:78], v[122:123]
	;; [unrolled: 9-line block ×3, first 2 shown]
	v_fma_f64 v[79:80], v[79:80], v[124:125], v[85:86]
	v_add_f64 v[89:90], v[89:90], v[93:94]
	s_waitcnt vmcnt(11) lgkmcnt(0)
	v_mul_f64 v[93:94], v[75:76], v[130:131]
	v_add_f64 v[85:86], v[2:3], v[91:92]
	s_waitcnt vmcnt(9)
	v_fma_f64 v[81:82], v[81:82], v[134:135], -v[97:98]
	ds_read_b128 v[1:4], v1 offset:1072
	v_mul_f64 v[91:92], v[73:74], v[130:131]
	v_fma_f64 v[83:84], v[83:84], v[134:135], v[95:96]
	v_add_f64 v[77:78], v[89:90], v[77:78]
	s_waitcnt vmcnt(6)
	v_fma_f64 v[73:74], v[73:74], v[132:133], -v[93:94]
	v_add_f64 v[79:80], v[85:86], v[79:80]
	s_waitcnt lgkmcnt(0)
	v_mul_f64 v[89:90], v[3:4], v[136:137]
	v_mul_f64 v[85:86], v[1:2], v[136:137]
	v_fma_f64 v[75:76], v[75:76], v[132:133], v[91:92]
	v_add_f64 v[77:78], v[77:78], v[81:82]
	v_add_f64 v[79:80], v[79:80], v[83:84]
	s_waitcnt vmcnt(4)
	v_fma_f64 v[1:2], v[1:2], v[138:139], -v[89:90]
	v_fma_f64 v[3:4], v[3:4], v[138:139], v[85:86]
	v_add_f64 v[73:74], v[77:78], v[73:74]
	v_add_f64 v[75:76], v[79:80], v[75:76]
	;; [unrolled: 1-line block ×4, first 2 shown]
	s_waitcnt vmcnt(2)
	v_add_f64 v[1:2], v[87:88], -v[1:2]
	s_waitcnt vmcnt(0)
	v_add_f64 v[3:4], v[144:145], -v[3:4]
	buffer_store_dword v2, off, s[0:3], 0 offset:324
	buffer_store_dword v1, off, s[0:3], 0 offset:320
	;; [unrolled: 1-line block ×4, first 2 shown]
	v_cmpx_lt_u32_e32 18, v0
	s_cbranch_execz .LBB97_181
; %bb.180:
	v_mov_b32_e32 v4, s27
	v_mov_b32_e32 v73, 0
	s_clause 0x3
	buffer_load_dword v1, v4, s[0:3], 0 offen
	buffer_load_dword v2, v4, s[0:3], 0 offen offset:4
	buffer_load_dword v3, v4, s[0:3], 0 offen offset:8
	;; [unrolled: 1-line block ×3, first 2 shown]
	buffer_store_dword v73, off, s[0:3], 0 offset:304
	buffer_store_dword v73, off, s[0:3], 0 offset:308
	;; [unrolled: 1-line block ×4, first 2 shown]
	s_waitcnt vmcnt(0)
	ds_write_b128 v101, v[1:4]
.LBB97_181:
	s_or_b32 exec_lo, exec_lo, s4
	s_waitcnt lgkmcnt(0)
	s_waitcnt_vscnt null, 0x0
	s_barrier
	buffer_gl0_inv
	s_clause 0x37
	buffer_load_dword v2, off, s[0:3], 0 offset:328
	buffer_load_dword v3, off, s[0:3], 0 offset:332
	;; [unrolled: 1-line block ×56, first 2 shown]
	v_mov_b32_e32 v1, 0
	s_mov_b32 s4, exec_lo
	ds_read_b128 v[73:76], v1 offset:848
	s_clause 0x2
	buffer_load_dword v139, off, s[0:3], 0 offset:556
	buffer_load_dword v143, off, s[0:3], 0 offset:532
	;; [unrolled: 1-line block ×3, first 2 shown]
	ds_read_b128 v[77:80], v1 offset:864
	ds_read_b128 v[81:84], v1 offset:880
	buffer_load_dword v141, off, s[0:3], 0 offset:548
	s_waitcnt vmcnt(58) lgkmcnt(2)
	v_mul_f64 v[144:145], v[75:76], v[2:3]
	v_mul_f64 v[2:3], v[73:74], v[2:3]
	s_waitcnt vmcnt(56) lgkmcnt(1)
	v_mul_f64 v[146:147], v[79:80], v[85:86]
	v_mul_f64 v[85:86], v[77:78], v[85:86]
	s_waitcnt vmcnt(54)
	v_fma_f64 v[144:145], v[73:74], v[87:88], -v[144:145]
	v_fma_f64 v[2:3], v[75:76], v[87:88], v[2:3]
	s_waitcnt vmcnt(52) lgkmcnt(0)
	v_mul_f64 v[87:88], v[81:82], v[89:90]
	v_mul_f64 v[89:90], v[83:84], v[89:90]
	s_waitcnt vmcnt(50)
	v_fma_f64 v[146:147], v[77:78], v[91:92], -v[146:147]
	ds_read_b128 v[73:76], v1 offset:896
	v_fma_f64 v[85:86], v[79:80], v[91:92], v[85:86]
	s_clause 0x3
	buffer_load_dword v91, off, s[0:3], 0 offset:304
	buffer_load_dword v92, off, s[0:3], 0 offset:308
	;; [unrolled: 1-line block ×4, first 2 shown]
	ds_read_b128 v[77:80], v1 offset:912
	v_add_f64 v[144:145], v[144:145], 0
	v_add_f64 v[2:3], v[2:3], 0
	s_waitcnt vmcnt(48)
	v_fma_f64 v[87:88], v[83:84], v[99:100], v[87:88]
	s_waitcnt lgkmcnt(1)
	v_mul_f64 v[150:151], v[73:74], v[93:94]
	v_mul_f64 v[93:94], v[75:76], v[93:94]
	v_fma_f64 v[89:90], v[81:82], v[99:100], -v[89:90]
	ds_read_b128 v[81:84], v1 offset:928
	v_add_f64 v[144:145], v[144:145], v[146:147]
	v_add_f64 v[2:3], v[2:3], v[85:86]
	s_waitcnt vmcnt(47) lgkmcnt(1)
	v_mul_f64 v[85:86], v[77:78], v[95:96]
	v_mul_f64 v[95:96], v[79:80], v[95:96]
	s_waitcnt vmcnt(45)
	v_fma_f64 v[93:94], v[73:74], v[102:103], -v[93:94]
	v_fma_f64 v[99:100], v[75:76], v[102:103], v[150:151]
	s_waitcnt vmcnt(41) lgkmcnt(0)
	v_mul_f64 v[102:103], v[83:84], v[104:105]
	ds_read_b128 v[73:76], v1 offset:944
	v_add_f64 v[89:90], v[144:145], v[89:90]
	v_add_f64 v[2:3], v[2:3], v[87:88]
	v_mul_f64 v[87:88], v[81:82], v[104:105]
	s_waitcnt vmcnt(40)
	v_fma_f64 v[95:96], v[77:78], v[97:98], -v[95:96]
	v_fma_f64 v[85:86], v[79:80], v[97:98], v[85:86]
	ds_read_b128 v[77:80], v1 offset:960
	s_waitcnt vmcnt(39) lgkmcnt(1)
	v_mul_f64 v[97:98], v[75:76], v[106:107]
	v_add_f64 v[89:90], v[89:90], v[93:94]
	v_add_f64 v[2:3], v[2:3], v[99:100]
	s_waitcnt vmcnt(37)
	v_fma_f64 v[99:100], v[81:82], v[110:111], -v[102:103]
	v_mul_f64 v[93:94], v[73:74], v[106:107]
	v_fma_f64 v[87:88], v[83:84], v[110:111], v[87:88]
	ds_read_b128 v[81:84], v1 offset:976
	s_waitcnt vmcnt(32)
	v_fma_f64 v[97:98], v[73:74], v[108:109], -v[97:98]
	v_add_f64 v[89:90], v[89:90], v[95:96]
	v_add_f64 v[2:3], v[2:3], v[85:86]
	s_waitcnt lgkmcnt(1)
	v_mul_f64 v[95:96], v[79:80], v[112:113]
	v_mul_f64 v[85:86], v[77:78], v[112:113]
	v_fma_f64 v[93:94], v[75:76], v[108:109], v[93:94]
	ds_read_b128 v[73:76], v1 offset:992
	v_add_f64 v[89:90], v[89:90], v[99:100]
	v_add_f64 v[2:3], v[2:3], v[87:88]
	s_waitcnt vmcnt(31) lgkmcnt(1)
	v_mul_f64 v[99:100], v[83:84], v[114:115]
	s_waitcnt vmcnt(29)
	v_fma_f64 v[95:96], v[77:78], v[118:119], -v[95:96]
	v_mul_f64 v[87:88], v[81:82], v[114:115]
	v_fma_f64 v[85:86], v[79:80], v[118:119], v[85:86]
	ds_read_b128 v[77:80], v1 offset:1008
	v_add_f64 v[89:90], v[89:90], v[97:98]
	v_add_f64 v[2:3], v[2:3], v[93:94]
	s_waitcnt vmcnt(25) lgkmcnt(1)
	v_mul_f64 v[97:98], v[75:76], v[120:121]
	s_waitcnt vmcnt(24)
	v_fma_f64 v[99:100], v[81:82], v[116:117], -v[99:100]
	;; [unrolled: 9-line block ×6, first 2 shown]
	v_mul_f64 v[85:86], v[77:78], v[136:137]
	v_fma_f64 v[75:76], v[75:76], v[132:133], v[93:94]
	s_waitcnt vmcnt(7) lgkmcnt(0)
	v_mul_f64 v[93:94], v[83:84], v[138:139]
	v_add_f64 v[89:90], v[89:90], v[99:100]
	v_add_f64 v[2:3], v[2:3], v[87:88]
	s_waitcnt vmcnt(5)
	v_fma_f64 v[77:78], v[77:78], v[142:143], -v[95:96]
	v_mul_f64 v[87:88], v[81:82], v[138:139]
	v_fma_f64 v[79:80], v[79:80], v[142:143], v[85:86]
	v_add_f64 v[73:74], v[89:90], v[73:74]
	v_add_f64 v[2:3], v[2:3], v[75:76]
	s_waitcnt vmcnt(4)
	v_fma_f64 v[75:76], v[81:82], v[140:141], -v[93:94]
	v_add_f64 v[73:74], v[73:74], v[77:78]
	v_fma_f64 v[77:78], v[83:84], v[140:141], v[87:88]
	v_add_f64 v[2:3], v[2:3], v[79:80]
	v_add_f64 v[73:74], v[73:74], v[75:76]
	;; [unrolled: 1-line block ×3, first 2 shown]
	s_waitcnt vmcnt(2)
	v_add_f64 v[73:74], v[91:92], -v[73:74]
	s_waitcnt vmcnt(0)
	v_add_f64 v[2:3], v[148:149], -v[2:3]
	buffer_store_dword v74, off, s[0:3], 0 offset:308
	buffer_store_dword v73, off, s[0:3], 0 offset:304
	;; [unrolled: 1-line block ×4, first 2 shown]
	v_cmpx_lt_u32_e32 17, v0
	s_cbranch_execz .LBB97_183
; %bb.182:
	v_mov_b32_e32 v2, s28
	s_clause 0x3
	buffer_load_dword v73, v2, s[0:3], 0 offen
	buffer_load_dword v74, v2, s[0:3], 0 offen offset:4
	buffer_load_dword v75, v2, s[0:3], 0 offen offset:8
	buffer_load_dword v76, v2, s[0:3], 0 offen offset:12
	buffer_store_dword v1, off, s[0:3], 0 offset:288
	buffer_store_dword v1, off, s[0:3], 0 offset:292
	;; [unrolled: 1-line block ×4, first 2 shown]
	s_waitcnt vmcnt(0)
	ds_write_b128 v101, v[73:76]
.LBB97_183:
	s_or_b32 exec_lo, exec_lo, s4
	s_waitcnt lgkmcnt(0)
	s_waitcnt_vscnt null, 0x0
	s_barrier
	buffer_gl0_inv
	s_clause 0x37
	buffer_load_dword v2, off, s[0:3], 0 offset:312
	buffer_load_dword v3, off, s[0:3], 0 offset:316
	;; [unrolled: 1-line block ×56, first 2 shown]
	ds_read_b128 v[73:76], v1 offset:832
	s_clause 0x2
	buffer_load_dword v139, off, s[0:3], 0 offset:540
	buffer_load_dword v143, off, s[0:3], 0 offset:516
	;; [unrolled: 1-line block ×3, first 2 shown]
	ds_read_b128 v[77:80], v1 offset:848
	s_clause 0x2
	buffer_load_dword v147, off, s[0:3], 0 offset:556
	buffer_load_dword v146, off, s[0:3], 0 offset:552
	buffer_load_dword v141, off, s[0:3], 0 offset:532
	ds_read_b128 v[81:84], v1 offset:864
	s_mov_b32 s4, exec_lo
	s_waitcnt vmcnt(60) lgkmcnt(2)
	v_mul_f64 v[144:145], v[75:76], v[2:3]
	v_mul_f64 v[2:3], v[73:74], v[2:3]
	s_waitcnt vmcnt(58) lgkmcnt(1)
	v_mul_f64 v[148:149], v[79:80], v[85:86]
	v_mul_f64 v[85:86], v[77:78], v[85:86]
	;; [unrolled: 3-line block ×3, first 2 shown]
	v_fma_f64 v[144:145], v[73:74], v[87:88], -v[144:145]
	v_fma_f64 v[2:3], v[75:76], v[87:88], v[2:3]
	s_clause 0x1
	buffer_load_dword v88, off, s[0:3], 0 offset:548
	buffer_load_dword v87, off, s[0:3], 0 offset:544
	s_waitcnt vmcnt(54)
	v_fma_f64 v[148:149], v[77:78], v[91:92], -v[148:149]
	ds_read_b128 v[73:76], v1 offset:880
	v_fma_f64 v[85:86], v[79:80], v[91:92], v[85:86]
	ds_read_b128 v[77:80], v1 offset:896
	s_waitcnt vmcnt(48)
	v_fma_f64 v[89:90], v[81:82], v[99:100], -v[89:90]
	v_fma_f64 v[99:100], v[83:84], v[99:100], v[150:151]
	v_add_f64 v[144:145], v[144:145], 0
	v_add_f64 v[2:3], v[2:3], 0
	s_waitcnt lgkmcnt(1)
	v_mul_f64 v[91:92], v[73:74], v[93:94]
	v_mul_f64 v[93:94], v[75:76], v[93:94]
	s_waitcnt vmcnt(47) lgkmcnt(0)
	v_mul_f64 v[150:151], v[77:78], v[95:96]
	v_mul_f64 v[95:96], v[79:80], v[95:96]
	v_add_f64 v[144:145], v[144:145], v[148:149]
	v_add_f64 v[2:3], v[2:3], v[85:86]
	s_clause 0x3
	buffer_load_dword v85, off, s[0:3], 0 offset:288
	buffer_load_dword v86, off, s[0:3], 0 offset:292
	;; [unrolled: 1-line block ×4, first 2 shown]
	s_waitcnt vmcnt(49)
	v_fma_f64 v[93:94], v[73:74], v[102:103], -v[93:94]
	ds_read_b128 v[81:84], v1 offset:912
	v_fma_f64 v[91:92], v[75:76], v[102:103], v[91:92]
	ds_read_b128 v[73:76], v1 offset:928
	s_waitcnt vmcnt(44)
	v_fma_f64 v[95:96], v[77:78], v[97:98], -v[95:96]
	v_add_f64 v[89:90], v[144:145], v[89:90]
	v_add_f64 v[2:3], v[2:3], v[99:100]
	s_waitcnt lgkmcnt(1)
	v_mul_f64 v[102:103], v[83:84], v[104:105]
	v_mul_f64 v[99:100], v[81:82], v[104:105]
	v_add_f64 v[89:90], v[89:90], v[93:94]
	v_fma_f64 v[93:94], v[79:80], v[97:98], v[150:151]
	v_add_f64 v[2:3], v[2:3], v[91:92]
	s_waitcnt vmcnt(43) lgkmcnt(0)
	v_mul_f64 v[97:98], v[75:76], v[106:107]
	s_waitcnt vmcnt(41)
	v_fma_f64 v[102:103], v[81:82], v[110:111], -v[102:103]
	ds_read_b128 v[77:80], v1 offset:944
	v_mul_f64 v[91:92], v[73:74], v[106:107]
	v_add_f64 v[89:90], v[89:90], v[95:96]
	v_fma_f64 v[95:96], v[83:84], v[110:111], v[99:100]
	v_add_f64 v[2:3], v[2:3], v[93:94]
	ds_read_b128 v[81:84], v1 offset:960
	s_waitcnt vmcnt(37) lgkmcnt(1)
	v_mul_f64 v[99:100], v[79:80], v[112:113]
	s_waitcnt vmcnt(36)
	v_fma_f64 v[97:98], v[73:74], v[108:109], -v[97:98]
	v_mul_f64 v[93:94], v[77:78], v[112:113]
	v_fma_f64 v[91:92], v[75:76], v[108:109], v[91:92]
	ds_read_b128 v[73:76], v1 offset:976
	v_add_f64 v[89:90], v[89:90], v[102:103]
	s_waitcnt vmcnt(35) lgkmcnt(1)
	v_mul_f64 v[102:103], v[83:84], v[114:115]
	v_add_f64 v[2:3], v[2:3], v[95:96]
	v_mul_f64 v[95:96], v[81:82], v[114:115]
	s_waitcnt vmcnt(33)
	v_fma_f64 v[99:100], v[77:78], v[118:119], -v[99:100]
	v_fma_f64 v[93:94], v[79:80], v[118:119], v[93:94]
	ds_read_b128 v[77:80], v1 offset:992
	v_add_f64 v[89:90], v[89:90], v[97:98]
	s_waitcnt vmcnt(29) lgkmcnt(1)
	v_mul_f64 v[97:98], v[75:76], v[120:121]
	v_add_f64 v[2:3], v[2:3], v[91:92]
	s_waitcnt vmcnt(28)
	v_fma_f64 v[102:103], v[81:82], v[116:117], -v[102:103]
	v_mul_f64 v[91:92], v[73:74], v[120:121]
	v_fma_f64 v[95:96], v[83:84], v[116:117], v[95:96]
	ds_read_b128 v[81:84], v1 offset:1008
	v_add_f64 v[89:90], v[89:90], v[99:100]
	s_waitcnt vmcnt(27) lgkmcnt(1)
	v_mul_f64 v[99:100], v[79:80], v[122:123]
	v_add_f64 v[2:3], v[2:3], v[93:94]
	s_waitcnt vmcnt(25)
	v_fma_f64 v[97:98], v[73:74], v[126:127], -v[97:98]
	v_mul_f64 v[93:94], v[77:78], v[122:123]
	;; [unrolled: 9-line block ×5, first 2 shown]
	v_fma_f64 v[75:76], v[75:76], v[132:133], v[91:92]
	s_waitcnt vmcnt(11) lgkmcnt(0)
	v_mul_f64 v[97:98], v[83:84], v[138:139]
	v_add_f64 v[89:90], v[89:90], v[102:103]
	s_waitcnt vmcnt(9)
	v_fma_f64 v[77:78], v[77:78], v[142:143], -v[99:100]
	v_add_f64 v[91:92], v[2:3], v[95:96]
	ds_read_b128 v[1:4], v1 offset:1072
	v_mul_f64 v[95:96], v[81:82], v[138:139]
	v_fma_f64 v[79:80], v[79:80], v[142:143], v[93:94]
	s_waitcnt vmcnt(6)
	v_fma_f64 v[81:82], v[81:82], v[140:141], -v[97:98]
	v_add_f64 v[73:74], v[89:90], v[73:74]
	s_waitcnt lgkmcnt(0)
	v_mul_f64 v[89:90], v[1:2], v[146:147]
	v_add_f64 v[75:76], v[91:92], v[75:76]
	v_mul_f64 v[91:92], v[3:4], v[146:147]
	v_add_f64 v[73:74], v[73:74], v[77:78]
	v_fma_f64 v[77:78], v[83:84], v[140:141], v[95:96]
	v_add_f64 v[75:76], v[75:76], v[79:80]
	s_waitcnt vmcnt(4)
	v_fma_f64 v[1:2], v[1:2], v[87:88], -v[91:92]
	v_fma_f64 v[3:4], v[3:4], v[87:88], v[89:90]
	v_add_f64 v[73:74], v[73:74], v[81:82]
	v_add_f64 v[75:76], v[75:76], v[77:78]
	;; [unrolled: 1-line block ×4, first 2 shown]
	s_waitcnt vmcnt(2)
	v_add_f64 v[1:2], v[85:86], -v[1:2]
	s_waitcnt vmcnt(0)
	v_add_f64 v[3:4], v[148:149], -v[3:4]
	buffer_store_dword v2, off, s[0:3], 0 offset:292
	buffer_store_dword v1, off, s[0:3], 0 offset:288
	;; [unrolled: 1-line block ×4, first 2 shown]
	v_cmpx_lt_u32_e32 16, v0
	s_cbranch_execz .LBB97_185
; %bb.184:
	v_mov_b32_e32 v4, s29
	v_mov_b32_e32 v73, 0
	s_clause 0x3
	buffer_load_dword v1, v4, s[0:3], 0 offen
	buffer_load_dword v2, v4, s[0:3], 0 offen offset:4
	buffer_load_dword v3, v4, s[0:3], 0 offen offset:8
	;; [unrolled: 1-line block ×3, first 2 shown]
	buffer_store_dword v73, off, s[0:3], 0 offset:272
	buffer_store_dword v73, off, s[0:3], 0 offset:276
	;; [unrolled: 1-line block ×4, first 2 shown]
	s_waitcnt vmcnt(0)
	ds_write_b128 v101, v[1:4]
.LBB97_185:
	s_or_b32 exec_lo, exec_lo, s4
	s_waitcnt lgkmcnt(0)
	s_waitcnt_vscnt null, 0x0
	s_barrier
	buffer_gl0_inv
	s_clause 0x37
	buffer_load_dword v2, off, s[0:3], 0 offset:296
	buffer_load_dword v3, off, s[0:3], 0 offset:300
	;; [unrolled: 1-line block ×56, first 2 shown]
	v_mov_b32_e32 v1, 0
	s_mov_b32 s4, exec_lo
	ds_read_b128 v[73:76], v1 offset:816
	s_clause 0x2
	buffer_load_dword v139, off, s[0:3], 0 offset:524
	buffer_load_dword v143, off, s[0:3], 0 offset:500
	;; [unrolled: 1-line block ×3, first 2 shown]
	ds_read_b128 v[77:80], v1 offset:832
	s_clause 0x4
	buffer_load_dword v147, off, s[0:3], 0 offset:540
	buffer_load_dword v148, off, s[0:3], 0 offset:552
	;; [unrolled: 1-line block ×5, first 2 shown]
	ds_read_b128 v[81:84], v1 offset:848
	s_waitcnt vmcnt(62) lgkmcnt(2)
	v_mul_f64 v[144:145], v[75:76], v[2:3]
	v_mul_f64 v[2:3], v[73:74], v[2:3]
	s_waitcnt vmcnt(60) lgkmcnt(1)
	v_mul_f64 v[151:152], v[79:80], v[85:86]
	v_mul_f64 v[85:86], v[77:78], v[85:86]
	;; [unrolled: 3-line block ×3, first 2 shown]
	v_fma_f64 v[144:145], v[73:74], v[87:88], -v[144:145]
	v_fma_f64 v[2:3], v[75:76], v[87:88], v[2:3]
	s_clause 0x2
	buffer_load_dword v149, off, s[0:3], 0 offset:556
	buffer_load_dword v88, off, s[0:3], 0 offset:532
	;; [unrolled: 1-line block ×3, first 2 shown]
	s_waitcnt vmcnt(57)
	v_fma_f64 v[155:156], v[77:78], v[91:92], -v[151:152]
	ds_read_b128 v[73:76], v1 offset:864
	v_fma_f64 v[85:86], v[79:80], v[91:92], v[85:86]
	buffer_load_dword v151, off, s[0:3], 0 offset:548
	ds_read_b128 v[77:80], v1 offset:880
	s_waitcnt vmcnt(52)
	v_fma_f64 v[89:90], v[81:82], v[99:100], -v[89:90]
	v_fma_f64 v[99:100], v[83:84], v[99:100], v[153:154]
	ds_read_b128 v[81:84], v1 offset:896
	v_add_f64 v[144:145], v[144:145], 0
	v_add_f64 v[2:3], v[2:3], 0
	s_waitcnt lgkmcnt(2)
	v_mul_f64 v[91:92], v[73:74], v[93:94]
	v_mul_f64 v[93:94], v[75:76], v[93:94]
	v_add_f64 v[144:145], v[144:145], v[155:156]
	v_add_f64 v[2:3], v[2:3], v[85:86]
	s_waitcnt vmcnt(51) lgkmcnt(1)
	v_mul_f64 v[85:86], v[77:78], v[95:96]
	v_mul_f64 v[95:96], v[79:80], v[95:96]
	s_waitcnt vmcnt(49)
	v_fma_f64 v[93:94], v[73:74], v[102:103], -v[93:94]
	v_fma_f64 v[91:92], v[75:76], v[102:103], v[91:92]
	v_add_f64 v[89:90], v[144:145], v[89:90]
	v_add_f64 v[2:3], v[2:3], v[99:100]
	s_clause 0x3
	buffer_load_dword v99, off, s[0:3], 0 offset:272
	buffer_load_dword v100, off, s[0:3], 0 offset:276
	buffer_load_dword v102, off, s[0:3], 0 offset:280
	buffer_load_dword v103, off, s[0:3], 0 offset:284
	s_waitcnt vmcnt(49) lgkmcnt(0)
	v_mul_f64 v[144:145], v[81:82], v[104:105]
	v_mul_f64 v[104:105], v[83:84], v[104:105]
	s_waitcnt vmcnt(48)
	v_fma_f64 v[95:96], v[77:78], v[97:98], -v[95:96]
	ds_read_b128 v[73:76], v1 offset:912
	v_fma_f64 v[85:86], v[79:80], v[97:98], v[85:86]
	ds_read_b128 v[77:80], v1 offset:928
	v_add_f64 v[89:90], v[89:90], v[93:94]
	v_add_f64 v[2:3], v[2:3], v[91:92]
	s_waitcnt vmcnt(47) lgkmcnt(1)
	v_mul_f64 v[93:94], v[75:76], v[106:107]
	s_waitcnt vmcnt(45)
	v_fma_f64 v[97:98], v[81:82], v[110:111], -v[104:105]
	v_mul_f64 v[91:92], v[73:74], v[106:107]
	s_waitcnt vmcnt(41) lgkmcnt(0)
	v_mul_f64 v[104:105], v[79:80], v[112:113]
	v_add_f64 v[89:90], v[89:90], v[95:96]
	v_fma_f64 v[95:96], v[83:84], v[110:111], v[144:145]
	v_add_f64 v[2:3], v[2:3], v[85:86]
	ds_read_b128 v[81:84], v1 offset:944
	s_waitcnt vmcnt(40)
	v_fma_f64 v[93:94], v[73:74], v[108:109], -v[93:94]
	v_mul_f64 v[85:86], v[77:78], v[112:113]
	v_fma_f64 v[91:92], v[75:76], v[108:109], v[91:92]
	ds_read_b128 v[73:76], v1 offset:960
	s_waitcnt vmcnt(37)
	v_fma_f64 v[104:105], v[77:78], v[118:119], -v[104:105]
	v_add_f64 v[89:90], v[89:90], v[97:98]
	s_waitcnt lgkmcnt(1)
	v_mul_f64 v[97:98], v[83:84], v[114:115]
	v_add_f64 v[2:3], v[2:3], v[95:96]
	v_mul_f64 v[95:96], v[81:82], v[114:115]
	v_fma_f64 v[85:86], v[79:80], v[118:119], v[85:86]
	ds_read_b128 v[77:80], v1 offset:976
	v_add_f64 v[89:90], v[89:90], v[93:94]
	s_waitcnt vmcnt(33) lgkmcnt(1)
	v_mul_f64 v[93:94], v[75:76], v[120:121]
	v_add_f64 v[2:3], v[2:3], v[91:92]
	s_waitcnt vmcnt(32)
	v_fma_f64 v[97:98], v[81:82], v[116:117], -v[97:98]
	v_mul_f64 v[91:92], v[73:74], v[120:121]
	v_fma_f64 v[95:96], v[83:84], v[116:117], v[95:96]
	ds_read_b128 v[81:84], v1 offset:992
	v_add_f64 v[89:90], v[89:90], v[104:105]
	s_waitcnt vmcnt(31) lgkmcnt(1)
	v_mul_f64 v[104:105], v[79:80], v[122:123]
	v_add_f64 v[2:3], v[2:3], v[85:86]
	s_waitcnt vmcnt(29)
	v_fma_f64 v[93:94], v[73:74], v[126:127], -v[93:94]
	;; [unrolled: 9-line block ×7, first 2 shown]
	v_mul_f64 v[91:92], v[73:74], v[146:147]
	v_fma_f64 v[83:84], v[83:84], v[140:141], v[95:96]
	v_add_f64 v[89:90], v[89:90], v[104:105]
	v_add_f64 v[2:3], v[2:3], v[85:86]
	s_waitcnt vmcnt(7) lgkmcnt(0)
	v_mul_f64 v[95:96], v[79:80], v[148:149]
	v_mul_f64 v[85:86], v[77:78], v[148:149]
	s_waitcnt vmcnt(5)
	v_fma_f64 v[73:74], v[73:74], v[87:88], -v[93:94]
	v_fma_f64 v[75:76], v[75:76], v[87:88], v[91:92]
	v_add_f64 v[81:82], v[89:90], v[81:82]
	v_add_f64 v[2:3], v[2:3], v[83:84]
	s_waitcnt vmcnt(4)
	v_fma_f64 v[77:78], v[77:78], v[150:151], -v[95:96]
	v_fma_f64 v[79:80], v[79:80], v[150:151], v[85:86]
	v_add_f64 v[73:74], v[81:82], v[73:74]
	v_add_f64 v[2:3], v[2:3], v[75:76]
	;; [unrolled: 1-line block ×4, first 2 shown]
	s_waitcnt vmcnt(2)
	v_add_f64 v[73:74], v[99:100], -v[73:74]
	s_waitcnt vmcnt(0)
	v_add_f64 v[2:3], v[102:103], -v[2:3]
	buffer_store_dword v74, off, s[0:3], 0 offset:276
	buffer_store_dword v73, off, s[0:3], 0 offset:272
	buffer_store_dword v3, off, s[0:3], 0 offset:284
	buffer_store_dword v2, off, s[0:3], 0 offset:280
	v_cmpx_lt_u32_e32 15, v0
	s_cbranch_execz .LBB97_187
; %bb.186:
	v_mov_b32_e32 v2, s30
	s_clause 0x3
	buffer_load_dword v73, v2, s[0:3], 0 offen
	buffer_load_dword v74, v2, s[0:3], 0 offen offset:4
	buffer_load_dword v75, v2, s[0:3], 0 offen offset:8
	buffer_load_dword v76, v2, s[0:3], 0 offen offset:12
	buffer_store_dword v1, off, s[0:3], 0 offset:256
	buffer_store_dword v1, off, s[0:3], 0 offset:260
	;; [unrolled: 1-line block ×4, first 2 shown]
	s_waitcnt vmcnt(0)
	ds_write_b128 v101, v[73:76]
.LBB97_187:
	s_or_b32 exec_lo, exec_lo, s4
	s_waitcnt lgkmcnt(0)
	s_waitcnt_vscnt null, 0x0
	s_barrier
	buffer_gl0_inv
	s_clause 0x37
	buffer_load_dword v2, off, s[0:3], 0 offset:280
	buffer_load_dword v3, off, s[0:3], 0 offset:284
	;; [unrolled: 1-line block ×56, first 2 shown]
	ds_read_b128 v[73:76], v1 offset:800
	s_clause 0x2
	buffer_load_dword v139, off, s[0:3], 0 offset:508
	buffer_load_dword v143, off, s[0:3], 0 offset:484
	;; [unrolled: 1-line block ×3, first 2 shown]
	ds_read_b128 v[77:80], v1 offset:816
	s_clause 0x4
	buffer_load_dword v147, off, s[0:3], 0 offset:524
	buffer_load_dword v148, off, s[0:3], 0 offset:536
	;; [unrolled: 1-line block ×5, first 2 shown]
	ds_read_b128 v[81:84], v1 offset:832
	s_mov_b32 s4, exec_lo
	s_waitcnt vmcnt(62) lgkmcnt(2)
	v_mul_f64 v[144:145], v[75:76], v[2:3]
	v_mul_f64 v[2:3], v[73:74], v[2:3]
	s_waitcnt vmcnt(60) lgkmcnt(1)
	v_mul_f64 v[151:152], v[79:80], v[85:86]
	v_mul_f64 v[85:86], v[77:78], v[85:86]
	;; [unrolled: 3-line block ×3, first 2 shown]
	v_fma_f64 v[144:145], v[73:74], v[87:88], -v[144:145]
	v_fma_f64 v[2:3], v[75:76], v[87:88], v[2:3]
	s_clause 0x2
	buffer_load_dword v149, off, s[0:3], 0 offset:540
	buffer_load_dword v88, off, s[0:3], 0 offset:516
	;; [unrolled: 1-line block ×3, first 2 shown]
	s_waitcnt vmcnt(57)
	v_fma_f64 v[155:156], v[77:78], v[91:92], -v[151:152]
	ds_read_b128 v[73:76], v1 offset:848
	v_fma_f64 v[85:86], v[79:80], v[91:92], v[85:86]
	s_clause 0x2
	buffer_load_dword v92, off, s[0:3], 0 offset:556
	buffer_load_dword v91, off, s[0:3], 0 offset:552
	;; [unrolled: 1-line block ×3, first 2 shown]
	s_waitcnt vmcnt(54)
	v_fma_f64 v[89:90], v[81:82], v[99:100], -v[89:90]
	ds_read_b128 v[77:80], v1 offset:864
	v_fma_f64 v[99:100], v[83:84], v[99:100], v[153:154]
	v_add_f64 v[144:145], v[144:145], 0
	v_add_f64 v[2:3], v[2:3], 0
	s_waitcnt lgkmcnt(1)
	v_mul_f64 v[157:158], v[73:74], v[93:94]
	v_mul_f64 v[93:94], v[75:76], v[93:94]
	s_waitcnt vmcnt(53) lgkmcnt(0)
	v_mul_f64 v[152:153], v[77:78], v[95:96]
	v_mul_f64 v[95:96], v[79:80], v[95:96]
	v_add_f64 v[144:145], v[144:145], v[155:156]
	v_add_f64 v[2:3], v[2:3], v[85:86]
	s_clause 0x1
	buffer_load_dword v86, off, s[0:3], 0 offset:548
	buffer_load_dword v85, off, s[0:3], 0 offset:544
	s_waitcnt vmcnt(53)
	v_fma_f64 v[93:94], v[73:74], v[102:103], -v[93:94]
	ds_read_b128 v[81:84], v1 offset:880
	v_fma_f64 v[102:103], v[75:76], v[102:103], v[157:158]
	ds_read_b128 v[73:76], v1 offset:896
	s_waitcnt vmcnt(48)
	v_fma_f64 v[95:96], v[77:78], v[97:98], -v[95:96]
	v_add_f64 v[89:90], v[144:145], v[89:90]
	v_add_f64 v[2:3], v[2:3], v[99:100]
	s_waitcnt lgkmcnt(1)
	v_mul_f64 v[99:100], v[81:82], v[104:105]
	v_mul_f64 v[104:105], v[83:84], v[104:105]
	s_waitcnt vmcnt(47) lgkmcnt(0)
	v_mul_f64 v[144:145], v[73:74], v[106:107]
	v_mul_f64 v[106:107], v[75:76], v[106:107]
	v_add_f64 v[89:90], v[89:90], v[93:94]
	v_fma_f64 v[93:94], v[79:80], v[97:98], v[152:153]
	v_add_f64 v[2:3], v[2:3], v[102:103]
	s_clause 0x3
	buffer_load_dword v97, off, s[0:3], 0 offset:256
	buffer_load_dword v98, off, s[0:3], 0 offset:260
	;; [unrolled: 1-line block ×4, first 2 shown]
	s_waitcnt vmcnt(49)
	v_fma_f64 v[104:105], v[81:82], v[110:111], -v[104:105]
	ds_read_b128 v[77:80], v1 offset:912
	s_waitcnt vmcnt(44)
	v_fma_f64 v[106:107], v[73:74], v[108:109], -v[106:107]
	v_add_f64 v[89:90], v[89:90], v[95:96]
	v_fma_f64 v[95:96], v[83:84], v[110:111], v[99:100]
	v_add_f64 v[2:3], v[2:3], v[93:94]
	ds_read_b128 v[81:84], v1 offset:928
	s_waitcnt lgkmcnt(1)
	v_mul_f64 v[99:100], v[79:80], v[112:113]
	v_mul_f64 v[93:94], v[77:78], v[112:113]
	v_add_f64 v[89:90], v[89:90], v[104:105]
	v_fma_f64 v[104:105], v[75:76], v[108:109], v[144:145]
	v_add_f64 v[2:3], v[2:3], v[95:96]
	s_waitcnt vmcnt(43) lgkmcnt(0)
	v_mul_f64 v[108:109], v[83:84], v[114:115]
	s_waitcnt vmcnt(41)
	v_fma_f64 v[99:100], v[77:78], v[118:119], -v[99:100]
	ds_read_b128 v[73:76], v1 offset:944
	v_mul_f64 v[95:96], v[81:82], v[114:115]
	v_fma_f64 v[93:94], v[79:80], v[118:119], v[93:94]
	ds_read_b128 v[77:80], v1 offset:960
	v_add_f64 v[89:90], v[89:90], v[106:107]
	v_add_f64 v[2:3], v[2:3], v[104:105]
	s_waitcnt vmcnt(37) lgkmcnt(1)
	v_mul_f64 v[106:107], v[75:76], v[120:121]
	s_waitcnt vmcnt(36)
	v_fma_f64 v[108:109], v[81:82], v[116:117], -v[108:109]
	v_mul_f64 v[104:105], v[73:74], v[120:121]
	v_fma_f64 v[95:96], v[83:84], v[116:117], v[95:96]
	ds_read_b128 v[81:84], v1 offset:976
	v_add_f64 v[89:90], v[89:90], v[99:100]
	s_waitcnt vmcnt(35) lgkmcnt(1)
	v_mul_f64 v[99:100], v[79:80], v[122:123]
	v_add_f64 v[2:3], v[2:3], v[93:94]
	s_waitcnt vmcnt(33)
	v_fma_f64 v[106:107], v[73:74], v[126:127], -v[106:107]
	v_mul_f64 v[93:94], v[77:78], v[122:123]
	v_fma_f64 v[104:105], v[75:76], v[126:127], v[104:105]
	ds_read_b128 v[73:76], v1 offset:992
	v_add_f64 v[89:90], v[89:90], v[108:109]
	s_waitcnt vmcnt(29) lgkmcnt(1)
	v_mul_f64 v[108:109], v[83:84], v[128:129]
	v_add_f64 v[2:3], v[2:3], v[95:96]
	s_waitcnt vmcnt(28)
	v_fma_f64 v[99:100], v[77:78], v[124:125], -v[99:100]
	v_mul_f64 v[95:96], v[81:82], v[128:129]
	v_fma_f64 v[93:94], v[79:80], v[124:125], v[93:94]
	ds_read_b128 v[77:80], v1 offset:1008
	v_add_f64 v[89:90], v[89:90], v[106:107]
	s_waitcnt vmcnt(27) lgkmcnt(1)
	v_mul_f64 v[106:107], v[75:76], v[130:131]
	v_add_f64 v[2:3], v[2:3], v[104:105]
	s_waitcnt vmcnt(25)
	v_fma_f64 v[108:109], v[81:82], v[134:135], -v[108:109]
	v_mul_f64 v[104:105], v[73:74], v[130:131]
	v_fma_f64 v[95:96], v[83:84], v[134:135], v[95:96]
	ds_read_b128 v[81:84], v1 offset:1024
	v_add_f64 v[89:90], v[89:90], v[99:100]
	s_waitcnt vmcnt(21) lgkmcnt(1)
	v_mul_f64 v[99:100], v[79:80], v[136:137]
	v_add_f64 v[2:3], v[2:3], v[93:94]
	s_waitcnt vmcnt(20)
	v_fma_f64 v[106:107], v[73:74], v[132:133], -v[106:107]
	v_mul_f64 v[93:94], v[77:78], v[136:137]
	v_fma_f64 v[104:105], v[75:76], v[132:133], v[104:105]
	ds_read_b128 v[73:76], v1 offset:1040
	v_add_f64 v[89:90], v[89:90], v[108:109]
	s_waitcnt vmcnt(19) lgkmcnt(1)
	v_mul_f64 v[108:109], v[83:84], v[138:139]
	v_add_f64 v[2:3], v[2:3], v[95:96]
	s_waitcnt vmcnt(17)
	v_fma_f64 v[99:100], v[77:78], v[142:143], -v[99:100]
	v_mul_f64 v[95:96], v[81:82], v[138:139]
	v_fma_f64 v[93:94], v[79:80], v[142:143], v[93:94]
	ds_read_b128 v[77:80], v1 offset:1056
	v_add_f64 v[89:90], v[89:90], v[106:107]
	s_waitcnt vmcnt(13) lgkmcnt(1)
	v_mul_f64 v[106:107], v[75:76], v[146:147]
	v_add_f64 v[2:3], v[2:3], v[104:105]
	s_waitcnt vmcnt(12)
	v_fma_f64 v[81:82], v[81:82], v[140:141], -v[108:109]
	v_mul_f64 v[104:105], v[73:74], v[146:147]
	v_fma_f64 v[83:84], v[83:84], v[140:141], v[95:96]
	v_add_f64 v[89:90], v[89:90], v[99:100]
	v_add_f64 v[93:94], v[2:3], v[93:94]
	ds_read_b128 v[1:4], v1 offset:1072
	s_waitcnt vmcnt(11) lgkmcnt(1)
	v_mul_f64 v[99:100], v[79:80], v[148:149]
	v_mul_f64 v[95:96], v[77:78], v[148:149]
	s_waitcnt vmcnt(9)
	v_fma_f64 v[73:74], v[73:74], v[87:88], -v[106:107]
	v_fma_f64 v[75:76], v[75:76], v[87:88], v[104:105]
	v_add_f64 v[81:82], v[89:90], v[81:82]
	s_waitcnt vmcnt(7) lgkmcnt(0)
	v_mul_f64 v[89:90], v[3:4], v[91:92]
	v_add_f64 v[83:84], v[93:94], v[83:84]
	v_mul_f64 v[87:88], v[1:2], v[91:92]
	s_waitcnt vmcnt(6)
	v_fma_f64 v[77:78], v[77:78], v[150:151], -v[99:100]
	v_fma_f64 v[79:80], v[79:80], v[150:151], v[95:96]
	v_add_f64 v[73:74], v[81:82], v[73:74]
	v_add_f64 v[75:76], v[83:84], v[75:76]
	s_waitcnt vmcnt(4)
	v_fma_f64 v[1:2], v[1:2], v[85:86], -v[89:90]
	v_fma_f64 v[3:4], v[3:4], v[85:86], v[87:88]
	v_add_f64 v[73:74], v[73:74], v[77:78]
	v_add_f64 v[75:76], v[75:76], v[79:80]
	;; [unrolled: 1-line block ×4, first 2 shown]
	s_waitcnt vmcnt(2)
	v_add_f64 v[1:2], v[97:98], -v[1:2]
	s_waitcnt vmcnt(0)
	v_add_f64 v[3:4], v[102:103], -v[3:4]
	buffer_store_dword v2, off, s[0:3], 0 offset:260
	buffer_store_dword v1, off, s[0:3], 0 offset:256
	;; [unrolled: 1-line block ×4, first 2 shown]
	v_cmpx_lt_u32_e32 14, v0
	s_cbranch_execz .LBB97_189
; %bb.188:
	v_mov_b32_e32 v4, s31
	v_mov_b32_e32 v73, 0
	s_clause 0x3
	buffer_load_dword v1, v4, s[0:3], 0 offen
	buffer_load_dword v2, v4, s[0:3], 0 offen offset:4
	buffer_load_dword v3, v4, s[0:3], 0 offen offset:8
	;; [unrolled: 1-line block ×3, first 2 shown]
	buffer_store_dword v73, off, s[0:3], 0 offset:240
	buffer_store_dword v73, off, s[0:3], 0 offset:244
	;; [unrolled: 1-line block ×4, first 2 shown]
	s_waitcnt vmcnt(0)
	ds_write_b128 v101, v[1:4]
.LBB97_189:
	s_or_b32 exec_lo, exec_lo, s4
	s_waitcnt lgkmcnt(0)
	s_waitcnt_vscnt null, 0x0
	s_barrier
	buffer_gl0_inv
	s_clause 0x35
	buffer_load_dword v2, off, s[0:3], 0 offset:264
	buffer_load_dword v3, off, s[0:3], 0 offset:268
	;; [unrolled: 1-line block ×54, first 2 shown]
	v_mov_b32_e32 v1, 0
	s_mov_b32 s4, exec_lo
	ds_read_b128 v[73:76], v1 offset:784
	s_clause 0x3
	buffer_load_dword v138, off, s[0:3], 0 offset:488
	buffer_load_dword v139, off, s[0:3], 0 offset:492
	;; [unrolled: 1-line block ×4, first 2 shown]
	ds_read_b128 v[77:80], v1 offset:800
	s_clause 0x3
	buffer_load_dword v145, off, s[0:3], 0 offset:508
	buffer_load_dword v144, off, s[0:3], 0 offset:504
	;; [unrolled: 1-line block ×4, first 2 shown]
	ds_read_b128 v[81:84], v1 offset:816
	s_waitcnt vmcnt(60) lgkmcnt(2)
	v_mul_f64 v[142:143], v[75:76], v[2:3]
	v_mul_f64 v[2:3], v[73:74], v[2:3]
	s_waitcnt vmcnt(58) lgkmcnt(1)
	v_mul_f64 v[148:149], v[79:80], v[85:86]
	v_mul_f64 v[85:86], v[77:78], v[85:86]
	;; [unrolled: 3-line block ×3, first 2 shown]
	v_fma_f64 v[142:143], v[73:74], v[87:88], -v[142:143]
	v_fma_f64 v[2:3], v[75:76], v[87:88], v[2:3]
	s_clause 0x3
	buffer_load_dword v87, off, s[0:3], 0 offset:520
	buffer_load_dword v88, off, s[0:3], 0 offset:524
	;; [unrolled: 1-line block ×4, first 2 shown]
	s_waitcnt vmcnt(56)
	v_fma_f64 v[148:149], v[77:78], v[91:92], -v[148:149]
	ds_read_b128 v[73:76], v1 offset:832
	v_fma_f64 v[85:86], v[79:80], v[91:92], v[85:86]
	s_clause 0x3
	buffer_load_dword v92, off, s[0:3], 0 offset:540
	buffer_load_dword v91, off, s[0:3], 0 offset:536
	;; [unrolled: 1-line block ×4, first 2 shown]
	s_waitcnt vmcnt(56)
	v_fma_f64 v[89:90], v[81:82], v[95:96], -v[89:90]
	ds_read_b128 v[77:80], v1 offset:848
	v_fma_f64 v[95:96], v[83:84], v[95:96], v[152:153]
	v_add_f64 v[142:143], v[142:143], 0
	v_add_f64 v[2:3], v[2:3], 0
	s_waitcnt lgkmcnt(1)
	v_mul_f64 v[156:157], v[73:74], v[93:94]
	v_mul_f64 v[93:94], v[75:76], v[93:94]
	s_waitcnt vmcnt(54) lgkmcnt(0)
	v_mul_f64 v[152:153], v[77:78], v[97:98]
	v_mul_f64 v[97:98], v[79:80], v[97:98]
	v_add_f64 v[142:143], v[142:143], v[148:149]
	v_add_f64 v[2:3], v[2:3], v[85:86]
	s_clause 0x3
	buffer_load_dword v85, off, s[0:3], 0 offset:552
	buffer_load_dword v86, off, s[0:3], 0 offset:556
	;; [unrolled: 1-line block ×4, first 2 shown]
	s_waitcnt vmcnt(56)
	v_fma_f64 v[93:94], v[73:74], v[99:100], -v[93:94]
	ds_read_b128 v[81:84], v1 offset:864
	v_fma_f64 v[99:100], v[75:76], v[99:100], v[156:157]
	s_waitcnt vmcnt(52)
	v_fma_f64 v[97:98], v[77:78], v[104:105], -v[97:98]
	v_add_f64 v[89:90], v[142:143], v[89:90]
	v_add_f64 v[2:3], v[2:3], v[95:96]
	s_clause 0x1
	buffer_load_dword v95, off, s[0:3], 0 offset:544
	buffer_load_dword v96, off, s[0:3], 0 offset:548
	s_waitcnt lgkmcnt(0)
	v_mul_f64 v[142:143], v[81:82], v[102:103]
	v_mul_f64 v[102:103], v[83:84], v[102:103]
	ds_read_b128 v[73:76], v1 offset:880
	v_add_f64 v[89:90], v[89:90], v[93:94]
	v_fma_f64 v[93:94], v[79:80], v[104:105], v[152:153]
	v_add_f64 v[2:3], v[2:3], v[99:100]
	ds_read_b128 v[77:80], v1 offset:896
	s_waitcnt vmcnt(52) lgkmcnt(1)
	v_mul_f64 v[104:105], v[75:76], v[106:107]
	s_waitcnt vmcnt(50)
	v_fma_f64 v[102:103], v[81:82], v[108:109], -v[102:103]
	v_mul_f64 v[99:100], v[73:74], v[106:107]
	v_add_f64 v[89:90], v[89:90], v[97:98]
	v_fma_f64 v[97:98], v[83:84], v[108:109], v[142:143]
	v_add_f64 v[2:3], v[2:3], v[93:94]
	s_clause 0x3
	buffer_load_dword v93, off, s[0:3], 0 offset:240
	buffer_load_dword v94, off, s[0:3], 0 offset:244
	buffer_load_dword v106, off, s[0:3], 0 offset:248
	buffer_load_dword v107, off, s[0:3], 0 offset:252
	s_waitcnt vmcnt(52) lgkmcnt(0)
	v_mul_f64 v[108:109], v[77:78], v[110:111]
	v_mul_f64 v[110:111], v[79:80], v[110:111]
	s_waitcnt vmcnt(50)
	v_fma_f64 v[104:105], v[73:74], v[112:113], -v[104:105]
	ds_read_b128 v[81:84], v1 offset:912
	v_fma_f64 v[99:100], v[75:76], v[112:113], v[99:100]
	ds_read_b128 v[73:76], v1 offset:928
	v_add_f64 v[89:90], v[89:90], v[102:103]
	v_add_f64 v[2:3], v[2:3], v[97:98]
	s_waitcnt vmcnt(48) lgkmcnt(1)
	v_mul_f64 v[102:103], v[83:84], v[114:115]
	s_waitcnt vmcnt(46)
	v_fma_f64 v[110:111], v[77:78], v[116:117], -v[110:111]
	v_mul_f64 v[97:98], v[81:82], v[114:115]
	v_add_f64 v[89:90], v[89:90], v[104:105]
	v_fma_f64 v[104:105], v[79:80], v[116:117], v[108:109]
	v_add_f64 v[2:3], v[2:3], v[99:100]
	s_waitcnt vmcnt(44) lgkmcnt(0)
	v_mul_f64 v[108:109], v[75:76], v[118:119]
	ds_read_b128 v[77:80], v1 offset:944
	s_waitcnt vmcnt(42)
	v_fma_f64 v[102:103], v[81:82], v[120:121], -v[102:103]
	v_mul_f64 v[99:100], v[73:74], v[118:119]
	v_fma_f64 v[97:98], v[83:84], v[120:121], v[97:98]
	ds_read_b128 v[81:84], v1 offset:960
	v_add_f64 v[89:90], v[89:90], v[110:111]
	v_add_f64 v[2:3], v[2:3], v[104:105]
	s_waitcnt vmcnt(40) lgkmcnt(1)
	v_mul_f64 v[110:111], v[79:80], v[122:123]
	s_waitcnt vmcnt(38)
	v_fma_f64 v[108:109], v[73:74], v[124:125], -v[108:109]
	v_mul_f64 v[104:105], v[77:78], v[122:123]
	v_fma_f64 v[99:100], v[75:76], v[124:125], v[99:100]
	ds_read_b128 v[73:76], v1 offset:976
	v_add_f64 v[89:90], v[89:90], v[102:103]
	s_waitcnt vmcnt(36) lgkmcnt(1)
	v_mul_f64 v[102:103], v[83:84], v[126:127]
	v_add_f64 v[2:3], v[2:3], v[97:98]
	s_waitcnt vmcnt(34)
	v_fma_f64 v[110:111], v[77:78], v[128:129], -v[110:111]
	v_mul_f64 v[97:98], v[81:82], v[126:127]
	v_fma_f64 v[104:105], v[79:80], v[128:129], v[104:105]
	ds_read_b128 v[77:80], v1 offset:992
	v_add_f64 v[89:90], v[89:90], v[108:109]
	s_waitcnt vmcnt(32) lgkmcnt(1)
	v_mul_f64 v[108:109], v[75:76], v[130:131]
	v_add_f64 v[2:3], v[2:3], v[99:100]
	;; [unrolled: 9-line block ×5, first 2 shown]
	s_waitcnt vmcnt(18)
	v_fma_f64 v[102:103], v[81:82], v[146:147], -v[102:103]
	v_mul_f64 v[99:100], v[73:74], v[144:145]
	v_fma_f64 v[97:98], v[83:84], v[146:147], v[97:98]
	ds_read_b128 v[81:84], v1 offset:1056
	v_add_f64 v[89:90], v[89:90], v[110:111]
	v_add_f64 v[2:3], v[2:3], v[104:105]
	s_waitcnt vmcnt(16) lgkmcnt(1)
	v_mul_f64 v[104:105], v[77:78], v[87:88]
	v_mul_f64 v[87:88], v[79:80], v[87:88]
	s_waitcnt vmcnt(14)
	v_fma_f64 v[108:109], v[73:74], v[150:151], -v[108:109]
	v_fma_f64 v[99:100], v[75:76], v[150:151], v[99:100]
	ds_read_b128 v[73:76], v1 offset:1072
	v_add_f64 v[89:90], v[89:90], v[102:103]
	v_add_f64 v[2:3], v[2:3], v[97:98]
	s_waitcnt vmcnt(12) lgkmcnt(1)
	v_mul_f64 v[97:98], v[81:82], v[91:92]
	v_mul_f64 v[91:92], v[83:84], v[91:92]
	s_waitcnt vmcnt(10)
	v_fma_f64 v[79:80], v[79:80], v[154:155], v[104:105]
	v_fma_f64 v[77:78], v[77:78], v[154:155], -v[87:88]
	v_add_f64 v[87:88], v[89:90], v[108:109]
	v_add_f64 v[2:3], v[2:3], v[99:100]
	s_waitcnt vmcnt(8) lgkmcnt(0)
	v_mul_f64 v[89:90], v[73:74], v[85:86]
	v_mul_f64 v[85:86], v[75:76], v[85:86]
	s_waitcnt vmcnt(6)
	v_fma_f64 v[81:82], v[81:82], v[148:149], -v[91:92]
	v_fma_f64 v[83:84], v[83:84], v[148:149], v[97:98]
	v_add_f64 v[77:78], v[87:88], v[77:78]
	v_add_f64 v[2:3], v[2:3], v[79:80]
	s_waitcnt vmcnt(4)
	v_fma_f64 v[73:74], v[73:74], v[95:96], -v[85:86]
	v_fma_f64 v[75:76], v[75:76], v[95:96], v[89:90]
	v_add_f64 v[77:78], v[77:78], v[81:82]
	v_add_f64 v[2:3], v[2:3], v[83:84]
	;; [unrolled: 1-line block ×4, first 2 shown]
	s_waitcnt vmcnt(2)
	v_add_f64 v[73:74], v[93:94], -v[73:74]
	s_waitcnt vmcnt(0)
	v_add_f64 v[2:3], v[106:107], -v[2:3]
	buffer_store_dword v74, off, s[0:3], 0 offset:244
	buffer_store_dword v73, off, s[0:3], 0 offset:240
	;; [unrolled: 1-line block ×4, first 2 shown]
	v_cmpx_lt_u32_e32 13, v0
	s_cbranch_execz .LBB97_191
; %bb.190:
	v_mov_b32_e32 v2, s33
	s_clause 0x3
	buffer_load_dword v73, v2, s[0:3], 0 offen
	buffer_load_dword v74, v2, s[0:3], 0 offen offset:4
	buffer_load_dword v75, v2, s[0:3], 0 offen offset:8
	buffer_load_dword v76, v2, s[0:3], 0 offen offset:12
	buffer_store_dword v1, off, s[0:3], 0 offset:224
	buffer_store_dword v1, off, s[0:3], 0 offset:228
	;; [unrolled: 1-line block ×4, first 2 shown]
	s_waitcnt vmcnt(0)
	ds_write_b128 v101, v[73:76]
.LBB97_191:
	s_or_b32 exec_lo, exec_lo, s4
	s_waitcnt lgkmcnt(0)
	s_waitcnt_vscnt null, 0x0
	s_barrier
	buffer_gl0_inv
	s_clause 0x35
	buffer_load_dword v2, off, s[0:3], 0 offset:248
	buffer_load_dword v3, off, s[0:3], 0 offset:252
	;; [unrolled: 1-line block ×54, first 2 shown]
	ds_read_b128 v[73:76], v1 offset:768
	s_clause 0x3
	buffer_load_dword v138, off, s[0:3], 0 offset:472
	buffer_load_dword v139, off, s[0:3], 0 offset:476
	;; [unrolled: 1-line block ×4, first 2 shown]
	ds_read_b128 v[77:80], v1 offset:784
	s_clause 0x3
	buffer_load_dword v145, off, s[0:3], 0 offset:492
	buffer_load_dword v144, off, s[0:3], 0 offset:488
	;; [unrolled: 1-line block ×4, first 2 shown]
	ds_read_b128 v[81:84], v1 offset:800
	s_mov_b32 s4, exec_lo
	s_waitcnt vmcnt(60) lgkmcnt(2)
	v_mul_f64 v[142:143], v[75:76], v[2:3]
	v_mul_f64 v[2:3], v[73:74], v[2:3]
	s_waitcnt vmcnt(58) lgkmcnt(1)
	v_mul_f64 v[148:149], v[79:80], v[85:86]
	v_mul_f64 v[85:86], v[77:78], v[85:86]
	;; [unrolled: 3-line block ×3, first 2 shown]
	v_fma_f64 v[142:143], v[73:74], v[87:88], -v[142:143]
	v_fma_f64 v[2:3], v[75:76], v[87:88], v[2:3]
	s_clause 0x3
	buffer_load_dword v87, off, s[0:3], 0 offset:504
	buffer_load_dword v88, off, s[0:3], 0 offset:508
	buffer_load_dword v151, off, s[0:3], 0 offset:484
	buffer_load_dword v150, off, s[0:3], 0 offset:480
	s_waitcnt vmcnt(56)
	v_fma_f64 v[148:149], v[77:78], v[91:92], -v[148:149]
	ds_read_b128 v[73:76], v1 offset:816
	v_fma_f64 v[85:86], v[79:80], v[91:92], v[85:86]
	s_clause 0x3
	buffer_load_dword v92, off, s[0:3], 0 offset:524
	buffer_load_dword v91, off, s[0:3], 0 offset:520
	;; [unrolled: 1-line block ×4, first 2 shown]
	s_waitcnt vmcnt(56)
	v_fma_f64 v[89:90], v[81:82], v[95:96], -v[89:90]
	ds_read_b128 v[77:80], v1 offset:832
	v_fma_f64 v[95:96], v[83:84], v[95:96], v[152:153]
	v_add_f64 v[142:143], v[142:143], 0
	v_add_f64 v[2:3], v[2:3], 0
	s_waitcnt lgkmcnt(1)
	v_mul_f64 v[156:157], v[73:74], v[93:94]
	v_mul_f64 v[93:94], v[75:76], v[93:94]
	s_waitcnt vmcnt(54) lgkmcnt(0)
	v_mul_f64 v[152:153], v[77:78], v[97:98]
	v_mul_f64 v[97:98], v[79:80], v[97:98]
	v_add_f64 v[142:143], v[142:143], v[148:149]
	v_add_f64 v[2:3], v[2:3], v[85:86]
	s_clause 0x3
	buffer_load_dword v85, off, s[0:3], 0 offset:536
	buffer_load_dword v86, off, s[0:3], 0 offset:540
	;; [unrolled: 1-line block ×4, first 2 shown]
	s_waitcnt vmcnt(56)
	v_fma_f64 v[93:94], v[73:74], v[99:100], -v[93:94]
	ds_read_b128 v[81:84], v1 offset:848
	v_fma_f64 v[99:100], v[75:76], v[99:100], v[156:157]
	s_waitcnt vmcnt(52)
	v_fma_f64 v[97:98], v[77:78], v[104:105], -v[97:98]
	v_add_f64 v[89:90], v[142:143], v[89:90]
	v_add_f64 v[2:3], v[2:3], v[95:96]
	s_clause 0x3
	buffer_load_dword v96, off, s[0:3], 0 offset:556
	buffer_load_dword v95, off, s[0:3], 0 offset:552
	;; [unrolled: 1-line block ×4, first 2 shown]
	s_waitcnt lgkmcnt(0)
	v_mul_f64 v[156:157], v[81:82], v[102:103]
	v_mul_f64 v[102:103], v[83:84], v[102:103]
	ds_read_b128 v[73:76], v1 offset:864
	v_add_f64 v[89:90], v[89:90], v[93:94]
	v_fma_f64 v[93:94], v[79:80], v[104:105], v[152:153]
	v_add_f64 v[2:3], v[2:3], v[99:100]
	s_clause 0x1
	buffer_load_dword v100, off, s[0:3], 0 offset:548
	buffer_load_dword v99, off, s[0:3], 0 offset:544
	s_waitcnt vmcnt(56) lgkmcnt(0)
	v_mul_f64 v[104:105], v[73:74], v[106:107]
	v_mul_f64 v[106:107], v[75:76], v[106:107]
	s_waitcnt vmcnt(54)
	v_fma_f64 v[102:103], v[81:82], v[108:109], -v[102:103]
	ds_read_b128 v[77:80], v1 offset:880
	v_add_f64 v[89:90], v[89:90], v[97:98]
	v_fma_f64 v[97:98], v[83:84], v[108:109], v[156:157]
	v_add_f64 v[2:3], v[2:3], v[93:94]
	ds_read_b128 v[81:84], v1 offset:896
	s_waitcnt vmcnt(52) lgkmcnt(1)
	v_mul_f64 v[108:109], v[79:80], v[110:111]
	s_waitcnt vmcnt(50)
	v_fma_f64 v[106:107], v[73:74], v[112:113], -v[106:107]
	v_mul_f64 v[93:94], v[77:78], v[110:111]
	v_add_f64 v[89:90], v[89:90], v[102:103]
	v_fma_f64 v[102:103], v[75:76], v[112:113], v[104:105]
	v_add_f64 v[2:3], v[2:3], v[97:98]
	s_clause 0x3
	buffer_load_dword v97, off, s[0:3], 0 offset:224
	buffer_load_dword v98, off, s[0:3], 0 offset:228
	;; [unrolled: 1-line block ×4, first 2 shown]
	s_waitcnt vmcnt(52) lgkmcnt(0)
	v_mul_f64 v[112:113], v[83:84], v[114:115]
	s_waitcnt vmcnt(50)
	v_fma_f64 v[108:109], v[77:78], v[116:117], -v[108:109]
	ds_read_b128 v[73:76], v1 offset:912
	v_mul_f64 v[110:111], v[81:82], v[114:115]
	v_fma_f64 v[93:94], v[79:80], v[116:117], v[93:94]
	ds_read_b128 v[77:80], v1 offset:928
	v_add_f64 v[89:90], v[89:90], v[106:107]
	v_add_f64 v[2:3], v[2:3], v[102:103]
	s_waitcnt vmcnt(48) lgkmcnt(1)
	v_mul_f64 v[106:107], v[75:76], v[118:119]
	s_waitcnt vmcnt(46)
	v_fma_f64 v[112:113], v[81:82], v[120:121], -v[112:113]
	v_mul_f64 v[102:103], v[73:74], v[118:119]
	v_add_f64 v[89:90], v[89:90], v[108:109]
	v_fma_f64 v[108:109], v[83:84], v[120:121], v[110:111]
	v_add_f64 v[2:3], v[2:3], v[93:94]
	s_waitcnt vmcnt(44) lgkmcnt(0)
	v_mul_f64 v[110:111], v[79:80], v[122:123]
	s_waitcnt vmcnt(42)
	v_fma_f64 v[106:107], v[73:74], v[124:125], -v[106:107]
	ds_read_b128 v[81:84], v1 offset:944
	v_mul_f64 v[93:94], v[77:78], v[122:123]
	v_fma_f64 v[102:103], v[75:76], v[124:125], v[102:103]
	ds_read_b128 v[73:76], v1 offset:960
	v_add_f64 v[89:90], v[89:90], v[112:113]
	v_add_f64 v[2:3], v[2:3], v[108:109]
	s_waitcnt vmcnt(40) lgkmcnt(1)
	v_mul_f64 v[112:113], v[83:84], v[126:127]
	s_waitcnt vmcnt(38)
	v_fma_f64 v[110:111], v[77:78], v[128:129], -v[110:111]
	v_mul_f64 v[108:109], v[81:82], v[126:127]
	v_fma_f64 v[93:94], v[79:80], v[128:129], v[93:94]
	ds_read_b128 v[77:80], v1 offset:976
	v_add_f64 v[89:90], v[89:90], v[106:107]
	s_waitcnt vmcnt(36) lgkmcnt(1)
	v_mul_f64 v[106:107], v[75:76], v[130:131]
	v_add_f64 v[2:3], v[2:3], v[102:103]
	s_waitcnt vmcnt(34)
	v_fma_f64 v[112:113], v[81:82], v[132:133], -v[112:113]
	v_mul_f64 v[102:103], v[73:74], v[130:131]
	v_fma_f64 v[108:109], v[83:84], v[132:133], v[108:109]
	ds_read_b128 v[81:84], v1 offset:992
	v_add_f64 v[89:90], v[89:90], v[110:111]
	s_waitcnt vmcnt(32) lgkmcnt(1)
	v_mul_f64 v[110:111], v[79:80], v[134:135]
	v_add_f64 v[2:3], v[2:3], v[93:94]
	;; [unrolled: 9-line block ×4, first 2 shown]
	s_waitcnt vmcnt(22)
	v_fma_f64 v[112:113], v[81:82], v[146:147], -v[112:113]
	v_mul_f64 v[102:103], v[73:74], v[144:145]
	v_fma_f64 v[108:109], v[83:84], v[146:147], v[108:109]
	ds_read_b128 v[81:84], v1 offset:1040
	v_add_f64 v[89:90], v[89:90], v[110:111]
	v_add_f64 v[2:3], v[2:3], v[93:94]
	s_waitcnt vmcnt(20) lgkmcnt(1)
	v_mul_f64 v[93:94], v[77:78], v[87:88]
	v_mul_f64 v[87:88], v[79:80], v[87:88]
	s_waitcnt vmcnt(18)
	v_fma_f64 v[106:107], v[73:74], v[150:151], -v[106:107]
	v_fma_f64 v[102:103], v[75:76], v[150:151], v[102:103]
	ds_read_b128 v[73:76], v1 offset:1056
	v_add_f64 v[89:90], v[89:90], v[112:113]
	v_add_f64 v[2:3], v[2:3], v[108:109]
	s_waitcnt vmcnt(16) lgkmcnt(1)
	v_mul_f64 v[108:109], v[81:82], v[91:92]
	v_mul_f64 v[91:92], v[83:84], v[91:92]
	s_waitcnt vmcnt(14)
	v_fma_f64 v[79:80], v[79:80], v[154:155], v[93:94]
	v_fma_f64 v[77:78], v[77:78], v[154:155], -v[87:88]
	v_add_f64 v[87:88], v[89:90], v[106:107]
	v_add_f64 v[89:90], v[2:3], v[102:103]
	ds_read_b128 v[1:4], v1 offset:1072
	s_waitcnt vmcnt(12) lgkmcnt(1)
	v_mul_f64 v[93:94], v[73:74], v[85:86]
	v_mul_f64 v[85:86], v[75:76], v[85:86]
	s_waitcnt vmcnt(10)
	v_fma_f64 v[81:82], v[81:82], v[148:149], -v[91:92]
	v_fma_f64 v[83:84], v[83:84], v[148:149], v[108:109]
	v_add_f64 v[77:78], v[87:88], v[77:78]
	v_add_f64 v[79:80], v[89:90], v[79:80]
	s_waitcnt vmcnt(8) lgkmcnt(0)
	v_mul_f64 v[89:90], v[3:4], v[95:96]
	v_mul_f64 v[87:88], v[1:2], v[95:96]
	s_waitcnt vmcnt(6)
	v_fma_f64 v[73:74], v[73:74], v[142:143], -v[85:86]
	v_fma_f64 v[75:76], v[75:76], v[142:143], v[93:94]
	v_add_f64 v[77:78], v[77:78], v[81:82]
	v_add_f64 v[79:80], v[79:80], v[83:84]
	s_waitcnt vmcnt(4)
	v_fma_f64 v[1:2], v[1:2], v[99:100], -v[89:90]
	v_fma_f64 v[3:4], v[3:4], v[99:100], v[87:88]
	v_add_f64 v[73:74], v[77:78], v[73:74]
	v_add_f64 v[75:76], v[79:80], v[75:76]
	;; [unrolled: 1-line block ×4, first 2 shown]
	s_waitcnt vmcnt(2)
	v_add_f64 v[1:2], v[97:98], -v[1:2]
	s_waitcnt vmcnt(0)
	v_add_f64 v[3:4], v[104:105], -v[3:4]
	buffer_store_dword v2, off, s[0:3], 0 offset:228
	buffer_store_dword v1, off, s[0:3], 0 offset:224
	;; [unrolled: 1-line block ×4, first 2 shown]
	v_cmpx_lt_u32_e32 12, v0
	s_cbranch_execz .LBB97_193
; %bb.192:
	v_mov_b32_e32 v4, s34
	v_mov_b32_e32 v73, 0
	s_clause 0x3
	buffer_load_dword v1, v4, s[0:3], 0 offen
	buffer_load_dword v2, v4, s[0:3], 0 offen offset:4
	buffer_load_dword v3, v4, s[0:3], 0 offen offset:8
	buffer_load_dword v4, v4, s[0:3], 0 offen offset:12
	buffer_store_dword v73, off, s[0:3], 0 offset:208
	buffer_store_dword v73, off, s[0:3], 0 offset:212
	;; [unrolled: 1-line block ×4, first 2 shown]
	s_waitcnt vmcnt(0)
	ds_write_b128 v101, v[1:4]
.LBB97_193:
	s_or_b32 exec_lo, exec_lo, s4
	s_waitcnt lgkmcnt(0)
	s_waitcnt_vscnt null, 0x0
	s_barrier
	buffer_gl0_inv
	s_clause 0x35
	buffer_load_dword v2, off, s[0:3], 0 offset:232
	buffer_load_dword v3, off, s[0:3], 0 offset:236
	;; [unrolled: 1-line block ×54, first 2 shown]
	v_mov_b32_e32 v1, 0
	s_mov_b32 s4, exec_lo
	ds_read_b128 v[73:76], v1 offset:752
	s_clause 0x3
	buffer_load_dword v138, off, s[0:3], 0 offset:456
	buffer_load_dword v139, off, s[0:3], 0 offset:460
	;; [unrolled: 1-line block ×4, first 2 shown]
	ds_read_b128 v[77:80], v1 offset:768
	s_clause 0x3
	buffer_load_dword v145, off, s[0:3], 0 offset:476
	buffer_load_dword v144, off, s[0:3], 0 offset:472
	;; [unrolled: 1-line block ×4, first 2 shown]
	ds_read_b128 v[81:84], v1 offset:784
	s_waitcnt vmcnt(60) lgkmcnt(2)
	v_mul_f64 v[142:143], v[75:76], v[2:3]
	v_mul_f64 v[2:3], v[73:74], v[2:3]
	s_waitcnt vmcnt(58) lgkmcnt(1)
	v_mul_f64 v[148:149], v[79:80], v[85:86]
	v_mul_f64 v[85:86], v[77:78], v[85:86]
	;; [unrolled: 3-line block ×3, first 2 shown]
	v_fma_f64 v[142:143], v[73:74], v[87:88], -v[142:143]
	v_fma_f64 v[2:3], v[75:76], v[87:88], v[2:3]
	s_clause 0x3
	buffer_load_dword v87, off, s[0:3], 0 offset:488
	buffer_load_dword v88, off, s[0:3], 0 offset:492
	;; [unrolled: 1-line block ×4, first 2 shown]
	s_waitcnt vmcnt(56)
	v_fma_f64 v[148:149], v[77:78], v[91:92], -v[148:149]
	ds_read_b128 v[73:76], v1 offset:800
	v_fma_f64 v[85:86], v[79:80], v[91:92], v[85:86]
	s_clause 0x3
	buffer_load_dword v92, off, s[0:3], 0 offset:508
	buffer_load_dword v91, off, s[0:3], 0 offset:504
	;; [unrolled: 1-line block ×4, first 2 shown]
	s_waitcnt vmcnt(56)
	v_fma_f64 v[89:90], v[81:82], v[95:96], -v[89:90]
	ds_read_b128 v[77:80], v1 offset:816
	v_fma_f64 v[95:96], v[83:84], v[95:96], v[152:153]
	v_add_f64 v[142:143], v[142:143], 0
	v_add_f64 v[2:3], v[2:3], 0
	s_waitcnt lgkmcnt(1)
	v_mul_f64 v[156:157], v[73:74], v[93:94]
	v_mul_f64 v[93:94], v[75:76], v[93:94]
	s_waitcnt vmcnt(54) lgkmcnt(0)
	v_mul_f64 v[152:153], v[77:78], v[97:98]
	v_mul_f64 v[97:98], v[79:80], v[97:98]
	v_add_f64 v[142:143], v[142:143], v[148:149]
	v_add_f64 v[2:3], v[2:3], v[85:86]
	s_clause 0x3
	buffer_load_dword v85, off, s[0:3], 0 offset:520
	buffer_load_dword v86, off, s[0:3], 0 offset:524
	;; [unrolled: 1-line block ×4, first 2 shown]
	s_waitcnt vmcnt(56)
	v_fma_f64 v[93:94], v[73:74], v[99:100], -v[93:94]
	ds_read_b128 v[81:84], v1 offset:832
	v_fma_f64 v[99:100], v[75:76], v[99:100], v[156:157]
	s_waitcnt vmcnt(52)
	v_fma_f64 v[97:98], v[77:78], v[104:105], -v[97:98]
	v_add_f64 v[89:90], v[142:143], v[89:90]
	v_add_f64 v[2:3], v[2:3], v[95:96]
	s_clause 0x3
	buffer_load_dword v96, off, s[0:3], 0 offset:540
	buffer_load_dword v95, off, s[0:3], 0 offset:536
	;; [unrolled: 1-line block ×4, first 2 shown]
	s_waitcnt lgkmcnt(0)
	v_mul_f64 v[156:157], v[81:82], v[102:103]
	v_mul_f64 v[102:103], v[83:84], v[102:103]
	ds_read_b128 v[73:76], v1 offset:848
	v_add_f64 v[89:90], v[89:90], v[93:94]
	v_fma_f64 v[93:94], v[79:80], v[104:105], v[152:153]
	v_add_f64 v[2:3], v[2:3], v[99:100]
	s_clause 0x3
	buffer_load_dword v99, off, s[0:3], 0 offset:552
	buffer_load_dword v100, off, s[0:3], 0 offset:556
	buffer_load_dword v105, off, s[0:3], 0 offset:532
	buffer_load_dword v104, off, s[0:3], 0 offset:528
	s_waitcnt vmcnt(58) lgkmcnt(0)
	v_mul_f64 v[152:153], v[73:74], v[106:107]
	v_mul_f64 v[106:107], v[75:76], v[106:107]
	s_waitcnt vmcnt(56)
	v_fma_f64 v[102:103], v[81:82], v[108:109], -v[102:103]
	ds_read_b128 v[77:80], v1 offset:864
	v_add_f64 v[89:90], v[89:90], v[97:98]
	v_fma_f64 v[97:98], v[83:84], v[108:109], v[156:157]
	v_add_f64 v[2:3], v[2:3], v[93:94]
	s_clause 0x1
	buffer_load_dword v93, off, s[0:3], 0 offset:544
	buffer_load_dword v94, off, s[0:3], 0 offset:548
	ds_read_b128 v[81:84], v1 offset:880
	s_waitcnt vmcnt(56) lgkmcnt(1)
	v_mul_f64 v[108:109], v[77:78], v[110:111]
	v_mul_f64 v[110:111], v[79:80], v[110:111]
	s_waitcnt vmcnt(54)
	v_fma_f64 v[106:107], v[73:74], v[112:113], -v[106:107]
	v_add_f64 v[89:90], v[89:90], v[102:103]
	v_fma_f64 v[102:103], v[75:76], v[112:113], v[152:153]
	v_add_f64 v[2:3], v[2:3], v[97:98]
	ds_read_b128 v[73:76], v1 offset:896
	s_waitcnt vmcnt(52) lgkmcnt(1)
	v_mul_f64 v[112:113], v[83:84], v[114:115]
	v_mul_f64 v[97:98], v[81:82], v[114:115]
	s_waitcnt vmcnt(50)
	v_fma_f64 v[110:111], v[77:78], v[116:117], -v[110:111]
	v_add_f64 v[89:90], v[89:90], v[106:107]
	v_fma_f64 v[106:107], v[79:80], v[116:117], v[108:109]
	v_add_f64 v[2:3], v[2:3], v[102:103]
	s_clause 0x3
	buffer_load_dword v102, off, s[0:3], 0 offset:208
	buffer_load_dword v103, off, s[0:3], 0 offset:212
	;; [unrolled: 1-line block ×4, first 2 shown]
	s_waitcnt vmcnt(52) lgkmcnt(0)
	v_mul_f64 v[116:117], v[75:76], v[118:119]
	s_waitcnt vmcnt(50)
	v_fma_f64 v[112:113], v[81:82], v[120:121], -v[112:113]
	ds_read_b128 v[77:80], v1 offset:912
	v_mul_f64 v[114:115], v[73:74], v[118:119]
	v_fma_f64 v[97:98], v[83:84], v[120:121], v[97:98]
	ds_read_b128 v[81:84], v1 offset:928
	v_add_f64 v[89:90], v[89:90], v[110:111]
	v_add_f64 v[2:3], v[2:3], v[106:107]
	s_waitcnt vmcnt(48) lgkmcnt(1)
	v_mul_f64 v[110:111], v[79:80], v[122:123]
	s_waitcnt vmcnt(46)
	v_fma_f64 v[116:117], v[73:74], v[124:125], -v[116:117]
	v_mul_f64 v[106:107], v[77:78], v[122:123]
	v_add_f64 v[89:90], v[89:90], v[112:113]
	v_fma_f64 v[112:113], v[75:76], v[124:125], v[114:115]
	v_add_f64 v[2:3], v[2:3], v[97:98]
	s_waitcnt vmcnt(44) lgkmcnt(0)
	v_mul_f64 v[114:115], v[83:84], v[126:127]
	s_waitcnt vmcnt(42)
	v_fma_f64 v[110:111], v[77:78], v[128:129], -v[110:111]
	ds_read_b128 v[73:76], v1 offset:944
	v_mul_f64 v[97:98], v[81:82], v[126:127]
	v_fma_f64 v[106:107], v[79:80], v[128:129], v[106:107]
	ds_read_b128 v[77:80], v1 offset:960
	v_add_f64 v[89:90], v[89:90], v[116:117]
	v_add_f64 v[2:3], v[2:3], v[112:113]
	s_waitcnt vmcnt(40) lgkmcnt(1)
	v_mul_f64 v[116:117], v[75:76], v[130:131]
	s_waitcnt vmcnt(38)
	v_fma_f64 v[114:115], v[81:82], v[132:133], -v[114:115]
	v_mul_f64 v[112:113], v[73:74], v[130:131]
	v_fma_f64 v[97:98], v[83:84], v[132:133], v[97:98]
	ds_read_b128 v[81:84], v1 offset:976
	v_add_f64 v[89:90], v[89:90], v[110:111]
	s_waitcnt vmcnt(36) lgkmcnt(1)
	v_mul_f64 v[110:111], v[79:80], v[134:135]
	v_add_f64 v[2:3], v[2:3], v[106:107]
	s_waitcnt vmcnt(34)
	v_fma_f64 v[116:117], v[73:74], v[136:137], -v[116:117]
	v_mul_f64 v[106:107], v[77:78], v[134:135]
	v_fma_f64 v[112:113], v[75:76], v[136:137], v[112:113]
	ds_read_b128 v[73:76], v1 offset:992
	v_add_f64 v[89:90], v[89:90], v[114:115]
	s_waitcnt vmcnt(32) lgkmcnt(1)
	v_mul_f64 v[114:115], v[83:84], v[138:139]
	v_add_f64 v[2:3], v[2:3], v[97:98]
	;; [unrolled: 9-line block ×3, first 2 shown]
	s_waitcnt vmcnt(26)
	v_fma_f64 v[114:115], v[81:82], v[146:147], -v[114:115]
	v_mul_f64 v[112:113], v[73:74], v[144:145]
	v_fma_f64 v[97:98], v[83:84], v[146:147], v[97:98]
	ds_read_b128 v[81:84], v1 offset:1024
	v_add_f64 v[89:90], v[89:90], v[110:111]
	v_add_f64 v[2:3], v[2:3], v[106:107]
	s_waitcnt vmcnt(24) lgkmcnt(1)
	v_mul_f64 v[106:107], v[77:78], v[87:88]
	v_mul_f64 v[87:88], v[79:80], v[87:88]
	s_waitcnt vmcnt(22)
	v_fma_f64 v[110:111], v[73:74], v[150:151], -v[116:117]
	v_fma_f64 v[112:113], v[75:76], v[150:151], v[112:113]
	ds_read_b128 v[73:76], v1 offset:1040
	v_add_f64 v[89:90], v[89:90], v[114:115]
	v_add_f64 v[2:3], v[2:3], v[97:98]
	s_waitcnt vmcnt(20) lgkmcnt(1)
	v_mul_f64 v[97:98], v[81:82], v[91:92]
	v_mul_f64 v[91:92], v[83:84], v[91:92]
	s_waitcnt vmcnt(18)
	v_fma_f64 v[106:107], v[79:80], v[154:155], v[106:107]
	v_fma_f64 v[87:88], v[77:78], v[154:155], -v[87:88]
	ds_read_b128 v[77:80], v1 offset:1056
	v_add_f64 v[89:90], v[89:90], v[110:111]
	v_add_f64 v[2:3], v[2:3], v[112:113]
	s_waitcnt vmcnt(16) lgkmcnt(1)
	v_mul_f64 v[110:111], v[73:74], v[85:86]
	v_mul_f64 v[85:86], v[75:76], v[85:86]
	s_waitcnt vmcnt(14)
	v_fma_f64 v[91:92], v[81:82], v[148:149], -v[91:92]
	v_add_f64 v[87:88], v[89:90], v[87:88]
	v_fma_f64 v[89:90], v[83:84], v[148:149], v[97:98]
	v_add_f64 v[2:3], v[2:3], v[106:107]
	ds_read_b128 v[81:84], v1 offset:1072
	s_waitcnt vmcnt(12) lgkmcnt(1)
	v_mul_f64 v[97:98], v[77:78], v[95:96]
	v_mul_f64 v[95:96], v[79:80], v[95:96]
	s_waitcnt vmcnt(10)
	v_fma_f64 v[73:74], v[73:74], v[142:143], -v[85:86]
	v_fma_f64 v[75:76], v[75:76], v[142:143], v[110:111]
	v_add_f64 v[85:86], v[87:88], v[91:92]
	v_add_f64 v[2:3], v[2:3], v[89:90]
	s_waitcnt vmcnt(8) lgkmcnt(0)
	v_mul_f64 v[89:90], v[83:84], v[99:100]
	v_mul_f64 v[87:88], v[81:82], v[99:100]
	s_waitcnt vmcnt(6)
	v_fma_f64 v[77:78], v[77:78], v[104:105], -v[95:96]
	v_fma_f64 v[79:80], v[79:80], v[104:105], v[97:98]
	v_add_f64 v[73:74], v[85:86], v[73:74]
	v_add_f64 v[2:3], v[2:3], v[75:76]
	s_waitcnt vmcnt(4)
	v_fma_f64 v[75:76], v[81:82], v[93:94], -v[89:90]
	v_add_f64 v[73:74], v[73:74], v[77:78]
	v_fma_f64 v[77:78], v[83:84], v[93:94], v[87:88]
	v_add_f64 v[2:3], v[2:3], v[79:80]
	v_add_f64 v[73:74], v[73:74], v[75:76]
	;; [unrolled: 1-line block ×3, first 2 shown]
	s_waitcnt vmcnt(2)
	v_add_f64 v[73:74], v[102:103], -v[73:74]
	s_waitcnt vmcnt(0)
	v_add_f64 v[2:3], v[108:109], -v[2:3]
	buffer_store_dword v74, off, s[0:3], 0 offset:212
	buffer_store_dword v73, off, s[0:3], 0 offset:208
	;; [unrolled: 1-line block ×4, first 2 shown]
	v_cmpx_lt_u32_e32 11, v0
	s_cbranch_execz .LBB97_195
; %bb.194:
	v_mov_b32_e32 v2, s35
	s_clause 0x3
	buffer_load_dword v73, v2, s[0:3], 0 offen
	buffer_load_dword v74, v2, s[0:3], 0 offen offset:4
	buffer_load_dword v75, v2, s[0:3], 0 offen offset:8
	;; [unrolled: 1-line block ×3, first 2 shown]
	buffer_store_dword v1, off, s[0:3], 0 offset:192
	buffer_store_dword v1, off, s[0:3], 0 offset:196
	;; [unrolled: 1-line block ×4, first 2 shown]
	s_waitcnt vmcnt(0)
	ds_write_b128 v101, v[73:76]
.LBB97_195:
	s_or_b32 exec_lo, exec_lo, s4
	s_waitcnt lgkmcnt(0)
	s_waitcnt_vscnt null, 0x0
	s_barrier
	buffer_gl0_inv
	s_clause 0x35
	buffer_load_dword v2, off, s[0:3], 0 offset:216
	buffer_load_dword v3, off, s[0:3], 0 offset:220
	;; [unrolled: 1-line block ×54, first 2 shown]
	ds_read_b128 v[73:76], v1 offset:736
	s_clause 0x3
	buffer_load_dword v138, off, s[0:3], 0 offset:440
	buffer_load_dword v139, off, s[0:3], 0 offset:444
	;; [unrolled: 1-line block ×4, first 2 shown]
	ds_read_b128 v[77:80], v1 offset:752
	s_clause 0x3
	buffer_load_dword v145, off, s[0:3], 0 offset:460
	buffer_load_dword v144, off, s[0:3], 0 offset:456
	;; [unrolled: 1-line block ×4, first 2 shown]
	ds_read_b128 v[81:84], v1 offset:768
	s_mov_b32 s4, exec_lo
	s_waitcnt vmcnt(60) lgkmcnt(2)
	v_mul_f64 v[142:143], v[75:76], v[2:3]
	v_mul_f64 v[2:3], v[73:74], v[2:3]
	s_waitcnt vmcnt(58) lgkmcnt(1)
	v_mul_f64 v[148:149], v[79:80], v[85:86]
	v_mul_f64 v[85:86], v[77:78], v[85:86]
	s_waitcnt vmcnt(54) lgkmcnt(0)
	v_mul_f64 v[152:153], v[81:82], v[89:90]
	v_mul_f64 v[89:90], v[83:84], v[89:90]
	v_fma_f64 v[142:143], v[73:74], v[87:88], -v[142:143]
	v_fma_f64 v[2:3], v[75:76], v[87:88], v[2:3]
	s_clause 0x3
	buffer_load_dword v87, off, s[0:3], 0 offset:472
	buffer_load_dword v88, off, s[0:3], 0 offset:476
	;; [unrolled: 1-line block ×4, first 2 shown]
	s_waitcnt vmcnt(56)
	v_fma_f64 v[148:149], v[77:78], v[91:92], -v[148:149]
	ds_read_b128 v[73:76], v1 offset:784
	v_fma_f64 v[85:86], v[79:80], v[91:92], v[85:86]
	s_clause 0x3
	buffer_load_dword v92, off, s[0:3], 0 offset:492
	buffer_load_dword v91, off, s[0:3], 0 offset:488
	;; [unrolled: 1-line block ×4, first 2 shown]
	s_waitcnt vmcnt(56)
	v_fma_f64 v[89:90], v[81:82], v[95:96], -v[89:90]
	ds_read_b128 v[77:80], v1 offset:800
	v_fma_f64 v[95:96], v[83:84], v[95:96], v[152:153]
	v_add_f64 v[142:143], v[142:143], 0
	v_add_f64 v[2:3], v[2:3], 0
	s_waitcnt lgkmcnt(1)
	v_mul_f64 v[156:157], v[73:74], v[93:94]
	v_mul_f64 v[93:94], v[75:76], v[93:94]
	s_waitcnt vmcnt(54) lgkmcnt(0)
	v_mul_f64 v[152:153], v[77:78], v[97:98]
	v_mul_f64 v[97:98], v[79:80], v[97:98]
	v_add_f64 v[142:143], v[142:143], v[148:149]
	v_add_f64 v[2:3], v[2:3], v[85:86]
	s_clause 0x3
	buffer_load_dword v85, off, s[0:3], 0 offset:504
	buffer_load_dword v86, off, s[0:3], 0 offset:508
	buffer_load_dword v149, off, s[0:3], 0 offset:484
	buffer_load_dword v148, off, s[0:3], 0 offset:480
	s_waitcnt vmcnt(56)
	v_fma_f64 v[93:94], v[73:74], v[99:100], -v[93:94]
	ds_read_b128 v[81:84], v1 offset:816
	v_fma_f64 v[99:100], v[75:76], v[99:100], v[156:157]
	s_waitcnt vmcnt(52)
	v_fma_f64 v[97:98], v[77:78], v[104:105], -v[97:98]
	v_add_f64 v[89:90], v[142:143], v[89:90]
	v_add_f64 v[2:3], v[2:3], v[95:96]
	s_clause 0x3
	buffer_load_dword v96, off, s[0:3], 0 offset:524
	buffer_load_dword v95, off, s[0:3], 0 offset:520
	;; [unrolled: 1-line block ×4, first 2 shown]
	s_waitcnt lgkmcnt(0)
	v_mul_f64 v[156:157], v[81:82], v[102:103]
	v_mul_f64 v[102:103], v[83:84], v[102:103]
	ds_read_b128 v[73:76], v1 offset:832
	v_add_f64 v[89:90], v[89:90], v[93:94]
	v_fma_f64 v[93:94], v[79:80], v[104:105], v[152:153]
	v_add_f64 v[2:3], v[2:3], v[99:100]
	s_clause 0x3
	buffer_load_dword v99, off, s[0:3], 0 offset:536
	buffer_load_dword v100, off, s[0:3], 0 offset:540
	buffer_load_dword v105, off, s[0:3], 0 offset:516
	buffer_load_dword v104, off, s[0:3], 0 offset:512
	s_waitcnt vmcnt(58) lgkmcnt(0)
	v_mul_f64 v[152:153], v[73:74], v[106:107]
	v_mul_f64 v[106:107], v[75:76], v[106:107]
	s_waitcnt vmcnt(56)
	v_fma_f64 v[102:103], v[81:82], v[108:109], -v[102:103]
	ds_read_b128 v[77:80], v1 offset:848
	v_add_f64 v[89:90], v[89:90], v[97:98]
	v_fma_f64 v[97:98], v[83:84], v[108:109], v[156:157]
	v_add_f64 v[2:3], v[2:3], v[93:94]
	s_clause 0x3
	buffer_load_dword v94, off, s[0:3], 0 offset:556
	buffer_load_dword v93, off, s[0:3], 0 offset:552
	;; [unrolled: 1-line block ×4, first 2 shown]
	ds_read_b128 v[81:84], v1 offset:864
	s_waitcnt vmcnt(58) lgkmcnt(1)
	v_mul_f64 v[156:157], v[77:78], v[110:111]
	v_mul_f64 v[110:111], v[79:80], v[110:111]
	s_waitcnt vmcnt(56)
	v_fma_f64 v[106:107], v[73:74], v[112:113], -v[106:107]
	v_add_f64 v[89:90], v[89:90], v[102:103]
	v_fma_f64 v[102:103], v[75:76], v[112:113], v[152:153]
	v_add_f64 v[2:3], v[2:3], v[97:98]
	s_clause 0x1
	buffer_load_dword v98, off, s[0:3], 0 offset:548
	buffer_load_dword v97, off, s[0:3], 0 offset:544
	s_waitcnt vmcnt(56) lgkmcnt(0)
	v_mul_f64 v[112:113], v[81:82], v[114:115]
	v_mul_f64 v[114:115], v[83:84], v[114:115]
	s_waitcnt vmcnt(54)
	v_fma_f64 v[110:111], v[77:78], v[116:117], -v[110:111]
	ds_read_b128 v[73:76], v1 offset:880
	v_add_f64 v[89:90], v[89:90], v[106:107]
	v_fma_f64 v[106:107], v[79:80], v[116:117], v[156:157]
	v_add_f64 v[2:3], v[2:3], v[102:103]
	ds_read_b128 v[77:80], v1 offset:896
	s_waitcnt vmcnt(52) lgkmcnt(1)
	v_mul_f64 v[116:117], v[75:76], v[118:119]
	s_waitcnt vmcnt(50)
	v_fma_f64 v[114:115], v[81:82], v[120:121], -v[114:115]
	v_mul_f64 v[102:103], v[73:74], v[118:119]
	v_add_f64 v[89:90], v[89:90], v[110:111]
	v_fma_f64 v[110:111], v[83:84], v[120:121], v[112:113]
	v_add_f64 v[2:3], v[2:3], v[106:107]
	s_clause 0x3
	buffer_load_dword v106, off, s[0:3], 0 offset:192
	buffer_load_dword v107, off, s[0:3], 0 offset:196
	;; [unrolled: 1-line block ×4, first 2 shown]
	s_waitcnt vmcnt(52) lgkmcnt(0)
	v_mul_f64 v[120:121], v[79:80], v[122:123]
	s_waitcnt vmcnt(50)
	v_fma_f64 v[116:117], v[73:74], v[124:125], -v[116:117]
	ds_read_b128 v[81:84], v1 offset:912
	v_mul_f64 v[118:119], v[77:78], v[122:123]
	v_fma_f64 v[102:103], v[75:76], v[124:125], v[102:103]
	ds_read_b128 v[73:76], v1 offset:928
	v_add_f64 v[89:90], v[89:90], v[114:115]
	v_add_f64 v[2:3], v[2:3], v[110:111]
	s_waitcnt vmcnt(48) lgkmcnt(1)
	v_mul_f64 v[114:115], v[83:84], v[126:127]
	s_waitcnt vmcnt(46)
	v_fma_f64 v[120:121], v[77:78], v[128:129], -v[120:121]
	v_mul_f64 v[110:111], v[81:82], v[126:127]
	v_add_f64 v[89:90], v[89:90], v[116:117]
	v_fma_f64 v[116:117], v[79:80], v[128:129], v[118:119]
	v_add_f64 v[2:3], v[2:3], v[102:103]
	s_waitcnt vmcnt(44) lgkmcnt(0)
	v_mul_f64 v[118:119], v[75:76], v[130:131]
	s_waitcnt vmcnt(42)
	v_fma_f64 v[114:115], v[81:82], v[132:133], -v[114:115]
	ds_read_b128 v[77:80], v1 offset:944
	v_mul_f64 v[102:103], v[73:74], v[130:131]
	v_fma_f64 v[110:111], v[83:84], v[132:133], v[110:111]
	ds_read_b128 v[81:84], v1 offset:960
	v_add_f64 v[89:90], v[89:90], v[120:121]
	v_add_f64 v[2:3], v[2:3], v[116:117]
	s_waitcnt vmcnt(40) lgkmcnt(1)
	v_mul_f64 v[120:121], v[79:80], v[134:135]
	s_waitcnt vmcnt(38)
	v_fma_f64 v[118:119], v[73:74], v[136:137], -v[118:119]
	v_mul_f64 v[116:117], v[77:78], v[134:135]
	v_fma_f64 v[102:103], v[75:76], v[136:137], v[102:103]
	ds_read_b128 v[73:76], v1 offset:976
	v_add_f64 v[89:90], v[89:90], v[114:115]
	s_waitcnt vmcnt(36) lgkmcnt(1)
	v_mul_f64 v[114:115], v[83:84], v[138:139]
	v_add_f64 v[2:3], v[2:3], v[110:111]
	s_waitcnt vmcnt(34)
	v_fma_f64 v[120:121], v[77:78], v[140:141], -v[120:121]
	v_mul_f64 v[110:111], v[81:82], v[138:139]
	v_fma_f64 v[116:117], v[79:80], v[140:141], v[116:117]
	ds_read_b128 v[77:80], v1 offset:992
	v_add_f64 v[89:90], v[89:90], v[118:119]
	s_waitcnt vmcnt(32) lgkmcnt(1)
	v_mul_f64 v[118:119], v[75:76], v[144:145]
	v_add_f64 v[2:3], v[2:3], v[102:103]
	s_waitcnt vmcnt(30)
	v_fma_f64 v[114:115], v[81:82], v[146:147], -v[114:115]
	v_mul_f64 v[102:103], v[73:74], v[144:145]
	v_fma_f64 v[110:111], v[83:84], v[146:147], v[110:111]
	ds_read_b128 v[81:84], v1 offset:1008
	v_add_f64 v[89:90], v[89:90], v[120:121]
	v_add_f64 v[2:3], v[2:3], v[116:117]
	s_waitcnt vmcnt(28) lgkmcnt(1)
	v_mul_f64 v[116:117], v[77:78], v[87:88]
	v_mul_f64 v[87:88], v[79:80], v[87:88]
	s_waitcnt vmcnt(26)
	v_fma_f64 v[118:119], v[73:74], v[150:151], -v[118:119]
	v_fma_f64 v[102:103], v[75:76], v[150:151], v[102:103]
	ds_read_b128 v[73:76], v1 offset:1024
	v_add_f64 v[89:90], v[89:90], v[114:115]
	v_add_f64 v[2:3], v[2:3], v[110:111]
	s_waitcnt vmcnt(24) lgkmcnt(1)
	v_mul_f64 v[110:111], v[81:82], v[91:92]
	v_mul_f64 v[91:92], v[83:84], v[91:92]
	s_waitcnt vmcnt(22)
	v_fma_f64 v[114:115], v[79:80], v[154:155], v[116:117]
	v_fma_f64 v[87:88], v[77:78], v[154:155], -v[87:88]
	ds_read_b128 v[77:80], v1 offset:1040
	v_add_f64 v[89:90], v[89:90], v[118:119]
	v_add_f64 v[2:3], v[2:3], v[102:103]
	s_waitcnt vmcnt(20) lgkmcnt(1)
	v_mul_f64 v[102:103], v[73:74], v[85:86]
	v_mul_f64 v[85:86], v[75:76], v[85:86]
	s_waitcnt vmcnt(18)
	v_fma_f64 v[91:92], v[81:82], v[148:149], -v[91:92]
	v_add_f64 v[87:88], v[89:90], v[87:88]
	v_fma_f64 v[89:90], v[83:84], v[148:149], v[110:111]
	v_add_f64 v[2:3], v[2:3], v[114:115]
	ds_read_b128 v[81:84], v1 offset:1056
	s_waitcnt vmcnt(16) lgkmcnt(1)
	v_mul_f64 v[110:111], v[77:78], v[95:96]
	v_mul_f64 v[95:96], v[79:80], v[95:96]
	s_waitcnt vmcnt(14)
	v_fma_f64 v[73:74], v[73:74], v[142:143], -v[85:86]
	v_fma_f64 v[75:76], v[75:76], v[142:143], v[102:103]
	v_add_f64 v[85:86], v[87:88], v[91:92]
	v_add_f64 v[87:88], v[2:3], v[89:90]
	ds_read_b128 v[1:4], v1 offset:1072
	s_waitcnt vmcnt(12) lgkmcnt(1)
	v_mul_f64 v[91:92], v[83:84], v[99:100]
	v_mul_f64 v[89:90], v[81:82], v[99:100]
	s_waitcnt vmcnt(10)
	v_fma_f64 v[77:78], v[77:78], v[104:105], -v[95:96]
	v_fma_f64 v[79:80], v[79:80], v[104:105], v[110:111]
	v_add_f64 v[73:74], v[85:86], v[73:74]
	v_add_f64 v[75:76], v[87:88], v[75:76]
	s_waitcnt vmcnt(8) lgkmcnt(0)
	v_mul_f64 v[87:88], v[3:4], v[93:94]
	v_mul_f64 v[85:86], v[1:2], v[93:94]
	s_waitcnt vmcnt(6)
	v_fma_f64 v[81:82], v[81:82], v[108:109], -v[91:92]
	v_add_f64 v[73:74], v[73:74], v[77:78]
	v_fma_f64 v[77:78], v[83:84], v[108:109], v[89:90]
	v_add_f64 v[75:76], v[75:76], v[79:80]
	s_waitcnt vmcnt(4)
	v_fma_f64 v[1:2], v[1:2], v[97:98], -v[87:88]
	v_fma_f64 v[3:4], v[3:4], v[97:98], v[85:86]
	v_add_f64 v[73:74], v[73:74], v[81:82]
	v_add_f64 v[75:76], v[75:76], v[77:78]
	;; [unrolled: 1-line block ×4, first 2 shown]
	s_waitcnt vmcnt(2)
	v_add_f64 v[1:2], v[106:107], -v[1:2]
	s_waitcnt vmcnt(0)
	v_add_f64 v[3:4], v[112:113], -v[3:4]
	buffer_store_dword v2, off, s[0:3], 0 offset:196
	buffer_store_dword v1, off, s[0:3], 0 offset:192
	;; [unrolled: 1-line block ×4, first 2 shown]
	v_cmpx_lt_u32_e32 10, v0
	s_cbranch_execz .LBB97_197
; %bb.196:
	v_mov_b32_e32 v4, s36
	v_mov_b32_e32 v73, 0
	s_clause 0x3
	buffer_load_dword v1, v4, s[0:3], 0 offen
	buffer_load_dword v2, v4, s[0:3], 0 offen offset:4
	buffer_load_dword v3, v4, s[0:3], 0 offen offset:8
	;; [unrolled: 1-line block ×3, first 2 shown]
	buffer_store_dword v73, off, s[0:3], 0 offset:176
	buffer_store_dword v73, off, s[0:3], 0 offset:180
	;; [unrolled: 1-line block ×4, first 2 shown]
	s_waitcnt vmcnt(0)
	ds_write_b128 v101, v[1:4]
.LBB97_197:
	s_or_b32 exec_lo, exec_lo, s4
	s_waitcnt lgkmcnt(0)
	s_waitcnt_vscnt null, 0x0
	s_barrier
	buffer_gl0_inv
	s_clause 0x35
	buffer_load_dword v2, off, s[0:3], 0 offset:200
	buffer_load_dword v3, off, s[0:3], 0 offset:204
	;; [unrolled: 1-line block ×54, first 2 shown]
	v_mov_b32_e32 v1, 0
	s_mov_b32 s4, exec_lo
	ds_read_b128 v[73:76], v1 offset:720
	s_clause 0x3
	buffer_load_dword v138, off, s[0:3], 0 offset:424
	buffer_load_dword v139, off, s[0:3], 0 offset:428
	;; [unrolled: 1-line block ×4, first 2 shown]
	ds_read_b128 v[77:80], v1 offset:736
	s_clause 0x3
	buffer_load_dword v145, off, s[0:3], 0 offset:444
	buffer_load_dword v144, off, s[0:3], 0 offset:440
	;; [unrolled: 1-line block ×4, first 2 shown]
	ds_read_b128 v[81:84], v1 offset:752
	s_waitcnt vmcnt(60) lgkmcnt(2)
	v_mul_f64 v[142:143], v[75:76], v[2:3]
	v_mul_f64 v[2:3], v[73:74], v[2:3]
	s_waitcnt vmcnt(58) lgkmcnt(1)
	v_mul_f64 v[148:149], v[79:80], v[85:86]
	v_mul_f64 v[85:86], v[77:78], v[85:86]
	;; [unrolled: 3-line block ×3, first 2 shown]
	v_fma_f64 v[142:143], v[73:74], v[87:88], -v[142:143]
	v_fma_f64 v[2:3], v[75:76], v[87:88], v[2:3]
	s_clause 0x3
	buffer_load_dword v87, off, s[0:3], 0 offset:456
	buffer_load_dword v88, off, s[0:3], 0 offset:460
	;; [unrolled: 1-line block ×4, first 2 shown]
	s_waitcnt vmcnt(56)
	v_fma_f64 v[148:149], v[77:78], v[91:92], -v[148:149]
	ds_read_b128 v[73:76], v1 offset:768
	v_fma_f64 v[85:86], v[79:80], v[91:92], v[85:86]
	s_clause 0x3
	buffer_load_dword v92, off, s[0:3], 0 offset:476
	buffer_load_dword v91, off, s[0:3], 0 offset:472
	;; [unrolled: 1-line block ×4, first 2 shown]
	s_waitcnt vmcnt(56)
	v_fma_f64 v[89:90], v[81:82], v[95:96], -v[89:90]
	ds_read_b128 v[77:80], v1 offset:784
	v_fma_f64 v[95:96], v[83:84], v[95:96], v[152:153]
	v_add_f64 v[142:143], v[142:143], 0
	v_add_f64 v[2:3], v[2:3], 0
	s_waitcnt lgkmcnt(1)
	v_mul_f64 v[156:157], v[73:74], v[93:94]
	v_mul_f64 v[93:94], v[75:76], v[93:94]
	s_waitcnt vmcnt(54) lgkmcnt(0)
	v_mul_f64 v[152:153], v[77:78], v[97:98]
	v_mul_f64 v[97:98], v[79:80], v[97:98]
	v_add_f64 v[142:143], v[142:143], v[148:149]
	v_add_f64 v[2:3], v[2:3], v[85:86]
	s_clause 0x3
	buffer_load_dword v85, off, s[0:3], 0 offset:488
	buffer_load_dword v86, off, s[0:3], 0 offset:492
	;; [unrolled: 1-line block ×4, first 2 shown]
	s_waitcnt vmcnt(56)
	v_fma_f64 v[93:94], v[73:74], v[99:100], -v[93:94]
	ds_read_b128 v[81:84], v1 offset:800
	v_fma_f64 v[99:100], v[75:76], v[99:100], v[156:157]
	s_waitcnt vmcnt(52)
	v_fma_f64 v[97:98], v[77:78], v[104:105], -v[97:98]
	v_add_f64 v[89:90], v[142:143], v[89:90]
	v_add_f64 v[2:3], v[2:3], v[95:96]
	s_clause 0x3
	buffer_load_dword v96, off, s[0:3], 0 offset:508
	buffer_load_dword v95, off, s[0:3], 0 offset:504
	;; [unrolled: 1-line block ×4, first 2 shown]
	s_waitcnt lgkmcnt(0)
	v_mul_f64 v[156:157], v[81:82], v[102:103]
	v_mul_f64 v[102:103], v[83:84], v[102:103]
	ds_read_b128 v[73:76], v1 offset:816
	v_add_f64 v[89:90], v[89:90], v[93:94]
	v_fma_f64 v[93:94], v[79:80], v[104:105], v[152:153]
	v_add_f64 v[2:3], v[2:3], v[99:100]
	s_clause 0x3
	buffer_load_dword v99, off, s[0:3], 0 offset:520
	buffer_load_dword v100, off, s[0:3], 0 offset:524
	;; [unrolled: 1-line block ×4, first 2 shown]
	s_waitcnt vmcnt(58) lgkmcnt(0)
	v_mul_f64 v[152:153], v[73:74], v[106:107]
	v_mul_f64 v[106:107], v[75:76], v[106:107]
	s_waitcnt vmcnt(56)
	v_fma_f64 v[102:103], v[81:82], v[108:109], -v[102:103]
	ds_read_b128 v[77:80], v1 offset:832
	v_add_f64 v[89:90], v[89:90], v[97:98]
	v_fma_f64 v[97:98], v[83:84], v[108:109], v[156:157]
	v_add_f64 v[2:3], v[2:3], v[93:94]
	s_clause 0x3
	buffer_load_dword v94, off, s[0:3], 0 offset:540
	buffer_load_dword v93, off, s[0:3], 0 offset:536
	;; [unrolled: 1-line block ×4, first 2 shown]
	ds_read_b128 v[81:84], v1 offset:848
	s_waitcnt vmcnt(58) lgkmcnt(1)
	v_mul_f64 v[156:157], v[77:78], v[110:111]
	v_mul_f64 v[110:111], v[79:80], v[110:111]
	s_waitcnt vmcnt(56)
	v_fma_f64 v[106:107], v[73:74], v[112:113], -v[106:107]
	v_add_f64 v[89:90], v[89:90], v[102:103]
	v_fma_f64 v[102:103], v[75:76], v[112:113], v[152:153]
	v_add_f64 v[2:3], v[2:3], v[97:98]
	s_clause 0x3
	buffer_load_dword v97, off, s[0:3], 0 offset:552
	buffer_load_dword v98, off, s[0:3], 0 offset:556
	;; [unrolled: 1-line block ×4, first 2 shown]
	s_waitcnt vmcnt(58) lgkmcnt(0)
	v_mul_f64 v[152:153], v[81:82], v[114:115]
	v_mul_f64 v[114:115], v[83:84], v[114:115]
	s_waitcnt vmcnt(56)
	v_fma_f64 v[110:111], v[77:78], v[116:117], -v[110:111]
	ds_read_b128 v[73:76], v1 offset:864
	v_add_f64 v[89:90], v[89:90], v[106:107]
	v_fma_f64 v[106:107], v[79:80], v[116:117], v[156:157]
	v_add_f64 v[2:3], v[2:3], v[102:103]
	s_clause 0x1
	buffer_load_dword v102, off, s[0:3], 0 offset:544
	buffer_load_dword v103, off, s[0:3], 0 offset:548
	ds_read_b128 v[77:80], v1 offset:880
	s_waitcnt vmcnt(56) lgkmcnt(1)
	v_mul_f64 v[116:117], v[73:74], v[118:119]
	v_mul_f64 v[118:119], v[75:76], v[118:119]
	s_waitcnt vmcnt(54)
	v_fma_f64 v[114:115], v[81:82], v[120:121], -v[114:115]
	v_add_f64 v[89:90], v[89:90], v[110:111]
	v_fma_f64 v[110:111], v[83:84], v[120:121], v[152:153]
	v_add_f64 v[2:3], v[2:3], v[106:107]
	ds_read_b128 v[81:84], v1 offset:896
	s_waitcnt vmcnt(52) lgkmcnt(1)
	v_mul_f64 v[120:121], v[79:80], v[122:123]
	v_mul_f64 v[106:107], v[77:78], v[122:123]
	s_waitcnt vmcnt(50)
	v_fma_f64 v[118:119], v[73:74], v[124:125], -v[118:119]
	v_add_f64 v[89:90], v[89:90], v[114:115]
	v_fma_f64 v[114:115], v[75:76], v[124:125], v[116:117]
	v_add_f64 v[2:3], v[2:3], v[110:111]
	s_clause 0x3
	buffer_load_dword v110, off, s[0:3], 0 offset:176
	buffer_load_dword v111, off, s[0:3], 0 offset:180
	buffer_load_dword v116, off, s[0:3], 0 offset:184
	buffer_load_dword v117, off, s[0:3], 0 offset:188
	s_waitcnt vmcnt(52) lgkmcnt(0)
	v_mul_f64 v[124:125], v[83:84], v[126:127]
	s_waitcnt vmcnt(50)
	v_fma_f64 v[120:121], v[77:78], v[128:129], -v[120:121]
	ds_read_b128 v[73:76], v1 offset:912
	v_mul_f64 v[122:123], v[81:82], v[126:127]
	v_fma_f64 v[106:107], v[79:80], v[128:129], v[106:107]
	ds_read_b128 v[77:80], v1 offset:928
	v_add_f64 v[89:90], v[89:90], v[118:119]
	v_add_f64 v[2:3], v[2:3], v[114:115]
	s_waitcnt vmcnt(48) lgkmcnt(1)
	v_mul_f64 v[118:119], v[75:76], v[130:131]
	s_waitcnt vmcnt(46)
	v_fma_f64 v[124:125], v[81:82], v[132:133], -v[124:125]
	v_mul_f64 v[114:115], v[73:74], v[130:131]
	v_add_f64 v[89:90], v[89:90], v[120:121]
	v_fma_f64 v[120:121], v[83:84], v[132:133], v[122:123]
	v_add_f64 v[2:3], v[2:3], v[106:107]
	s_waitcnt vmcnt(44) lgkmcnt(0)
	v_mul_f64 v[122:123], v[79:80], v[134:135]
	s_waitcnt vmcnt(42)
	v_fma_f64 v[118:119], v[73:74], v[136:137], -v[118:119]
	ds_read_b128 v[81:84], v1 offset:944
	v_mul_f64 v[106:107], v[77:78], v[134:135]
	v_fma_f64 v[114:115], v[75:76], v[136:137], v[114:115]
	ds_read_b128 v[73:76], v1 offset:960
	v_add_f64 v[89:90], v[89:90], v[124:125]
	v_add_f64 v[2:3], v[2:3], v[120:121]
	s_waitcnt vmcnt(40) lgkmcnt(1)
	v_mul_f64 v[124:125], v[83:84], v[138:139]
	s_waitcnt vmcnt(38)
	v_fma_f64 v[122:123], v[77:78], v[140:141], -v[122:123]
	v_mul_f64 v[120:121], v[81:82], v[138:139]
	v_fma_f64 v[106:107], v[79:80], v[140:141], v[106:107]
	ds_read_b128 v[77:80], v1 offset:976
	v_add_f64 v[89:90], v[89:90], v[118:119]
	s_waitcnt vmcnt(36) lgkmcnt(1)
	v_mul_f64 v[118:119], v[75:76], v[144:145]
	v_add_f64 v[2:3], v[2:3], v[114:115]
	s_waitcnt vmcnt(34)
	v_fma_f64 v[124:125], v[81:82], v[146:147], -v[124:125]
	v_mul_f64 v[114:115], v[73:74], v[144:145]
	v_fma_f64 v[120:121], v[83:84], v[146:147], v[120:121]
	ds_read_b128 v[81:84], v1 offset:992
	v_add_f64 v[89:90], v[89:90], v[122:123]
	v_add_f64 v[2:3], v[2:3], v[106:107]
	s_waitcnt vmcnt(32) lgkmcnt(1)
	v_mul_f64 v[106:107], v[77:78], v[87:88]
	v_mul_f64 v[87:88], v[79:80], v[87:88]
	s_waitcnt vmcnt(30)
	v_fma_f64 v[118:119], v[73:74], v[150:151], -v[118:119]
	v_fma_f64 v[114:115], v[75:76], v[150:151], v[114:115]
	ds_read_b128 v[73:76], v1 offset:1008
	v_add_f64 v[89:90], v[89:90], v[124:125]
	v_add_f64 v[2:3], v[2:3], v[120:121]
	s_waitcnt vmcnt(28) lgkmcnt(1)
	v_mul_f64 v[120:121], v[81:82], v[91:92]
	v_mul_f64 v[91:92], v[83:84], v[91:92]
	s_waitcnt vmcnt(26)
	v_fma_f64 v[106:107], v[79:80], v[154:155], v[106:107]
	v_fma_f64 v[87:88], v[77:78], v[154:155], -v[87:88]
	ds_read_b128 v[77:80], v1 offset:1024
	v_add_f64 v[89:90], v[89:90], v[118:119]
	v_add_f64 v[2:3], v[2:3], v[114:115]
	s_waitcnt vmcnt(24) lgkmcnt(1)
	v_mul_f64 v[114:115], v[73:74], v[85:86]
	v_mul_f64 v[85:86], v[75:76], v[85:86]
	s_waitcnt vmcnt(22)
	v_fma_f64 v[91:92], v[81:82], v[148:149], -v[91:92]
	v_add_f64 v[87:88], v[89:90], v[87:88]
	v_fma_f64 v[89:90], v[83:84], v[148:149], v[120:121]
	v_add_f64 v[2:3], v[2:3], v[106:107]
	ds_read_b128 v[81:84], v1 offset:1040
	s_waitcnt vmcnt(20) lgkmcnt(1)
	v_mul_f64 v[106:107], v[77:78], v[95:96]
	v_mul_f64 v[95:96], v[79:80], v[95:96]
	s_waitcnt vmcnt(18)
	v_fma_f64 v[85:86], v[73:74], v[142:143], -v[85:86]
	v_add_f64 v[87:88], v[87:88], v[91:92]
	v_fma_f64 v[91:92], v[75:76], v[142:143], v[114:115]
	v_add_f64 v[2:3], v[2:3], v[89:90]
	ds_read_b128 v[73:76], v1 offset:1056
	;; [unrolled: 9-line block ×3, first 2 shown]
	s_waitcnt vmcnt(12) lgkmcnt(1)
	v_mul_f64 v[91:92], v[73:74], v[93:94]
	v_mul_f64 v[93:94], v[75:76], v[93:94]
	s_waitcnt vmcnt(10)
	v_fma_f64 v[81:82], v[81:82], v[108:109], -v[99:100]
	v_fma_f64 v[83:84], v[83:84], v[108:109], v[89:90]
	v_add_f64 v[85:86], v[85:86], v[95:96]
	v_add_f64 v[2:3], v[2:3], v[87:88]
	s_waitcnt vmcnt(8) lgkmcnt(0)
	v_mul_f64 v[89:90], v[79:80], v[97:98]
	v_mul_f64 v[87:88], v[77:78], v[97:98]
	s_waitcnt vmcnt(6)
	v_fma_f64 v[73:74], v[73:74], v[112:113], -v[93:94]
	v_fma_f64 v[75:76], v[75:76], v[112:113], v[91:92]
	v_add_f64 v[81:82], v[85:86], v[81:82]
	v_add_f64 v[2:3], v[2:3], v[83:84]
	s_waitcnt vmcnt(4)
	v_fma_f64 v[77:78], v[77:78], v[102:103], -v[89:90]
	v_fma_f64 v[79:80], v[79:80], v[102:103], v[87:88]
	v_add_f64 v[73:74], v[81:82], v[73:74]
	v_add_f64 v[2:3], v[2:3], v[75:76]
	;; [unrolled: 1-line block ×4, first 2 shown]
	s_waitcnt vmcnt(2)
	v_add_f64 v[73:74], v[110:111], -v[73:74]
	s_waitcnt vmcnt(0)
	v_add_f64 v[2:3], v[116:117], -v[2:3]
	buffer_store_dword v74, off, s[0:3], 0 offset:180
	buffer_store_dword v73, off, s[0:3], 0 offset:176
	;; [unrolled: 1-line block ×4, first 2 shown]
	v_cmpx_lt_u32_e32 9, v0
	s_cbranch_execz .LBB97_199
; %bb.198:
	v_mov_b32_e32 v2, s37
	s_clause 0x3
	buffer_load_dword v73, v2, s[0:3], 0 offen
	buffer_load_dword v74, v2, s[0:3], 0 offen offset:4
	buffer_load_dword v75, v2, s[0:3], 0 offen offset:8
	;; [unrolled: 1-line block ×3, first 2 shown]
	buffer_store_dword v1, off, s[0:3], 0 offset:160
	buffer_store_dword v1, off, s[0:3], 0 offset:164
	;; [unrolled: 1-line block ×4, first 2 shown]
	s_waitcnt vmcnt(0)
	ds_write_b128 v101, v[73:76]
.LBB97_199:
	s_or_b32 exec_lo, exec_lo, s4
	s_waitcnt lgkmcnt(0)
	s_waitcnt_vscnt null, 0x0
	s_barrier
	buffer_gl0_inv
	s_clause 0x35
	buffer_load_dword v2, off, s[0:3], 0 offset:184
	buffer_load_dword v3, off, s[0:3], 0 offset:188
	;; [unrolled: 1-line block ×54, first 2 shown]
	ds_read_b128 v[73:76], v1 offset:704
	s_clause 0x3
	buffer_load_dword v138, off, s[0:3], 0 offset:408
	buffer_load_dword v139, off, s[0:3], 0 offset:412
	buffer_load_dword v141, off, s[0:3], 0 offset:388
	buffer_load_dword v140, off, s[0:3], 0 offset:384
	ds_read_b128 v[77:80], v1 offset:720
	s_clause 0x3
	buffer_load_dword v145, off, s[0:3], 0 offset:428
	buffer_load_dword v144, off, s[0:3], 0 offset:424
	;; [unrolled: 1-line block ×4, first 2 shown]
	ds_read_b128 v[81:84], v1 offset:736
	s_mov_b32 s4, exec_lo
	s_waitcnt vmcnt(60) lgkmcnt(2)
	v_mul_f64 v[142:143], v[75:76], v[2:3]
	v_mul_f64 v[2:3], v[73:74], v[2:3]
	s_waitcnt vmcnt(58) lgkmcnt(1)
	v_mul_f64 v[148:149], v[79:80], v[85:86]
	v_mul_f64 v[85:86], v[77:78], v[85:86]
	;; [unrolled: 3-line block ×3, first 2 shown]
	v_fma_f64 v[142:143], v[73:74], v[87:88], -v[142:143]
	v_fma_f64 v[2:3], v[75:76], v[87:88], v[2:3]
	s_clause 0x3
	buffer_load_dword v87, off, s[0:3], 0 offset:440
	buffer_load_dword v88, off, s[0:3], 0 offset:444
	;; [unrolled: 1-line block ×4, first 2 shown]
	s_waitcnt vmcnt(56)
	v_fma_f64 v[148:149], v[77:78], v[91:92], -v[148:149]
	ds_read_b128 v[73:76], v1 offset:752
	v_fma_f64 v[85:86], v[79:80], v[91:92], v[85:86]
	s_clause 0x3
	buffer_load_dword v92, off, s[0:3], 0 offset:460
	buffer_load_dword v91, off, s[0:3], 0 offset:456
	;; [unrolled: 1-line block ×4, first 2 shown]
	s_waitcnt vmcnt(56)
	v_fma_f64 v[89:90], v[81:82], v[95:96], -v[89:90]
	ds_read_b128 v[77:80], v1 offset:768
	v_fma_f64 v[95:96], v[83:84], v[95:96], v[152:153]
	v_add_f64 v[142:143], v[142:143], 0
	v_add_f64 v[2:3], v[2:3], 0
	s_waitcnt lgkmcnt(1)
	v_mul_f64 v[156:157], v[73:74], v[93:94]
	v_mul_f64 v[93:94], v[75:76], v[93:94]
	s_waitcnt vmcnt(54) lgkmcnt(0)
	v_mul_f64 v[152:153], v[77:78], v[97:98]
	v_mul_f64 v[97:98], v[79:80], v[97:98]
	v_add_f64 v[142:143], v[142:143], v[148:149]
	v_add_f64 v[2:3], v[2:3], v[85:86]
	s_clause 0x3
	buffer_load_dword v85, off, s[0:3], 0 offset:472
	buffer_load_dword v86, off, s[0:3], 0 offset:476
	;; [unrolled: 1-line block ×4, first 2 shown]
	s_waitcnt vmcnt(56)
	v_fma_f64 v[93:94], v[73:74], v[99:100], -v[93:94]
	ds_read_b128 v[81:84], v1 offset:784
	v_fma_f64 v[99:100], v[75:76], v[99:100], v[156:157]
	s_waitcnt vmcnt(52)
	v_fma_f64 v[97:98], v[77:78], v[104:105], -v[97:98]
	v_add_f64 v[89:90], v[142:143], v[89:90]
	v_add_f64 v[2:3], v[2:3], v[95:96]
	s_clause 0x3
	buffer_load_dword v96, off, s[0:3], 0 offset:492
	buffer_load_dword v95, off, s[0:3], 0 offset:488
	;; [unrolled: 1-line block ×4, first 2 shown]
	s_waitcnt lgkmcnt(0)
	v_mul_f64 v[156:157], v[81:82], v[102:103]
	v_mul_f64 v[102:103], v[83:84], v[102:103]
	ds_read_b128 v[73:76], v1 offset:800
	v_add_f64 v[89:90], v[89:90], v[93:94]
	v_fma_f64 v[93:94], v[79:80], v[104:105], v[152:153]
	v_add_f64 v[2:3], v[2:3], v[99:100]
	s_clause 0x3
	buffer_load_dword v99, off, s[0:3], 0 offset:504
	buffer_load_dword v100, off, s[0:3], 0 offset:508
	;; [unrolled: 1-line block ×4, first 2 shown]
	s_waitcnt vmcnt(58) lgkmcnt(0)
	v_mul_f64 v[152:153], v[73:74], v[106:107]
	v_mul_f64 v[106:107], v[75:76], v[106:107]
	s_waitcnt vmcnt(56)
	v_fma_f64 v[102:103], v[81:82], v[108:109], -v[102:103]
	ds_read_b128 v[77:80], v1 offset:816
	v_add_f64 v[89:90], v[89:90], v[97:98]
	v_fma_f64 v[97:98], v[83:84], v[108:109], v[156:157]
	v_add_f64 v[2:3], v[2:3], v[93:94]
	s_clause 0x3
	buffer_load_dword v94, off, s[0:3], 0 offset:524
	buffer_load_dword v93, off, s[0:3], 0 offset:520
	;; [unrolled: 1-line block ×4, first 2 shown]
	ds_read_b128 v[81:84], v1 offset:832
	s_waitcnt vmcnt(58) lgkmcnt(1)
	v_mul_f64 v[156:157], v[77:78], v[110:111]
	v_mul_f64 v[110:111], v[79:80], v[110:111]
	s_waitcnt vmcnt(56)
	v_fma_f64 v[106:107], v[73:74], v[112:113], -v[106:107]
	v_add_f64 v[89:90], v[89:90], v[102:103]
	v_fma_f64 v[102:103], v[75:76], v[112:113], v[152:153]
	v_add_f64 v[2:3], v[2:3], v[97:98]
	s_clause 0x3
	buffer_load_dword v97, off, s[0:3], 0 offset:536
	buffer_load_dword v98, off, s[0:3], 0 offset:540
	;; [unrolled: 1-line block ×4, first 2 shown]
	s_waitcnt vmcnt(58) lgkmcnt(0)
	v_mul_f64 v[152:153], v[81:82], v[114:115]
	v_mul_f64 v[114:115], v[83:84], v[114:115]
	s_waitcnt vmcnt(56)
	v_fma_f64 v[110:111], v[77:78], v[116:117], -v[110:111]
	ds_read_b128 v[73:76], v1 offset:848
	v_add_f64 v[89:90], v[89:90], v[106:107]
	v_fma_f64 v[106:107], v[79:80], v[116:117], v[156:157]
	v_add_f64 v[2:3], v[2:3], v[102:103]
	s_clause 0x3
	buffer_load_dword v103, off, s[0:3], 0 offset:556
	buffer_load_dword v102, off, s[0:3], 0 offset:552
	buffer_load_dword v116, off, s[0:3], 0 offset:528
	buffer_load_dword v117, off, s[0:3], 0 offset:532
	ds_read_b128 v[77:80], v1 offset:864
	s_waitcnt vmcnt(58) lgkmcnt(1)
	v_mul_f64 v[156:157], v[73:74], v[118:119]
	v_mul_f64 v[118:119], v[75:76], v[118:119]
	s_waitcnt vmcnt(56)
	v_fma_f64 v[114:115], v[81:82], v[120:121], -v[114:115]
	v_add_f64 v[89:90], v[89:90], v[110:111]
	v_fma_f64 v[110:111], v[83:84], v[120:121], v[152:153]
	v_add_f64 v[2:3], v[2:3], v[106:107]
	s_clause 0x1
	buffer_load_dword v107, off, s[0:3], 0 offset:548
	buffer_load_dword v106, off, s[0:3], 0 offset:544
	s_waitcnt vmcnt(56) lgkmcnt(0)
	v_mul_f64 v[120:121], v[77:78], v[122:123]
	v_mul_f64 v[122:123], v[79:80], v[122:123]
	s_waitcnt vmcnt(54)
	v_fma_f64 v[118:119], v[73:74], v[124:125], -v[118:119]
	ds_read_b128 v[81:84], v1 offset:880
	v_add_f64 v[89:90], v[89:90], v[114:115]
	v_fma_f64 v[114:115], v[75:76], v[124:125], v[156:157]
	v_add_f64 v[2:3], v[2:3], v[110:111]
	ds_read_b128 v[73:76], v1 offset:896
	s_waitcnt vmcnt(52) lgkmcnt(1)
	v_mul_f64 v[124:125], v[83:84], v[126:127]
	s_waitcnt vmcnt(50)
	v_fma_f64 v[122:123], v[77:78], v[128:129], -v[122:123]
	v_mul_f64 v[110:111], v[81:82], v[126:127]
	v_add_f64 v[89:90], v[89:90], v[118:119]
	v_fma_f64 v[118:119], v[79:80], v[128:129], v[120:121]
	v_add_f64 v[2:3], v[2:3], v[114:115]
	s_clause 0x3
	buffer_load_dword v114, off, s[0:3], 0 offset:160
	buffer_load_dword v115, off, s[0:3], 0 offset:164
	;; [unrolled: 1-line block ×4, first 2 shown]
	s_waitcnt vmcnt(52) lgkmcnt(0)
	v_mul_f64 v[128:129], v[75:76], v[130:131]
	s_waitcnt vmcnt(50)
	v_fma_f64 v[124:125], v[81:82], v[132:133], -v[124:125]
	ds_read_b128 v[77:80], v1 offset:912
	v_mul_f64 v[126:127], v[73:74], v[130:131]
	v_fma_f64 v[110:111], v[83:84], v[132:133], v[110:111]
	ds_read_b128 v[81:84], v1 offset:928
	v_add_f64 v[89:90], v[89:90], v[122:123]
	v_add_f64 v[2:3], v[2:3], v[118:119]
	s_waitcnt vmcnt(48) lgkmcnt(1)
	v_mul_f64 v[122:123], v[79:80], v[134:135]
	s_waitcnt vmcnt(46)
	v_fma_f64 v[128:129], v[73:74], v[136:137], -v[128:129]
	v_mul_f64 v[118:119], v[77:78], v[134:135]
	v_add_f64 v[89:90], v[89:90], v[124:125]
	v_fma_f64 v[124:125], v[75:76], v[136:137], v[126:127]
	v_add_f64 v[2:3], v[2:3], v[110:111]
	s_waitcnt vmcnt(44) lgkmcnt(0)
	v_mul_f64 v[126:127], v[83:84], v[138:139]
	s_waitcnt vmcnt(42)
	v_fma_f64 v[122:123], v[77:78], v[140:141], -v[122:123]
	ds_read_b128 v[73:76], v1 offset:944
	v_mul_f64 v[110:111], v[81:82], v[138:139]
	v_fma_f64 v[118:119], v[79:80], v[140:141], v[118:119]
	ds_read_b128 v[77:80], v1 offset:960
	v_add_f64 v[89:90], v[89:90], v[128:129]
	v_add_f64 v[2:3], v[2:3], v[124:125]
	s_waitcnt vmcnt(40) lgkmcnt(1)
	v_mul_f64 v[128:129], v[75:76], v[144:145]
	s_waitcnt vmcnt(38)
	v_fma_f64 v[126:127], v[81:82], v[146:147], -v[126:127]
	v_mul_f64 v[124:125], v[73:74], v[144:145]
	v_fma_f64 v[110:111], v[83:84], v[146:147], v[110:111]
	ds_read_b128 v[81:84], v1 offset:976
	v_add_f64 v[89:90], v[89:90], v[122:123]
	v_add_f64 v[2:3], v[2:3], v[118:119]
	s_waitcnt vmcnt(36) lgkmcnt(1)
	v_mul_f64 v[118:119], v[77:78], v[87:88]
	v_mul_f64 v[87:88], v[79:80], v[87:88]
	s_waitcnt vmcnt(34)
	v_fma_f64 v[122:123], v[73:74], v[150:151], -v[128:129]
	v_fma_f64 v[124:125], v[75:76], v[150:151], v[124:125]
	ds_read_b128 v[73:76], v1 offset:992
	v_add_f64 v[89:90], v[89:90], v[126:127]
	v_add_f64 v[2:3], v[2:3], v[110:111]
	s_waitcnt vmcnt(32) lgkmcnt(1)
	v_mul_f64 v[110:111], v[81:82], v[91:92]
	v_mul_f64 v[91:92], v[83:84], v[91:92]
	s_waitcnt vmcnt(30)
	v_fma_f64 v[118:119], v[79:80], v[154:155], v[118:119]
	v_fma_f64 v[87:88], v[77:78], v[154:155], -v[87:88]
	ds_read_b128 v[77:80], v1 offset:1008
	v_add_f64 v[89:90], v[89:90], v[122:123]
	v_add_f64 v[2:3], v[2:3], v[124:125]
	s_waitcnt vmcnt(28) lgkmcnt(1)
	v_mul_f64 v[122:123], v[73:74], v[85:86]
	v_mul_f64 v[85:86], v[75:76], v[85:86]
	s_waitcnt vmcnt(26)
	v_fma_f64 v[91:92], v[81:82], v[148:149], -v[91:92]
	v_add_f64 v[87:88], v[89:90], v[87:88]
	v_fma_f64 v[89:90], v[83:84], v[148:149], v[110:111]
	v_add_f64 v[2:3], v[2:3], v[118:119]
	ds_read_b128 v[81:84], v1 offset:1024
	s_waitcnt vmcnt(24) lgkmcnt(1)
	v_mul_f64 v[110:111], v[77:78], v[95:96]
	v_mul_f64 v[95:96], v[79:80], v[95:96]
	s_waitcnt vmcnt(22)
	v_fma_f64 v[85:86], v[73:74], v[142:143], -v[85:86]
	v_add_f64 v[87:88], v[87:88], v[91:92]
	v_fma_f64 v[91:92], v[75:76], v[142:143], v[122:123]
	v_add_f64 v[2:3], v[2:3], v[89:90]
	ds_read_b128 v[73:76], v1 offset:1040
	s_waitcnt vmcnt(20) lgkmcnt(1)
	v_mul_f64 v[89:90], v[81:82], v[99:100]
	v_mul_f64 v[99:100], v[83:84], v[99:100]
	s_waitcnt vmcnt(18)
	v_fma_f64 v[95:96], v[77:78], v[104:105], -v[95:96]
	v_add_f64 v[85:86], v[87:88], v[85:86]
	v_fma_f64 v[87:88], v[79:80], v[104:105], v[110:111]
	v_add_f64 v[2:3], v[2:3], v[91:92]
	ds_read_b128 v[77:80], v1 offset:1056
	s_waitcnt vmcnt(16) lgkmcnt(1)
	v_mul_f64 v[91:92], v[73:74], v[93:94]
	v_mul_f64 v[93:94], v[75:76], v[93:94]
	s_waitcnt vmcnt(14)
	v_fma_f64 v[81:82], v[81:82], v[108:109], -v[99:100]
	v_fma_f64 v[83:84], v[83:84], v[108:109], v[89:90]
	v_add_f64 v[85:86], v[85:86], v[95:96]
	v_add_f64 v[87:88], v[2:3], v[87:88]
	ds_read_b128 v[1:4], v1 offset:1072
	s_waitcnt vmcnt(12) lgkmcnt(1)
	v_mul_f64 v[95:96], v[79:80], v[97:98]
	v_mul_f64 v[89:90], v[77:78], v[97:98]
	s_waitcnt vmcnt(10)
	v_fma_f64 v[73:74], v[73:74], v[112:113], -v[93:94]
	v_fma_f64 v[75:76], v[75:76], v[112:113], v[91:92]
	v_add_f64 v[81:82], v[85:86], v[81:82]
	v_add_f64 v[83:84], v[87:88], v[83:84]
	s_waitcnt vmcnt(8) lgkmcnt(0)
	v_mul_f64 v[87:88], v[3:4], v[102:103]
	v_mul_f64 v[85:86], v[1:2], v[102:103]
	s_waitcnt vmcnt(6)
	v_fma_f64 v[77:78], v[77:78], v[116:117], -v[95:96]
	v_fma_f64 v[79:80], v[79:80], v[116:117], v[89:90]
	v_add_f64 v[73:74], v[81:82], v[73:74]
	v_add_f64 v[75:76], v[83:84], v[75:76]
	s_waitcnt vmcnt(4)
	v_fma_f64 v[1:2], v[1:2], v[106:107], -v[87:88]
	v_fma_f64 v[3:4], v[3:4], v[106:107], v[85:86]
	v_add_f64 v[73:74], v[73:74], v[77:78]
	v_add_f64 v[75:76], v[75:76], v[79:80]
	;; [unrolled: 1-line block ×4, first 2 shown]
	s_waitcnt vmcnt(2)
	v_add_f64 v[1:2], v[114:115], -v[1:2]
	s_waitcnt vmcnt(0)
	v_add_f64 v[3:4], v[120:121], -v[3:4]
	buffer_store_dword v2, off, s[0:3], 0 offset:164
	buffer_store_dword v1, off, s[0:3], 0 offset:160
	;; [unrolled: 1-line block ×4, first 2 shown]
	v_cmpx_lt_u32_e32 8, v0
	s_cbranch_execz .LBB97_201
; %bb.200:
	v_mov_b32_e32 v4, s38
	v_mov_b32_e32 v73, 0
	s_clause 0x3
	buffer_load_dword v1, v4, s[0:3], 0 offen
	buffer_load_dword v2, v4, s[0:3], 0 offen offset:4
	buffer_load_dword v3, v4, s[0:3], 0 offen offset:8
	;; [unrolled: 1-line block ×3, first 2 shown]
	buffer_store_dword v73, off, s[0:3], 0 offset:144
	buffer_store_dword v73, off, s[0:3], 0 offset:148
	;; [unrolled: 1-line block ×4, first 2 shown]
	s_waitcnt vmcnt(0)
	ds_write_b128 v101, v[1:4]
.LBB97_201:
	s_or_b32 exec_lo, exec_lo, s4
	s_waitcnt lgkmcnt(0)
	s_waitcnt_vscnt null, 0x0
	s_barrier
	buffer_gl0_inv
	s_clause 0x35
	buffer_load_dword v2, off, s[0:3], 0 offset:168
	buffer_load_dword v3, off, s[0:3], 0 offset:172
	;; [unrolled: 1-line block ×54, first 2 shown]
	v_mov_b32_e32 v1, 0
	s_mov_b32 s4, exec_lo
	ds_read_b128 v[73:76], v1 offset:688
	s_clause 0x3
	buffer_load_dword v138, off, s[0:3], 0 offset:392
	buffer_load_dword v139, off, s[0:3], 0 offset:396
	;; [unrolled: 1-line block ×4, first 2 shown]
	ds_read_b128 v[77:80], v1 offset:704
	s_clause 0x3
	buffer_load_dword v145, off, s[0:3], 0 offset:412
	buffer_load_dword v144, off, s[0:3], 0 offset:408
	;; [unrolled: 1-line block ×4, first 2 shown]
	ds_read_b128 v[81:84], v1 offset:720
	s_waitcnt vmcnt(60) lgkmcnt(2)
	v_mul_f64 v[142:143], v[75:76], v[2:3]
	v_mul_f64 v[2:3], v[73:74], v[2:3]
	s_waitcnt vmcnt(58) lgkmcnt(1)
	v_mul_f64 v[148:149], v[79:80], v[85:86]
	v_mul_f64 v[85:86], v[77:78], v[85:86]
	s_waitcnt vmcnt(54) lgkmcnt(0)
	v_mul_f64 v[152:153], v[81:82], v[89:90]
	v_mul_f64 v[89:90], v[83:84], v[89:90]
	v_fma_f64 v[142:143], v[73:74], v[87:88], -v[142:143]
	v_fma_f64 v[2:3], v[75:76], v[87:88], v[2:3]
	s_clause 0x3
	buffer_load_dword v87, off, s[0:3], 0 offset:424
	buffer_load_dword v88, off, s[0:3], 0 offset:428
	;; [unrolled: 1-line block ×4, first 2 shown]
	s_waitcnt vmcnt(56)
	v_fma_f64 v[148:149], v[77:78], v[91:92], -v[148:149]
	ds_read_b128 v[73:76], v1 offset:736
	v_fma_f64 v[85:86], v[79:80], v[91:92], v[85:86]
	s_clause 0x3
	buffer_load_dword v92, off, s[0:3], 0 offset:444
	buffer_load_dword v91, off, s[0:3], 0 offset:440
	;; [unrolled: 1-line block ×4, first 2 shown]
	s_waitcnt vmcnt(56)
	v_fma_f64 v[89:90], v[81:82], v[95:96], -v[89:90]
	ds_read_b128 v[77:80], v1 offset:752
	v_fma_f64 v[95:96], v[83:84], v[95:96], v[152:153]
	v_add_f64 v[142:143], v[142:143], 0
	v_add_f64 v[2:3], v[2:3], 0
	s_waitcnt lgkmcnt(1)
	v_mul_f64 v[156:157], v[73:74], v[93:94]
	v_mul_f64 v[93:94], v[75:76], v[93:94]
	s_waitcnt vmcnt(54) lgkmcnt(0)
	v_mul_f64 v[152:153], v[77:78], v[97:98]
	v_mul_f64 v[97:98], v[79:80], v[97:98]
	v_add_f64 v[142:143], v[142:143], v[148:149]
	v_add_f64 v[2:3], v[2:3], v[85:86]
	s_clause 0x3
	buffer_load_dword v85, off, s[0:3], 0 offset:456
	buffer_load_dword v86, off, s[0:3], 0 offset:460
	;; [unrolled: 1-line block ×4, first 2 shown]
	s_waitcnt vmcnt(56)
	v_fma_f64 v[93:94], v[73:74], v[99:100], -v[93:94]
	ds_read_b128 v[81:84], v1 offset:768
	v_fma_f64 v[99:100], v[75:76], v[99:100], v[156:157]
	s_waitcnt vmcnt(52)
	v_fma_f64 v[97:98], v[77:78], v[104:105], -v[97:98]
	v_add_f64 v[89:90], v[142:143], v[89:90]
	v_add_f64 v[2:3], v[2:3], v[95:96]
	s_clause 0x3
	buffer_load_dword v96, off, s[0:3], 0 offset:476
	buffer_load_dword v95, off, s[0:3], 0 offset:472
	;; [unrolled: 1-line block ×4, first 2 shown]
	s_waitcnt lgkmcnt(0)
	v_mul_f64 v[156:157], v[81:82], v[102:103]
	v_mul_f64 v[102:103], v[83:84], v[102:103]
	ds_read_b128 v[73:76], v1 offset:784
	v_add_f64 v[89:90], v[89:90], v[93:94]
	v_fma_f64 v[93:94], v[79:80], v[104:105], v[152:153]
	v_add_f64 v[2:3], v[2:3], v[99:100]
	s_clause 0x3
	buffer_load_dword v99, off, s[0:3], 0 offset:488
	buffer_load_dword v100, off, s[0:3], 0 offset:492
	;; [unrolled: 1-line block ×4, first 2 shown]
	s_waitcnt vmcnt(58) lgkmcnt(0)
	v_mul_f64 v[152:153], v[73:74], v[106:107]
	v_mul_f64 v[106:107], v[75:76], v[106:107]
	s_waitcnt vmcnt(56)
	v_fma_f64 v[102:103], v[81:82], v[108:109], -v[102:103]
	ds_read_b128 v[77:80], v1 offset:800
	v_add_f64 v[89:90], v[89:90], v[97:98]
	v_fma_f64 v[97:98], v[83:84], v[108:109], v[156:157]
	v_add_f64 v[2:3], v[2:3], v[93:94]
	s_clause 0x3
	buffer_load_dword v94, off, s[0:3], 0 offset:508
	buffer_load_dword v93, off, s[0:3], 0 offset:504
	;; [unrolled: 1-line block ×4, first 2 shown]
	ds_read_b128 v[81:84], v1 offset:816
	s_waitcnt vmcnt(58) lgkmcnt(1)
	v_mul_f64 v[156:157], v[77:78], v[110:111]
	v_mul_f64 v[110:111], v[79:80], v[110:111]
	s_waitcnt vmcnt(56)
	v_fma_f64 v[106:107], v[73:74], v[112:113], -v[106:107]
	v_add_f64 v[89:90], v[89:90], v[102:103]
	v_fma_f64 v[102:103], v[75:76], v[112:113], v[152:153]
	v_add_f64 v[2:3], v[2:3], v[97:98]
	s_clause 0x3
	buffer_load_dword v97, off, s[0:3], 0 offset:520
	buffer_load_dword v98, off, s[0:3], 0 offset:524
	;; [unrolled: 1-line block ×4, first 2 shown]
	s_waitcnt vmcnt(58) lgkmcnt(0)
	v_mul_f64 v[152:153], v[81:82], v[114:115]
	v_mul_f64 v[114:115], v[83:84], v[114:115]
	s_waitcnt vmcnt(56)
	v_fma_f64 v[110:111], v[77:78], v[116:117], -v[110:111]
	ds_read_b128 v[73:76], v1 offset:832
	v_add_f64 v[89:90], v[89:90], v[106:107]
	v_fma_f64 v[106:107], v[79:80], v[116:117], v[156:157]
	v_add_f64 v[2:3], v[2:3], v[102:103]
	s_clause 0x3
	buffer_load_dword v103, off, s[0:3], 0 offset:540
	buffer_load_dword v102, off, s[0:3], 0 offset:536
	;; [unrolled: 1-line block ×4, first 2 shown]
	ds_read_b128 v[77:80], v1 offset:848
	s_waitcnt vmcnt(58) lgkmcnt(1)
	v_mul_f64 v[156:157], v[73:74], v[118:119]
	v_mul_f64 v[118:119], v[75:76], v[118:119]
	s_waitcnt vmcnt(56)
	v_fma_f64 v[114:115], v[81:82], v[120:121], -v[114:115]
	v_add_f64 v[89:90], v[89:90], v[110:111]
	v_fma_f64 v[110:111], v[83:84], v[120:121], v[152:153]
	v_add_f64 v[2:3], v[2:3], v[106:107]
	s_clause 0x3
	buffer_load_dword v106, off, s[0:3], 0 offset:552
	buffer_load_dword v107, off, s[0:3], 0 offset:556
	;; [unrolled: 1-line block ×4, first 2 shown]
	s_waitcnt vmcnt(58) lgkmcnt(0)
	v_mul_f64 v[152:153], v[77:78], v[122:123]
	v_mul_f64 v[122:123], v[79:80], v[122:123]
	s_waitcnt vmcnt(56)
	v_fma_f64 v[118:119], v[73:74], v[124:125], -v[118:119]
	ds_read_b128 v[81:84], v1 offset:864
	v_add_f64 v[89:90], v[89:90], v[114:115]
	v_fma_f64 v[114:115], v[75:76], v[124:125], v[156:157]
	v_add_f64 v[2:3], v[2:3], v[110:111]
	s_clause 0x1
	buffer_load_dword v110, off, s[0:3], 0 offset:544
	buffer_load_dword v111, off, s[0:3], 0 offset:548
	ds_read_b128 v[73:76], v1 offset:880
	s_waitcnt vmcnt(56) lgkmcnt(1)
	v_mul_f64 v[124:125], v[81:82], v[126:127]
	v_mul_f64 v[126:127], v[83:84], v[126:127]
	s_waitcnt vmcnt(54)
	v_fma_f64 v[122:123], v[77:78], v[128:129], -v[122:123]
	v_add_f64 v[89:90], v[89:90], v[118:119]
	v_fma_f64 v[118:119], v[79:80], v[128:129], v[152:153]
	v_add_f64 v[2:3], v[2:3], v[114:115]
	ds_read_b128 v[77:80], v1 offset:896
	s_waitcnt vmcnt(52) lgkmcnt(1)
	v_mul_f64 v[128:129], v[75:76], v[130:131]
	v_mul_f64 v[114:115], v[73:74], v[130:131]
	s_waitcnt vmcnt(50)
	v_fma_f64 v[126:127], v[81:82], v[132:133], -v[126:127]
	v_add_f64 v[89:90], v[89:90], v[122:123]
	v_fma_f64 v[122:123], v[83:84], v[132:133], v[124:125]
	v_add_f64 v[2:3], v[2:3], v[118:119]
	s_clause 0x3
	buffer_load_dword v118, off, s[0:3], 0 offset:144
	buffer_load_dword v119, off, s[0:3], 0 offset:148
	buffer_load_dword v124, off, s[0:3], 0 offset:152
	buffer_load_dword v125, off, s[0:3], 0 offset:156
	s_waitcnt vmcnt(52) lgkmcnt(0)
	v_mul_f64 v[132:133], v[79:80], v[134:135]
	s_waitcnt vmcnt(50)
	v_fma_f64 v[128:129], v[73:74], v[136:137], -v[128:129]
	ds_read_b128 v[81:84], v1 offset:912
	v_mul_f64 v[130:131], v[77:78], v[134:135]
	v_fma_f64 v[114:115], v[75:76], v[136:137], v[114:115]
	ds_read_b128 v[73:76], v1 offset:928
	v_add_f64 v[89:90], v[89:90], v[126:127]
	v_add_f64 v[2:3], v[2:3], v[122:123]
	s_waitcnt vmcnt(48) lgkmcnt(1)
	v_mul_f64 v[126:127], v[83:84], v[138:139]
	s_waitcnt vmcnt(46)
	v_fma_f64 v[132:133], v[77:78], v[140:141], -v[132:133]
	v_mul_f64 v[122:123], v[81:82], v[138:139]
	v_add_f64 v[89:90], v[89:90], v[128:129]
	v_fma_f64 v[128:129], v[79:80], v[140:141], v[130:131]
	v_add_f64 v[2:3], v[2:3], v[114:115]
	s_waitcnt vmcnt(44) lgkmcnt(0)
	v_mul_f64 v[130:131], v[75:76], v[144:145]
	s_waitcnt vmcnt(42)
	v_fma_f64 v[126:127], v[81:82], v[146:147], -v[126:127]
	ds_read_b128 v[77:80], v1 offset:944
	v_mul_f64 v[114:115], v[73:74], v[144:145]
	v_fma_f64 v[122:123], v[83:84], v[146:147], v[122:123]
	ds_read_b128 v[81:84], v1 offset:960
	v_add_f64 v[89:90], v[89:90], v[132:133]
	v_add_f64 v[2:3], v[2:3], v[128:129]
	s_waitcnt vmcnt(40) lgkmcnt(1)
	v_mul_f64 v[128:129], v[77:78], v[87:88]
	v_mul_f64 v[87:88], v[79:80], v[87:88]
	s_waitcnt vmcnt(38)
	v_fma_f64 v[130:131], v[73:74], v[150:151], -v[130:131]
	v_fma_f64 v[114:115], v[75:76], v[150:151], v[114:115]
	ds_read_b128 v[73:76], v1 offset:976
	v_add_f64 v[89:90], v[89:90], v[126:127]
	v_add_f64 v[2:3], v[2:3], v[122:123]
	s_waitcnt vmcnt(36) lgkmcnt(1)
	v_mul_f64 v[122:123], v[81:82], v[91:92]
	v_mul_f64 v[91:92], v[83:84], v[91:92]
	s_waitcnt vmcnt(34)
	v_fma_f64 v[126:127], v[79:80], v[154:155], v[128:129]
	v_fma_f64 v[87:88], v[77:78], v[154:155], -v[87:88]
	ds_read_b128 v[77:80], v1 offset:992
	v_add_f64 v[89:90], v[89:90], v[130:131]
	v_add_f64 v[2:3], v[2:3], v[114:115]
	s_waitcnt vmcnt(32) lgkmcnt(1)
	v_mul_f64 v[114:115], v[73:74], v[85:86]
	v_mul_f64 v[85:86], v[75:76], v[85:86]
	s_waitcnt vmcnt(30)
	v_fma_f64 v[91:92], v[81:82], v[148:149], -v[91:92]
	v_add_f64 v[87:88], v[89:90], v[87:88]
	v_fma_f64 v[89:90], v[83:84], v[148:149], v[122:123]
	v_add_f64 v[2:3], v[2:3], v[126:127]
	ds_read_b128 v[81:84], v1 offset:1008
	s_waitcnt vmcnt(28) lgkmcnt(1)
	v_mul_f64 v[122:123], v[77:78], v[95:96]
	v_mul_f64 v[95:96], v[79:80], v[95:96]
	s_waitcnt vmcnt(26)
	v_fma_f64 v[85:86], v[73:74], v[142:143], -v[85:86]
	v_add_f64 v[87:88], v[87:88], v[91:92]
	v_fma_f64 v[91:92], v[75:76], v[142:143], v[114:115]
	v_add_f64 v[2:3], v[2:3], v[89:90]
	ds_read_b128 v[73:76], v1 offset:1024
	;; [unrolled: 9-line block ×3, first 2 shown]
	s_waitcnt vmcnt(20) lgkmcnt(1)
	v_mul_f64 v[91:92], v[73:74], v[93:94]
	v_mul_f64 v[93:94], v[75:76], v[93:94]
	s_waitcnt vmcnt(18)
	v_fma_f64 v[99:100], v[81:82], v[108:109], -v[99:100]
	v_fma_f64 v[89:90], v[83:84], v[108:109], v[89:90]
	ds_read_b128 v[81:84], v1 offset:1056
	v_add_f64 v[85:86], v[85:86], v[95:96]
	v_add_f64 v[2:3], v[2:3], v[87:88]
	s_waitcnt vmcnt(16) lgkmcnt(1)
	v_mul_f64 v[95:96], v[79:80], v[97:98]
	v_mul_f64 v[87:88], v[77:78], v[97:98]
	s_waitcnt vmcnt(14)
	v_fma_f64 v[93:94], v[73:74], v[112:113], -v[93:94]
	v_fma_f64 v[91:92], v[75:76], v[112:113], v[91:92]
	ds_read_b128 v[73:76], v1 offset:1072
	v_add_f64 v[85:86], v[85:86], v[99:100]
	v_add_f64 v[2:3], v[2:3], v[89:90]
	s_waitcnt vmcnt(12) lgkmcnt(1)
	v_mul_f64 v[97:98], v[83:84], v[102:103]
	v_mul_f64 v[89:90], v[81:82], v[102:103]
	s_waitcnt vmcnt(10)
	v_fma_f64 v[77:78], v[77:78], v[116:117], -v[95:96]
	v_fma_f64 v[79:80], v[79:80], v[116:117], v[87:88]
	v_add_f64 v[85:86], v[85:86], v[93:94]
	v_add_f64 v[2:3], v[2:3], v[91:92]
	s_waitcnt vmcnt(8) lgkmcnt(0)
	v_mul_f64 v[91:92], v[75:76], v[106:107]
	v_mul_f64 v[87:88], v[73:74], v[106:107]
	s_waitcnt vmcnt(6)
	v_fma_f64 v[81:82], v[81:82], v[120:121], -v[97:98]
	v_fma_f64 v[83:84], v[83:84], v[120:121], v[89:90]
	v_add_f64 v[77:78], v[85:86], v[77:78]
	v_add_f64 v[2:3], v[2:3], v[79:80]
	s_waitcnt vmcnt(4)
	v_fma_f64 v[73:74], v[73:74], v[110:111], -v[91:92]
	v_fma_f64 v[75:76], v[75:76], v[110:111], v[87:88]
	v_add_f64 v[77:78], v[77:78], v[81:82]
	v_add_f64 v[2:3], v[2:3], v[83:84]
	;; [unrolled: 1-line block ×4, first 2 shown]
	s_waitcnt vmcnt(2)
	v_add_f64 v[73:74], v[118:119], -v[73:74]
	s_waitcnt vmcnt(0)
	v_add_f64 v[2:3], v[124:125], -v[2:3]
	buffer_store_dword v74, off, s[0:3], 0 offset:148
	buffer_store_dword v73, off, s[0:3], 0 offset:144
	;; [unrolled: 1-line block ×4, first 2 shown]
	v_cmpx_lt_u32_e32 7, v0
	s_cbranch_execz .LBB97_203
; %bb.202:
	v_mov_b32_e32 v2, s39
	s_clause 0x3
	buffer_load_dword v73, v2, s[0:3], 0 offen
	buffer_load_dword v74, v2, s[0:3], 0 offen offset:4
	buffer_load_dword v75, v2, s[0:3], 0 offen offset:8
	;; [unrolled: 1-line block ×3, first 2 shown]
	buffer_store_dword v1, off, s[0:3], 0 offset:128
	buffer_store_dword v1, off, s[0:3], 0 offset:132
	;; [unrolled: 1-line block ×4, first 2 shown]
	s_waitcnt vmcnt(0)
	ds_write_b128 v101, v[73:76]
.LBB97_203:
	s_or_b32 exec_lo, exec_lo, s4
	s_waitcnt lgkmcnt(0)
	s_waitcnt_vscnt null, 0x0
	s_barrier
	buffer_gl0_inv
	s_clause 0x35
	buffer_load_dword v2, off, s[0:3], 0 offset:152
	buffer_load_dword v3, off, s[0:3], 0 offset:156
	buffer_load_dword v85, off, s[0:3], 0 offset:168
	buffer_load_dword v86, off, s[0:3], 0 offset:172
	buffer_load_dword v87, off, s[0:3], 0 offset:144
	buffer_load_dword v88, off, s[0:3], 0 offset:148
	buffer_load_dword v89, off, s[0:3], 0 offset:184
	buffer_load_dword v90, off, s[0:3], 0 offset:188
	buffer_load_dword v91, off, s[0:3], 0 offset:160
	buffer_load_dword v92, off, s[0:3], 0 offset:164
	buffer_load_dword v94, off, s[0:3], 0 offset:204
	buffer_load_dword v93, off, s[0:3], 0 offset:200
	buffer_load_dword v95, off, s[0:3], 0 offset:176
	buffer_load_dword v96, off, s[0:3], 0 offset:180
	buffer_load_dword v97, off, s[0:3], 0 offset:216
	buffer_load_dword v98, off, s[0:3], 0 offset:220
	buffer_load_dword v100, off, s[0:3], 0 offset:196
	buffer_load_dword v99, off, s[0:3], 0 offset:192
	buffer_load_dword v103, off, s[0:3], 0 offset:236
	buffer_load_dword v102, off, s[0:3], 0 offset:232
	buffer_load_dword v104, off, s[0:3], 0 offset:208
	buffer_load_dword v105, off, s[0:3], 0 offset:212
	buffer_load_dword v106, off, s[0:3], 0 offset:248
	buffer_load_dword v107, off, s[0:3], 0 offset:252
	buffer_load_dword v109, off, s[0:3], 0 offset:228
	buffer_load_dword v108, off, s[0:3], 0 offset:224
	buffer_load_dword v111, off, s[0:3], 0 offset:268
	buffer_load_dword v110, off, s[0:3], 0 offset:264
	buffer_load_dword v112, off, s[0:3], 0 offset:240
	buffer_load_dword v113, off, s[0:3], 0 offset:244
	buffer_load_dword v114, off, s[0:3], 0 offset:280
	buffer_load_dword v115, off, s[0:3], 0 offset:284
	buffer_load_dword v117, off, s[0:3], 0 offset:260
	buffer_load_dword v116, off, s[0:3], 0 offset:256
	buffer_load_dword v119, off, s[0:3], 0 offset:300
	buffer_load_dword v118, off, s[0:3], 0 offset:296
	buffer_load_dword v120, off, s[0:3], 0 offset:272
	buffer_load_dword v121, off, s[0:3], 0 offset:276
	buffer_load_dword v122, off, s[0:3], 0 offset:312
	buffer_load_dword v123, off, s[0:3], 0 offset:316
	buffer_load_dword v125, off, s[0:3], 0 offset:292
	buffer_load_dword v124, off, s[0:3], 0 offset:288
	buffer_load_dword v127, off, s[0:3], 0 offset:332
	buffer_load_dword v126, off, s[0:3], 0 offset:328
	buffer_load_dword v128, off, s[0:3], 0 offset:304
	buffer_load_dword v129, off, s[0:3], 0 offset:308
	buffer_load_dword v130, off, s[0:3], 0 offset:344
	buffer_load_dword v131, off, s[0:3], 0 offset:348
	buffer_load_dword v133, off, s[0:3], 0 offset:324
	buffer_load_dword v132, off, s[0:3], 0 offset:320
	buffer_load_dword v135, off, s[0:3], 0 offset:364
	buffer_load_dword v134, off, s[0:3], 0 offset:360
	buffer_load_dword v136, off, s[0:3], 0 offset:336
	buffer_load_dword v137, off, s[0:3], 0 offset:340
	ds_read_b128 v[73:76], v1 offset:672
	s_clause 0x3
	buffer_load_dword v138, off, s[0:3], 0 offset:376
	buffer_load_dword v139, off, s[0:3], 0 offset:380
	;; [unrolled: 1-line block ×4, first 2 shown]
	ds_read_b128 v[77:80], v1 offset:688
	s_clause 0x3
	buffer_load_dword v145, off, s[0:3], 0 offset:396
	buffer_load_dword v144, off, s[0:3], 0 offset:392
	buffer_load_dword v146, off, s[0:3], 0 offset:368
	buffer_load_dword v147, off, s[0:3], 0 offset:372
	ds_read_b128 v[81:84], v1 offset:704
	s_mov_b32 s4, exec_lo
	s_waitcnt vmcnt(60) lgkmcnt(2)
	v_mul_f64 v[142:143], v[75:76], v[2:3]
	v_mul_f64 v[2:3], v[73:74], v[2:3]
	s_waitcnt vmcnt(58) lgkmcnt(1)
	v_mul_f64 v[148:149], v[79:80], v[85:86]
	v_mul_f64 v[85:86], v[77:78], v[85:86]
	;; [unrolled: 3-line block ×3, first 2 shown]
	v_fma_f64 v[142:143], v[73:74], v[87:88], -v[142:143]
	v_fma_f64 v[2:3], v[75:76], v[87:88], v[2:3]
	s_clause 0x3
	buffer_load_dword v87, off, s[0:3], 0 offset:408
	buffer_load_dword v88, off, s[0:3], 0 offset:412
	;; [unrolled: 1-line block ×4, first 2 shown]
	s_waitcnt vmcnt(56)
	v_fma_f64 v[148:149], v[77:78], v[91:92], -v[148:149]
	ds_read_b128 v[73:76], v1 offset:720
	v_fma_f64 v[85:86], v[79:80], v[91:92], v[85:86]
	s_clause 0x3
	buffer_load_dword v92, off, s[0:3], 0 offset:428
	buffer_load_dword v91, off, s[0:3], 0 offset:424
	;; [unrolled: 1-line block ×4, first 2 shown]
	s_waitcnt vmcnt(56)
	v_fma_f64 v[89:90], v[81:82], v[95:96], -v[89:90]
	ds_read_b128 v[77:80], v1 offset:736
	v_fma_f64 v[95:96], v[83:84], v[95:96], v[152:153]
	v_add_f64 v[142:143], v[142:143], 0
	v_add_f64 v[2:3], v[2:3], 0
	s_waitcnt lgkmcnt(1)
	v_mul_f64 v[156:157], v[73:74], v[93:94]
	v_mul_f64 v[93:94], v[75:76], v[93:94]
	s_waitcnt vmcnt(54) lgkmcnt(0)
	v_mul_f64 v[152:153], v[77:78], v[97:98]
	v_mul_f64 v[97:98], v[79:80], v[97:98]
	v_add_f64 v[142:143], v[142:143], v[148:149]
	v_add_f64 v[2:3], v[2:3], v[85:86]
	s_clause 0x3
	buffer_load_dword v85, off, s[0:3], 0 offset:440
	buffer_load_dword v86, off, s[0:3], 0 offset:444
	;; [unrolled: 1-line block ×4, first 2 shown]
	s_waitcnt vmcnt(56)
	v_fma_f64 v[93:94], v[73:74], v[99:100], -v[93:94]
	ds_read_b128 v[81:84], v1 offset:752
	v_fma_f64 v[99:100], v[75:76], v[99:100], v[156:157]
	s_waitcnt vmcnt(52)
	v_fma_f64 v[97:98], v[77:78], v[104:105], -v[97:98]
	v_add_f64 v[89:90], v[142:143], v[89:90]
	v_add_f64 v[2:3], v[2:3], v[95:96]
	s_clause 0x3
	buffer_load_dword v96, off, s[0:3], 0 offset:460
	buffer_load_dword v95, off, s[0:3], 0 offset:456
	;; [unrolled: 1-line block ×4, first 2 shown]
	s_waitcnt lgkmcnt(0)
	v_mul_f64 v[156:157], v[81:82], v[102:103]
	v_mul_f64 v[102:103], v[83:84], v[102:103]
	ds_read_b128 v[73:76], v1 offset:768
	v_add_f64 v[89:90], v[89:90], v[93:94]
	v_fma_f64 v[93:94], v[79:80], v[104:105], v[152:153]
	v_add_f64 v[2:3], v[2:3], v[99:100]
	s_clause 0x3
	buffer_load_dword v99, off, s[0:3], 0 offset:472
	buffer_load_dword v100, off, s[0:3], 0 offset:476
	buffer_load_dword v105, off, s[0:3], 0 offset:452
	buffer_load_dword v104, off, s[0:3], 0 offset:448
	s_waitcnt vmcnt(58) lgkmcnt(0)
	v_mul_f64 v[152:153], v[73:74], v[106:107]
	v_mul_f64 v[106:107], v[75:76], v[106:107]
	s_waitcnt vmcnt(56)
	v_fma_f64 v[102:103], v[81:82], v[108:109], -v[102:103]
	ds_read_b128 v[77:80], v1 offset:784
	v_add_f64 v[89:90], v[89:90], v[97:98]
	v_fma_f64 v[97:98], v[83:84], v[108:109], v[156:157]
	v_add_f64 v[2:3], v[2:3], v[93:94]
	s_clause 0x3
	buffer_load_dword v94, off, s[0:3], 0 offset:492
	buffer_load_dword v93, off, s[0:3], 0 offset:488
	buffer_load_dword v108, off, s[0:3], 0 offset:464
	buffer_load_dword v109, off, s[0:3], 0 offset:468
	ds_read_b128 v[81:84], v1 offset:800
	s_waitcnt vmcnt(58) lgkmcnt(1)
	v_mul_f64 v[156:157], v[77:78], v[110:111]
	v_mul_f64 v[110:111], v[79:80], v[110:111]
	s_waitcnt vmcnt(56)
	v_fma_f64 v[106:107], v[73:74], v[112:113], -v[106:107]
	v_add_f64 v[89:90], v[89:90], v[102:103]
	v_fma_f64 v[102:103], v[75:76], v[112:113], v[152:153]
	v_add_f64 v[2:3], v[2:3], v[97:98]
	s_clause 0x3
	buffer_load_dword v97, off, s[0:3], 0 offset:504
	buffer_load_dword v98, off, s[0:3], 0 offset:508
	buffer_load_dword v113, off, s[0:3], 0 offset:484
	buffer_load_dword v112, off, s[0:3], 0 offset:480
	s_waitcnt vmcnt(58) lgkmcnt(0)
	v_mul_f64 v[152:153], v[81:82], v[114:115]
	v_mul_f64 v[114:115], v[83:84], v[114:115]
	s_waitcnt vmcnt(56)
	v_fma_f64 v[110:111], v[77:78], v[116:117], -v[110:111]
	ds_read_b128 v[73:76], v1 offset:816
	v_add_f64 v[89:90], v[89:90], v[106:107]
	v_fma_f64 v[106:107], v[79:80], v[116:117], v[156:157]
	v_add_f64 v[2:3], v[2:3], v[102:103]
	s_clause 0x3
	buffer_load_dword v103, off, s[0:3], 0 offset:524
	buffer_load_dword v102, off, s[0:3], 0 offset:520
	buffer_load_dword v116, off, s[0:3], 0 offset:496
	buffer_load_dword v117, off, s[0:3], 0 offset:500
	ds_read_b128 v[77:80], v1 offset:832
	s_waitcnt vmcnt(58) lgkmcnt(1)
	v_mul_f64 v[156:157], v[73:74], v[118:119]
	v_mul_f64 v[118:119], v[75:76], v[118:119]
	s_waitcnt vmcnt(56)
	v_fma_f64 v[114:115], v[81:82], v[120:121], -v[114:115]
	;; [unrolled: 28-line block ×3, first 2 shown]
	v_add_f64 v[89:90], v[89:90], v[118:119]
	v_fma_f64 v[118:119], v[79:80], v[128:129], v[152:153]
	v_add_f64 v[2:3], v[2:3], v[114:115]
	s_clause 0x1
	buffer_load_dword v115, off, s[0:3], 0 offset:548
	buffer_load_dword v114, off, s[0:3], 0 offset:544
	s_waitcnt vmcnt(56) lgkmcnt(0)
	v_mul_f64 v[128:129], v[73:74], v[130:131]
	v_mul_f64 v[130:131], v[75:76], v[130:131]
	s_waitcnt vmcnt(54)
	v_fma_f64 v[126:127], v[81:82], v[132:133], -v[126:127]
	ds_read_b128 v[77:80], v1 offset:880
	v_add_f64 v[89:90], v[89:90], v[122:123]
	v_fma_f64 v[122:123], v[83:84], v[132:133], v[156:157]
	v_add_f64 v[2:3], v[2:3], v[118:119]
	ds_read_b128 v[81:84], v1 offset:896
	s_waitcnt vmcnt(52) lgkmcnt(1)
	v_mul_f64 v[132:133], v[79:80], v[134:135]
	s_waitcnt vmcnt(50)
	v_fma_f64 v[130:131], v[73:74], v[136:137], -v[130:131]
	v_mul_f64 v[118:119], v[77:78], v[134:135]
	v_add_f64 v[89:90], v[89:90], v[126:127]
	v_fma_f64 v[126:127], v[75:76], v[136:137], v[128:129]
	v_add_f64 v[2:3], v[2:3], v[122:123]
	s_clause 0x3
	buffer_load_dword v122, off, s[0:3], 0 offset:128
	buffer_load_dword v123, off, s[0:3], 0 offset:132
	;; [unrolled: 1-line block ×4, first 2 shown]
	s_waitcnt vmcnt(52) lgkmcnt(0)
	v_mul_f64 v[136:137], v[83:84], v[138:139]
	s_waitcnt vmcnt(50)
	v_fma_f64 v[132:133], v[77:78], v[140:141], -v[132:133]
	ds_read_b128 v[73:76], v1 offset:912
	v_mul_f64 v[134:135], v[81:82], v[138:139]
	v_fma_f64 v[118:119], v[79:80], v[140:141], v[118:119]
	ds_read_b128 v[77:80], v1 offset:928
	v_add_f64 v[89:90], v[89:90], v[130:131]
	v_add_f64 v[2:3], v[2:3], v[126:127]
	s_waitcnt vmcnt(48) lgkmcnt(1)
	v_mul_f64 v[130:131], v[75:76], v[144:145]
	s_waitcnt vmcnt(46)
	v_fma_f64 v[136:137], v[81:82], v[146:147], -v[136:137]
	v_mul_f64 v[126:127], v[73:74], v[144:145]
	v_add_f64 v[89:90], v[89:90], v[132:133]
	v_fma_f64 v[132:133], v[83:84], v[146:147], v[134:135]
	v_add_f64 v[2:3], v[2:3], v[118:119]
	ds_read_b128 v[81:84], v1 offset:944
	s_waitcnt vmcnt(44) lgkmcnt(1)
	v_mul_f64 v[118:119], v[77:78], v[87:88]
	v_mul_f64 v[87:88], v[79:80], v[87:88]
	s_waitcnt vmcnt(42)
	v_fma_f64 v[130:131], v[73:74], v[150:151], -v[130:131]
	v_fma_f64 v[126:127], v[75:76], v[150:151], v[126:127]
	ds_read_b128 v[73:76], v1 offset:960
	v_add_f64 v[89:90], v[89:90], v[136:137]
	v_add_f64 v[2:3], v[2:3], v[132:133]
	s_waitcnt vmcnt(40) lgkmcnt(1)
	v_mul_f64 v[132:133], v[81:82], v[91:92]
	v_mul_f64 v[91:92], v[83:84], v[91:92]
	s_waitcnt vmcnt(38)
	v_fma_f64 v[118:119], v[79:80], v[154:155], v[118:119]
	v_fma_f64 v[87:88], v[77:78], v[154:155], -v[87:88]
	ds_read_b128 v[77:80], v1 offset:976
	v_add_f64 v[89:90], v[89:90], v[130:131]
	v_add_f64 v[2:3], v[2:3], v[126:127]
	s_waitcnt vmcnt(36) lgkmcnt(1)
	v_mul_f64 v[126:127], v[73:74], v[85:86]
	v_mul_f64 v[85:86], v[75:76], v[85:86]
	s_waitcnt vmcnt(34)
	v_fma_f64 v[91:92], v[81:82], v[148:149], -v[91:92]
	v_add_f64 v[87:88], v[89:90], v[87:88]
	v_fma_f64 v[89:90], v[83:84], v[148:149], v[132:133]
	v_add_f64 v[2:3], v[2:3], v[118:119]
	ds_read_b128 v[81:84], v1 offset:992
	s_waitcnt vmcnt(32) lgkmcnt(1)
	v_mul_f64 v[118:119], v[77:78], v[95:96]
	v_mul_f64 v[95:96], v[79:80], v[95:96]
	s_waitcnt vmcnt(30)
	v_fma_f64 v[85:86], v[73:74], v[142:143], -v[85:86]
	v_add_f64 v[87:88], v[87:88], v[91:92]
	v_fma_f64 v[91:92], v[75:76], v[142:143], v[126:127]
	v_add_f64 v[2:3], v[2:3], v[89:90]
	ds_read_b128 v[73:76], v1 offset:1008
	;; [unrolled: 9-line block ×3, first 2 shown]
	s_waitcnt vmcnt(24) lgkmcnt(1)
	v_mul_f64 v[91:92], v[73:74], v[93:94]
	v_mul_f64 v[93:94], v[75:76], v[93:94]
	s_waitcnt vmcnt(22)
	v_fma_f64 v[99:100], v[81:82], v[108:109], -v[99:100]
	v_fma_f64 v[89:90], v[83:84], v[108:109], v[89:90]
	ds_read_b128 v[81:84], v1 offset:1040
	v_add_f64 v[85:86], v[85:86], v[95:96]
	v_add_f64 v[2:3], v[2:3], v[87:88]
	s_waitcnt vmcnt(20) lgkmcnt(1)
	v_mul_f64 v[95:96], v[79:80], v[97:98]
	v_mul_f64 v[87:88], v[77:78], v[97:98]
	s_waitcnt vmcnt(18)
	v_fma_f64 v[93:94], v[73:74], v[112:113], -v[93:94]
	v_fma_f64 v[91:92], v[75:76], v[112:113], v[91:92]
	ds_read_b128 v[73:76], v1 offset:1056
	v_add_f64 v[85:86], v[85:86], v[99:100]
	v_add_f64 v[2:3], v[2:3], v[89:90]
	s_waitcnt vmcnt(16) lgkmcnt(1)
	v_mul_f64 v[97:98], v[83:84], v[102:103]
	v_mul_f64 v[89:90], v[81:82], v[102:103]
	s_waitcnt vmcnt(14)
	v_fma_f64 v[77:78], v[77:78], v[116:117], -v[95:96]
	v_fma_f64 v[79:80], v[79:80], v[116:117], v[87:88]
	v_add_f64 v[85:86], v[85:86], v[93:94]
	v_add_f64 v[87:88], v[2:3], v[91:92]
	ds_read_b128 v[1:4], v1 offset:1072
	s_waitcnt vmcnt(12) lgkmcnt(1)
	v_mul_f64 v[93:94], v[75:76], v[106:107]
	v_mul_f64 v[91:92], v[73:74], v[106:107]
	s_waitcnt vmcnt(10)
	v_fma_f64 v[81:82], v[81:82], v[120:121], -v[97:98]
	v_fma_f64 v[83:84], v[83:84], v[120:121], v[89:90]
	v_add_f64 v[77:78], v[85:86], v[77:78]
	v_add_f64 v[79:80], v[87:88], v[79:80]
	s_waitcnt vmcnt(8) lgkmcnt(0)
	v_mul_f64 v[87:88], v[3:4], v[110:111]
	v_mul_f64 v[85:86], v[1:2], v[110:111]
	s_waitcnt vmcnt(6)
	v_fma_f64 v[73:74], v[73:74], v[124:125], -v[93:94]
	v_fma_f64 v[75:76], v[75:76], v[124:125], v[91:92]
	v_add_f64 v[77:78], v[77:78], v[81:82]
	v_add_f64 v[79:80], v[79:80], v[83:84]
	s_waitcnt vmcnt(4)
	v_fma_f64 v[1:2], v[1:2], v[114:115], -v[87:88]
	v_fma_f64 v[3:4], v[3:4], v[114:115], v[85:86]
	v_add_f64 v[73:74], v[77:78], v[73:74]
	v_add_f64 v[75:76], v[79:80], v[75:76]
	;; [unrolled: 1-line block ×4, first 2 shown]
	s_waitcnt vmcnt(2)
	v_add_f64 v[1:2], v[122:123], -v[1:2]
	s_waitcnt vmcnt(0)
	v_add_f64 v[3:4], v[128:129], -v[3:4]
	buffer_store_dword v2, off, s[0:3], 0 offset:132
	buffer_store_dword v1, off, s[0:3], 0 offset:128
	;; [unrolled: 1-line block ×4, first 2 shown]
	v_cmpx_lt_u32_e32 6, v0
	s_cbranch_execz .LBB97_205
; %bb.204:
	v_mov_b32_e32 v4, s40
	v_mov_b32_e32 v73, 0
	s_clause 0x3
	buffer_load_dword v1, v4, s[0:3], 0 offen
	buffer_load_dword v2, v4, s[0:3], 0 offen offset:4
	buffer_load_dword v3, v4, s[0:3], 0 offen offset:8
	;; [unrolled: 1-line block ×3, first 2 shown]
	buffer_store_dword v73, off, s[0:3], 0 offset:112
	buffer_store_dword v73, off, s[0:3], 0 offset:116
	;; [unrolled: 1-line block ×4, first 2 shown]
	s_waitcnt vmcnt(0)
	ds_write_b128 v101, v[1:4]
.LBB97_205:
	s_or_b32 exec_lo, exec_lo, s4
	s_waitcnt lgkmcnt(0)
	s_waitcnt_vscnt null, 0x0
	s_barrier
	buffer_gl0_inv
	s_clause 0x35
	buffer_load_dword v2, off, s[0:3], 0 offset:136
	buffer_load_dword v3, off, s[0:3], 0 offset:140
	;; [unrolled: 1-line block ×54, first 2 shown]
	v_mov_b32_e32 v1, 0
	s_mov_b32 s4, exec_lo
	ds_read_b128 v[73:76], v1 offset:656
	s_clause 0x3
	buffer_load_dword v138, off, s[0:3], 0 offset:360
	buffer_load_dword v139, off, s[0:3], 0 offset:364
	;; [unrolled: 1-line block ×4, first 2 shown]
	ds_read_b128 v[77:80], v1 offset:672
	s_clause 0x3
	buffer_load_dword v145, off, s[0:3], 0 offset:380
	buffer_load_dword v144, off, s[0:3], 0 offset:376
	;; [unrolled: 1-line block ×4, first 2 shown]
	ds_read_b128 v[81:84], v1 offset:688
	s_waitcnt vmcnt(60) lgkmcnt(2)
	v_mul_f64 v[142:143], v[75:76], v[2:3]
	v_mul_f64 v[2:3], v[73:74], v[2:3]
	s_waitcnt vmcnt(58) lgkmcnt(1)
	v_mul_f64 v[148:149], v[79:80], v[85:86]
	v_mul_f64 v[85:86], v[77:78], v[85:86]
	;; [unrolled: 3-line block ×3, first 2 shown]
	v_fma_f64 v[142:143], v[73:74], v[87:88], -v[142:143]
	v_fma_f64 v[2:3], v[75:76], v[87:88], v[2:3]
	s_clause 0x3
	buffer_load_dword v87, off, s[0:3], 0 offset:392
	buffer_load_dword v88, off, s[0:3], 0 offset:396
	;; [unrolled: 1-line block ×4, first 2 shown]
	s_waitcnt vmcnt(56)
	v_fma_f64 v[148:149], v[77:78], v[91:92], -v[148:149]
	ds_read_b128 v[73:76], v1 offset:704
	v_fma_f64 v[85:86], v[79:80], v[91:92], v[85:86]
	s_clause 0x3
	buffer_load_dword v92, off, s[0:3], 0 offset:412
	buffer_load_dword v91, off, s[0:3], 0 offset:408
	buffer_load_dword v154, off, s[0:3], 0 offset:384
	buffer_load_dword v155, off, s[0:3], 0 offset:388
	s_waitcnt vmcnt(56)
	v_fma_f64 v[89:90], v[81:82], v[95:96], -v[89:90]
	ds_read_b128 v[77:80], v1 offset:720
	v_fma_f64 v[95:96], v[83:84], v[95:96], v[152:153]
	v_add_f64 v[142:143], v[142:143], 0
	v_add_f64 v[2:3], v[2:3], 0
	s_waitcnt lgkmcnt(1)
	v_mul_f64 v[156:157], v[73:74], v[93:94]
	v_mul_f64 v[93:94], v[75:76], v[93:94]
	s_waitcnt vmcnt(54) lgkmcnt(0)
	v_mul_f64 v[152:153], v[77:78], v[97:98]
	v_mul_f64 v[97:98], v[79:80], v[97:98]
	v_add_f64 v[142:143], v[142:143], v[148:149]
	v_add_f64 v[2:3], v[2:3], v[85:86]
	s_clause 0x3
	buffer_load_dword v85, off, s[0:3], 0 offset:424
	buffer_load_dword v86, off, s[0:3], 0 offset:428
	;; [unrolled: 1-line block ×4, first 2 shown]
	s_waitcnt vmcnt(56)
	v_fma_f64 v[93:94], v[73:74], v[99:100], -v[93:94]
	ds_read_b128 v[81:84], v1 offset:736
	v_fma_f64 v[99:100], v[75:76], v[99:100], v[156:157]
	s_waitcnt vmcnt(52)
	v_fma_f64 v[97:98], v[77:78], v[104:105], -v[97:98]
	v_add_f64 v[89:90], v[142:143], v[89:90]
	v_add_f64 v[2:3], v[2:3], v[95:96]
	s_clause 0x3
	buffer_load_dword v96, off, s[0:3], 0 offset:444
	buffer_load_dword v95, off, s[0:3], 0 offset:440
	;; [unrolled: 1-line block ×4, first 2 shown]
	s_waitcnt lgkmcnt(0)
	v_mul_f64 v[156:157], v[81:82], v[102:103]
	v_mul_f64 v[102:103], v[83:84], v[102:103]
	ds_read_b128 v[73:76], v1 offset:752
	v_add_f64 v[89:90], v[89:90], v[93:94]
	v_fma_f64 v[93:94], v[79:80], v[104:105], v[152:153]
	v_add_f64 v[2:3], v[2:3], v[99:100]
	s_clause 0x3
	buffer_load_dword v99, off, s[0:3], 0 offset:456
	buffer_load_dword v100, off, s[0:3], 0 offset:460
	buffer_load_dword v105, off, s[0:3], 0 offset:436
	buffer_load_dword v104, off, s[0:3], 0 offset:432
	s_waitcnt vmcnt(58) lgkmcnt(0)
	v_mul_f64 v[152:153], v[73:74], v[106:107]
	v_mul_f64 v[106:107], v[75:76], v[106:107]
	s_waitcnt vmcnt(56)
	v_fma_f64 v[102:103], v[81:82], v[108:109], -v[102:103]
	ds_read_b128 v[77:80], v1 offset:768
	v_add_f64 v[89:90], v[89:90], v[97:98]
	v_fma_f64 v[97:98], v[83:84], v[108:109], v[156:157]
	v_add_f64 v[2:3], v[2:3], v[93:94]
	s_clause 0x3
	buffer_load_dword v94, off, s[0:3], 0 offset:476
	buffer_load_dword v93, off, s[0:3], 0 offset:472
	buffer_load_dword v108, off, s[0:3], 0 offset:448
	buffer_load_dword v109, off, s[0:3], 0 offset:452
	ds_read_b128 v[81:84], v1 offset:784
	s_waitcnt vmcnt(58) lgkmcnt(1)
	v_mul_f64 v[156:157], v[77:78], v[110:111]
	v_mul_f64 v[110:111], v[79:80], v[110:111]
	s_waitcnt vmcnt(56)
	v_fma_f64 v[106:107], v[73:74], v[112:113], -v[106:107]
	v_add_f64 v[89:90], v[89:90], v[102:103]
	v_fma_f64 v[102:103], v[75:76], v[112:113], v[152:153]
	v_add_f64 v[2:3], v[2:3], v[97:98]
	s_clause 0x3
	buffer_load_dword v97, off, s[0:3], 0 offset:488
	buffer_load_dword v98, off, s[0:3], 0 offset:492
	buffer_load_dword v113, off, s[0:3], 0 offset:468
	buffer_load_dword v112, off, s[0:3], 0 offset:464
	s_waitcnt vmcnt(58) lgkmcnt(0)
	v_mul_f64 v[152:153], v[81:82], v[114:115]
	v_mul_f64 v[114:115], v[83:84], v[114:115]
	s_waitcnt vmcnt(56)
	v_fma_f64 v[110:111], v[77:78], v[116:117], -v[110:111]
	ds_read_b128 v[73:76], v1 offset:800
	v_add_f64 v[89:90], v[89:90], v[106:107]
	v_fma_f64 v[106:107], v[79:80], v[116:117], v[156:157]
	v_add_f64 v[2:3], v[2:3], v[102:103]
	s_clause 0x3
	buffer_load_dword v103, off, s[0:3], 0 offset:508
	buffer_load_dword v102, off, s[0:3], 0 offset:504
	buffer_load_dword v116, off, s[0:3], 0 offset:480
	buffer_load_dword v117, off, s[0:3], 0 offset:484
	ds_read_b128 v[77:80], v1 offset:816
	s_waitcnt vmcnt(58) lgkmcnt(1)
	v_mul_f64 v[156:157], v[73:74], v[118:119]
	v_mul_f64 v[118:119], v[75:76], v[118:119]
	s_waitcnt vmcnt(56)
	v_fma_f64 v[114:115], v[81:82], v[120:121], -v[114:115]
	;; [unrolled: 28-line block ×3, first 2 shown]
	v_add_f64 v[89:90], v[89:90], v[118:119]
	v_fma_f64 v[118:119], v[79:80], v[128:129], v[152:153]
	v_add_f64 v[2:3], v[2:3], v[114:115]
	s_clause 0x3
	buffer_load_dword v114, off, s[0:3], 0 offset:552
	buffer_load_dword v115, off, s[0:3], 0 offset:556
	;; [unrolled: 1-line block ×4, first 2 shown]
	s_waitcnt vmcnt(58) lgkmcnt(0)
	v_mul_f64 v[152:153], v[73:74], v[130:131]
	v_mul_f64 v[130:131], v[75:76], v[130:131]
	s_waitcnt vmcnt(56)
	v_fma_f64 v[126:127], v[81:82], v[132:133], -v[126:127]
	ds_read_b128 v[77:80], v1 offset:864
	v_add_f64 v[89:90], v[89:90], v[122:123]
	v_fma_f64 v[122:123], v[83:84], v[132:133], v[156:157]
	v_add_f64 v[2:3], v[2:3], v[118:119]
	s_clause 0x1
	buffer_load_dword v118, off, s[0:3], 0 offset:544
	buffer_load_dword v119, off, s[0:3], 0 offset:548
	ds_read_b128 v[81:84], v1 offset:880
	s_waitcnt vmcnt(56) lgkmcnt(1)
	v_mul_f64 v[132:133], v[77:78], v[134:135]
	v_mul_f64 v[134:135], v[79:80], v[134:135]
	s_waitcnt vmcnt(54)
	v_fma_f64 v[130:131], v[73:74], v[136:137], -v[130:131]
	v_add_f64 v[89:90], v[89:90], v[126:127]
	v_fma_f64 v[126:127], v[75:76], v[136:137], v[152:153]
	v_add_f64 v[2:3], v[2:3], v[122:123]
	ds_read_b128 v[73:76], v1 offset:896
	s_waitcnt vmcnt(52) lgkmcnt(1)
	v_mul_f64 v[136:137], v[83:84], v[138:139]
	v_mul_f64 v[122:123], v[81:82], v[138:139]
	s_waitcnt vmcnt(50)
	v_fma_f64 v[134:135], v[77:78], v[140:141], -v[134:135]
	v_add_f64 v[89:90], v[89:90], v[130:131]
	v_fma_f64 v[130:131], v[79:80], v[140:141], v[132:133]
	v_add_f64 v[2:3], v[2:3], v[126:127]
	s_clause 0x3
	buffer_load_dword v126, off, s[0:3], 0 offset:112
	buffer_load_dword v127, off, s[0:3], 0 offset:116
	;; [unrolled: 1-line block ×4, first 2 shown]
	s_waitcnt vmcnt(52) lgkmcnt(0)
	v_mul_f64 v[140:141], v[75:76], v[144:145]
	s_waitcnt vmcnt(50)
	v_fma_f64 v[136:137], v[81:82], v[146:147], -v[136:137]
	ds_read_b128 v[77:80], v1 offset:912
	v_mul_f64 v[138:139], v[73:74], v[144:145]
	v_fma_f64 v[122:123], v[83:84], v[146:147], v[122:123]
	ds_read_b128 v[81:84], v1 offset:928
	v_add_f64 v[89:90], v[89:90], v[134:135]
	v_add_f64 v[2:3], v[2:3], v[130:131]
	s_waitcnt vmcnt(48) lgkmcnt(1)
	v_mul_f64 v[130:131], v[77:78], v[87:88]
	v_mul_f64 v[87:88], v[79:80], v[87:88]
	s_waitcnt vmcnt(46)
	v_fma_f64 v[134:135], v[73:74], v[150:151], -v[140:141]
	v_add_f64 v[89:90], v[89:90], v[136:137]
	v_fma_f64 v[136:137], v[75:76], v[150:151], v[138:139]
	v_add_f64 v[2:3], v[2:3], v[122:123]
	s_waitcnt vmcnt(44) lgkmcnt(0)
	v_mul_f64 v[122:123], v[81:82], v[91:92]
	v_mul_f64 v[91:92], v[83:84], v[91:92]
	ds_read_b128 v[73:76], v1 offset:944
	s_waitcnt vmcnt(42)
	v_fma_f64 v[130:131], v[79:80], v[154:155], v[130:131]
	v_fma_f64 v[87:88], v[77:78], v[154:155], -v[87:88]
	ds_read_b128 v[77:80], v1 offset:960
	v_add_f64 v[89:90], v[89:90], v[134:135]
	v_add_f64 v[2:3], v[2:3], v[136:137]
	s_waitcnt vmcnt(40) lgkmcnt(1)
	v_mul_f64 v[134:135], v[73:74], v[85:86]
	v_mul_f64 v[85:86], v[75:76], v[85:86]
	s_waitcnt vmcnt(38)
	v_fma_f64 v[91:92], v[81:82], v[148:149], -v[91:92]
	v_add_f64 v[87:88], v[89:90], v[87:88]
	v_fma_f64 v[89:90], v[83:84], v[148:149], v[122:123]
	v_add_f64 v[2:3], v[2:3], v[130:131]
	ds_read_b128 v[81:84], v1 offset:976
	s_waitcnt vmcnt(36) lgkmcnt(1)
	v_mul_f64 v[122:123], v[77:78], v[95:96]
	v_mul_f64 v[95:96], v[79:80], v[95:96]
	s_waitcnt vmcnt(34)
	v_fma_f64 v[85:86], v[73:74], v[142:143], -v[85:86]
	v_add_f64 v[87:88], v[87:88], v[91:92]
	v_fma_f64 v[91:92], v[75:76], v[142:143], v[134:135]
	v_add_f64 v[2:3], v[2:3], v[89:90]
	ds_read_b128 v[73:76], v1 offset:992
	;; [unrolled: 9-line block ×3, first 2 shown]
	s_waitcnt vmcnt(28) lgkmcnt(1)
	v_mul_f64 v[91:92], v[73:74], v[93:94]
	v_mul_f64 v[93:94], v[75:76], v[93:94]
	s_waitcnt vmcnt(26)
	v_fma_f64 v[99:100], v[81:82], v[108:109], -v[99:100]
	v_fma_f64 v[89:90], v[83:84], v[108:109], v[89:90]
	ds_read_b128 v[81:84], v1 offset:1024
	v_add_f64 v[85:86], v[85:86], v[95:96]
	v_add_f64 v[2:3], v[2:3], v[87:88]
	s_waitcnt vmcnt(24) lgkmcnt(1)
	v_mul_f64 v[95:96], v[79:80], v[97:98]
	v_mul_f64 v[87:88], v[77:78], v[97:98]
	s_waitcnt vmcnt(22)
	v_fma_f64 v[93:94], v[73:74], v[112:113], -v[93:94]
	v_fma_f64 v[91:92], v[75:76], v[112:113], v[91:92]
	ds_read_b128 v[73:76], v1 offset:1040
	v_add_f64 v[85:86], v[85:86], v[99:100]
	v_add_f64 v[2:3], v[2:3], v[89:90]
	;; [unrolled: 9-line block ×4, first 2 shown]
	s_waitcnt vmcnt(12) lgkmcnt(1)
	v_mul_f64 v[95:96], v[79:80], v[110:111]
	v_mul_f64 v[87:88], v[77:78], v[110:111]
	s_waitcnt vmcnt(10)
	v_fma_f64 v[73:74], v[73:74], v[124:125], -v[93:94]
	v_fma_f64 v[75:76], v[75:76], v[124:125], v[91:92]
	v_add_f64 v[85:86], v[85:86], v[97:98]
	v_add_f64 v[2:3], v[2:3], v[89:90]
	s_waitcnt vmcnt(8) lgkmcnt(0)
	v_mul_f64 v[91:92], v[83:84], v[114:115]
	v_mul_f64 v[89:90], v[81:82], v[114:115]
	s_waitcnt vmcnt(6)
	v_fma_f64 v[77:78], v[77:78], v[128:129], -v[95:96]
	v_fma_f64 v[79:80], v[79:80], v[128:129], v[87:88]
	v_add_f64 v[73:74], v[85:86], v[73:74]
	v_add_f64 v[2:3], v[2:3], v[75:76]
	s_waitcnt vmcnt(4)
	v_fma_f64 v[75:76], v[81:82], v[118:119], -v[91:92]
	v_add_f64 v[73:74], v[73:74], v[77:78]
	v_fma_f64 v[77:78], v[83:84], v[118:119], v[89:90]
	v_add_f64 v[2:3], v[2:3], v[79:80]
	v_add_f64 v[73:74], v[73:74], v[75:76]
	;; [unrolled: 1-line block ×3, first 2 shown]
	s_waitcnt vmcnt(2)
	v_add_f64 v[73:74], v[126:127], -v[73:74]
	s_waitcnt vmcnt(0)
	v_add_f64 v[2:3], v[132:133], -v[2:3]
	buffer_store_dword v74, off, s[0:3], 0 offset:116
	buffer_store_dword v73, off, s[0:3], 0 offset:112
	;; [unrolled: 1-line block ×4, first 2 shown]
	v_cmpx_lt_u32_e32 5, v0
	s_cbranch_execz .LBB97_207
; %bb.206:
	v_mov_b32_e32 v2, s41
	s_clause 0x3
	buffer_load_dword v73, v2, s[0:3], 0 offen
	buffer_load_dword v74, v2, s[0:3], 0 offen offset:4
	buffer_load_dword v75, v2, s[0:3], 0 offen offset:8
	;; [unrolled: 1-line block ×3, first 2 shown]
	buffer_store_dword v1, off, s[0:3], 0 offset:96
	buffer_store_dword v1, off, s[0:3], 0 offset:100
	;; [unrolled: 1-line block ×4, first 2 shown]
	s_waitcnt vmcnt(0)
	ds_write_b128 v101, v[73:76]
.LBB97_207:
	s_or_b32 exec_lo, exec_lo, s4
	s_waitcnt lgkmcnt(0)
	s_waitcnt_vscnt null, 0x0
	s_barrier
	buffer_gl0_inv
	s_clause 0x35
	buffer_load_dword v2, off, s[0:3], 0 offset:120
	buffer_load_dword v3, off, s[0:3], 0 offset:124
	;; [unrolled: 1-line block ×54, first 2 shown]
	ds_read_b128 v[73:76], v1 offset:640
	s_clause 0x3
	buffer_load_dword v138, off, s[0:3], 0 offset:344
	buffer_load_dword v139, off, s[0:3], 0 offset:348
	;; [unrolled: 1-line block ×4, first 2 shown]
	ds_read_b128 v[77:80], v1 offset:656
	s_clause 0x3
	buffer_load_dword v145, off, s[0:3], 0 offset:364
	buffer_load_dword v144, off, s[0:3], 0 offset:360
	;; [unrolled: 1-line block ×4, first 2 shown]
	ds_read_b128 v[81:84], v1 offset:672
	s_mov_b32 s4, exec_lo
	s_waitcnt vmcnt(60) lgkmcnt(2)
	v_mul_f64 v[142:143], v[75:76], v[2:3]
	v_mul_f64 v[2:3], v[73:74], v[2:3]
	s_waitcnt vmcnt(58) lgkmcnt(1)
	v_mul_f64 v[148:149], v[79:80], v[85:86]
	v_mul_f64 v[85:86], v[77:78], v[85:86]
	;; [unrolled: 3-line block ×3, first 2 shown]
	v_fma_f64 v[142:143], v[73:74], v[87:88], -v[142:143]
	v_fma_f64 v[2:3], v[75:76], v[87:88], v[2:3]
	s_clause 0x3
	buffer_load_dword v87, off, s[0:3], 0 offset:376
	buffer_load_dword v88, off, s[0:3], 0 offset:380
	;; [unrolled: 1-line block ×4, first 2 shown]
	s_waitcnt vmcnt(56)
	v_fma_f64 v[148:149], v[77:78], v[91:92], -v[148:149]
	ds_read_b128 v[73:76], v1 offset:688
	v_fma_f64 v[85:86], v[79:80], v[91:92], v[85:86]
	s_clause 0x3
	buffer_load_dword v92, off, s[0:3], 0 offset:396
	buffer_load_dword v91, off, s[0:3], 0 offset:392
	;; [unrolled: 1-line block ×4, first 2 shown]
	s_waitcnt vmcnt(56)
	v_fma_f64 v[89:90], v[81:82], v[95:96], -v[89:90]
	ds_read_b128 v[77:80], v1 offset:704
	v_fma_f64 v[95:96], v[83:84], v[95:96], v[152:153]
	v_add_f64 v[142:143], v[142:143], 0
	v_add_f64 v[2:3], v[2:3], 0
	s_waitcnt lgkmcnt(1)
	v_mul_f64 v[156:157], v[73:74], v[93:94]
	v_mul_f64 v[93:94], v[75:76], v[93:94]
	s_waitcnt vmcnt(54) lgkmcnt(0)
	v_mul_f64 v[152:153], v[77:78], v[97:98]
	v_mul_f64 v[97:98], v[79:80], v[97:98]
	v_add_f64 v[142:143], v[142:143], v[148:149]
	v_add_f64 v[2:3], v[2:3], v[85:86]
	s_clause 0x3
	buffer_load_dword v85, off, s[0:3], 0 offset:408
	buffer_load_dword v86, off, s[0:3], 0 offset:412
	;; [unrolled: 1-line block ×4, first 2 shown]
	s_waitcnt vmcnt(56)
	v_fma_f64 v[93:94], v[73:74], v[99:100], -v[93:94]
	ds_read_b128 v[81:84], v1 offset:720
	v_fma_f64 v[99:100], v[75:76], v[99:100], v[156:157]
	s_waitcnt vmcnt(52)
	v_fma_f64 v[97:98], v[77:78], v[104:105], -v[97:98]
	v_add_f64 v[89:90], v[142:143], v[89:90]
	v_add_f64 v[2:3], v[2:3], v[95:96]
	s_clause 0x3
	buffer_load_dword v96, off, s[0:3], 0 offset:428
	buffer_load_dword v95, off, s[0:3], 0 offset:424
	;; [unrolled: 1-line block ×4, first 2 shown]
	s_waitcnt lgkmcnt(0)
	v_mul_f64 v[156:157], v[81:82], v[102:103]
	v_mul_f64 v[102:103], v[83:84], v[102:103]
	ds_read_b128 v[73:76], v1 offset:736
	v_add_f64 v[89:90], v[89:90], v[93:94]
	v_fma_f64 v[93:94], v[79:80], v[104:105], v[152:153]
	v_add_f64 v[2:3], v[2:3], v[99:100]
	s_clause 0x3
	buffer_load_dword v99, off, s[0:3], 0 offset:440
	buffer_load_dword v100, off, s[0:3], 0 offset:444
	buffer_load_dword v105, off, s[0:3], 0 offset:420
	buffer_load_dword v104, off, s[0:3], 0 offset:416
	s_waitcnt vmcnt(58) lgkmcnt(0)
	v_mul_f64 v[152:153], v[73:74], v[106:107]
	v_mul_f64 v[106:107], v[75:76], v[106:107]
	s_waitcnt vmcnt(56)
	v_fma_f64 v[102:103], v[81:82], v[108:109], -v[102:103]
	ds_read_b128 v[77:80], v1 offset:752
	v_add_f64 v[89:90], v[89:90], v[97:98]
	v_fma_f64 v[97:98], v[83:84], v[108:109], v[156:157]
	v_add_f64 v[2:3], v[2:3], v[93:94]
	s_clause 0x3
	buffer_load_dword v94, off, s[0:3], 0 offset:460
	buffer_load_dword v93, off, s[0:3], 0 offset:456
	buffer_load_dword v108, off, s[0:3], 0 offset:432
	buffer_load_dword v109, off, s[0:3], 0 offset:436
	ds_read_b128 v[81:84], v1 offset:768
	s_waitcnt vmcnt(58) lgkmcnt(1)
	v_mul_f64 v[156:157], v[77:78], v[110:111]
	v_mul_f64 v[110:111], v[79:80], v[110:111]
	s_waitcnt vmcnt(56)
	v_fma_f64 v[106:107], v[73:74], v[112:113], -v[106:107]
	v_add_f64 v[89:90], v[89:90], v[102:103]
	v_fma_f64 v[102:103], v[75:76], v[112:113], v[152:153]
	v_add_f64 v[2:3], v[2:3], v[97:98]
	s_clause 0x3
	buffer_load_dword v97, off, s[0:3], 0 offset:472
	buffer_load_dword v98, off, s[0:3], 0 offset:476
	buffer_load_dword v113, off, s[0:3], 0 offset:452
	buffer_load_dword v112, off, s[0:3], 0 offset:448
	s_waitcnt vmcnt(58) lgkmcnt(0)
	v_mul_f64 v[152:153], v[81:82], v[114:115]
	v_mul_f64 v[114:115], v[83:84], v[114:115]
	s_waitcnt vmcnt(56)
	v_fma_f64 v[110:111], v[77:78], v[116:117], -v[110:111]
	ds_read_b128 v[73:76], v1 offset:784
	v_add_f64 v[89:90], v[89:90], v[106:107]
	v_fma_f64 v[106:107], v[79:80], v[116:117], v[156:157]
	v_add_f64 v[2:3], v[2:3], v[102:103]
	s_clause 0x3
	buffer_load_dword v103, off, s[0:3], 0 offset:492
	buffer_load_dword v102, off, s[0:3], 0 offset:488
	buffer_load_dword v116, off, s[0:3], 0 offset:464
	buffer_load_dword v117, off, s[0:3], 0 offset:468
	ds_read_b128 v[77:80], v1 offset:800
	s_waitcnt vmcnt(58) lgkmcnt(1)
	v_mul_f64 v[156:157], v[73:74], v[118:119]
	v_mul_f64 v[118:119], v[75:76], v[118:119]
	s_waitcnt vmcnt(56)
	v_fma_f64 v[114:115], v[81:82], v[120:121], -v[114:115]
	v_add_f64 v[89:90], v[89:90], v[110:111]
	v_fma_f64 v[110:111], v[83:84], v[120:121], v[152:153]
	v_add_f64 v[2:3], v[2:3], v[106:107]
	s_clause 0x3
	buffer_load_dword v106, off, s[0:3], 0 offset:504
	buffer_load_dword v107, off, s[0:3], 0 offset:508
	buffer_load_dword v121, off, s[0:3], 0 offset:484
	buffer_load_dword v120, off, s[0:3], 0 offset:480
	s_waitcnt vmcnt(58) lgkmcnt(0)
	v_mul_f64 v[152:153], v[77:78], v[122:123]
	v_mul_f64 v[122:123], v[79:80], v[122:123]
	s_waitcnt vmcnt(56)
	v_fma_f64 v[118:119], v[73:74], v[124:125], -v[118:119]
	ds_read_b128 v[81:84], v1 offset:816
	v_add_f64 v[89:90], v[89:90], v[114:115]
	v_fma_f64 v[114:115], v[75:76], v[124:125], v[156:157]
	v_add_f64 v[2:3], v[2:3], v[110:111]
	s_clause 0x3
	buffer_load_dword v111, off, s[0:3], 0 offset:524
	buffer_load_dword v110, off, s[0:3], 0 offset:520
	buffer_load_dword v124, off, s[0:3], 0 offset:496
	buffer_load_dword v125, off, s[0:3], 0 offset:500
	ds_read_b128 v[73:76], v1 offset:832
	s_waitcnt vmcnt(58) lgkmcnt(1)
	v_mul_f64 v[156:157], v[81:82], v[126:127]
	v_mul_f64 v[126:127], v[83:84], v[126:127]
	s_waitcnt vmcnt(56)
	v_fma_f64 v[122:123], v[77:78], v[128:129], -v[122:123]
	v_add_f64 v[89:90], v[89:90], v[118:119]
	v_fma_f64 v[118:119], v[79:80], v[128:129], v[152:153]
	v_add_f64 v[2:3], v[2:3], v[114:115]
	s_clause 0x3
	buffer_load_dword v114, off, s[0:3], 0 offset:536
	buffer_load_dword v115, off, s[0:3], 0 offset:540
	buffer_load_dword v129, off, s[0:3], 0 offset:516
	buffer_load_dword v128, off, s[0:3], 0 offset:512
	s_waitcnt vmcnt(58) lgkmcnt(0)
	v_mul_f64 v[152:153], v[73:74], v[130:131]
	v_mul_f64 v[130:131], v[75:76], v[130:131]
	s_waitcnt vmcnt(56)
	v_fma_f64 v[126:127], v[81:82], v[132:133], -v[126:127]
	ds_read_b128 v[77:80], v1 offset:848
	v_add_f64 v[89:90], v[89:90], v[122:123]
	v_fma_f64 v[122:123], v[83:84], v[132:133], v[156:157]
	v_add_f64 v[2:3], v[2:3], v[118:119]
	s_clause 0x3
	buffer_load_dword v119, off, s[0:3], 0 offset:556
	buffer_load_dword v118, off, s[0:3], 0 offset:552
	buffer_load_dword v132, off, s[0:3], 0 offset:528
	buffer_load_dword v133, off, s[0:3], 0 offset:532
	ds_read_b128 v[81:84], v1 offset:864
	s_waitcnt vmcnt(58) lgkmcnt(1)
	v_mul_f64 v[156:157], v[77:78], v[134:135]
	v_mul_f64 v[134:135], v[79:80], v[134:135]
	s_waitcnt vmcnt(56)
	v_fma_f64 v[130:131], v[73:74], v[136:137], -v[130:131]
	v_add_f64 v[89:90], v[89:90], v[126:127]
	v_fma_f64 v[126:127], v[75:76], v[136:137], v[152:153]
	v_add_f64 v[2:3], v[2:3], v[122:123]
	s_clause 0x1
	buffer_load_dword v123, off, s[0:3], 0 offset:548
	buffer_load_dword v122, off, s[0:3], 0 offset:544
	s_waitcnt vmcnt(56) lgkmcnt(0)
	v_mul_f64 v[136:137], v[81:82], v[138:139]
	v_mul_f64 v[138:139], v[83:84], v[138:139]
	s_waitcnt vmcnt(54)
	v_fma_f64 v[134:135], v[77:78], v[140:141], -v[134:135]
	ds_read_b128 v[73:76], v1 offset:880
	v_add_f64 v[89:90], v[89:90], v[130:131]
	v_fma_f64 v[130:131], v[79:80], v[140:141], v[156:157]
	v_add_f64 v[2:3], v[2:3], v[126:127]
	ds_read_b128 v[77:80], v1 offset:896
	s_waitcnt vmcnt(52) lgkmcnt(1)
	v_mul_f64 v[140:141], v[75:76], v[144:145]
	s_waitcnt vmcnt(50)
	v_fma_f64 v[138:139], v[81:82], v[146:147], -v[138:139]
	v_mul_f64 v[126:127], v[73:74], v[144:145]
	v_add_f64 v[89:90], v[89:90], v[134:135]
	v_fma_f64 v[134:135], v[83:84], v[146:147], v[136:137]
	v_add_f64 v[2:3], v[2:3], v[130:131]
	s_clause 0x3
	buffer_load_dword v130, off, s[0:3], 0 offset:96
	buffer_load_dword v131, off, s[0:3], 0 offset:100
	buffer_load_dword v136, off, s[0:3], 0 offset:104
	buffer_load_dword v137, off, s[0:3], 0 offset:108
	ds_read_b128 v[81:84], v1 offset:912
	s_waitcnt vmcnt(52) lgkmcnt(1)
	v_mul_f64 v[144:145], v[77:78], v[87:88]
	v_mul_f64 v[87:88], v[79:80], v[87:88]
	s_waitcnt vmcnt(50)
	v_fma_f64 v[140:141], v[73:74], v[150:151], -v[140:141]
	v_fma_f64 v[126:127], v[75:76], v[150:151], v[126:127]
	ds_read_b128 v[73:76], v1 offset:928
	v_add_f64 v[89:90], v[89:90], v[138:139]
	v_add_f64 v[2:3], v[2:3], v[134:135]
	s_waitcnt vmcnt(48) lgkmcnt(1)
	v_mul_f64 v[134:135], v[81:82], v[91:92]
	v_mul_f64 v[91:92], v[83:84], v[91:92]
	s_waitcnt vmcnt(46)
	v_fma_f64 v[138:139], v[79:80], v[154:155], v[144:145]
	v_fma_f64 v[87:88], v[77:78], v[154:155], -v[87:88]
	ds_read_b128 v[77:80], v1 offset:944
	v_add_f64 v[89:90], v[89:90], v[140:141]
	v_add_f64 v[2:3], v[2:3], v[126:127]
	s_waitcnt vmcnt(44) lgkmcnt(1)
	v_mul_f64 v[126:127], v[73:74], v[85:86]
	v_mul_f64 v[85:86], v[75:76], v[85:86]
	s_waitcnt vmcnt(42)
	v_fma_f64 v[91:92], v[81:82], v[148:149], -v[91:92]
	v_add_f64 v[87:88], v[89:90], v[87:88]
	v_fma_f64 v[89:90], v[83:84], v[148:149], v[134:135]
	v_add_f64 v[2:3], v[2:3], v[138:139]
	ds_read_b128 v[81:84], v1 offset:960
	s_waitcnt vmcnt(40) lgkmcnt(1)
	v_mul_f64 v[134:135], v[77:78], v[95:96]
	v_mul_f64 v[95:96], v[79:80], v[95:96]
	s_waitcnt vmcnt(38)
	v_fma_f64 v[85:86], v[73:74], v[142:143], -v[85:86]
	v_add_f64 v[87:88], v[87:88], v[91:92]
	v_fma_f64 v[91:92], v[75:76], v[142:143], v[126:127]
	v_add_f64 v[2:3], v[2:3], v[89:90]
	ds_read_b128 v[73:76], v1 offset:976
	;; [unrolled: 9-line block ×3, first 2 shown]
	s_waitcnt vmcnt(32) lgkmcnt(1)
	v_mul_f64 v[91:92], v[73:74], v[93:94]
	v_mul_f64 v[93:94], v[75:76], v[93:94]
	s_waitcnt vmcnt(30)
	v_fma_f64 v[99:100], v[81:82], v[108:109], -v[99:100]
	v_fma_f64 v[89:90], v[83:84], v[108:109], v[89:90]
	ds_read_b128 v[81:84], v1 offset:1008
	v_add_f64 v[85:86], v[85:86], v[95:96]
	v_add_f64 v[2:3], v[2:3], v[87:88]
	s_waitcnt vmcnt(28) lgkmcnt(1)
	v_mul_f64 v[95:96], v[79:80], v[97:98]
	v_mul_f64 v[87:88], v[77:78], v[97:98]
	s_waitcnt vmcnt(26)
	v_fma_f64 v[93:94], v[73:74], v[112:113], -v[93:94]
	v_fma_f64 v[91:92], v[75:76], v[112:113], v[91:92]
	ds_read_b128 v[73:76], v1 offset:1024
	v_add_f64 v[85:86], v[85:86], v[99:100]
	v_add_f64 v[2:3], v[2:3], v[89:90]
	;; [unrolled: 9-line block ×4, first 2 shown]
	s_waitcnt vmcnt(16) lgkmcnt(1)
	v_mul_f64 v[95:96], v[79:80], v[110:111]
	v_mul_f64 v[87:88], v[77:78], v[110:111]
	s_waitcnt vmcnt(14)
	v_fma_f64 v[73:74], v[73:74], v[124:125], -v[93:94]
	v_fma_f64 v[75:76], v[75:76], v[124:125], v[91:92]
	v_add_f64 v[85:86], v[85:86], v[97:98]
	v_add_f64 v[89:90], v[2:3], v[89:90]
	ds_read_b128 v[1:4], v1 offset:1072
	s_waitcnt vmcnt(12) lgkmcnt(1)
	v_mul_f64 v[93:94], v[83:84], v[114:115]
	v_mul_f64 v[91:92], v[81:82], v[114:115]
	s_waitcnt vmcnt(10)
	v_fma_f64 v[77:78], v[77:78], v[128:129], -v[95:96]
	v_fma_f64 v[79:80], v[79:80], v[128:129], v[87:88]
	v_add_f64 v[73:74], v[85:86], v[73:74]
	v_add_f64 v[75:76], v[89:90], v[75:76]
	s_waitcnt vmcnt(8) lgkmcnt(0)
	v_mul_f64 v[87:88], v[3:4], v[118:119]
	v_mul_f64 v[85:86], v[1:2], v[118:119]
	s_waitcnt vmcnt(6)
	v_fma_f64 v[81:82], v[81:82], v[132:133], -v[93:94]
	v_add_f64 v[73:74], v[73:74], v[77:78]
	v_fma_f64 v[77:78], v[83:84], v[132:133], v[91:92]
	v_add_f64 v[75:76], v[75:76], v[79:80]
	s_waitcnt vmcnt(4)
	v_fma_f64 v[1:2], v[1:2], v[122:123], -v[87:88]
	v_fma_f64 v[3:4], v[3:4], v[122:123], v[85:86]
	v_add_f64 v[73:74], v[73:74], v[81:82]
	v_add_f64 v[75:76], v[75:76], v[77:78]
	;; [unrolled: 1-line block ×4, first 2 shown]
	s_waitcnt vmcnt(2)
	v_add_f64 v[1:2], v[130:131], -v[1:2]
	s_waitcnt vmcnt(0)
	v_add_f64 v[3:4], v[136:137], -v[3:4]
	buffer_store_dword v2, off, s[0:3], 0 offset:100
	buffer_store_dword v1, off, s[0:3], 0 offset:96
	;; [unrolled: 1-line block ×4, first 2 shown]
	v_cmpx_lt_u32_e32 4, v0
	s_cbranch_execz .LBB97_209
; %bb.208:
	v_mov_b32_e32 v4, s42
	v_mov_b32_e32 v73, 0
	s_clause 0x3
	buffer_load_dword v1, v4, s[0:3], 0 offen
	buffer_load_dword v2, v4, s[0:3], 0 offen offset:4
	buffer_load_dword v3, v4, s[0:3], 0 offen offset:8
	;; [unrolled: 1-line block ×3, first 2 shown]
	buffer_store_dword v73, off, s[0:3], 0 offset:80
	buffer_store_dword v73, off, s[0:3], 0 offset:84
	;; [unrolled: 1-line block ×4, first 2 shown]
	s_waitcnt vmcnt(0)
	ds_write_b128 v101, v[1:4]
.LBB97_209:
	s_or_b32 exec_lo, exec_lo, s4
	s_waitcnt lgkmcnt(0)
	s_waitcnt_vscnt null, 0x0
	s_barrier
	buffer_gl0_inv
	s_clause 0x35
	buffer_load_dword v77, off, s[0:3], 0 offset:104
	buffer_load_dword v78, off, s[0:3], 0 offset:108
	;; [unrolled: 1-line block ×54, first 2 shown]
	v_mov_b32_e32 v81, 0
	s_mov_b32 s4, exec_lo
	ds_read_b128 v[82:85], v81 offset:624
	s_clause 0x3
	buffer_load_dword v136, off, s[0:3], 0 offset:328
	buffer_load_dword v137, off, s[0:3], 0 offset:332
	;; [unrolled: 1-line block ×4, first 2 shown]
	ds_read_b128 v[86:89], v81 offset:640
	s_clause 0x3
	buffer_load_dword v145, off, s[0:3], 0 offset:348
	buffer_load_dword v144, off, s[0:3], 0 offset:344
	;; [unrolled: 1-line block ×4, first 2 shown]
	s_waitcnt vmcnt(60) lgkmcnt(1)
	v_mul_f64 v[140:141], v[84:85], v[77:78]
	v_mul_f64 v[142:143], v[82:83], v[77:78]
	s_waitcnt vmcnt(58) lgkmcnt(0)
	v_mul_f64 v[148:149], v[88:89], v[73:74]
	ds_read_b128 v[77:80], v81 offset:656
	s_waitcnt vmcnt(56)
	v_fma_f64 v[82:83], v[82:83], v[75:76], -v[140:141]
	v_mul_f64 v[140:141], v[86:87], v[73:74]
	v_fma_f64 v[84:85], v[84:85], v[75:76], v[142:143]
	s_clause 0x3
	buffer_load_dword v142, off, s[0:3], 0 offset:360
	buffer_load_dword v143, off, s[0:3], 0 offset:364
	;; [unrolled: 1-line block ×4, first 2 shown]
	s_waitcnt vmcnt(58) lgkmcnt(0)
	v_mul_f64 v[154:155], v[79:80], v[3:4]
	s_waitcnt vmcnt(56)
	v_fma_f64 v[86:87], v[86:87], v[1:2], -v[148:149]
	ds_read_b128 v[73:76], v81 offset:672
	v_mul_f64 v[152:153], v[77:78], v[3:4]
	v_add_f64 v[82:83], v[82:83], 0
	v_fma_f64 v[88:89], v[88:89], v[1:2], v[140:141]
	v_add_f64 v[84:85], v[84:85], 0
	s_clause 0x3
	buffer_load_dword v141, off, s[0:3], 0 offset:380
	buffer_load_dword v140, off, s[0:3], 0 offset:376
	;; [unrolled: 1-line block ×4, first 2 shown]
	s_waitcnt vmcnt(58) lgkmcnt(0)
	v_mul_f64 v[156:157], v[73:74], v[90:91]
	v_mul_f64 v[90:91], v[75:76], v[90:91]
	s_waitcnt vmcnt(56)
	v_fma_f64 v[154:155], v[77:78], v[92:93], -v[154:155]
	ds_read_b128 v[1:4], v81 offset:688
	v_add_f64 v[82:83], v[82:83], v[86:87]
	v_fma_f64 v[86:87], v[79:80], v[92:93], v[152:153]
	v_add_f64 v[84:85], v[84:85], v[88:89]
	s_clause 0x3
	buffer_load_dword v88, off, s[0:3], 0 offset:392
	buffer_load_dword v89, off, s[0:3], 0 offset:396
	;; [unrolled: 1-line block ×4, first 2 shown]
	ds_read_b128 v[77:80], v81 offset:704
	s_waitcnt vmcnt(58) lgkmcnt(1)
	v_mul_f64 v[152:153], v[1:2], v[94:95]
	v_mul_f64 v[94:95], v[3:4], v[94:95]
	s_waitcnt vmcnt(56)
	v_fma_f64 v[90:91], v[73:74], v[96:97], -v[90:91]
	v_fma_f64 v[96:97], v[75:76], v[96:97], v[156:157]
	v_add_f64 v[82:83], v[82:83], v[154:155]
	v_add_f64 v[84:85], v[84:85], v[86:87]
	s_clause 0x3
	buffer_load_dword v87, off, s[0:3], 0 offset:412
	buffer_load_dword v86, off, s[0:3], 0 offset:408
	buffer_load_dword v154, off, s[0:3], 0 offset:384
	buffer_load_dword v155, off, s[0:3], 0 offset:388
	s_waitcnt vmcnt(58) lgkmcnt(0)
	v_mul_f64 v[156:157], v[77:78], v[98:99]
	v_mul_f64 v[98:99], v[79:80], v[98:99]
	s_waitcnt vmcnt(56)
	v_fma_f64 v[94:95], v[1:2], v[102:103], -v[94:95]
	ds_read_b128 v[73:76], v81 offset:720
	v_add_f64 v[82:83], v[82:83], v[90:91]
	v_fma_f64 v[90:91], v[3:4], v[102:103], v[152:153]
	v_add_f64 v[84:85], v[84:85], v[96:97]
	s_clause 0x3
	buffer_load_dword v96, off, s[0:3], 0 offset:424
	buffer_load_dword v97, off, s[0:3], 0 offset:428
	buffer_load_dword v103, off, s[0:3], 0 offset:404
	buffer_load_dword v102, off, s[0:3], 0 offset:400
	ds_read_b128 v[1:4], v81 offset:736
	s_waitcnt vmcnt(58) lgkmcnt(1)
	v_mul_f64 v[152:153], v[73:74], v[104:105]
	v_mul_f64 v[104:105], v[75:76], v[104:105]
	s_waitcnt vmcnt(56)
	v_fma_f64 v[98:99], v[77:78], v[106:107], -v[98:99]
	v_add_f64 v[82:83], v[82:83], v[94:95]
	v_fma_f64 v[94:95], v[79:80], v[106:107], v[156:157]
	v_add_f64 v[84:85], v[84:85], v[90:91]
	s_clause 0x3
	buffer_load_dword v91, off, s[0:3], 0 offset:444
	buffer_load_dword v90, off, s[0:3], 0 offset:440
	buffer_load_dword v106, off, s[0:3], 0 offset:416
	buffer_load_dword v107, off, s[0:3], 0 offset:420
	s_waitcnt vmcnt(58) lgkmcnt(0)
	v_mul_f64 v[156:157], v[1:2], v[108:109]
	v_mul_f64 v[108:109], v[3:4], v[108:109]
	s_waitcnt vmcnt(56)
	v_fma_f64 v[104:105], v[73:74], v[110:111], -v[104:105]
	ds_read_b128 v[77:80], v81 offset:752
	v_add_f64 v[82:83], v[82:83], v[98:99]
	v_fma_f64 v[98:99], v[75:76], v[110:111], v[152:153]
	v_add_f64 v[84:85], v[84:85], v[94:95]
	s_clause 0x3
	buffer_load_dword v94, off, s[0:3], 0 offset:456
	buffer_load_dword v95, off, s[0:3], 0 offset:460
	buffer_load_dword v111, off, s[0:3], 0 offset:436
	buffer_load_dword v110, off, s[0:3], 0 offset:432
	ds_read_b128 v[73:76], v81 offset:768
	s_waitcnt vmcnt(58) lgkmcnt(1)
	v_mul_f64 v[152:153], v[77:78], v[112:113]
	v_mul_f64 v[112:113], v[79:80], v[112:113]
	s_waitcnt vmcnt(56)
	v_fma_f64 v[108:109], v[1:2], v[114:115], -v[108:109]
	v_add_f64 v[82:83], v[82:83], v[104:105]
	v_fma_f64 v[104:105], v[3:4], v[114:115], v[156:157]
	;; [unrolled: 28-line block ×5, first 2 shown]
	v_add_f64 v[84:85], v[84:85], v[124:125]
	s_clause 0x1
	buffer_load_dword v124, off, s[0:3], 0 offset:544
	buffer_load_dword v125, off, s[0:3], 0 offset:548
	s_waitcnt vmcnt(56) lgkmcnt(0)
	v_mul_f64 v[138:139], v[73:74], v[144:145]
	v_mul_f64 v[144:145], v[75:76], v[144:145]
	s_waitcnt vmcnt(54)
	v_fma_f64 v[136:137], v[77:78], v[146:147], -v[136:137]
	ds_read_b128 v[1:4], v81 offset:880
	v_add_f64 v[82:83], v[82:83], v[132:133]
	v_fma_f64 v[132:133], v[79:80], v[146:147], v[152:153]
	v_add_f64 v[84:85], v[84:85], v[128:129]
	ds_read_b128 v[77:80], v81 offset:896
	s_waitcnt vmcnt(52) lgkmcnt(1)
	v_mul_f64 v[128:129], v[1:2], v[142:143]
	v_mul_f64 v[142:143], v[3:4], v[142:143]
	s_waitcnt vmcnt(50)
	v_fma_f64 v[144:145], v[73:74], v[150:151], -v[144:145]
	v_add_f64 v[82:83], v[82:83], v[136:137]
	v_fma_f64 v[136:137], v[75:76], v[150:151], v[138:139]
	v_add_f64 v[84:85], v[84:85], v[132:133]
	s_clause 0x3
	buffer_load_dword v132, off, s[0:3], 0 offset:80
	buffer_load_dword v133, off, s[0:3], 0 offset:84
	buffer_load_dword v138, off, s[0:3], 0 offset:88
	buffer_load_dword v139, off, s[0:3], 0 offset:92
	ds_read_b128 v[73:76], v81 offset:912
	s_waitcnt vmcnt(52) lgkmcnt(1)
	v_mul_f64 v[146:147], v[77:78], v[140:141]
	v_mul_f64 v[140:141], v[79:80], v[140:141]
	s_waitcnt vmcnt(50)
	v_fma_f64 v[142:143], v[1:2], v[148:149], -v[142:143]
	v_fma_f64 v[128:129], v[3:4], v[148:149], v[128:129]
	ds_read_b128 v[1:4], v81 offset:928
	v_add_f64 v[82:83], v[82:83], v[144:145]
	v_add_f64 v[84:85], v[84:85], v[136:137]
	s_waitcnt vmcnt(48) lgkmcnt(1)
	v_mul_f64 v[136:137], v[73:74], v[88:89]
	v_mul_f64 v[88:89], v[75:76], v[88:89]
	s_waitcnt vmcnt(46)
	v_fma_f64 v[140:141], v[77:78], v[92:93], -v[140:141]
	v_fma_f64 v[92:93], v[79:80], v[92:93], v[146:147]
	ds_read_b128 v[77:80], v81 offset:944
	v_add_f64 v[82:83], v[82:83], v[142:143]
	v_add_f64 v[84:85], v[84:85], v[128:129]
	s_waitcnt vmcnt(44) lgkmcnt(1)
	v_mul_f64 v[128:129], v[1:2], v[86:87]
	v_mul_f64 v[86:87], v[3:4], v[86:87]
	s_waitcnt vmcnt(42)
	v_fma_f64 v[88:89], v[73:74], v[154:155], -v[88:89]
	v_fma_f64 v[136:137], v[75:76], v[154:155], v[136:137]
	ds_read_b128 v[73:76], v81 offset:960
	v_add_f64 v[82:83], v[82:83], v[140:141]
	v_add_f64 v[84:85], v[84:85], v[92:93]
	s_waitcnt vmcnt(40) lgkmcnt(1)
	v_mul_f64 v[92:93], v[77:78], v[96:97]
	v_mul_f64 v[96:97], v[79:80], v[96:97]
	s_waitcnt vmcnt(38)
	v_fma_f64 v[86:87], v[1:2], v[102:103], -v[86:87]
	v_add_f64 v[82:83], v[82:83], v[88:89]
	v_fma_f64 v[88:89], v[3:4], v[102:103], v[128:129]
	v_add_f64 v[84:85], v[84:85], v[136:137]
	ds_read_b128 v[1:4], v81 offset:976
	s_waitcnt vmcnt(36) lgkmcnt(1)
	v_mul_f64 v[102:103], v[73:74], v[90:91]
	v_mul_f64 v[90:91], v[75:76], v[90:91]
	s_waitcnt vmcnt(34)
	v_fma_f64 v[96:97], v[77:78], v[106:107], -v[96:97]
	v_add_f64 v[82:83], v[82:83], v[86:87]
	v_fma_f64 v[86:87], v[79:80], v[106:107], v[92:93]
	v_add_f64 v[84:85], v[84:85], v[88:89]
	ds_read_b128 v[77:80], v81 offset:992
	s_waitcnt vmcnt(32) lgkmcnt(1)
	v_mul_f64 v[92:93], v[3:4], v[94:95]
	v_mul_f64 v[88:89], v[1:2], v[94:95]
	s_waitcnt vmcnt(30)
	v_fma_f64 v[90:91], v[73:74], v[110:111], -v[90:91]
	v_fma_f64 v[94:95], v[75:76], v[110:111], v[102:103]
	ds_read_b128 v[73:76], v81 offset:1008
	v_add_f64 v[82:83], v[82:83], v[96:97]
	v_add_f64 v[84:85], v[84:85], v[86:87]
	s_waitcnt vmcnt(28) lgkmcnt(1)
	v_mul_f64 v[96:97], v[79:80], v[98:99]
	v_mul_f64 v[86:87], v[77:78], v[98:99]
	s_waitcnt vmcnt(26)
	v_fma_f64 v[92:93], v[1:2], v[114:115], -v[92:93]
	v_fma_f64 v[88:89], v[3:4], v[114:115], v[88:89]
	ds_read_b128 v[1:4], v81 offset:1024
	v_add_f64 v[82:83], v[82:83], v[90:91]
	v_add_f64 v[84:85], v[84:85], v[94:95]
	;; [unrolled: 9-line block ×5, first 2 shown]
	s_waitcnt vmcnt(12) lgkmcnt(1)
	v_mul_f64 v[94:95], v[75:76], v[116:117]
	v_mul_f64 v[90:91], v[73:74], v[116:117]
	s_waitcnt vmcnt(10)
	v_fma_f64 v[77:78], v[77:78], v[130:131], -v[96:97]
	v_fma_f64 v[79:80], v[79:80], v[130:131], v[86:87]
	v_add_f64 v[82:83], v[82:83], v[92:93]
	v_add_f64 v[84:85], v[84:85], v[88:89]
	s_waitcnt vmcnt(8) lgkmcnt(0)
	v_mul_f64 v[88:89], v[3:4], v[120:121]
	v_mul_f64 v[86:87], v[1:2], v[120:121]
	s_waitcnt vmcnt(6)
	v_fma_f64 v[73:74], v[73:74], v[134:135], -v[94:95]
	v_fma_f64 v[75:76], v[75:76], v[134:135], v[90:91]
	v_add_f64 v[77:78], v[82:83], v[77:78]
	v_add_f64 v[79:80], v[84:85], v[79:80]
	s_waitcnt vmcnt(4)
	v_fma_f64 v[1:2], v[1:2], v[124:125], -v[88:89]
	v_fma_f64 v[3:4], v[3:4], v[124:125], v[86:87]
	v_add_f64 v[73:74], v[77:78], v[73:74]
	v_add_f64 v[75:76], v[79:80], v[75:76]
	;; [unrolled: 1-line block ×4, first 2 shown]
	s_waitcnt vmcnt(2)
	v_add_f64 v[1:2], v[132:133], -v[1:2]
	s_waitcnt vmcnt(0)
	v_add_f64 v[3:4], v[138:139], -v[3:4]
	buffer_store_dword v2, off, s[0:3], 0 offset:84
	buffer_store_dword v1, off, s[0:3], 0 offset:80
	;; [unrolled: 1-line block ×4, first 2 shown]
	v_cmpx_lt_u32_e32 3, v0
	s_cbranch_execz .LBB97_211
; %bb.210:
	v_mov_b32_e32 v4, s43
	s_clause 0x3
	buffer_load_dword v1, v4, s[0:3], 0 offen
	buffer_load_dword v2, v4, s[0:3], 0 offen offset:4
	buffer_load_dword v3, v4, s[0:3], 0 offen offset:8
	;; [unrolled: 1-line block ×3, first 2 shown]
	buffer_store_dword v81, off, s[0:3], 0 offset:64
	buffer_store_dword v81, off, s[0:3], 0 offset:68
	;; [unrolled: 1-line block ×4, first 2 shown]
	s_waitcnt vmcnt(0)
	ds_write_b128 v101, v[1:4]
.LBB97_211:
	s_or_b32 exec_lo, exec_lo, s4
	s_waitcnt lgkmcnt(0)
	s_waitcnt_vscnt null, 0x0
	s_barrier
	buffer_gl0_inv
	s_clause 0x35
	buffer_load_dword v77, off, s[0:3], 0 offset:88
	buffer_load_dword v78, off, s[0:3], 0 offset:92
	;; [unrolled: 1-line block ×54, first 2 shown]
	ds_read_b128 v[82:85], v81 offset:608
	s_clause 0x3
	buffer_load_dword v138, off, s[0:3], 0 offset:312
	buffer_load_dword v139, off, s[0:3], 0 offset:316
	;; [unrolled: 1-line block ×4, first 2 shown]
	ds_read_b128 v[86:89], v81 offset:624
	s_clause 0x3
	buffer_load_dword v145, off, s[0:3], 0 offset:332
	buffer_load_dword v144, off, s[0:3], 0 offset:328
	;; [unrolled: 1-line block ×4, first 2 shown]
	ds_read_b128 v[90:93], v81 offset:640
	s_mov_b32 s4, exec_lo
	s_waitcnt vmcnt(60) lgkmcnt(2)
	v_mul_f64 v[142:143], v[84:85], v[77:78]
	v_mul_f64 v[77:78], v[82:83], v[77:78]
	s_waitcnt vmcnt(58) lgkmcnt(1)
	v_mul_f64 v[148:149], v[88:89], v[73:74]
	s_waitcnt vmcnt(54) lgkmcnt(0)
	v_mul_f64 v[154:155], v[92:93], v[3:4]
	v_mul_f64 v[152:153], v[90:91], v[3:4]
	v_fma_f64 v[82:83], v[82:83], v[75:76], -v[142:143]
	v_mul_f64 v[142:143], v[86:87], v[73:74]
	v_fma_f64 v[77:78], v[84:85], v[75:76], v[77:78]
	s_clause 0x3
	buffer_load_dword v84, off, s[0:3], 0 offset:344
	buffer_load_dword v85, off, s[0:3], 0 offset:348
	buffer_load_dword v151, off, s[0:3], 0 offset:324
	buffer_load_dword v150, off, s[0:3], 0 offset:320
	s_waitcnt vmcnt(56)
	v_fma_f64 v[86:87], v[86:87], v[1:2], -v[148:149]
	ds_read_b128 v[73:76], v81 offset:656
	s_waitcnt vmcnt(52)
	v_fma_f64 v[90:91], v[90:91], v[94:95], -v[154:155]
	v_add_f64 v[82:83], v[82:83], 0
	v_fma_f64 v[88:89], v[88:89], v[1:2], v[142:143]
	v_add_f64 v[77:78], v[77:78], 0
	s_clause 0x3
	buffer_load_dword v143, off, s[0:3], 0 offset:364
	buffer_load_dword v142, off, s[0:3], 0 offset:360
	;; [unrolled: 1-line block ×4, first 2 shown]
	s_waitcnt lgkmcnt(0)
	v_mul_f64 v[158:159], v[75:76], v[79:80]
	ds_read_b128 v[1:4], v81 offset:672
	v_mul_f64 v[156:157], v[73:74], v[79:80]
	v_add_f64 v[82:83], v[82:83], v[86:87]
	v_fma_f64 v[86:87], v[92:93], v[94:95], v[152:153]
	v_add_f64 v[88:89], v[77:78], v[88:89]
	s_clause 0x3
	buffer_load_dword v92, off, s[0:3], 0 offset:376
	buffer_load_dword v93, off, s[0:3], 0 offset:380
	;; [unrolled: 1-line block ×4, first 2 shown]
	s_waitcnt vmcnt(58) lgkmcnt(0)
	v_mul_f64 v[152:153], v[1:2], v[96:97]
	v_mul_f64 v[96:97], v[3:4], v[96:97]
	s_waitcnt vmcnt(56)
	v_fma_f64 v[154:155], v[73:74], v[98:99], -v[158:159]
	ds_read_b128 v[77:80], v81 offset:688
	v_add_f64 v[82:83], v[82:83], v[90:91]
	v_fma_f64 v[90:91], v[75:76], v[98:99], v[156:157]
	v_add_f64 v[86:87], v[88:89], v[86:87]
	s_clause 0x3
	buffer_load_dword v89, off, s[0:3], 0 offset:396
	buffer_load_dword v88, off, s[0:3], 0 offset:392
	;; [unrolled: 1-line block ×4, first 2 shown]
	ds_read_b128 v[73:76], v81 offset:704
	s_waitcnt vmcnt(58) lgkmcnt(1)
	v_mul_f64 v[156:157], v[77:78], v[102:103]
	v_mul_f64 v[102:103], v[79:80], v[102:103]
	s_waitcnt vmcnt(56)
	v_fma_f64 v[96:97], v[1:2], v[104:105], -v[96:97]
	v_fma_f64 v[104:105], v[3:4], v[104:105], v[152:153]
	v_add_f64 v[82:83], v[82:83], v[154:155]
	v_add_f64 v[86:87], v[86:87], v[90:91]
	s_clause 0x3
	buffer_load_dword v90, off, s[0:3], 0 offset:408
	buffer_load_dword v91, off, s[0:3], 0 offset:412
	buffer_load_dword v153, off, s[0:3], 0 offset:388
	buffer_load_dword v152, off, s[0:3], 0 offset:384
	s_waitcnt vmcnt(58) lgkmcnt(0)
	v_mul_f64 v[154:155], v[73:74], v[106:107]
	v_mul_f64 v[106:107], v[75:76], v[106:107]
	s_waitcnt vmcnt(56)
	v_fma_f64 v[102:103], v[77:78], v[108:109], -v[102:103]
	ds_read_b128 v[1:4], v81 offset:720
	v_add_f64 v[82:83], v[82:83], v[96:97]
	v_fma_f64 v[96:97], v[79:80], v[108:109], v[156:157]
	v_add_f64 v[86:87], v[86:87], v[104:105]
	s_clause 0x3
	buffer_load_dword v105, off, s[0:3], 0 offset:428
	buffer_load_dword v104, off, s[0:3], 0 offset:424
	buffer_load_dword v108, off, s[0:3], 0 offset:400
	buffer_load_dword v109, off, s[0:3], 0 offset:404
	ds_read_b128 v[77:80], v81 offset:736
	s_waitcnt vmcnt(58) lgkmcnt(1)
	v_mul_f64 v[156:157], v[1:2], v[110:111]
	v_mul_f64 v[110:111], v[3:4], v[110:111]
	s_waitcnt vmcnt(56)
	v_fma_f64 v[106:107], v[73:74], v[112:113], -v[106:107]
	v_add_f64 v[82:83], v[82:83], v[102:103]
	v_fma_f64 v[102:103], v[75:76], v[112:113], v[154:155]
	v_add_f64 v[86:87], v[86:87], v[96:97]
	s_clause 0x3
	buffer_load_dword v96, off, s[0:3], 0 offset:440
	buffer_load_dword v97, off, s[0:3], 0 offset:444
	buffer_load_dword v113, off, s[0:3], 0 offset:420
	buffer_load_dword v112, off, s[0:3], 0 offset:416
	s_waitcnt vmcnt(58) lgkmcnt(0)
	v_mul_f64 v[154:155], v[77:78], v[114:115]
	v_mul_f64 v[114:115], v[79:80], v[114:115]
	s_waitcnt vmcnt(56)
	v_fma_f64 v[110:111], v[1:2], v[116:117], -v[110:111]
	ds_read_b128 v[73:76], v81 offset:752
	v_add_f64 v[82:83], v[82:83], v[106:107]
	v_fma_f64 v[106:107], v[3:4], v[116:117], v[156:157]
	v_add_f64 v[86:87], v[86:87], v[102:103]
	s_clause 0x3
	buffer_load_dword v103, off, s[0:3], 0 offset:460
	buffer_load_dword v102, off, s[0:3], 0 offset:456
	buffer_load_dword v116, off, s[0:3], 0 offset:432
	buffer_load_dword v117, off, s[0:3], 0 offset:436
	ds_read_b128 v[1:4], v81 offset:768
	s_waitcnt vmcnt(58) lgkmcnt(1)
	v_mul_f64 v[156:157], v[73:74], v[118:119]
	v_mul_f64 v[118:119], v[75:76], v[118:119]
	s_waitcnt vmcnt(56)
	v_fma_f64 v[114:115], v[77:78], v[120:121], -v[114:115]
	v_add_f64 v[82:83], v[82:83], v[110:111]
	v_fma_f64 v[110:111], v[79:80], v[120:121], v[154:155]
	;; [unrolled: 28-line block ×5, first 2 shown]
	v_add_f64 v[86:87], v[86:87], v[130:131]
	s_clause 0x1
	buffer_load_dword v131, off, s[0:3], 0 offset:548
	buffer_load_dword v130, off, s[0:3], 0 offset:544
	ds_read_b128 v[77:80], v81 offset:880
	s_waitcnt vmcnt(56) lgkmcnt(1)
	v_mul_f64 v[146:147], v[1:2], v[84:85]
	v_mul_f64 v[84:85], v[3:4], v[84:85]
	s_waitcnt vmcnt(54)
	v_fma_f64 v[144:145], v[73:74], v[150:151], -v[144:145]
	v_add_f64 v[82:83], v[82:83], v[138:139]
	v_fma_f64 v[138:139], v[75:76], v[150:151], v[156:157]
	v_add_f64 v[86:87], v[86:87], v[134:135]
	ds_read_b128 v[73:76], v81 offset:896
	s_waitcnt vmcnt(52) lgkmcnt(1)
	v_mul_f64 v[134:135], v[77:78], v[142:143]
	v_mul_f64 v[142:143], v[79:80], v[142:143]
	s_waitcnt vmcnt(50)
	v_fma_f64 v[84:85], v[1:2], v[148:149], -v[84:85]
	v_add_f64 v[82:83], v[82:83], v[144:145]
	v_fma_f64 v[144:145], v[3:4], v[148:149], v[146:147]
	v_add_f64 v[86:87], v[86:87], v[138:139]
	s_clause 0x3
	buffer_load_dword v138, off, s[0:3], 0 offset:64
	buffer_load_dword v139, off, s[0:3], 0 offset:68
	;; [unrolled: 1-line block ×4, first 2 shown]
	ds_read_b128 v[1:4], v81 offset:912
	s_waitcnt vmcnt(52) lgkmcnt(1)
	v_mul_f64 v[148:149], v[73:74], v[92:93]
	v_mul_f64 v[92:93], v[75:76], v[92:93]
	s_waitcnt vmcnt(50)
	v_fma_f64 v[142:143], v[77:78], v[94:95], -v[142:143]
	v_add_f64 v[82:83], v[82:83], v[84:85]
	v_fma_f64 v[84:85], v[79:80], v[94:95], v[134:135]
	v_add_f64 v[86:87], v[86:87], v[144:145]
	ds_read_b128 v[77:80], v81 offset:928
	s_waitcnt vmcnt(48) lgkmcnt(1)
	v_mul_f64 v[94:95], v[1:2], v[88:89]
	v_mul_f64 v[88:89], v[3:4], v[88:89]
	s_waitcnt vmcnt(46)
	v_fma_f64 v[92:93], v[73:74], v[98:99], -v[92:93]
	v_fma_f64 v[98:99], v[75:76], v[98:99], v[148:149]
	ds_read_b128 v[73:76], v81 offset:944
	v_add_f64 v[82:83], v[82:83], v[142:143]
	v_add_f64 v[84:85], v[86:87], v[84:85]
	s_waitcnt vmcnt(44) lgkmcnt(1)
	v_mul_f64 v[86:87], v[77:78], v[90:91]
	v_mul_f64 v[90:91], v[79:80], v[90:91]
	s_waitcnt vmcnt(42)
	v_fma_f64 v[88:89], v[1:2], v[152:153], -v[88:89]
	v_add_f64 v[82:83], v[82:83], v[92:93]
	v_fma_f64 v[92:93], v[3:4], v[152:153], v[94:95]
	v_add_f64 v[84:85], v[84:85], v[98:99]
	ds_read_b128 v[1:4], v81 offset:960
	s_waitcnt vmcnt(40) lgkmcnt(1)
	v_mul_f64 v[98:99], v[75:76], v[104:105]
	v_mul_f64 v[94:95], v[73:74], v[104:105]
	s_waitcnt vmcnt(38)
	v_fma_f64 v[90:91], v[77:78], v[108:109], -v[90:91]
	v_fma_f64 v[86:87], v[79:80], v[108:109], v[86:87]
	ds_read_b128 v[77:80], v81 offset:976
	v_add_f64 v[82:83], v[82:83], v[88:89]
	v_add_f64 v[84:85], v[84:85], v[92:93]
	;; [unrolled: 18-line block ×3, first 2 shown]
	s_waitcnt vmcnt(28) lgkmcnt(1)
	v_mul_f64 v[96:97], v[75:76], v[106:107]
	v_mul_f64 v[90:91], v[73:74], v[106:107]
	s_waitcnt vmcnt(26)
	v_fma_f64 v[94:95], v[77:78], v[120:121], -v[94:95]
	v_fma_f64 v[86:87], v[79:80], v[120:121], v[86:87]
	ds_read_b128 v[77:80], v81 offset:1024
	v_add_f64 v[82:83], v[82:83], v[92:93]
	v_add_f64 v[84:85], v[84:85], v[88:89]
	s_waitcnt vmcnt(24) lgkmcnt(1)
	v_mul_f64 v[92:93], v[3:4], v[110:111]
	v_mul_f64 v[88:89], v[1:2], v[110:111]
	s_waitcnt vmcnt(22)
	v_fma_f64 v[96:97], v[73:74], v[124:125], -v[96:97]
	v_fma_f64 v[90:91], v[75:76], v[124:125], v[90:91]
	ds_read_b128 v[73:76], v81 offset:1040
	v_add_f64 v[82:83], v[82:83], v[94:95]
	v_add_f64 v[84:85], v[84:85], v[86:87]
	;; [unrolled: 9-line block ×4, first 2 shown]
	s_waitcnt vmcnt(12) lgkmcnt(1)
	v_mul_f64 v[92:93], v[3:4], v[122:123]
	v_mul_f64 v[88:89], v[1:2], v[122:123]
	s_waitcnt vmcnt(10)
	v_fma_f64 v[73:74], v[73:74], v[136:137], -v[96:97]
	v_fma_f64 v[75:76], v[75:76], v[136:137], v[90:91]
	v_add_f64 v[81:82], v[82:83], v[94:95]
	v_add_f64 v[83:84], v[84:85], v[86:87]
	s_waitcnt vmcnt(8) lgkmcnt(0)
	v_mul_f64 v[90:91], v[79:80], v[126:127]
	v_mul_f64 v[85:86], v[77:78], v[126:127]
	s_waitcnt vmcnt(6)
	v_fma_f64 v[1:2], v[1:2], v[140:141], -v[92:93]
	v_fma_f64 v[3:4], v[3:4], v[140:141], v[88:89]
	v_add_f64 v[73:74], v[81:82], v[73:74]
	v_add_f64 v[75:76], v[83:84], v[75:76]
	s_waitcnt vmcnt(4)
	v_fma_f64 v[77:78], v[77:78], v[130:131], -v[90:91]
	v_add_f64 v[1:2], v[73:74], v[1:2]
	v_fma_f64 v[73:74], v[79:80], v[130:131], v[85:86]
	v_add_f64 v[3:4], v[75:76], v[3:4]
	v_add_f64 v[1:2], v[1:2], v[77:78]
	v_add_f64 v[3:4], v[3:4], v[73:74]
	s_waitcnt vmcnt(2)
	v_add_f64 v[1:2], v[138:139], -v[1:2]
	s_waitcnt vmcnt(0)
	v_add_f64 v[3:4], v[146:147], -v[3:4]
	buffer_store_dword v2, off, s[0:3], 0 offset:68
	buffer_store_dword v1, off, s[0:3], 0 offset:64
	;; [unrolled: 1-line block ×4, first 2 shown]
	v_cmpx_lt_u32_e32 2, v0
	s_cbranch_execz .LBB97_213
; %bb.212:
	v_mov_b32_e32 v4, s44
	v_mov_b32_e32 v73, 0
	s_clause 0x3
	buffer_load_dword v1, v4, s[0:3], 0 offen
	buffer_load_dword v2, v4, s[0:3], 0 offen offset:4
	buffer_load_dword v3, v4, s[0:3], 0 offen offset:8
	;; [unrolled: 1-line block ×3, first 2 shown]
	buffer_store_dword v73, off, s[0:3], 0 offset:48
	buffer_store_dword v73, off, s[0:3], 0 offset:52
	;; [unrolled: 1-line block ×4, first 2 shown]
	s_waitcnt vmcnt(0)
	ds_write_b128 v101, v[1:4]
.LBB97_213:
	s_or_b32 exec_lo, exec_lo, s4
	s_waitcnt lgkmcnt(0)
	s_waitcnt_vscnt null, 0x0
	s_barrier
	buffer_gl0_inv
	s_clause 0x35
	buffer_load_dword v77, off, s[0:3], 0 offset:72
	buffer_load_dword v78, off, s[0:3], 0 offset:76
	buffer_load_dword v73, off, s[0:3], 0 offset:88
	buffer_load_dword v74, off, s[0:3], 0 offset:92
	buffer_load_dword v75, off, s[0:3], 0 offset:64
	buffer_load_dword v76, off, s[0:3], 0 offset:68
	buffer_load_dword v3, off, s[0:3], 0 offset:104
	buffer_load_dword v4, off, s[0:3], 0 offset:108
	buffer_load_dword v1, off, s[0:3], 0 offset:80
	buffer_load_dword v2, off, s[0:3], 0 offset:84
	buffer_load_dword v80, off, s[0:3], 0 offset:124
	buffer_load_dword v79, off, s[0:3], 0 offset:120
	buffer_load_dword v87, off, s[0:3], 0 offset:96
	buffer_load_dword v88, off, s[0:3], 0 offset:100
	buffer_load_dword v83, off, s[0:3], 0 offset:136
	buffer_load_dword v84, off, s[0:3], 0 offset:140
	buffer_load_dword v82, off, s[0:3], 0 offset:116
	buffer_load_dword v81, off, s[0:3], 0 offset:112
	buffer_load_dword v86, off, s[0:3], 0 offset:156
	buffer_load_dword v85, off, s[0:3], 0 offset:152
	buffer_load_dword v103, off, s[0:3], 0 offset:128
	buffer_load_dword v104, off, s[0:3], 0 offset:132
	buffer_load_dword v105, off, s[0:3], 0 offset:168
	buffer_load_dword v106, off, s[0:3], 0 offset:172
	buffer_load_dword v108, off, s[0:3], 0 offset:148
	buffer_load_dword v107, off, s[0:3], 0 offset:144
	buffer_load_dword v110, off, s[0:3], 0 offset:188
	buffer_load_dword v109, off, s[0:3], 0 offset:184
	buffer_load_dword v111, off, s[0:3], 0 offset:160
	buffer_load_dword v112, off, s[0:3], 0 offset:164
	buffer_load_dword v113, off, s[0:3], 0 offset:200
	buffer_load_dword v114, off, s[0:3], 0 offset:204
	buffer_load_dword v116, off, s[0:3], 0 offset:180
	buffer_load_dword v115, off, s[0:3], 0 offset:176
	buffer_load_dword v118, off, s[0:3], 0 offset:220
	buffer_load_dword v117, off, s[0:3], 0 offset:216
	buffer_load_dword v119, off, s[0:3], 0 offset:192
	buffer_load_dword v120, off, s[0:3], 0 offset:196
	buffer_load_dword v121, off, s[0:3], 0 offset:232
	buffer_load_dword v122, off, s[0:3], 0 offset:236
	buffer_load_dword v124, off, s[0:3], 0 offset:212
	buffer_load_dword v123, off, s[0:3], 0 offset:208
	buffer_load_dword v126, off, s[0:3], 0 offset:252
	buffer_load_dword v125, off, s[0:3], 0 offset:248
	buffer_load_dword v127, off, s[0:3], 0 offset:224
	buffer_load_dword v128, off, s[0:3], 0 offset:228
	buffer_load_dword v129, off, s[0:3], 0 offset:264
	buffer_load_dword v130, off, s[0:3], 0 offset:268
	buffer_load_dword v132, off, s[0:3], 0 offset:244
	buffer_load_dword v131, off, s[0:3], 0 offset:240
	buffer_load_dword v134, off, s[0:3], 0 offset:284
	buffer_load_dword v133, off, s[0:3], 0 offset:280
	buffer_load_dword v135, off, s[0:3], 0 offset:256
	buffer_load_dword v136, off, s[0:3], 0 offset:260
	v_mov_b32_e32 v102, 0
	s_mov_b32 s4, exec_lo
	ds_read_b128 v[89:92], v102 offset:592
	s_clause 0x3
	buffer_load_dword v137, off, s[0:3], 0 offset:296
	buffer_load_dword v138, off, s[0:3], 0 offset:300
	;; [unrolled: 1-line block ×4, first 2 shown]
	ds_read_b128 v[93:96], v102 offset:608
	s_clause 0x3
	buffer_load_dword v144, off, s[0:3], 0 offset:316
	buffer_load_dword v143, off, s[0:3], 0 offset:312
	;; [unrolled: 1-line block ×4, first 2 shown]
	ds_read_b128 v[97:100], v102 offset:624
	s_waitcnt vmcnt(60) lgkmcnt(2)
	v_mul_f64 v[141:142], v[91:92], v[77:78]
	v_mul_f64 v[77:78], v[89:90], v[77:78]
	s_waitcnt vmcnt(58) lgkmcnt(1)
	v_mul_f64 v[147:148], v[95:96], v[73:74]
	s_waitcnt vmcnt(54) lgkmcnt(0)
	v_mul_f64 v[153:154], v[99:100], v[3:4]
	v_mul_f64 v[151:152], v[97:98], v[3:4]
	v_fma_f64 v[89:90], v[89:90], v[75:76], -v[141:142]
	v_mul_f64 v[141:142], v[93:94], v[73:74]
	v_fma_f64 v[77:78], v[91:92], v[75:76], v[77:78]
	s_clause 0x3
	buffer_load_dword v91, off, s[0:3], 0 offset:328
	buffer_load_dword v92, off, s[0:3], 0 offset:332
	;; [unrolled: 1-line block ×4, first 2 shown]
	s_waitcnt vmcnt(56)
	v_fma_f64 v[93:94], v[93:94], v[1:2], -v[147:148]
	ds_read_b128 v[73:76], v102 offset:640
	s_waitcnt vmcnt(52)
	v_fma_f64 v[97:98], v[97:98], v[87:88], -v[153:154]
	v_fma_f64 v[87:88], v[99:100], v[87:88], v[151:152]
	v_add_f64 v[89:90], v[89:90], 0
	v_fma_f64 v[95:96], v[95:96], v[1:2], v[141:142]
	v_add_f64 v[77:78], v[77:78], 0
	s_clause 0x3
	buffer_load_dword v142, off, s[0:3], 0 offset:348
	buffer_load_dword v141, off, s[0:3], 0 offset:344
	;; [unrolled: 1-line block ×4, first 2 shown]
	s_waitcnt lgkmcnt(0)
	v_mul_f64 v[157:158], v[75:76], v[79:80]
	ds_read_b128 v[1:4], v102 offset:656
	v_mul_f64 v[155:156], v[73:74], v[79:80]
	v_add_f64 v[89:90], v[89:90], v[93:94]
	v_add_f64 v[93:94], v[77:78], v[95:96]
	s_clause 0x3
	buffer_load_dword v95, off, s[0:3], 0 offset:360
	buffer_load_dword v96, off, s[0:3], 0 offset:364
	;; [unrolled: 1-line block ×4, first 2 shown]
	s_waitcnt vmcnt(58) lgkmcnt(0)
	v_mul_f64 v[151:152], v[1:2], v[83:84]
	v_mul_f64 v[83:84], v[3:4], v[83:84]
	s_waitcnt vmcnt(56)
	v_fma_f64 v[153:154], v[73:74], v[81:82], -v[157:158]
	ds_read_b128 v[77:80], v102 offset:672
	v_fma_f64 v[81:82], v[75:76], v[81:82], v[155:156]
	v_add_f64 v[89:90], v[89:90], v[97:98]
	v_add_f64 v[87:88], v[93:94], v[87:88]
	s_clause 0x3
	buffer_load_dword v94, off, s[0:3], 0 offset:380
	buffer_load_dword v93, off, s[0:3], 0 offset:376
	;; [unrolled: 1-line block ×4, first 2 shown]
	ds_read_b128 v[73:76], v102 offset:688
	s_waitcnt vmcnt(58) lgkmcnt(1)
	v_mul_f64 v[155:156], v[77:78], v[85:86]
	v_mul_f64 v[85:86], v[79:80], v[85:86]
	s_waitcnt vmcnt(56)
	v_fma_f64 v[83:84], v[1:2], v[103:104], -v[83:84]
	v_fma_f64 v[103:104], v[3:4], v[103:104], v[151:152]
	v_add_f64 v[89:90], v[89:90], v[153:154]
	v_add_f64 v[81:82], v[87:88], v[81:82]
	s_clause 0x3
	buffer_load_dword v87, off, s[0:3], 0 offset:392
	buffer_load_dword v88, off, s[0:3], 0 offset:396
	buffer_load_dword v152, off, s[0:3], 0 offset:372
	buffer_load_dword v151, off, s[0:3], 0 offset:368
	s_waitcnt vmcnt(58) lgkmcnt(0)
	v_mul_f64 v[153:154], v[73:74], v[105:106]
	v_mul_f64 v[105:106], v[75:76], v[105:106]
	s_waitcnt vmcnt(56)
	v_fma_f64 v[85:86], v[77:78], v[107:108], -v[85:86]
	ds_read_b128 v[1:4], v102 offset:704
	v_add_f64 v[83:84], v[89:90], v[83:84]
	v_fma_f64 v[89:90], v[79:80], v[107:108], v[155:156]
	v_add_f64 v[81:82], v[81:82], v[103:104]
	s_clause 0x3
	buffer_load_dword v104, off, s[0:3], 0 offset:412
	buffer_load_dword v103, off, s[0:3], 0 offset:408
	buffer_load_dword v107, off, s[0:3], 0 offset:384
	buffer_load_dword v108, off, s[0:3], 0 offset:388
	ds_read_b128 v[77:80], v102 offset:720
	s_waitcnt vmcnt(58) lgkmcnt(1)
	v_mul_f64 v[155:156], v[1:2], v[109:110]
	v_mul_f64 v[109:110], v[3:4], v[109:110]
	s_waitcnt vmcnt(56)
	v_fma_f64 v[105:106], v[73:74], v[111:112], -v[105:106]
	v_add_f64 v[83:84], v[83:84], v[85:86]
	v_fma_f64 v[85:86], v[75:76], v[111:112], v[153:154]
	v_add_f64 v[81:82], v[81:82], v[89:90]
	s_clause 0x3
	buffer_load_dword v89, off, s[0:3], 0 offset:424
	buffer_load_dword v90, off, s[0:3], 0 offset:428
	buffer_load_dword v112, off, s[0:3], 0 offset:404
	buffer_load_dword v111, off, s[0:3], 0 offset:400
	s_waitcnt vmcnt(58) lgkmcnt(0)
	v_mul_f64 v[153:154], v[77:78], v[113:114]
	v_mul_f64 v[113:114], v[79:80], v[113:114]
	s_waitcnt vmcnt(56)
	v_fma_f64 v[109:110], v[1:2], v[115:116], -v[109:110]
	ds_read_b128 v[73:76], v102 offset:736
	v_add_f64 v[83:84], v[83:84], v[105:106]
	v_fma_f64 v[105:106], v[3:4], v[115:116], v[155:156]
	v_add_f64 v[81:82], v[81:82], v[85:86]
	s_clause 0x3
	buffer_load_dword v86, off, s[0:3], 0 offset:444
	buffer_load_dword v85, off, s[0:3], 0 offset:440
	buffer_load_dword v115, off, s[0:3], 0 offset:416
	buffer_load_dword v116, off, s[0:3], 0 offset:420
	ds_read_b128 v[1:4], v102 offset:752
	s_waitcnt vmcnt(58) lgkmcnt(1)
	v_mul_f64 v[155:156], v[73:74], v[117:118]
	v_mul_f64 v[117:118], v[75:76], v[117:118]
	s_waitcnt vmcnt(56)
	v_fma_f64 v[113:114], v[77:78], v[119:120], -v[113:114]
	v_add_f64 v[83:84], v[83:84], v[109:110]
	v_fma_f64 v[109:110], v[79:80], v[119:120], v[153:154]
	;; [unrolled: 28-line block ×5, first 2 shown]
	v_add_f64 v[81:82], v[81:82], v[129:130]
	s_clause 0x3
	buffer_load_dword v129, off, s[0:3], 0 offset:552
	buffer_load_dword v130, off, s[0:3], 0 offset:556
	;; [unrolled: 1-line block ×4, first 2 shown]
	ds_read_b128 v[77:80], v102 offset:864
	s_waitcnt vmcnt(58) lgkmcnt(1)
	v_mul_f64 v[153:154], v[1:2], v[91:92]
	v_mul_f64 v[91:92], v[3:4], v[91:92]
	s_waitcnt vmcnt(56)
	v_fma_f64 v[143:144], v[73:74], v[149:150], -v[143:144]
	v_add_f64 v[83:84], v[83:84], v[137:138]
	v_fma_f64 v[137:138], v[75:76], v[149:150], v[155:156]
	v_add_f64 v[81:82], v[81:82], v[133:134]
	s_clause 0x1
	buffer_load_dword v133, off, s[0:3], 0 offset:544
	buffer_load_dword v134, off, s[0:3], 0 offset:548
	ds_read_b128 v[73:76], v102 offset:880
	s_waitcnt vmcnt(56) lgkmcnt(1)
	v_mul_f64 v[149:150], v[77:78], v[141:142]
	v_mul_f64 v[141:142], v[79:80], v[141:142]
	s_waitcnt vmcnt(54)
	v_fma_f64 v[91:92], v[1:2], v[147:148], -v[91:92]
	v_add_f64 v[83:84], v[83:84], v[143:144]
	v_fma_f64 v[143:144], v[3:4], v[147:148], v[153:154]
	v_add_f64 v[81:82], v[81:82], v[137:138]
	ds_read_b128 v[1:4], v102 offset:896
	s_waitcnt vmcnt(52) lgkmcnt(1)
	v_mul_f64 v[137:138], v[73:74], v[95:96]
	v_mul_f64 v[95:96], v[75:76], v[95:96]
	s_waitcnt vmcnt(50)
	v_fma_f64 v[141:142], v[77:78], v[99:100], -v[141:142]
	v_add_f64 v[83:84], v[83:84], v[91:92]
	v_fma_f64 v[91:92], v[79:80], v[99:100], v[149:150]
	v_add_f64 v[81:82], v[81:82], v[143:144]
	s_clause 0x3
	buffer_load_dword v99, off, s[0:3], 0 offset:48
	buffer_load_dword v100, off, s[0:3], 0 offset:52
	;; [unrolled: 1-line block ×4, first 2 shown]
	ds_read_b128 v[77:80], v102 offset:912
	s_waitcnt vmcnt(52) lgkmcnt(1)
	v_mul_f64 v[147:148], v[1:2], v[93:94]
	v_mul_f64 v[93:94], v[3:4], v[93:94]
	s_waitcnt vmcnt(50)
	v_fma_f64 v[95:96], v[73:74], v[97:98], -v[95:96]
	v_fma_f64 v[97:98], v[75:76], v[97:98], v[137:138]
	ds_read_b128 v[73:76], v102 offset:928
	v_add_f64 v[83:84], v[83:84], v[141:142]
	v_add_f64 v[81:82], v[81:82], v[91:92]
	s_waitcnt vmcnt(48) lgkmcnt(1)
	v_mul_f64 v[91:92], v[77:78], v[87:88]
	v_mul_f64 v[87:88], v[79:80], v[87:88]
	s_waitcnt vmcnt(46)
	v_fma_f64 v[93:94], v[1:2], v[151:152], -v[93:94]
	v_add_f64 v[83:84], v[83:84], v[95:96]
	v_fma_f64 v[95:96], v[3:4], v[151:152], v[147:148]
	v_add_f64 v[81:82], v[81:82], v[97:98]
	ds_read_b128 v[1:4], v102 offset:944
	s_waitcnt vmcnt(44) lgkmcnt(1)
	v_mul_f64 v[97:98], v[73:74], v[103:104]
	v_mul_f64 v[103:104], v[75:76], v[103:104]
	s_waitcnt vmcnt(42)
	v_fma_f64 v[87:88], v[77:78], v[107:108], -v[87:88]
	v_fma_f64 v[91:92], v[79:80], v[107:108], v[91:92]
	ds_read_b128 v[77:80], v102 offset:960
	v_add_f64 v[83:84], v[83:84], v[93:94]
	v_add_f64 v[81:82], v[81:82], v[95:96]
	s_waitcnt vmcnt(40) lgkmcnt(1)
	v_mul_f64 v[93:94], v[1:2], v[89:90]
	v_mul_f64 v[89:90], v[3:4], v[89:90]
	s_waitcnt vmcnt(38)
	v_fma_f64 v[95:96], v[73:74], v[111:112], -v[103:104]
	v_add_f64 v[83:84], v[83:84], v[87:88]
	v_fma_f64 v[87:88], v[75:76], v[111:112], v[97:98]
	v_add_f64 v[81:82], v[81:82], v[91:92]
	ds_read_b128 v[73:76], v102 offset:976
	s_waitcnt vmcnt(36) lgkmcnt(1)
	v_mul_f64 v[91:92], v[77:78], v[85:86]
	v_mul_f64 v[85:86], v[79:80], v[85:86]
	s_waitcnt vmcnt(34)
	v_fma_f64 v[89:90], v[1:2], v[115:116], -v[89:90]
	v_fma_f64 v[93:94], v[3:4], v[115:116], v[93:94]
	ds_read_b128 v[1:4], v102 offset:992
	v_add_f64 v[83:84], v[83:84], v[95:96]
	v_add_f64 v[81:82], v[81:82], v[87:88]
	s_waitcnt vmcnt(32) lgkmcnt(1)
	v_mul_f64 v[95:96], v[75:76], v[105:106]
	v_mul_f64 v[87:88], v[73:74], v[105:106]
	s_waitcnt vmcnt(30)
	v_fma_f64 v[85:86], v[77:78], v[119:120], -v[85:86]
	v_add_f64 v[83:84], v[83:84], v[89:90]
	v_fma_f64 v[89:90], v[79:80], v[119:120], v[91:92]
	v_add_f64 v[81:82], v[81:82], v[93:94]
	ds_read_b128 v[77:80], v102 offset:1008
	s_waitcnt vmcnt(28) lgkmcnt(1)
	v_mul_f64 v[93:94], v[3:4], v[109:110]
	v_mul_f64 v[91:92], v[1:2], v[109:110]
	s_waitcnt vmcnt(26)
	v_fma_f64 v[95:96], v[73:74], v[123:124], -v[95:96]
	v_add_f64 v[83:84], v[83:84], v[85:86]
	v_fma_f64 v[85:86], v[75:76], v[123:124], v[87:88]
	v_add_f64 v[81:82], v[81:82], v[89:90]
	ds_read_b128 v[73:76], v102 offset:1024
	s_waitcnt vmcnt(24) lgkmcnt(1)
	v_mul_f64 v[89:90], v[79:80], v[113:114]
	v_mul_f64 v[87:88], v[77:78], v[113:114]
	s_waitcnt vmcnt(22)
	v_fma_f64 v[93:94], v[1:2], v[127:128], -v[93:94]
	v_fma_f64 v[91:92], v[3:4], v[127:128], v[91:92]
	ds_read_b128 v[1:4], v102 offset:1040
	v_add_f64 v[83:84], v[83:84], v[95:96]
	v_add_f64 v[81:82], v[81:82], v[85:86]
	s_waitcnt vmcnt(20) lgkmcnt(1)
	v_mul_f64 v[95:96], v[75:76], v[117:118]
	v_mul_f64 v[85:86], v[73:74], v[117:118]
	s_waitcnt vmcnt(18)
	v_fma_f64 v[89:90], v[77:78], v[131:132], -v[89:90]
	v_fma_f64 v[87:88], v[79:80], v[131:132], v[87:88]
	ds_read_b128 v[77:80], v102 offset:1056
	v_add_f64 v[83:84], v[83:84], v[93:94]
	v_add_f64 v[81:82], v[81:82], v[91:92]
	;; [unrolled: 9-line block ×3, first 2 shown]
	s_waitcnt vmcnt(12) lgkmcnt(1)
	v_mul_f64 v[89:90], v[79:80], v[125:126]
	v_mul_f64 v[87:88], v[77:78], v[125:126]
	s_waitcnt vmcnt(10)
	v_fma_f64 v[1:2], v[1:2], v[139:140], -v[93:94]
	v_fma_f64 v[3:4], v[3:4], v[139:140], v[91:92]
	v_add_f64 v[83:84], v[83:84], v[95:96]
	v_add_f64 v[81:82], v[81:82], v[85:86]
	s_waitcnt vmcnt(8) lgkmcnt(0)
	v_mul_f64 v[91:92], v[75:76], v[129:130]
	v_mul_f64 v[85:86], v[73:74], v[129:130]
	s_waitcnt vmcnt(6)
	v_fma_f64 v[77:78], v[77:78], v[145:146], -v[89:90]
	v_fma_f64 v[79:80], v[79:80], v[145:146], v[87:88]
	v_add_f64 v[1:2], v[83:84], v[1:2]
	v_add_f64 v[3:4], v[81:82], v[3:4]
	s_waitcnt vmcnt(4)
	v_fma_f64 v[73:74], v[73:74], v[133:134], -v[91:92]
	v_fma_f64 v[75:76], v[75:76], v[133:134], v[85:86]
	v_add_f64 v[1:2], v[1:2], v[77:78]
	v_add_f64 v[3:4], v[3:4], v[79:80]
	;; [unrolled: 1-line block ×4, first 2 shown]
	s_waitcnt vmcnt(2)
	v_add_f64 v[1:2], v[99:100], -v[1:2]
	s_waitcnt vmcnt(0)
	v_add_f64 v[3:4], v[143:144], -v[3:4]
	buffer_store_dword v2, off, s[0:3], 0 offset:52
	buffer_store_dword v1, off, s[0:3], 0 offset:48
	;; [unrolled: 1-line block ×4, first 2 shown]
	v_cmpx_lt_u32_e32 1, v0
	s_cbranch_execz .LBB97_215
; %bb.214:
	v_mov_b32_e32 v4, s45
	s_clause 0x3
	buffer_load_dword v1, v4, s[0:3], 0 offen
	buffer_load_dword v2, v4, s[0:3], 0 offen offset:4
	buffer_load_dword v3, v4, s[0:3], 0 offen offset:8
	;; [unrolled: 1-line block ×3, first 2 shown]
	buffer_store_dword v102, off, s[0:3], 0 offset:32
	buffer_store_dword v102, off, s[0:3], 0 offset:36
	;; [unrolled: 1-line block ×4, first 2 shown]
	s_waitcnt vmcnt(0)
	ds_write_b128 v101, v[1:4]
.LBB97_215:
	s_or_b32 exec_lo, exec_lo, s4
	s_waitcnt lgkmcnt(0)
	s_waitcnt_vscnt null, 0x0
	s_barrier
	buffer_gl0_inv
	s_clause 0x35
	buffer_load_dword v77, off, s[0:3], 0 offset:56
	buffer_load_dword v78, off, s[0:3], 0 offset:60
	buffer_load_dword v73, off, s[0:3], 0 offset:72
	buffer_load_dword v74, off, s[0:3], 0 offset:76
	buffer_load_dword v75, off, s[0:3], 0 offset:48
	buffer_load_dword v76, off, s[0:3], 0 offset:52
	buffer_load_dword v3, off, s[0:3], 0 offset:88
	buffer_load_dword v4, off, s[0:3], 0 offset:92
	buffer_load_dword v1, off, s[0:3], 0 offset:64
	buffer_load_dword v2, off, s[0:3], 0 offset:68
	buffer_load_dword v80, off, s[0:3], 0 offset:108
	buffer_load_dword v79, off, s[0:3], 0 offset:104
	buffer_load_dword v87, off, s[0:3], 0 offset:80
	buffer_load_dword v88, off, s[0:3], 0 offset:84
	buffer_load_dword v83, off, s[0:3], 0 offset:120
	buffer_load_dword v84, off, s[0:3], 0 offset:124
	buffer_load_dword v82, off, s[0:3], 0 offset:100
	buffer_load_dword v81, off, s[0:3], 0 offset:96
	buffer_load_dword v86, off, s[0:3], 0 offset:140
	buffer_load_dword v85, off, s[0:3], 0 offset:136
	buffer_load_dword v95, off, s[0:3], 0 offset:112
	buffer_load_dword v96, off, s[0:3], 0 offset:116
	buffer_load_dword v91, off, s[0:3], 0 offset:152
	buffer_load_dword v92, off, s[0:3], 0 offset:156
	buffer_load_dword v90, off, s[0:3], 0 offset:132
	buffer_load_dword v89, off, s[0:3], 0 offset:128
	buffer_load_dword v94, off, s[0:3], 0 offset:172
	buffer_load_dword v93, off, s[0:3], 0 offset:168
	buffer_load_dword v115, off, s[0:3], 0 offset:144
	buffer_load_dword v116, off, s[0:3], 0 offset:148
	buffer_load_dword v99, off, s[0:3], 0 offset:184
	buffer_load_dword v100, off, s[0:3], 0 offset:188
	buffer_load_dword v98, off, s[0:3], 0 offset:164
	buffer_load_dword v97, off, s[0:3], 0 offset:160
	buffer_load_dword v118, off, s[0:3], 0 offset:204
	buffer_load_dword v117, off, s[0:3], 0 offset:200
	buffer_load_dword v119, off, s[0:3], 0 offset:176
	buffer_load_dword v120, off, s[0:3], 0 offset:180
	buffer_load_dword v121, off, s[0:3], 0 offset:216
	buffer_load_dword v122, off, s[0:3], 0 offset:220
	buffer_load_dword v124, off, s[0:3], 0 offset:196
	buffer_load_dword v123, off, s[0:3], 0 offset:192
	buffer_load_dword v126, off, s[0:3], 0 offset:236
	buffer_load_dword v125, off, s[0:3], 0 offset:232
	buffer_load_dword v127, off, s[0:3], 0 offset:208
	buffer_load_dword v128, off, s[0:3], 0 offset:212
	buffer_load_dword v129, off, s[0:3], 0 offset:248
	buffer_load_dword v130, off, s[0:3], 0 offset:252
	buffer_load_dword v132, off, s[0:3], 0 offset:228
	buffer_load_dword v131, off, s[0:3], 0 offset:224
	buffer_load_dword v134, off, s[0:3], 0 offset:268
	buffer_load_dword v133, off, s[0:3], 0 offset:264
	buffer_load_dword v135, off, s[0:3], 0 offset:240
	buffer_load_dword v136, off, s[0:3], 0 offset:244
	ds_read_b128 v[103:106], v102 offset:576
	s_clause 0x3
	buffer_load_dword v137, off, s[0:3], 0 offset:280
	buffer_load_dword v138, off, s[0:3], 0 offset:284
	;; [unrolled: 1-line block ×4, first 2 shown]
	ds_read_b128 v[107:110], v102 offset:592
	s_clause 0x3
	buffer_load_dword v144, off, s[0:3], 0 offset:300
	buffer_load_dword v143, off, s[0:3], 0 offset:296
	;; [unrolled: 1-line block ×4, first 2 shown]
	ds_read_b128 v[111:114], v102 offset:608
	s_mov_b32 s4, exec_lo
	s_waitcnt vmcnt(60) lgkmcnt(2)
	v_mul_f64 v[141:142], v[105:106], v[77:78]
	v_mul_f64 v[77:78], v[103:104], v[77:78]
	s_waitcnt vmcnt(58) lgkmcnt(1)
	v_mul_f64 v[147:148], v[109:110], v[73:74]
	s_waitcnt vmcnt(54) lgkmcnt(0)
	v_mul_f64 v[153:154], v[113:114], v[3:4]
	v_mul_f64 v[151:152], v[111:112], v[3:4]
	v_fma_f64 v[103:104], v[103:104], v[75:76], -v[141:142]
	v_mul_f64 v[141:142], v[107:108], v[73:74]
	v_fma_f64 v[77:78], v[105:106], v[75:76], v[77:78]
	s_clause 0x3
	buffer_load_dword v105, off, s[0:3], 0 offset:312
	buffer_load_dword v106, off, s[0:3], 0 offset:316
	;; [unrolled: 1-line block ×4, first 2 shown]
	s_waitcnt vmcnt(56)
	v_fma_f64 v[107:108], v[107:108], v[1:2], -v[147:148]
	ds_read_b128 v[73:76], v102 offset:624
	s_waitcnt vmcnt(52)
	v_fma_f64 v[111:112], v[111:112], v[87:88], -v[153:154]
	v_fma_f64 v[87:88], v[113:114], v[87:88], v[151:152]
	v_add_f64 v[103:104], v[103:104], 0
	v_fma_f64 v[109:110], v[109:110], v[1:2], v[141:142]
	v_add_f64 v[77:78], v[77:78], 0
	s_clause 0x3
	buffer_load_dword v142, off, s[0:3], 0 offset:332
	buffer_load_dword v141, off, s[0:3], 0 offset:328
	;; [unrolled: 1-line block ×4, first 2 shown]
	s_waitcnt lgkmcnt(0)
	v_mul_f64 v[157:158], v[75:76], v[79:80]
	ds_read_b128 v[1:4], v102 offset:640
	v_mul_f64 v[155:156], v[73:74], v[79:80]
	v_add_f64 v[103:104], v[103:104], v[107:108]
	v_add_f64 v[107:108], v[77:78], v[109:110]
	s_clause 0x3
	buffer_load_dword v109, off, s[0:3], 0 offset:344
	buffer_load_dword v110, off, s[0:3], 0 offset:348
	;; [unrolled: 1-line block ×4, first 2 shown]
	s_waitcnt vmcnt(58) lgkmcnt(0)
	v_mul_f64 v[151:152], v[1:2], v[83:84]
	v_mul_f64 v[83:84], v[3:4], v[83:84]
	s_waitcnt vmcnt(56)
	v_fma_f64 v[153:154], v[73:74], v[81:82], -v[157:158]
	ds_read_b128 v[77:80], v102 offset:656
	v_fma_f64 v[81:82], v[75:76], v[81:82], v[155:156]
	v_add_f64 v[103:104], v[103:104], v[111:112]
	v_add_f64 v[87:88], v[107:108], v[87:88]
	s_clause 0x3
	buffer_load_dword v108, off, s[0:3], 0 offset:364
	buffer_load_dword v107, off, s[0:3], 0 offset:360
	;; [unrolled: 1-line block ×4, first 2 shown]
	ds_read_b128 v[73:76], v102 offset:672
	s_waitcnt vmcnt(58) lgkmcnt(1)
	v_mul_f64 v[155:156], v[77:78], v[85:86]
	v_mul_f64 v[85:86], v[79:80], v[85:86]
	s_waitcnt vmcnt(56)
	v_fma_f64 v[83:84], v[1:2], v[95:96], -v[83:84]
	v_fma_f64 v[95:96], v[3:4], v[95:96], v[151:152]
	v_add_f64 v[103:104], v[103:104], v[153:154]
	v_add_f64 v[81:82], v[87:88], v[81:82]
	s_clause 0x3
	buffer_load_dword v87, off, s[0:3], 0 offset:376
	buffer_load_dword v88, off, s[0:3], 0 offset:380
	;; [unrolled: 1-line block ×4, first 2 shown]
	s_waitcnt vmcnt(58) lgkmcnt(0)
	v_mul_f64 v[153:154], v[73:74], v[91:92]
	v_mul_f64 v[91:92], v[75:76], v[91:92]
	s_waitcnt vmcnt(56)
	v_fma_f64 v[85:86], v[77:78], v[89:90], -v[85:86]
	ds_read_b128 v[1:4], v102 offset:688
	v_fma_f64 v[89:90], v[79:80], v[89:90], v[155:156]
	v_add_f64 v[83:84], v[103:104], v[83:84]
	v_add_f64 v[81:82], v[81:82], v[95:96]
	s_clause 0x3
	buffer_load_dword v96, off, s[0:3], 0 offset:396
	buffer_load_dword v95, off, s[0:3], 0 offset:392
	buffer_load_dword v103, off, s[0:3], 0 offset:368
	buffer_load_dword v104, off, s[0:3], 0 offset:372
	ds_read_b128 v[77:80], v102 offset:704
	s_waitcnt vmcnt(58) lgkmcnt(1)
	v_mul_f64 v[155:156], v[1:2], v[93:94]
	v_mul_f64 v[93:94], v[3:4], v[93:94]
	s_waitcnt vmcnt(56)
	v_fma_f64 v[91:92], v[73:74], v[115:116], -v[91:92]
	v_add_f64 v[83:84], v[83:84], v[85:86]
	v_fma_f64 v[85:86], v[75:76], v[115:116], v[153:154]
	v_add_f64 v[81:82], v[81:82], v[89:90]
	s_clause 0x3
	buffer_load_dword v89, off, s[0:3], 0 offset:408
	buffer_load_dword v90, off, s[0:3], 0 offset:412
	buffer_load_dword v116, off, s[0:3], 0 offset:388
	buffer_load_dword v115, off, s[0:3], 0 offset:384
	s_waitcnt vmcnt(58) lgkmcnt(0)
	v_mul_f64 v[153:154], v[77:78], v[99:100]
	v_mul_f64 v[99:100], v[79:80], v[99:100]
	s_waitcnt vmcnt(56)
	v_fma_f64 v[93:94], v[1:2], v[97:98], -v[93:94]
	ds_read_b128 v[73:76], v102 offset:720
	v_add_f64 v[83:84], v[83:84], v[91:92]
	v_fma_f64 v[91:92], v[3:4], v[97:98], v[155:156]
	v_add_f64 v[81:82], v[81:82], v[85:86]
	s_clause 0x3
	buffer_load_dword v86, off, s[0:3], 0 offset:428
	buffer_load_dword v85, off, s[0:3], 0 offset:424
	buffer_load_dword v97, off, s[0:3], 0 offset:400
	buffer_load_dword v98, off, s[0:3], 0 offset:404
	ds_read_b128 v[1:4], v102 offset:736
	s_waitcnt vmcnt(58) lgkmcnt(1)
	v_mul_f64 v[155:156], v[73:74], v[117:118]
	v_mul_f64 v[117:118], v[75:76], v[117:118]
	s_waitcnt vmcnt(56)
	v_fma_f64 v[99:100], v[77:78], v[119:120], -v[99:100]
	v_add_f64 v[83:84], v[83:84], v[93:94]
	v_fma_f64 v[93:94], v[79:80], v[119:120], v[153:154]
	v_add_f64 v[81:82], v[81:82], v[91:92]
	s_clause 0x3
	buffer_load_dword v91, off, s[0:3], 0 offset:440
	buffer_load_dword v92, off, s[0:3], 0 offset:444
	buffer_load_dword v120, off, s[0:3], 0 offset:420
	buffer_load_dword v119, off, s[0:3], 0 offset:416
	s_waitcnt vmcnt(58) lgkmcnt(0)
	v_mul_f64 v[153:154], v[1:2], v[121:122]
	v_mul_f64 v[121:122], v[3:4], v[121:122]
	s_waitcnt vmcnt(56)
	v_fma_f64 v[117:118], v[73:74], v[123:124], -v[117:118]
	ds_read_b128 v[77:80], v102 offset:752
	v_add_f64 v[83:84], v[83:84], v[99:100]
	v_fma_f64 v[99:100], v[75:76], v[123:124], v[155:156]
	;; [unrolled: 28-line block ×4, first 2 shown]
	v_add_f64 v[81:82], v[81:82], v[125:126]
	s_clause 0x3
	buffer_load_dword v126, off, s[0:3], 0 offset:524
	buffer_load_dword v125, off, s[0:3], 0 offset:520
	buffer_load_dword v139, off, s[0:3], 0 offset:496
	buffer_load_dword v140, off, s[0:3], 0 offset:500
	ds_read_b128 v[1:4], v102 offset:832
	s_waitcnt vmcnt(58) lgkmcnt(1)
	v_mul_f64 v[155:156], v[73:74], v[143:144]
	v_mul_f64 v[143:144], v[75:76], v[143:144]
	s_waitcnt vmcnt(56)
	v_fma_f64 v[137:138], v[77:78], v[145:146], -v[137:138]
	v_add_f64 v[83:84], v[83:84], v[133:134]
	v_fma_f64 v[133:134], v[79:80], v[145:146], v[153:154]
	v_add_f64 v[81:82], v[81:82], v[129:130]
	s_clause 0x3
	buffer_load_dword v129, off, s[0:3], 0 offset:536
	buffer_load_dword v130, off, s[0:3], 0 offset:540
	buffer_load_dword v146, off, s[0:3], 0 offset:516
	buffer_load_dword v145, off, s[0:3], 0 offset:512
	ds_read_b128 v[77:80], v102 offset:848
	s_waitcnt vmcnt(58) lgkmcnt(1)
	v_mul_f64 v[153:154], v[1:2], v[105:106]
	v_mul_f64 v[105:106], v[3:4], v[105:106]
	s_waitcnt vmcnt(56)
	v_fma_f64 v[143:144], v[73:74], v[149:150], -v[143:144]
	v_add_f64 v[83:84], v[83:84], v[137:138]
	v_fma_f64 v[137:138], v[75:76], v[149:150], v[155:156]
	;; [unrolled: 14-line block ×3, first 2 shown]
	v_add_f64 v[81:82], v[81:82], v[137:138]
	s_clause 0x1
	buffer_load_dword v138, off, s[0:3], 0 offset:548
	buffer_load_dword v137, off, s[0:3], 0 offset:544
	ds_read_b128 v[1:4], v102 offset:880
	s_waitcnt vmcnt(56) lgkmcnt(1)
	v_mul_f64 v[147:148], v[73:74], v[109:110]
	v_mul_f64 v[109:110], v[75:76], v[109:110]
	s_waitcnt vmcnt(54)
	v_fma_f64 v[141:142], v[77:78], v[113:114], -v[141:142]
	v_add_f64 v[83:84], v[83:84], v[105:106]
	v_fma_f64 v[105:106], v[79:80], v[113:114], v[155:156]
	v_add_f64 v[81:82], v[81:82], v[143:144]
	ds_read_b128 v[77:80], v102 offset:896
	s_waitcnt vmcnt(52) lgkmcnt(1)
	v_mul_f64 v[113:114], v[1:2], v[107:108]
	v_mul_f64 v[107:108], v[3:4], v[107:108]
	s_waitcnt vmcnt(50)
	v_fma_f64 v[109:110], v[73:74], v[111:112], -v[109:110]
	v_fma_f64 v[111:112], v[75:76], v[111:112], v[147:148]
	v_add_f64 v[83:84], v[83:84], v[141:142]
	v_add_f64 v[81:82], v[81:82], v[105:106]
	s_clause 0x3
	buffer_load_dword v105, off, s[0:3], 0 offset:32
	buffer_load_dword v106, off, s[0:3], 0 offset:36
	;; [unrolled: 1-line block ×4, first 2 shown]
	ds_read_b128 v[73:76], v102 offset:912
	s_waitcnt vmcnt(52) lgkmcnt(1)
	v_mul_f64 v[143:144], v[77:78], v[87:88]
	v_mul_f64 v[87:88], v[79:80], v[87:88]
	s_waitcnt vmcnt(50)
	v_fma_f64 v[107:108], v[1:2], v[151:152], -v[107:108]
	v_add_f64 v[83:84], v[83:84], v[109:110]
	v_fma_f64 v[109:110], v[3:4], v[151:152], v[113:114]
	v_add_f64 v[81:82], v[81:82], v[111:112]
	ds_read_b128 v[1:4], v102 offset:928
	s_waitcnt vmcnt(48) lgkmcnt(1)
	v_mul_f64 v[111:112], v[73:74], v[95:96]
	v_mul_f64 v[95:96], v[75:76], v[95:96]
	s_waitcnt vmcnt(46)
	v_fma_f64 v[87:88], v[77:78], v[103:104], -v[87:88]
	v_fma_f64 v[103:104], v[79:80], v[103:104], v[143:144]
	ds_read_b128 v[77:80], v102 offset:944
	v_add_f64 v[83:84], v[83:84], v[107:108]
	v_add_f64 v[81:82], v[81:82], v[109:110]
	s_waitcnt vmcnt(44) lgkmcnt(1)
	v_mul_f64 v[107:108], v[1:2], v[89:90]
	v_mul_f64 v[89:90], v[3:4], v[89:90]
	s_waitcnt vmcnt(42)
	v_fma_f64 v[95:96], v[73:74], v[115:116], -v[95:96]
	v_add_f64 v[83:84], v[83:84], v[87:88]
	v_fma_f64 v[87:88], v[75:76], v[115:116], v[111:112]
	v_add_f64 v[81:82], v[81:82], v[103:104]
	ds_read_b128 v[73:76], v102 offset:960
	s_waitcnt vmcnt(40) lgkmcnt(1)
	v_mul_f64 v[103:104], v[77:78], v[85:86]
	v_mul_f64 v[85:86], v[79:80], v[85:86]
	s_waitcnt vmcnt(38)
	v_fma_f64 v[89:90], v[1:2], v[97:98], -v[89:90]
	v_add_f64 v[83:84], v[83:84], v[95:96]
	v_fma_f64 v[95:96], v[3:4], v[97:98], v[107:108]
	v_add_f64 v[81:82], v[81:82], v[87:88]
	ds_read_b128 v[1:4], v102 offset:976
	;; [unrolled: 9-line block ×5, first 2 shown]
	s_waitcnt vmcnt(24) lgkmcnt(1)
	v_mul_f64 v[95:96], v[75:76], v[117:118]
	v_mul_f64 v[85:86], v[73:74], v[117:118]
	s_waitcnt vmcnt(22)
	v_fma_f64 v[89:90], v[77:78], v[131:132], -v[89:90]
	v_fma_f64 v[87:88], v[79:80], v[131:132], v[87:88]
	ds_read_b128 v[77:80], v102 offset:1040
	v_add_f64 v[83:84], v[83:84], v[93:94]
	v_add_f64 v[81:82], v[81:82], v[91:92]
	s_waitcnt vmcnt(20) lgkmcnt(1)
	v_mul_f64 v[93:94], v[3:4], v[121:122]
	v_mul_f64 v[91:92], v[1:2], v[121:122]
	s_waitcnt vmcnt(18)
	v_fma_f64 v[95:96], v[73:74], v[135:136], -v[95:96]
	v_fma_f64 v[85:86], v[75:76], v[135:136], v[85:86]
	ds_read_b128 v[73:76], v102 offset:1056
	v_add_f64 v[83:84], v[83:84], v[89:90]
	v_add_f64 v[81:82], v[81:82], v[87:88]
	s_waitcnt vmcnt(16) lgkmcnt(1)
	v_mul_f64 v[89:90], v[79:80], v[125:126]
	v_mul_f64 v[87:88], v[77:78], v[125:126]
	s_waitcnt vmcnt(14)
	v_fma_f64 v[93:94], v[1:2], v[139:140], -v[93:94]
	v_fma_f64 v[91:92], v[3:4], v[139:140], v[91:92]
	ds_read_b128 v[1:4], v102 offset:1072
	v_add_f64 v[83:84], v[83:84], v[95:96]
	v_add_f64 v[81:82], v[81:82], v[85:86]
	s_waitcnt vmcnt(12) lgkmcnt(1)
	v_mul_f64 v[95:96], v[75:76], v[129:130]
	v_mul_f64 v[85:86], v[73:74], v[129:130]
	s_waitcnt vmcnt(10)
	v_fma_f64 v[77:78], v[77:78], v[145:146], -v[89:90]
	v_fma_f64 v[79:80], v[79:80], v[145:146], v[87:88]
	v_add_f64 v[83:84], v[83:84], v[93:94]
	v_add_f64 v[81:82], v[81:82], v[91:92]
	s_waitcnt vmcnt(8) lgkmcnt(0)
	v_mul_f64 v[89:90], v[3:4], v[133:134]
	v_mul_f64 v[87:88], v[1:2], v[133:134]
	s_waitcnt vmcnt(6)
	v_fma_f64 v[73:74], v[73:74], v[149:150], -v[95:96]
	v_fma_f64 v[75:76], v[75:76], v[149:150], v[85:86]
	v_add_f64 v[77:78], v[83:84], v[77:78]
	v_add_f64 v[79:80], v[81:82], v[79:80]
	s_waitcnt vmcnt(4)
	v_fma_f64 v[1:2], v[1:2], v[137:138], -v[89:90]
	v_fma_f64 v[3:4], v[3:4], v[137:138], v[87:88]
	v_add_f64 v[73:74], v[77:78], v[73:74]
	v_add_f64 v[75:76], v[79:80], v[75:76]
	;; [unrolled: 1-line block ×4, first 2 shown]
	s_waitcnt vmcnt(2)
	v_add_f64 v[1:2], v[105:106], -v[1:2]
	s_waitcnt vmcnt(0)
	v_add_f64 v[3:4], v[141:142], -v[3:4]
	buffer_store_dword v2, off, s[0:3], 0 offset:36
	buffer_store_dword v1, off, s[0:3], 0 offset:32
	;; [unrolled: 1-line block ×4, first 2 shown]
	v_cmpx_ne_u32_e32 0, v0
	s_cbranch_execz .LBB97_217
; %bb.216:
	s_clause 0x3
	buffer_load_dword v0, off, s[0:3], 0 offset:16
	buffer_load_dword v1, off, s[0:3], 0 offset:20
	;; [unrolled: 1-line block ×4, first 2 shown]
	v_mov_b32_e32 v4, 0
	buffer_store_dword v4, off, s[0:3], 0 offset:16
	buffer_store_dword v4, off, s[0:3], 0 offset:20
	;; [unrolled: 1-line block ×4, first 2 shown]
	s_waitcnt vmcnt(0)
	ds_write_b128 v101, v[0:3]
.LBB97_217:
	s_or_b32 exec_lo, exec_lo, s4
	s_waitcnt lgkmcnt(0)
	s_waitcnt_vscnt null, 0x0
	s_barrier
	buffer_gl0_inv
	s_clause 0x37
	buffer_load_dword v77, off, s[0:3], 0 offset:40
	buffer_load_dword v78, off, s[0:3], 0 offset:44
	;; [unrolled: 1-line block ×56, first 2 shown]
	v_mov_b32_e32 v4, 0
	s_and_b32 vcc_lo, exec_lo, s46
	ds_read_b128 v[107:110], v4 offset:560
	s_clause 0x2
	buffer_load_dword v136, off, s[0:3], 0 offset:268
	buffer_load_dword v140, off, s[0:3], 0 offset:244
	;; [unrolled: 1-line block ×3, first 2 shown]
	ds_read_b128 v[111:114], v4 offset:576
	s_clause 0x4
	buffer_load_dword v144, off, s[0:3], 0 offset:284
	buffer_load_dword v145, off, s[0:3], 0 offset:296
	;; [unrolled: 1-line block ×5, first 2 shown]
	ds_read_b128 v[115:118], v4 offset:592
	s_clause 0x2
	buffer_load_dword v146, off, s[0:3], 0 offset:300
	buffer_load_dword v151, off, s[0:3], 0 offset:276
	buffer_load_dword v150, off, s[0:3], 0 offset:272
	s_waitcnt vmcnt(62) lgkmcnt(2)
	v_mul_f64 v[141:142], v[109:110], v[77:78]
	v_mul_f64 v[77:78], v[107:108], v[77:78]
	s_waitcnt lgkmcnt(1)
	v_mul_f64 v[148:149], v[113:114], v[73:74]
	s_waitcnt vmcnt(59) lgkmcnt(0)
	v_mul_f64 v[152:153], v[117:118], v[2:3]
	v_fma_f64 v[107:108], v[107:108], v[75:76], -v[141:142]
	v_mul_f64 v[141:142], v[111:112], v[73:74]
	v_fma_f64 v[77:78], v[109:110], v[75:76], v[77:78]
	s_waitcnt vmcnt(57)
	v_fma_f64 v[111:112], v[111:112], v[0:1], -v[148:149]
	ds_read_b128 v[73:76], v4 offset:608
	v_mul_f64 v[109:110], v[115:116], v[2:3]
	s_waitcnt vmcnt(51)
	v_fma_f64 v[115:116], v[115:116], v[93:94], -v[152:153]
	v_add_f64 v[107:108], v[107:108], 0
	v_fma_f64 v[113:114], v[113:114], v[0:1], v[141:142]
	v_add_f64 v[77:78], v[77:78], 0
	s_clause 0x4
	buffer_load_dword v142, off, s[0:3], 0 offset:316
	buffer_load_dword v154, off, s[0:3], 0 offset:328
	;; [unrolled: 1-line block ×5, first 2 shown]
	s_waitcnt lgkmcnt(0)
	v_mul_f64 v[157:158], v[73:74], v[81:82]
	v_mul_f64 v[81:82], v[75:76], v[81:82]
	ds_read_b128 v[0:3], v4 offset:624
	v_fma_f64 v[93:94], v[117:118], v[93:94], v[109:110]
	v_add_f64 v[111:112], v[107:108], v[111:112]
	v_add_f64 v[77:78], v[77:78], v[113:114]
	s_clause 0x2
	buffer_load_dword v155, off, s[0:3], 0 offset:332
	buffer_load_dword v114, off, s[0:3], 0 offset:308
	;; [unrolled: 1-line block ×3, first 2 shown]
	s_waitcnt vmcnt(58) lgkmcnt(0)
	v_mul_f64 v[117:118], v[0:1], v[85:86]
	v_mul_f64 v[85:86], v[2:3], v[85:86]
	s_waitcnt vmcnt(56)
	v_fma_f64 v[81:82], v[73:74], v[87:88], -v[81:82]
	ds_read_b128 v[107:110], v4 offset:640
	v_fma_f64 v[87:88], v[75:76], v[87:88], v[157:158]
	v_add_f64 v[111:112], v[111:112], v[115:116]
	v_add_f64 v[77:78], v[77:78], v[93:94]
	s_clause 0x4
	buffer_load_dword v94, off, s[0:3], 0 offset:348
	buffer_load_dword v115, off, s[0:3], 0 offset:360
	buffer_load_dword v152, off, s[0:3], 0 offset:352
	buffer_load_dword v93, off, s[0:3], 0 offset:344
	buffer_load_dword v157, off, s[0:3], 0 offset:324
	ds_read_b128 v[73:76], v4 offset:656
	s_waitcnt vmcnt(57) lgkmcnt(1)
	v_mul_f64 v[158:159], v[107:108], v[89:90]
	v_mul_f64 v[89:90], v[109:110], v[89:90]
	s_waitcnt vmcnt(56)
	v_fma_f64 v[85:86], v[0:1], v[79:80], -v[85:86]
	v_fma_f64 v[79:80], v[2:3], v[79:80], v[117:118]
	v_add_f64 v[81:82], v[111:112], v[81:82]
	v_add_f64 v[77:78], v[77:78], v[87:88]
	s_clause 0x2
	buffer_load_dword v116, off, s[0:3], 0 offset:364
	buffer_load_dword v88, off, s[0:3], 0 offset:340
	;; [unrolled: 1-line block ×3, first 2 shown]
	s_waitcnt vmcnt(58) lgkmcnt(0)
	v_mul_f64 v[111:112], v[73:74], v[95:96]
	v_mul_f64 v[95:96], v[75:76], v[95:96]
	s_waitcnt vmcnt(56)
	v_fma_f64 v[89:90], v[107:108], v[97:98], -v[89:90]
	ds_read_b128 v[0:3], v4 offset:672
	v_add_f64 v[81:82], v[81:82], v[85:86]
	v_fma_f64 v[85:86], v[109:110], v[97:98], v[158:159]
	v_add_f64 v[97:98], v[77:78], v[79:80]
	s_clause 0x4
	buffer_load_dword v108, off, s[0:3], 0 offset:380
	buffer_load_dword v109, off, s[0:3], 0 offset:392
	;; [unrolled: 1-line block ×5, first 2 shown]
	ds_read_b128 v[77:80], v4 offset:688
	s_waitcnt vmcnt(57) lgkmcnt(1)
	v_mul_f64 v[158:159], v[0:1], v[99:100]
	v_mul_f64 v[99:100], v[2:3], v[99:100]
	s_waitcnt vmcnt(56)
	v_fma_f64 v[95:96], v[73:74], v[83:84], -v[95:96]
	v_fma_f64 v[83:84], v[75:76], v[83:84], v[111:112]
	v_add_f64 v[81:82], v[81:82], v[89:90]
	s_clause 0x2
	buffer_load_dword v110, off, s[0:3], 0 offset:396
	buffer_load_dword v90, off, s[0:3], 0 offset:372
	;; [unrolled: 1-line block ×3, first 2 shown]
	v_add_f64 v[85:86], v[97:98], v[85:86]
	s_waitcnt vmcnt(58) lgkmcnt(0)
	v_mul_f64 v[97:98], v[77:78], v[103:104]
	v_mul_f64 v[103:104], v[79:80], v[103:104]
	ds_read_b128 v[73:76], v4 offset:704
	s_waitcnt vmcnt(56)
	v_fma_f64 v[99:100], v[0:1], v[105:106], -v[99:100]
	v_add_f64 v[81:82], v[81:82], v[95:96]
	v_fma_f64 v[95:96], v[2:3], v[105:106], v[158:159]
	v_add_f64 v[83:84], v[85:86], v[83:84]
	s_clause 0x4
	buffer_load_dword v86, off, s[0:3], 0 offset:412
	buffer_load_dword v105, off, s[0:3], 0 offset:424
	;; [unrolled: 1-line block ×5, first 2 shown]
	s_waitcnt vmcnt(57) lgkmcnt(0)
	v_mul_f64 v[158:159], v[73:74], v[119:120]
	v_mul_f64 v[119:120], v[75:76], v[119:120]
	s_waitcnt vmcnt(56)
	v_fma_f64 v[103:104], v[77:78], v[91:92], -v[103:104]
	ds_read_b128 v[0:3], v4 offset:720
	v_fma_f64 v[91:92], v[79:80], v[91:92], v[97:98]
	v_add_f64 v[81:82], v[81:82], v[99:100]
	v_add_f64 v[83:84], v[83:84], v[95:96]
	s_clause 0x2
	buffer_load_dword v106, off, s[0:3], 0 offset:428
	buffer_load_dword v96, off, s[0:3], 0 offset:404
	;; [unrolled: 1-line block ×3, first 2 shown]
	ds_read_b128 v[77:80], v4 offset:736
	s_waitcnt vmcnt(58) lgkmcnt(1)
	v_mul_f64 v[99:100], v[2:3], v[121:122]
	s_waitcnt vmcnt(56)
	v_fma_f64 v[119:120], v[73:74], v[123:124], -v[119:120]
	v_mul_f64 v[97:98], v[0:1], v[121:122]
	v_add_f64 v[81:82], v[81:82], v[103:104]
	v_fma_f64 v[103:104], v[75:76], v[123:124], v[158:159]
	v_add_f64 v[83:84], v[83:84], v[91:92]
	s_clause 0x4
	buffer_load_dword v92, off, s[0:3], 0 offset:444
	buffer_load_dword v121, off, s[0:3], 0 offset:456
	;; [unrolled: 1-line block ×5, first 2 shown]
	s_waitcnt vmcnt(57) lgkmcnt(0)
	v_mul_f64 v[158:159], v[77:78], v[125:126]
	v_mul_f64 v[124:125], v[79:80], v[125:126]
	s_waitcnt vmcnt(56)
	v_fma_f64 v[99:100], v[0:1], v[101:102], -v[99:100]
	ds_read_b128 v[73:76], v4 offset:752
	v_fma_f64 v[97:98], v[2:3], v[101:102], v[97:98]
	s_clause 0x2
	buffer_load_dword v122, off, s[0:3], 0 offset:460
	buffer_load_dword v102, off, s[0:3], 0 offset:436
	;; [unrolled: 1-line block ×3, first 2 shown]
	ds_read_b128 v[0:3], v4 offset:768
	v_add_f64 v[81:82], v[81:82], v[119:120]
	v_add_f64 v[83:84], v[83:84], v[103:104]
	s_waitcnt vmcnt(58) lgkmcnt(1)
	v_mul_f64 v[119:120], v[75:76], v[127:128]
	s_waitcnt vmcnt(56)
	v_fma_f64 v[125:126], v[77:78], v[131:132], -v[124:125]
	v_mul_f64 v[103:104], v[73:74], v[127:128]
	v_add_f64 v[81:82], v[81:82], v[99:100]
	v_fma_f64 v[99:100], v[79:80], v[131:132], v[158:159]
	v_add_f64 v[83:84], v[83:84], v[97:98]
	s_clause 0x4
	buffer_load_dword v98, off, s[0:3], 0 offset:476
	buffer_load_dword v127, off, s[0:3], 0 offset:488
	;; [unrolled: 1-line block ×5, first 2 shown]
	s_waitcnt vmcnt(57) lgkmcnt(0)
	v_mul_f64 v[158:159], v[0:1], v[133:134]
	v_mul_f64 v[132:133], v[2:3], v[133:134]
	s_waitcnt vmcnt(56)
	v_fma_f64 v[119:120], v[73:74], v[129:130], -v[119:120]
	ds_read_b128 v[77:80], v4 offset:784
	v_fma_f64 v[103:104], v[75:76], v[129:130], v[103:104]
	v_add_f64 v[81:82], v[81:82], v[125:126]
	v_add_f64 v[83:84], v[83:84], v[99:100]
	s_clause 0x2
	buffer_load_dword v128, off, s[0:3], 0 offset:492
	buffer_load_dword v100, off, s[0:3], 0 offset:468
	;; [unrolled: 1-line block ×3, first 2 shown]
	ds_read_b128 v[73:76], v4 offset:800
	s_waitcnt vmcnt(58) lgkmcnt(1)
	v_mul_f64 v[129:130], v[79:80], v[135:136]
	s_waitcnt vmcnt(56)
	v_fma_f64 v[133:134], v[0:1], v[139:140], -v[132:133]
	v_mul_f64 v[125:126], v[77:78], v[135:136]
	v_add_f64 v[81:82], v[81:82], v[119:120]
	v_fma_f64 v[119:120], v[2:3], v[139:140], v[158:159]
	v_add_f64 v[83:84], v[83:84], v[103:104]
	s_clause 0x4
	buffer_load_dword v104, off, s[0:3], 0 offset:508
	buffer_load_dword v135, off, s[0:3], 0 offset:520
	;; [unrolled: 1-line block ×5, first 2 shown]
	s_waitcnt vmcnt(57) lgkmcnt(0)
	v_mul_f64 v[158:159], v[73:74], v[143:144]
	v_mul_f64 v[143:144], v[75:76], v[143:144]
	s_waitcnt vmcnt(56)
	v_fma_f64 v[129:130], v[77:78], v[137:138], -v[129:130]
	ds_read_b128 v[0:3], v4 offset:816
	v_fma_f64 v[125:126], v[79:80], v[137:138], v[125:126]
	v_add_f64 v[81:82], v[81:82], v[133:134]
	v_add_f64 v[83:84], v[83:84], v[119:120]
	s_clause 0x2
	buffer_load_dword v136, off, s[0:3], 0 offset:524
	buffer_load_dword v120, off, s[0:3], 0 offset:500
	;; [unrolled: 1-line block ×3, first 2 shown]
	ds_read_b128 v[77:80], v4 offset:832
	s_waitcnt vmcnt(58) lgkmcnt(1)
	v_mul_f64 v[137:138], v[2:3], v[145:146]
	s_waitcnt vmcnt(56)
	v_fma_f64 v[143:144], v[73:74], v[150:151], -v[143:144]
	v_mul_f64 v[133:134], v[0:1], v[145:146]
	v_add_f64 v[81:82], v[81:82], v[129:130]
	v_fma_f64 v[129:130], v[75:76], v[150:151], v[158:159]
	v_add_f64 v[83:84], v[83:84], v[125:126]
	s_clause 0x4
	buffer_load_dword v126, off, s[0:3], 0 offset:540
	buffer_load_dword v145, off, s[0:3], 0 offset:552
	;; [unrolled: 1-line block ×5, first 2 shown]
	ds_read_b128 v[73:76], v4 offset:848
	s_waitcnt vmcnt(57) lgkmcnt(1)
	v_mul_f64 v[150:151], v[77:78], v[141:142]
	v_mul_f64 v[141:142], v[79:80], v[141:142]
	s_waitcnt vmcnt(56)
	v_fma_f64 v[137:138], v[0:1], v[147:148], -v[137:138]
	v_fma_f64 v[133:134], v[2:3], v[147:148], v[133:134]
	v_add_f64 v[81:82], v[81:82], v[143:144]
	v_add_f64 v[83:84], v[83:84], v[129:130]
	s_clause 0x2
	buffer_load_dword v146, off, s[0:3], 0 offset:556
	buffer_load_dword v130, off, s[0:3], 0 offset:532
	;; [unrolled: 1-line block ×3, first 2 shown]
	ds_read_b128 v[0:3], v4 offset:864
	s_waitcnt vmcnt(58) lgkmcnt(1)
	v_mul_f64 v[147:148], v[75:76], v[154:155]
	v_mul_f64 v[143:144], v[73:74], v[154:155]
	s_waitcnt vmcnt(56)
	v_fma_f64 v[141:142], v[77:78], v[113:114], -v[141:142]
	v_fma_f64 v[113:114], v[79:80], v[113:114], v[150:151]
	buffer_load_dword v150, off, s[0:3], 0 offset:548
	ds_read_b128 v[77:80], v4 offset:880
	v_add_f64 v[81:82], v[81:82], v[137:138]
	v_add_f64 v[83:84], v[83:84], v[133:134]
	s_waitcnt vmcnt(53) lgkmcnt(1)
	v_mul_f64 v[133:134], v[0:1], v[93:94]
	v_mul_f64 v[93:94], v[2:3], v[93:94]
	s_waitcnt vmcnt(52)
	v_fma_f64 v[137:138], v[73:74], v[156:157], -v[147:148]
	v_add_f64 v[81:82], v[81:82], v[141:142]
	v_fma_f64 v[141:142], v[75:76], v[156:157], v[143:144]
	v_add_f64 v[83:84], v[83:84], v[113:114]
	ds_read_b128 v[73:76], v4 offset:896
	s_waitcnt vmcnt(51) lgkmcnt(1)
	v_mul_f64 v[113:114], v[77:78], v[115:116]
	v_mul_f64 v[115:116], v[79:80], v[115:116]
	s_waitcnt vmcnt(49)
	v_fma_f64 v[93:94], v[0:1], v[87:88], -v[93:94]
	v_fma_f64 v[87:88], v[2:3], v[87:88], v[133:134]
	v_add_f64 v[81:82], v[81:82], v[137:138]
	s_clause 0x3
	buffer_load_dword v133, off, s[0:3], 0 offset:16
	buffer_load_dword v134, off, s[0:3], 0 offset:20
	;; [unrolled: 1-line block ×4, first 2 shown]
	v_add_f64 v[83:84], v[83:84], v[141:142]
	ds_read_b128 v[0:3], v4 offset:912
	s_waitcnt vmcnt(49) lgkmcnt(1)
	v_mul_f64 v[141:142], v[73:74], v[107:108]
	v_mul_f64 v[107:108], v[75:76], v[107:108]
	s_waitcnt vmcnt(48)
	v_fma_f64 v[115:116], v[77:78], v[152:153], -v[115:116]
	v_add_f64 v[81:82], v[81:82], v[93:94]
	v_fma_f64 v[93:94], v[79:80], v[152:153], v[113:114]
	v_add_f64 v[83:84], v[83:84], v[87:88]
	ds_read_b128 v[77:80], v4 offset:928
	s_waitcnt vmcnt(47) lgkmcnt(1)
	v_mul_f64 v[87:88], v[0:1], v[109:110]
	v_mul_f64 v[109:110], v[2:3], v[109:110]
	s_waitcnt vmcnt(45)
	v_fma_f64 v[107:108], v[73:74], v[89:90], -v[107:108]
	v_fma_f64 v[89:90], v[75:76], v[89:90], v[141:142]
	ds_read_b128 v[73:76], v4 offset:944
	v_add_f64 v[81:82], v[81:82], v[115:116]
	v_add_f64 v[83:84], v[83:84], v[93:94]
	s_waitcnt vmcnt(41) lgkmcnt(1)
	v_mul_f64 v[93:94], v[77:78], v[85:86]
	v_mul_f64 v[85:86], v[79:80], v[85:86]
	s_waitcnt vmcnt(40)
	v_fma_f64 v[109:110], v[0:1], v[117:118], -v[109:110]
	v_fma_f64 v[87:88], v[2:3], v[117:118], v[87:88]
	ds_read_b128 v[0:3], v4 offset:960
	v_add_f64 v[81:82], v[81:82], v[107:108]
	v_add_f64 v[83:84], v[83:84], v[89:90]
	;; [unrolled: 9-line block ×3, first 2 shown]
	s_waitcnt vmcnt(33) lgkmcnt(1)
	v_mul_f64 v[87:88], v[0:1], v[91:92]
	v_mul_f64 v[91:92], v[2:3], v[91:92]
	s_waitcnt vmcnt(32)
	v_fma_f64 v[95:96], v[73:74], v[111:112], -v[105:106]
	v_add_f64 v[81:82], v[81:82], v[85:86]
	v_fma_f64 v[85:86], v[75:76], v[111:112], v[89:90]
	v_add_f64 v[83:84], v[83:84], v[93:94]
	ds_read_b128 v[73:76], v4 offset:992
	s_waitcnt vmcnt(31) lgkmcnt(1)
	v_mul_f64 v[93:94], v[79:80], v[121:122]
	v_mul_f64 v[89:90], v[77:78], v[121:122]
	s_waitcnt vmcnt(29)
	v_fma_f64 v[87:88], v[2:3], v[101:102], v[87:88]
	v_fma_f64 v[91:92], v[0:1], v[101:102], -v[91:92]
	ds_read_b128 v[0:3], v4 offset:1008
	v_add_f64 v[81:82], v[81:82], v[95:96]
	v_add_f64 v[83:84], v[83:84], v[85:86]
	s_waitcnt vmcnt(25) lgkmcnt(1)
	v_mul_f64 v[95:96], v[75:76], v[97:98]
	s_waitcnt vmcnt(24)
	v_fma_f64 v[93:94], v[77:78], v[123:124], -v[93:94]
	v_mul_f64 v[85:86], v[73:74], v[97:98]
	v_fma_f64 v[89:90], v[79:80], v[123:124], v[89:90]
	ds_read_b128 v[77:80], v4 offset:1024
	v_add_f64 v[81:82], v[81:82], v[91:92]
	v_add_f64 v[83:84], v[83:84], v[87:88]
	s_waitcnt vmcnt(23) lgkmcnt(1)
	v_mul_f64 v[91:92], v[2:3], v[127:128]
	v_mul_f64 v[87:88], v[0:1], v[127:128]
	s_waitcnt vmcnt(21)
	v_fma_f64 v[95:96], v[73:74], v[99:100], -v[95:96]
	v_fma_f64 v[85:86], v[75:76], v[99:100], v[85:86]
	ds_read_b128 v[73:76], v4 offset:1040
	v_add_f64 v[81:82], v[81:82], v[93:94]
	v_add_f64 v[83:84], v[83:84], v[89:90]
	s_waitcnt vmcnt(17) lgkmcnt(1)
	v_mul_f64 v[93:94], v[79:80], v[103:104]
	s_waitcnt vmcnt(16)
	v_fma_f64 v[91:92], v[0:1], v[131:132], -v[91:92]
	v_mul_f64 v[89:90], v[77:78], v[103:104]
	v_fma_f64 v[87:88], v[2:3], v[131:132], v[87:88]
	ds_read_b128 v[0:3], v4 offset:1056
	v_add_f64 v[81:82], v[81:82], v[95:96]
	v_add_f64 v[83:84], v[83:84], v[85:86]
	s_waitcnt vmcnt(15) lgkmcnt(1)
	v_mul_f64 v[95:96], v[75:76], v[135:136]
	v_mul_f64 v[85:86], v[73:74], v[135:136]
	s_waitcnt vmcnt(13)
	v_fma_f64 v[93:94], v[77:78], v[119:120], -v[93:94]
	v_fma_f64 v[89:90], v[79:80], v[119:120], v[89:90]
	ds_read_b128 v[77:80], v4 offset:1072
	v_add_f64 v[81:82], v[81:82], v[91:92]
	v_add_f64 v[83:84], v[83:84], v[87:88]
	s_waitcnt vmcnt(9) lgkmcnt(1)
	v_mul_f64 v[91:92], v[2:3], v[125:126]
	s_waitcnt vmcnt(8)
	v_fma_f64 v[73:74], v[73:74], v[139:140], -v[95:96]
	v_mul_f64 v[87:88], v[0:1], v[125:126]
	v_fma_f64 v[75:76], v[75:76], v[139:140], v[85:86]
	v_add_f64 v[81:82], v[81:82], v[93:94]
	v_add_f64 v[83:84], v[83:84], v[89:90]
	s_waitcnt vmcnt(7) lgkmcnt(0)
	v_mul_f64 v[89:90], v[79:80], v[145:146]
	v_mul_f64 v[85:86], v[77:78], v[145:146]
	s_waitcnt vmcnt(5)
	v_fma_f64 v[0:1], v[0:1], v[129:130], -v[91:92]
	v_fma_f64 v[2:3], v[2:3], v[129:130], v[87:88]
	v_add_f64 v[73:74], v[81:82], v[73:74]
	v_add_f64 v[75:76], v[83:84], v[75:76]
	s_waitcnt vmcnt(4)
	v_fma_f64 v[77:78], v[77:78], v[149:150], -v[89:90]
	v_add_f64 v[0:1], v[73:74], v[0:1]
	v_fma_f64 v[73:74], v[79:80], v[149:150], v[85:86]
	v_add_f64 v[2:3], v[75:76], v[2:3]
	v_add_f64 v[0:1], v[0:1], v[77:78]
	v_add_f64 v[2:3], v[2:3], v[73:74]
	s_waitcnt vmcnt(2)
	v_add_f64 v[0:1], v[133:134], -v[0:1]
	s_waitcnt vmcnt(0)
	v_add_f64 v[2:3], v[137:138], -v[2:3]
	buffer_store_dword v1, off, s[0:3], 0 offset:20
	buffer_store_dword v0, off, s[0:3], 0 offset:16
	;; [unrolled: 1-line block ×4, first 2 shown]
	s_cbranch_vccz .LBB97_284
; %bb.218:
	global_load_dword v0, v4, s[12:13] offset:128
	s_waitcnt vmcnt(0)
	v_add_nc_u32_e32 v0, -1, v0
	v_cmp_ne_u32_e32 vcc_lo, 32, v0
	s_cbranch_vccz .LBB97_220
; %bb.219:
	v_lshlrev_b32_e32 v0, 4, v0
	v_mov_b32_e32 v1, s9
	v_add_nc_u32_e32 v0, 16, v0
	s_clause 0x7
	buffer_load_dword v2, v0, s[0:3], 0 offen
	buffer_load_dword v3, v0, s[0:3], 0 offen offset:4
	buffer_load_dword v4, v0, s[0:3], 0 offen offset:8
	buffer_load_dword v73, v0, s[0:3], 0 offen offset:12
	buffer_load_dword v74, v1, s[0:3], 0 offen offset:12
	buffer_load_dword v75, v1, s[0:3], 0 offen offset:8
	buffer_load_dword v76, v1, s[0:3], 0 offen offset:4
	buffer_load_dword v77, v1, s[0:3], 0 offen
	s_waitcnt vmcnt(7)
	buffer_store_dword v2, v1, s[0:3], 0 offen
	s_waitcnt vmcnt(6)
	buffer_store_dword v3, v1, s[0:3], 0 offen offset:4
	s_waitcnt vmcnt(5)
	buffer_store_dword v4, v1, s[0:3], 0 offen offset:8
	;; [unrolled: 2-line block ×6, first 2 shown]
	s_waitcnt vmcnt(0)
	buffer_store_dword v77, v0, s[0:3], 0 offen
.LBB97_220:
	v_mov_b32_e32 v0, 0
	global_load_dword v1, v0, s[12:13] offset:124
	s_waitcnt vmcnt(0)
	v_add_nc_u32_e32 v1, -1, v1
	v_cmp_eq_u32_e32 vcc_lo, 31, v1
	s_cbranch_vccnz .LBB97_222
; %bb.221:
	v_lshlrev_b32_e32 v1, 4, v1
	v_mov_b32_e32 v2, s14
	v_add_nc_u32_e32 v1, 16, v1
	s_clause 0x7
	buffer_load_dword v3, v1, s[0:3], 0 offen
	buffer_load_dword v4, v1, s[0:3], 0 offen offset:4
	buffer_load_dword v73, v1, s[0:3], 0 offen offset:8
	;; [unrolled: 1-line block ×6, first 2 shown]
	buffer_load_dword v78, v2, s[0:3], 0 offen
	s_waitcnt vmcnt(7)
	buffer_store_dword v3, v2, s[0:3], 0 offen
	s_waitcnt vmcnt(6)
	buffer_store_dword v4, v2, s[0:3], 0 offen offset:4
	s_waitcnt vmcnt(5)
	buffer_store_dword v73, v2, s[0:3], 0 offen offset:8
	;; [unrolled: 2-line block ×6, first 2 shown]
	s_waitcnt vmcnt(0)
	buffer_store_dword v78, v1, s[0:3], 0 offen
.LBB97_222:
	global_load_dword v0, v0, s[12:13] offset:120
	s_waitcnt vmcnt(0)
	v_add_nc_u32_e32 v0, -1, v0
	v_cmp_eq_u32_e32 vcc_lo, 30, v0
	s_cbranch_vccnz .LBB97_224
; %bb.223:
	v_lshlrev_b32_e32 v0, 4, v0
	v_mov_b32_e32 v1, s15
	v_add_nc_u32_e32 v0, 16, v0
	s_clause 0x7
	buffer_load_dword v2, v0, s[0:3], 0 offen
	buffer_load_dword v3, v0, s[0:3], 0 offen offset:4
	buffer_load_dword v4, v0, s[0:3], 0 offen offset:8
	;; [unrolled: 1-line block ×6, first 2 shown]
	buffer_load_dword v77, v1, s[0:3], 0 offen
	s_waitcnt vmcnt(7)
	buffer_store_dword v2, v1, s[0:3], 0 offen
	s_waitcnt vmcnt(6)
	buffer_store_dword v3, v1, s[0:3], 0 offen offset:4
	s_waitcnt vmcnt(5)
	buffer_store_dword v4, v1, s[0:3], 0 offen offset:8
	;; [unrolled: 2-line block ×6, first 2 shown]
	s_waitcnt vmcnt(0)
	buffer_store_dword v77, v0, s[0:3], 0 offen
.LBB97_224:
	v_mov_b32_e32 v0, 0
	global_load_dword v1, v0, s[12:13] offset:116
	s_waitcnt vmcnt(0)
	v_add_nc_u32_e32 v1, -1, v1
	v_cmp_eq_u32_e32 vcc_lo, 29, v1
	s_cbranch_vccnz .LBB97_226
; %bb.225:
	v_lshlrev_b32_e32 v1, 4, v1
	v_mov_b32_e32 v2, s16
	v_add_nc_u32_e32 v1, 16, v1
	s_clause 0x7
	buffer_load_dword v3, v1, s[0:3], 0 offen
	buffer_load_dword v4, v1, s[0:3], 0 offen offset:4
	buffer_load_dword v73, v1, s[0:3], 0 offen offset:8
	;; [unrolled: 1-line block ×6, first 2 shown]
	buffer_load_dword v78, v2, s[0:3], 0 offen
	s_waitcnt vmcnt(7)
	buffer_store_dword v3, v2, s[0:3], 0 offen
	s_waitcnt vmcnt(6)
	buffer_store_dword v4, v2, s[0:3], 0 offen offset:4
	s_waitcnt vmcnt(5)
	buffer_store_dword v73, v2, s[0:3], 0 offen offset:8
	;; [unrolled: 2-line block ×6, first 2 shown]
	s_waitcnt vmcnt(0)
	buffer_store_dword v78, v1, s[0:3], 0 offen
.LBB97_226:
	global_load_dword v0, v0, s[12:13] offset:112
	s_waitcnt vmcnt(0)
	v_add_nc_u32_e32 v0, -1, v0
	v_cmp_eq_u32_e32 vcc_lo, 28, v0
	s_cbranch_vccnz .LBB97_228
; %bb.227:
	v_lshlrev_b32_e32 v0, 4, v0
	v_mov_b32_e32 v1, s17
	v_add_nc_u32_e32 v0, 16, v0
	s_clause 0x7
	buffer_load_dword v2, v0, s[0:3], 0 offen
	buffer_load_dword v3, v0, s[0:3], 0 offen offset:4
	buffer_load_dword v4, v0, s[0:3], 0 offen offset:8
	;; [unrolled: 1-line block ×6, first 2 shown]
	buffer_load_dword v77, v1, s[0:3], 0 offen
	s_waitcnt vmcnt(7)
	buffer_store_dword v2, v1, s[0:3], 0 offen
	s_waitcnt vmcnt(6)
	buffer_store_dword v3, v1, s[0:3], 0 offen offset:4
	s_waitcnt vmcnt(5)
	buffer_store_dword v4, v1, s[0:3], 0 offen offset:8
	;; [unrolled: 2-line block ×6, first 2 shown]
	s_waitcnt vmcnt(0)
	buffer_store_dword v77, v0, s[0:3], 0 offen
.LBB97_228:
	v_mov_b32_e32 v0, 0
	global_load_dword v1, v0, s[12:13] offset:108
	s_waitcnt vmcnt(0)
	v_add_nc_u32_e32 v1, -1, v1
	v_cmp_eq_u32_e32 vcc_lo, 27, v1
	s_cbranch_vccnz .LBB97_230
; %bb.229:
	v_lshlrev_b32_e32 v1, 4, v1
	v_mov_b32_e32 v2, s18
	v_add_nc_u32_e32 v1, 16, v1
	s_clause 0x7
	buffer_load_dword v3, v1, s[0:3], 0 offen
	buffer_load_dword v4, v1, s[0:3], 0 offen offset:4
	buffer_load_dword v73, v1, s[0:3], 0 offen offset:8
	;; [unrolled: 1-line block ×6, first 2 shown]
	buffer_load_dword v78, v2, s[0:3], 0 offen
	s_waitcnt vmcnt(7)
	buffer_store_dword v3, v2, s[0:3], 0 offen
	s_waitcnt vmcnt(6)
	buffer_store_dword v4, v2, s[0:3], 0 offen offset:4
	s_waitcnt vmcnt(5)
	buffer_store_dword v73, v2, s[0:3], 0 offen offset:8
	;; [unrolled: 2-line block ×6, first 2 shown]
	s_waitcnt vmcnt(0)
	buffer_store_dword v78, v1, s[0:3], 0 offen
.LBB97_230:
	global_load_dword v0, v0, s[12:13] offset:104
	s_waitcnt vmcnt(0)
	v_add_nc_u32_e32 v0, -1, v0
	v_cmp_eq_u32_e32 vcc_lo, 26, v0
	s_cbranch_vccnz .LBB97_232
; %bb.231:
	v_lshlrev_b32_e32 v0, 4, v0
	v_mov_b32_e32 v1, s19
	v_add_nc_u32_e32 v0, 16, v0
	s_clause 0x7
	buffer_load_dword v2, v0, s[0:3], 0 offen
	buffer_load_dword v3, v0, s[0:3], 0 offen offset:4
	buffer_load_dword v4, v0, s[0:3], 0 offen offset:8
	;; [unrolled: 1-line block ×6, first 2 shown]
	buffer_load_dword v77, v1, s[0:3], 0 offen
	s_waitcnt vmcnt(7)
	buffer_store_dword v2, v1, s[0:3], 0 offen
	s_waitcnt vmcnt(6)
	buffer_store_dword v3, v1, s[0:3], 0 offen offset:4
	s_waitcnt vmcnt(5)
	buffer_store_dword v4, v1, s[0:3], 0 offen offset:8
	;; [unrolled: 2-line block ×6, first 2 shown]
	s_waitcnt vmcnt(0)
	buffer_store_dword v77, v0, s[0:3], 0 offen
.LBB97_232:
	v_mov_b32_e32 v0, 0
	global_load_dword v1, v0, s[12:13] offset:100
	s_waitcnt vmcnt(0)
	v_add_nc_u32_e32 v1, -1, v1
	v_cmp_eq_u32_e32 vcc_lo, 25, v1
	s_cbranch_vccnz .LBB97_234
; %bb.233:
	v_lshlrev_b32_e32 v1, 4, v1
	v_mov_b32_e32 v2, s20
	v_add_nc_u32_e32 v1, 16, v1
	s_clause 0x7
	buffer_load_dword v3, v1, s[0:3], 0 offen
	buffer_load_dword v4, v1, s[0:3], 0 offen offset:4
	buffer_load_dword v73, v1, s[0:3], 0 offen offset:8
	;; [unrolled: 1-line block ×6, first 2 shown]
	buffer_load_dword v78, v2, s[0:3], 0 offen
	s_waitcnt vmcnt(7)
	buffer_store_dword v3, v2, s[0:3], 0 offen
	s_waitcnt vmcnt(6)
	buffer_store_dword v4, v2, s[0:3], 0 offen offset:4
	s_waitcnt vmcnt(5)
	buffer_store_dword v73, v2, s[0:3], 0 offen offset:8
	;; [unrolled: 2-line block ×6, first 2 shown]
	s_waitcnt vmcnt(0)
	buffer_store_dword v78, v1, s[0:3], 0 offen
.LBB97_234:
	global_load_dword v0, v0, s[12:13] offset:96
	s_waitcnt vmcnt(0)
	v_add_nc_u32_e32 v0, -1, v0
	v_cmp_eq_u32_e32 vcc_lo, 24, v0
	s_cbranch_vccnz .LBB97_236
; %bb.235:
	v_lshlrev_b32_e32 v0, 4, v0
	v_mov_b32_e32 v1, s21
	v_add_nc_u32_e32 v0, 16, v0
	s_clause 0x7
	buffer_load_dword v2, v0, s[0:3], 0 offen
	buffer_load_dword v3, v0, s[0:3], 0 offen offset:4
	buffer_load_dword v4, v0, s[0:3], 0 offen offset:8
	;; [unrolled: 1-line block ×6, first 2 shown]
	buffer_load_dword v77, v1, s[0:3], 0 offen
	s_waitcnt vmcnt(7)
	buffer_store_dword v2, v1, s[0:3], 0 offen
	s_waitcnt vmcnt(6)
	buffer_store_dword v3, v1, s[0:3], 0 offen offset:4
	s_waitcnt vmcnt(5)
	buffer_store_dword v4, v1, s[0:3], 0 offen offset:8
	s_waitcnt vmcnt(4)
	buffer_store_dword v73, v1, s[0:3], 0 offen offset:12
	s_waitcnt vmcnt(3)
	buffer_store_dword v74, v0, s[0:3], 0 offen offset:12
	s_waitcnt vmcnt(2)
	buffer_store_dword v75, v0, s[0:3], 0 offen offset:8
	s_waitcnt vmcnt(1)
	buffer_store_dword v76, v0, s[0:3], 0 offen offset:4
	s_waitcnt vmcnt(0)
	buffer_store_dword v77, v0, s[0:3], 0 offen
.LBB97_236:
	v_mov_b32_e32 v0, 0
	global_load_dword v1, v0, s[12:13] offset:92
	s_waitcnt vmcnt(0)
	v_add_nc_u32_e32 v1, -1, v1
	v_cmp_eq_u32_e32 vcc_lo, 23, v1
	s_cbranch_vccnz .LBB97_238
; %bb.237:
	v_lshlrev_b32_e32 v1, 4, v1
	v_mov_b32_e32 v2, s22
	v_add_nc_u32_e32 v1, 16, v1
	s_clause 0x7
	buffer_load_dword v3, v1, s[0:3], 0 offen
	buffer_load_dword v4, v1, s[0:3], 0 offen offset:4
	buffer_load_dword v73, v1, s[0:3], 0 offen offset:8
	;; [unrolled: 1-line block ×6, first 2 shown]
	buffer_load_dword v78, v2, s[0:3], 0 offen
	s_waitcnt vmcnt(7)
	buffer_store_dword v3, v2, s[0:3], 0 offen
	s_waitcnt vmcnt(6)
	buffer_store_dword v4, v2, s[0:3], 0 offen offset:4
	s_waitcnt vmcnt(5)
	buffer_store_dword v73, v2, s[0:3], 0 offen offset:8
	;; [unrolled: 2-line block ×6, first 2 shown]
	s_waitcnt vmcnt(0)
	buffer_store_dword v78, v1, s[0:3], 0 offen
.LBB97_238:
	global_load_dword v0, v0, s[12:13] offset:88
	s_waitcnt vmcnt(0)
	v_add_nc_u32_e32 v0, -1, v0
	v_cmp_eq_u32_e32 vcc_lo, 22, v0
	s_cbranch_vccnz .LBB97_240
; %bb.239:
	v_lshlrev_b32_e32 v0, 4, v0
	v_mov_b32_e32 v1, s23
	v_add_nc_u32_e32 v0, 16, v0
	s_clause 0x7
	buffer_load_dword v2, v0, s[0:3], 0 offen
	buffer_load_dword v3, v0, s[0:3], 0 offen offset:4
	buffer_load_dword v4, v0, s[0:3], 0 offen offset:8
	;; [unrolled: 1-line block ×6, first 2 shown]
	buffer_load_dword v77, v1, s[0:3], 0 offen
	s_waitcnt vmcnt(7)
	buffer_store_dword v2, v1, s[0:3], 0 offen
	s_waitcnt vmcnt(6)
	buffer_store_dword v3, v1, s[0:3], 0 offen offset:4
	s_waitcnt vmcnt(5)
	buffer_store_dword v4, v1, s[0:3], 0 offen offset:8
	;; [unrolled: 2-line block ×6, first 2 shown]
	s_waitcnt vmcnt(0)
	buffer_store_dword v77, v0, s[0:3], 0 offen
.LBB97_240:
	v_mov_b32_e32 v0, 0
	global_load_dword v1, v0, s[12:13] offset:84
	s_waitcnt vmcnt(0)
	v_add_nc_u32_e32 v1, -1, v1
	v_cmp_eq_u32_e32 vcc_lo, 21, v1
	s_cbranch_vccnz .LBB97_242
; %bb.241:
	v_lshlrev_b32_e32 v1, 4, v1
	v_mov_b32_e32 v2, s24
	v_add_nc_u32_e32 v1, 16, v1
	s_clause 0x7
	buffer_load_dword v3, v1, s[0:3], 0 offen
	buffer_load_dword v4, v1, s[0:3], 0 offen offset:4
	buffer_load_dword v73, v1, s[0:3], 0 offen offset:8
	;; [unrolled: 1-line block ×6, first 2 shown]
	buffer_load_dword v78, v2, s[0:3], 0 offen
	s_waitcnt vmcnt(7)
	buffer_store_dword v3, v2, s[0:3], 0 offen
	s_waitcnt vmcnt(6)
	buffer_store_dword v4, v2, s[0:3], 0 offen offset:4
	s_waitcnt vmcnt(5)
	buffer_store_dword v73, v2, s[0:3], 0 offen offset:8
	;; [unrolled: 2-line block ×6, first 2 shown]
	s_waitcnt vmcnt(0)
	buffer_store_dword v78, v1, s[0:3], 0 offen
.LBB97_242:
	global_load_dword v0, v0, s[12:13] offset:80
	s_waitcnt vmcnt(0)
	v_add_nc_u32_e32 v0, -1, v0
	v_cmp_eq_u32_e32 vcc_lo, 20, v0
	s_cbranch_vccnz .LBB97_244
; %bb.243:
	v_lshlrev_b32_e32 v0, 4, v0
	v_mov_b32_e32 v1, s25
	v_add_nc_u32_e32 v0, 16, v0
	s_clause 0x7
	buffer_load_dword v2, v0, s[0:3], 0 offen
	buffer_load_dword v3, v0, s[0:3], 0 offen offset:4
	buffer_load_dword v4, v0, s[0:3], 0 offen offset:8
	;; [unrolled: 1-line block ×6, first 2 shown]
	buffer_load_dword v77, v1, s[0:3], 0 offen
	s_waitcnt vmcnt(7)
	buffer_store_dword v2, v1, s[0:3], 0 offen
	s_waitcnt vmcnt(6)
	buffer_store_dword v3, v1, s[0:3], 0 offen offset:4
	s_waitcnt vmcnt(5)
	buffer_store_dword v4, v1, s[0:3], 0 offen offset:8
	;; [unrolled: 2-line block ×6, first 2 shown]
	s_waitcnt vmcnt(0)
	buffer_store_dword v77, v0, s[0:3], 0 offen
.LBB97_244:
	v_mov_b32_e32 v0, 0
	global_load_dword v1, v0, s[12:13] offset:76
	s_waitcnt vmcnt(0)
	v_add_nc_u32_e32 v1, -1, v1
	v_cmp_eq_u32_e32 vcc_lo, 19, v1
	s_cbranch_vccnz .LBB97_246
; %bb.245:
	v_lshlrev_b32_e32 v1, 4, v1
	v_mov_b32_e32 v2, s26
	v_add_nc_u32_e32 v1, 16, v1
	s_clause 0x7
	buffer_load_dword v3, v1, s[0:3], 0 offen
	buffer_load_dword v4, v1, s[0:3], 0 offen offset:4
	buffer_load_dword v73, v1, s[0:3], 0 offen offset:8
	;; [unrolled: 1-line block ×6, first 2 shown]
	buffer_load_dword v78, v2, s[0:3], 0 offen
	s_waitcnt vmcnt(7)
	buffer_store_dword v3, v2, s[0:3], 0 offen
	s_waitcnt vmcnt(6)
	buffer_store_dword v4, v2, s[0:3], 0 offen offset:4
	s_waitcnt vmcnt(5)
	buffer_store_dword v73, v2, s[0:3], 0 offen offset:8
	;; [unrolled: 2-line block ×6, first 2 shown]
	s_waitcnt vmcnt(0)
	buffer_store_dword v78, v1, s[0:3], 0 offen
.LBB97_246:
	global_load_dword v0, v0, s[12:13] offset:72
	s_waitcnt vmcnt(0)
	v_add_nc_u32_e32 v0, -1, v0
	v_cmp_eq_u32_e32 vcc_lo, 18, v0
	s_cbranch_vccnz .LBB97_248
; %bb.247:
	v_lshlrev_b32_e32 v0, 4, v0
	v_mov_b32_e32 v1, s27
	v_add_nc_u32_e32 v0, 16, v0
	s_clause 0x7
	buffer_load_dword v2, v0, s[0:3], 0 offen
	buffer_load_dword v3, v0, s[0:3], 0 offen offset:4
	buffer_load_dword v4, v0, s[0:3], 0 offen offset:8
	;; [unrolled: 1-line block ×6, first 2 shown]
	buffer_load_dword v77, v1, s[0:3], 0 offen
	s_waitcnt vmcnt(7)
	buffer_store_dword v2, v1, s[0:3], 0 offen
	s_waitcnt vmcnt(6)
	buffer_store_dword v3, v1, s[0:3], 0 offen offset:4
	s_waitcnt vmcnt(5)
	buffer_store_dword v4, v1, s[0:3], 0 offen offset:8
	;; [unrolled: 2-line block ×6, first 2 shown]
	s_waitcnt vmcnt(0)
	buffer_store_dword v77, v0, s[0:3], 0 offen
.LBB97_248:
	v_mov_b32_e32 v0, 0
	global_load_dword v1, v0, s[12:13] offset:68
	s_waitcnt vmcnt(0)
	v_add_nc_u32_e32 v1, -1, v1
	v_cmp_eq_u32_e32 vcc_lo, 17, v1
	s_cbranch_vccnz .LBB97_250
; %bb.249:
	v_lshlrev_b32_e32 v1, 4, v1
	v_mov_b32_e32 v2, s28
	v_add_nc_u32_e32 v1, 16, v1
	s_clause 0x7
	buffer_load_dword v3, v1, s[0:3], 0 offen
	buffer_load_dword v4, v1, s[0:3], 0 offen offset:4
	buffer_load_dword v73, v1, s[0:3], 0 offen offset:8
	;; [unrolled: 1-line block ×6, first 2 shown]
	buffer_load_dword v78, v2, s[0:3], 0 offen
	s_waitcnt vmcnt(7)
	buffer_store_dword v3, v2, s[0:3], 0 offen
	s_waitcnt vmcnt(6)
	buffer_store_dword v4, v2, s[0:3], 0 offen offset:4
	s_waitcnt vmcnt(5)
	buffer_store_dword v73, v2, s[0:3], 0 offen offset:8
	;; [unrolled: 2-line block ×6, first 2 shown]
	s_waitcnt vmcnt(0)
	buffer_store_dword v78, v1, s[0:3], 0 offen
.LBB97_250:
	global_load_dword v0, v0, s[12:13] offset:64
	s_waitcnt vmcnt(0)
	v_add_nc_u32_e32 v0, -1, v0
	v_cmp_eq_u32_e32 vcc_lo, 16, v0
	s_cbranch_vccnz .LBB97_252
; %bb.251:
	v_lshlrev_b32_e32 v0, 4, v0
	v_mov_b32_e32 v1, s29
	v_add_nc_u32_e32 v0, 16, v0
	s_clause 0x7
	buffer_load_dword v2, v0, s[0:3], 0 offen
	buffer_load_dword v3, v0, s[0:3], 0 offen offset:4
	buffer_load_dword v4, v0, s[0:3], 0 offen offset:8
	;; [unrolled: 1-line block ×6, first 2 shown]
	buffer_load_dword v77, v1, s[0:3], 0 offen
	s_waitcnt vmcnt(7)
	buffer_store_dword v2, v1, s[0:3], 0 offen
	s_waitcnt vmcnt(6)
	buffer_store_dword v3, v1, s[0:3], 0 offen offset:4
	s_waitcnt vmcnt(5)
	buffer_store_dword v4, v1, s[0:3], 0 offen offset:8
	;; [unrolled: 2-line block ×6, first 2 shown]
	s_waitcnt vmcnt(0)
	buffer_store_dword v77, v0, s[0:3], 0 offen
.LBB97_252:
	v_mov_b32_e32 v0, 0
	global_load_dword v1, v0, s[12:13] offset:60
	s_waitcnt vmcnt(0)
	v_add_nc_u32_e32 v1, -1, v1
	v_cmp_eq_u32_e32 vcc_lo, 15, v1
	s_cbranch_vccnz .LBB97_254
; %bb.253:
	v_lshlrev_b32_e32 v1, 4, v1
	v_mov_b32_e32 v2, s30
	v_add_nc_u32_e32 v1, 16, v1
	s_clause 0x7
	buffer_load_dword v3, v1, s[0:3], 0 offen
	buffer_load_dword v4, v1, s[0:3], 0 offen offset:4
	buffer_load_dword v73, v1, s[0:3], 0 offen offset:8
	buffer_load_dword v74, v1, s[0:3], 0 offen offset:12
	buffer_load_dword v75, v2, s[0:3], 0 offen offset:12
	buffer_load_dword v76, v2, s[0:3], 0 offen offset:8
	buffer_load_dword v77, v2, s[0:3], 0 offen offset:4
	buffer_load_dword v78, v2, s[0:3], 0 offen
	s_waitcnt vmcnt(7)
	buffer_store_dword v3, v2, s[0:3], 0 offen
	s_waitcnt vmcnt(6)
	buffer_store_dword v4, v2, s[0:3], 0 offen offset:4
	s_waitcnt vmcnt(5)
	buffer_store_dword v73, v2, s[0:3], 0 offen offset:8
	;; [unrolled: 2-line block ×6, first 2 shown]
	s_waitcnt vmcnt(0)
	buffer_store_dword v78, v1, s[0:3], 0 offen
.LBB97_254:
	global_load_dword v0, v0, s[12:13] offset:56
	s_waitcnt vmcnt(0)
	v_add_nc_u32_e32 v0, -1, v0
	v_cmp_eq_u32_e32 vcc_lo, 14, v0
	s_cbranch_vccnz .LBB97_256
; %bb.255:
	v_lshlrev_b32_e32 v0, 4, v0
	v_mov_b32_e32 v1, s31
	v_add_nc_u32_e32 v0, 16, v0
	s_clause 0x7
	buffer_load_dword v2, v0, s[0:3], 0 offen
	buffer_load_dword v3, v0, s[0:3], 0 offen offset:4
	buffer_load_dword v4, v0, s[0:3], 0 offen offset:8
	;; [unrolled: 1-line block ×6, first 2 shown]
	buffer_load_dword v77, v1, s[0:3], 0 offen
	s_waitcnt vmcnt(7)
	buffer_store_dword v2, v1, s[0:3], 0 offen
	s_waitcnt vmcnt(6)
	buffer_store_dword v3, v1, s[0:3], 0 offen offset:4
	s_waitcnt vmcnt(5)
	buffer_store_dword v4, v1, s[0:3], 0 offen offset:8
	;; [unrolled: 2-line block ×6, first 2 shown]
	s_waitcnt vmcnt(0)
	buffer_store_dword v77, v0, s[0:3], 0 offen
.LBB97_256:
	v_mov_b32_e32 v0, 0
	global_load_dword v1, v0, s[12:13] offset:52
	s_waitcnt vmcnt(0)
	v_add_nc_u32_e32 v1, -1, v1
	v_cmp_eq_u32_e32 vcc_lo, 13, v1
	s_cbranch_vccnz .LBB97_258
; %bb.257:
	v_lshlrev_b32_e32 v1, 4, v1
	v_mov_b32_e32 v2, s33
	v_add_nc_u32_e32 v1, 16, v1
	s_clause 0x7
	buffer_load_dword v3, v1, s[0:3], 0 offen
	buffer_load_dword v4, v1, s[0:3], 0 offen offset:4
	buffer_load_dword v73, v1, s[0:3], 0 offen offset:8
	;; [unrolled: 1-line block ×6, first 2 shown]
	buffer_load_dword v78, v2, s[0:3], 0 offen
	s_waitcnt vmcnt(7)
	buffer_store_dword v3, v2, s[0:3], 0 offen
	s_waitcnt vmcnt(6)
	buffer_store_dword v4, v2, s[0:3], 0 offen offset:4
	s_waitcnt vmcnt(5)
	buffer_store_dword v73, v2, s[0:3], 0 offen offset:8
	;; [unrolled: 2-line block ×6, first 2 shown]
	s_waitcnt vmcnt(0)
	buffer_store_dword v78, v1, s[0:3], 0 offen
.LBB97_258:
	global_load_dword v0, v0, s[12:13] offset:48
	s_waitcnt vmcnt(0)
	v_add_nc_u32_e32 v0, -1, v0
	v_cmp_eq_u32_e32 vcc_lo, 12, v0
	s_cbranch_vccnz .LBB97_260
; %bb.259:
	v_lshlrev_b32_e32 v0, 4, v0
	v_mov_b32_e32 v1, s34
	v_add_nc_u32_e32 v0, 16, v0
	s_clause 0x7
	buffer_load_dword v2, v0, s[0:3], 0 offen
	buffer_load_dword v3, v0, s[0:3], 0 offen offset:4
	buffer_load_dword v4, v0, s[0:3], 0 offen offset:8
	;; [unrolled: 1-line block ×6, first 2 shown]
	buffer_load_dword v77, v1, s[0:3], 0 offen
	s_waitcnt vmcnt(7)
	buffer_store_dword v2, v1, s[0:3], 0 offen
	s_waitcnt vmcnt(6)
	buffer_store_dword v3, v1, s[0:3], 0 offen offset:4
	s_waitcnt vmcnt(5)
	buffer_store_dword v4, v1, s[0:3], 0 offen offset:8
	;; [unrolled: 2-line block ×6, first 2 shown]
	s_waitcnt vmcnt(0)
	buffer_store_dword v77, v0, s[0:3], 0 offen
.LBB97_260:
	v_mov_b32_e32 v0, 0
	global_load_dword v1, v0, s[12:13] offset:44
	s_waitcnt vmcnt(0)
	v_add_nc_u32_e32 v1, -1, v1
	v_cmp_eq_u32_e32 vcc_lo, 11, v1
	s_cbranch_vccnz .LBB97_262
; %bb.261:
	v_lshlrev_b32_e32 v1, 4, v1
	v_mov_b32_e32 v2, s35
	v_add_nc_u32_e32 v1, 16, v1
	s_clause 0x7
	buffer_load_dword v3, v1, s[0:3], 0 offen
	buffer_load_dword v4, v1, s[0:3], 0 offen offset:4
	buffer_load_dword v73, v1, s[0:3], 0 offen offset:8
	;; [unrolled: 1-line block ×6, first 2 shown]
	buffer_load_dword v78, v2, s[0:3], 0 offen
	s_waitcnt vmcnt(7)
	buffer_store_dword v3, v2, s[0:3], 0 offen
	s_waitcnt vmcnt(6)
	buffer_store_dword v4, v2, s[0:3], 0 offen offset:4
	s_waitcnt vmcnt(5)
	buffer_store_dword v73, v2, s[0:3], 0 offen offset:8
	;; [unrolled: 2-line block ×6, first 2 shown]
	s_waitcnt vmcnt(0)
	buffer_store_dword v78, v1, s[0:3], 0 offen
.LBB97_262:
	global_load_dword v0, v0, s[12:13] offset:40
	s_waitcnt vmcnt(0)
	v_add_nc_u32_e32 v0, -1, v0
	v_cmp_eq_u32_e32 vcc_lo, 10, v0
	s_cbranch_vccnz .LBB97_264
; %bb.263:
	v_lshlrev_b32_e32 v0, 4, v0
	v_mov_b32_e32 v1, s36
	v_add_nc_u32_e32 v0, 16, v0
	s_clause 0x7
	buffer_load_dword v2, v0, s[0:3], 0 offen
	buffer_load_dword v3, v0, s[0:3], 0 offen offset:4
	buffer_load_dword v4, v0, s[0:3], 0 offen offset:8
	;; [unrolled: 1-line block ×6, first 2 shown]
	buffer_load_dword v77, v1, s[0:3], 0 offen
	s_waitcnt vmcnt(7)
	buffer_store_dword v2, v1, s[0:3], 0 offen
	s_waitcnt vmcnt(6)
	buffer_store_dword v3, v1, s[0:3], 0 offen offset:4
	s_waitcnt vmcnt(5)
	buffer_store_dword v4, v1, s[0:3], 0 offen offset:8
	;; [unrolled: 2-line block ×6, first 2 shown]
	s_waitcnt vmcnt(0)
	buffer_store_dword v77, v0, s[0:3], 0 offen
.LBB97_264:
	v_mov_b32_e32 v0, 0
	global_load_dword v1, v0, s[12:13] offset:36
	s_waitcnt vmcnt(0)
	v_add_nc_u32_e32 v1, -1, v1
	v_cmp_eq_u32_e32 vcc_lo, 9, v1
	s_cbranch_vccnz .LBB97_266
; %bb.265:
	v_lshlrev_b32_e32 v1, 4, v1
	v_mov_b32_e32 v2, s37
	v_add_nc_u32_e32 v1, 16, v1
	s_clause 0x7
	buffer_load_dword v3, v1, s[0:3], 0 offen
	buffer_load_dword v4, v1, s[0:3], 0 offen offset:4
	buffer_load_dword v73, v1, s[0:3], 0 offen offset:8
	;; [unrolled: 1-line block ×6, first 2 shown]
	buffer_load_dword v78, v2, s[0:3], 0 offen
	s_waitcnt vmcnt(7)
	buffer_store_dword v3, v2, s[0:3], 0 offen
	s_waitcnt vmcnt(6)
	buffer_store_dword v4, v2, s[0:3], 0 offen offset:4
	s_waitcnt vmcnt(5)
	buffer_store_dword v73, v2, s[0:3], 0 offen offset:8
	;; [unrolled: 2-line block ×6, first 2 shown]
	s_waitcnt vmcnt(0)
	buffer_store_dword v78, v1, s[0:3], 0 offen
.LBB97_266:
	global_load_dword v0, v0, s[12:13] offset:32
	s_waitcnt vmcnt(0)
	v_add_nc_u32_e32 v0, -1, v0
	v_cmp_eq_u32_e32 vcc_lo, 8, v0
	s_cbranch_vccnz .LBB97_268
; %bb.267:
	v_lshlrev_b32_e32 v0, 4, v0
	v_mov_b32_e32 v1, s38
	v_add_nc_u32_e32 v0, 16, v0
	s_clause 0x7
	buffer_load_dword v2, v0, s[0:3], 0 offen
	buffer_load_dword v3, v0, s[0:3], 0 offen offset:4
	buffer_load_dword v4, v0, s[0:3], 0 offen offset:8
	;; [unrolled: 1-line block ×6, first 2 shown]
	buffer_load_dword v77, v1, s[0:3], 0 offen
	s_waitcnt vmcnt(7)
	buffer_store_dword v2, v1, s[0:3], 0 offen
	s_waitcnt vmcnt(6)
	buffer_store_dword v3, v1, s[0:3], 0 offen offset:4
	s_waitcnt vmcnt(5)
	buffer_store_dword v4, v1, s[0:3], 0 offen offset:8
	;; [unrolled: 2-line block ×6, first 2 shown]
	s_waitcnt vmcnt(0)
	buffer_store_dword v77, v0, s[0:3], 0 offen
.LBB97_268:
	v_mov_b32_e32 v0, 0
	global_load_dword v1, v0, s[12:13] offset:28
	s_waitcnt vmcnt(0)
	v_add_nc_u32_e32 v1, -1, v1
	v_cmp_eq_u32_e32 vcc_lo, 7, v1
	s_cbranch_vccnz .LBB97_270
; %bb.269:
	v_lshlrev_b32_e32 v1, 4, v1
	v_mov_b32_e32 v2, s39
	v_add_nc_u32_e32 v1, 16, v1
	s_clause 0x7
	buffer_load_dword v3, v1, s[0:3], 0 offen
	buffer_load_dword v4, v1, s[0:3], 0 offen offset:4
	buffer_load_dword v73, v1, s[0:3], 0 offen offset:8
	;; [unrolled: 1-line block ×6, first 2 shown]
	buffer_load_dword v78, v2, s[0:3], 0 offen
	s_waitcnt vmcnt(7)
	buffer_store_dword v3, v2, s[0:3], 0 offen
	s_waitcnt vmcnt(6)
	buffer_store_dword v4, v2, s[0:3], 0 offen offset:4
	s_waitcnt vmcnt(5)
	buffer_store_dword v73, v2, s[0:3], 0 offen offset:8
	;; [unrolled: 2-line block ×6, first 2 shown]
	s_waitcnt vmcnt(0)
	buffer_store_dword v78, v1, s[0:3], 0 offen
.LBB97_270:
	global_load_dword v0, v0, s[12:13] offset:24
	s_waitcnt vmcnt(0)
	v_add_nc_u32_e32 v0, -1, v0
	v_cmp_eq_u32_e32 vcc_lo, 6, v0
	s_cbranch_vccnz .LBB97_272
; %bb.271:
	v_lshlrev_b32_e32 v0, 4, v0
	v_mov_b32_e32 v1, s40
	v_add_nc_u32_e32 v0, 16, v0
	s_clause 0x7
	buffer_load_dword v2, v0, s[0:3], 0 offen
	buffer_load_dword v3, v0, s[0:3], 0 offen offset:4
	buffer_load_dword v4, v0, s[0:3], 0 offen offset:8
	;; [unrolled: 1-line block ×6, first 2 shown]
	buffer_load_dword v77, v1, s[0:3], 0 offen
	s_waitcnt vmcnt(7)
	buffer_store_dword v2, v1, s[0:3], 0 offen
	s_waitcnt vmcnt(6)
	buffer_store_dword v3, v1, s[0:3], 0 offen offset:4
	s_waitcnt vmcnt(5)
	buffer_store_dword v4, v1, s[0:3], 0 offen offset:8
	;; [unrolled: 2-line block ×6, first 2 shown]
	s_waitcnt vmcnt(0)
	buffer_store_dword v77, v0, s[0:3], 0 offen
.LBB97_272:
	v_mov_b32_e32 v0, 0
	global_load_dword v1, v0, s[12:13] offset:20
	s_waitcnt vmcnt(0)
	v_add_nc_u32_e32 v1, -1, v1
	v_cmp_eq_u32_e32 vcc_lo, 5, v1
	s_cbranch_vccnz .LBB97_274
; %bb.273:
	v_lshlrev_b32_e32 v1, 4, v1
	v_mov_b32_e32 v2, s41
	v_add_nc_u32_e32 v1, 16, v1
	s_clause 0x7
	buffer_load_dword v3, v1, s[0:3], 0 offen
	buffer_load_dword v4, v1, s[0:3], 0 offen offset:4
	buffer_load_dword v73, v1, s[0:3], 0 offen offset:8
	;; [unrolled: 1-line block ×6, first 2 shown]
	buffer_load_dword v78, v2, s[0:3], 0 offen
	s_waitcnt vmcnt(7)
	buffer_store_dword v3, v2, s[0:3], 0 offen
	s_waitcnt vmcnt(6)
	buffer_store_dword v4, v2, s[0:3], 0 offen offset:4
	s_waitcnt vmcnt(5)
	buffer_store_dword v73, v2, s[0:3], 0 offen offset:8
	;; [unrolled: 2-line block ×6, first 2 shown]
	s_waitcnt vmcnt(0)
	buffer_store_dword v78, v1, s[0:3], 0 offen
.LBB97_274:
	global_load_dword v0, v0, s[12:13] offset:16
	s_waitcnt vmcnt(0)
	v_add_nc_u32_e32 v0, -1, v0
	v_cmp_eq_u32_e32 vcc_lo, 4, v0
	s_cbranch_vccnz .LBB97_276
; %bb.275:
	v_lshlrev_b32_e32 v0, 4, v0
	v_mov_b32_e32 v1, s42
	v_add_nc_u32_e32 v0, 16, v0
	s_clause 0x7
	buffer_load_dword v2, v0, s[0:3], 0 offen
	buffer_load_dword v3, v0, s[0:3], 0 offen offset:4
	buffer_load_dword v4, v0, s[0:3], 0 offen offset:8
	buffer_load_dword v73, v0, s[0:3], 0 offen offset:12
	buffer_load_dword v74, v1, s[0:3], 0 offen offset:12
	buffer_load_dword v75, v1, s[0:3], 0 offen offset:8
	buffer_load_dword v76, v1, s[0:3], 0 offen offset:4
	buffer_load_dword v77, v1, s[0:3], 0 offen
	s_waitcnt vmcnt(7)
	buffer_store_dword v2, v1, s[0:3], 0 offen
	s_waitcnt vmcnt(6)
	buffer_store_dword v3, v1, s[0:3], 0 offen offset:4
	s_waitcnt vmcnt(5)
	buffer_store_dword v4, v1, s[0:3], 0 offen offset:8
	;; [unrolled: 2-line block ×6, first 2 shown]
	s_waitcnt vmcnt(0)
	buffer_store_dword v77, v0, s[0:3], 0 offen
.LBB97_276:
	v_mov_b32_e32 v0, 0
	global_load_dword v1, v0, s[12:13] offset:12
	s_waitcnt vmcnt(0)
	v_add_nc_u32_e32 v1, -1, v1
	v_cmp_eq_u32_e32 vcc_lo, 3, v1
	s_cbranch_vccnz .LBB97_278
; %bb.277:
	v_lshlrev_b32_e32 v1, 4, v1
	v_mov_b32_e32 v2, s43
	v_add_nc_u32_e32 v1, 16, v1
	s_clause 0x7
	buffer_load_dword v3, v1, s[0:3], 0 offen
	buffer_load_dword v4, v1, s[0:3], 0 offen offset:4
	buffer_load_dword v73, v1, s[0:3], 0 offen offset:8
	;; [unrolled: 1-line block ×6, first 2 shown]
	buffer_load_dword v78, v2, s[0:3], 0 offen
	s_waitcnt vmcnt(7)
	buffer_store_dword v3, v2, s[0:3], 0 offen
	s_waitcnt vmcnt(6)
	buffer_store_dword v4, v2, s[0:3], 0 offen offset:4
	s_waitcnt vmcnt(5)
	buffer_store_dword v73, v2, s[0:3], 0 offen offset:8
	;; [unrolled: 2-line block ×6, first 2 shown]
	s_waitcnt vmcnt(0)
	buffer_store_dword v78, v1, s[0:3], 0 offen
.LBB97_278:
	global_load_dword v0, v0, s[12:13] offset:8
	s_waitcnt vmcnt(0)
	v_add_nc_u32_e32 v0, -1, v0
	v_cmp_eq_u32_e32 vcc_lo, 2, v0
	s_cbranch_vccnz .LBB97_280
; %bb.279:
	v_lshlrev_b32_e32 v0, 4, v0
	v_mov_b32_e32 v1, s44
	v_add_nc_u32_e32 v0, 16, v0
	s_clause 0x7
	buffer_load_dword v2, v0, s[0:3], 0 offen
	buffer_load_dword v3, v0, s[0:3], 0 offen offset:4
	buffer_load_dword v4, v0, s[0:3], 0 offen offset:8
	;; [unrolled: 1-line block ×6, first 2 shown]
	buffer_load_dword v77, v1, s[0:3], 0 offen
	s_waitcnt vmcnt(7)
	buffer_store_dword v2, v1, s[0:3], 0 offen
	s_waitcnt vmcnt(6)
	buffer_store_dword v3, v1, s[0:3], 0 offen offset:4
	s_waitcnt vmcnt(5)
	buffer_store_dword v4, v1, s[0:3], 0 offen offset:8
	;; [unrolled: 2-line block ×6, first 2 shown]
	s_waitcnt vmcnt(0)
	buffer_store_dword v77, v0, s[0:3], 0 offen
.LBB97_280:
	v_mov_b32_e32 v0, 0
	global_load_dword v1, v0, s[12:13] offset:4
	s_waitcnt vmcnt(0)
	v_add_nc_u32_e32 v1, -1, v1
	v_cmp_eq_u32_e32 vcc_lo, 1, v1
	s_cbranch_vccnz .LBB97_282
; %bb.281:
	v_lshlrev_b32_e32 v1, 4, v1
	v_mov_b32_e32 v2, s45
	v_add_nc_u32_e32 v1, 16, v1
	s_clause 0x7
	buffer_load_dword v3, v1, s[0:3], 0 offen
	buffer_load_dword v4, v1, s[0:3], 0 offen offset:4
	buffer_load_dword v73, v1, s[0:3], 0 offen offset:8
	;; [unrolled: 1-line block ×6, first 2 shown]
	buffer_load_dword v78, v2, s[0:3], 0 offen
	s_waitcnt vmcnt(7)
	buffer_store_dword v3, v2, s[0:3], 0 offen
	s_waitcnt vmcnt(6)
	buffer_store_dword v4, v2, s[0:3], 0 offen offset:4
	s_waitcnt vmcnt(5)
	buffer_store_dword v73, v2, s[0:3], 0 offen offset:8
	;; [unrolled: 2-line block ×6, first 2 shown]
	s_waitcnt vmcnt(0)
	buffer_store_dword v78, v1, s[0:3], 0 offen
.LBB97_282:
	global_load_dword v0, v0, s[12:13]
	s_waitcnt vmcnt(0)
	v_add_nc_u32_e32 v0, -1, v0
	v_cmp_eq_u32_e32 vcc_lo, 0, v0
	s_cbranch_vccnz .LBB97_284
; %bb.283:
	v_lshlrev_b32_e32 v0, 4, v0
	v_add_nc_u32_e32 v0, 16, v0
	s_clause 0x7
	buffer_load_dword v1, v0, s[0:3], 0 offen
	buffer_load_dword v2, v0, s[0:3], 0 offen offset:4
	buffer_load_dword v3, v0, s[0:3], 0 offen offset:8
	;; [unrolled: 1-line block ×3, first 2 shown]
	buffer_load_dword v73, off, s[0:3], 0 offset:28
	buffer_load_dword v74, off, s[0:3], 0 offset:24
	;; [unrolled: 1-line block ×4, first 2 shown]
	s_waitcnt vmcnt(7)
	buffer_store_dword v1, off, s[0:3], 0 offset:16
	s_waitcnt vmcnt(6)
	buffer_store_dword v2, off, s[0:3], 0 offset:20
	;; [unrolled: 2-line block ×4, first 2 shown]
	s_waitcnt vmcnt(3)
	buffer_store_dword v73, v0, s[0:3], 0 offen offset:12
	s_waitcnt vmcnt(2)
	buffer_store_dword v74, v0, s[0:3], 0 offen offset:8
	;; [unrolled: 2-line block ×3, first 2 shown]
	s_waitcnt vmcnt(0)
	buffer_store_dword v76, v0, s[0:3], 0 offen
.LBB97_284:
	s_clause 0x3
	buffer_load_dword v0, off, s[0:3], 0 offset:16
	buffer_load_dword v1, off, s[0:3], 0 offset:20
	;; [unrolled: 1-line block ×4, first 2 shown]
	v_mov_b32_e32 v4, s45
	s_waitcnt vmcnt(0)
	flat_store_dwordx4 v[5:6], v[0:3]
	s_clause 0x3
	buffer_load_dword v0, v4, s[0:3], 0 offen
	buffer_load_dword v1, v4, s[0:3], 0 offen offset:4
	buffer_load_dword v2, v4, s[0:3], 0 offen offset:8
	buffer_load_dword v3, v4, s[0:3], 0 offen offset:12
	v_mov_b32_e32 v4, s44
	s_waitcnt vmcnt(0)
	flat_store_dwordx4 v[59:60], v[0:3]
	s_clause 0x3
	buffer_load_dword v0, v4, s[0:3], 0 offen
	buffer_load_dword v1, v4, s[0:3], 0 offen offset:4
	buffer_load_dword v2, v4, s[0:3], 0 offen offset:8
	buffer_load_dword v3, v4, s[0:3], 0 offen offset:12
	;; [unrolled: 8-line block ×33, first 2 shown]
	s_waitcnt vmcnt(0)
	flat_store_dwordx4 v[71:72], v[0:3]
	s_endpgm
	.section	.rodata,"a",@progbits
	.p2align	6, 0x0
	.amdhsa_kernel _ZN9rocsolver6v33100L18getri_kernel_smallILi34E19rocblas_complex_numIdEPKPS3_EEvT1_iilPiilS8_bb
		.amdhsa_group_segment_fixed_size 1096
		.amdhsa_private_segment_fixed_size 576
		.amdhsa_kernarg_size 60
		.amdhsa_user_sgpr_count 6
		.amdhsa_user_sgpr_private_segment_buffer 1
		.amdhsa_user_sgpr_dispatch_ptr 0
		.amdhsa_user_sgpr_queue_ptr 0
		.amdhsa_user_sgpr_kernarg_segment_ptr 1
		.amdhsa_user_sgpr_dispatch_id 0
		.amdhsa_user_sgpr_flat_scratch_init 0
		.amdhsa_user_sgpr_private_segment_size 0
		.amdhsa_wavefront_size32 1
		.amdhsa_uses_dynamic_stack 0
		.amdhsa_system_sgpr_private_segment_wavefront_offset 1
		.amdhsa_system_sgpr_workgroup_id_x 1
		.amdhsa_system_sgpr_workgroup_id_y 0
		.amdhsa_system_sgpr_workgroup_id_z 0
		.amdhsa_system_sgpr_workgroup_info 0
		.amdhsa_system_vgpr_workitem_id 0
		.amdhsa_next_free_vgpr 160
		.amdhsa_next_free_sgpr 62
		.amdhsa_reserve_vcc 1
		.amdhsa_reserve_flat_scratch 0
		.amdhsa_float_round_mode_32 0
		.amdhsa_float_round_mode_16_64 0
		.amdhsa_float_denorm_mode_32 3
		.amdhsa_float_denorm_mode_16_64 3
		.amdhsa_dx10_clamp 1
		.amdhsa_ieee_mode 1
		.amdhsa_fp16_overflow 0
		.amdhsa_workgroup_processor_mode 1
		.amdhsa_memory_ordered 1
		.amdhsa_forward_progress 1
		.amdhsa_shared_vgpr_count 0
		.amdhsa_exception_fp_ieee_invalid_op 0
		.amdhsa_exception_fp_denorm_src 0
		.amdhsa_exception_fp_ieee_div_zero 0
		.amdhsa_exception_fp_ieee_overflow 0
		.amdhsa_exception_fp_ieee_underflow 0
		.amdhsa_exception_fp_ieee_inexact 0
		.amdhsa_exception_int_div_zero 0
	.end_amdhsa_kernel
	.section	.text._ZN9rocsolver6v33100L18getri_kernel_smallILi34E19rocblas_complex_numIdEPKPS3_EEvT1_iilPiilS8_bb,"axG",@progbits,_ZN9rocsolver6v33100L18getri_kernel_smallILi34E19rocblas_complex_numIdEPKPS3_EEvT1_iilPiilS8_bb,comdat
.Lfunc_end97:
	.size	_ZN9rocsolver6v33100L18getri_kernel_smallILi34E19rocblas_complex_numIdEPKPS3_EEvT1_iilPiilS8_bb, .Lfunc_end97-_ZN9rocsolver6v33100L18getri_kernel_smallILi34E19rocblas_complex_numIdEPKPS3_EEvT1_iilPiilS8_bb
                                        ; -- End function
	.set _ZN9rocsolver6v33100L18getri_kernel_smallILi34E19rocblas_complex_numIdEPKPS3_EEvT1_iilPiilS8_bb.num_vgpr, 160
	.set _ZN9rocsolver6v33100L18getri_kernel_smallILi34E19rocblas_complex_numIdEPKPS3_EEvT1_iilPiilS8_bb.num_agpr, 0
	.set _ZN9rocsolver6v33100L18getri_kernel_smallILi34E19rocblas_complex_numIdEPKPS3_EEvT1_iilPiilS8_bb.numbered_sgpr, 62
	.set _ZN9rocsolver6v33100L18getri_kernel_smallILi34E19rocblas_complex_numIdEPKPS3_EEvT1_iilPiilS8_bb.num_named_barrier, 0
	.set _ZN9rocsolver6v33100L18getri_kernel_smallILi34E19rocblas_complex_numIdEPKPS3_EEvT1_iilPiilS8_bb.private_seg_size, 576
	.set _ZN9rocsolver6v33100L18getri_kernel_smallILi34E19rocblas_complex_numIdEPKPS3_EEvT1_iilPiilS8_bb.uses_vcc, 1
	.set _ZN9rocsolver6v33100L18getri_kernel_smallILi34E19rocblas_complex_numIdEPKPS3_EEvT1_iilPiilS8_bb.uses_flat_scratch, 0
	.set _ZN9rocsolver6v33100L18getri_kernel_smallILi34E19rocblas_complex_numIdEPKPS3_EEvT1_iilPiilS8_bb.has_dyn_sized_stack, 0
	.set _ZN9rocsolver6v33100L18getri_kernel_smallILi34E19rocblas_complex_numIdEPKPS3_EEvT1_iilPiilS8_bb.has_recursion, 0
	.set _ZN9rocsolver6v33100L18getri_kernel_smallILi34E19rocblas_complex_numIdEPKPS3_EEvT1_iilPiilS8_bb.has_indirect_call, 0
	.section	.AMDGPU.csdata,"",@progbits
; Kernel info:
; codeLenInByte = 86816
; TotalNumSgprs: 64
; NumVgprs: 160
; ScratchSize: 576
; MemoryBound: 0
; FloatMode: 240
; IeeeMode: 1
; LDSByteSize: 1096 bytes/workgroup (compile time only)
; SGPRBlocks: 0
; VGPRBlocks: 19
; NumSGPRsForWavesPerEU: 64
; NumVGPRsForWavesPerEU: 160
; Occupancy: 6
; WaveLimiterHint : 1
; COMPUTE_PGM_RSRC2:SCRATCH_EN: 1
; COMPUTE_PGM_RSRC2:USER_SGPR: 6
; COMPUTE_PGM_RSRC2:TRAP_HANDLER: 0
; COMPUTE_PGM_RSRC2:TGID_X_EN: 1
; COMPUTE_PGM_RSRC2:TGID_Y_EN: 0
; COMPUTE_PGM_RSRC2:TGID_Z_EN: 0
; COMPUTE_PGM_RSRC2:TIDIG_COMP_CNT: 0
	.section	.text._ZN9rocsolver6v33100L18getri_kernel_smallILi35E19rocblas_complex_numIdEPKPS3_EEvT1_iilPiilS8_bb,"axG",@progbits,_ZN9rocsolver6v33100L18getri_kernel_smallILi35E19rocblas_complex_numIdEPKPS3_EEvT1_iilPiilS8_bb,comdat
	.globl	_ZN9rocsolver6v33100L18getri_kernel_smallILi35E19rocblas_complex_numIdEPKPS3_EEvT1_iilPiilS8_bb ; -- Begin function _ZN9rocsolver6v33100L18getri_kernel_smallILi35E19rocblas_complex_numIdEPKPS3_EEvT1_iilPiilS8_bb
	.p2align	8
	.type	_ZN9rocsolver6v33100L18getri_kernel_smallILi35E19rocblas_complex_numIdEPKPS3_EEvT1_iilPiilS8_bb,@function
_ZN9rocsolver6v33100L18getri_kernel_smallILi35E19rocblas_complex_numIdEPKPS3_EEvT1_iilPiilS8_bb: ; @_ZN9rocsolver6v33100L18getri_kernel_smallILi35E19rocblas_complex_numIdEPKPS3_EEvT1_iilPiilS8_bb
; %bb.0:
	s_add_u32 s0, s0, s7
	s_addc_u32 s1, s1, 0
	s_mov_b32 s7, exec_lo
	v_cmpx_gt_u32_e32 35, v0
	s_cbranch_execz .LBB98_154
; %bb.1:
	s_clause 0x2
	s_load_dword s16, s[4:5], 0x38
	s_load_dwordx2 s[12:13], s[4:5], 0x0
	s_load_dwordx4 s[8:11], s[4:5], 0x28
	s_waitcnt lgkmcnt(0)
	s_bitcmp1_b32 s16, 8
	s_cselect_b32 s47, -1, 0
	s_ashr_i32 s7, s6, 31
	s_lshl_b64 s[14:15], s[6:7], 3
	s_add_u32 s12, s12, s14
	s_addc_u32 s13, s13, s15
	s_load_dwordx2 s[14:15], s[12:13], 0x0
	s_bfe_u32 s12, s16, 0x10008
	s_cmp_eq_u32 s12, 0
                                        ; implicit-def: $sgpr12_sgpr13
	s_cbranch_scc1 .LBB98_3
; %bb.2:
	s_clause 0x1
	s_load_dword s12, s[4:5], 0x20
	s_load_dwordx2 s[16:17], s[4:5], 0x18
	s_mul_i32 s13, s8, s7
	s_mul_hi_u32 s18, s8, s6
	s_mul_i32 s9, s9, s6
	s_add_i32 s13, s18, s13
	s_mul_i32 s8, s8, s6
	s_add_i32 s9, s13, s9
	s_lshl_b64 s[8:9], s[8:9], 2
	s_waitcnt lgkmcnt(0)
	s_ashr_i32 s13, s12, 31
	s_add_u32 s16, s16, s8
	s_addc_u32 s17, s17, s9
	s_lshl_b64 s[8:9], s[12:13], 2
	s_add_u32 s12, s16, s8
	s_addc_u32 s13, s17, s9
.LBB98_3:
	s_clause 0x1
	s_load_dwordx2 s[8:9], s[4:5], 0x8
	s_load_dword s48, s[4:5], 0x38
	v_lshlrev_b32_e32 v81, 4, v0
	s_movk_i32 s16, 0xa0
	s_movk_i32 s17, 0xb0
	s_movk_i32 s18, 0xc0
	s_movk_i32 s19, 0xd0
	s_movk_i32 s20, 0xe0
	s_movk_i32 s21, 0xf0
	s_movk_i32 s22, 0x100
	s_movk_i32 s23, 0x110
	s_movk_i32 s24, 0x120
	s_movk_i32 s25, 0x130
	s_movk_i32 s26, 0x140
	s_movk_i32 s49, 0x150
	s_movk_i32 s50, 0x160
	s_movk_i32 s51, 0x170
	s_movk_i32 s52, 0x180
	s_movk_i32 s53, 0x190
	s_movk_i32 s54, 0x1a0
	s_waitcnt lgkmcnt(0)
	s_ashr_i32 s5, s8, 31
	s_mov_b32 s4, s8
	v_add3_u32 v7, s9, s9, v0
	s_lshl_b64 s[4:5], s[4:5], 4
	s_movk_i32 s55, 0x1b0
	s_add_u32 s8, s14, s4
	s_addc_u32 s14, s15, s5
	v_add_co_u32 v5, s4, s8, v81
	v_add_co_ci_u32_e64 v6, null, s14, 0, s4
	s_mov_b32 s4, s9
	s_ashr_i32 s5, s9, 31
	v_ashrrev_i32_e32 v8, 31, v7
	flat_load_dwordx4 v[1:4], v[5:6]
	s_lshl_b64 s[4:5], s[4:5], 4
	s_movk_i32 s15, 0x90
	v_add_co_u32 v59, vcc_lo, v5, s4
	v_add_co_ci_u32_e64 v60, null, s5, v6, vcc_lo
	v_lshlrev_b64 v[8:9], 4, v[7:8]
	v_add_nc_u32_e32 v7, s9, v7
	s_movk_i32 s4, 0x50
	s_movk_i32 s56, 0x1c0
	;; [unrolled: 1-line block ×4, first 2 shown]
	v_add_co_u32 v57, vcc_lo, s8, v8
	v_add_co_ci_u32_e64 v58, null, s14, v9, vcc_lo
	v_ashrrev_i32_e32 v8, 31, v7
	s_movk_i32 s59, 0x1f0
	s_movk_i32 s60, 0x200
	;; [unrolled: 1-line block ×4, first 2 shown]
	v_lshlrev_b64 v[8:9], 4, v[7:8]
	v_add_nc_u32_e32 v7, s9, v7
	s_add_i32 s42, s4, 16
	s_add_i32 s38, s15, 16
	s_add_i32 s37, s16, 16
	s_add_i32 s36, s17, 16
	v_add_co_u32 v53, vcc_lo, s8, v8
	v_add_co_ci_u32_e64 v54, null, s14, v9, vcc_lo
	v_ashrrev_i32_e32 v8, 31, v7
	s_add_i32 s35, s18, 16
	s_add_i32 s34, s19, 16
	s_add_i32 s33, s20, 16
	s_add_i32 s31, s21, 16
	v_lshlrev_b64 v[8:9], 4, v[7:8]
	v_add_nc_u32_e32 v7, s9, v7
	s_add_i32 s30, s22, 16
	s_add_i32 s29, s23, 16
	s_add_i32 s28, s24, 16
	s_add_i32 s27, s25, 16
	v_add_co_u32 v51, vcc_lo, s8, v8
	v_add_co_ci_u32_e64 v52, null, s14, v9, vcc_lo
	v_ashrrev_i32_e32 v8, 31, v7
	s_add_i32 s26, s26, 16
	s_add_i32 s25, s49, 16
	s_add_i32 s24, s50, 16
	s_add_i32 s23, s51, 16
	;; [unrolled: 13-line block ×3, first 2 shown]
	v_lshlrev_b64 v[8:9], 4, v[7:8]
	v_add_nc_u32_e32 v7, s9, v7
	s_mov_b32 s5, -1
	s_mov_b32 s46, 32
	s_mov_b32 s45, 48
	;; [unrolled: 1-line block ×3, first 2 shown]
	v_add_co_u32 v47, vcc_lo, s8, v8
	v_add_co_ci_u32_e64 v48, null, s14, v9, vcc_lo
	v_ashrrev_i32_e32 v8, 31, v7
	s_movk_i32 s43, 0x50
	s_waitcnt vmcnt(0) lgkmcnt(0)
	buffer_store_dword v4, off, s[0:3], 0 offset:28
	buffer_store_dword v3, off, s[0:3], 0 offset:24
	buffer_store_dword v2, off, s[0:3], 0 offset:20
	buffer_store_dword v1, off, s[0:3], 0 offset:16
	flat_load_dwordx4 v[1:4], v[59:60]
	v_lshlrev_b64 v[8:9], 4, v[7:8]
	v_add_nc_u32_e32 v7, s9, v7
	s_waitcnt vmcnt(0) lgkmcnt(0)
	buffer_store_dword v4, off, s[0:3], 0 offset:44
	buffer_store_dword v3, off, s[0:3], 0 offset:40
	buffer_store_dword v2, off, s[0:3], 0 offset:36
	buffer_store_dword v1, off, s[0:3], 0 offset:32
	flat_load_dwordx4 v[1:4], v[57:58]
	v_add_co_u32 v45, vcc_lo, s8, v8
	v_add_co_ci_u32_e64 v46, null, s14, v9, vcc_lo
	v_ashrrev_i32_e32 v8, 31, v7
	s_waitcnt vmcnt(0) lgkmcnt(0)
	buffer_store_dword v4, off, s[0:3], 0 offset:60
	buffer_store_dword v3, off, s[0:3], 0 offset:56
	buffer_store_dword v2, off, s[0:3], 0 offset:52
	buffer_store_dword v1, off, s[0:3], 0 offset:48
	flat_load_dwordx4 v[1:4], v[53:54]
	v_lshlrev_b64 v[8:9], 4, v[7:8]
	v_add_nc_u32_e32 v7, s9, v7
	s_waitcnt vmcnt(0) lgkmcnt(0)
	buffer_store_dword v4, off, s[0:3], 0 offset:76
	buffer_store_dword v3, off, s[0:3], 0 offset:72
	buffer_store_dword v2, off, s[0:3], 0 offset:68
	buffer_store_dword v1, off, s[0:3], 0 offset:64
	flat_load_dwordx4 v[1:4], v[51:52]
	v_add_co_u32 v43, vcc_lo, s8, v8
	v_add_co_ci_u32_e64 v44, null, s14, v9, vcc_lo
	v_ashrrev_i32_e32 v8, 31, v7
	;; [unrolled: 17-line block ×5, first 2 shown]
	s_waitcnt vmcnt(0) lgkmcnt(0)
	buffer_store_dword v4, off, s[0:3], 0 offset:188
	buffer_store_dword v3, off, s[0:3], 0 offset:184
	;; [unrolled: 1-line block ×4, first 2 shown]
	flat_load_dwordx4 v[1:4], v[37:38]
	v_lshlrev_b64 v[8:9], 4, v[7:8]
	v_add_nc_u32_e32 v7, s9, v7
	s_waitcnt vmcnt(0) lgkmcnt(0)
	buffer_store_dword v4, off, s[0:3], 0 offset:204
	buffer_store_dword v3, off, s[0:3], 0 offset:200
	;; [unrolled: 1-line block ×4, first 2 shown]
	v_add_co_u32 v33, vcc_lo, s8, v8
	v_add_co_ci_u32_e64 v34, null, s14, v9, vcc_lo
	v_ashrrev_i32_e32 v8, 31, v7
	flat_load_dwordx4 v[1:4], v[33:34]
	s_waitcnt vmcnt(0) lgkmcnt(0)
	buffer_store_dword v4, off, s[0:3], 0 offset:220
	buffer_store_dword v3, off, s[0:3], 0 offset:216
	buffer_store_dword v2, off, s[0:3], 0 offset:212
	buffer_store_dword v1, off, s[0:3], 0 offset:208
	v_lshlrev_b64 v[8:9], 4, v[7:8]
	v_add_nc_u32_e32 v7, s9, v7
	v_add_co_u32 v31, vcc_lo, s8, v8
	v_add_co_ci_u32_e64 v32, null, s14, v9, vcc_lo
	v_ashrrev_i32_e32 v8, 31, v7
	flat_load_dwordx4 v[1:4], v[31:32]
	s_waitcnt vmcnt(0) lgkmcnt(0)
	buffer_store_dword v4, off, s[0:3], 0 offset:236
	buffer_store_dword v3, off, s[0:3], 0 offset:232
	buffer_store_dword v2, off, s[0:3], 0 offset:228
	buffer_store_dword v1, off, s[0:3], 0 offset:224
	v_lshlrev_b64 v[8:9], 4, v[7:8]
	v_add_nc_u32_e32 v7, s9, v7
	;; [unrolled: 11-line block ×11, first 2 shown]
	v_add_co_u32 v11, vcc_lo, s8, v8
	v_add_co_ci_u32_e64 v12, null, s14, v9, vcc_lo
	v_ashrrev_i32_e32 v8, 31, v7
	v_add_nc_u32_e32 v35, s9, v7
	flat_load_dwordx4 v[1:4], v[11:12]
	s_waitcnt vmcnt(0) lgkmcnt(0)
	buffer_store_dword v4, off, s[0:3], 0 offset:396
	buffer_store_dword v3, off, s[0:3], 0 offset:392
	;; [unrolled: 1-line block ×4, first 2 shown]
	v_lshlrev_b64 v[9:10], 4, v[7:8]
	v_ashrrev_i32_e32 v36, 31, v35
	v_add_nc_u32_e32 v55, s9, v35
	v_add_co_u32 v9, vcc_lo, s8, v9
	v_add_co_ci_u32_e64 v10, null, s14, v10, vcc_lo
	v_lshlrev_b64 v[7:8], 4, v[35:36]
	v_ashrrev_i32_e32 v56, 31, v55
	v_add_nc_u32_e32 v61, s9, v55
	flat_load_dwordx4 v[1:4], v[9:10]
	s_waitcnt vmcnt(0) lgkmcnt(0)
	buffer_store_dword v4, off, s[0:3], 0 offset:412
	buffer_store_dword v3, off, s[0:3], 0 offset:408
	buffer_store_dword v2, off, s[0:3], 0 offset:404
	buffer_store_dword v1, off, s[0:3], 0 offset:400
	v_add_co_u32 v7, vcc_lo, s8, v7
	v_add_co_ci_u32_e64 v8, null, s14, v8, vcc_lo
	v_lshlrev_b64 v[35:36], 4, v[55:56]
	v_ashrrev_i32_e32 v62, 31, v61
	v_add_nc_u32_e32 v63, s9, v61
	flat_load_dwordx4 v[1:4], v[7:8]
	s_waitcnt vmcnt(0) lgkmcnt(0)
	buffer_store_dword v4, off, s[0:3], 0 offset:428
	buffer_store_dword v3, off, s[0:3], 0 offset:424
	buffer_store_dword v2, off, s[0:3], 0 offset:420
	buffer_store_dword v1, off, s[0:3], 0 offset:416
	;; [unrolled: 11-line block ×7, first 2 shown]
	v_add_co_u32 v67, vcc_lo, s8, v67
	v_add_co_ci_u32_e64 v68, null, s14, v68, vcc_lo
	v_lshlrev_b64 v[69:70], 4, v[71:72]
	v_ashrrev_i32_e32 v74, 31, v73
	flat_load_dwordx4 v[1:4], v[67:68]
	s_waitcnt vmcnt(0) lgkmcnt(0)
	buffer_store_dword v4, off, s[0:3], 0 offset:524
	buffer_store_dword v3, off, s[0:3], 0 offset:520
	;; [unrolled: 1-line block ×4, first 2 shown]
	v_add_co_u32 v69, vcc_lo, s8, v69
	v_add_co_ci_u32_e64 v70, null, s14, v70, vcc_lo
	v_lshlrev_b64 v[71:72], 4, v[73:74]
	v_add_nc_u32_e32 v73, s9, v73
	s_movk_i32 s9, 0x70
	flat_load_dwordx4 v[1:4], v[69:70]
	s_add_i32 s40, s9, 16
	s_add_i32 s9, s61, 16
	v_add_co_u32 v71, vcc_lo, s8, v71
	v_add_co_ci_u32_e64 v72, null, s14, v72, vcc_lo
	v_ashrrev_i32_e32 v74, 31, v73
	s_waitcnt vmcnt(0) lgkmcnt(0)
	buffer_store_dword v4, off, s[0:3], 0 offset:540
	buffer_store_dword v3, off, s[0:3], 0 offset:536
	buffer_store_dword v2, off, s[0:3], 0 offset:532
	buffer_store_dword v1, off, s[0:3], 0 offset:528
	flat_load_dwordx4 v[1:4], v[71:72]
	v_lshlrev_b64 v[73:74], 4, v[73:74]
	s_waitcnt vmcnt(0) lgkmcnt(0)
	buffer_store_dword v4, off, s[0:3], 0 offset:556
	buffer_store_dword v3, off, s[0:3], 0 offset:552
	;; [unrolled: 1-line block ×4, first 2 shown]
	v_add_co_u32 v73, vcc_lo, s8, v73
	v_add_co_ci_u32_e64 v74, null, s14, v74, vcc_lo
	s_movk_i32 s8, 0x60
	s_movk_i32 s14, 0x80
	s_add_i32 s41, s8, 16
	flat_load_dwordx4 v[1:4], v[73:74]
	s_add_i32 s39, s14, 16
	s_add_i32 s14, s60, 16
	s_add_i32 s8, s62, 16
	s_bitcmp0_b32 s48, 0
	s_waitcnt vmcnt(0) lgkmcnt(0)
	buffer_store_dword v4, off, s[0:3], 0 offset:572
	buffer_store_dword v3, off, s[0:3], 0 offset:568
	;; [unrolled: 1-line block ×4, first 2 shown]
	s_cbranch_scc1 .LBB98_152
; %bb.4:
	v_cmp_eq_u32_e64 s4, 0, v0
	s_and_saveexec_b32 s5, s4
; %bb.5:
	v_mov_b32_e32 v1, 0
	ds_write_b32 v1, v1 offset:1120
; %bb.6:
	s_or_b32 exec_lo, exec_lo, s5
	v_lshl_add_u32 v82, v0, 4, 16
	s_waitcnt lgkmcnt(0)
	s_waitcnt_vscnt null, 0x0
	s_barrier
	buffer_gl0_inv
	s_clause 0x3
	buffer_load_dword v1, v82, s[0:3], 0 offen
	buffer_load_dword v2, v82, s[0:3], 0 offen offset:4
	buffer_load_dword v3, v82, s[0:3], 0 offen offset:8
	;; [unrolled: 1-line block ×3, first 2 shown]
	s_waitcnt vmcnt(2)
	v_cmp_eq_f64_e32 vcc_lo, 0, v[1:2]
	s_waitcnt vmcnt(0)
	v_cmp_eq_f64_e64 s5, 0, v[3:4]
	s_and_b32 s5, vcc_lo, s5
	s_and_saveexec_b32 s48, s5
	s_cbranch_execz .LBB98_10
; %bb.7:
	v_mov_b32_e32 v1, 0
	s_mov_b32 s49, 0
	ds_read_b32 v2, v1 offset:1120
	s_waitcnt lgkmcnt(0)
	v_readfirstlane_b32 s5, v2
	v_add_nc_u32_e32 v2, 1, v0
	s_cmp_eq_u32 s5, 0
	v_cmp_gt_i32_e32 vcc_lo, s5, v2
	s_cselect_b32 s50, -1, 0
	s_or_b32 s50, s50, vcc_lo
	s_and_b32 exec_lo, exec_lo, s50
	s_cbranch_execz .LBB98_10
; %bb.8:
	v_mov_b32_e32 v3, s5
.LBB98_9:                               ; =>This Inner Loop Header: Depth=1
	ds_cmpst_rtn_b32 v3, v1, v3, v2 offset:1120
	s_waitcnt lgkmcnt(0)
	v_cmp_ne_u32_e32 vcc_lo, 0, v3
	v_cmp_le_i32_e64 s5, v3, v2
	s_and_b32 s5, vcc_lo, s5
	s_and_b32 s5, exec_lo, s5
	s_or_b32 s49, s5, s49
	s_andn2_b32 exec_lo, exec_lo, s49
	s_cbranch_execnz .LBB98_9
.LBB98_10:
	s_or_b32 exec_lo, exec_lo, s48
	v_mov_b32_e32 v1, 0
	s_barrier
	buffer_gl0_inv
	ds_read_b32 v2, v1 offset:1120
	s_and_saveexec_b32 s5, s4
	s_cbranch_execz .LBB98_12
; %bb.11:
	s_lshl_b64 s[48:49], s[6:7], 2
	s_add_u32 s48, s10, s48
	s_addc_u32 s49, s11, s49
	s_waitcnt lgkmcnt(0)
	global_store_dword v1, v2, s[48:49]
.LBB98_12:
	s_or_b32 exec_lo, exec_lo, s5
	s_waitcnt lgkmcnt(0)
	v_cmp_ne_u32_e32 vcc_lo, 0, v2
	s_mov_b32 s5, 0
	s_cbranch_vccnz .LBB98_152
; %bb.13:
	s_clause 0x3
	buffer_load_dword v77, v82, s[0:3], 0 offen
	buffer_load_dword v78, v82, s[0:3], 0 offen offset:4
	buffer_load_dword v79, v82, s[0:3], 0 offen offset:8
	;; [unrolled: 1-line block ×3, first 2 shown]
                                        ; implicit-def: $vgpr75_vgpr76
                                        ; implicit-def: $vgpr3_vgpr4
	s_waitcnt vmcnt(0)
	v_cmp_ngt_f64_e64 s5, |v[77:78]|, |v[79:80]|
	s_and_saveexec_b32 s48, s5
	s_xor_b32 s5, exec_lo, s48
	s_cbranch_execz .LBB98_15
; %bb.14:
	v_div_scale_f64 v[1:2], null, v[79:80], v[79:80], v[77:78]
	v_div_scale_f64 v[83:84], vcc_lo, v[77:78], v[79:80], v[77:78]
	v_rcp_f64_e32 v[3:4], v[1:2]
	v_fma_f64 v[75:76], -v[1:2], v[3:4], 1.0
	v_fma_f64 v[3:4], v[3:4], v[75:76], v[3:4]
	v_fma_f64 v[75:76], -v[1:2], v[3:4], 1.0
	v_fma_f64 v[3:4], v[3:4], v[75:76], v[3:4]
	v_mul_f64 v[75:76], v[83:84], v[3:4]
	v_fma_f64 v[1:2], -v[1:2], v[75:76], v[83:84]
	v_div_fmas_f64 v[1:2], v[1:2], v[3:4], v[75:76]
	v_div_fixup_f64 v[1:2], v[1:2], v[79:80], v[77:78]
	v_fma_f64 v[3:4], v[77:78], v[1:2], v[79:80]
	v_div_scale_f64 v[75:76], null, v[3:4], v[3:4], 1.0
	v_div_scale_f64 v[83:84], vcc_lo, 1.0, v[3:4], 1.0
	v_rcp_f64_e32 v[77:78], v[75:76]
	v_fma_f64 v[79:80], -v[75:76], v[77:78], 1.0
	v_fma_f64 v[77:78], v[77:78], v[79:80], v[77:78]
	v_fma_f64 v[79:80], -v[75:76], v[77:78], 1.0
	v_fma_f64 v[77:78], v[77:78], v[79:80], v[77:78]
	v_mul_f64 v[79:80], v[83:84], v[77:78]
	v_fma_f64 v[75:76], -v[75:76], v[79:80], v[83:84]
	v_div_fmas_f64 v[75:76], v[75:76], v[77:78], v[79:80]
                                        ; implicit-def: $vgpr77_vgpr78
                                        ; implicit-def: $vgpr79_vgpr80
	v_div_fixup_f64 v[3:4], v[75:76], v[3:4], 1.0
	v_mul_f64 v[75:76], v[1:2], v[3:4]
	v_xor_b32_e32 v4, 0x80000000, v4
	v_xor_b32_e32 v2, 0x80000000, v76
	v_mov_b32_e32 v1, v75
.LBB98_15:
	s_andn2_saveexec_b32 s5, s5
	s_cbranch_execz .LBB98_17
; %bb.16:
	v_div_scale_f64 v[1:2], null, v[77:78], v[77:78], v[79:80]
	v_div_scale_f64 v[83:84], vcc_lo, v[79:80], v[77:78], v[79:80]
	v_rcp_f64_e32 v[3:4], v[1:2]
	v_fma_f64 v[75:76], -v[1:2], v[3:4], 1.0
	v_fma_f64 v[3:4], v[3:4], v[75:76], v[3:4]
	v_fma_f64 v[75:76], -v[1:2], v[3:4], 1.0
	v_fma_f64 v[3:4], v[3:4], v[75:76], v[3:4]
	v_mul_f64 v[75:76], v[83:84], v[3:4]
	v_fma_f64 v[1:2], -v[1:2], v[75:76], v[83:84]
	v_div_fmas_f64 v[1:2], v[1:2], v[3:4], v[75:76]
	v_div_fixup_f64 v[1:2], v[1:2], v[77:78], v[79:80]
	v_fma_f64 v[3:4], v[79:80], v[1:2], v[77:78]
	v_div_scale_f64 v[75:76], null, v[3:4], v[3:4], 1.0
	v_rcp_f64_e32 v[77:78], v[75:76]
	v_fma_f64 v[79:80], -v[75:76], v[77:78], 1.0
	v_fma_f64 v[77:78], v[77:78], v[79:80], v[77:78]
	v_fma_f64 v[79:80], -v[75:76], v[77:78], 1.0
	v_fma_f64 v[77:78], v[77:78], v[79:80], v[77:78]
	v_div_scale_f64 v[79:80], vcc_lo, 1.0, v[3:4], 1.0
	v_mul_f64 v[83:84], v[79:80], v[77:78]
	v_fma_f64 v[75:76], -v[75:76], v[83:84], v[79:80]
	v_div_fmas_f64 v[75:76], v[75:76], v[77:78], v[83:84]
	v_div_fixup_f64 v[75:76], v[75:76], v[3:4], 1.0
	v_mul_f64 v[3:4], v[1:2], -v[75:76]
	v_xor_b32_e32 v2, 0x80000000, v76
	v_mov_b32_e32 v1, v75
.LBB98_17:
	s_or_b32 exec_lo, exec_lo, s5
	v_mov_b32_e32 v80, s46
	buffer_store_dword v76, v82, s[0:3], 0 offen offset:4
	buffer_store_dword v75, v82, s[0:3], 0 offen
	buffer_store_dword v4, v82, s[0:3], 0 offen offset:12
	buffer_store_dword v3, v82, s[0:3], 0 offen offset:8
	v_xor_b32_e32 v4, 0x80000000, v4
	v_add_nc_u32_e32 v75, 0x230, v81
	s_clause 0x3
	buffer_load_dword v79, v80, s[0:3], 0 offen offset:12
	buffer_load_dword v78, v80, s[0:3], 0 offen offset:8
	;; [unrolled: 1-line block ×3, first 2 shown]
	buffer_load_dword v76, v80, s[0:3], 0 offen
	ds_write_b128 v81, v[1:4]
	s_waitcnt vmcnt(0)
	ds_write_b128 v81, v[76:79] offset:560
	s_waitcnt lgkmcnt(0)
	s_waitcnt_vscnt null, 0x0
	s_barrier
	buffer_gl0_inv
	s_and_saveexec_b32 s5, s4
	s_cbranch_execz .LBB98_19
; %bb.18:
	s_clause 0x3
	buffer_load_dword v83, v82, s[0:3], 0 offen offset:8
	buffer_load_dword v84, v82, s[0:3], 0 offen offset:12
	buffer_load_dword v85, v82, s[0:3], 0 offen
	buffer_load_dword v86, v82, s[0:3], 0 offen offset:4
	ds_read_b128 v[1:4], v75
	v_mov_b32_e32 v76, 0
	ds_read_b128 v[76:79], v76 offset:16
	s_waitcnt vmcnt(2) lgkmcnt(1)
	v_mul_f64 v[87:88], v[1:2], v[83:84]
	v_mul_f64 v[83:84], v[3:4], v[83:84]
	s_waitcnt vmcnt(0)
	v_fma_f64 v[3:4], v[3:4], v[85:86], v[87:88]
	v_fma_f64 v[1:2], v[1:2], v[85:86], -v[83:84]
	v_add_f64 v[3:4], v[3:4], 0
	v_add_f64 v[1:2], v[1:2], 0
	s_waitcnt lgkmcnt(0)
	v_mul_f64 v[83:84], v[3:4], v[78:79]
	v_mul_f64 v[78:79], v[1:2], v[78:79]
	v_fma_f64 v[1:2], v[1:2], v[76:77], -v[83:84]
	v_fma_f64 v[3:4], v[3:4], v[76:77], v[78:79]
	buffer_store_dword v1, off, s[0:3], 0 offset:32
	buffer_store_dword v2, off, s[0:3], 0 offset:36
	;; [unrolled: 1-line block ×4, first 2 shown]
.LBB98_19:
	s_or_b32 exec_lo, exec_lo, s5
	v_mov_b32_e32 v4, s45
	s_waitcnt_vscnt null, 0x0
	s_barrier
	buffer_gl0_inv
	s_mov_b32 s5, exec_lo
	s_clause 0x3
	buffer_load_dword v1, v4, s[0:3], 0 offen
	buffer_load_dword v2, v4, s[0:3], 0 offen offset:4
	buffer_load_dword v3, v4, s[0:3], 0 offen offset:8
	buffer_load_dword v4, v4, s[0:3], 0 offen offset:12
	s_waitcnt vmcnt(0)
	ds_write_b128 v75, v[1:4]
	s_waitcnt lgkmcnt(0)
	s_barrier
	buffer_gl0_inv
	v_cmpx_gt_u32_e32 2, v0
	s_cbranch_execz .LBB98_23
; %bb.20:
	s_clause 0x3
	buffer_load_dword v76, v82, s[0:3], 0 offen offset:8
	buffer_load_dword v77, v82, s[0:3], 0 offen offset:12
	buffer_load_dword v78, v82, s[0:3], 0 offen
	buffer_load_dword v79, v82, s[0:3], 0 offen offset:4
	ds_read_b128 v[1:4], v75
	s_waitcnt vmcnt(2) lgkmcnt(0)
	v_mul_f64 v[82:83], v[3:4], v[76:77]
	v_mul_f64 v[76:77], v[1:2], v[76:77]
	s_waitcnt vmcnt(0)
	v_fma_f64 v[1:2], v[1:2], v[78:79], -v[82:83]
	v_fma_f64 v[3:4], v[3:4], v[78:79], v[76:77]
	v_add_f64 v[1:2], v[1:2], 0
	v_add_f64 v[3:4], v[3:4], 0
	s_and_saveexec_b32 s48, s4
	s_cbranch_execz .LBB98_22
; %bb.21:
	s_clause 0x3
	buffer_load_dword v82, off, s[0:3], 0 offset:40
	buffer_load_dword v83, off, s[0:3], 0 offset:44
	;; [unrolled: 1-line block ×4, first 2 shown]
	v_mov_b32_e32 v76, 0
	ds_read_b128 v[76:79], v76 offset:576
	s_waitcnt vmcnt(2) lgkmcnt(0)
	v_mul_f64 v[86:87], v[76:77], v[82:83]
	v_mul_f64 v[82:83], v[78:79], v[82:83]
	s_waitcnt vmcnt(0)
	v_fma_f64 v[78:79], v[78:79], v[84:85], v[86:87]
	v_fma_f64 v[76:77], v[76:77], v[84:85], -v[82:83]
	v_add_f64 v[3:4], v[3:4], v[78:79]
	v_add_f64 v[1:2], v[1:2], v[76:77]
.LBB98_22:
	s_or_b32 exec_lo, exec_lo, s48
	v_mov_b32_e32 v76, 0
	ds_read_b128 v[76:79], v76 offset:32
	s_waitcnt lgkmcnt(0)
	v_mul_f64 v[82:83], v[3:4], v[78:79]
	v_mul_f64 v[78:79], v[1:2], v[78:79]
	v_fma_f64 v[1:2], v[1:2], v[76:77], -v[82:83]
	v_fma_f64 v[3:4], v[3:4], v[76:77], v[78:79]
	buffer_store_dword v2, off, s[0:3], 0 offset:52
	buffer_store_dword v1, off, s[0:3], 0 offset:48
	;; [unrolled: 1-line block ×4, first 2 shown]
.LBB98_23:
	s_or_b32 exec_lo, exec_lo, s5
	v_mov_b32_e32 v4, s44
	s_waitcnt_vscnt null, 0x0
	s_barrier
	buffer_gl0_inv
	v_add_nc_u32_e32 v76, -1, v0
	s_clause 0x3
	buffer_load_dword v1, v4, s[0:3], 0 offen
	buffer_load_dword v2, v4, s[0:3], 0 offen offset:4
	buffer_load_dword v3, v4, s[0:3], 0 offen offset:8
	;; [unrolled: 1-line block ×3, first 2 shown]
	s_mov_b32 s4, exec_lo
	s_waitcnt vmcnt(0)
	ds_write_b128 v75, v[1:4]
	s_waitcnt lgkmcnt(0)
	s_barrier
	buffer_gl0_inv
	v_cmpx_gt_u32_e32 3, v0
	s_cbranch_execz .LBB98_27
; %bb.24:
	v_mov_b32_e32 v1, 0
	v_mov_b32_e32 v3, 0
	v_add_nc_u32_e32 v77, -1, v0
	v_add_nc_u32_e32 v78, 0x230, v81
	v_mov_b32_e32 v2, 0
	v_mov_b32_e32 v4, 0
	v_add_nc_u32_e32 v79, 16, v81
	s_mov_b32 s5, 0
	.p2align	6
.LBB98_25:                              ; =>This Inner Loop Header: Depth=1
	s_clause 0x3
	buffer_load_dword v86, v79, s[0:3], 0 offen offset:8
	buffer_load_dword v87, v79, s[0:3], 0 offen offset:12
	buffer_load_dword v88, v79, s[0:3], 0 offen
	buffer_load_dword v89, v79, s[0:3], 0 offen offset:4
	ds_read_b128 v[82:85], v78
	v_add_nc_u32_e32 v77, 1, v77
	v_add_nc_u32_e32 v78, 16, v78
	;; [unrolled: 1-line block ×3, first 2 shown]
	v_cmp_lt_u32_e32 vcc_lo, 1, v77
	s_or_b32 s5, vcc_lo, s5
	s_waitcnt vmcnt(2) lgkmcnt(0)
	v_mul_f64 v[90:91], v[84:85], v[86:87]
	v_mul_f64 v[86:87], v[82:83], v[86:87]
	s_waitcnt vmcnt(0)
	v_fma_f64 v[82:83], v[82:83], v[88:89], -v[90:91]
	v_fma_f64 v[84:85], v[84:85], v[88:89], v[86:87]
	v_add_f64 v[3:4], v[3:4], v[82:83]
	v_add_f64 v[1:2], v[1:2], v[84:85]
	s_andn2_b32 exec_lo, exec_lo, s5
	s_cbranch_execnz .LBB98_25
; %bb.26:
	s_or_b32 exec_lo, exec_lo, s5
	v_mov_b32_e32 v77, 0
	ds_read_b128 v[77:80], v77 offset:48
	s_waitcnt lgkmcnt(0)
	v_mul_f64 v[82:83], v[1:2], v[79:80]
	v_mul_f64 v[79:80], v[3:4], v[79:80]
	v_fma_f64 v[3:4], v[3:4], v[77:78], -v[82:83]
	v_fma_f64 v[1:2], v[1:2], v[77:78], v[79:80]
	buffer_store_dword v4, off, s[0:3], 0 offset:68
	buffer_store_dword v3, off, s[0:3], 0 offset:64
	buffer_store_dword v2, off, s[0:3], 0 offset:76
	buffer_store_dword v1, off, s[0:3], 0 offset:72
.LBB98_27:
	s_or_b32 exec_lo, exec_lo, s4
	v_mov_b32_e32 v4, s43
	s_waitcnt_vscnt null, 0x0
	s_barrier
	buffer_gl0_inv
	s_mov_b32 s4, exec_lo
	s_clause 0x3
	buffer_load_dword v1, v4, s[0:3], 0 offen
	buffer_load_dword v2, v4, s[0:3], 0 offen offset:4
	buffer_load_dword v3, v4, s[0:3], 0 offen offset:8
	;; [unrolled: 1-line block ×3, first 2 shown]
	s_waitcnt vmcnt(0)
	ds_write_b128 v75, v[1:4]
	s_waitcnt lgkmcnt(0)
	s_barrier
	buffer_gl0_inv
	v_cmpx_gt_u32_e32 4, v0
	s_cbranch_execz .LBB98_31
; %bb.28:
	v_mov_b32_e32 v1, 0
	v_mov_b32_e32 v3, 0
	v_add_nc_u32_e32 v77, -1, v0
	v_add_nc_u32_e32 v78, 0x230, v81
	v_mov_b32_e32 v2, 0
	v_mov_b32_e32 v4, 0
	v_add_nc_u32_e32 v79, 16, v81
	s_mov_b32 s5, 0
	.p2align	6
.LBB98_29:                              ; =>This Inner Loop Header: Depth=1
	s_clause 0x3
	buffer_load_dword v86, v79, s[0:3], 0 offen offset:8
	buffer_load_dword v87, v79, s[0:3], 0 offen offset:12
	buffer_load_dword v88, v79, s[0:3], 0 offen
	buffer_load_dword v89, v79, s[0:3], 0 offen offset:4
	ds_read_b128 v[82:85], v78
	v_add_nc_u32_e32 v77, 1, v77
	v_add_nc_u32_e32 v78, 16, v78
	;; [unrolled: 1-line block ×3, first 2 shown]
	v_cmp_lt_u32_e32 vcc_lo, 2, v77
	s_or_b32 s5, vcc_lo, s5
	s_waitcnt vmcnt(2) lgkmcnt(0)
	v_mul_f64 v[90:91], v[84:85], v[86:87]
	v_mul_f64 v[86:87], v[82:83], v[86:87]
	s_waitcnt vmcnt(0)
	v_fma_f64 v[82:83], v[82:83], v[88:89], -v[90:91]
	v_fma_f64 v[84:85], v[84:85], v[88:89], v[86:87]
	v_add_f64 v[3:4], v[3:4], v[82:83]
	v_add_f64 v[1:2], v[1:2], v[84:85]
	s_andn2_b32 exec_lo, exec_lo, s5
	s_cbranch_execnz .LBB98_29
; %bb.30:
	s_or_b32 exec_lo, exec_lo, s5
	v_mov_b32_e32 v77, 0
	ds_read_b128 v[77:80], v77 offset:64
	s_waitcnt lgkmcnt(0)
	v_mul_f64 v[82:83], v[1:2], v[79:80]
	v_mul_f64 v[79:80], v[3:4], v[79:80]
	v_fma_f64 v[3:4], v[3:4], v[77:78], -v[82:83]
	v_fma_f64 v[1:2], v[1:2], v[77:78], v[79:80]
	buffer_store_dword v4, off, s[0:3], 0 offset:84
	buffer_store_dword v3, off, s[0:3], 0 offset:80
	;; [unrolled: 1-line block ×4, first 2 shown]
.LBB98_31:
	s_or_b32 exec_lo, exec_lo, s4
	v_mov_b32_e32 v4, s42
	s_waitcnt_vscnt null, 0x0
	s_barrier
	buffer_gl0_inv
	s_mov_b32 s4, exec_lo
	s_clause 0x3
	buffer_load_dword v1, v4, s[0:3], 0 offen
	buffer_load_dword v2, v4, s[0:3], 0 offen offset:4
	buffer_load_dword v3, v4, s[0:3], 0 offen offset:8
	;; [unrolled: 1-line block ×3, first 2 shown]
	s_waitcnt vmcnt(0)
	ds_write_b128 v75, v[1:4]
	s_waitcnt lgkmcnt(0)
	s_barrier
	buffer_gl0_inv
	v_cmpx_gt_u32_e32 5, v0
	s_cbranch_execz .LBB98_35
; %bb.32:
	v_mov_b32_e32 v1, 0
	v_mov_b32_e32 v3, 0
	v_add_nc_u32_e32 v77, -1, v0
	v_add_nc_u32_e32 v78, 0x230, v81
	v_mov_b32_e32 v2, 0
	v_mov_b32_e32 v4, 0
	v_add_nc_u32_e32 v79, 16, v81
	s_mov_b32 s5, 0
	.p2align	6
.LBB98_33:                              ; =>This Inner Loop Header: Depth=1
	s_clause 0x3
	buffer_load_dword v86, v79, s[0:3], 0 offen offset:8
	buffer_load_dword v87, v79, s[0:3], 0 offen offset:12
	buffer_load_dword v88, v79, s[0:3], 0 offen
	buffer_load_dword v89, v79, s[0:3], 0 offen offset:4
	ds_read_b128 v[82:85], v78
	v_add_nc_u32_e32 v77, 1, v77
	v_add_nc_u32_e32 v78, 16, v78
	;; [unrolled: 1-line block ×3, first 2 shown]
	v_cmp_lt_u32_e32 vcc_lo, 3, v77
	s_or_b32 s5, vcc_lo, s5
	s_waitcnt vmcnt(2) lgkmcnt(0)
	v_mul_f64 v[90:91], v[84:85], v[86:87]
	v_mul_f64 v[86:87], v[82:83], v[86:87]
	s_waitcnt vmcnt(0)
	v_fma_f64 v[82:83], v[82:83], v[88:89], -v[90:91]
	v_fma_f64 v[84:85], v[84:85], v[88:89], v[86:87]
	v_add_f64 v[3:4], v[3:4], v[82:83]
	v_add_f64 v[1:2], v[1:2], v[84:85]
	s_andn2_b32 exec_lo, exec_lo, s5
	s_cbranch_execnz .LBB98_33
; %bb.34:
	s_or_b32 exec_lo, exec_lo, s5
	v_mov_b32_e32 v77, 0
	ds_read_b128 v[77:80], v77 offset:80
	s_waitcnt lgkmcnt(0)
	v_mul_f64 v[82:83], v[1:2], v[79:80]
	v_mul_f64 v[79:80], v[3:4], v[79:80]
	v_fma_f64 v[3:4], v[3:4], v[77:78], -v[82:83]
	v_fma_f64 v[1:2], v[1:2], v[77:78], v[79:80]
	buffer_store_dword v4, off, s[0:3], 0 offset:100
	buffer_store_dword v3, off, s[0:3], 0 offset:96
	;; [unrolled: 1-line block ×4, first 2 shown]
.LBB98_35:
	s_or_b32 exec_lo, exec_lo, s4
	v_mov_b32_e32 v4, s41
	s_waitcnt_vscnt null, 0x0
	s_barrier
	buffer_gl0_inv
	s_mov_b32 s4, exec_lo
	s_clause 0x3
	buffer_load_dword v1, v4, s[0:3], 0 offen
	buffer_load_dword v2, v4, s[0:3], 0 offen offset:4
	buffer_load_dword v3, v4, s[0:3], 0 offen offset:8
	;; [unrolled: 1-line block ×3, first 2 shown]
	s_waitcnt vmcnt(0)
	ds_write_b128 v75, v[1:4]
	s_waitcnt lgkmcnt(0)
	s_barrier
	buffer_gl0_inv
	v_cmpx_gt_u32_e32 6, v0
	s_cbranch_execz .LBB98_39
; %bb.36:
	v_mov_b32_e32 v1, 0
	v_mov_b32_e32 v3, 0
	v_add_nc_u32_e32 v77, -1, v0
	v_add_nc_u32_e32 v78, 0x230, v81
	v_mov_b32_e32 v2, 0
	v_mov_b32_e32 v4, 0
	v_add_nc_u32_e32 v79, 16, v81
	s_mov_b32 s5, 0
	.p2align	6
.LBB98_37:                              ; =>This Inner Loop Header: Depth=1
	s_clause 0x3
	buffer_load_dword v86, v79, s[0:3], 0 offen offset:8
	buffer_load_dword v87, v79, s[0:3], 0 offen offset:12
	buffer_load_dword v88, v79, s[0:3], 0 offen
	buffer_load_dword v89, v79, s[0:3], 0 offen offset:4
	ds_read_b128 v[82:85], v78
	v_add_nc_u32_e32 v77, 1, v77
	v_add_nc_u32_e32 v78, 16, v78
	;; [unrolled: 1-line block ×3, first 2 shown]
	v_cmp_lt_u32_e32 vcc_lo, 4, v77
	s_or_b32 s5, vcc_lo, s5
	s_waitcnt vmcnt(2) lgkmcnt(0)
	v_mul_f64 v[90:91], v[84:85], v[86:87]
	v_mul_f64 v[86:87], v[82:83], v[86:87]
	s_waitcnt vmcnt(0)
	v_fma_f64 v[82:83], v[82:83], v[88:89], -v[90:91]
	v_fma_f64 v[84:85], v[84:85], v[88:89], v[86:87]
	v_add_f64 v[3:4], v[3:4], v[82:83]
	v_add_f64 v[1:2], v[1:2], v[84:85]
	s_andn2_b32 exec_lo, exec_lo, s5
	s_cbranch_execnz .LBB98_37
; %bb.38:
	s_or_b32 exec_lo, exec_lo, s5
	v_mov_b32_e32 v77, 0
	ds_read_b128 v[77:80], v77 offset:96
	s_waitcnt lgkmcnt(0)
	v_mul_f64 v[82:83], v[1:2], v[79:80]
	v_mul_f64 v[79:80], v[3:4], v[79:80]
	v_fma_f64 v[3:4], v[3:4], v[77:78], -v[82:83]
	v_fma_f64 v[1:2], v[1:2], v[77:78], v[79:80]
	buffer_store_dword v4, off, s[0:3], 0 offset:116
	buffer_store_dword v3, off, s[0:3], 0 offset:112
	;; [unrolled: 1-line block ×4, first 2 shown]
.LBB98_39:
	s_or_b32 exec_lo, exec_lo, s4
	v_mov_b32_e32 v4, s40
	s_waitcnt_vscnt null, 0x0
	s_barrier
	buffer_gl0_inv
	s_mov_b32 s4, exec_lo
	s_clause 0x3
	buffer_load_dword v1, v4, s[0:3], 0 offen
	buffer_load_dword v2, v4, s[0:3], 0 offen offset:4
	buffer_load_dword v3, v4, s[0:3], 0 offen offset:8
	;; [unrolled: 1-line block ×3, first 2 shown]
	s_waitcnt vmcnt(0)
	ds_write_b128 v75, v[1:4]
	s_waitcnt lgkmcnt(0)
	s_barrier
	buffer_gl0_inv
	v_cmpx_gt_u32_e32 7, v0
	s_cbranch_execz .LBB98_43
; %bb.40:
	v_mov_b32_e32 v1, 0
	v_mov_b32_e32 v3, 0
	v_add_nc_u32_e32 v77, -1, v0
	v_add_nc_u32_e32 v78, 0x230, v81
	v_mov_b32_e32 v2, 0
	v_mov_b32_e32 v4, 0
	v_add_nc_u32_e32 v79, 16, v81
	s_mov_b32 s5, 0
	.p2align	6
.LBB98_41:                              ; =>This Inner Loop Header: Depth=1
	s_clause 0x3
	buffer_load_dword v86, v79, s[0:3], 0 offen offset:8
	buffer_load_dword v87, v79, s[0:3], 0 offen offset:12
	buffer_load_dword v88, v79, s[0:3], 0 offen
	buffer_load_dword v89, v79, s[0:3], 0 offen offset:4
	ds_read_b128 v[82:85], v78
	v_add_nc_u32_e32 v77, 1, v77
	v_add_nc_u32_e32 v78, 16, v78
	v_add_nc_u32_e32 v79, 16, v79
	v_cmp_lt_u32_e32 vcc_lo, 5, v77
	s_or_b32 s5, vcc_lo, s5
	s_waitcnt vmcnt(2) lgkmcnt(0)
	v_mul_f64 v[90:91], v[84:85], v[86:87]
	v_mul_f64 v[86:87], v[82:83], v[86:87]
	s_waitcnt vmcnt(0)
	v_fma_f64 v[82:83], v[82:83], v[88:89], -v[90:91]
	v_fma_f64 v[84:85], v[84:85], v[88:89], v[86:87]
	v_add_f64 v[3:4], v[3:4], v[82:83]
	v_add_f64 v[1:2], v[1:2], v[84:85]
	s_andn2_b32 exec_lo, exec_lo, s5
	s_cbranch_execnz .LBB98_41
; %bb.42:
	s_or_b32 exec_lo, exec_lo, s5
	v_mov_b32_e32 v77, 0
	ds_read_b128 v[77:80], v77 offset:112
	s_waitcnt lgkmcnt(0)
	v_mul_f64 v[82:83], v[1:2], v[79:80]
	v_mul_f64 v[79:80], v[3:4], v[79:80]
	v_fma_f64 v[3:4], v[3:4], v[77:78], -v[82:83]
	v_fma_f64 v[1:2], v[1:2], v[77:78], v[79:80]
	buffer_store_dword v4, off, s[0:3], 0 offset:132
	buffer_store_dword v3, off, s[0:3], 0 offset:128
	;; [unrolled: 1-line block ×4, first 2 shown]
.LBB98_43:
	s_or_b32 exec_lo, exec_lo, s4
	v_mov_b32_e32 v4, s39
	s_waitcnt_vscnt null, 0x0
	s_barrier
	buffer_gl0_inv
	s_mov_b32 s4, exec_lo
	s_clause 0x3
	buffer_load_dword v1, v4, s[0:3], 0 offen
	buffer_load_dword v2, v4, s[0:3], 0 offen offset:4
	buffer_load_dword v3, v4, s[0:3], 0 offen offset:8
	;; [unrolled: 1-line block ×3, first 2 shown]
	s_waitcnt vmcnt(0)
	ds_write_b128 v75, v[1:4]
	s_waitcnt lgkmcnt(0)
	s_barrier
	buffer_gl0_inv
	v_cmpx_gt_u32_e32 8, v0
	s_cbranch_execz .LBB98_47
; %bb.44:
	v_mov_b32_e32 v1, 0
	v_mov_b32_e32 v3, 0
	v_add_nc_u32_e32 v77, -1, v0
	v_add_nc_u32_e32 v78, 0x230, v81
	v_mov_b32_e32 v2, 0
	v_mov_b32_e32 v4, 0
	v_add_nc_u32_e32 v79, 16, v81
	s_mov_b32 s5, 0
	.p2align	6
.LBB98_45:                              ; =>This Inner Loop Header: Depth=1
	s_clause 0x3
	buffer_load_dword v86, v79, s[0:3], 0 offen offset:8
	buffer_load_dword v87, v79, s[0:3], 0 offen offset:12
	buffer_load_dword v88, v79, s[0:3], 0 offen
	buffer_load_dword v89, v79, s[0:3], 0 offen offset:4
	ds_read_b128 v[82:85], v78
	v_add_nc_u32_e32 v77, 1, v77
	v_add_nc_u32_e32 v78, 16, v78
	;; [unrolled: 1-line block ×3, first 2 shown]
	v_cmp_lt_u32_e32 vcc_lo, 6, v77
	s_or_b32 s5, vcc_lo, s5
	s_waitcnt vmcnt(2) lgkmcnt(0)
	v_mul_f64 v[90:91], v[84:85], v[86:87]
	v_mul_f64 v[86:87], v[82:83], v[86:87]
	s_waitcnt vmcnt(0)
	v_fma_f64 v[82:83], v[82:83], v[88:89], -v[90:91]
	v_fma_f64 v[84:85], v[84:85], v[88:89], v[86:87]
	v_add_f64 v[3:4], v[3:4], v[82:83]
	v_add_f64 v[1:2], v[1:2], v[84:85]
	s_andn2_b32 exec_lo, exec_lo, s5
	s_cbranch_execnz .LBB98_45
; %bb.46:
	s_or_b32 exec_lo, exec_lo, s5
	v_mov_b32_e32 v77, 0
	ds_read_b128 v[77:80], v77 offset:128
	s_waitcnt lgkmcnt(0)
	v_mul_f64 v[82:83], v[1:2], v[79:80]
	v_mul_f64 v[79:80], v[3:4], v[79:80]
	v_fma_f64 v[3:4], v[3:4], v[77:78], -v[82:83]
	v_fma_f64 v[1:2], v[1:2], v[77:78], v[79:80]
	buffer_store_dword v4, off, s[0:3], 0 offset:148
	buffer_store_dword v3, off, s[0:3], 0 offset:144
	;; [unrolled: 1-line block ×4, first 2 shown]
.LBB98_47:
	s_or_b32 exec_lo, exec_lo, s4
	v_mov_b32_e32 v4, s38
	s_waitcnt_vscnt null, 0x0
	s_barrier
	buffer_gl0_inv
	s_mov_b32 s4, exec_lo
	s_clause 0x3
	buffer_load_dword v1, v4, s[0:3], 0 offen
	buffer_load_dword v2, v4, s[0:3], 0 offen offset:4
	buffer_load_dword v3, v4, s[0:3], 0 offen offset:8
	;; [unrolled: 1-line block ×3, first 2 shown]
	s_waitcnt vmcnt(0)
	ds_write_b128 v75, v[1:4]
	s_waitcnt lgkmcnt(0)
	s_barrier
	buffer_gl0_inv
	v_cmpx_gt_u32_e32 9, v0
	s_cbranch_execz .LBB98_51
; %bb.48:
	v_mov_b32_e32 v1, 0
	v_mov_b32_e32 v3, 0
	v_add_nc_u32_e32 v77, -1, v0
	v_add_nc_u32_e32 v78, 0x230, v81
	v_mov_b32_e32 v2, 0
	v_mov_b32_e32 v4, 0
	v_add_nc_u32_e32 v79, 16, v81
	s_mov_b32 s5, 0
	.p2align	6
.LBB98_49:                              ; =>This Inner Loop Header: Depth=1
	s_clause 0x3
	buffer_load_dword v86, v79, s[0:3], 0 offen offset:8
	buffer_load_dword v87, v79, s[0:3], 0 offen offset:12
	buffer_load_dword v88, v79, s[0:3], 0 offen
	buffer_load_dword v89, v79, s[0:3], 0 offen offset:4
	ds_read_b128 v[82:85], v78
	v_add_nc_u32_e32 v77, 1, v77
	v_add_nc_u32_e32 v78, 16, v78
	;; [unrolled: 1-line block ×3, first 2 shown]
	v_cmp_lt_u32_e32 vcc_lo, 7, v77
	s_or_b32 s5, vcc_lo, s5
	s_waitcnt vmcnt(2) lgkmcnt(0)
	v_mul_f64 v[90:91], v[84:85], v[86:87]
	v_mul_f64 v[86:87], v[82:83], v[86:87]
	s_waitcnt vmcnt(0)
	v_fma_f64 v[82:83], v[82:83], v[88:89], -v[90:91]
	v_fma_f64 v[84:85], v[84:85], v[88:89], v[86:87]
	v_add_f64 v[3:4], v[3:4], v[82:83]
	v_add_f64 v[1:2], v[1:2], v[84:85]
	s_andn2_b32 exec_lo, exec_lo, s5
	s_cbranch_execnz .LBB98_49
; %bb.50:
	s_or_b32 exec_lo, exec_lo, s5
	v_mov_b32_e32 v77, 0
	ds_read_b128 v[77:80], v77 offset:144
	s_waitcnt lgkmcnt(0)
	v_mul_f64 v[82:83], v[1:2], v[79:80]
	v_mul_f64 v[79:80], v[3:4], v[79:80]
	v_fma_f64 v[3:4], v[3:4], v[77:78], -v[82:83]
	v_fma_f64 v[1:2], v[1:2], v[77:78], v[79:80]
	buffer_store_dword v4, off, s[0:3], 0 offset:164
	buffer_store_dword v3, off, s[0:3], 0 offset:160
	;; [unrolled: 1-line block ×4, first 2 shown]
.LBB98_51:
	s_or_b32 exec_lo, exec_lo, s4
	v_mov_b32_e32 v4, s37
	s_waitcnt_vscnt null, 0x0
	s_barrier
	buffer_gl0_inv
	s_mov_b32 s4, exec_lo
	s_clause 0x3
	buffer_load_dword v1, v4, s[0:3], 0 offen
	buffer_load_dword v2, v4, s[0:3], 0 offen offset:4
	buffer_load_dword v3, v4, s[0:3], 0 offen offset:8
	;; [unrolled: 1-line block ×3, first 2 shown]
	s_waitcnt vmcnt(0)
	ds_write_b128 v75, v[1:4]
	s_waitcnt lgkmcnt(0)
	s_barrier
	buffer_gl0_inv
	v_cmpx_gt_u32_e32 10, v0
	s_cbranch_execz .LBB98_55
; %bb.52:
	v_mov_b32_e32 v1, 0
	v_mov_b32_e32 v3, 0
	v_add_nc_u32_e32 v77, -1, v0
	v_add_nc_u32_e32 v78, 0x230, v81
	v_mov_b32_e32 v2, 0
	v_mov_b32_e32 v4, 0
	v_add_nc_u32_e32 v79, 16, v81
	s_mov_b32 s5, 0
	.p2align	6
.LBB98_53:                              ; =>This Inner Loop Header: Depth=1
	s_clause 0x3
	buffer_load_dword v86, v79, s[0:3], 0 offen offset:8
	buffer_load_dword v87, v79, s[0:3], 0 offen offset:12
	buffer_load_dword v88, v79, s[0:3], 0 offen
	buffer_load_dword v89, v79, s[0:3], 0 offen offset:4
	ds_read_b128 v[82:85], v78
	v_add_nc_u32_e32 v77, 1, v77
	v_add_nc_u32_e32 v78, 16, v78
	;; [unrolled: 1-line block ×3, first 2 shown]
	v_cmp_lt_u32_e32 vcc_lo, 8, v77
	s_or_b32 s5, vcc_lo, s5
	s_waitcnt vmcnt(2) lgkmcnt(0)
	v_mul_f64 v[90:91], v[84:85], v[86:87]
	v_mul_f64 v[86:87], v[82:83], v[86:87]
	s_waitcnt vmcnt(0)
	v_fma_f64 v[82:83], v[82:83], v[88:89], -v[90:91]
	v_fma_f64 v[84:85], v[84:85], v[88:89], v[86:87]
	v_add_f64 v[3:4], v[3:4], v[82:83]
	v_add_f64 v[1:2], v[1:2], v[84:85]
	s_andn2_b32 exec_lo, exec_lo, s5
	s_cbranch_execnz .LBB98_53
; %bb.54:
	s_or_b32 exec_lo, exec_lo, s5
	v_mov_b32_e32 v77, 0
	ds_read_b128 v[77:80], v77 offset:160
	s_waitcnt lgkmcnt(0)
	v_mul_f64 v[82:83], v[1:2], v[79:80]
	v_mul_f64 v[79:80], v[3:4], v[79:80]
	v_fma_f64 v[3:4], v[3:4], v[77:78], -v[82:83]
	v_fma_f64 v[1:2], v[1:2], v[77:78], v[79:80]
	buffer_store_dword v4, off, s[0:3], 0 offset:180
	buffer_store_dword v3, off, s[0:3], 0 offset:176
	;; [unrolled: 1-line block ×4, first 2 shown]
.LBB98_55:
	s_or_b32 exec_lo, exec_lo, s4
	v_mov_b32_e32 v4, s36
	s_waitcnt_vscnt null, 0x0
	s_barrier
	buffer_gl0_inv
	s_mov_b32 s4, exec_lo
	s_clause 0x3
	buffer_load_dword v1, v4, s[0:3], 0 offen
	buffer_load_dword v2, v4, s[0:3], 0 offen offset:4
	buffer_load_dword v3, v4, s[0:3], 0 offen offset:8
	;; [unrolled: 1-line block ×3, first 2 shown]
	s_waitcnt vmcnt(0)
	ds_write_b128 v75, v[1:4]
	s_waitcnt lgkmcnt(0)
	s_barrier
	buffer_gl0_inv
	v_cmpx_gt_u32_e32 11, v0
	s_cbranch_execz .LBB98_59
; %bb.56:
	v_mov_b32_e32 v1, 0
	v_mov_b32_e32 v3, 0
	v_add_nc_u32_e32 v77, -1, v0
	v_add_nc_u32_e32 v78, 0x230, v81
	v_mov_b32_e32 v2, 0
	v_mov_b32_e32 v4, 0
	v_add_nc_u32_e32 v79, 16, v81
	s_mov_b32 s5, 0
	.p2align	6
.LBB98_57:                              ; =>This Inner Loop Header: Depth=1
	s_clause 0x3
	buffer_load_dword v86, v79, s[0:3], 0 offen offset:8
	buffer_load_dword v87, v79, s[0:3], 0 offen offset:12
	buffer_load_dword v88, v79, s[0:3], 0 offen
	buffer_load_dword v89, v79, s[0:3], 0 offen offset:4
	ds_read_b128 v[82:85], v78
	v_add_nc_u32_e32 v77, 1, v77
	v_add_nc_u32_e32 v78, 16, v78
	;; [unrolled: 1-line block ×3, first 2 shown]
	v_cmp_lt_u32_e32 vcc_lo, 9, v77
	s_or_b32 s5, vcc_lo, s5
	s_waitcnt vmcnt(2) lgkmcnt(0)
	v_mul_f64 v[90:91], v[84:85], v[86:87]
	v_mul_f64 v[86:87], v[82:83], v[86:87]
	s_waitcnt vmcnt(0)
	v_fma_f64 v[82:83], v[82:83], v[88:89], -v[90:91]
	v_fma_f64 v[84:85], v[84:85], v[88:89], v[86:87]
	v_add_f64 v[3:4], v[3:4], v[82:83]
	v_add_f64 v[1:2], v[1:2], v[84:85]
	s_andn2_b32 exec_lo, exec_lo, s5
	s_cbranch_execnz .LBB98_57
; %bb.58:
	s_or_b32 exec_lo, exec_lo, s5
	v_mov_b32_e32 v77, 0
	ds_read_b128 v[77:80], v77 offset:176
	s_waitcnt lgkmcnt(0)
	v_mul_f64 v[82:83], v[1:2], v[79:80]
	v_mul_f64 v[79:80], v[3:4], v[79:80]
	v_fma_f64 v[3:4], v[3:4], v[77:78], -v[82:83]
	v_fma_f64 v[1:2], v[1:2], v[77:78], v[79:80]
	buffer_store_dword v4, off, s[0:3], 0 offset:196
	buffer_store_dword v3, off, s[0:3], 0 offset:192
	;; [unrolled: 1-line block ×4, first 2 shown]
.LBB98_59:
	s_or_b32 exec_lo, exec_lo, s4
	v_mov_b32_e32 v4, s35
	s_waitcnt_vscnt null, 0x0
	s_barrier
	buffer_gl0_inv
	s_mov_b32 s4, exec_lo
	s_clause 0x3
	buffer_load_dword v1, v4, s[0:3], 0 offen
	buffer_load_dword v2, v4, s[0:3], 0 offen offset:4
	buffer_load_dword v3, v4, s[0:3], 0 offen offset:8
	;; [unrolled: 1-line block ×3, first 2 shown]
	s_waitcnt vmcnt(0)
	ds_write_b128 v75, v[1:4]
	s_waitcnt lgkmcnt(0)
	s_barrier
	buffer_gl0_inv
	v_cmpx_gt_u32_e32 12, v0
	s_cbranch_execz .LBB98_63
; %bb.60:
	v_mov_b32_e32 v1, 0
	v_mov_b32_e32 v3, 0
	v_add_nc_u32_e32 v77, -1, v0
	v_add_nc_u32_e32 v78, 0x230, v81
	v_mov_b32_e32 v2, 0
	v_mov_b32_e32 v4, 0
	v_add_nc_u32_e32 v79, 16, v81
	s_mov_b32 s5, 0
	.p2align	6
.LBB98_61:                              ; =>This Inner Loop Header: Depth=1
	s_clause 0x3
	buffer_load_dword v86, v79, s[0:3], 0 offen offset:8
	buffer_load_dword v87, v79, s[0:3], 0 offen offset:12
	buffer_load_dword v88, v79, s[0:3], 0 offen
	buffer_load_dword v89, v79, s[0:3], 0 offen offset:4
	ds_read_b128 v[82:85], v78
	v_add_nc_u32_e32 v77, 1, v77
	v_add_nc_u32_e32 v78, 16, v78
	;; [unrolled: 1-line block ×3, first 2 shown]
	v_cmp_lt_u32_e32 vcc_lo, 10, v77
	s_or_b32 s5, vcc_lo, s5
	s_waitcnt vmcnt(2) lgkmcnt(0)
	v_mul_f64 v[90:91], v[84:85], v[86:87]
	v_mul_f64 v[86:87], v[82:83], v[86:87]
	s_waitcnt vmcnt(0)
	v_fma_f64 v[82:83], v[82:83], v[88:89], -v[90:91]
	v_fma_f64 v[84:85], v[84:85], v[88:89], v[86:87]
	v_add_f64 v[3:4], v[3:4], v[82:83]
	v_add_f64 v[1:2], v[1:2], v[84:85]
	s_andn2_b32 exec_lo, exec_lo, s5
	s_cbranch_execnz .LBB98_61
; %bb.62:
	s_or_b32 exec_lo, exec_lo, s5
	v_mov_b32_e32 v77, 0
	ds_read_b128 v[77:80], v77 offset:192
	s_waitcnt lgkmcnt(0)
	v_mul_f64 v[82:83], v[1:2], v[79:80]
	v_mul_f64 v[79:80], v[3:4], v[79:80]
	v_fma_f64 v[3:4], v[3:4], v[77:78], -v[82:83]
	v_fma_f64 v[1:2], v[1:2], v[77:78], v[79:80]
	buffer_store_dword v4, off, s[0:3], 0 offset:212
	buffer_store_dword v3, off, s[0:3], 0 offset:208
	;; [unrolled: 1-line block ×4, first 2 shown]
.LBB98_63:
	s_or_b32 exec_lo, exec_lo, s4
	v_mov_b32_e32 v4, s34
	s_waitcnt_vscnt null, 0x0
	s_barrier
	buffer_gl0_inv
	s_mov_b32 s4, exec_lo
	s_clause 0x3
	buffer_load_dword v1, v4, s[0:3], 0 offen
	buffer_load_dword v2, v4, s[0:3], 0 offen offset:4
	buffer_load_dword v3, v4, s[0:3], 0 offen offset:8
	;; [unrolled: 1-line block ×3, first 2 shown]
	s_waitcnt vmcnt(0)
	ds_write_b128 v75, v[1:4]
	s_waitcnt lgkmcnt(0)
	s_barrier
	buffer_gl0_inv
	v_cmpx_gt_u32_e32 13, v0
	s_cbranch_execz .LBB98_67
; %bb.64:
	v_mov_b32_e32 v1, 0
	v_mov_b32_e32 v3, 0
	v_add_nc_u32_e32 v77, -1, v0
	v_add_nc_u32_e32 v78, 0x230, v81
	v_mov_b32_e32 v2, 0
	v_mov_b32_e32 v4, 0
	v_add_nc_u32_e32 v79, 16, v81
	s_mov_b32 s5, 0
	.p2align	6
.LBB98_65:                              ; =>This Inner Loop Header: Depth=1
	s_clause 0x3
	buffer_load_dword v86, v79, s[0:3], 0 offen offset:8
	buffer_load_dword v87, v79, s[0:3], 0 offen offset:12
	buffer_load_dword v88, v79, s[0:3], 0 offen
	buffer_load_dword v89, v79, s[0:3], 0 offen offset:4
	ds_read_b128 v[82:85], v78
	v_add_nc_u32_e32 v77, 1, v77
	v_add_nc_u32_e32 v78, 16, v78
	;; [unrolled: 1-line block ×3, first 2 shown]
	v_cmp_lt_u32_e32 vcc_lo, 11, v77
	s_or_b32 s5, vcc_lo, s5
	s_waitcnt vmcnt(2) lgkmcnt(0)
	v_mul_f64 v[90:91], v[84:85], v[86:87]
	v_mul_f64 v[86:87], v[82:83], v[86:87]
	s_waitcnt vmcnt(0)
	v_fma_f64 v[82:83], v[82:83], v[88:89], -v[90:91]
	v_fma_f64 v[84:85], v[84:85], v[88:89], v[86:87]
	v_add_f64 v[3:4], v[3:4], v[82:83]
	v_add_f64 v[1:2], v[1:2], v[84:85]
	s_andn2_b32 exec_lo, exec_lo, s5
	s_cbranch_execnz .LBB98_65
; %bb.66:
	s_or_b32 exec_lo, exec_lo, s5
	v_mov_b32_e32 v77, 0
	ds_read_b128 v[77:80], v77 offset:208
	s_waitcnt lgkmcnt(0)
	v_mul_f64 v[82:83], v[1:2], v[79:80]
	v_mul_f64 v[79:80], v[3:4], v[79:80]
	v_fma_f64 v[3:4], v[3:4], v[77:78], -v[82:83]
	v_fma_f64 v[1:2], v[1:2], v[77:78], v[79:80]
	buffer_store_dword v4, off, s[0:3], 0 offset:228
	buffer_store_dword v3, off, s[0:3], 0 offset:224
	;; [unrolled: 1-line block ×4, first 2 shown]
.LBB98_67:
	s_or_b32 exec_lo, exec_lo, s4
	v_mov_b32_e32 v4, s33
	s_waitcnt_vscnt null, 0x0
	s_barrier
	buffer_gl0_inv
	s_mov_b32 s4, exec_lo
	s_clause 0x3
	buffer_load_dword v1, v4, s[0:3], 0 offen
	buffer_load_dword v2, v4, s[0:3], 0 offen offset:4
	buffer_load_dword v3, v4, s[0:3], 0 offen offset:8
	;; [unrolled: 1-line block ×3, first 2 shown]
	s_waitcnt vmcnt(0)
	ds_write_b128 v75, v[1:4]
	s_waitcnt lgkmcnt(0)
	s_barrier
	buffer_gl0_inv
	v_cmpx_gt_u32_e32 14, v0
	s_cbranch_execz .LBB98_71
; %bb.68:
	v_mov_b32_e32 v1, 0
	v_mov_b32_e32 v3, 0
	v_add_nc_u32_e32 v77, -1, v0
	v_add_nc_u32_e32 v78, 0x230, v81
	v_mov_b32_e32 v2, 0
	v_mov_b32_e32 v4, 0
	v_add_nc_u32_e32 v79, 16, v81
	s_mov_b32 s5, 0
	.p2align	6
.LBB98_69:                              ; =>This Inner Loop Header: Depth=1
	s_clause 0x3
	buffer_load_dword v86, v79, s[0:3], 0 offen offset:8
	buffer_load_dword v87, v79, s[0:3], 0 offen offset:12
	buffer_load_dword v88, v79, s[0:3], 0 offen
	buffer_load_dword v89, v79, s[0:3], 0 offen offset:4
	ds_read_b128 v[82:85], v78
	v_add_nc_u32_e32 v77, 1, v77
	v_add_nc_u32_e32 v78, 16, v78
	;; [unrolled: 1-line block ×3, first 2 shown]
	v_cmp_lt_u32_e32 vcc_lo, 12, v77
	s_or_b32 s5, vcc_lo, s5
	s_waitcnt vmcnt(2) lgkmcnt(0)
	v_mul_f64 v[90:91], v[84:85], v[86:87]
	v_mul_f64 v[86:87], v[82:83], v[86:87]
	s_waitcnt vmcnt(0)
	v_fma_f64 v[82:83], v[82:83], v[88:89], -v[90:91]
	v_fma_f64 v[84:85], v[84:85], v[88:89], v[86:87]
	v_add_f64 v[3:4], v[3:4], v[82:83]
	v_add_f64 v[1:2], v[1:2], v[84:85]
	s_andn2_b32 exec_lo, exec_lo, s5
	s_cbranch_execnz .LBB98_69
; %bb.70:
	s_or_b32 exec_lo, exec_lo, s5
	v_mov_b32_e32 v77, 0
	ds_read_b128 v[77:80], v77 offset:224
	s_waitcnt lgkmcnt(0)
	v_mul_f64 v[82:83], v[1:2], v[79:80]
	v_mul_f64 v[79:80], v[3:4], v[79:80]
	v_fma_f64 v[3:4], v[3:4], v[77:78], -v[82:83]
	v_fma_f64 v[1:2], v[1:2], v[77:78], v[79:80]
	buffer_store_dword v4, off, s[0:3], 0 offset:244
	buffer_store_dword v3, off, s[0:3], 0 offset:240
	buffer_store_dword v2, off, s[0:3], 0 offset:252
	buffer_store_dword v1, off, s[0:3], 0 offset:248
.LBB98_71:
	s_or_b32 exec_lo, exec_lo, s4
	v_mov_b32_e32 v4, s31
	s_waitcnt_vscnt null, 0x0
	s_barrier
	buffer_gl0_inv
	s_mov_b32 s4, exec_lo
	s_clause 0x3
	buffer_load_dword v1, v4, s[0:3], 0 offen
	buffer_load_dword v2, v4, s[0:3], 0 offen offset:4
	buffer_load_dword v3, v4, s[0:3], 0 offen offset:8
	;; [unrolled: 1-line block ×3, first 2 shown]
	s_waitcnt vmcnt(0)
	ds_write_b128 v75, v[1:4]
	s_waitcnt lgkmcnt(0)
	s_barrier
	buffer_gl0_inv
	v_cmpx_gt_u32_e32 15, v0
	s_cbranch_execz .LBB98_75
; %bb.72:
	v_mov_b32_e32 v1, 0
	v_mov_b32_e32 v3, 0
	v_add_nc_u32_e32 v77, -1, v0
	v_add_nc_u32_e32 v78, 0x230, v81
	v_mov_b32_e32 v2, 0
	v_mov_b32_e32 v4, 0
	v_add_nc_u32_e32 v79, 16, v81
	s_mov_b32 s5, 0
	.p2align	6
.LBB98_73:                              ; =>This Inner Loop Header: Depth=1
	s_clause 0x3
	buffer_load_dword v86, v79, s[0:3], 0 offen offset:8
	buffer_load_dword v87, v79, s[0:3], 0 offen offset:12
	buffer_load_dword v88, v79, s[0:3], 0 offen
	buffer_load_dword v89, v79, s[0:3], 0 offen offset:4
	ds_read_b128 v[82:85], v78
	v_add_nc_u32_e32 v77, 1, v77
	v_add_nc_u32_e32 v78, 16, v78
	;; [unrolled: 1-line block ×3, first 2 shown]
	v_cmp_lt_u32_e32 vcc_lo, 13, v77
	s_or_b32 s5, vcc_lo, s5
	s_waitcnt vmcnt(2) lgkmcnt(0)
	v_mul_f64 v[90:91], v[84:85], v[86:87]
	v_mul_f64 v[86:87], v[82:83], v[86:87]
	s_waitcnt vmcnt(0)
	v_fma_f64 v[82:83], v[82:83], v[88:89], -v[90:91]
	v_fma_f64 v[84:85], v[84:85], v[88:89], v[86:87]
	v_add_f64 v[3:4], v[3:4], v[82:83]
	v_add_f64 v[1:2], v[1:2], v[84:85]
	s_andn2_b32 exec_lo, exec_lo, s5
	s_cbranch_execnz .LBB98_73
; %bb.74:
	s_or_b32 exec_lo, exec_lo, s5
	v_mov_b32_e32 v77, 0
	ds_read_b128 v[77:80], v77 offset:240
	s_waitcnt lgkmcnt(0)
	v_mul_f64 v[82:83], v[1:2], v[79:80]
	v_mul_f64 v[79:80], v[3:4], v[79:80]
	v_fma_f64 v[3:4], v[3:4], v[77:78], -v[82:83]
	v_fma_f64 v[1:2], v[1:2], v[77:78], v[79:80]
	buffer_store_dword v4, off, s[0:3], 0 offset:260
	buffer_store_dword v3, off, s[0:3], 0 offset:256
	;; [unrolled: 1-line block ×4, first 2 shown]
.LBB98_75:
	s_or_b32 exec_lo, exec_lo, s4
	v_mov_b32_e32 v4, s30
	s_waitcnt_vscnt null, 0x0
	s_barrier
	buffer_gl0_inv
	s_mov_b32 s4, exec_lo
	s_clause 0x3
	buffer_load_dword v1, v4, s[0:3], 0 offen
	buffer_load_dword v2, v4, s[0:3], 0 offen offset:4
	buffer_load_dword v3, v4, s[0:3], 0 offen offset:8
	;; [unrolled: 1-line block ×3, first 2 shown]
	s_waitcnt vmcnt(0)
	ds_write_b128 v75, v[1:4]
	s_waitcnt lgkmcnt(0)
	s_barrier
	buffer_gl0_inv
	v_cmpx_gt_u32_e32 16, v0
	s_cbranch_execz .LBB98_79
; %bb.76:
	v_mov_b32_e32 v1, 0
	v_mov_b32_e32 v3, 0
	v_add_nc_u32_e32 v77, -1, v0
	v_add_nc_u32_e32 v78, 0x230, v81
	v_mov_b32_e32 v2, 0
	v_mov_b32_e32 v4, 0
	v_add_nc_u32_e32 v79, 16, v81
	s_mov_b32 s5, 0
	.p2align	6
.LBB98_77:                              ; =>This Inner Loop Header: Depth=1
	s_clause 0x3
	buffer_load_dword v86, v79, s[0:3], 0 offen offset:8
	buffer_load_dword v87, v79, s[0:3], 0 offen offset:12
	buffer_load_dword v88, v79, s[0:3], 0 offen
	buffer_load_dword v89, v79, s[0:3], 0 offen offset:4
	ds_read_b128 v[82:85], v78
	v_add_nc_u32_e32 v77, 1, v77
	v_add_nc_u32_e32 v78, 16, v78
	;; [unrolled: 1-line block ×3, first 2 shown]
	v_cmp_lt_u32_e32 vcc_lo, 14, v77
	s_or_b32 s5, vcc_lo, s5
	s_waitcnt vmcnt(2) lgkmcnt(0)
	v_mul_f64 v[90:91], v[84:85], v[86:87]
	v_mul_f64 v[86:87], v[82:83], v[86:87]
	s_waitcnt vmcnt(0)
	v_fma_f64 v[82:83], v[82:83], v[88:89], -v[90:91]
	v_fma_f64 v[84:85], v[84:85], v[88:89], v[86:87]
	v_add_f64 v[3:4], v[3:4], v[82:83]
	v_add_f64 v[1:2], v[1:2], v[84:85]
	s_andn2_b32 exec_lo, exec_lo, s5
	s_cbranch_execnz .LBB98_77
; %bb.78:
	s_or_b32 exec_lo, exec_lo, s5
	v_mov_b32_e32 v77, 0
	ds_read_b128 v[77:80], v77 offset:256
	s_waitcnt lgkmcnt(0)
	v_mul_f64 v[82:83], v[1:2], v[79:80]
	v_mul_f64 v[79:80], v[3:4], v[79:80]
	v_fma_f64 v[3:4], v[3:4], v[77:78], -v[82:83]
	v_fma_f64 v[1:2], v[1:2], v[77:78], v[79:80]
	buffer_store_dword v4, off, s[0:3], 0 offset:276
	buffer_store_dword v3, off, s[0:3], 0 offset:272
	;; [unrolled: 1-line block ×4, first 2 shown]
.LBB98_79:
	s_or_b32 exec_lo, exec_lo, s4
	v_mov_b32_e32 v4, s29
	s_waitcnt_vscnt null, 0x0
	s_barrier
	buffer_gl0_inv
	s_mov_b32 s4, exec_lo
	s_clause 0x3
	buffer_load_dword v1, v4, s[0:3], 0 offen
	buffer_load_dword v2, v4, s[0:3], 0 offen offset:4
	buffer_load_dword v3, v4, s[0:3], 0 offen offset:8
	;; [unrolled: 1-line block ×3, first 2 shown]
	s_waitcnt vmcnt(0)
	ds_write_b128 v75, v[1:4]
	s_waitcnt lgkmcnt(0)
	s_barrier
	buffer_gl0_inv
	v_cmpx_gt_u32_e32 17, v0
	s_cbranch_execz .LBB98_83
; %bb.80:
	v_mov_b32_e32 v1, 0
	v_mov_b32_e32 v3, 0
	v_add_nc_u32_e32 v77, -1, v0
	v_add_nc_u32_e32 v78, 0x230, v81
	v_mov_b32_e32 v2, 0
	v_mov_b32_e32 v4, 0
	v_add_nc_u32_e32 v79, 16, v81
	s_mov_b32 s5, 0
	.p2align	6
.LBB98_81:                              ; =>This Inner Loop Header: Depth=1
	s_clause 0x3
	buffer_load_dword v86, v79, s[0:3], 0 offen offset:8
	buffer_load_dword v87, v79, s[0:3], 0 offen offset:12
	buffer_load_dword v88, v79, s[0:3], 0 offen
	buffer_load_dword v89, v79, s[0:3], 0 offen offset:4
	ds_read_b128 v[82:85], v78
	v_add_nc_u32_e32 v77, 1, v77
	v_add_nc_u32_e32 v78, 16, v78
	;; [unrolled: 1-line block ×3, first 2 shown]
	v_cmp_lt_u32_e32 vcc_lo, 15, v77
	s_or_b32 s5, vcc_lo, s5
	s_waitcnt vmcnt(2) lgkmcnt(0)
	v_mul_f64 v[90:91], v[84:85], v[86:87]
	v_mul_f64 v[86:87], v[82:83], v[86:87]
	s_waitcnt vmcnt(0)
	v_fma_f64 v[82:83], v[82:83], v[88:89], -v[90:91]
	v_fma_f64 v[84:85], v[84:85], v[88:89], v[86:87]
	v_add_f64 v[3:4], v[3:4], v[82:83]
	v_add_f64 v[1:2], v[1:2], v[84:85]
	s_andn2_b32 exec_lo, exec_lo, s5
	s_cbranch_execnz .LBB98_81
; %bb.82:
	s_or_b32 exec_lo, exec_lo, s5
	v_mov_b32_e32 v77, 0
	ds_read_b128 v[77:80], v77 offset:272
	s_waitcnt lgkmcnt(0)
	v_mul_f64 v[82:83], v[1:2], v[79:80]
	v_mul_f64 v[79:80], v[3:4], v[79:80]
	v_fma_f64 v[3:4], v[3:4], v[77:78], -v[82:83]
	v_fma_f64 v[1:2], v[1:2], v[77:78], v[79:80]
	buffer_store_dword v4, off, s[0:3], 0 offset:292
	buffer_store_dword v3, off, s[0:3], 0 offset:288
	;; [unrolled: 1-line block ×4, first 2 shown]
.LBB98_83:
	s_or_b32 exec_lo, exec_lo, s4
	v_mov_b32_e32 v4, s28
	s_waitcnt_vscnt null, 0x0
	s_barrier
	buffer_gl0_inv
	s_mov_b32 s4, exec_lo
	s_clause 0x3
	buffer_load_dword v1, v4, s[0:3], 0 offen
	buffer_load_dword v2, v4, s[0:3], 0 offen offset:4
	buffer_load_dword v3, v4, s[0:3], 0 offen offset:8
	;; [unrolled: 1-line block ×3, first 2 shown]
	s_waitcnt vmcnt(0)
	ds_write_b128 v75, v[1:4]
	s_waitcnt lgkmcnt(0)
	s_barrier
	buffer_gl0_inv
	v_cmpx_gt_u32_e32 18, v0
	s_cbranch_execz .LBB98_87
; %bb.84:
	v_mov_b32_e32 v1, 0
	v_mov_b32_e32 v3, 0
	v_add_nc_u32_e32 v77, -1, v0
	v_add_nc_u32_e32 v78, 0x230, v81
	v_mov_b32_e32 v2, 0
	v_mov_b32_e32 v4, 0
	v_add_nc_u32_e32 v79, 16, v81
	s_mov_b32 s5, 0
	.p2align	6
.LBB98_85:                              ; =>This Inner Loop Header: Depth=1
	s_clause 0x3
	buffer_load_dword v86, v79, s[0:3], 0 offen offset:8
	buffer_load_dword v87, v79, s[0:3], 0 offen offset:12
	buffer_load_dword v88, v79, s[0:3], 0 offen
	buffer_load_dword v89, v79, s[0:3], 0 offen offset:4
	ds_read_b128 v[82:85], v78
	v_add_nc_u32_e32 v77, 1, v77
	v_add_nc_u32_e32 v78, 16, v78
	;; [unrolled: 1-line block ×3, first 2 shown]
	v_cmp_lt_u32_e32 vcc_lo, 16, v77
	s_or_b32 s5, vcc_lo, s5
	s_waitcnt vmcnt(2) lgkmcnt(0)
	v_mul_f64 v[90:91], v[84:85], v[86:87]
	v_mul_f64 v[86:87], v[82:83], v[86:87]
	s_waitcnt vmcnt(0)
	v_fma_f64 v[82:83], v[82:83], v[88:89], -v[90:91]
	v_fma_f64 v[84:85], v[84:85], v[88:89], v[86:87]
	v_add_f64 v[3:4], v[3:4], v[82:83]
	v_add_f64 v[1:2], v[1:2], v[84:85]
	s_andn2_b32 exec_lo, exec_lo, s5
	s_cbranch_execnz .LBB98_85
; %bb.86:
	s_or_b32 exec_lo, exec_lo, s5
	v_mov_b32_e32 v77, 0
	ds_read_b128 v[77:80], v77 offset:288
	s_waitcnt lgkmcnt(0)
	v_mul_f64 v[82:83], v[1:2], v[79:80]
	v_mul_f64 v[79:80], v[3:4], v[79:80]
	v_fma_f64 v[3:4], v[3:4], v[77:78], -v[82:83]
	v_fma_f64 v[1:2], v[1:2], v[77:78], v[79:80]
	buffer_store_dword v4, off, s[0:3], 0 offset:308
	buffer_store_dword v3, off, s[0:3], 0 offset:304
	;; [unrolled: 1-line block ×4, first 2 shown]
.LBB98_87:
	s_or_b32 exec_lo, exec_lo, s4
	v_mov_b32_e32 v4, s27
	s_waitcnt_vscnt null, 0x0
	s_barrier
	buffer_gl0_inv
	s_mov_b32 s4, exec_lo
	s_clause 0x3
	buffer_load_dword v1, v4, s[0:3], 0 offen
	buffer_load_dword v2, v4, s[0:3], 0 offen offset:4
	buffer_load_dword v3, v4, s[0:3], 0 offen offset:8
	;; [unrolled: 1-line block ×3, first 2 shown]
	s_waitcnt vmcnt(0)
	ds_write_b128 v75, v[1:4]
	s_waitcnt lgkmcnt(0)
	s_barrier
	buffer_gl0_inv
	v_cmpx_gt_u32_e32 19, v0
	s_cbranch_execz .LBB98_91
; %bb.88:
	v_mov_b32_e32 v1, 0
	v_mov_b32_e32 v3, 0
	v_add_nc_u32_e32 v77, -1, v0
	v_add_nc_u32_e32 v78, 0x230, v81
	v_mov_b32_e32 v2, 0
	v_mov_b32_e32 v4, 0
	v_add_nc_u32_e32 v79, 16, v81
	s_mov_b32 s5, 0
	.p2align	6
.LBB98_89:                              ; =>This Inner Loop Header: Depth=1
	s_clause 0x3
	buffer_load_dword v86, v79, s[0:3], 0 offen offset:8
	buffer_load_dword v87, v79, s[0:3], 0 offen offset:12
	buffer_load_dword v88, v79, s[0:3], 0 offen
	buffer_load_dword v89, v79, s[0:3], 0 offen offset:4
	ds_read_b128 v[82:85], v78
	v_add_nc_u32_e32 v77, 1, v77
	v_add_nc_u32_e32 v78, 16, v78
	v_add_nc_u32_e32 v79, 16, v79
	v_cmp_lt_u32_e32 vcc_lo, 17, v77
	s_or_b32 s5, vcc_lo, s5
	s_waitcnt vmcnt(2) lgkmcnt(0)
	v_mul_f64 v[90:91], v[84:85], v[86:87]
	v_mul_f64 v[86:87], v[82:83], v[86:87]
	s_waitcnt vmcnt(0)
	v_fma_f64 v[82:83], v[82:83], v[88:89], -v[90:91]
	v_fma_f64 v[84:85], v[84:85], v[88:89], v[86:87]
	v_add_f64 v[3:4], v[3:4], v[82:83]
	v_add_f64 v[1:2], v[1:2], v[84:85]
	s_andn2_b32 exec_lo, exec_lo, s5
	s_cbranch_execnz .LBB98_89
; %bb.90:
	s_or_b32 exec_lo, exec_lo, s5
	v_mov_b32_e32 v77, 0
	ds_read_b128 v[77:80], v77 offset:304
	s_waitcnt lgkmcnt(0)
	v_mul_f64 v[82:83], v[1:2], v[79:80]
	v_mul_f64 v[79:80], v[3:4], v[79:80]
	v_fma_f64 v[3:4], v[3:4], v[77:78], -v[82:83]
	v_fma_f64 v[1:2], v[1:2], v[77:78], v[79:80]
	buffer_store_dword v4, off, s[0:3], 0 offset:324
	buffer_store_dword v3, off, s[0:3], 0 offset:320
	;; [unrolled: 1-line block ×4, first 2 shown]
.LBB98_91:
	s_or_b32 exec_lo, exec_lo, s4
	v_mov_b32_e32 v4, s26
	s_waitcnt_vscnt null, 0x0
	s_barrier
	buffer_gl0_inv
	s_mov_b32 s4, exec_lo
	s_clause 0x3
	buffer_load_dword v1, v4, s[0:3], 0 offen
	buffer_load_dword v2, v4, s[0:3], 0 offen offset:4
	buffer_load_dword v3, v4, s[0:3], 0 offen offset:8
	;; [unrolled: 1-line block ×3, first 2 shown]
	s_waitcnt vmcnt(0)
	ds_write_b128 v75, v[1:4]
	s_waitcnt lgkmcnt(0)
	s_barrier
	buffer_gl0_inv
	v_cmpx_gt_u32_e32 20, v0
	s_cbranch_execz .LBB98_95
; %bb.92:
	v_mov_b32_e32 v1, 0
	v_mov_b32_e32 v3, 0
	v_add_nc_u32_e32 v77, -1, v0
	v_add_nc_u32_e32 v78, 0x230, v81
	v_mov_b32_e32 v2, 0
	v_mov_b32_e32 v4, 0
	v_add_nc_u32_e32 v79, 16, v81
	s_mov_b32 s5, 0
	.p2align	6
.LBB98_93:                              ; =>This Inner Loop Header: Depth=1
	s_clause 0x3
	buffer_load_dword v86, v79, s[0:3], 0 offen offset:8
	buffer_load_dword v87, v79, s[0:3], 0 offen offset:12
	buffer_load_dword v88, v79, s[0:3], 0 offen
	buffer_load_dword v89, v79, s[0:3], 0 offen offset:4
	ds_read_b128 v[82:85], v78
	v_add_nc_u32_e32 v77, 1, v77
	v_add_nc_u32_e32 v78, 16, v78
	;; [unrolled: 1-line block ×3, first 2 shown]
	v_cmp_lt_u32_e32 vcc_lo, 18, v77
	s_or_b32 s5, vcc_lo, s5
	s_waitcnt vmcnt(2) lgkmcnt(0)
	v_mul_f64 v[90:91], v[84:85], v[86:87]
	v_mul_f64 v[86:87], v[82:83], v[86:87]
	s_waitcnt vmcnt(0)
	v_fma_f64 v[82:83], v[82:83], v[88:89], -v[90:91]
	v_fma_f64 v[84:85], v[84:85], v[88:89], v[86:87]
	v_add_f64 v[3:4], v[3:4], v[82:83]
	v_add_f64 v[1:2], v[1:2], v[84:85]
	s_andn2_b32 exec_lo, exec_lo, s5
	s_cbranch_execnz .LBB98_93
; %bb.94:
	s_or_b32 exec_lo, exec_lo, s5
	v_mov_b32_e32 v77, 0
	ds_read_b128 v[77:80], v77 offset:320
	s_waitcnt lgkmcnt(0)
	v_mul_f64 v[82:83], v[1:2], v[79:80]
	v_mul_f64 v[79:80], v[3:4], v[79:80]
	v_fma_f64 v[3:4], v[3:4], v[77:78], -v[82:83]
	v_fma_f64 v[1:2], v[1:2], v[77:78], v[79:80]
	buffer_store_dword v4, off, s[0:3], 0 offset:340
	buffer_store_dword v3, off, s[0:3], 0 offset:336
	;; [unrolled: 1-line block ×4, first 2 shown]
.LBB98_95:
	s_or_b32 exec_lo, exec_lo, s4
	v_mov_b32_e32 v4, s25
	s_waitcnt_vscnt null, 0x0
	s_barrier
	buffer_gl0_inv
	s_mov_b32 s4, exec_lo
	s_clause 0x3
	buffer_load_dword v1, v4, s[0:3], 0 offen
	buffer_load_dword v2, v4, s[0:3], 0 offen offset:4
	buffer_load_dword v3, v4, s[0:3], 0 offen offset:8
	;; [unrolled: 1-line block ×3, first 2 shown]
	s_waitcnt vmcnt(0)
	ds_write_b128 v75, v[1:4]
	s_waitcnt lgkmcnt(0)
	s_barrier
	buffer_gl0_inv
	v_cmpx_gt_u32_e32 21, v0
	s_cbranch_execz .LBB98_99
; %bb.96:
	v_mov_b32_e32 v1, 0
	v_mov_b32_e32 v3, 0
	v_add_nc_u32_e32 v77, -1, v0
	v_add_nc_u32_e32 v78, 0x230, v81
	v_mov_b32_e32 v2, 0
	v_mov_b32_e32 v4, 0
	v_add_nc_u32_e32 v79, 16, v81
	s_mov_b32 s5, 0
	.p2align	6
.LBB98_97:                              ; =>This Inner Loop Header: Depth=1
	s_clause 0x3
	buffer_load_dword v86, v79, s[0:3], 0 offen offset:8
	buffer_load_dword v87, v79, s[0:3], 0 offen offset:12
	buffer_load_dword v88, v79, s[0:3], 0 offen
	buffer_load_dword v89, v79, s[0:3], 0 offen offset:4
	ds_read_b128 v[82:85], v78
	v_add_nc_u32_e32 v77, 1, v77
	v_add_nc_u32_e32 v78, 16, v78
	;; [unrolled: 1-line block ×3, first 2 shown]
	v_cmp_lt_u32_e32 vcc_lo, 19, v77
	s_or_b32 s5, vcc_lo, s5
	s_waitcnt vmcnt(2) lgkmcnt(0)
	v_mul_f64 v[90:91], v[84:85], v[86:87]
	v_mul_f64 v[86:87], v[82:83], v[86:87]
	s_waitcnt vmcnt(0)
	v_fma_f64 v[82:83], v[82:83], v[88:89], -v[90:91]
	v_fma_f64 v[84:85], v[84:85], v[88:89], v[86:87]
	v_add_f64 v[3:4], v[3:4], v[82:83]
	v_add_f64 v[1:2], v[1:2], v[84:85]
	s_andn2_b32 exec_lo, exec_lo, s5
	s_cbranch_execnz .LBB98_97
; %bb.98:
	s_or_b32 exec_lo, exec_lo, s5
	v_mov_b32_e32 v77, 0
	ds_read_b128 v[77:80], v77 offset:336
	s_waitcnt lgkmcnt(0)
	v_mul_f64 v[82:83], v[1:2], v[79:80]
	v_mul_f64 v[79:80], v[3:4], v[79:80]
	v_fma_f64 v[3:4], v[3:4], v[77:78], -v[82:83]
	v_fma_f64 v[1:2], v[1:2], v[77:78], v[79:80]
	buffer_store_dword v4, off, s[0:3], 0 offset:356
	buffer_store_dword v3, off, s[0:3], 0 offset:352
	;; [unrolled: 1-line block ×4, first 2 shown]
.LBB98_99:
	s_or_b32 exec_lo, exec_lo, s4
	v_mov_b32_e32 v4, s24
	s_waitcnt_vscnt null, 0x0
	s_barrier
	buffer_gl0_inv
	s_mov_b32 s4, exec_lo
	s_clause 0x3
	buffer_load_dword v1, v4, s[0:3], 0 offen
	buffer_load_dword v2, v4, s[0:3], 0 offen offset:4
	buffer_load_dword v3, v4, s[0:3], 0 offen offset:8
	;; [unrolled: 1-line block ×3, first 2 shown]
	s_waitcnt vmcnt(0)
	ds_write_b128 v75, v[1:4]
	s_waitcnt lgkmcnt(0)
	s_barrier
	buffer_gl0_inv
	v_cmpx_gt_u32_e32 22, v0
	s_cbranch_execz .LBB98_103
; %bb.100:
	v_mov_b32_e32 v1, 0
	v_mov_b32_e32 v3, 0
	v_add_nc_u32_e32 v77, -1, v0
	v_add_nc_u32_e32 v78, 0x230, v81
	v_mov_b32_e32 v2, 0
	v_mov_b32_e32 v4, 0
	v_add_nc_u32_e32 v79, 16, v81
	s_mov_b32 s5, 0
	.p2align	6
.LBB98_101:                             ; =>This Inner Loop Header: Depth=1
	s_clause 0x3
	buffer_load_dword v86, v79, s[0:3], 0 offen offset:8
	buffer_load_dword v87, v79, s[0:3], 0 offen offset:12
	buffer_load_dword v88, v79, s[0:3], 0 offen
	buffer_load_dword v89, v79, s[0:3], 0 offen offset:4
	ds_read_b128 v[82:85], v78
	v_add_nc_u32_e32 v77, 1, v77
	v_add_nc_u32_e32 v78, 16, v78
	;; [unrolled: 1-line block ×3, first 2 shown]
	v_cmp_lt_u32_e32 vcc_lo, 20, v77
	s_or_b32 s5, vcc_lo, s5
	s_waitcnt vmcnt(2) lgkmcnt(0)
	v_mul_f64 v[90:91], v[84:85], v[86:87]
	v_mul_f64 v[86:87], v[82:83], v[86:87]
	s_waitcnt vmcnt(0)
	v_fma_f64 v[82:83], v[82:83], v[88:89], -v[90:91]
	v_fma_f64 v[84:85], v[84:85], v[88:89], v[86:87]
	v_add_f64 v[3:4], v[3:4], v[82:83]
	v_add_f64 v[1:2], v[1:2], v[84:85]
	s_andn2_b32 exec_lo, exec_lo, s5
	s_cbranch_execnz .LBB98_101
; %bb.102:
	s_or_b32 exec_lo, exec_lo, s5
	v_mov_b32_e32 v77, 0
	ds_read_b128 v[77:80], v77 offset:352
	s_waitcnt lgkmcnt(0)
	v_mul_f64 v[82:83], v[1:2], v[79:80]
	v_mul_f64 v[79:80], v[3:4], v[79:80]
	v_fma_f64 v[3:4], v[3:4], v[77:78], -v[82:83]
	v_fma_f64 v[1:2], v[1:2], v[77:78], v[79:80]
	buffer_store_dword v4, off, s[0:3], 0 offset:372
	buffer_store_dword v3, off, s[0:3], 0 offset:368
	buffer_store_dword v2, off, s[0:3], 0 offset:380
	buffer_store_dword v1, off, s[0:3], 0 offset:376
.LBB98_103:
	s_or_b32 exec_lo, exec_lo, s4
	v_mov_b32_e32 v4, s23
	s_waitcnt_vscnt null, 0x0
	s_barrier
	buffer_gl0_inv
	s_mov_b32 s4, exec_lo
	s_clause 0x3
	buffer_load_dword v1, v4, s[0:3], 0 offen
	buffer_load_dword v2, v4, s[0:3], 0 offen offset:4
	buffer_load_dword v3, v4, s[0:3], 0 offen offset:8
	;; [unrolled: 1-line block ×3, first 2 shown]
	s_waitcnt vmcnt(0)
	ds_write_b128 v75, v[1:4]
	s_waitcnt lgkmcnt(0)
	s_barrier
	buffer_gl0_inv
	v_cmpx_gt_u32_e32 23, v0
	s_cbranch_execz .LBB98_107
; %bb.104:
	v_mov_b32_e32 v1, 0
	v_mov_b32_e32 v3, 0
	v_add_nc_u32_e32 v77, -1, v0
	v_add_nc_u32_e32 v78, 0x230, v81
	v_mov_b32_e32 v2, 0
	v_mov_b32_e32 v4, 0
	v_add_nc_u32_e32 v79, 16, v81
	s_mov_b32 s5, 0
	.p2align	6
.LBB98_105:                             ; =>This Inner Loop Header: Depth=1
	s_clause 0x3
	buffer_load_dword v86, v79, s[0:3], 0 offen offset:8
	buffer_load_dword v87, v79, s[0:3], 0 offen offset:12
	buffer_load_dword v88, v79, s[0:3], 0 offen
	buffer_load_dword v89, v79, s[0:3], 0 offen offset:4
	ds_read_b128 v[82:85], v78
	v_add_nc_u32_e32 v77, 1, v77
	v_add_nc_u32_e32 v78, 16, v78
	;; [unrolled: 1-line block ×3, first 2 shown]
	v_cmp_lt_u32_e32 vcc_lo, 21, v77
	s_or_b32 s5, vcc_lo, s5
	s_waitcnt vmcnt(2) lgkmcnt(0)
	v_mul_f64 v[90:91], v[84:85], v[86:87]
	v_mul_f64 v[86:87], v[82:83], v[86:87]
	s_waitcnt vmcnt(0)
	v_fma_f64 v[82:83], v[82:83], v[88:89], -v[90:91]
	v_fma_f64 v[84:85], v[84:85], v[88:89], v[86:87]
	v_add_f64 v[3:4], v[3:4], v[82:83]
	v_add_f64 v[1:2], v[1:2], v[84:85]
	s_andn2_b32 exec_lo, exec_lo, s5
	s_cbranch_execnz .LBB98_105
; %bb.106:
	s_or_b32 exec_lo, exec_lo, s5
	v_mov_b32_e32 v77, 0
	ds_read_b128 v[77:80], v77 offset:368
	s_waitcnt lgkmcnt(0)
	v_mul_f64 v[82:83], v[1:2], v[79:80]
	v_mul_f64 v[79:80], v[3:4], v[79:80]
	v_fma_f64 v[3:4], v[3:4], v[77:78], -v[82:83]
	v_fma_f64 v[1:2], v[1:2], v[77:78], v[79:80]
	buffer_store_dword v4, off, s[0:3], 0 offset:388
	buffer_store_dword v3, off, s[0:3], 0 offset:384
	;; [unrolled: 1-line block ×4, first 2 shown]
.LBB98_107:
	s_or_b32 exec_lo, exec_lo, s4
	v_mov_b32_e32 v4, s22
	s_waitcnt_vscnt null, 0x0
	s_barrier
	buffer_gl0_inv
	s_mov_b32 s4, exec_lo
	s_clause 0x3
	buffer_load_dword v1, v4, s[0:3], 0 offen
	buffer_load_dword v2, v4, s[0:3], 0 offen offset:4
	buffer_load_dword v3, v4, s[0:3], 0 offen offset:8
	;; [unrolled: 1-line block ×3, first 2 shown]
	s_waitcnt vmcnt(0)
	ds_write_b128 v75, v[1:4]
	s_waitcnt lgkmcnt(0)
	s_barrier
	buffer_gl0_inv
	v_cmpx_gt_u32_e32 24, v0
	s_cbranch_execz .LBB98_111
; %bb.108:
	v_mov_b32_e32 v1, 0
	v_mov_b32_e32 v3, 0
	v_add_nc_u32_e32 v77, -1, v0
	v_add_nc_u32_e32 v78, 0x230, v81
	v_mov_b32_e32 v2, 0
	v_mov_b32_e32 v4, 0
	v_add_nc_u32_e32 v79, 16, v81
	s_mov_b32 s5, 0
	.p2align	6
.LBB98_109:                             ; =>This Inner Loop Header: Depth=1
	s_clause 0x3
	buffer_load_dword v86, v79, s[0:3], 0 offen offset:8
	buffer_load_dword v87, v79, s[0:3], 0 offen offset:12
	buffer_load_dword v88, v79, s[0:3], 0 offen
	buffer_load_dword v89, v79, s[0:3], 0 offen offset:4
	ds_read_b128 v[82:85], v78
	v_add_nc_u32_e32 v77, 1, v77
	v_add_nc_u32_e32 v78, 16, v78
	v_add_nc_u32_e32 v79, 16, v79
	v_cmp_lt_u32_e32 vcc_lo, 22, v77
	s_or_b32 s5, vcc_lo, s5
	s_waitcnt vmcnt(2) lgkmcnt(0)
	v_mul_f64 v[90:91], v[84:85], v[86:87]
	v_mul_f64 v[86:87], v[82:83], v[86:87]
	s_waitcnt vmcnt(0)
	v_fma_f64 v[82:83], v[82:83], v[88:89], -v[90:91]
	v_fma_f64 v[84:85], v[84:85], v[88:89], v[86:87]
	v_add_f64 v[3:4], v[3:4], v[82:83]
	v_add_f64 v[1:2], v[1:2], v[84:85]
	s_andn2_b32 exec_lo, exec_lo, s5
	s_cbranch_execnz .LBB98_109
; %bb.110:
	s_or_b32 exec_lo, exec_lo, s5
	v_mov_b32_e32 v77, 0
	ds_read_b128 v[77:80], v77 offset:384
	s_waitcnt lgkmcnt(0)
	v_mul_f64 v[82:83], v[1:2], v[79:80]
	v_mul_f64 v[79:80], v[3:4], v[79:80]
	v_fma_f64 v[3:4], v[3:4], v[77:78], -v[82:83]
	v_fma_f64 v[1:2], v[1:2], v[77:78], v[79:80]
	buffer_store_dword v4, off, s[0:3], 0 offset:404
	buffer_store_dword v3, off, s[0:3], 0 offset:400
	;; [unrolled: 1-line block ×4, first 2 shown]
.LBB98_111:
	s_or_b32 exec_lo, exec_lo, s4
	v_mov_b32_e32 v4, s21
	s_waitcnt_vscnt null, 0x0
	s_barrier
	buffer_gl0_inv
	s_mov_b32 s4, exec_lo
	s_clause 0x3
	buffer_load_dword v1, v4, s[0:3], 0 offen
	buffer_load_dword v2, v4, s[0:3], 0 offen offset:4
	buffer_load_dword v3, v4, s[0:3], 0 offen offset:8
	;; [unrolled: 1-line block ×3, first 2 shown]
	s_waitcnt vmcnt(0)
	ds_write_b128 v75, v[1:4]
	s_waitcnt lgkmcnt(0)
	s_barrier
	buffer_gl0_inv
	v_cmpx_gt_u32_e32 25, v0
	s_cbranch_execz .LBB98_115
; %bb.112:
	v_mov_b32_e32 v1, 0
	v_mov_b32_e32 v3, 0
	v_add_nc_u32_e32 v77, -1, v0
	v_add_nc_u32_e32 v78, 0x230, v81
	v_mov_b32_e32 v2, 0
	v_mov_b32_e32 v4, 0
	v_add_nc_u32_e32 v79, 16, v81
	s_mov_b32 s5, 0
	.p2align	6
.LBB98_113:                             ; =>This Inner Loop Header: Depth=1
	s_clause 0x3
	buffer_load_dword v86, v79, s[0:3], 0 offen offset:8
	buffer_load_dword v87, v79, s[0:3], 0 offen offset:12
	buffer_load_dword v88, v79, s[0:3], 0 offen
	buffer_load_dword v89, v79, s[0:3], 0 offen offset:4
	ds_read_b128 v[82:85], v78
	v_add_nc_u32_e32 v77, 1, v77
	v_add_nc_u32_e32 v78, 16, v78
	;; [unrolled: 1-line block ×3, first 2 shown]
	v_cmp_lt_u32_e32 vcc_lo, 23, v77
	s_or_b32 s5, vcc_lo, s5
	s_waitcnt vmcnt(2) lgkmcnt(0)
	v_mul_f64 v[90:91], v[84:85], v[86:87]
	v_mul_f64 v[86:87], v[82:83], v[86:87]
	s_waitcnt vmcnt(0)
	v_fma_f64 v[82:83], v[82:83], v[88:89], -v[90:91]
	v_fma_f64 v[84:85], v[84:85], v[88:89], v[86:87]
	v_add_f64 v[3:4], v[3:4], v[82:83]
	v_add_f64 v[1:2], v[1:2], v[84:85]
	s_andn2_b32 exec_lo, exec_lo, s5
	s_cbranch_execnz .LBB98_113
; %bb.114:
	s_or_b32 exec_lo, exec_lo, s5
	v_mov_b32_e32 v77, 0
	ds_read_b128 v[77:80], v77 offset:400
	s_waitcnt lgkmcnt(0)
	v_mul_f64 v[82:83], v[1:2], v[79:80]
	v_mul_f64 v[79:80], v[3:4], v[79:80]
	v_fma_f64 v[3:4], v[3:4], v[77:78], -v[82:83]
	v_fma_f64 v[1:2], v[1:2], v[77:78], v[79:80]
	buffer_store_dword v4, off, s[0:3], 0 offset:420
	buffer_store_dword v3, off, s[0:3], 0 offset:416
	;; [unrolled: 1-line block ×4, first 2 shown]
.LBB98_115:
	s_or_b32 exec_lo, exec_lo, s4
	v_mov_b32_e32 v4, s20
	s_waitcnt_vscnt null, 0x0
	s_barrier
	buffer_gl0_inv
	s_mov_b32 s4, exec_lo
	s_clause 0x3
	buffer_load_dword v1, v4, s[0:3], 0 offen
	buffer_load_dword v2, v4, s[0:3], 0 offen offset:4
	buffer_load_dword v3, v4, s[0:3], 0 offen offset:8
	;; [unrolled: 1-line block ×3, first 2 shown]
	s_waitcnt vmcnt(0)
	ds_write_b128 v75, v[1:4]
	s_waitcnt lgkmcnt(0)
	s_barrier
	buffer_gl0_inv
	v_cmpx_gt_u32_e32 26, v0
	s_cbranch_execz .LBB98_119
; %bb.116:
	v_mov_b32_e32 v1, 0
	v_mov_b32_e32 v3, 0
	v_add_nc_u32_e32 v77, -1, v0
	v_add_nc_u32_e32 v78, 0x230, v81
	v_mov_b32_e32 v2, 0
	v_mov_b32_e32 v4, 0
	v_add_nc_u32_e32 v79, 16, v81
	s_mov_b32 s5, 0
	.p2align	6
.LBB98_117:                             ; =>This Inner Loop Header: Depth=1
	s_clause 0x3
	buffer_load_dword v86, v79, s[0:3], 0 offen offset:8
	buffer_load_dword v87, v79, s[0:3], 0 offen offset:12
	buffer_load_dword v88, v79, s[0:3], 0 offen
	buffer_load_dword v89, v79, s[0:3], 0 offen offset:4
	ds_read_b128 v[82:85], v78
	v_add_nc_u32_e32 v77, 1, v77
	v_add_nc_u32_e32 v78, 16, v78
	;; [unrolled: 1-line block ×3, first 2 shown]
	v_cmp_lt_u32_e32 vcc_lo, 24, v77
	s_or_b32 s5, vcc_lo, s5
	s_waitcnt vmcnt(2) lgkmcnt(0)
	v_mul_f64 v[90:91], v[84:85], v[86:87]
	v_mul_f64 v[86:87], v[82:83], v[86:87]
	s_waitcnt vmcnt(0)
	v_fma_f64 v[82:83], v[82:83], v[88:89], -v[90:91]
	v_fma_f64 v[84:85], v[84:85], v[88:89], v[86:87]
	v_add_f64 v[3:4], v[3:4], v[82:83]
	v_add_f64 v[1:2], v[1:2], v[84:85]
	s_andn2_b32 exec_lo, exec_lo, s5
	s_cbranch_execnz .LBB98_117
; %bb.118:
	s_or_b32 exec_lo, exec_lo, s5
	v_mov_b32_e32 v77, 0
	ds_read_b128 v[77:80], v77 offset:416
	s_waitcnt lgkmcnt(0)
	v_mul_f64 v[82:83], v[1:2], v[79:80]
	v_mul_f64 v[79:80], v[3:4], v[79:80]
	v_fma_f64 v[3:4], v[3:4], v[77:78], -v[82:83]
	v_fma_f64 v[1:2], v[1:2], v[77:78], v[79:80]
	buffer_store_dword v4, off, s[0:3], 0 offset:436
	buffer_store_dword v3, off, s[0:3], 0 offset:432
	;; [unrolled: 1-line block ×4, first 2 shown]
.LBB98_119:
	s_or_b32 exec_lo, exec_lo, s4
	v_mov_b32_e32 v4, s19
	s_waitcnt_vscnt null, 0x0
	s_barrier
	buffer_gl0_inv
	s_mov_b32 s4, exec_lo
	s_clause 0x3
	buffer_load_dword v1, v4, s[0:3], 0 offen
	buffer_load_dword v2, v4, s[0:3], 0 offen offset:4
	buffer_load_dword v3, v4, s[0:3], 0 offen offset:8
	;; [unrolled: 1-line block ×3, first 2 shown]
	s_waitcnt vmcnt(0)
	ds_write_b128 v75, v[1:4]
	s_waitcnt lgkmcnt(0)
	s_barrier
	buffer_gl0_inv
	v_cmpx_gt_u32_e32 27, v0
	s_cbranch_execz .LBB98_123
; %bb.120:
	v_mov_b32_e32 v1, 0
	v_mov_b32_e32 v3, 0
	v_add_nc_u32_e32 v77, -1, v0
	v_add_nc_u32_e32 v78, 0x230, v81
	v_mov_b32_e32 v2, 0
	v_mov_b32_e32 v4, 0
	v_add_nc_u32_e32 v79, 16, v81
	s_mov_b32 s5, 0
	.p2align	6
.LBB98_121:                             ; =>This Inner Loop Header: Depth=1
	s_clause 0x3
	buffer_load_dword v86, v79, s[0:3], 0 offen offset:8
	buffer_load_dword v87, v79, s[0:3], 0 offen offset:12
	buffer_load_dword v88, v79, s[0:3], 0 offen
	buffer_load_dword v89, v79, s[0:3], 0 offen offset:4
	ds_read_b128 v[82:85], v78
	v_add_nc_u32_e32 v77, 1, v77
	v_add_nc_u32_e32 v78, 16, v78
	;; [unrolled: 1-line block ×3, first 2 shown]
	v_cmp_lt_u32_e32 vcc_lo, 25, v77
	s_or_b32 s5, vcc_lo, s5
	s_waitcnt vmcnt(2) lgkmcnt(0)
	v_mul_f64 v[90:91], v[84:85], v[86:87]
	v_mul_f64 v[86:87], v[82:83], v[86:87]
	s_waitcnt vmcnt(0)
	v_fma_f64 v[82:83], v[82:83], v[88:89], -v[90:91]
	v_fma_f64 v[84:85], v[84:85], v[88:89], v[86:87]
	v_add_f64 v[3:4], v[3:4], v[82:83]
	v_add_f64 v[1:2], v[1:2], v[84:85]
	s_andn2_b32 exec_lo, exec_lo, s5
	s_cbranch_execnz .LBB98_121
; %bb.122:
	s_or_b32 exec_lo, exec_lo, s5
	v_mov_b32_e32 v77, 0
	ds_read_b128 v[77:80], v77 offset:432
	s_waitcnt lgkmcnt(0)
	v_mul_f64 v[82:83], v[1:2], v[79:80]
	v_mul_f64 v[79:80], v[3:4], v[79:80]
	v_fma_f64 v[3:4], v[3:4], v[77:78], -v[82:83]
	v_fma_f64 v[1:2], v[1:2], v[77:78], v[79:80]
	buffer_store_dword v4, off, s[0:3], 0 offset:452
	buffer_store_dword v3, off, s[0:3], 0 offset:448
	;; [unrolled: 1-line block ×4, first 2 shown]
.LBB98_123:
	s_or_b32 exec_lo, exec_lo, s4
	v_mov_b32_e32 v4, s18
	s_waitcnt_vscnt null, 0x0
	s_barrier
	buffer_gl0_inv
	s_mov_b32 s4, exec_lo
	s_clause 0x3
	buffer_load_dword v1, v4, s[0:3], 0 offen
	buffer_load_dword v2, v4, s[0:3], 0 offen offset:4
	buffer_load_dword v3, v4, s[0:3], 0 offen offset:8
	;; [unrolled: 1-line block ×3, first 2 shown]
	s_waitcnt vmcnt(0)
	ds_write_b128 v75, v[1:4]
	s_waitcnt lgkmcnt(0)
	s_barrier
	buffer_gl0_inv
	v_cmpx_gt_u32_e32 28, v0
	s_cbranch_execz .LBB98_127
; %bb.124:
	v_mov_b32_e32 v1, 0
	v_mov_b32_e32 v3, 0
	v_add_nc_u32_e32 v77, -1, v0
	v_add_nc_u32_e32 v78, 0x230, v81
	v_mov_b32_e32 v2, 0
	v_mov_b32_e32 v4, 0
	v_add_nc_u32_e32 v79, 16, v81
	s_mov_b32 s5, 0
	.p2align	6
.LBB98_125:                             ; =>This Inner Loop Header: Depth=1
	s_clause 0x3
	buffer_load_dword v86, v79, s[0:3], 0 offen offset:8
	buffer_load_dword v87, v79, s[0:3], 0 offen offset:12
	buffer_load_dword v88, v79, s[0:3], 0 offen
	buffer_load_dword v89, v79, s[0:3], 0 offen offset:4
	ds_read_b128 v[82:85], v78
	v_add_nc_u32_e32 v77, 1, v77
	v_add_nc_u32_e32 v78, 16, v78
	;; [unrolled: 1-line block ×3, first 2 shown]
	v_cmp_lt_u32_e32 vcc_lo, 26, v77
	s_or_b32 s5, vcc_lo, s5
	s_waitcnt vmcnt(2) lgkmcnt(0)
	v_mul_f64 v[90:91], v[84:85], v[86:87]
	v_mul_f64 v[86:87], v[82:83], v[86:87]
	s_waitcnt vmcnt(0)
	v_fma_f64 v[82:83], v[82:83], v[88:89], -v[90:91]
	v_fma_f64 v[84:85], v[84:85], v[88:89], v[86:87]
	v_add_f64 v[3:4], v[3:4], v[82:83]
	v_add_f64 v[1:2], v[1:2], v[84:85]
	s_andn2_b32 exec_lo, exec_lo, s5
	s_cbranch_execnz .LBB98_125
; %bb.126:
	s_or_b32 exec_lo, exec_lo, s5
	v_mov_b32_e32 v77, 0
	ds_read_b128 v[77:80], v77 offset:448
	s_waitcnt lgkmcnt(0)
	v_mul_f64 v[82:83], v[1:2], v[79:80]
	v_mul_f64 v[79:80], v[3:4], v[79:80]
	v_fma_f64 v[3:4], v[3:4], v[77:78], -v[82:83]
	v_fma_f64 v[1:2], v[1:2], v[77:78], v[79:80]
	buffer_store_dword v4, off, s[0:3], 0 offset:468
	buffer_store_dword v3, off, s[0:3], 0 offset:464
	;; [unrolled: 1-line block ×4, first 2 shown]
.LBB98_127:
	s_or_b32 exec_lo, exec_lo, s4
	v_mov_b32_e32 v4, s17
	s_waitcnt_vscnt null, 0x0
	s_barrier
	buffer_gl0_inv
	s_mov_b32 s4, exec_lo
	s_clause 0x3
	buffer_load_dword v1, v4, s[0:3], 0 offen
	buffer_load_dword v2, v4, s[0:3], 0 offen offset:4
	buffer_load_dword v3, v4, s[0:3], 0 offen offset:8
	;; [unrolled: 1-line block ×3, first 2 shown]
	s_waitcnt vmcnt(0)
	ds_write_b128 v75, v[1:4]
	s_waitcnt lgkmcnt(0)
	s_barrier
	buffer_gl0_inv
	v_cmpx_gt_u32_e32 29, v0
	s_cbranch_execz .LBB98_131
; %bb.128:
	v_mov_b32_e32 v1, 0
	v_mov_b32_e32 v3, 0
	v_add_nc_u32_e32 v77, -1, v0
	v_add_nc_u32_e32 v78, 0x230, v81
	v_mov_b32_e32 v2, 0
	v_mov_b32_e32 v4, 0
	v_add_nc_u32_e32 v79, 16, v81
	s_mov_b32 s5, 0
	.p2align	6
.LBB98_129:                             ; =>This Inner Loop Header: Depth=1
	s_clause 0x3
	buffer_load_dword v86, v79, s[0:3], 0 offen offset:8
	buffer_load_dword v87, v79, s[0:3], 0 offen offset:12
	buffer_load_dword v88, v79, s[0:3], 0 offen
	buffer_load_dword v89, v79, s[0:3], 0 offen offset:4
	ds_read_b128 v[82:85], v78
	v_add_nc_u32_e32 v77, 1, v77
	v_add_nc_u32_e32 v78, 16, v78
	;; [unrolled: 1-line block ×3, first 2 shown]
	v_cmp_lt_u32_e32 vcc_lo, 27, v77
	s_or_b32 s5, vcc_lo, s5
	s_waitcnt vmcnt(2) lgkmcnt(0)
	v_mul_f64 v[90:91], v[84:85], v[86:87]
	v_mul_f64 v[86:87], v[82:83], v[86:87]
	s_waitcnt vmcnt(0)
	v_fma_f64 v[82:83], v[82:83], v[88:89], -v[90:91]
	v_fma_f64 v[84:85], v[84:85], v[88:89], v[86:87]
	v_add_f64 v[3:4], v[3:4], v[82:83]
	v_add_f64 v[1:2], v[1:2], v[84:85]
	s_andn2_b32 exec_lo, exec_lo, s5
	s_cbranch_execnz .LBB98_129
; %bb.130:
	s_or_b32 exec_lo, exec_lo, s5
	v_mov_b32_e32 v77, 0
	ds_read_b128 v[77:80], v77 offset:464
	s_waitcnt lgkmcnt(0)
	v_mul_f64 v[82:83], v[1:2], v[79:80]
	v_mul_f64 v[79:80], v[3:4], v[79:80]
	v_fma_f64 v[3:4], v[3:4], v[77:78], -v[82:83]
	v_fma_f64 v[1:2], v[1:2], v[77:78], v[79:80]
	buffer_store_dword v4, off, s[0:3], 0 offset:484
	buffer_store_dword v3, off, s[0:3], 0 offset:480
	buffer_store_dword v2, off, s[0:3], 0 offset:492
	buffer_store_dword v1, off, s[0:3], 0 offset:488
.LBB98_131:
	s_or_b32 exec_lo, exec_lo, s4
	v_mov_b32_e32 v4, s16
	s_waitcnt_vscnt null, 0x0
	s_barrier
	buffer_gl0_inv
	s_mov_b32 s4, exec_lo
	s_clause 0x3
	buffer_load_dword v1, v4, s[0:3], 0 offen
	buffer_load_dword v2, v4, s[0:3], 0 offen offset:4
	buffer_load_dword v3, v4, s[0:3], 0 offen offset:8
	;; [unrolled: 1-line block ×3, first 2 shown]
	s_waitcnt vmcnt(0)
	ds_write_b128 v75, v[1:4]
	s_waitcnt lgkmcnt(0)
	s_barrier
	buffer_gl0_inv
	v_cmpx_gt_u32_e32 30, v0
	s_cbranch_execz .LBB98_135
; %bb.132:
	v_mov_b32_e32 v1, 0
	v_mov_b32_e32 v3, 0
	v_add_nc_u32_e32 v77, -1, v0
	v_add_nc_u32_e32 v78, 0x230, v81
	v_mov_b32_e32 v2, 0
	v_mov_b32_e32 v4, 0
	v_add_nc_u32_e32 v79, 16, v81
	s_mov_b32 s5, 0
	.p2align	6
.LBB98_133:                             ; =>This Inner Loop Header: Depth=1
	s_clause 0x3
	buffer_load_dword v86, v79, s[0:3], 0 offen offset:8
	buffer_load_dword v87, v79, s[0:3], 0 offen offset:12
	buffer_load_dword v88, v79, s[0:3], 0 offen
	buffer_load_dword v89, v79, s[0:3], 0 offen offset:4
	ds_read_b128 v[82:85], v78
	v_add_nc_u32_e32 v77, 1, v77
	v_add_nc_u32_e32 v78, 16, v78
	;; [unrolled: 1-line block ×3, first 2 shown]
	v_cmp_lt_u32_e32 vcc_lo, 28, v77
	s_or_b32 s5, vcc_lo, s5
	s_waitcnt vmcnt(2) lgkmcnt(0)
	v_mul_f64 v[90:91], v[84:85], v[86:87]
	v_mul_f64 v[86:87], v[82:83], v[86:87]
	s_waitcnt vmcnt(0)
	v_fma_f64 v[82:83], v[82:83], v[88:89], -v[90:91]
	v_fma_f64 v[84:85], v[84:85], v[88:89], v[86:87]
	v_add_f64 v[3:4], v[3:4], v[82:83]
	v_add_f64 v[1:2], v[1:2], v[84:85]
	s_andn2_b32 exec_lo, exec_lo, s5
	s_cbranch_execnz .LBB98_133
; %bb.134:
	s_or_b32 exec_lo, exec_lo, s5
	v_mov_b32_e32 v77, 0
	ds_read_b128 v[77:80], v77 offset:480
	s_waitcnt lgkmcnt(0)
	v_mul_f64 v[82:83], v[1:2], v[79:80]
	v_mul_f64 v[79:80], v[3:4], v[79:80]
	v_fma_f64 v[3:4], v[3:4], v[77:78], -v[82:83]
	v_fma_f64 v[1:2], v[1:2], v[77:78], v[79:80]
	buffer_store_dword v4, off, s[0:3], 0 offset:500
	buffer_store_dword v3, off, s[0:3], 0 offset:496
	;; [unrolled: 1-line block ×4, first 2 shown]
.LBB98_135:
	s_or_b32 exec_lo, exec_lo, s4
	v_mov_b32_e32 v4, s15
	s_waitcnt_vscnt null, 0x0
	s_barrier
	buffer_gl0_inv
	s_mov_b32 s4, exec_lo
	s_clause 0x3
	buffer_load_dword v1, v4, s[0:3], 0 offen
	buffer_load_dword v2, v4, s[0:3], 0 offen offset:4
	buffer_load_dword v3, v4, s[0:3], 0 offen offset:8
	;; [unrolled: 1-line block ×3, first 2 shown]
	s_waitcnt vmcnt(0)
	ds_write_b128 v75, v[1:4]
	s_waitcnt lgkmcnt(0)
	s_barrier
	buffer_gl0_inv
	v_cmpx_gt_u32_e32 31, v0
	s_cbranch_execz .LBB98_139
; %bb.136:
	v_mov_b32_e32 v1, 0
	v_mov_b32_e32 v3, 0
	v_add_nc_u32_e32 v77, -1, v0
	v_add_nc_u32_e32 v78, 0x230, v81
	v_mov_b32_e32 v2, 0
	v_mov_b32_e32 v4, 0
	v_add_nc_u32_e32 v79, 16, v81
	s_mov_b32 s5, 0
	.p2align	6
.LBB98_137:                             ; =>This Inner Loop Header: Depth=1
	s_clause 0x3
	buffer_load_dword v86, v79, s[0:3], 0 offen offset:8
	buffer_load_dword v87, v79, s[0:3], 0 offen offset:12
	buffer_load_dword v88, v79, s[0:3], 0 offen
	buffer_load_dword v89, v79, s[0:3], 0 offen offset:4
	ds_read_b128 v[82:85], v78
	v_add_nc_u32_e32 v77, 1, v77
	v_add_nc_u32_e32 v78, 16, v78
	;; [unrolled: 1-line block ×3, first 2 shown]
	v_cmp_lt_u32_e32 vcc_lo, 29, v77
	s_or_b32 s5, vcc_lo, s5
	s_waitcnt vmcnt(2) lgkmcnt(0)
	v_mul_f64 v[90:91], v[84:85], v[86:87]
	v_mul_f64 v[86:87], v[82:83], v[86:87]
	s_waitcnt vmcnt(0)
	v_fma_f64 v[82:83], v[82:83], v[88:89], -v[90:91]
	v_fma_f64 v[84:85], v[84:85], v[88:89], v[86:87]
	v_add_f64 v[3:4], v[3:4], v[82:83]
	v_add_f64 v[1:2], v[1:2], v[84:85]
	s_andn2_b32 exec_lo, exec_lo, s5
	s_cbranch_execnz .LBB98_137
; %bb.138:
	s_or_b32 exec_lo, exec_lo, s5
	v_mov_b32_e32 v77, 0
	ds_read_b128 v[77:80], v77 offset:496
	s_waitcnt lgkmcnt(0)
	v_mul_f64 v[82:83], v[1:2], v[79:80]
	v_mul_f64 v[79:80], v[3:4], v[79:80]
	v_fma_f64 v[3:4], v[3:4], v[77:78], -v[82:83]
	v_fma_f64 v[1:2], v[1:2], v[77:78], v[79:80]
	buffer_store_dword v4, off, s[0:3], 0 offset:516
	buffer_store_dword v3, off, s[0:3], 0 offset:512
	;; [unrolled: 1-line block ×4, first 2 shown]
.LBB98_139:
	s_or_b32 exec_lo, exec_lo, s4
	v_mov_b32_e32 v4, s14
	s_waitcnt_vscnt null, 0x0
	s_barrier
	buffer_gl0_inv
	s_mov_b32 s4, exec_lo
	s_clause 0x3
	buffer_load_dword v1, v4, s[0:3], 0 offen
	buffer_load_dword v2, v4, s[0:3], 0 offen offset:4
	buffer_load_dword v3, v4, s[0:3], 0 offen offset:8
	buffer_load_dword v4, v4, s[0:3], 0 offen offset:12
	s_waitcnt vmcnt(0)
	ds_write_b128 v75, v[1:4]
	s_waitcnt lgkmcnt(0)
	s_barrier
	buffer_gl0_inv
	v_cmpx_gt_u32_e32 32, v0
	s_cbranch_execz .LBB98_143
; %bb.140:
	v_mov_b32_e32 v1, 0
	v_mov_b32_e32 v3, 0
	v_add_nc_u32_e32 v77, -1, v0
	v_add_nc_u32_e32 v78, 0x230, v81
	v_mov_b32_e32 v2, 0
	v_mov_b32_e32 v4, 0
	v_add_nc_u32_e32 v79, 16, v81
	s_mov_b32 s5, 0
	.p2align	6
.LBB98_141:                             ; =>This Inner Loop Header: Depth=1
	s_clause 0x3
	buffer_load_dword v86, v79, s[0:3], 0 offen offset:8
	buffer_load_dword v87, v79, s[0:3], 0 offen offset:12
	buffer_load_dword v88, v79, s[0:3], 0 offen
	buffer_load_dword v89, v79, s[0:3], 0 offen offset:4
	ds_read_b128 v[82:85], v78
	v_add_nc_u32_e32 v77, 1, v77
	v_add_nc_u32_e32 v78, 16, v78
	;; [unrolled: 1-line block ×3, first 2 shown]
	v_cmp_lt_u32_e32 vcc_lo, 30, v77
	s_or_b32 s5, vcc_lo, s5
	s_waitcnt vmcnt(2) lgkmcnt(0)
	v_mul_f64 v[90:91], v[84:85], v[86:87]
	v_mul_f64 v[86:87], v[82:83], v[86:87]
	s_waitcnt vmcnt(0)
	v_fma_f64 v[82:83], v[82:83], v[88:89], -v[90:91]
	v_fma_f64 v[84:85], v[84:85], v[88:89], v[86:87]
	v_add_f64 v[3:4], v[3:4], v[82:83]
	v_add_f64 v[1:2], v[1:2], v[84:85]
	s_andn2_b32 exec_lo, exec_lo, s5
	s_cbranch_execnz .LBB98_141
; %bb.142:
	s_or_b32 exec_lo, exec_lo, s5
	v_mov_b32_e32 v77, 0
	ds_read_b128 v[77:80], v77 offset:512
	s_waitcnt lgkmcnt(0)
	v_mul_f64 v[82:83], v[1:2], v[79:80]
	v_mul_f64 v[79:80], v[3:4], v[79:80]
	v_fma_f64 v[3:4], v[3:4], v[77:78], -v[82:83]
	v_fma_f64 v[1:2], v[1:2], v[77:78], v[79:80]
	buffer_store_dword v4, off, s[0:3], 0 offset:532
	buffer_store_dword v3, off, s[0:3], 0 offset:528
	;; [unrolled: 1-line block ×4, first 2 shown]
.LBB98_143:
	s_or_b32 exec_lo, exec_lo, s4
	v_mov_b32_e32 v4, s9
	s_waitcnt_vscnt null, 0x0
	s_barrier
	buffer_gl0_inv
	s_mov_b32 s4, exec_lo
	s_clause 0x3
	buffer_load_dword v1, v4, s[0:3], 0 offen
	buffer_load_dword v2, v4, s[0:3], 0 offen offset:4
	buffer_load_dword v3, v4, s[0:3], 0 offen offset:8
	;; [unrolled: 1-line block ×3, first 2 shown]
	s_waitcnt vmcnt(0)
	ds_write_b128 v75, v[1:4]
	s_waitcnt lgkmcnt(0)
	s_barrier
	buffer_gl0_inv
	v_cmpx_gt_u32_e32 33, v0
	s_cbranch_execz .LBB98_147
; %bb.144:
	v_mov_b32_e32 v1, 0
	v_mov_b32_e32 v3, 0
	v_add_nc_u32_e32 v77, -1, v0
	v_add_nc_u32_e32 v78, 0x230, v81
	v_mov_b32_e32 v2, 0
	v_mov_b32_e32 v4, 0
	v_add_nc_u32_e32 v79, 16, v81
	s_mov_b32 s5, 0
	.p2align	6
.LBB98_145:                             ; =>This Inner Loop Header: Depth=1
	s_clause 0x3
	buffer_load_dword v86, v79, s[0:3], 0 offen offset:8
	buffer_load_dword v87, v79, s[0:3], 0 offen offset:12
	buffer_load_dword v88, v79, s[0:3], 0 offen
	buffer_load_dword v89, v79, s[0:3], 0 offen offset:4
	ds_read_b128 v[82:85], v78
	v_add_nc_u32_e32 v77, 1, v77
	v_add_nc_u32_e32 v78, 16, v78
	;; [unrolled: 1-line block ×3, first 2 shown]
	v_cmp_lt_u32_e32 vcc_lo, 31, v77
	s_or_b32 s5, vcc_lo, s5
	s_waitcnt vmcnt(2) lgkmcnt(0)
	v_mul_f64 v[90:91], v[84:85], v[86:87]
	v_mul_f64 v[86:87], v[82:83], v[86:87]
	s_waitcnt vmcnt(0)
	v_fma_f64 v[82:83], v[82:83], v[88:89], -v[90:91]
	v_fma_f64 v[84:85], v[84:85], v[88:89], v[86:87]
	v_add_f64 v[3:4], v[3:4], v[82:83]
	v_add_f64 v[1:2], v[1:2], v[84:85]
	s_andn2_b32 exec_lo, exec_lo, s5
	s_cbranch_execnz .LBB98_145
; %bb.146:
	s_or_b32 exec_lo, exec_lo, s5
	v_mov_b32_e32 v77, 0
	ds_read_b128 v[77:80], v77 offset:528
	s_waitcnt lgkmcnt(0)
	v_mul_f64 v[82:83], v[1:2], v[79:80]
	v_mul_f64 v[79:80], v[3:4], v[79:80]
	v_fma_f64 v[3:4], v[3:4], v[77:78], -v[82:83]
	v_fma_f64 v[1:2], v[1:2], v[77:78], v[79:80]
	buffer_store_dword v4, off, s[0:3], 0 offset:548
	buffer_store_dword v3, off, s[0:3], 0 offset:544
	;; [unrolled: 1-line block ×4, first 2 shown]
.LBB98_147:
	s_or_b32 exec_lo, exec_lo, s4
	v_mov_b32_e32 v4, s8
	s_waitcnt_vscnt null, 0x0
	s_barrier
	buffer_gl0_inv
	s_mov_b32 s4, exec_lo
	s_clause 0x3
	buffer_load_dword v1, v4, s[0:3], 0 offen
	buffer_load_dword v2, v4, s[0:3], 0 offen offset:4
	buffer_load_dword v3, v4, s[0:3], 0 offen offset:8
	;; [unrolled: 1-line block ×3, first 2 shown]
	s_waitcnt vmcnt(0)
	ds_write_b128 v75, v[1:4]
	s_waitcnt lgkmcnt(0)
	s_barrier
	buffer_gl0_inv
	v_cmpx_ne_u32_e32 34, v0
	s_cbranch_execz .LBB98_151
; %bb.148:
	v_mov_b32_e32 v1, 0
	v_mov_b32_e32 v3, 0
	;; [unrolled: 1-line block ×4, first 2 shown]
	v_add_nc_u32_e32 v77, 16, v81
	s_mov_b32 s5, 0
	.p2align	6
.LBB98_149:                             ; =>This Inner Loop Header: Depth=1
	s_clause 0x3
	buffer_load_dword v82, v77, s[0:3], 0 offen offset:8
	buffer_load_dword v83, v77, s[0:3], 0 offen offset:12
	buffer_load_dword v84, v77, s[0:3], 0 offen
	buffer_load_dword v85, v77, s[0:3], 0 offen offset:4
	ds_read_b128 v[78:81], v75
	v_add_nc_u32_e32 v76, 1, v76
	v_add_nc_u32_e32 v75, 16, v75
	;; [unrolled: 1-line block ×3, first 2 shown]
	v_cmp_lt_u32_e32 vcc_lo, 32, v76
	s_or_b32 s5, vcc_lo, s5
	s_waitcnt vmcnt(2) lgkmcnt(0)
	v_mul_f64 v[86:87], v[80:81], v[82:83]
	v_mul_f64 v[82:83], v[78:79], v[82:83]
	s_waitcnt vmcnt(0)
	v_fma_f64 v[78:79], v[78:79], v[84:85], -v[86:87]
	v_fma_f64 v[80:81], v[80:81], v[84:85], v[82:83]
	v_add_f64 v[3:4], v[3:4], v[78:79]
	v_add_f64 v[1:2], v[1:2], v[80:81]
	s_andn2_b32 exec_lo, exec_lo, s5
	s_cbranch_execnz .LBB98_149
; %bb.150:
	s_or_b32 exec_lo, exec_lo, s5
	v_mov_b32_e32 v75, 0
	ds_read_b128 v[75:78], v75 offset:544
	s_waitcnt lgkmcnt(0)
	v_mul_f64 v[79:80], v[1:2], v[77:78]
	v_mul_f64 v[77:78], v[3:4], v[77:78]
	v_fma_f64 v[3:4], v[3:4], v[75:76], -v[79:80]
	v_fma_f64 v[1:2], v[1:2], v[75:76], v[77:78]
	buffer_store_dword v4, off, s[0:3], 0 offset:564
	buffer_store_dword v3, off, s[0:3], 0 offset:560
	;; [unrolled: 1-line block ×4, first 2 shown]
.LBB98_151:
	s_or_b32 exec_lo, exec_lo, s4
	s_mov_b32 s5, -1
	s_waitcnt_vscnt null, 0x0
	s_barrier
	buffer_gl0_inv
.LBB98_152:
	s_and_b32 vcc_lo, exec_lo, s5
	s_cbranch_vccz .LBB98_154
; %bb.153:
	s_lshl_b64 s[4:5], s[6:7], 2
	v_mov_b32_e32 v1, 0
	s_add_u32 s4, s10, s4
	s_addc_u32 s5, s11, s5
	global_load_dword v1, v1, s[4:5]
	s_waitcnt vmcnt(0)
	v_cmp_ne_u32_e32 vcc_lo, 0, v1
	s_cbranch_vccz .LBB98_155
.LBB98_154:
	s_endpgm
.LBB98_155:
	v_lshl_add_u32 v109, v0, 4, 0x230
	s_mov_b32 s4, exec_lo
	v_cmpx_eq_u32_e32 34, v0
	s_cbranch_execz .LBB98_157
; %bb.156:
	v_mov_b32_e32 v4, s9
	v_mov_b32_e32 v75, 0
	s_clause 0x3
	buffer_load_dword v1, v4, s[0:3], 0 offen
	buffer_load_dword v2, v4, s[0:3], 0 offen offset:4
	buffer_load_dword v3, v4, s[0:3], 0 offen offset:8
	buffer_load_dword v4, v4, s[0:3], 0 offen offset:12
	buffer_store_dword v75, off, s[0:3], 0 offset:544
	buffer_store_dword v75, off, s[0:3], 0 offset:548
	;; [unrolled: 1-line block ×4, first 2 shown]
	s_waitcnt vmcnt(0)
	ds_write_b128 v109, v[1:4]
.LBB98_157:
	s_or_b32 exec_lo, exec_lo, s4
	s_waitcnt lgkmcnt(0)
	s_waitcnt_vscnt null, 0x0
	s_barrier
	buffer_gl0_inv
	s_clause 0x7
	buffer_load_dword v2, off, s[0:3], 0 offset:568
	buffer_load_dword v3, off, s[0:3], 0 offset:572
	;; [unrolled: 1-line block ×8, first 2 shown]
	v_mov_b32_e32 v1, 0
	s_mov_b32 s4, exec_lo
	ds_read_b128 v[75:78], v1 offset:1104
	s_waitcnt vmcnt(6) lgkmcnt(0)
	v_mul_f64 v[85:86], v[77:78], v[2:3]
	v_mul_f64 v[2:3], v[75:76], v[2:3]
	s_waitcnt vmcnt(4)
	v_fma_f64 v[75:76], v[75:76], v[79:80], -v[85:86]
	v_fma_f64 v[2:3], v[77:78], v[79:80], v[2:3]
	v_add_f64 v[75:76], v[75:76], 0
	v_add_f64 v[2:3], v[2:3], 0
	s_waitcnt vmcnt(2)
	v_add_f64 v[75:76], v[81:82], -v[75:76]
	s_waitcnt vmcnt(0)
	v_add_f64 v[2:3], v[83:84], -v[2:3]
	buffer_store_dword v75, off, s[0:3], 0 offset:544
	buffer_store_dword v76, off, s[0:3], 0 offset:548
	;; [unrolled: 1-line block ×4, first 2 shown]
	v_cmpx_lt_u32_e32 32, v0
	s_cbranch_execz .LBB98_159
; %bb.158:
	v_mov_b32_e32 v2, s14
	s_clause 0x3
	buffer_load_dword v75, v2, s[0:3], 0 offen
	buffer_load_dword v76, v2, s[0:3], 0 offen offset:4
	buffer_load_dword v77, v2, s[0:3], 0 offen offset:8
	;; [unrolled: 1-line block ×3, first 2 shown]
	buffer_store_dword v1, off, s[0:3], 0 offset:528
	buffer_store_dword v1, off, s[0:3], 0 offset:532
	;; [unrolled: 1-line block ×4, first 2 shown]
	s_waitcnt vmcnt(0)
	ds_write_b128 v109, v[75:78]
.LBB98_159:
	s_or_b32 exec_lo, exec_lo, s4
	s_waitcnt lgkmcnt(0)
	s_waitcnt_vscnt null, 0x0
	s_barrier
	buffer_gl0_inv
	s_clause 0xb
	buffer_load_dword v79, off, s[0:3], 0 offset:552
	buffer_load_dword v80, off, s[0:3], 0 offset:556
	;; [unrolled: 1-line block ×12, first 2 shown]
	ds_read_b128 v[75:78], v1 offset:1088
	ds_read_b128 v[1:4], v1 offset:1104
	s_mov_b32 s4, exec_lo
	s_waitcnt vmcnt(10) lgkmcnt(1)
	v_mul_f64 v[91:92], v[77:78], v[79:80]
	v_mul_f64 v[79:80], v[75:76], v[79:80]
	s_waitcnt vmcnt(8) lgkmcnt(0)
	v_mul_f64 v[93:94], v[3:4], v[81:82]
	v_mul_f64 v[81:82], v[1:2], v[81:82]
	s_waitcnt vmcnt(6)
	v_fma_f64 v[75:76], v[75:76], v[83:84], -v[91:92]
	v_fma_f64 v[77:78], v[77:78], v[83:84], v[79:80]
	s_waitcnt vmcnt(4)
	v_fma_f64 v[1:2], v[1:2], v[85:86], -v[93:94]
	v_fma_f64 v[3:4], v[3:4], v[85:86], v[81:82]
	v_add_f64 v[75:76], v[75:76], 0
	v_add_f64 v[77:78], v[77:78], 0
	;; [unrolled: 1-line block ×4, first 2 shown]
	s_waitcnt vmcnt(2)
	v_add_f64 v[1:2], v[87:88], -v[1:2]
	s_waitcnt vmcnt(0)
	v_add_f64 v[3:4], v[89:90], -v[3:4]
	buffer_store_dword v1, off, s[0:3], 0 offset:528
	buffer_store_dword v2, off, s[0:3], 0 offset:532
	;; [unrolled: 1-line block ×4, first 2 shown]
	v_cmpx_lt_u32_e32 31, v0
	s_cbranch_execz .LBB98_161
; %bb.160:
	v_mov_b32_e32 v4, s15
	v_mov_b32_e32 v75, 0
	s_clause 0x3
	buffer_load_dword v1, v4, s[0:3], 0 offen
	buffer_load_dword v2, v4, s[0:3], 0 offen offset:4
	buffer_load_dword v3, v4, s[0:3], 0 offen offset:8
	;; [unrolled: 1-line block ×3, first 2 shown]
	buffer_store_dword v75, off, s[0:3], 0 offset:512
	buffer_store_dword v75, off, s[0:3], 0 offset:516
	;; [unrolled: 1-line block ×4, first 2 shown]
	s_waitcnt vmcnt(0)
	ds_write_b128 v109, v[1:4]
.LBB98_161:
	s_or_b32 exec_lo, exec_lo, s4
	s_waitcnt lgkmcnt(0)
	s_waitcnt_vscnt null, 0x0
	s_barrier
	buffer_gl0_inv
	s_clause 0xf
	buffer_load_dword v2, off, s[0:3], 0 offset:536
	buffer_load_dword v3, off, s[0:3], 0 offset:540
	;; [unrolled: 1-line block ×16, first 2 shown]
	v_mov_b32_e32 v1, 0
	ds_read_b128 v[75:78], v1 offset:1072
	ds_read_b128 v[79:82], v1 offset:1088
	ds_read_b128 v[83:86], v1 offset:1104
	s_mov_b32 s4, exec_lo
	s_waitcnt vmcnt(14) lgkmcnt(2)
	v_mul_f64 v[101:102], v[77:78], v[2:3]
	v_mul_f64 v[2:3], v[75:76], v[2:3]
	s_waitcnt vmcnt(12) lgkmcnt(1)
	v_mul_f64 v[103:104], v[81:82], v[87:88]
	v_mul_f64 v[87:88], v[79:80], v[87:88]
	s_waitcnt vmcnt(10)
	v_fma_f64 v[75:76], v[75:76], v[89:90], -v[101:102]
	v_fma_f64 v[2:3], v[77:78], v[89:90], v[2:3]
	s_waitcnt vmcnt(8) lgkmcnt(0)
	v_mul_f64 v[89:90], v[85:86], v[91:92]
	s_waitcnt vmcnt(6)
	v_fma_f64 v[79:80], v[79:80], v[93:94], -v[103:104]
	v_mul_f64 v[77:78], v[83:84], v[91:92]
	v_fma_f64 v[81:82], v[81:82], v[93:94], v[87:88]
	v_add_f64 v[75:76], v[75:76], 0
	v_add_f64 v[2:3], v[2:3], 0
	s_waitcnt vmcnt(4)
	v_fma_f64 v[83:84], v[83:84], v[95:96], -v[89:90]
	v_fma_f64 v[77:78], v[85:86], v[95:96], v[77:78]
	v_add_f64 v[75:76], v[75:76], v[79:80]
	v_add_f64 v[2:3], v[2:3], v[81:82]
	v_add_f64 v[75:76], v[75:76], v[83:84]
	v_add_f64 v[2:3], v[2:3], v[77:78]
	s_waitcnt vmcnt(2)
	v_add_f64 v[75:76], v[97:98], -v[75:76]
	s_waitcnt vmcnt(0)
	v_add_f64 v[2:3], v[99:100], -v[2:3]
	buffer_store_dword v75, off, s[0:3], 0 offset:512
	buffer_store_dword v76, off, s[0:3], 0 offset:516
	;; [unrolled: 1-line block ×4, first 2 shown]
	v_cmpx_lt_u32_e32 30, v0
	s_cbranch_execz .LBB98_163
; %bb.162:
	v_mov_b32_e32 v2, s16
	s_clause 0x3
	buffer_load_dword v75, v2, s[0:3], 0 offen
	buffer_load_dword v76, v2, s[0:3], 0 offen offset:4
	buffer_load_dword v77, v2, s[0:3], 0 offen offset:8
	;; [unrolled: 1-line block ×3, first 2 shown]
	buffer_store_dword v1, off, s[0:3], 0 offset:496
	buffer_store_dword v1, off, s[0:3], 0 offset:500
	;; [unrolled: 1-line block ×4, first 2 shown]
	s_waitcnt vmcnt(0)
	ds_write_b128 v109, v[75:78]
.LBB98_163:
	s_or_b32 exec_lo, exec_lo, s4
	s_waitcnt lgkmcnt(0)
	s_waitcnt_vscnt null, 0x0
	s_barrier
	buffer_gl0_inv
	s_clause 0x13
	buffer_load_dword v2, off, s[0:3], 0 offset:520
	buffer_load_dword v3, off, s[0:3], 0 offset:524
	;; [unrolled: 1-line block ×20, first 2 shown]
	ds_read_b128 v[75:78], v1 offset:1056
	ds_read_b128 v[79:82], v1 offset:1072
	;; [unrolled: 1-line block ×3, first 2 shown]
	s_mov_b32 s4, exec_lo
	s_waitcnt vmcnt(18) lgkmcnt(2)
	v_mul_f64 v[105:106], v[77:78], v[2:3]
	v_mul_f64 v[2:3], v[75:76], v[2:3]
	s_waitcnt vmcnt(16) lgkmcnt(1)
	v_mul_f64 v[107:108], v[81:82], v[87:88]
	v_mul_f64 v[87:88], v[79:80], v[87:88]
	s_waitcnt vmcnt(14)
	v_fma_f64 v[75:76], v[75:76], v[89:90], -v[105:106]
	v_fma_f64 v[77:78], v[77:78], v[89:90], v[2:3]
	s_waitcnt vmcnt(12) lgkmcnt(0)
	v_mul_f64 v[89:90], v[83:84], v[91:92]
	v_mul_f64 v[91:92], v[85:86], v[91:92]
	s_waitcnt vmcnt(10)
	v_fma_f64 v[79:80], v[79:80], v[93:94], -v[107:108]
	ds_read_b128 v[1:4], v1 offset:1104
	v_fma_f64 v[81:82], v[81:82], v[93:94], v[87:88]
	v_add_f64 v[75:76], v[75:76], 0
	v_add_f64 v[77:78], v[77:78], 0
	s_waitcnt vmcnt(8) lgkmcnt(0)
	v_mul_f64 v[93:94], v[3:4], v[95:96]
	s_waitcnt vmcnt(6)
	v_fma_f64 v[83:84], v[83:84], v[97:98], -v[91:92]
	v_mul_f64 v[87:88], v[1:2], v[95:96]
	v_add_f64 v[75:76], v[75:76], v[79:80]
	v_fma_f64 v[79:80], v[85:86], v[97:98], v[89:90]
	v_add_f64 v[77:78], v[77:78], v[81:82]
	s_waitcnt vmcnt(4)
	v_fma_f64 v[1:2], v[1:2], v[99:100], -v[93:94]
	v_fma_f64 v[3:4], v[3:4], v[99:100], v[87:88]
	v_add_f64 v[75:76], v[75:76], v[83:84]
	v_add_f64 v[77:78], v[77:78], v[79:80]
	;; [unrolled: 1-line block ×4, first 2 shown]
	s_waitcnt vmcnt(2)
	v_add_f64 v[1:2], v[101:102], -v[1:2]
	s_waitcnt vmcnt(0)
	v_add_f64 v[3:4], v[103:104], -v[3:4]
	buffer_store_dword v1, off, s[0:3], 0 offset:496
	buffer_store_dword v2, off, s[0:3], 0 offset:500
	;; [unrolled: 1-line block ×4, first 2 shown]
	v_cmpx_lt_u32_e32 29, v0
	s_cbranch_execz .LBB98_165
; %bb.164:
	v_mov_b32_e32 v4, s17
	v_mov_b32_e32 v75, 0
	s_clause 0x3
	buffer_load_dword v1, v4, s[0:3], 0 offen
	buffer_load_dword v2, v4, s[0:3], 0 offen offset:4
	buffer_load_dword v3, v4, s[0:3], 0 offen offset:8
	buffer_load_dword v4, v4, s[0:3], 0 offen offset:12
	buffer_store_dword v75, off, s[0:3], 0 offset:480
	buffer_store_dword v75, off, s[0:3], 0 offset:484
	;; [unrolled: 1-line block ×4, first 2 shown]
	s_waitcnt vmcnt(0)
	ds_write_b128 v109, v[1:4]
.LBB98_165:
	s_or_b32 exec_lo, exec_lo, s4
	s_waitcnt lgkmcnt(0)
	s_waitcnt_vscnt null, 0x0
	s_barrier
	buffer_gl0_inv
	s_clause 0x17
	buffer_load_dword v2, off, s[0:3], 0 offset:504
	buffer_load_dword v3, off, s[0:3], 0 offset:508
	;; [unrolled: 1-line block ×24, first 2 shown]
	v_mov_b32_e32 v1, 0
	ds_read_b128 v[75:78], v1 offset:1040
	ds_read_b128 v[79:82], v1 offset:1056
	;; [unrolled: 1-line block ×3, first 2 shown]
	s_mov_b32 s4, exec_lo
	s_waitcnt vmcnt(22) lgkmcnt(2)
	v_mul_f64 v[110:111], v[77:78], v[2:3]
	v_mul_f64 v[2:3], v[75:76], v[2:3]
	s_waitcnt vmcnt(20) lgkmcnt(1)
	v_mul_f64 v[112:113], v[81:82], v[87:88]
	v_mul_f64 v[87:88], v[79:80], v[87:88]
	s_waitcnt vmcnt(18)
	v_fma_f64 v[110:111], v[75:76], v[89:90], -v[110:111]
	v_fma_f64 v[2:3], v[77:78], v[89:90], v[2:3]
	ds_read_b128 v[75:78], v1 offset:1088
	s_waitcnt vmcnt(16) lgkmcnt(1)
	v_mul_f64 v[89:90], v[83:84], v[91:92]
	v_mul_f64 v[91:92], v[85:86], v[91:92]
	s_waitcnt vmcnt(14)
	v_fma_f64 v[112:113], v[79:80], v[93:94], -v[112:113]
	v_fma_f64 v[87:88], v[81:82], v[93:94], v[87:88]
	ds_read_b128 v[79:82], v1 offset:1104
	s_waitcnt vmcnt(10) lgkmcnt(1)
	v_mul_f64 v[93:94], v[75:76], v[95:96]
	v_add_f64 v[110:111], v[110:111], 0
	v_add_f64 v[2:3], v[2:3], 0
	v_mul_f64 v[95:96], v[77:78], v[95:96]
	s_waitcnt vmcnt(8)
	v_fma_f64 v[83:84], v[83:84], v[101:102], -v[91:92]
	v_fma_f64 v[85:86], v[85:86], v[101:102], v[89:90]
	s_waitcnt vmcnt(7) lgkmcnt(0)
	v_mul_f64 v[89:90], v[81:82], v[97:98]
	s_waitcnt vmcnt(5)
	v_fma_f64 v[77:78], v[77:78], v[103:104], v[93:94]
	v_add_f64 v[91:92], v[110:111], v[112:113]
	v_add_f64 v[2:3], v[2:3], v[87:88]
	v_fma_f64 v[75:76], v[75:76], v[103:104], -v[95:96]
	v_mul_f64 v[87:88], v[79:80], v[97:98]
	s_waitcnt vmcnt(4)
	v_fma_f64 v[79:80], v[79:80], v[99:100], -v[89:90]
	v_add_f64 v[83:84], v[91:92], v[83:84]
	v_add_f64 v[2:3], v[2:3], v[85:86]
	v_fma_f64 v[81:82], v[81:82], v[99:100], v[87:88]
	v_add_f64 v[75:76], v[83:84], v[75:76]
	v_add_f64 v[2:3], v[2:3], v[77:78]
	;; [unrolled: 1-line block ×4, first 2 shown]
	s_waitcnt vmcnt(2)
	v_add_f64 v[75:76], v[105:106], -v[75:76]
	s_waitcnt vmcnt(0)
	v_add_f64 v[2:3], v[107:108], -v[2:3]
	buffer_store_dword v76, off, s[0:3], 0 offset:484
	buffer_store_dword v75, off, s[0:3], 0 offset:480
	buffer_store_dword v3, off, s[0:3], 0 offset:492
	buffer_store_dword v2, off, s[0:3], 0 offset:488
	v_cmpx_lt_u32_e32 28, v0
	s_cbranch_execz .LBB98_167
; %bb.166:
	v_mov_b32_e32 v2, s18
	s_clause 0x3
	buffer_load_dword v75, v2, s[0:3], 0 offen
	buffer_load_dword v76, v2, s[0:3], 0 offen offset:4
	buffer_load_dword v77, v2, s[0:3], 0 offen offset:8
	;; [unrolled: 1-line block ×3, first 2 shown]
	buffer_store_dword v1, off, s[0:3], 0 offset:464
	buffer_store_dword v1, off, s[0:3], 0 offset:468
	;; [unrolled: 1-line block ×4, first 2 shown]
	s_waitcnt vmcnt(0)
	ds_write_b128 v109, v[75:78]
.LBB98_167:
	s_or_b32 exec_lo, exec_lo, s4
	s_waitcnt lgkmcnt(0)
	s_waitcnt_vscnt null, 0x0
	s_barrier
	buffer_gl0_inv
	s_clause 0x1b
	buffer_load_dword v2, off, s[0:3], 0 offset:488
	buffer_load_dword v3, off, s[0:3], 0 offset:492
	buffer_load_dword v87, off, s[0:3], 0 offset:504
	buffer_load_dword v88, off, s[0:3], 0 offset:508
	buffer_load_dword v89, off, s[0:3], 0 offset:480
	buffer_load_dword v90, off, s[0:3], 0 offset:484
	buffer_load_dword v91, off, s[0:3], 0 offset:520
	buffer_load_dword v92, off, s[0:3], 0 offset:524
	buffer_load_dword v93, off, s[0:3], 0 offset:496
	buffer_load_dword v94, off, s[0:3], 0 offset:500
	buffer_load_dword v96, off, s[0:3], 0 offset:540
	buffer_load_dword v97, off, s[0:3], 0 offset:552
	buffer_load_dword v99, off, s[0:3], 0 offset:544
	buffer_load_dword v95, off, s[0:3], 0 offset:536
	buffer_load_dword v101, off, s[0:3], 0 offset:512
	buffer_load_dword v102, off, s[0:3], 0 offset:516
	buffer_load_dword v98, off, s[0:3], 0 offset:556
	buffer_load_dword v104, off, s[0:3], 0 offset:532
	buffer_load_dword v103, off, s[0:3], 0 offset:528
	buffer_load_dword v106, off, s[0:3], 0 offset:572
	buffer_load_dword v105, off, s[0:3], 0 offset:568
	buffer_load_dword v100, off, s[0:3], 0 offset:548
	buffer_load_dword v108, off, s[0:3], 0 offset:564
	buffer_load_dword v107, off, s[0:3], 0 offset:560
	buffer_load_dword v110, off, s[0:3], 0 offset:464
	buffer_load_dword v111, off, s[0:3], 0 offset:468
	buffer_load_dword v112, off, s[0:3], 0 offset:472
	buffer_load_dword v113, off, s[0:3], 0 offset:476
	ds_read_b128 v[75:78], v1 offset:1024
	ds_read_b128 v[79:82], v1 offset:1040
	;; [unrolled: 1-line block ×3, first 2 shown]
	s_mov_b32 s4, exec_lo
	s_waitcnt vmcnt(26) lgkmcnt(2)
	v_mul_f64 v[114:115], v[77:78], v[2:3]
	v_mul_f64 v[2:3], v[75:76], v[2:3]
	s_waitcnt vmcnt(24) lgkmcnt(1)
	v_mul_f64 v[116:117], v[81:82], v[87:88]
	v_mul_f64 v[87:88], v[79:80], v[87:88]
	s_waitcnt vmcnt(22)
	v_fma_f64 v[114:115], v[75:76], v[89:90], -v[114:115]
	v_fma_f64 v[2:3], v[77:78], v[89:90], v[2:3]
	ds_read_b128 v[75:78], v1 offset:1072
	s_waitcnt vmcnt(20) lgkmcnt(1)
	v_mul_f64 v[89:90], v[83:84], v[91:92]
	v_mul_f64 v[91:92], v[85:86], v[91:92]
	s_waitcnt vmcnt(18)
	v_fma_f64 v[116:117], v[79:80], v[93:94], -v[116:117]
	v_fma_f64 v[87:88], v[81:82], v[93:94], v[87:88]
	ds_read_b128 v[79:82], v1 offset:1088
	s_waitcnt vmcnt(14) lgkmcnt(1)
	v_mul_f64 v[93:94], v[75:76], v[95:96]
	v_add_f64 v[114:115], v[114:115], 0
	v_add_f64 v[2:3], v[2:3], 0
	v_mul_f64 v[95:96], v[77:78], v[95:96]
	s_waitcnt vmcnt(12)
	v_fma_f64 v[83:84], v[83:84], v[101:102], -v[91:92]
	v_fma_f64 v[85:86], v[85:86], v[101:102], v[89:90]
	s_waitcnt vmcnt(11) lgkmcnt(0)
	v_mul_f64 v[89:90], v[79:80], v[97:98]
	v_mul_f64 v[97:98], v[81:82], v[97:98]
	s_waitcnt vmcnt(9)
	v_fma_f64 v[77:78], v[77:78], v[103:104], v[93:94]
	v_add_f64 v[91:92], v[114:115], v[116:117]
	v_add_f64 v[87:88], v[2:3], v[87:88]
	v_fma_f64 v[75:76], v[75:76], v[103:104], -v[95:96]
	ds_read_b128 v[1:4], v1 offset:1104
	s_waitcnt vmcnt(6)
	v_fma_f64 v[81:82], v[81:82], v[99:100], v[89:90]
	v_fma_f64 v[79:80], v[79:80], v[99:100], -v[97:98]
	v_add_f64 v[83:84], v[91:92], v[83:84]
	v_add_f64 v[85:86], v[87:88], v[85:86]
	s_waitcnt lgkmcnt(0)
	v_mul_f64 v[91:92], v[3:4], v[105:106]
	v_mul_f64 v[87:88], v[1:2], v[105:106]
	v_add_f64 v[75:76], v[83:84], v[75:76]
	v_add_f64 v[77:78], v[85:86], v[77:78]
	s_waitcnt vmcnt(4)
	v_fma_f64 v[1:2], v[1:2], v[107:108], -v[91:92]
	v_fma_f64 v[3:4], v[3:4], v[107:108], v[87:88]
	v_add_f64 v[75:76], v[75:76], v[79:80]
	v_add_f64 v[77:78], v[77:78], v[81:82]
	;; [unrolled: 1-line block ×4, first 2 shown]
	s_waitcnt vmcnt(2)
	v_add_f64 v[1:2], v[110:111], -v[1:2]
	s_waitcnt vmcnt(0)
	v_add_f64 v[3:4], v[112:113], -v[3:4]
	buffer_store_dword v2, off, s[0:3], 0 offset:468
	buffer_store_dword v1, off, s[0:3], 0 offset:464
	;; [unrolled: 1-line block ×4, first 2 shown]
	v_cmpx_lt_u32_e32 27, v0
	s_cbranch_execz .LBB98_169
; %bb.168:
	v_mov_b32_e32 v4, s19
	v_mov_b32_e32 v75, 0
	s_clause 0x3
	buffer_load_dword v1, v4, s[0:3], 0 offen
	buffer_load_dword v2, v4, s[0:3], 0 offen offset:4
	buffer_load_dword v3, v4, s[0:3], 0 offen offset:8
	buffer_load_dword v4, v4, s[0:3], 0 offen offset:12
	buffer_store_dword v75, off, s[0:3], 0 offset:448
	buffer_store_dword v75, off, s[0:3], 0 offset:452
	;; [unrolled: 1-line block ×4, first 2 shown]
	s_waitcnt vmcnt(0)
	ds_write_b128 v109, v[1:4]
.LBB98_169:
	s_or_b32 exec_lo, exec_lo, s4
	s_waitcnt lgkmcnt(0)
	s_waitcnt_vscnt null, 0x0
	s_barrier
	buffer_gl0_inv
	s_clause 0x1f
	buffer_load_dword v2, off, s[0:3], 0 offset:472
	buffer_load_dword v3, off, s[0:3], 0 offset:476
	;; [unrolled: 1-line block ×32, first 2 shown]
	v_mov_b32_e32 v1, 0
	ds_read_b128 v[75:78], v1 offset:1008
	ds_read_b128 v[79:82], v1 offset:1024
	;; [unrolled: 1-line block ×3, first 2 shown]
	s_mov_b32 s4, exec_lo
	s_waitcnt vmcnt(30) lgkmcnt(2)
	v_mul_f64 v[118:119], v[77:78], v[2:3]
	v_mul_f64 v[2:3], v[75:76], v[2:3]
	s_waitcnt vmcnt(28) lgkmcnt(1)
	v_mul_f64 v[120:121], v[81:82], v[87:88]
	v_mul_f64 v[87:88], v[79:80], v[87:88]
	s_waitcnt vmcnt(26)
	v_fma_f64 v[118:119], v[75:76], v[89:90], -v[118:119]
	v_fma_f64 v[2:3], v[77:78], v[89:90], v[2:3]
	ds_read_b128 v[75:78], v1 offset:1056
	s_waitcnt vmcnt(24) lgkmcnt(1)
	v_mul_f64 v[89:90], v[83:84], v[91:92]
	v_mul_f64 v[91:92], v[85:86], v[91:92]
	s_waitcnt vmcnt(22)
	v_fma_f64 v[120:121], v[79:80], v[93:94], -v[120:121]
	v_fma_f64 v[87:88], v[81:82], v[93:94], v[87:88]
	ds_read_b128 v[79:82], v1 offset:1072
	s_waitcnt vmcnt(18) lgkmcnt(1)
	v_mul_f64 v[93:94], v[75:76], v[95:96]
	v_add_f64 v[118:119], v[118:119], 0
	v_add_f64 v[2:3], v[2:3], 0
	v_mul_f64 v[95:96], v[77:78], v[95:96]
	s_waitcnt vmcnt(16)
	v_fma_f64 v[91:92], v[83:84], v[101:102], -v[91:92]
	v_fma_f64 v[89:90], v[85:86], v[101:102], v[89:90]
	ds_read_b128 v[83:86], v1 offset:1088
	s_waitcnt vmcnt(13)
	v_fma_f64 v[93:94], v[77:78], v[103:104], v[93:94]
	v_add_f64 v[118:119], v[118:119], v[120:121]
	v_add_f64 v[2:3], v[2:3], v[87:88]
	s_waitcnt lgkmcnt(1)
	v_mul_f64 v[87:88], v[79:80], v[97:98]
	v_mul_f64 v[97:98], v[81:82], v[97:98]
	v_fma_f64 v[95:96], v[75:76], v[103:104], -v[95:96]
	s_waitcnt vmcnt(9) lgkmcnt(0)
	v_mul_f64 v[101:102], v[85:86], v[105:106]
	ds_read_b128 v[75:78], v1 offset:1104
	v_add_f64 v[91:92], v[118:119], v[91:92]
	v_add_f64 v[2:3], v[2:3], v[89:90]
	v_mul_f64 v[89:90], v[83:84], v[105:106]
	s_waitcnt vmcnt(8)
	v_fma_f64 v[79:80], v[79:80], v[99:100], -v[97:98]
	v_fma_f64 v[81:82], v[81:82], v[99:100], v[87:88]
	s_waitcnt vmcnt(5)
	v_fma_f64 v[83:84], v[83:84], v[112:113], -v[101:102]
	s_waitcnt lgkmcnt(0)
	v_mul_f64 v[87:88], v[75:76], v[107:108]
	v_add_f64 v[91:92], v[91:92], v[95:96]
	v_add_f64 v[2:3], v[2:3], v[93:94]
	v_mul_f64 v[93:94], v[77:78], v[107:108]
	v_fma_f64 v[85:86], v[85:86], v[112:113], v[89:90]
	s_waitcnt vmcnt(4)
	v_fma_f64 v[77:78], v[77:78], v[110:111], v[87:88]
	v_add_f64 v[79:80], v[91:92], v[79:80]
	v_add_f64 v[2:3], v[2:3], v[81:82]
	v_fma_f64 v[75:76], v[75:76], v[110:111], -v[93:94]
	v_add_f64 v[79:80], v[79:80], v[83:84]
	v_add_f64 v[2:3], v[2:3], v[85:86]
	;; [unrolled: 1-line block ×4, first 2 shown]
	s_waitcnt vmcnt(2)
	v_add_f64 v[75:76], v[114:115], -v[75:76]
	s_waitcnt vmcnt(0)
	v_add_f64 v[2:3], v[116:117], -v[2:3]
	buffer_store_dword v76, off, s[0:3], 0 offset:452
	buffer_store_dword v75, off, s[0:3], 0 offset:448
	;; [unrolled: 1-line block ×4, first 2 shown]
	v_cmpx_lt_u32_e32 26, v0
	s_cbranch_execz .LBB98_171
; %bb.170:
	v_mov_b32_e32 v2, s20
	s_clause 0x3
	buffer_load_dword v75, v2, s[0:3], 0 offen
	buffer_load_dword v76, v2, s[0:3], 0 offen offset:4
	buffer_load_dword v77, v2, s[0:3], 0 offen offset:8
	;; [unrolled: 1-line block ×3, first 2 shown]
	buffer_store_dword v1, off, s[0:3], 0 offset:432
	buffer_store_dword v1, off, s[0:3], 0 offset:436
	buffer_store_dword v1, off, s[0:3], 0 offset:440
	buffer_store_dword v1, off, s[0:3], 0 offset:444
	s_waitcnt vmcnt(0)
	ds_write_b128 v109, v[75:78]
.LBB98_171:
	s_or_b32 exec_lo, exec_lo, s4
	s_waitcnt lgkmcnt(0)
	s_waitcnt_vscnt null, 0x0
	s_barrier
	buffer_gl0_inv
	s_clause 0x23
	buffer_load_dword v2, off, s[0:3], 0 offset:456
	buffer_load_dword v3, off, s[0:3], 0 offset:460
	;; [unrolled: 1-line block ×36, first 2 shown]
	ds_read_b128 v[75:78], v1 offset:992
	ds_read_b128 v[79:82], v1 offset:1008
	;; [unrolled: 1-line block ×3, first 2 shown]
	s_mov_b32 s4, exec_lo
	s_waitcnt vmcnt(34) lgkmcnt(2)
	v_mul_f64 v[122:123], v[77:78], v[2:3]
	v_mul_f64 v[2:3], v[75:76], v[2:3]
	s_waitcnt vmcnt(32) lgkmcnt(1)
	v_mul_f64 v[124:125], v[81:82], v[87:88]
	v_mul_f64 v[87:88], v[79:80], v[87:88]
	s_waitcnt vmcnt(30)
	v_fma_f64 v[122:123], v[75:76], v[89:90], -v[122:123]
	v_fma_f64 v[2:3], v[77:78], v[89:90], v[2:3]
	ds_read_b128 v[75:78], v1 offset:1040
	s_waitcnt vmcnt(28) lgkmcnt(1)
	v_mul_f64 v[89:90], v[83:84], v[91:92]
	v_mul_f64 v[91:92], v[85:86], v[91:92]
	s_waitcnt vmcnt(26)
	v_fma_f64 v[124:125], v[79:80], v[93:94], -v[124:125]
	v_fma_f64 v[87:88], v[81:82], v[93:94], v[87:88]
	ds_read_b128 v[79:82], v1 offset:1056
	s_waitcnt vmcnt(22) lgkmcnt(1)
	v_mul_f64 v[93:94], v[75:76], v[95:96]
	v_add_f64 v[122:123], v[122:123], 0
	v_add_f64 v[2:3], v[2:3], 0
	v_mul_f64 v[95:96], v[77:78], v[95:96]
	s_waitcnt vmcnt(20)
	v_fma_f64 v[91:92], v[83:84], v[101:102], -v[91:92]
	v_fma_f64 v[89:90], v[85:86], v[101:102], v[89:90]
	ds_read_b128 v[83:86], v1 offset:1072
	s_waitcnt vmcnt(17)
	v_fma_f64 v[93:94], v[77:78], v[103:104], v[93:94]
	v_add_f64 v[122:123], v[122:123], v[124:125]
	v_add_f64 v[2:3], v[2:3], v[87:88]
	s_waitcnt lgkmcnt(1)
	v_mul_f64 v[87:88], v[79:80], v[97:98]
	v_mul_f64 v[97:98], v[81:82], v[97:98]
	v_fma_f64 v[95:96], v[75:76], v[103:104], -v[95:96]
	s_waitcnt vmcnt(13) lgkmcnt(0)
	v_mul_f64 v[101:102], v[85:86], v[105:106]
	ds_read_b128 v[75:78], v1 offset:1088
	v_add_f64 v[91:92], v[122:123], v[91:92]
	v_add_f64 v[2:3], v[2:3], v[89:90]
	v_mul_f64 v[89:90], v[83:84], v[105:106]
	s_waitcnt vmcnt(12)
	v_fma_f64 v[79:80], v[79:80], v[99:100], -v[97:98]
	v_fma_f64 v[81:82], v[81:82], v[99:100], v[87:88]
	s_waitcnt vmcnt(9)
	v_fma_f64 v[83:84], v[83:84], v[112:113], -v[101:102]
	v_add_f64 v[91:92], v[91:92], v[95:96]
	v_add_f64 v[87:88], v[2:3], v[93:94]
	s_waitcnt lgkmcnt(0)
	v_mul_f64 v[95:96], v[77:78], v[107:108]
	ds_read_b128 v[1:4], v1 offset:1104
	v_mul_f64 v[93:94], v[75:76], v[107:108]
	v_fma_f64 v[85:86], v[85:86], v[112:113], v[89:90]
	v_add_f64 v[79:80], v[91:92], v[79:80]
	v_add_f64 v[81:82], v[87:88], v[81:82]
	s_waitcnt vmcnt(7) lgkmcnt(0)
	v_mul_f64 v[89:90], v[3:4], v[114:115]
	s_waitcnt vmcnt(6)
	v_fma_f64 v[75:76], v[75:76], v[110:111], -v[95:96]
	v_mul_f64 v[87:88], v[1:2], v[114:115]
	v_fma_f64 v[77:78], v[77:78], v[110:111], v[93:94]
	v_add_f64 v[79:80], v[79:80], v[83:84]
	v_add_f64 v[81:82], v[81:82], v[85:86]
	s_waitcnt vmcnt(4)
	v_fma_f64 v[1:2], v[1:2], v[116:117], -v[89:90]
	v_fma_f64 v[3:4], v[3:4], v[116:117], v[87:88]
	v_add_f64 v[75:76], v[79:80], v[75:76]
	v_add_f64 v[77:78], v[81:82], v[77:78]
	;; [unrolled: 1-line block ×4, first 2 shown]
	s_waitcnt vmcnt(2)
	v_add_f64 v[1:2], v[118:119], -v[1:2]
	s_waitcnt vmcnt(0)
	v_add_f64 v[3:4], v[120:121], -v[3:4]
	buffer_store_dword v2, off, s[0:3], 0 offset:436
	buffer_store_dword v1, off, s[0:3], 0 offset:432
	buffer_store_dword v4, off, s[0:3], 0 offset:444
	buffer_store_dword v3, off, s[0:3], 0 offset:440
	v_cmpx_lt_u32_e32 25, v0
	s_cbranch_execz .LBB98_173
; %bb.172:
	v_mov_b32_e32 v4, s21
	v_mov_b32_e32 v75, 0
	s_clause 0x3
	buffer_load_dword v1, v4, s[0:3], 0 offen
	buffer_load_dword v2, v4, s[0:3], 0 offen offset:4
	buffer_load_dword v3, v4, s[0:3], 0 offen offset:8
	;; [unrolled: 1-line block ×3, first 2 shown]
	buffer_store_dword v75, off, s[0:3], 0 offset:416
	buffer_store_dword v75, off, s[0:3], 0 offset:420
	;; [unrolled: 1-line block ×4, first 2 shown]
	s_waitcnt vmcnt(0)
	ds_write_b128 v109, v[1:4]
.LBB98_173:
	s_or_b32 exec_lo, exec_lo, s4
	s_waitcnt lgkmcnt(0)
	s_waitcnt_vscnt null, 0x0
	s_barrier
	buffer_gl0_inv
	s_clause 0x27
	buffer_load_dword v2, off, s[0:3], 0 offset:440
	buffer_load_dword v3, off, s[0:3], 0 offset:444
	;; [unrolled: 1-line block ×40, first 2 shown]
	v_mov_b32_e32 v1, 0
	ds_read_b128 v[75:78], v1 offset:976
	ds_read_b128 v[79:82], v1 offset:992
	;; [unrolled: 1-line block ×3, first 2 shown]
	s_mov_b32 s4, exec_lo
	s_waitcnt vmcnt(38) lgkmcnt(2)
	v_mul_f64 v[126:127], v[77:78], v[2:3]
	v_mul_f64 v[2:3], v[75:76], v[2:3]
	s_waitcnt vmcnt(36) lgkmcnt(1)
	v_mul_f64 v[128:129], v[81:82], v[87:88]
	v_mul_f64 v[87:88], v[79:80], v[87:88]
	s_waitcnt vmcnt(34)
	v_fma_f64 v[126:127], v[75:76], v[89:90], -v[126:127]
	v_fma_f64 v[2:3], v[77:78], v[89:90], v[2:3]
	ds_read_b128 v[75:78], v1 offset:1024
	s_waitcnt vmcnt(32) lgkmcnt(1)
	v_mul_f64 v[89:90], v[83:84], v[91:92]
	v_mul_f64 v[91:92], v[85:86], v[91:92]
	s_waitcnt vmcnt(30)
	v_fma_f64 v[128:129], v[79:80], v[93:94], -v[128:129]
	v_fma_f64 v[87:88], v[81:82], v[93:94], v[87:88]
	ds_read_b128 v[79:82], v1 offset:1040
	s_waitcnt vmcnt(26) lgkmcnt(1)
	v_mul_f64 v[93:94], v[75:76], v[95:96]
	v_add_f64 v[126:127], v[126:127], 0
	v_add_f64 v[2:3], v[2:3], 0
	v_mul_f64 v[95:96], v[77:78], v[95:96]
	s_waitcnt vmcnt(24)
	v_fma_f64 v[91:92], v[83:84], v[101:102], -v[91:92]
	v_fma_f64 v[89:90], v[85:86], v[101:102], v[89:90]
	ds_read_b128 v[83:86], v1 offset:1056
	s_waitcnt vmcnt(21)
	v_fma_f64 v[93:94], v[77:78], v[103:104], v[93:94]
	v_add_f64 v[126:127], v[126:127], v[128:129]
	v_add_f64 v[2:3], v[2:3], v[87:88]
	s_waitcnt lgkmcnt(1)
	v_mul_f64 v[87:88], v[79:80], v[97:98]
	v_mul_f64 v[97:98], v[81:82], v[97:98]
	v_fma_f64 v[95:96], v[75:76], v[103:104], -v[95:96]
	s_waitcnt vmcnt(17) lgkmcnt(0)
	v_mul_f64 v[101:102], v[85:86], v[105:106]
	ds_read_b128 v[75:78], v1 offset:1072
	v_add_f64 v[91:92], v[126:127], v[91:92]
	v_add_f64 v[2:3], v[2:3], v[89:90]
	v_mul_f64 v[89:90], v[83:84], v[105:106]
	s_waitcnt vmcnt(16)
	v_fma_f64 v[97:98], v[79:80], v[99:100], -v[97:98]
	v_fma_f64 v[87:88], v[81:82], v[99:100], v[87:88]
	ds_read_b128 v[79:82], v1 offset:1088
	s_waitcnt vmcnt(13)
	v_fma_f64 v[99:100], v[83:84], v[112:113], -v[101:102]
	v_add_f64 v[91:92], v[91:92], v[95:96]
	v_add_f64 v[2:3], v[2:3], v[93:94]
	s_waitcnt lgkmcnt(1)
	v_mul_f64 v[95:96], v[77:78], v[107:108]
	v_mul_f64 v[93:94], v[75:76], v[107:108]
	v_fma_f64 v[89:90], v[85:86], v[112:113], v[89:90]
	ds_read_b128 v[83:86], v1 offset:1104
	v_add_f64 v[91:92], v[91:92], v[97:98]
	v_add_f64 v[2:3], v[2:3], v[87:88]
	s_waitcnt vmcnt(9) lgkmcnt(1)
	v_mul_f64 v[97:98], v[81:82], v[114:115]
	s_waitcnt vmcnt(8)
	v_fma_f64 v[75:76], v[75:76], v[110:111], -v[95:96]
	v_mul_f64 v[87:88], v[79:80], v[114:115]
	v_fma_f64 v[77:78], v[77:78], v[110:111], v[93:94]
	s_waitcnt vmcnt(7) lgkmcnt(0)
	v_mul_f64 v[93:94], v[85:86], v[116:117]
	v_add_f64 v[91:92], v[91:92], v[99:100]
	v_add_f64 v[2:3], v[2:3], v[89:90]
	s_waitcnt vmcnt(5)
	v_fma_f64 v[79:80], v[79:80], v[120:121], -v[97:98]
	v_mul_f64 v[89:90], v[83:84], v[116:117]
	v_fma_f64 v[81:82], v[81:82], v[120:121], v[87:88]
	v_add_f64 v[75:76], v[91:92], v[75:76]
	v_add_f64 v[2:3], v[2:3], v[77:78]
	s_waitcnt vmcnt(4)
	v_fma_f64 v[77:78], v[83:84], v[118:119], -v[93:94]
	v_add_f64 v[75:76], v[75:76], v[79:80]
	v_fma_f64 v[79:80], v[85:86], v[118:119], v[89:90]
	v_add_f64 v[2:3], v[2:3], v[81:82]
	v_add_f64 v[75:76], v[75:76], v[77:78]
	;; [unrolled: 1-line block ×3, first 2 shown]
	s_waitcnt vmcnt(2)
	v_add_f64 v[75:76], v[122:123], -v[75:76]
	s_waitcnt vmcnt(0)
	v_add_f64 v[2:3], v[124:125], -v[2:3]
	buffer_store_dword v76, off, s[0:3], 0 offset:420
	buffer_store_dword v75, off, s[0:3], 0 offset:416
	;; [unrolled: 1-line block ×4, first 2 shown]
	v_cmpx_lt_u32_e32 24, v0
	s_cbranch_execz .LBB98_175
; %bb.174:
	v_mov_b32_e32 v2, s22
	s_clause 0x3
	buffer_load_dword v75, v2, s[0:3], 0 offen
	buffer_load_dword v76, v2, s[0:3], 0 offen offset:4
	buffer_load_dword v77, v2, s[0:3], 0 offen offset:8
	;; [unrolled: 1-line block ×3, first 2 shown]
	buffer_store_dword v1, off, s[0:3], 0 offset:400
	buffer_store_dword v1, off, s[0:3], 0 offset:404
	buffer_store_dword v1, off, s[0:3], 0 offset:408
	buffer_store_dword v1, off, s[0:3], 0 offset:412
	s_waitcnt vmcnt(0)
	ds_write_b128 v109, v[75:78]
.LBB98_175:
	s_or_b32 exec_lo, exec_lo, s4
	s_waitcnt lgkmcnt(0)
	s_waitcnt_vscnt null, 0x0
	s_barrier
	buffer_gl0_inv
	s_clause 0x2b
	buffer_load_dword v2, off, s[0:3], 0 offset:424
	buffer_load_dword v3, off, s[0:3], 0 offset:428
	;; [unrolled: 1-line block ×44, first 2 shown]
	ds_read_b128 v[75:78], v1 offset:960
	ds_read_b128 v[79:82], v1 offset:976
	;; [unrolled: 1-line block ×3, first 2 shown]
	s_mov_b32 s4, exec_lo
	s_waitcnt vmcnt(42) lgkmcnt(2)
	v_mul_f64 v[130:131], v[77:78], v[2:3]
	v_mul_f64 v[2:3], v[75:76], v[2:3]
	s_waitcnt vmcnt(40) lgkmcnt(1)
	v_mul_f64 v[132:133], v[81:82], v[87:88]
	v_mul_f64 v[87:88], v[79:80], v[87:88]
	s_waitcnt vmcnt(38)
	v_fma_f64 v[130:131], v[75:76], v[89:90], -v[130:131]
	v_fma_f64 v[2:3], v[77:78], v[89:90], v[2:3]
	ds_read_b128 v[75:78], v1 offset:1008
	s_waitcnt vmcnt(36) lgkmcnt(1)
	v_mul_f64 v[89:90], v[83:84], v[91:92]
	v_mul_f64 v[91:92], v[85:86], v[91:92]
	s_waitcnt vmcnt(34)
	v_fma_f64 v[132:133], v[79:80], v[93:94], -v[132:133]
	v_fma_f64 v[87:88], v[81:82], v[93:94], v[87:88]
	ds_read_b128 v[79:82], v1 offset:1024
	s_waitcnt vmcnt(30) lgkmcnt(1)
	v_mul_f64 v[93:94], v[75:76], v[95:96]
	v_add_f64 v[130:131], v[130:131], 0
	v_add_f64 v[2:3], v[2:3], 0
	v_mul_f64 v[95:96], v[77:78], v[95:96]
	s_waitcnt vmcnt(28)
	v_fma_f64 v[91:92], v[83:84], v[101:102], -v[91:92]
	v_fma_f64 v[89:90], v[85:86], v[101:102], v[89:90]
	ds_read_b128 v[83:86], v1 offset:1040
	s_waitcnt vmcnt(25)
	v_fma_f64 v[93:94], v[77:78], v[103:104], v[93:94]
	v_add_f64 v[130:131], v[130:131], v[132:133]
	v_add_f64 v[2:3], v[2:3], v[87:88]
	s_waitcnt lgkmcnt(1)
	v_mul_f64 v[87:88], v[79:80], v[97:98]
	v_mul_f64 v[97:98], v[81:82], v[97:98]
	v_fma_f64 v[95:96], v[75:76], v[103:104], -v[95:96]
	s_waitcnt vmcnt(21) lgkmcnt(0)
	v_mul_f64 v[101:102], v[85:86], v[105:106]
	ds_read_b128 v[75:78], v1 offset:1056
	v_add_f64 v[91:92], v[130:131], v[91:92]
	v_add_f64 v[2:3], v[2:3], v[89:90]
	v_mul_f64 v[89:90], v[83:84], v[105:106]
	s_waitcnt vmcnt(20)
	v_fma_f64 v[97:98], v[79:80], v[99:100], -v[97:98]
	v_fma_f64 v[87:88], v[81:82], v[99:100], v[87:88]
	ds_read_b128 v[79:82], v1 offset:1072
	s_waitcnt vmcnt(17)
	v_fma_f64 v[99:100], v[83:84], v[112:113], -v[101:102]
	v_add_f64 v[91:92], v[91:92], v[95:96]
	v_add_f64 v[2:3], v[2:3], v[93:94]
	s_waitcnt lgkmcnt(1)
	v_mul_f64 v[95:96], v[77:78], v[107:108]
	v_mul_f64 v[93:94], v[75:76], v[107:108]
	v_fma_f64 v[89:90], v[85:86], v[112:113], v[89:90]
	ds_read_b128 v[83:86], v1 offset:1088
	v_add_f64 v[91:92], v[91:92], v[97:98]
	v_add_f64 v[2:3], v[2:3], v[87:88]
	s_waitcnt vmcnt(13) lgkmcnt(1)
	v_mul_f64 v[97:98], v[81:82], v[114:115]
	s_waitcnt vmcnt(12)
	v_fma_f64 v[75:76], v[75:76], v[110:111], -v[95:96]
	v_mul_f64 v[87:88], v[79:80], v[114:115]
	v_fma_f64 v[77:78], v[77:78], v[110:111], v[93:94]
	s_waitcnt vmcnt(11) lgkmcnt(0)
	v_mul_f64 v[95:96], v[85:86], v[116:117]
	v_mul_f64 v[93:94], v[83:84], v[116:117]
	v_add_f64 v[91:92], v[91:92], v[99:100]
	v_add_f64 v[89:90], v[2:3], v[89:90]
	s_waitcnt vmcnt(9)
	v_fma_f64 v[79:80], v[79:80], v[120:121], -v[97:98]
	ds_read_b128 v[1:4], v1 offset:1104
	v_fma_f64 v[81:82], v[81:82], v[120:121], v[87:88]
	s_waitcnt vmcnt(6)
	v_fma_f64 v[83:84], v[83:84], v[118:119], -v[95:96]
	v_add_f64 v[75:76], v[91:92], v[75:76]
	v_add_f64 v[77:78], v[89:90], v[77:78]
	s_waitcnt lgkmcnt(0)
	v_mul_f64 v[89:90], v[3:4], v[122:123]
	v_mul_f64 v[87:88], v[1:2], v[122:123]
	v_add_f64 v[75:76], v[75:76], v[79:80]
	v_fma_f64 v[79:80], v[85:86], v[118:119], v[93:94]
	v_add_f64 v[77:78], v[77:78], v[81:82]
	s_waitcnt vmcnt(4)
	v_fma_f64 v[1:2], v[1:2], v[124:125], -v[89:90]
	v_fma_f64 v[3:4], v[3:4], v[124:125], v[87:88]
	v_add_f64 v[75:76], v[75:76], v[83:84]
	v_add_f64 v[77:78], v[77:78], v[79:80]
	;; [unrolled: 1-line block ×4, first 2 shown]
	s_waitcnt vmcnt(2)
	v_add_f64 v[1:2], v[126:127], -v[1:2]
	s_waitcnt vmcnt(0)
	v_add_f64 v[3:4], v[128:129], -v[3:4]
	buffer_store_dword v2, off, s[0:3], 0 offset:404
	buffer_store_dword v1, off, s[0:3], 0 offset:400
	;; [unrolled: 1-line block ×4, first 2 shown]
	v_cmpx_lt_u32_e32 23, v0
	s_cbranch_execz .LBB98_177
; %bb.176:
	v_mov_b32_e32 v4, s23
	v_mov_b32_e32 v75, 0
	s_clause 0x3
	buffer_load_dword v1, v4, s[0:3], 0 offen
	buffer_load_dword v2, v4, s[0:3], 0 offen offset:4
	buffer_load_dword v3, v4, s[0:3], 0 offen offset:8
	;; [unrolled: 1-line block ×3, first 2 shown]
	buffer_store_dword v75, off, s[0:3], 0 offset:384
	buffer_store_dword v75, off, s[0:3], 0 offset:388
	;; [unrolled: 1-line block ×4, first 2 shown]
	s_waitcnt vmcnt(0)
	ds_write_b128 v109, v[1:4]
.LBB98_177:
	s_or_b32 exec_lo, exec_lo, s4
	s_waitcnt lgkmcnt(0)
	s_waitcnt_vscnt null, 0x0
	s_barrier
	buffer_gl0_inv
	s_clause 0x2f
	buffer_load_dword v2, off, s[0:3], 0 offset:408
	buffer_load_dword v3, off, s[0:3], 0 offset:412
	;; [unrolled: 1-line block ×48, first 2 shown]
	v_mov_b32_e32 v1, 0
	ds_read_b128 v[75:78], v1 offset:944
	ds_read_b128 v[79:82], v1 offset:960
	;; [unrolled: 1-line block ×3, first 2 shown]
	s_mov_b32 s4, exec_lo
	s_waitcnt vmcnt(46) lgkmcnt(2)
	v_mul_f64 v[134:135], v[77:78], v[2:3]
	v_mul_f64 v[2:3], v[75:76], v[2:3]
	s_waitcnt vmcnt(44) lgkmcnt(1)
	v_mul_f64 v[136:137], v[81:82], v[87:88]
	v_mul_f64 v[87:88], v[79:80], v[87:88]
	s_waitcnt vmcnt(42)
	v_fma_f64 v[134:135], v[75:76], v[89:90], -v[134:135]
	v_fma_f64 v[2:3], v[77:78], v[89:90], v[2:3]
	ds_read_b128 v[75:78], v1 offset:992
	s_waitcnt vmcnt(40) lgkmcnt(1)
	v_mul_f64 v[89:90], v[83:84], v[91:92]
	v_mul_f64 v[91:92], v[85:86], v[91:92]
	s_waitcnt vmcnt(38)
	v_fma_f64 v[136:137], v[79:80], v[93:94], -v[136:137]
	v_fma_f64 v[87:88], v[81:82], v[93:94], v[87:88]
	ds_read_b128 v[79:82], v1 offset:1008
	s_waitcnt vmcnt(34) lgkmcnt(1)
	v_mul_f64 v[93:94], v[75:76], v[95:96]
	v_add_f64 v[134:135], v[134:135], 0
	v_add_f64 v[2:3], v[2:3], 0
	v_mul_f64 v[95:96], v[77:78], v[95:96]
	s_waitcnt vmcnt(32)
	v_fma_f64 v[91:92], v[83:84], v[101:102], -v[91:92]
	v_fma_f64 v[89:90], v[85:86], v[101:102], v[89:90]
	ds_read_b128 v[83:86], v1 offset:1024
	s_waitcnt vmcnt(29)
	v_fma_f64 v[93:94], v[77:78], v[103:104], v[93:94]
	v_add_f64 v[134:135], v[134:135], v[136:137]
	v_add_f64 v[2:3], v[2:3], v[87:88]
	s_waitcnt lgkmcnt(1)
	v_mul_f64 v[87:88], v[79:80], v[97:98]
	v_mul_f64 v[97:98], v[81:82], v[97:98]
	v_fma_f64 v[95:96], v[75:76], v[103:104], -v[95:96]
	s_waitcnt vmcnt(25) lgkmcnt(0)
	v_mul_f64 v[101:102], v[85:86], v[105:106]
	ds_read_b128 v[75:78], v1 offset:1040
	v_add_f64 v[91:92], v[134:135], v[91:92]
	v_add_f64 v[2:3], v[2:3], v[89:90]
	v_mul_f64 v[89:90], v[83:84], v[105:106]
	s_waitcnt vmcnt(24)
	v_fma_f64 v[97:98], v[79:80], v[99:100], -v[97:98]
	v_fma_f64 v[87:88], v[81:82], v[99:100], v[87:88]
	ds_read_b128 v[79:82], v1 offset:1056
	s_waitcnt vmcnt(21)
	v_fma_f64 v[99:100], v[83:84], v[112:113], -v[101:102]
	v_add_f64 v[91:92], v[91:92], v[95:96]
	v_add_f64 v[2:3], v[2:3], v[93:94]
	s_waitcnt lgkmcnt(1)
	v_mul_f64 v[95:96], v[77:78], v[107:108]
	v_mul_f64 v[93:94], v[75:76], v[107:108]
	v_fma_f64 v[89:90], v[85:86], v[112:113], v[89:90]
	ds_read_b128 v[83:86], v1 offset:1072
	v_add_f64 v[91:92], v[91:92], v[97:98]
	v_add_f64 v[2:3], v[2:3], v[87:88]
	s_waitcnt vmcnt(17) lgkmcnt(1)
	v_mul_f64 v[97:98], v[81:82], v[114:115]
	s_waitcnt vmcnt(16)
	v_fma_f64 v[95:96], v[75:76], v[110:111], -v[95:96]
	v_mul_f64 v[87:88], v[79:80], v[114:115]
	v_fma_f64 v[93:94], v[77:78], v[110:111], v[93:94]
	ds_read_b128 v[75:78], v1 offset:1088
	v_add_f64 v[91:92], v[91:92], v[99:100]
	v_add_f64 v[2:3], v[2:3], v[89:90]
	s_waitcnt vmcnt(15) lgkmcnt(1)
	v_mul_f64 v[99:100], v[85:86], v[116:117]
	s_waitcnt vmcnt(13)
	v_fma_f64 v[97:98], v[79:80], v[120:121], -v[97:98]
	;; [unrolled: 9-line block ×3, first 2 shown]
	v_mul_f64 v[93:94], v[75:76], v[122:123]
	v_fma_f64 v[85:86], v[85:86], v[118:119], v[89:90]
	s_waitcnt vmcnt(7) lgkmcnt(0)
	v_mul_f64 v[89:90], v[81:82], v[124:125]
	v_add_f64 v[91:92], v[91:92], v[97:98]
	v_add_f64 v[2:3], v[2:3], v[87:88]
	s_waitcnt vmcnt(5)
	v_fma_f64 v[75:76], v[75:76], v[128:129], -v[95:96]
	v_mul_f64 v[87:88], v[79:80], v[124:125]
	v_fma_f64 v[77:78], v[77:78], v[128:129], v[93:94]
	s_waitcnt vmcnt(4)
	v_fma_f64 v[79:80], v[79:80], v[126:127], -v[89:90]
	v_add_f64 v[83:84], v[91:92], v[83:84]
	v_add_f64 v[2:3], v[2:3], v[85:86]
	v_fma_f64 v[81:82], v[81:82], v[126:127], v[87:88]
	v_add_f64 v[75:76], v[83:84], v[75:76]
	v_add_f64 v[2:3], v[2:3], v[77:78]
	;; [unrolled: 1-line block ×4, first 2 shown]
	s_waitcnt vmcnt(2)
	v_add_f64 v[75:76], v[130:131], -v[75:76]
	s_waitcnt vmcnt(0)
	v_add_f64 v[2:3], v[132:133], -v[2:3]
	buffer_store_dword v76, off, s[0:3], 0 offset:388
	buffer_store_dword v75, off, s[0:3], 0 offset:384
	;; [unrolled: 1-line block ×4, first 2 shown]
	v_cmpx_lt_u32_e32 22, v0
	s_cbranch_execz .LBB98_179
; %bb.178:
	v_mov_b32_e32 v2, s24
	s_clause 0x3
	buffer_load_dword v75, v2, s[0:3], 0 offen
	buffer_load_dword v76, v2, s[0:3], 0 offen offset:4
	buffer_load_dword v77, v2, s[0:3], 0 offen offset:8
	;; [unrolled: 1-line block ×3, first 2 shown]
	buffer_store_dword v1, off, s[0:3], 0 offset:368
	buffer_store_dword v1, off, s[0:3], 0 offset:372
	;; [unrolled: 1-line block ×4, first 2 shown]
	s_waitcnt vmcnt(0)
	ds_write_b128 v109, v[75:78]
.LBB98_179:
	s_or_b32 exec_lo, exec_lo, s4
	s_waitcnt lgkmcnt(0)
	s_waitcnt_vscnt null, 0x0
	s_barrier
	buffer_gl0_inv
	s_clause 0x2f
	buffer_load_dword v2, off, s[0:3], 0 offset:392
	buffer_load_dword v3, off, s[0:3], 0 offset:396
	;; [unrolled: 1-line block ×48, first 2 shown]
	ds_read_b128 v[75:78], v1 offset:928
	s_clause 0x3
	buffer_load_dword v134, off, s[0:3], 0 offset:368
	buffer_load_dword v135, off, s[0:3], 0 offset:372
	;; [unrolled: 1-line block ×4, first 2 shown]
	ds_read_b128 v[79:82], v1 offset:944
	ds_read_b128 v[83:86], v1 offset:960
	s_mov_b32 s4, exec_lo
	s_waitcnt vmcnt(50) lgkmcnt(2)
	v_mul_f64 v[138:139], v[77:78], v[2:3]
	v_mul_f64 v[2:3], v[75:76], v[2:3]
	s_waitcnt vmcnt(48) lgkmcnt(1)
	v_mul_f64 v[140:141], v[81:82], v[87:88]
	v_mul_f64 v[87:88], v[79:80], v[87:88]
	s_waitcnt vmcnt(46)
	v_fma_f64 v[138:139], v[75:76], v[89:90], -v[138:139]
	v_fma_f64 v[2:3], v[77:78], v[89:90], v[2:3]
	s_waitcnt vmcnt(44) lgkmcnt(0)
	v_mul_f64 v[89:90], v[83:84], v[91:92]
	v_mul_f64 v[91:92], v[85:86], v[91:92]
	s_waitcnt vmcnt(42)
	v_fma_f64 v[140:141], v[79:80], v[93:94], -v[140:141]
	ds_read_b128 v[75:78], v1 offset:976
	v_fma_f64 v[87:88], v[81:82], v[93:94], v[87:88]
	ds_read_b128 v[79:82], v1 offset:992
	v_add_f64 v[138:139], v[138:139], 0
	v_add_f64 v[2:3], v[2:3], 0
	s_waitcnt vmcnt(36)
	v_fma_f64 v[89:90], v[85:86], v[101:102], v[89:90]
	s_waitcnt lgkmcnt(1)
	v_mul_f64 v[93:94], v[75:76], v[95:96]
	v_mul_f64 v[95:96], v[77:78], v[95:96]
	v_fma_f64 v[91:92], v[83:84], v[101:102], -v[91:92]
	ds_read_b128 v[83:86], v1 offset:1008
	v_add_f64 v[138:139], v[138:139], v[140:141]
	v_add_f64 v[2:3], v[2:3], v[87:88]
	s_waitcnt vmcnt(35) lgkmcnt(1)
	v_mul_f64 v[87:88], v[79:80], v[97:98]
	v_mul_f64 v[97:98], v[81:82], v[97:98]
	s_waitcnt vmcnt(33)
	v_fma_f64 v[95:96], v[75:76], v[103:104], -v[95:96]
	v_fma_f64 v[93:94], v[77:78], v[103:104], v[93:94]
	ds_read_b128 v[75:78], v1 offset:1024
	s_waitcnt vmcnt(29) lgkmcnt(1)
	v_mul_f64 v[101:102], v[85:86], v[105:106]
	v_add_f64 v[91:92], v[138:139], v[91:92]
	v_add_f64 v[2:3], v[2:3], v[89:90]
	v_mul_f64 v[89:90], v[83:84], v[105:106]
	s_waitcnt vmcnt(28)
	v_fma_f64 v[97:98], v[79:80], v[99:100], -v[97:98]
	v_fma_f64 v[87:88], v[81:82], v[99:100], v[87:88]
	ds_read_b128 v[79:82], v1 offset:1040
	s_waitcnt vmcnt(25)
	v_fma_f64 v[99:100], v[83:84], v[112:113], -v[101:102]
	v_add_f64 v[91:92], v[91:92], v[95:96]
	v_add_f64 v[2:3], v[2:3], v[93:94]
	s_waitcnt lgkmcnt(1)
	v_mul_f64 v[95:96], v[77:78], v[107:108]
	v_mul_f64 v[93:94], v[75:76], v[107:108]
	v_fma_f64 v[89:90], v[85:86], v[112:113], v[89:90]
	ds_read_b128 v[83:86], v1 offset:1056
	v_add_f64 v[91:92], v[91:92], v[97:98]
	v_add_f64 v[2:3], v[2:3], v[87:88]
	s_waitcnt vmcnt(21) lgkmcnt(1)
	v_mul_f64 v[97:98], v[81:82], v[114:115]
	s_waitcnt vmcnt(20)
	v_fma_f64 v[95:96], v[75:76], v[110:111], -v[95:96]
	v_mul_f64 v[87:88], v[79:80], v[114:115]
	v_fma_f64 v[93:94], v[77:78], v[110:111], v[93:94]
	ds_read_b128 v[75:78], v1 offset:1072
	v_add_f64 v[91:92], v[91:92], v[99:100]
	v_add_f64 v[2:3], v[2:3], v[89:90]
	s_waitcnt vmcnt(19) lgkmcnt(1)
	v_mul_f64 v[99:100], v[85:86], v[116:117]
	s_waitcnt vmcnt(17)
	v_fma_f64 v[97:98], v[79:80], v[120:121], -v[97:98]
	;; [unrolled: 9-line block ×3, first 2 shown]
	v_mul_f64 v[93:94], v[75:76], v[122:123]
	v_fma_f64 v[85:86], v[85:86], v[118:119], v[89:90]
	s_waitcnt vmcnt(11) lgkmcnt(0)
	v_mul_f64 v[89:90], v[79:80], v[124:125]
	v_add_f64 v[91:92], v[91:92], v[97:98]
	v_add_f64 v[87:88], v[2:3], v[87:88]
	v_mul_f64 v[97:98], v[81:82], v[124:125]
	s_waitcnt vmcnt(9)
	v_fma_f64 v[75:76], v[75:76], v[128:129], -v[95:96]
	ds_read_b128 v[1:4], v1 offset:1104
	v_fma_f64 v[77:78], v[77:78], v[128:129], v[93:94]
	s_waitcnt vmcnt(6)
	v_fma_f64 v[81:82], v[81:82], v[126:127], v[89:90]
	v_add_f64 v[83:84], v[91:92], v[83:84]
	v_add_f64 v[85:86], v[87:88], v[85:86]
	s_waitcnt lgkmcnt(0)
	v_mul_f64 v[91:92], v[3:4], v[130:131]
	v_fma_f64 v[79:80], v[79:80], v[126:127], -v[97:98]
	v_mul_f64 v[87:88], v[1:2], v[130:131]
	v_add_f64 v[75:76], v[83:84], v[75:76]
	v_add_f64 v[77:78], v[85:86], v[77:78]
	s_waitcnt vmcnt(4)
	v_fma_f64 v[1:2], v[1:2], v[132:133], -v[91:92]
	v_fma_f64 v[3:4], v[3:4], v[132:133], v[87:88]
	v_add_f64 v[75:76], v[75:76], v[79:80]
	v_add_f64 v[77:78], v[77:78], v[81:82]
	;; [unrolled: 1-line block ×4, first 2 shown]
	s_waitcnt vmcnt(2)
	v_add_f64 v[1:2], v[134:135], -v[1:2]
	s_waitcnt vmcnt(0)
	v_add_f64 v[3:4], v[136:137], -v[3:4]
	buffer_store_dword v2, off, s[0:3], 0 offset:372
	buffer_store_dword v1, off, s[0:3], 0 offset:368
	;; [unrolled: 1-line block ×4, first 2 shown]
	v_cmpx_lt_u32_e32 21, v0
	s_cbranch_execz .LBB98_181
; %bb.180:
	v_mov_b32_e32 v4, s25
	v_mov_b32_e32 v75, 0
	s_clause 0x3
	buffer_load_dword v1, v4, s[0:3], 0 offen
	buffer_load_dword v2, v4, s[0:3], 0 offen offset:4
	buffer_load_dword v3, v4, s[0:3], 0 offen offset:8
	;; [unrolled: 1-line block ×3, first 2 shown]
	buffer_store_dword v75, off, s[0:3], 0 offset:352
	buffer_store_dword v75, off, s[0:3], 0 offset:356
	;; [unrolled: 1-line block ×4, first 2 shown]
	s_waitcnt vmcnt(0)
	ds_write_b128 v109, v[1:4]
.LBB98_181:
	s_or_b32 exec_lo, exec_lo, s4
	s_waitcnt lgkmcnt(0)
	s_waitcnt_vscnt null, 0x0
	s_barrier
	buffer_gl0_inv
	s_clause 0x33
	buffer_load_dword v2, off, s[0:3], 0 offset:376
	buffer_load_dword v3, off, s[0:3], 0 offset:380
	;; [unrolled: 1-line block ×52, first 2 shown]
	v_mov_b32_e32 v1, 0
	ds_read_b128 v[75:78], v1 offset:912
	ds_read_b128 v[79:82], v1 offset:928
	s_clause 0x3
	buffer_load_dword v140, off, s[0:3], 0 offset:352
	buffer_load_dword v141, off, s[0:3], 0 offset:356
	;; [unrolled: 1-line block ×4, first 2 shown]
	ds_read_b128 v[83:86], v1 offset:944
	s_mov_b32 s4, exec_lo
	s_waitcnt vmcnt(54) lgkmcnt(2)
	v_mul_f64 v[138:139], v[77:78], v[2:3]
	v_mul_f64 v[2:3], v[75:76], v[2:3]
	s_waitcnt vmcnt(52) lgkmcnt(1)
	v_mul_f64 v[144:145], v[81:82], v[87:88]
	v_mul_f64 v[87:88], v[79:80], v[87:88]
	s_waitcnt vmcnt(50)
	v_fma_f64 v[138:139], v[75:76], v[89:90], -v[138:139]
	v_fma_f64 v[2:3], v[77:78], v[89:90], v[2:3]
	ds_read_b128 v[75:78], v1 offset:960
	s_waitcnt vmcnt(48) lgkmcnt(1)
	v_mul_f64 v[89:90], v[83:84], v[91:92]
	v_mul_f64 v[91:92], v[85:86], v[91:92]
	s_waitcnt vmcnt(46)
	v_fma_f64 v[144:145], v[79:80], v[93:94], -v[144:145]
	v_fma_f64 v[87:88], v[81:82], v[93:94], v[87:88]
	ds_read_b128 v[79:82], v1 offset:976
	s_waitcnt vmcnt(42) lgkmcnt(1)
	v_mul_f64 v[93:94], v[75:76], v[95:96]
	v_add_f64 v[138:139], v[138:139], 0
	v_add_f64 v[2:3], v[2:3], 0
	v_mul_f64 v[95:96], v[77:78], v[95:96]
	s_waitcnt vmcnt(40)
	v_fma_f64 v[91:92], v[83:84], v[101:102], -v[91:92]
	v_fma_f64 v[89:90], v[85:86], v[101:102], v[89:90]
	ds_read_b128 v[83:86], v1 offset:992
	s_waitcnt vmcnt(37)
	v_fma_f64 v[93:94], v[77:78], v[103:104], v[93:94]
	v_add_f64 v[138:139], v[138:139], v[144:145]
	v_add_f64 v[2:3], v[2:3], v[87:88]
	s_waitcnt lgkmcnt(1)
	v_mul_f64 v[87:88], v[79:80], v[97:98]
	v_mul_f64 v[97:98], v[81:82], v[97:98]
	v_fma_f64 v[95:96], v[75:76], v[103:104], -v[95:96]
	s_waitcnt vmcnt(33) lgkmcnt(0)
	v_mul_f64 v[101:102], v[85:86], v[105:106]
	ds_read_b128 v[75:78], v1 offset:1008
	v_add_f64 v[91:92], v[138:139], v[91:92]
	v_add_f64 v[2:3], v[2:3], v[89:90]
	v_mul_f64 v[89:90], v[83:84], v[105:106]
	s_waitcnt vmcnt(32)
	v_fma_f64 v[97:98], v[79:80], v[99:100], -v[97:98]
	v_fma_f64 v[87:88], v[81:82], v[99:100], v[87:88]
	ds_read_b128 v[79:82], v1 offset:1024
	s_waitcnt vmcnt(29)
	v_fma_f64 v[99:100], v[83:84], v[112:113], -v[101:102]
	v_add_f64 v[91:92], v[91:92], v[95:96]
	v_add_f64 v[2:3], v[2:3], v[93:94]
	s_waitcnt lgkmcnt(1)
	v_mul_f64 v[95:96], v[77:78], v[107:108]
	v_mul_f64 v[93:94], v[75:76], v[107:108]
	v_fma_f64 v[89:90], v[85:86], v[112:113], v[89:90]
	ds_read_b128 v[83:86], v1 offset:1040
	v_add_f64 v[91:92], v[91:92], v[97:98]
	v_add_f64 v[2:3], v[2:3], v[87:88]
	s_waitcnt vmcnt(25) lgkmcnt(1)
	v_mul_f64 v[97:98], v[81:82], v[114:115]
	s_waitcnt vmcnt(24)
	v_fma_f64 v[95:96], v[75:76], v[110:111], -v[95:96]
	v_mul_f64 v[87:88], v[79:80], v[114:115]
	v_fma_f64 v[93:94], v[77:78], v[110:111], v[93:94]
	ds_read_b128 v[75:78], v1 offset:1056
	v_add_f64 v[91:92], v[91:92], v[99:100]
	v_add_f64 v[2:3], v[2:3], v[89:90]
	s_waitcnt vmcnt(23) lgkmcnt(1)
	v_mul_f64 v[99:100], v[85:86], v[116:117]
	s_waitcnt vmcnt(21)
	v_fma_f64 v[97:98], v[79:80], v[120:121], -v[97:98]
	;; [unrolled: 9-line block ×5, first 2 shown]
	v_mul_f64 v[89:90], v[83:84], v[130:131]
	v_fma_f64 v[81:82], v[81:82], v[126:127], v[87:88]
	s_waitcnt vmcnt(7) lgkmcnt(0)
	v_mul_f64 v[87:88], v[75:76], v[132:133]
	v_add_f64 v[91:92], v[91:92], v[95:96]
	v_add_f64 v[2:3], v[2:3], v[93:94]
	v_mul_f64 v[93:94], v[77:78], v[132:133]
	s_waitcnt vmcnt(5)
	v_fma_f64 v[83:84], v[83:84], v[136:137], -v[99:100]
	v_fma_f64 v[85:86], v[85:86], v[136:137], v[89:90]
	s_waitcnt vmcnt(4)
	v_fma_f64 v[77:78], v[77:78], v[134:135], v[87:88]
	v_add_f64 v[79:80], v[91:92], v[79:80]
	v_add_f64 v[2:3], v[2:3], v[81:82]
	v_fma_f64 v[75:76], v[75:76], v[134:135], -v[93:94]
	v_add_f64 v[79:80], v[79:80], v[83:84]
	v_add_f64 v[2:3], v[2:3], v[85:86]
	;; [unrolled: 1-line block ×4, first 2 shown]
	s_waitcnt vmcnt(2)
	v_add_f64 v[75:76], v[140:141], -v[75:76]
	s_waitcnt vmcnt(0)
	v_add_f64 v[2:3], v[142:143], -v[2:3]
	buffer_store_dword v76, off, s[0:3], 0 offset:356
	buffer_store_dword v75, off, s[0:3], 0 offset:352
	;; [unrolled: 1-line block ×4, first 2 shown]
	v_cmpx_lt_u32_e32 20, v0
	s_cbranch_execz .LBB98_183
; %bb.182:
	v_mov_b32_e32 v2, s26
	s_clause 0x3
	buffer_load_dword v75, v2, s[0:3], 0 offen
	buffer_load_dword v76, v2, s[0:3], 0 offen offset:4
	buffer_load_dword v77, v2, s[0:3], 0 offen offset:8
	;; [unrolled: 1-line block ×3, first 2 shown]
	buffer_store_dword v1, off, s[0:3], 0 offset:336
	buffer_store_dword v1, off, s[0:3], 0 offset:340
	;; [unrolled: 1-line block ×4, first 2 shown]
	s_waitcnt vmcnt(0)
	ds_write_b128 v109, v[75:78]
.LBB98_183:
	s_or_b32 exec_lo, exec_lo, s4
	s_waitcnt lgkmcnt(0)
	s_waitcnt_vscnt null, 0x0
	s_barrier
	buffer_gl0_inv
	s_clause 0x35
	buffer_load_dword v2, off, s[0:3], 0 offset:360
	buffer_load_dword v3, off, s[0:3], 0 offset:364
	;; [unrolled: 1-line block ×54, first 2 shown]
	ds_read_b128 v[75:78], v1 offset:896
	s_clause 0x1
	buffer_load_dword v141, off, s[0:3], 0 offset:564
	buffer_load_dword v140, off, s[0:3], 0 offset:560
	ds_read_b128 v[79:82], v1 offset:912
	ds_read_b128 v[83:86], v1 offset:928
	s_mov_b32 s4, exec_lo
	s_waitcnt vmcnt(54) lgkmcnt(2)
	v_mul_f64 v[142:143], v[77:78], v[2:3]
	v_mul_f64 v[2:3], v[75:76], v[2:3]
	s_waitcnt vmcnt(52) lgkmcnt(1)
	v_mul_f64 v[144:145], v[81:82], v[87:88]
	v_mul_f64 v[87:88], v[79:80], v[87:88]
	;; [unrolled: 3-line block ×3, first 2 shown]
	v_fma_f64 v[142:143], v[75:76], v[89:90], -v[142:143]
	v_fma_f64 v[2:3], v[77:78], v[89:90], v[2:3]
	s_clause 0x3
	buffer_load_dword v89, off, s[0:3], 0 offset:336
	buffer_load_dword v90, off, s[0:3], 0 offset:340
	;; [unrolled: 1-line block ×4, first 2 shown]
	s_waitcnt vmcnt(50)
	v_fma_f64 v[144:145], v[79:80], v[93:94], -v[144:145]
	ds_read_b128 v[75:78], v1 offset:944
	v_fma_f64 v[87:88], v[81:82], v[93:94], v[87:88]
	ds_read_b128 v[79:82], v1 offset:960
	s_waitcnt vmcnt(44)
	v_fma_f64 v[91:92], v[83:84], v[101:102], -v[91:92]
	v_fma_f64 v[101:102], v[85:86], v[101:102], v[148:149]
	ds_read_b128 v[83:86], v1 offset:976
	v_add_f64 v[142:143], v[142:143], 0
	v_add_f64 v[2:3], v[2:3], 0
	s_waitcnt lgkmcnt(2)
	v_mul_f64 v[93:94], v[75:76], v[95:96]
	v_mul_f64 v[95:96], v[77:78], v[95:96]
	v_add_f64 v[142:143], v[142:143], v[144:145]
	v_add_f64 v[2:3], v[2:3], v[87:88]
	s_waitcnt vmcnt(43) lgkmcnt(1)
	v_mul_f64 v[87:88], v[79:80], v[97:98]
	v_mul_f64 v[97:98], v[81:82], v[97:98]
	s_waitcnt vmcnt(41)
	v_fma_f64 v[95:96], v[75:76], v[103:104], -v[95:96]
	v_fma_f64 v[93:94], v[77:78], v[103:104], v[93:94]
	ds_read_b128 v[75:78], v1 offset:992
	s_waitcnt vmcnt(37) lgkmcnt(1)
	v_mul_f64 v[103:104], v[85:86], v[105:106]
	v_add_f64 v[91:92], v[142:143], v[91:92]
	v_add_f64 v[2:3], v[2:3], v[101:102]
	v_mul_f64 v[101:102], v[83:84], v[105:106]
	s_waitcnt vmcnt(36)
	v_fma_f64 v[97:98], v[79:80], v[99:100], -v[97:98]
	v_fma_f64 v[87:88], v[81:82], v[99:100], v[87:88]
	ds_read_b128 v[79:82], v1 offset:1008
	s_waitcnt vmcnt(33)
	v_fma_f64 v[99:100], v[83:84], v[112:113], -v[103:104]
	v_add_f64 v[91:92], v[91:92], v[95:96]
	v_add_f64 v[2:3], v[2:3], v[93:94]
	s_waitcnt lgkmcnt(1)
	v_mul_f64 v[95:96], v[77:78], v[107:108]
	v_mul_f64 v[93:94], v[75:76], v[107:108]
	v_add_f64 v[91:92], v[91:92], v[97:98]
	v_fma_f64 v[97:98], v[85:86], v[112:113], v[101:102]
	v_add_f64 v[2:3], v[2:3], v[87:88]
	ds_read_b128 v[83:86], v1 offset:1024
	s_waitcnt vmcnt(29) lgkmcnt(1)
	v_mul_f64 v[101:102], v[81:82], v[114:115]
	s_waitcnt vmcnt(28)
	v_fma_f64 v[95:96], v[75:76], v[110:111], -v[95:96]
	v_mul_f64 v[87:88], v[79:80], v[114:115]
	v_fma_f64 v[93:94], v[77:78], v[110:111], v[93:94]
	ds_read_b128 v[75:78], v1 offset:1040
	v_add_f64 v[91:92], v[91:92], v[99:100]
	s_waitcnt vmcnt(27) lgkmcnt(1)
	v_mul_f64 v[99:100], v[85:86], v[116:117]
	v_add_f64 v[2:3], v[2:3], v[97:98]
	v_mul_f64 v[97:98], v[83:84], v[116:117]
	s_waitcnt vmcnt(25)
	v_fma_f64 v[101:102], v[79:80], v[120:121], -v[101:102]
	v_fma_f64 v[87:88], v[81:82], v[120:121], v[87:88]
	ds_read_b128 v[79:82], v1 offset:1056
	v_add_f64 v[91:92], v[91:92], v[95:96]
	s_waitcnt vmcnt(21) lgkmcnt(1)
	v_mul_f64 v[95:96], v[77:78], v[122:123]
	v_add_f64 v[2:3], v[2:3], v[93:94]
	s_waitcnt vmcnt(20)
	v_fma_f64 v[99:100], v[83:84], v[118:119], -v[99:100]
	v_mul_f64 v[93:94], v[75:76], v[122:123]
	v_fma_f64 v[97:98], v[85:86], v[118:119], v[97:98]
	ds_read_b128 v[83:86], v1 offset:1072
	v_add_f64 v[91:92], v[91:92], v[101:102]
	s_waitcnt vmcnt(19) lgkmcnt(1)
	v_mul_f64 v[101:102], v[81:82], v[124:125]
	v_add_f64 v[2:3], v[2:3], v[87:88]
	s_waitcnt vmcnt(17)
	v_fma_f64 v[95:96], v[75:76], v[128:129], -v[95:96]
	v_mul_f64 v[87:88], v[79:80], v[124:125]
	;; [unrolled: 9-line block ×3, first 2 shown]
	v_fma_f64 v[81:82], v[81:82], v[126:127], v[87:88]
	v_add_f64 v[91:92], v[91:92], v[95:96]
	s_waitcnt vmcnt(11) lgkmcnt(0)
	v_mul_f64 v[95:96], v[77:78], v[132:133]
	v_add_f64 v[87:88], v[2:3], v[93:94]
	s_waitcnt vmcnt(9)
	v_fma_f64 v[83:84], v[83:84], v[136:137], -v[99:100]
	ds_read_b128 v[1:4], v1 offset:1104
	v_mul_f64 v[93:94], v[75:76], v[132:133]
	v_fma_f64 v[85:86], v[85:86], v[136:137], v[97:98]
	v_add_f64 v[79:80], v[91:92], v[79:80]
	s_waitcnt vmcnt(6)
	v_fma_f64 v[75:76], v[75:76], v[134:135], -v[95:96]
	v_add_f64 v[81:82], v[87:88], v[81:82]
	s_waitcnt lgkmcnt(0)
	v_mul_f64 v[91:92], v[3:4], v[138:139]
	v_mul_f64 v[87:88], v[1:2], v[138:139]
	v_fma_f64 v[77:78], v[77:78], v[134:135], v[93:94]
	v_add_f64 v[79:80], v[79:80], v[83:84]
	v_add_f64 v[81:82], v[81:82], v[85:86]
	s_waitcnt vmcnt(4)
	v_fma_f64 v[1:2], v[1:2], v[140:141], -v[91:92]
	v_fma_f64 v[3:4], v[3:4], v[140:141], v[87:88]
	v_add_f64 v[75:76], v[79:80], v[75:76]
	v_add_f64 v[77:78], v[81:82], v[77:78]
	;; [unrolled: 1-line block ×4, first 2 shown]
	s_waitcnt vmcnt(2)
	v_add_f64 v[1:2], v[89:90], -v[1:2]
	s_waitcnt vmcnt(0)
	v_add_f64 v[3:4], v[146:147], -v[3:4]
	buffer_store_dword v2, off, s[0:3], 0 offset:340
	buffer_store_dword v1, off, s[0:3], 0 offset:336
	;; [unrolled: 1-line block ×4, first 2 shown]
	v_cmpx_lt_u32_e32 19, v0
	s_cbranch_execz .LBB98_185
; %bb.184:
	v_mov_b32_e32 v4, s27
	v_mov_b32_e32 v75, 0
	s_clause 0x3
	buffer_load_dword v1, v4, s[0:3], 0 offen
	buffer_load_dword v2, v4, s[0:3], 0 offen offset:4
	buffer_load_dword v3, v4, s[0:3], 0 offen offset:8
	;; [unrolled: 1-line block ×3, first 2 shown]
	buffer_store_dword v75, off, s[0:3], 0 offset:320
	buffer_store_dword v75, off, s[0:3], 0 offset:324
	;; [unrolled: 1-line block ×4, first 2 shown]
	s_waitcnt vmcnt(0)
	ds_write_b128 v109, v[1:4]
.LBB98_185:
	s_or_b32 exec_lo, exec_lo, s4
	s_waitcnt lgkmcnt(0)
	s_waitcnt_vscnt null, 0x0
	s_barrier
	buffer_gl0_inv
	s_clause 0x37
	buffer_load_dword v2, off, s[0:3], 0 offset:344
	buffer_load_dword v3, off, s[0:3], 0 offset:348
	buffer_load_dword v87, off, s[0:3], 0 offset:360
	buffer_load_dword v88, off, s[0:3], 0 offset:364
	buffer_load_dword v89, off, s[0:3], 0 offset:336
	buffer_load_dword v90, off, s[0:3], 0 offset:340
	buffer_load_dword v91, off, s[0:3], 0 offset:376
	buffer_load_dword v92, off, s[0:3], 0 offset:380
	buffer_load_dword v93, off, s[0:3], 0 offset:352
	buffer_load_dword v94, off, s[0:3], 0 offset:356
	buffer_load_dword v96, off, s[0:3], 0 offset:396
	buffer_load_dword v97, off, s[0:3], 0 offset:408
	buffer_load_dword v99, off, s[0:3], 0 offset:400
	buffer_load_dword v95, off, s[0:3], 0 offset:392
	buffer_load_dword v101, off, s[0:3], 0 offset:368
	buffer_load_dword v102, off, s[0:3], 0 offset:372
	buffer_load_dword v98, off, s[0:3], 0 offset:412
	buffer_load_dword v104, off, s[0:3], 0 offset:388
	buffer_load_dword v103, off, s[0:3], 0 offset:384
	buffer_load_dword v106, off, s[0:3], 0 offset:428
	buffer_load_dword v107, off, s[0:3], 0 offset:440
	buffer_load_dword v110, off, s[0:3], 0 offset:432
	buffer_load_dword v105, off, s[0:3], 0 offset:424
	buffer_load_dword v100, off, s[0:3], 0 offset:404
	buffer_load_dword v108, off, s[0:3], 0 offset:444
	buffer_load_dword v113, off, s[0:3], 0 offset:420
	buffer_load_dword v112, off, s[0:3], 0 offset:416
	buffer_load_dword v115, off, s[0:3], 0 offset:460
	buffer_load_dword v116, off, s[0:3], 0 offset:472
	buffer_load_dword v118, off, s[0:3], 0 offset:464
	buffer_load_dword v114, off, s[0:3], 0 offset:456
	buffer_load_dword v111, off, s[0:3], 0 offset:436
	buffer_load_dword v117, off, s[0:3], 0 offset:476
	buffer_load_dword v121, off, s[0:3], 0 offset:452
	buffer_load_dword v120, off, s[0:3], 0 offset:448
	buffer_load_dword v123, off, s[0:3], 0 offset:492
	buffer_load_dword v124, off, s[0:3], 0 offset:504
	buffer_load_dword v126, off, s[0:3], 0 offset:496
	buffer_load_dword v122, off, s[0:3], 0 offset:488
	buffer_load_dword v119, off, s[0:3], 0 offset:468
	buffer_load_dword v125, off, s[0:3], 0 offset:508
	buffer_load_dword v129, off, s[0:3], 0 offset:484
	buffer_load_dword v128, off, s[0:3], 0 offset:480
	buffer_load_dword v131, off, s[0:3], 0 offset:524
	buffer_load_dword v132, off, s[0:3], 0 offset:536
	buffer_load_dword v134, off, s[0:3], 0 offset:528
	buffer_load_dword v130, off, s[0:3], 0 offset:520
	buffer_load_dword v127, off, s[0:3], 0 offset:500
	buffer_load_dword v133, off, s[0:3], 0 offset:540
	buffer_load_dword v137, off, s[0:3], 0 offset:516
	buffer_load_dword v136, off, s[0:3], 0 offset:512
	buffer_load_dword v139, off, s[0:3], 0 offset:556
	buffer_load_dword v140, off, s[0:3], 0 offset:568
	buffer_load_dword v142, off, s[0:3], 0 offset:560
	buffer_load_dword v138, off, s[0:3], 0 offset:552
	buffer_load_dword v135, off, s[0:3], 0 offset:532
	v_mov_b32_e32 v1, 0
	s_mov_b32 s4, exec_lo
	ds_read_b128 v[75:78], v1 offset:880
	s_clause 0x2
	buffer_load_dword v141, off, s[0:3], 0 offset:572
	buffer_load_dword v145, off, s[0:3], 0 offset:548
	;; [unrolled: 1-line block ×3, first 2 shown]
	ds_read_b128 v[79:82], v1 offset:896
	ds_read_b128 v[83:86], v1 offset:912
	buffer_load_dword v143, off, s[0:3], 0 offset:564
	s_waitcnt vmcnt(58) lgkmcnt(2)
	v_mul_f64 v[146:147], v[77:78], v[2:3]
	v_mul_f64 v[2:3], v[75:76], v[2:3]
	s_waitcnt vmcnt(56) lgkmcnt(1)
	v_mul_f64 v[148:149], v[81:82], v[87:88]
	v_mul_f64 v[87:88], v[79:80], v[87:88]
	s_waitcnt vmcnt(54)
	v_fma_f64 v[146:147], v[75:76], v[89:90], -v[146:147]
	v_fma_f64 v[2:3], v[77:78], v[89:90], v[2:3]
	s_waitcnt vmcnt(52) lgkmcnt(0)
	v_mul_f64 v[89:90], v[83:84], v[91:92]
	v_mul_f64 v[91:92], v[85:86], v[91:92]
	s_waitcnt vmcnt(50)
	v_fma_f64 v[148:149], v[79:80], v[93:94], -v[148:149]
	ds_read_b128 v[75:78], v1 offset:928
	v_fma_f64 v[87:88], v[81:82], v[93:94], v[87:88]
	s_clause 0x3
	buffer_load_dword v93, off, s[0:3], 0 offset:320
	buffer_load_dword v94, off, s[0:3], 0 offset:324
	;; [unrolled: 1-line block ×4, first 2 shown]
	ds_read_b128 v[79:82], v1 offset:944
	v_add_f64 v[146:147], v[146:147], 0
	v_add_f64 v[2:3], v[2:3], 0
	s_waitcnt vmcnt(48)
	v_fma_f64 v[89:90], v[85:86], v[101:102], v[89:90]
	s_waitcnt lgkmcnt(1)
	v_mul_f64 v[152:153], v[75:76], v[95:96]
	v_mul_f64 v[95:96], v[77:78], v[95:96]
	v_fma_f64 v[91:92], v[83:84], v[101:102], -v[91:92]
	ds_read_b128 v[83:86], v1 offset:960
	v_add_f64 v[146:147], v[146:147], v[148:149]
	v_add_f64 v[2:3], v[2:3], v[87:88]
	s_waitcnt vmcnt(47) lgkmcnt(1)
	v_mul_f64 v[87:88], v[79:80], v[97:98]
	v_mul_f64 v[97:98], v[81:82], v[97:98]
	s_waitcnt vmcnt(45)
	v_fma_f64 v[95:96], v[75:76], v[103:104], -v[95:96]
	v_fma_f64 v[101:102], v[77:78], v[103:104], v[152:153]
	s_waitcnt vmcnt(41) lgkmcnt(0)
	v_mul_f64 v[103:104], v[85:86], v[105:106]
	ds_read_b128 v[75:78], v1 offset:976
	v_add_f64 v[91:92], v[146:147], v[91:92]
	v_add_f64 v[2:3], v[2:3], v[89:90]
	v_mul_f64 v[89:90], v[83:84], v[105:106]
	s_waitcnt vmcnt(40)
	v_fma_f64 v[97:98], v[79:80], v[99:100], -v[97:98]
	v_fma_f64 v[87:88], v[81:82], v[99:100], v[87:88]
	ds_read_b128 v[79:82], v1 offset:992
	s_waitcnt vmcnt(39) lgkmcnt(1)
	v_mul_f64 v[99:100], v[77:78], v[107:108]
	v_add_f64 v[91:92], v[91:92], v[95:96]
	v_add_f64 v[2:3], v[2:3], v[101:102]
	s_waitcnt vmcnt(37)
	v_fma_f64 v[101:102], v[83:84], v[112:113], -v[103:104]
	v_mul_f64 v[95:96], v[75:76], v[107:108]
	v_fma_f64 v[89:90], v[85:86], v[112:113], v[89:90]
	ds_read_b128 v[83:86], v1 offset:1008
	s_waitcnt vmcnt(32)
	v_fma_f64 v[99:100], v[75:76], v[110:111], -v[99:100]
	v_add_f64 v[91:92], v[91:92], v[97:98]
	v_add_f64 v[2:3], v[2:3], v[87:88]
	s_waitcnt lgkmcnt(1)
	v_mul_f64 v[97:98], v[81:82], v[114:115]
	v_mul_f64 v[87:88], v[79:80], v[114:115]
	v_fma_f64 v[95:96], v[77:78], v[110:111], v[95:96]
	ds_read_b128 v[75:78], v1 offset:1024
	v_add_f64 v[91:92], v[91:92], v[101:102]
	v_add_f64 v[2:3], v[2:3], v[89:90]
	s_waitcnt vmcnt(31) lgkmcnt(1)
	v_mul_f64 v[101:102], v[85:86], v[116:117]
	s_waitcnt vmcnt(29)
	v_fma_f64 v[97:98], v[79:80], v[120:121], -v[97:98]
	v_mul_f64 v[89:90], v[83:84], v[116:117]
	v_fma_f64 v[87:88], v[81:82], v[120:121], v[87:88]
	ds_read_b128 v[79:82], v1 offset:1040
	v_add_f64 v[91:92], v[91:92], v[99:100]
	v_add_f64 v[2:3], v[2:3], v[95:96]
	s_waitcnt vmcnt(25) lgkmcnt(1)
	v_mul_f64 v[99:100], v[77:78], v[122:123]
	s_waitcnt vmcnt(24)
	v_fma_f64 v[101:102], v[83:84], v[118:119], -v[101:102]
	;; [unrolled: 9-line block ×6, first 2 shown]
	v_mul_f64 v[87:88], v[79:80], v[138:139]
	v_fma_f64 v[77:78], v[77:78], v[134:135], v[95:96]
	s_waitcnt vmcnt(7) lgkmcnt(0)
	v_mul_f64 v[95:96], v[85:86], v[140:141]
	v_add_f64 v[91:92], v[91:92], v[101:102]
	v_add_f64 v[2:3], v[2:3], v[89:90]
	s_waitcnt vmcnt(5)
	v_fma_f64 v[79:80], v[79:80], v[144:145], -v[97:98]
	v_mul_f64 v[89:90], v[83:84], v[140:141]
	v_fma_f64 v[81:82], v[81:82], v[144:145], v[87:88]
	v_add_f64 v[75:76], v[91:92], v[75:76]
	v_add_f64 v[2:3], v[2:3], v[77:78]
	s_waitcnt vmcnt(4)
	v_fma_f64 v[77:78], v[83:84], v[142:143], -v[95:96]
	v_add_f64 v[75:76], v[75:76], v[79:80]
	v_fma_f64 v[79:80], v[85:86], v[142:143], v[89:90]
	v_add_f64 v[2:3], v[2:3], v[81:82]
	v_add_f64 v[75:76], v[75:76], v[77:78]
	;; [unrolled: 1-line block ×3, first 2 shown]
	s_waitcnt vmcnt(2)
	v_add_f64 v[75:76], v[93:94], -v[75:76]
	s_waitcnt vmcnt(0)
	v_add_f64 v[2:3], v[150:151], -v[2:3]
	buffer_store_dword v76, off, s[0:3], 0 offset:324
	buffer_store_dword v75, off, s[0:3], 0 offset:320
	;; [unrolled: 1-line block ×4, first 2 shown]
	v_cmpx_lt_u32_e32 18, v0
	s_cbranch_execz .LBB98_187
; %bb.186:
	v_mov_b32_e32 v2, s28
	s_clause 0x3
	buffer_load_dword v75, v2, s[0:3], 0 offen
	buffer_load_dword v76, v2, s[0:3], 0 offen offset:4
	buffer_load_dword v77, v2, s[0:3], 0 offen offset:8
	;; [unrolled: 1-line block ×3, first 2 shown]
	buffer_store_dword v1, off, s[0:3], 0 offset:304
	buffer_store_dword v1, off, s[0:3], 0 offset:308
	buffer_store_dword v1, off, s[0:3], 0 offset:312
	buffer_store_dword v1, off, s[0:3], 0 offset:316
	s_waitcnt vmcnt(0)
	ds_write_b128 v109, v[75:78]
.LBB98_187:
	s_or_b32 exec_lo, exec_lo, s4
	s_waitcnt lgkmcnt(0)
	s_waitcnt_vscnt null, 0x0
	s_barrier
	buffer_gl0_inv
	s_clause 0x37
	buffer_load_dword v2, off, s[0:3], 0 offset:328
	buffer_load_dword v3, off, s[0:3], 0 offset:332
	;; [unrolled: 1-line block ×56, first 2 shown]
	ds_read_b128 v[75:78], v1 offset:864
	s_clause 0x2
	buffer_load_dword v141, off, s[0:3], 0 offset:556
	buffer_load_dword v145, off, s[0:3], 0 offset:532
	;; [unrolled: 1-line block ×3, first 2 shown]
	ds_read_b128 v[79:82], v1 offset:880
	s_clause 0x2
	buffer_load_dword v149, off, s[0:3], 0 offset:572
	buffer_load_dword v148, off, s[0:3], 0 offset:568
	buffer_load_dword v143, off, s[0:3], 0 offset:548
	ds_read_b128 v[83:86], v1 offset:896
	s_mov_b32 s4, exec_lo
	s_waitcnt vmcnt(60) lgkmcnt(2)
	v_mul_f64 v[146:147], v[77:78], v[2:3]
	v_mul_f64 v[2:3], v[75:76], v[2:3]
	s_waitcnt vmcnt(58) lgkmcnt(1)
	v_mul_f64 v[150:151], v[81:82], v[87:88]
	v_mul_f64 v[87:88], v[79:80], v[87:88]
	;; [unrolled: 3-line block ×3, first 2 shown]
	v_fma_f64 v[146:147], v[75:76], v[89:90], -v[146:147]
	v_fma_f64 v[2:3], v[77:78], v[89:90], v[2:3]
	s_clause 0x1
	buffer_load_dword v90, off, s[0:3], 0 offset:564
	buffer_load_dword v89, off, s[0:3], 0 offset:560
	s_waitcnt vmcnt(54)
	v_fma_f64 v[150:151], v[79:80], v[93:94], -v[150:151]
	ds_read_b128 v[75:78], v1 offset:912
	v_fma_f64 v[87:88], v[81:82], v[93:94], v[87:88]
	ds_read_b128 v[79:82], v1 offset:928
	s_waitcnt vmcnt(48)
	v_fma_f64 v[91:92], v[83:84], v[101:102], -v[91:92]
	v_fma_f64 v[101:102], v[85:86], v[101:102], v[152:153]
	v_add_f64 v[146:147], v[146:147], 0
	v_add_f64 v[2:3], v[2:3], 0
	s_waitcnt lgkmcnt(1)
	v_mul_f64 v[93:94], v[75:76], v[95:96]
	v_mul_f64 v[95:96], v[77:78], v[95:96]
	s_waitcnt vmcnt(47) lgkmcnt(0)
	v_mul_f64 v[152:153], v[79:80], v[97:98]
	v_mul_f64 v[97:98], v[81:82], v[97:98]
	v_add_f64 v[146:147], v[146:147], v[150:151]
	v_add_f64 v[2:3], v[2:3], v[87:88]
	s_clause 0x3
	buffer_load_dword v87, off, s[0:3], 0 offset:304
	buffer_load_dword v88, off, s[0:3], 0 offset:308
	;; [unrolled: 1-line block ×4, first 2 shown]
	s_waitcnt vmcnt(49)
	v_fma_f64 v[95:96], v[75:76], v[103:104], -v[95:96]
	ds_read_b128 v[83:86], v1 offset:944
	v_fma_f64 v[93:94], v[77:78], v[103:104], v[93:94]
	ds_read_b128 v[75:78], v1 offset:960
	s_waitcnt vmcnt(44)
	v_fma_f64 v[97:98], v[79:80], v[99:100], -v[97:98]
	v_add_f64 v[91:92], v[146:147], v[91:92]
	v_add_f64 v[2:3], v[2:3], v[101:102]
	s_waitcnt lgkmcnt(1)
	v_mul_f64 v[103:104], v[85:86], v[105:106]
	v_mul_f64 v[101:102], v[83:84], v[105:106]
	v_add_f64 v[91:92], v[91:92], v[95:96]
	v_fma_f64 v[95:96], v[81:82], v[99:100], v[152:153]
	v_add_f64 v[2:3], v[2:3], v[93:94]
	s_waitcnt vmcnt(43) lgkmcnt(0)
	v_mul_f64 v[99:100], v[77:78], v[107:108]
	s_waitcnt vmcnt(41)
	v_fma_f64 v[103:104], v[83:84], v[112:113], -v[103:104]
	ds_read_b128 v[79:82], v1 offset:976
	v_mul_f64 v[93:94], v[75:76], v[107:108]
	v_add_f64 v[91:92], v[91:92], v[97:98]
	v_fma_f64 v[97:98], v[85:86], v[112:113], v[101:102]
	v_add_f64 v[2:3], v[2:3], v[95:96]
	ds_read_b128 v[83:86], v1 offset:992
	s_waitcnt vmcnt(37) lgkmcnt(1)
	v_mul_f64 v[101:102], v[81:82], v[114:115]
	s_waitcnt vmcnt(36)
	v_fma_f64 v[99:100], v[75:76], v[110:111], -v[99:100]
	v_mul_f64 v[95:96], v[79:80], v[114:115]
	v_fma_f64 v[93:94], v[77:78], v[110:111], v[93:94]
	ds_read_b128 v[75:78], v1 offset:1008
	v_add_f64 v[91:92], v[91:92], v[103:104]
	s_waitcnt vmcnt(35) lgkmcnt(1)
	v_mul_f64 v[103:104], v[85:86], v[116:117]
	v_add_f64 v[2:3], v[2:3], v[97:98]
	v_mul_f64 v[97:98], v[83:84], v[116:117]
	s_waitcnt vmcnt(33)
	v_fma_f64 v[101:102], v[79:80], v[120:121], -v[101:102]
	v_fma_f64 v[95:96], v[81:82], v[120:121], v[95:96]
	ds_read_b128 v[79:82], v1 offset:1024
	v_add_f64 v[91:92], v[91:92], v[99:100]
	s_waitcnt vmcnt(29) lgkmcnt(1)
	v_mul_f64 v[99:100], v[77:78], v[122:123]
	v_add_f64 v[2:3], v[2:3], v[93:94]
	s_waitcnt vmcnt(28)
	v_fma_f64 v[103:104], v[83:84], v[118:119], -v[103:104]
	v_mul_f64 v[93:94], v[75:76], v[122:123]
	v_fma_f64 v[97:98], v[85:86], v[118:119], v[97:98]
	ds_read_b128 v[83:86], v1 offset:1040
	v_add_f64 v[91:92], v[91:92], v[101:102]
	s_waitcnt vmcnt(27) lgkmcnt(1)
	v_mul_f64 v[101:102], v[81:82], v[124:125]
	v_add_f64 v[2:3], v[2:3], v[95:96]
	s_waitcnt vmcnt(25)
	v_fma_f64 v[99:100], v[75:76], v[128:129], -v[99:100]
	v_mul_f64 v[95:96], v[79:80], v[124:125]
	;; [unrolled: 9-line block ×5, first 2 shown]
	v_fma_f64 v[77:78], v[77:78], v[134:135], v[93:94]
	s_waitcnt vmcnt(11) lgkmcnt(0)
	v_mul_f64 v[99:100], v[85:86], v[140:141]
	v_add_f64 v[91:92], v[91:92], v[103:104]
	s_waitcnt vmcnt(9)
	v_fma_f64 v[79:80], v[79:80], v[144:145], -v[101:102]
	v_add_f64 v[93:94], v[2:3], v[97:98]
	ds_read_b128 v[1:4], v1 offset:1104
	v_mul_f64 v[97:98], v[83:84], v[140:141]
	v_fma_f64 v[81:82], v[81:82], v[144:145], v[95:96]
	s_waitcnt vmcnt(6)
	v_fma_f64 v[83:84], v[83:84], v[142:143], -v[99:100]
	v_add_f64 v[75:76], v[91:92], v[75:76]
	s_waitcnt lgkmcnt(0)
	v_mul_f64 v[91:92], v[1:2], v[148:149]
	v_add_f64 v[77:78], v[93:94], v[77:78]
	v_mul_f64 v[93:94], v[3:4], v[148:149]
	v_add_f64 v[75:76], v[75:76], v[79:80]
	v_fma_f64 v[79:80], v[85:86], v[142:143], v[97:98]
	v_add_f64 v[77:78], v[77:78], v[81:82]
	s_waitcnt vmcnt(4)
	v_fma_f64 v[1:2], v[1:2], v[89:90], -v[93:94]
	v_fma_f64 v[3:4], v[3:4], v[89:90], v[91:92]
	v_add_f64 v[75:76], v[75:76], v[83:84]
	v_add_f64 v[77:78], v[77:78], v[79:80]
	;; [unrolled: 1-line block ×4, first 2 shown]
	s_waitcnt vmcnt(2)
	v_add_f64 v[1:2], v[87:88], -v[1:2]
	s_waitcnt vmcnt(0)
	v_add_f64 v[3:4], v[150:151], -v[3:4]
	buffer_store_dword v2, off, s[0:3], 0 offset:308
	buffer_store_dword v1, off, s[0:3], 0 offset:304
	;; [unrolled: 1-line block ×4, first 2 shown]
	v_cmpx_lt_u32_e32 17, v0
	s_cbranch_execz .LBB98_189
; %bb.188:
	v_mov_b32_e32 v4, s29
	v_mov_b32_e32 v75, 0
	s_clause 0x3
	buffer_load_dword v1, v4, s[0:3], 0 offen
	buffer_load_dword v2, v4, s[0:3], 0 offen offset:4
	buffer_load_dword v3, v4, s[0:3], 0 offen offset:8
	;; [unrolled: 1-line block ×3, first 2 shown]
	buffer_store_dword v75, off, s[0:3], 0 offset:288
	buffer_store_dword v75, off, s[0:3], 0 offset:292
	;; [unrolled: 1-line block ×4, first 2 shown]
	s_waitcnt vmcnt(0)
	ds_write_b128 v109, v[1:4]
.LBB98_189:
	s_or_b32 exec_lo, exec_lo, s4
	s_waitcnt lgkmcnt(0)
	s_waitcnt_vscnt null, 0x0
	s_barrier
	buffer_gl0_inv
	s_clause 0x37
	buffer_load_dword v2, off, s[0:3], 0 offset:312
	buffer_load_dword v3, off, s[0:3], 0 offset:316
	;; [unrolled: 1-line block ×56, first 2 shown]
	v_mov_b32_e32 v1, 0
	s_mov_b32 s4, exec_lo
	ds_read_b128 v[75:78], v1 offset:848
	s_clause 0x2
	buffer_load_dword v141, off, s[0:3], 0 offset:540
	buffer_load_dword v145, off, s[0:3], 0 offset:516
	;; [unrolled: 1-line block ×3, first 2 shown]
	ds_read_b128 v[79:82], v1 offset:864
	s_clause 0x4
	buffer_load_dword v149, off, s[0:3], 0 offset:556
	buffer_load_dword v150, off, s[0:3], 0 offset:568
	;; [unrolled: 1-line block ×5, first 2 shown]
	ds_read_b128 v[83:86], v1 offset:880
	s_waitcnt vmcnt(62) lgkmcnt(2)
	v_mul_f64 v[146:147], v[77:78], v[2:3]
	v_mul_f64 v[2:3], v[75:76], v[2:3]
	s_waitcnt vmcnt(60) lgkmcnt(1)
	v_mul_f64 v[153:154], v[81:82], v[87:88]
	v_mul_f64 v[87:88], v[79:80], v[87:88]
	;; [unrolled: 3-line block ×3, first 2 shown]
	v_fma_f64 v[146:147], v[75:76], v[89:90], -v[146:147]
	v_fma_f64 v[2:3], v[77:78], v[89:90], v[2:3]
	s_clause 0x2
	buffer_load_dword v151, off, s[0:3], 0 offset:572
	buffer_load_dword v90, off, s[0:3], 0 offset:548
	;; [unrolled: 1-line block ×3, first 2 shown]
	s_waitcnt vmcnt(57)
	v_fma_f64 v[157:158], v[79:80], v[93:94], -v[153:154]
	ds_read_b128 v[75:78], v1 offset:896
	v_fma_f64 v[87:88], v[81:82], v[93:94], v[87:88]
	buffer_load_dword v153, off, s[0:3], 0 offset:564
	ds_read_b128 v[79:82], v1 offset:912
	s_waitcnt vmcnt(52)
	v_fma_f64 v[91:92], v[83:84], v[101:102], -v[91:92]
	v_fma_f64 v[101:102], v[85:86], v[101:102], v[155:156]
	ds_read_b128 v[83:86], v1 offset:928
	v_add_f64 v[146:147], v[146:147], 0
	v_add_f64 v[2:3], v[2:3], 0
	s_waitcnt lgkmcnt(2)
	v_mul_f64 v[93:94], v[75:76], v[95:96]
	v_mul_f64 v[95:96], v[77:78], v[95:96]
	v_add_f64 v[146:147], v[146:147], v[157:158]
	v_add_f64 v[2:3], v[2:3], v[87:88]
	s_waitcnt vmcnt(51) lgkmcnt(1)
	v_mul_f64 v[87:88], v[79:80], v[97:98]
	v_mul_f64 v[97:98], v[81:82], v[97:98]
	s_waitcnt vmcnt(49)
	v_fma_f64 v[95:96], v[75:76], v[103:104], -v[95:96]
	v_fma_f64 v[93:94], v[77:78], v[103:104], v[93:94]
	v_add_f64 v[91:92], v[146:147], v[91:92]
	v_add_f64 v[2:3], v[2:3], v[101:102]
	s_clause 0x3
	buffer_load_dword v101, off, s[0:3], 0 offset:288
	buffer_load_dword v102, off, s[0:3], 0 offset:292
	;; [unrolled: 1-line block ×4, first 2 shown]
	s_waitcnt vmcnt(49) lgkmcnt(0)
	v_mul_f64 v[146:147], v[83:84], v[105:106]
	v_mul_f64 v[105:106], v[85:86], v[105:106]
	s_waitcnt vmcnt(48)
	v_fma_f64 v[97:98], v[79:80], v[99:100], -v[97:98]
	ds_read_b128 v[75:78], v1 offset:944
	v_fma_f64 v[87:88], v[81:82], v[99:100], v[87:88]
	ds_read_b128 v[79:82], v1 offset:960
	v_add_f64 v[91:92], v[91:92], v[95:96]
	v_add_f64 v[2:3], v[2:3], v[93:94]
	s_waitcnt vmcnt(47) lgkmcnt(1)
	v_mul_f64 v[95:96], v[77:78], v[107:108]
	s_waitcnt vmcnt(45)
	v_fma_f64 v[99:100], v[83:84], v[112:113], -v[105:106]
	v_mul_f64 v[93:94], v[75:76], v[107:108]
	s_waitcnt vmcnt(41) lgkmcnt(0)
	v_mul_f64 v[105:106], v[81:82], v[114:115]
	v_add_f64 v[91:92], v[91:92], v[97:98]
	v_fma_f64 v[97:98], v[85:86], v[112:113], v[146:147]
	v_add_f64 v[2:3], v[2:3], v[87:88]
	ds_read_b128 v[83:86], v1 offset:976
	s_waitcnt vmcnt(40)
	v_fma_f64 v[95:96], v[75:76], v[110:111], -v[95:96]
	v_mul_f64 v[87:88], v[79:80], v[114:115]
	v_fma_f64 v[93:94], v[77:78], v[110:111], v[93:94]
	ds_read_b128 v[75:78], v1 offset:992
	s_waitcnt vmcnt(37)
	v_fma_f64 v[105:106], v[79:80], v[120:121], -v[105:106]
	v_add_f64 v[91:92], v[91:92], v[99:100]
	s_waitcnt lgkmcnt(1)
	v_mul_f64 v[99:100], v[85:86], v[116:117]
	v_add_f64 v[2:3], v[2:3], v[97:98]
	v_mul_f64 v[97:98], v[83:84], v[116:117]
	v_fma_f64 v[87:88], v[81:82], v[120:121], v[87:88]
	ds_read_b128 v[79:82], v1 offset:1008
	v_add_f64 v[91:92], v[91:92], v[95:96]
	s_waitcnt vmcnt(33) lgkmcnt(1)
	v_mul_f64 v[95:96], v[77:78], v[122:123]
	v_add_f64 v[2:3], v[2:3], v[93:94]
	s_waitcnt vmcnt(32)
	v_fma_f64 v[99:100], v[83:84], v[118:119], -v[99:100]
	v_mul_f64 v[93:94], v[75:76], v[122:123]
	v_fma_f64 v[97:98], v[85:86], v[118:119], v[97:98]
	ds_read_b128 v[83:86], v1 offset:1024
	v_add_f64 v[91:92], v[91:92], v[105:106]
	s_waitcnt vmcnt(31) lgkmcnt(1)
	v_mul_f64 v[105:106], v[81:82], v[124:125]
	v_add_f64 v[2:3], v[2:3], v[87:88]
	s_waitcnt vmcnt(29)
	v_fma_f64 v[95:96], v[75:76], v[128:129], -v[95:96]
	;; [unrolled: 9-line block ×7, first 2 shown]
	v_mul_f64 v[93:94], v[75:76], v[148:149]
	v_fma_f64 v[85:86], v[85:86], v[142:143], v[97:98]
	v_add_f64 v[91:92], v[91:92], v[105:106]
	v_add_f64 v[2:3], v[2:3], v[87:88]
	s_waitcnt vmcnt(7) lgkmcnt(0)
	v_mul_f64 v[97:98], v[81:82], v[150:151]
	v_mul_f64 v[87:88], v[79:80], v[150:151]
	s_waitcnt vmcnt(5)
	v_fma_f64 v[75:76], v[75:76], v[89:90], -v[95:96]
	v_fma_f64 v[77:78], v[77:78], v[89:90], v[93:94]
	v_add_f64 v[83:84], v[91:92], v[83:84]
	v_add_f64 v[2:3], v[2:3], v[85:86]
	s_waitcnt vmcnt(4)
	v_fma_f64 v[79:80], v[79:80], v[152:153], -v[97:98]
	v_fma_f64 v[81:82], v[81:82], v[152:153], v[87:88]
	v_add_f64 v[75:76], v[83:84], v[75:76]
	v_add_f64 v[2:3], v[2:3], v[77:78]
	;; [unrolled: 1-line block ×4, first 2 shown]
	s_waitcnt vmcnt(2)
	v_add_f64 v[75:76], v[101:102], -v[75:76]
	s_waitcnt vmcnt(0)
	v_add_f64 v[2:3], v[103:104], -v[2:3]
	buffer_store_dword v76, off, s[0:3], 0 offset:292
	buffer_store_dword v75, off, s[0:3], 0 offset:288
	buffer_store_dword v3, off, s[0:3], 0 offset:300
	buffer_store_dword v2, off, s[0:3], 0 offset:296
	v_cmpx_lt_u32_e32 16, v0
	s_cbranch_execz .LBB98_191
; %bb.190:
	v_mov_b32_e32 v2, s30
	s_clause 0x3
	buffer_load_dword v75, v2, s[0:3], 0 offen
	buffer_load_dword v76, v2, s[0:3], 0 offen offset:4
	buffer_load_dword v77, v2, s[0:3], 0 offen offset:8
	;; [unrolled: 1-line block ×3, first 2 shown]
	buffer_store_dword v1, off, s[0:3], 0 offset:272
	buffer_store_dword v1, off, s[0:3], 0 offset:276
	;; [unrolled: 1-line block ×4, first 2 shown]
	s_waitcnt vmcnt(0)
	ds_write_b128 v109, v[75:78]
.LBB98_191:
	s_or_b32 exec_lo, exec_lo, s4
	s_waitcnt lgkmcnt(0)
	s_waitcnt_vscnt null, 0x0
	s_barrier
	buffer_gl0_inv
	s_clause 0x35
	buffer_load_dword v2, off, s[0:3], 0 offset:296
	buffer_load_dword v3, off, s[0:3], 0 offset:300
	;; [unrolled: 1-line block ×54, first 2 shown]
	ds_read_b128 v[75:78], v1 offset:832
	s_clause 0x3
	buffer_load_dword v140, off, s[0:3], 0 offset:520
	buffer_load_dword v141, off, s[0:3], 0 offset:524
	;; [unrolled: 1-line block ×4, first 2 shown]
	ds_read_b128 v[79:82], v1 offset:848
	s_clause 0x3
	buffer_load_dword v147, off, s[0:3], 0 offset:540
	buffer_load_dword v146, off, s[0:3], 0 offset:536
	;; [unrolled: 1-line block ×4, first 2 shown]
	ds_read_b128 v[83:86], v1 offset:864
	s_mov_b32 s4, exec_lo
	s_waitcnt vmcnt(60) lgkmcnt(2)
	v_mul_f64 v[144:145], v[77:78], v[2:3]
	v_mul_f64 v[2:3], v[75:76], v[2:3]
	s_waitcnt vmcnt(58) lgkmcnt(1)
	v_mul_f64 v[150:151], v[81:82], v[87:88]
	v_mul_f64 v[87:88], v[79:80], v[87:88]
	;; [unrolled: 3-line block ×3, first 2 shown]
	v_fma_f64 v[144:145], v[75:76], v[89:90], -v[144:145]
	v_fma_f64 v[2:3], v[77:78], v[89:90], v[2:3]
	s_clause 0x3
	buffer_load_dword v89, off, s[0:3], 0 offset:552
	buffer_load_dword v90, off, s[0:3], 0 offset:556
	;; [unrolled: 1-line block ×4, first 2 shown]
	s_waitcnt vmcnt(56)
	v_fma_f64 v[150:151], v[79:80], v[93:94], -v[150:151]
	ds_read_b128 v[75:78], v1 offset:880
	v_fma_f64 v[87:88], v[81:82], v[93:94], v[87:88]
	s_clause 0x3
	buffer_load_dword v94, off, s[0:3], 0 offset:572
	buffer_load_dword v93, off, s[0:3], 0 offset:568
	;; [unrolled: 1-line block ×4, first 2 shown]
	s_waitcnt vmcnt(56)
	v_fma_f64 v[91:92], v[83:84], v[97:98], -v[91:92]
	ds_read_b128 v[79:82], v1 offset:896
	v_fma_f64 v[97:98], v[85:86], v[97:98], v[154:155]
	v_add_f64 v[144:145], v[144:145], 0
	v_add_f64 v[2:3], v[2:3], 0
	s_waitcnt lgkmcnt(1)
	v_mul_f64 v[158:159], v[75:76], v[95:96]
	v_mul_f64 v[95:96], v[77:78], v[95:96]
	v_add_f64 v[144:145], v[144:145], v[150:151]
	v_add_f64 v[2:3], v[2:3], v[87:88]
	s_clause 0x1
	buffer_load_dword v88, off, s[0:3], 0 offset:564
	buffer_load_dword v87, off, s[0:3], 0 offset:560
	s_waitcnt vmcnt(56) lgkmcnt(0)
	v_mul_f64 v[150:151], v[79:80], v[99:100]
	v_mul_f64 v[99:100], v[81:82], v[99:100]
	s_waitcnt vmcnt(54)
	v_fma_f64 v[95:96], v[75:76], v[101:102], -v[95:96]
	ds_read_b128 v[83:86], v1 offset:912
	v_fma_f64 v[101:102], v[77:78], v[101:102], v[158:159]
	ds_read_b128 v[75:78], v1 offset:928
	v_add_f64 v[91:92], v[144:145], v[91:92]
	v_add_f64 v[2:3], v[2:3], v[97:98]
	s_waitcnt vmcnt(52) lgkmcnt(1)
	v_mul_f64 v[97:98], v[83:84], v[103:104]
	v_mul_f64 v[103:104], v[85:86], v[103:104]
	s_waitcnt vmcnt(50)
	v_fma_f64 v[99:100], v[79:80], v[105:106], -v[99:100]
	s_waitcnt vmcnt(48) lgkmcnt(0)
	v_mul_f64 v[144:145], v[75:76], v[107:108]
	v_mul_f64 v[107:108], v[77:78], v[107:108]
	v_add_f64 v[91:92], v[91:92], v[95:96]
	v_fma_f64 v[95:96], v[81:82], v[105:106], v[150:151]
	v_add_f64 v[2:3], v[2:3], v[101:102]
	s_clause 0x3
	buffer_load_dword v101, off, s[0:3], 0 offset:272
	buffer_load_dword v102, off, s[0:3], 0 offset:276
	;; [unrolled: 1-line block ×4, first 2 shown]
	ds_read_b128 v[79:82], v1 offset:944
	s_waitcnt vmcnt(50)
	v_fma_f64 v[103:104], v[83:84], v[110:111], -v[103:104]
	v_fma_f64 v[97:98], v[85:86], v[110:111], v[97:98]
	ds_read_b128 v[83:86], v1 offset:960
	s_waitcnt vmcnt(46)
	v_fma_f64 v[107:108], v[75:76], v[114:115], -v[107:108]
	v_add_f64 v[91:92], v[91:92], v[99:100]
	v_add_f64 v[2:3], v[2:3], v[95:96]
	s_waitcnt lgkmcnt(1)
	v_mul_f64 v[99:100], v[81:82], v[112:113]
	v_mul_f64 v[95:96], v[79:80], v[112:113]
	s_waitcnt vmcnt(44) lgkmcnt(0)
	v_mul_f64 v[110:111], v[85:86], v[116:117]
	v_add_f64 v[91:92], v[91:92], v[103:104]
	v_fma_f64 v[103:104], v[77:78], v[114:115], v[144:145]
	v_add_f64 v[2:3], v[2:3], v[97:98]
	s_waitcnt vmcnt(42)
	v_fma_f64 v[99:100], v[79:80], v[118:119], -v[99:100]
	ds_read_b128 v[75:78], v1 offset:976
	v_mul_f64 v[97:98], v[83:84], v[116:117]
	v_fma_f64 v[95:96], v[81:82], v[118:119], v[95:96]
	ds_read_b128 v[79:82], v1 offset:992
	s_waitcnt vmcnt(38)
	v_fma_f64 v[110:111], v[83:84], v[122:123], -v[110:111]
	v_add_f64 v[91:92], v[91:92], v[107:108]
	v_add_f64 v[2:3], v[2:3], v[103:104]
	s_waitcnt lgkmcnt(1)
	v_mul_f64 v[107:108], v[77:78], v[120:121]
	v_mul_f64 v[103:104], v[75:76], v[120:121]
	v_fma_f64 v[97:98], v[85:86], v[122:123], v[97:98]
	ds_read_b128 v[83:86], v1 offset:1008
	v_add_f64 v[91:92], v[91:92], v[99:100]
	s_waitcnt vmcnt(36) lgkmcnt(1)
	v_mul_f64 v[99:100], v[81:82], v[124:125]
	v_add_f64 v[2:3], v[2:3], v[95:96]
	s_waitcnt vmcnt(34)
	v_fma_f64 v[107:108], v[75:76], v[126:127], -v[107:108]
	v_mul_f64 v[95:96], v[79:80], v[124:125]
	v_fma_f64 v[103:104], v[77:78], v[126:127], v[103:104]
	ds_read_b128 v[75:78], v1 offset:1024
	v_add_f64 v[91:92], v[91:92], v[110:111]
	s_waitcnt vmcnt(32) lgkmcnt(1)
	v_mul_f64 v[110:111], v[85:86], v[128:129]
	v_add_f64 v[2:3], v[2:3], v[97:98]
	s_waitcnt vmcnt(30)
	v_fma_f64 v[99:100], v[79:80], v[130:131], -v[99:100]
	;; [unrolled: 9-line block ×6, first 2 shown]
	v_mul_f64 v[103:104], v[75:76], v[146:147]
	v_fma_f64 v[85:86], v[85:86], v[148:149], v[97:98]
	v_add_f64 v[91:92], v[91:92], v[99:100]
	v_add_f64 v[95:96], v[2:3], v[95:96]
	ds_read_b128 v[1:4], v1 offset:1104
	s_waitcnt vmcnt(12) lgkmcnt(1)
	v_mul_f64 v[97:98], v[79:80], v[89:90]
	v_mul_f64 v[89:90], v[81:82], v[89:90]
	s_waitcnt vmcnt(10)
	v_fma_f64 v[75:76], v[75:76], v[152:153], -v[107:108]
	v_fma_f64 v[77:78], v[77:78], v[152:153], v[103:104]
	v_add_f64 v[83:84], v[91:92], v[83:84]
	s_waitcnt vmcnt(8) lgkmcnt(0)
	v_mul_f64 v[91:92], v[1:2], v[93:94]
	v_add_f64 v[85:86], v[95:96], v[85:86]
	v_mul_f64 v[93:94], v[3:4], v[93:94]
	s_waitcnt vmcnt(6)
	v_fma_f64 v[81:82], v[81:82], v[156:157], v[97:98]
	v_fma_f64 v[79:80], v[79:80], v[156:157], -v[89:90]
	v_add_f64 v[75:76], v[83:84], v[75:76]
	v_add_f64 v[77:78], v[85:86], v[77:78]
	s_waitcnt vmcnt(4)
	v_fma_f64 v[1:2], v[1:2], v[87:88], -v[93:94]
	v_fma_f64 v[3:4], v[3:4], v[87:88], v[91:92]
	v_add_f64 v[75:76], v[75:76], v[79:80]
	v_add_f64 v[77:78], v[77:78], v[81:82]
	v_add_f64 v[1:2], v[75:76], v[1:2]
	v_add_f64 v[3:4], v[77:78], v[3:4]
	s_waitcnt vmcnt(2)
	v_add_f64 v[1:2], v[101:102], -v[1:2]
	s_waitcnt vmcnt(0)
	v_add_f64 v[3:4], v[105:106], -v[3:4]
	buffer_store_dword v2, off, s[0:3], 0 offset:276
	buffer_store_dword v1, off, s[0:3], 0 offset:272
	;; [unrolled: 1-line block ×4, first 2 shown]
	v_cmpx_lt_u32_e32 15, v0
	s_cbranch_execz .LBB98_193
; %bb.192:
	v_mov_b32_e32 v4, s31
	v_mov_b32_e32 v75, 0
	s_clause 0x3
	buffer_load_dword v1, v4, s[0:3], 0 offen
	buffer_load_dword v2, v4, s[0:3], 0 offen offset:4
	buffer_load_dword v3, v4, s[0:3], 0 offen offset:8
	;; [unrolled: 1-line block ×3, first 2 shown]
	buffer_store_dword v75, off, s[0:3], 0 offset:256
	buffer_store_dword v75, off, s[0:3], 0 offset:260
	;; [unrolled: 1-line block ×4, first 2 shown]
	s_waitcnt vmcnt(0)
	ds_write_b128 v109, v[1:4]
.LBB98_193:
	s_or_b32 exec_lo, exec_lo, s4
	s_waitcnt lgkmcnt(0)
	s_waitcnt_vscnt null, 0x0
	s_barrier
	buffer_gl0_inv
	s_clause 0x37
	buffer_load_dword v2, off, s[0:3], 0 offset:280
	buffer_load_dword v3, off, s[0:3], 0 offset:284
	;; [unrolled: 1-line block ×56, first 2 shown]
	v_mov_b32_e32 v1, 0
	s_mov_b32 s4, exec_lo
	ds_read_b128 v[75:78], v1 offset:816
	s_clause 0x2
	buffer_load_dword v141, off, s[0:3], 0 offset:508
	buffer_load_dword v145, off, s[0:3], 0 offset:484
	;; [unrolled: 1-line block ×3, first 2 shown]
	ds_read_b128 v[79:82], v1 offset:832
	s_clause 0x4
	buffer_load_dword v149, off, s[0:3], 0 offset:524
	buffer_load_dword v150, off, s[0:3], 0 offset:536
	;; [unrolled: 1-line block ×5, first 2 shown]
	ds_read_b128 v[83:86], v1 offset:848
	s_waitcnt vmcnt(62) lgkmcnt(2)
	v_mul_f64 v[146:147], v[77:78], v[2:3]
	v_mul_f64 v[2:3], v[75:76], v[2:3]
	s_waitcnt vmcnt(60) lgkmcnt(1)
	v_mul_f64 v[153:154], v[81:82], v[87:88]
	v_mul_f64 v[87:88], v[79:80], v[87:88]
	;; [unrolled: 3-line block ×3, first 2 shown]
	v_fma_f64 v[146:147], v[75:76], v[89:90], -v[146:147]
	v_fma_f64 v[2:3], v[77:78], v[89:90], v[2:3]
	s_clause 0x2
	buffer_load_dword v151, off, s[0:3], 0 offset:540
	buffer_load_dword v90, off, s[0:3], 0 offset:516
	;; [unrolled: 1-line block ×3, first 2 shown]
	s_waitcnt vmcnt(57)
	v_fma_f64 v[157:158], v[79:80], v[93:94], -v[153:154]
	ds_read_b128 v[75:78], v1 offset:864
	v_fma_f64 v[87:88], v[81:82], v[93:94], v[87:88]
	s_clause 0x4
	buffer_load_dword v94, off, s[0:3], 0 offset:556
	buffer_load_dword v154, off, s[0:3], 0 offset:568
	buffer_load_dword v159, off, s[0:3], 0 offset:560
	buffer_load_dword v93, off, s[0:3], 0 offset:552
	buffer_load_dword v153, off, s[0:3], 0 offset:532
	s_waitcnt vmcnt(56)
	v_fma_f64 v[91:92], v[83:84], v[101:102], -v[91:92]
	ds_read_b128 v[79:82], v1 offset:880
	v_fma_f64 v[101:102], v[85:86], v[101:102], v[155:156]
	v_add_f64 v[146:147], v[146:147], 0
	v_add_f64 v[2:3], v[2:3], 0
	s_waitcnt lgkmcnt(1)
	v_mul_f64 v[160:161], v[75:76], v[95:96]
	v_mul_f64 v[95:96], v[77:78], v[95:96]
	v_add_f64 v[146:147], v[146:147], v[157:158]
	v_add_f64 v[2:3], v[2:3], v[87:88]
	s_clause 0x2
	buffer_load_dword v155, off, s[0:3], 0 offset:572
	buffer_load_dword v88, off, s[0:3], 0 offset:548
	;; [unrolled: 1-line block ×3, first 2 shown]
	s_waitcnt vmcnt(58) lgkmcnt(0)
	v_mul_f64 v[156:157], v[79:80], v[97:98]
	v_mul_f64 v[97:98], v[81:82], v[97:98]
	s_waitcnt vmcnt(56)
	v_fma_f64 v[95:96], v[75:76], v[103:104], -v[95:96]
	ds_read_b128 v[83:86], v1 offset:896
	v_fma_f64 v[103:104], v[77:78], v[103:104], v[160:161]
	buffer_load_dword v160, off, s[0:3], 0 offset:564
	ds_read_b128 v[75:78], v1 offset:912
	v_add_f64 v[91:92], v[146:147], v[91:92]
	v_add_f64 v[2:3], v[2:3], v[101:102]
	s_waitcnt vmcnt(53) lgkmcnt(1)
	v_mul_f64 v[101:102], v[83:84], v[105:106]
	v_mul_f64 v[105:106], v[85:86], v[105:106]
	s_waitcnt vmcnt(52)
	v_fma_f64 v[97:98], v[79:80], v[99:100], -v[97:98]
	v_add_f64 v[91:92], v[91:92], v[95:96]
	v_fma_f64 v[95:96], v[81:82], v[99:100], v[156:157]
	v_add_f64 v[2:3], v[2:3], v[103:104]
	s_waitcnt vmcnt(51) lgkmcnt(0)
	v_mul_f64 v[103:104], v[77:78], v[107:108]
	ds_read_b128 v[79:82], v1 offset:928
	s_waitcnt vmcnt(49)
	v_fma_f64 v[105:106], v[83:84], v[112:113], -v[105:106]
	v_mul_f64 v[99:100], v[75:76], v[107:108]
	v_add_f64 v[91:92], v[91:92], v[97:98]
	v_fma_f64 v[97:98], v[85:86], v[112:113], v[101:102]
	v_add_f64 v[2:3], v[2:3], v[95:96]
	s_clause 0x3
	buffer_load_dword v95, off, s[0:3], 0 offset:256
	buffer_load_dword v96, off, s[0:3], 0 offset:260
	;; [unrolled: 1-line block ×4, first 2 shown]
	s_waitcnt vmcnt(49) lgkmcnt(0)
	v_mul_f64 v[112:113], v[81:82], v[114:115]
	s_waitcnt vmcnt(48)
	v_fma_f64 v[103:104], v[75:76], v[110:111], -v[103:104]
	ds_read_b128 v[83:86], v1 offset:944
	v_mul_f64 v[107:108], v[79:80], v[114:115]
	v_fma_f64 v[99:100], v[77:78], v[110:111], v[99:100]
	ds_read_b128 v[75:78], v1 offset:960
	v_add_f64 v[91:92], v[91:92], v[105:106]
	v_add_f64 v[2:3], v[2:3], v[97:98]
	s_waitcnt vmcnt(47) lgkmcnt(1)
	v_mul_f64 v[105:106], v[85:86], v[116:117]
	s_waitcnt vmcnt(45)
	v_fma_f64 v[110:111], v[79:80], v[120:121], -v[112:113]
	v_mul_f64 v[97:98], v[83:84], v[116:117]
	v_add_f64 v[91:92], v[91:92], v[103:104]
	v_fma_f64 v[103:104], v[81:82], v[120:121], v[107:108]
	v_add_f64 v[2:3], v[2:3], v[99:100]
	s_waitcnt vmcnt(41) lgkmcnt(0)
	v_mul_f64 v[107:108], v[77:78], v[122:123]
	s_waitcnt vmcnt(40)
	v_fma_f64 v[105:106], v[83:84], v[118:119], -v[105:106]
	ds_read_b128 v[79:82], v1 offset:976
	v_mul_f64 v[99:100], v[75:76], v[122:123]
	v_fma_f64 v[97:98], v[85:86], v[118:119], v[97:98]
	ds_read_b128 v[83:86], v1 offset:992
	v_add_f64 v[91:92], v[91:92], v[110:111]
	v_add_f64 v[2:3], v[2:3], v[103:104]
	s_waitcnt vmcnt(39) lgkmcnt(1)
	v_mul_f64 v[110:111], v[81:82], v[124:125]
	s_waitcnt vmcnt(37)
	v_fma_f64 v[107:108], v[75:76], v[128:129], -v[107:108]
	v_mul_f64 v[103:104], v[79:80], v[124:125]
	v_fma_f64 v[99:100], v[77:78], v[128:129], v[99:100]
	ds_read_b128 v[75:78], v1 offset:1008
	v_add_f64 v[91:92], v[91:92], v[105:106]
	s_waitcnt vmcnt(33) lgkmcnt(1)
	v_mul_f64 v[105:106], v[85:86], v[130:131]
	v_add_f64 v[2:3], v[2:3], v[97:98]
	s_waitcnt vmcnt(32)
	v_fma_f64 v[110:111], v[79:80], v[126:127], -v[110:111]
	v_mul_f64 v[97:98], v[83:84], v[130:131]
	v_fma_f64 v[103:104], v[81:82], v[126:127], v[103:104]
	ds_read_b128 v[79:82], v1 offset:1024
	v_add_f64 v[91:92], v[91:92], v[107:108]
	s_waitcnt vmcnt(31) lgkmcnt(1)
	v_mul_f64 v[107:108], v[77:78], v[132:133]
	v_add_f64 v[2:3], v[2:3], v[99:100]
	;; [unrolled: 9-line block ×5, first 2 shown]
	s_waitcnt vmcnt(16)
	v_fma_f64 v[105:106], v[83:84], v[142:143], -v[105:106]
	v_mul_f64 v[99:100], v[75:76], v[148:149]
	v_fma_f64 v[97:98], v[85:86], v[142:143], v[97:98]
	ds_read_b128 v[83:86], v1 offset:1088
	v_add_f64 v[91:92], v[91:92], v[110:111]
	v_add_f64 v[2:3], v[2:3], v[103:104]
	s_waitcnt vmcnt(15) lgkmcnt(1)
	v_mul_f64 v[110:111], v[81:82], v[150:151]
	v_mul_f64 v[103:104], v[79:80], v[150:151]
	s_waitcnt vmcnt(13)
	v_fma_f64 v[107:108], v[75:76], v[89:90], -v[107:108]
	v_fma_f64 v[89:90], v[77:78], v[89:90], v[99:100]
	ds_read_b128 v[75:78], v1 offset:1104
	v_add_f64 v[91:92], v[91:92], v[105:106]
	v_add_f64 v[2:3], v[2:3], v[97:98]
	s_waitcnt vmcnt(9) lgkmcnt(1)
	v_mul_f64 v[97:98], v[83:84], v[93:94]
	v_mul_f64 v[93:94], v[85:86], v[93:94]
	s_waitcnt vmcnt(8)
	v_fma_f64 v[79:80], v[79:80], v[152:153], -v[110:111]
	v_fma_f64 v[81:82], v[81:82], v[152:153], v[103:104]
	v_add_f64 v[91:92], v[91:92], v[107:108]
	v_add_f64 v[2:3], v[2:3], v[89:90]
	s_waitcnt vmcnt(7) lgkmcnt(0)
	v_mul_f64 v[99:100], v[77:78], v[154:155]
	v_mul_f64 v[89:90], v[75:76], v[154:155]
	s_waitcnt vmcnt(5)
	v_fma_f64 v[83:84], v[83:84], v[87:88], -v[93:94]
	v_fma_f64 v[85:86], v[85:86], v[87:88], v[97:98]
	v_add_f64 v[79:80], v[91:92], v[79:80]
	v_add_f64 v[2:3], v[2:3], v[81:82]
	s_waitcnt vmcnt(4)
	v_fma_f64 v[75:76], v[75:76], v[159:160], -v[99:100]
	v_fma_f64 v[77:78], v[77:78], v[159:160], v[89:90]
	v_add_f64 v[79:80], v[79:80], v[83:84]
	v_add_f64 v[2:3], v[2:3], v[85:86]
	;; [unrolled: 1-line block ×4, first 2 shown]
	s_waitcnt vmcnt(2)
	v_add_f64 v[75:76], v[95:96], -v[75:76]
	s_waitcnt vmcnt(0)
	v_add_f64 v[2:3], v[101:102], -v[2:3]
	buffer_store_dword v76, off, s[0:3], 0 offset:260
	buffer_store_dword v75, off, s[0:3], 0 offset:256
	;; [unrolled: 1-line block ×4, first 2 shown]
	v_cmpx_lt_u32_e32 14, v0
	s_cbranch_execz .LBB98_195
; %bb.194:
	v_mov_b32_e32 v2, s33
	s_clause 0x3
	buffer_load_dword v75, v2, s[0:3], 0 offen
	buffer_load_dword v76, v2, s[0:3], 0 offen offset:4
	buffer_load_dword v77, v2, s[0:3], 0 offen offset:8
	buffer_load_dword v78, v2, s[0:3], 0 offen offset:12
	buffer_store_dword v1, off, s[0:3], 0 offset:240
	buffer_store_dword v1, off, s[0:3], 0 offset:244
	;; [unrolled: 1-line block ×4, first 2 shown]
	s_waitcnt vmcnt(0)
	ds_write_b128 v109, v[75:78]
.LBB98_195:
	s_or_b32 exec_lo, exec_lo, s4
	s_waitcnt lgkmcnt(0)
	s_waitcnt_vscnt null, 0x0
	s_barrier
	buffer_gl0_inv
	s_clause 0x37
	buffer_load_dword v2, off, s[0:3], 0 offset:264
	buffer_load_dword v3, off, s[0:3], 0 offset:268
	;; [unrolled: 1-line block ×56, first 2 shown]
	ds_read_b128 v[75:78], v1 offset:800
	s_clause 0x2
	buffer_load_dword v141, off, s[0:3], 0 offset:492
	buffer_load_dword v145, off, s[0:3], 0 offset:468
	buffer_load_dword v144, off, s[0:3], 0 offset:464
	ds_read_b128 v[79:82], v1 offset:816
	s_clause 0x4
	buffer_load_dword v149, off, s[0:3], 0 offset:508
	buffer_load_dword v150, off, s[0:3], 0 offset:520
	;; [unrolled: 1-line block ×5, first 2 shown]
	ds_read_b128 v[83:86], v1 offset:832
	s_mov_b32 s4, exec_lo
	s_waitcnt vmcnt(62) lgkmcnt(2)
	v_mul_f64 v[146:147], v[77:78], v[2:3]
	v_mul_f64 v[2:3], v[75:76], v[2:3]
	s_waitcnt vmcnt(60) lgkmcnt(1)
	v_mul_f64 v[153:154], v[81:82], v[87:88]
	v_mul_f64 v[87:88], v[79:80], v[87:88]
	;; [unrolled: 3-line block ×3, first 2 shown]
	v_fma_f64 v[146:147], v[75:76], v[89:90], -v[146:147]
	v_fma_f64 v[2:3], v[77:78], v[89:90], v[2:3]
	s_clause 0x2
	buffer_load_dword v151, off, s[0:3], 0 offset:524
	buffer_load_dword v90, off, s[0:3], 0 offset:500
	;; [unrolled: 1-line block ×3, first 2 shown]
	s_waitcnt vmcnt(57)
	v_fma_f64 v[157:158], v[79:80], v[93:94], -v[153:154]
	ds_read_b128 v[75:78], v1 offset:848
	v_fma_f64 v[87:88], v[81:82], v[93:94], v[87:88]
	s_clause 0x4
	buffer_load_dword v94, off, s[0:3], 0 offset:540
	buffer_load_dword v154, off, s[0:3], 0 offset:552
	buffer_load_dword v159, off, s[0:3], 0 offset:544
	buffer_load_dword v93, off, s[0:3], 0 offset:536
	buffer_load_dword v153, off, s[0:3], 0 offset:516
	s_waitcnt vmcnt(56)
	v_fma_f64 v[91:92], v[83:84], v[101:102], -v[91:92]
	ds_read_b128 v[79:82], v1 offset:864
	v_fma_f64 v[101:102], v[85:86], v[101:102], v[155:156]
	v_add_f64 v[146:147], v[146:147], 0
	v_add_f64 v[2:3], v[2:3], 0
	s_waitcnt lgkmcnt(1)
	v_mul_f64 v[160:161], v[75:76], v[95:96]
	v_mul_f64 v[95:96], v[77:78], v[95:96]
	v_add_f64 v[146:147], v[146:147], v[157:158]
	v_add_f64 v[2:3], v[2:3], v[87:88]
	s_clause 0x2
	buffer_load_dword v155, off, s[0:3], 0 offset:556
	buffer_load_dword v88, off, s[0:3], 0 offset:532
	;; [unrolled: 1-line block ×3, first 2 shown]
	s_waitcnt vmcnt(58) lgkmcnt(0)
	v_mul_f64 v[156:157], v[79:80], v[97:98]
	v_mul_f64 v[97:98], v[81:82], v[97:98]
	s_waitcnt vmcnt(56)
	v_fma_f64 v[95:96], v[75:76], v[103:104], -v[95:96]
	ds_read_b128 v[83:86], v1 offset:880
	v_fma_f64 v[103:104], v[77:78], v[103:104], v[160:161]
	v_add_f64 v[91:92], v[146:147], v[91:92]
	v_add_f64 v[2:3], v[2:3], v[101:102]
	s_clause 0x2
	buffer_load_dword v102, off, s[0:3], 0 offset:572
	buffer_load_dword v101, off, s[0:3], 0 offset:568
	;; [unrolled: 1-line block ×3, first 2 shown]
	ds_read_b128 v[75:78], v1 offset:896
	s_waitcnt vmcnt(55) lgkmcnt(1)
	v_mul_f64 v[146:147], v[83:84], v[105:106]
	v_mul_f64 v[105:106], v[85:86], v[105:106]
	s_waitcnt vmcnt(54)
	v_fma_f64 v[97:98], v[79:80], v[99:100], -v[97:98]
	v_add_f64 v[91:92], v[91:92], v[95:96]
	v_fma_f64 v[95:96], v[81:82], v[99:100], v[156:157]
	v_add_f64 v[2:3], v[2:3], v[103:104]
	s_clause 0x1
	buffer_load_dword v100, off, s[0:3], 0 offset:564
	buffer_load_dword v99, off, s[0:3], 0 offset:560
	s_waitcnt vmcnt(55) lgkmcnt(0)
	v_mul_f64 v[103:104], v[75:76], v[107:108]
	v_mul_f64 v[107:108], v[77:78], v[107:108]
	s_waitcnt vmcnt(53)
	v_fma_f64 v[105:106], v[83:84], v[112:113], -v[105:106]
	ds_read_b128 v[79:82], v1 offset:912
	v_add_f64 v[91:92], v[91:92], v[97:98]
	v_fma_f64 v[97:98], v[85:86], v[112:113], v[146:147]
	v_add_f64 v[2:3], v[2:3], v[95:96]
	ds_read_b128 v[83:86], v1 offset:928
	s_waitcnt vmcnt(48)
	v_fma_f64 v[103:104], v[77:78], v[110:111], v[103:104]
	s_waitcnt lgkmcnt(1)
	v_mul_f64 v[112:113], v[81:82], v[114:115]
	v_fma_f64 v[107:108], v[75:76], v[110:111], -v[107:108]
	v_mul_f64 v[95:96], v[79:80], v[114:115]
	v_add_f64 v[91:92], v[91:92], v[105:106]
	s_waitcnt vmcnt(47) lgkmcnt(0)
	v_mul_f64 v[114:115], v[85:86], v[116:117]
	v_add_f64 v[2:3], v[2:3], v[97:98]
	s_clause 0x3
	buffer_load_dword v97, off, s[0:3], 0 offset:240
	buffer_load_dword v98, off, s[0:3], 0 offset:244
	;; [unrolled: 1-line block ×4, first 2 shown]
	ds_read_b128 v[75:78], v1 offset:944
	s_waitcnt vmcnt(49)
	v_fma_f64 v[112:113], v[79:80], v[120:121], -v[112:113]
	v_mul_f64 v[110:111], v[83:84], v[116:117]
	v_fma_f64 v[95:96], v[81:82], v[120:121], v[95:96]
	ds_read_b128 v[79:82], v1 offset:960
	v_add_f64 v[91:92], v[91:92], v[107:108]
	s_waitcnt vmcnt(44)
	v_fma_f64 v[114:115], v[83:84], v[118:119], -v[114:115]
	v_add_f64 v[2:3], v[2:3], v[103:104]
	s_waitcnt lgkmcnt(1)
	v_mul_f64 v[107:108], v[77:78], v[122:123]
	v_mul_f64 v[103:104], v[75:76], v[122:123]
	v_fma_f64 v[110:111], v[85:86], v[118:119], v[110:111]
	ds_read_b128 v[83:86], v1 offset:976
	v_add_f64 v[91:92], v[91:92], v[112:113]
	s_waitcnt vmcnt(43) lgkmcnt(1)
	v_mul_f64 v[112:113], v[81:82], v[124:125]
	v_add_f64 v[2:3], v[2:3], v[95:96]
	s_waitcnt vmcnt(41)
	v_fma_f64 v[107:108], v[75:76], v[128:129], -v[107:108]
	v_mul_f64 v[95:96], v[79:80], v[124:125]
	v_fma_f64 v[103:104], v[77:78], v[128:129], v[103:104]
	ds_read_b128 v[75:78], v1 offset:992
	v_add_f64 v[91:92], v[91:92], v[114:115]
	s_waitcnt vmcnt(37) lgkmcnt(1)
	v_mul_f64 v[114:115], v[85:86], v[130:131]
	v_add_f64 v[2:3], v[2:3], v[110:111]
	s_waitcnt vmcnt(36)
	v_fma_f64 v[112:113], v[79:80], v[126:127], -v[112:113]
	;; [unrolled: 9-line block ×6, first 2 shown]
	v_mul_f64 v[103:104], v[75:76], v[148:149]
	v_fma_f64 v[110:111], v[85:86], v[142:143], v[110:111]
	ds_read_b128 v[83:86], v1 offset:1072
	v_add_f64 v[91:92], v[91:92], v[112:113]
	v_add_f64 v[2:3], v[2:3], v[95:96]
	s_waitcnt vmcnt(19) lgkmcnt(1)
	v_mul_f64 v[112:113], v[81:82], v[150:151]
	v_mul_f64 v[95:96], v[79:80], v[150:151]
	s_waitcnt vmcnt(17)
	v_fma_f64 v[107:108], v[75:76], v[89:90], -v[107:108]
	v_fma_f64 v[89:90], v[77:78], v[89:90], v[103:104]
	ds_read_b128 v[75:78], v1 offset:1088
	s_waitcnt vmcnt(13) lgkmcnt(1)
	v_mul_f64 v[103:104], v[83:84], v[93:94]
	v_mul_f64 v[93:94], v[85:86], v[93:94]
	v_add_f64 v[91:92], v[91:92], v[114:115]
	v_add_f64 v[2:3], v[2:3], v[110:111]
	s_waitcnt vmcnt(12)
	v_fma_f64 v[79:80], v[79:80], v[152:153], -v[112:113]
	v_fma_f64 v[81:82], v[81:82], v[152:153], v[95:96]
	v_add_f64 v[91:92], v[91:92], v[107:108]
	v_add_f64 v[89:90], v[2:3], v[89:90]
	ds_read_b128 v[1:4], v1 offset:1104
	s_waitcnt vmcnt(11) lgkmcnt(1)
	v_mul_f64 v[107:108], v[77:78], v[154:155]
	v_mul_f64 v[95:96], v[75:76], v[154:155]
	s_waitcnt vmcnt(9)
	v_fma_f64 v[83:84], v[83:84], v[87:88], -v[93:94]
	v_fma_f64 v[85:86], v[85:86], v[87:88], v[103:104]
	v_add_f64 v[79:80], v[91:92], v[79:80]
	v_add_f64 v[81:82], v[89:90], v[81:82]
	s_waitcnt vmcnt(7) lgkmcnt(0)
	v_mul_f64 v[89:90], v[3:4], v[101:102]
	s_waitcnt vmcnt(6)
	v_fma_f64 v[75:76], v[75:76], v[159:160], -v[107:108]
	v_mul_f64 v[87:88], v[1:2], v[101:102]
	v_fma_f64 v[77:78], v[77:78], v[159:160], v[95:96]
	v_add_f64 v[79:80], v[79:80], v[83:84]
	v_add_f64 v[81:82], v[81:82], v[85:86]
	s_waitcnt vmcnt(4)
	v_fma_f64 v[1:2], v[1:2], v[99:100], -v[89:90]
	v_fma_f64 v[3:4], v[3:4], v[99:100], v[87:88]
	v_add_f64 v[75:76], v[79:80], v[75:76]
	v_add_f64 v[77:78], v[81:82], v[77:78]
	;; [unrolled: 1-line block ×4, first 2 shown]
	s_waitcnt vmcnt(2)
	v_add_f64 v[1:2], v[97:98], -v[1:2]
	s_waitcnt vmcnt(0)
	v_add_f64 v[3:4], v[105:106], -v[3:4]
	buffer_store_dword v2, off, s[0:3], 0 offset:244
	buffer_store_dword v1, off, s[0:3], 0 offset:240
	;; [unrolled: 1-line block ×4, first 2 shown]
	v_cmpx_lt_u32_e32 13, v0
	s_cbranch_execz .LBB98_197
; %bb.196:
	v_mov_b32_e32 v4, s34
	v_mov_b32_e32 v75, 0
	s_clause 0x3
	buffer_load_dword v1, v4, s[0:3], 0 offen
	buffer_load_dword v2, v4, s[0:3], 0 offen offset:4
	buffer_load_dword v3, v4, s[0:3], 0 offen offset:8
	;; [unrolled: 1-line block ×3, first 2 shown]
	buffer_store_dword v75, off, s[0:3], 0 offset:224
	buffer_store_dword v75, off, s[0:3], 0 offset:228
	;; [unrolled: 1-line block ×4, first 2 shown]
	s_waitcnt vmcnt(0)
	ds_write_b128 v109, v[1:4]
.LBB98_197:
	s_or_b32 exec_lo, exec_lo, s4
	s_waitcnt lgkmcnt(0)
	s_waitcnt_vscnt null, 0x0
	s_barrier
	buffer_gl0_inv
	s_clause 0x37
	buffer_load_dword v2, off, s[0:3], 0 offset:248
	buffer_load_dword v3, off, s[0:3], 0 offset:252
	;; [unrolled: 1-line block ×56, first 2 shown]
	v_mov_b32_e32 v1, 0
	s_mov_b32 s4, exec_lo
	ds_read_b128 v[75:78], v1 offset:784
	s_clause 0x2
	buffer_load_dword v141, off, s[0:3], 0 offset:476
	buffer_load_dword v145, off, s[0:3], 0 offset:452
	;; [unrolled: 1-line block ×3, first 2 shown]
	ds_read_b128 v[79:82], v1 offset:800
	s_clause 0x4
	buffer_load_dword v149, off, s[0:3], 0 offset:492
	buffer_load_dword v150, off, s[0:3], 0 offset:504
	;; [unrolled: 1-line block ×5, first 2 shown]
	ds_read_b128 v[83:86], v1 offset:816
	s_waitcnt vmcnt(62) lgkmcnt(2)
	v_mul_f64 v[146:147], v[77:78], v[2:3]
	v_mul_f64 v[2:3], v[75:76], v[2:3]
	s_waitcnt vmcnt(60) lgkmcnt(1)
	v_mul_f64 v[153:154], v[81:82], v[87:88]
	v_mul_f64 v[87:88], v[79:80], v[87:88]
	s_waitcnt vmcnt(56) lgkmcnt(0)
	v_mul_f64 v[155:156], v[83:84], v[91:92]
	v_mul_f64 v[91:92], v[85:86], v[91:92]
	v_fma_f64 v[146:147], v[75:76], v[89:90], -v[146:147]
	v_fma_f64 v[2:3], v[77:78], v[89:90], v[2:3]
	s_clause 0x2
	buffer_load_dword v151, off, s[0:3], 0 offset:508
	buffer_load_dword v90, off, s[0:3], 0 offset:484
	;; [unrolled: 1-line block ×3, first 2 shown]
	s_waitcnt vmcnt(57)
	v_fma_f64 v[157:158], v[79:80], v[93:94], -v[153:154]
	ds_read_b128 v[75:78], v1 offset:832
	v_fma_f64 v[87:88], v[81:82], v[93:94], v[87:88]
	s_clause 0x4
	buffer_load_dword v94, off, s[0:3], 0 offset:524
	buffer_load_dword v154, off, s[0:3], 0 offset:536
	;; [unrolled: 1-line block ×5, first 2 shown]
	s_waitcnt vmcnt(56)
	v_fma_f64 v[91:92], v[83:84], v[101:102], -v[91:92]
	ds_read_b128 v[79:82], v1 offset:848
	v_fma_f64 v[101:102], v[85:86], v[101:102], v[155:156]
	v_add_f64 v[146:147], v[146:147], 0
	v_add_f64 v[2:3], v[2:3], 0
	s_waitcnt lgkmcnt(1)
	v_mul_f64 v[160:161], v[75:76], v[95:96]
	v_mul_f64 v[95:96], v[77:78], v[95:96]
	v_add_f64 v[146:147], v[146:147], v[157:158]
	v_add_f64 v[2:3], v[2:3], v[87:88]
	s_clause 0x2
	buffer_load_dword v155, off, s[0:3], 0 offset:540
	buffer_load_dword v88, off, s[0:3], 0 offset:516
	;; [unrolled: 1-line block ×3, first 2 shown]
	s_waitcnt vmcnt(58) lgkmcnt(0)
	v_mul_f64 v[156:157], v[79:80], v[97:98]
	v_mul_f64 v[97:98], v[81:82], v[97:98]
	s_waitcnt vmcnt(56)
	v_fma_f64 v[95:96], v[75:76], v[103:104], -v[95:96]
	ds_read_b128 v[83:86], v1 offset:864
	v_fma_f64 v[103:104], v[77:78], v[103:104], v[160:161]
	v_add_f64 v[91:92], v[146:147], v[91:92]
	v_add_f64 v[2:3], v[2:3], v[101:102]
	s_clause 0x4
	buffer_load_dword v102, off, s[0:3], 0 offset:556
	buffer_load_dword v146, off, s[0:3], 0 offset:568
	;; [unrolled: 1-line block ×5, first 2 shown]
	ds_read_b128 v[75:78], v1 offset:880
	s_waitcnt vmcnt(57) lgkmcnt(1)
	v_mul_f64 v[162:163], v[83:84], v[105:106]
	v_mul_f64 v[105:106], v[85:86], v[105:106]
	s_waitcnt vmcnt(56)
	v_fma_f64 v[97:98], v[79:80], v[99:100], -v[97:98]
	v_add_f64 v[91:92], v[91:92], v[95:96]
	v_fma_f64 v[95:96], v[81:82], v[99:100], v[156:157]
	v_add_f64 v[2:3], v[2:3], v[103:104]
	s_clause 0x2
	buffer_load_dword v147, off, s[0:3], 0 offset:572
	buffer_load_dword v100, off, s[0:3], 0 offset:548
	;; [unrolled: 1-line block ×3, first 2 shown]
	s_waitcnt vmcnt(58) lgkmcnt(0)
	v_mul_f64 v[103:104], v[75:76], v[107:108]
	v_mul_f64 v[107:108], v[77:78], v[107:108]
	s_waitcnt vmcnt(56)
	v_fma_f64 v[105:106], v[83:84], v[112:113], -v[105:106]
	ds_read_b128 v[79:82], v1 offset:896
	v_add_f64 v[91:92], v[91:92], v[97:98]
	v_fma_f64 v[97:98], v[85:86], v[112:113], v[162:163]
	v_add_f64 v[2:3], v[2:3], v[95:96]
	buffer_load_dword v162, off, s[0:3], 0 offset:564
	ds_read_b128 v[83:86], v1 offset:912
	s_waitcnt vmcnt(53) lgkmcnt(1)
	v_mul_f64 v[112:113], v[81:82], v[114:115]
	s_waitcnt vmcnt(52)
	v_fma_f64 v[107:108], v[75:76], v[110:111], -v[107:108]
	v_mul_f64 v[95:96], v[79:80], v[114:115]
	v_fma_f64 v[103:104], v[77:78], v[110:111], v[103:104]
	ds_read_b128 v[75:78], v1 offset:928
	v_add_f64 v[91:92], v[91:92], v[105:106]
	v_add_f64 v[2:3], v[2:3], v[97:98]
	s_waitcnt vmcnt(51) lgkmcnt(1)
	v_mul_f64 v[105:106], v[85:86], v[116:117]
	v_mul_f64 v[97:98], v[83:84], v[116:117]
	s_waitcnt vmcnt(49)
	v_fma_f64 v[110:111], v[79:80], v[120:121], -v[112:113]
	v_fma_f64 v[95:96], v[81:82], v[120:121], v[95:96]
	s_waitcnt vmcnt(45) lgkmcnt(0)
	v_mul_f64 v[114:115], v[77:78], v[122:123]
	v_mul_f64 v[112:113], v[75:76], v[122:123]
	v_add_f64 v[91:92], v[91:92], v[107:108]
	v_add_f64 v[2:3], v[2:3], v[103:104]
	s_clause 0x3
	buffer_load_dword v103, off, s[0:3], 0 offset:224
	buffer_load_dword v104, off, s[0:3], 0 offset:228
	buffer_load_dword v107, off, s[0:3], 0 offset:232
	buffer_load_dword v108, off, s[0:3], 0 offset:236
	s_waitcnt vmcnt(48)
	v_fma_f64 v[105:106], v[83:84], v[118:119], -v[105:106]
	ds_read_b128 v[79:82], v1 offset:944
	v_fma_f64 v[97:98], v[85:86], v[118:119], v[97:98]
	ds_read_b128 v[83:86], v1 offset:960
	s_waitcnt vmcnt(45)
	v_fma_f64 v[114:115], v[75:76], v[128:129], -v[114:115]
	v_add_f64 v[91:92], v[91:92], v[110:111]
	v_add_f64 v[2:3], v[2:3], v[95:96]
	s_waitcnt lgkmcnt(1)
	v_mul_f64 v[110:111], v[81:82], v[124:125]
	v_mul_f64 v[95:96], v[79:80], v[124:125]
	v_add_f64 v[91:92], v[91:92], v[105:106]
	v_fma_f64 v[105:106], v[77:78], v[128:129], v[112:113]
	v_add_f64 v[2:3], v[2:3], v[97:98]
	s_waitcnt vmcnt(41) lgkmcnt(0)
	v_mul_f64 v[112:113], v[85:86], v[130:131]
	s_waitcnt vmcnt(40)
	v_fma_f64 v[110:111], v[79:80], v[126:127], -v[110:111]
	ds_read_b128 v[75:78], v1 offset:976
	v_mul_f64 v[97:98], v[83:84], v[130:131]
	v_fma_f64 v[95:96], v[81:82], v[126:127], v[95:96]
	ds_read_b128 v[79:82], v1 offset:992
	v_add_f64 v[91:92], v[91:92], v[114:115]
	v_add_f64 v[2:3], v[2:3], v[105:106]
	s_waitcnt vmcnt(39) lgkmcnt(1)
	v_mul_f64 v[114:115], v[77:78], v[132:133]
	s_waitcnt vmcnt(37)
	v_fma_f64 v[112:113], v[83:84], v[136:137], -v[112:113]
	v_mul_f64 v[105:106], v[75:76], v[132:133]
	v_fma_f64 v[97:98], v[85:86], v[136:137], v[97:98]
	ds_read_b128 v[83:86], v1 offset:1008
	v_add_f64 v[91:92], v[91:92], v[110:111]
	s_waitcnt vmcnt(33) lgkmcnt(1)
	v_mul_f64 v[110:111], v[81:82], v[138:139]
	v_add_f64 v[2:3], v[2:3], v[95:96]
	s_waitcnt vmcnt(32)
	v_fma_f64 v[114:115], v[75:76], v[134:135], -v[114:115]
	v_mul_f64 v[95:96], v[79:80], v[138:139]
	v_fma_f64 v[105:106], v[77:78], v[134:135], v[105:106]
	ds_read_b128 v[75:78], v1 offset:1024
	v_add_f64 v[91:92], v[91:92], v[112:113]
	s_waitcnt vmcnt(31) lgkmcnt(1)
	v_mul_f64 v[112:113], v[85:86], v[140:141]
	v_add_f64 v[2:3], v[2:3], v[97:98]
	;; [unrolled: 9-line block ×3, first 2 shown]
	s_waitcnt vmcnt(24)
	v_fma_f64 v[112:113], v[83:84], v[142:143], -v[112:113]
	v_mul_f64 v[105:106], v[75:76], v[148:149]
	v_fma_f64 v[97:98], v[85:86], v[142:143], v[97:98]
	ds_read_b128 v[83:86], v1 offset:1056
	v_add_f64 v[91:92], v[91:92], v[110:111]
	v_add_f64 v[2:3], v[2:3], v[95:96]
	s_waitcnt vmcnt(23) lgkmcnt(1)
	v_mul_f64 v[110:111], v[81:82], v[150:151]
	v_mul_f64 v[95:96], v[79:80], v[150:151]
	s_waitcnt vmcnt(21)
	v_fma_f64 v[114:115], v[75:76], v[89:90], -v[114:115]
	v_fma_f64 v[89:90], v[77:78], v[89:90], v[105:106]
	ds_read_b128 v[75:78], v1 offset:1072
	v_add_f64 v[91:92], v[91:92], v[112:113]
	v_add_f64 v[2:3], v[2:3], v[97:98]
	s_waitcnt vmcnt(17) lgkmcnt(1)
	v_mul_f64 v[97:98], v[83:84], v[93:94]
	v_mul_f64 v[93:94], v[85:86], v[93:94]
	s_waitcnt vmcnt(16)
	v_fma_f64 v[105:106], v[79:80], v[152:153], -v[110:111]
	;; [unrolled: 9-line block ×3, first 2 shown]
	v_fma_f64 v[87:88], v[85:86], v[87:88], v[97:98]
	ds_read_b128 v[83:86], v1 offset:1104
	v_add_f64 v[91:92], v[91:92], v[105:106]
	v_add_f64 v[2:3], v[2:3], v[95:96]
	s_waitcnt vmcnt(9) lgkmcnt(1)
	v_mul_f64 v[97:98], v[81:82], v[101:102]
	s_waitcnt vmcnt(8)
	v_fma_f64 v[75:76], v[75:76], v[159:160], -v[110:111]
	v_mul_f64 v[95:96], v[79:80], v[101:102]
	v_fma_f64 v[77:78], v[77:78], v[159:160], v[89:90]
	v_add_f64 v[91:92], v[91:92], v[93:94]
	v_add_f64 v[2:3], v[2:3], v[87:88]
	s_waitcnt vmcnt(7) lgkmcnt(0)
	v_mul_f64 v[89:90], v[85:86], v[146:147]
	v_mul_f64 v[87:88], v[83:84], v[146:147]
	s_waitcnt vmcnt(5)
	v_fma_f64 v[79:80], v[79:80], v[99:100], -v[97:98]
	v_fma_f64 v[81:82], v[81:82], v[99:100], v[95:96]
	v_add_f64 v[75:76], v[91:92], v[75:76]
	v_add_f64 v[2:3], v[2:3], v[77:78]
	s_waitcnt vmcnt(4)
	v_fma_f64 v[77:78], v[83:84], v[161:162], -v[89:90]
	v_add_f64 v[75:76], v[75:76], v[79:80]
	v_fma_f64 v[79:80], v[85:86], v[161:162], v[87:88]
	v_add_f64 v[2:3], v[2:3], v[81:82]
	v_add_f64 v[75:76], v[75:76], v[77:78]
	;; [unrolled: 1-line block ×3, first 2 shown]
	s_waitcnt vmcnt(2)
	v_add_f64 v[75:76], v[103:104], -v[75:76]
	s_waitcnt vmcnt(0)
	v_add_f64 v[2:3], v[107:108], -v[2:3]
	buffer_store_dword v76, off, s[0:3], 0 offset:228
	buffer_store_dword v75, off, s[0:3], 0 offset:224
	;; [unrolled: 1-line block ×4, first 2 shown]
	v_cmpx_lt_u32_e32 12, v0
	s_cbranch_execz .LBB98_199
; %bb.198:
	v_mov_b32_e32 v2, s35
	s_clause 0x3
	buffer_load_dword v75, v2, s[0:3], 0 offen
	buffer_load_dword v76, v2, s[0:3], 0 offen offset:4
	buffer_load_dword v77, v2, s[0:3], 0 offen offset:8
	;; [unrolled: 1-line block ×3, first 2 shown]
	buffer_store_dword v1, off, s[0:3], 0 offset:208
	buffer_store_dword v1, off, s[0:3], 0 offset:212
	;; [unrolled: 1-line block ×4, first 2 shown]
	s_waitcnt vmcnt(0)
	ds_write_b128 v109, v[75:78]
.LBB98_199:
	s_or_b32 exec_lo, exec_lo, s4
	s_waitcnt lgkmcnt(0)
	s_waitcnt_vscnt null, 0x0
	s_barrier
	buffer_gl0_inv
	s_clause 0x37
	buffer_load_dword v2, off, s[0:3], 0 offset:232
	buffer_load_dword v3, off, s[0:3], 0 offset:236
	;; [unrolled: 1-line block ×56, first 2 shown]
	ds_read_b128 v[75:78], v1 offset:768
	s_clause 0x2
	buffer_load_dword v141, off, s[0:3], 0 offset:460
	buffer_load_dword v145, off, s[0:3], 0 offset:436
	buffer_load_dword v144, off, s[0:3], 0 offset:432
	ds_read_b128 v[79:82], v1 offset:784
	s_clause 0x4
	buffer_load_dword v149, off, s[0:3], 0 offset:476
	buffer_load_dword v150, off, s[0:3], 0 offset:488
	;; [unrolled: 1-line block ×5, first 2 shown]
	ds_read_b128 v[83:86], v1 offset:800
	s_mov_b32 s4, exec_lo
	s_waitcnt vmcnt(62) lgkmcnt(2)
	v_mul_f64 v[146:147], v[77:78], v[2:3]
	v_mul_f64 v[2:3], v[75:76], v[2:3]
	s_waitcnt vmcnt(60) lgkmcnt(1)
	v_mul_f64 v[153:154], v[81:82], v[87:88]
	v_mul_f64 v[87:88], v[79:80], v[87:88]
	;; [unrolled: 3-line block ×3, first 2 shown]
	v_fma_f64 v[146:147], v[75:76], v[89:90], -v[146:147]
	v_fma_f64 v[2:3], v[77:78], v[89:90], v[2:3]
	s_clause 0x2
	buffer_load_dword v151, off, s[0:3], 0 offset:492
	buffer_load_dword v90, off, s[0:3], 0 offset:468
	buffer_load_dword v89, off, s[0:3], 0 offset:464
	s_waitcnt vmcnt(57)
	v_fma_f64 v[157:158], v[79:80], v[93:94], -v[153:154]
	ds_read_b128 v[75:78], v1 offset:816
	v_fma_f64 v[87:88], v[81:82], v[93:94], v[87:88]
	s_clause 0x4
	buffer_load_dword v94, off, s[0:3], 0 offset:508
	buffer_load_dword v154, off, s[0:3], 0 offset:520
	;; [unrolled: 1-line block ×5, first 2 shown]
	s_waitcnt vmcnt(56)
	v_fma_f64 v[91:92], v[83:84], v[101:102], -v[91:92]
	ds_read_b128 v[79:82], v1 offset:832
	v_fma_f64 v[101:102], v[85:86], v[101:102], v[155:156]
	v_add_f64 v[146:147], v[146:147], 0
	v_add_f64 v[2:3], v[2:3], 0
	s_waitcnt lgkmcnt(1)
	v_mul_f64 v[160:161], v[75:76], v[95:96]
	v_mul_f64 v[95:96], v[77:78], v[95:96]
	v_add_f64 v[146:147], v[146:147], v[157:158]
	v_add_f64 v[2:3], v[2:3], v[87:88]
	s_clause 0x2
	buffer_load_dword v155, off, s[0:3], 0 offset:524
	buffer_load_dword v88, off, s[0:3], 0 offset:500
	;; [unrolled: 1-line block ×3, first 2 shown]
	s_waitcnt vmcnt(58) lgkmcnt(0)
	v_mul_f64 v[156:157], v[79:80], v[97:98]
	v_mul_f64 v[97:98], v[81:82], v[97:98]
	s_waitcnt vmcnt(56)
	v_fma_f64 v[95:96], v[75:76], v[103:104], -v[95:96]
	ds_read_b128 v[83:86], v1 offset:848
	v_fma_f64 v[103:104], v[77:78], v[103:104], v[160:161]
	v_add_f64 v[91:92], v[146:147], v[91:92]
	v_add_f64 v[2:3], v[2:3], v[101:102]
	s_clause 0x4
	buffer_load_dword v102, off, s[0:3], 0 offset:540
	buffer_load_dword v146, off, s[0:3], 0 offset:552
	;; [unrolled: 1-line block ×5, first 2 shown]
	ds_read_b128 v[75:78], v1 offset:864
	s_waitcnt vmcnt(57) lgkmcnt(1)
	v_mul_f64 v[162:163], v[83:84], v[105:106]
	v_mul_f64 v[105:106], v[85:86], v[105:106]
	s_waitcnt vmcnt(56)
	v_fma_f64 v[97:98], v[79:80], v[99:100], -v[97:98]
	v_add_f64 v[91:92], v[91:92], v[95:96]
	v_fma_f64 v[95:96], v[81:82], v[99:100], v[156:157]
	v_add_f64 v[2:3], v[2:3], v[103:104]
	s_clause 0x2
	buffer_load_dword v147, off, s[0:3], 0 offset:556
	buffer_load_dword v100, off, s[0:3], 0 offset:532
	;; [unrolled: 1-line block ×3, first 2 shown]
	s_waitcnt vmcnt(58) lgkmcnt(0)
	v_mul_f64 v[103:104], v[75:76], v[107:108]
	v_mul_f64 v[107:108], v[77:78], v[107:108]
	s_waitcnt vmcnt(56)
	v_fma_f64 v[105:106], v[83:84], v[112:113], -v[105:106]
	ds_read_b128 v[79:82], v1 offset:880
	v_add_f64 v[91:92], v[91:92], v[97:98]
	v_fma_f64 v[97:98], v[85:86], v[112:113], v[162:163]
	v_add_f64 v[2:3], v[2:3], v[95:96]
	s_clause 0x2
	buffer_load_dword v96, off, s[0:3], 0 offset:572
	buffer_load_dword v95, off, s[0:3], 0 offset:568
	;; [unrolled: 1-line block ×3, first 2 shown]
	ds_read_b128 v[83:86], v1 offset:896
	s_waitcnt vmcnt(55) lgkmcnt(1)
	v_mul_f64 v[112:113], v[79:80], v[114:115]
	v_mul_f64 v[114:115], v[81:82], v[114:115]
	s_waitcnt vmcnt(54)
	v_fma_f64 v[107:108], v[75:76], v[110:111], -v[107:108]
	v_fma_f64 v[103:104], v[77:78], v[110:111], v[103:104]
	v_add_f64 v[91:92], v[91:92], v[105:106]
	v_add_f64 v[2:3], v[2:3], v[97:98]
	s_clause 0x1
	buffer_load_dword v98, off, s[0:3], 0 offset:564
	buffer_load_dword v97, off, s[0:3], 0 offset:560
	s_waitcnt vmcnt(55) lgkmcnt(0)
	v_mul_f64 v[110:111], v[85:86], v[116:117]
	ds_read_b128 v[75:78], v1 offset:912
	s_waitcnt vmcnt(53)
	v_fma_f64 v[114:115], v[79:80], v[120:121], -v[114:115]
	v_mul_f64 v[105:106], v[83:84], v[116:117]
	v_add_f64 v[91:92], v[91:92], v[107:108]
	v_fma_f64 v[107:108], v[81:82], v[120:121], v[112:113]
	v_add_f64 v[2:3], v[2:3], v[103:104]
	ds_read_b128 v[79:82], v1 offset:928
	s_waitcnt vmcnt(49) lgkmcnt(1)
	v_mul_f64 v[112:113], v[77:78], v[122:123]
	s_waitcnt vmcnt(48)
	v_fma_f64 v[110:111], v[83:84], v[118:119], -v[110:111]
	v_mul_f64 v[103:104], v[75:76], v[122:123]
	v_fma_f64 v[105:106], v[85:86], v[118:119], v[105:106]
	v_add_f64 v[91:92], v[91:92], v[114:115]
	s_waitcnt vmcnt(47) lgkmcnt(0)
	v_mul_f64 v[118:119], v[81:82], v[124:125]
	v_add_f64 v[2:3], v[2:3], v[107:108]
	s_clause 0x3
	buffer_load_dword v107, off, s[0:3], 0 offset:208
	buffer_load_dword v108, off, s[0:3], 0 offset:212
	;; [unrolled: 1-line block ×4, first 2 shown]
	s_waitcnt vmcnt(49)
	v_fma_f64 v[112:113], v[75:76], v[128:129], -v[112:113]
	ds_read_b128 v[83:86], v1 offset:944
	v_mul_f64 v[116:117], v[79:80], v[124:125]
	v_fma_f64 v[103:104], v[77:78], v[128:129], v[103:104]
	ds_read_b128 v[75:78], v1 offset:960
	v_add_f64 v[91:92], v[91:92], v[110:111]
	s_waitcnt vmcnt(44)
	v_fma_f64 v[118:119], v[79:80], v[126:127], -v[118:119]
	v_add_f64 v[2:3], v[2:3], v[105:106]
	s_waitcnt lgkmcnt(1)
	v_mul_f64 v[110:111], v[85:86], v[130:131]
	v_mul_f64 v[105:106], v[83:84], v[130:131]
	v_add_f64 v[91:92], v[91:92], v[112:113]
	v_fma_f64 v[112:113], v[81:82], v[126:127], v[116:117]
	v_add_f64 v[2:3], v[2:3], v[103:104]
	s_waitcnt vmcnt(43) lgkmcnt(0)
	v_mul_f64 v[116:117], v[77:78], v[132:133]
	s_waitcnt vmcnt(41)
	v_fma_f64 v[110:111], v[83:84], v[136:137], -v[110:111]
	ds_read_b128 v[79:82], v1 offset:976
	v_mul_f64 v[103:104], v[75:76], v[132:133]
	v_fma_f64 v[105:106], v[85:86], v[136:137], v[105:106]
	ds_read_b128 v[83:86], v1 offset:992
	v_add_f64 v[91:92], v[91:92], v[118:119]
	v_add_f64 v[2:3], v[2:3], v[112:113]
	s_waitcnt vmcnt(37) lgkmcnt(1)
	v_mul_f64 v[118:119], v[81:82], v[138:139]
	s_waitcnt vmcnt(36)
	v_fma_f64 v[116:117], v[75:76], v[134:135], -v[116:117]
	v_mul_f64 v[112:113], v[79:80], v[138:139]
	v_fma_f64 v[103:104], v[77:78], v[134:135], v[103:104]
	ds_read_b128 v[75:78], v1 offset:1008
	v_add_f64 v[91:92], v[91:92], v[110:111]
	s_waitcnt vmcnt(35) lgkmcnt(1)
	v_mul_f64 v[110:111], v[85:86], v[140:141]
	v_add_f64 v[2:3], v[2:3], v[105:106]
	s_waitcnt vmcnt(33)
	v_fma_f64 v[118:119], v[79:80], v[144:145], -v[118:119]
	v_mul_f64 v[105:106], v[83:84], v[140:141]
	v_fma_f64 v[112:113], v[81:82], v[144:145], v[112:113]
	ds_read_b128 v[79:82], v1 offset:1024
	v_add_f64 v[91:92], v[91:92], v[116:117]
	s_waitcnt vmcnt(29) lgkmcnt(1)
	v_mul_f64 v[116:117], v[77:78], v[148:149]
	v_add_f64 v[2:3], v[2:3], v[103:104]
	s_waitcnt vmcnt(28)
	v_fma_f64 v[110:111], v[83:84], v[142:143], -v[110:111]
	v_mul_f64 v[103:104], v[75:76], v[148:149]
	v_fma_f64 v[105:106], v[85:86], v[142:143], v[105:106]
	ds_read_b128 v[83:86], v1 offset:1040
	v_add_f64 v[91:92], v[91:92], v[118:119]
	v_add_f64 v[2:3], v[2:3], v[112:113]
	s_waitcnt vmcnt(27) lgkmcnt(1)
	v_mul_f64 v[118:119], v[81:82], v[150:151]
	v_mul_f64 v[112:113], v[79:80], v[150:151]
	s_waitcnt vmcnt(25)
	v_fma_f64 v[116:117], v[75:76], v[89:90], -v[116:117]
	v_fma_f64 v[89:90], v[77:78], v[89:90], v[103:104]
	ds_read_b128 v[75:78], v1 offset:1056
	s_waitcnt vmcnt(21) lgkmcnt(1)
	v_mul_f64 v[103:104], v[83:84], v[93:94]
	v_mul_f64 v[93:94], v[85:86], v[93:94]
	v_add_f64 v[91:92], v[91:92], v[110:111]
	v_add_f64 v[2:3], v[2:3], v[105:106]
	s_waitcnt vmcnt(20)
	v_fma_f64 v[105:106], v[79:80], v[152:153], -v[118:119]
	v_fma_f64 v[110:111], v[81:82], v[152:153], v[112:113]
	ds_read_b128 v[79:82], v1 offset:1072
	v_add_f64 v[91:92], v[91:92], v[116:117]
	v_add_f64 v[2:3], v[2:3], v[89:90]
	s_waitcnt vmcnt(19) lgkmcnt(1)
	v_mul_f64 v[112:113], v[77:78], v[154:155]
	v_mul_f64 v[89:90], v[75:76], v[154:155]
	s_waitcnt vmcnt(17)
	v_fma_f64 v[93:94], v[83:84], v[87:88], -v[93:94]
	v_fma_f64 v[87:88], v[85:86], v[87:88], v[103:104]
	ds_read_b128 v[83:86], v1 offset:1088
	v_add_f64 v[91:92], v[91:92], v[105:106]
	v_add_f64 v[2:3], v[2:3], v[110:111]
	s_waitcnt vmcnt(13) lgkmcnt(1)
	v_mul_f64 v[103:104], v[79:80], v[101:102]
	v_mul_f64 v[101:102], v[81:82], v[101:102]
	s_waitcnt vmcnt(12)
	v_fma_f64 v[75:76], v[75:76], v[159:160], -v[112:113]
	v_fma_f64 v[77:78], v[77:78], v[159:160], v[89:90]
	v_add_f64 v[91:92], v[91:92], v[93:94]
	v_add_f64 v[87:88], v[2:3], v[87:88]
	ds_read_b128 v[1:4], v1 offset:1104
	s_waitcnt vmcnt(11) lgkmcnt(1)
	v_mul_f64 v[93:94], v[85:86], v[146:147]
	v_mul_f64 v[89:90], v[83:84], v[146:147]
	s_waitcnt vmcnt(9)
	v_fma_f64 v[79:80], v[79:80], v[99:100], -v[101:102]
	v_fma_f64 v[81:82], v[81:82], v[99:100], v[103:104]
	v_add_f64 v[75:76], v[91:92], v[75:76]
	v_add_f64 v[77:78], v[87:88], v[77:78]
	s_waitcnt vmcnt(7) lgkmcnt(0)
	v_mul_f64 v[91:92], v[3:4], v[95:96]
	s_waitcnt vmcnt(6)
	v_fma_f64 v[83:84], v[83:84], v[161:162], -v[93:94]
	v_mul_f64 v[87:88], v[1:2], v[95:96]
	v_add_f64 v[75:76], v[75:76], v[79:80]
	v_fma_f64 v[79:80], v[85:86], v[161:162], v[89:90]
	v_add_f64 v[77:78], v[77:78], v[81:82]
	s_waitcnt vmcnt(4)
	v_fma_f64 v[1:2], v[1:2], v[97:98], -v[91:92]
	v_fma_f64 v[3:4], v[3:4], v[97:98], v[87:88]
	v_add_f64 v[75:76], v[75:76], v[83:84]
	v_add_f64 v[77:78], v[77:78], v[79:80]
	;; [unrolled: 1-line block ×4, first 2 shown]
	s_waitcnt vmcnt(2)
	v_add_f64 v[1:2], v[107:108], -v[1:2]
	s_waitcnt vmcnt(0)
	v_add_f64 v[3:4], v[114:115], -v[3:4]
	buffer_store_dword v2, off, s[0:3], 0 offset:212
	buffer_store_dword v1, off, s[0:3], 0 offset:208
	;; [unrolled: 1-line block ×4, first 2 shown]
	v_cmpx_lt_u32_e32 11, v0
	s_cbranch_execz .LBB98_201
; %bb.200:
	v_mov_b32_e32 v4, s36
	v_mov_b32_e32 v75, 0
	s_clause 0x3
	buffer_load_dword v1, v4, s[0:3], 0 offen
	buffer_load_dword v2, v4, s[0:3], 0 offen offset:4
	buffer_load_dword v3, v4, s[0:3], 0 offen offset:8
	;; [unrolled: 1-line block ×3, first 2 shown]
	buffer_store_dword v75, off, s[0:3], 0 offset:192
	buffer_store_dword v75, off, s[0:3], 0 offset:196
	;; [unrolled: 1-line block ×4, first 2 shown]
	s_waitcnt vmcnt(0)
	ds_write_b128 v109, v[1:4]
.LBB98_201:
	s_or_b32 exec_lo, exec_lo, s4
	s_waitcnt lgkmcnt(0)
	s_waitcnt_vscnt null, 0x0
	s_barrier
	buffer_gl0_inv
	s_clause 0x37
	buffer_load_dword v2, off, s[0:3], 0 offset:216
	buffer_load_dword v3, off, s[0:3], 0 offset:220
	buffer_load_dword v87, off, s[0:3], 0 offset:232
	buffer_load_dword v88, off, s[0:3], 0 offset:236
	buffer_load_dword v89, off, s[0:3], 0 offset:208
	buffer_load_dword v90, off, s[0:3], 0 offset:212
	buffer_load_dword v91, off, s[0:3], 0 offset:248
	buffer_load_dword v92, off, s[0:3], 0 offset:252
	buffer_load_dword v93, off, s[0:3], 0 offset:224
	buffer_load_dword v94, off, s[0:3], 0 offset:228
	buffer_load_dword v96, off, s[0:3], 0 offset:268
	buffer_load_dword v97, off, s[0:3], 0 offset:280
	buffer_load_dword v99, off, s[0:3], 0 offset:272
	buffer_load_dword v95, off, s[0:3], 0 offset:264
	buffer_load_dword v101, off, s[0:3], 0 offset:240
	buffer_load_dword v102, off, s[0:3], 0 offset:244
	buffer_load_dword v98, off, s[0:3], 0 offset:284
	buffer_load_dword v104, off, s[0:3], 0 offset:260
	buffer_load_dword v103, off, s[0:3], 0 offset:256
	buffer_load_dword v106, off, s[0:3], 0 offset:300
	buffer_load_dword v107, off, s[0:3], 0 offset:312
	buffer_load_dword v110, off, s[0:3], 0 offset:304
	buffer_load_dword v105, off, s[0:3], 0 offset:296
	buffer_load_dword v100, off, s[0:3], 0 offset:276
	buffer_load_dword v108, off, s[0:3], 0 offset:316
	buffer_load_dword v113, off, s[0:3], 0 offset:292
	buffer_load_dword v112, off, s[0:3], 0 offset:288
	buffer_load_dword v115, off, s[0:3], 0 offset:332
	buffer_load_dword v116, off, s[0:3], 0 offset:344
	buffer_load_dword v118, off, s[0:3], 0 offset:336
	buffer_load_dword v114, off, s[0:3], 0 offset:328
	buffer_load_dword v111, off, s[0:3], 0 offset:308
	buffer_load_dword v117, off, s[0:3], 0 offset:348
	buffer_load_dword v121, off, s[0:3], 0 offset:324
	buffer_load_dword v120, off, s[0:3], 0 offset:320
	buffer_load_dword v123, off, s[0:3], 0 offset:364
	buffer_load_dword v124, off, s[0:3], 0 offset:376
	buffer_load_dword v126, off, s[0:3], 0 offset:368
	buffer_load_dword v122, off, s[0:3], 0 offset:360
	buffer_load_dword v119, off, s[0:3], 0 offset:340
	buffer_load_dword v125, off, s[0:3], 0 offset:380
	buffer_load_dword v129, off, s[0:3], 0 offset:356
	buffer_load_dword v128, off, s[0:3], 0 offset:352
	buffer_load_dword v131, off, s[0:3], 0 offset:396
	buffer_load_dword v132, off, s[0:3], 0 offset:408
	buffer_load_dword v134, off, s[0:3], 0 offset:400
	buffer_load_dword v130, off, s[0:3], 0 offset:392
	buffer_load_dword v127, off, s[0:3], 0 offset:372
	buffer_load_dword v133, off, s[0:3], 0 offset:412
	buffer_load_dword v137, off, s[0:3], 0 offset:388
	buffer_load_dword v136, off, s[0:3], 0 offset:384
	buffer_load_dword v139, off, s[0:3], 0 offset:428
	buffer_load_dword v140, off, s[0:3], 0 offset:440
	buffer_load_dword v142, off, s[0:3], 0 offset:432
	buffer_load_dword v138, off, s[0:3], 0 offset:424
	buffer_load_dword v135, off, s[0:3], 0 offset:404
	v_mov_b32_e32 v1, 0
	s_mov_b32 s4, exec_lo
	ds_read_b128 v[75:78], v1 offset:752
	s_clause 0x2
	buffer_load_dword v141, off, s[0:3], 0 offset:444
	buffer_load_dword v145, off, s[0:3], 0 offset:420
	;; [unrolled: 1-line block ×3, first 2 shown]
	ds_read_b128 v[79:82], v1 offset:768
	s_clause 0x4
	buffer_load_dword v149, off, s[0:3], 0 offset:460
	buffer_load_dword v150, off, s[0:3], 0 offset:472
	;; [unrolled: 1-line block ×5, first 2 shown]
	ds_read_b128 v[83:86], v1 offset:784
	s_waitcnt vmcnt(62) lgkmcnt(2)
	v_mul_f64 v[146:147], v[77:78], v[2:3]
	v_mul_f64 v[2:3], v[75:76], v[2:3]
	s_waitcnt vmcnt(60) lgkmcnt(1)
	v_mul_f64 v[153:154], v[81:82], v[87:88]
	v_mul_f64 v[87:88], v[79:80], v[87:88]
	;; [unrolled: 3-line block ×3, first 2 shown]
	v_fma_f64 v[146:147], v[75:76], v[89:90], -v[146:147]
	v_fma_f64 v[2:3], v[77:78], v[89:90], v[2:3]
	s_clause 0x2
	buffer_load_dword v151, off, s[0:3], 0 offset:476
	buffer_load_dword v90, off, s[0:3], 0 offset:452
	;; [unrolled: 1-line block ×3, first 2 shown]
	s_waitcnt vmcnt(57)
	v_fma_f64 v[157:158], v[79:80], v[93:94], -v[153:154]
	ds_read_b128 v[75:78], v1 offset:800
	v_fma_f64 v[87:88], v[81:82], v[93:94], v[87:88]
	s_clause 0x4
	buffer_load_dword v94, off, s[0:3], 0 offset:492
	buffer_load_dword v154, off, s[0:3], 0 offset:504
	;; [unrolled: 1-line block ×5, first 2 shown]
	s_waitcnt vmcnt(56)
	v_fma_f64 v[91:92], v[83:84], v[101:102], -v[91:92]
	ds_read_b128 v[79:82], v1 offset:816
	v_fma_f64 v[101:102], v[85:86], v[101:102], v[155:156]
	v_add_f64 v[146:147], v[146:147], 0
	v_add_f64 v[2:3], v[2:3], 0
	s_waitcnt lgkmcnt(1)
	v_mul_f64 v[160:161], v[75:76], v[95:96]
	v_mul_f64 v[95:96], v[77:78], v[95:96]
	v_add_f64 v[146:147], v[146:147], v[157:158]
	v_add_f64 v[2:3], v[2:3], v[87:88]
	s_clause 0x2
	buffer_load_dword v155, off, s[0:3], 0 offset:508
	buffer_load_dword v88, off, s[0:3], 0 offset:484
	;; [unrolled: 1-line block ×3, first 2 shown]
	s_waitcnt vmcnt(58) lgkmcnt(0)
	v_mul_f64 v[156:157], v[79:80], v[97:98]
	v_mul_f64 v[97:98], v[81:82], v[97:98]
	s_waitcnt vmcnt(56)
	v_fma_f64 v[95:96], v[75:76], v[103:104], -v[95:96]
	ds_read_b128 v[83:86], v1 offset:832
	v_fma_f64 v[103:104], v[77:78], v[103:104], v[160:161]
	v_add_f64 v[91:92], v[146:147], v[91:92]
	v_add_f64 v[2:3], v[2:3], v[101:102]
	s_clause 0x4
	buffer_load_dword v102, off, s[0:3], 0 offset:524
	buffer_load_dword v146, off, s[0:3], 0 offset:536
	;; [unrolled: 1-line block ×5, first 2 shown]
	ds_read_b128 v[75:78], v1 offset:848
	s_waitcnt vmcnt(57) lgkmcnt(1)
	v_mul_f64 v[162:163], v[83:84], v[105:106]
	v_mul_f64 v[105:106], v[85:86], v[105:106]
	s_waitcnt vmcnt(56)
	v_fma_f64 v[97:98], v[79:80], v[99:100], -v[97:98]
	v_add_f64 v[91:92], v[91:92], v[95:96]
	v_fma_f64 v[95:96], v[81:82], v[99:100], v[156:157]
	v_add_f64 v[2:3], v[2:3], v[103:104]
	s_clause 0x2
	buffer_load_dword v147, off, s[0:3], 0 offset:540
	buffer_load_dword v100, off, s[0:3], 0 offset:516
	;; [unrolled: 1-line block ×3, first 2 shown]
	s_waitcnt vmcnt(58) lgkmcnt(0)
	v_mul_f64 v[103:104], v[75:76], v[107:108]
	v_mul_f64 v[107:108], v[77:78], v[107:108]
	s_waitcnt vmcnt(56)
	v_fma_f64 v[105:106], v[83:84], v[112:113], -v[105:106]
	ds_read_b128 v[79:82], v1 offset:864
	v_add_f64 v[91:92], v[91:92], v[97:98]
	v_fma_f64 v[97:98], v[85:86], v[112:113], v[162:163]
	v_add_f64 v[2:3], v[2:3], v[95:96]
	s_clause 0x4
	buffer_load_dword v96, off, s[0:3], 0 offset:556
	buffer_load_dword v112, off, s[0:3], 0 offset:568
	;; [unrolled: 1-line block ×5, first 2 shown]
	ds_read_b128 v[83:86], v1 offset:880
	s_waitcnt vmcnt(57) lgkmcnt(1)
	v_mul_f64 v[157:158], v[79:80], v[114:115]
	v_mul_f64 v[114:115], v[81:82], v[114:115]
	s_waitcnt vmcnt(56)
	v_fma_f64 v[107:108], v[75:76], v[110:111], -v[107:108]
	v_fma_f64 v[103:104], v[77:78], v[110:111], v[103:104]
	v_add_f64 v[91:92], v[91:92], v[105:106]
	v_add_f64 v[2:3], v[2:3], v[97:98]
	s_clause 0x2
	buffer_load_dword v113, off, s[0:3], 0 offset:572
	buffer_load_dword v98, off, s[0:3], 0 offset:548
	;; [unrolled: 1-line block ×3, first 2 shown]
	s_waitcnt vmcnt(58) lgkmcnt(0)
	v_mul_f64 v[110:111], v[85:86], v[116:117]
	ds_read_b128 v[75:78], v1 offset:896
	s_waitcnt vmcnt(56)
	v_fma_f64 v[114:115], v[79:80], v[120:121], -v[114:115]
	v_mul_f64 v[105:106], v[83:84], v[116:117]
	v_add_f64 v[91:92], v[91:92], v[107:108]
	v_fma_f64 v[107:108], v[81:82], v[120:121], v[157:158]
	v_add_f64 v[2:3], v[2:3], v[103:104]
	buffer_load_dword v157, off, s[0:3], 0 offset:564
	ds_read_b128 v[79:82], v1 offset:912
	s_waitcnt vmcnt(53) lgkmcnt(1)
	v_mul_f64 v[116:117], v[77:78], v[122:123]
	s_waitcnt vmcnt(52)
	v_fma_f64 v[110:111], v[83:84], v[118:119], -v[110:111]
	v_mul_f64 v[103:104], v[75:76], v[122:123]
	v_fma_f64 v[105:106], v[85:86], v[118:119], v[105:106]
	ds_read_b128 v[83:86], v1 offset:928
	v_add_f64 v[91:92], v[91:92], v[114:115]
	v_add_f64 v[2:3], v[2:3], v[107:108]
	s_waitcnt vmcnt(51) lgkmcnt(1)
	v_mul_f64 v[114:115], v[81:82], v[124:125]
	v_mul_f64 v[107:108], v[79:80], v[124:125]
	s_waitcnt vmcnt(49)
	v_fma_f64 v[116:117], v[75:76], v[128:129], -v[116:117]
	v_fma_f64 v[103:104], v[77:78], v[128:129], v[103:104]
	s_waitcnt vmcnt(45) lgkmcnt(0)
	v_mul_f64 v[120:121], v[85:86], v[130:131]
	v_mul_f64 v[118:119], v[83:84], v[130:131]
	v_add_f64 v[91:92], v[91:92], v[110:111]
	v_add_f64 v[2:3], v[2:3], v[105:106]
	s_clause 0x3
	buffer_load_dword v105, off, s[0:3], 0 offset:192
	buffer_load_dword v106, off, s[0:3], 0 offset:196
	;; [unrolled: 1-line block ×4, first 2 shown]
	s_waitcnt vmcnt(48)
	v_fma_f64 v[114:115], v[79:80], v[126:127], -v[114:115]
	ds_read_b128 v[75:78], v1 offset:944
	v_fma_f64 v[107:108], v[81:82], v[126:127], v[107:108]
	ds_read_b128 v[79:82], v1 offset:960
	s_waitcnt vmcnt(45)
	v_fma_f64 v[120:121], v[83:84], v[136:137], -v[120:121]
	v_add_f64 v[91:92], v[91:92], v[116:117]
	v_add_f64 v[2:3], v[2:3], v[103:104]
	s_waitcnt lgkmcnt(1)
	v_mul_f64 v[116:117], v[77:78], v[132:133]
	v_mul_f64 v[103:104], v[75:76], v[132:133]
	v_add_f64 v[91:92], v[91:92], v[114:115]
	v_fma_f64 v[114:115], v[85:86], v[136:137], v[118:119]
	v_add_f64 v[2:3], v[2:3], v[107:108]
	s_waitcnt vmcnt(41) lgkmcnt(0)
	v_mul_f64 v[118:119], v[81:82], v[138:139]
	s_waitcnt vmcnt(40)
	v_fma_f64 v[116:117], v[75:76], v[134:135], -v[116:117]
	ds_read_b128 v[83:86], v1 offset:976
	v_mul_f64 v[107:108], v[79:80], v[138:139]
	v_fma_f64 v[103:104], v[77:78], v[134:135], v[103:104]
	ds_read_b128 v[75:78], v1 offset:992
	v_add_f64 v[91:92], v[91:92], v[120:121]
	v_add_f64 v[2:3], v[2:3], v[114:115]
	s_waitcnt vmcnt(39) lgkmcnt(1)
	v_mul_f64 v[120:121], v[85:86], v[140:141]
	s_waitcnt vmcnt(37)
	v_fma_f64 v[118:119], v[79:80], v[144:145], -v[118:119]
	v_mul_f64 v[114:115], v[83:84], v[140:141]
	v_fma_f64 v[107:108], v[81:82], v[144:145], v[107:108]
	ds_read_b128 v[79:82], v1 offset:1008
	v_add_f64 v[91:92], v[91:92], v[116:117]
	s_waitcnt vmcnt(33) lgkmcnt(1)
	v_mul_f64 v[116:117], v[77:78], v[148:149]
	v_add_f64 v[2:3], v[2:3], v[103:104]
	s_waitcnt vmcnt(32)
	v_fma_f64 v[120:121], v[83:84], v[142:143], -v[120:121]
	v_mul_f64 v[103:104], v[75:76], v[148:149]
	v_fma_f64 v[114:115], v[85:86], v[142:143], v[114:115]
	ds_read_b128 v[83:86], v1 offset:1024
	v_add_f64 v[91:92], v[91:92], v[118:119]
	v_add_f64 v[2:3], v[2:3], v[107:108]
	s_waitcnt vmcnt(31) lgkmcnt(1)
	v_mul_f64 v[118:119], v[81:82], v[150:151]
	v_mul_f64 v[107:108], v[79:80], v[150:151]
	s_waitcnt vmcnt(29)
	v_fma_f64 v[116:117], v[75:76], v[89:90], -v[116:117]
	v_fma_f64 v[89:90], v[77:78], v[89:90], v[103:104]
	ds_read_b128 v[75:78], v1 offset:1040
	s_waitcnt vmcnt(25) lgkmcnt(1)
	v_mul_f64 v[103:104], v[83:84], v[93:94]
	v_mul_f64 v[93:94], v[85:86], v[93:94]
	v_add_f64 v[91:92], v[91:92], v[120:121]
	v_add_f64 v[2:3], v[2:3], v[114:115]
	s_waitcnt vmcnt(24)
	v_fma_f64 v[114:115], v[79:80], v[152:153], -v[118:119]
	v_fma_f64 v[107:108], v[81:82], v[152:153], v[107:108]
	ds_read_b128 v[79:82], v1 offset:1056
	v_add_f64 v[91:92], v[91:92], v[116:117]
	v_add_f64 v[2:3], v[2:3], v[89:90]
	s_waitcnt vmcnt(23) lgkmcnt(1)
	v_mul_f64 v[116:117], v[77:78], v[154:155]
	v_mul_f64 v[89:90], v[75:76], v[154:155]
	s_waitcnt vmcnt(21)
	v_fma_f64 v[93:94], v[83:84], v[87:88], -v[93:94]
	v_fma_f64 v[87:88], v[85:86], v[87:88], v[103:104]
	ds_read_b128 v[83:86], v1 offset:1072
	v_add_f64 v[91:92], v[91:92], v[114:115]
	v_add_f64 v[2:3], v[2:3], v[107:108]
	s_waitcnt vmcnt(17) lgkmcnt(1)
	v_mul_f64 v[103:104], v[79:80], v[101:102]
	v_mul_f64 v[101:102], v[81:82], v[101:102]
	;; [unrolled: 9-line block ×4, first 2 shown]
	s_waitcnt vmcnt(8)
	v_fma_f64 v[83:84], v[83:84], v[161:162], -v[93:94]
	v_fma_f64 v[85:86], v[85:86], v[161:162], v[87:88]
	v_add_f64 v[91:92], v[91:92], v[101:102]
	v_add_f64 v[2:3], v[2:3], v[99:100]
	s_waitcnt vmcnt(7) lgkmcnt(0)
	v_mul_f64 v[93:94], v[81:82], v[112:113]
	v_mul_f64 v[87:88], v[79:80], v[112:113]
	s_waitcnt vmcnt(5)
	v_fma_f64 v[75:76], v[75:76], v[97:98], -v[95:96]
	v_fma_f64 v[77:78], v[77:78], v[97:98], v[89:90]
	v_add_f64 v[83:84], v[91:92], v[83:84]
	v_add_f64 v[2:3], v[2:3], v[85:86]
	s_waitcnt vmcnt(4)
	v_fma_f64 v[79:80], v[79:80], v[156:157], -v[93:94]
	v_fma_f64 v[81:82], v[81:82], v[156:157], v[87:88]
	v_add_f64 v[75:76], v[83:84], v[75:76]
	v_add_f64 v[2:3], v[2:3], v[77:78]
	;; [unrolled: 1-line block ×4, first 2 shown]
	s_waitcnt vmcnt(2)
	v_add_f64 v[75:76], v[105:106], -v[75:76]
	s_waitcnt vmcnt(0)
	v_add_f64 v[2:3], v[110:111], -v[2:3]
	buffer_store_dword v76, off, s[0:3], 0 offset:196
	buffer_store_dword v75, off, s[0:3], 0 offset:192
	;; [unrolled: 1-line block ×4, first 2 shown]
	v_cmpx_lt_u32_e32 10, v0
	s_cbranch_execz .LBB98_203
; %bb.202:
	v_mov_b32_e32 v2, s37
	s_clause 0x3
	buffer_load_dword v75, v2, s[0:3], 0 offen
	buffer_load_dword v76, v2, s[0:3], 0 offen offset:4
	buffer_load_dword v77, v2, s[0:3], 0 offen offset:8
	;; [unrolled: 1-line block ×3, first 2 shown]
	buffer_store_dword v1, off, s[0:3], 0 offset:176
	buffer_store_dword v1, off, s[0:3], 0 offset:180
	buffer_store_dword v1, off, s[0:3], 0 offset:184
	buffer_store_dword v1, off, s[0:3], 0 offset:188
	s_waitcnt vmcnt(0)
	ds_write_b128 v109, v[75:78]
.LBB98_203:
	s_or_b32 exec_lo, exec_lo, s4
	s_waitcnt lgkmcnt(0)
	s_waitcnt_vscnt null, 0x0
	s_barrier
	buffer_gl0_inv
	s_clause 0x37
	buffer_load_dword v2, off, s[0:3], 0 offset:200
	buffer_load_dword v3, off, s[0:3], 0 offset:204
	;; [unrolled: 1-line block ×56, first 2 shown]
	ds_read_b128 v[75:78], v1 offset:736
	s_clause 0x2
	buffer_load_dword v141, off, s[0:3], 0 offset:428
	buffer_load_dword v145, off, s[0:3], 0 offset:404
	;; [unrolled: 1-line block ×3, first 2 shown]
	ds_read_b128 v[79:82], v1 offset:752
	s_clause 0x4
	buffer_load_dword v149, off, s[0:3], 0 offset:444
	buffer_load_dword v150, off, s[0:3], 0 offset:456
	;; [unrolled: 1-line block ×5, first 2 shown]
	ds_read_b128 v[83:86], v1 offset:768
	s_mov_b32 s4, exec_lo
	s_waitcnt vmcnt(62) lgkmcnt(2)
	v_mul_f64 v[146:147], v[77:78], v[2:3]
	v_mul_f64 v[2:3], v[75:76], v[2:3]
	s_waitcnt vmcnt(60) lgkmcnt(1)
	v_mul_f64 v[153:154], v[81:82], v[87:88]
	v_mul_f64 v[87:88], v[79:80], v[87:88]
	;; [unrolled: 3-line block ×3, first 2 shown]
	v_fma_f64 v[146:147], v[75:76], v[89:90], -v[146:147]
	v_fma_f64 v[2:3], v[77:78], v[89:90], v[2:3]
	s_clause 0x2
	buffer_load_dword v151, off, s[0:3], 0 offset:460
	buffer_load_dword v90, off, s[0:3], 0 offset:436
	;; [unrolled: 1-line block ×3, first 2 shown]
	s_waitcnt vmcnt(57)
	v_fma_f64 v[157:158], v[79:80], v[93:94], -v[153:154]
	ds_read_b128 v[75:78], v1 offset:784
	v_fma_f64 v[87:88], v[81:82], v[93:94], v[87:88]
	s_clause 0x4
	buffer_load_dword v94, off, s[0:3], 0 offset:476
	buffer_load_dword v154, off, s[0:3], 0 offset:488
	;; [unrolled: 1-line block ×5, first 2 shown]
	s_waitcnt vmcnt(56)
	v_fma_f64 v[91:92], v[83:84], v[101:102], -v[91:92]
	ds_read_b128 v[79:82], v1 offset:800
	v_fma_f64 v[101:102], v[85:86], v[101:102], v[155:156]
	v_add_f64 v[146:147], v[146:147], 0
	v_add_f64 v[2:3], v[2:3], 0
	s_waitcnt lgkmcnt(1)
	v_mul_f64 v[160:161], v[75:76], v[95:96]
	v_mul_f64 v[95:96], v[77:78], v[95:96]
	v_add_f64 v[146:147], v[146:147], v[157:158]
	v_add_f64 v[2:3], v[2:3], v[87:88]
	s_clause 0x2
	buffer_load_dword v155, off, s[0:3], 0 offset:492
	buffer_load_dword v88, off, s[0:3], 0 offset:468
	;; [unrolled: 1-line block ×3, first 2 shown]
	s_waitcnt vmcnt(58) lgkmcnt(0)
	v_mul_f64 v[156:157], v[79:80], v[97:98]
	v_mul_f64 v[97:98], v[81:82], v[97:98]
	s_waitcnt vmcnt(56)
	v_fma_f64 v[95:96], v[75:76], v[103:104], -v[95:96]
	ds_read_b128 v[83:86], v1 offset:816
	v_fma_f64 v[103:104], v[77:78], v[103:104], v[160:161]
	v_add_f64 v[91:92], v[146:147], v[91:92]
	v_add_f64 v[2:3], v[2:3], v[101:102]
	s_clause 0x4
	buffer_load_dword v102, off, s[0:3], 0 offset:508
	buffer_load_dword v146, off, s[0:3], 0 offset:520
	;; [unrolled: 1-line block ×5, first 2 shown]
	ds_read_b128 v[75:78], v1 offset:832
	s_waitcnt vmcnt(57) lgkmcnt(1)
	v_mul_f64 v[162:163], v[83:84], v[105:106]
	v_mul_f64 v[105:106], v[85:86], v[105:106]
	s_waitcnt vmcnt(56)
	v_fma_f64 v[97:98], v[79:80], v[99:100], -v[97:98]
	v_add_f64 v[91:92], v[91:92], v[95:96]
	v_fma_f64 v[95:96], v[81:82], v[99:100], v[156:157]
	v_add_f64 v[2:3], v[2:3], v[103:104]
	s_clause 0x2
	buffer_load_dword v147, off, s[0:3], 0 offset:524
	buffer_load_dword v100, off, s[0:3], 0 offset:500
	;; [unrolled: 1-line block ×3, first 2 shown]
	s_waitcnt vmcnt(58) lgkmcnt(0)
	v_mul_f64 v[103:104], v[75:76], v[107:108]
	v_mul_f64 v[107:108], v[77:78], v[107:108]
	s_waitcnt vmcnt(56)
	v_fma_f64 v[105:106], v[83:84], v[112:113], -v[105:106]
	ds_read_b128 v[79:82], v1 offset:848
	v_add_f64 v[91:92], v[91:92], v[97:98]
	v_fma_f64 v[97:98], v[85:86], v[112:113], v[162:163]
	v_add_f64 v[2:3], v[2:3], v[95:96]
	s_clause 0x4
	buffer_load_dword v96, off, s[0:3], 0 offset:540
	buffer_load_dword v112, off, s[0:3], 0 offset:552
	;; [unrolled: 1-line block ×5, first 2 shown]
	ds_read_b128 v[83:86], v1 offset:864
	s_waitcnt vmcnt(57) lgkmcnt(1)
	v_mul_f64 v[157:158], v[79:80], v[114:115]
	v_mul_f64 v[114:115], v[81:82], v[114:115]
	s_waitcnt vmcnt(56)
	v_fma_f64 v[107:108], v[75:76], v[110:111], -v[107:108]
	v_fma_f64 v[103:104], v[77:78], v[110:111], v[103:104]
	v_add_f64 v[91:92], v[91:92], v[105:106]
	v_add_f64 v[2:3], v[2:3], v[97:98]
	s_clause 0x2
	buffer_load_dword v113, off, s[0:3], 0 offset:556
	buffer_load_dword v98, off, s[0:3], 0 offset:532
	;; [unrolled: 1-line block ×3, first 2 shown]
	s_waitcnt vmcnt(58) lgkmcnt(0)
	v_mul_f64 v[110:111], v[85:86], v[116:117]
	ds_read_b128 v[75:78], v1 offset:880
	s_waitcnt vmcnt(56)
	v_fma_f64 v[114:115], v[79:80], v[120:121], -v[114:115]
	v_mul_f64 v[105:106], v[83:84], v[116:117]
	v_add_f64 v[91:92], v[91:92], v[107:108]
	v_fma_f64 v[107:108], v[81:82], v[120:121], v[157:158]
	v_add_f64 v[2:3], v[2:3], v[103:104]
	s_clause 0x2
	buffer_load_dword v104, off, s[0:3], 0 offset:572
	buffer_load_dword v103, off, s[0:3], 0 offset:568
	;; [unrolled: 1-line block ×3, first 2 shown]
	s_waitcnt vmcnt(55) lgkmcnt(0)
	v_mul_f64 v[120:121], v[77:78], v[122:123]
	s_waitcnt vmcnt(54)
	v_fma_f64 v[110:111], v[83:84], v[118:119], -v[110:111]
	ds_read_b128 v[79:82], v1 offset:896
	v_mul_f64 v[116:117], v[75:76], v[122:123]
	v_fma_f64 v[105:106], v[85:86], v[118:119], v[105:106]
	v_add_f64 v[91:92], v[91:92], v[114:115]
	v_add_f64 v[2:3], v[2:3], v[107:108]
	s_clause 0x1
	buffer_load_dword v108, off, s[0:3], 0 offset:564
	buffer_load_dword v107, off, s[0:3], 0 offset:560
	s_waitcnt vmcnt(55) lgkmcnt(0)
	v_mul_f64 v[118:119], v[81:82], v[124:125]
	s_waitcnt vmcnt(53)
	v_fma_f64 v[120:121], v[75:76], v[128:129], -v[120:121]
	ds_read_b128 v[83:86], v1 offset:912
	v_mul_f64 v[114:115], v[79:80], v[124:125]
	v_add_f64 v[91:92], v[91:92], v[110:111]
	v_fma_f64 v[110:111], v[77:78], v[128:129], v[116:117]
	v_add_f64 v[2:3], v[2:3], v[105:106]
	ds_read_b128 v[75:78], v1 offset:928
	s_waitcnt vmcnt(49) lgkmcnt(1)
	v_mul_f64 v[116:117], v[85:86], v[130:131]
	s_waitcnt vmcnt(48)
	v_fma_f64 v[118:119], v[79:80], v[126:127], -v[118:119]
	v_mul_f64 v[105:106], v[83:84], v[130:131]
	v_fma_f64 v[114:115], v[81:82], v[126:127], v[114:115]
	v_add_f64 v[91:92], v[91:92], v[120:121]
	s_waitcnt vmcnt(47) lgkmcnt(0)
	v_mul_f64 v[124:125], v[77:78], v[132:133]
	v_add_f64 v[2:3], v[2:3], v[110:111]
	s_clause 0x3
	buffer_load_dword v110, off, s[0:3], 0 offset:176
	buffer_load_dword v111, off, s[0:3], 0 offset:180
	;; [unrolled: 1-line block ×4, first 2 shown]
	s_waitcnt vmcnt(49)
	v_fma_f64 v[116:117], v[83:84], v[136:137], -v[116:117]
	ds_read_b128 v[79:82], v1 offset:944
	v_mul_f64 v[122:123], v[75:76], v[132:133]
	v_fma_f64 v[105:106], v[85:86], v[136:137], v[105:106]
	ds_read_b128 v[83:86], v1 offset:960
	v_add_f64 v[91:92], v[91:92], v[118:119]
	s_waitcnt vmcnt(44)
	v_fma_f64 v[124:125], v[75:76], v[134:135], -v[124:125]
	v_add_f64 v[2:3], v[2:3], v[114:115]
	s_waitcnt lgkmcnt(1)
	v_mul_f64 v[118:119], v[81:82], v[138:139]
	v_mul_f64 v[114:115], v[79:80], v[138:139]
	v_add_f64 v[91:92], v[91:92], v[116:117]
	v_fma_f64 v[116:117], v[77:78], v[134:135], v[122:123]
	v_add_f64 v[2:3], v[2:3], v[105:106]
	s_waitcnt vmcnt(43) lgkmcnt(0)
	v_mul_f64 v[122:123], v[85:86], v[140:141]
	s_waitcnt vmcnt(41)
	v_fma_f64 v[118:119], v[79:80], v[144:145], -v[118:119]
	ds_read_b128 v[75:78], v1 offset:976
	v_mul_f64 v[105:106], v[83:84], v[140:141]
	v_fma_f64 v[114:115], v[81:82], v[144:145], v[114:115]
	ds_read_b128 v[79:82], v1 offset:992
	v_add_f64 v[91:92], v[91:92], v[124:125]
	v_add_f64 v[2:3], v[2:3], v[116:117]
	s_waitcnt vmcnt(37) lgkmcnt(1)
	v_mul_f64 v[124:125], v[77:78], v[148:149]
	s_waitcnt vmcnt(36)
	v_fma_f64 v[122:123], v[83:84], v[142:143], -v[122:123]
	v_mul_f64 v[116:117], v[75:76], v[148:149]
	v_fma_f64 v[105:106], v[85:86], v[142:143], v[105:106]
	ds_read_b128 v[83:86], v1 offset:1008
	v_add_f64 v[91:92], v[91:92], v[118:119]
	v_add_f64 v[2:3], v[2:3], v[114:115]
	s_waitcnt vmcnt(35) lgkmcnt(1)
	v_mul_f64 v[118:119], v[81:82], v[150:151]
	v_mul_f64 v[114:115], v[79:80], v[150:151]
	s_waitcnt vmcnt(33)
	v_fma_f64 v[124:125], v[75:76], v[89:90], -v[124:125]
	v_fma_f64 v[89:90], v[77:78], v[89:90], v[116:117]
	ds_read_b128 v[75:78], v1 offset:1024
	v_add_f64 v[91:92], v[91:92], v[122:123]
	v_add_f64 v[2:3], v[2:3], v[105:106]
	s_waitcnt vmcnt(29) lgkmcnt(1)
	v_mul_f64 v[105:106], v[83:84], v[93:94]
	v_mul_f64 v[93:94], v[85:86], v[93:94]
	s_waitcnt vmcnt(28)
	v_fma_f64 v[116:117], v[79:80], v[152:153], -v[118:119]
	;; [unrolled: 9-line block ×6, first 2 shown]
	v_fma_f64 v[85:86], v[85:86], v[161:162], v[87:88]
	v_add_f64 v[91:92], v[91:92], v[101:102]
	v_add_f64 v[87:88], v[2:3], v[99:100]
	ds_read_b128 v[1:4], v1 offset:1104
	s_waitcnt vmcnt(11) lgkmcnt(1)
	v_mul_f64 v[99:100], v[81:82], v[112:113]
	v_mul_f64 v[93:94], v[79:80], v[112:113]
	s_waitcnt vmcnt(9)
	v_fma_f64 v[75:76], v[75:76], v[97:98], -v[95:96]
	v_fma_f64 v[77:78], v[77:78], v[97:98], v[89:90]
	v_add_f64 v[83:84], v[91:92], v[83:84]
	v_add_f64 v[85:86], v[87:88], v[85:86]
	s_waitcnt vmcnt(7) lgkmcnt(0)
	v_mul_f64 v[89:90], v[3:4], v[103:104]
	s_waitcnt vmcnt(6)
	v_fma_f64 v[79:80], v[79:80], v[156:157], -v[99:100]
	v_mul_f64 v[87:88], v[1:2], v[103:104]
	v_fma_f64 v[81:82], v[81:82], v[156:157], v[93:94]
	v_add_f64 v[75:76], v[83:84], v[75:76]
	v_add_f64 v[77:78], v[85:86], v[77:78]
	s_waitcnt vmcnt(4)
	v_fma_f64 v[1:2], v[1:2], v[107:108], -v[89:90]
	v_fma_f64 v[3:4], v[3:4], v[107:108], v[87:88]
	v_add_f64 v[75:76], v[75:76], v[79:80]
	v_add_f64 v[77:78], v[77:78], v[81:82]
	;; [unrolled: 1-line block ×4, first 2 shown]
	s_waitcnt vmcnt(2)
	v_add_f64 v[1:2], v[110:111], -v[1:2]
	s_waitcnt vmcnt(0)
	v_add_f64 v[3:4], v[120:121], -v[3:4]
	buffer_store_dword v2, off, s[0:3], 0 offset:180
	buffer_store_dword v1, off, s[0:3], 0 offset:176
	;; [unrolled: 1-line block ×4, first 2 shown]
	v_cmpx_lt_u32_e32 9, v0
	s_cbranch_execz .LBB98_205
; %bb.204:
	v_mov_b32_e32 v4, s38
	v_mov_b32_e32 v75, 0
	s_clause 0x3
	buffer_load_dword v1, v4, s[0:3], 0 offen
	buffer_load_dword v2, v4, s[0:3], 0 offen offset:4
	buffer_load_dword v3, v4, s[0:3], 0 offen offset:8
	buffer_load_dword v4, v4, s[0:3], 0 offen offset:12
	buffer_store_dword v75, off, s[0:3], 0 offset:160
	buffer_store_dword v75, off, s[0:3], 0 offset:164
	;; [unrolled: 1-line block ×4, first 2 shown]
	s_waitcnt vmcnt(0)
	ds_write_b128 v109, v[1:4]
.LBB98_205:
	s_or_b32 exec_lo, exec_lo, s4
	s_waitcnt lgkmcnt(0)
	s_waitcnt_vscnt null, 0x0
	s_barrier
	buffer_gl0_inv
	s_clause 0x37
	buffer_load_dword v2, off, s[0:3], 0 offset:184
	buffer_load_dword v3, off, s[0:3], 0 offset:188
	;; [unrolled: 1-line block ×56, first 2 shown]
	v_mov_b32_e32 v1, 0
	s_mov_b32 s4, exec_lo
	ds_read_b128 v[75:78], v1 offset:720
	s_clause 0x2
	buffer_load_dword v141, off, s[0:3], 0 offset:412
	buffer_load_dword v145, off, s[0:3], 0 offset:388
	;; [unrolled: 1-line block ×3, first 2 shown]
	ds_read_b128 v[79:82], v1 offset:736
	s_clause 0x4
	buffer_load_dword v149, off, s[0:3], 0 offset:428
	buffer_load_dword v150, off, s[0:3], 0 offset:440
	;; [unrolled: 1-line block ×5, first 2 shown]
	ds_read_b128 v[83:86], v1 offset:752
	s_waitcnt vmcnt(62) lgkmcnt(2)
	v_mul_f64 v[146:147], v[77:78], v[2:3]
	v_mul_f64 v[2:3], v[75:76], v[2:3]
	s_waitcnt vmcnt(60) lgkmcnt(1)
	v_mul_f64 v[153:154], v[81:82], v[87:88]
	v_mul_f64 v[87:88], v[79:80], v[87:88]
	;; [unrolled: 3-line block ×3, first 2 shown]
	v_fma_f64 v[146:147], v[75:76], v[89:90], -v[146:147]
	v_fma_f64 v[2:3], v[77:78], v[89:90], v[2:3]
	s_clause 0x2
	buffer_load_dword v151, off, s[0:3], 0 offset:444
	buffer_load_dword v90, off, s[0:3], 0 offset:420
	;; [unrolled: 1-line block ×3, first 2 shown]
	s_waitcnt vmcnt(57)
	v_fma_f64 v[157:158], v[79:80], v[93:94], -v[153:154]
	ds_read_b128 v[75:78], v1 offset:768
	v_fma_f64 v[87:88], v[81:82], v[93:94], v[87:88]
	s_clause 0x4
	buffer_load_dword v94, off, s[0:3], 0 offset:460
	buffer_load_dword v154, off, s[0:3], 0 offset:472
	;; [unrolled: 1-line block ×5, first 2 shown]
	s_waitcnt vmcnt(56)
	v_fma_f64 v[91:92], v[83:84], v[101:102], -v[91:92]
	ds_read_b128 v[79:82], v1 offset:784
	v_fma_f64 v[101:102], v[85:86], v[101:102], v[155:156]
	v_add_f64 v[146:147], v[146:147], 0
	v_add_f64 v[2:3], v[2:3], 0
	s_waitcnt lgkmcnt(1)
	v_mul_f64 v[160:161], v[75:76], v[95:96]
	v_mul_f64 v[95:96], v[77:78], v[95:96]
	v_add_f64 v[146:147], v[146:147], v[157:158]
	v_add_f64 v[2:3], v[2:3], v[87:88]
	s_clause 0x2
	buffer_load_dword v155, off, s[0:3], 0 offset:476
	buffer_load_dword v88, off, s[0:3], 0 offset:452
	;; [unrolled: 1-line block ×3, first 2 shown]
	s_waitcnt vmcnt(58) lgkmcnt(0)
	v_mul_f64 v[156:157], v[79:80], v[97:98]
	v_mul_f64 v[97:98], v[81:82], v[97:98]
	s_waitcnt vmcnt(56)
	v_fma_f64 v[95:96], v[75:76], v[103:104], -v[95:96]
	ds_read_b128 v[83:86], v1 offset:800
	v_fma_f64 v[103:104], v[77:78], v[103:104], v[160:161]
	v_add_f64 v[91:92], v[146:147], v[91:92]
	v_add_f64 v[2:3], v[2:3], v[101:102]
	s_clause 0x4
	buffer_load_dword v102, off, s[0:3], 0 offset:492
	buffer_load_dword v146, off, s[0:3], 0 offset:504
	;; [unrolled: 1-line block ×5, first 2 shown]
	ds_read_b128 v[75:78], v1 offset:816
	s_waitcnt vmcnt(57) lgkmcnt(1)
	v_mul_f64 v[162:163], v[83:84], v[105:106]
	v_mul_f64 v[105:106], v[85:86], v[105:106]
	s_waitcnt vmcnt(56)
	v_fma_f64 v[97:98], v[79:80], v[99:100], -v[97:98]
	v_add_f64 v[91:92], v[91:92], v[95:96]
	v_fma_f64 v[95:96], v[81:82], v[99:100], v[156:157]
	v_add_f64 v[2:3], v[2:3], v[103:104]
	s_clause 0x2
	buffer_load_dword v147, off, s[0:3], 0 offset:508
	buffer_load_dword v100, off, s[0:3], 0 offset:484
	;; [unrolled: 1-line block ×3, first 2 shown]
	s_waitcnt vmcnt(58) lgkmcnt(0)
	v_mul_f64 v[103:104], v[75:76], v[107:108]
	v_mul_f64 v[107:108], v[77:78], v[107:108]
	s_waitcnt vmcnt(56)
	v_fma_f64 v[105:106], v[83:84], v[112:113], -v[105:106]
	ds_read_b128 v[79:82], v1 offset:832
	v_add_f64 v[91:92], v[91:92], v[97:98]
	v_fma_f64 v[97:98], v[85:86], v[112:113], v[162:163]
	v_add_f64 v[2:3], v[2:3], v[95:96]
	s_clause 0x4
	buffer_load_dword v96, off, s[0:3], 0 offset:524
	buffer_load_dword v112, off, s[0:3], 0 offset:536
	;; [unrolled: 1-line block ×5, first 2 shown]
	ds_read_b128 v[83:86], v1 offset:848
	s_waitcnt vmcnt(57) lgkmcnt(1)
	v_mul_f64 v[157:158], v[79:80], v[114:115]
	v_mul_f64 v[114:115], v[81:82], v[114:115]
	s_waitcnt vmcnt(56)
	v_fma_f64 v[107:108], v[75:76], v[110:111], -v[107:108]
	v_fma_f64 v[103:104], v[77:78], v[110:111], v[103:104]
	v_add_f64 v[91:92], v[91:92], v[105:106]
	v_add_f64 v[2:3], v[2:3], v[97:98]
	s_clause 0x2
	buffer_load_dword v113, off, s[0:3], 0 offset:540
	buffer_load_dword v98, off, s[0:3], 0 offset:516
	;; [unrolled: 1-line block ×3, first 2 shown]
	s_waitcnt vmcnt(58) lgkmcnt(0)
	v_mul_f64 v[110:111], v[85:86], v[116:117]
	ds_read_b128 v[75:78], v1 offset:864
	s_waitcnt vmcnt(56)
	v_fma_f64 v[114:115], v[79:80], v[120:121], -v[114:115]
	v_mul_f64 v[105:106], v[83:84], v[116:117]
	v_add_f64 v[91:92], v[91:92], v[107:108]
	v_fma_f64 v[107:108], v[81:82], v[120:121], v[157:158]
	v_add_f64 v[2:3], v[2:3], v[103:104]
	s_clause 0x4
	buffer_load_dword v104, off, s[0:3], 0 offset:556
	buffer_load_dword v116, off, s[0:3], 0 offset:568
	;; [unrolled: 1-line block ×5, first 2 shown]
	s_waitcnt vmcnt(57) lgkmcnt(0)
	v_mul_f64 v[163:164], v[75:76], v[122:123]
	v_mul_f64 v[121:122], v[77:78], v[122:123]
	s_waitcnt vmcnt(56)
	v_fma_f64 v[110:111], v[83:84], v[118:119], -v[110:111]
	ds_read_b128 v[79:82], v1 offset:880
	v_fma_f64 v[105:106], v[85:86], v[118:119], v[105:106]
	v_add_f64 v[91:92], v[91:92], v[114:115]
	v_add_f64 v[2:3], v[2:3], v[107:108]
	s_clause 0x2
	buffer_load_dword v117, off, s[0:3], 0 offset:572
	buffer_load_dword v108, off, s[0:3], 0 offset:548
	;; [unrolled: 1-line block ×3, first 2 shown]
	ds_read_b128 v[83:86], v1 offset:896
	s_waitcnt vmcnt(58) lgkmcnt(1)
	v_mul_f64 v[118:119], v[81:82], v[124:125]
	s_waitcnt vmcnt(56)
	v_fma_f64 v[122:123], v[75:76], v[128:129], -v[121:122]
	v_mul_f64 v[114:115], v[79:80], v[124:125]
	buffer_load_dword v121, off, s[0:3], 0 offset:564
	v_add_f64 v[91:92], v[91:92], v[110:111]
	v_fma_f64 v[110:111], v[77:78], v[128:129], v[163:164]
	v_add_f64 v[2:3], v[2:3], v[105:106]
	ds_read_b128 v[75:78], v1 offset:912
	s_waitcnt vmcnt(53) lgkmcnt(1)
	v_mul_f64 v[124:125], v[85:86], v[130:131]
	s_waitcnt vmcnt(52)
	v_fma_f64 v[118:119], v[79:80], v[126:127], -v[118:119]
	v_mul_f64 v[105:106], v[83:84], v[130:131]
	v_fma_f64 v[114:115], v[81:82], v[126:127], v[114:115]
	ds_read_b128 v[79:82], v1 offset:928
	v_add_f64 v[91:92], v[91:92], v[122:123]
	s_waitcnt vmcnt(51) lgkmcnt(1)
	v_mul_f64 v[122:123], v[77:78], v[132:133]
	v_add_f64 v[2:3], v[2:3], v[110:111]
	v_mul_f64 v[110:111], v[75:76], v[132:133]
	s_waitcnt vmcnt(49)
	v_fma_f64 v[124:125], v[83:84], v[136:137], -v[124:125]
	v_fma_f64 v[105:106], v[85:86], v[136:137], v[105:106]
	s_waitcnt vmcnt(45) lgkmcnt(0)
	v_mul_f64 v[128:129], v[81:82], v[138:139]
	v_mul_f64 v[126:127], v[79:80], v[138:139]
	v_add_f64 v[91:92], v[91:92], v[118:119]
	s_waitcnt vmcnt(44)
	v_fma_f64 v[122:123], v[75:76], v[134:135], -v[122:123]
	v_add_f64 v[2:3], v[2:3], v[114:115]
	s_clause 0x3
	buffer_load_dword v114, off, s[0:3], 0 offset:160
	buffer_load_dword v115, off, s[0:3], 0 offset:164
	buffer_load_dword v118, off, s[0:3], 0 offset:168
	buffer_load_dword v119, off, s[0:3], 0 offset:172
	ds_read_b128 v[83:86], v1 offset:944
	v_fma_f64 v[110:111], v[77:78], v[134:135], v[110:111]
	ds_read_b128 v[75:78], v1 offset:960
	s_waitcnt vmcnt(45)
	v_fma_f64 v[128:129], v[79:80], v[144:145], -v[128:129]
	v_add_f64 v[91:92], v[91:92], v[124:125]
	v_add_f64 v[2:3], v[2:3], v[105:106]
	s_waitcnt lgkmcnt(1)
	v_mul_f64 v[124:125], v[85:86], v[140:141]
	v_mul_f64 v[105:106], v[83:84], v[140:141]
	v_add_f64 v[91:92], v[91:92], v[122:123]
	v_fma_f64 v[122:123], v[81:82], v[144:145], v[126:127]
	v_add_f64 v[2:3], v[2:3], v[110:111]
	s_waitcnt vmcnt(41) lgkmcnt(0)
	v_mul_f64 v[126:127], v[77:78], v[148:149]
	s_waitcnt vmcnt(40)
	v_fma_f64 v[124:125], v[83:84], v[142:143], -v[124:125]
	ds_read_b128 v[79:82], v1 offset:976
	v_mul_f64 v[110:111], v[75:76], v[148:149]
	v_fma_f64 v[105:106], v[85:86], v[142:143], v[105:106]
	ds_read_b128 v[83:86], v1 offset:992
	v_add_f64 v[91:92], v[91:92], v[128:129]
	v_add_f64 v[2:3], v[2:3], v[122:123]
	s_waitcnt vmcnt(39) lgkmcnt(1)
	v_mul_f64 v[128:129], v[81:82], v[150:151]
	v_mul_f64 v[122:123], v[79:80], v[150:151]
	s_waitcnt vmcnt(37)
	v_fma_f64 v[126:127], v[75:76], v[89:90], -v[126:127]
	v_fma_f64 v[89:90], v[77:78], v[89:90], v[110:111]
	ds_read_b128 v[75:78], v1 offset:1008
	v_add_f64 v[91:92], v[91:92], v[124:125]
	v_add_f64 v[2:3], v[2:3], v[105:106]
	s_waitcnt vmcnt(33) lgkmcnt(1)
	v_mul_f64 v[105:106], v[83:84], v[93:94]
	v_mul_f64 v[93:94], v[85:86], v[93:94]
	s_waitcnt vmcnt(32)
	v_fma_f64 v[110:111], v[79:80], v[152:153], -v[128:129]
	v_fma_f64 v[122:123], v[81:82], v[152:153], v[122:123]
	ds_read_b128 v[79:82], v1 offset:1024
	v_add_f64 v[91:92], v[91:92], v[126:127]
	v_add_f64 v[2:3], v[2:3], v[89:90]
	s_waitcnt vmcnt(31) lgkmcnt(1)
	v_mul_f64 v[124:125], v[77:78], v[154:155]
	v_mul_f64 v[89:90], v[75:76], v[154:155]
	s_waitcnt vmcnt(29)
	v_fma_f64 v[93:94], v[83:84], v[87:88], -v[93:94]
	v_fma_f64 v[87:88], v[85:86], v[87:88], v[105:106]
	ds_read_b128 v[83:86], v1 offset:1040
	v_add_f64 v[91:92], v[91:92], v[110:111]
	v_add_f64 v[2:3], v[2:3], v[122:123]
	s_waitcnt vmcnt(25) lgkmcnt(1)
	v_mul_f64 v[105:106], v[79:80], v[101:102]
	v_mul_f64 v[101:102], v[81:82], v[101:102]
	s_waitcnt vmcnt(24)
	v_fma_f64 v[110:111], v[75:76], v[159:160], -v[124:125]
	v_fma_f64 v[89:90], v[77:78], v[159:160], v[89:90]
	ds_read_b128 v[75:78], v1 offset:1056
	v_add_f64 v[91:92], v[91:92], v[93:94]
	v_add_f64 v[2:3], v[2:3], v[87:88]
	s_waitcnt vmcnt(23) lgkmcnt(1)
	v_mul_f64 v[93:94], v[85:86], v[146:147]
	v_mul_f64 v[87:88], v[83:84], v[146:147]
	s_waitcnt vmcnt(21)
	v_fma_f64 v[101:102], v[79:80], v[99:100], -v[101:102]
	v_fma_f64 v[99:100], v[81:82], v[99:100], v[105:106]
	ds_read_b128 v[79:82], v1 offset:1072
	v_add_f64 v[91:92], v[91:92], v[110:111]
	v_add_f64 v[2:3], v[2:3], v[89:90]
	s_waitcnt vmcnt(17) lgkmcnt(1)
	v_mul_f64 v[89:90], v[75:76], v[95:96]
	v_mul_f64 v[95:96], v[77:78], v[95:96]
	s_waitcnt vmcnt(16)
	v_fma_f64 v[93:94], v[83:84], v[161:162], -v[93:94]
	v_fma_f64 v[87:88], v[85:86], v[161:162], v[87:88]
	ds_read_b128 v[83:86], v1 offset:1088
	v_add_f64 v[91:92], v[91:92], v[101:102]
	v_add_f64 v[2:3], v[2:3], v[99:100]
	s_waitcnt vmcnt(15) lgkmcnt(1)
	v_mul_f64 v[101:102], v[81:82], v[112:113]
	v_mul_f64 v[99:100], v[79:80], v[112:113]
	s_waitcnt vmcnt(13)
	v_fma_f64 v[95:96], v[75:76], v[97:98], -v[95:96]
	v_fma_f64 v[89:90], v[77:78], v[97:98], v[89:90]
	ds_read_b128 v[75:78], v1 offset:1104
	v_add_f64 v[91:92], v[91:92], v[93:94]
	v_add_f64 v[2:3], v[2:3], v[87:88]
	s_waitcnt vmcnt(9) lgkmcnt(1)
	v_mul_f64 v[93:94], v[85:86], v[103:104]
	s_waitcnt vmcnt(8)
	v_fma_f64 v[79:80], v[79:80], v[156:157], -v[101:102]
	v_mul_f64 v[87:88], v[83:84], v[103:104]
	v_fma_f64 v[81:82], v[81:82], v[156:157], v[99:100]
	v_add_f64 v[91:92], v[91:92], v[95:96]
	v_add_f64 v[2:3], v[2:3], v[89:90]
	s_waitcnt vmcnt(7) lgkmcnt(0)
	v_mul_f64 v[95:96], v[77:78], v[116:117]
	v_mul_f64 v[89:90], v[75:76], v[116:117]
	s_waitcnt vmcnt(5)
	v_fma_f64 v[83:84], v[83:84], v[107:108], -v[93:94]
	v_fma_f64 v[85:86], v[85:86], v[107:108], v[87:88]
	v_add_f64 v[79:80], v[91:92], v[79:80]
	v_add_f64 v[2:3], v[2:3], v[81:82]
	s_waitcnt vmcnt(4)
	v_fma_f64 v[75:76], v[75:76], v[120:121], -v[95:96]
	v_fma_f64 v[77:78], v[77:78], v[120:121], v[89:90]
	v_add_f64 v[79:80], v[79:80], v[83:84]
	v_add_f64 v[2:3], v[2:3], v[85:86]
	;; [unrolled: 1-line block ×4, first 2 shown]
	s_waitcnt vmcnt(2)
	v_add_f64 v[75:76], v[114:115], -v[75:76]
	s_waitcnt vmcnt(0)
	v_add_f64 v[2:3], v[118:119], -v[2:3]
	buffer_store_dword v76, off, s[0:3], 0 offset:164
	buffer_store_dword v75, off, s[0:3], 0 offset:160
	;; [unrolled: 1-line block ×4, first 2 shown]
	v_cmpx_lt_u32_e32 8, v0
	s_cbranch_execz .LBB98_207
; %bb.206:
	v_mov_b32_e32 v2, s39
	s_clause 0x3
	buffer_load_dword v75, v2, s[0:3], 0 offen
	buffer_load_dword v76, v2, s[0:3], 0 offen offset:4
	buffer_load_dword v77, v2, s[0:3], 0 offen offset:8
	;; [unrolled: 1-line block ×3, first 2 shown]
	buffer_store_dword v1, off, s[0:3], 0 offset:144
	buffer_store_dword v1, off, s[0:3], 0 offset:148
	;; [unrolled: 1-line block ×4, first 2 shown]
	s_waitcnt vmcnt(0)
	ds_write_b128 v109, v[75:78]
.LBB98_207:
	s_or_b32 exec_lo, exec_lo, s4
	s_waitcnt lgkmcnt(0)
	s_waitcnt_vscnt null, 0x0
	s_barrier
	buffer_gl0_inv
	s_clause 0x37
	buffer_load_dword v2, off, s[0:3], 0 offset:168
	buffer_load_dword v3, off, s[0:3], 0 offset:172
	;; [unrolled: 1-line block ×56, first 2 shown]
	ds_read_b128 v[75:78], v1 offset:704
	s_clause 0x2
	buffer_load_dword v141, off, s[0:3], 0 offset:396
	buffer_load_dword v145, off, s[0:3], 0 offset:372
	;; [unrolled: 1-line block ×3, first 2 shown]
	ds_read_b128 v[79:82], v1 offset:720
	s_clause 0x4
	buffer_load_dword v149, off, s[0:3], 0 offset:412
	buffer_load_dword v150, off, s[0:3], 0 offset:424
	;; [unrolled: 1-line block ×5, first 2 shown]
	ds_read_b128 v[83:86], v1 offset:736
	s_mov_b32 s4, exec_lo
	s_waitcnt vmcnt(62) lgkmcnt(2)
	v_mul_f64 v[146:147], v[77:78], v[2:3]
	v_mul_f64 v[2:3], v[75:76], v[2:3]
	s_waitcnt vmcnt(60) lgkmcnt(1)
	v_mul_f64 v[153:154], v[81:82], v[87:88]
	v_mul_f64 v[87:88], v[79:80], v[87:88]
	;; [unrolled: 3-line block ×3, first 2 shown]
	v_fma_f64 v[146:147], v[75:76], v[89:90], -v[146:147]
	v_fma_f64 v[2:3], v[77:78], v[89:90], v[2:3]
	s_clause 0x2
	buffer_load_dword v151, off, s[0:3], 0 offset:428
	buffer_load_dword v90, off, s[0:3], 0 offset:404
	;; [unrolled: 1-line block ×3, first 2 shown]
	s_waitcnt vmcnt(57)
	v_fma_f64 v[157:158], v[79:80], v[93:94], -v[153:154]
	ds_read_b128 v[75:78], v1 offset:752
	v_fma_f64 v[87:88], v[81:82], v[93:94], v[87:88]
	s_clause 0x4
	buffer_load_dword v94, off, s[0:3], 0 offset:444
	buffer_load_dword v154, off, s[0:3], 0 offset:456
	;; [unrolled: 1-line block ×5, first 2 shown]
	s_waitcnt vmcnt(56)
	v_fma_f64 v[91:92], v[83:84], v[101:102], -v[91:92]
	ds_read_b128 v[79:82], v1 offset:768
	v_fma_f64 v[101:102], v[85:86], v[101:102], v[155:156]
	v_add_f64 v[146:147], v[146:147], 0
	v_add_f64 v[2:3], v[2:3], 0
	s_waitcnt lgkmcnt(1)
	v_mul_f64 v[160:161], v[75:76], v[95:96]
	v_mul_f64 v[95:96], v[77:78], v[95:96]
	v_add_f64 v[146:147], v[146:147], v[157:158]
	v_add_f64 v[2:3], v[2:3], v[87:88]
	s_clause 0x2
	buffer_load_dword v155, off, s[0:3], 0 offset:460
	buffer_load_dword v88, off, s[0:3], 0 offset:436
	;; [unrolled: 1-line block ×3, first 2 shown]
	s_waitcnt vmcnt(58) lgkmcnt(0)
	v_mul_f64 v[156:157], v[79:80], v[97:98]
	v_mul_f64 v[97:98], v[81:82], v[97:98]
	s_waitcnt vmcnt(56)
	v_fma_f64 v[95:96], v[75:76], v[103:104], -v[95:96]
	ds_read_b128 v[83:86], v1 offset:784
	v_fma_f64 v[103:104], v[77:78], v[103:104], v[160:161]
	v_add_f64 v[91:92], v[146:147], v[91:92]
	v_add_f64 v[2:3], v[2:3], v[101:102]
	s_clause 0x4
	buffer_load_dword v102, off, s[0:3], 0 offset:476
	buffer_load_dword v146, off, s[0:3], 0 offset:488
	;; [unrolled: 1-line block ×5, first 2 shown]
	ds_read_b128 v[75:78], v1 offset:800
	s_waitcnt vmcnt(57) lgkmcnt(1)
	v_mul_f64 v[162:163], v[83:84], v[105:106]
	v_mul_f64 v[105:106], v[85:86], v[105:106]
	s_waitcnt vmcnt(56)
	v_fma_f64 v[97:98], v[79:80], v[99:100], -v[97:98]
	v_add_f64 v[91:92], v[91:92], v[95:96]
	v_fma_f64 v[95:96], v[81:82], v[99:100], v[156:157]
	v_add_f64 v[2:3], v[2:3], v[103:104]
	s_clause 0x2
	buffer_load_dword v147, off, s[0:3], 0 offset:492
	buffer_load_dword v100, off, s[0:3], 0 offset:468
	;; [unrolled: 1-line block ×3, first 2 shown]
	s_waitcnt vmcnt(58) lgkmcnt(0)
	v_mul_f64 v[103:104], v[75:76], v[107:108]
	v_mul_f64 v[107:108], v[77:78], v[107:108]
	s_waitcnt vmcnt(56)
	v_fma_f64 v[105:106], v[83:84], v[112:113], -v[105:106]
	ds_read_b128 v[79:82], v1 offset:816
	v_add_f64 v[91:92], v[91:92], v[97:98]
	v_fma_f64 v[97:98], v[85:86], v[112:113], v[162:163]
	v_add_f64 v[2:3], v[2:3], v[95:96]
	s_clause 0x4
	buffer_load_dword v96, off, s[0:3], 0 offset:508
	buffer_load_dword v112, off, s[0:3], 0 offset:520
	;; [unrolled: 1-line block ×5, first 2 shown]
	ds_read_b128 v[83:86], v1 offset:832
	s_waitcnt vmcnt(57) lgkmcnt(1)
	v_mul_f64 v[157:158], v[79:80], v[114:115]
	v_mul_f64 v[114:115], v[81:82], v[114:115]
	s_waitcnt vmcnt(56)
	v_fma_f64 v[107:108], v[75:76], v[110:111], -v[107:108]
	v_fma_f64 v[103:104], v[77:78], v[110:111], v[103:104]
	v_add_f64 v[91:92], v[91:92], v[105:106]
	v_add_f64 v[2:3], v[2:3], v[97:98]
	s_clause 0x2
	buffer_load_dword v113, off, s[0:3], 0 offset:524
	buffer_load_dword v98, off, s[0:3], 0 offset:500
	;; [unrolled: 1-line block ×3, first 2 shown]
	s_waitcnt vmcnt(58) lgkmcnt(0)
	v_mul_f64 v[110:111], v[85:86], v[116:117]
	ds_read_b128 v[75:78], v1 offset:848
	s_waitcnt vmcnt(56)
	v_fma_f64 v[114:115], v[79:80], v[120:121], -v[114:115]
	v_mul_f64 v[105:106], v[83:84], v[116:117]
	v_add_f64 v[91:92], v[91:92], v[107:108]
	v_fma_f64 v[107:108], v[81:82], v[120:121], v[157:158]
	v_add_f64 v[2:3], v[2:3], v[103:104]
	s_clause 0x4
	buffer_load_dword v104, off, s[0:3], 0 offset:540
	buffer_load_dword v116, off, s[0:3], 0 offset:552
	;; [unrolled: 1-line block ×5, first 2 shown]
	s_waitcnt vmcnt(57) lgkmcnt(0)
	v_mul_f64 v[163:164], v[75:76], v[122:123]
	v_mul_f64 v[121:122], v[77:78], v[122:123]
	s_waitcnt vmcnt(56)
	v_fma_f64 v[110:111], v[83:84], v[118:119], -v[110:111]
	ds_read_b128 v[79:82], v1 offset:864
	v_fma_f64 v[105:106], v[85:86], v[118:119], v[105:106]
	v_add_f64 v[91:92], v[91:92], v[114:115]
	v_add_f64 v[2:3], v[2:3], v[107:108]
	s_clause 0x2
	buffer_load_dword v117, off, s[0:3], 0 offset:556
	buffer_load_dword v108, off, s[0:3], 0 offset:532
	;; [unrolled: 1-line block ×3, first 2 shown]
	ds_read_b128 v[83:86], v1 offset:880
	s_waitcnt vmcnt(58) lgkmcnt(1)
	v_mul_f64 v[118:119], v[81:82], v[124:125]
	s_waitcnt vmcnt(56)
	v_fma_f64 v[122:123], v[75:76], v[128:129], -v[121:122]
	v_mul_f64 v[114:115], v[79:80], v[124:125]
	v_add_f64 v[91:92], v[91:92], v[110:111]
	v_fma_f64 v[110:111], v[77:78], v[128:129], v[163:164]
	v_add_f64 v[2:3], v[2:3], v[105:106]
	s_clause 0x2
	buffer_load_dword v106, off, s[0:3], 0 offset:572
	buffer_load_dword v105, off, s[0:3], 0 offset:568
	;; [unrolled: 1-line block ×3, first 2 shown]
	s_waitcnt vmcnt(55) lgkmcnt(0)
	v_mul_f64 v[128:129], v[85:86], v[130:131]
	s_waitcnt vmcnt(54)
	v_fma_f64 v[118:119], v[79:80], v[126:127], -v[118:119]
	ds_read_b128 v[75:78], v1 offset:896
	v_mul_f64 v[124:125], v[83:84], v[130:131]
	v_fma_f64 v[114:115], v[81:82], v[126:127], v[114:115]
	v_add_f64 v[91:92], v[91:92], v[122:123]
	v_add_f64 v[2:3], v[2:3], v[110:111]
	s_clause 0x1
	buffer_load_dword v111, off, s[0:3], 0 offset:564
	buffer_load_dword v110, off, s[0:3], 0 offset:560
	s_waitcnt vmcnt(55) lgkmcnt(0)
	v_mul_f64 v[126:127], v[77:78], v[132:133]
	s_waitcnt vmcnt(53)
	v_fma_f64 v[128:129], v[83:84], v[136:137], -v[128:129]
	ds_read_b128 v[79:82], v1 offset:912
	v_mul_f64 v[122:123], v[75:76], v[132:133]
	v_add_f64 v[91:92], v[91:92], v[118:119]
	v_fma_f64 v[118:119], v[85:86], v[136:137], v[124:125]
	v_add_f64 v[2:3], v[2:3], v[114:115]
	ds_read_b128 v[83:86], v1 offset:928
	s_waitcnt vmcnt(49) lgkmcnt(1)
	v_mul_f64 v[124:125], v[81:82], v[138:139]
	s_waitcnt vmcnt(48)
	v_fma_f64 v[126:127], v[75:76], v[134:135], -v[126:127]
	v_mul_f64 v[114:115], v[79:80], v[138:139]
	v_fma_f64 v[122:123], v[77:78], v[134:135], v[122:123]
	v_add_f64 v[91:92], v[91:92], v[128:129]
	s_waitcnt vmcnt(47) lgkmcnt(0)
	v_mul_f64 v[132:133], v[85:86], v[140:141]
	v_add_f64 v[2:3], v[2:3], v[118:119]
	s_clause 0x3
	buffer_load_dword v118, off, s[0:3], 0 offset:144
	buffer_load_dword v119, off, s[0:3], 0 offset:148
	;; [unrolled: 1-line block ×4, first 2 shown]
	s_waitcnt vmcnt(49)
	v_fma_f64 v[124:125], v[79:80], v[144:145], -v[124:125]
	ds_read_b128 v[75:78], v1 offset:944
	v_mul_f64 v[130:131], v[83:84], v[140:141]
	v_fma_f64 v[114:115], v[81:82], v[144:145], v[114:115]
	ds_read_b128 v[79:82], v1 offset:960
	v_add_f64 v[91:92], v[91:92], v[126:127]
	s_waitcnt vmcnt(44)
	v_fma_f64 v[132:133], v[83:84], v[142:143], -v[132:133]
	v_add_f64 v[2:3], v[2:3], v[122:123]
	s_waitcnt lgkmcnt(1)
	v_mul_f64 v[126:127], v[77:78], v[148:149]
	v_mul_f64 v[122:123], v[75:76], v[148:149]
	v_add_f64 v[91:92], v[91:92], v[124:125]
	v_fma_f64 v[124:125], v[85:86], v[142:143], v[130:131]
	v_add_f64 v[2:3], v[2:3], v[114:115]
	ds_read_b128 v[83:86], v1 offset:976
	s_waitcnt vmcnt(43) lgkmcnt(1)
	v_mul_f64 v[130:131], v[81:82], v[150:151]
	v_mul_f64 v[114:115], v[79:80], v[150:151]
	s_waitcnt vmcnt(41)
	v_fma_f64 v[126:127], v[75:76], v[89:90], -v[126:127]
	v_fma_f64 v[89:90], v[77:78], v[89:90], v[122:123]
	ds_read_b128 v[75:78], v1 offset:992
	v_add_f64 v[91:92], v[91:92], v[132:133]
	s_waitcnt vmcnt(37) lgkmcnt(1)
	v_mul_f64 v[122:123], v[83:84], v[93:94]
	v_add_f64 v[2:3], v[2:3], v[124:125]
	v_mul_f64 v[93:94], v[85:86], v[93:94]
	s_waitcnt vmcnt(36)
	v_fma_f64 v[124:125], v[79:80], v[152:153], -v[130:131]
	v_fma_f64 v[114:115], v[81:82], v[152:153], v[114:115]
	ds_read_b128 v[79:82], v1 offset:1008
	v_add_f64 v[91:92], v[91:92], v[126:127]
	v_add_f64 v[2:3], v[2:3], v[89:90]
	s_waitcnt vmcnt(35) lgkmcnt(1)
	v_mul_f64 v[126:127], v[77:78], v[154:155]
	v_mul_f64 v[89:90], v[75:76], v[154:155]
	s_waitcnt vmcnt(33)
	v_fma_f64 v[93:94], v[83:84], v[87:88], -v[93:94]
	v_fma_f64 v[87:88], v[85:86], v[87:88], v[122:123]
	ds_read_b128 v[83:86], v1 offset:1024
	v_add_f64 v[91:92], v[91:92], v[124:125]
	v_add_f64 v[2:3], v[2:3], v[114:115]
	s_waitcnt vmcnt(29) lgkmcnt(1)
	v_mul_f64 v[114:115], v[79:80], v[101:102]
	;; [unrolled: 9-line block ×6, first 2 shown]
	s_waitcnt vmcnt(12)
	v_fma_f64 v[79:80], v[79:80], v[156:157], -v[101:102]
	v_mul_f64 v[87:88], v[83:84], v[103:104]
	v_fma_f64 v[81:82], v[81:82], v[156:157], v[99:100]
	v_add_f64 v[91:92], v[91:92], v[95:96]
	v_add_f64 v[89:90], v[2:3], v[89:90]
	ds_read_b128 v[1:4], v1 offset:1104
	s_waitcnt vmcnt(11) lgkmcnt(1)
	v_mul_f64 v[97:98], v[77:78], v[116:117]
	v_mul_f64 v[95:96], v[75:76], v[116:117]
	s_waitcnt vmcnt(9)
	v_fma_f64 v[83:84], v[83:84], v[107:108], -v[93:94]
	v_fma_f64 v[85:86], v[85:86], v[107:108], v[87:88]
	v_add_f64 v[79:80], v[91:92], v[79:80]
	v_add_f64 v[81:82], v[89:90], v[81:82]
	s_waitcnt vmcnt(7) lgkmcnt(0)
	v_mul_f64 v[89:90], v[3:4], v[105:106]
	s_waitcnt vmcnt(6)
	v_fma_f64 v[75:76], v[75:76], v[120:121], -v[97:98]
	v_mul_f64 v[87:88], v[1:2], v[105:106]
	v_fma_f64 v[77:78], v[77:78], v[120:121], v[95:96]
	v_add_f64 v[79:80], v[79:80], v[83:84]
	v_add_f64 v[81:82], v[81:82], v[85:86]
	s_waitcnt vmcnt(4)
	v_fma_f64 v[1:2], v[1:2], v[110:111], -v[89:90]
	v_fma_f64 v[3:4], v[3:4], v[110:111], v[87:88]
	v_add_f64 v[75:76], v[79:80], v[75:76]
	v_add_f64 v[77:78], v[81:82], v[77:78]
	v_add_f64 v[1:2], v[75:76], v[1:2]
	v_add_f64 v[3:4], v[77:78], v[3:4]
	s_waitcnt vmcnt(2)
	v_add_f64 v[1:2], v[118:119], -v[1:2]
	s_waitcnt vmcnt(0)
	v_add_f64 v[3:4], v[128:129], -v[3:4]
	buffer_store_dword v2, off, s[0:3], 0 offset:148
	buffer_store_dword v1, off, s[0:3], 0 offset:144
	;; [unrolled: 1-line block ×4, first 2 shown]
	v_cmpx_lt_u32_e32 7, v0
	s_cbranch_execz .LBB98_209
; %bb.208:
	v_mov_b32_e32 v4, s40
	v_mov_b32_e32 v75, 0
	s_clause 0x3
	buffer_load_dword v1, v4, s[0:3], 0 offen
	buffer_load_dword v2, v4, s[0:3], 0 offen offset:4
	buffer_load_dword v3, v4, s[0:3], 0 offen offset:8
	;; [unrolled: 1-line block ×3, first 2 shown]
	buffer_store_dword v75, off, s[0:3], 0 offset:128
	buffer_store_dword v75, off, s[0:3], 0 offset:132
	;; [unrolled: 1-line block ×4, first 2 shown]
	s_waitcnt vmcnt(0)
	ds_write_b128 v109, v[1:4]
.LBB98_209:
	s_or_b32 exec_lo, exec_lo, s4
	s_waitcnt lgkmcnt(0)
	s_waitcnt_vscnt null, 0x0
	s_barrier
	buffer_gl0_inv
	s_clause 0x37
	buffer_load_dword v2, off, s[0:3], 0 offset:152
	buffer_load_dword v3, off, s[0:3], 0 offset:156
	;; [unrolled: 1-line block ×56, first 2 shown]
	v_mov_b32_e32 v1, 0
	s_mov_b32 s4, exec_lo
	ds_read_b128 v[75:78], v1 offset:688
	s_clause 0x2
	buffer_load_dword v141, off, s[0:3], 0 offset:380
	buffer_load_dword v145, off, s[0:3], 0 offset:356
	buffer_load_dword v144, off, s[0:3], 0 offset:352
	ds_read_b128 v[79:82], v1 offset:704
	s_clause 0x4
	buffer_load_dword v149, off, s[0:3], 0 offset:396
	buffer_load_dword v150, off, s[0:3], 0 offset:408
	;; [unrolled: 1-line block ×5, first 2 shown]
	ds_read_b128 v[83:86], v1 offset:720
	s_waitcnt vmcnt(62) lgkmcnt(2)
	v_mul_f64 v[146:147], v[77:78], v[2:3]
	v_mul_f64 v[2:3], v[75:76], v[2:3]
	s_waitcnt vmcnt(60) lgkmcnt(1)
	v_mul_f64 v[153:154], v[81:82], v[87:88]
	v_mul_f64 v[87:88], v[79:80], v[87:88]
	;; [unrolled: 3-line block ×3, first 2 shown]
	v_fma_f64 v[146:147], v[75:76], v[89:90], -v[146:147]
	v_fma_f64 v[2:3], v[77:78], v[89:90], v[2:3]
	s_clause 0x2
	buffer_load_dword v151, off, s[0:3], 0 offset:412
	buffer_load_dword v90, off, s[0:3], 0 offset:388
	;; [unrolled: 1-line block ×3, first 2 shown]
	s_waitcnt vmcnt(57)
	v_fma_f64 v[157:158], v[79:80], v[93:94], -v[153:154]
	ds_read_b128 v[75:78], v1 offset:736
	v_fma_f64 v[87:88], v[81:82], v[93:94], v[87:88]
	s_clause 0x4
	buffer_load_dword v94, off, s[0:3], 0 offset:428
	buffer_load_dword v154, off, s[0:3], 0 offset:440
	;; [unrolled: 1-line block ×5, first 2 shown]
	s_waitcnt vmcnt(56)
	v_fma_f64 v[91:92], v[83:84], v[101:102], -v[91:92]
	ds_read_b128 v[79:82], v1 offset:752
	v_fma_f64 v[101:102], v[85:86], v[101:102], v[155:156]
	v_add_f64 v[146:147], v[146:147], 0
	v_add_f64 v[2:3], v[2:3], 0
	s_waitcnt lgkmcnt(1)
	v_mul_f64 v[160:161], v[75:76], v[95:96]
	v_mul_f64 v[95:96], v[77:78], v[95:96]
	v_add_f64 v[146:147], v[146:147], v[157:158]
	v_add_f64 v[2:3], v[2:3], v[87:88]
	s_clause 0x2
	buffer_load_dword v155, off, s[0:3], 0 offset:444
	buffer_load_dword v88, off, s[0:3], 0 offset:420
	;; [unrolled: 1-line block ×3, first 2 shown]
	s_waitcnt vmcnt(58) lgkmcnt(0)
	v_mul_f64 v[156:157], v[79:80], v[97:98]
	v_mul_f64 v[97:98], v[81:82], v[97:98]
	s_waitcnt vmcnt(56)
	v_fma_f64 v[95:96], v[75:76], v[103:104], -v[95:96]
	ds_read_b128 v[83:86], v1 offset:768
	v_fma_f64 v[103:104], v[77:78], v[103:104], v[160:161]
	v_add_f64 v[91:92], v[146:147], v[91:92]
	v_add_f64 v[2:3], v[2:3], v[101:102]
	s_clause 0x4
	buffer_load_dword v102, off, s[0:3], 0 offset:460
	buffer_load_dword v146, off, s[0:3], 0 offset:472
	;; [unrolled: 1-line block ×5, first 2 shown]
	ds_read_b128 v[75:78], v1 offset:784
	s_waitcnt vmcnt(57) lgkmcnt(1)
	v_mul_f64 v[162:163], v[83:84], v[105:106]
	v_mul_f64 v[105:106], v[85:86], v[105:106]
	s_waitcnt vmcnt(56)
	v_fma_f64 v[97:98], v[79:80], v[99:100], -v[97:98]
	v_add_f64 v[91:92], v[91:92], v[95:96]
	v_fma_f64 v[95:96], v[81:82], v[99:100], v[156:157]
	v_add_f64 v[2:3], v[2:3], v[103:104]
	s_clause 0x2
	buffer_load_dword v147, off, s[0:3], 0 offset:476
	buffer_load_dword v100, off, s[0:3], 0 offset:452
	;; [unrolled: 1-line block ×3, first 2 shown]
	s_waitcnt vmcnt(58) lgkmcnt(0)
	v_mul_f64 v[103:104], v[75:76], v[107:108]
	v_mul_f64 v[107:108], v[77:78], v[107:108]
	s_waitcnt vmcnt(56)
	v_fma_f64 v[105:106], v[83:84], v[112:113], -v[105:106]
	ds_read_b128 v[79:82], v1 offset:800
	v_add_f64 v[91:92], v[91:92], v[97:98]
	v_fma_f64 v[97:98], v[85:86], v[112:113], v[162:163]
	v_add_f64 v[2:3], v[2:3], v[95:96]
	s_clause 0x4
	buffer_load_dword v96, off, s[0:3], 0 offset:492
	buffer_load_dword v112, off, s[0:3], 0 offset:504
	;; [unrolled: 1-line block ×5, first 2 shown]
	ds_read_b128 v[83:86], v1 offset:816
	s_waitcnt vmcnt(57) lgkmcnt(1)
	v_mul_f64 v[157:158], v[79:80], v[114:115]
	v_mul_f64 v[114:115], v[81:82], v[114:115]
	s_waitcnt vmcnt(56)
	v_fma_f64 v[107:108], v[75:76], v[110:111], -v[107:108]
	v_fma_f64 v[103:104], v[77:78], v[110:111], v[103:104]
	v_add_f64 v[91:92], v[91:92], v[105:106]
	v_add_f64 v[2:3], v[2:3], v[97:98]
	s_clause 0x2
	buffer_load_dword v113, off, s[0:3], 0 offset:508
	buffer_load_dword v98, off, s[0:3], 0 offset:484
	buffer_load_dword v97, off, s[0:3], 0 offset:480
	s_waitcnt vmcnt(58) lgkmcnt(0)
	v_mul_f64 v[110:111], v[85:86], v[116:117]
	ds_read_b128 v[75:78], v1 offset:832
	s_waitcnt vmcnt(56)
	v_fma_f64 v[114:115], v[79:80], v[120:121], -v[114:115]
	v_mul_f64 v[105:106], v[83:84], v[116:117]
	v_add_f64 v[91:92], v[91:92], v[107:108]
	v_fma_f64 v[107:108], v[81:82], v[120:121], v[157:158]
	v_add_f64 v[2:3], v[2:3], v[103:104]
	s_clause 0x4
	buffer_load_dword v104, off, s[0:3], 0 offset:524
	buffer_load_dword v116, off, s[0:3], 0 offset:536
	;; [unrolled: 1-line block ×5, first 2 shown]
	s_waitcnt vmcnt(57) lgkmcnt(0)
	v_mul_f64 v[163:164], v[75:76], v[122:123]
	v_mul_f64 v[121:122], v[77:78], v[122:123]
	s_waitcnt vmcnt(56)
	v_fma_f64 v[110:111], v[83:84], v[118:119], -v[110:111]
	ds_read_b128 v[79:82], v1 offset:848
	v_fma_f64 v[105:106], v[85:86], v[118:119], v[105:106]
	v_add_f64 v[91:92], v[91:92], v[114:115]
	v_add_f64 v[2:3], v[2:3], v[107:108]
	s_clause 0x2
	buffer_load_dword v117, off, s[0:3], 0 offset:540
	buffer_load_dword v108, off, s[0:3], 0 offset:516
	;; [unrolled: 1-line block ×3, first 2 shown]
	ds_read_b128 v[83:86], v1 offset:864
	s_waitcnt vmcnt(58) lgkmcnt(1)
	v_mul_f64 v[118:119], v[81:82], v[124:125]
	s_waitcnt vmcnt(56)
	v_fma_f64 v[122:123], v[75:76], v[128:129], -v[121:122]
	v_mul_f64 v[114:115], v[79:80], v[124:125]
	v_add_f64 v[91:92], v[91:92], v[110:111]
	v_fma_f64 v[110:111], v[77:78], v[128:129], v[163:164]
	v_add_f64 v[2:3], v[2:3], v[105:106]
	s_clause 0x4
	buffer_load_dword v106, off, s[0:3], 0 offset:556
	buffer_load_dword v124, off, s[0:3], 0 offset:568
	;; [unrolled: 1-line block ×5, first 2 shown]
	s_waitcnt vmcnt(57) lgkmcnt(0)
	v_mul_f64 v[163:164], v[83:84], v[130:131]
	v_mul_f64 v[129:130], v[85:86], v[130:131]
	s_waitcnt vmcnt(56)
	v_fma_f64 v[118:119], v[79:80], v[126:127], -v[118:119]
	ds_read_b128 v[75:78], v1 offset:880
	v_fma_f64 v[114:115], v[81:82], v[126:127], v[114:115]
	v_add_f64 v[91:92], v[91:92], v[122:123]
	v_add_f64 v[2:3], v[2:3], v[110:111]
	s_clause 0x2
	buffer_load_dword v125, off, s[0:3], 0 offset:572
	buffer_load_dword v111, off, s[0:3], 0 offset:548
	;; [unrolled: 1-line block ×3, first 2 shown]
	ds_read_b128 v[79:82], v1 offset:896
	s_waitcnt vmcnt(58) lgkmcnt(1)
	v_mul_f64 v[126:127], v[77:78], v[132:133]
	s_waitcnt vmcnt(56)
	v_fma_f64 v[130:131], v[83:84], v[136:137], -v[129:130]
	v_mul_f64 v[122:123], v[75:76], v[132:133]
	buffer_load_dword v129, off, s[0:3], 0 offset:564
	v_add_f64 v[91:92], v[91:92], v[118:119]
	v_fma_f64 v[118:119], v[85:86], v[136:137], v[163:164]
	v_add_f64 v[2:3], v[2:3], v[114:115]
	ds_read_b128 v[83:86], v1 offset:912
	s_waitcnt vmcnt(53) lgkmcnt(1)
	v_mul_f64 v[132:133], v[81:82], v[138:139]
	s_waitcnt vmcnt(52)
	v_fma_f64 v[126:127], v[75:76], v[134:135], -v[126:127]
	v_mul_f64 v[114:115], v[79:80], v[138:139]
	v_fma_f64 v[122:123], v[77:78], v[134:135], v[122:123]
	ds_read_b128 v[75:78], v1 offset:928
	v_add_f64 v[91:92], v[91:92], v[130:131]
	s_waitcnt vmcnt(51) lgkmcnt(1)
	v_mul_f64 v[130:131], v[85:86], v[140:141]
	v_add_f64 v[2:3], v[2:3], v[118:119]
	v_mul_f64 v[118:119], v[83:84], v[140:141]
	s_waitcnt vmcnt(49)
	v_fma_f64 v[132:133], v[79:80], v[144:145], -v[132:133]
	v_fma_f64 v[114:115], v[81:82], v[144:145], v[114:115]
	s_waitcnt vmcnt(45) lgkmcnt(0)
	v_mul_f64 v[136:137], v[77:78], v[148:149]
	v_mul_f64 v[134:135], v[75:76], v[148:149]
	v_add_f64 v[91:92], v[91:92], v[126:127]
	s_waitcnt vmcnt(44)
	v_fma_f64 v[130:131], v[83:84], v[142:143], -v[130:131]
	v_add_f64 v[2:3], v[2:3], v[122:123]
	s_clause 0x3
	buffer_load_dword v122, off, s[0:3], 0 offset:128
	buffer_load_dword v123, off, s[0:3], 0 offset:132
	;; [unrolled: 1-line block ×4, first 2 shown]
	ds_read_b128 v[79:82], v1 offset:944
	v_fma_f64 v[118:119], v[85:86], v[142:143], v[118:119]
	ds_read_b128 v[83:86], v1 offset:960
	v_add_f64 v[91:92], v[91:92], v[132:133]
	v_add_f64 v[2:3], v[2:3], v[114:115]
	s_waitcnt vmcnt(47) lgkmcnt(1)
	v_mul_f64 v[132:133], v[81:82], v[150:151]
	v_mul_f64 v[114:115], v[79:80], v[150:151]
	s_waitcnt vmcnt(45)
	v_fma_f64 v[136:137], v[75:76], v[89:90], -v[136:137]
	v_fma_f64 v[89:90], v[77:78], v[89:90], v[134:135]
	ds_read_b128 v[75:78], v1 offset:976
	v_add_f64 v[91:92], v[91:92], v[130:131]
	v_add_f64 v[2:3], v[2:3], v[118:119]
	s_waitcnt vmcnt(41) lgkmcnt(1)
	v_mul_f64 v[118:119], v[83:84], v[93:94]
	v_mul_f64 v[93:94], v[85:86], v[93:94]
	s_waitcnt vmcnt(40)
	v_fma_f64 v[130:131], v[79:80], v[152:153], -v[132:133]
	;; [unrolled: 9-line block ×7, first 2 shown]
	v_fma_f64 v[89:90], v[77:78], v[97:98], v[89:90]
	ds_read_b128 v[75:78], v1 offset:1072
	v_add_f64 v[91:92], v[91:92], v[93:94]
	v_add_f64 v[2:3], v[2:3], v[87:88]
	s_waitcnt vmcnt(17) lgkmcnt(1)
	v_mul_f64 v[93:94], v[85:86], v[103:104]
	s_waitcnt vmcnt(16)
	v_fma_f64 v[97:98], v[79:80], v[156:157], -v[101:102]
	v_mul_f64 v[87:88], v[83:84], v[103:104]
	v_add_f64 v[91:92], v[91:92], v[95:96]
	v_fma_f64 v[95:96], v[81:82], v[156:157], v[99:100]
	v_add_f64 v[2:3], v[2:3], v[89:90]
	ds_read_b128 v[79:82], v1 offset:1088
	s_waitcnt vmcnt(15) lgkmcnt(1)
	v_mul_f64 v[99:100], v[77:78], v[116:117]
	v_mul_f64 v[89:90], v[75:76], v[116:117]
	s_waitcnt vmcnt(13)
	v_fma_f64 v[93:94], v[83:84], v[107:108], -v[93:94]
	v_fma_f64 v[87:88], v[85:86], v[107:108], v[87:88]
	ds_read_b128 v[83:86], v1 offset:1104
	v_add_f64 v[91:92], v[91:92], v[97:98]
	v_add_f64 v[2:3], v[2:3], v[95:96]
	s_waitcnt vmcnt(9) lgkmcnt(1)
	v_mul_f64 v[97:98], v[81:82], v[105:106]
	s_waitcnt vmcnt(8)
	v_fma_f64 v[75:76], v[75:76], v[120:121], -v[99:100]
	v_mul_f64 v[95:96], v[79:80], v[105:106]
	v_fma_f64 v[77:78], v[77:78], v[120:121], v[89:90]
	v_add_f64 v[91:92], v[91:92], v[93:94]
	v_add_f64 v[2:3], v[2:3], v[87:88]
	s_waitcnt vmcnt(7) lgkmcnt(0)
	v_mul_f64 v[89:90], v[85:86], v[124:125]
	v_mul_f64 v[87:88], v[83:84], v[124:125]
	s_waitcnt vmcnt(5)
	v_fma_f64 v[79:80], v[79:80], v[110:111], -v[97:98]
	v_fma_f64 v[81:82], v[81:82], v[110:111], v[95:96]
	v_add_f64 v[75:76], v[91:92], v[75:76]
	v_add_f64 v[2:3], v[2:3], v[77:78]
	s_waitcnt vmcnt(4)
	v_fma_f64 v[77:78], v[83:84], v[128:129], -v[89:90]
	v_add_f64 v[75:76], v[75:76], v[79:80]
	v_fma_f64 v[79:80], v[85:86], v[128:129], v[87:88]
	v_add_f64 v[2:3], v[2:3], v[81:82]
	v_add_f64 v[75:76], v[75:76], v[77:78]
	;; [unrolled: 1-line block ×3, first 2 shown]
	s_waitcnt vmcnt(2)
	v_add_f64 v[75:76], v[122:123], -v[75:76]
	s_waitcnt vmcnt(0)
	v_add_f64 v[2:3], v[126:127], -v[2:3]
	buffer_store_dword v76, off, s[0:3], 0 offset:132
	buffer_store_dword v75, off, s[0:3], 0 offset:128
	;; [unrolled: 1-line block ×4, first 2 shown]
	v_cmpx_lt_u32_e32 6, v0
	s_cbranch_execz .LBB98_211
; %bb.210:
	v_mov_b32_e32 v2, s41
	s_clause 0x3
	buffer_load_dword v75, v2, s[0:3], 0 offen
	buffer_load_dword v76, v2, s[0:3], 0 offen offset:4
	buffer_load_dword v77, v2, s[0:3], 0 offen offset:8
	;; [unrolled: 1-line block ×3, first 2 shown]
	buffer_store_dword v1, off, s[0:3], 0 offset:112
	buffer_store_dword v1, off, s[0:3], 0 offset:116
	;; [unrolled: 1-line block ×4, first 2 shown]
	s_waitcnt vmcnt(0)
	ds_write_b128 v109, v[75:78]
.LBB98_211:
	s_or_b32 exec_lo, exec_lo, s4
	s_waitcnt lgkmcnt(0)
	s_waitcnt_vscnt null, 0x0
	s_barrier
	buffer_gl0_inv
	s_clause 0x37
	buffer_load_dword v2, off, s[0:3], 0 offset:136
	buffer_load_dword v3, off, s[0:3], 0 offset:140
	;; [unrolled: 1-line block ×56, first 2 shown]
	ds_read_b128 v[75:78], v1 offset:672
	s_clause 0x2
	buffer_load_dword v141, off, s[0:3], 0 offset:364
	buffer_load_dword v145, off, s[0:3], 0 offset:340
	buffer_load_dword v144, off, s[0:3], 0 offset:336
	ds_read_b128 v[79:82], v1 offset:688
	s_clause 0x4
	buffer_load_dword v149, off, s[0:3], 0 offset:380
	buffer_load_dword v150, off, s[0:3], 0 offset:392
	;; [unrolled: 1-line block ×5, first 2 shown]
	ds_read_b128 v[83:86], v1 offset:704
	s_mov_b32 s4, exec_lo
	s_waitcnt vmcnt(62) lgkmcnt(2)
	v_mul_f64 v[146:147], v[77:78], v[2:3]
	v_mul_f64 v[2:3], v[75:76], v[2:3]
	s_waitcnt vmcnt(60) lgkmcnt(1)
	v_mul_f64 v[153:154], v[81:82], v[87:88]
	v_mul_f64 v[87:88], v[79:80], v[87:88]
	s_waitcnt vmcnt(56) lgkmcnt(0)
	v_mul_f64 v[155:156], v[83:84], v[91:92]
	v_mul_f64 v[91:92], v[85:86], v[91:92]
	v_fma_f64 v[146:147], v[75:76], v[89:90], -v[146:147]
	v_fma_f64 v[2:3], v[77:78], v[89:90], v[2:3]
	s_clause 0x2
	buffer_load_dword v151, off, s[0:3], 0 offset:396
	buffer_load_dword v90, off, s[0:3], 0 offset:372
	;; [unrolled: 1-line block ×3, first 2 shown]
	s_waitcnt vmcnt(57)
	v_fma_f64 v[157:158], v[79:80], v[93:94], -v[153:154]
	ds_read_b128 v[75:78], v1 offset:720
	v_fma_f64 v[87:88], v[81:82], v[93:94], v[87:88]
	s_clause 0x4
	buffer_load_dword v94, off, s[0:3], 0 offset:412
	buffer_load_dword v154, off, s[0:3], 0 offset:424
	;; [unrolled: 1-line block ×5, first 2 shown]
	s_waitcnt vmcnt(56)
	v_fma_f64 v[91:92], v[83:84], v[101:102], -v[91:92]
	ds_read_b128 v[79:82], v1 offset:736
	v_fma_f64 v[101:102], v[85:86], v[101:102], v[155:156]
	v_add_f64 v[146:147], v[146:147], 0
	v_add_f64 v[2:3], v[2:3], 0
	s_waitcnt lgkmcnt(1)
	v_mul_f64 v[160:161], v[75:76], v[95:96]
	v_mul_f64 v[95:96], v[77:78], v[95:96]
	v_add_f64 v[146:147], v[146:147], v[157:158]
	v_add_f64 v[2:3], v[2:3], v[87:88]
	s_clause 0x2
	buffer_load_dword v155, off, s[0:3], 0 offset:428
	buffer_load_dword v88, off, s[0:3], 0 offset:404
	;; [unrolled: 1-line block ×3, first 2 shown]
	s_waitcnt vmcnt(58) lgkmcnt(0)
	v_mul_f64 v[156:157], v[79:80], v[97:98]
	v_mul_f64 v[97:98], v[81:82], v[97:98]
	s_waitcnt vmcnt(56)
	v_fma_f64 v[95:96], v[75:76], v[103:104], -v[95:96]
	ds_read_b128 v[83:86], v1 offset:752
	v_fma_f64 v[103:104], v[77:78], v[103:104], v[160:161]
	v_add_f64 v[91:92], v[146:147], v[91:92]
	v_add_f64 v[2:3], v[2:3], v[101:102]
	s_clause 0x4
	buffer_load_dword v102, off, s[0:3], 0 offset:444
	buffer_load_dword v146, off, s[0:3], 0 offset:456
	buffer_load_dword v161, off, s[0:3], 0 offset:448
	buffer_load_dword v101, off, s[0:3], 0 offset:440
	buffer_load_dword v160, off, s[0:3], 0 offset:420
	ds_read_b128 v[75:78], v1 offset:768
	s_waitcnt vmcnt(57) lgkmcnt(1)
	v_mul_f64 v[162:163], v[83:84], v[105:106]
	v_mul_f64 v[105:106], v[85:86], v[105:106]
	s_waitcnt vmcnt(56)
	v_fma_f64 v[97:98], v[79:80], v[99:100], -v[97:98]
	v_add_f64 v[91:92], v[91:92], v[95:96]
	v_fma_f64 v[95:96], v[81:82], v[99:100], v[156:157]
	v_add_f64 v[2:3], v[2:3], v[103:104]
	s_clause 0x2
	buffer_load_dword v147, off, s[0:3], 0 offset:460
	buffer_load_dword v100, off, s[0:3], 0 offset:436
	buffer_load_dword v99, off, s[0:3], 0 offset:432
	s_waitcnt vmcnt(58) lgkmcnt(0)
	v_mul_f64 v[103:104], v[75:76], v[107:108]
	v_mul_f64 v[107:108], v[77:78], v[107:108]
	s_waitcnt vmcnt(56)
	v_fma_f64 v[105:106], v[83:84], v[112:113], -v[105:106]
	ds_read_b128 v[79:82], v1 offset:784
	v_add_f64 v[91:92], v[91:92], v[97:98]
	v_fma_f64 v[97:98], v[85:86], v[112:113], v[162:163]
	v_add_f64 v[2:3], v[2:3], v[95:96]
	s_clause 0x4
	buffer_load_dword v96, off, s[0:3], 0 offset:476
	buffer_load_dword v112, off, s[0:3], 0 offset:488
	;; [unrolled: 1-line block ×5, first 2 shown]
	ds_read_b128 v[83:86], v1 offset:800
	s_waitcnt vmcnt(57) lgkmcnt(1)
	v_mul_f64 v[157:158], v[79:80], v[114:115]
	v_mul_f64 v[114:115], v[81:82], v[114:115]
	s_waitcnt vmcnt(56)
	v_fma_f64 v[107:108], v[75:76], v[110:111], -v[107:108]
	v_fma_f64 v[103:104], v[77:78], v[110:111], v[103:104]
	v_add_f64 v[91:92], v[91:92], v[105:106]
	v_add_f64 v[2:3], v[2:3], v[97:98]
	s_clause 0x2
	buffer_load_dword v113, off, s[0:3], 0 offset:492
	buffer_load_dword v98, off, s[0:3], 0 offset:468
	;; [unrolled: 1-line block ×3, first 2 shown]
	s_waitcnt vmcnt(58) lgkmcnt(0)
	v_mul_f64 v[110:111], v[85:86], v[116:117]
	ds_read_b128 v[75:78], v1 offset:816
	s_waitcnt vmcnt(56)
	v_fma_f64 v[114:115], v[79:80], v[120:121], -v[114:115]
	v_mul_f64 v[105:106], v[83:84], v[116:117]
	v_add_f64 v[91:92], v[91:92], v[107:108]
	v_fma_f64 v[107:108], v[81:82], v[120:121], v[157:158]
	v_add_f64 v[2:3], v[2:3], v[103:104]
	s_clause 0x4
	buffer_load_dword v104, off, s[0:3], 0 offset:508
	buffer_load_dword v116, off, s[0:3], 0 offset:520
	;; [unrolled: 1-line block ×5, first 2 shown]
	s_waitcnt vmcnt(57) lgkmcnt(0)
	v_mul_f64 v[163:164], v[75:76], v[122:123]
	v_mul_f64 v[121:122], v[77:78], v[122:123]
	s_waitcnt vmcnt(56)
	v_fma_f64 v[110:111], v[83:84], v[118:119], -v[110:111]
	ds_read_b128 v[79:82], v1 offset:832
	v_fma_f64 v[105:106], v[85:86], v[118:119], v[105:106]
	v_add_f64 v[91:92], v[91:92], v[114:115]
	v_add_f64 v[2:3], v[2:3], v[107:108]
	s_clause 0x2
	buffer_load_dword v117, off, s[0:3], 0 offset:524
	buffer_load_dword v108, off, s[0:3], 0 offset:500
	;; [unrolled: 1-line block ×3, first 2 shown]
	ds_read_b128 v[83:86], v1 offset:848
	s_waitcnt vmcnt(58) lgkmcnt(1)
	v_mul_f64 v[118:119], v[81:82], v[124:125]
	s_waitcnt vmcnt(56)
	v_fma_f64 v[122:123], v[75:76], v[128:129], -v[121:122]
	v_mul_f64 v[114:115], v[79:80], v[124:125]
	v_add_f64 v[91:92], v[91:92], v[110:111]
	v_fma_f64 v[110:111], v[77:78], v[128:129], v[163:164]
	v_add_f64 v[2:3], v[2:3], v[105:106]
	s_clause 0x4
	buffer_load_dword v106, off, s[0:3], 0 offset:540
	buffer_load_dword v124, off, s[0:3], 0 offset:552
	buffer_load_dword v128, off, s[0:3], 0 offset:544
	buffer_load_dword v105, off, s[0:3], 0 offset:536
	buffer_load_dword v121, off, s[0:3], 0 offset:516
	s_waitcnt vmcnt(57) lgkmcnt(0)
	v_mul_f64 v[163:164], v[83:84], v[130:131]
	v_mul_f64 v[129:130], v[85:86], v[130:131]
	s_waitcnt vmcnt(56)
	v_fma_f64 v[118:119], v[79:80], v[126:127], -v[118:119]
	ds_read_b128 v[75:78], v1 offset:864
	v_fma_f64 v[114:115], v[81:82], v[126:127], v[114:115]
	v_add_f64 v[91:92], v[91:92], v[122:123]
	v_add_f64 v[2:3], v[2:3], v[110:111]
	s_clause 0x2
	buffer_load_dword v125, off, s[0:3], 0 offset:556
	buffer_load_dword v111, off, s[0:3], 0 offset:532
	;; [unrolled: 1-line block ×3, first 2 shown]
	ds_read_b128 v[79:82], v1 offset:880
	s_waitcnt vmcnt(58) lgkmcnt(1)
	v_mul_f64 v[126:127], v[77:78], v[132:133]
	s_waitcnt vmcnt(56)
	v_fma_f64 v[130:131], v[83:84], v[136:137], -v[129:130]
	v_mul_f64 v[122:123], v[75:76], v[132:133]
	v_add_f64 v[91:92], v[91:92], v[118:119]
	v_fma_f64 v[118:119], v[85:86], v[136:137], v[163:164]
	v_add_f64 v[2:3], v[2:3], v[114:115]
	s_clause 0x2
	buffer_load_dword v115, off, s[0:3], 0 offset:572
	buffer_load_dword v114, off, s[0:3], 0 offset:568
	buffer_load_dword v129, off, s[0:3], 0 offset:548
	s_waitcnt vmcnt(55) lgkmcnt(0)
	v_mul_f64 v[136:137], v[81:82], v[138:139]
	s_waitcnt vmcnt(54)
	v_fma_f64 v[126:127], v[75:76], v[134:135], -v[126:127]
	ds_read_b128 v[83:86], v1 offset:896
	v_mul_f64 v[132:133], v[79:80], v[138:139]
	v_fma_f64 v[122:123], v[77:78], v[134:135], v[122:123]
	v_add_f64 v[91:92], v[91:92], v[130:131]
	v_add_f64 v[2:3], v[2:3], v[118:119]
	s_clause 0x1
	buffer_load_dword v119, off, s[0:3], 0 offset:564
	buffer_load_dword v118, off, s[0:3], 0 offset:560
	s_waitcnt vmcnt(55) lgkmcnt(0)
	v_mul_f64 v[134:135], v[85:86], v[140:141]
	s_waitcnt vmcnt(53)
	v_fma_f64 v[136:137], v[79:80], v[144:145], -v[136:137]
	ds_read_b128 v[75:78], v1 offset:912
	v_mul_f64 v[130:131], v[83:84], v[140:141]
	v_add_f64 v[91:92], v[91:92], v[126:127]
	v_fma_f64 v[126:127], v[81:82], v[144:145], v[132:133]
	v_add_f64 v[2:3], v[2:3], v[122:123]
	ds_read_b128 v[79:82], v1 offset:928
	s_waitcnt vmcnt(49) lgkmcnt(1)
	v_mul_f64 v[132:133], v[77:78], v[148:149]
	s_waitcnt vmcnt(48)
	v_fma_f64 v[134:135], v[83:84], v[142:143], -v[134:135]
	v_mul_f64 v[122:123], v[75:76], v[148:149]
	v_fma_f64 v[130:131], v[85:86], v[142:143], v[130:131]
	v_add_f64 v[91:92], v[91:92], v[136:137]
	v_add_f64 v[2:3], v[2:3], v[126:127]
	s_clause 0x3
	buffer_load_dword v126, off, s[0:3], 0 offset:112
	buffer_load_dword v127, off, s[0:3], 0 offset:116
	;; [unrolled: 1-line block ×4, first 2 shown]
	ds_read_b128 v[83:86], v1 offset:944
	s_waitcnt vmcnt(51) lgkmcnt(1)
	v_mul_f64 v[140:141], v[81:82], v[150:151]
	v_mul_f64 v[138:139], v[79:80], v[150:151]
	s_waitcnt vmcnt(49)
	v_fma_f64 v[132:133], v[75:76], v[89:90], -v[132:133]
	v_fma_f64 v[89:90], v[77:78], v[89:90], v[122:123]
	ds_read_b128 v[75:78], v1 offset:960
	v_add_f64 v[91:92], v[91:92], v[134:135]
	v_add_f64 v[2:3], v[2:3], v[130:131]
	s_waitcnt vmcnt(45) lgkmcnt(1)
	v_mul_f64 v[122:123], v[83:84], v[93:94]
	v_mul_f64 v[93:94], v[85:86], v[93:94]
	s_waitcnt vmcnt(44)
	v_fma_f64 v[130:131], v[79:80], v[152:153], -v[140:141]
	v_add_f64 v[91:92], v[91:92], v[132:133]
	v_fma_f64 v[132:133], v[81:82], v[152:153], v[138:139]
	v_add_f64 v[2:3], v[2:3], v[89:90]
	ds_read_b128 v[79:82], v1 offset:976
	s_waitcnt vmcnt(43) lgkmcnt(1)
	v_mul_f64 v[134:135], v[77:78], v[154:155]
	v_mul_f64 v[89:90], v[75:76], v[154:155]
	s_waitcnt vmcnt(41)
	v_fma_f64 v[93:94], v[83:84], v[87:88], -v[93:94]
	v_fma_f64 v[87:88], v[85:86], v[87:88], v[122:123]
	ds_read_b128 v[83:86], v1 offset:992
	v_add_f64 v[91:92], v[91:92], v[130:131]
	v_add_f64 v[2:3], v[2:3], v[132:133]
	s_waitcnt vmcnt(37) lgkmcnt(1)
	v_mul_f64 v[122:123], v[79:80], v[101:102]
	v_mul_f64 v[101:102], v[81:82], v[101:102]
	s_waitcnt vmcnt(36)
	v_fma_f64 v[130:131], v[75:76], v[159:160], -v[134:135]
	v_fma_f64 v[89:90], v[77:78], v[159:160], v[89:90]
	ds_read_b128 v[75:78], v1 offset:1008
	v_add_f64 v[91:92], v[91:92], v[93:94]
	v_add_f64 v[2:3], v[2:3], v[87:88]
	;; [unrolled: 9-line block ×5, first 2 shown]
	s_waitcnt vmcnt(21) lgkmcnt(1)
	v_mul_f64 v[93:94], v[85:86], v[103:104]
	s_waitcnt vmcnt(20)
	v_fma_f64 v[97:98], v[79:80], v[156:157], -v[101:102]
	v_mul_f64 v[87:88], v[83:84], v[103:104]
	v_add_f64 v[91:92], v[91:92], v[95:96]
	v_fma_f64 v[95:96], v[81:82], v[156:157], v[99:100]
	v_add_f64 v[2:3], v[2:3], v[89:90]
	ds_read_b128 v[79:82], v1 offset:1072
	s_waitcnt vmcnt(19) lgkmcnt(1)
	v_mul_f64 v[99:100], v[77:78], v[116:117]
	v_mul_f64 v[89:90], v[75:76], v[116:117]
	s_waitcnt vmcnt(17)
	v_fma_f64 v[93:94], v[83:84], v[107:108], -v[93:94]
	v_fma_f64 v[87:88], v[85:86], v[107:108], v[87:88]
	ds_read_b128 v[83:86], v1 offset:1088
	v_add_f64 v[91:92], v[91:92], v[97:98]
	v_add_f64 v[2:3], v[2:3], v[95:96]
	s_waitcnt vmcnt(13) lgkmcnt(1)
	v_mul_f64 v[97:98], v[81:82], v[105:106]
	s_waitcnt vmcnt(12)
	v_fma_f64 v[75:76], v[75:76], v[120:121], -v[99:100]
	v_mul_f64 v[95:96], v[79:80], v[105:106]
	v_fma_f64 v[77:78], v[77:78], v[120:121], v[89:90]
	v_add_f64 v[91:92], v[91:92], v[93:94]
	v_add_f64 v[87:88], v[2:3], v[87:88]
	ds_read_b128 v[1:4], v1 offset:1104
	s_waitcnt vmcnt(11) lgkmcnt(1)
	v_mul_f64 v[93:94], v[85:86], v[124:125]
	v_mul_f64 v[89:90], v[83:84], v[124:125]
	s_waitcnt vmcnt(9)
	v_fma_f64 v[79:80], v[79:80], v[110:111], -v[97:98]
	v_fma_f64 v[81:82], v[81:82], v[110:111], v[95:96]
	v_add_f64 v[75:76], v[91:92], v[75:76]
	v_add_f64 v[77:78], v[87:88], v[77:78]
	s_waitcnt vmcnt(7) lgkmcnt(0)
	v_mul_f64 v[91:92], v[3:4], v[114:115]
	s_waitcnt vmcnt(6)
	v_fma_f64 v[83:84], v[83:84], v[128:129], -v[93:94]
	v_mul_f64 v[87:88], v[1:2], v[114:115]
	v_add_f64 v[75:76], v[75:76], v[79:80]
	v_fma_f64 v[79:80], v[85:86], v[128:129], v[89:90]
	v_add_f64 v[77:78], v[77:78], v[81:82]
	s_waitcnt vmcnt(4)
	v_fma_f64 v[1:2], v[1:2], v[118:119], -v[91:92]
	v_fma_f64 v[3:4], v[3:4], v[118:119], v[87:88]
	v_add_f64 v[75:76], v[75:76], v[83:84]
	v_add_f64 v[77:78], v[77:78], v[79:80]
	v_add_f64 v[1:2], v[75:76], v[1:2]
	v_add_f64 v[3:4], v[77:78], v[3:4]
	s_waitcnt vmcnt(2)
	v_add_f64 v[1:2], v[126:127], -v[1:2]
	s_waitcnt vmcnt(0)
	v_add_f64 v[3:4], v[136:137], -v[3:4]
	buffer_store_dword v2, off, s[0:3], 0 offset:116
	buffer_store_dword v1, off, s[0:3], 0 offset:112
	;; [unrolled: 1-line block ×4, first 2 shown]
	v_cmpx_lt_u32_e32 5, v0
	s_cbranch_execz .LBB98_213
; %bb.212:
	v_mov_b32_e32 v4, s42
	v_mov_b32_e32 v75, 0
	s_clause 0x3
	buffer_load_dword v1, v4, s[0:3], 0 offen
	buffer_load_dword v2, v4, s[0:3], 0 offen offset:4
	buffer_load_dword v3, v4, s[0:3], 0 offen offset:8
	;; [unrolled: 1-line block ×3, first 2 shown]
	buffer_store_dword v75, off, s[0:3], 0 offset:96
	buffer_store_dword v75, off, s[0:3], 0 offset:100
	;; [unrolled: 1-line block ×4, first 2 shown]
	s_waitcnt vmcnt(0)
	ds_write_b128 v109, v[1:4]
.LBB98_213:
	s_or_b32 exec_lo, exec_lo, s4
	s_waitcnt lgkmcnt(0)
	s_waitcnt_vscnt null, 0x0
	s_barrier
	buffer_gl0_inv
	s_clause 0x37
	buffer_load_dword v79, off, s[0:3], 0 offset:120
	buffer_load_dword v80, off, s[0:3], 0 offset:124
	buffer_load_dword v90, off, s[0:3], 0 offset:136
	buffer_load_dword v91, off, s[0:3], 0 offset:140
	buffer_load_dword v92, off, s[0:3], 0 offset:112
	buffer_load_dword v93, off, s[0:3], 0 offset:116
	buffer_load_dword v3, off, s[0:3], 0 offset:152
	buffer_load_dword v4, off, s[0:3], 0 offset:156
	buffer_load_dword v1, off, s[0:3], 0 offset:128
	buffer_load_dword v2, off, s[0:3], 0 offset:132
	buffer_load_dword v95, off, s[0:3], 0 offset:172
	buffer_load_dword v96, off, s[0:3], 0 offset:184
	buffer_load_dword v98, off, s[0:3], 0 offset:176
	buffer_load_dword v94, off, s[0:3], 0 offset:168
	buffer_load_dword v100, off, s[0:3], 0 offset:144
	buffer_load_dword v101, off, s[0:3], 0 offset:148
	buffer_load_dword v97, off, s[0:3], 0 offset:188
	buffer_load_dword v103, off, s[0:3], 0 offset:164
	buffer_load_dword v102, off, s[0:3], 0 offset:160
	buffer_load_dword v105, off, s[0:3], 0 offset:204
	buffer_load_dword v106, off, s[0:3], 0 offset:216
	buffer_load_dword v110, off, s[0:3], 0 offset:208
	buffer_load_dword v104, off, s[0:3], 0 offset:200
	buffer_load_dword v99, off, s[0:3], 0 offset:180
	buffer_load_dword v107, off, s[0:3], 0 offset:220
	buffer_load_dword v113, off, s[0:3], 0 offset:196
	buffer_load_dword v112, off, s[0:3], 0 offset:192
	buffer_load_dword v115, off, s[0:3], 0 offset:236
	buffer_load_dword v116, off, s[0:3], 0 offset:248
	buffer_load_dword v118, off, s[0:3], 0 offset:240
	buffer_load_dword v114, off, s[0:3], 0 offset:232
	buffer_load_dword v111, off, s[0:3], 0 offset:212
	buffer_load_dword v117, off, s[0:3], 0 offset:252
	buffer_load_dword v121, off, s[0:3], 0 offset:228
	buffer_load_dword v120, off, s[0:3], 0 offset:224
	buffer_load_dword v123, off, s[0:3], 0 offset:268
	buffer_load_dword v124, off, s[0:3], 0 offset:280
	buffer_load_dword v126, off, s[0:3], 0 offset:272
	buffer_load_dword v122, off, s[0:3], 0 offset:264
	buffer_load_dword v119, off, s[0:3], 0 offset:244
	buffer_load_dword v125, off, s[0:3], 0 offset:284
	buffer_load_dword v129, off, s[0:3], 0 offset:260
	buffer_load_dword v128, off, s[0:3], 0 offset:256
	buffer_load_dword v131, off, s[0:3], 0 offset:300
	buffer_load_dword v132, off, s[0:3], 0 offset:312
	buffer_load_dword v134, off, s[0:3], 0 offset:304
	buffer_load_dword v130, off, s[0:3], 0 offset:296
	buffer_load_dword v127, off, s[0:3], 0 offset:276
	buffer_load_dword v133, off, s[0:3], 0 offset:316
	buffer_load_dword v137, off, s[0:3], 0 offset:292
	buffer_load_dword v136, off, s[0:3], 0 offset:288
	buffer_load_dword v139, off, s[0:3], 0 offset:332
	buffer_load_dword v140, off, s[0:3], 0 offset:344
	buffer_load_dword v142, off, s[0:3], 0 offset:336
	buffer_load_dword v138, off, s[0:3], 0 offset:328
	buffer_load_dword v135, off, s[0:3], 0 offset:308
	v_mov_b32_e32 v81, 0
	s_mov_b32 s4, exec_lo
	ds_read_b128 v[75:78], v81 offset:656
	s_clause 0x2
	buffer_load_dword v141, off, s[0:3], 0 offset:348
	buffer_load_dword v145, off, s[0:3], 0 offset:324
	;; [unrolled: 1-line block ×3, first 2 shown]
	ds_read_b128 v[82:85], v81 offset:672
	s_clause 0x4
	buffer_load_dword v149, off, s[0:3], 0 offset:364
	buffer_load_dword v150, off, s[0:3], 0 offset:376
	;; [unrolled: 1-line block ×5, first 2 shown]
	ds_read_b128 v[86:89], v81 offset:688
	s_waitcnt vmcnt(62) lgkmcnt(2)
	v_mul_f64 v[146:147], v[77:78], v[79:80]
	v_mul_f64 v[79:80], v[75:76], v[79:80]
	s_waitcnt vmcnt(60) lgkmcnt(1)
	v_mul_f64 v[153:154], v[84:85], v[90:91]
	v_mul_f64 v[90:91], v[82:83], v[90:91]
	;; [unrolled: 3-line block ×3, first 2 shown]
	v_fma_f64 v[146:147], v[75:76], v[92:93], -v[146:147]
	v_fma_f64 v[79:80], v[77:78], v[92:93], v[79:80]
	s_clause 0x2
	buffer_load_dword v151, off, s[0:3], 0 offset:380
	buffer_load_dword v93, off, s[0:3], 0 offset:356
	;; [unrolled: 1-line block ×3, first 2 shown]
	s_waitcnt vmcnt(57)
	v_fma_f64 v[82:83], v[82:83], v[1:2], -v[153:154]
	ds_read_b128 v[75:78], v81 offset:704
	v_fma_f64 v[84:85], v[84:85], v[1:2], v[90:91]
	s_clause 0x4
	buffer_load_dword v91, off, s[0:3], 0 offset:396
	buffer_load_dword v154, off, s[0:3], 0 offset:408
	;; [unrolled: 1-line block ×5, first 2 shown]
	s_waitcnt vmcnt(56)
	v_fma_f64 v[86:87], v[86:87], v[100:101], -v[157:158]
	ds_read_b128 v[1:4], v81 offset:720
	v_fma_f64 v[88:89], v[88:89], v[100:101], v[155:156]
	s_clause 0x2
	buffer_load_dword v155, off, s[0:3], 0 offset:412
	buffer_load_dword v101, off, s[0:3], 0 offset:388
	;; [unrolled: 1-line block ×3, first 2 shown]
	v_add_f64 v[146:147], v[146:147], 0
	v_add_f64 v[79:80], v[79:80], 0
	s_waitcnt lgkmcnt(1)
	v_mul_f64 v[160:161], v[75:76], v[94:95]
	v_mul_f64 v[94:95], v[77:78], v[94:95]
	s_waitcnt vmcnt(58) lgkmcnt(0)
	v_mul_f64 v[156:157], v[1:2], v[96:97]
	v_mul_f64 v[96:97], v[3:4], v[96:97]
	v_add_f64 v[146:147], v[146:147], v[82:83]
	v_add_f64 v[79:80], v[79:80], v[84:85]
	ds_read_b128 v[82:85], v81 offset:736
	s_waitcnt vmcnt(56)
	v_fma_f64 v[94:95], v[75:76], v[102:103], -v[94:95]
	v_fma_f64 v[102:103], v[77:78], v[102:103], v[160:161]
	s_waitcnt vmcnt(51)
	v_fma_f64 v[96:97], v[1:2], v[98:99], -v[96:97]
	s_waitcnt lgkmcnt(0)
	v_mul_f64 v[162:163], v[82:83], v[104:105]
	v_add_f64 v[86:87], v[146:147], v[86:87]
	v_add_f64 v[79:80], v[79:80], v[88:89]
	s_clause 0x4
	buffer_load_dword v89, off, s[0:3], 0 offset:428
	buffer_load_dword v146, off, s[0:3], 0 offset:440
	;; [unrolled: 1-line block ×5, first 2 shown]
	v_mul_f64 v[104:105], v[84:85], v[104:105]
	ds_read_b128 v[75:78], v81 offset:752
	v_add_f64 v[86:87], v[86:87], v[94:95]
	v_fma_f64 v[94:95], v[3:4], v[98:99], v[156:157]
	v_add_f64 v[79:80], v[79:80], v[102:103]
	s_clause 0x2
	buffer_load_dword v147, off, s[0:3], 0 offset:444
	buffer_load_dword v99, off, s[0:3], 0 offset:420
	;; [unrolled: 1-line block ×3, first 2 shown]
	s_waitcnt vmcnt(58) lgkmcnt(0)
	v_mul_f64 v[102:103], v[75:76], v[106:107]
	v_mul_f64 v[106:107], v[77:78], v[106:107]
	s_waitcnt vmcnt(56)
	v_fma_f64 v[104:105], v[82:83], v[112:113], -v[104:105]
	ds_read_b128 v[1:4], v81 offset:768
	v_add_f64 v[86:87], v[86:87], v[96:97]
	v_fma_f64 v[96:97], v[84:85], v[112:113], v[162:163]
	v_add_f64 v[79:80], v[79:80], v[94:95]
	s_clause 0x4
	buffer_load_dword v95, off, s[0:3], 0 offset:460
	buffer_load_dword v112, off, s[0:3], 0 offset:472
	;; [unrolled: 1-line block ×5, first 2 shown]
	ds_read_b128 v[82:85], v81 offset:784
	s_waitcnt vmcnt(57) lgkmcnt(1)
	v_mul_f64 v[157:158], v[1:2], v[114:115]
	v_mul_f64 v[114:115], v[3:4], v[114:115]
	s_waitcnt vmcnt(56)
	v_fma_f64 v[106:107], v[75:76], v[110:111], -v[106:107]
	v_fma_f64 v[102:103], v[77:78], v[110:111], v[102:103]
	v_add_f64 v[86:87], v[86:87], v[104:105]
	v_add_f64 v[79:80], v[79:80], v[96:97]
	s_clause 0x2
	buffer_load_dword v113, off, s[0:3], 0 offset:476
	buffer_load_dword v97, off, s[0:3], 0 offset:452
	;; [unrolled: 1-line block ×3, first 2 shown]
	s_waitcnt vmcnt(58) lgkmcnt(0)
	v_mul_f64 v[110:111], v[84:85], v[116:117]
	ds_read_b128 v[75:78], v81 offset:800
	s_waitcnt vmcnt(56)
	v_fma_f64 v[114:115], v[1:2], v[120:121], -v[114:115]
	v_mul_f64 v[104:105], v[82:83], v[116:117]
	v_add_f64 v[86:87], v[86:87], v[106:107]
	v_fma_f64 v[106:107], v[3:4], v[120:121], v[157:158]
	v_add_f64 v[79:80], v[79:80], v[102:103]
	s_clause 0x4
	buffer_load_dword v103, off, s[0:3], 0 offset:492
	buffer_load_dword v116, off, s[0:3], 0 offset:504
	buffer_load_dword v120, off, s[0:3], 0 offset:496
	buffer_load_dword v102, off, s[0:3], 0 offset:488
	buffer_load_dword v157, off, s[0:3], 0 offset:468
	s_waitcnt vmcnt(57) lgkmcnt(0)
	v_mul_f64 v[163:164], v[75:76], v[122:123]
	v_mul_f64 v[121:122], v[77:78], v[122:123]
	s_waitcnt vmcnt(56)
	v_fma_f64 v[110:111], v[82:83], v[118:119], -v[110:111]
	ds_read_b128 v[1:4], v81 offset:816
	v_fma_f64 v[104:105], v[84:85], v[118:119], v[104:105]
	v_add_f64 v[86:87], v[86:87], v[114:115]
	v_add_f64 v[79:80], v[79:80], v[106:107]
	s_clause 0x2
	buffer_load_dword v117, off, s[0:3], 0 offset:508
	buffer_load_dword v107, off, s[0:3], 0 offset:484
	buffer_load_dword v106, off, s[0:3], 0 offset:480
	ds_read_b128 v[82:85], v81 offset:832
	s_waitcnt vmcnt(58) lgkmcnt(1)
	v_mul_f64 v[118:119], v[3:4], v[124:125]
	s_waitcnt vmcnt(56)
	v_fma_f64 v[122:123], v[75:76], v[128:129], -v[121:122]
	v_mul_f64 v[114:115], v[1:2], v[124:125]
	v_add_f64 v[86:87], v[86:87], v[110:111]
	v_fma_f64 v[110:111], v[77:78], v[128:129], v[163:164]
	v_add_f64 v[79:80], v[79:80], v[104:105]
	s_clause 0x4
	buffer_load_dword v105, off, s[0:3], 0 offset:524
	buffer_load_dword v124, off, s[0:3], 0 offset:536
	buffer_load_dword v128, off, s[0:3], 0 offset:528
	buffer_load_dword v104, off, s[0:3], 0 offset:520
	buffer_load_dword v121, off, s[0:3], 0 offset:500
	s_waitcnt vmcnt(57) lgkmcnt(0)
	v_mul_f64 v[163:164], v[82:83], v[130:131]
	v_mul_f64 v[129:130], v[84:85], v[130:131]
	s_waitcnt vmcnt(56)
	v_fma_f64 v[118:119], v[1:2], v[126:127], -v[118:119]
	ds_read_b128 v[75:78], v81 offset:848
	v_fma_f64 v[114:115], v[3:4], v[126:127], v[114:115]
	v_add_f64 v[86:87], v[86:87], v[122:123]
	v_add_f64 v[79:80], v[79:80], v[110:111]
	s_clause 0x2
	buffer_load_dword v125, off, s[0:3], 0 offset:540
	buffer_load_dword v111, off, s[0:3], 0 offset:516
	buffer_load_dword v110, off, s[0:3], 0 offset:512
	ds_read_b128 v[1:4], v81 offset:864
	s_waitcnt vmcnt(58) lgkmcnt(1)
	v_mul_f64 v[126:127], v[77:78], v[132:133]
	s_waitcnt vmcnt(56)
	v_fma_f64 v[130:131], v[82:83], v[136:137], -v[129:130]
	v_mul_f64 v[122:123], v[75:76], v[132:133]
	v_add_f64 v[86:87], v[86:87], v[118:119]
	v_fma_f64 v[118:119], v[84:85], v[136:137], v[163:164]
	v_add_f64 v[79:80], v[79:80], v[114:115]
	s_clause 0x4
	buffer_load_dword v115, off, s[0:3], 0 offset:556
	buffer_load_dword v132, off, s[0:3], 0 offset:568
	buffer_load_dword v136, off, s[0:3], 0 offset:560
	buffer_load_dword v114, off, s[0:3], 0 offset:552
	buffer_load_dword v129, off, s[0:3], 0 offset:532
	s_waitcnt vmcnt(57) lgkmcnt(0)
	v_mul_f64 v[163:164], v[1:2], v[138:139]
	v_mul_f64 v[137:138], v[3:4], v[138:139]
	s_waitcnt vmcnt(56)
	v_fma_f64 v[126:127], v[75:76], v[134:135], -v[126:127]
	ds_read_b128 v[82:85], v81 offset:880
	v_fma_f64 v[122:123], v[77:78], v[134:135], v[122:123]
	v_add_f64 v[86:87], v[86:87], v[130:131]
	v_add_f64 v[79:80], v[79:80], v[118:119]
	s_clause 0x2
	buffer_load_dword v133, off, s[0:3], 0 offset:572
	buffer_load_dword v119, off, s[0:3], 0 offset:548
	buffer_load_dword v118, off, s[0:3], 0 offset:544
	ds_read_b128 v[75:78], v81 offset:896
	s_waitcnt vmcnt(58) lgkmcnt(1)
	v_mul_f64 v[134:135], v[84:85], v[140:141]
	s_waitcnt vmcnt(56)
	v_fma_f64 v[138:139], v[1:2], v[144:145], -v[137:138]
	v_mul_f64 v[130:131], v[82:83], v[140:141]
	buffer_load_dword v137, off, s[0:3], 0 offset:564
	v_add_f64 v[86:87], v[86:87], v[126:127]
	v_fma_f64 v[126:127], v[3:4], v[144:145], v[163:164]
	v_add_f64 v[79:80], v[79:80], v[122:123]
	ds_read_b128 v[1:4], v81 offset:912
	s_waitcnt vmcnt(53) lgkmcnt(1)
	v_mul_f64 v[140:141], v[77:78], v[148:149]
	s_waitcnt vmcnt(52)
	v_fma_f64 v[134:135], v[82:83], v[142:143], -v[134:135]
	v_mul_f64 v[122:123], v[75:76], v[148:149]
	v_fma_f64 v[130:131], v[84:85], v[142:143], v[130:131]
	ds_read_b128 v[82:85], v81 offset:928
	v_add_f64 v[86:87], v[86:87], v[138:139]
	v_add_f64 v[79:80], v[79:80], v[126:127]
	s_waitcnt vmcnt(51) lgkmcnt(1)
	v_mul_f64 v[138:139], v[3:4], v[150:151]
	v_mul_f64 v[126:127], v[1:2], v[150:151]
	s_waitcnt vmcnt(49)
	v_fma_f64 v[140:141], v[75:76], v[92:93], -v[140:141]
	v_fma_f64 v[92:93], v[77:78], v[92:93], v[122:123]
	v_add_f64 v[86:87], v[86:87], v[134:135]
	s_waitcnt vmcnt(45) lgkmcnt(0)
	v_mul_f64 v[134:135], v[82:83], v[90:91]
	v_add_f64 v[79:80], v[79:80], v[130:131]
	s_clause 0x3
	buffer_load_dword v122, off, s[0:3], 0 offset:96
	buffer_load_dword v123, off, s[0:3], 0 offset:100
	;; [unrolled: 1-line block ×4, first 2 shown]
	v_mul_f64 v[90:91], v[84:85], v[90:91]
	ds_read_b128 v[75:78], v81 offset:944
	s_waitcnt vmcnt(48)
	v_fma_f64 v[138:139], v[1:2], v[152:153], -v[138:139]
	v_fma_f64 v[126:127], v[3:4], v[152:153], v[126:127]
	ds_read_b128 v[1:4], v81 offset:960
	v_add_f64 v[86:87], v[86:87], v[140:141]
	v_add_f64 v[79:80], v[79:80], v[92:93]
	s_waitcnt vmcnt(47) lgkmcnt(1)
	v_mul_f64 v[140:141], v[77:78], v[154:155]
	s_waitcnt vmcnt(45)
	v_fma_f64 v[90:91], v[82:83], v[100:101], -v[90:91]
	v_mul_f64 v[92:93], v[75:76], v[154:155]
	v_fma_f64 v[100:101], v[84:85], v[100:101], v[134:135]
	ds_read_b128 v[82:85], v81 offset:976
	v_add_f64 v[86:87], v[86:87], v[138:139]
	v_add_f64 v[79:80], v[79:80], v[126:127]
	s_waitcnt vmcnt(41) lgkmcnt(1)
	v_mul_f64 v[126:127], v[1:2], v[88:89]
	v_mul_f64 v[88:89], v[3:4], v[88:89]
	s_waitcnt vmcnt(40)
	v_fma_f64 v[134:135], v[75:76], v[159:160], -v[140:141]
	v_add_f64 v[86:87], v[86:87], v[90:91]
	v_fma_f64 v[90:91], v[77:78], v[159:160], v[92:93]
	v_add_f64 v[79:80], v[79:80], v[100:101]
	ds_read_b128 v[75:78], v81 offset:992
	s_waitcnt vmcnt(39) lgkmcnt(1)
	v_mul_f64 v[100:101], v[84:85], v[146:147]
	v_mul_f64 v[92:93], v[82:83], v[146:147]
	s_waitcnt vmcnt(37)
	v_fma_f64 v[88:89], v[1:2], v[98:99], -v[88:89]
	v_fma_f64 v[98:99], v[3:4], v[98:99], v[126:127]
	ds_read_b128 v[1:4], v81 offset:1008
	v_add_f64 v[86:87], v[86:87], v[134:135]
	v_add_f64 v[79:80], v[79:80], v[90:91]
	s_waitcnt vmcnt(33) lgkmcnt(1)
	v_mul_f64 v[90:91], v[75:76], v[94:95]
	v_mul_f64 v[94:95], v[77:78], v[94:95]
	s_waitcnt vmcnt(32)
	v_fma_f64 v[100:101], v[82:83], v[161:162], -v[100:101]
	v_add_f64 v[86:87], v[86:87], v[88:89]
	v_fma_f64 v[88:89], v[84:85], v[161:162], v[92:93]
	v_add_f64 v[79:80], v[79:80], v[98:99]
	ds_read_b128 v[82:85], v81 offset:1024
	s_waitcnt vmcnt(31) lgkmcnt(1)
	v_mul_f64 v[98:99], v[3:4], v[112:113]
	v_mul_f64 v[92:93], v[1:2], v[112:113]
	s_waitcnt vmcnt(29)
	v_fma_f64 v[94:95], v[75:76], v[96:97], -v[94:95]
	v_fma_f64 v[90:91], v[77:78], v[96:97], v[90:91]
	ds_read_b128 v[75:78], v81 offset:1040
	v_add_f64 v[86:87], v[86:87], v[100:101]
	v_add_f64 v[79:80], v[79:80], v[88:89]
	s_waitcnt vmcnt(25) lgkmcnt(1)
	v_mul_f64 v[96:97], v[84:85], v[102:103]
	s_waitcnt vmcnt(24)
	v_fma_f64 v[98:99], v[1:2], v[156:157], -v[98:99]
	v_mul_f64 v[88:89], v[82:83], v[102:103]
	v_fma_f64 v[92:93], v[3:4], v[156:157], v[92:93]
	ds_read_b128 v[1:4], v81 offset:1056
	v_add_f64 v[86:87], v[86:87], v[94:95]
	v_add_f64 v[79:80], v[79:80], v[90:91]
	s_waitcnt vmcnt(23) lgkmcnt(1)
	v_mul_f64 v[94:95], v[77:78], v[116:117]
	v_mul_f64 v[90:91], v[75:76], v[116:117]
	s_waitcnt vmcnt(21)
	v_fma_f64 v[96:97], v[82:83], v[106:107], -v[96:97]
	v_fma_f64 v[88:89], v[84:85], v[106:107], v[88:89]
	ds_read_b128 v[82:85], v81 offset:1072
	v_add_f64 v[86:87], v[86:87], v[98:99]
	v_add_f64 v[79:80], v[79:80], v[92:93]
	s_waitcnt vmcnt(17) lgkmcnt(1)
	v_mul_f64 v[98:99], v[3:4], v[104:105]
	s_waitcnt vmcnt(16)
	v_fma_f64 v[94:95], v[75:76], v[120:121], -v[94:95]
	v_mul_f64 v[92:93], v[1:2], v[104:105]
	v_fma_f64 v[90:91], v[77:78], v[120:121], v[90:91]
	ds_read_b128 v[75:78], v81 offset:1088
	v_add_f64 v[86:87], v[86:87], v[96:97]
	v_add_f64 v[79:80], v[79:80], v[88:89]
	s_waitcnt vmcnt(15) lgkmcnt(1)
	v_mul_f64 v[96:97], v[84:85], v[124:125]
	v_mul_f64 v[88:89], v[82:83], v[124:125]
	s_waitcnt vmcnt(13)
	v_fma_f64 v[98:99], v[1:2], v[110:111], -v[98:99]
	v_fma_f64 v[92:93], v[3:4], v[110:111], v[92:93]
	ds_read_b128 v[1:4], v81 offset:1104
	v_add_f64 v[86:87], v[86:87], v[94:95]
	v_add_f64 v[79:80], v[79:80], v[90:91]
	s_waitcnt vmcnt(9) lgkmcnt(1)
	v_mul_f64 v[94:95], v[77:78], v[114:115]
	s_waitcnt vmcnt(8)
	v_fma_f64 v[82:83], v[82:83], v[128:129], -v[96:97]
	v_mul_f64 v[90:91], v[75:76], v[114:115]
	v_fma_f64 v[84:85], v[84:85], v[128:129], v[88:89]
	v_add_f64 v[86:87], v[86:87], v[98:99]
	v_add_f64 v[79:80], v[79:80], v[92:93]
	s_waitcnt vmcnt(7) lgkmcnt(0)
	v_mul_f64 v[92:93], v[3:4], v[132:133]
	v_mul_f64 v[88:89], v[1:2], v[132:133]
	s_waitcnt vmcnt(5)
	v_fma_f64 v[75:76], v[75:76], v[118:119], -v[94:95]
	v_fma_f64 v[77:78], v[77:78], v[118:119], v[90:91]
	v_add_f64 v[82:83], v[86:87], v[82:83]
	v_add_f64 v[79:80], v[79:80], v[84:85]
	s_waitcnt vmcnt(4)
	v_fma_f64 v[1:2], v[1:2], v[136:137], -v[92:93]
	v_fma_f64 v[3:4], v[3:4], v[136:137], v[88:89]
	v_add_f64 v[75:76], v[82:83], v[75:76]
	v_add_f64 v[77:78], v[79:80], v[77:78]
	v_add_f64 v[1:2], v[75:76], v[1:2]
	v_add_f64 v[3:4], v[77:78], v[3:4]
	s_waitcnt vmcnt(2)
	v_add_f64 v[1:2], v[122:123], -v[1:2]
	s_waitcnt vmcnt(0)
	v_add_f64 v[3:4], v[130:131], -v[3:4]
	buffer_store_dword v2, off, s[0:3], 0 offset:100
	buffer_store_dword v1, off, s[0:3], 0 offset:96
	;; [unrolled: 1-line block ×4, first 2 shown]
	v_cmpx_lt_u32_e32 4, v0
	s_cbranch_execz .LBB98_215
; %bb.214:
	v_mov_b32_e32 v4, s43
	s_clause 0x3
	buffer_load_dword v1, v4, s[0:3], 0 offen
	buffer_load_dword v2, v4, s[0:3], 0 offen offset:4
	buffer_load_dword v3, v4, s[0:3], 0 offen offset:8
	;; [unrolled: 1-line block ×3, first 2 shown]
	buffer_store_dword v81, off, s[0:3], 0 offset:80
	buffer_store_dword v81, off, s[0:3], 0 offset:84
	;; [unrolled: 1-line block ×4, first 2 shown]
	s_waitcnt vmcnt(0)
	ds_write_b128 v109, v[1:4]
.LBB98_215:
	s_or_b32 exec_lo, exec_lo, s4
	s_waitcnt lgkmcnt(0)
	s_waitcnt_vscnt null, 0x0
	s_barrier
	buffer_gl0_inv
	s_clause 0x37
	buffer_load_dword v79, off, s[0:3], 0 offset:104
	buffer_load_dword v80, off, s[0:3], 0 offset:108
	;; [unrolled: 1-line block ×56, first 2 shown]
	ds_read_b128 v[82:85], v81 offset:640
	s_clause 0x2
	buffer_load_dword v141, off, s[0:3], 0 offset:332
	buffer_load_dword v145, off, s[0:3], 0 offset:308
	;; [unrolled: 1-line block ×3, first 2 shown]
	ds_read_b128 v[86:89], v81 offset:656
	s_clause 0x4
	buffer_load_dword v149, off, s[0:3], 0 offset:348
	buffer_load_dword v150, off, s[0:3], 0 offset:360
	;; [unrolled: 1-line block ×5, first 2 shown]
	ds_read_b128 v[90:93], v81 offset:672
	s_clause 0x2
	buffer_load_dword v151, off, s[0:3], 0 offset:364
	buffer_load_dword v156, off, s[0:3], 0 offset:340
	;; [unrolled: 1-line block ×3, first 2 shown]
	s_mov_b32 s4, exec_lo
	s_waitcnt vmcnt(62) lgkmcnt(2)
	v_mul_f64 v[146:147], v[84:85], v[79:80]
	v_mul_f64 v[79:80], v[82:83], v[79:80]
	s_waitcnt lgkmcnt(1)
	v_mul_f64 v[153:154], v[88:89], v[75:76]
	s_waitcnt vmcnt(59) lgkmcnt(0)
	v_mul_f64 v[157:158], v[92:93], v[3:4]
	v_fma_f64 v[82:83], v[82:83], v[77:78], -v[146:147]
	v_mul_f64 v[146:147], v[86:87], v[75:76]
	v_fma_f64 v[79:80], v[84:85], v[77:78], v[79:80]
	s_waitcnt vmcnt(57)
	v_fma_f64 v[86:87], v[86:87], v[1:2], -v[153:154]
	ds_read_b128 v[75:78], v81 offset:688
	v_mul_f64 v[84:85], v[90:91], v[3:4]
	s_waitcnt vmcnt(51)
	v_fma_f64 v[90:91], v[90:91], v[100:101], -v[157:158]
	v_add_f64 v[82:83], v[82:83], 0
	v_fma_f64 v[88:89], v[88:89], v[1:2], v[146:147]
	v_add_f64 v[79:80], v[79:80], 0
	s_clause 0x4
	buffer_load_dword v147, off, s[0:3], 0 offset:380
	buffer_load_dword v159, off, s[0:3], 0 offset:392
	;; [unrolled: 1-line block ×5, first 2 shown]
	s_waitcnt lgkmcnt(0)
	v_mul_f64 v[162:163], v[75:76], v[94:95]
	v_mul_f64 v[94:95], v[77:78], v[94:95]
	ds_read_b128 v[1:4], v81 offset:704
	v_fma_f64 v[92:93], v[92:93], v[100:101], v[84:85]
	v_add_f64 v[86:87], v[82:83], v[86:87]
	v_add_f64 v[79:80], v[79:80], v[88:89]
	s_clause 0x2
	buffer_load_dword v160, off, s[0:3], 0 offset:396
	buffer_load_dword v89, off, s[0:3], 0 offset:372
	;; [unrolled: 1-line block ×3, first 2 shown]
	s_waitcnt vmcnt(58) lgkmcnt(0)
	v_mul_f64 v[100:101], v[1:2], v[96:97]
	v_mul_f64 v[96:97], v[3:4], v[96:97]
	s_waitcnt vmcnt(56)
	v_fma_f64 v[94:95], v[75:76], v[102:103], -v[94:95]
	ds_read_b128 v[82:85], v81 offset:720
	v_add_f64 v[86:87], v[86:87], v[90:91]
	v_fma_f64 v[90:91], v[77:78], v[102:103], v[162:163]
	v_add_f64 v[79:80], v[79:80], v[92:93]
	s_clause 0x4
	buffer_load_dword v93, off, s[0:3], 0 offset:412
	buffer_load_dword v102, off, s[0:3], 0 offset:424
	buffer_load_dword v157, off, s[0:3], 0 offset:416
	buffer_load_dword v92, off, s[0:3], 0 offset:408
	buffer_load_dword v162, off, s[0:3], 0 offset:388
	ds_read_b128 v[75:78], v81 offset:736
	s_waitcnt vmcnt(57) lgkmcnt(1)
	v_mul_f64 v[163:164], v[82:83], v[104:105]
	v_mul_f64 v[104:105], v[84:85], v[104:105]
	s_waitcnt vmcnt(56)
	v_fma_f64 v[96:97], v[1:2], v[98:99], -v[96:97]
	v_add_f64 v[86:87], v[86:87], v[94:95]
	v_fma_f64 v[94:95], v[3:4], v[98:99], v[100:101]
	v_add_f64 v[79:80], v[79:80], v[90:91]
	s_clause 0x2
	buffer_load_dword v103, off, s[0:3], 0 offset:428
	buffer_load_dword v91, off, s[0:3], 0 offset:404
	;; [unrolled: 1-line block ×3, first 2 shown]
	s_waitcnt vmcnt(58) lgkmcnt(0)
	v_mul_f64 v[100:101], v[77:78], v[106:107]
	ds_read_b128 v[1:4], v81 offset:752
	s_waitcnt vmcnt(56)
	v_fma_f64 v[104:105], v[82:83], v[112:113], -v[104:105]
	v_mul_f64 v[98:99], v[75:76], v[106:107]
	v_add_f64 v[86:87], v[86:87], v[96:97]
	v_fma_f64 v[96:97], v[84:85], v[112:113], v[163:164]
	v_add_f64 v[79:80], v[79:80], v[94:95]
	s_clause 0x4
	buffer_load_dword v95, off, s[0:3], 0 offset:444
	buffer_load_dword v106, off, s[0:3], 0 offset:456
	buffer_load_dword v112, off, s[0:3], 0 offset:448
	buffer_load_dword v94, off, s[0:3], 0 offset:440
	buffer_load_dword v158, off, s[0:3], 0 offset:420
	s_waitcnt vmcnt(57) lgkmcnt(0)
	v_mul_f64 v[163:164], v[1:2], v[114:115]
	v_mul_f64 v[113:114], v[3:4], v[114:115]
	s_waitcnt vmcnt(56)
	v_fma_f64 v[100:101], v[75:76], v[110:111], -v[100:101]
	ds_read_b128 v[82:85], v81 offset:768
	v_fma_f64 v[98:99], v[77:78], v[110:111], v[98:99]
	v_add_f64 v[86:87], v[86:87], v[104:105]
	v_add_f64 v[79:80], v[79:80], v[96:97]
	s_clause 0x2
	buffer_load_dword v107, off, s[0:3], 0 offset:460
	buffer_load_dword v97, off, s[0:3], 0 offset:436
	buffer_load_dword v96, off, s[0:3], 0 offset:432
	ds_read_b128 v[75:78], v81 offset:784
	s_waitcnt vmcnt(58) lgkmcnt(1)
	v_mul_f64 v[110:111], v[84:85], v[116:117]
	s_waitcnt vmcnt(56)
	v_fma_f64 v[114:115], v[1:2], v[120:121], -v[113:114]
	v_mul_f64 v[104:105], v[82:83], v[116:117]
	v_add_f64 v[86:87], v[86:87], v[100:101]
	v_fma_f64 v[100:101], v[3:4], v[120:121], v[163:164]
	v_add_f64 v[79:80], v[79:80], v[98:99]
	s_clause 0x4
	buffer_load_dword v99, off, s[0:3], 0 offset:476
	buffer_load_dword v116, off, s[0:3], 0 offset:488
	buffer_load_dword v120, off, s[0:3], 0 offset:480
	buffer_load_dword v98, off, s[0:3], 0 offset:472
	buffer_load_dword v113, off, s[0:3], 0 offset:452
	s_waitcnt vmcnt(57) lgkmcnt(0)
	v_mul_f64 v[163:164], v[75:76], v[122:123]
	v_mul_f64 v[121:122], v[77:78], v[122:123]
	s_waitcnt vmcnt(56)
	v_fma_f64 v[110:111], v[82:83], v[118:119], -v[110:111]
	ds_read_b128 v[1:4], v81 offset:800
	v_fma_f64 v[104:105], v[84:85], v[118:119], v[104:105]
	v_add_f64 v[86:87], v[86:87], v[114:115]
	v_add_f64 v[79:80], v[79:80], v[100:101]
	s_clause 0x2
	buffer_load_dword v117, off, s[0:3], 0 offset:492
	buffer_load_dword v101, off, s[0:3], 0 offset:468
	buffer_load_dword v100, off, s[0:3], 0 offset:464
	ds_read_b128 v[82:85], v81 offset:816
	s_waitcnt vmcnt(58) lgkmcnt(1)
	v_mul_f64 v[118:119], v[3:4], v[124:125]
	;; [unrolled: 28-line block ×4, first 2 shown]
	s_waitcnt vmcnt(56)
	v_fma_f64 v[138:139], v[1:2], v[144:145], -v[137:138]
	v_mul_f64 v[130:131], v[82:83], v[140:141]
	v_add_f64 v[86:87], v[86:87], v[126:127]
	v_fma_f64 v[126:127], v[3:4], v[144:145], v[163:164]
	v_add_f64 v[79:80], v[79:80], v[122:123]
	s_clause 0x2
	buffer_load_dword v123, off, s[0:3], 0 offset:572
	buffer_load_dword v122, off, s[0:3], 0 offset:568
	;; [unrolled: 1-line block ×3, first 2 shown]
	s_waitcnt vmcnt(55) lgkmcnt(0)
	v_mul_f64 v[144:145], v[77:78], v[148:149]
	s_waitcnt vmcnt(54)
	v_fma_f64 v[134:135], v[82:83], v[142:143], -v[134:135]
	ds_read_b128 v[1:4], v81 offset:896
	v_mul_f64 v[140:141], v[75:76], v[148:149]
	v_fma_f64 v[130:131], v[84:85], v[142:143], v[130:131]
	v_add_f64 v[86:87], v[86:87], v[138:139]
	v_add_f64 v[79:80], v[79:80], v[126:127]
	s_clause 0x1
	buffer_load_dword v127, off, s[0:3], 0 offset:564
	buffer_load_dword v126, off, s[0:3], 0 offset:560
	s_waitcnt vmcnt(55) lgkmcnt(0)
	v_mul_f64 v[142:143], v[3:4], v[150:151]
	s_waitcnt vmcnt(53)
	v_fma_f64 v[144:145], v[75:76], v[155:156], -v[144:145]
	ds_read_b128 v[82:85], v81 offset:912
	v_mul_f64 v[138:139], v[1:2], v[150:151]
	v_add_f64 v[86:87], v[86:87], v[134:135]
	v_fma_f64 v[134:135], v[77:78], v[155:156], v[140:141]
	v_add_f64 v[79:80], v[79:80], v[130:131]
	ds_read_b128 v[75:78], v81 offset:928
	s_waitcnt vmcnt(49) lgkmcnt(1)
	v_mul_f64 v[140:141], v[84:85], v[146:147]
	s_waitcnt vmcnt(48)
	v_fma_f64 v[142:143], v[1:2], v[152:153], -v[142:143]
	v_mul_f64 v[130:131], v[82:83], v[146:147]
	v_fma_f64 v[138:139], v[3:4], v[152:153], v[138:139]
	v_add_f64 v[86:87], v[86:87], v[144:145]
	v_add_f64 v[79:80], v[79:80], v[134:135]
	s_clause 0x3
	buffer_load_dword v134, off, s[0:3], 0 offset:80
	buffer_load_dword v135, off, s[0:3], 0 offset:84
	;; [unrolled: 1-line block ×4, first 2 shown]
	ds_read_b128 v[1:4], v81 offset:944
	s_waitcnt vmcnt(51) lgkmcnt(1)
	v_mul_f64 v[148:149], v[77:78], v[159:160]
	v_mul_f64 v[146:147], v[75:76], v[159:160]
	s_waitcnt vmcnt(49)
	v_fma_f64 v[140:141], v[82:83], v[88:89], -v[140:141]
	v_fma_f64 v[88:89], v[84:85], v[88:89], v[130:131]
	ds_read_b128 v[82:85], v81 offset:960
	v_add_f64 v[86:87], v[86:87], v[142:143]
	v_add_f64 v[79:80], v[79:80], v[138:139]
	s_waitcnt vmcnt(45) lgkmcnt(1)
	v_mul_f64 v[130:131], v[1:2], v[92:93]
	v_mul_f64 v[92:93], v[3:4], v[92:93]
	s_waitcnt vmcnt(44)
	v_fma_f64 v[138:139], v[75:76], v[161:162], -v[148:149]
	v_add_f64 v[86:87], v[86:87], v[140:141]
	v_fma_f64 v[140:141], v[77:78], v[161:162], v[146:147]
	v_add_f64 v[79:80], v[79:80], v[88:89]
	ds_read_b128 v[75:78], v81 offset:976
	s_waitcnt vmcnt(43) lgkmcnt(1)
	v_mul_f64 v[88:89], v[82:83], v[102:103]
	v_mul_f64 v[102:103], v[84:85], v[102:103]
	s_waitcnt vmcnt(41)
	v_fma_f64 v[92:93], v[1:2], v[90:91], -v[92:93]
	v_fma_f64 v[90:91], v[3:4], v[90:91], v[130:131]
	ds_read_b128 v[1:4], v81 offset:992
	v_add_f64 v[86:87], v[86:87], v[138:139]
	v_add_f64 v[79:80], v[79:80], v[140:141]
	s_waitcnt vmcnt(37) lgkmcnt(1)
	v_mul_f64 v[130:131], v[75:76], v[94:95]
	v_mul_f64 v[94:95], v[77:78], v[94:95]
	s_waitcnt vmcnt(36)
	v_fma_f64 v[102:103], v[82:83], v[157:158], -v[102:103]
	v_fma_f64 v[88:89], v[84:85], v[157:158], v[88:89]
	ds_read_b128 v[82:85], v81 offset:1008
	v_add_f64 v[86:87], v[86:87], v[92:93]
	v_add_f64 v[79:80], v[79:80], v[90:91]
	;; [unrolled: 9-line block ×5, first 2 shown]
	s_waitcnt vmcnt(21) lgkmcnt(1)
	v_mul_f64 v[92:93], v[3:4], v[104:105]
	s_waitcnt vmcnt(20)
	v_fma_f64 v[96:97], v[75:76], v[120:121], -v[96:97]
	v_mul_f64 v[90:91], v[1:2], v[104:105]
	v_fma_f64 v[94:95], v[77:78], v[120:121], v[94:95]
	ds_read_b128 v[75:78], v81 offset:1072
	v_add_f64 v[86:87], v[86:87], v[98:99]
	v_add_f64 v[79:80], v[79:80], v[88:89]
	s_waitcnt vmcnt(19) lgkmcnt(1)
	v_mul_f64 v[98:99], v[84:85], v[124:125]
	v_mul_f64 v[88:89], v[82:83], v[124:125]
	s_waitcnt vmcnt(17)
	v_fma_f64 v[92:93], v[1:2], v[110:111], -v[92:93]
	v_fma_f64 v[90:91], v[3:4], v[110:111], v[90:91]
	ds_read_b128 v[1:4], v81 offset:1088
	v_add_f64 v[86:87], v[86:87], v[96:97]
	v_add_f64 v[79:80], v[79:80], v[94:95]
	s_waitcnt vmcnt(13) lgkmcnt(1)
	v_mul_f64 v[96:97], v[77:78], v[114:115]
	s_waitcnt vmcnt(12)
	v_fma_f64 v[98:99], v[82:83], v[128:129], -v[98:99]
	v_mul_f64 v[94:95], v[75:76], v[114:115]
	v_fma_f64 v[83:84], v[84:85], v[128:129], v[88:89]
	v_add_f64 v[86:87], v[86:87], v[92:93]
	v_add_f64 v[88:89], v[79:80], v[90:91]
	ds_read_b128 v[79:82], v81 offset:1104
	s_waitcnt vmcnt(11) lgkmcnt(1)
	v_mul_f64 v[92:93], v[3:4], v[132:133]
	v_mul_f64 v[90:91], v[1:2], v[132:133]
	s_waitcnt vmcnt(9)
	v_fma_f64 v[75:76], v[75:76], v[118:119], -v[96:97]
	v_fma_f64 v[77:78], v[77:78], v[118:119], v[94:95]
	v_add_f64 v[85:86], v[86:87], v[98:99]
	v_add_f64 v[83:84], v[88:89], v[83:84]
	s_waitcnt vmcnt(7) lgkmcnt(0)
	v_mul_f64 v[94:95], v[81:82], v[122:123]
	s_waitcnt vmcnt(6)
	v_fma_f64 v[1:2], v[1:2], v[136:137], -v[92:93]
	v_mul_f64 v[87:88], v[79:80], v[122:123]
	v_fma_f64 v[3:4], v[3:4], v[136:137], v[90:91]
	v_add_f64 v[75:76], v[85:86], v[75:76]
	v_add_f64 v[77:78], v[83:84], v[77:78]
	s_waitcnt vmcnt(4)
	v_fma_f64 v[79:80], v[79:80], v[126:127], -v[94:95]
	v_add_f64 v[1:2], v[75:76], v[1:2]
	v_fma_f64 v[75:76], v[81:82], v[126:127], v[87:88]
	v_add_f64 v[3:4], v[77:78], v[3:4]
	v_add_f64 v[1:2], v[1:2], v[79:80]
	;; [unrolled: 1-line block ×3, first 2 shown]
	s_waitcnt vmcnt(2)
	v_add_f64 v[1:2], v[134:135], -v[1:2]
	s_waitcnt vmcnt(0)
	v_add_f64 v[3:4], v[144:145], -v[3:4]
	buffer_store_dword v2, off, s[0:3], 0 offset:84
	buffer_store_dword v1, off, s[0:3], 0 offset:80
	;; [unrolled: 1-line block ×4, first 2 shown]
	v_cmpx_lt_u32_e32 3, v0
	s_cbranch_execz .LBB98_217
; %bb.216:
	v_mov_b32_e32 v4, s44
	v_mov_b32_e32 v75, 0
	s_clause 0x3
	buffer_load_dword v1, v4, s[0:3], 0 offen
	buffer_load_dword v2, v4, s[0:3], 0 offen offset:4
	buffer_load_dword v3, v4, s[0:3], 0 offen offset:8
	;; [unrolled: 1-line block ×3, first 2 shown]
	buffer_store_dword v75, off, s[0:3], 0 offset:64
	buffer_store_dword v75, off, s[0:3], 0 offset:68
	;; [unrolled: 1-line block ×4, first 2 shown]
	s_waitcnt vmcnt(0)
	ds_write_b128 v109, v[1:4]
.LBB98_217:
	s_or_b32 exec_lo, exec_lo, s4
	s_waitcnt lgkmcnt(0)
	s_waitcnt_vscnt null, 0x0
	s_barrier
	buffer_gl0_inv
	s_clause 0x37
	buffer_load_dword v79, off, s[0:3], 0 offset:88
	buffer_load_dword v80, off, s[0:3], 0 offset:92
	;; [unrolled: 1-line block ×56, first 2 shown]
	v_mov_b32_e32 v99, 0
	s_mov_b32 s4, exec_lo
	ds_read_b128 v[87:90], v99 offset:624
	s_clause 0x2
	buffer_load_dword v141, off, s[0:3], 0 offset:316
	buffer_load_dword v145, off, s[0:3], 0 offset:292
	;; [unrolled: 1-line block ×3, first 2 shown]
	ds_read_b128 v[91:94], v99 offset:640
	s_clause 0x4
	buffer_load_dword v149, off, s[0:3], 0 offset:332
	buffer_load_dword v150, off, s[0:3], 0 offset:344
	;; [unrolled: 1-line block ×5, first 2 shown]
	ds_read_b128 v[95:98], v99 offset:656
	s_clause 0x2
	buffer_load_dword v151, off, s[0:3], 0 offset:348
	buffer_load_dword v156, off, s[0:3], 0 offset:324
	;; [unrolled: 1-line block ×3, first 2 shown]
	s_waitcnt vmcnt(62) lgkmcnt(2)
	v_mul_f64 v[146:147], v[89:90], v[79:80]
	v_mul_f64 v[79:80], v[87:88], v[79:80]
	s_waitcnt lgkmcnt(1)
	v_mul_f64 v[153:154], v[93:94], v[75:76]
	s_waitcnt vmcnt(59) lgkmcnt(0)
	v_mul_f64 v[157:158], v[97:98], v[3:4]
	v_fma_f64 v[87:88], v[87:88], v[77:78], -v[146:147]
	v_mul_f64 v[146:147], v[91:92], v[75:76]
	v_fma_f64 v[79:80], v[89:90], v[77:78], v[79:80]
	s_waitcnt vmcnt(57)
	v_fma_f64 v[91:92], v[91:92], v[1:2], -v[153:154]
	ds_read_b128 v[75:78], v99 offset:672
	v_mul_f64 v[89:90], v[95:96], v[3:4]
	s_waitcnt vmcnt(51)
	v_fma_f64 v[95:96], v[95:96], v[102:103], -v[157:158]
	v_add_f64 v[87:88], v[87:88], 0
	v_fma_f64 v[93:94], v[93:94], v[1:2], v[146:147]
	v_add_f64 v[79:80], v[79:80], 0
	s_clause 0x4
	buffer_load_dword v147, off, s[0:3], 0 offset:364
	buffer_load_dword v159, off, s[0:3], 0 offset:376
	;; [unrolled: 1-line block ×5, first 2 shown]
	s_waitcnt lgkmcnt(0)
	v_mul_f64 v[162:163], v[75:76], v[83:84]
	v_mul_f64 v[83:84], v[77:78], v[83:84]
	ds_read_b128 v[1:4], v99 offset:688
	v_fma_f64 v[97:98], v[97:98], v[102:103], v[89:90]
	v_add_f64 v[91:92], v[87:88], v[91:92]
	v_add_f64 v[79:80], v[79:80], v[93:94]
	s_clause 0x2
	buffer_load_dword v160, off, s[0:3], 0 offset:380
	buffer_load_dword v94, off, s[0:3], 0 offset:356
	;; [unrolled: 1-line block ×3, first 2 shown]
	s_waitcnt vmcnt(58) lgkmcnt(0)
	v_mul_f64 v[102:103], v[1:2], v[100:101]
	v_mul_f64 v[100:101], v[3:4], v[100:101]
	s_waitcnt vmcnt(56)
	v_fma_f64 v[83:84], v[75:76], v[104:105], -v[83:84]
	ds_read_b128 v[87:90], v99 offset:704
	v_add_f64 v[91:92], v[91:92], v[95:96]
	v_fma_f64 v[95:96], v[77:78], v[104:105], v[162:163]
	v_add_f64 v[79:80], v[79:80], v[97:98]
	s_clause 0x4
	buffer_load_dword v98, off, s[0:3], 0 offset:396
	buffer_load_dword v104, off, s[0:3], 0 offset:408
	;; [unrolled: 1-line block ×5, first 2 shown]
	ds_read_b128 v[75:78], v99 offset:720
	s_waitcnt vmcnt(57) lgkmcnt(1)
	v_mul_f64 v[163:164], v[87:88], v[106:107]
	v_mul_f64 v[106:107], v[89:90], v[106:107]
	s_waitcnt vmcnt(56)
	v_fma_f64 v[100:101], v[1:2], v[81:82], -v[100:101]
	v_fma_f64 v[81:82], v[3:4], v[81:82], v[102:103]
	v_add_f64 v[83:84], v[91:92], v[83:84]
	s_clause 0x2
	buffer_load_dword v105, off, s[0:3], 0 offset:412
	buffer_load_dword v92, off, s[0:3], 0 offset:388
	;; [unrolled: 1-line block ×3, first 2 shown]
	v_add_f64 v[79:80], v[79:80], v[95:96]
	s_waitcnt vmcnt(58) lgkmcnt(0)
	v_mul_f64 v[102:103], v[77:78], v[110:111]
	ds_read_b128 v[1:4], v99 offset:736
	v_mul_f64 v[95:96], v[75:76], v[110:111]
	s_waitcnt vmcnt(56)
	v_fma_f64 v[87:88], v[87:88], v[112:113], -v[106:107]
	v_fma_f64 v[89:90], v[89:90], v[112:113], v[163:164]
	s_clause 0x4
	buffer_load_dword v107, off, s[0:3], 0 offset:428
	buffer_load_dword v110, off, s[0:3], 0 offset:440
	;; [unrolled: 1-line block ×5, first 2 shown]
	v_add_f64 v[83:84], v[83:84], v[100:101]
	v_add_f64 v[100:101], v[79:80], v[81:82]
	s_waitcnt vmcnt(57) lgkmcnt(0)
	v_mul_f64 v[163:164], v[1:2], v[114:115]
	v_mul_f64 v[113:114], v[3:4], v[114:115]
	s_waitcnt vmcnt(56)
	v_fma_f64 v[102:103], v[75:76], v[85:86], -v[102:103]
	ds_read_b128 v[79:82], v99 offset:752
	v_fma_f64 v[85:86], v[77:78], v[85:86], v[95:96]
	v_add_f64 v[83:84], v[83:84], v[87:88]
	v_add_f64 v[87:88], v[100:101], v[89:90]
	s_clause 0x2
	buffer_load_dword v111, off, s[0:3], 0 offset:444
	buffer_load_dword v90, off, s[0:3], 0 offset:420
	;; [unrolled: 1-line block ×3, first 2 shown]
	s_waitcnt vmcnt(58) lgkmcnt(0)
	v_mul_f64 v[100:101], v[81:82], v[116:117]
	s_waitcnt vmcnt(56)
	v_fma_f64 v[114:115], v[1:2], v[120:121], -v[113:114]
	ds_read_b128 v[75:78], v99 offset:768
	v_mul_f64 v[95:96], v[79:80], v[116:117]
	v_add_f64 v[83:84], v[83:84], v[102:103]
	v_fma_f64 v[102:103], v[3:4], v[120:121], v[163:164]
	v_add_f64 v[85:86], v[87:88], v[85:86]
	s_clause 0x4
	buffer_load_dword v88, off, s[0:3], 0 offset:460
	buffer_load_dword v116, off, s[0:3], 0 offset:472
	buffer_load_dword v120, off, s[0:3], 0 offset:464
	buffer_load_dword v87, off, s[0:3], 0 offset:456
	buffer_load_dword v113, off, s[0:3], 0 offset:436
	s_waitcnt vmcnt(57) lgkmcnt(0)
	v_mul_f64 v[163:164], v[75:76], v[122:123]
	v_mul_f64 v[121:122], v[77:78], v[122:123]
	s_waitcnt vmcnt(56)
	v_fma_f64 v[100:101], v[79:80], v[118:119], -v[100:101]
	ds_read_b128 v[1:4], v99 offset:784
	v_fma_f64 v[95:96], v[81:82], v[118:119], v[95:96]
	v_add_f64 v[83:84], v[83:84], v[114:115]
	v_add_f64 v[85:86], v[85:86], v[102:103]
	s_clause 0x2
	buffer_load_dword v117, off, s[0:3], 0 offset:476
	buffer_load_dword v103, off, s[0:3], 0 offset:452
	buffer_load_dword v102, off, s[0:3], 0 offset:448
	ds_read_b128 v[79:82], v99 offset:800
	s_waitcnt vmcnt(58) lgkmcnt(1)
	v_mul_f64 v[118:119], v[3:4], v[124:125]
	s_waitcnt vmcnt(56)
	v_fma_f64 v[122:123], v[75:76], v[128:129], -v[121:122]
	v_mul_f64 v[114:115], v[1:2], v[124:125]
	v_add_f64 v[83:84], v[83:84], v[100:101]
	v_fma_f64 v[100:101], v[77:78], v[128:129], v[163:164]
	v_add_f64 v[85:86], v[85:86], v[95:96]
	s_clause 0x4
	buffer_load_dword v96, off, s[0:3], 0 offset:492
	buffer_load_dword v124, off, s[0:3], 0 offset:504
	buffer_load_dword v128, off, s[0:3], 0 offset:496
	buffer_load_dword v95, off, s[0:3], 0 offset:488
	buffer_load_dword v121, off, s[0:3], 0 offset:468
	s_waitcnt vmcnt(57) lgkmcnt(0)
	v_mul_f64 v[163:164], v[79:80], v[130:131]
	v_mul_f64 v[129:130], v[81:82], v[130:131]
	s_waitcnt vmcnt(56)
	v_fma_f64 v[118:119], v[1:2], v[126:127], -v[118:119]
	ds_read_b128 v[75:78], v99 offset:816
	v_fma_f64 v[114:115], v[3:4], v[126:127], v[114:115]
	v_add_f64 v[83:84], v[83:84], v[122:123]
	v_add_f64 v[85:86], v[85:86], v[100:101]
	s_clause 0x2
	buffer_load_dword v125, off, s[0:3], 0 offset:508
	buffer_load_dword v101, off, s[0:3], 0 offset:484
	buffer_load_dword v100, off, s[0:3], 0 offset:480
	ds_read_b128 v[1:4], v99 offset:832
	s_waitcnt vmcnt(58) lgkmcnt(1)
	v_mul_f64 v[126:127], v[77:78], v[132:133]
	s_waitcnt vmcnt(56)
	v_fma_f64 v[130:131], v[79:80], v[136:137], -v[129:130]
	;; [unrolled: 28-line block ×4, first 2 shown]
	v_mul_f64 v[138:139], v[1:2], v[150:151]
	buffer_load_dword v145, off, s[0:3], 0 offset:564
	v_add_f64 v[83:84], v[83:84], v[134:135]
	v_fma_f64 v[134:135], v[77:78], v[155:156], v[163:164]
	v_add_f64 v[85:86], v[85:86], v[130:131]
	ds_read_b128 v[75:78], v99 offset:912
	s_waitcnt vmcnt(53) lgkmcnt(1)
	v_mul_f64 v[130:131], v[79:80], v[146:147]
	v_mul_f64 v[146:147], v[81:82], v[146:147]
	s_waitcnt vmcnt(52)
	v_fma_f64 v[142:143], v[1:2], v[152:153], -v[142:143]
	v_fma_f64 v[138:139], v[3:4], v[152:153], v[138:139]
	ds_read_b128 v[1:4], v99 offset:928
	v_add_f64 v[83:84], v[83:84], v[148:149]
	v_add_f64 v[85:86], v[85:86], v[134:135]
	s_waitcnt vmcnt(51) lgkmcnt(1)
	v_mul_f64 v[148:149], v[77:78], v[159:160]
	v_mul_f64 v[134:135], v[75:76], v[159:160]
	s_waitcnt vmcnt(49)
	v_fma_f64 v[146:147], v[79:80], v[93:94], -v[146:147]
	v_fma_f64 v[93:94], v[81:82], v[93:94], v[130:131]
	v_add_f64 v[83:84], v[83:84], v[142:143]
	v_add_f64 v[85:86], v[85:86], v[138:139]
	s_clause 0x3
	buffer_load_dword v130, off, s[0:3], 0 offset:64
	buffer_load_dword v131, off, s[0:3], 0 offset:68
	;; [unrolled: 1-line block ×4, first 2 shown]
	ds_read_b128 v[79:82], v99 offset:944
	s_waitcnt vmcnt(49) lgkmcnt(1)
	v_mul_f64 v[142:143], v[1:2], v[97:98]
	v_mul_f64 v[97:98], v[3:4], v[97:98]
	s_waitcnt vmcnt(48)
	v_fma_f64 v[148:149], v[75:76], v[161:162], -v[148:149]
	v_fma_f64 v[134:135], v[77:78], v[161:162], v[134:135]
	ds_read_b128 v[75:78], v99 offset:960
	v_add_f64 v[83:84], v[83:84], v[146:147]
	v_add_f64 v[85:86], v[85:86], v[93:94]
	s_waitcnt vmcnt(47) lgkmcnt(1)
	v_mul_f64 v[93:94], v[79:80], v[104:105]
	v_mul_f64 v[104:105], v[81:82], v[104:105]
	s_waitcnt vmcnt(45)
	v_fma_f64 v[97:98], v[1:2], v[91:92], -v[97:98]
	v_fma_f64 v[91:92], v[3:4], v[91:92], v[142:143]
	ds_read_b128 v[1:4], v99 offset:976
	v_add_f64 v[83:84], v[83:84], v[148:149]
	v_add_f64 v[85:86], v[85:86], v[134:135]
	s_waitcnt vmcnt(41) lgkmcnt(1)
	v_mul_f64 v[134:135], v[75:76], v[106:107]
	v_mul_f64 v[106:107], v[77:78], v[106:107]
	s_waitcnt vmcnt(40)
	v_fma_f64 v[93:94], v[81:82], v[157:158], v[93:94]
	v_fma_f64 v[104:105], v[79:80], v[157:158], -v[104:105]
	ds_read_b128 v[79:82], v99 offset:992
	v_add_f64 v[83:84], v[83:84], v[97:98]
	v_add_f64 v[85:86], v[85:86], v[91:92]
	s_waitcnt vmcnt(39) lgkmcnt(1)
	v_mul_f64 v[97:98], v[3:4], v[110:111]
	v_mul_f64 v[91:92], v[1:2], v[110:111]
	s_waitcnt vmcnt(37)
	v_fma_f64 v[106:107], v[75:76], v[89:90], -v[106:107]
	v_fma_f64 v[89:90], v[77:78], v[89:90], v[134:135]
	ds_read_b128 v[75:78], v99 offset:1008
	v_add_f64 v[83:84], v[83:84], v[104:105]
	v_add_f64 v[85:86], v[85:86], v[93:94]
	s_waitcnt vmcnt(33) lgkmcnt(1)
	v_mul_f64 v[93:94], v[79:80], v[87:88]
	v_mul_f64 v[87:88], v[81:82], v[87:88]
	s_waitcnt vmcnt(32)
	v_fma_f64 v[97:98], v[1:2], v[112:113], -v[97:98]
	v_fma_f64 v[91:92], v[3:4], v[112:113], v[91:92]
	;; [unrolled: 9-line block ×3, first 2 shown]
	ds_read_b128 v[79:82], v99 offset:1040
	v_add_f64 v[83:84], v[83:84], v[97:98]
	v_add_f64 v[85:86], v[85:86], v[91:92]
	s_waitcnt vmcnt(25) lgkmcnt(1)
	v_mul_f64 v[91:92], v[1:2], v[95:96]
	v_mul_f64 v[95:96], v[3:4], v[95:96]
	s_waitcnt vmcnt(24)
	v_fma_f64 v[97:98], v[75:76], v[120:121], -v[104:105]
	v_add_f64 v[83:84], v[83:84], v[87:88]
	v_fma_f64 v[87:88], v[77:78], v[120:121], v[89:90]
	v_add_f64 v[85:86], v[85:86], v[93:94]
	ds_read_b128 v[75:78], v99 offset:1056
	s_waitcnt vmcnt(23) lgkmcnt(1)
	v_mul_f64 v[93:94], v[81:82], v[124:125]
	v_mul_f64 v[89:90], v[79:80], v[124:125]
	s_waitcnt vmcnt(21)
	v_fma_f64 v[95:96], v[1:2], v[100:101], -v[95:96]
	v_fma_f64 v[91:92], v[3:4], v[100:101], v[91:92]
	ds_read_b128 v[1:4], v99 offset:1072
	v_add_f64 v[83:84], v[83:84], v[97:98]
	v_add_f64 v[85:86], v[85:86], v[87:88]
	s_waitcnt vmcnt(17) lgkmcnt(1)
	v_mul_f64 v[97:98], v[77:78], v[114:115]
	s_waitcnt vmcnt(16)
	v_fma_f64 v[93:94], v[79:80], v[128:129], -v[93:94]
	v_mul_f64 v[87:88], v[75:76], v[114:115]
	v_fma_f64 v[89:90], v[81:82], v[128:129], v[89:90]
	ds_read_b128 v[79:82], v99 offset:1088
	v_add_f64 v[83:84], v[83:84], v[95:96]
	v_add_f64 v[85:86], v[85:86], v[91:92]
	s_waitcnt vmcnt(15) lgkmcnt(1)
	v_mul_f64 v[95:96], v[3:4], v[132:133]
	v_mul_f64 v[91:92], v[1:2], v[132:133]
	s_waitcnt vmcnt(13)
	v_fma_f64 v[97:98], v[75:76], v[118:119], -v[97:98]
	v_fma_f64 v[87:88], v[77:78], v[118:119], v[87:88]
	ds_read_b128 v[75:78], v99 offset:1104
	v_add_f64 v[83:84], v[83:84], v[93:94]
	v_add_f64 v[85:86], v[85:86], v[89:90]
	s_waitcnt vmcnt(9) lgkmcnt(1)
	v_mul_f64 v[93:94], v[81:82], v[122:123]
	s_waitcnt vmcnt(8)
	v_fma_f64 v[1:2], v[1:2], v[136:137], -v[95:96]
	v_mul_f64 v[89:90], v[79:80], v[122:123]
	v_fma_f64 v[3:4], v[3:4], v[136:137], v[91:92]
	v_add_f64 v[83:84], v[83:84], v[97:98]
	v_add_f64 v[85:86], v[85:86], v[87:88]
	s_waitcnt vmcnt(7) lgkmcnt(0)
	v_mul_f64 v[91:92], v[77:78], v[140:141]
	v_mul_f64 v[87:88], v[75:76], v[140:141]
	s_waitcnt vmcnt(5)
	v_fma_f64 v[79:80], v[79:80], v[126:127], -v[93:94]
	v_fma_f64 v[81:82], v[81:82], v[126:127], v[89:90]
	v_add_f64 v[1:2], v[83:84], v[1:2]
	v_add_f64 v[3:4], v[85:86], v[3:4]
	s_waitcnt vmcnt(4)
	v_fma_f64 v[75:76], v[75:76], v[144:145], -v[91:92]
	v_fma_f64 v[77:78], v[77:78], v[144:145], v[87:88]
	v_add_f64 v[1:2], v[1:2], v[79:80]
	v_add_f64 v[3:4], v[3:4], v[81:82]
	;; [unrolled: 1-line block ×4, first 2 shown]
	s_waitcnt vmcnt(2)
	v_add_f64 v[1:2], v[130:131], -v[1:2]
	s_waitcnt vmcnt(0)
	v_add_f64 v[3:4], v[138:139], -v[3:4]
	buffer_store_dword v2, off, s[0:3], 0 offset:68
	buffer_store_dword v1, off, s[0:3], 0 offset:64
	;; [unrolled: 1-line block ×4, first 2 shown]
	v_cmpx_lt_u32_e32 2, v0
	s_cbranch_execz .LBB98_219
; %bb.218:
	v_mov_b32_e32 v4, s45
	s_clause 0x3
	buffer_load_dword v1, v4, s[0:3], 0 offen
	buffer_load_dword v2, v4, s[0:3], 0 offen offset:4
	buffer_load_dword v3, v4, s[0:3], 0 offen offset:8
	;; [unrolled: 1-line block ×3, first 2 shown]
	buffer_store_dword v99, off, s[0:3], 0 offset:48
	buffer_store_dword v99, off, s[0:3], 0 offset:52
	;; [unrolled: 1-line block ×4, first 2 shown]
	s_waitcnt vmcnt(0)
	ds_write_b128 v109, v[1:4]
.LBB98_219:
	s_or_b32 exec_lo, exec_lo, s4
	s_waitcnt lgkmcnt(0)
	s_waitcnt_vscnt null, 0x0
	s_barrier
	buffer_gl0_inv
	s_clause 0x37
	buffer_load_dword v79, off, s[0:3], 0 offset:72
	buffer_load_dword v80, off, s[0:3], 0 offset:76
	;; [unrolled: 1-line block ×56, first 2 shown]
	ds_read_b128 v[100:103], v99 offset:608
	s_clause 0x2
	buffer_load_dword v141, off, s[0:3], 0 offset:300
	buffer_load_dword v145, off, s[0:3], 0 offset:276
	;; [unrolled: 1-line block ×3, first 2 shown]
	ds_read_b128 v[104:107], v99 offset:624
	s_clause 0x4
	buffer_load_dword v149, off, s[0:3], 0 offset:316
	buffer_load_dword v150, off, s[0:3], 0 offset:328
	;; [unrolled: 1-line block ×5, first 2 shown]
	ds_read_b128 v[110:113], v99 offset:640
	s_clause 0x2
	buffer_load_dword v151, off, s[0:3], 0 offset:332
	buffer_load_dword v156, off, s[0:3], 0 offset:308
	;; [unrolled: 1-line block ×3, first 2 shown]
	s_mov_b32 s4, exec_lo
	s_waitcnt vmcnt(62) lgkmcnt(2)
	v_mul_f64 v[146:147], v[102:103], v[79:80]
	v_mul_f64 v[79:80], v[100:101], v[79:80]
	s_waitcnt lgkmcnt(1)
	v_mul_f64 v[153:154], v[106:107], v[75:76]
	s_waitcnt vmcnt(59) lgkmcnt(0)
	v_mul_f64 v[157:158], v[112:113], v[3:4]
	v_fma_f64 v[100:101], v[100:101], v[77:78], -v[146:147]
	v_mul_f64 v[146:147], v[104:105], v[75:76]
	v_fma_f64 v[79:80], v[102:103], v[77:78], v[79:80]
	s_waitcnt vmcnt(57)
	v_fma_f64 v[104:105], v[104:105], v[1:2], -v[153:154]
	ds_read_b128 v[75:78], v99 offset:656
	v_mul_f64 v[102:103], v[110:111], v[3:4]
	s_waitcnt vmcnt(51)
	v_fma_f64 v[110:111], v[110:111], v[95:96], -v[157:158]
	v_add_f64 v[100:101], v[100:101], 0
	v_fma_f64 v[106:107], v[106:107], v[1:2], v[146:147]
	v_add_f64 v[79:80], v[79:80], 0
	s_clause 0x4
	buffer_load_dword v147, off, s[0:3], 0 offset:348
	buffer_load_dword v159, off, s[0:3], 0 offset:360
	;; [unrolled: 1-line block ×5, first 2 shown]
	s_waitcnt lgkmcnt(0)
	v_mul_f64 v[162:163], v[75:76], v[83:84]
	v_mul_f64 v[83:84], v[77:78], v[83:84]
	ds_read_b128 v[1:4], v99 offset:672
	v_fma_f64 v[95:96], v[112:113], v[95:96], v[102:103]
	v_add_f64 v[104:105], v[100:101], v[104:105]
	v_add_f64 v[79:80], v[79:80], v[106:107]
	s_clause 0x2
	buffer_load_dword v160, off, s[0:3], 0 offset:364
	buffer_load_dword v107, off, s[0:3], 0 offset:340
	;; [unrolled: 1-line block ×3, first 2 shown]
	s_waitcnt vmcnt(58) lgkmcnt(0)
	v_mul_f64 v[112:113], v[1:2], v[87:88]
	v_mul_f64 v[87:88], v[3:4], v[87:88]
	s_waitcnt vmcnt(56)
	v_fma_f64 v[83:84], v[75:76], v[89:90], -v[83:84]
	ds_read_b128 v[100:103], v99 offset:688
	v_fma_f64 v[89:90], v[77:78], v[89:90], v[162:163]
	v_add_f64 v[104:105], v[104:105], v[110:111]
	v_add_f64 v[79:80], v[79:80], v[95:96]
	s_clause 0x4
	buffer_load_dword v96, off, s[0:3], 0 offset:380
	buffer_load_dword v110, off, s[0:3], 0 offset:392
	;; [unrolled: 1-line block ×5, first 2 shown]
	ds_read_b128 v[75:78], v99 offset:704
	s_waitcnt vmcnt(57) lgkmcnt(1)
	v_mul_f64 v[163:164], v[100:101], v[91:92]
	v_mul_f64 v[91:92], v[102:103], v[91:92]
	s_waitcnt vmcnt(56)
	v_fma_f64 v[87:88], v[1:2], v[81:82], -v[87:88]
	v_fma_f64 v[81:82], v[3:4], v[81:82], v[112:113]
	v_add_f64 v[83:84], v[104:105], v[83:84]
	v_add_f64 v[79:80], v[79:80], v[89:90]
	s_clause 0x2
	buffer_load_dword v111, off, s[0:3], 0 offset:396
	buffer_load_dword v90, off, s[0:3], 0 offset:372
	;; [unrolled: 1-line block ×3, first 2 shown]
	s_waitcnt vmcnt(58) lgkmcnt(0)
	v_mul_f64 v[104:105], v[75:76], v[97:98]
	v_mul_f64 v[97:98], v[77:78], v[97:98]
	s_waitcnt vmcnt(56)
	v_fma_f64 v[91:92], v[100:101], v[114:115], -v[91:92]
	ds_read_b128 v[1:4], v99 offset:720
	v_add_f64 v[83:84], v[83:84], v[87:88]
	v_fma_f64 v[87:88], v[102:103], v[114:115], v[163:164]
	v_add_f64 v[100:101], v[79:80], v[81:82]
	s_clause 0x4
	buffer_load_dword v103, off, s[0:3], 0 offset:412
	buffer_load_dword v112, off, s[0:3], 0 offset:424
	;; [unrolled: 1-line block ×5, first 2 shown]
	ds_read_b128 v[79:82], v99 offset:736
	s_waitcnt vmcnt(57) lgkmcnt(1)
	v_mul_f64 v[163:164], v[1:2], v[116:117]
	v_mul_f64 v[115:116], v[3:4], v[116:117]
	s_waitcnt vmcnt(56)
	v_fma_f64 v[97:98], v[75:76], v[85:86], -v[97:98]
	v_fma_f64 v[85:86], v[77:78], v[85:86], v[104:105]
	v_add_f64 v[83:84], v[83:84], v[91:92]
	s_clause 0x2
	buffer_load_dword v113, off, s[0:3], 0 offset:428
	buffer_load_dword v92, off, s[0:3], 0 offset:404
	;; [unrolled: 1-line block ×3, first 2 shown]
	v_add_f64 v[87:88], v[100:101], v[87:88]
	s_waitcnt vmcnt(58) lgkmcnt(0)
	v_mul_f64 v[104:105], v[81:82], v[118:119]
	ds_read_b128 v[75:78], v99 offset:752
	v_mul_f64 v[100:101], v[79:80], v[118:119]
	s_waitcnt vmcnt(56)
	v_fma_f64 v[116:117], v[1:2], v[120:121], -v[115:116]
	v_add_f64 v[83:84], v[83:84], v[97:98]
	v_fma_f64 v[97:98], v[3:4], v[120:121], v[163:164]
	v_add_f64 v[85:86], v[87:88], v[85:86]
	s_clause 0x4
	buffer_load_dword v88, off, s[0:3], 0 offset:444
	buffer_load_dword v118, off, s[0:3], 0 offset:456
	buffer_load_dword v120, off, s[0:3], 0 offset:448
	buffer_load_dword v87, off, s[0:3], 0 offset:440
	buffer_load_dword v115, off, s[0:3], 0 offset:420
	s_waitcnt vmcnt(57) lgkmcnt(0)
	v_mul_f64 v[163:164], v[75:76], v[122:123]
	v_mul_f64 v[121:122], v[77:78], v[122:123]
	s_waitcnt vmcnt(56)
	v_fma_f64 v[104:105], v[79:80], v[93:94], -v[104:105]
	ds_read_b128 v[1:4], v99 offset:768
	v_fma_f64 v[93:94], v[81:82], v[93:94], v[100:101]
	v_add_f64 v[83:84], v[83:84], v[116:117]
	v_add_f64 v[85:86], v[85:86], v[97:98]
	s_clause 0x2
	buffer_load_dword v119, off, s[0:3], 0 offset:460
	buffer_load_dword v98, off, s[0:3], 0 offset:436
	buffer_load_dword v97, off, s[0:3], 0 offset:432
	ds_read_b128 v[79:82], v99 offset:784
	s_waitcnt vmcnt(58) lgkmcnt(1)
	v_mul_f64 v[116:117], v[3:4], v[124:125]
	s_waitcnt vmcnt(56)
	v_fma_f64 v[122:123], v[75:76], v[128:129], -v[121:122]
	v_mul_f64 v[100:101], v[1:2], v[124:125]
	v_add_f64 v[83:84], v[83:84], v[104:105]
	v_fma_f64 v[104:105], v[77:78], v[128:129], v[163:164]
	v_add_f64 v[85:86], v[85:86], v[93:94]
	s_clause 0x4
	buffer_load_dword v94, off, s[0:3], 0 offset:476
	buffer_load_dword v124, off, s[0:3], 0 offset:488
	buffer_load_dword v128, off, s[0:3], 0 offset:480
	buffer_load_dword v93, off, s[0:3], 0 offset:472
	buffer_load_dword v121, off, s[0:3], 0 offset:452
	s_waitcnt vmcnt(57) lgkmcnt(0)
	v_mul_f64 v[163:164], v[79:80], v[130:131]
	v_mul_f64 v[129:130], v[81:82], v[130:131]
	s_waitcnt vmcnt(56)
	v_fma_f64 v[116:117], v[1:2], v[126:127], -v[116:117]
	ds_read_b128 v[75:78], v99 offset:800
	v_fma_f64 v[100:101], v[3:4], v[126:127], v[100:101]
	v_add_f64 v[83:84], v[83:84], v[122:123]
	v_add_f64 v[85:86], v[85:86], v[104:105]
	s_clause 0x2
	buffer_load_dword v125, off, s[0:3], 0 offset:492
	buffer_load_dword v105, off, s[0:3], 0 offset:468
	buffer_load_dword v104, off, s[0:3], 0 offset:464
	ds_read_b128 v[1:4], v99 offset:816
	s_waitcnt vmcnt(58) lgkmcnt(1)
	v_mul_f64 v[126:127], v[77:78], v[132:133]
	s_waitcnt vmcnt(56)
	v_fma_f64 v[130:131], v[79:80], v[136:137], -v[129:130]
	v_mul_f64 v[122:123], v[75:76], v[132:133]
	;; [unrolled: 28-line block ×4, first 2 shown]
	v_add_f64 v[83:84], v[83:84], v[134:135]
	v_fma_f64 v[134:135], v[77:78], v[155:156], v[163:164]
	v_add_f64 v[85:86], v[85:86], v[130:131]
	s_clause 0x2
	buffer_load_dword v131, off, s[0:3], 0 offset:572
	buffer_load_dword v130, off, s[0:3], 0 offset:568
	;; [unrolled: 1-line block ×3, first 2 shown]
	ds_read_b128 v[75:78], v99 offset:896
	s_waitcnt vmcnt(55) lgkmcnt(1)
	v_mul_f64 v[150:151], v[79:80], v[146:147]
	v_mul_f64 v[146:147], v[81:82], v[146:147]
	s_waitcnt vmcnt(54)
	v_fma_f64 v[142:143], v[1:2], v[152:153], -v[142:143]
	v_fma_f64 v[138:139], v[3:4], v[152:153], v[138:139]
	v_add_f64 v[83:84], v[83:84], v[148:149]
	v_add_f64 v[85:86], v[85:86], v[134:135]
	s_clause 0x1
	buffer_load_dword v135, off, s[0:3], 0 offset:564
	buffer_load_dword v134, off, s[0:3], 0 offset:560
	ds_read_b128 v[1:4], v99 offset:912
	s_waitcnt vmcnt(55) lgkmcnt(1)
	v_mul_f64 v[152:153], v[77:78], v[159:160]
	v_mul_f64 v[148:149], v[75:76], v[159:160]
	s_waitcnt vmcnt(53)
	v_fma_f64 v[146:147], v[79:80], v[106:107], -v[146:147]
	v_fma_f64 v[106:107], v[81:82], v[106:107], v[150:151]
	ds_read_b128 v[79:82], v99 offset:928
	v_add_f64 v[83:84], v[83:84], v[142:143]
	v_add_f64 v[85:86], v[85:86], v[138:139]
	s_waitcnt vmcnt(49) lgkmcnt(1)
	v_mul_f64 v[138:139], v[1:2], v[95:96]
	v_mul_f64 v[95:96], v[3:4], v[95:96]
	s_waitcnt vmcnt(48)
	v_fma_f64 v[142:143], v[75:76], v[161:162], -v[152:153]
	v_add_f64 v[83:84], v[83:84], v[146:147]
	v_fma_f64 v[146:147], v[77:78], v[161:162], v[148:149]
	v_add_f64 v[85:86], v[85:86], v[106:107]
	s_clause 0x3
	buffer_load_dword v106, off, s[0:3], 0 offset:48
	buffer_load_dword v107, off, s[0:3], 0 offset:52
	;; [unrolled: 1-line block ×4, first 2 shown]
	ds_read_b128 v[75:78], v99 offset:944
	s_waitcnt vmcnt(51) lgkmcnt(1)
	v_mul_f64 v[150:151], v[79:80], v[110:111]
	v_mul_f64 v[110:111], v[81:82], v[110:111]
	s_waitcnt vmcnt(49)
	v_fma_f64 v[95:96], v[1:2], v[89:90], -v[95:96]
	v_fma_f64 v[89:90], v[3:4], v[89:90], v[138:139]
	ds_read_b128 v[1:4], v99 offset:960
	v_add_f64 v[83:84], v[83:84], v[142:143]
	v_add_f64 v[85:86], v[85:86], v[146:147]
	s_waitcnt vmcnt(45) lgkmcnt(1)
	v_mul_f64 v[138:139], v[75:76], v[102:103]
	v_mul_f64 v[102:103], v[77:78], v[102:103]
	s_waitcnt vmcnt(44)
	v_fma_f64 v[110:111], v[79:80], v[157:158], -v[110:111]
	v_add_f64 v[83:84], v[83:84], v[95:96]
	v_fma_f64 v[95:96], v[81:82], v[157:158], v[150:151]
	v_add_f64 v[85:86], v[85:86], v[89:90]
	ds_read_b128 v[79:82], v99 offset:976
	s_waitcnt vmcnt(43) lgkmcnt(1)
	v_mul_f64 v[89:90], v[1:2], v[112:113]
	v_mul_f64 v[112:113], v[3:4], v[112:113]
	s_waitcnt vmcnt(41)
	v_fma_f64 v[102:103], v[75:76], v[91:92], -v[102:103]
	v_fma_f64 v[91:92], v[77:78], v[91:92], v[138:139]
	ds_read_b128 v[75:78], v99 offset:992
	v_add_f64 v[83:84], v[83:84], v[110:111]
	v_add_f64 v[85:86], v[85:86], v[95:96]
	s_waitcnt vmcnt(37) lgkmcnt(1)
	v_mul_f64 v[95:96], v[79:80], v[87:88]
	v_mul_f64 v[87:88], v[81:82], v[87:88]
	s_waitcnt vmcnt(36)
	v_fma_f64 v[110:111], v[1:2], v[114:115], -v[112:113]
	v_fma_f64 v[89:90], v[3:4], v[114:115], v[89:90]
	ds_read_b128 v[1:4], v99 offset:1008
	v_add_f64 v[83:84], v[83:84], v[102:103]
	v_add_f64 v[85:86], v[85:86], v[91:92]
	;; [unrolled: 9-line block ×3, first 2 shown]
	s_waitcnt vmcnt(29) lgkmcnt(1)
	v_mul_f64 v[89:90], v[1:2], v[93:94]
	v_mul_f64 v[93:94], v[3:4], v[93:94]
	s_waitcnt vmcnt(28)
	v_fma_f64 v[97:98], v[75:76], v[120:121], -v[102:103]
	v_add_f64 v[83:84], v[83:84], v[87:88]
	v_fma_f64 v[87:88], v[77:78], v[120:121], v[91:92]
	v_add_f64 v[85:86], v[85:86], v[95:96]
	ds_read_b128 v[75:78], v99 offset:1040
	s_waitcnt vmcnt(27) lgkmcnt(1)
	v_mul_f64 v[95:96], v[81:82], v[124:125]
	v_mul_f64 v[91:92], v[79:80], v[124:125]
	s_waitcnt vmcnt(25)
	v_fma_f64 v[93:94], v[1:2], v[104:105], -v[93:94]
	v_fma_f64 v[89:90], v[3:4], v[104:105], v[89:90]
	ds_read_b128 v[1:4], v99 offset:1056
	v_add_f64 v[83:84], v[83:84], v[97:98]
	v_add_f64 v[85:86], v[85:86], v[87:88]
	s_waitcnt vmcnt(21) lgkmcnt(1)
	v_mul_f64 v[97:98], v[77:78], v[100:101]
	s_waitcnt vmcnt(20)
	v_fma_f64 v[95:96], v[79:80], v[128:129], -v[95:96]
	v_mul_f64 v[87:88], v[75:76], v[100:101]
	v_fma_f64 v[91:92], v[81:82], v[128:129], v[91:92]
	ds_read_b128 v[79:82], v99 offset:1072
	v_add_f64 v[83:84], v[83:84], v[93:94]
	v_add_f64 v[85:86], v[85:86], v[89:90]
	s_waitcnt vmcnt(19) lgkmcnt(1)
	v_mul_f64 v[93:94], v[3:4], v[132:133]
	v_mul_f64 v[89:90], v[1:2], v[132:133]
	s_waitcnt vmcnt(17)
	v_fma_f64 v[97:98], v[75:76], v[116:117], -v[97:98]
	v_fma_f64 v[87:88], v[77:78], v[116:117], v[87:88]
	ds_read_b128 v[75:78], v99 offset:1088
	v_add_f64 v[83:84], v[83:84], v[95:96]
	v_add_f64 v[85:86], v[85:86], v[91:92]
	s_waitcnt vmcnt(13) lgkmcnt(1)
	v_mul_f64 v[95:96], v[81:82], v[122:123]
	s_waitcnt vmcnt(12)
	v_fma_f64 v[93:94], v[1:2], v[136:137], -v[93:94]
	v_mul_f64 v[91:92], v[79:80], v[122:123]
	v_fma_f64 v[89:90], v[3:4], v[136:137], v[89:90]
	ds_read_b128 v[1:4], v99 offset:1104
	v_add_f64 v[83:84], v[83:84], v[97:98]
	v_add_f64 v[85:86], v[85:86], v[87:88]
	s_waitcnt vmcnt(11) lgkmcnt(1)
	v_mul_f64 v[97:98], v[77:78], v[140:141]
	v_mul_f64 v[87:88], v[75:76], v[140:141]
	s_waitcnt vmcnt(9)
	v_fma_f64 v[79:80], v[79:80], v[126:127], -v[95:96]
	v_fma_f64 v[81:82], v[81:82], v[126:127], v[91:92]
	v_add_f64 v[83:84], v[83:84], v[93:94]
	v_add_f64 v[85:86], v[85:86], v[89:90]
	s_waitcnt vmcnt(7) lgkmcnt(0)
	v_mul_f64 v[91:92], v[3:4], v[130:131]
	s_waitcnt vmcnt(6)
	v_fma_f64 v[75:76], v[75:76], v[144:145], -v[97:98]
	v_mul_f64 v[89:90], v[1:2], v[130:131]
	v_fma_f64 v[77:78], v[77:78], v[144:145], v[87:88]
	v_add_f64 v[79:80], v[83:84], v[79:80]
	v_add_f64 v[81:82], v[85:86], v[81:82]
	s_waitcnt vmcnt(4)
	v_fma_f64 v[1:2], v[1:2], v[134:135], -v[91:92]
	v_fma_f64 v[3:4], v[3:4], v[134:135], v[89:90]
	v_add_f64 v[75:76], v[79:80], v[75:76]
	v_add_f64 v[77:78], v[81:82], v[77:78]
	;; [unrolled: 1-line block ×4, first 2 shown]
	s_waitcnt vmcnt(2)
	v_add_f64 v[1:2], v[106:107], -v[1:2]
	s_waitcnt vmcnt(0)
	v_add_f64 v[3:4], v[148:149], -v[3:4]
	buffer_store_dword v2, off, s[0:3], 0 offset:52
	buffer_store_dword v1, off, s[0:3], 0 offset:48
	;; [unrolled: 1-line block ×4, first 2 shown]
	v_cmpx_lt_u32_e32 1, v0
	s_cbranch_execz .LBB98_221
; %bb.220:
	v_mov_b32_e32 v4, s46
	v_mov_b32_e32 v75, 0
	s_clause 0x3
	buffer_load_dword v1, v4, s[0:3], 0 offen
	buffer_load_dword v2, v4, s[0:3], 0 offen offset:4
	buffer_load_dword v3, v4, s[0:3], 0 offen offset:8
	;; [unrolled: 1-line block ×3, first 2 shown]
	buffer_store_dword v75, off, s[0:3], 0 offset:32
	buffer_store_dword v75, off, s[0:3], 0 offset:36
	;; [unrolled: 1-line block ×4, first 2 shown]
	s_waitcnt vmcnt(0)
	ds_write_b128 v109, v[1:4]
.LBB98_221:
	s_or_b32 exec_lo, exec_lo, s4
	s_waitcnt lgkmcnt(0)
	s_waitcnt_vscnt null, 0x0
	s_barrier
	buffer_gl0_inv
	s_clause 0x37
	buffer_load_dword v79, off, s[0:3], 0 offset:56
	buffer_load_dword v80, off, s[0:3], 0 offset:60
	;; [unrolled: 1-line block ×56, first 2 shown]
	v_mov_b32_e32 v121, 0
	s_mov_b32 s4, exec_lo
	ds_read_b128 v[110:113], v121 offset:592
	s_clause 0x2
	buffer_load_dword v141, off, s[0:3], 0 offset:284
	buffer_load_dword v145, off, s[0:3], 0 offset:260
	;; [unrolled: 1-line block ×3, first 2 shown]
	ds_read_b128 v[114:117], v121 offset:608
	s_clause 0x4
	buffer_load_dword v149, off, s[0:3], 0 offset:300
	buffer_load_dword v150, off, s[0:3], 0 offset:312
	;; [unrolled: 1-line block ×5, first 2 shown]
	ds_read_b128 v[122:125], v121 offset:624
	s_clause 0x2
	buffer_load_dword v151, off, s[0:3], 0 offset:316
	buffer_load_dword v156, off, s[0:3], 0 offset:292
	;; [unrolled: 1-line block ×3, first 2 shown]
	s_waitcnt vmcnt(62) lgkmcnt(2)
	v_mul_f64 v[146:147], v[112:113], v[79:80]
	v_mul_f64 v[79:80], v[110:111], v[79:80]
	s_waitcnt lgkmcnt(1)
	v_mul_f64 v[153:154], v[116:117], v[75:76]
	s_waitcnt vmcnt(59) lgkmcnt(0)
	v_mul_f64 v[157:158], v[124:125], v[3:4]
	v_fma_f64 v[110:111], v[110:111], v[77:78], -v[146:147]
	v_mul_f64 v[146:147], v[114:115], v[75:76]
	v_fma_f64 v[79:80], v[112:113], v[77:78], v[79:80]
	s_waitcnt vmcnt(57)
	v_fma_f64 v[114:115], v[114:115], v[1:2], -v[153:154]
	ds_read_b128 v[75:78], v121 offset:640
	v_mul_f64 v[112:113], v[122:123], v[3:4]
	s_waitcnt vmcnt(51)
	v_fma_f64 v[122:123], v[122:123], v[95:96], -v[157:158]
	v_add_f64 v[110:111], v[110:111], 0
	v_fma_f64 v[116:117], v[116:117], v[1:2], v[146:147]
	v_add_f64 v[79:80], v[79:80], 0
	s_clause 0x4
	buffer_load_dword v147, off, s[0:3], 0 offset:332
	buffer_load_dword v159, off, s[0:3], 0 offset:344
	;; [unrolled: 1-line block ×5, first 2 shown]
	s_waitcnt lgkmcnt(0)
	v_mul_f64 v[162:163], v[75:76], v[83:84]
	v_mul_f64 v[83:84], v[77:78], v[83:84]
	ds_read_b128 v[1:4], v121 offset:656
	v_fma_f64 v[95:96], v[124:125], v[95:96], v[112:113]
	v_add_f64 v[114:115], v[110:111], v[114:115]
	v_add_f64 v[79:80], v[79:80], v[116:117]
	s_clause 0x2
	buffer_load_dword v160, off, s[0:3], 0 offset:348
	buffer_load_dword v117, off, s[0:3], 0 offset:324
	;; [unrolled: 1-line block ×3, first 2 shown]
	s_waitcnt vmcnt(58) lgkmcnt(0)
	v_mul_f64 v[124:125], v[1:2], v[87:88]
	v_mul_f64 v[87:88], v[3:4], v[87:88]
	s_waitcnt vmcnt(56)
	v_fma_f64 v[83:84], v[75:76], v[89:90], -v[83:84]
	ds_read_b128 v[110:113], v121 offset:672
	v_fma_f64 v[89:90], v[77:78], v[89:90], v[162:163]
	v_add_f64 v[114:115], v[114:115], v[122:123]
	v_add_f64 v[79:80], v[79:80], v[95:96]
	s_clause 0x4
	buffer_load_dword v96, off, s[0:3], 0 offset:364
	buffer_load_dword v122, off, s[0:3], 0 offset:376
	;; [unrolled: 1-line block ×5, first 2 shown]
	ds_read_b128 v[75:78], v121 offset:688
	s_waitcnt vmcnt(57) lgkmcnt(1)
	v_mul_f64 v[163:164], v[110:111], v[91:92]
	v_mul_f64 v[91:92], v[112:113], v[91:92]
	s_waitcnt vmcnt(56)
	v_fma_f64 v[87:88], v[1:2], v[81:82], -v[87:88]
	v_fma_f64 v[81:82], v[3:4], v[81:82], v[124:125]
	v_add_f64 v[83:84], v[114:115], v[83:84]
	v_add_f64 v[79:80], v[79:80], v[89:90]
	s_clause 0x2
	buffer_load_dword v123, off, s[0:3], 0 offset:380
	buffer_load_dword v90, off, s[0:3], 0 offset:356
	;; [unrolled: 1-line block ×3, first 2 shown]
	s_waitcnt vmcnt(58) lgkmcnt(0)
	v_mul_f64 v[114:115], v[75:76], v[97:98]
	v_mul_f64 v[97:98], v[77:78], v[97:98]
	s_waitcnt vmcnt(56)
	v_fma_f64 v[91:92], v[110:111], v[99:100], -v[91:92]
	ds_read_b128 v[1:4], v121 offset:704
	v_add_f64 v[83:84], v[83:84], v[87:88]
	v_fma_f64 v[87:88], v[112:113], v[99:100], v[163:164]
	v_add_f64 v[99:100], v[79:80], v[81:82]
	s_clause 0x4
	buffer_load_dword v111, off, s[0:3], 0 offset:396
	buffer_load_dword v112, off, s[0:3], 0 offset:408
	;; [unrolled: 1-line block ×5, first 2 shown]
	ds_read_b128 v[79:82], v121 offset:720
	s_waitcnt vmcnt(57) lgkmcnt(1)
	v_mul_f64 v[163:164], v[1:2], v[101:102]
	v_mul_f64 v[101:102], v[3:4], v[101:102]
	s_waitcnt vmcnt(56)
	v_fma_f64 v[97:98], v[75:76], v[85:86], -v[97:98]
	v_fma_f64 v[85:86], v[77:78], v[85:86], v[114:115]
	v_add_f64 v[83:84], v[83:84], v[91:92]
	s_clause 0x2
	buffer_load_dword v113, off, s[0:3], 0 offset:412
	buffer_load_dword v92, off, s[0:3], 0 offset:388
	;; [unrolled: 1-line block ×3, first 2 shown]
	v_add_f64 v[87:88], v[99:100], v[87:88]
	s_waitcnt vmcnt(58) lgkmcnt(0)
	v_mul_f64 v[99:100], v[79:80], v[105:106]
	v_mul_f64 v[105:106], v[81:82], v[105:106]
	ds_read_b128 v[75:78], v121 offset:736
	s_waitcnt vmcnt(56)
	v_fma_f64 v[101:102], v[1:2], v[107:108], -v[101:102]
	v_add_f64 v[83:84], v[83:84], v[97:98]
	v_fma_f64 v[97:98], v[3:4], v[107:108], v[163:164]
	v_add_f64 v[85:86], v[87:88], v[85:86]
	s_clause 0x4
	buffer_load_dword v88, off, s[0:3], 0 offset:428
	buffer_load_dword v107, off, s[0:3], 0 offset:440
	;; [unrolled: 1-line block ×5, first 2 shown]
	s_waitcnt vmcnt(57) lgkmcnt(0)
	v_mul_f64 v[163:164], v[75:76], v[118:119]
	v_mul_f64 v[118:119], v[77:78], v[118:119]
	s_waitcnt vmcnt(56)
	v_fma_f64 v[105:106], v[79:80], v[93:94], -v[105:106]
	ds_read_b128 v[1:4], v121 offset:752
	v_fma_f64 v[93:94], v[81:82], v[93:94], v[99:100]
	v_add_f64 v[83:84], v[83:84], v[101:102]
	v_add_f64 v[85:86], v[85:86], v[97:98]
	s_clause 0x2
	buffer_load_dword v108, off, s[0:3], 0 offset:444
	buffer_load_dword v98, off, s[0:3], 0 offset:420
	;; [unrolled: 1-line block ×3, first 2 shown]
	ds_read_b128 v[79:82], v121 offset:768
	s_waitcnt vmcnt(58) lgkmcnt(1)
	v_mul_f64 v[101:102], v[3:4], v[126:127]
	s_waitcnt vmcnt(56)
	v_fma_f64 v[118:119], v[75:76], v[128:129], -v[118:119]
	v_mul_f64 v[99:100], v[1:2], v[126:127]
	v_add_f64 v[83:84], v[83:84], v[105:106]
	v_fma_f64 v[105:106], v[77:78], v[128:129], v[163:164]
	v_add_f64 v[85:86], v[85:86], v[93:94]
	s_clause 0x4
	buffer_load_dword v94, off, s[0:3], 0 offset:460
	buffer_load_dword v126, off, s[0:3], 0 offset:472
	;; [unrolled: 1-line block ×5, first 2 shown]
	s_waitcnt vmcnt(57) lgkmcnt(0)
	v_mul_f64 v[163:164], v[79:80], v[130:131]
	v_mul_f64 v[129:130], v[81:82], v[130:131]
	s_waitcnt vmcnt(56)
	v_fma_f64 v[101:102], v[1:2], v[103:104], -v[101:102]
	ds_read_b128 v[75:78], v121 offset:784
	v_fma_f64 v[99:100], v[3:4], v[103:104], v[99:100]
	s_clause 0x2
	buffer_load_dword v127, off, s[0:3], 0 offset:476
	buffer_load_dword v104, off, s[0:3], 0 offset:452
	;; [unrolled: 1-line block ×3, first 2 shown]
	ds_read_b128 v[1:4], v121 offset:800
	v_add_f64 v[83:84], v[83:84], v[118:119]
	v_add_f64 v[85:86], v[85:86], v[105:106]
	s_waitcnt vmcnt(58) lgkmcnt(1)
	v_mul_f64 v[118:119], v[77:78], v[132:133]
	s_waitcnt vmcnt(56)
	v_fma_f64 v[130:131], v[79:80], v[136:137], -v[129:130]
	v_mul_f64 v[105:106], v[75:76], v[132:133]
	v_add_f64 v[83:84], v[83:84], v[101:102]
	v_fma_f64 v[101:102], v[81:82], v[136:137], v[163:164]
	v_add_f64 v[85:86], v[85:86], v[99:100]
	s_clause 0x4
	buffer_load_dword v100, off, s[0:3], 0 offset:492
	buffer_load_dword v132, off, s[0:3], 0 offset:504
	;; [unrolled: 1-line block ×5, first 2 shown]
	s_waitcnt vmcnt(57) lgkmcnt(0)
	v_mul_f64 v[163:164], v[1:2], v[138:139]
	v_mul_f64 v[137:138], v[3:4], v[138:139]
	s_waitcnt vmcnt(56)
	v_fma_f64 v[118:119], v[75:76], v[134:135], -v[118:119]
	ds_read_b128 v[79:82], v121 offset:816
	v_fma_f64 v[105:106], v[77:78], v[134:135], v[105:106]
	v_add_f64 v[83:84], v[83:84], v[130:131]
	v_add_f64 v[85:86], v[85:86], v[101:102]
	s_clause 0x2
	buffer_load_dword v133, off, s[0:3], 0 offset:508
	buffer_load_dword v102, off, s[0:3], 0 offset:484
	;; [unrolled: 1-line block ×3, first 2 shown]
	ds_read_b128 v[75:78], v121 offset:832
	s_waitcnt vmcnt(58) lgkmcnt(1)
	v_mul_f64 v[134:135], v[81:82], v[140:141]
	s_waitcnt vmcnt(56)
	v_fma_f64 v[138:139], v[1:2], v[144:145], -v[137:138]
	v_mul_f64 v[130:131], v[79:80], v[140:141]
	v_add_f64 v[83:84], v[83:84], v[118:119]
	v_fma_f64 v[118:119], v[3:4], v[144:145], v[163:164]
	v_add_f64 v[85:86], v[85:86], v[105:106]
	s_clause 0x4
	buffer_load_dword v106, off, s[0:3], 0 offset:524
	buffer_load_dword v140, off, s[0:3], 0 offset:536
	;; [unrolled: 1-line block ×5, first 2 shown]
	s_waitcnt vmcnt(57) lgkmcnt(0)
	v_mul_f64 v[163:164], v[75:76], v[148:149]
	v_mul_f64 v[148:149], v[77:78], v[148:149]
	s_waitcnt vmcnt(56)
	v_fma_f64 v[134:135], v[79:80], v[142:143], -v[134:135]
	ds_read_b128 v[1:4], v121 offset:848
	v_fma_f64 v[130:131], v[81:82], v[142:143], v[130:131]
	v_add_f64 v[83:84], v[83:84], v[138:139]
	v_add_f64 v[85:86], v[85:86], v[118:119]
	s_clause 0x2
	buffer_load_dword v141, off, s[0:3], 0 offset:540
	buffer_load_dword v119, off, s[0:3], 0 offset:516
	;; [unrolled: 1-line block ×3, first 2 shown]
	ds_read_b128 v[79:82], v121 offset:864
	s_waitcnt vmcnt(58) lgkmcnt(1)
	v_mul_f64 v[142:143], v[3:4], v[150:151]
	s_waitcnt vmcnt(56)
	v_fma_f64 v[148:149], v[75:76], v[155:156], -v[148:149]
	v_mul_f64 v[138:139], v[1:2], v[150:151]
	v_add_f64 v[83:84], v[83:84], v[134:135]
	v_fma_f64 v[134:135], v[77:78], v[155:156], v[163:164]
	v_add_f64 v[85:86], v[85:86], v[130:131]
	s_clause 0x4
	buffer_load_dword v131, off, s[0:3], 0 offset:556
	buffer_load_dword v150, off, s[0:3], 0 offset:568
	;; [unrolled: 1-line block ×5, first 2 shown]
	ds_read_b128 v[75:78], v121 offset:880
	s_waitcnt vmcnt(57) lgkmcnt(1)
	v_mul_f64 v[155:156], v[79:80], v[146:147]
	v_mul_f64 v[146:147], v[81:82], v[146:147]
	s_waitcnt vmcnt(56)
	v_fma_f64 v[142:143], v[1:2], v[152:153], -v[142:143]
	v_fma_f64 v[138:139], v[3:4], v[152:153], v[138:139]
	v_add_f64 v[83:84], v[83:84], v[148:149]
	v_add_f64 v[85:86], v[85:86], v[134:135]
	s_clause 0x2
	buffer_load_dword v151, off, s[0:3], 0 offset:572
	buffer_load_dword v135, off, s[0:3], 0 offset:548
	;; [unrolled: 1-line block ×3, first 2 shown]
	ds_read_b128 v[1:4], v121 offset:896
	s_waitcnt vmcnt(58) lgkmcnt(1)
	v_mul_f64 v[152:153], v[77:78], v[159:160]
	v_mul_f64 v[148:149], v[75:76], v[159:160]
	s_waitcnt vmcnt(56)
	v_fma_f64 v[146:147], v[79:80], v[116:117], -v[146:147]
	v_fma_f64 v[116:117], v[81:82], v[116:117], v[155:156]
	buffer_load_dword v155, off, s[0:3], 0 offset:564
	ds_read_b128 v[79:82], v121 offset:912
	v_add_f64 v[83:84], v[83:84], v[142:143]
	v_add_f64 v[85:86], v[85:86], v[138:139]
	s_waitcnt vmcnt(53) lgkmcnt(1)
	v_mul_f64 v[138:139], v[1:2], v[95:96]
	v_mul_f64 v[95:96], v[3:4], v[95:96]
	s_waitcnt vmcnt(52)
	v_fma_f64 v[142:143], v[75:76], v[161:162], -v[152:153]
	v_add_f64 v[83:84], v[83:84], v[146:147]
	v_fma_f64 v[146:147], v[77:78], v[161:162], v[148:149]
	v_add_f64 v[85:86], v[85:86], v[116:117]
	ds_read_b128 v[75:78], v121 offset:928
	s_waitcnt vmcnt(51) lgkmcnt(1)
	v_mul_f64 v[116:117], v[79:80], v[122:123]
	v_mul_f64 v[122:123], v[81:82], v[122:123]
	s_waitcnt vmcnt(49)
	v_fma_f64 v[95:96], v[1:2], v[89:90], -v[95:96]
	v_fma_f64 v[89:90], v[3:4], v[89:90], v[138:139]
	v_add_f64 v[83:84], v[83:84], v[142:143]
	s_clause 0x3
	buffer_load_dword v138, off, s[0:3], 0 offset:32
	buffer_load_dword v139, off, s[0:3], 0 offset:36
	;; [unrolled: 1-line block ×4, first 2 shown]
	v_add_f64 v[85:86], v[85:86], v[146:147]
	ds_read_b128 v[1:4], v121 offset:944
	s_waitcnt vmcnt(49) lgkmcnt(1)
	v_mul_f64 v[146:147], v[75:76], v[110:111]
	v_mul_f64 v[110:111], v[77:78], v[110:111]
	s_waitcnt vmcnt(48)
	v_fma_f64 v[122:123], v[79:80], v[157:158], -v[122:123]
	v_add_f64 v[83:84], v[83:84], v[95:96]
	v_fma_f64 v[95:96], v[81:82], v[157:158], v[116:117]
	v_add_f64 v[85:86], v[85:86], v[89:90]
	ds_read_b128 v[79:82], v121 offset:960
	s_waitcnt vmcnt(47) lgkmcnt(1)
	v_mul_f64 v[89:90], v[1:2], v[112:113]
	v_mul_f64 v[112:113], v[3:4], v[112:113]
	s_waitcnt vmcnt(45)
	v_fma_f64 v[110:111], v[75:76], v[91:92], -v[110:111]
	v_fma_f64 v[91:92], v[77:78], v[91:92], v[146:147]
	ds_read_b128 v[75:78], v121 offset:976
	v_add_f64 v[83:84], v[83:84], v[122:123]
	v_add_f64 v[85:86], v[85:86], v[95:96]
	s_waitcnt vmcnt(41) lgkmcnt(1)
	v_mul_f64 v[95:96], v[79:80], v[87:88]
	v_mul_f64 v[87:88], v[81:82], v[87:88]
	s_waitcnt vmcnt(40)
	v_fma_f64 v[112:113], v[1:2], v[124:125], -v[112:113]
	v_fma_f64 v[89:90], v[3:4], v[124:125], v[89:90]
	ds_read_b128 v[1:4], v121 offset:992
	v_add_f64 v[83:84], v[83:84], v[110:111]
	v_add_f64 v[85:86], v[85:86], v[91:92]
	;; [unrolled: 9-line block ×3, first 2 shown]
	s_waitcnt vmcnt(33) lgkmcnt(1)
	v_mul_f64 v[89:90], v[1:2], v[93:94]
	v_mul_f64 v[93:94], v[3:4], v[93:94]
	s_waitcnt vmcnt(32)
	v_fma_f64 v[97:98], v[75:76], v[114:115], -v[107:108]
	v_add_f64 v[83:84], v[83:84], v[87:88]
	v_fma_f64 v[87:88], v[77:78], v[114:115], v[91:92]
	v_add_f64 v[85:86], v[85:86], v[95:96]
	ds_read_b128 v[75:78], v121 offset:1024
	s_waitcnt vmcnt(31) lgkmcnt(1)
	v_mul_f64 v[95:96], v[81:82], v[126:127]
	v_mul_f64 v[91:92], v[79:80], v[126:127]
	s_waitcnt vmcnt(29)
	v_fma_f64 v[89:90], v[3:4], v[103:104], v[89:90]
	v_fma_f64 v[93:94], v[1:2], v[103:104], -v[93:94]
	ds_read_b128 v[1:4], v121 offset:1040
	v_add_f64 v[83:84], v[83:84], v[97:98]
	v_add_f64 v[85:86], v[85:86], v[87:88]
	s_waitcnt vmcnt(25) lgkmcnt(1)
	v_mul_f64 v[97:98], v[77:78], v[99:100]
	s_waitcnt vmcnt(24)
	v_fma_f64 v[95:96], v[79:80], v[128:129], -v[95:96]
	v_mul_f64 v[87:88], v[75:76], v[99:100]
	v_fma_f64 v[91:92], v[81:82], v[128:129], v[91:92]
	ds_read_b128 v[79:82], v121 offset:1056
	v_add_f64 v[83:84], v[83:84], v[93:94]
	v_add_f64 v[85:86], v[85:86], v[89:90]
	s_waitcnt vmcnt(23) lgkmcnt(1)
	v_mul_f64 v[93:94], v[3:4], v[132:133]
	v_mul_f64 v[89:90], v[1:2], v[132:133]
	s_waitcnt vmcnt(21)
	v_fma_f64 v[97:98], v[75:76], v[101:102], -v[97:98]
	v_fma_f64 v[87:88], v[77:78], v[101:102], v[87:88]
	ds_read_b128 v[75:78], v121 offset:1072
	v_add_f64 v[83:84], v[83:84], v[95:96]
	v_add_f64 v[85:86], v[85:86], v[91:92]
	s_waitcnt vmcnt(17) lgkmcnt(1)
	v_mul_f64 v[95:96], v[81:82], v[105:106]
	s_waitcnt vmcnt(16)
	v_fma_f64 v[93:94], v[1:2], v[136:137], -v[93:94]
	v_mul_f64 v[91:92], v[79:80], v[105:106]
	v_fma_f64 v[89:90], v[3:4], v[136:137], v[89:90]
	ds_read_b128 v[1:4], v121 offset:1088
	v_add_f64 v[83:84], v[83:84], v[97:98]
	v_add_f64 v[85:86], v[85:86], v[87:88]
	s_waitcnt vmcnt(15) lgkmcnt(1)
	v_mul_f64 v[97:98], v[77:78], v[140:141]
	v_mul_f64 v[87:88], v[75:76], v[140:141]
	s_waitcnt vmcnt(13)
	v_fma_f64 v[95:96], v[79:80], v[118:119], -v[95:96]
	v_fma_f64 v[91:92], v[81:82], v[118:119], v[91:92]
	ds_read_b128 v[79:82], v121 offset:1104
	v_add_f64 v[83:84], v[83:84], v[93:94]
	v_add_f64 v[85:86], v[85:86], v[89:90]
	s_waitcnt vmcnt(9) lgkmcnt(1)
	v_mul_f64 v[93:94], v[3:4], v[130:131]
	s_waitcnt vmcnt(8)
	v_fma_f64 v[75:76], v[75:76], v[144:145], -v[97:98]
	v_mul_f64 v[89:90], v[1:2], v[130:131]
	v_fma_f64 v[77:78], v[77:78], v[144:145], v[87:88]
	v_add_f64 v[83:84], v[83:84], v[95:96]
	v_add_f64 v[85:86], v[85:86], v[91:92]
	s_waitcnt vmcnt(7) lgkmcnt(0)
	v_mul_f64 v[91:92], v[81:82], v[150:151]
	v_mul_f64 v[87:88], v[79:80], v[150:151]
	s_waitcnt vmcnt(5)
	v_fma_f64 v[1:2], v[1:2], v[134:135], -v[93:94]
	v_fma_f64 v[3:4], v[3:4], v[134:135], v[89:90]
	v_add_f64 v[75:76], v[83:84], v[75:76]
	v_add_f64 v[77:78], v[85:86], v[77:78]
	s_waitcnt vmcnt(4)
	v_fma_f64 v[79:80], v[79:80], v[154:155], -v[91:92]
	v_add_f64 v[1:2], v[75:76], v[1:2]
	v_fma_f64 v[75:76], v[81:82], v[154:155], v[87:88]
	v_add_f64 v[3:4], v[77:78], v[3:4]
	v_add_f64 v[1:2], v[1:2], v[79:80]
	v_add_f64 v[3:4], v[3:4], v[75:76]
	s_waitcnt vmcnt(2)
	v_add_f64 v[1:2], v[138:139], -v[1:2]
	s_waitcnt vmcnt(0)
	v_add_f64 v[3:4], v[142:143], -v[3:4]
	buffer_store_dword v2, off, s[0:3], 0 offset:36
	buffer_store_dword v1, off, s[0:3], 0 offset:32
	;; [unrolled: 1-line block ×4, first 2 shown]
	v_cmpx_ne_u32_e32 0, v0
	s_cbranch_execz .LBB98_223
; %bb.222:
	s_clause 0x3
	buffer_load_dword v0, off, s[0:3], 0 offset:16
	buffer_load_dword v1, off, s[0:3], 0 offset:20
	;; [unrolled: 1-line block ×4, first 2 shown]
	buffer_store_dword v121, off, s[0:3], 0 offset:16
	buffer_store_dword v121, off, s[0:3], 0 offset:20
	;; [unrolled: 1-line block ×4, first 2 shown]
	s_waitcnt vmcnt(0)
	ds_write_b128 v109, v[0:3]
.LBB98_223:
	s_or_b32 exec_lo, exec_lo, s4
	s_waitcnt lgkmcnt(0)
	s_waitcnt_vscnt null, 0x0
	s_barrier
	buffer_gl0_inv
	s_clause 0x37
	buffer_load_dword v79, off, s[0:3], 0 offset:40
	buffer_load_dword v80, off, s[0:3], 0 offset:44
	;; [unrolled: 1-line block ×56, first 2 shown]
	ds_read_b128 v[122:125], v121 offset:576
	s_clause 0x2
	buffer_load_dword v141, off, s[0:3], 0 offset:268
	buffer_load_dword v143, off, s[0:3], 0 offset:244
	;; [unrolled: 1-line block ×3, first 2 shown]
	ds_read_b128 v[126:129], v121 offset:592
	s_clause 0x4
	buffer_load_dword v147, off, s[0:3], 0 offset:284
	buffer_load_dword v148, off, s[0:3], 0 offset:296
	;; [unrolled: 1-line block ×5, first 2 shown]
	ds_read_b128 v[130:133], v121 offset:608
	s_clause 0x2
	buffer_load_dword v149, off, s[0:3], 0 offset:300
	buffer_load_dword v154, off, s[0:3], 0 offset:276
	;; [unrolled: 1-line block ×3, first 2 shown]
	s_and_b32 vcc_lo, exec_lo, s47
	s_waitcnt vmcnt(62) lgkmcnt(2)
	v_mul_f64 v[144:145], v[124:125], v[79:80]
	v_mul_f64 v[79:80], v[122:123], v[79:80]
	s_waitcnt lgkmcnt(1)
	v_mul_f64 v[151:152], v[128:129], v[75:76]
	s_waitcnt vmcnt(59) lgkmcnt(0)
	v_mul_f64 v[155:156], v[132:133], v[2:3]
	v_fma_f64 v[122:123], v[122:123], v[77:78], -v[144:145]
	v_mul_f64 v[144:145], v[126:127], v[75:76]
	v_fma_f64 v[79:80], v[124:125], v[77:78], v[79:80]
	s_waitcnt vmcnt(57)
	v_fma_f64 v[126:127], v[126:127], v[0:1], -v[151:152]
	ds_read_b128 v[75:78], v121 offset:624
	v_mul_f64 v[124:125], v[130:131], v[2:3]
	s_waitcnt vmcnt(51)
	v_fma_f64 v[130:131], v[130:131], v[95:96], -v[155:156]
	v_add_f64 v[122:123], v[122:123], 0
	v_fma_f64 v[128:129], v[128:129], v[0:1], v[144:145]
	v_add_f64 v[79:80], v[79:80], 0
	s_clause 0x4
	buffer_load_dword v145, off, s[0:3], 0 offset:316
	buffer_load_dword v157, off, s[0:3], 0 offset:328
	;; [unrolled: 1-line block ×5, first 2 shown]
	s_waitcnt lgkmcnt(0)
	v_mul_f64 v[160:161], v[75:76], v[83:84]
	v_mul_f64 v[83:84], v[77:78], v[83:84]
	ds_read_b128 v[0:3], v121 offset:640
	v_fma_f64 v[95:96], v[132:133], v[95:96], v[124:125]
	v_add_f64 v[126:127], v[122:123], v[126:127]
	v_add_f64 v[79:80], v[79:80], v[128:129]
	s_clause 0x2
	buffer_load_dword v158, off, s[0:3], 0 offset:332
	buffer_load_dword v129, off, s[0:3], 0 offset:308
	;; [unrolled: 1-line block ×3, first 2 shown]
	s_waitcnt vmcnt(58) lgkmcnt(0)
	v_mul_f64 v[132:133], v[0:1], v[87:88]
	v_mul_f64 v[87:88], v[2:3], v[87:88]
	s_waitcnt vmcnt(56)
	v_fma_f64 v[83:84], v[75:76], v[89:90], -v[83:84]
	ds_read_b128 v[122:125], v121 offset:656
	v_fma_f64 v[89:90], v[77:78], v[89:90], v[160:161]
	v_add_f64 v[126:127], v[126:127], v[130:131]
	v_add_f64 v[79:80], v[79:80], v[95:96]
	s_clause 0x4
	buffer_load_dword v96, off, s[0:3], 0 offset:348
	buffer_load_dword v130, off, s[0:3], 0 offset:360
	;; [unrolled: 1-line block ×5, first 2 shown]
	ds_read_b128 v[75:78], v121 offset:672
	s_waitcnt vmcnt(57) lgkmcnt(1)
	v_mul_f64 v[161:162], v[122:123], v[91:92]
	v_mul_f64 v[91:92], v[124:125], v[91:92]
	s_waitcnt vmcnt(56)
	v_fma_f64 v[87:88], v[0:1], v[81:82], -v[87:88]
	v_fma_f64 v[81:82], v[2:3], v[81:82], v[132:133]
	v_add_f64 v[83:84], v[126:127], v[83:84]
	v_add_f64 v[79:80], v[79:80], v[89:90]
	s_clause 0x2
	buffer_load_dword v131, off, s[0:3], 0 offset:364
	buffer_load_dword v90, off, s[0:3], 0 offset:340
	;; [unrolled: 1-line block ×3, first 2 shown]
	s_waitcnt vmcnt(58) lgkmcnt(0)
	v_mul_f64 v[126:127], v[75:76], v[97:98]
	v_mul_f64 v[97:98], v[77:78], v[97:98]
	s_waitcnt vmcnt(56)
	v_fma_f64 v[91:92], v[122:123], v[99:100], -v[91:92]
	ds_read_b128 v[0:3], v121 offset:688
	v_add_f64 v[83:84], v[83:84], v[87:88]
	v_fma_f64 v[87:88], v[124:125], v[99:100], v[161:162]
	v_add_f64 v[99:100], v[79:80], v[81:82]
	s_clause 0x4
	buffer_load_dword v123, off, s[0:3], 0 offset:380
	buffer_load_dword v124, off, s[0:3], 0 offset:392
	;; [unrolled: 1-line block ×5, first 2 shown]
	ds_read_b128 v[79:82], v121 offset:704
	s_waitcnt vmcnt(57) lgkmcnt(1)
	v_mul_f64 v[161:162], v[0:1], v[101:102]
	v_mul_f64 v[101:102], v[2:3], v[101:102]
	s_waitcnt vmcnt(56)
	v_fma_f64 v[97:98], v[75:76], v[85:86], -v[97:98]
	v_fma_f64 v[85:86], v[77:78], v[85:86], v[126:127]
	v_add_f64 v[83:84], v[83:84], v[91:92]
	s_clause 0x2
	buffer_load_dword v125, off, s[0:3], 0 offset:396
	buffer_load_dword v92, off, s[0:3], 0 offset:372
	;; [unrolled: 1-line block ×3, first 2 shown]
	v_add_f64 v[87:88], v[99:100], v[87:88]
	s_waitcnt vmcnt(58) lgkmcnt(0)
	v_mul_f64 v[99:100], v[79:80], v[105:106]
	v_mul_f64 v[105:106], v[81:82], v[105:106]
	ds_read_b128 v[75:78], v121 offset:720
	s_waitcnt vmcnt(56)
	v_fma_f64 v[101:102], v[0:1], v[107:108], -v[101:102]
	v_add_f64 v[83:84], v[83:84], v[97:98]
	v_fma_f64 v[97:98], v[2:3], v[107:108], v[161:162]
	v_add_f64 v[85:86], v[87:88], v[85:86]
	s_clause 0x4
	buffer_load_dword v88, off, s[0:3], 0 offset:412
	buffer_load_dword v107, off, s[0:3], 0 offset:424
	;; [unrolled: 1-line block ×5, first 2 shown]
	s_waitcnt vmcnt(57) lgkmcnt(0)
	v_mul_f64 v[161:162], v[75:76], v[109:110]
	v_mul_f64 v[109:110], v[77:78], v[109:110]
	s_waitcnt vmcnt(56)
	v_fma_f64 v[105:106], v[79:80], v[93:94], -v[105:106]
	ds_read_b128 v[0:3], v121 offset:736
	v_fma_f64 v[93:94], v[81:82], v[93:94], v[99:100]
	v_add_f64 v[83:84], v[83:84], v[101:102]
	v_add_f64 v[85:86], v[85:86], v[97:98]
	s_clause 0x2
	buffer_load_dword v108, off, s[0:3], 0 offset:428
	buffer_load_dword v98, off, s[0:3], 0 offset:404
	;; [unrolled: 1-line block ×3, first 2 shown]
	ds_read_b128 v[79:82], v121 offset:752
	s_waitcnt vmcnt(58) lgkmcnt(1)
	v_mul_f64 v[101:102], v[2:3], v[113:114]
	s_waitcnt vmcnt(56)
	v_fma_f64 v[109:110], v[75:76], v[115:116], -v[109:110]
	v_mul_f64 v[99:100], v[0:1], v[113:114]
	v_add_f64 v[83:84], v[83:84], v[105:106]
	v_fma_f64 v[105:106], v[77:78], v[115:116], v[161:162]
	v_add_f64 v[85:86], v[85:86], v[93:94]
	s_clause 0x4
	buffer_load_dword v94, off, s[0:3], 0 offset:444
	buffer_load_dword v113, off, s[0:3], 0 offset:456
	buffer_load_dword v115, off, s[0:3], 0 offset:448
	buffer_load_dword v93, off, s[0:3], 0 offset:440
	buffer_load_dword v127, off, s[0:3], 0 offset:420
	s_waitcnt vmcnt(57) lgkmcnt(0)
	v_mul_f64 v[161:162], v[79:80], v[117:118]
	v_mul_f64 v[116:117], v[81:82], v[117:118]
	s_waitcnt vmcnt(56)
	v_fma_f64 v[101:102], v[0:1], v[103:104], -v[101:102]
	ds_read_b128 v[75:78], v121 offset:768
	v_fma_f64 v[99:100], v[2:3], v[103:104], v[99:100]
	s_clause 0x2
	buffer_load_dword v114, off, s[0:3], 0 offset:460
	buffer_load_dword v104, off, s[0:3], 0 offset:436
	;; [unrolled: 1-line block ×3, first 2 shown]
	ds_read_b128 v[0:3], v121 offset:784
	v_add_f64 v[83:84], v[83:84], v[109:110]
	v_add_f64 v[85:86], v[85:86], v[105:106]
	s_waitcnt vmcnt(58) lgkmcnt(1)
	v_mul_f64 v[109:110], v[77:78], v[134:135]
	s_waitcnt vmcnt(56)
	v_fma_f64 v[117:118], v[79:80], v[136:137], -v[116:117]
	v_mul_f64 v[105:106], v[75:76], v[134:135]
	v_add_f64 v[83:84], v[83:84], v[101:102]
	v_fma_f64 v[101:102], v[81:82], v[136:137], v[161:162]
	v_add_f64 v[85:86], v[85:86], v[99:100]
	s_clause 0x4
	buffer_load_dword v100, off, s[0:3], 0 offset:476
	buffer_load_dword v134, off, s[0:3], 0 offset:488
	;; [unrolled: 1-line block ×5, first 2 shown]
	s_waitcnt vmcnt(57) lgkmcnt(0)
	v_mul_f64 v[161:162], v[0:1], v[138:139]
	v_mul_f64 v[137:138], v[2:3], v[138:139]
	s_waitcnt vmcnt(56)
	v_fma_f64 v[109:110], v[75:76], v[111:112], -v[109:110]
	ds_read_b128 v[79:82], v121 offset:800
	v_fma_f64 v[105:106], v[77:78], v[111:112], v[105:106]
	v_add_f64 v[83:84], v[83:84], v[117:118]
	v_add_f64 v[85:86], v[85:86], v[101:102]
	s_clause 0x2
	buffer_load_dword v135, off, s[0:3], 0 offset:492
	buffer_load_dword v102, off, s[0:3], 0 offset:468
	;; [unrolled: 1-line block ×3, first 2 shown]
	ds_read_b128 v[75:78], v121 offset:816
	s_waitcnt vmcnt(58) lgkmcnt(1)
	v_mul_f64 v[117:118], v[81:82], v[140:141]
	s_waitcnt vmcnt(56)
	v_fma_f64 v[138:139], v[0:1], v[142:143], -v[137:138]
	v_mul_f64 v[111:112], v[79:80], v[140:141]
	v_add_f64 v[83:84], v[83:84], v[109:110]
	v_fma_f64 v[109:110], v[2:3], v[142:143], v[161:162]
	v_add_f64 v[85:86], v[85:86], v[105:106]
	s_clause 0x4
	buffer_load_dword v106, off, s[0:3], 0 offset:508
	buffer_load_dword v140, off, s[0:3], 0 offset:520
	;; [unrolled: 1-line block ×5, first 2 shown]
	s_waitcnt vmcnt(57) lgkmcnt(0)
	v_mul_f64 v[161:162], v[75:76], v[146:147]
	v_mul_f64 v[146:147], v[77:78], v[146:147]
	s_waitcnt vmcnt(56)
	v_fma_f64 v[117:118], v[79:80], v[119:120], -v[117:118]
	ds_read_b128 v[0:3], v121 offset:832
	v_fma_f64 v[111:112], v[81:82], v[119:120], v[111:112]
	v_add_f64 v[83:84], v[83:84], v[138:139]
	v_add_f64 v[85:86], v[85:86], v[109:110]
	s_clause 0x2
	buffer_load_dword v141, off, s[0:3], 0 offset:524
	buffer_load_dword v110, off, s[0:3], 0 offset:500
	;; [unrolled: 1-line block ×3, first 2 shown]
	ds_read_b128 v[79:82], v121 offset:848
	s_waitcnt vmcnt(58) lgkmcnt(1)
	v_mul_f64 v[138:139], v[2:3], v[148:149]
	s_waitcnt vmcnt(56)
	v_fma_f64 v[146:147], v[75:76], v[153:154], -v[146:147]
	v_mul_f64 v[119:120], v[0:1], v[148:149]
	v_add_f64 v[83:84], v[83:84], v[117:118]
	v_fma_f64 v[117:118], v[77:78], v[153:154], v[161:162]
	v_add_f64 v[85:86], v[85:86], v[111:112]
	s_clause 0x4
	buffer_load_dword v112, off, s[0:3], 0 offset:540
	buffer_load_dword v148, off, s[0:3], 0 offset:552
	;; [unrolled: 1-line block ×5, first 2 shown]
	ds_read_b128 v[75:78], v121 offset:864
	s_waitcnt vmcnt(57) lgkmcnt(1)
	v_mul_f64 v[153:154], v[79:80], v[144:145]
	v_mul_f64 v[144:145], v[81:82], v[144:145]
	s_waitcnt vmcnt(56)
	v_fma_f64 v[138:139], v[0:1], v[150:151], -v[138:139]
	v_fma_f64 v[119:120], v[2:3], v[150:151], v[119:120]
	v_add_f64 v[83:84], v[83:84], v[146:147]
	v_add_f64 v[85:86], v[85:86], v[117:118]
	s_clause 0x2
	buffer_load_dword v149, off, s[0:3], 0 offset:556
	buffer_load_dword v118, off, s[0:3], 0 offset:532
	;; [unrolled: 1-line block ×3, first 2 shown]
	ds_read_b128 v[0:3], v121 offset:880
	s_waitcnt vmcnt(58) lgkmcnt(1)
	v_mul_f64 v[150:151], v[77:78], v[157:158]
	v_mul_f64 v[146:147], v[75:76], v[157:158]
	s_waitcnt vmcnt(56)
	v_fma_f64 v[144:145], v[79:80], v[128:129], -v[144:145]
	v_fma_f64 v[128:129], v[81:82], v[128:129], v[153:154]
	v_add_f64 v[83:84], v[83:84], v[138:139]
	v_add_f64 v[85:86], v[85:86], v[119:120]
	s_clause 0x2
	buffer_load_dword v120, off, s[0:3], 0 offset:572
	buffer_load_dword v119, off, s[0:3], 0 offset:568
	;; [unrolled: 1-line block ×3, first 2 shown]
	ds_read_b128 v[79:82], v121 offset:896
	s_waitcnt vmcnt(55) lgkmcnt(1)
	v_mul_f64 v[138:139], v[0:1], v[95:96]
	v_mul_f64 v[95:96], v[2:3], v[95:96]
	s_waitcnt vmcnt(54)
	v_fma_f64 v[150:151], v[75:76], v[159:160], -v[150:151]
	v_add_f64 v[83:84], v[83:84], v[144:145]
	v_fma_f64 v[144:145], v[77:78], v[159:160], v[146:147]
	v_add_f64 v[85:86], v[85:86], v[128:129]
	s_clause 0x1
	buffer_load_dword v129, off, s[0:3], 0 offset:564
	buffer_load_dword v128, off, s[0:3], 0 offset:560
	ds_read_b128 v[75:78], v121 offset:912
	s_waitcnt vmcnt(55) lgkmcnt(1)
	v_mul_f64 v[146:147], v[79:80], v[130:131]
	v_mul_f64 v[130:131], v[81:82], v[130:131]
	s_waitcnt vmcnt(53)
	v_fma_f64 v[95:96], v[0:1], v[89:90], -v[95:96]
	v_fma_f64 v[89:90], v[2:3], v[89:90], v[138:139]
	ds_read_b128 v[0:3], v121 offset:928
	v_add_f64 v[83:84], v[83:84], v[150:151]
	v_add_f64 v[85:86], v[85:86], v[144:145]
	s_waitcnt vmcnt(49) lgkmcnt(1)
	v_mul_f64 v[138:139], v[75:76], v[122:123]
	v_mul_f64 v[122:123], v[77:78], v[122:123]
	s_waitcnt vmcnt(48)
	v_fma_f64 v[130:131], v[79:80], v[155:156], -v[130:131]
	v_add_f64 v[83:84], v[83:84], v[95:96]
	v_fma_f64 v[95:96], v[81:82], v[155:156], v[146:147]
	v_add_f64 v[85:86], v[85:86], v[89:90]
	s_clause 0x3
	buffer_load_dword v89, off, s[0:3], 0 offset:16
	buffer_load_dword v90, off, s[0:3], 0 offset:20
	;; [unrolled: 1-line block ×4, first 2 shown]
	ds_read_b128 v[79:82], v121 offset:944
	s_waitcnt vmcnt(51) lgkmcnt(1)
	v_mul_f64 v[146:147], v[0:1], v[124:125]
	v_mul_f64 v[124:125], v[2:3], v[124:125]
	s_waitcnt vmcnt(49)
	v_fma_f64 v[122:123], v[75:76], v[91:92], -v[122:123]
	v_fma_f64 v[91:92], v[77:78], v[91:92], v[138:139]
	ds_read_b128 v[75:78], v121 offset:960
	v_add_f64 v[83:84], v[83:84], v[130:131]
	v_add_f64 v[85:86], v[85:86], v[95:96]
	s_waitcnt vmcnt(45) lgkmcnt(1)
	v_mul_f64 v[95:96], v[79:80], v[87:88]
	v_mul_f64 v[87:88], v[81:82], v[87:88]
	s_waitcnt vmcnt(44)
	v_fma_f64 v[124:125], v[0:1], v[132:133], -v[124:125]
	v_add_f64 v[83:84], v[83:84], v[122:123]
	v_fma_f64 v[122:123], v[2:3], v[132:133], v[146:147]
	v_add_f64 v[85:86], v[85:86], v[91:92]
	ds_read_b128 v[0:3], v121 offset:976
	s_waitcnt vmcnt(43) lgkmcnt(1)
	v_mul_f64 v[91:92], v[75:76], v[107:108]
	v_mul_f64 v[107:108], v[77:78], v[107:108]
	s_waitcnt vmcnt(41)
	v_fma_f64 v[87:88], v[79:80], v[97:98], -v[87:88]
	v_fma_f64 v[95:96], v[81:82], v[97:98], v[95:96]
	ds_read_b128 v[79:82], v121 offset:992
	v_add_f64 v[83:84], v[83:84], v[124:125]
	v_add_f64 v[85:86], v[85:86], v[122:123]
	s_waitcnt vmcnt(37) lgkmcnt(1)
	v_mul_f64 v[97:98], v[0:1], v[93:94]
	v_mul_f64 v[93:94], v[2:3], v[93:94]
	s_waitcnt vmcnt(36)
	v_fma_f64 v[107:108], v[75:76], v[126:127], -v[107:108]
	v_add_f64 v[83:84], v[83:84], v[87:88]
	v_fma_f64 v[87:88], v[77:78], v[126:127], v[91:92]
	v_add_f64 v[85:86], v[85:86], v[95:96]
	s_waitcnt vmcnt(35) lgkmcnt(0)
	v_mul_f64 v[95:96], v[81:82], v[113:114]
	ds_read_b128 v[75:78], v121 offset:1008
	v_mul_f64 v[91:92], v[79:80], v[113:114]
	s_waitcnt vmcnt(33)
	v_fma_f64 v[97:98], v[2:3], v[103:104], v[97:98]
	v_fma_f64 v[93:94], v[0:1], v[103:104], -v[93:94]
	ds_read_b128 v[0:3], v121 offset:1024
	v_add_f64 v[83:84], v[83:84], v[107:108]
	v_add_f64 v[85:86], v[85:86], v[87:88]
	s_waitcnt vmcnt(29) lgkmcnt(1)
	v_mul_f64 v[87:88], v[75:76], v[99:100]
	v_mul_f64 v[99:100], v[77:78], v[99:100]
	s_waitcnt vmcnt(28)
	v_fma_f64 v[95:96], v[79:80], v[115:116], -v[95:96]
	v_fma_f64 v[91:92], v[81:82], v[115:116], v[91:92]
	ds_read_b128 v[79:82], v121 offset:1040
	v_add_f64 v[83:84], v[83:84], v[93:94]
	v_add_f64 v[85:86], v[85:86], v[97:98]
	s_waitcnt vmcnt(27) lgkmcnt(1)
	v_mul_f64 v[97:98], v[2:3], v[134:135]
	v_mul_f64 v[93:94], v[0:1], v[134:135]
	s_waitcnt vmcnt(25)
	v_fma_f64 v[99:100], v[75:76], v[101:102], -v[99:100]
	v_fma_f64 v[87:88], v[77:78], v[101:102], v[87:88]
	ds_read_b128 v[75:78], v121 offset:1056
	v_add_f64 v[83:84], v[83:84], v[95:96]
	v_add_f64 v[85:86], v[85:86], v[91:92]
	s_waitcnt vmcnt(21) lgkmcnt(1)
	v_mul_f64 v[95:96], v[81:82], v[105:106]
	s_waitcnt vmcnt(20)
	v_fma_f64 v[97:98], v[0:1], v[136:137], -v[97:98]
	v_mul_f64 v[91:92], v[79:80], v[105:106]
	v_fma_f64 v[93:94], v[2:3], v[136:137], v[93:94]
	ds_read_b128 v[0:3], v121 offset:1072
	v_add_f64 v[83:84], v[83:84], v[99:100]
	v_add_f64 v[85:86], v[85:86], v[87:88]
	s_waitcnt vmcnt(19) lgkmcnt(1)
	v_mul_f64 v[99:100], v[77:78], v[140:141]
	v_mul_f64 v[87:88], v[75:76], v[140:141]
	s_waitcnt vmcnt(17)
	v_fma_f64 v[95:96], v[79:80], v[109:110], -v[95:96]
	v_fma_f64 v[91:92], v[81:82], v[109:110], v[91:92]
	ds_read_b128 v[79:82], v121 offset:1088
	v_add_f64 v[83:84], v[83:84], v[97:98]
	v_add_f64 v[85:86], v[85:86], v[93:94]
	s_waitcnt vmcnt(13) lgkmcnt(1)
	v_mul_f64 v[97:98], v[2:3], v[111:112]
	s_waitcnt vmcnt(12)
	v_fma_f64 v[99:100], v[75:76], v[142:143], -v[99:100]
	v_mul_f64 v[93:94], v[0:1], v[111:112]
	v_fma_f64 v[87:88], v[77:78], v[142:143], v[87:88]
	ds_read_b128 v[75:78], v121 offset:1104
	v_add_f64 v[83:84], v[83:84], v[95:96]
	v_add_f64 v[85:86], v[85:86], v[91:92]
	s_waitcnt vmcnt(11) lgkmcnt(1)
	v_mul_f64 v[95:96], v[81:82], v[148:149]
	v_mul_f64 v[91:92], v[79:80], v[148:149]
	s_waitcnt vmcnt(9)
	v_fma_f64 v[0:1], v[0:1], v[117:118], -v[97:98]
	v_fma_f64 v[2:3], v[2:3], v[117:118], v[93:94]
	v_add_f64 v[83:84], v[83:84], v[99:100]
	v_add_f64 v[85:86], v[85:86], v[87:88]
	s_waitcnt vmcnt(7) lgkmcnt(0)
	v_mul_f64 v[93:94], v[77:78], v[119:120]
	s_waitcnt vmcnt(6)
	v_fma_f64 v[79:80], v[79:80], v[152:153], -v[95:96]
	v_mul_f64 v[87:88], v[75:76], v[119:120]
	v_fma_f64 v[81:82], v[81:82], v[152:153], v[91:92]
	v_add_f64 v[0:1], v[83:84], v[0:1]
	v_add_f64 v[2:3], v[85:86], v[2:3]
	s_waitcnt vmcnt(4)
	v_fma_f64 v[75:76], v[75:76], v[128:129], -v[93:94]
	v_fma_f64 v[77:78], v[77:78], v[128:129], v[87:88]
	v_add_f64 v[0:1], v[0:1], v[79:80]
	v_add_f64 v[2:3], v[2:3], v[81:82]
	;; [unrolled: 1-line block ×4, first 2 shown]
	s_waitcnt vmcnt(2)
	v_add_f64 v[0:1], v[89:90], -v[0:1]
	s_waitcnt vmcnt(0)
	v_add_f64 v[2:3], v[144:145], -v[2:3]
	buffer_store_dword v1, off, s[0:3], 0 offset:20
	buffer_store_dword v0, off, s[0:3], 0 offset:16
	;; [unrolled: 1-line block ×4, first 2 shown]
	s_cbranch_vccz .LBB98_292
; %bb.224:
	v_mov_b32_e32 v0, 0
	global_load_dword v1, v0, s[12:13] offset:132
	s_waitcnt vmcnt(0)
	v_add_nc_u32_e32 v1, -1, v1
	v_cmp_ne_u32_e32 vcc_lo, 33, v1
	s_cbranch_vccz .LBB98_226
; %bb.225:
	v_lshlrev_b32_e32 v1, 4, v1
	v_mov_b32_e32 v2, s9
	v_add_nc_u32_e32 v1, 16, v1
	s_clause 0x7
	buffer_load_dword v3, v1, s[0:3], 0 offen
	buffer_load_dword v4, v1, s[0:3], 0 offen offset:4
	buffer_load_dword v75, v1, s[0:3], 0 offen offset:8
	;; [unrolled: 1-line block ×6, first 2 shown]
	buffer_load_dword v80, v2, s[0:3], 0 offen
	s_waitcnt vmcnt(7)
	buffer_store_dword v3, v2, s[0:3], 0 offen
	s_waitcnt vmcnt(6)
	buffer_store_dword v4, v2, s[0:3], 0 offen offset:4
	s_waitcnt vmcnt(5)
	buffer_store_dword v75, v2, s[0:3], 0 offen offset:8
	;; [unrolled: 2-line block ×6, first 2 shown]
	s_waitcnt vmcnt(0)
	buffer_store_dword v80, v1, s[0:3], 0 offen
.LBB98_226:
	global_load_dword v0, v0, s[12:13] offset:128
	s_waitcnt vmcnt(0)
	v_add_nc_u32_e32 v0, -1, v0
	v_cmp_eq_u32_e32 vcc_lo, 32, v0
	s_cbranch_vccnz .LBB98_228
; %bb.227:
	v_lshlrev_b32_e32 v0, 4, v0
	v_mov_b32_e32 v1, s14
	v_add_nc_u32_e32 v0, 16, v0
	s_clause 0x7
	buffer_load_dword v2, v0, s[0:3], 0 offen
	buffer_load_dword v3, v0, s[0:3], 0 offen offset:4
	buffer_load_dword v4, v0, s[0:3], 0 offen offset:8
	;; [unrolled: 1-line block ×6, first 2 shown]
	buffer_load_dword v79, v1, s[0:3], 0 offen
	s_waitcnt vmcnt(7)
	buffer_store_dword v2, v1, s[0:3], 0 offen
	s_waitcnt vmcnt(6)
	buffer_store_dword v3, v1, s[0:3], 0 offen offset:4
	s_waitcnt vmcnt(5)
	buffer_store_dword v4, v1, s[0:3], 0 offen offset:8
	;; [unrolled: 2-line block ×6, first 2 shown]
	s_waitcnt vmcnt(0)
	buffer_store_dword v79, v0, s[0:3], 0 offen
.LBB98_228:
	v_mov_b32_e32 v0, 0
	global_load_dword v1, v0, s[12:13] offset:124
	s_waitcnt vmcnt(0)
	v_add_nc_u32_e32 v1, -1, v1
	v_cmp_eq_u32_e32 vcc_lo, 31, v1
	s_cbranch_vccnz .LBB98_230
; %bb.229:
	v_lshlrev_b32_e32 v1, 4, v1
	v_mov_b32_e32 v2, s15
	v_add_nc_u32_e32 v1, 16, v1
	s_clause 0x7
	buffer_load_dword v3, v1, s[0:3], 0 offen
	buffer_load_dword v4, v1, s[0:3], 0 offen offset:4
	buffer_load_dword v75, v1, s[0:3], 0 offen offset:8
	;; [unrolled: 1-line block ×6, first 2 shown]
	buffer_load_dword v80, v2, s[0:3], 0 offen
	s_waitcnt vmcnt(7)
	buffer_store_dword v3, v2, s[0:3], 0 offen
	s_waitcnt vmcnt(6)
	buffer_store_dword v4, v2, s[0:3], 0 offen offset:4
	s_waitcnt vmcnt(5)
	buffer_store_dword v75, v2, s[0:3], 0 offen offset:8
	;; [unrolled: 2-line block ×6, first 2 shown]
	s_waitcnt vmcnt(0)
	buffer_store_dword v80, v1, s[0:3], 0 offen
.LBB98_230:
	global_load_dword v0, v0, s[12:13] offset:120
	s_waitcnt vmcnt(0)
	v_add_nc_u32_e32 v0, -1, v0
	v_cmp_eq_u32_e32 vcc_lo, 30, v0
	s_cbranch_vccnz .LBB98_232
; %bb.231:
	v_lshlrev_b32_e32 v0, 4, v0
	v_mov_b32_e32 v1, s16
	v_add_nc_u32_e32 v0, 16, v0
	s_clause 0x7
	buffer_load_dword v2, v0, s[0:3], 0 offen
	buffer_load_dword v3, v0, s[0:3], 0 offen offset:4
	buffer_load_dword v4, v0, s[0:3], 0 offen offset:8
	;; [unrolled: 1-line block ×6, first 2 shown]
	buffer_load_dword v79, v1, s[0:3], 0 offen
	s_waitcnt vmcnt(7)
	buffer_store_dword v2, v1, s[0:3], 0 offen
	s_waitcnt vmcnt(6)
	buffer_store_dword v3, v1, s[0:3], 0 offen offset:4
	s_waitcnt vmcnt(5)
	buffer_store_dword v4, v1, s[0:3], 0 offen offset:8
	;; [unrolled: 2-line block ×6, first 2 shown]
	s_waitcnt vmcnt(0)
	buffer_store_dword v79, v0, s[0:3], 0 offen
.LBB98_232:
	v_mov_b32_e32 v0, 0
	global_load_dword v1, v0, s[12:13] offset:116
	s_waitcnt vmcnt(0)
	v_add_nc_u32_e32 v1, -1, v1
	v_cmp_eq_u32_e32 vcc_lo, 29, v1
	s_cbranch_vccnz .LBB98_234
; %bb.233:
	v_lshlrev_b32_e32 v1, 4, v1
	v_mov_b32_e32 v2, s17
	v_add_nc_u32_e32 v1, 16, v1
	s_clause 0x7
	buffer_load_dword v3, v1, s[0:3], 0 offen
	buffer_load_dword v4, v1, s[0:3], 0 offen offset:4
	buffer_load_dword v75, v1, s[0:3], 0 offen offset:8
	;; [unrolled: 1-line block ×6, first 2 shown]
	buffer_load_dword v80, v2, s[0:3], 0 offen
	s_waitcnt vmcnt(7)
	buffer_store_dword v3, v2, s[0:3], 0 offen
	s_waitcnt vmcnt(6)
	buffer_store_dword v4, v2, s[0:3], 0 offen offset:4
	s_waitcnt vmcnt(5)
	buffer_store_dword v75, v2, s[0:3], 0 offen offset:8
	;; [unrolled: 2-line block ×6, first 2 shown]
	s_waitcnt vmcnt(0)
	buffer_store_dword v80, v1, s[0:3], 0 offen
.LBB98_234:
	global_load_dword v0, v0, s[12:13] offset:112
	s_waitcnt vmcnt(0)
	v_add_nc_u32_e32 v0, -1, v0
	v_cmp_eq_u32_e32 vcc_lo, 28, v0
	s_cbranch_vccnz .LBB98_236
; %bb.235:
	v_lshlrev_b32_e32 v0, 4, v0
	v_mov_b32_e32 v1, s18
	v_add_nc_u32_e32 v0, 16, v0
	s_clause 0x7
	buffer_load_dword v2, v0, s[0:3], 0 offen
	buffer_load_dword v3, v0, s[0:3], 0 offen offset:4
	buffer_load_dword v4, v0, s[0:3], 0 offen offset:8
	;; [unrolled: 1-line block ×6, first 2 shown]
	buffer_load_dword v79, v1, s[0:3], 0 offen
	s_waitcnt vmcnt(7)
	buffer_store_dword v2, v1, s[0:3], 0 offen
	s_waitcnt vmcnt(6)
	buffer_store_dword v3, v1, s[0:3], 0 offen offset:4
	s_waitcnt vmcnt(5)
	buffer_store_dword v4, v1, s[0:3], 0 offen offset:8
	;; [unrolled: 2-line block ×6, first 2 shown]
	s_waitcnt vmcnt(0)
	buffer_store_dword v79, v0, s[0:3], 0 offen
.LBB98_236:
	v_mov_b32_e32 v0, 0
	global_load_dword v1, v0, s[12:13] offset:108
	s_waitcnt vmcnt(0)
	v_add_nc_u32_e32 v1, -1, v1
	v_cmp_eq_u32_e32 vcc_lo, 27, v1
	s_cbranch_vccnz .LBB98_238
; %bb.237:
	v_lshlrev_b32_e32 v1, 4, v1
	v_mov_b32_e32 v2, s19
	v_add_nc_u32_e32 v1, 16, v1
	s_clause 0x7
	buffer_load_dword v3, v1, s[0:3], 0 offen
	buffer_load_dword v4, v1, s[0:3], 0 offen offset:4
	buffer_load_dword v75, v1, s[0:3], 0 offen offset:8
	;; [unrolled: 1-line block ×6, first 2 shown]
	buffer_load_dword v80, v2, s[0:3], 0 offen
	s_waitcnt vmcnt(7)
	buffer_store_dword v3, v2, s[0:3], 0 offen
	s_waitcnt vmcnt(6)
	buffer_store_dword v4, v2, s[0:3], 0 offen offset:4
	s_waitcnt vmcnt(5)
	buffer_store_dword v75, v2, s[0:3], 0 offen offset:8
	;; [unrolled: 2-line block ×6, first 2 shown]
	s_waitcnt vmcnt(0)
	buffer_store_dword v80, v1, s[0:3], 0 offen
.LBB98_238:
	global_load_dword v0, v0, s[12:13] offset:104
	s_waitcnt vmcnt(0)
	v_add_nc_u32_e32 v0, -1, v0
	v_cmp_eq_u32_e32 vcc_lo, 26, v0
	s_cbranch_vccnz .LBB98_240
; %bb.239:
	v_lshlrev_b32_e32 v0, 4, v0
	v_mov_b32_e32 v1, s20
	v_add_nc_u32_e32 v0, 16, v0
	s_clause 0x7
	buffer_load_dword v2, v0, s[0:3], 0 offen
	buffer_load_dword v3, v0, s[0:3], 0 offen offset:4
	buffer_load_dword v4, v0, s[0:3], 0 offen offset:8
	;; [unrolled: 1-line block ×6, first 2 shown]
	buffer_load_dword v79, v1, s[0:3], 0 offen
	s_waitcnt vmcnt(7)
	buffer_store_dword v2, v1, s[0:3], 0 offen
	s_waitcnt vmcnt(6)
	buffer_store_dword v3, v1, s[0:3], 0 offen offset:4
	s_waitcnt vmcnt(5)
	buffer_store_dword v4, v1, s[0:3], 0 offen offset:8
	s_waitcnt vmcnt(4)
	buffer_store_dword v75, v1, s[0:3], 0 offen offset:12
	s_waitcnt vmcnt(3)
	buffer_store_dword v76, v0, s[0:3], 0 offen offset:12
	s_waitcnt vmcnt(2)
	buffer_store_dword v77, v0, s[0:3], 0 offen offset:8
	s_waitcnt vmcnt(1)
	buffer_store_dword v78, v0, s[0:3], 0 offen offset:4
	s_waitcnt vmcnt(0)
	buffer_store_dword v79, v0, s[0:3], 0 offen
.LBB98_240:
	v_mov_b32_e32 v0, 0
	global_load_dword v1, v0, s[12:13] offset:100
	s_waitcnt vmcnt(0)
	v_add_nc_u32_e32 v1, -1, v1
	v_cmp_eq_u32_e32 vcc_lo, 25, v1
	s_cbranch_vccnz .LBB98_242
; %bb.241:
	v_lshlrev_b32_e32 v1, 4, v1
	v_mov_b32_e32 v2, s21
	v_add_nc_u32_e32 v1, 16, v1
	s_clause 0x7
	buffer_load_dword v3, v1, s[0:3], 0 offen
	buffer_load_dword v4, v1, s[0:3], 0 offen offset:4
	buffer_load_dword v75, v1, s[0:3], 0 offen offset:8
	buffer_load_dword v76, v1, s[0:3], 0 offen offset:12
	buffer_load_dword v77, v2, s[0:3], 0 offen offset:12
	buffer_load_dword v78, v2, s[0:3], 0 offen offset:8
	buffer_load_dword v79, v2, s[0:3], 0 offen offset:4
	buffer_load_dword v80, v2, s[0:3], 0 offen
	s_waitcnt vmcnt(7)
	buffer_store_dword v3, v2, s[0:3], 0 offen
	s_waitcnt vmcnt(6)
	buffer_store_dword v4, v2, s[0:3], 0 offen offset:4
	s_waitcnt vmcnt(5)
	buffer_store_dword v75, v2, s[0:3], 0 offen offset:8
	;; [unrolled: 2-line block ×6, first 2 shown]
	s_waitcnt vmcnt(0)
	buffer_store_dword v80, v1, s[0:3], 0 offen
.LBB98_242:
	global_load_dword v0, v0, s[12:13] offset:96
	s_waitcnt vmcnt(0)
	v_add_nc_u32_e32 v0, -1, v0
	v_cmp_eq_u32_e32 vcc_lo, 24, v0
	s_cbranch_vccnz .LBB98_244
; %bb.243:
	v_lshlrev_b32_e32 v0, 4, v0
	v_mov_b32_e32 v1, s22
	v_add_nc_u32_e32 v0, 16, v0
	s_clause 0x7
	buffer_load_dword v2, v0, s[0:3], 0 offen
	buffer_load_dword v3, v0, s[0:3], 0 offen offset:4
	buffer_load_dword v4, v0, s[0:3], 0 offen offset:8
	;; [unrolled: 1-line block ×6, first 2 shown]
	buffer_load_dword v79, v1, s[0:3], 0 offen
	s_waitcnt vmcnt(7)
	buffer_store_dword v2, v1, s[0:3], 0 offen
	s_waitcnt vmcnt(6)
	buffer_store_dword v3, v1, s[0:3], 0 offen offset:4
	s_waitcnt vmcnt(5)
	buffer_store_dword v4, v1, s[0:3], 0 offen offset:8
	;; [unrolled: 2-line block ×6, first 2 shown]
	s_waitcnt vmcnt(0)
	buffer_store_dword v79, v0, s[0:3], 0 offen
.LBB98_244:
	v_mov_b32_e32 v0, 0
	global_load_dword v1, v0, s[12:13] offset:92
	s_waitcnt vmcnt(0)
	v_add_nc_u32_e32 v1, -1, v1
	v_cmp_eq_u32_e32 vcc_lo, 23, v1
	s_cbranch_vccnz .LBB98_246
; %bb.245:
	v_lshlrev_b32_e32 v1, 4, v1
	v_mov_b32_e32 v2, s23
	v_add_nc_u32_e32 v1, 16, v1
	s_clause 0x7
	buffer_load_dword v3, v1, s[0:3], 0 offen
	buffer_load_dword v4, v1, s[0:3], 0 offen offset:4
	buffer_load_dword v75, v1, s[0:3], 0 offen offset:8
	buffer_load_dword v76, v1, s[0:3], 0 offen offset:12
	buffer_load_dword v77, v2, s[0:3], 0 offen offset:12
	buffer_load_dword v78, v2, s[0:3], 0 offen offset:8
	buffer_load_dword v79, v2, s[0:3], 0 offen offset:4
	buffer_load_dword v80, v2, s[0:3], 0 offen
	s_waitcnt vmcnt(7)
	buffer_store_dword v3, v2, s[0:3], 0 offen
	s_waitcnt vmcnt(6)
	buffer_store_dword v4, v2, s[0:3], 0 offen offset:4
	s_waitcnt vmcnt(5)
	buffer_store_dword v75, v2, s[0:3], 0 offen offset:8
	;; [unrolled: 2-line block ×6, first 2 shown]
	s_waitcnt vmcnt(0)
	buffer_store_dword v80, v1, s[0:3], 0 offen
.LBB98_246:
	global_load_dword v0, v0, s[12:13] offset:88
	s_waitcnt vmcnt(0)
	v_add_nc_u32_e32 v0, -1, v0
	v_cmp_eq_u32_e32 vcc_lo, 22, v0
	s_cbranch_vccnz .LBB98_248
; %bb.247:
	v_lshlrev_b32_e32 v0, 4, v0
	v_mov_b32_e32 v1, s24
	v_add_nc_u32_e32 v0, 16, v0
	s_clause 0x7
	buffer_load_dword v2, v0, s[0:3], 0 offen
	buffer_load_dword v3, v0, s[0:3], 0 offen offset:4
	buffer_load_dword v4, v0, s[0:3], 0 offen offset:8
	;; [unrolled: 1-line block ×6, first 2 shown]
	buffer_load_dword v79, v1, s[0:3], 0 offen
	s_waitcnt vmcnt(7)
	buffer_store_dword v2, v1, s[0:3], 0 offen
	s_waitcnt vmcnt(6)
	buffer_store_dword v3, v1, s[0:3], 0 offen offset:4
	s_waitcnt vmcnt(5)
	buffer_store_dword v4, v1, s[0:3], 0 offen offset:8
	;; [unrolled: 2-line block ×6, first 2 shown]
	s_waitcnt vmcnt(0)
	buffer_store_dword v79, v0, s[0:3], 0 offen
.LBB98_248:
	v_mov_b32_e32 v0, 0
	global_load_dword v1, v0, s[12:13] offset:84
	s_waitcnt vmcnt(0)
	v_add_nc_u32_e32 v1, -1, v1
	v_cmp_eq_u32_e32 vcc_lo, 21, v1
	s_cbranch_vccnz .LBB98_250
; %bb.249:
	v_lshlrev_b32_e32 v1, 4, v1
	v_mov_b32_e32 v2, s25
	v_add_nc_u32_e32 v1, 16, v1
	s_clause 0x7
	buffer_load_dword v3, v1, s[0:3], 0 offen
	buffer_load_dword v4, v1, s[0:3], 0 offen offset:4
	buffer_load_dword v75, v1, s[0:3], 0 offen offset:8
	;; [unrolled: 1-line block ×6, first 2 shown]
	buffer_load_dword v80, v2, s[0:3], 0 offen
	s_waitcnt vmcnt(7)
	buffer_store_dword v3, v2, s[0:3], 0 offen
	s_waitcnt vmcnt(6)
	buffer_store_dword v4, v2, s[0:3], 0 offen offset:4
	s_waitcnt vmcnt(5)
	buffer_store_dword v75, v2, s[0:3], 0 offen offset:8
	;; [unrolled: 2-line block ×6, first 2 shown]
	s_waitcnt vmcnt(0)
	buffer_store_dword v80, v1, s[0:3], 0 offen
.LBB98_250:
	global_load_dword v0, v0, s[12:13] offset:80
	s_waitcnt vmcnt(0)
	v_add_nc_u32_e32 v0, -1, v0
	v_cmp_eq_u32_e32 vcc_lo, 20, v0
	s_cbranch_vccnz .LBB98_252
; %bb.251:
	v_lshlrev_b32_e32 v0, 4, v0
	v_mov_b32_e32 v1, s26
	v_add_nc_u32_e32 v0, 16, v0
	s_clause 0x7
	buffer_load_dword v2, v0, s[0:3], 0 offen
	buffer_load_dword v3, v0, s[0:3], 0 offen offset:4
	buffer_load_dword v4, v0, s[0:3], 0 offen offset:8
	;; [unrolled: 1-line block ×6, first 2 shown]
	buffer_load_dword v79, v1, s[0:3], 0 offen
	s_waitcnt vmcnt(7)
	buffer_store_dword v2, v1, s[0:3], 0 offen
	s_waitcnt vmcnt(6)
	buffer_store_dword v3, v1, s[0:3], 0 offen offset:4
	s_waitcnt vmcnt(5)
	buffer_store_dword v4, v1, s[0:3], 0 offen offset:8
	;; [unrolled: 2-line block ×6, first 2 shown]
	s_waitcnt vmcnt(0)
	buffer_store_dword v79, v0, s[0:3], 0 offen
.LBB98_252:
	v_mov_b32_e32 v0, 0
	global_load_dword v1, v0, s[12:13] offset:76
	s_waitcnt vmcnt(0)
	v_add_nc_u32_e32 v1, -1, v1
	v_cmp_eq_u32_e32 vcc_lo, 19, v1
	s_cbranch_vccnz .LBB98_254
; %bb.253:
	v_lshlrev_b32_e32 v1, 4, v1
	v_mov_b32_e32 v2, s27
	v_add_nc_u32_e32 v1, 16, v1
	s_clause 0x7
	buffer_load_dword v3, v1, s[0:3], 0 offen
	buffer_load_dword v4, v1, s[0:3], 0 offen offset:4
	buffer_load_dword v75, v1, s[0:3], 0 offen offset:8
	;; [unrolled: 1-line block ×6, first 2 shown]
	buffer_load_dword v80, v2, s[0:3], 0 offen
	s_waitcnt vmcnt(7)
	buffer_store_dword v3, v2, s[0:3], 0 offen
	s_waitcnt vmcnt(6)
	buffer_store_dword v4, v2, s[0:3], 0 offen offset:4
	s_waitcnt vmcnt(5)
	buffer_store_dword v75, v2, s[0:3], 0 offen offset:8
	;; [unrolled: 2-line block ×6, first 2 shown]
	s_waitcnt vmcnt(0)
	buffer_store_dword v80, v1, s[0:3], 0 offen
.LBB98_254:
	global_load_dword v0, v0, s[12:13] offset:72
	s_waitcnt vmcnt(0)
	v_add_nc_u32_e32 v0, -1, v0
	v_cmp_eq_u32_e32 vcc_lo, 18, v0
	s_cbranch_vccnz .LBB98_256
; %bb.255:
	v_lshlrev_b32_e32 v0, 4, v0
	v_mov_b32_e32 v1, s28
	v_add_nc_u32_e32 v0, 16, v0
	s_clause 0x7
	buffer_load_dword v2, v0, s[0:3], 0 offen
	buffer_load_dword v3, v0, s[0:3], 0 offen offset:4
	buffer_load_dword v4, v0, s[0:3], 0 offen offset:8
	;; [unrolled: 1-line block ×6, first 2 shown]
	buffer_load_dword v79, v1, s[0:3], 0 offen
	s_waitcnt vmcnt(7)
	buffer_store_dword v2, v1, s[0:3], 0 offen
	s_waitcnt vmcnt(6)
	buffer_store_dword v3, v1, s[0:3], 0 offen offset:4
	s_waitcnt vmcnt(5)
	buffer_store_dword v4, v1, s[0:3], 0 offen offset:8
	;; [unrolled: 2-line block ×6, first 2 shown]
	s_waitcnt vmcnt(0)
	buffer_store_dword v79, v0, s[0:3], 0 offen
.LBB98_256:
	v_mov_b32_e32 v0, 0
	global_load_dword v1, v0, s[12:13] offset:68
	s_waitcnt vmcnt(0)
	v_add_nc_u32_e32 v1, -1, v1
	v_cmp_eq_u32_e32 vcc_lo, 17, v1
	s_cbranch_vccnz .LBB98_258
; %bb.257:
	v_lshlrev_b32_e32 v1, 4, v1
	v_mov_b32_e32 v2, s29
	v_add_nc_u32_e32 v1, 16, v1
	s_clause 0x7
	buffer_load_dword v3, v1, s[0:3], 0 offen
	buffer_load_dword v4, v1, s[0:3], 0 offen offset:4
	buffer_load_dword v75, v1, s[0:3], 0 offen offset:8
	;; [unrolled: 1-line block ×6, first 2 shown]
	buffer_load_dword v80, v2, s[0:3], 0 offen
	s_waitcnt vmcnt(7)
	buffer_store_dword v3, v2, s[0:3], 0 offen
	s_waitcnt vmcnt(6)
	buffer_store_dword v4, v2, s[0:3], 0 offen offset:4
	s_waitcnt vmcnt(5)
	buffer_store_dword v75, v2, s[0:3], 0 offen offset:8
	;; [unrolled: 2-line block ×6, first 2 shown]
	s_waitcnt vmcnt(0)
	buffer_store_dword v80, v1, s[0:3], 0 offen
.LBB98_258:
	global_load_dword v0, v0, s[12:13] offset:64
	s_waitcnt vmcnt(0)
	v_add_nc_u32_e32 v0, -1, v0
	v_cmp_eq_u32_e32 vcc_lo, 16, v0
	s_cbranch_vccnz .LBB98_260
; %bb.259:
	v_lshlrev_b32_e32 v0, 4, v0
	v_mov_b32_e32 v1, s30
	v_add_nc_u32_e32 v0, 16, v0
	s_clause 0x7
	buffer_load_dword v2, v0, s[0:3], 0 offen
	buffer_load_dword v3, v0, s[0:3], 0 offen offset:4
	buffer_load_dword v4, v0, s[0:3], 0 offen offset:8
	;; [unrolled: 1-line block ×6, first 2 shown]
	buffer_load_dword v79, v1, s[0:3], 0 offen
	s_waitcnt vmcnt(7)
	buffer_store_dword v2, v1, s[0:3], 0 offen
	s_waitcnt vmcnt(6)
	buffer_store_dword v3, v1, s[0:3], 0 offen offset:4
	s_waitcnt vmcnt(5)
	buffer_store_dword v4, v1, s[0:3], 0 offen offset:8
	;; [unrolled: 2-line block ×6, first 2 shown]
	s_waitcnt vmcnt(0)
	buffer_store_dword v79, v0, s[0:3], 0 offen
.LBB98_260:
	v_mov_b32_e32 v0, 0
	global_load_dword v1, v0, s[12:13] offset:60
	s_waitcnt vmcnt(0)
	v_add_nc_u32_e32 v1, -1, v1
	v_cmp_eq_u32_e32 vcc_lo, 15, v1
	s_cbranch_vccnz .LBB98_262
; %bb.261:
	v_lshlrev_b32_e32 v1, 4, v1
	v_mov_b32_e32 v2, s31
	v_add_nc_u32_e32 v1, 16, v1
	s_clause 0x7
	buffer_load_dword v3, v1, s[0:3], 0 offen
	buffer_load_dword v4, v1, s[0:3], 0 offen offset:4
	buffer_load_dword v75, v1, s[0:3], 0 offen offset:8
	;; [unrolled: 1-line block ×6, first 2 shown]
	buffer_load_dword v80, v2, s[0:3], 0 offen
	s_waitcnt vmcnt(7)
	buffer_store_dword v3, v2, s[0:3], 0 offen
	s_waitcnt vmcnt(6)
	buffer_store_dword v4, v2, s[0:3], 0 offen offset:4
	s_waitcnt vmcnt(5)
	buffer_store_dword v75, v2, s[0:3], 0 offen offset:8
	;; [unrolled: 2-line block ×6, first 2 shown]
	s_waitcnt vmcnt(0)
	buffer_store_dword v80, v1, s[0:3], 0 offen
.LBB98_262:
	global_load_dword v0, v0, s[12:13] offset:56
	s_waitcnt vmcnt(0)
	v_add_nc_u32_e32 v0, -1, v0
	v_cmp_eq_u32_e32 vcc_lo, 14, v0
	s_cbranch_vccnz .LBB98_264
; %bb.263:
	v_lshlrev_b32_e32 v0, 4, v0
	v_mov_b32_e32 v1, s33
	v_add_nc_u32_e32 v0, 16, v0
	s_clause 0x7
	buffer_load_dword v2, v0, s[0:3], 0 offen
	buffer_load_dword v3, v0, s[0:3], 0 offen offset:4
	buffer_load_dword v4, v0, s[0:3], 0 offen offset:8
	;; [unrolled: 1-line block ×6, first 2 shown]
	buffer_load_dword v79, v1, s[0:3], 0 offen
	s_waitcnt vmcnt(7)
	buffer_store_dword v2, v1, s[0:3], 0 offen
	s_waitcnt vmcnt(6)
	buffer_store_dword v3, v1, s[0:3], 0 offen offset:4
	s_waitcnt vmcnt(5)
	buffer_store_dword v4, v1, s[0:3], 0 offen offset:8
	s_waitcnt vmcnt(4)
	buffer_store_dword v75, v1, s[0:3], 0 offen offset:12
	s_waitcnt vmcnt(3)
	buffer_store_dword v76, v0, s[0:3], 0 offen offset:12
	s_waitcnt vmcnt(2)
	buffer_store_dword v77, v0, s[0:3], 0 offen offset:8
	s_waitcnt vmcnt(1)
	buffer_store_dword v78, v0, s[0:3], 0 offen offset:4
	s_waitcnt vmcnt(0)
	buffer_store_dword v79, v0, s[0:3], 0 offen
.LBB98_264:
	v_mov_b32_e32 v0, 0
	global_load_dword v1, v0, s[12:13] offset:52
	s_waitcnt vmcnt(0)
	v_add_nc_u32_e32 v1, -1, v1
	v_cmp_eq_u32_e32 vcc_lo, 13, v1
	s_cbranch_vccnz .LBB98_266
; %bb.265:
	v_lshlrev_b32_e32 v1, 4, v1
	v_mov_b32_e32 v2, s34
	v_add_nc_u32_e32 v1, 16, v1
	s_clause 0x7
	buffer_load_dword v3, v1, s[0:3], 0 offen
	buffer_load_dword v4, v1, s[0:3], 0 offen offset:4
	buffer_load_dword v75, v1, s[0:3], 0 offen offset:8
	;; [unrolled: 1-line block ×6, first 2 shown]
	buffer_load_dword v80, v2, s[0:3], 0 offen
	s_waitcnt vmcnt(7)
	buffer_store_dword v3, v2, s[0:3], 0 offen
	s_waitcnt vmcnt(6)
	buffer_store_dword v4, v2, s[0:3], 0 offen offset:4
	s_waitcnt vmcnt(5)
	buffer_store_dword v75, v2, s[0:3], 0 offen offset:8
	;; [unrolled: 2-line block ×6, first 2 shown]
	s_waitcnt vmcnt(0)
	buffer_store_dword v80, v1, s[0:3], 0 offen
.LBB98_266:
	global_load_dword v0, v0, s[12:13] offset:48
	s_waitcnt vmcnt(0)
	v_add_nc_u32_e32 v0, -1, v0
	v_cmp_eq_u32_e32 vcc_lo, 12, v0
	s_cbranch_vccnz .LBB98_268
; %bb.267:
	v_lshlrev_b32_e32 v0, 4, v0
	v_mov_b32_e32 v1, s35
	v_add_nc_u32_e32 v0, 16, v0
	s_clause 0x7
	buffer_load_dword v2, v0, s[0:3], 0 offen
	buffer_load_dword v3, v0, s[0:3], 0 offen offset:4
	buffer_load_dword v4, v0, s[0:3], 0 offen offset:8
	;; [unrolled: 1-line block ×6, first 2 shown]
	buffer_load_dword v79, v1, s[0:3], 0 offen
	s_waitcnt vmcnt(7)
	buffer_store_dword v2, v1, s[0:3], 0 offen
	s_waitcnt vmcnt(6)
	buffer_store_dword v3, v1, s[0:3], 0 offen offset:4
	s_waitcnt vmcnt(5)
	buffer_store_dword v4, v1, s[0:3], 0 offen offset:8
	;; [unrolled: 2-line block ×6, first 2 shown]
	s_waitcnt vmcnt(0)
	buffer_store_dword v79, v0, s[0:3], 0 offen
.LBB98_268:
	v_mov_b32_e32 v0, 0
	global_load_dword v1, v0, s[12:13] offset:44
	s_waitcnt vmcnt(0)
	v_add_nc_u32_e32 v1, -1, v1
	v_cmp_eq_u32_e32 vcc_lo, 11, v1
	s_cbranch_vccnz .LBB98_270
; %bb.269:
	v_lshlrev_b32_e32 v1, 4, v1
	v_mov_b32_e32 v2, s36
	v_add_nc_u32_e32 v1, 16, v1
	s_clause 0x7
	buffer_load_dword v3, v1, s[0:3], 0 offen
	buffer_load_dword v4, v1, s[0:3], 0 offen offset:4
	buffer_load_dword v75, v1, s[0:3], 0 offen offset:8
	buffer_load_dword v76, v1, s[0:3], 0 offen offset:12
	buffer_load_dword v77, v2, s[0:3], 0 offen offset:12
	buffer_load_dword v78, v2, s[0:3], 0 offen offset:8
	buffer_load_dword v79, v2, s[0:3], 0 offen offset:4
	buffer_load_dword v80, v2, s[0:3], 0 offen
	s_waitcnt vmcnt(7)
	buffer_store_dword v3, v2, s[0:3], 0 offen
	s_waitcnt vmcnt(6)
	buffer_store_dword v4, v2, s[0:3], 0 offen offset:4
	s_waitcnt vmcnt(5)
	buffer_store_dword v75, v2, s[0:3], 0 offen offset:8
	;; [unrolled: 2-line block ×6, first 2 shown]
	s_waitcnt vmcnt(0)
	buffer_store_dword v80, v1, s[0:3], 0 offen
.LBB98_270:
	global_load_dword v0, v0, s[12:13] offset:40
	s_waitcnt vmcnt(0)
	v_add_nc_u32_e32 v0, -1, v0
	v_cmp_eq_u32_e32 vcc_lo, 10, v0
	s_cbranch_vccnz .LBB98_272
; %bb.271:
	v_lshlrev_b32_e32 v0, 4, v0
	v_mov_b32_e32 v1, s37
	v_add_nc_u32_e32 v0, 16, v0
	s_clause 0x7
	buffer_load_dword v2, v0, s[0:3], 0 offen
	buffer_load_dword v3, v0, s[0:3], 0 offen offset:4
	buffer_load_dword v4, v0, s[0:3], 0 offen offset:8
	;; [unrolled: 1-line block ×6, first 2 shown]
	buffer_load_dword v79, v1, s[0:3], 0 offen
	s_waitcnt vmcnt(7)
	buffer_store_dword v2, v1, s[0:3], 0 offen
	s_waitcnt vmcnt(6)
	buffer_store_dword v3, v1, s[0:3], 0 offen offset:4
	s_waitcnt vmcnt(5)
	buffer_store_dword v4, v1, s[0:3], 0 offen offset:8
	;; [unrolled: 2-line block ×6, first 2 shown]
	s_waitcnt vmcnt(0)
	buffer_store_dword v79, v0, s[0:3], 0 offen
.LBB98_272:
	v_mov_b32_e32 v0, 0
	global_load_dword v1, v0, s[12:13] offset:36
	s_waitcnt vmcnt(0)
	v_add_nc_u32_e32 v1, -1, v1
	v_cmp_eq_u32_e32 vcc_lo, 9, v1
	s_cbranch_vccnz .LBB98_274
; %bb.273:
	v_lshlrev_b32_e32 v1, 4, v1
	v_mov_b32_e32 v2, s38
	v_add_nc_u32_e32 v1, 16, v1
	s_clause 0x7
	buffer_load_dword v3, v1, s[0:3], 0 offen
	buffer_load_dword v4, v1, s[0:3], 0 offen offset:4
	buffer_load_dword v75, v1, s[0:3], 0 offen offset:8
	;; [unrolled: 1-line block ×6, first 2 shown]
	buffer_load_dword v80, v2, s[0:3], 0 offen
	s_waitcnt vmcnt(7)
	buffer_store_dword v3, v2, s[0:3], 0 offen
	s_waitcnt vmcnt(6)
	buffer_store_dword v4, v2, s[0:3], 0 offen offset:4
	s_waitcnt vmcnt(5)
	buffer_store_dword v75, v2, s[0:3], 0 offen offset:8
	;; [unrolled: 2-line block ×6, first 2 shown]
	s_waitcnt vmcnt(0)
	buffer_store_dword v80, v1, s[0:3], 0 offen
.LBB98_274:
	global_load_dword v0, v0, s[12:13] offset:32
	s_waitcnt vmcnt(0)
	v_add_nc_u32_e32 v0, -1, v0
	v_cmp_eq_u32_e32 vcc_lo, 8, v0
	s_cbranch_vccnz .LBB98_276
; %bb.275:
	v_lshlrev_b32_e32 v0, 4, v0
	v_mov_b32_e32 v1, s39
	v_add_nc_u32_e32 v0, 16, v0
	s_clause 0x7
	buffer_load_dword v2, v0, s[0:3], 0 offen
	buffer_load_dword v3, v0, s[0:3], 0 offen offset:4
	buffer_load_dword v4, v0, s[0:3], 0 offen offset:8
	;; [unrolled: 1-line block ×6, first 2 shown]
	buffer_load_dword v79, v1, s[0:3], 0 offen
	s_waitcnt vmcnt(7)
	buffer_store_dword v2, v1, s[0:3], 0 offen
	s_waitcnt vmcnt(6)
	buffer_store_dword v3, v1, s[0:3], 0 offen offset:4
	s_waitcnt vmcnt(5)
	buffer_store_dword v4, v1, s[0:3], 0 offen offset:8
	;; [unrolled: 2-line block ×6, first 2 shown]
	s_waitcnt vmcnt(0)
	buffer_store_dword v79, v0, s[0:3], 0 offen
.LBB98_276:
	v_mov_b32_e32 v0, 0
	global_load_dword v1, v0, s[12:13] offset:28
	s_waitcnt vmcnt(0)
	v_add_nc_u32_e32 v1, -1, v1
	v_cmp_eq_u32_e32 vcc_lo, 7, v1
	s_cbranch_vccnz .LBB98_278
; %bb.277:
	v_lshlrev_b32_e32 v1, 4, v1
	v_mov_b32_e32 v2, s40
	v_add_nc_u32_e32 v1, 16, v1
	s_clause 0x7
	buffer_load_dword v3, v1, s[0:3], 0 offen
	buffer_load_dword v4, v1, s[0:3], 0 offen offset:4
	buffer_load_dword v75, v1, s[0:3], 0 offen offset:8
	;; [unrolled: 1-line block ×6, first 2 shown]
	buffer_load_dword v80, v2, s[0:3], 0 offen
	s_waitcnt vmcnt(7)
	buffer_store_dword v3, v2, s[0:3], 0 offen
	s_waitcnt vmcnt(6)
	buffer_store_dword v4, v2, s[0:3], 0 offen offset:4
	s_waitcnt vmcnt(5)
	buffer_store_dword v75, v2, s[0:3], 0 offen offset:8
	;; [unrolled: 2-line block ×6, first 2 shown]
	s_waitcnt vmcnt(0)
	buffer_store_dword v80, v1, s[0:3], 0 offen
.LBB98_278:
	global_load_dword v0, v0, s[12:13] offset:24
	s_waitcnt vmcnt(0)
	v_add_nc_u32_e32 v0, -1, v0
	v_cmp_eq_u32_e32 vcc_lo, 6, v0
	s_cbranch_vccnz .LBB98_280
; %bb.279:
	v_lshlrev_b32_e32 v0, 4, v0
	v_mov_b32_e32 v1, s41
	v_add_nc_u32_e32 v0, 16, v0
	s_clause 0x7
	buffer_load_dword v2, v0, s[0:3], 0 offen
	buffer_load_dword v3, v0, s[0:3], 0 offen offset:4
	buffer_load_dword v4, v0, s[0:3], 0 offen offset:8
	;; [unrolled: 1-line block ×6, first 2 shown]
	buffer_load_dword v79, v1, s[0:3], 0 offen
	s_waitcnt vmcnt(7)
	buffer_store_dword v2, v1, s[0:3], 0 offen
	s_waitcnt vmcnt(6)
	buffer_store_dword v3, v1, s[0:3], 0 offen offset:4
	s_waitcnt vmcnt(5)
	buffer_store_dword v4, v1, s[0:3], 0 offen offset:8
	;; [unrolled: 2-line block ×6, first 2 shown]
	s_waitcnt vmcnt(0)
	buffer_store_dword v79, v0, s[0:3], 0 offen
.LBB98_280:
	v_mov_b32_e32 v0, 0
	global_load_dword v1, v0, s[12:13] offset:20
	s_waitcnt vmcnt(0)
	v_add_nc_u32_e32 v1, -1, v1
	v_cmp_eq_u32_e32 vcc_lo, 5, v1
	s_cbranch_vccnz .LBB98_282
; %bb.281:
	v_lshlrev_b32_e32 v1, 4, v1
	v_mov_b32_e32 v2, s42
	v_add_nc_u32_e32 v1, 16, v1
	s_clause 0x7
	buffer_load_dword v3, v1, s[0:3], 0 offen
	buffer_load_dword v4, v1, s[0:3], 0 offen offset:4
	buffer_load_dword v75, v1, s[0:3], 0 offen offset:8
	;; [unrolled: 1-line block ×6, first 2 shown]
	buffer_load_dword v80, v2, s[0:3], 0 offen
	s_waitcnt vmcnt(7)
	buffer_store_dword v3, v2, s[0:3], 0 offen
	s_waitcnt vmcnt(6)
	buffer_store_dword v4, v2, s[0:3], 0 offen offset:4
	s_waitcnt vmcnt(5)
	buffer_store_dword v75, v2, s[0:3], 0 offen offset:8
	s_waitcnt vmcnt(4)
	buffer_store_dword v76, v2, s[0:3], 0 offen offset:12
	s_waitcnt vmcnt(3)
	buffer_store_dword v77, v1, s[0:3], 0 offen offset:12
	s_waitcnt vmcnt(2)
	buffer_store_dword v78, v1, s[0:3], 0 offen offset:8
	s_waitcnt vmcnt(1)
	buffer_store_dword v79, v1, s[0:3], 0 offen offset:4
	s_waitcnt vmcnt(0)
	buffer_store_dword v80, v1, s[0:3], 0 offen
.LBB98_282:
	global_load_dword v0, v0, s[12:13] offset:16
	s_waitcnt vmcnt(0)
	v_add_nc_u32_e32 v0, -1, v0
	v_cmp_eq_u32_e32 vcc_lo, 4, v0
	s_cbranch_vccnz .LBB98_284
; %bb.283:
	v_lshlrev_b32_e32 v0, 4, v0
	v_mov_b32_e32 v1, s43
	v_add_nc_u32_e32 v0, 16, v0
	s_clause 0x7
	buffer_load_dword v2, v0, s[0:3], 0 offen
	buffer_load_dword v3, v0, s[0:3], 0 offen offset:4
	buffer_load_dword v4, v0, s[0:3], 0 offen offset:8
	;; [unrolled: 1-line block ×6, first 2 shown]
	buffer_load_dword v79, v1, s[0:3], 0 offen
	s_waitcnt vmcnt(7)
	buffer_store_dword v2, v1, s[0:3], 0 offen
	s_waitcnt vmcnt(6)
	buffer_store_dword v3, v1, s[0:3], 0 offen offset:4
	s_waitcnt vmcnt(5)
	buffer_store_dword v4, v1, s[0:3], 0 offen offset:8
	;; [unrolled: 2-line block ×6, first 2 shown]
	s_waitcnt vmcnt(0)
	buffer_store_dword v79, v0, s[0:3], 0 offen
.LBB98_284:
	v_mov_b32_e32 v0, 0
	global_load_dword v1, v0, s[12:13] offset:12
	s_waitcnt vmcnt(0)
	v_add_nc_u32_e32 v1, -1, v1
	v_cmp_eq_u32_e32 vcc_lo, 3, v1
	s_cbranch_vccnz .LBB98_286
; %bb.285:
	v_lshlrev_b32_e32 v1, 4, v1
	v_mov_b32_e32 v2, s44
	v_add_nc_u32_e32 v1, 16, v1
	s_clause 0x7
	buffer_load_dword v3, v1, s[0:3], 0 offen
	buffer_load_dword v4, v1, s[0:3], 0 offen offset:4
	buffer_load_dword v75, v1, s[0:3], 0 offen offset:8
	;; [unrolled: 1-line block ×6, first 2 shown]
	buffer_load_dword v80, v2, s[0:3], 0 offen
	s_waitcnt vmcnt(7)
	buffer_store_dword v3, v2, s[0:3], 0 offen
	s_waitcnt vmcnt(6)
	buffer_store_dword v4, v2, s[0:3], 0 offen offset:4
	s_waitcnt vmcnt(5)
	buffer_store_dword v75, v2, s[0:3], 0 offen offset:8
	;; [unrolled: 2-line block ×6, first 2 shown]
	s_waitcnt vmcnt(0)
	buffer_store_dword v80, v1, s[0:3], 0 offen
.LBB98_286:
	global_load_dword v0, v0, s[12:13] offset:8
	s_waitcnt vmcnt(0)
	v_add_nc_u32_e32 v0, -1, v0
	v_cmp_eq_u32_e32 vcc_lo, 2, v0
	s_cbranch_vccnz .LBB98_288
; %bb.287:
	v_lshlrev_b32_e32 v0, 4, v0
	v_mov_b32_e32 v1, s45
	v_add_nc_u32_e32 v0, 16, v0
	s_clause 0x7
	buffer_load_dword v2, v0, s[0:3], 0 offen
	buffer_load_dword v3, v0, s[0:3], 0 offen offset:4
	buffer_load_dword v4, v0, s[0:3], 0 offen offset:8
	;; [unrolled: 1-line block ×6, first 2 shown]
	buffer_load_dword v79, v1, s[0:3], 0 offen
	s_waitcnt vmcnt(7)
	buffer_store_dword v2, v1, s[0:3], 0 offen
	s_waitcnt vmcnt(6)
	buffer_store_dword v3, v1, s[0:3], 0 offen offset:4
	s_waitcnt vmcnt(5)
	buffer_store_dword v4, v1, s[0:3], 0 offen offset:8
	s_waitcnt vmcnt(4)
	buffer_store_dword v75, v1, s[0:3], 0 offen offset:12
	s_waitcnt vmcnt(3)
	buffer_store_dword v76, v0, s[0:3], 0 offen offset:12
	s_waitcnt vmcnt(2)
	buffer_store_dword v77, v0, s[0:3], 0 offen offset:8
	s_waitcnt vmcnt(1)
	buffer_store_dword v78, v0, s[0:3], 0 offen offset:4
	s_waitcnt vmcnt(0)
	buffer_store_dword v79, v0, s[0:3], 0 offen
.LBB98_288:
	v_mov_b32_e32 v0, 0
	global_load_dword v1, v0, s[12:13] offset:4
	s_waitcnt vmcnt(0)
	v_add_nc_u32_e32 v1, -1, v1
	v_cmp_eq_u32_e32 vcc_lo, 1, v1
	s_cbranch_vccnz .LBB98_290
; %bb.289:
	v_lshlrev_b32_e32 v1, 4, v1
	v_mov_b32_e32 v2, s46
	v_add_nc_u32_e32 v1, 16, v1
	s_clause 0x7
	buffer_load_dword v3, v1, s[0:3], 0 offen
	buffer_load_dword v4, v1, s[0:3], 0 offen offset:4
	buffer_load_dword v75, v1, s[0:3], 0 offen offset:8
	;; [unrolled: 1-line block ×6, first 2 shown]
	buffer_load_dword v80, v2, s[0:3], 0 offen
	s_waitcnt vmcnt(7)
	buffer_store_dword v3, v2, s[0:3], 0 offen
	s_waitcnt vmcnt(6)
	buffer_store_dword v4, v2, s[0:3], 0 offen offset:4
	s_waitcnt vmcnt(5)
	buffer_store_dword v75, v2, s[0:3], 0 offen offset:8
	;; [unrolled: 2-line block ×6, first 2 shown]
	s_waitcnt vmcnt(0)
	buffer_store_dword v80, v1, s[0:3], 0 offen
.LBB98_290:
	global_load_dword v0, v0, s[12:13]
	s_waitcnt vmcnt(0)
	v_add_nc_u32_e32 v0, -1, v0
	v_cmp_eq_u32_e32 vcc_lo, 0, v0
	s_cbranch_vccnz .LBB98_292
; %bb.291:
	v_lshlrev_b32_e32 v0, 4, v0
	v_add_nc_u32_e32 v0, 16, v0
	s_clause 0x7
	buffer_load_dword v1, v0, s[0:3], 0 offen
	buffer_load_dword v2, v0, s[0:3], 0 offen offset:4
	buffer_load_dword v3, v0, s[0:3], 0 offen offset:8
	;; [unrolled: 1-line block ×3, first 2 shown]
	buffer_load_dword v75, off, s[0:3], 0 offset:28
	buffer_load_dword v76, off, s[0:3], 0 offset:24
	;; [unrolled: 1-line block ×4, first 2 shown]
	s_waitcnt vmcnt(7)
	buffer_store_dword v1, off, s[0:3], 0 offset:16
	s_waitcnt vmcnt(6)
	buffer_store_dword v2, off, s[0:3], 0 offset:20
	;; [unrolled: 2-line block ×4, first 2 shown]
	s_waitcnt vmcnt(3)
	buffer_store_dword v75, v0, s[0:3], 0 offen offset:12
	s_waitcnt vmcnt(2)
	buffer_store_dword v76, v0, s[0:3], 0 offen offset:8
	;; [unrolled: 2-line block ×3, first 2 shown]
	s_waitcnt vmcnt(0)
	buffer_store_dword v78, v0, s[0:3], 0 offen
.LBB98_292:
	s_clause 0x3
	buffer_load_dword v0, off, s[0:3], 0 offset:16
	buffer_load_dword v1, off, s[0:3], 0 offset:20
	;; [unrolled: 1-line block ×4, first 2 shown]
	v_mov_b32_e32 v4, s46
	s_waitcnt vmcnt(0)
	flat_store_dwordx4 v[5:6], v[0:3]
	s_clause 0x3
	buffer_load_dword v0, v4, s[0:3], 0 offen
	buffer_load_dword v1, v4, s[0:3], 0 offen offset:4
	buffer_load_dword v2, v4, s[0:3], 0 offen offset:8
	buffer_load_dword v3, v4, s[0:3], 0 offen offset:12
	v_mov_b32_e32 v4, s45
	s_waitcnt vmcnt(0)
	flat_store_dwordx4 v[59:60], v[0:3]
	s_clause 0x3
	buffer_load_dword v0, v4, s[0:3], 0 offen
	buffer_load_dword v1, v4, s[0:3], 0 offen offset:4
	buffer_load_dword v2, v4, s[0:3], 0 offen offset:8
	buffer_load_dword v3, v4, s[0:3], 0 offen offset:12
	v_mov_b32_e32 v4, s44
	s_waitcnt vmcnt(0)
	flat_store_dwordx4 v[57:58], v[0:3]
	s_clause 0x3
	buffer_load_dword v0, v4, s[0:3], 0 offen
	buffer_load_dword v1, v4, s[0:3], 0 offen offset:4
	buffer_load_dword v2, v4, s[0:3], 0 offen offset:8
	buffer_load_dword v3, v4, s[0:3], 0 offen offset:12
	v_mov_b32_e32 v4, s43
	s_waitcnt vmcnt(0)
	flat_store_dwordx4 v[53:54], v[0:3]
	s_clause 0x3
	buffer_load_dword v0, v4, s[0:3], 0 offen
	buffer_load_dword v1, v4, s[0:3], 0 offen offset:4
	buffer_load_dword v2, v4, s[0:3], 0 offen offset:8
	buffer_load_dword v3, v4, s[0:3], 0 offen offset:12
	v_mov_b32_e32 v4, s42
	s_waitcnt vmcnt(0)
	flat_store_dwordx4 v[51:52], v[0:3]
	s_clause 0x3
	buffer_load_dword v0, v4, s[0:3], 0 offen
	buffer_load_dword v1, v4, s[0:3], 0 offen offset:4
	buffer_load_dword v2, v4, s[0:3], 0 offen offset:8
	buffer_load_dword v3, v4, s[0:3], 0 offen offset:12
	v_mov_b32_e32 v4, s41
	s_waitcnt vmcnt(0)
	flat_store_dwordx4 v[49:50], v[0:3]
	s_clause 0x3
	buffer_load_dword v0, v4, s[0:3], 0 offen
	buffer_load_dword v1, v4, s[0:3], 0 offen offset:4
	buffer_load_dword v2, v4, s[0:3], 0 offen offset:8
	buffer_load_dword v3, v4, s[0:3], 0 offen offset:12
	v_mov_b32_e32 v4, s40
	s_waitcnt vmcnt(0)
	flat_store_dwordx4 v[47:48], v[0:3]
	s_clause 0x3
	buffer_load_dword v0, v4, s[0:3], 0 offen
	buffer_load_dword v1, v4, s[0:3], 0 offen offset:4
	buffer_load_dword v2, v4, s[0:3], 0 offen offset:8
	buffer_load_dword v3, v4, s[0:3], 0 offen offset:12
	v_mov_b32_e32 v4, s39
	s_waitcnt vmcnt(0)
	flat_store_dwordx4 v[45:46], v[0:3]
	s_clause 0x3
	buffer_load_dword v0, v4, s[0:3], 0 offen
	buffer_load_dword v1, v4, s[0:3], 0 offen offset:4
	buffer_load_dword v2, v4, s[0:3], 0 offen offset:8
	buffer_load_dword v3, v4, s[0:3], 0 offen offset:12
	v_mov_b32_e32 v4, s38
	s_waitcnt vmcnt(0)
	flat_store_dwordx4 v[43:44], v[0:3]
	s_clause 0x3
	buffer_load_dword v0, v4, s[0:3], 0 offen
	buffer_load_dword v1, v4, s[0:3], 0 offen offset:4
	buffer_load_dword v2, v4, s[0:3], 0 offen offset:8
	buffer_load_dword v3, v4, s[0:3], 0 offen offset:12
	v_mov_b32_e32 v4, s37
	s_waitcnt vmcnt(0)
	flat_store_dwordx4 v[41:42], v[0:3]
	s_clause 0x3
	buffer_load_dword v0, v4, s[0:3], 0 offen
	buffer_load_dword v1, v4, s[0:3], 0 offen offset:4
	buffer_load_dword v2, v4, s[0:3], 0 offen offset:8
	buffer_load_dword v3, v4, s[0:3], 0 offen offset:12
	v_mov_b32_e32 v4, s36
	s_waitcnt vmcnt(0)
	flat_store_dwordx4 v[39:40], v[0:3]
	s_clause 0x3
	buffer_load_dword v0, v4, s[0:3], 0 offen
	buffer_load_dword v1, v4, s[0:3], 0 offen offset:4
	buffer_load_dword v2, v4, s[0:3], 0 offen offset:8
	buffer_load_dword v3, v4, s[0:3], 0 offen offset:12
	v_mov_b32_e32 v4, s35
	s_waitcnt vmcnt(0)
	flat_store_dwordx4 v[37:38], v[0:3]
	s_clause 0x3
	buffer_load_dword v0, v4, s[0:3], 0 offen
	buffer_load_dword v1, v4, s[0:3], 0 offen offset:4
	buffer_load_dword v2, v4, s[0:3], 0 offen offset:8
	buffer_load_dword v3, v4, s[0:3], 0 offen offset:12
	v_mov_b32_e32 v4, s34
	s_waitcnt vmcnt(0)
	flat_store_dwordx4 v[33:34], v[0:3]
	s_clause 0x3
	buffer_load_dword v0, v4, s[0:3], 0 offen
	buffer_load_dword v1, v4, s[0:3], 0 offen offset:4
	buffer_load_dword v2, v4, s[0:3], 0 offen offset:8
	buffer_load_dword v3, v4, s[0:3], 0 offen offset:12
	v_mov_b32_e32 v4, s33
	s_waitcnt vmcnt(0)
	flat_store_dwordx4 v[31:32], v[0:3]
	s_clause 0x3
	buffer_load_dword v0, v4, s[0:3], 0 offen
	buffer_load_dword v1, v4, s[0:3], 0 offen offset:4
	buffer_load_dword v2, v4, s[0:3], 0 offen offset:8
	buffer_load_dword v3, v4, s[0:3], 0 offen offset:12
	v_mov_b32_e32 v4, s31
	s_waitcnt vmcnt(0)
	flat_store_dwordx4 v[29:30], v[0:3]
	s_clause 0x3
	buffer_load_dword v0, v4, s[0:3], 0 offen
	buffer_load_dword v1, v4, s[0:3], 0 offen offset:4
	buffer_load_dword v2, v4, s[0:3], 0 offen offset:8
	buffer_load_dword v3, v4, s[0:3], 0 offen offset:12
	v_mov_b32_e32 v4, s30
	s_waitcnt vmcnt(0)
	flat_store_dwordx4 v[27:28], v[0:3]
	s_clause 0x3
	buffer_load_dword v0, v4, s[0:3], 0 offen
	buffer_load_dword v1, v4, s[0:3], 0 offen offset:4
	buffer_load_dword v2, v4, s[0:3], 0 offen offset:8
	buffer_load_dword v3, v4, s[0:3], 0 offen offset:12
	v_mov_b32_e32 v4, s29
	s_waitcnt vmcnt(0)
	flat_store_dwordx4 v[25:26], v[0:3]
	s_clause 0x3
	buffer_load_dword v0, v4, s[0:3], 0 offen
	buffer_load_dword v1, v4, s[0:3], 0 offen offset:4
	buffer_load_dword v2, v4, s[0:3], 0 offen offset:8
	buffer_load_dword v3, v4, s[0:3], 0 offen offset:12
	v_mov_b32_e32 v4, s28
	s_waitcnt vmcnt(0)
	flat_store_dwordx4 v[23:24], v[0:3]
	s_clause 0x3
	buffer_load_dword v0, v4, s[0:3], 0 offen
	buffer_load_dword v1, v4, s[0:3], 0 offen offset:4
	buffer_load_dword v2, v4, s[0:3], 0 offen offset:8
	buffer_load_dword v3, v4, s[0:3], 0 offen offset:12
	v_mov_b32_e32 v4, s27
	s_waitcnt vmcnt(0)
	flat_store_dwordx4 v[21:22], v[0:3]
	s_clause 0x3
	buffer_load_dword v0, v4, s[0:3], 0 offen
	buffer_load_dword v1, v4, s[0:3], 0 offen offset:4
	buffer_load_dword v2, v4, s[0:3], 0 offen offset:8
	buffer_load_dword v3, v4, s[0:3], 0 offen offset:12
	v_mov_b32_e32 v4, s26
	s_waitcnt vmcnt(0)
	flat_store_dwordx4 v[19:20], v[0:3]
	s_clause 0x3
	buffer_load_dword v0, v4, s[0:3], 0 offen
	buffer_load_dword v1, v4, s[0:3], 0 offen offset:4
	buffer_load_dword v2, v4, s[0:3], 0 offen offset:8
	buffer_load_dword v3, v4, s[0:3], 0 offen offset:12
	v_mov_b32_e32 v4, s25
	s_waitcnt vmcnt(0)
	flat_store_dwordx4 v[17:18], v[0:3]
	s_clause 0x3
	buffer_load_dword v0, v4, s[0:3], 0 offen
	buffer_load_dword v1, v4, s[0:3], 0 offen offset:4
	buffer_load_dword v2, v4, s[0:3], 0 offen offset:8
	buffer_load_dword v3, v4, s[0:3], 0 offen offset:12
	v_mov_b32_e32 v4, s24
	s_waitcnt vmcnt(0)
	flat_store_dwordx4 v[15:16], v[0:3]
	s_clause 0x3
	buffer_load_dword v0, v4, s[0:3], 0 offen
	buffer_load_dword v1, v4, s[0:3], 0 offen offset:4
	buffer_load_dword v2, v4, s[0:3], 0 offen offset:8
	buffer_load_dword v3, v4, s[0:3], 0 offen offset:12
	v_mov_b32_e32 v4, s23
	s_waitcnt vmcnt(0)
	flat_store_dwordx4 v[13:14], v[0:3]
	s_clause 0x3
	buffer_load_dword v0, v4, s[0:3], 0 offen
	buffer_load_dword v1, v4, s[0:3], 0 offen offset:4
	buffer_load_dword v2, v4, s[0:3], 0 offen offset:8
	buffer_load_dword v3, v4, s[0:3], 0 offen offset:12
	v_mov_b32_e32 v4, s22
	s_waitcnt vmcnt(0)
	flat_store_dwordx4 v[11:12], v[0:3]
	s_clause 0x3
	buffer_load_dword v0, v4, s[0:3], 0 offen
	buffer_load_dword v1, v4, s[0:3], 0 offen offset:4
	buffer_load_dword v2, v4, s[0:3], 0 offen offset:8
	buffer_load_dword v3, v4, s[0:3], 0 offen offset:12
	v_mov_b32_e32 v4, s21
	s_waitcnt vmcnt(0)
	flat_store_dwordx4 v[9:10], v[0:3]
	s_clause 0x3
	buffer_load_dword v0, v4, s[0:3], 0 offen
	buffer_load_dword v1, v4, s[0:3], 0 offen offset:4
	buffer_load_dword v2, v4, s[0:3], 0 offen offset:8
	buffer_load_dword v3, v4, s[0:3], 0 offen offset:12
	v_mov_b32_e32 v4, s20
	s_waitcnt vmcnt(0)
	flat_store_dwordx4 v[7:8], v[0:3]
	s_clause 0x3
	buffer_load_dword v0, v4, s[0:3], 0 offen
	buffer_load_dword v1, v4, s[0:3], 0 offen offset:4
	buffer_load_dword v2, v4, s[0:3], 0 offen offset:8
	buffer_load_dword v3, v4, s[0:3], 0 offen offset:12
	v_mov_b32_e32 v4, s19
	s_waitcnt vmcnt(0)
	flat_store_dwordx4 v[35:36], v[0:3]
	s_clause 0x3
	buffer_load_dword v0, v4, s[0:3], 0 offen
	buffer_load_dword v1, v4, s[0:3], 0 offen offset:4
	buffer_load_dword v2, v4, s[0:3], 0 offen offset:8
	buffer_load_dword v3, v4, s[0:3], 0 offen offset:12
	v_mov_b32_e32 v4, s18
	s_waitcnt vmcnt(0)
	flat_store_dwordx4 v[55:56], v[0:3]
	s_clause 0x3
	buffer_load_dword v0, v4, s[0:3], 0 offen
	buffer_load_dword v1, v4, s[0:3], 0 offen offset:4
	buffer_load_dword v2, v4, s[0:3], 0 offen offset:8
	buffer_load_dword v3, v4, s[0:3], 0 offen offset:12
	v_mov_b32_e32 v4, s17
	s_waitcnt vmcnt(0)
	flat_store_dwordx4 v[61:62], v[0:3]
	s_clause 0x3
	buffer_load_dword v0, v4, s[0:3], 0 offen
	buffer_load_dword v1, v4, s[0:3], 0 offen offset:4
	buffer_load_dword v2, v4, s[0:3], 0 offen offset:8
	buffer_load_dword v3, v4, s[0:3], 0 offen offset:12
	v_mov_b32_e32 v4, s16
	s_waitcnt vmcnt(0)
	flat_store_dwordx4 v[63:64], v[0:3]
	s_clause 0x3
	buffer_load_dword v0, v4, s[0:3], 0 offen
	buffer_load_dword v1, v4, s[0:3], 0 offen offset:4
	buffer_load_dword v2, v4, s[0:3], 0 offen offset:8
	buffer_load_dword v3, v4, s[0:3], 0 offen offset:12
	v_mov_b32_e32 v4, s15
	s_waitcnt vmcnt(0)
	flat_store_dwordx4 v[65:66], v[0:3]
	s_clause 0x3
	buffer_load_dword v0, v4, s[0:3], 0 offen
	buffer_load_dword v1, v4, s[0:3], 0 offen offset:4
	buffer_load_dword v2, v4, s[0:3], 0 offen offset:8
	buffer_load_dword v3, v4, s[0:3], 0 offen offset:12
	v_mov_b32_e32 v4, s14
	s_waitcnt vmcnt(0)
	flat_store_dwordx4 v[67:68], v[0:3]
	s_clause 0x3
	buffer_load_dword v0, v4, s[0:3], 0 offen
	buffer_load_dword v1, v4, s[0:3], 0 offen offset:4
	buffer_load_dword v2, v4, s[0:3], 0 offen offset:8
	buffer_load_dword v3, v4, s[0:3], 0 offen offset:12
	v_mov_b32_e32 v4, s9
	s_waitcnt vmcnt(0)
	flat_store_dwordx4 v[69:70], v[0:3]
	s_clause 0x3
	buffer_load_dword v0, v4, s[0:3], 0 offen
	buffer_load_dword v1, v4, s[0:3], 0 offen offset:4
	buffer_load_dword v2, v4, s[0:3], 0 offen offset:8
	buffer_load_dword v3, v4, s[0:3], 0 offen offset:12
	v_mov_b32_e32 v4, s8
	s_waitcnt vmcnt(0)
	flat_store_dwordx4 v[71:72], v[0:3]
	s_clause 0x3
	buffer_load_dword v0, v4, s[0:3], 0 offen
	buffer_load_dword v1, v4, s[0:3], 0 offen offset:4
	buffer_load_dword v2, v4, s[0:3], 0 offen offset:8
	buffer_load_dword v3, v4, s[0:3], 0 offen offset:12
	s_waitcnt vmcnt(0)
	flat_store_dwordx4 v[73:74], v[0:3]
	s_endpgm
	.section	.rodata,"a",@progbits
	.p2align	6, 0x0
	.amdhsa_kernel _ZN9rocsolver6v33100L18getri_kernel_smallILi35E19rocblas_complex_numIdEPKPS3_EEvT1_iilPiilS8_bb
		.amdhsa_group_segment_fixed_size 1128
		.amdhsa_private_segment_fixed_size 592
		.amdhsa_kernarg_size 60
		.amdhsa_user_sgpr_count 6
		.amdhsa_user_sgpr_private_segment_buffer 1
		.amdhsa_user_sgpr_dispatch_ptr 0
		.amdhsa_user_sgpr_queue_ptr 0
		.amdhsa_user_sgpr_kernarg_segment_ptr 1
		.amdhsa_user_sgpr_dispatch_id 0
		.amdhsa_user_sgpr_flat_scratch_init 0
		.amdhsa_user_sgpr_private_segment_size 0
		.amdhsa_wavefront_size32 1
		.amdhsa_uses_dynamic_stack 0
		.amdhsa_system_sgpr_private_segment_wavefront_offset 1
		.amdhsa_system_sgpr_workgroup_id_x 1
		.amdhsa_system_sgpr_workgroup_id_y 0
		.amdhsa_system_sgpr_workgroup_id_z 0
		.amdhsa_system_sgpr_workgroup_info 0
		.amdhsa_system_vgpr_workitem_id 0
		.amdhsa_next_free_vgpr 165
		.amdhsa_next_free_sgpr 63
		.amdhsa_reserve_vcc 1
		.amdhsa_reserve_flat_scratch 0
		.amdhsa_float_round_mode_32 0
		.amdhsa_float_round_mode_16_64 0
		.amdhsa_float_denorm_mode_32 3
		.amdhsa_float_denorm_mode_16_64 3
		.amdhsa_dx10_clamp 1
		.amdhsa_ieee_mode 1
		.amdhsa_fp16_overflow 0
		.amdhsa_workgroup_processor_mode 1
		.amdhsa_memory_ordered 1
		.amdhsa_forward_progress 1
		.amdhsa_shared_vgpr_count 0
		.amdhsa_exception_fp_ieee_invalid_op 0
		.amdhsa_exception_fp_denorm_src 0
		.amdhsa_exception_fp_ieee_div_zero 0
		.amdhsa_exception_fp_ieee_overflow 0
		.amdhsa_exception_fp_ieee_underflow 0
		.amdhsa_exception_fp_ieee_inexact 0
		.amdhsa_exception_int_div_zero 0
	.end_amdhsa_kernel
	.section	.text._ZN9rocsolver6v33100L18getri_kernel_smallILi35E19rocblas_complex_numIdEPKPS3_EEvT1_iilPiilS8_bb,"axG",@progbits,_ZN9rocsolver6v33100L18getri_kernel_smallILi35E19rocblas_complex_numIdEPKPS3_EEvT1_iilPiilS8_bb,comdat
.Lfunc_end98:
	.size	_ZN9rocsolver6v33100L18getri_kernel_smallILi35E19rocblas_complex_numIdEPKPS3_EEvT1_iilPiilS8_bb, .Lfunc_end98-_ZN9rocsolver6v33100L18getri_kernel_smallILi35E19rocblas_complex_numIdEPKPS3_EEvT1_iilPiilS8_bb
                                        ; -- End function
	.set _ZN9rocsolver6v33100L18getri_kernel_smallILi35E19rocblas_complex_numIdEPKPS3_EEvT1_iilPiilS8_bb.num_vgpr, 165
	.set _ZN9rocsolver6v33100L18getri_kernel_smallILi35E19rocblas_complex_numIdEPKPS3_EEvT1_iilPiilS8_bb.num_agpr, 0
	.set _ZN9rocsolver6v33100L18getri_kernel_smallILi35E19rocblas_complex_numIdEPKPS3_EEvT1_iilPiilS8_bb.numbered_sgpr, 63
	.set _ZN9rocsolver6v33100L18getri_kernel_smallILi35E19rocblas_complex_numIdEPKPS3_EEvT1_iilPiilS8_bb.num_named_barrier, 0
	.set _ZN9rocsolver6v33100L18getri_kernel_smallILi35E19rocblas_complex_numIdEPKPS3_EEvT1_iilPiilS8_bb.private_seg_size, 592
	.set _ZN9rocsolver6v33100L18getri_kernel_smallILi35E19rocblas_complex_numIdEPKPS3_EEvT1_iilPiilS8_bb.uses_vcc, 1
	.set _ZN9rocsolver6v33100L18getri_kernel_smallILi35E19rocblas_complex_numIdEPKPS3_EEvT1_iilPiilS8_bb.uses_flat_scratch, 0
	.set _ZN9rocsolver6v33100L18getri_kernel_smallILi35E19rocblas_complex_numIdEPKPS3_EEvT1_iilPiilS8_bb.has_dyn_sized_stack, 0
	.set _ZN9rocsolver6v33100L18getri_kernel_smallILi35E19rocblas_complex_numIdEPKPS3_EEvT1_iilPiilS8_bb.has_recursion, 0
	.set _ZN9rocsolver6v33100L18getri_kernel_smallILi35E19rocblas_complex_numIdEPKPS3_EEvT1_iilPiilS8_bb.has_indirect_call, 0
	.section	.AMDGPU.csdata,"",@progbits
; Kernel info:
; codeLenInByte = 91048
; TotalNumSgprs: 65
; NumVgprs: 165
; ScratchSize: 592
; MemoryBound: 0
; FloatMode: 240
; IeeeMode: 1
; LDSByteSize: 1128 bytes/workgroup (compile time only)
; SGPRBlocks: 0
; VGPRBlocks: 20
; NumSGPRsForWavesPerEU: 65
; NumVGPRsForWavesPerEU: 165
; Occupancy: 5
; WaveLimiterHint : 1
; COMPUTE_PGM_RSRC2:SCRATCH_EN: 1
; COMPUTE_PGM_RSRC2:USER_SGPR: 6
; COMPUTE_PGM_RSRC2:TRAP_HANDLER: 0
; COMPUTE_PGM_RSRC2:TGID_X_EN: 1
; COMPUTE_PGM_RSRC2:TGID_Y_EN: 0
; COMPUTE_PGM_RSRC2:TGID_Z_EN: 0
; COMPUTE_PGM_RSRC2:TIDIG_COMP_CNT: 0
	.section	.text._ZN9rocsolver6v33100L18getri_kernel_smallILi36E19rocblas_complex_numIdEPKPS3_EEvT1_iilPiilS8_bb,"axG",@progbits,_ZN9rocsolver6v33100L18getri_kernel_smallILi36E19rocblas_complex_numIdEPKPS3_EEvT1_iilPiilS8_bb,comdat
	.globl	_ZN9rocsolver6v33100L18getri_kernel_smallILi36E19rocblas_complex_numIdEPKPS3_EEvT1_iilPiilS8_bb ; -- Begin function _ZN9rocsolver6v33100L18getri_kernel_smallILi36E19rocblas_complex_numIdEPKPS3_EEvT1_iilPiilS8_bb
	.p2align	8
	.type	_ZN9rocsolver6v33100L18getri_kernel_smallILi36E19rocblas_complex_numIdEPKPS3_EEvT1_iilPiilS8_bb,@function
_ZN9rocsolver6v33100L18getri_kernel_smallILi36E19rocblas_complex_numIdEPKPS3_EEvT1_iilPiilS8_bb: ; @_ZN9rocsolver6v33100L18getri_kernel_smallILi36E19rocblas_complex_numIdEPKPS3_EEvT1_iilPiilS8_bb
; %bb.0:
	s_add_u32 s0, s0, s7
	s_addc_u32 s1, s1, 0
	s_mov_b32 s7, exec_lo
	v_cmpx_gt_u32_e32 36, v0
	s_cbranch_execz .LBB99_158
; %bb.1:
	s_clause 0x2
	s_load_dword s16, s[4:5], 0x38
	s_load_dwordx2 s[12:13], s[4:5], 0x0
	s_load_dwordx4 s[8:11], s[4:5], 0x28
	s_waitcnt lgkmcnt(0)
	s_bitcmp1_b32 s16, 8
	s_cselect_b32 s48, -1, 0
	s_ashr_i32 s7, s6, 31
	s_lshl_b64 s[14:15], s[6:7], 3
	s_add_u32 s12, s12, s14
	s_addc_u32 s13, s13, s15
	s_load_dwordx2 s[14:15], s[12:13], 0x0
	s_bfe_u32 s12, s16, 0x10008
	s_cmp_eq_u32 s12, 0
                                        ; implicit-def: $sgpr12_sgpr13
	s_cbranch_scc1 .LBB99_3
; %bb.2:
	s_clause 0x1
	s_load_dword s12, s[4:5], 0x20
	s_load_dwordx2 s[16:17], s[4:5], 0x18
	s_mul_i32 s13, s8, s7
	s_mul_hi_u32 s18, s8, s6
	s_mul_i32 s9, s9, s6
	s_add_i32 s13, s18, s13
	s_mul_i32 s8, s8, s6
	s_add_i32 s9, s13, s9
	s_lshl_b64 s[8:9], s[8:9], 2
	s_waitcnt lgkmcnt(0)
	s_ashr_i32 s13, s12, 31
	s_add_u32 s16, s16, s8
	s_addc_u32 s17, s17, s9
	s_lshl_b64 s[8:9], s[12:13], 2
	s_add_u32 s12, s16, s8
	s_addc_u32 s13, s17, s9
.LBB99_3:
	s_clause 0x1
	s_load_dwordx2 s[8:9], s[4:5], 0x8
	s_load_dword s49, s[4:5], 0x38
	v_lshlrev_b32_e32 v83, 4, v0
	s_movk_i32 s16, 0xa0
	s_movk_i32 s17, 0xb0
	;; [unrolled: 1-line block ×17, first 2 shown]
	s_waitcnt lgkmcnt(0)
	s_ashr_i32 s5, s8, 31
	s_mov_b32 s4, s8
	v_add3_u32 v7, s9, s9, v0
	s_lshl_b64 s[4:5], s[4:5], 4
	s_movk_i32 s56, 0x1b0
	s_add_u32 s8, s14, s4
	s_addc_u32 s14, s15, s5
	v_add_co_u32 v5, s4, s8, v83
	v_add_co_ci_u32_e64 v6, null, s14, 0, s4
	s_mov_b32 s4, s9
	s_ashr_i32 s5, s9, 31
	v_ashrrev_i32_e32 v8, 31, v7
	flat_load_dwordx4 v[1:4], v[5:6]
	s_lshl_b64 s[4:5], s[4:5], 4
	s_movk_i32 s15, 0x90
	v_add_co_u32 v59, vcc_lo, v5, s4
	v_add_co_ci_u32_e64 v60, null, s5, v6, vcc_lo
	v_lshlrev_b64 v[8:9], 4, v[7:8]
	v_add_nc_u32_e32 v7, s9, v7
	s_movk_i32 s4, 0x50
	s_movk_i32 s57, 0x1c0
	;; [unrolled: 1-line block ×4, first 2 shown]
	v_add_co_u32 v57, vcc_lo, s8, v8
	v_add_co_ci_u32_e64 v58, null, s14, v9, vcc_lo
	v_ashrrev_i32_e32 v8, 31, v7
	s_movk_i32 s60, 0x1f0
	s_movk_i32 s61, 0x200
	;; [unrolled: 1-line block ×4, first 2 shown]
	v_lshlrev_b64 v[8:9], 4, v[7:8]
	v_add_nc_u32_e32 v7, s9, v7
	s_movk_i32 s64, 0x230
	s_add_i32 s43, s4, 16
	s_add_i32 s39, s15, 16
	s_add_i32 s38, s16, 16
	v_add_co_u32 v53, vcc_lo, s8, v8
	v_add_co_ci_u32_e64 v54, null, s14, v9, vcc_lo
	v_ashrrev_i32_e32 v8, 31, v7
	s_add_i32 s37, s17, 16
	s_add_i32 s36, s18, 16
	s_add_i32 s35, s19, 16
	s_add_i32 s34, s20, 16
	v_lshlrev_b64 v[8:9], 4, v[7:8]
	v_add_nc_u32_e32 v7, s9, v7
	s_add_i32 s33, s21, 16
	s_add_i32 s31, s22, 16
	s_add_i32 s30, s23, 16
	s_add_i32 s29, s24, 16
	v_add_co_u32 v51, vcc_lo, s8, v8
	v_add_co_ci_u32_e64 v52, null, s14, v9, vcc_lo
	v_ashrrev_i32_e32 v8, 31, v7
	s_add_i32 s28, s25, 16
	s_add_i32 s27, s26, 16
	s_add_i32 s26, s50, 16
	s_add_i32 s25, s51, 16
	v_lshlrev_b64 v[8:9], 4, v[7:8]
	v_add_nc_u32_e32 v7, s9, v7
	s_add_i32 s24, s52, 16
	;; [unrolled: 13-line block ×3, first 2 shown]
	s_add_i32 s15, s61, 16
	s_mov_b32 s5, -1
	s_mov_b32 s47, 32
	v_add_co_u32 v47, vcc_lo, s8, v8
	v_add_co_ci_u32_e64 v48, null, s14, v9, vcc_lo
	v_ashrrev_i32_e32 v8, 31, v7
	s_mov_b32 s46, 48
	s_mov_b32 s45, 64
	s_movk_i32 s44, 0x50
	s_waitcnt vmcnt(0) lgkmcnt(0)
	buffer_store_dword v4, off, s[0:3], 0 offset:28
	buffer_store_dword v3, off, s[0:3], 0 offset:24
	buffer_store_dword v2, off, s[0:3], 0 offset:20
	buffer_store_dword v1, off, s[0:3], 0 offset:16
	flat_load_dwordx4 v[1:4], v[59:60]
	v_lshlrev_b64 v[8:9], 4, v[7:8]
	v_add_nc_u32_e32 v7, s9, v7
	s_waitcnt vmcnt(0) lgkmcnt(0)
	buffer_store_dword v4, off, s[0:3], 0 offset:44
	buffer_store_dword v3, off, s[0:3], 0 offset:40
	buffer_store_dword v2, off, s[0:3], 0 offset:36
	buffer_store_dword v1, off, s[0:3], 0 offset:32
	flat_load_dwordx4 v[1:4], v[57:58]
	v_add_co_u32 v45, vcc_lo, s8, v8
	v_add_co_ci_u32_e64 v46, null, s14, v9, vcc_lo
	v_ashrrev_i32_e32 v8, 31, v7
	s_waitcnt vmcnt(0) lgkmcnt(0)
	buffer_store_dword v4, off, s[0:3], 0 offset:60
	buffer_store_dword v3, off, s[0:3], 0 offset:56
	buffer_store_dword v2, off, s[0:3], 0 offset:52
	buffer_store_dword v1, off, s[0:3], 0 offset:48
	flat_load_dwordx4 v[1:4], v[53:54]
	v_lshlrev_b64 v[8:9], 4, v[7:8]
	v_add_nc_u32_e32 v7, s9, v7
	s_waitcnt vmcnt(0) lgkmcnt(0)
	buffer_store_dword v4, off, s[0:3], 0 offset:76
	buffer_store_dword v3, off, s[0:3], 0 offset:72
	buffer_store_dword v2, off, s[0:3], 0 offset:68
	buffer_store_dword v1, off, s[0:3], 0 offset:64
	flat_load_dwordx4 v[1:4], v[51:52]
	v_add_co_u32 v43, vcc_lo, s8, v8
	v_add_co_ci_u32_e64 v44, null, s14, v9, vcc_lo
	v_ashrrev_i32_e32 v8, 31, v7
	;; [unrolled: 17-line block ×5, first 2 shown]
	s_waitcnt vmcnt(0) lgkmcnt(0)
	buffer_store_dword v4, off, s[0:3], 0 offset:188
	buffer_store_dword v3, off, s[0:3], 0 offset:184
	;; [unrolled: 1-line block ×4, first 2 shown]
	flat_load_dwordx4 v[1:4], v[37:38]
	v_lshlrev_b64 v[8:9], 4, v[7:8]
	v_add_nc_u32_e32 v7, s9, v7
	s_waitcnt vmcnt(0) lgkmcnt(0)
	buffer_store_dword v4, off, s[0:3], 0 offset:204
	buffer_store_dword v3, off, s[0:3], 0 offset:200
	buffer_store_dword v2, off, s[0:3], 0 offset:196
	buffer_store_dword v1, off, s[0:3], 0 offset:192
	v_add_co_u32 v33, vcc_lo, s8, v8
	v_add_co_ci_u32_e64 v34, null, s14, v9, vcc_lo
	v_ashrrev_i32_e32 v8, 31, v7
	flat_load_dwordx4 v[1:4], v[33:34]
	s_waitcnt vmcnt(0) lgkmcnt(0)
	buffer_store_dword v4, off, s[0:3], 0 offset:220
	buffer_store_dword v3, off, s[0:3], 0 offset:216
	buffer_store_dword v2, off, s[0:3], 0 offset:212
	buffer_store_dword v1, off, s[0:3], 0 offset:208
	v_lshlrev_b64 v[8:9], 4, v[7:8]
	v_add_nc_u32_e32 v7, s9, v7
	v_add_co_u32 v31, vcc_lo, s8, v8
	v_add_co_ci_u32_e64 v32, null, s14, v9, vcc_lo
	v_ashrrev_i32_e32 v8, 31, v7
	flat_load_dwordx4 v[1:4], v[31:32]
	s_waitcnt vmcnt(0) lgkmcnt(0)
	buffer_store_dword v4, off, s[0:3], 0 offset:236
	buffer_store_dword v3, off, s[0:3], 0 offset:232
	buffer_store_dword v2, off, s[0:3], 0 offset:228
	buffer_store_dword v1, off, s[0:3], 0 offset:224
	v_lshlrev_b64 v[8:9], 4, v[7:8]
	v_add_nc_u32_e32 v7, s9, v7
	;; [unrolled: 11-line block ×11, first 2 shown]
	v_add_co_u32 v11, vcc_lo, s8, v8
	v_add_co_ci_u32_e64 v12, null, s14, v9, vcc_lo
	v_ashrrev_i32_e32 v8, 31, v7
	v_add_nc_u32_e32 v35, s9, v7
	flat_load_dwordx4 v[1:4], v[11:12]
	s_waitcnt vmcnt(0) lgkmcnt(0)
	buffer_store_dword v4, off, s[0:3], 0 offset:396
	buffer_store_dword v3, off, s[0:3], 0 offset:392
	;; [unrolled: 1-line block ×4, first 2 shown]
	v_lshlrev_b64 v[9:10], 4, v[7:8]
	v_ashrrev_i32_e32 v36, 31, v35
	v_add_nc_u32_e32 v55, s9, v35
	v_add_co_u32 v9, vcc_lo, s8, v9
	v_add_co_ci_u32_e64 v10, null, s14, v10, vcc_lo
	v_lshlrev_b64 v[7:8], 4, v[35:36]
	v_ashrrev_i32_e32 v56, 31, v55
	v_add_nc_u32_e32 v61, s9, v55
	flat_load_dwordx4 v[1:4], v[9:10]
	s_waitcnt vmcnt(0) lgkmcnt(0)
	buffer_store_dword v4, off, s[0:3], 0 offset:412
	buffer_store_dword v3, off, s[0:3], 0 offset:408
	buffer_store_dword v2, off, s[0:3], 0 offset:404
	buffer_store_dword v1, off, s[0:3], 0 offset:400
	v_add_co_u32 v7, vcc_lo, s8, v7
	v_add_co_ci_u32_e64 v8, null, s14, v8, vcc_lo
	v_lshlrev_b64 v[35:36], 4, v[55:56]
	v_ashrrev_i32_e32 v62, 31, v61
	v_add_nc_u32_e32 v63, s9, v61
	flat_load_dwordx4 v[1:4], v[7:8]
	s_waitcnt vmcnt(0) lgkmcnt(0)
	buffer_store_dword v4, off, s[0:3], 0 offset:428
	buffer_store_dword v3, off, s[0:3], 0 offset:424
	buffer_store_dword v2, off, s[0:3], 0 offset:420
	buffer_store_dword v1, off, s[0:3], 0 offset:416
	;; [unrolled: 11-line block ×8, first 2 shown]
	v_add_co_u32 v69, vcc_lo, s8, v69
	v_add_co_ci_u32_e64 v70, null, s14, v70, vcc_lo
	v_lshlrev_b64 v[71:72], 4, v[73:74]
	v_ashrrev_i32_e32 v76, 31, v75
	flat_load_dwordx4 v[1:4], v[69:70]
	s_waitcnt vmcnt(0) lgkmcnt(0)
	buffer_store_dword v4, off, s[0:3], 0 offset:540
	buffer_store_dword v3, off, s[0:3], 0 offset:536
	;; [unrolled: 1-line block ×4, first 2 shown]
	v_add_co_u32 v71, vcc_lo, s8, v71
	v_add_co_ci_u32_e64 v72, null, s14, v72, vcc_lo
	v_lshlrev_b64 v[73:74], 4, v[75:76]
	v_add_nc_u32_e32 v75, s9, v75
	s_movk_i32 s9, 0x70
	flat_load_dwordx4 v[1:4], v[71:72]
	s_add_i32 s41, s9, 16
	s_add_i32 s9, s63, 16
	v_add_co_u32 v73, vcc_lo, s8, v73
	v_add_co_ci_u32_e64 v74, null, s14, v74, vcc_lo
	v_ashrrev_i32_e32 v76, 31, v75
	s_waitcnt vmcnt(0) lgkmcnt(0)
	buffer_store_dword v4, off, s[0:3], 0 offset:556
	buffer_store_dword v3, off, s[0:3], 0 offset:552
	;; [unrolled: 1-line block ×4, first 2 shown]
	flat_load_dwordx4 v[1:4], v[73:74]
	v_lshlrev_b64 v[75:76], 4, v[75:76]
	s_waitcnt vmcnt(0) lgkmcnt(0)
	buffer_store_dword v4, off, s[0:3], 0 offset:572
	buffer_store_dword v3, off, s[0:3], 0 offset:568
	;; [unrolled: 1-line block ×4, first 2 shown]
	v_add_co_u32 v75, vcc_lo, s8, v75
	v_add_co_ci_u32_e64 v76, null, s14, v76, vcc_lo
	s_movk_i32 s8, 0x60
	s_movk_i32 s14, 0x80
	s_add_i32 s42, s8, 16
	flat_load_dwordx4 v[1:4], v[75:76]
	s_add_i32 s40, s14, 16
	s_add_i32 s14, s62, 16
	;; [unrolled: 1-line block ×3, first 2 shown]
	s_bitcmp0_b32 s49, 0
	s_waitcnt vmcnt(0) lgkmcnt(0)
	buffer_store_dword v4, off, s[0:3], 0 offset:588
	buffer_store_dword v3, off, s[0:3], 0 offset:584
	;; [unrolled: 1-line block ×4, first 2 shown]
	s_cbranch_scc1 .LBB99_156
; %bb.4:
	v_cmp_eq_u32_e64 s4, 0, v0
	s_and_saveexec_b32 s5, s4
; %bb.5:
	v_mov_b32_e32 v1, 0
	ds_write_b32 v1, v1 offset:1152
; %bb.6:
	s_or_b32 exec_lo, exec_lo, s5
	v_lshl_add_u32 v84, v0, 4, 16
	s_waitcnt lgkmcnt(0)
	s_waitcnt_vscnt null, 0x0
	s_barrier
	buffer_gl0_inv
	s_clause 0x3
	buffer_load_dword v1, v84, s[0:3], 0 offen
	buffer_load_dword v2, v84, s[0:3], 0 offen offset:4
	buffer_load_dword v3, v84, s[0:3], 0 offen offset:8
	;; [unrolled: 1-line block ×3, first 2 shown]
	s_waitcnt vmcnt(2)
	v_cmp_eq_f64_e32 vcc_lo, 0, v[1:2]
	s_waitcnt vmcnt(0)
	v_cmp_eq_f64_e64 s5, 0, v[3:4]
	s_and_b32 s5, vcc_lo, s5
	s_and_saveexec_b32 s49, s5
	s_cbranch_execz .LBB99_10
; %bb.7:
	v_mov_b32_e32 v1, 0
	s_mov_b32 s50, 0
	ds_read_b32 v2, v1 offset:1152
	s_waitcnt lgkmcnt(0)
	v_readfirstlane_b32 s5, v2
	v_add_nc_u32_e32 v2, 1, v0
	s_cmp_eq_u32 s5, 0
	v_cmp_gt_i32_e32 vcc_lo, s5, v2
	s_cselect_b32 s51, -1, 0
	s_or_b32 s51, s51, vcc_lo
	s_and_b32 exec_lo, exec_lo, s51
	s_cbranch_execz .LBB99_10
; %bb.8:
	v_mov_b32_e32 v3, s5
.LBB99_9:                               ; =>This Inner Loop Header: Depth=1
	ds_cmpst_rtn_b32 v3, v1, v3, v2 offset:1152
	s_waitcnt lgkmcnt(0)
	v_cmp_ne_u32_e32 vcc_lo, 0, v3
	v_cmp_le_i32_e64 s5, v3, v2
	s_and_b32 s5, vcc_lo, s5
	s_and_b32 s5, exec_lo, s5
	s_or_b32 s50, s5, s50
	s_andn2_b32 exec_lo, exec_lo, s50
	s_cbranch_execnz .LBB99_9
.LBB99_10:
	s_or_b32 exec_lo, exec_lo, s49
	v_mov_b32_e32 v1, 0
	s_barrier
	buffer_gl0_inv
	ds_read_b32 v2, v1 offset:1152
	s_and_saveexec_b32 s5, s4
	s_cbranch_execz .LBB99_12
; %bb.11:
	s_lshl_b64 s[50:51], s[6:7], 2
	s_add_u32 s50, s10, s50
	s_addc_u32 s51, s11, s51
	s_waitcnt lgkmcnt(0)
	global_store_dword v1, v2, s[50:51]
.LBB99_12:
	s_or_b32 exec_lo, exec_lo, s5
	s_waitcnt lgkmcnt(0)
	v_cmp_ne_u32_e32 vcc_lo, 0, v2
	s_mov_b32 s5, 0
	s_cbranch_vccnz .LBB99_156
; %bb.13:
	s_clause 0x3
	buffer_load_dword v79, v84, s[0:3], 0 offen
	buffer_load_dword v80, v84, s[0:3], 0 offen offset:4
	buffer_load_dword v81, v84, s[0:3], 0 offen offset:8
	;; [unrolled: 1-line block ×3, first 2 shown]
                                        ; implicit-def: $vgpr77_vgpr78
                                        ; implicit-def: $vgpr3_vgpr4
	s_waitcnt vmcnt(0)
	v_cmp_ngt_f64_e64 s5, |v[79:80]|, |v[81:82]|
	s_and_saveexec_b32 s49, s5
	s_xor_b32 s5, exec_lo, s49
	s_cbranch_execz .LBB99_15
; %bb.14:
	v_div_scale_f64 v[1:2], null, v[81:82], v[81:82], v[79:80]
	v_div_scale_f64 v[85:86], vcc_lo, v[79:80], v[81:82], v[79:80]
	v_rcp_f64_e32 v[3:4], v[1:2]
	v_fma_f64 v[77:78], -v[1:2], v[3:4], 1.0
	v_fma_f64 v[3:4], v[3:4], v[77:78], v[3:4]
	v_fma_f64 v[77:78], -v[1:2], v[3:4], 1.0
	v_fma_f64 v[3:4], v[3:4], v[77:78], v[3:4]
	v_mul_f64 v[77:78], v[85:86], v[3:4]
	v_fma_f64 v[1:2], -v[1:2], v[77:78], v[85:86]
	v_div_fmas_f64 v[1:2], v[1:2], v[3:4], v[77:78]
	v_div_fixup_f64 v[1:2], v[1:2], v[81:82], v[79:80]
	v_fma_f64 v[3:4], v[79:80], v[1:2], v[81:82]
	v_div_scale_f64 v[77:78], null, v[3:4], v[3:4], 1.0
	v_div_scale_f64 v[85:86], vcc_lo, 1.0, v[3:4], 1.0
	v_rcp_f64_e32 v[79:80], v[77:78]
	v_fma_f64 v[81:82], -v[77:78], v[79:80], 1.0
	v_fma_f64 v[79:80], v[79:80], v[81:82], v[79:80]
	v_fma_f64 v[81:82], -v[77:78], v[79:80], 1.0
	v_fma_f64 v[79:80], v[79:80], v[81:82], v[79:80]
	v_mul_f64 v[81:82], v[85:86], v[79:80]
	v_fma_f64 v[77:78], -v[77:78], v[81:82], v[85:86]
	v_div_fmas_f64 v[77:78], v[77:78], v[79:80], v[81:82]
                                        ; implicit-def: $vgpr79_vgpr80
                                        ; implicit-def: $vgpr81_vgpr82
	v_div_fixup_f64 v[3:4], v[77:78], v[3:4], 1.0
	v_mul_f64 v[77:78], v[1:2], v[3:4]
	v_xor_b32_e32 v4, 0x80000000, v4
	v_xor_b32_e32 v2, 0x80000000, v78
	v_mov_b32_e32 v1, v77
.LBB99_15:
	s_andn2_saveexec_b32 s5, s5
	s_cbranch_execz .LBB99_17
; %bb.16:
	v_div_scale_f64 v[1:2], null, v[79:80], v[79:80], v[81:82]
	v_div_scale_f64 v[85:86], vcc_lo, v[81:82], v[79:80], v[81:82]
	v_rcp_f64_e32 v[3:4], v[1:2]
	v_fma_f64 v[77:78], -v[1:2], v[3:4], 1.0
	v_fma_f64 v[3:4], v[3:4], v[77:78], v[3:4]
	v_fma_f64 v[77:78], -v[1:2], v[3:4], 1.0
	v_fma_f64 v[3:4], v[3:4], v[77:78], v[3:4]
	v_mul_f64 v[77:78], v[85:86], v[3:4]
	v_fma_f64 v[1:2], -v[1:2], v[77:78], v[85:86]
	v_div_fmas_f64 v[1:2], v[1:2], v[3:4], v[77:78]
	v_div_fixup_f64 v[1:2], v[1:2], v[79:80], v[81:82]
	v_fma_f64 v[3:4], v[81:82], v[1:2], v[79:80]
	v_div_scale_f64 v[77:78], null, v[3:4], v[3:4], 1.0
	v_rcp_f64_e32 v[79:80], v[77:78]
	v_fma_f64 v[81:82], -v[77:78], v[79:80], 1.0
	v_fma_f64 v[79:80], v[79:80], v[81:82], v[79:80]
	v_fma_f64 v[81:82], -v[77:78], v[79:80], 1.0
	v_fma_f64 v[79:80], v[79:80], v[81:82], v[79:80]
	v_div_scale_f64 v[81:82], vcc_lo, 1.0, v[3:4], 1.0
	v_mul_f64 v[85:86], v[81:82], v[79:80]
	v_fma_f64 v[77:78], -v[77:78], v[85:86], v[81:82]
	v_div_fmas_f64 v[77:78], v[77:78], v[79:80], v[85:86]
	v_div_fixup_f64 v[77:78], v[77:78], v[3:4], 1.0
	v_mul_f64 v[3:4], v[1:2], -v[77:78]
	v_xor_b32_e32 v2, 0x80000000, v78
	v_mov_b32_e32 v1, v77
.LBB99_17:
	s_or_b32 exec_lo, exec_lo, s5
	v_mov_b32_e32 v82, s47
	buffer_store_dword v78, v84, s[0:3], 0 offen offset:4
	buffer_store_dword v77, v84, s[0:3], 0 offen
	buffer_store_dword v4, v84, s[0:3], 0 offen offset:12
	buffer_store_dword v3, v84, s[0:3], 0 offen offset:8
	v_xor_b32_e32 v4, 0x80000000, v4
	v_add_nc_u32_e32 v77, 0x240, v83
	s_clause 0x3
	buffer_load_dword v81, v82, s[0:3], 0 offen offset:12
	buffer_load_dword v80, v82, s[0:3], 0 offen offset:8
	;; [unrolled: 1-line block ×3, first 2 shown]
	buffer_load_dword v78, v82, s[0:3], 0 offen
	ds_write_b128 v83, v[1:4]
	s_waitcnt vmcnt(0)
	ds_write_b128 v83, v[78:81] offset:576
	s_waitcnt lgkmcnt(0)
	s_waitcnt_vscnt null, 0x0
	s_barrier
	buffer_gl0_inv
	s_and_saveexec_b32 s5, s4
	s_cbranch_execz .LBB99_19
; %bb.18:
	s_clause 0x3
	buffer_load_dword v85, v84, s[0:3], 0 offen offset:8
	buffer_load_dword v86, v84, s[0:3], 0 offen offset:12
	buffer_load_dword v87, v84, s[0:3], 0 offen
	buffer_load_dword v88, v84, s[0:3], 0 offen offset:4
	ds_read_b128 v[1:4], v77
	v_mov_b32_e32 v78, 0
	ds_read_b128 v[78:81], v78 offset:16
	s_waitcnt vmcnt(2) lgkmcnt(1)
	v_mul_f64 v[89:90], v[1:2], v[85:86]
	v_mul_f64 v[85:86], v[3:4], v[85:86]
	s_waitcnt vmcnt(0)
	v_fma_f64 v[3:4], v[3:4], v[87:88], v[89:90]
	v_fma_f64 v[1:2], v[1:2], v[87:88], -v[85:86]
	v_add_f64 v[3:4], v[3:4], 0
	v_add_f64 v[1:2], v[1:2], 0
	s_waitcnt lgkmcnt(0)
	v_mul_f64 v[85:86], v[3:4], v[80:81]
	v_mul_f64 v[80:81], v[1:2], v[80:81]
	v_fma_f64 v[1:2], v[1:2], v[78:79], -v[85:86]
	v_fma_f64 v[3:4], v[3:4], v[78:79], v[80:81]
	buffer_store_dword v1, off, s[0:3], 0 offset:32
	buffer_store_dword v2, off, s[0:3], 0 offset:36
	buffer_store_dword v3, off, s[0:3], 0 offset:40
	buffer_store_dword v4, off, s[0:3], 0 offset:44
.LBB99_19:
	s_or_b32 exec_lo, exec_lo, s5
	v_mov_b32_e32 v4, s46
	s_waitcnt_vscnt null, 0x0
	s_barrier
	buffer_gl0_inv
	s_mov_b32 s5, exec_lo
	s_clause 0x3
	buffer_load_dword v1, v4, s[0:3], 0 offen
	buffer_load_dword v2, v4, s[0:3], 0 offen offset:4
	buffer_load_dword v3, v4, s[0:3], 0 offen offset:8
	;; [unrolled: 1-line block ×3, first 2 shown]
	s_waitcnt vmcnt(0)
	ds_write_b128 v77, v[1:4]
	s_waitcnt lgkmcnt(0)
	s_barrier
	buffer_gl0_inv
	v_cmpx_gt_u32_e32 2, v0
	s_cbranch_execz .LBB99_23
; %bb.20:
	s_clause 0x3
	buffer_load_dword v78, v84, s[0:3], 0 offen offset:8
	buffer_load_dword v79, v84, s[0:3], 0 offen offset:12
	buffer_load_dword v80, v84, s[0:3], 0 offen
	buffer_load_dword v81, v84, s[0:3], 0 offen offset:4
	ds_read_b128 v[1:4], v77
	s_waitcnt vmcnt(2) lgkmcnt(0)
	v_mul_f64 v[84:85], v[3:4], v[78:79]
	v_mul_f64 v[78:79], v[1:2], v[78:79]
	s_waitcnt vmcnt(0)
	v_fma_f64 v[1:2], v[1:2], v[80:81], -v[84:85]
	v_fma_f64 v[3:4], v[3:4], v[80:81], v[78:79]
	v_add_f64 v[1:2], v[1:2], 0
	v_add_f64 v[3:4], v[3:4], 0
	s_and_saveexec_b32 s49, s4
	s_cbranch_execz .LBB99_22
; %bb.21:
	s_clause 0x3
	buffer_load_dword v84, off, s[0:3], 0 offset:40
	buffer_load_dword v85, off, s[0:3], 0 offset:44
	;; [unrolled: 1-line block ×4, first 2 shown]
	v_mov_b32_e32 v78, 0
	ds_read_b128 v[78:81], v78 offset:592
	s_waitcnt vmcnt(2) lgkmcnt(0)
	v_mul_f64 v[88:89], v[78:79], v[84:85]
	v_mul_f64 v[84:85], v[80:81], v[84:85]
	s_waitcnt vmcnt(0)
	v_fma_f64 v[80:81], v[80:81], v[86:87], v[88:89]
	v_fma_f64 v[78:79], v[78:79], v[86:87], -v[84:85]
	v_add_f64 v[3:4], v[3:4], v[80:81]
	v_add_f64 v[1:2], v[1:2], v[78:79]
.LBB99_22:
	s_or_b32 exec_lo, exec_lo, s49
	v_mov_b32_e32 v78, 0
	ds_read_b128 v[78:81], v78 offset:32
	s_waitcnt lgkmcnt(0)
	v_mul_f64 v[84:85], v[3:4], v[80:81]
	v_mul_f64 v[80:81], v[1:2], v[80:81]
	v_fma_f64 v[1:2], v[1:2], v[78:79], -v[84:85]
	v_fma_f64 v[3:4], v[3:4], v[78:79], v[80:81]
	buffer_store_dword v2, off, s[0:3], 0 offset:52
	buffer_store_dword v1, off, s[0:3], 0 offset:48
	;; [unrolled: 1-line block ×4, first 2 shown]
.LBB99_23:
	s_or_b32 exec_lo, exec_lo, s5
	v_mov_b32_e32 v4, s45
	s_waitcnt_vscnt null, 0x0
	s_barrier
	buffer_gl0_inv
	v_add_nc_u32_e32 v78, -1, v0
	s_clause 0x3
	buffer_load_dword v1, v4, s[0:3], 0 offen
	buffer_load_dword v2, v4, s[0:3], 0 offen offset:4
	buffer_load_dword v3, v4, s[0:3], 0 offen offset:8
	;; [unrolled: 1-line block ×3, first 2 shown]
	s_mov_b32 s4, exec_lo
	s_waitcnt vmcnt(0)
	ds_write_b128 v77, v[1:4]
	s_waitcnt lgkmcnt(0)
	s_barrier
	buffer_gl0_inv
	v_cmpx_gt_u32_e32 3, v0
	s_cbranch_execz .LBB99_27
; %bb.24:
	v_mov_b32_e32 v1, 0
	v_mov_b32_e32 v3, 0
	v_add_nc_u32_e32 v79, -1, v0
	v_add_nc_u32_e32 v80, 0x240, v83
	v_mov_b32_e32 v2, 0
	v_mov_b32_e32 v4, 0
	v_add_nc_u32_e32 v81, 16, v83
	s_mov_b32 s5, 0
	.p2align	6
.LBB99_25:                              ; =>This Inner Loop Header: Depth=1
	s_clause 0x3
	buffer_load_dword v88, v81, s[0:3], 0 offen offset:8
	buffer_load_dword v89, v81, s[0:3], 0 offen offset:12
	buffer_load_dword v90, v81, s[0:3], 0 offen
	buffer_load_dword v91, v81, s[0:3], 0 offen offset:4
	ds_read_b128 v[84:87], v80
	v_add_nc_u32_e32 v79, 1, v79
	v_add_nc_u32_e32 v80, 16, v80
	;; [unrolled: 1-line block ×3, first 2 shown]
	v_cmp_lt_u32_e32 vcc_lo, 1, v79
	s_or_b32 s5, vcc_lo, s5
	s_waitcnt vmcnt(2) lgkmcnt(0)
	v_mul_f64 v[92:93], v[86:87], v[88:89]
	v_mul_f64 v[88:89], v[84:85], v[88:89]
	s_waitcnt vmcnt(0)
	v_fma_f64 v[84:85], v[84:85], v[90:91], -v[92:93]
	v_fma_f64 v[86:87], v[86:87], v[90:91], v[88:89]
	v_add_f64 v[3:4], v[3:4], v[84:85]
	v_add_f64 v[1:2], v[1:2], v[86:87]
	s_andn2_b32 exec_lo, exec_lo, s5
	s_cbranch_execnz .LBB99_25
; %bb.26:
	s_or_b32 exec_lo, exec_lo, s5
	v_mov_b32_e32 v79, 0
	ds_read_b128 v[79:82], v79 offset:48
	s_waitcnt lgkmcnt(0)
	v_mul_f64 v[84:85], v[1:2], v[81:82]
	v_mul_f64 v[81:82], v[3:4], v[81:82]
	v_fma_f64 v[3:4], v[3:4], v[79:80], -v[84:85]
	v_fma_f64 v[1:2], v[1:2], v[79:80], v[81:82]
	buffer_store_dword v4, off, s[0:3], 0 offset:68
	buffer_store_dword v3, off, s[0:3], 0 offset:64
	;; [unrolled: 1-line block ×4, first 2 shown]
.LBB99_27:
	s_or_b32 exec_lo, exec_lo, s4
	v_mov_b32_e32 v4, s44
	s_waitcnt_vscnt null, 0x0
	s_barrier
	buffer_gl0_inv
	s_mov_b32 s4, exec_lo
	s_clause 0x3
	buffer_load_dword v1, v4, s[0:3], 0 offen
	buffer_load_dword v2, v4, s[0:3], 0 offen offset:4
	buffer_load_dword v3, v4, s[0:3], 0 offen offset:8
	;; [unrolled: 1-line block ×3, first 2 shown]
	s_waitcnt vmcnt(0)
	ds_write_b128 v77, v[1:4]
	s_waitcnt lgkmcnt(0)
	s_barrier
	buffer_gl0_inv
	v_cmpx_gt_u32_e32 4, v0
	s_cbranch_execz .LBB99_31
; %bb.28:
	v_mov_b32_e32 v1, 0
	v_mov_b32_e32 v3, 0
	v_add_nc_u32_e32 v79, -1, v0
	v_add_nc_u32_e32 v80, 0x240, v83
	v_mov_b32_e32 v2, 0
	v_mov_b32_e32 v4, 0
	v_add_nc_u32_e32 v81, 16, v83
	s_mov_b32 s5, 0
	.p2align	6
.LBB99_29:                              ; =>This Inner Loop Header: Depth=1
	s_clause 0x3
	buffer_load_dword v88, v81, s[0:3], 0 offen offset:8
	buffer_load_dword v89, v81, s[0:3], 0 offen offset:12
	buffer_load_dword v90, v81, s[0:3], 0 offen
	buffer_load_dword v91, v81, s[0:3], 0 offen offset:4
	ds_read_b128 v[84:87], v80
	v_add_nc_u32_e32 v79, 1, v79
	v_add_nc_u32_e32 v80, 16, v80
	;; [unrolled: 1-line block ×3, first 2 shown]
	v_cmp_lt_u32_e32 vcc_lo, 2, v79
	s_or_b32 s5, vcc_lo, s5
	s_waitcnt vmcnt(2) lgkmcnt(0)
	v_mul_f64 v[92:93], v[86:87], v[88:89]
	v_mul_f64 v[88:89], v[84:85], v[88:89]
	s_waitcnt vmcnt(0)
	v_fma_f64 v[84:85], v[84:85], v[90:91], -v[92:93]
	v_fma_f64 v[86:87], v[86:87], v[90:91], v[88:89]
	v_add_f64 v[3:4], v[3:4], v[84:85]
	v_add_f64 v[1:2], v[1:2], v[86:87]
	s_andn2_b32 exec_lo, exec_lo, s5
	s_cbranch_execnz .LBB99_29
; %bb.30:
	s_or_b32 exec_lo, exec_lo, s5
	v_mov_b32_e32 v79, 0
	ds_read_b128 v[79:82], v79 offset:64
	s_waitcnt lgkmcnt(0)
	v_mul_f64 v[84:85], v[1:2], v[81:82]
	v_mul_f64 v[81:82], v[3:4], v[81:82]
	v_fma_f64 v[3:4], v[3:4], v[79:80], -v[84:85]
	v_fma_f64 v[1:2], v[1:2], v[79:80], v[81:82]
	buffer_store_dword v4, off, s[0:3], 0 offset:84
	buffer_store_dword v3, off, s[0:3], 0 offset:80
	;; [unrolled: 1-line block ×4, first 2 shown]
.LBB99_31:
	s_or_b32 exec_lo, exec_lo, s4
	v_mov_b32_e32 v4, s43
	s_waitcnt_vscnt null, 0x0
	s_barrier
	buffer_gl0_inv
	s_mov_b32 s4, exec_lo
	s_clause 0x3
	buffer_load_dword v1, v4, s[0:3], 0 offen
	buffer_load_dword v2, v4, s[0:3], 0 offen offset:4
	buffer_load_dword v3, v4, s[0:3], 0 offen offset:8
	;; [unrolled: 1-line block ×3, first 2 shown]
	s_waitcnt vmcnt(0)
	ds_write_b128 v77, v[1:4]
	s_waitcnt lgkmcnt(0)
	s_barrier
	buffer_gl0_inv
	v_cmpx_gt_u32_e32 5, v0
	s_cbranch_execz .LBB99_35
; %bb.32:
	v_mov_b32_e32 v1, 0
	v_mov_b32_e32 v3, 0
	v_add_nc_u32_e32 v79, -1, v0
	v_add_nc_u32_e32 v80, 0x240, v83
	v_mov_b32_e32 v2, 0
	v_mov_b32_e32 v4, 0
	v_add_nc_u32_e32 v81, 16, v83
	s_mov_b32 s5, 0
	.p2align	6
.LBB99_33:                              ; =>This Inner Loop Header: Depth=1
	s_clause 0x3
	buffer_load_dword v88, v81, s[0:3], 0 offen offset:8
	buffer_load_dword v89, v81, s[0:3], 0 offen offset:12
	buffer_load_dword v90, v81, s[0:3], 0 offen
	buffer_load_dword v91, v81, s[0:3], 0 offen offset:4
	ds_read_b128 v[84:87], v80
	v_add_nc_u32_e32 v79, 1, v79
	v_add_nc_u32_e32 v80, 16, v80
	;; [unrolled: 1-line block ×3, first 2 shown]
	v_cmp_lt_u32_e32 vcc_lo, 3, v79
	s_or_b32 s5, vcc_lo, s5
	s_waitcnt vmcnt(2) lgkmcnt(0)
	v_mul_f64 v[92:93], v[86:87], v[88:89]
	v_mul_f64 v[88:89], v[84:85], v[88:89]
	s_waitcnt vmcnt(0)
	v_fma_f64 v[84:85], v[84:85], v[90:91], -v[92:93]
	v_fma_f64 v[86:87], v[86:87], v[90:91], v[88:89]
	v_add_f64 v[3:4], v[3:4], v[84:85]
	v_add_f64 v[1:2], v[1:2], v[86:87]
	s_andn2_b32 exec_lo, exec_lo, s5
	s_cbranch_execnz .LBB99_33
; %bb.34:
	s_or_b32 exec_lo, exec_lo, s5
	v_mov_b32_e32 v79, 0
	ds_read_b128 v[79:82], v79 offset:80
	s_waitcnt lgkmcnt(0)
	v_mul_f64 v[84:85], v[1:2], v[81:82]
	v_mul_f64 v[81:82], v[3:4], v[81:82]
	v_fma_f64 v[3:4], v[3:4], v[79:80], -v[84:85]
	v_fma_f64 v[1:2], v[1:2], v[79:80], v[81:82]
	buffer_store_dword v4, off, s[0:3], 0 offset:100
	buffer_store_dword v3, off, s[0:3], 0 offset:96
	;; [unrolled: 1-line block ×4, first 2 shown]
.LBB99_35:
	s_or_b32 exec_lo, exec_lo, s4
	v_mov_b32_e32 v4, s42
	s_waitcnt_vscnt null, 0x0
	s_barrier
	buffer_gl0_inv
	s_mov_b32 s4, exec_lo
	s_clause 0x3
	buffer_load_dword v1, v4, s[0:3], 0 offen
	buffer_load_dword v2, v4, s[0:3], 0 offen offset:4
	buffer_load_dword v3, v4, s[0:3], 0 offen offset:8
	;; [unrolled: 1-line block ×3, first 2 shown]
	s_waitcnt vmcnt(0)
	ds_write_b128 v77, v[1:4]
	s_waitcnt lgkmcnt(0)
	s_barrier
	buffer_gl0_inv
	v_cmpx_gt_u32_e32 6, v0
	s_cbranch_execz .LBB99_39
; %bb.36:
	v_mov_b32_e32 v1, 0
	v_mov_b32_e32 v3, 0
	v_add_nc_u32_e32 v79, -1, v0
	v_add_nc_u32_e32 v80, 0x240, v83
	v_mov_b32_e32 v2, 0
	v_mov_b32_e32 v4, 0
	v_add_nc_u32_e32 v81, 16, v83
	s_mov_b32 s5, 0
	.p2align	6
.LBB99_37:                              ; =>This Inner Loop Header: Depth=1
	s_clause 0x3
	buffer_load_dword v88, v81, s[0:3], 0 offen offset:8
	buffer_load_dword v89, v81, s[0:3], 0 offen offset:12
	buffer_load_dword v90, v81, s[0:3], 0 offen
	buffer_load_dword v91, v81, s[0:3], 0 offen offset:4
	ds_read_b128 v[84:87], v80
	v_add_nc_u32_e32 v79, 1, v79
	v_add_nc_u32_e32 v80, 16, v80
	;; [unrolled: 1-line block ×3, first 2 shown]
	v_cmp_lt_u32_e32 vcc_lo, 4, v79
	s_or_b32 s5, vcc_lo, s5
	s_waitcnt vmcnt(2) lgkmcnt(0)
	v_mul_f64 v[92:93], v[86:87], v[88:89]
	v_mul_f64 v[88:89], v[84:85], v[88:89]
	s_waitcnt vmcnt(0)
	v_fma_f64 v[84:85], v[84:85], v[90:91], -v[92:93]
	v_fma_f64 v[86:87], v[86:87], v[90:91], v[88:89]
	v_add_f64 v[3:4], v[3:4], v[84:85]
	v_add_f64 v[1:2], v[1:2], v[86:87]
	s_andn2_b32 exec_lo, exec_lo, s5
	s_cbranch_execnz .LBB99_37
; %bb.38:
	s_or_b32 exec_lo, exec_lo, s5
	v_mov_b32_e32 v79, 0
	ds_read_b128 v[79:82], v79 offset:96
	s_waitcnt lgkmcnt(0)
	v_mul_f64 v[84:85], v[1:2], v[81:82]
	v_mul_f64 v[81:82], v[3:4], v[81:82]
	v_fma_f64 v[3:4], v[3:4], v[79:80], -v[84:85]
	v_fma_f64 v[1:2], v[1:2], v[79:80], v[81:82]
	buffer_store_dword v4, off, s[0:3], 0 offset:116
	buffer_store_dword v3, off, s[0:3], 0 offset:112
	;; [unrolled: 1-line block ×4, first 2 shown]
.LBB99_39:
	s_or_b32 exec_lo, exec_lo, s4
	v_mov_b32_e32 v4, s41
	s_waitcnt_vscnt null, 0x0
	s_barrier
	buffer_gl0_inv
	s_mov_b32 s4, exec_lo
	s_clause 0x3
	buffer_load_dword v1, v4, s[0:3], 0 offen
	buffer_load_dword v2, v4, s[0:3], 0 offen offset:4
	buffer_load_dword v3, v4, s[0:3], 0 offen offset:8
	;; [unrolled: 1-line block ×3, first 2 shown]
	s_waitcnt vmcnt(0)
	ds_write_b128 v77, v[1:4]
	s_waitcnt lgkmcnt(0)
	s_barrier
	buffer_gl0_inv
	v_cmpx_gt_u32_e32 7, v0
	s_cbranch_execz .LBB99_43
; %bb.40:
	v_mov_b32_e32 v1, 0
	v_mov_b32_e32 v3, 0
	v_add_nc_u32_e32 v79, -1, v0
	v_add_nc_u32_e32 v80, 0x240, v83
	v_mov_b32_e32 v2, 0
	v_mov_b32_e32 v4, 0
	v_add_nc_u32_e32 v81, 16, v83
	s_mov_b32 s5, 0
	.p2align	6
.LBB99_41:                              ; =>This Inner Loop Header: Depth=1
	s_clause 0x3
	buffer_load_dword v88, v81, s[0:3], 0 offen offset:8
	buffer_load_dword v89, v81, s[0:3], 0 offen offset:12
	buffer_load_dword v90, v81, s[0:3], 0 offen
	buffer_load_dword v91, v81, s[0:3], 0 offen offset:4
	ds_read_b128 v[84:87], v80
	v_add_nc_u32_e32 v79, 1, v79
	v_add_nc_u32_e32 v80, 16, v80
	v_add_nc_u32_e32 v81, 16, v81
	v_cmp_lt_u32_e32 vcc_lo, 5, v79
	s_or_b32 s5, vcc_lo, s5
	s_waitcnt vmcnt(2) lgkmcnt(0)
	v_mul_f64 v[92:93], v[86:87], v[88:89]
	v_mul_f64 v[88:89], v[84:85], v[88:89]
	s_waitcnt vmcnt(0)
	v_fma_f64 v[84:85], v[84:85], v[90:91], -v[92:93]
	v_fma_f64 v[86:87], v[86:87], v[90:91], v[88:89]
	v_add_f64 v[3:4], v[3:4], v[84:85]
	v_add_f64 v[1:2], v[1:2], v[86:87]
	s_andn2_b32 exec_lo, exec_lo, s5
	s_cbranch_execnz .LBB99_41
; %bb.42:
	s_or_b32 exec_lo, exec_lo, s5
	v_mov_b32_e32 v79, 0
	ds_read_b128 v[79:82], v79 offset:112
	s_waitcnt lgkmcnt(0)
	v_mul_f64 v[84:85], v[1:2], v[81:82]
	v_mul_f64 v[81:82], v[3:4], v[81:82]
	v_fma_f64 v[3:4], v[3:4], v[79:80], -v[84:85]
	v_fma_f64 v[1:2], v[1:2], v[79:80], v[81:82]
	buffer_store_dword v4, off, s[0:3], 0 offset:132
	buffer_store_dword v3, off, s[0:3], 0 offset:128
	buffer_store_dword v2, off, s[0:3], 0 offset:140
	buffer_store_dword v1, off, s[0:3], 0 offset:136
.LBB99_43:
	s_or_b32 exec_lo, exec_lo, s4
	v_mov_b32_e32 v4, s40
	s_waitcnt_vscnt null, 0x0
	s_barrier
	buffer_gl0_inv
	s_mov_b32 s4, exec_lo
	s_clause 0x3
	buffer_load_dword v1, v4, s[0:3], 0 offen
	buffer_load_dword v2, v4, s[0:3], 0 offen offset:4
	buffer_load_dword v3, v4, s[0:3], 0 offen offset:8
	;; [unrolled: 1-line block ×3, first 2 shown]
	s_waitcnt vmcnt(0)
	ds_write_b128 v77, v[1:4]
	s_waitcnt lgkmcnt(0)
	s_barrier
	buffer_gl0_inv
	v_cmpx_gt_u32_e32 8, v0
	s_cbranch_execz .LBB99_47
; %bb.44:
	v_mov_b32_e32 v1, 0
	v_mov_b32_e32 v3, 0
	v_add_nc_u32_e32 v79, -1, v0
	v_add_nc_u32_e32 v80, 0x240, v83
	v_mov_b32_e32 v2, 0
	v_mov_b32_e32 v4, 0
	v_add_nc_u32_e32 v81, 16, v83
	s_mov_b32 s5, 0
	.p2align	6
.LBB99_45:                              ; =>This Inner Loop Header: Depth=1
	s_clause 0x3
	buffer_load_dword v88, v81, s[0:3], 0 offen offset:8
	buffer_load_dword v89, v81, s[0:3], 0 offen offset:12
	buffer_load_dword v90, v81, s[0:3], 0 offen
	buffer_load_dword v91, v81, s[0:3], 0 offen offset:4
	ds_read_b128 v[84:87], v80
	v_add_nc_u32_e32 v79, 1, v79
	v_add_nc_u32_e32 v80, 16, v80
	;; [unrolled: 1-line block ×3, first 2 shown]
	v_cmp_lt_u32_e32 vcc_lo, 6, v79
	s_or_b32 s5, vcc_lo, s5
	s_waitcnt vmcnt(2) lgkmcnt(0)
	v_mul_f64 v[92:93], v[86:87], v[88:89]
	v_mul_f64 v[88:89], v[84:85], v[88:89]
	s_waitcnt vmcnt(0)
	v_fma_f64 v[84:85], v[84:85], v[90:91], -v[92:93]
	v_fma_f64 v[86:87], v[86:87], v[90:91], v[88:89]
	v_add_f64 v[3:4], v[3:4], v[84:85]
	v_add_f64 v[1:2], v[1:2], v[86:87]
	s_andn2_b32 exec_lo, exec_lo, s5
	s_cbranch_execnz .LBB99_45
; %bb.46:
	s_or_b32 exec_lo, exec_lo, s5
	v_mov_b32_e32 v79, 0
	ds_read_b128 v[79:82], v79 offset:128
	s_waitcnt lgkmcnt(0)
	v_mul_f64 v[84:85], v[1:2], v[81:82]
	v_mul_f64 v[81:82], v[3:4], v[81:82]
	v_fma_f64 v[3:4], v[3:4], v[79:80], -v[84:85]
	v_fma_f64 v[1:2], v[1:2], v[79:80], v[81:82]
	buffer_store_dword v4, off, s[0:3], 0 offset:148
	buffer_store_dword v3, off, s[0:3], 0 offset:144
	buffer_store_dword v2, off, s[0:3], 0 offset:156
	buffer_store_dword v1, off, s[0:3], 0 offset:152
.LBB99_47:
	s_or_b32 exec_lo, exec_lo, s4
	v_mov_b32_e32 v4, s39
	s_waitcnt_vscnt null, 0x0
	s_barrier
	buffer_gl0_inv
	s_mov_b32 s4, exec_lo
	s_clause 0x3
	buffer_load_dword v1, v4, s[0:3], 0 offen
	buffer_load_dword v2, v4, s[0:3], 0 offen offset:4
	buffer_load_dword v3, v4, s[0:3], 0 offen offset:8
	;; [unrolled: 1-line block ×3, first 2 shown]
	s_waitcnt vmcnt(0)
	ds_write_b128 v77, v[1:4]
	s_waitcnt lgkmcnt(0)
	s_barrier
	buffer_gl0_inv
	v_cmpx_gt_u32_e32 9, v0
	s_cbranch_execz .LBB99_51
; %bb.48:
	v_mov_b32_e32 v1, 0
	v_mov_b32_e32 v3, 0
	v_add_nc_u32_e32 v79, -1, v0
	v_add_nc_u32_e32 v80, 0x240, v83
	v_mov_b32_e32 v2, 0
	v_mov_b32_e32 v4, 0
	v_add_nc_u32_e32 v81, 16, v83
	s_mov_b32 s5, 0
	.p2align	6
.LBB99_49:                              ; =>This Inner Loop Header: Depth=1
	s_clause 0x3
	buffer_load_dword v88, v81, s[0:3], 0 offen offset:8
	buffer_load_dword v89, v81, s[0:3], 0 offen offset:12
	buffer_load_dword v90, v81, s[0:3], 0 offen
	buffer_load_dword v91, v81, s[0:3], 0 offen offset:4
	ds_read_b128 v[84:87], v80
	v_add_nc_u32_e32 v79, 1, v79
	v_add_nc_u32_e32 v80, 16, v80
	v_add_nc_u32_e32 v81, 16, v81
	v_cmp_lt_u32_e32 vcc_lo, 7, v79
	s_or_b32 s5, vcc_lo, s5
	s_waitcnt vmcnt(2) lgkmcnt(0)
	v_mul_f64 v[92:93], v[86:87], v[88:89]
	v_mul_f64 v[88:89], v[84:85], v[88:89]
	s_waitcnt vmcnt(0)
	v_fma_f64 v[84:85], v[84:85], v[90:91], -v[92:93]
	v_fma_f64 v[86:87], v[86:87], v[90:91], v[88:89]
	v_add_f64 v[3:4], v[3:4], v[84:85]
	v_add_f64 v[1:2], v[1:2], v[86:87]
	s_andn2_b32 exec_lo, exec_lo, s5
	s_cbranch_execnz .LBB99_49
; %bb.50:
	s_or_b32 exec_lo, exec_lo, s5
	v_mov_b32_e32 v79, 0
	ds_read_b128 v[79:82], v79 offset:144
	s_waitcnt lgkmcnt(0)
	v_mul_f64 v[84:85], v[1:2], v[81:82]
	v_mul_f64 v[81:82], v[3:4], v[81:82]
	v_fma_f64 v[3:4], v[3:4], v[79:80], -v[84:85]
	v_fma_f64 v[1:2], v[1:2], v[79:80], v[81:82]
	buffer_store_dword v4, off, s[0:3], 0 offset:164
	buffer_store_dword v3, off, s[0:3], 0 offset:160
	;; [unrolled: 1-line block ×4, first 2 shown]
.LBB99_51:
	s_or_b32 exec_lo, exec_lo, s4
	v_mov_b32_e32 v4, s38
	s_waitcnt_vscnt null, 0x0
	s_barrier
	buffer_gl0_inv
	s_mov_b32 s4, exec_lo
	s_clause 0x3
	buffer_load_dword v1, v4, s[0:3], 0 offen
	buffer_load_dword v2, v4, s[0:3], 0 offen offset:4
	buffer_load_dword v3, v4, s[0:3], 0 offen offset:8
	;; [unrolled: 1-line block ×3, first 2 shown]
	s_waitcnt vmcnt(0)
	ds_write_b128 v77, v[1:4]
	s_waitcnt lgkmcnt(0)
	s_barrier
	buffer_gl0_inv
	v_cmpx_gt_u32_e32 10, v0
	s_cbranch_execz .LBB99_55
; %bb.52:
	v_mov_b32_e32 v1, 0
	v_mov_b32_e32 v3, 0
	v_add_nc_u32_e32 v79, -1, v0
	v_add_nc_u32_e32 v80, 0x240, v83
	v_mov_b32_e32 v2, 0
	v_mov_b32_e32 v4, 0
	v_add_nc_u32_e32 v81, 16, v83
	s_mov_b32 s5, 0
	.p2align	6
.LBB99_53:                              ; =>This Inner Loop Header: Depth=1
	s_clause 0x3
	buffer_load_dword v88, v81, s[0:3], 0 offen offset:8
	buffer_load_dword v89, v81, s[0:3], 0 offen offset:12
	buffer_load_dword v90, v81, s[0:3], 0 offen
	buffer_load_dword v91, v81, s[0:3], 0 offen offset:4
	ds_read_b128 v[84:87], v80
	v_add_nc_u32_e32 v79, 1, v79
	v_add_nc_u32_e32 v80, 16, v80
	;; [unrolled: 1-line block ×3, first 2 shown]
	v_cmp_lt_u32_e32 vcc_lo, 8, v79
	s_or_b32 s5, vcc_lo, s5
	s_waitcnt vmcnt(2) lgkmcnt(0)
	v_mul_f64 v[92:93], v[86:87], v[88:89]
	v_mul_f64 v[88:89], v[84:85], v[88:89]
	s_waitcnt vmcnt(0)
	v_fma_f64 v[84:85], v[84:85], v[90:91], -v[92:93]
	v_fma_f64 v[86:87], v[86:87], v[90:91], v[88:89]
	v_add_f64 v[3:4], v[3:4], v[84:85]
	v_add_f64 v[1:2], v[1:2], v[86:87]
	s_andn2_b32 exec_lo, exec_lo, s5
	s_cbranch_execnz .LBB99_53
; %bb.54:
	s_or_b32 exec_lo, exec_lo, s5
	v_mov_b32_e32 v79, 0
	ds_read_b128 v[79:82], v79 offset:160
	s_waitcnt lgkmcnt(0)
	v_mul_f64 v[84:85], v[1:2], v[81:82]
	v_mul_f64 v[81:82], v[3:4], v[81:82]
	v_fma_f64 v[3:4], v[3:4], v[79:80], -v[84:85]
	v_fma_f64 v[1:2], v[1:2], v[79:80], v[81:82]
	buffer_store_dword v4, off, s[0:3], 0 offset:180
	buffer_store_dword v3, off, s[0:3], 0 offset:176
	;; [unrolled: 1-line block ×4, first 2 shown]
.LBB99_55:
	s_or_b32 exec_lo, exec_lo, s4
	v_mov_b32_e32 v4, s37
	s_waitcnt_vscnt null, 0x0
	s_barrier
	buffer_gl0_inv
	s_mov_b32 s4, exec_lo
	s_clause 0x3
	buffer_load_dword v1, v4, s[0:3], 0 offen
	buffer_load_dword v2, v4, s[0:3], 0 offen offset:4
	buffer_load_dword v3, v4, s[0:3], 0 offen offset:8
	;; [unrolled: 1-line block ×3, first 2 shown]
	s_waitcnt vmcnt(0)
	ds_write_b128 v77, v[1:4]
	s_waitcnt lgkmcnt(0)
	s_barrier
	buffer_gl0_inv
	v_cmpx_gt_u32_e32 11, v0
	s_cbranch_execz .LBB99_59
; %bb.56:
	v_mov_b32_e32 v1, 0
	v_mov_b32_e32 v3, 0
	v_add_nc_u32_e32 v79, -1, v0
	v_add_nc_u32_e32 v80, 0x240, v83
	v_mov_b32_e32 v2, 0
	v_mov_b32_e32 v4, 0
	v_add_nc_u32_e32 v81, 16, v83
	s_mov_b32 s5, 0
	.p2align	6
.LBB99_57:                              ; =>This Inner Loop Header: Depth=1
	s_clause 0x3
	buffer_load_dword v88, v81, s[0:3], 0 offen offset:8
	buffer_load_dword v89, v81, s[0:3], 0 offen offset:12
	buffer_load_dword v90, v81, s[0:3], 0 offen
	buffer_load_dword v91, v81, s[0:3], 0 offen offset:4
	ds_read_b128 v[84:87], v80
	v_add_nc_u32_e32 v79, 1, v79
	v_add_nc_u32_e32 v80, 16, v80
	;; [unrolled: 1-line block ×3, first 2 shown]
	v_cmp_lt_u32_e32 vcc_lo, 9, v79
	s_or_b32 s5, vcc_lo, s5
	s_waitcnt vmcnt(2) lgkmcnt(0)
	v_mul_f64 v[92:93], v[86:87], v[88:89]
	v_mul_f64 v[88:89], v[84:85], v[88:89]
	s_waitcnt vmcnt(0)
	v_fma_f64 v[84:85], v[84:85], v[90:91], -v[92:93]
	v_fma_f64 v[86:87], v[86:87], v[90:91], v[88:89]
	v_add_f64 v[3:4], v[3:4], v[84:85]
	v_add_f64 v[1:2], v[1:2], v[86:87]
	s_andn2_b32 exec_lo, exec_lo, s5
	s_cbranch_execnz .LBB99_57
; %bb.58:
	s_or_b32 exec_lo, exec_lo, s5
	v_mov_b32_e32 v79, 0
	ds_read_b128 v[79:82], v79 offset:176
	s_waitcnt lgkmcnt(0)
	v_mul_f64 v[84:85], v[1:2], v[81:82]
	v_mul_f64 v[81:82], v[3:4], v[81:82]
	v_fma_f64 v[3:4], v[3:4], v[79:80], -v[84:85]
	v_fma_f64 v[1:2], v[1:2], v[79:80], v[81:82]
	buffer_store_dword v4, off, s[0:3], 0 offset:196
	buffer_store_dword v3, off, s[0:3], 0 offset:192
	;; [unrolled: 1-line block ×4, first 2 shown]
.LBB99_59:
	s_or_b32 exec_lo, exec_lo, s4
	v_mov_b32_e32 v4, s36
	s_waitcnt_vscnt null, 0x0
	s_barrier
	buffer_gl0_inv
	s_mov_b32 s4, exec_lo
	s_clause 0x3
	buffer_load_dword v1, v4, s[0:3], 0 offen
	buffer_load_dword v2, v4, s[0:3], 0 offen offset:4
	buffer_load_dword v3, v4, s[0:3], 0 offen offset:8
	;; [unrolled: 1-line block ×3, first 2 shown]
	s_waitcnt vmcnt(0)
	ds_write_b128 v77, v[1:4]
	s_waitcnt lgkmcnt(0)
	s_barrier
	buffer_gl0_inv
	v_cmpx_gt_u32_e32 12, v0
	s_cbranch_execz .LBB99_63
; %bb.60:
	v_mov_b32_e32 v1, 0
	v_mov_b32_e32 v3, 0
	v_add_nc_u32_e32 v79, -1, v0
	v_add_nc_u32_e32 v80, 0x240, v83
	v_mov_b32_e32 v2, 0
	v_mov_b32_e32 v4, 0
	v_add_nc_u32_e32 v81, 16, v83
	s_mov_b32 s5, 0
	.p2align	6
.LBB99_61:                              ; =>This Inner Loop Header: Depth=1
	s_clause 0x3
	buffer_load_dword v88, v81, s[0:3], 0 offen offset:8
	buffer_load_dword v89, v81, s[0:3], 0 offen offset:12
	buffer_load_dword v90, v81, s[0:3], 0 offen
	buffer_load_dword v91, v81, s[0:3], 0 offen offset:4
	ds_read_b128 v[84:87], v80
	v_add_nc_u32_e32 v79, 1, v79
	v_add_nc_u32_e32 v80, 16, v80
	;; [unrolled: 1-line block ×3, first 2 shown]
	v_cmp_lt_u32_e32 vcc_lo, 10, v79
	s_or_b32 s5, vcc_lo, s5
	s_waitcnt vmcnt(2) lgkmcnt(0)
	v_mul_f64 v[92:93], v[86:87], v[88:89]
	v_mul_f64 v[88:89], v[84:85], v[88:89]
	s_waitcnt vmcnt(0)
	v_fma_f64 v[84:85], v[84:85], v[90:91], -v[92:93]
	v_fma_f64 v[86:87], v[86:87], v[90:91], v[88:89]
	v_add_f64 v[3:4], v[3:4], v[84:85]
	v_add_f64 v[1:2], v[1:2], v[86:87]
	s_andn2_b32 exec_lo, exec_lo, s5
	s_cbranch_execnz .LBB99_61
; %bb.62:
	s_or_b32 exec_lo, exec_lo, s5
	v_mov_b32_e32 v79, 0
	ds_read_b128 v[79:82], v79 offset:192
	s_waitcnt lgkmcnt(0)
	v_mul_f64 v[84:85], v[1:2], v[81:82]
	v_mul_f64 v[81:82], v[3:4], v[81:82]
	v_fma_f64 v[3:4], v[3:4], v[79:80], -v[84:85]
	v_fma_f64 v[1:2], v[1:2], v[79:80], v[81:82]
	buffer_store_dword v4, off, s[0:3], 0 offset:212
	buffer_store_dword v3, off, s[0:3], 0 offset:208
	;; [unrolled: 1-line block ×4, first 2 shown]
.LBB99_63:
	s_or_b32 exec_lo, exec_lo, s4
	v_mov_b32_e32 v4, s35
	s_waitcnt_vscnt null, 0x0
	s_barrier
	buffer_gl0_inv
	s_mov_b32 s4, exec_lo
	s_clause 0x3
	buffer_load_dword v1, v4, s[0:3], 0 offen
	buffer_load_dword v2, v4, s[0:3], 0 offen offset:4
	buffer_load_dword v3, v4, s[0:3], 0 offen offset:8
	;; [unrolled: 1-line block ×3, first 2 shown]
	s_waitcnt vmcnt(0)
	ds_write_b128 v77, v[1:4]
	s_waitcnt lgkmcnt(0)
	s_barrier
	buffer_gl0_inv
	v_cmpx_gt_u32_e32 13, v0
	s_cbranch_execz .LBB99_67
; %bb.64:
	v_mov_b32_e32 v1, 0
	v_mov_b32_e32 v3, 0
	v_add_nc_u32_e32 v79, -1, v0
	v_add_nc_u32_e32 v80, 0x240, v83
	v_mov_b32_e32 v2, 0
	v_mov_b32_e32 v4, 0
	v_add_nc_u32_e32 v81, 16, v83
	s_mov_b32 s5, 0
	.p2align	6
.LBB99_65:                              ; =>This Inner Loop Header: Depth=1
	s_clause 0x3
	buffer_load_dword v88, v81, s[0:3], 0 offen offset:8
	buffer_load_dword v89, v81, s[0:3], 0 offen offset:12
	buffer_load_dword v90, v81, s[0:3], 0 offen
	buffer_load_dword v91, v81, s[0:3], 0 offen offset:4
	ds_read_b128 v[84:87], v80
	v_add_nc_u32_e32 v79, 1, v79
	v_add_nc_u32_e32 v80, 16, v80
	;; [unrolled: 1-line block ×3, first 2 shown]
	v_cmp_lt_u32_e32 vcc_lo, 11, v79
	s_or_b32 s5, vcc_lo, s5
	s_waitcnt vmcnt(2) lgkmcnt(0)
	v_mul_f64 v[92:93], v[86:87], v[88:89]
	v_mul_f64 v[88:89], v[84:85], v[88:89]
	s_waitcnt vmcnt(0)
	v_fma_f64 v[84:85], v[84:85], v[90:91], -v[92:93]
	v_fma_f64 v[86:87], v[86:87], v[90:91], v[88:89]
	v_add_f64 v[3:4], v[3:4], v[84:85]
	v_add_f64 v[1:2], v[1:2], v[86:87]
	s_andn2_b32 exec_lo, exec_lo, s5
	s_cbranch_execnz .LBB99_65
; %bb.66:
	s_or_b32 exec_lo, exec_lo, s5
	v_mov_b32_e32 v79, 0
	ds_read_b128 v[79:82], v79 offset:208
	s_waitcnt lgkmcnt(0)
	v_mul_f64 v[84:85], v[1:2], v[81:82]
	v_mul_f64 v[81:82], v[3:4], v[81:82]
	v_fma_f64 v[3:4], v[3:4], v[79:80], -v[84:85]
	v_fma_f64 v[1:2], v[1:2], v[79:80], v[81:82]
	buffer_store_dword v4, off, s[0:3], 0 offset:228
	buffer_store_dword v3, off, s[0:3], 0 offset:224
	;; [unrolled: 1-line block ×4, first 2 shown]
.LBB99_67:
	s_or_b32 exec_lo, exec_lo, s4
	v_mov_b32_e32 v4, s34
	s_waitcnt_vscnt null, 0x0
	s_barrier
	buffer_gl0_inv
	s_mov_b32 s4, exec_lo
	s_clause 0x3
	buffer_load_dword v1, v4, s[0:3], 0 offen
	buffer_load_dword v2, v4, s[0:3], 0 offen offset:4
	buffer_load_dword v3, v4, s[0:3], 0 offen offset:8
	;; [unrolled: 1-line block ×3, first 2 shown]
	s_waitcnt vmcnt(0)
	ds_write_b128 v77, v[1:4]
	s_waitcnt lgkmcnt(0)
	s_barrier
	buffer_gl0_inv
	v_cmpx_gt_u32_e32 14, v0
	s_cbranch_execz .LBB99_71
; %bb.68:
	v_mov_b32_e32 v1, 0
	v_mov_b32_e32 v3, 0
	v_add_nc_u32_e32 v79, -1, v0
	v_add_nc_u32_e32 v80, 0x240, v83
	v_mov_b32_e32 v2, 0
	v_mov_b32_e32 v4, 0
	v_add_nc_u32_e32 v81, 16, v83
	s_mov_b32 s5, 0
	.p2align	6
.LBB99_69:                              ; =>This Inner Loop Header: Depth=1
	s_clause 0x3
	buffer_load_dword v88, v81, s[0:3], 0 offen offset:8
	buffer_load_dword v89, v81, s[0:3], 0 offen offset:12
	buffer_load_dword v90, v81, s[0:3], 0 offen
	buffer_load_dword v91, v81, s[0:3], 0 offen offset:4
	ds_read_b128 v[84:87], v80
	v_add_nc_u32_e32 v79, 1, v79
	v_add_nc_u32_e32 v80, 16, v80
	;; [unrolled: 1-line block ×3, first 2 shown]
	v_cmp_lt_u32_e32 vcc_lo, 12, v79
	s_or_b32 s5, vcc_lo, s5
	s_waitcnt vmcnt(2) lgkmcnt(0)
	v_mul_f64 v[92:93], v[86:87], v[88:89]
	v_mul_f64 v[88:89], v[84:85], v[88:89]
	s_waitcnt vmcnt(0)
	v_fma_f64 v[84:85], v[84:85], v[90:91], -v[92:93]
	v_fma_f64 v[86:87], v[86:87], v[90:91], v[88:89]
	v_add_f64 v[3:4], v[3:4], v[84:85]
	v_add_f64 v[1:2], v[1:2], v[86:87]
	s_andn2_b32 exec_lo, exec_lo, s5
	s_cbranch_execnz .LBB99_69
; %bb.70:
	s_or_b32 exec_lo, exec_lo, s5
	v_mov_b32_e32 v79, 0
	ds_read_b128 v[79:82], v79 offset:224
	s_waitcnt lgkmcnt(0)
	v_mul_f64 v[84:85], v[1:2], v[81:82]
	v_mul_f64 v[81:82], v[3:4], v[81:82]
	v_fma_f64 v[3:4], v[3:4], v[79:80], -v[84:85]
	v_fma_f64 v[1:2], v[1:2], v[79:80], v[81:82]
	buffer_store_dword v4, off, s[0:3], 0 offset:244
	buffer_store_dword v3, off, s[0:3], 0 offset:240
	;; [unrolled: 1-line block ×4, first 2 shown]
.LBB99_71:
	s_or_b32 exec_lo, exec_lo, s4
	v_mov_b32_e32 v4, s33
	s_waitcnt_vscnt null, 0x0
	s_barrier
	buffer_gl0_inv
	s_mov_b32 s4, exec_lo
	s_clause 0x3
	buffer_load_dword v1, v4, s[0:3], 0 offen
	buffer_load_dword v2, v4, s[0:3], 0 offen offset:4
	buffer_load_dword v3, v4, s[0:3], 0 offen offset:8
	buffer_load_dword v4, v4, s[0:3], 0 offen offset:12
	s_waitcnt vmcnt(0)
	ds_write_b128 v77, v[1:4]
	s_waitcnt lgkmcnt(0)
	s_barrier
	buffer_gl0_inv
	v_cmpx_gt_u32_e32 15, v0
	s_cbranch_execz .LBB99_75
; %bb.72:
	v_mov_b32_e32 v1, 0
	v_mov_b32_e32 v3, 0
	v_add_nc_u32_e32 v79, -1, v0
	v_add_nc_u32_e32 v80, 0x240, v83
	v_mov_b32_e32 v2, 0
	v_mov_b32_e32 v4, 0
	v_add_nc_u32_e32 v81, 16, v83
	s_mov_b32 s5, 0
	.p2align	6
.LBB99_73:                              ; =>This Inner Loop Header: Depth=1
	s_clause 0x3
	buffer_load_dword v88, v81, s[0:3], 0 offen offset:8
	buffer_load_dword v89, v81, s[0:3], 0 offen offset:12
	buffer_load_dword v90, v81, s[0:3], 0 offen
	buffer_load_dword v91, v81, s[0:3], 0 offen offset:4
	ds_read_b128 v[84:87], v80
	v_add_nc_u32_e32 v79, 1, v79
	v_add_nc_u32_e32 v80, 16, v80
	;; [unrolled: 1-line block ×3, first 2 shown]
	v_cmp_lt_u32_e32 vcc_lo, 13, v79
	s_or_b32 s5, vcc_lo, s5
	s_waitcnt vmcnt(2) lgkmcnt(0)
	v_mul_f64 v[92:93], v[86:87], v[88:89]
	v_mul_f64 v[88:89], v[84:85], v[88:89]
	s_waitcnt vmcnt(0)
	v_fma_f64 v[84:85], v[84:85], v[90:91], -v[92:93]
	v_fma_f64 v[86:87], v[86:87], v[90:91], v[88:89]
	v_add_f64 v[3:4], v[3:4], v[84:85]
	v_add_f64 v[1:2], v[1:2], v[86:87]
	s_andn2_b32 exec_lo, exec_lo, s5
	s_cbranch_execnz .LBB99_73
; %bb.74:
	s_or_b32 exec_lo, exec_lo, s5
	v_mov_b32_e32 v79, 0
	ds_read_b128 v[79:82], v79 offset:240
	s_waitcnt lgkmcnt(0)
	v_mul_f64 v[84:85], v[1:2], v[81:82]
	v_mul_f64 v[81:82], v[3:4], v[81:82]
	v_fma_f64 v[3:4], v[3:4], v[79:80], -v[84:85]
	v_fma_f64 v[1:2], v[1:2], v[79:80], v[81:82]
	buffer_store_dword v4, off, s[0:3], 0 offset:260
	buffer_store_dword v3, off, s[0:3], 0 offset:256
	;; [unrolled: 1-line block ×4, first 2 shown]
.LBB99_75:
	s_or_b32 exec_lo, exec_lo, s4
	v_mov_b32_e32 v4, s31
	s_waitcnt_vscnt null, 0x0
	s_barrier
	buffer_gl0_inv
	s_mov_b32 s4, exec_lo
	s_clause 0x3
	buffer_load_dword v1, v4, s[0:3], 0 offen
	buffer_load_dword v2, v4, s[0:3], 0 offen offset:4
	buffer_load_dword v3, v4, s[0:3], 0 offen offset:8
	buffer_load_dword v4, v4, s[0:3], 0 offen offset:12
	s_waitcnt vmcnt(0)
	ds_write_b128 v77, v[1:4]
	s_waitcnt lgkmcnt(0)
	s_barrier
	buffer_gl0_inv
	v_cmpx_gt_u32_e32 16, v0
	s_cbranch_execz .LBB99_79
; %bb.76:
	v_mov_b32_e32 v1, 0
	v_mov_b32_e32 v3, 0
	v_add_nc_u32_e32 v79, -1, v0
	v_add_nc_u32_e32 v80, 0x240, v83
	v_mov_b32_e32 v2, 0
	v_mov_b32_e32 v4, 0
	v_add_nc_u32_e32 v81, 16, v83
	s_mov_b32 s5, 0
	.p2align	6
.LBB99_77:                              ; =>This Inner Loop Header: Depth=1
	s_clause 0x3
	buffer_load_dword v88, v81, s[0:3], 0 offen offset:8
	buffer_load_dword v89, v81, s[0:3], 0 offen offset:12
	buffer_load_dword v90, v81, s[0:3], 0 offen
	buffer_load_dword v91, v81, s[0:3], 0 offen offset:4
	ds_read_b128 v[84:87], v80
	v_add_nc_u32_e32 v79, 1, v79
	v_add_nc_u32_e32 v80, 16, v80
	v_add_nc_u32_e32 v81, 16, v81
	v_cmp_lt_u32_e32 vcc_lo, 14, v79
	s_or_b32 s5, vcc_lo, s5
	s_waitcnt vmcnt(2) lgkmcnt(0)
	v_mul_f64 v[92:93], v[86:87], v[88:89]
	v_mul_f64 v[88:89], v[84:85], v[88:89]
	s_waitcnt vmcnt(0)
	v_fma_f64 v[84:85], v[84:85], v[90:91], -v[92:93]
	v_fma_f64 v[86:87], v[86:87], v[90:91], v[88:89]
	v_add_f64 v[3:4], v[3:4], v[84:85]
	v_add_f64 v[1:2], v[1:2], v[86:87]
	s_andn2_b32 exec_lo, exec_lo, s5
	s_cbranch_execnz .LBB99_77
; %bb.78:
	s_or_b32 exec_lo, exec_lo, s5
	v_mov_b32_e32 v79, 0
	ds_read_b128 v[79:82], v79 offset:256
	s_waitcnt lgkmcnt(0)
	v_mul_f64 v[84:85], v[1:2], v[81:82]
	v_mul_f64 v[81:82], v[3:4], v[81:82]
	v_fma_f64 v[3:4], v[3:4], v[79:80], -v[84:85]
	v_fma_f64 v[1:2], v[1:2], v[79:80], v[81:82]
	buffer_store_dword v4, off, s[0:3], 0 offset:276
	buffer_store_dword v3, off, s[0:3], 0 offset:272
	;; [unrolled: 1-line block ×4, first 2 shown]
.LBB99_79:
	s_or_b32 exec_lo, exec_lo, s4
	v_mov_b32_e32 v4, s30
	s_waitcnt_vscnt null, 0x0
	s_barrier
	buffer_gl0_inv
	s_mov_b32 s4, exec_lo
	s_clause 0x3
	buffer_load_dword v1, v4, s[0:3], 0 offen
	buffer_load_dword v2, v4, s[0:3], 0 offen offset:4
	buffer_load_dword v3, v4, s[0:3], 0 offen offset:8
	;; [unrolled: 1-line block ×3, first 2 shown]
	s_waitcnt vmcnt(0)
	ds_write_b128 v77, v[1:4]
	s_waitcnt lgkmcnt(0)
	s_barrier
	buffer_gl0_inv
	v_cmpx_gt_u32_e32 17, v0
	s_cbranch_execz .LBB99_83
; %bb.80:
	v_mov_b32_e32 v1, 0
	v_mov_b32_e32 v3, 0
	v_add_nc_u32_e32 v79, -1, v0
	v_add_nc_u32_e32 v80, 0x240, v83
	v_mov_b32_e32 v2, 0
	v_mov_b32_e32 v4, 0
	v_add_nc_u32_e32 v81, 16, v83
	s_mov_b32 s5, 0
	.p2align	6
.LBB99_81:                              ; =>This Inner Loop Header: Depth=1
	s_clause 0x3
	buffer_load_dword v88, v81, s[0:3], 0 offen offset:8
	buffer_load_dword v89, v81, s[0:3], 0 offen offset:12
	buffer_load_dword v90, v81, s[0:3], 0 offen
	buffer_load_dword v91, v81, s[0:3], 0 offen offset:4
	ds_read_b128 v[84:87], v80
	v_add_nc_u32_e32 v79, 1, v79
	v_add_nc_u32_e32 v80, 16, v80
	;; [unrolled: 1-line block ×3, first 2 shown]
	v_cmp_lt_u32_e32 vcc_lo, 15, v79
	s_or_b32 s5, vcc_lo, s5
	s_waitcnt vmcnt(2) lgkmcnt(0)
	v_mul_f64 v[92:93], v[86:87], v[88:89]
	v_mul_f64 v[88:89], v[84:85], v[88:89]
	s_waitcnt vmcnt(0)
	v_fma_f64 v[84:85], v[84:85], v[90:91], -v[92:93]
	v_fma_f64 v[86:87], v[86:87], v[90:91], v[88:89]
	v_add_f64 v[3:4], v[3:4], v[84:85]
	v_add_f64 v[1:2], v[1:2], v[86:87]
	s_andn2_b32 exec_lo, exec_lo, s5
	s_cbranch_execnz .LBB99_81
; %bb.82:
	s_or_b32 exec_lo, exec_lo, s5
	v_mov_b32_e32 v79, 0
	ds_read_b128 v[79:82], v79 offset:272
	s_waitcnt lgkmcnt(0)
	v_mul_f64 v[84:85], v[1:2], v[81:82]
	v_mul_f64 v[81:82], v[3:4], v[81:82]
	v_fma_f64 v[3:4], v[3:4], v[79:80], -v[84:85]
	v_fma_f64 v[1:2], v[1:2], v[79:80], v[81:82]
	buffer_store_dword v4, off, s[0:3], 0 offset:292
	buffer_store_dword v3, off, s[0:3], 0 offset:288
	;; [unrolled: 1-line block ×4, first 2 shown]
.LBB99_83:
	s_or_b32 exec_lo, exec_lo, s4
	v_mov_b32_e32 v4, s29
	s_waitcnt_vscnt null, 0x0
	s_barrier
	buffer_gl0_inv
	s_mov_b32 s4, exec_lo
	s_clause 0x3
	buffer_load_dword v1, v4, s[0:3], 0 offen
	buffer_load_dword v2, v4, s[0:3], 0 offen offset:4
	buffer_load_dword v3, v4, s[0:3], 0 offen offset:8
	;; [unrolled: 1-line block ×3, first 2 shown]
	s_waitcnt vmcnt(0)
	ds_write_b128 v77, v[1:4]
	s_waitcnt lgkmcnt(0)
	s_barrier
	buffer_gl0_inv
	v_cmpx_gt_u32_e32 18, v0
	s_cbranch_execz .LBB99_87
; %bb.84:
	v_mov_b32_e32 v1, 0
	v_mov_b32_e32 v3, 0
	v_add_nc_u32_e32 v79, -1, v0
	v_add_nc_u32_e32 v80, 0x240, v83
	v_mov_b32_e32 v2, 0
	v_mov_b32_e32 v4, 0
	v_add_nc_u32_e32 v81, 16, v83
	s_mov_b32 s5, 0
	.p2align	6
.LBB99_85:                              ; =>This Inner Loop Header: Depth=1
	s_clause 0x3
	buffer_load_dword v88, v81, s[0:3], 0 offen offset:8
	buffer_load_dword v89, v81, s[0:3], 0 offen offset:12
	buffer_load_dword v90, v81, s[0:3], 0 offen
	buffer_load_dword v91, v81, s[0:3], 0 offen offset:4
	ds_read_b128 v[84:87], v80
	v_add_nc_u32_e32 v79, 1, v79
	v_add_nc_u32_e32 v80, 16, v80
	;; [unrolled: 1-line block ×3, first 2 shown]
	v_cmp_lt_u32_e32 vcc_lo, 16, v79
	s_or_b32 s5, vcc_lo, s5
	s_waitcnt vmcnt(2) lgkmcnt(0)
	v_mul_f64 v[92:93], v[86:87], v[88:89]
	v_mul_f64 v[88:89], v[84:85], v[88:89]
	s_waitcnt vmcnt(0)
	v_fma_f64 v[84:85], v[84:85], v[90:91], -v[92:93]
	v_fma_f64 v[86:87], v[86:87], v[90:91], v[88:89]
	v_add_f64 v[3:4], v[3:4], v[84:85]
	v_add_f64 v[1:2], v[1:2], v[86:87]
	s_andn2_b32 exec_lo, exec_lo, s5
	s_cbranch_execnz .LBB99_85
; %bb.86:
	s_or_b32 exec_lo, exec_lo, s5
	v_mov_b32_e32 v79, 0
	ds_read_b128 v[79:82], v79 offset:288
	s_waitcnt lgkmcnt(0)
	v_mul_f64 v[84:85], v[1:2], v[81:82]
	v_mul_f64 v[81:82], v[3:4], v[81:82]
	v_fma_f64 v[3:4], v[3:4], v[79:80], -v[84:85]
	v_fma_f64 v[1:2], v[1:2], v[79:80], v[81:82]
	buffer_store_dword v4, off, s[0:3], 0 offset:308
	buffer_store_dword v3, off, s[0:3], 0 offset:304
	;; [unrolled: 1-line block ×4, first 2 shown]
.LBB99_87:
	s_or_b32 exec_lo, exec_lo, s4
	v_mov_b32_e32 v4, s28
	s_waitcnt_vscnt null, 0x0
	s_barrier
	buffer_gl0_inv
	s_mov_b32 s4, exec_lo
	s_clause 0x3
	buffer_load_dword v1, v4, s[0:3], 0 offen
	buffer_load_dword v2, v4, s[0:3], 0 offen offset:4
	buffer_load_dword v3, v4, s[0:3], 0 offen offset:8
	;; [unrolled: 1-line block ×3, first 2 shown]
	s_waitcnt vmcnt(0)
	ds_write_b128 v77, v[1:4]
	s_waitcnt lgkmcnt(0)
	s_barrier
	buffer_gl0_inv
	v_cmpx_gt_u32_e32 19, v0
	s_cbranch_execz .LBB99_91
; %bb.88:
	v_mov_b32_e32 v1, 0
	v_mov_b32_e32 v3, 0
	v_add_nc_u32_e32 v79, -1, v0
	v_add_nc_u32_e32 v80, 0x240, v83
	v_mov_b32_e32 v2, 0
	v_mov_b32_e32 v4, 0
	v_add_nc_u32_e32 v81, 16, v83
	s_mov_b32 s5, 0
	.p2align	6
.LBB99_89:                              ; =>This Inner Loop Header: Depth=1
	s_clause 0x3
	buffer_load_dword v88, v81, s[0:3], 0 offen offset:8
	buffer_load_dword v89, v81, s[0:3], 0 offen offset:12
	buffer_load_dword v90, v81, s[0:3], 0 offen
	buffer_load_dword v91, v81, s[0:3], 0 offen offset:4
	ds_read_b128 v[84:87], v80
	v_add_nc_u32_e32 v79, 1, v79
	v_add_nc_u32_e32 v80, 16, v80
	;; [unrolled: 1-line block ×3, first 2 shown]
	v_cmp_lt_u32_e32 vcc_lo, 17, v79
	s_or_b32 s5, vcc_lo, s5
	s_waitcnt vmcnt(2) lgkmcnt(0)
	v_mul_f64 v[92:93], v[86:87], v[88:89]
	v_mul_f64 v[88:89], v[84:85], v[88:89]
	s_waitcnt vmcnt(0)
	v_fma_f64 v[84:85], v[84:85], v[90:91], -v[92:93]
	v_fma_f64 v[86:87], v[86:87], v[90:91], v[88:89]
	v_add_f64 v[3:4], v[3:4], v[84:85]
	v_add_f64 v[1:2], v[1:2], v[86:87]
	s_andn2_b32 exec_lo, exec_lo, s5
	s_cbranch_execnz .LBB99_89
; %bb.90:
	s_or_b32 exec_lo, exec_lo, s5
	v_mov_b32_e32 v79, 0
	ds_read_b128 v[79:82], v79 offset:304
	s_waitcnt lgkmcnt(0)
	v_mul_f64 v[84:85], v[1:2], v[81:82]
	v_mul_f64 v[81:82], v[3:4], v[81:82]
	v_fma_f64 v[3:4], v[3:4], v[79:80], -v[84:85]
	v_fma_f64 v[1:2], v[1:2], v[79:80], v[81:82]
	buffer_store_dword v4, off, s[0:3], 0 offset:324
	buffer_store_dword v3, off, s[0:3], 0 offset:320
	;; [unrolled: 1-line block ×4, first 2 shown]
.LBB99_91:
	s_or_b32 exec_lo, exec_lo, s4
	v_mov_b32_e32 v4, s27
	s_waitcnt_vscnt null, 0x0
	s_barrier
	buffer_gl0_inv
	s_mov_b32 s4, exec_lo
	s_clause 0x3
	buffer_load_dword v1, v4, s[0:3], 0 offen
	buffer_load_dword v2, v4, s[0:3], 0 offen offset:4
	buffer_load_dword v3, v4, s[0:3], 0 offen offset:8
	;; [unrolled: 1-line block ×3, first 2 shown]
	s_waitcnt vmcnt(0)
	ds_write_b128 v77, v[1:4]
	s_waitcnt lgkmcnt(0)
	s_barrier
	buffer_gl0_inv
	v_cmpx_gt_u32_e32 20, v0
	s_cbranch_execz .LBB99_95
; %bb.92:
	v_mov_b32_e32 v1, 0
	v_mov_b32_e32 v3, 0
	v_add_nc_u32_e32 v79, -1, v0
	v_add_nc_u32_e32 v80, 0x240, v83
	v_mov_b32_e32 v2, 0
	v_mov_b32_e32 v4, 0
	v_add_nc_u32_e32 v81, 16, v83
	s_mov_b32 s5, 0
	.p2align	6
.LBB99_93:                              ; =>This Inner Loop Header: Depth=1
	s_clause 0x3
	buffer_load_dword v88, v81, s[0:3], 0 offen offset:8
	buffer_load_dword v89, v81, s[0:3], 0 offen offset:12
	buffer_load_dword v90, v81, s[0:3], 0 offen
	buffer_load_dword v91, v81, s[0:3], 0 offen offset:4
	ds_read_b128 v[84:87], v80
	v_add_nc_u32_e32 v79, 1, v79
	v_add_nc_u32_e32 v80, 16, v80
	;; [unrolled: 1-line block ×3, first 2 shown]
	v_cmp_lt_u32_e32 vcc_lo, 18, v79
	s_or_b32 s5, vcc_lo, s5
	s_waitcnt vmcnt(2) lgkmcnt(0)
	v_mul_f64 v[92:93], v[86:87], v[88:89]
	v_mul_f64 v[88:89], v[84:85], v[88:89]
	s_waitcnt vmcnt(0)
	v_fma_f64 v[84:85], v[84:85], v[90:91], -v[92:93]
	v_fma_f64 v[86:87], v[86:87], v[90:91], v[88:89]
	v_add_f64 v[3:4], v[3:4], v[84:85]
	v_add_f64 v[1:2], v[1:2], v[86:87]
	s_andn2_b32 exec_lo, exec_lo, s5
	s_cbranch_execnz .LBB99_93
; %bb.94:
	s_or_b32 exec_lo, exec_lo, s5
	v_mov_b32_e32 v79, 0
	ds_read_b128 v[79:82], v79 offset:320
	s_waitcnt lgkmcnt(0)
	v_mul_f64 v[84:85], v[1:2], v[81:82]
	v_mul_f64 v[81:82], v[3:4], v[81:82]
	v_fma_f64 v[3:4], v[3:4], v[79:80], -v[84:85]
	v_fma_f64 v[1:2], v[1:2], v[79:80], v[81:82]
	buffer_store_dword v4, off, s[0:3], 0 offset:340
	buffer_store_dword v3, off, s[0:3], 0 offset:336
	buffer_store_dword v2, off, s[0:3], 0 offset:348
	buffer_store_dword v1, off, s[0:3], 0 offset:344
.LBB99_95:
	s_or_b32 exec_lo, exec_lo, s4
	v_mov_b32_e32 v4, s26
	s_waitcnt_vscnt null, 0x0
	s_barrier
	buffer_gl0_inv
	s_mov_b32 s4, exec_lo
	s_clause 0x3
	buffer_load_dword v1, v4, s[0:3], 0 offen
	buffer_load_dword v2, v4, s[0:3], 0 offen offset:4
	buffer_load_dword v3, v4, s[0:3], 0 offen offset:8
	;; [unrolled: 1-line block ×3, first 2 shown]
	s_waitcnt vmcnt(0)
	ds_write_b128 v77, v[1:4]
	s_waitcnt lgkmcnt(0)
	s_barrier
	buffer_gl0_inv
	v_cmpx_gt_u32_e32 21, v0
	s_cbranch_execz .LBB99_99
; %bb.96:
	v_mov_b32_e32 v1, 0
	v_mov_b32_e32 v3, 0
	v_add_nc_u32_e32 v79, -1, v0
	v_add_nc_u32_e32 v80, 0x240, v83
	v_mov_b32_e32 v2, 0
	v_mov_b32_e32 v4, 0
	v_add_nc_u32_e32 v81, 16, v83
	s_mov_b32 s5, 0
	.p2align	6
.LBB99_97:                              ; =>This Inner Loop Header: Depth=1
	s_clause 0x3
	buffer_load_dword v88, v81, s[0:3], 0 offen offset:8
	buffer_load_dword v89, v81, s[0:3], 0 offen offset:12
	buffer_load_dword v90, v81, s[0:3], 0 offen
	buffer_load_dword v91, v81, s[0:3], 0 offen offset:4
	ds_read_b128 v[84:87], v80
	v_add_nc_u32_e32 v79, 1, v79
	v_add_nc_u32_e32 v80, 16, v80
	;; [unrolled: 1-line block ×3, first 2 shown]
	v_cmp_lt_u32_e32 vcc_lo, 19, v79
	s_or_b32 s5, vcc_lo, s5
	s_waitcnt vmcnt(2) lgkmcnt(0)
	v_mul_f64 v[92:93], v[86:87], v[88:89]
	v_mul_f64 v[88:89], v[84:85], v[88:89]
	s_waitcnt vmcnt(0)
	v_fma_f64 v[84:85], v[84:85], v[90:91], -v[92:93]
	v_fma_f64 v[86:87], v[86:87], v[90:91], v[88:89]
	v_add_f64 v[3:4], v[3:4], v[84:85]
	v_add_f64 v[1:2], v[1:2], v[86:87]
	s_andn2_b32 exec_lo, exec_lo, s5
	s_cbranch_execnz .LBB99_97
; %bb.98:
	s_or_b32 exec_lo, exec_lo, s5
	v_mov_b32_e32 v79, 0
	ds_read_b128 v[79:82], v79 offset:336
	s_waitcnt lgkmcnt(0)
	v_mul_f64 v[84:85], v[1:2], v[81:82]
	v_mul_f64 v[81:82], v[3:4], v[81:82]
	v_fma_f64 v[3:4], v[3:4], v[79:80], -v[84:85]
	v_fma_f64 v[1:2], v[1:2], v[79:80], v[81:82]
	buffer_store_dword v4, off, s[0:3], 0 offset:356
	buffer_store_dword v3, off, s[0:3], 0 offset:352
	;; [unrolled: 1-line block ×4, first 2 shown]
.LBB99_99:
	s_or_b32 exec_lo, exec_lo, s4
	v_mov_b32_e32 v4, s25
	s_waitcnt_vscnt null, 0x0
	s_barrier
	buffer_gl0_inv
	s_mov_b32 s4, exec_lo
	s_clause 0x3
	buffer_load_dword v1, v4, s[0:3], 0 offen
	buffer_load_dword v2, v4, s[0:3], 0 offen offset:4
	buffer_load_dword v3, v4, s[0:3], 0 offen offset:8
	;; [unrolled: 1-line block ×3, first 2 shown]
	s_waitcnt vmcnt(0)
	ds_write_b128 v77, v[1:4]
	s_waitcnt lgkmcnt(0)
	s_barrier
	buffer_gl0_inv
	v_cmpx_gt_u32_e32 22, v0
	s_cbranch_execz .LBB99_103
; %bb.100:
	v_mov_b32_e32 v1, 0
	v_mov_b32_e32 v3, 0
	v_add_nc_u32_e32 v79, -1, v0
	v_add_nc_u32_e32 v80, 0x240, v83
	v_mov_b32_e32 v2, 0
	v_mov_b32_e32 v4, 0
	v_add_nc_u32_e32 v81, 16, v83
	s_mov_b32 s5, 0
	.p2align	6
.LBB99_101:                             ; =>This Inner Loop Header: Depth=1
	s_clause 0x3
	buffer_load_dword v88, v81, s[0:3], 0 offen offset:8
	buffer_load_dword v89, v81, s[0:3], 0 offen offset:12
	buffer_load_dword v90, v81, s[0:3], 0 offen
	buffer_load_dword v91, v81, s[0:3], 0 offen offset:4
	ds_read_b128 v[84:87], v80
	v_add_nc_u32_e32 v79, 1, v79
	v_add_nc_u32_e32 v80, 16, v80
	;; [unrolled: 1-line block ×3, first 2 shown]
	v_cmp_lt_u32_e32 vcc_lo, 20, v79
	s_or_b32 s5, vcc_lo, s5
	s_waitcnt vmcnt(2) lgkmcnt(0)
	v_mul_f64 v[92:93], v[86:87], v[88:89]
	v_mul_f64 v[88:89], v[84:85], v[88:89]
	s_waitcnt vmcnt(0)
	v_fma_f64 v[84:85], v[84:85], v[90:91], -v[92:93]
	v_fma_f64 v[86:87], v[86:87], v[90:91], v[88:89]
	v_add_f64 v[3:4], v[3:4], v[84:85]
	v_add_f64 v[1:2], v[1:2], v[86:87]
	s_andn2_b32 exec_lo, exec_lo, s5
	s_cbranch_execnz .LBB99_101
; %bb.102:
	s_or_b32 exec_lo, exec_lo, s5
	v_mov_b32_e32 v79, 0
	ds_read_b128 v[79:82], v79 offset:352
	s_waitcnt lgkmcnt(0)
	v_mul_f64 v[84:85], v[1:2], v[81:82]
	v_mul_f64 v[81:82], v[3:4], v[81:82]
	v_fma_f64 v[3:4], v[3:4], v[79:80], -v[84:85]
	v_fma_f64 v[1:2], v[1:2], v[79:80], v[81:82]
	buffer_store_dword v4, off, s[0:3], 0 offset:372
	buffer_store_dword v3, off, s[0:3], 0 offset:368
	;; [unrolled: 1-line block ×4, first 2 shown]
.LBB99_103:
	s_or_b32 exec_lo, exec_lo, s4
	v_mov_b32_e32 v4, s24
	s_waitcnt_vscnt null, 0x0
	s_barrier
	buffer_gl0_inv
	s_mov_b32 s4, exec_lo
	s_clause 0x3
	buffer_load_dword v1, v4, s[0:3], 0 offen
	buffer_load_dword v2, v4, s[0:3], 0 offen offset:4
	buffer_load_dword v3, v4, s[0:3], 0 offen offset:8
	buffer_load_dword v4, v4, s[0:3], 0 offen offset:12
	s_waitcnt vmcnt(0)
	ds_write_b128 v77, v[1:4]
	s_waitcnt lgkmcnt(0)
	s_barrier
	buffer_gl0_inv
	v_cmpx_gt_u32_e32 23, v0
	s_cbranch_execz .LBB99_107
; %bb.104:
	v_mov_b32_e32 v1, 0
	v_mov_b32_e32 v3, 0
	v_add_nc_u32_e32 v79, -1, v0
	v_add_nc_u32_e32 v80, 0x240, v83
	v_mov_b32_e32 v2, 0
	v_mov_b32_e32 v4, 0
	v_add_nc_u32_e32 v81, 16, v83
	s_mov_b32 s5, 0
	.p2align	6
.LBB99_105:                             ; =>This Inner Loop Header: Depth=1
	s_clause 0x3
	buffer_load_dword v88, v81, s[0:3], 0 offen offset:8
	buffer_load_dword v89, v81, s[0:3], 0 offen offset:12
	buffer_load_dword v90, v81, s[0:3], 0 offen
	buffer_load_dword v91, v81, s[0:3], 0 offen offset:4
	ds_read_b128 v[84:87], v80
	v_add_nc_u32_e32 v79, 1, v79
	v_add_nc_u32_e32 v80, 16, v80
	;; [unrolled: 1-line block ×3, first 2 shown]
	v_cmp_lt_u32_e32 vcc_lo, 21, v79
	s_or_b32 s5, vcc_lo, s5
	s_waitcnt vmcnt(2) lgkmcnt(0)
	v_mul_f64 v[92:93], v[86:87], v[88:89]
	v_mul_f64 v[88:89], v[84:85], v[88:89]
	s_waitcnt vmcnt(0)
	v_fma_f64 v[84:85], v[84:85], v[90:91], -v[92:93]
	v_fma_f64 v[86:87], v[86:87], v[90:91], v[88:89]
	v_add_f64 v[3:4], v[3:4], v[84:85]
	v_add_f64 v[1:2], v[1:2], v[86:87]
	s_andn2_b32 exec_lo, exec_lo, s5
	s_cbranch_execnz .LBB99_105
; %bb.106:
	s_or_b32 exec_lo, exec_lo, s5
	v_mov_b32_e32 v79, 0
	ds_read_b128 v[79:82], v79 offset:368
	s_waitcnt lgkmcnt(0)
	v_mul_f64 v[84:85], v[1:2], v[81:82]
	v_mul_f64 v[81:82], v[3:4], v[81:82]
	v_fma_f64 v[3:4], v[3:4], v[79:80], -v[84:85]
	v_fma_f64 v[1:2], v[1:2], v[79:80], v[81:82]
	buffer_store_dword v4, off, s[0:3], 0 offset:388
	buffer_store_dword v3, off, s[0:3], 0 offset:384
	;; [unrolled: 1-line block ×4, first 2 shown]
.LBB99_107:
	s_or_b32 exec_lo, exec_lo, s4
	v_mov_b32_e32 v4, s23
	s_waitcnt_vscnt null, 0x0
	s_barrier
	buffer_gl0_inv
	s_mov_b32 s4, exec_lo
	s_clause 0x3
	buffer_load_dword v1, v4, s[0:3], 0 offen
	buffer_load_dword v2, v4, s[0:3], 0 offen offset:4
	buffer_load_dword v3, v4, s[0:3], 0 offen offset:8
	;; [unrolled: 1-line block ×3, first 2 shown]
	s_waitcnt vmcnt(0)
	ds_write_b128 v77, v[1:4]
	s_waitcnt lgkmcnt(0)
	s_barrier
	buffer_gl0_inv
	v_cmpx_gt_u32_e32 24, v0
	s_cbranch_execz .LBB99_111
; %bb.108:
	v_mov_b32_e32 v1, 0
	v_mov_b32_e32 v3, 0
	v_add_nc_u32_e32 v79, -1, v0
	v_add_nc_u32_e32 v80, 0x240, v83
	v_mov_b32_e32 v2, 0
	v_mov_b32_e32 v4, 0
	v_add_nc_u32_e32 v81, 16, v83
	s_mov_b32 s5, 0
	.p2align	6
.LBB99_109:                             ; =>This Inner Loop Header: Depth=1
	s_clause 0x3
	buffer_load_dword v88, v81, s[0:3], 0 offen offset:8
	buffer_load_dword v89, v81, s[0:3], 0 offen offset:12
	buffer_load_dword v90, v81, s[0:3], 0 offen
	buffer_load_dword v91, v81, s[0:3], 0 offen offset:4
	ds_read_b128 v[84:87], v80
	v_add_nc_u32_e32 v79, 1, v79
	v_add_nc_u32_e32 v80, 16, v80
	;; [unrolled: 1-line block ×3, first 2 shown]
	v_cmp_lt_u32_e32 vcc_lo, 22, v79
	s_or_b32 s5, vcc_lo, s5
	s_waitcnt vmcnt(2) lgkmcnt(0)
	v_mul_f64 v[92:93], v[86:87], v[88:89]
	v_mul_f64 v[88:89], v[84:85], v[88:89]
	s_waitcnt vmcnt(0)
	v_fma_f64 v[84:85], v[84:85], v[90:91], -v[92:93]
	v_fma_f64 v[86:87], v[86:87], v[90:91], v[88:89]
	v_add_f64 v[3:4], v[3:4], v[84:85]
	v_add_f64 v[1:2], v[1:2], v[86:87]
	s_andn2_b32 exec_lo, exec_lo, s5
	s_cbranch_execnz .LBB99_109
; %bb.110:
	s_or_b32 exec_lo, exec_lo, s5
	v_mov_b32_e32 v79, 0
	ds_read_b128 v[79:82], v79 offset:384
	s_waitcnt lgkmcnt(0)
	v_mul_f64 v[84:85], v[1:2], v[81:82]
	v_mul_f64 v[81:82], v[3:4], v[81:82]
	v_fma_f64 v[3:4], v[3:4], v[79:80], -v[84:85]
	v_fma_f64 v[1:2], v[1:2], v[79:80], v[81:82]
	buffer_store_dword v4, off, s[0:3], 0 offset:404
	buffer_store_dword v3, off, s[0:3], 0 offset:400
	;; [unrolled: 1-line block ×4, first 2 shown]
.LBB99_111:
	s_or_b32 exec_lo, exec_lo, s4
	v_mov_b32_e32 v4, s22
	s_waitcnt_vscnt null, 0x0
	s_barrier
	buffer_gl0_inv
	s_mov_b32 s4, exec_lo
	s_clause 0x3
	buffer_load_dword v1, v4, s[0:3], 0 offen
	buffer_load_dword v2, v4, s[0:3], 0 offen offset:4
	buffer_load_dword v3, v4, s[0:3], 0 offen offset:8
	buffer_load_dword v4, v4, s[0:3], 0 offen offset:12
	s_waitcnt vmcnt(0)
	ds_write_b128 v77, v[1:4]
	s_waitcnt lgkmcnt(0)
	s_barrier
	buffer_gl0_inv
	v_cmpx_gt_u32_e32 25, v0
	s_cbranch_execz .LBB99_115
; %bb.112:
	v_mov_b32_e32 v1, 0
	v_mov_b32_e32 v3, 0
	v_add_nc_u32_e32 v79, -1, v0
	v_add_nc_u32_e32 v80, 0x240, v83
	v_mov_b32_e32 v2, 0
	v_mov_b32_e32 v4, 0
	v_add_nc_u32_e32 v81, 16, v83
	s_mov_b32 s5, 0
	.p2align	6
.LBB99_113:                             ; =>This Inner Loop Header: Depth=1
	s_clause 0x3
	buffer_load_dword v88, v81, s[0:3], 0 offen offset:8
	buffer_load_dword v89, v81, s[0:3], 0 offen offset:12
	buffer_load_dword v90, v81, s[0:3], 0 offen
	buffer_load_dword v91, v81, s[0:3], 0 offen offset:4
	ds_read_b128 v[84:87], v80
	v_add_nc_u32_e32 v79, 1, v79
	v_add_nc_u32_e32 v80, 16, v80
	v_add_nc_u32_e32 v81, 16, v81
	v_cmp_lt_u32_e32 vcc_lo, 23, v79
	s_or_b32 s5, vcc_lo, s5
	s_waitcnt vmcnt(2) lgkmcnt(0)
	v_mul_f64 v[92:93], v[86:87], v[88:89]
	v_mul_f64 v[88:89], v[84:85], v[88:89]
	s_waitcnt vmcnt(0)
	v_fma_f64 v[84:85], v[84:85], v[90:91], -v[92:93]
	v_fma_f64 v[86:87], v[86:87], v[90:91], v[88:89]
	v_add_f64 v[3:4], v[3:4], v[84:85]
	v_add_f64 v[1:2], v[1:2], v[86:87]
	s_andn2_b32 exec_lo, exec_lo, s5
	s_cbranch_execnz .LBB99_113
; %bb.114:
	s_or_b32 exec_lo, exec_lo, s5
	v_mov_b32_e32 v79, 0
	ds_read_b128 v[79:82], v79 offset:400
	s_waitcnt lgkmcnt(0)
	v_mul_f64 v[84:85], v[1:2], v[81:82]
	v_mul_f64 v[81:82], v[3:4], v[81:82]
	v_fma_f64 v[3:4], v[3:4], v[79:80], -v[84:85]
	v_fma_f64 v[1:2], v[1:2], v[79:80], v[81:82]
	buffer_store_dword v4, off, s[0:3], 0 offset:420
	buffer_store_dword v3, off, s[0:3], 0 offset:416
	;; [unrolled: 1-line block ×4, first 2 shown]
.LBB99_115:
	s_or_b32 exec_lo, exec_lo, s4
	v_mov_b32_e32 v4, s21
	s_waitcnt_vscnt null, 0x0
	s_barrier
	buffer_gl0_inv
	s_mov_b32 s4, exec_lo
	s_clause 0x3
	buffer_load_dword v1, v4, s[0:3], 0 offen
	buffer_load_dword v2, v4, s[0:3], 0 offen offset:4
	buffer_load_dword v3, v4, s[0:3], 0 offen offset:8
	;; [unrolled: 1-line block ×3, first 2 shown]
	s_waitcnt vmcnt(0)
	ds_write_b128 v77, v[1:4]
	s_waitcnt lgkmcnt(0)
	s_barrier
	buffer_gl0_inv
	v_cmpx_gt_u32_e32 26, v0
	s_cbranch_execz .LBB99_119
; %bb.116:
	v_mov_b32_e32 v1, 0
	v_mov_b32_e32 v3, 0
	v_add_nc_u32_e32 v79, -1, v0
	v_add_nc_u32_e32 v80, 0x240, v83
	v_mov_b32_e32 v2, 0
	v_mov_b32_e32 v4, 0
	v_add_nc_u32_e32 v81, 16, v83
	s_mov_b32 s5, 0
	.p2align	6
.LBB99_117:                             ; =>This Inner Loop Header: Depth=1
	s_clause 0x3
	buffer_load_dword v88, v81, s[0:3], 0 offen offset:8
	buffer_load_dword v89, v81, s[0:3], 0 offen offset:12
	buffer_load_dword v90, v81, s[0:3], 0 offen
	buffer_load_dword v91, v81, s[0:3], 0 offen offset:4
	ds_read_b128 v[84:87], v80
	v_add_nc_u32_e32 v79, 1, v79
	v_add_nc_u32_e32 v80, 16, v80
	;; [unrolled: 1-line block ×3, first 2 shown]
	v_cmp_lt_u32_e32 vcc_lo, 24, v79
	s_or_b32 s5, vcc_lo, s5
	s_waitcnt vmcnt(2) lgkmcnt(0)
	v_mul_f64 v[92:93], v[86:87], v[88:89]
	v_mul_f64 v[88:89], v[84:85], v[88:89]
	s_waitcnt vmcnt(0)
	v_fma_f64 v[84:85], v[84:85], v[90:91], -v[92:93]
	v_fma_f64 v[86:87], v[86:87], v[90:91], v[88:89]
	v_add_f64 v[3:4], v[3:4], v[84:85]
	v_add_f64 v[1:2], v[1:2], v[86:87]
	s_andn2_b32 exec_lo, exec_lo, s5
	s_cbranch_execnz .LBB99_117
; %bb.118:
	s_or_b32 exec_lo, exec_lo, s5
	v_mov_b32_e32 v79, 0
	ds_read_b128 v[79:82], v79 offset:416
	s_waitcnt lgkmcnt(0)
	v_mul_f64 v[84:85], v[1:2], v[81:82]
	v_mul_f64 v[81:82], v[3:4], v[81:82]
	v_fma_f64 v[3:4], v[3:4], v[79:80], -v[84:85]
	v_fma_f64 v[1:2], v[1:2], v[79:80], v[81:82]
	buffer_store_dword v4, off, s[0:3], 0 offset:436
	buffer_store_dword v3, off, s[0:3], 0 offset:432
	;; [unrolled: 1-line block ×4, first 2 shown]
.LBB99_119:
	s_or_b32 exec_lo, exec_lo, s4
	v_mov_b32_e32 v4, s20
	s_waitcnt_vscnt null, 0x0
	s_barrier
	buffer_gl0_inv
	s_mov_b32 s4, exec_lo
	s_clause 0x3
	buffer_load_dword v1, v4, s[0:3], 0 offen
	buffer_load_dword v2, v4, s[0:3], 0 offen offset:4
	buffer_load_dword v3, v4, s[0:3], 0 offen offset:8
	;; [unrolled: 1-line block ×3, first 2 shown]
	s_waitcnt vmcnt(0)
	ds_write_b128 v77, v[1:4]
	s_waitcnt lgkmcnt(0)
	s_barrier
	buffer_gl0_inv
	v_cmpx_gt_u32_e32 27, v0
	s_cbranch_execz .LBB99_123
; %bb.120:
	v_mov_b32_e32 v1, 0
	v_mov_b32_e32 v3, 0
	v_add_nc_u32_e32 v79, -1, v0
	v_add_nc_u32_e32 v80, 0x240, v83
	v_mov_b32_e32 v2, 0
	v_mov_b32_e32 v4, 0
	v_add_nc_u32_e32 v81, 16, v83
	s_mov_b32 s5, 0
	.p2align	6
.LBB99_121:                             ; =>This Inner Loop Header: Depth=1
	s_clause 0x3
	buffer_load_dword v88, v81, s[0:3], 0 offen offset:8
	buffer_load_dword v89, v81, s[0:3], 0 offen offset:12
	buffer_load_dword v90, v81, s[0:3], 0 offen
	buffer_load_dword v91, v81, s[0:3], 0 offen offset:4
	ds_read_b128 v[84:87], v80
	v_add_nc_u32_e32 v79, 1, v79
	v_add_nc_u32_e32 v80, 16, v80
	;; [unrolled: 1-line block ×3, first 2 shown]
	v_cmp_lt_u32_e32 vcc_lo, 25, v79
	s_or_b32 s5, vcc_lo, s5
	s_waitcnt vmcnt(2) lgkmcnt(0)
	v_mul_f64 v[92:93], v[86:87], v[88:89]
	v_mul_f64 v[88:89], v[84:85], v[88:89]
	s_waitcnt vmcnt(0)
	v_fma_f64 v[84:85], v[84:85], v[90:91], -v[92:93]
	v_fma_f64 v[86:87], v[86:87], v[90:91], v[88:89]
	v_add_f64 v[3:4], v[3:4], v[84:85]
	v_add_f64 v[1:2], v[1:2], v[86:87]
	s_andn2_b32 exec_lo, exec_lo, s5
	s_cbranch_execnz .LBB99_121
; %bb.122:
	s_or_b32 exec_lo, exec_lo, s5
	v_mov_b32_e32 v79, 0
	ds_read_b128 v[79:82], v79 offset:432
	s_waitcnt lgkmcnt(0)
	v_mul_f64 v[84:85], v[1:2], v[81:82]
	v_mul_f64 v[81:82], v[3:4], v[81:82]
	v_fma_f64 v[3:4], v[3:4], v[79:80], -v[84:85]
	v_fma_f64 v[1:2], v[1:2], v[79:80], v[81:82]
	buffer_store_dword v4, off, s[0:3], 0 offset:452
	buffer_store_dword v3, off, s[0:3], 0 offset:448
	;; [unrolled: 1-line block ×4, first 2 shown]
.LBB99_123:
	s_or_b32 exec_lo, exec_lo, s4
	v_mov_b32_e32 v4, s19
	s_waitcnt_vscnt null, 0x0
	s_barrier
	buffer_gl0_inv
	s_mov_b32 s4, exec_lo
	s_clause 0x3
	buffer_load_dword v1, v4, s[0:3], 0 offen
	buffer_load_dword v2, v4, s[0:3], 0 offen offset:4
	buffer_load_dword v3, v4, s[0:3], 0 offen offset:8
	;; [unrolled: 1-line block ×3, first 2 shown]
	s_waitcnt vmcnt(0)
	ds_write_b128 v77, v[1:4]
	s_waitcnt lgkmcnt(0)
	s_barrier
	buffer_gl0_inv
	v_cmpx_gt_u32_e32 28, v0
	s_cbranch_execz .LBB99_127
; %bb.124:
	v_mov_b32_e32 v1, 0
	v_mov_b32_e32 v3, 0
	v_add_nc_u32_e32 v79, -1, v0
	v_add_nc_u32_e32 v80, 0x240, v83
	v_mov_b32_e32 v2, 0
	v_mov_b32_e32 v4, 0
	v_add_nc_u32_e32 v81, 16, v83
	s_mov_b32 s5, 0
	.p2align	6
.LBB99_125:                             ; =>This Inner Loop Header: Depth=1
	s_clause 0x3
	buffer_load_dword v88, v81, s[0:3], 0 offen offset:8
	buffer_load_dword v89, v81, s[0:3], 0 offen offset:12
	buffer_load_dword v90, v81, s[0:3], 0 offen
	buffer_load_dword v91, v81, s[0:3], 0 offen offset:4
	ds_read_b128 v[84:87], v80
	v_add_nc_u32_e32 v79, 1, v79
	v_add_nc_u32_e32 v80, 16, v80
	;; [unrolled: 1-line block ×3, first 2 shown]
	v_cmp_lt_u32_e32 vcc_lo, 26, v79
	s_or_b32 s5, vcc_lo, s5
	s_waitcnt vmcnt(2) lgkmcnt(0)
	v_mul_f64 v[92:93], v[86:87], v[88:89]
	v_mul_f64 v[88:89], v[84:85], v[88:89]
	s_waitcnt vmcnt(0)
	v_fma_f64 v[84:85], v[84:85], v[90:91], -v[92:93]
	v_fma_f64 v[86:87], v[86:87], v[90:91], v[88:89]
	v_add_f64 v[3:4], v[3:4], v[84:85]
	v_add_f64 v[1:2], v[1:2], v[86:87]
	s_andn2_b32 exec_lo, exec_lo, s5
	s_cbranch_execnz .LBB99_125
; %bb.126:
	s_or_b32 exec_lo, exec_lo, s5
	v_mov_b32_e32 v79, 0
	ds_read_b128 v[79:82], v79 offset:448
	s_waitcnt lgkmcnt(0)
	v_mul_f64 v[84:85], v[1:2], v[81:82]
	v_mul_f64 v[81:82], v[3:4], v[81:82]
	v_fma_f64 v[3:4], v[3:4], v[79:80], -v[84:85]
	v_fma_f64 v[1:2], v[1:2], v[79:80], v[81:82]
	buffer_store_dword v4, off, s[0:3], 0 offset:468
	buffer_store_dword v3, off, s[0:3], 0 offset:464
	;; [unrolled: 1-line block ×4, first 2 shown]
.LBB99_127:
	s_or_b32 exec_lo, exec_lo, s4
	v_mov_b32_e32 v4, s18
	s_waitcnt_vscnt null, 0x0
	s_barrier
	buffer_gl0_inv
	s_mov_b32 s4, exec_lo
	s_clause 0x3
	buffer_load_dword v1, v4, s[0:3], 0 offen
	buffer_load_dword v2, v4, s[0:3], 0 offen offset:4
	buffer_load_dword v3, v4, s[0:3], 0 offen offset:8
	;; [unrolled: 1-line block ×3, first 2 shown]
	s_waitcnt vmcnt(0)
	ds_write_b128 v77, v[1:4]
	s_waitcnt lgkmcnt(0)
	s_barrier
	buffer_gl0_inv
	v_cmpx_gt_u32_e32 29, v0
	s_cbranch_execz .LBB99_131
; %bb.128:
	v_mov_b32_e32 v1, 0
	v_mov_b32_e32 v3, 0
	v_add_nc_u32_e32 v79, -1, v0
	v_add_nc_u32_e32 v80, 0x240, v83
	v_mov_b32_e32 v2, 0
	v_mov_b32_e32 v4, 0
	v_add_nc_u32_e32 v81, 16, v83
	s_mov_b32 s5, 0
	.p2align	6
.LBB99_129:                             ; =>This Inner Loop Header: Depth=1
	s_clause 0x3
	buffer_load_dword v88, v81, s[0:3], 0 offen offset:8
	buffer_load_dword v89, v81, s[0:3], 0 offen offset:12
	buffer_load_dword v90, v81, s[0:3], 0 offen
	buffer_load_dword v91, v81, s[0:3], 0 offen offset:4
	ds_read_b128 v[84:87], v80
	v_add_nc_u32_e32 v79, 1, v79
	v_add_nc_u32_e32 v80, 16, v80
	;; [unrolled: 1-line block ×3, first 2 shown]
	v_cmp_lt_u32_e32 vcc_lo, 27, v79
	s_or_b32 s5, vcc_lo, s5
	s_waitcnt vmcnt(2) lgkmcnt(0)
	v_mul_f64 v[92:93], v[86:87], v[88:89]
	v_mul_f64 v[88:89], v[84:85], v[88:89]
	s_waitcnt vmcnt(0)
	v_fma_f64 v[84:85], v[84:85], v[90:91], -v[92:93]
	v_fma_f64 v[86:87], v[86:87], v[90:91], v[88:89]
	v_add_f64 v[3:4], v[3:4], v[84:85]
	v_add_f64 v[1:2], v[1:2], v[86:87]
	s_andn2_b32 exec_lo, exec_lo, s5
	s_cbranch_execnz .LBB99_129
; %bb.130:
	s_or_b32 exec_lo, exec_lo, s5
	v_mov_b32_e32 v79, 0
	ds_read_b128 v[79:82], v79 offset:464
	s_waitcnt lgkmcnt(0)
	v_mul_f64 v[84:85], v[1:2], v[81:82]
	v_mul_f64 v[81:82], v[3:4], v[81:82]
	v_fma_f64 v[3:4], v[3:4], v[79:80], -v[84:85]
	v_fma_f64 v[1:2], v[1:2], v[79:80], v[81:82]
	buffer_store_dword v4, off, s[0:3], 0 offset:484
	buffer_store_dword v3, off, s[0:3], 0 offset:480
	;; [unrolled: 1-line block ×4, first 2 shown]
.LBB99_131:
	s_or_b32 exec_lo, exec_lo, s4
	v_mov_b32_e32 v4, s17
	s_waitcnt_vscnt null, 0x0
	s_barrier
	buffer_gl0_inv
	s_mov_b32 s4, exec_lo
	s_clause 0x3
	buffer_load_dword v1, v4, s[0:3], 0 offen
	buffer_load_dword v2, v4, s[0:3], 0 offen offset:4
	buffer_load_dword v3, v4, s[0:3], 0 offen offset:8
	;; [unrolled: 1-line block ×3, first 2 shown]
	s_waitcnt vmcnt(0)
	ds_write_b128 v77, v[1:4]
	s_waitcnt lgkmcnt(0)
	s_barrier
	buffer_gl0_inv
	v_cmpx_gt_u32_e32 30, v0
	s_cbranch_execz .LBB99_135
; %bb.132:
	v_mov_b32_e32 v1, 0
	v_mov_b32_e32 v3, 0
	v_add_nc_u32_e32 v79, -1, v0
	v_add_nc_u32_e32 v80, 0x240, v83
	v_mov_b32_e32 v2, 0
	v_mov_b32_e32 v4, 0
	v_add_nc_u32_e32 v81, 16, v83
	s_mov_b32 s5, 0
	.p2align	6
.LBB99_133:                             ; =>This Inner Loop Header: Depth=1
	s_clause 0x3
	buffer_load_dword v88, v81, s[0:3], 0 offen offset:8
	buffer_load_dword v89, v81, s[0:3], 0 offen offset:12
	buffer_load_dword v90, v81, s[0:3], 0 offen
	buffer_load_dword v91, v81, s[0:3], 0 offen offset:4
	ds_read_b128 v[84:87], v80
	v_add_nc_u32_e32 v79, 1, v79
	v_add_nc_u32_e32 v80, 16, v80
	v_add_nc_u32_e32 v81, 16, v81
	v_cmp_lt_u32_e32 vcc_lo, 28, v79
	s_or_b32 s5, vcc_lo, s5
	s_waitcnt vmcnt(2) lgkmcnt(0)
	v_mul_f64 v[92:93], v[86:87], v[88:89]
	v_mul_f64 v[88:89], v[84:85], v[88:89]
	s_waitcnt vmcnt(0)
	v_fma_f64 v[84:85], v[84:85], v[90:91], -v[92:93]
	v_fma_f64 v[86:87], v[86:87], v[90:91], v[88:89]
	v_add_f64 v[3:4], v[3:4], v[84:85]
	v_add_f64 v[1:2], v[1:2], v[86:87]
	s_andn2_b32 exec_lo, exec_lo, s5
	s_cbranch_execnz .LBB99_133
; %bb.134:
	s_or_b32 exec_lo, exec_lo, s5
	v_mov_b32_e32 v79, 0
	ds_read_b128 v[79:82], v79 offset:480
	s_waitcnt lgkmcnt(0)
	v_mul_f64 v[84:85], v[1:2], v[81:82]
	v_mul_f64 v[81:82], v[3:4], v[81:82]
	v_fma_f64 v[3:4], v[3:4], v[79:80], -v[84:85]
	v_fma_f64 v[1:2], v[1:2], v[79:80], v[81:82]
	buffer_store_dword v4, off, s[0:3], 0 offset:500
	buffer_store_dword v3, off, s[0:3], 0 offset:496
	;; [unrolled: 1-line block ×4, first 2 shown]
.LBB99_135:
	s_or_b32 exec_lo, exec_lo, s4
	v_mov_b32_e32 v4, s16
	s_waitcnt_vscnt null, 0x0
	s_barrier
	buffer_gl0_inv
	s_mov_b32 s4, exec_lo
	s_clause 0x3
	buffer_load_dword v1, v4, s[0:3], 0 offen
	buffer_load_dword v2, v4, s[0:3], 0 offen offset:4
	buffer_load_dword v3, v4, s[0:3], 0 offen offset:8
	;; [unrolled: 1-line block ×3, first 2 shown]
	s_waitcnt vmcnt(0)
	ds_write_b128 v77, v[1:4]
	s_waitcnt lgkmcnt(0)
	s_barrier
	buffer_gl0_inv
	v_cmpx_gt_u32_e32 31, v0
	s_cbranch_execz .LBB99_139
; %bb.136:
	v_mov_b32_e32 v1, 0
	v_mov_b32_e32 v3, 0
	v_add_nc_u32_e32 v79, -1, v0
	v_add_nc_u32_e32 v80, 0x240, v83
	v_mov_b32_e32 v2, 0
	v_mov_b32_e32 v4, 0
	v_add_nc_u32_e32 v81, 16, v83
	s_mov_b32 s5, 0
	.p2align	6
.LBB99_137:                             ; =>This Inner Loop Header: Depth=1
	s_clause 0x3
	buffer_load_dword v88, v81, s[0:3], 0 offen offset:8
	buffer_load_dword v89, v81, s[0:3], 0 offen offset:12
	buffer_load_dword v90, v81, s[0:3], 0 offen
	buffer_load_dword v91, v81, s[0:3], 0 offen offset:4
	ds_read_b128 v[84:87], v80
	v_add_nc_u32_e32 v79, 1, v79
	v_add_nc_u32_e32 v80, 16, v80
	;; [unrolled: 1-line block ×3, first 2 shown]
	v_cmp_lt_u32_e32 vcc_lo, 29, v79
	s_or_b32 s5, vcc_lo, s5
	s_waitcnt vmcnt(2) lgkmcnt(0)
	v_mul_f64 v[92:93], v[86:87], v[88:89]
	v_mul_f64 v[88:89], v[84:85], v[88:89]
	s_waitcnt vmcnt(0)
	v_fma_f64 v[84:85], v[84:85], v[90:91], -v[92:93]
	v_fma_f64 v[86:87], v[86:87], v[90:91], v[88:89]
	v_add_f64 v[3:4], v[3:4], v[84:85]
	v_add_f64 v[1:2], v[1:2], v[86:87]
	s_andn2_b32 exec_lo, exec_lo, s5
	s_cbranch_execnz .LBB99_137
; %bb.138:
	s_or_b32 exec_lo, exec_lo, s5
	v_mov_b32_e32 v79, 0
	ds_read_b128 v[79:82], v79 offset:496
	s_waitcnt lgkmcnt(0)
	v_mul_f64 v[84:85], v[1:2], v[81:82]
	v_mul_f64 v[81:82], v[3:4], v[81:82]
	v_fma_f64 v[3:4], v[3:4], v[79:80], -v[84:85]
	v_fma_f64 v[1:2], v[1:2], v[79:80], v[81:82]
	buffer_store_dword v4, off, s[0:3], 0 offset:516
	buffer_store_dword v3, off, s[0:3], 0 offset:512
	;; [unrolled: 1-line block ×4, first 2 shown]
.LBB99_139:
	s_or_b32 exec_lo, exec_lo, s4
	v_mov_b32_e32 v4, s15
	s_waitcnt_vscnt null, 0x0
	s_barrier
	buffer_gl0_inv
	s_mov_b32 s4, exec_lo
	s_clause 0x3
	buffer_load_dword v1, v4, s[0:3], 0 offen
	buffer_load_dword v2, v4, s[0:3], 0 offen offset:4
	buffer_load_dword v3, v4, s[0:3], 0 offen offset:8
	;; [unrolled: 1-line block ×3, first 2 shown]
	s_waitcnt vmcnt(0)
	ds_write_b128 v77, v[1:4]
	s_waitcnt lgkmcnt(0)
	s_barrier
	buffer_gl0_inv
	v_cmpx_gt_u32_e32 32, v0
	s_cbranch_execz .LBB99_143
; %bb.140:
	v_mov_b32_e32 v1, 0
	v_mov_b32_e32 v3, 0
	v_add_nc_u32_e32 v79, -1, v0
	v_add_nc_u32_e32 v80, 0x240, v83
	v_mov_b32_e32 v2, 0
	v_mov_b32_e32 v4, 0
	v_add_nc_u32_e32 v81, 16, v83
	s_mov_b32 s5, 0
	.p2align	6
.LBB99_141:                             ; =>This Inner Loop Header: Depth=1
	s_clause 0x3
	buffer_load_dword v88, v81, s[0:3], 0 offen offset:8
	buffer_load_dword v89, v81, s[0:3], 0 offen offset:12
	buffer_load_dword v90, v81, s[0:3], 0 offen
	buffer_load_dword v91, v81, s[0:3], 0 offen offset:4
	ds_read_b128 v[84:87], v80
	v_add_nc_u32_e32 v79, 1, v79
	v_add_nc_u32_e32 v80, 16, v80
	;; [unrolled: 1-line block ×3, first 2 shown]
	v_cmp_lt_u32_e32 vcc_lo, 30, v79
	s_or_b32 s5, vcc_lo, s5
	s_waitcnt vmcnt(2) lgkmcnt(0)
	v_mul_f64 v[92:93], v[86:87], v[88:89]
	v_mul_f64 v[88:89], v[84:85], v[88:89]
	s_waitcnt vmcnt(0)
	v_fma_f64 v[84:85], v[84:85], v[90:91], -v[92:93]
	v_fma_f64 v[86:87], v[86:87], v[90:91], v[88:89]
	v_add_f64 v[3:4], v[3:4], v[84:85]
	v_add_f64 v[1:2], v[1:2], v[86:87]
	s_andn2_b32 exec_lo, exec_lo, s5
	s_cbranch_execnz .LBB99_141
; %bb.142:
	s_or_b32 exec_lo, exec_lo, s5
	v_mov_b32_e32 v79, 0
	ds_read_b128 v[79:82], v79 offset:512
	s_waitcnt lgkmcnt(0)
	v_mul_f64 v[84:85], v[1:2], v[81:82]
	v_mul_f64 v[81:82], v[3:4], v[81:82]
	v_fma_f64 v[3:4], v[3:4], v[79:80], -v[84:85]
	v_fma_f64 v[1:2], v[1:2], v[79:80], v[81:82]
	buffer_store_dword v4, off, s[0:3], 0 offset:532
	buffer_store_dword v3, off, s[0:3], 0 offset:528
	;; [unrolled: 1-line block ×4, first 2 shown]
.LBB99_143:
	s_or_b32 exec_lo, exec_lo, s4
	v_mov_b32_e32 v4, s14
	s_waitcnt_vscnt null, 0x0
	s_barrier
	buffer_gl0_inv
	s_mov_b32 s4, exec_lo
	s_clause 0x3
	buffer_load_dword v1, v4, s[0:3], 0 offen
	buffer_load_dword v2, v4, s[0:3], 0 offen offset:4
	buffer_load_dword v3, v4, s[0:3], 0 offen offset:8
	;; [unrolled: 1-line block ×3, first 2 shown]
	s_waitcnt vmcnt(0)
	ds_write_b128 v77, v[1:4]
	s_waitcnt lgkmcnt(0)
	s_barrier
	buffer_gl0_inv
	v_cmpx_gt_u32_e32 33, v0
	s_cbranch_execz .LBB99_147
; %bb.144:
	v_mov_b32_e32 v1, 0
	v_mov_b32_e32 v3, 0
	v_add_nc_u32_e32 v79, -1, v0
	v_add_nc_u32_e32 v80, 0x240, v83
	v_mov_b32_e32 v2, 0
	v_mov_b32_e32 v4, 0
	v_add_nc_u32_e32 v81, 16, v83
	s_mov_b32 s5, 0
	.p2align	6
.LBB99_145:                             ; =>This Inner Loop Header: Depth=1
	s_clause 0x3
	buffer_load_dword v88, v81, s[0:3], 0 offen offset:8
	buffer_load_dword v89, v81, s[0:3], 0 offen offset:12
	buffer_load_dword v90, v81, s[0:3], 0 offen
	buffer_load_dword v91, v81, s[0:3], 0 offen offset:4
	ds_read_b128 v[84:87], v80
	v_add_nc_u32_e32 v79, 1, v79
	v_add_nc_u32_e32 v80, 16, v80
	;; [unrolled: 1-line block ×3, first 2 shown]
	v_cmp_lt_u32_e32 vcc_lo, 31, v79
	s_or_b32 s5, vcc_lo, s5
	s_waitcnt vmcnt(2) lgkmcnt(0)
	v_mul_f64 v[92:93], v[86:87], v[88:89]
	v_mul_f64 v[88:89], v[84:85], v[88:89]
	s_waitcnt vmcnt(0)
	v_fma_f64 v[84:85], v[84:85], v[90:91], -v[92:93]
	v_fma_f64 v[86:87], v[86:87], v[90:91], v[88:89]
	v_add_f64 v[3:4], v[3:4], v[84:85]
	v_add_f64 v[1:2], v[1:2], v[86:87]
	s_andn2_b32 exec_lo, exec_lo, s5
	s_cbranch_execnz .LBB99_145
; %bb.146:
	s_or_b32 exec_lo, exec_lo, s5
	v_mov_b32_e32 v79, 0
	ds_read_b128 v[79:82], v79 offset:528
	s_waitcnt lgkmcnt(0)
	v_mul_f64 v[84:85], v[1:2], v[81:82]
	v_mul_f64 v[81:82], v[3:4], v[81:82]
	v_fma_f64 v[3:4], v[3:4], v[79:80], -v[84:85]
	v_fma_f64 v[1:2], v[1:2], v[79:80], v[81:82]
	buffer_store_dword v4, off, s[0:3], 0 offset:548
	buffer_store_dword v3, off, s[0:3], 0 offset:544
	;; [unrolled: 1-line block ×4, first 2 shown]
.LBB99_147:
	s_or_b32 exec_lo, exec_lo, s4
	v_mov_b32_e32 v4, s9
	s_waitcnt_vscnt null, 0x0
	s_barrier
	buffer_gl0_inv
	s_mov_b32 s4, exec_lo
	s_clause 0x3
	buffer_load_dword v1, v4, s[0:3], 0 offen
	buffer_load_dword v2, v4, s[0:3], 0 offen offset:4
	buffer_load_dword v3, v4, s[0:3], 0 offen offset:8
	;; [unrolled: 1-line block ×3, first 2 shown]
	s_waitcnt vmcnt(0)
	ds_write_b128 v77, v[1:4]
	s_waitcnt lgkmcnt(0)
	s_barrier
	buffer_gl0_inv
	v_cmpx_gt_u32_e32 34, v0
	s_cbranch_execz .LBB99_151
; %bb.148:
	v_mov_b32_e32 v1, 0
	v_mov_b32_e32 v3, 0
	v_add_nc_u32_e32 v79, -1, v0
	v_add_nc_u32_e32 v80, 0x240, v83
	v_mov_b32_e32 v2, 0
	v_mov_b32_e32 v4, 0
	v_add_nc_u32_e32 v81, 16, v83
	s_mov_b32 s5, 0
	.p2align	6
.LBB99_149:                             ; =>This Inner Loop Header: Depth=1
	s_clause 0x3
	buffer_load_dword v88, v81, s[0:3], 0 offen offset:8
	buffer_load_dword v89, v81, s[0:3], 0 offen offset:12
	buffer_load_dword v90, v81, s[0:3], 0 offen
	buffer_load_dword v91, v81, s[0:3], 0 offen offset:4
	ds_read_b128 v[84:87], v80
	v_add_nc_u32_e32 v79, 1, v79
	v_add_nc_u32_e32 v80, 16, v80
	;; [unrolled: 1-line block ×3, first 2 shown]
	v_cmp_lt_u32_e32 vcc_lo, 32, v79
	s_or_b32 s5, vcc_lo, s5
	s_waitcnt vmcnt(2) lgkmcnt(0)
	v_mul_f64 v[92:93], v[86:87], v[88:89]
	v_mul_f64 v[88:89], v[84:85], v[88:89]
	s_waitcnt vmcnt(0)
	v_fma_f64 v[84:85], v[84:85], v[90:91], -v[92:93]
	v_fma_f64 v[86:87], v[86:87], v[90:91], v[88:89]
	v_add_f64 v[3:4], v[3:4], v[84:85]
	v_add_f64 v[1:2], v[1:2], v[86:87]
	s_andn2_b32 exec_lo, exec_lo, s5
	s_cbranch_execnz .LBB99_149
; %bb.150:
	s_or_b32 exec_lo, exec_lo, s5
	v_mov_b32_e32 v79, 0
	ds_read_b128 v[79:82], v79 offset:544
	s_waitcnt lgkmcnt(0)
	v_mul_f64 v[84:85], v[1:2], v[81:82]
	v_mul_f64 v[81:82], v[3:4], v[81:82]
	v_fma_f64 v[3:4], v[3:4], v[79:80], -v[84:85]
	v_fma_f64 v[1:2], v[1:2], v[79:80], v[81:82]
	buffer_store_dword v4, off, s[0:3], 0 offset:564
	buffer_store_dword v3, off, s[0:3], 0 offset:560
	;; [unrolled: 1-line block ×4, first 2 shown]
.LBB99_151:
	s_or_b32 exec_lo, exec_lo, s4
	v_mov_b32_e32 v4, s8
	s_waitcnt_vscnt null, 0x0
	s_barrier
	buffer_gl0_inv
	s_mov_b32 s4, exec_lo
	s_clause 0x3
	buffer_load_dword v1, v4, s[0:3], 0 offen
	buffer_load_dword v2, v4, s[0:3], 0 offen offset:4
	buffer_load_dword v3, v4, s[0:3], 0 offen offset:8
	;; [unrolled: 1-line block ×3, first 2 shown]
	s_waitcnt vmcnt(0)
	ds_write_b128 v77, v[1:4]
	s_waitcnt lgkmcnt(0)
	s_barrier
	buffer_gl0_inv
	v_cmpx_ne_u32_e32 35, v0
	s_cbranch_execz .LBB99_155
; %bb.152:
	v_mov_b32_e32 v1, 0
	v_mov_b32_e32 v3, 0
	v_mov_b32_e32 v2, 0
	v_mov_b32_e32 v4, 0
	v_add_nc_u32_e32 v79, 16, v83
	s_mov_b32 s5, 0
	.p2align	6
.LBB99_153:                             ; =>This Inner Loop Header: Depth=1
	s_clause 0x3
	buffer_load_dword v84, v79, s[0:3], 0 offen offset:8
	buffer_load_dword v85, v79, s[0:3], 0 offen offset:12
	buffer_load_dword v86, v79, s[0:3], 0 offen
	buffer_load_dword v87, v79, s[0:3], 0 offen offset:4
	ds_read_b128 v[80:83], v77
	v_add_nc_u32_e32 v78, 1, v78
	v_add_nc_u32_e32 v77, 16, v77
	;; [unrolled: 1-line block ×3, first 2 shown]
	v_cmp_lt_u32_e32 vcc_lo, 33, v78
	s_or_b32 s5, vcc_lo, s5
	s_waitcnt vmcnt(2) lgkmcnt(0)
	v_mul_f64 v[88:89], v[82:83], v[84:85]
	v_mul_f64 v[84:85], v[80:81], v[84:85]
	s_waitcnt vmcnt(0)
	v_fma_f64 v[80:81], v[80:81], v[86:87], -v[88:89]
	v_fma_f64 v[82:83], v[82:83], v[86:87], v[84:85]
	v_add_f64 v[3:4], v[3:4], v[80:81]
	v_add_f64 v[1:2], v[1:2], v[82:83]
	s_andn2_b32 exec_lo, exec_lo, s5
	s_cbranch_execnz .LBB99_153
; %bb.154:
	s_or_b32 exec_lo, exec_lo, s5
	v_mov_b32_e32 v77, 0
	ds_read_b128 v[77:80], v77 offset:560
	s_waitcnt lgkmcnt(0)
	v_mul_f64 v[81:82], v[1:2], v[79:80]
	v_mul_f64 v[79:80], v[3:4], v[79:80]
	v_fma_f64 v[3:4], v[3:4], v[77:78], -v[81:82]
	v_fma_f64 v[1:2], v[1:2], v[77:78], v[79:80]
	buffer_store_dword v4, off, s[0:3], 0 offset:580
	buffer_store_dword v3, off, s[0:3], 0 offset:576
	;; [unrolled: 1-line block ×4, first 2 shown]
.LBB99_155:
	s_or_b32 exec_lo, exec_lo, s4
	s_mov_b32 s5, -1
	s_waitcnt_vscnt null, 0x0
	s_barrier
	buffer_gl0_inv
.LBB99_156:
	s_and_b32 vcc_lo, exec_lo, s5
	s_cbranch_vccz .LBB99_158
; %bb.157:
	s_lshl_b64 s[4:5], s[6:7], 2
	v_mov_b32_e32 v1, 0
	s_add_u32 s4, s10, s4
	s_addc_u32 s5, s11, s5
	global_load_dword v1, v1, s[4:5]
	s_waitcnt vmcnt(0)
	v_cmp_ne_u32_e32 vcc_lo, 0, v1
	s_cbranch_vccz .LBB99_159
.LBB99_158:
	s_endpgm
.LBB99_159:
	v_lshl_add_u32 v123, v0, 4, 0x240
	s_mov_b32 s4, exec_lo
	v_cmpx_eq_u32_e32 35, v0
	s_cbranch_execz .LBB99_161
; %bb.160:
	v_mov_b32_e32 v4, s9
	v_mov_b32_e32 v77, 0
	s_clause 0x3
	buffer_load_dword v1, v4, s[0:3], 0 offen
	buffer_load_dword v2, v4, s[0:3], 0 offen offset:4
	buffer_load_dword v3, v4, s[0:3], 0 offen offset:8
	;; [unrolled: 1-line block ×3, first 2 shown]
	buffer_store_dword v77, off, s[0:3], 0 offset:560
	buffer_store_dword v77, off, s[0:3], 0 offset:564
	;; [unrolled: 1-line block ×4, first 2 shown]
	s_waitcnt vmcnt(0)
	ds_write_b128 v123, v[1:4]
.LBB99_161:
	s_or_b32 exec_lo, exec_lo, s4
	s_waitcnt lgkmcnt(0)
	s_waitcnt_vscnt null, 0x0
	s_barrier
	buffer_gl0_inv
	s_clause 0x7
	buffer_load_dword v2, off, s[0:3], 0 offset:584
	buffer_load_dword v3, off, s[0:3], 0 offset:588
	;; [unrolled: 1-line block ×8, first 2 shown]
	v_mov_b32_e32 v1, 0
	s_mov_b32 s4, exec_lo
	ds_read_b128 v[77:80], v1 offset:1136
	s_waitcnt vmcnt(6) lgkmcnt(0)
	v_mul_f64 v[87:88], v[79:80], v[2:3]
	v_mul_f64 v[2:3], v[77:78], v[2:3]
	s_waitcnt vmcnt(4)
	v_fma_f64 v[77:78], v[77:78], v[81:82], -v[87:88]
	v_fma_f64 v[2:3], v[79:80], v[81:82], v[2:3]
	v_add_f64 v[77:78], v[77:78], 0
	v_add_f64 v[2:3], v[2:3], 0
	s_waitcnt vmcnt(2)
	v_add_f64 v[77:78], v[83:84], -v[77:78]
	s_waitcnt vmcnt(0)
	v_add_f64 v[2:3], v[85:86], -v[2:3]
	buffer_store_dword v77, off, s[0:3], 0 offset:560
	buffer_store_dword v78, off, s[0:3], 0 offset:564
	;; [unrolled: 1-line block ×4, first 2 shown]
	v_cmpx_lt_u32_e32 33, v0
	s_cbranch_execz .LBB99_163
; %bb.162:
	v_mov_b32_e32 v2, s14
	s_clause 0x3
	buffer_load_dword v77, v2, s[0:3], 0 offen
	buffer_load_dword v78, v2, s[0:3], 0 offen offset:4
	buffer_load_dword v79, v2, s[0:3], 0 offen offset:8
	;; [unrolled: 1-line block ×3, first 2 shown]
	buffer_store_dword v1, off, s[0:3], 0 offset:544
	buffer_store_dword v1, off, s[0:3], 0 offset:548
	;; [unrolled: 1-line block ×4, first 2 shown]
	s_waitcnt vmcnt(0)
	ds_write_b128 v123, v[77:80]
.LBB99_163:
	s_or_b32 exec_lo, exec_lo, s4
	s_waitcnt lgkmcnt(0)
	s_waitcnt_vscnt null, 0x0
	s_barrier
	buffer_gl0_inv
	s_clause 0xb
	buffer_load_dword v81, off, s[0:3], 0 offset:568
	buffer_load_dword v82, off, s[0:3], 0 offset:572
	;; [unrolled: 1-line block ×12, first 2 shown]
	ds_read_b128 v[77:80], v1 offset:1120
	ds_read_b128 v[1:4], v1 offset:1136
	s_mov_b32 s4, exec_lo
	s_waitcnt vmcnt(10) lgkmcnt(1)
	v_mul_f64 v[93:94], v[79:80], v[81:82]
	v_mul_f64 v[81:82], v[77:78], v[81:82]
	s_waitcnt vmcnt(8) lgkmcnt(0)
	v_mul_f64 v[95:96], v[3:4], v[83:84]
	v_mul_f64 v[83:84], v[1:2], v[83:84]
	s_waitcnt vmcnt(6)
	v_fma_f64 v[77:78], v[77:78], v[85:86], -v[93:94]
	v_fma_f64 v[79:80], v[79:80], v[85:86], v[81:82]
	s_waitcnt vmcnt(4)
	v_fma_f64 v[1:2], v[1:2], v[87:88], -v[95:96]
	v_fma_f64 v[3:4], v[3:4], v[87:88], v[83:84]
	v_add_f64 v[77:78], v[77:78], 0
	v_add_f64 v[79:80], v[79:80], 0
	v_add_f64 v[1:2], v[77:78], v[1:2]
	v_add_f64 v[3:4], v[79:80], v[3:4]
	s_waitcnt vmcnt(2)
	v_add_f64 v[1:2], v[89:90], -v[1:2]
	s_waitcnt vmcnt(0)
	v_add_f64 v[3:4], v[91:92], -v[3:4]
	buffer_store_dword v1, off, s[0:3], 0 offset:544
	buffer_store_dword v2, off, s[0:3], 0 offset:548
	;; [unrolled: 1-line block ×4, first 2 shown]
	v_cmpx_lt_u32_e32 32, v0
	s_cbranch_execz .LBB99_165
; %bb.164:
	v_mov_b32_e32 v4, s15
	v_mov_b32_e32 v77, 0
	s_clause 0x3
	buffer_load_dword v1, v4, s[0:3], 0 offen
	buffer_load_dword v2, v4, s[0:3], 0 offen offset:4
	buffer_load_dword v3, v4, s[0:3], 0 offen offset:8
	;; [unrolled: 1-line block ×3, first 2 shown]
	buffer_store_dword v77, off, s[0:3], 0 offset:528
	buffer_store_dword v77, off, s[0:3], 0 offset:532
	;; [unrolled: 1-line block ×4, first 2 shown]
	s_waitcnt vmcnt(0)
	ds_write_b128 v123, v[1:4]
.LBB99_165:
	s_or_b32 exec_lo, exec_lo, s4
	s_waitcnt lgkmcnt(0)
	s_waitcnt_vscnt null, 0x0
	s_barrier
	buffer_gl0_inv
	s_clause 0xf
	buffer_load_dword v2, off, s[0:3], 0 offset:552
	buffer_load_dword v3, off, s[0:3], 0 offset:556
	;; [unrolled: 1-line block ×16, first 2 shown]
	v_mov_b32_e32 v1, 0
	ds_read_b128 v[77:80], v1 offset:1104
	ds_read_b128 v[81:84], v1 offset:1120
	;; [unrolled: 1-line block ×3, first 2 shown]
	s_mov_b32 s4, exec_lo
	s_waitcnt vmcnt(14) lgkmcnt(2)
	v_mul_f64 v[103:104], v[79:80], v[2:3]
	v_mul_f64 v[2:3], v[77:78], v[2:3]
	s_waitcnt vmcnt(12) lgkmcnt(1)
	v_mul_f64 v[105:106], v[83:84], v[89:90]
	v_mul_f64 v[89:90], v[81:82], v[89:90]
	s_waitcnt vmcnt(10)
	v_fma_f64 v[77:78], v[77:78], v[91:92], -v[103:104]
	v_fma_f64 v[2:3], v[79:80], v[91:92], v[2:3]
	s_waitcnt vmcnt(8) lgkmcnt(0)
	v_mul_f64 v[91:92], v[87:88], v[93:94]
	s_waitcnt vmcnt(6)
	v_fma_f64 v[81:82], v[81:82], v[95:96], -v[105:106]
	v_mul_f64 v[79:80], v[85:86], v[93:94]
	v_fma_f64 v[83:84], v[83:84], v[95:96], v[89:90]
	v_add_f64 v[77:78], v[77:78], 0
	v_add_f64 v[2:3], v[2:3], 0
	s_waitcnt vmcnt(4)
	v_fma_f64 v[85:86], v[85:86], v[97:98], -v[91:92]
	v_fma_f64 v[79:80], v[87:88], v[97:98], v[79:80]
	v_add_f64 v[77:78], v[77:78], v[81:82]
	v_add_f64 v[2:3], v[2:3], v[83:84]
	;; [unrolled: 1-line block ×4, first 2 shown]
	s_waitcnt vmcnt(2)
	v_add_f64 v[77:78], v[99:100], -v[77:78]
	s_waitcnt vmcnt(0)
	v_add_f64 v[2:3], v[101:102], -v[2:3]
	buffer_store_dword v77, off, s[0:3], 0 offset:528
	buffer_store_dword v78, off, s[0:3], 0 offset:532
	;; [unrolled: 1-line block ×4, first 2 shown]
	v_cmpx_lt_u32_e32 31, v0
	s_cbranch_execz .LBB99_167
; %bb.166:
	v_mov_b32_e32 v2, s16
	s_clause 0x3
	buffer_load_dword v77, v2, s[0:3], 0 offen
	buffer_load_dword v78, v2, s[0:3], 0 offen offset:4
	buffer_load_dword v79, v2, s[0:3], 0 offen offset:8
	;; [unrolled: 1-line block ×3, first 2 shown]
	buffer_store_dword v1, off, s[0:3], 0 offset:512
	buffer_store_dword v1, off, s[0:3], 0 offset:516
	;; [unrolled: 1-line block ×4, first 2 shown]
	s_waitcnt vmcnt(0)
	ds_write_b128 v123, v[77:80]
.LBB99_167:
	s_or_b32 exec_lo, exec_lo, s4
	s_waitcnt lgkmcnt(0)
	s_waitcnt_vscnt null, 0x0
	s_barrier
	buffer_gl0_inv
	s_clause 0x13
	buffer_load_dword v2, off, s[0:3], 0 offset:536
	buffer_load_dword v3, off, s[0:3], 0 offset:540
	;; [unrolled: 1-line block ×20, first 2 shown]
	ds_read_b128 v[77:80], v1 offset:1088
	ds_read_b128 v[81:84], v1 offset:1104
	ds_read_b128 v[85:88], v1 offset:1120
	s_mov_b32 s4, exec_lo
	s_waitcnt vmcnt(18) lgkmcnt(2)
	v_mul_f64 v[107:108], v[79:80], v[2:3]
	v_mul_f64 v[2:3], v[77:78], v[2:3]
	s_waitcnt vmcnt(16) lgkmcnt(1)
	v_mul_f64 v[109:110], v[83:84], v[89:90]
	v_mul_f64 v[89:90], v[81:82], v[89:90]
	s_waitcnt vmcnt(14)
	v_fma_f64 v[77:78], v[77:78], v[91:92], -v[107:108]
	v_fma_f64 v[79:80], v[79:80], v[91:92], v[2:3]
	s_waitcnt vmcnt(12) lgkmcnt(0)
	v_mul_f64 v[91:92], v[85:86], v[93:94]
	v_mul_f64 v[93:94], v[87:88], v[93:94]
	s_waitcnt vmcnt(10)
	v_fma_f64 v[81:82], v[81:82], v[95:96], -v[109:110]
	ds_read_b128 v[1:4], v1 offset:1136
	v_fma_f64 v[83:84], v[83:84], v[95:96], v[89:90]
	v_add_f64 v[77:78], v[77:78], 0
	v_add_f64 v[79:80], v[79:80], 0
	s_waitcnt vmcnt(8) lgkmcnt(0)
	v_mul_f64 v[95:96], v[3:4], v[97:98]
	s_waitcnt vmcnt(6)
	v_fma_f64 v[85:86], v[85:86], v[99:100], -v[93:94]
	v_mul_f64 v[89:90], v[1:2], v[97:98]
	v_add_f64 v[77:78], v[77:78], v[81:82]
	v_fma_f64 v[81:82], v[87:88], v[99:100], v[91:92]
	v_add_f64 v[79:80], v[79:80], v[83:84]
	s_waitcnt vmcnt(4)
	v_fma_f64 v[1:2], v[1:2], v[101:102], -v[95:96]
	v_fma_f64 v[3:4], v[3:4], v[101:102], v[89:90]
	v_add_f64 v[77:78], v[77:78], v[85:86]
	v_add_f64 v[79:80], v[79:80], v[81:82]
	;; [unrolled: 1-line block ×4, first 2 shown]
	s_waitcnt vmcnt(2)
	v_add_f64 v[1:2], v[103:104], -v[1:2]
	s_waitcnt vmcnt(0)
	v_add_f64 v[3:4], v[105:106], -v[3:4]
	buffer_store_dword v1, off, s[0:3], 0 offset:512
	buffer_store_dword v2, off, s[0:3], 0 offset:516
	;; [unrolled: 1-line block ×4, first 2 shown]
	v_cmpx_lt_u32_e32 30, v0
	s_cbranch_execz .LBB99_169
; %bb.168:
	v_mov_b32_e32 v4, s17
	v_mov_b32_e32 v77, 0
	s_clause 0x3
	buffer_load_dword v1, v4, s[0:3], 0 offen
	buffer_load_dword v2, v4, s[0:3], 0 offen offset:4
	buffer_load_dword v3, v4, s[0:3], 0 offen offset:8
	;; [unrolled: 1-line block ×3, first 2 shown]
	buffer_store_dword v77, off, s[0:3], 0 offset:496
	buffer_store_dword v77, off, s[0:3], 0 offset:500
	;; [unrolled: 1-line block ×4, first 2 shown]
	s_waitcnt vmcnt(0)
	ds_write_b128 v123, v[1:4]
.LBB99_169:
	s_or_b32 exec_lo, exec_lo, s4
	s_waitcnt lgkmcnt(0)
	s_waitcnt_vscnt null, 0x0
	s_barrier
	buffer_gl0_inv
	s_clause 0x17
	buffer_load_dword v2, off, s[0:3], 0 offset:520
	buffer_load_dword v3, off, s[0:3], 0 offset:524
	;; [unrolled: 1-line block ×24, first 2 shown]
	v_mov_b32_e32 v1, 0
	ds_read_b128 v[77:80], v1 offset:1072
	ds_read_b128 v[81:84], v1 offset:1088
	;; [unrolled: 1-line block ×3, first 2 shown]
	s_mov_b32 s4, exec_lo
	s_waitcnt vmcnt(22) lgkmcnt(2)
	v_mul_f64 v[111:112], v[79:80], v[2:3]
	v_mul_f64 v[2:3], v[77:78], v[2:3]
	s_waitcnt vmcnt(20) lgkmcnt(1)
	v_mul_f64 v[113:114], v[83:84], v[89:90]
	v_mul_f64 v[89:90], v[81:82], v[89:90]
	s_waitcnt vmcnt(18)
	v_fma_f64 v[111:112], v[77:78], v[91:92], -v[111:112]
	v_fma_f64 v[2:3], v[79:80], v[91:92], v[2:3]
	ds_read_b128 v[77:80], v1 offset:1120
	s_waitcnt vmcnt(16) lgkmcnt(1)
	v_mul_f64 v[91:92], v[85:86], v[93:94]
	v_mul_f64 v[93:94], v[87:88], v[93:94]
	s_waitcnt vmcnt(14)
	v_fma_f64 v[113:114], v[81:82], v[95:96], -v[113:114]
	v_fma_f64 v[89:90], v[83:84], v[95:96], v[89:90]
	ds_read_b128 v[81:84], v1 offset:1136
	s_waitcnt vmcnt(10) lgkmcnt(1)
	v_mul_f64 v[95:96], v[77:78], v[97:98]
	v_add_f64 v[111:112], v[111:112], 0
	v_add_f64 v[2:3], v[2:3], 0
	v_mul_f64 v[97:98], v[79:80], v[97:98]
	s_waitcnt vmcnt(8)
	v_fma_f64 v[85:86], v[85:86], v[103:104], -v[93:94]
	v_fma_f64 v[87:88], v[87:88], v[103:104], v[91:92]
	s_waitcnt vmcnt(7) lgkmcnt(0)
	v_mul_f64 v[91:92], v[83:84], v[99:100]
	s_waitcnt vmcnt(5)
	v_fma_f64 v[79:80], v[79:80], v[105:106], v[95:96]
	v_add_f64 v[93:94], v[111:112], v[113:114]
	v_add_f64 v[2:3], v[2:3], v[89:90]
	v_fma_f64 v[77:78], v[77:78], v[105:106], -v[97:98]
	v_mul_f64 v[89:90], v[81:82], v[99:100]
	s_waitcnt vmcnt(4)
	v_fma_f64 v[81:82], v[81:82], v[101:102], -v[91:92]
	v_add_f64 v[85:86], v[93:94], v[85:86]
	v_add_f64 v[2:3], v[2:3], v[87:88]
	v_fma_f64 v[83:84], v[83:84], v[101:102], v[89:90]
	v_add_f64 v[77:78], v[85:86], v[77:78]
	v_add_f64 v[2:3], v[2:3], v[79:80]
	;; [unrolled: 1-line block ×4, first 2 shown]
	s_waitcnt vmcnt(2)
	v_add_f64 v[77:78], v[107:108], -v[77:78]
	s_waitcnt vmcnt(0)
	v_add_f64 v[2:3], v[109:110], -v[2:3]
	buffer_store_dword v78, off, s[0:3], 0 offset:500
	buffer_store_dword v77, off, s[0:3], 0 offset:496
	;; [unrolled: 1-line block ×4, first 2 shown]
	v_cmpx_lt_u32_e32 29, v0
	s_cbranch_execz .LBB99_171
; %bb.170:
	v_mov_b32_e32 v2, s18
	s_clause 0x3
	buffer_load_dword v77, v2, s[0:3], 0 offen
	buffer_load_dword v78, v2, s[0:3], 0 offen offset:4
	buffer_load_dword v79, v2, s[0:3], 0 offen offset:8
	;; [unrolled: 1-line block ×3, first 2 shown]
	buffer_store_dword v1, off, s[0:3], 0 offset:480
	buffer_store_dword v1, off, s[0:3], 0 offset:484
	;; [unrolled: 1-line block ×4, first 2 shown]
	s_waitcnt vmcnt(0)
	ds_write_b128 v123, v[77:80]
.LBB99_171:
	s_or_b32 exec_lo, exec_lo, s4
	s_waitcnt lgkmcnt(0)
	s_waitcnt_vscnt null, 0x0
	s_barrier
	buffer_gl0_inv
	s_clause 0x1b
	buffer_load_dword v2, off, s[0:3], 0 offset:504
	buffer_load_dword v3, off, s[0:3], 0 offset:508
	;; [unrolled: 1-line block ×28, first 2 shown]
	ds_read_b128 v[77:80], v1 offset:1056
	ds_read_b128 v[81:84], v1 offset:1072
	;; [unrolled: 1-line block ×3, first 2 shown]
	s_mov_b32 s4, exec_lo
	s_waitcnt vmcnt(26) lgkmcnt(2)
	v_mul_f64 v[115:116], v[79:80], v[2:3]
	v_mul_f64 v[2:3], v[77:78], v[2:3]
	s_waitcnt vmcnt(24) lgkmcnt(1)
	v_mul_f64 v[117:118], v[83:84], v[89:90]
	v_mul_f64 v[89:90], v[81:82], v[89:90]
	s_waitcnt vmcnt(22)
	v_fma_f64 v[115:116], v[77:78], v[91:92], -v[115:116]
	v_fma_f64 v[2:3], v[79:80], v[91:92], v[2:3]
	ds_read_b128 v[77:80], v1 offset:1104
	s_waitcnt vmcnt(20) lgkmcnt(1)
	v_mul_f64 v[91:92], v[85:86], v[93:94]
	v_mul_f64 v[93:94], v[87:88], v[93:94]
	s_waitcnt vmcnt(18)
	v_fma_f64 v[117:118], v[81:82], v[95:96], -v[117:118]
	v_fma_f64 v[89:90], v[83:84], v[95:96], v[89:90]
	ds_read_b128 v[81:84], v1 offset:1120
	s_waitcnt vmcnt(14) lgkmcnt(1)
	v_mul_f64 v[95:96], v[77:78], v[97:98]
	v_add_f64 v[115:116], v[115:116], 0
	v_add_f64 v[2:3], v[2:3], 0
	v_mul_f64 v[97:98], v[79:80], v[97:98]
	s_waitcnt vmcnt(12)
	v_fma_f64 v[85:86], v[85:86], v[103:104], -v[93:94]
	v_fma_f64 v[87:88], v[87:88], v[103:104], v[91:92]
	s_waitcnt vmcnt(11) lgkmcnt(0)
	v_mul_f64 v[91:92], v[81:82], v[99:100]
	v_mul_f64 v[99:100], v[83:84], v[99:100]
	s_waitcnt vmcnt(9)
	v_fma_f64 v[79:80], v[79:80], v[105:106], v[95:96]
	v_add_f64 v[93:94], v[115:116], v[117:118]
	v_add_f64 v[89:90], v[2:3], v[89:90]
	v_fma_f64 v[77:78], v[77:78], v[105:106], -v[97:98]
	ds_read_b128 v[1:4], v1 offset:1136
	s_waitcnt vmcnt(6)
	v_fma_f64 v[83:84], v[83:84], v[101:102], v[91:92]
	v_fma_f64 v[81:82], v[81:82], v[101:102], -v[99:100]
	v_add_f64 v[85:86], v[93:94], v[85:86]
	v_add_f64 v[87:88], v[89:90], v[87:88]
	s_waitcnt lgkmcnt(0)
	v_mul_f64 v[93:94], v[3:4], v[107:108]
	v_mul_f64 v[89:90], v[1:2], v[107:108]
	v_add_f64 v[77:78], v[85:86], v[77:78]
	v_add_f64 v[79:80], v[87:88], v[79:80]
	s_waitcnt vmcnt(4)
	v_fma_f64 v[1:2], v[1:2], v[109:110], -v[93:94]
	v_fma_f64 v[3:4], v[3:4], v[109:110], v[89:90]
	v_add_f64 v[77:78], v[77:78], v[81:82]
	v_add_f64 v[79:80], v[79:80], v[83:84]
	;; [unrolled: 1-line block ×4, first 2 shown]
	s_waitcnt vmcnt(2)
	v_add_f64 v[1:2], v[111:112], -v[1:2]
	s_waitcnt vmcnt(0)
	v_add_f64 v[3:4], v[113:114], -v[3:4]
	buffer_store_dword v2, off, s[0:3], 0 offset:484
	buffer_store_dword v1, off, s[0:3], 0 offset:480
	;; [unrolled: 1-line block ×4, first 2 shown]
	v_cmpx_lt_u32_e32 28, v0
	s_cbranch_execz .LBB99_173
; %bb.172:
	v_mov_b32_e32 v4, s19
	v_mov_b32_e32 v77, 0
	s_clause 0x3
	buffer_load_dword v1, v4, s[0:3], 0 offen
	buffer_load_dword v2, v4, s[0:3], 0 offen offset:4
	buffer_load_dword v3, v4, s[0:3], 0 offen offset:8
	;; [unrolled: 1-line block ×3, first 2 shown]
	buffer_store_dword v77, off, s[0:3], 0 offset:464
	buffer_store_dword v77, off, s[0:3], 0 offset:468
	;; [unrolled: 1-line block ×4, first 2 shown]
	s_waitcnt vmcnt(0)
	ds_write_b128 v123, v[1:4]
.LBB99_173:
	s_or_b32 exec_lo, exec_lo, s4
	s_waitcnt lgkmcnt(0)
	s_waitcnt_vscnt null, 0x0
	s_barrier
	buffer_gl0_inv
	s_clause 0x1f
	buffer_load_dword v2, off, s[0:3], 0 offset:488
	buffer_load_dword v3, off, s[0:3], 0 offset:492
	;; [unrolled: 1-line block ×32, first 2 shown]
	v_mov_b32_e32 v1, 0
	ds_read_b128 v[77:80], v1 offset:1040
	ds_read_b128 v[81:84], v1 offset:1056
	;; [unrolled: 1-line block ×3, first 2 shown]
	s_mov_b32 s4, exec_lo
	s_waitcnt vmcnt(30) lgkmcnt(2)
	v_mul_f64 v[119:120], v[79:80], v[2:3]
	v_mul_f64 v[2:3], v[77:78], v[2:3]
	s_waitcnt vmcnt(28) lgkmcnt(1)
	v_mul_f64 v[121:122], v[83:84], v[89:90]
	v_mul_f64 v[89:90], v[81:82], v[89:90]
	s_waitcnt vmcnt(26)
	v_fma_f64 v[119:120], v[77:78], v[91:92], -v[119:120]
	v_fma_f64 v[2:3], v[79:80], v[91:92], v[2:3]
	ds_read_b128 v[77:80], v1 offset:1088
	s_waitcnt vmcnt(24) lgkmcnt(1)
	v_mul_f64 v[91:92], v[85:86], v[93:94]
	v_mul_f64 v[93:94], v[87:88], v[93:94]
	s_waitcnt vmcnt(22)
	v_fma_f64 v[121:122], v[81:82], v[95:96], -v[121:122]
	v_fma_f64 v[89:90], v[83:84], v[95:96], v[89:90]
	ds_read_b128 v[81:84], v1 offset:1104
	s_waitcnt vmcnt(18) lgkmcnt(1)
	v_mul_f64 v[95:96], v[77:78], v[97:98]
	v_add_f64 v[119:120], v[119:120], 0
	v_add_f64 v[2:3], v[2:3], 0
	v_mul_f64 v[97:98], v[79:80], v[97:98]
	s_waitcnt vmcnt(16)
	v_fma_f64 v[93:94], v[85:86], v[103:104], -v[93:94]
	v_fma_f64 v[91:92], v[87:88], v[103:104], v[91:92]
	ds_read_b128 v[85:88], v1 offset:1120
	s_waitcnt vmcnt(13)
	v_fma_f64 v[95:96], v[79:80], v[105:106], v[95:96]
	v_add_f64 v[119:120], v[119:120], v[121:122]
	v_add_f64 v[2:3], v[2:3], v[89:90]
	s_waitcnt lgkmcnt(1)
	v_mul_f64 v[89:90], v[81:82], v[99:100]
	v_mul_f64 v[99:100], v[83:84], v[99:100]
	v_fma_f64 v[97:98], v[77:78], v[105:106], -v[97:98]
	s_waitcnt vmcnt(9) lgkmcnt(0)
	v_mul_f64 v[103:104], v[87:88], v[107:108]
	ds_read_b128 v[77:80], v1 offset:1136
	v_add_f64 v[93:94], v[119:120], v[93:94]
	v_add_f64 v[2:3], v[2:3], v[91:92]
	v_mul_f64 v[91:92], v[85:86], v[107:108]
	s_waitcnt vmcnt(8)
	v_fma_f64 v[81:82], v[81:82], v[101:102], -v[99:100]
	v_fma_f64 v[83:84], v[83:84], v[101:102], v[89:90]
	s_waitcnt vmcnt(5)
	v_fma_f64 v[85:86], v[85:86], v[113:114], -v[103:104]
	s_waitcnt lgkmcnt(0)
	v_mul_f64 v[89:90], v[77:78], v[109:110]
	v_add_f64 v[93:94], v[93:94], v[97:98]
	v_add_f64 v[2:3], v[2:3], v[95:96]
	v_mul_f64 v[95:96], v[79:80], v[109:110]
	v_fma_f64 v[87:88], v[87:88], v[113:114], v[91:92]
	s_waitcnt vmcnt(4)
	v_fma_f64 v[79:80], v[79:80], v[111:112], v[89:90]
	v_add_f64 v[81:82], v[93:94], v[81:82]
	v_add_f64 v[2:3], v[2:3], v[83:84]
	v_fma_f64 v[77:78], v[77:78], v[111:112], -v[95:96]
	v_add_f64 v[81:82], v[81:82], v[85:86]
	v_add_f64 v[2:3], v[2:3], v[87:88]
	;; [unrolled: 1-line block ×4, first 2 shown]
	s_waitcnt vmcnt(2)
	v_add_f64 v[77:78], v[115:116], -v[77:78]
	s_waitcnt vmcnt(0)
	v_add_f64 v[2:3], v[117:118], -v[2:3]
	buffer_store_dword v78, off, s[0:3], 0 offset:468
	buffer_store_dword v77, off, s[0:3], 0 offset:464
	;; [unrolled: 1-line block ×4, first 2 shown]
	v_cmpx_lt_u32_e32 27, v0
	s_cbranch_execz .LBB99_175
; %bb.174:
	v_mov_b32_e32 v2, s20
	s_clause 0x3
	buffer_load_dword v77, v2, s[0:3], 0 offen
	buffer_load_dword v78, v2, s[0:3], 0 offen offset:4
	buffer_load_dword v79, v2, s[0:3], 0 offen offset:8
	;; [unrolled: 1-line block ×3, first 2 shown]
	buffer_store_dword v1, off, s[0:3], 0 offset:448
	buffer_store_dword v1, off, s[0:3], 0 offset:452
	;; [unrolled: 1-line block ×4, first 2 shown]
	s_waitcnt vmcnt(0)
	ds_write_b128 v123, v[77:80]
.LBB99_175:
	s_or_b32 exec_lo, exec_lo, s4
	s_waitcnt lgkmcnt(0)
	s_waitcnt_vscnt null, 0x0
	s_barrier
	buffer_gl0_inv
	s_clause 0x23
	buffer_load_dword v2, off, s[0:3], 0 offset:472
	buffer_load_dword v3, off, s[0:3], 0 offset:476
	;; [unrolled: 1-line block ×36, first 2 shown]
	ds_read_b128 v[77:80], v1 offset:1024
	ds_read_b128 v[81:84], v1 offset:1040
	;; [unrolled: 1-line block ×3, first 2 shown]
	s_mov_b32 s4, exec_lo
	s_waitcnt vmcnt(34) lgkmcnt(2)
	v_mul_f64 v[124:125], v[79:80], v[2:3]
	v_mul_f64 v[2:3], v[77:78], v[2:3]
	s_waitcnt vmcnt(32) lgkmcnt(1)
	v_mul_f64 v[126:127], v[83:84], v[89:90]
	v_mul_f64 v[89:90], v[81:82], v[89:90]
	s_waitcnt vmcnt(30)
	v_fma_f64 v[124:125], v[77:78], v[91:92], -v[124:125]
	v_fma_f64 v[2:3], v[79:80], v[91:92], v[2:3]
	ds_read_b128 v[77:80], v1 offset:1072
	s_waitcnt vmcnt(28) lgkmcnt(1)
	v_mul_f64 v[91:92], v[85:86], v[93:94]
	v_mul_f64 v[93:94], v[87:88], v[93:94]
	s_waitcnt vmcnt(26)
	v_fma_f64 v[126:127], v[81:82], v[95:96], -v[126:127]
	v_fma_f64 v[89:90], v[83:84], v[95:96], v[89:90]
	ds_read_b128 v[81:84], v1 offset:1088
	s_waitcnt vmcnt(22) lgkmcnt(1)
	v_mul_f64 v[95:96], v[77:78], v[97:98]
	v_add_f64 v[124:125], v[124:125], 0
	v_add_f64 v[2:3], v[2:3], 0
	v_mul_f64 v[97:98], v[79:80], v[97:98]
	s_waitcnt vmcnt(20)
	v_fma_f64 v[93:94], v[85:86], v[103:104], -v[93:94]
	v_fma_f64 v[91:92], v[87:88], v[103:104], v[91:92]
	ds_read_b128 v[85:88], v1 offset:1104
	s_waitcnt vmcnt(17)
	v_fma_f64 v[95:96], v[79:80], v[105:106], v[95:96]
	v_add_f64 v[124:125], v[124:125], v[126:127]
	v_add_f64 v[2:3], v[2:3], v[89:90]
	s_waitcnt lgkmcnt(1)
	v_mul_f64 v[89:90], v[81:82], v[99:100]
	v_mul_f64 v[99:100], v[83:84], v[99:100]
	v_fma_f64 v[97:98], v[77:78], v[105:106], -v[97:98]
	s_waitcnt vmcnt(13) lgkmcnt(0)
	v_mul_f64 v[103:104], v[87:88], v[107:108]
	ds_read_b128 v[77:80], v1 offset:1120
	v_add_f64 v[93:94], v[124:125], v[93:94]
	v_add_f64 v[2:3], v[2:3], v[91:92]
	v_mul_f64 v[91:92], v[85:86], v[107:108]
	s_waitcnt vmcnt(12)
	v_fma_f64 v[81:82], v[81:82], v[101:102], -v[99:100]
	v_fma_f64 v[83:84], v[83:84], v[101:102], v[89:90]
	s_waitcnt vmcnt(9)
	v_fma_f64 v[85:86], v[85:86], v[113:114], -v[103:104]
	v_add_f64 v[93:94], v[93:94], v[97:98]
	v_add_f64 v[89:90], v[2:3], v[95:96]
	s_waitcnt lgkmcnt(0)
	v_mul_f64 v[97:98], v[79:80], v[109:110]
	ds_read_b128 v[1:4], v1 offset:1136
	v_mul_f64 v[95:96], v[77:78], v[109:110]
	v_fma_f64 v[87:88], v[87:88], v[113:114], v[91:92]
	v_add_f64 v[81:82], v[93:94], v[81:82]
	v_add_f64 v[83:84], v[89:90], v[83:84]
	s_waitcnt vmcnt(7) lgkmcnt(0)
	v_mul_f64 v[91:92], v[3:4], v[115:116]
	s_waitcnt vmcnt(6)
	v_fma_f64 v[77:78], v[77:78], v[111:112], -v[97:98]
	v_mul_f64 v[89:90], v[1:2], v[115:116]
	v_fma_f64 v[79:80], v[79:80], v[111:112], v[95:96]
	v_add_f64 v[81:82], v[81:82], v[85:86]
	v_add_f64 v[83:84], v[83:84], v[87:88]
	s_waitcnt vmcnt(4)
	v_fma_f64 v[1:2], v[1:2], v[117:118], -v[91:92]
	v_fma_f64 v[3:4], v[3:4], v[117:118], v[89:90]
	v_add_f64 v[77:78], v[81:82], v[77:78]
	v_add_f64 v[79:80], v[83:84], v[79:80]
	;; [unrolled: 1-line block ×4, first 2 shown]
	s_waitcnt vmcnt(2)
	v_add_f64 v[1:2], v[119:120], -v[1:2]
	s_waitcnt vmcnt(0)
	v_add_f64 v[3:4], v[121:122], -v[3:4]
	buffer_store_dword v2, off, s[0:3], 0 offset:452
	buffer_store_dword v1, off, s[0:3], 0 offset:448
	;; [unrolled: 1-line block ×4, first 2 shown]
	v_cmpx_lt_u32_e32 26, v0
	s_cbranch_execz .LBB99_177
; %bb.176:
	v_mov_b32_e32 v4, s21
	v_mov_b32_e32 v77, 0
	s_clause 0x3
	buffer_load_dword v1, v4, s[0:3], 0 offen
	buffer_load_dword v2, v4, s[0:3], 0 offen offset:4
	buffer_load_dword v3, v4, s[0:3], 0 offen offset:8
	;; [unrolled: 1-line block ×3, first 2 shown]
	buffer_store_dword v77, off, s[0:3], 0 offset:432
	buffer_store_dword v77, off, s[0:3], 0 offset:436
	;; [unrolled: 1-line block ×4, first 2 shown]
	s_waitcnt vmcnt(0)
	ds_write_b128 v123, v[1:4]
.LBB99_177:
	s_or_b32 exec_lo, exec_lo, s4
	s_waitcnt lgkmcnt(0)
	s_waitcnt_vscnt null, 0x0
	s_barrier
	buffer_gl0_inv
	s_clause 0x27
	buffer_load_dword v2, off, s[0:3], 0 offset:456
	buffer_load_dword v3, off, s[0:3], 0 offset:460
	;; [unrolled: 1-line block ×40, first 2 shown]
	v_mov_b32_e32 v1, 0
	ds_read_b128 v[77:80], v1 offset:1008
	ds_read_b128 v[81:84], v1 offset:1024
	ds_read_b128 v[85:88], v1 offset:1040
	s_mov_b32 s4, exec_lo
	s_waitcnt vmcnt(38) lgkmcnt(2)
	v_mul_f64 v[128:129], v[79:80], v[2:3]
	v_mul_f64 v[2:3], v[77:78], v[2:3]
	s_waitcnt vmcnt(36) lgkmcnt(1)
	v_mul_f64 v[130:131], v[83:84], v[89:90]
	v_mul_f64 v[89:90], v[81:82], v[89:90]
	s_waitcnt vmcnt(34)
	v_fma_f64 v[128:129], v[77:78], v[91:92], -v[128:129]
	v_fma_f64 v[2:3], v[79:80], v[91:92], v[2:3]
	ds_read_b128 v[77:80], v1 offset:1056
	s_waitcnt vmcnt(32) lgkmcnt(1)
	v_mul_f64 v[91:92], v[85:86], v[93:94]
	v_mul_f64 v[93:94], v[87:88], v[93:94]
	s_waitcnt vmcnt(30)
	v_fma_f64 v[130:131], v[81:82], v[95:96], -v[130:131]
	v_fma_f64 v[89:90], v[83:84], v[95:96], v[89:90]
	ds_read_b128 v[81:84], v1 offset:1072
	s_waitcnt vmcnt(26) lgkmcnt(1)
	v_mul_f64 v[95:96], v[77:78], v[97:98]
	v_add_f64 v[128:129], v[128:129], 0
	v_add_f64 v[2:3], v[2:3], 0
	v_mul_f64 v[97:98], v[79:80], v[97:98]
	s_waitcnt vmcnt(24)
	v_fma_f64 v[93:94], v[85:86], v[103:104], -v[93:94]
	v_fma_f64 v[91:92], v[87:88], v[103:104], v[91:92]
	ds_read_b128 v[85:88], v1 offset:1088
	s_waitcnt vmcnt(21)
	v_fma_f64 v[95:96], v[79:80], v[105:106], v[95:96]
	v_add_f64 v[128:129], v[128:129], v[130:131]
	v_add_f64 v[2:3], v[2:3], v[89:90]
	s_waitcnt lgkmcnt(1)
	v_mul_f64 v[89:90], v[81:82], v[99:100]
	v_mul_f64 v[99:100], v[83:84], v[99:100]
	v_fma_f64 v[97:98], v[77:78], v[105:106], -v[97:98]
	s_waitcnt vmcnt(17) lgkmcnt(0)
	v_mul_f64 v[103:104], v[87:88], v[107:108]
	ds_read_b128 v[77:80], v1 offset:1104
	v_add_f64 v[93:94], v[128:129], v[93:94]
	v_add_f64 v[2:3], v[2:3], v[91:92]
	v_mul_f64 v[91:92], v[85:86], v[107:108]
	s_waitcnt vmcnt(16)
	v_fma_f64 v[99:100], v[81:82], v[101:102], -v[99:100]
	v_fma_f64 v[89:90], v[83:84], v[101:102], v[89:90]
	ds_read_b128 v[81:84], v1 offset:1120
	s_waitcnt vmcnt(13)
	v_fma_f64 v[101:102], v[85:86], v[113:114], -v[103:104]
	v_add_f64 v[93:94], v[93:94], v[97:98]
	v_add_f64 v[2:3], v[2:3], v[95:96]
	s_waitcnt lgkmcnt(1)
	v_mul_f64 v[97:98], v[79:80], v[109:110]
	v_mul_f64 v[95:96], v[77:78], v[109:110]
	v_fma_f64 v[91:92], v[87:88], v[113:114], v[91:92]
	ds_read_b128 v[85:88], v1 offset:1136
	v_add_f64 v[93:94], v[93:94], v[99:100]
	v_add_f64 v[2:3], v[2:3], v[89:90]
	s_waitcnt vmcnt(9) lgkmcnt(1)
	v_mul_f64 v[99:100], v[83:84], v[115:116]
	s_waitcnt vmcnt(8)
	v_fma_f64 v[77:78], v[77:78], v[111:112], -v[97:98]
	v_mul_f64 v[89:90], v[81:82], v[115:116]
	v_fma_f64 v[79:80], v[79:80], v[111:112], v[95:96]
	s_waitcnt vmcnt(7) lgkmcnt(0)
	v_mul_f64 v[95:96], v[87:88], v[117:118]
	v_add_f64 v[93:94], v[93:94], v[101:102]
	v_add_f64 v[2:3], v[2:3], v[91:92]
	s_waitcnt vmcnt(5)
	v_fma_f64 v[81:82], v[81:82], v[121:122], -v[99:100]
	v_mul_f64 v[91:92], v[85:86], v[117:118]
	v_fma_f64 v[83:84], v[83:84], v[121:122], v[89:90]
	v_add_f64 v[77:78], v[93:94], v[77:78]
	v_add_f64 v[2:3], v[2:3], v[79:80]
	s_waitcnt vmcnt(4)
	v_fma_f64 v[79:80], v[85:86], v[119:120], -v[95:96]
	v_add_f64 v[77:78], v[77:78], v[81:82]
	v_fma_f64 v[81:82], v[87:88], v[119:120], v[91:92]
	v_add_f64 v[2:3], v[2:3], v[83:84]
	v_add_f64 v[77:78], v[77:78], v[79:80]
	v_add_f64 v[2:3], v[2:3], v[81:82]
	s_waitcnt vmcnt(2)
	v_add_f64 v[77:78], v[124:125], -v[77:78]
	s_waitcnt vmcnt(0)
	v_add_f64 v[2:3], v[126:127], -v[2:3]
	buffer_store_dword v78, off, s[0:3], 0 offset:436
	buffer_store_dword v77, off, s[0:3], 0 offset:432
	;; [unrolled: 1-line block ×4, first 2 shown]
	v_cmpx_lt_u32_e32 25, v0
	s_cbranch_execz .LBB99_179
; %bb.178:
	v_mov_b32_e32 v2, s22
	s_clause 0x3
	buffer_load_dword v77, v2, s[0:3], 0 offen
	buffer_load_dword v78, v2, s[0:3], 0 offen offset:4
	buffer_load_dword v79, v2, s[0:3], 0 offen offset:8
	;; [unrolled: 1-line block ×3, first 2 shown]
	buffer_store_dword v1, off, s[0:3], 0 offset:416
	buffer_store_dword v1, off, s[0:3], 0 offset:420
	buffer_store_dword v1, off, s[0:3], 0 offset:424
	buffer_store_dword v1, off, s[0:3], 0 offset:428
	s_waitcnt vmcnt(0)
	ds_write_b128 v123, v[77:80]
.LBB99_179:
	s_or_b32 exec_lo, exec_lo, s4
	s_waitcnt lgkmcnt(0)
	s_waitcnt_vscnt null, 0x0
	s_barrier
	buffer_gl0_inv
	s_clause 0x2b
	buffer_load_dword v2, off, s[0:3], 0 offset:440
	buffer_load_dword v3, off, s[0:3], 0 offset:444
	;; [unrolled: 1-line block ×44, first 2 shown]
	ds_read_b128 v[77:80], v1 offset:992
	ds_read_b128 v[81:84], v1 offset:1008
	;; [unrolled: 1-line block ×3, first 2 shown]
	s_mov_b32 s4, exec_lo
	s_waitcnt vmcnt(42) lgkmcnt(2)
	v_mul_f64 v[132:133], v[79:80], v[2:3]
	v_mul_f64 v[2:3], v[77:78], v[2:3]
	s_waitcnt vmcnt(40) lgkmcnt(1)
	v_mul_f64 v[134:135], v[83:84], v[89:90]
	v_mul_f64 v[89:90], v[81:82], v[89:90]
	s_waitcnt vmcnt(38)
	v_fma_f64 v[132:133], v[77:78], v[91:92], -v[132:133]
	v_fma_f64 v[2:3], v[79:80], v[91:92], v[2:3]
	ds_read_b128 v[77:80], v1 offset:1040
	s_waitcnt vmcnt(36) lgkmcnt(1)
	v_mul_f64 v[91:92], v[85:86], v[93:94]
	v_mul_f64 v[93:94], v[87:88], v[93:94]
	s_waitcnt vmcnt(34)
	v_fma_f64 v[134:135], v[81:82], v[95:96], -v[134:135]
	v_fma_f64 v[89:90], v[83:84], v[95:96], v[89:90]
	ds_read_b128 v[81:84], v1 offset:1056
	s_waitcnt vmcnt(30) lgkmcnt(1)
	v_mul_f64 v[95:96], v[77:78], v[97:98]
	v_add_f64 v[132:133], v[132:133], 0
	v_add_f64 v[2:3], v[2:3], 0
	v_mul_f64 v[97:98], v[79:80], v[97:98]
	s_waitcnt vmcnt(28)
	v_fma_f64 v[93:94], v[85:86], v[103:104], -v[93:94]
	v_fma_f64 v[91:92], v[87:88], v[103:104], v[91:92]
	ds_read_b128 v[85:88], v1 offset:1072
	s_waitcnt vmcnt(25)
	v_fma_f64 v[95:96], v[79:80], v[105:106], v[95:96]
	v_add_f64 v[132:133], v[132:133], v[134:135]
	v_add_f64 v[2:3], v[2:3], v[89:90]
	s_waitcnt lgkmcnt(1)
	v_mul_f64 v[89:90], v[81:82], v[99:100]
	v_mul_f64 v[99:100], v[83:84], v[99:100]
	v_fma_f64 v[97:98], v[77:78], v[105:106], -v[97:98]
	s_waitcnt vmcnt(21) lgkmcnt(0)
	v_mul_f64 v[103:104], v[87:88], v[107:108]
	ds_read_b128 v[77:80], v1 offset:1088
	v_add_f64 v[93:94], v[132:133], v[93:94]
	v_add_f64 v[2:3], v[2:3], v[91:92]
	v_mul_f64 v[91:92], v[85:86], v[107:108]
	s_waitcnt vmcnt(20)
	v_fma_f64 v[99:100], v[81:82], v[101:102], -v[99:100]
	v_fma_f64 v[89:90], v[83:84], v[101:102], v[89:90]
	ds_read_b128 v[81:84], v1 offset:1104
	s_waitcnt vmcnt(17)
	v_fma_f64 v[101:102], v[85:86], v[113:114], -v[103:104]
	v_add_f64 v[93:94], v[93:94], v[97:98]
	v_add_f64 v[2:3], v[2:3], v[95:96]
	s_waitcnt lgkmcnt(1)
	v_mul_f64 v[97:98], v[79:80], v[109:110]
	v_mul_f64 v[95:96], v[77:78], v[109:110]
	v_fma_f64 v[91:92], v[87:88], v[113:114], v[91:92]
	ds_read_b128 v[85:88], v1 offset:1120
	v_add_f64 v[93:94], v[93:94], v[99:100]
	v_add_f64 v[2:3], v[2:3], v[89:90]
	s_waitcnt vmcnt(13) lgkmcnt(1)
	v_mul_f64 v[99:100], v[83:84], v[115:116]
	s_waitcnt vmcnt(12)
	v_fma_f64 v[77:78], v[77:78], v[111:112], -v[97:98]
	v_mul_f64 v[89:90], v[81:82], v[115:116]
	v_fma_f64 v[79:80], v[79:80], v[111:112], v[95:96]
	s_waitcnt vmcnt(11) lgkmcnt(0)
	v_mul_f64 v[97:98], v[87:88], v[117:118]
	v_mul_f64 v[95:96], v[85:86], v[117:118]
	v_add_f64 v[93:94], v[93:94], v[101:102]
	v_add_f64 v[91:92], v[2:3], v[91:92]
	s_waitcnt vmcnt(9)
	v_fma_f64 v[81:82], v[81:82], v[121:122], -v[99:100]
	ds_read_b128 v[1:4], v1 offset:1136
	v_fma_f64 v[83:84], v[83:84], v[121:122], v[89:90]
	s_waitcnt vmcnt(6)
	v_fma_f64 v[85:86], v[85:86], v[119:120], -v[97:98]
	v_add_f64 v[77:78], v[93:94], v[77:78]
	v_add_f64 v[79:80], v[91:92], v[79:80]
	s_waitcnt lgkmcnt(0)
	v_mul_f64 v[91:92], v[3:4], v[124:125]
	v_mul_f64 v[89:90], v[1:2], v[124:125]
	v_add_f64 v[77:78], v[77:78], v[81:82]
	v_fma_f64 v[81:82], v[87:88], v[119:120], v[95:96]
	v_add_f64 v[79:80], v[79:80], v[83:84]
	s_waitcnt vmcnt(4)
	v_fma_f64 v[1:2], v[1:2], v[126:127], -v[91:92]
	v_fma_f64 v[3:4], v[3:4], v[126:127], v[89:90]
	v_add_f64 v[77:78], v[77:78], v[85:86]
	v_add_f64 v[79:80], v[79:80], v[81:82]
	;; [unrolled: 1-line block ×4, first 2 shown]
	s_waitcnt vmcnt(2)
	v_add_f64 v[1:2], v[128:129], -v[1:2]
	s_waitcnt vmcnt(0)
	v_add_f64 v[3:4], v[130:131], -v[3:4]
	buffer_store_dword v2, off, s[0:3], 0 offset:420
	buffer_store_dword v1, off, s[0:3], 0 offset:416
	;; [unrolled: 1-line block ×4, first 2 shown]
	v_cmpx_lt_u32_e32 24, v0
	s_cbranch_execz .LBB99_181
; %bb.180:
	v_mov_b32_e32 v4, s23
	v_mov_b32_e32 v77, 0
	s_clause 0x3
	buffer_load_dword v1, v4, s[0:3], 0 offen
	buffer_load_dword v2, v4, s[0:3], 0 offen offset:4
	buffer_load_dword v3, v4, s[0:3], 0 offen offset:8
	buffer_load_dword v4, v4, s[0:3], 0 offen offset:12
	buffer_store_dword v77, off, s[0:3], 0 offset:400
	buffer_store_dword v77, off, s[0:3], 0 offset:404
	;; [unrolled: 1-line block ×4, first 2 shown]
	s_waitcnt vmcnt(0)
	ds_write_b128 v123, v[1:4]
.LBB99_181:
	s_or_b32 exec_lo, exec_lo, s4
	s_waitcnt lgkmcnt(0)
	s_waitcnt_vscnt null, 0x0
	s_barrier
	buffer_gl0_inv
	s_clause 0x2f
	buffer_load_dword v2, off, s[0:3], 0 offset:424
	buffer_load_dword v3, off, s[0:3], 0 offset:428
	;; [unrolled: 1-line block ×48, first 2 shown]
	v_mov_b32_e32 v1, 0
	ds_read_b128 v[77:80], v1 offset:976
	ds_read_b128 v[81:84], v1 offset:992
	;; [unrolled: 1-line block ×3, first 2 shown]
	s_mov_b32 s4, exec_lo
	s_waitcnt vmcnt(46) lgkmcnt(2)
	v_mul_f64 v[136:137], v[79:80], v[2:3]
	v_mul_f64 v[2:3], v[77:78], v[2:3]
	s_waitcnt vmcnt(44) lgkmcnt(1)
	v_mul_f64 v[138:139], v[83:84], v[89:90]
	v_mul_f64 v[89:90], v[81:82], v[89:90]
	s_waitcnt vmcnt(42)
	v_fma_f64 v[136:137], v[77:78], v[91:92], -v[136:137]
	v_fma_f64 v[2:3], v[79:80], v[91:92], v[2:3]
	ds_read_b128 v[77:80], v1 offset:1024
	s_waitcnt vmcnt(40) lgkmcnt(1)
	v_mul_f64 v[91:92], v[85:86], v[93:94]
	v_mul_f64 v[93:94], v[87:88], v[93:94]
	s_waitcnt vmcnt(38)
	v_fma_f64 v[138:139], v[81:82], v[95:96], -v[138:139]
	v_fma_f64 v[89:90], v[83:84], v[95:96], v[89:90]
	ds_read_b128 v[81:84], v1 offset:1040
	s_waitcnt vmcnt(34) lgkmcnt(1)
	v_mul_f64 v[95:96], v[77:78], v[97:98]
	v_add_f64 v[136:137], v[136:137], 0
	v_add_f64 v[2:3], v[2:3], 0
	v_mul_f64 v[97:98], v[79:80], v[97:98]
	s_waitcnt vmcnt(32)
	v_fma_f64 v[93:94], v[85:86], v[103:104], -v[93:94]
	v_fma_f64 v[91:92], v[87:88], v[103:104], v[91:92]
	ds_read_b128 v[85:88], v1 offset:1056
	s_waitcnt vmcnt(29)
	v_fma_f64 v[95:96], v[79:80], v[105:106], v[95:96]
	v_add_f64 v[136:137], v[136:137], v[138:139]
	v_add_f64 v[2:3], v[2:3], v[89:90]
	s_waitcnt lgkmcnt(1)
	v_mul_f64 v[89:90], v[81:82], v[99:100]
	v_mul_f64 v[99:100], v[83:84], v[99:100]
	v_fma_f64 v[97:98], v[77:78], v[105:106], -v[97:98]
	s_waitcnt vmcnt(25) lgkmcnt(0)
	v_mul_f64 v[103:104], v[87:88], v[107:108]
	ds_read_b128 v[77:80], v1 offset:1072
	v_add_f64 v[93:94], v[136:137], v[93:94]
	v_add_f64 v[2:3], v[2:3], v[91:92]
	v_mul_f64 v[91:92], v[85:86], v[107:108]
	s_waitcnt vmcnt(24)
	v_fma_f64 v[99:100], v[81:82], v[101:102], -v[99:100]
	v_fma_f64 v[89:90], v[83:84], v[101:102], v[89:90]
	ds_read_b128 v[81:84], v1 offset:1088
	s_waitcnt vmcnt(21)
	v_fma_f64 v[101:102], v[85:86], v[113:114], -v[103:104]
	v_add_f64 v[93:94], v[93:94], v[97:98]
	v_add_f64 v[2:3], v[2:3], v[95:96]
	s_waitcnt lgkmcnt(1)
	v_mul_f64 v[97:98], v[79:80], v[109:110]
	v_mul_f64 v[95:96], v[77:78], v[109:110]
	v_fma_f64 v[91:92], v[87:88], v[113:114], v[91:92]
	ds_read_b128 v[85:88], v1 offset:1104
	v_add_f64 v[93:94], v[93:94], v[99:100]
	v_add_f64 v[2:3], v[2:3], v[89:90]
	s_waitcnt vmcnt(17) lgkmcnt(1)
	v_mul_f64 v[99:100], v[83:84], v[115:116]
	s_waitcnt vmcnt(16)
	v_fma_f64 v[97:98], v[77:78], v[111:112], -v[97:98]
	v_mul_f64 v[89:90], v[81:82], v[115:116]
	v_fma_f64 v[95:96], v[79:80], v[111:112], v[95:96]
	ds_read_b128 v[77:80], v1 offset:1120
	v_add_f64 v[93:94], v[93:94], v[101:102]
	v_add_f64 v[2:3], v[2:3], v[91:92]
	s_waitcnt vmcnt(15) lgkmcnt(1)
	v_mul_f64 v[101:102], v[87:88], v[117:118]
	s_waitcnt vmcnt(13)
	v_fma_f64 v[99:100], v[81:82], v[121:122], -v[99:100]
	;; [unrolled: 9-line block ×3, first 2 shown]
	v_mul_f64 v[95:96], v[77:78], v[124:125]
	v_fma_f64 v[87:88], v[87:88], v[119:120], v[91:92]
	s_waitcnt vmcnt(7) lgkmcnt(0)
	v_mul_f64 v[91:92], v[83:84], v[126:127]
	v_add_f64 v[93:94], v[93:94], v[99:100]
	v_add_f64 v[2:3], v[2:3], v[89:90]
	s_waitcnt vmcnt(5)
	v_fma_f64 v[77:78], v[77:78], v[130:131], -v[97:98]
	v_mul_f64 v[89:90], v[81:82], v[126:127]
	v_fma_f64 v[79:80], v[79:80], v[130:131], v[95:96]
	s_waitcnt vmcnt(4)
	v_fma_f64 v[81:82], v[81:82], v[128:129], -v[91:92]
	v_add_f64 v[85:86], v[93:94], v[85:86]
	v_add_f64 v[2:3], v[2:3], v[87:88]
	v_fma_f64 v[83:84], v[83:84], v[128:129], v[89:90]
	v_add_f64 v[77:78], v[85:86], v[77:78]
	v_add_f64 v[2:3], v[2:3], v[79:80]
	;; [unrolled: 1-line block ×4, first 2 shown]
	s_waitcnt vmcnt(2)
	v_add_f64 v[77:78], v[132:133], -v[77:78]
	s_waitcnt vmcnt(0)
	v_add_f64 v[2:3], v[134:135], -v[2:3]
	buffer_store_dword v78, off, s[0:3], 0 offset:404
	buffer_store_dword v77, off, s[0:3], 0 offset:400
	;; [unrolled: 1-line block ×4, first 2 shown]
	v_cmpx_lt_u32_e32 23, v0
	s_cbranch_execz .LBB99_183
; %bb.182:
	v_mov_b32_e32 v2, s24
	s_clause 0x3
	buffer_load_dword v77, v2, s[0:3], 0 offen
	buffer_load_dword v78, v2, s[0:3], 0 offen offset:4
	buffer_load_dword v79, v2, s[0:3], 0 offen offset:8
	;; [unrolled: 1-line block ×3, first 2 shown]
	buffer_store_dword v1, off, s[0:3], 0 offset:384
	buffer_store_dword v1, off, s[0:3], 0 offset:388
	;; [unrolled: 1-line block ×4, first 2 shown]
	s_waitcnt vmcnt(0)
	ds_write_b128 v123, v[77:80]
.LBB99_183:
	s_or_b32 exec_lo, exec_lo, s4
	s_waitcnt lgkmcnt(0)
	s_waitcnt_vscnt null, 0x0
	s_barrier
	buffer_gl0_inv
	s_clause 0x2f
	buffer_load_dword v2, off, s[0:3], 0 offset:408
	buffer_load_dword v3, off, s[0:3], 0 offset:412
	;; [unrolled: 1-line block ×48, first 2 shown]
	ds_read_b128 v[77:80], v1 offset:960
	s_clause 0x3
	buffer_load_dword v136, off, s[0:3], 0 offset:384
	buffer_load_dword v137, off, s[0:3], 0 offset:388
	;; [unrolled: 1-line block ×4, first 2 shown]
	ds_read_b128 v[81:84], v1 offset:976
	ds_read_b128 v[85:88], v1 offset:992
	s_mov_b32 s4, exec_lo
	s_waitcnt vmcnt(50) lgkmcnt(2)
	v_mul_f64 v[140:141], v[79:80], v[2:3]
	v_mul_f64 v[2:3], v[77:78], v[2:3]
	s_waitcnt vmcnt(48) lgkmcnt(1)
	v_mul_f64 v[142:143], v[83:84], v[89:90]
	v_mul_f64 v[89:90], v[81:82], v[89:90]
	s_waitcnt vmcnt(46)
	v_fma_f64 v[140:141], v[77:78], v[91:92], -v[140:141]
	v_fma_f64 v[2:3], v[79:80], v[91:92], v[2:3]
	s_waitcnt vmcnt(44) lgkmcnt(0)
	v_mul_f64 v[91:92], v[85:86], v[93:94]
	v_mul_f64 v[93:94], v[87:88], v[93:94]
	s_waitcnt vmcnt(42)
	v_fma_f64 v[142:143], v[81:82], v[95:96], -v[142:143]
	ds_read_b128 v[77:80], v1 offset:1008
	v_fma_f64 v[89:90], v[83:84], v[95:96], v[89:90]
	ds_read_b128 v[81:84], v1 offset:1024
	v_add_f64 v[140:141], v[140:141], 0
	v_add_f64 v[2:3], v[2:3], 0
	s_waitcnt vmcnt(36)
	v_fma_f64 v[91:92], v[87:88], v[103:104], v[91:92]
	s_waitcnt lgkmcnt(1)
	v_mul_f64 v[95:96], v[77:78], v[97:98]
	v_mul_f64 v[97:98], v[79:80], v[97:98]
	v_fma_f64 v[93:94], v[85:86], v[103:104], -v[93:94]
	ds_read_b128 v[85:88], v1 offset:1040
	v_add_f64 v[140:141], v[140:141], v[142:143]
	v_add_f64 v[2:3], v[2:3], v[89:90]
	s_waitcnt vmcnt(35) lgkmcnt(1)
	v_mul_f64 v[89:90], v[81:82], v[99:100]
	v_mul_f64 v[99:100], v[83:84], v[99:100]
	s_waitcnt vmcnt(33)
	v_fma_f64 v[97:98], v[77:78], v[105:106], -v[97:98]
	v_fma_f64 v[95:96], v[79:80], v[105:106], v[95:96]
	ds_read_b128 v[77:80], v1 offset:1056
	s_waitcnt vmcnt(29) lgkmcnt(1)
	v_mul_f64 v[103:104], v[87:88], v[107:108]
	v_add_f64 v[93:94], v[140:141], v[93:94]
	v_add_f64 v[2:3], v[2:3], v[91:92]
	v_mul_f64 v[91:92], v[85:86], v[107:108]
	s_waitcnt vmcnt(28)
	v_fma_f64 v[99:100], v[81:82], v[101:102], -v[99:100]
	v_fma_f64 v[89:90], v[83:84], v[101:102], v[89:90]
	ds_read_b128 v[81:84], v1 offset:1072
	s_waitcnt vmcnt(25)
	v_fma_f64 v[101:102], v[85:86], v[113:114], -v[103:104]
	v_add_f64 v[93:94], v[93:94], v[97:98]
	v_add_f64 v[2:3], v[2:3], v[95:96]
	s_waitcnt lgkmcnt(1)
	v_mul_f64 v[97:98], v[79:80], v[109:110]
	v_mul_f64 v[95:96], v[77:78], v[109:110]
	v_fma_f64 v[91:92], v[87:88], v[113:114], v[91:92]
	ds_read_b128 v[85:88], v1 offset:1088
	v_add_f64 v[93:94], v[93:94], v[99:100]
	v_add_f64 v[2:3], v[2:3], v[89:90]
	s_waitcnt vmcnt(21) lgkmcnt(1)
	v_mul_f64 v[99:100], v[83:84], v[115:116]
	s_waitcnt vmcnt(20)
	v_fma_f64 v[97:98], v[77:78], v[111:112], -v[97:98]
	v_mul_f64 v[89:90], v[81:82], v[115:116]
	v_fma_f64 v[95:96], v[79:80], v[111:112], v[95:96]
	ds_read_b128 v[77:80], v1 offset:1104
	v_add_f64 v[93:94], v[93:94], v[101:102]
	v_add_f64 v[2:3], v[2:3], v[91:92]
	s_waitcnt vmcnt(19) lgkmcnt(1)
	v_mul_f64 v[101:102], v[87:88], v[117:118]
	s_waitcnt vmcnt(17)
	v_fma_f64 v[99:100], v[81:82], v[121:122], -v[99:100]
	;; [unrolled: 9-line block ×3, first 2 shown]
	v_mul_f64 v[95:96], v[77:78], v[124:125]
	v_fma_f64 v[87:88], v[87:88], v[119:120], v[91:92]
	s_waitcnt vmcnt(11) lgkmcnt(0)
	v_mul_f64 v[91:92], v[81:82], v[126:127]
	v_add_f64 v[93:94], v[93:94], v[99:100]
	v_add_f64 v[89:90], v[2:3], v[89:90]
	v_mul_f64 v[99:100], v[83:84], v[126:127]
	s_waitcnt vmcnt(9)
	v_fma_f64 v[77:78], v[77:78], v[130:131], -v[97:98]
	ds_read_b128 v[1:4], v1 offset:1136
	v_fma_f64 v[79:80], v[79:80], v[130:131], v[95:96]
	s_waitcnt vmcnt(6)
	v_fma_f64 v[83:84], v[83:84], v[128:129], v[91:92]
	v_add_f64 v[85:86], v[93:94], v[85:86]
	v_add_f64 v[87:88], v[89:90], v[87:88]
	s_waitcnt lgkmcnt(0)
	v_mul_f64 v[93:94], v[3:4], v[132:133]
	v_fma_f64 v[81:82], v[81:82], v[128:129], -v[99:100]
	v_mul_f64 v[89:90], v[1:2], v[132:133]
	v_add_f64 v[77:78], v[85:86], v[77:78]
	v_add_f64 v[79:80], v[87:88], v[79:80]
	s_waitcnt vmcnt(4)
	v_fma_f64 v[1:2], v[1:2], v[134:135], -v[93:94]
	v_fma_f64 v[3:4], v[3:4], v[134:135], v[89:90]
	v_add_f64 v[77:78], v[77:78], v[81:82]
	v_add_f64 v[79:80], v[79:80], v[83:84]
	;; [unrolled: 1-line block ×4, first 2 shown]
	s_waitcnt vmcnt(2)
	v_add_f64 v[1:2], v[136:137], -v[1:2]
	s_waitcnt vmcnt(0)
	v_add_f64 v[3:4], v[138:139], -v[3:4]
	buffer_store_dword v2, off, s[0:3], 0 offset:388
	buffer_store_dword v1, off, s[0:3], 0 offset:384
	buffer_store_dword v4, off, s[0:3], 0 offset:396
	buffer_store_dword v3, off, s[0:3], 0 offset:392
	v_cmpx_lt_u32_e32 22, v0
	s_cbranch_execz .LBB99_185
; %bb.184:
	v_mov_b32_e32 v4, s25
	v_mov_b32_e32 v77, 0
	s_clause 0x3
	buffer_load_dword v1, v4, s[0:3], 0 offen
	buffer_load_dword v2, v4, s[0:3], 0 offen offset:4
	buffer_load_dword v3, v4, s[0:3], 0 offen offset:8
	;; [unrolled: 1-line block ×3, first 2 shown]
	buffer_store_dword v77, off, s[0:3], 0 offset:368
	buffer_store_dword v77, off, s[0:3], 0 offset:372
	;; [unrolled: 1-line block ×4, first 2 shown]
	s_waitcnt vmcnt(0)
	ds_write_b128 v123, v[1:4]
.LBB99_185:
	s_or_b32 exec_lo, exec_lo, s4
	s_waitcnt lgkmcnt(0)
	s_waitcnt_vscnt null, 0x0
	s_barrier
	buffer_gl0_inv
	s_clause 0x33
	buffer_load_dword v2, off, s[0:3], 0 offset:392
	buffer_load_dword v3, off, s[0:3], 0 offset:396
	;; [unrolled: 1-line block ×52, first 2 shown]
	v_mov_b32_e32 v1, 0
	ds_read_b128 v[77:80], v1 offset:944
	ds_read_b128 v[81:84], v1 offset:960
	s_clause 0x3
	buffer_load_dword v142, off, s[0:3], 0 offset:368
	buffer_load_dword v143, off, s[0:3], 0 offset:372
	;; [unrolled: 1-line block ×4, first 2 shown]
	ds_read_b128 v[85:88], v1 offset:976
	s_mov_b32 s4, exec_lo
	s_waitcnt vmcnt(54) lgkmcnt(2)
	v_mul_f64 v[140:141], v[79:80], v[2:3]
	v_mul_f64 v[2:3], v[77:78], v[2:3]
	s_waitcnt vmcnt(52) lgkmcnt(1)
	v_mul_f64 v[146:147], v[83:84], v[89:90]
	v_mul_f64 v[89:90], v[81:82], v[89:90]
	s_waitcnt vmcnt(50)
	v_fma_f64 v[140:141], v[77:78], v[91:92], -v[140:141]
	v_fma_f64 v[2:3], v[79:80], v[91:92], v[2:3]
	ds_read_b128 v[77:80], v1 offset:992
	s_waitcnt vmcnt(48) lgkmcnt(1)
	v_mul_f64 v[91:92], v[85:86], v[93:94]
	v_mul_f64 v[93:94], v[87:88], v[93:94]
	s_waitcnt vmcnt(46)
	v_fma_f64 v[146:147], v[81:82], v[95:96], -v[146:147]
	v_fma_f64 v[89:90], v[83:84], v[95:96], v[89:90]
	ds_read_b128 v[81:84], v1 offset:1008
	s_waitcnt vmcnt(42) lgkmcnt(1)
	v_mul_f64 v[95:96], v[77:78], v[97:98]
	v_add_f64 v[140:141], v[140:141], 0
	v_add_f64 v[2:3], v[2:3], 0
	v_mul_f64 v[97:98], v[79:80], v[97:98]
	s_waitcnt vmcnt(40)
	v_fma_f64 v[93:94], v[85:86], v[103:104], -v[93:94]
	v_fma_f64 v[91:92], v[87:88], v[103:104], v[91:92]
	ds_read_b128 v[85:88], v1 offset:1024
	s_waitcnt vmcnt(37)
	v_fma_f64 v[95:96], v[79:80], v[105:106], v[95:96]
	v_add_f64 v[140:141], v[140:141], v[146:147]
	v_add_f64 v[2:3], v[2:3], v[89:90]
	s_waitcnt lgkmcnt(1)
	v_mul_f64 v[89:90], v[81:82], v[99:100]
	v_mul_f64 v[99:100], v[83:84], v[99:100]
	v_fma_f64 v[97:98], v[77:78], v[105:106], -v[97:98]
	s_waitcnt vmcnt(33) lgkmcnt(0)
	v_mul_f64 v[103:104], v[87:88], v[107:108]
	ds_read_b128 v[77:80], v1 offset:1040
	v_add_f64 v[93:94], v[140:141], v[93:94]
	v_add_f64 v[2:3], v[2:3], v[91:92]
	v_mul_f64 v[91:92], v[85:86], v[107:108]
	s_waitcnt vmcnt(32)
	v_fma_f64 v[99:100], v[81:82], v[101:102], -v[99:100]
	v_fma_f64 v[89:90], v[83:84], v[101:102], v[89:90]
	ds_read_b128 v[81:84], v1 offset:1056
	s_waitcnt vmcnt(29)
	v_fma_f64 v[101:102], v[85:86], v[113:114], -v[103:104]
	v_add_f64 v[93:94], v[93:94], v[97:98]
	v_add_f64 v[2:3], v[2:3], v[95:96]
	s_waitcnt lgkmcnt(1)
	v_mul_f64 v[97:98], v[79:80], v[109:110]
	v_mul_f64 v[95:96], v[77:78], v[109:110]
	v_fma_f64 v[91:92], v[87:88], v[113:114], v[91:92]
	ds_read_b128 v[85:88], v1 offset:1072
	v_add_f64 v[93:94], v[93:94], v[99:100]
	v_add_f64 v[2:3], v[2:3], v[89:90]
	s_waitcnt vmcnt(25) lgkmcnt(1)
	v_mul_f64 v[99:100], v[83:84], v[115:116]
	s_waitcnt vmcnt(24)
	v_fma_f64 v[97:98], v[77:78], v[111:112], -v[97:98]
	v_mul_f64 v[89:90], v[81:82], v[115:116]
	v_fma_f64 v[95:96], v[79:80], v[111:112], v[95:96]
	ds_read_b128 v[77:80], v1 offset:1088
	v_add_f64 v[93:94], v[93:94], v[101:102]
	v_add_f64 v[2:3], v[2:3], v[91:92]
	s_waitcnt vmcnt(23) lgkmcnt(1)
	v_mul_f64 v[101:102], v[87:88], v[117:118]
	s_waitcnt vmcnt(21)
	v_fma_f64 v[99:100], v[81:82], v[121:122], -v[99:100]
	;; [unrolled: 9-line block ×5, first 2 shown]
	v_mul_f64 v[91:92], v[85:86], v[132:133]
	v_fma_f64 v[83:84], v[83:84], v[128:129], v[89:90]
	s_waitcnt vmcnt(7) lgkmcnt(0)
	v_mul_f64 v[89:90], v[77:78], v[134:135]
	v_add_f64 v[93:94], v[93:94], v[97:98]
	v_add_f64 v[2:3], v[2:3], v[95:96]
	v_mul_f64 v[95:96], v[79:80], v[134:135]
	s_waitcnt vmcnt(5)
	v_fma_f64 v[85:86], v[85:86], v[138:139], -v[101:102]
	v_fma_f64 v[87:88], v[87:88], v[138:139], v[91:92]
	s_waitcnt vmcnt(4)
	v_fma_f64 v[79:80], v[79:80], v[136:137], v[89:90]
	v_add_f64 v[81:82], v[93:94], v[81:82]
	v_add_f64 v[2:3], v[2:3], v[83:84]
	v_fma_f64 v[77:78], v[77:78], v[136:137], -v[95:96]
	v_add_f64 v[81:82], v[81:82], v[85:86]
	v_add_f64 v[2:3], v[2:3], v[87:88]
	;; [unrolled: 1-line block ×4, first 2 shown]
	s_waitcnt vmcnt(2)
	v_add_f64 v[77:78], v[142:143], -v[77:78]
	s_waitcnt vmcnt(0)
	v_add_f64 v[2:3], v[144:145], -v[2:3]
	buffer_store_dword v78, off, s[0:3], 0 offset:372
	buffer_store_dword v77, off, s[0:3], 0 offset:368
	;; [unrolled: 1-line block ×4, first 2 shown]
	v_cmpx_lt_u32_e32 21, v0
	s_cbranch_execz .LBB99_187
; %bb.186:
	v_mov_b32_e32 v2, s26
	s_clause 0x3
	buffer_load_dword v77, v2, s[0:3], 0 offen
	buffer_load_dword v78, v2, s[0:3], 0 offen offset:4
	buffer_load_dword v79, v2, s[0:3], 0 offen offset:8
	;; [unrolled: 1-line block ×3, first 2 shown]
	buffer_store_dword v1, off, s[0:3], 0 offset:352
	buffer_store_dword v1, off, s[0:3], 0 offset:356
	;; [unrolled: 1-line block ×4, first 2 shown]
	s_waitcnt vmcnt(0)
	ds_write_b128 v123, v[77:80]
.LBB99_187:
	s_or_b32 exec_lo, exec_lo, s4
	s_waitcnt lgkmcnt(0)
	s_waitcnt_vscnt null, 0x0
	s_barrier
	buffer_gl0_inv
	s_clause 0x35
	buffer_load_dword v2, off, s[0:3], 0 offset:376
	buffer_load_dword v3, off, s[0:3], 0 offset:380
	;; [unrolled: 1-line block ×54, first 2 shown]
	ds_read_b128 v[77:80], v1 offset:928
	s_clause 0x1
	buffer_load_dword v143, off, s[0:3], 0 offset:580
	buffer_load_dword v142, off, s[0:3], 0 offset:576
	ds_read_b128 v[81:84], v1 offset:944
	ds_read_b128 v[85:88], v1 offset:960
	s_mov_b32 s4, exec_lo
	s_waitcnt vmcnt(54) lgkmcnt(2)
	v_mul_f64 v[144:145], v[79:80], v[2:3]
	v_mul_f64 v[2:3], v[77:78], v[2:3]
	s_waitcnt vmcnt(52) lgkmcnt(1)
	v_mul_f64 v[146:147], v[83:84], v[89:90]
	v_mul_f64 v[89:90], v[81:82], v[89:90]
	;; [unrolled: 3-line block ×3, first 2 shown]
	v_fma_f64 v[144:145], v[77:78], v[91:92], -v[144:145]
	v_fma_f64 v[2:3], v[79:80], v[91:92], v[2:3]
	s_clause 0x3
	buffer_load_dword v91, off, s[0:3], 0 offset:352
	buffer_load_dword v92, off, s[0:3], 0 offset:356
	;; [unrolled: 1-line block ×4, first 2 shown]
	s_waitcnt vmcnt(50)
	v_fma_f64 v[146:147], v[81:82], v[95:96], -v[146:147]
	ds_read_b128 v[77:80], v1 offset:976
	v_fma_f64 v[89:90], v[83:84], v[95:96], v[89:90]
	ds_read_b128 v[81:84], v1 offset:992
	s_waitcnt vmcnt(44)
	v_fma_f64 v[93:94], v[85:86], v[103:104], -v[93:94]
	v_fma_f64 v[103:104], v[87:88], v[103:104], v[150:151]
	ds_read_b128 v[85:88], v1 offset:1008
	v_add_f64 v[144:145], v[144:145], 0
	v_add_f64 v[2:3], v[2:3], 0
	s_waitcnt lgkmcnt(2)
	v_mul_f64 v[95:96], v[77:78], v[97:98]
	v_mul_f64 v[97:98], v[79:80], v[97:98]
	v_add_f64 v[144:145], v[144:145], v[146:147]
	v_add_f64 v[2:3], v[2:3], v[89:90]
	s_waitcnt vmcnt(43) lgkmcnt(1)
	v_mul_f64 v[89:90], v[81:82], v[99:100]
	v_mul_f64 v[99:100], v[83:84], v[99:100]
	s_waitcnt vmcnt(41)
	v_fma_f64 v[97:98], v[77:78], v[105:106], -v[97:98]
	v_fma_f64 v[95:96], v[79:80], v[105:106], v[95:96]
	ds_read_b128 v[77:80], v1 offset:1024
	s_waitcnt vmcnt(37) lgkmcnt(1)
	v_mul_f64 v[105:106], v[87:88], v[107:108]
	v_add_f64 v[93:94], v[144:145], v[93:94]
	v_add_f64 v[2:3], v[2:3], v[103:104]
	v_mul_f64 v[103:104], v[85:86], v[107:108]
	s_waitcnt vmcnt(36)
	v_fma_f64 v[99:100], v[81:82], v[101:102], -v[99:100]
	v_fma_f64 v[89:90], v[83:84], v[101:102], v[89:90]
	ds_read_b128 v[81:84], v1 offset:1040
	s_waitcnt vmcnt(33)
	v_fma_f64 v[101:102], v[85:86], v[113:114], -v[105:106]
	v_add_f64 v[93:94], v[93:94], v[97:98]
	v_add_f64 v[2:3], v[2:3], v[95:96]
	s_waitcnt lgkmcnt(1)
	v_mul_f64 v[97:98], v[79:80], v[109:110]
	v_mul_f64 v[95:96], v[77:78], v[109:110]
	v_add_f64 v[93:94], v[93:94], v[99:100]
	v_fma_f64 v[99:100], v[87:88], v[113:114], v[103:104]
	v_add_f64 v[2:3], v[2:3], v[89:90]
	ds_read_b128 v[85:88], v1 offset:1056
	s_waitcnt vmcnt(29) lgkmcnt(1)
	v_mul_f64 v[103:104], v[83:84], v[115:116]
	s_waitcnt vmcnt(28)
	v_fma_f64 v[97:98], v[77:78], v[111:112], -v[97:98]
	v_mul_f64 v[89:90], v[81:82], v[115:116]
	v_fma_f64 v[95:96], v[79:80], v[111:112], v[95:96]
	ds_read_b128 v[77:80], v1 offset:1072
	v_add_f64 v[93:94], v[93:94], v[101:102]
	s_waitcnt vmcnt(27) lgkmcnt(1)
	v_mul_f64 v[101:102], v[87:88], v[117:118]
	v_add_f64 v[2:3], v[2:3], v[99:100]
	v_mul_f64 v[99:100], v[85:86], v[117:118]
	s_waitcnt vmcnt(25)
	v_fma_f64 v[103:104], v[81:82], v[121:122], -v[103:104]
	v_fma_f64 v[89:90], v[83:84], v[121:122], v[89:90]
	ds_read_b128 v[81:84], v1 offset:1088
	v_add_f64 v[93:94], v[93:94], v[97:98]
	s_waitcnt vmcnt(21) lgkmcnt(1)
	v_mul_f64 v[97:98], v[79:80], v[124:125]
	v_add_f64 v[2:3], v[2:3], v[95:96]
	s_waitcnt vmcnt(20)
	v_fma_f64 v[101:102], v[85:86], v[119:120], -v[101:102]
	v_mul_f64 v[95:96], v[77:78], v[124:125]
	v_fma_f64 v[99:100], v[87:88], v[119:120], v[99:100]
	ds_read_b128 v[85:88], v1 offset:1104
	v_add_f64 v[93:94], v[93:94], v[103:104]
	s_waitcnt vmcnt(19) lgkmcnt(1)
	v_mul_f64 v[103:104], v[83:84], v[126:127]
	v_add_f64 v[2:3], v[2:3], v[89:90]
	s_waitcnt vmcnt(17)
	v_fma_f64 v[97:98], v[77:78], v[130:131], -v[97:98]
	v_mul_f64 v[89:90], v[81:82], v[126:127]
	;; [unrolled: 9-line block ×3, first 2 shown]
	v_fma_f64 v[83:84], v[83:84], v[128:129], v[89:90]
	v_add_f64 v[93:94], v[93:94], v[97:98]
	s_waitcnt vmcnt(11) lgkmcnt(0)
	v_mul_f64 v[97:98], v[79:80], v[134:135]
	v_add_f64 v[89:90], v[2:3], v[95:96]
	s_waitcnt vmcnt(9)
	v_fma_f64 v[85:86], v[85:86], v[138:139], -v[101:102]
	ds_read_b128 v[1:4], v1 offset:1136
	v_mul_f64 v[95:96], v[77:78], v[134:135]
	v_fma_f64 v[87:88], v[87:88], v[138:139], v[99:100]
	v_add_f64 v[81:82], v[93:94], v[81:82]
	s_waitcnt vmcnt(6)
	v_fma_f64 v[77:78], v[77:78], v[136:137], -v[97:98]
	v_add_f64 v[83:84], v[89:90], v[83:84]
	s_waitcnt lgkmcnt(0)
	v_mul_f64 v[93:94], v[3:4], v[140:141]
	v_mul_f64 v[89:90], v[1:2], v[140:141]
	v_fma_f64 v[79:80], v[79:80], v[136:137], v[95:96]
	v_add_f64 v[81:82], v[81:82], v[85:86]
	v_add_f64 v[83:84], v[83:84], v[87:88]
	s_waitcnt vmcnt(4)
	v_fma_f64 v[1:2], v[1:2], v[142:143], -v[93:94]
	v_fma_f64 v[3:4], v[3:4], v[142:143], v[89:90]
	v_add_f64 v[77:78], v[81:82], v[77:78]
	v_add_f64 v[79:80], v[83:84], v[79:80]
	;; [unrolled: 1-line block ×4, first 2 shown]
	s_waitcnt vmcnt(2)
	v_add_f64 v[1:2], v[91:92], -v[1:2]
	s_waitcnt vmcnt(0)
	v_add_f64 v[3:4], v[148:149], -v[3:4]
	buffer_store_dword v2, off, s[0:3], 0 offset:356
	buffer_store_dword v1, off, s[0:3], 0 offset:352
	buffer_store_dword v4, off, s[0:3], 0 offset:364
	buffer_store_dword v3, off, s[0:3], 0 offset:360
	v_cmpx_lt_u32_e32 20, v0
	s_cbranch_execz .LBB99_189
; %bb.188:
	v_mov_b32_e32 v4, s27
	v_mov_b32_e32 v77, 0
	s_clause 0x3
	buffer_load_dword v1, v4, s[0:3], 0 offen
	buffer_load_dword v2, v4, s[0:3], 0 offen offset:4
	buffer_load_dword v3, v4, s[0:3], 0 offen offset:8
	;; [unrolled: 1-line block ×3, first 2 shown]
	buffer_store_dword v77, off, s[0:3], 0 offset:336
	buffer_store_dword v77, off, s[0:3], 0 offset:340
	;; [unrolled: 1-line block ×4, first 2 shown]
	s_waitcnt vmcnt(0)
	ds_write_b128 v123, v[1:4]
.LBB99_189:
	s_or_b32 exec_lo, exec_lo, s4
	s_waitcnt lgkmcnt(0)
	s_waitcnt_vscnt null, 0x0
	s_barrier
	buffer_gl0_inv
	s_clause 0x37
	buffer_load_dword v2, off, s[0:3], 0 offset:360
	buffer_load_dword v3, off, s[0:3], 0 offset:364
	;; [unrolled: 1-line block ×56, first 2 shown]
	v_mov_b32_e32 v1, 0
	s_mov_b32 s4, exec_lo
	ds_read_b128 v[77:80], v1 offset:912
	s_clause 0x2
	buffer_load_dword v143, off, s[0:3], 0 offset:588
	buffer_load_dword v147, off, s[0:3], 0 offset:564
	;; [unrolled: 1-line block ×3, first 2 shown]
	ds_read_b128 v[81:84], v1 offset:928
	ds_read_b128 v[85:88], v1 offset:944
	buffer_load_dword v145, off, s[0:3], 0 offset:580
	s_waitcnt vmcnt(58) lgkmcnt(2)
	v_mul_f64 v[148:149], v[79:80], v[2:3]
	v_mul_f64 v[2:3], v[77:78], v[2:3]
	s_waitcnt vmcnt(56) lgkmcnt(1)
	v_mul_f64 v[150:151], v[83:84], v[89:90]
	v_mul_f64 v[89:90], v[81:82], v[89:90]
	s_waitcnt vmcnt(54)
	v_fma_f64 v[148:149], v[77:78], v[91:92], -v[148:149]
	v_fma_f64 v[2:3], v[79:80], v[91:92], v[2:3]
	s_waitcnt vmcnt(52) lgkmcnt(0)
	v_mul_f64 v[91:92], v[85:86], v[93:94]
	v_mul_f64 v[93:94], v[87:88], v[93:94]
	s_waitcnt vmcnt(50)
	v_fma_f64 v[150:151], v[81:82], v[95:96], -v[150:151]
	ds_read_b128 v[77:80], v1 offset:960
	v_fma_f64 v[89:90], v[83:84], v[95:96], v[89:90]
	s_clause 0x3
	buffer_load_dword v95, off, s[0:3], 0 offset:336
	buffer_load_dword v96, off, s[0:3], 0 offset:340
	;; [unrolled: 1-line block ×4, first 2 shown]
	ds_read_b128 v[81:84], v1 offset:976
	v_add_f64 v[148:149], v[148:149], 0
	v_add_f64 v[2:3], v[2:3], 0
	s_waitcnt vmcnt(48)
	v_fma_f64 v[91:92], v[87:88], v[103:104], v[91:92]
	s_waitcnt lgkmcnt(1)
	v_mul_f64 v[154:155], v[77:78], v[97:98]
	v_mul_f64 v[97:98], v[79:80], v[97:98]
	v_fma_f64 v[93:94], v[85:86], v[103:104], -v[93:94]
	ds_read_b128 v[85:88], v1 offset:992
	v_add_f64 v[148:149], v[148:149], v[150:151]
	v_add_f64 v[2:3], v[2:3], v[89:90]
	s_waitcnt vmcnt(47) lgkmcnt(1)
	v_mul_f64 v[89:90], v[81:82], v[99:100]
	v_mul_f64 v[99:100], v[83:84], v[99:100]
	s_waitcnt vmcnt(45)
	v_fma_f64 v[97:98], v[77:78], v[105:106], -v[97:98]
	v_fma_f64 v[103:104], v[79:80], v[105:106], v[154:155]
	s_waitcnt vmcnt(41) lgkmcnt(0)
	v_mul_f64 v[105:106], v[87:88], v[107:108]
	ds_read_b128 v[77:80], v1 offset:1008
	v_add_f64 v[93:94], v[148:149], v[93:94]
	v_add_f64 v[2:3], v[2:3], v[91:92]
	v_mul_f64 v[91:92], v[85:86], v[107:108]
	s_waitcnt vmcnt(40)
	v_fma_f64 v[99:100], v[81:82], v[101:102], -v[99:100]
	v_fma_f64 v[89:90], v[83:84], v[101:102], v[89:90]
	ds_read_b128 v[81:84], v1 offset:1024
	s_waitcnt vmcnt(39) lgkmcnt(1)
	v_mul_f64 v[101:102], v[79:80], v[109:110]
	v_add_f64 v[93:94], v[93:94], v[97:98]
	v_add_f64 v[2:3], v[2:3], v[103:104]
	s_waitcnt vmcnt(37)
	v_fma_f64 v[103:104], v[85:86], v[113:114], -v[105:106]
	v_mul_f64 v[97:98], v[77:78], v[109:110]
	v_fma_f64 v[91:92], v[87:88], v[113:114], v[91:92]
	ds_read_b128 v[85:88], v1 offset:1040
	s_waitcnt vmcnt(32)
	v_fma_f64 v[101:102], v[77:78], v[111:112], -v[101:102]
	v_add_f64 v[93:94], v[93:94], v[99:100]
	v_add_f64 v[2:3], v[2:3], v[89:90]
	s_waitcnt lgkmcnt(1)
	v_mul_f64 v[99:100], v[83:84], v[115:116]
	v_mul_f64 v[89:90], v[81:82], v[115:116]
	v_fma_f64 v[97:98], v[79:80], v[111:112], v[97:98]
	ds_read_b128 v[77:80], v1 offset:1056
	v_add_f64 v[93:94], v[93:94], v[103:104]
	v_add_f64 v[2:3], v[2:3], v[91:92]
	s_waitcnt vmcnt(31) lgkmcnt(1)
	v_mul_f64 v[103:104], v[87:88], v[117:118]
	s_waitcnt vmcnt(29)
	v_fma_f64 v[99:100], v[81:82], v[121:122], -v[99:100]
	v_mul_f64 v[91:92], v[85:86], v[117:118]
	v_fma_f64 v[89:90], v[83:84], v[121:122], v[89:90]
	ds_read_b128 v[81:84], v1 offset:1072
	v_add_f64 v[93:94], v[93:94], v[101:102]
	v_add_f64 v[2:3], v[2:3], v[97:98]
	s_waitcnt vmcnt(25) lgkmcnt(1)
	v_mul_f64 v[101:102], v[79:80], v[124:125]
	s_waitcnt vmcnt(24)
	v_fma_f64 v[103:104], v[85:86], v[119:120], -v[103:104]
	;; [unrolled: 9-line block ×6, first 2 shown]
	v_mul_f64 v[89:90], v[81:82], v[140:141]
	v_fma_f64 v[79:80], v[79:80], v[136:137], v[97:98]
	s_waitcnt vmcnt(7) lgkmcnt(0)
	v_mul_f64 v[97:98], v[87:88], v[142:143]
	v_add_f64 v[93:94], v[93:94], v[103:104]
	v_add_f64 v[2:3], v[2:3], v[91:92]
	s_waitcnt vmcnt(5)
	v_fma_f64 v[81:82], v[81:82], v[146:147], -v[99:100]
	v_mul_f64 v[91:92], v[85:86], v[142:143]
	v_fma_f64 v[83:84], v[83:84], v[146:147], v[89:90]
	v_add_f64 v[77:78], v[93:94], v[77:78]
	v_add_f64 v[2:3], v[2:3], v[79:80]
	s_waitcnt vmcnt(4)
	v_fma_f64 v[79:80], v[85:86], v[144:145], -v[97:98]
	v_add_f64 v[77:78], v[77:78], v[81:82]
	v_fma_f64 v[81:82], v[87:88], v[144:145], v[91:92]
	v_add_f64 v[2:3], v[2:3], v[83:84]
	v_add_f64 v[77:78], v[77:78], v[79:80]
	;; [unrolled: 1-line block ×3, first 2 shown]
	s_waitcnt vmcnt(2)
	v_add_f64 v[77:78], v[95:96], -v[77:78]
	s_waitcnt vmcnt(0)
	v_add_f64 v[2:3], v[152:153], -v[2:3]
	buffer_store_dword v78, off, s[0:3], 0 offset:340
	buffer_store_dword v77, off, s[0:3], 0 offset:336
	;; [unrolled: 1-line block ×4, first 2 shown]
	v_cmpx_lt_u32_e32 19, v0
	s_cbranch_execz .LBB99_191
; %bb.190:
	v_mov_b32_e32 v2, s28
	s_clause 0x3
	buffer_load_dword v77, v2, s[0:3], 0 offen
	buffer_load_dword v78, v2, s[0:3], 0 offen offset:4
	buffer_load_dword v79, v2, s[0:3], 0 offen offset:8
	;; [unrolled: 1-line block ×3, first 2 shown]
	buffer_store_dword v1, off, s[0:3], 0 offset:320
	buffer_store_dword v1, off, s[0:3], 0 offset:324
	;; [unrolled: 1-line block ×4, first 2 shown]
	s_waitcnt vmcnt(0)
	ds_write_b128 v123, v[77:80]
.LBB99_191:
	s_or_b32 exec_lo, exec_lo, s4
	s_waitcnt lgkmcnt(0)
	s_waitcnt_vscnt null, 0x0
	s_barrier
	buffer_gl0_inv
	s_clause 0x37
	buffer_load_dword v2, off, s[0:3], 0 offset:344
	buffer_load_dword v3, off, s[0:3], 0 offset:348
	;; [unrolled: 1-line block ×56, first 2 shown]
	ds_read_b128 v[77:80], v1 offset:896
	s_clause 0x2
	buffer_load_dword v143, off, s[0:3], 0 offset:572
	buffer_load_dword v147, off, s[0:3], 0 offset:548
	;; [unrolled: 1-line block ×3, first 2 shown]
	ds_read_b128 v[81:84], v1 offset:912
	s_clause 0x2
	buffer_load_dword v151, off, s[0:3], 0 offset:588
	buffer_load_dword v150, off, s[0:3], 0 offset:584
	;; [unrolled: 1-line block ×3, first 2 shown]
	ds_read_b128 v[85:88], v1 offset:928
	s_mov_b32 s4, exec_lo
	s_waitcnt vmcnt(60) lgkmcnt(2)
	v_mul_f64 v[148:149], v[79:80], v[2:3]
	v_mul_f64 v[2:3], v[77:78], v[2:3]
	s_waitcnt vmcnt(58) lgkmcnt(1)
	v_mul_f64 v[152:153], v[83:84], v[89:90]
	v_mul_f64 v[89:90], v[81:82], v[89:90]
	;; [unrolled: 3-line block ×3, first 2 shown]
	v_fma_f64 v[148:149], v[77:78], v[91:92], -v[148:149]
	v_fma_f64 v[2:3], v[79:80], v[91:92], v[2:3]
	s_clause 0x1
	buffer_load_dword v92, off, s[0:3], 0 offset:580
	buffer_load_dword v91, off, s[0:3], 0 offset:576
	s_waitcnt vmcnt(54)
	v_fma_f64 v[152:153], v[81:82], v[95:96], -v[152:153]
	ds_read_b128 v[77:80], v1 offset:944
	v_fma_f64 v[89:90], v[83:84], v[95:96], v[89:90]
	ds_read_b128 v[81:84], v1 offset:960
	s_waitcnt vmcnt(48)
	v_fma_f64 v[93:94], v[85:86], v[103:104], -v[93:94]
	v_fma_f64 v[103:104], v[87:88], v[103:104], v[154:155]
	v_add_f64 v[148:149], v[148:149], 0
	v_add_f64 v[2:3], v[2:3], 0
	s_waitcnt lgkmcnt(1)
	v_mul_f64 v[95:96], v[77:78], v[97:98]
	v_mul_f64 v[97:98], v[79:80], v[97:98]
	s_waitcnt vmcnt(47) lgkmcnt(0)
	v_mul_f64 v[154:155], v[81:82], v[99:100]
	v_mul_f64 v[99:100], v[83:84], v[99:100]
	v_add_f64 v[148:149], v[148:149], v[152:153]
	v_add_f64 v[2:3], v[2:3], v[89:90]
	s_clause 0x3
	buffer_load_dword v89, off, s[0:3], 0 offset:320
	buffer_load_dword v90, off, s[0:3], 0 offset:324
	;; [unrolled: 1-line block ×4, first 2 shown]
	s_waitcnt vmcnt(49)
	v_fma_f64 v[97:98], v[77:78], v[105:106], -v[97:98]
	ds_read_b128 v[85:88], v1 offset:976
	v_fma_f64 v[95:96], v[79:80], v[105:106], v[95:96]
	ds_read_b128 v[77:80], v1 offset:992
	s_waitcnt vmcnt(44)
	v_fma_f64 v[99:100], v[81:82], v[101:102], -v[99:100]
	v_add_f64 v[93:94], v[148:149], v[93:94]
	v_add_f64 v[2:3], v[2:3], v[103:104]
	s_waitcnt lgkmcnt(1)
	v_mul_f64 v[105:106], v[87:88], v[107:108]
	v_mul_f64 v[103:104], v[85:86], v[107:108]
	v_add_f64 v[93:94], v[93:94], v[97:98]
	v_fma_f64 v[97:98], v[83:84], v[101:102], v[154:155]
	v_add_f64 v[2:3], v[2:3], v[95:96]
	s_waitcnt vmcnt(43) lgkmcnt(0)
	v_mul_f64 v[101:102], v[79:80], v[109:110]
	s_waitcnt vmcnt(41)
	v_fma_f64 v[105:106], v[85:86], v[113:114], -v[105:106]
	ds_read_b128 v[81:84], v1 offset:1008
	v_mul_f64 v[95:96], v[77:78], v[109:110]
	v_add_f64 v[93:94], v[93:94], v[99:100]
	v_fma_f64 v[99:100], v[87:88], v[113:114], v[103:104]
	v_add_f64 v[2:3], v[2:3], v[97:98]
	ds_read_b128 v[85:88], v1 offset:1024
	s_waitcnt vmcnt(37) lgkmcnt(1)
	v_mul_f64 v[103:104], v[83:84], v[115:116]
	s_waitcnt vmcnt(36)
	v_fma_f64 v[101:102], v[77:78], v[111:112], -v[101:102]
	v_mul_f64 v[97:98], v[81:82], v[115:116]
	v_fma_f64 v[95:96], v[79:80], v[111:112], v[95:96]
	ds_read_b128 v[77:80], v1 offset:1040
	v_add_f64 v[93:94], v[93:94], v[105:106]
	s_waitcnt vmcnt(35) lgkmcnt(1)
	v_mul_f64 v[105:106], v[87:88], v[117:118]
	v_add_f64 v[2:3], v[2:3], v[99:100]
	v_mul_f64 v[99:100], v[85:86], v[117:118]
	s_waitcnt vmcnt(33)
	v_fma_f64 v[103:104], v[81:82], v[121:122], -v[103:104]
	v_fma_f64 v[97:98], v[83:84], v[121:122], v[97:98]
	ds_read_b128 v[81:84], v1 offset:1056
	v_add_f64 v[93:94], v[93:94], v[101:102]
	s_waitcnt vmcnt(29) lgkmcnt(1)
	v_mul_f64 v[101:102], v[79:80], v[124:125]
	v_add_f64 v[2:3], v[2:3], v[95:96]
	s_waitcnt vmcnt(28)
	v_fma_f64 v[105:106], v[85:86], v[119:120], -v[105:106]
	v_mul_f64 v[95:96], v[77:78], v[124:125]
	v_fma_f64 v[99:100], v[87:88], v[119:120], v[99:100]
	ds_read_b128 v[85:88], v1 offset:1072
	v_add_f64 v[93:94], v[93:94], v[103:104]
	s_waitcnt vmcnt(27) lgkmcnt(1)
	v_mul_f64 v[103:104], v[83:84], v[126:127]
	v_add_f64 v[2:3], v[2:3], v[97:98]
	s_waitcnt vmcnt(25)
	v_fma_f64 v[101:102], v[77:78], v[130:131], -v[101:102]
	v_mul_f64 v[97:98], v[81:82], v[126:127]
	;; [unrolled: 9-line block ×5, first 2 shown]
	v_fma_f64 v[79:80], v[79:80], v[136:137], v[95:96]
	s_waitcnt vmcnt(11) lgkmcnt(0)
	v_mul_f64 v[101:102], v[87:88], v[142:143]
	v_add_f64 v[93:94], v[93:94], v[105:106]
	s_waitcnt vmcnt(9)
	v_fma_f64 v[81:82], v[81:82], v[146:147], -v[103:104]
	v_add_f64 v[95:96], v[2:3], v[99:100]
	ds_read_b128 v[1:4], v1 offset:1136
	v_mul_f64 v[99:100], v[85:86], v[142:143]
	v_fma_f64 v[83:84], v[83:84], v[146:147], v[97:98]
	s_waitcnt vmcnt(6)
	v_fma_f64 v[85:86], v[85:86], v[144:145], -v[101:102]
	v_add_f64 v[77:78], v[93:94], v[77:78]
	s_waitcnt lgkmcnt(0)
	v_mul_f64 v[93:94], v[1:2], v[150:151]
	v_add_f64 v[79:80], v[95:96], v[79:80]
	v_mul_f64 v[95:96], v[3:4], v[150:151]
	v_add_f64 v[77:78], v[77:78], v[81:82]
	v_fma_f64 v[81:82], v[87:88], v[144:145], v[99:100]
	v_add_f64 v[79:80], v[79:80], v[83:84]
	s_waitcnt vmcnt(4)
	v_fma_f64 v[1:2], v[1:2], v[91:92], -v[95:96]
	v_fma_f64 v[3:4], v[3:4], v[91:92], v[93:94]
	v_add_f64 v[77:78], v[77:78], v[85:86]
	v_add_f64 v[79:80], v[79:80], v[81:82]
	;; [unrolled: 1-line block ×4, first 2 shown]
	s_waitcnt vmcnt(2)
	v_add_f64 v[1:2], v[89:90], -v[1:2]
	s_waitcnt vmcnt(0)
	v_add_f64 v[3:4], v[152:153], -v[3:4]
	buffer_store_dword v2, off, s[0:3], 0 offset:324
	buffer_store_dword v1, off, s[0:3], 0 offset:320
	;; [unrolled: 1-line block ×4, first 2 shown]
	v_cmpx_lt_u32_e32 18, v0
	s_cbranch_execz .LBB99_193
; %bb.192:
	v_mov_b32_e32 v4, s29
	v_mov_b32_e32 v77, 0
	s_clause 0x3
	buffer_load_dword v1, v4, s[0:3], 0 offen
	buffer_load_dword v2, v4, s[0:3], 0 offen offset:4
	buffer_load_dword v3, v4, s[0:3], 0 offen offset:8
	;; [unrolled: 1-line block ×3, first 2 shown]
	buffer_store_dword v77, off, s[0:3], 0 offset:304
	buffer_store_dword v77, off, s[0:3], 0 offset:308
	;; [unrolled: 1-line block ×4, first 2 shown]
	s_waitcnt vmcnt(0)
	ds_write_b128 v123, v[1:4]
.LBB99_193:
	s_or_b32 exec_lo, exec_lo, s4
	s_waitcnt lgkmcnt(0)
	s_waitcnt_vscnt null, 0x0
	s_barrier
	buffer_gl0_inv
	s_clause 0x35
	buffer_load_dword v2, off, s[0:3], 0 offset:328
	buffer_load_dword v3, off, s[0:3], 0 offset:332
	;; [unrolled: 1-line block ×54, first 2 shown]
	v_mov_b32_e32 v1, 0
	s_mov_b32 s4, exec_lo
	ds_read_b128 v[77:80], v1 offset:880
	s_clause 0x3
	buffer_load_dword v142, off, s[0:3], 0 offset:552
	buffer_load_dword v143, off, s[0:3], 0 offset:556
	;; [unrolled: 1-line block ×4, first 2 shown]
	ds_read_b128 v[81:84], v1 offset:896
	s_clause 0x3
	buffer_load_dword v149, off, s[0:3], 0 offset:572
	buffer_load_dword v148, off, s[0:3], 0 offset:568
	buffer_load_dword v150, off, s[0:3], 0 offset:544
	buffer_load_dword v151, off, s[0:3], 0 offset:548
	ds_read_b128 v[85:88], v1 offset:912
	s_waitcnt vmcnt(60) lgkmcnt(2)
	v_mul_f64 v[146:147], v[79:80], v[2:3]
	v_mul_f64 v[2:3], v[77:78], v[2:3]
	s_waitcnt vmcnt(58) lgkmcnt(1)
	v_mul_f64 v[152:153], v[83:84], v[89:90]
	v_mul_f64 v[89:90], v[81:82], v[89:90]
	;; [unrolled: 3-line block ×3, first 2 shown]
	v_fma_f64 v[146:147], v[77:78], v[91:92], -v[146:147]
	v_fma_f64 v[2:3], v[79:80], v[91:92], v[2:3]
	s_clause 0x3
	buffer_load_dword v91, off, s[0:3], 0 offset:584
	buffer_load_dword v92, off, s[0:3], 0 offset:588
	;; [unrolled: 1-line block ×4, first 2 shown]
	s_waitcnt vmcnt(56)
	v_fma_f64 v[152:153], v[81:82], v[95:96], -v[152:153]
	ds_read_b128 v[77:80], v1 offset:928
	v_fma_f64 v[89:90], v[83:84], v[95:96], v[89:90]
	s_clause 0x1
	buffer_load_dword v95, off, s[0:3], 0 offset:576
	buffer_load_dword v96, off, s[0:3], 0 offset:580
	s_waitcnt vmcnt(54)
	v_fma_f64 v[93:94], v[85:86], v[99:100], -v[93:94]
	ds_read_b128 v[81:84], v1 offset:944
	v_fma_f64 v[99:100], v[87:88], v[99:100], v[156:157]
	ds_read_b128 v[85:88], v1 offset:960
	v_add_f64 v[146:147], v[146:147], 0
	v_add_f64 v[2:3], v[2:3], 0
	s_waitcnt lgkmcnt(2)
	v_mul_f64 v[158:159], v[77:78], v[97:98]
	v_mul_f64 v[97:98], v[79:80], v[97:98]
	v_add_f64 v[146:147], v[146:147], v[152:153]
	v_add_f64 v[2:3], v[2:3], v[89:90]
	s_waitcnt vmcnt(52) lgkmcnt(1)
	v_mul_f64 v[89:90], v[81:82], v[101:102]
	v_mul_f64 v[101:102], v[83:84], v[101:102]
	s_waitcnt vmcnt(50)
	v_fma_f64 v[97:98], v[77:78], v[103:104], -v[97:98]
	v_fma_f64 v[103:104], v[79:80], v[103:104], v[158:159]
	s_waitcnt vmcnt(48) lgkmcnt(0)
	v_mul_f64 v[152:153], v[85:86], v[105:106]
	v_mul_f64 v[105:106], v[87:88], v[105:106]
	v_add_f64 v[93:94], v[146:147], v[93:94]
	v_add_f64 v[2:3], v[2:3], v[99:100]
	s_clause 0x3
	buffer_load_dword v99, off, s[0:3], 0 offset:304
	buffer_load_dword v100, off, s[0:3], 0 offset:308
	;; [unrolled: 1-line block ×4, first 2 shown]
	s_waitcnt vmcnt(50)
	v_fma_f64 v[101:102], v[81:82], v[107:108], -v[101:102]
	ds_read_b128 v[77:80], v1 offset:976
	v_fma_f64 v[89:90], v[83:84], v[107:108], v[89:90]
	ds_read_b128 v[81:84], v1 offset:992
	s_waitcnt vmcnt(46)
	v_fma_f64 v[105:106], v[85:86], v[111:112], -v[105:106]
	v_add_f64 v[93:94], v[93:94], v[97:98]
	v_add_f64 v[2:3], v[2:3], v[103:104]
	s_waitcnt lgkmcnt(1)
	v_mul_f64 v[103:104], v[79:80], v[109:110]
	v_mul_f64 v[97:98], v[77:78], v[109:110]
	s_waitcnt vmcnt(44) lgkmcnt(0)
	v_mul_f64 v[107:108], v[83:84], v[113:114]
	v_add_f64 v[93:94], v[93:94], v[101:102]
	v_fma_f64 v[101:102], v[87:88], v[111:112], v[152:153]
	v_add_f64 v[2:3], v[2:3], v[89:90]
	s_waitcnt vmcnt(42)
	v_fma_f64 v[103:104], v[77:78], v[115:116], -v[103:104]
	ds_read_b128 v[85:88], v1 offset:1008
	v_mul_f64 v[89:90], v[81:82], v[113:114]
	v_fma_f64 v[97:98], v[79:80], v[115:116], v[97:98]
	ds_read_b128 v[77:80], v1 offset:1024
	s_waitcnt vmcnt(38)
	v_fma_f64 v[107:108], v[81:82], v[119:120], -v[107:108]
	v_add_f64 v[93:94], v[93:94], v[105:106]
	v_add_f64 v[2:3], v[2:3], v[101:102]
	s_waitcnt lgkmcnt(1)
	v_mul_f64 v[105:106], v[87:88], v[117:118]
	v_mul_f64 v[101:102], v[85:86], v[117:118]
	v_fma_f64 v[89:90], v[83:84], v[119:120], v[89:90]
	ds_read_b128 v[81:84], v1 offset:1040
	v_add_f64 v[93:94], v[93:94], v[103:104]
	s_waitcnt vmcnt(36) lgkmcnt(1)
	v_mul_f64 v[103:104], v[79:80], v[121:122]
	v_add_f64 v[2:3], v[2:3], v[97:98]
	s_waitcnt vmcnt(34)
	v_fma_f64 v[105:106], v[85:86], v[124:125], -v[105:106]
	v_mul_f64 v[97:98], v[77:78], v[121:122]
	v_fma_f64 v[101:102], v[87:88], v[124:125], v[101:102]
	ds_read_b128 v[85:88], v1 offset:1056
	v_add_f64 v[93:94], v[93:94], v[107:108]
	s_waitcnt vmcnt(32) lgkmcnt(1)
	v_mul_f64 v[107:108], v[83:84], v[126:127]
	v_add_f64 v[2:3], v[2:3], v[89:90]
	s_waitcnt vmcnt(30)
	v_fma_f64 v[103:104], v[77:78], v[128:129], -v[103:104]
	;; [unrolled: 9-line block ×7, first 2 shown]
	v_mul_f64 v[97:98], v[77:78], v[148:149]
	v_fma_f64 v[87:88], v[87:88], v[150:151], v[101:102]
	v_add_f64 v[93:94], v[93:94], v[107:108]
	v_add_f64 v[2:3], v[2:3], v[89:90]
	s_waitcnt vmcnt(8) lgkmcnt(0)
	v_mul_f64 v[89:90], v[81:82], v[91:92]
	v_mul_f64 v[91:92], v[83:84], v[91:92]
	s_waitcnt vmcnt(6)
	v_fma_f64 v[77:78], v[77:78], v[154:155], -v[103:104]
	v_fma_f64 v[79:80], v[79:80], v[154:155], v[97:98]
	v_add_f64 v[85:86], v[93:94], v[85:86]
	v_add_f64 v[2:3], v[2:3], v[87:88]
	s_waitcnt vmcnt(4)
	v_fma_f64 v[83:84], v[83:84], v[95:96], v[89:90]
	v_fma_f64 v[81:82], v[81:82], v[95:96], -v[91:92]
	v_add_f64 v[77:78], v[85:86], v[77:78]
	v_add_f64 v[2:3], v[2:3], v[79:80]
	v_add_f64 v[77:78], v[77:78], v[81:82]
	v_add_f64 v[2:3], v[2:3], v[83:84]
	s_waitcnt vmcnt(2)
	v_add_f64 v[77:78], v[99:100], -v[77:78]
	s_waitcnt vmcnt(0)
	v_add_f64 v[2:3], v[146:147], -v[2:3]
	buffer_store_dword v78, off, s[0:3], 0 offset:308
	buffer_store_dword v77, off, s[0:3], 0 offset:304
	buffer_store_dword v3, off, s[0:3], 0 offset:316
	buffer_store_dword v2, off, s[0:3], 0 offset:312
	v_cmpx_lt_u32_e32 17, v0
	s_cbranch_execz .LBB99_195
; %bb.194:
	v_mov_b32_e32 v2, s30
	s_clause 0x3
	buffer_load_dword v77, v2, s[0:3], 0 offen
	buffer_load_dword v78, v2, s[0:3], 0 offen offset:4
	buffer_load_dword v79, v2, s[0:3], 0 offen offset:8
	buffer_load_dword v80, v2, s[0:3], 0 offen offset:12
	buffer_store_dword v1, off, s[0:3], 0 offset:288
	buffer_store_dword v1, off, s[0:3], 0 offset:292
	;; [unrolled: 1-line block ×4, first 2 shown]
	s_waitcnt vmcnt(0)
	ds_write_b128 v123, v[77:80]
.LBB99_195:
	s_or_b32 exec_lo, exec_lo, s4
	s_waitcnt lgkmcnt(0)
	s_waitcnt_vscnt null, 0x0
	s_barrier
	buffer_gl0_inv
	s_clause 0x37
	buffer_load_dword v2, off, s[0:3], 0 offset:312
	buffer_load_dword v3, off, s[0:3], 0 offset:316
	;; [unrolled: 1-line block ×56, first 2 shown]
	ds_read_b128 v[77:80], v1 offset:864
	s_clause 0x2
	buffer_load_dword v143, off, s[0:3], 0 offset:540
	buffer_load_dword v147, off, s[0:3], 0 offset:516
	;; [unrolled: 1-line block ×3, first 2 shown]
	ds_read_b128 v[81:84], v1 offset:880
	s_clause 0x4
	buffer_load_dword v151, off, s[0:3], 0 offset:556
	buffer_load_dword v152, off, s[0:3], 0 offset:568
	;; [unrolled: 1-line block ×5, first 2 shown]
	ds_read_b128 v[85:88], v1 offset:896
	s_mov_b32 s4, exec_lo
	s_waitcnt vmcnt(62) lgkmcnt(2)
	v_mul_f64 v[148:149], v[79:80], v[2:3]
	v_mul_f64 v[2:3], v[77:78], v[2:3]
	s_waitcnt vmcnt(60) lgkmcnt(1)
	v_mul_f64 v[155:156], v[83:84], v[89:90]
	v_mul_f64 v[89:90], v[81:82], v[89:90]
	;; [unrolled: 3-line block ×3, first 2 shown]
	v_fma_f64 v[148:149], v[77:78], v[91:92], -v[148:149]
	v_fma_f64 v[2:3], v[79:80], v[91:92], v[2:3]
	s_clause 0x2
	buffer_load_dword v153, off, s[0:3], 0 offset:572
	buffer_load_dword v92, off, s[0:3], 0 offset:548
	;; [unrolled: 1-line block ×3, first 2 shown]
	s_waitcnt vmcnt(57)
	v_fma_f64 v[159:160], v[81:82], v[95:96], -v[155:156]
	ds_read_b128 v[77:80], v1 offset:912
	v_fma_f64 v[89:90], v[83:84], v[95:96], v[89:90]
	s_clause 0x2
	buffer_load_dword v96, off, s[0:3], 0 offset:588
	buffer_load_dword v95, off, s[0:3], 0 offset:584
	;; [unrolled: 1-line block ×3, first 2 shown]
	s_waitcnt vmcnt(54)
	v_fma_f64 v[93:94], v[85:86], v[103:104], -v[93:94]
	ds_read_b128 v[81:84], v1 offset:928
	v_fma_f64 v[103:104], v[87:88], v[103:104], v[157:158]
	v_add_f64 v[148:149], v[148:149], 0
	v_add_f64 v[2:3], v[2:3], 0
	s_waitcnt lgkmcnt(1)
	v_mul_f64 v[161:162], v[77:78], v[97:98]
	v_mul_f64 v[97:98], v[79:80], v[97:98]
	s_waitcnt vmcnt(53) lgkmcnt(0)
	v_mul_f64 v[156:157], v[81:82], v[99:100]
	v_mul_f64 v[99:100], v[83:84], v[99:100]
	v_add_f64 v[148:149], v[148:149], v[159:160]
	v_add_f64 v[2:3], v[2:3], v[89:90]
	s_clause 0x1
	buffer_load_dword v90, off, s[0:3], 0 offset:580
	buffer_load_dword v89, off, s[0:3], 0 offset:576
	s_waitcnt vmcnt(53)
	v_fma_f64 v[97:98], v[77:78], v[105:106], -v[97:98]
	ds_read_b128 v[85:88], v1 offset:944
	v_fma_f64 v[105:106], v[79:80], v[105:106], v[161:162]
	ds_read_b128 v[77:80], v1 offset:960
	s_waitcnt vmcnt(48)
	v_fma_f64 v[99:100], v[81:82], v[101:102], -v[99:100]
	v_add_f64 v[93:94], v[148:149], v[93:94]
	v_add_f64 v[2:3], v[2:3], v[103:104]
	s_waitcnt lgkmcnt(1)
	v_mul_f64 v[103:104], v[85:86], v[107:108]
	v_mul_f64 v[107:108], v[87:88], v[107:108]
	s_waitcnt vmcnt(47) lgkmcnt(0)
	v_mul_f64 v[148:149], v[77:78], v[109:110]
	v_mul_f64 v[109:110], v[79:80], v[109:110]
	v_add_f64 v[93:94], v[93:94], v[97:98]
	v_fma_f64 v[97:98], v[83:84], v[101:102], v[156:157]
	v_add_f64 v[2:3], v[2:3], v[105:106]
	s_clause 0x3
	buffer_load_dword v101, off, s[0:3], 0 offset:288
	buffer_load_dword v102, off, s[0:3], 0 offset:292
	buffer_load_dword v105, off, s[0:3], 0 offset:296
	buffer_load_dword v106, off, s[0:3], 0 offset:300
	s_waitcnt vmcnt(49)
	v_fma_f64 v[107:108], v[85:86], v[113:114], -v[107:108]
	ds_read_b128 v[81:84], v1 offset:976
	s_waitcnt vmcnt(44)
	v_fma_f64 v[109:110], v[77:78], v[111:112], -v[109:110]
	v_add_f64 v[93:94], v[93:94], v[99:100]
	v_fma_f64 v[99:100], v[87:88], v[113:114], v[103:104]
	v_add_f64 v[2:3], v[2:3], v[97:98]
	ds_read_b128 v[85:88], v1 offset:992
	s_waitcnt lgkmcnt(1)
	v_mul_f64 v[103:104], v[83:84], v[115:116]
	v_mul_f64 v[97:98], v[81:82], v[115:116]
	v_add_f64 v[93:94], v[93:94], v[107:108]
	v_fma_f64 v[107:108], v[79:80], v[111:112], v[148:149]
	v_add_f64 v[2:3], v[2:3], v[99:100]
	s_waitcnt vmcnt(43) lgkmcnt(0)
	v_mul_f64 v[111:112], v[87:88], v[117:118]
	s_waitcnt vmcnt(41)
	v_fma_f64 v[103:104], v[81:82], v[121:122], -v[103:104]
	ds_read_b128 v[77:80], v1 offset:1008
	v_mul_f64 v[99:100], v[85:86], v[117:118]
	v_fma_f64 v[97:98], v[83:84], v[121:122], v[97:98]
	ds_read_b128 v[81:84], v1 offset:1024
	v_add_f64 v[93:94], v[93:94], v[109:110]
	v_add_f64 v[2:3], v[2:3], v[107:108]
	s_waitcnt vmcnt(37) lgkmcnt(1)
	v_mul_f64 v[109:110], v[79:80], v[124:125]
	s_waitcnt vmcnt(36)
	v_fma_f64 v[111:112], v[85:86], v[119:120], -v[111:112]
	v_mul_f64 v[107:108], v[77:78], v[124:125]
	v_fma_f64 v[99:100], v[87:88], v[119:120], v[99:100]
	ds_read_b128 v[85:88], v1 offset:1040
	v_add_f64 v[93:94], v[93:94], v[103:104]
	s_waitcnt vmcnt(35) lgkmcnt(1)
	v_mul_f64 v[103:104], v[83:84], v[126:127]
	v_add_f64 v[2:3], v[2:3], v[97:98]
	s_waitcnt vmcnt(33)
	v_fma_f64 v[109:110], v[77:78], v[130:131], -v[109:110]
	v_mul_f64 v[97:98], v[81:82], v[126:127]
	v_fma_f64 v[107:108], v[79:80], v[130:131], v[107:108]
	ds_read_b128 v[77:80], v1 offset:1056
	v_add_f64 v[93:94], v[93:94], v[111:112]
	s_waitcnt vmcnt(29) lgkmcnt(1)
	v_mul_f64 v[111:112], v[87:88], v[132:133]
	v_add_f64 v[2:3], v[2:3], v[99:100]
	;; [unrolled: 9-line block ×6, first 2 shown]
	s_waitcnt vmcnt(12)
	v_fma_f64 v[85:86], v[85:86], v[144:145], -v[111:112]
	v_mul_f64 v[107:108], v[77:78], v[150:151]
	v_fma_f64 v[87:88], v[87:88], v[144:145], v[99:100]
	v_add_f64 v[93:94], v[93:94], v[103:104]
	v_add_f64 v[97:98], v[2:3], v[97:98]
	ds_read_b128 v[1:4], v1 offset:1136
	s_waitcnt vmcnt(11) lgkmcnt(1)
	v_mul_f64 v[103:104], v[83:84], v[152:153]
	v_mul_f64 v[99:100], v[81:82], v[152:153]
	s_waitcnt vmcnt(9)
	v_fma_f64 v[77:78], v[77:78], v[91:92], -v[109:110]
	v_fma_f64 v[79:80], v[79:80], v[91:92], v[107:108]
	v_add_f64 v[85:86], v[93:94], v[85:86]
	s_waitcnt vmcnt(7) lgkmcnt(0)
	v_mul_f64 v[93:94], v[3:4], v[95:96]
	v_add_f64 v[87:88], v[97:98], v[87:88]
	v_mul_f64 v[91:92], v[1:2], v[95:96]
	s_waitcnt vmcnt(6)
	v_fma_f64 v[81:82], v[81:82], v[154:155], -v[103:104]
	v_fma_f64 v[83:84], v[83:84], v[154:155], v[99:100]
	v_add_f64 v[77:78], v[85:86], v[77:78]
	v_add_f64 v[79:80], v[87:88], v[79:80]
	s_waitcnt vmcnt(4)
	v_fma_f64 v[1:2], v[1:2], v[89:90], -v[93:94]
	v_fma_f64 v[3:4], v[3:4], v[89:90], v[91:92]
	v_add_f64 v[77:78], v[77:78], v[81:82]
	v_add_f64 v[79:80], v[79:80], v[83:84]
	v_add_f64 v[1:2], v[77:78], v[1:2]
	v_add_f64 v[3:4], v[79:80], v[3:4]
	s_waitcnt vmcnt(2)
	v_add_f64 v[1:2], v[101:102], -v[1:2]
	s_waitcnt vmcnt(0)
	v_add_f64 v[3:4], v[105:106], -v[3:4]
	buffer_store_dword v2, off, s[0:3], 0 offset:292
	buffer_store_dword v1, off, s[0:3], 0 offset:288
	;; [unrolled: 1-line block ×4, first 2 shown]
	v_cmpx_lt_u32_e32 16, v0
	s_cbranch_execz .LBB99_197
; %bb.196:
	v_mov_b32_e32 v4, s31
	v_mov_b32_e32 v77, 0
	s_clause 0x3
	buffer_load_dword v1, v4, s[0:3], 0 offen
	buffer_load_dword v2, v4, s[0:3], 0 offen offset:4
	buffer_load_dword v3, v4, s[0:3], 0 offen offset:8
	;; [unrolled: 1-line block ×3, first 2 shown]
	buffer_store_dword v77, off, s[0:3], 0 offset:272
	buffer_store_dword v77, off, s[0:3], 0 offset:276
	;; [unrolled: 1-line block ×4, first 2 shown]
	s_waitcnt vmcnt(0)
	ds_write_b128 v123, v[1:4]
.LBB99_197:
	s_or_b32 exec_lo, exec_lo, s4
	s_waitcnt lgkmcnt(0)
	s_waitcnt_vscnt null, 0x0
	s_barrier
	buffer_gl0_inv
	s_clause 0x37
	buffer_load_dword v2, off, s[0:3], 0 offset:296
	buffer_load_dword v3, off, s[0:3], 0 offset:300
	;; [unrolled: 1-line block ×56, first 2 shown]
	v_mov_b32_e32 v1, 0
	s_mov_b32 s4, exec_lo
	ds_read_b128 v[77:80], v1 offset:848
	s_clause 0x2
	buffer_load_dword v143, off, s[0:3], 0 offset:524
	buffer_load_dword v147, off, s[0:3], 0 offset:500
	;; [unrolled: 1-line block ×3, first 2 shown]
	ds_read_b128 v[81:84], v1 offset:864
	s_clause 0x4
	buffer_load_dword v151, off, s[0:3], 0 offset:540
	buffer_load_dword v152, off, s[0:3], 0 offset:552
	;; [unrolled: 1-line block ×5, first 2 shown]
	ds_read_b128 v[85:88], v1 offset:880
	s_waitcnt vmcnt(62) lgkmcnt(2)
	v_mul_f64 v[148:149], v[79:80], v[2:3]
	v_mul_f64 v[2:3], v[77:78], v[2:3]
	s_waitcnt vmcnt(60) lgkmcnt(1)
	v_mul_f64 v[155:156], v[83:84], v[89:90]
	v_mul_f64 v[89:90], v[81:82], v[89:90]
	;; [unrolled: 3-line block ×3, first 2 shown]
	v_fma_f64 v[148:149], v[77:78], v[91:92], -v[148:149]
	v_fma_f64 v[2:3], v[79:80], v[91:92], v[2:3]
	s_clause 0x2
	buffer_load_dword v153, off, s[0:3], 0 offset:556
	buffer_load_dword v92, off, s[0:3], 0 offset:532
	;; [unrolled: 1-line block ×3, first 2 shown]
	s_waitcnt vmcnt(57)
	v_fma_f64 v[159:160], v[81:82], v[95:96], -v[155:156]
	ds_read_b128 v[77:80], v1 offset:896
	v_fma_f64 v[89:90], v[83:84], v[95:96], v[89:90]
	s_clause 0x4
	buffer_load_dword v96, off, s[0:3], 0 offset:572
	buffer_load_dword v156, off, s[0:3], 0 offset:584
	;; [unrolled: 1-line block ×5, first 2 shown]
	s_waitcnt vmcnt(56)
	v_fma_f64 v[93:94], v[85:86], v[103:104], -v[93:94]
	ds_read_b128 v[81:84], v1 offset:912
	v_fma_f64 v[103:104], v[87:88], v[103:104], v[157:158]
	v_add_f64 v[148:149], v[148:149], 0
	v_add_f64 v[2:3], v[2:3], 0
	s_waitcnt lgkmcnt(1)
	v_mul_f64 v[162:163], v[77:78], v[97:98]
	v_mul_f64 v[97:98], v[79:80], v[97:98]
	v_add_f64 v[148:149], v[148:149], v[159:160]
	v_add_f64 v[2:3], v[2:3], v[89:90]
	s_clause 0x2
	buffer_load_dword v157, off, s[0:3], 0 offset:588
	buffer_load_dword v90, off, s[0:3], 0 offset:564
	;; [unrolled: 1-line block ×3, first 2 shown]
	s_waitcnt vmcnt(58) lgkmcnt(0)
	v_mul_f64 v[158:159], v[81:82], v[99:100]
	v_mul_f64 v[99:100], v[83:84], v[99:100]
	s_waitcnt vmcnt(56)
	v_fma_f64 v[97:98], v[77:78], v[105:106], -v[97:98]
	ds_read_b128 v[85:88], v1 offset:928
	v_fma_f64 v[105:106], v[79:80], v[105:106], v[162:163]
	buffer_load_dword v162, off, s[0:3], 0 offset:580
	ds_read_b128 v[77:80], v1 offset:944
	v_add_f64 v[93:94], v[148:149], v[93:94]
	v_add_f64 v[2:3], v[2:3], v[103:104]
	s_waitcnt vmcnt(53) lgkmcnt(1)
	v_mul_f64 v[103:104], v[85:86], v[107:108]
	v_mul_f64 v[107:108], v[87:88], v[107:108]
	s_waitcnt vmcnt(52)
	v_fma_f64 v[99:100], v[81:82], v[101:102], -v[99:100]
	v_add_f64 v[93:94], v[93:94], v[97:98]
	v_fma_f64 v[97:98], v[83:84], v[101:102], v[158:159]
	v_add_f64 v[2:3], v[2:3], v[105:106]
	s_waitcnt vmcnt(51) lgkmcnt(0)
	v_mul_f64 v[105:106], v[79:80], v[109:110]
	ds_read_b128 v[81:84], v1 offset:960
	s_waitcnt vmcnt(49)
	v_fma_f64 v[107:108], v[85:86], v[113:114], -v[107:108]
	v_mul_f64 v[101:102], v[77:78], v[109:110]
	v_add_f64 v[93:94], v[93:94], v[99:100]
	v_fma_f64 v[99:100], v[87:88], v[113:114], v[103:104]
	v_add_f64 v[2:3], v[2:3], v[97:98]
	s_clause 0x3
	buffer_load_dword v97, off, s[0:3], 0 offset:272
	buffer_load_dword v98, off, s[0:3], 0 offset:276
	;; [unrolled: 1-line block ×4, first 2 shown]
	s_waitcnt vmcnt(49) lgkmcnt(0)
	v_mul_f64 v[113:114], v[83:84], v[115:116]
	s_waitcnt vmcnt(48)
	v_fma_f64 v[105:106], v[77:78], v[111:112], -v[105:106]
	ds_read_b128 v[85:88], v1 offset:976
	v_mul_f64 v[109:110], v[81:82], v[115:116]
	v_fma_f64 v[101:102], v[79:80], v[111:112], v[101:102]
	ds_read_b128 v[77:80], v1 offset:992
	v_add_f64 v[93:94], v[93:94], v[107:108]
	v_add_f64 v[2:3], v[2:3], v[99:100]
	s_waitcnt vmcnt(47) lgkmcnt(1)
	v_mul_f64 v[107:108], v[87:88], v[117:118]
	s_waitcnt vmcnt(45)
	v_fma_f64 v[111:112], v[81:82], v[121:122], -v[113:114]
	v_mul_f64 v[99:100], v[85:86], v[117:118]
	v_add_f64 v[93:94], v[93:94], v[105:106]
	v_fma_f64 v[105:106], v[83:84], v[121:122], v[109:110]
	v_add_f64 v[2:3], v[2:3], v[101:102]
	s_waitcnt vmcnt(41) lgkmcnt(0)
	v_mul_f64 v[109:110], v[79:80], v[124:125]
	s_waitcnt vmcnt(40)
	v_fma_f64 v[107:108], v[85:86], v[119:120], -v[107:108]
	ds_read_b128 v[81:84], v1 offset:1008
	v_mul_f64 v[101:102], v[77:78], v[124:125]
	v_fma_f64 v[99:100], v[87:88], v[119:120], v[99:100]
	ds_read_b128 v[85:88], v1 offset:1024
	v_add_f64 v[93:94], v[93:94], v[111:112]
	v_add_f64 v[2:3], v[2:3], v[105:106]
	s_waitcnt vmcnt(39) lgkmcnt(1)
	v_mul_f64 v[111:112], v[83:84], v[126:127]
	s_waitcnt vmcnt(37)
	v_fma_f64 v[109:110], v[77:78], v[130:131], -v[109:110]
	v_mul_f64 v[105:106], v[81:82], v[126:127]
	v_fma_f64 v[101:102], v[79:80], v[130:131], v[101:102]
	ds_read_b128 v[77:80], v1 offset:1040
	v_add_f64 v[93:94], v[93:94], v[107:108]
	s_waitcnt vmcnt(33) lgkmcnt(1)
	v_mul_f64 v[107:108], v[87:88], v[132:133]
	v_add_f64 v[2:3], v[2:3], v[99:100]
	s_waitcnt vmcnt(32)
	v_fma_f64 v[111:112], v[81:82], v[128:129], -v[111:112]
	v_mul_f64 v[99:100], v[85:86], v[132:133]
	v_fma_f64 v[105:106], v[83:84], v[128:129], v[105:106]
	ds_read_b128 v[81:84], v1 offset:1056
	v_add_f64 v[93:94], v[93:94], v[109:110]
	s_waitcnt vmcnt(31) lgkmcnt(1)
	v_mul_f64 v[109:110], v[79:80], v[134:135]
	v_add_f64 v[2:3], v[2:3], v[101:102]
	;; [unrolled: 9-line block ×5, first 2 shown]
	s_waitcnt vmcnt(16)
	v_fma_f64 v[107:108], v[85:86], v[144:145], -v[107:108]
	v_mul_f64 v[101:102], v[77:78], v[150:151]
	v_fma_f64 v[99:100], v[87:88], v[144:145], v[99:100]
	ds_read_b128 v[85:88], v1 offset:1120
	v_add_f64 v[93:94], v[93:94], v[111:112]
	v_add_f64 v[2:3], v[2:3], v[105:106]
	s_waitcnt vmcnt(15) lgkmcnt(1)
	v_mul_f64 v[111:112], v[83:84], v[152:153]
	v_mul_f64 v[105:106], v[81:82], v[152:153]
	s_waitcnt vmcnt(13)
	v_fma_f64 v[109:110], v[77:78], v[91:92], -v[109:110]
	v_fma_f64 v[91:92], v[79:80], v[91:92], v[101:102]
	ds_read_b128 v[77:80], v1 offset:1136
	v_add_f64 v[93:94], v[93:94], v[107:108]
	v_add_f64 v[2:3], v[2:3], v[99:100]
	s_waitcnt vmcnt(9) lgkmcnt(1)
	v_mul_f64 v[99:100], v[85:86], v[95:96]
	v_mul_f64 v[95:96], v[87:88], v[95:96]
	s_waitcnt vmcnt(8)
	v_fma_f64 v[81:82], v[81:82], v[154:155], -v[111:112]
	v_fma_f64 v[83:84], v[83:84], v[154:155], v[105:106]
	v_add_f64 v[93:94], v[93:94], v[109:110]
	v_add_f64 v[2:3], v[2:3], v[91:92]
	s_waitcnt vmcnt(7) lgkmcnt(0)
	v_mul_f64 v[101:102], v[79:80], v[156:157]
	v_mul_f64 v[91:92], v[77:78], v[156:157]
	s_waitcnt vmcnt(5)
	v_fma_f64 v[85:86], v[85:86], v[89:90], -v[95:96]
	v_fma_f64 v[87:88], v[87:88], v[89:90], v[99:100]
	v_add_f64 v[81:82], v[93:94], v[81:82]
	v_add_f64 v[2:3], v[2:3], v[83:84]
	s_waitcnt vmcnt(4)
	v_fma_f64 v[77:78], v[77:78], v[161:162], -v[101:102]
	v_fma_f64 v[79:80], v[79:80], v[161:162], v[91:92]
	v_add_f64 v[81:82], v[81:82], v[85:86]
	v_add_f64 v[2:3], v[2:3], v[87:88]
	v_add_f64 v[77:78], v[81:82], v[77:78]
	v_add_f64 v[2:3], v[2:3], v[79:80]
	s_waitcnt vmcnt(2)
	v_add_f64 v[77:78], v[97:98], -v[77:78]
	s_waitcnt vmcnt(0)
	v_add_f64 v[2:3], v[103:104], -v[2:3]
	buffer_store_dword v78, off, s[0:3], 0 offset:276
	buffer_store_dword v77, off, s[0:3], 0 offset:272
	;; [unrolled: 1-line block ×4, first 2 shown]
	v_cmpx_lt_u32_e32 15, v0
	s_cbranch_execz .LBB99_199
; %bb.198:
	v_mov_b32_e32 v2, s33
	s_clause 0x3
	buffer_load_dword v77, v2, s[0:3], 0 offen
	buffer_load_dword v78, v2, s[0:3], 0 offen offset:4
	buffer_load_dword v79, v2, s[0:3], 0 offen offset:8
	;; [unrolled: 1-line block ×3, first 2 shown]
	buffer_store_dword v1, off, s[0:3], 0 offset:256
	buffer_store_dword v1, off, s[0:3], 0 offset:260
	;; [unrolled: 1-line block ×4, first 2 shown]
	s_waitcnt vmcnt(0)
	ds_write_b128 v123, v[77:80]
.LBB99_199:
	s_or_b32 exec_lo, exec_lo, s4
	s_waitcnt lgkmcnt(0)
	s_waitcnt_vscnt null, 0x0
	s_barrier
	buffer_gl0_inv
	s_clause 0x37
	buffer_load_dword v2, off, s[0:3], 0 offset:280
	buffer_load_dword v3, off, s[0:3], 0 offset:284
	;; [unrolled: 1-line block ×56, first 2 shown]
	ds_read_b128 v[77:80], v1 offset:832
	s_clause 0x2
	buffer_load_dword v143, off, s[0:3], 0 offset:508
	buffer_load_dword v147, off, s[0:3], 0 offset:484
	buffer_load_dword v146, off, s[0:3], 0 offset:480
	ds_read_b128 v[81:84], v1 offset:848
	s_clause 0x4
	buffer_load_dword v151, off, s[0:3], 0 offset:524
	buffer_load_dword v152, off, s[0:3], 0 offset:536
	;; [unrolled: 1-line block ×5, first 2 shown]
	ds_read_b128 v[85:88], v1 offset:864
	s_mov_b32 s4, exec_lo
	s_waitcnt vmcnt(62) lgkmcnt(2)
	v_mul_f64 v[148:149], v[79:80], v[2:3]
	v_mul_f64 v[2:3], v[77:78], v[2:3]
	s_waitcnt vmcnt(60) lgkmcnt(1)
	v_mul_f64 v[155:156], v[83:84], v[89:90]
	v_mul_f64 v[89:90], v[81:82], v[89:90]
	;; [unrolled: 3-line block ×3, first 2 shown]
	v_fma_f64 v[148:149], v[77:78], v[91:92], -v[148:149]
	v_fma_f64 v[2:3], v[79:80], v[91:92], v[2:3]
	s_clause 0x2
	buffer_load_dword v153, off, s[0:3], 0 offset:540
	buffer_load_dword v92, off, s[0:3], 0 offset:516
	;; [unrolled: 1-line block ×3, first 2 shown]
	s_waitcnt vmcnt(57)
	v_fma_f64 v[159:160], v[81:82], v[95:96], -v[155:156]
	ds_read_b128 v[77:80], v1 offset:880
	v_fma_f64 v[89:90], v[83:84], v[95:96], v[89:90]
	s_clause 0x4
	buffer_load_dword v96, off, s[0:3], 0 offset:556
	buffer_load_dword v156, off, s[0:3], 0 offset:568
	;; [unrolled: 1-line block ×5, first 2 shown]
	s_waitcnt vmcnt(56)
	v_fma_f64 v[93:94], v[85:86], v[103:104], -v[93:94]
	ds_read_b128 v[81:84], v1 offset:896
	v_fma_f64 v[103:104], v[87:88], v[103:104], v[157:158]
	v_add_f64 v[148:149], v[148:149], 0
	v_add_f64 v[2:3], v[2:3], 0
	s_waitcnt lgkmcnt(1)
	v_mul_f64 v[162:163], v[77:78], v[97:98]
	v_mul_f64 v[97:98], v[79:80], v[97:98]
	v_add_f64 v[148:149], v[148:149], v[159:160]
	v_add_f64 v[2:3], v[2:3], v[89:90]
	s_clause 0x2
	buffer_load_dword v157, off, s[0:3], 0 offset:572
	buffer_load_dword v90, off, s[0:3], 0 offset:548
	;; [unrolled: 1-line block ×3, first 2 shown]
	s_waitcnt vmcnt(58) lgkmcnt(0)
	v_mul_f64 v[158:159], v[81:82], v[99:100]
	v_mul_f64 v[99:100], v[83:84], v[99:100]
	s_waitcnt vmcnt(56)
	v_fma_f64 v[97:98], v[77:78], v[105:106], -v[97:98]
	ds_read_b128 v[85:88], v1 offset:912
	v_fma_f64 v[105:106], v[79:80], v[105:106], v[162:163]
	v_add_f64 v[93:94], v[148:149], v[93:94]
	v_add_f64 v[2:3], v[2:3], v[103:104]
	s_clause 0x2
	buffer_load_dword v104, off, s[0:3], 0 offset:588
	buffer_load_dword v103, off, s[0:3], 0 offset:584
	;; [unrolled: 1-line block ×3, first 2 shown]
	ds_read_b128 v[77:80], v1 offset:928
	s_waitcnt vmcnt(55) lgkmcnt(1)
	v_mul_f64 v[148:149], v[85:86], v[107:108]
	v_mul_f64 v[107:108], v[87:88], v[107:108]
	s_waitcnt vmcnt(54)
	v_fma_f64 v[99:100], v[81:82], v[101:102], -v[99:100]
	v_add_f64 v[93:94], v[93:94], v[97:98]
	v_fma_f64 v[97:98], v[83:84], v[101:102], v[158:159]
	v_add_f64 v[2:3], v[2:3], v[105:106]
	s_clause 0x1
	buffer_load_dword v102, off, s[0:3], 0 offset:580
	buffer_load_dword v101, off, s[0:3], 0 offset:576
	s_waitcnt vmcnt(55) lgkmcnt(0)
	v_mul_f64 v[105:106], v[77:78], v[109:110]
	v_mul_f64 v[109:110], v[79:80], v[109:110]
	s_waitcnt vmcnt(53)
	v_fma_f64 v[107:108], v[85:86], v[113:114], -v[107:108]
	ds_read_b128 v[81:84], v1 offset:944
	v_add_f64 v[93:94], v[93:94], v[99:100]
	v_fma_f64 v[99:100], v[87:88], v[113:114], v[148:149]
	v_add_f64 v[2:3], v[2:3], v[97:98]
	ds_read_b128 v[85:88], v1 offset:960
	s_waitcnt vmcnt(48)
	v_fma_f64 v[105:106], v[79:80], v[111:112], v[105:106]
	s_waitcnt lgkmcnt(1)
	v_mul_f64 v[113:114], v[83:84], v[115:116]
	v_fma_f64 v[109:110], v[77:78], v[111:112], -v[109:110]
	v_mul_f64 v[97:98], v[81:82], v[115:116]
	v_add_f64 v[93:94], v[93:94], v[107:108]
	s_waitcnt vmcnt(47) lgkmcnt(0)
	v_mul_f64 v[115:116], v[87:88], v[117:118]
	v_add_f64 v[2:3], v[2:3], v[99:100]
	s_clause 0x3
	buffer_load_dword v99, off, s[0:3], 0 offset:256
	buffer_load_dword v100, off, s[0:3], 0 offset:260
	;; [unrolled: 1-line block ×4, first 2 shown]
	ds_read_b128 v[77:80], v1 offset:976
	s_waitcnt vmcnt(49)
	v_fma_f64 v[113:114], v[81:82], v[121:122], -v[113:114]
	v_mul_f64 v[111:112], v[85:86], v[117:118]
	v_fma_f64 v[97:98], v[83:84], v[121:122], v[97:98]
	ds_read_b128 v[81:84], v1 offset:992
	v_add_f64 v[93:94], v[93:94], v[109:110]
	s_waitcnt vmcnt(44)
	v_fma_f64 v[115:116], v[85:86], v[119:120], -v[115:116]
	v_add_f64 v[2:3], v[2:3], v[105:106]
	s_waitcnt lgkmcnt(1)
	v_mul_f64 v[109:110], v[79:80], v[124:125]
	v_mul_f64 v[105:106], v[77:78], v[124:125]
	v_fma_f64 v[111:112], v[87:88], v[119:120], v[111:112]
	ds_read_b128 v[85:88], v1 offset:1008
	v_add_f64 v[93:94], v[93:94], v[113:114]
	s_waitcnt vmcnt(43) lgkmcnt(1)
	v_mul_f64 v[113:114], v[83:84], v[126:127]
	v_add_f64 v[2:3], v[2:3], v[97:98]
	s_waitcnt vmcnt(41)
	v_fma_f64 v[109:110], v[77:78], v[130:131], -v[109:110]
	v_mul_f64 v[97:98], v[81:82], v[126:127]
	v_fma_f64 v[105:106], v[79:80], v[130:131], v[105:106]
	ds_read_b128 v[77:80], v1 offset:1024
	v_add_f64 v[93:94], v[93:94], v[115:116]
	s_waitcnt vmcnt(37) lgkmcnt(1)
	v_mul_f64 v[115:116], v[87:88], v[132:133]
	v_add_f64 v[2:3], v[2:3], v[111:112]
	s_waitcnt vmcnt(36)
	v_fma_f64 v[113:114], v[81:82], v[128:129], -v[113:114]
	;; [unrolled: 9-line block ×6, first 2 shown]
	v_mul_f64 v[105:106], v[77:78], v[150:151]
	v_fma_f64 v[111:112], v[87:88], v[144:145], v[111:112]
	ds_read_b128 v[85:88], v1 offset:1104
	v_add_f64 v[93:94], v[93:94], v[113:114]
	v_add_f64 v[2:3], v[2:3], v[97:98]
	s_waitcnt vmcnt(19) lgkmcnt(1)
	v_mul_f64 v[113:114], v[83:84], v[152:153]
	v_mul_f64 v[97:98], v[81:82], v[152:153]
	s_waitcnt vmcnt(17)
	v_fma_f64 v[109:110], v[77:78], v[91:92], -v[109:110]
	v_fma_f64 v[91:92], v[79:80], v[91:92], v[105:106]
	ds_read_b128 v[77:80], v1 offset:1120
	s_waitcnt vmcnt(13) lgkmcnt(1)
	v_mul_f64 v[105:106], v[85:86], v[95:96]
	v_mul_f64 v[95:96], v[87:88], v[95:96]
	v_add_f64 v[93:94], v[93:94], v[115:116]
	v_add_f64 v[2:3], v[2:3], v[111:112]
	s_waitcnt vmcnt(12)
	v_fma_f64 v[81:82], v[81:82], v[154:155], -v[113:114]
	v_fma_f64 v[83:84], v[83:84], v[154:155], v[97:98]
	v_add_f64 v[93:94], v[93:94], v[109:110]
	v_add_f64 v[91:92], v[2:3], v[91:92]
	ds_read_b128 v[1:4], v1 offset:1136
	s_waitcnt vmcnt(11) lgkmcnt(1)
	v_mul_f64 v[109:110], v[79:80], v[156:157]
	v_mul_f64 v[97:98], v[77:78], v[156:157]
	s_waitcnt vmcnt(9)
	v_fma_f64 v[85:86], v[85:86], v[89:90], -v[95:96]
	v_fma_f64 v[87:88], v[87:88], v[89:90], v[105:106]
	v_add_f64 v[81:82], v[93:94], v[81:82]
	v_add_f64 v[83:84], v[91:92], v[83:84]
	s_waitcnt vmcnt(7) lgkmcnt(0)
	v_mul_f64 v[91:92], v[3:4], v[103:104]
	s_waitcnt vmcnt(6)
	v_fma_f64 v[77:78], v[77:78], v[161:162], -v[109:110]
	v_mul_f64 v[89:90], v[1:2], v[103:104]
	v_fma_f64 v[79:80], v[79:80], v[161:162], v[97:98]
	v_add_f64 v[81:82], v[81:82], v[85:86]
	v_add_f64 v[83:84], v[83:84], v[87:88]
	s_waitcnt vmcnt(4)
	v_fma_f64 v[1:2], v[1:2], v[101:102], -v[91:92]
	v_fma_f64 v[3:4], v[3:4], v[101:102], v[89:90]
	v_add_f64 v[77:78], v[81:82], v[77:78]
	v_add_f64 v[79:80], v[83:84], v[79:80]
	;; [unrolled: 1-line block ×4, first 2 shown]
	s_waitcnt vmcnt(2)
	v_add_f64 v[1:2], v[99:100], -v[1:2]
	s_waitcnt vmcnt(0)
	v_add_f64 v[3:4], v[107:108], -v[3:4]
	buffer_store_dword v2, off, s[0:3], 0 offset:260
	buffer_store_dword v1, off, s[0:3], 0 offset:256
	;; [unrolled: 1-line block ×4, first 2 shown]
	v_cmpx_lt_u32_e32 14, v0
	s_cbranch_execz .LBB99_201
; %bb.200:
	v_mov_b32_e32 v4, s34
	v_mov_b32_e32 v77, 0
	s_clause 0x3
	buffer_load_dword v1, v4, s[0:3], 0 offen
	buffer_load_dword v2, v4, s[0:3], 0 offen offset:4
	buffer_load_dword v3, v4, s[0:3], 0 offen offset:8
	;; [unrolled: 1-line block ×3, first 2 shown]
	buffer_store_dword v77, off, s[0:3], 0 offset:240
	buffer_store_dword v77, off, s[0:3], 0 offset:244
	;; [unrolled: 1-line block ×4, first 2 shown]
	s_waitcnt vmcnt(0)
	ds_write_b128 v123, v[1:4]
.LBB99_201:
	s_or_b32 exec_lo, exec_lo, s4
	s_waitcnt lgkmcnt(0)
	s_waitcnt_vscnt null, 0x0
	s_barrier
	buffer_gl0_inv
	s_clause 0x37
	buffer_load_dword v2, off, s[0:3], 0 offset:264
	buffer_load_dword v3, off, s[0:3], 0 offset:268
	;; [unrolled: 1-line block ×56, first 2 shown]
	v_mov_b32_e32 v1, 0
	s_mov_b32 s4, exec_lo
	ds_read_b128 v[77:80], v1 offset:816
	s_clause 0x2
	buffer_load_dword v143, off, s[0:3], 0 offset:492
	buffer_load_dword v147, off, s[0:3], 0 offset:468
	;; [unrolled: 1-line block ×3, first 2 shown]
	ds_read_b128 v[81:84], v1 offset:832
	s_clause 0x4
	buffer_load_dword v151, off, s[0:3], 0 offset:508
	buffer_load_dword v152, off, s[0:3], 0 offset:520
	buffer_load_dword v154, off, s[0:3], 0 offset:512
	buffer_load_dword v150, off, s[0:3], 0 offset:504
	buffer_load_dword v145, off, s[0:3], 0 offset:484
	ds_read_b128 v[85:88], v1 offset:848
	s_waitcnt vmcnt(62) lgkmcnt(2)
	v_mul_f64 v[148:149], v[79:80], v[2:3]
	v_mul_f64 v[2:3], v[77:78], v[2:3]
	s_waitcnt vmcnt(60) lgkmcnt(1)
	v_mul_f64 v[155:156], v[83:84], v[89:90]
	v_mul_f64 v[89:90], v[81:82], v[89:90]
	;; [unrolled: 3-line block ×3, first 2 shown]
	v_fma_f64 v[148:149], v[77:78], v[91:92], -v[148:149]
	v_fma_f64 v[2:3], v[79:80], v[91:92], v[2:3]
	s_clause 0x2
	buffer_load_dword v153, off, s[0:3], 0 offset:524
	buffer_load_dword v92, off, s[0:3], 0 offset:500
	;; [unrolled: 1-line block ×3, first 2 shown]
	s_waitcnt vmcnt(57)
	v_fma_f64 v[159:160], v[81:82], v[95:96], -v[155:156]
	ds_read_b128 v[77:80], v1 offset:864
	v_fma_f64 v[89:90], v[83:84], v[95:96], v[89:90]
	s_clause 0x4
	buffer_load_dword v96, off, s[0:3], 0 offset:540
	buffer_load_dword v156, off, s[0:3], 0 offset:552
	;; [unrolled: 1-line block ×5, first 2 shown]
	s_waitcnt vmcnt(56)
	v_fma_f64 v[93:94], v[85:86], v[103:104], -v[93:94]
	ds_read_b128 v[81:84], v1 offset:880
	v_fma_f64 v[103:104], v[87:88], v[103:104], v[157:158]
	v_add_f64 v[148:149], v[148:149], 0
	v_add_f64 v[2:3], v[2:3], 0
	s_waitcnt lgkmcnt(1)
	v_mul_f64 v[162:163], v[77:78], v[97:98]
	v_mul_f64 v[97:98], v[79:80], v[97:98]
	v_add_f64 v[148:149], v[148:149], v[159:160]
	v_add_f64 v[2:3], v[2:3], v[89:90]
	s_clause 0x2
	buffer_load_dword v157, off, s[0:3], 0 offset:556
	buffer_load_dword v90, off, s[0:3], 0 offset:532
	;; [unrolled: 1-line block ×3, first 2 shown]
	s_waitcnt vmcnt(58) lgkmcnt(0)
	v_mul_f64 v[158:159], v[81:82], v[99:100]
	v_mul_f64 v[99:100], v[83:84], v[99:100]
	s_waitcnt vmcnt(56)
	v_fma_f64 v[97:98], v[77:78], v[105:106], -v[97:98]
	ds_read_b128 v[85:88], v1 offset:896
	v_fma_f64 v[105:106], v[79:80], v[105:106], v[162:163]
	v_add_f64 v[93:94], v[148:149], v[93:94]
	v_add_f64 v[2:3], v[2:3], v[103:104]
	s_clause 0x4
	buffer_load_dword v104, off, s[0:3], 0 offset:572
	buffer_load_dword v148, off, s[0:3], 0 offset:584
	;; [unrolled: 1-line block ×5, first 2 shown]
	ds_read_b128 v[77:80], v1 offset:912
	s_waitcnt vmcnt(57) lgkmcnt(1)
	v_mul_f64 v[164:165], v[85:86], v[107:108]
	v_mul_f64 v[107:108], v[87:88], v[107:108]
	s_waitcnt vmcnt(56)
	v_fma_f64 v[99:100], v[81:82], v[101:102], -v[99:100]
	v_add_f64 v[93:94], v[93:94], v[97:98]
	v_fma_f64 v[97:98], v[83:84], v[101:102], v[158:159]
	v_add_f64 v[2:3], v[2:3], v[105:106]
	s_clause 0x2
	buffer_load_dword v149, off, s[0:3], 0 offset:588
	buffer_load_dword v102, off, s[0:3], 0 offset:564
	;; [unrolled: 1-line block ×3, first 2 shown]
	s_waitcnt vmcnt(58) lgkmcnt(0)
	v_mul_f64 v[105:106], v[77:78], v[109:110]
	v_mul_f64 v[109:110], v[79:80], v[109:110]
	s_waitcnt vmcnt(56)
	v_fma_f64 v[107:108], v[85:86], v[113:114], -v[107:108]
	ds_read_b128 v[81:84], v1 offset:928
	v_add_f64 v[93:94], v[93:94], v[99:100]
	v_fma_f64 v[99:100], v[87:88], v[113:114], v[164:165]
	v_add_f64 v[2:3], v[2:3], v[97:98]
	buffer_load_dword v164, off, s[0:3], 0 offset:580
	ds_read_b128 v[85:88], v1 offset:944
	s_waitcnt vmcnt(53) lgkmcnt(1)
	v_mul_f64 v[113:114], v[83:84], v[115:116]
	s_waitcnt vmcnt(52)
	v_fma_f64 v[109:110], v[77:78], v[111:112], -v[109:110]
	v_mul_f64 v[97:98], v[81:82], v[115:116]
	v_fma_f64 v[105:106], v[79:80], v[111:112], v[105:106]
	ds_read_b128 v[77:80], v1 offset:960
	v_add_f64 v[93:94], v[93:94], v[107:108]
	v_add_f64 v[2:3], v[2:3], v[99:100]
	s_waitcnt vmcnt(51) lgkmcnt(1)
	v_mul_f64 v[107:108], v[87:88], v[117:118]
	v_mul_f64 v[99:100], v[85:86], v[117:118]
	s_waitcnt vmcnt(49)
	v_fma_f64 v[111:112], v[81:82], v[121:122], -v[113:114]
	v_fma_f64 v[97:98], v[83:84], v[121:122], v[97:98]
	s_waitcnt vmcnt(45) lgkmcnt(0)
	v_mul_f64 v[115:116], v[79:80], v[124:125]
	v_mul_f64 v[113:114], v[77:78], v[124:125]
	v_add_f64 v[93:94], v[93:94], v[109:110]
	v_add_f64 v[2:3], v[2:3], v[105:106]
	s_clause 0x3
	buffer_load_dword v105, off, s[0:3], 0 offset:240
	buffer_load_dword v106, off, s[0:3], 0 offset:244
	;; [unrolled: 1-line block ×4, first 2 shown]
	s_waitcnt vmcnt(48)
	v_fma_f64 v[107:108], v[85:86], v[119:120], -v[107:108]
	ds_read_b128 v[81:84], v1 offset:976
	v_fma_f64 v[99:100], v[87:88], v[119:120], v[99:100]
	ds_read_b128 v[85:88], v1 offset:992
	s_waitcnt vmcnt(45)
	v_fma_f64 v[115:116], v[77:78], v[130:131], -v[115:116]
	v_add_f64 v[93:94], v[93:94], v[111:112]
	v_add_f64 v[2:3], v[2:3], v[97:98]
	s_waitcnt lgkmcnt(1)
	v_mul_f64 v[111:112], v[83:84], v[126:127]
	v_mul_f64 v[97:98], v[81:82], v[126:127]
	v_add_f64 v[93:94], v[93:94], v[107:108]
	v_fma_f64 v[107:108], v[79:80], v[130:131], v[113:114]
	v_add_f64 v[2:3], v[2:3], v[99:100]
	s_waitcnt vmcnt(41) lgkmcnt(0)
	v_mul_f64 v[113:114], v[87:88], v[132:133]
	s_waitcnt vmcnt(40)
	v_fma_f64 v[111:112], v[81:82], v[128:129], -v[111:112]
	ds_read_b128 v[77:80], v1 offset:1008
	v_mul_f64 v[99:100], v[85:86], v[132:133]
	v_fma_f64 v[97:98], v[83:84], v[128:129], v[97:98]
	ds_read_b128 v[81:84], v1 offset:1024
	v_add_f64 v[93:94], v[93:94], v[115:116]
	v_add_f64 v[2:3], v[2:3], v[107:108]
	s_waitcnt vmcnt(39) lgkmcnt(1)
	v_mul_f64 v[115:116], v[79:80], v[134:135]
	s_waitcnt vmcnt(37)
	v_fma_f64 v[113:114], v[85:86], v[138:139], -v[113:114]
	v_mul_f64 v[107:108], v[77:78], v[134:135]
	v_fma_f64 v[99:100], v[87:88], v[138:139], v[99:100]
	ds_read_b128 v[85:88], v1 offset:1040
	v_add_f64 v[93:94], v[93:94], v[111:112]
	s_waitcnt vmcnt(33) lgkmcnt(1)
	v_mul_f64 v[111:112], v[83:84], v[140:141]
	v_add_f64 v[2:3], v[2:3], v[97:98]
	s_waitcnt vmcnt(32)
	v_fma_f64 v[115:116], v[77:78], v[136:137], -v[115:116]
	v_mul_f64 v[97:98], v[81:82], v[140:141]
	v_fma_f64 v[107:108], v[79:80], v[136:137], v[107:108]
	ds_read_b128 v[77:80], v1 offset:1056
	v_add_f64 v[93:94], v[93:94], v[113:114]
	s_waitcnt vmcnt(31) lgkmcnt(1)
	v_mul_f64 v[113:114], v[87:88], v[142:143]
	v_add_f64 v[2:3], v[2:3], v[99:100]
	;; [unrolled: 9-line block ×3, first 2 shown]
	s_waitcnt vmcnt(24)
	v_fma_f64 v[113:114], v[85:86], v[144:145], -v[113:114]
	v_mul_f64 v[107:108], v[77:78], v[150:151]
	v_fma_f64 v[99:100], v[87:88], v[144:145], v[99:100]
	ds_read_b128 v[85:88], v1 offset:1088
	v_add_f64 v[93:94], v[93:94], v[111:112]
	v_add_f64 v[2:3], v[2:3], v[97:98]
	s_waitcnt vmcnt(23) lgkmcnt(1)
	v_mul_f64 v[111:112], v[83:84], v[152:153]
	v_mul_f64 v[97:98], v[81:82], v[152:153]
	s_waitcnt vmcnt(21)
	v_fma_f64 v[115:116], v[77:78], v[91:92], -v[115:116]
	v_fma_f64 v[91:92], v[79:80], v[91:92], v[107:108]
	ds_read_b128 v[77:80], v1 offset:1104
	v_add_f64 v[93:94], v[93:94], v[113:114]
	v_add_f64 v[2:3], v[2:3], v[99:100]
	s_waitcnt vmcnt(17) lgkmcnt(1)
	v_mul_f64 v[99:100], v[85:86], v[95:96]
	v_mul_f64 v[95:96], v[87:88], v[95:96]
	s_waitcnt vmcnt(16)
	v_fma_f64 v[107:108], v[81:82], v[154:155], -v[111:112]
	;; [unrolled: 9-line block ×3, first 2 shown]
	v_fma_f64 v[89:90], v[87:88], v[89:90], v[99:100]
	ds_read_b128 v[85:88], v1 offset:1136
	v_add_f64 v[93:94], v[93:94], v[107:108]
	v_add_f64 v[2:3], v[2:3], v[97:98]
	s_waitcnt vmcnt(9) lgkmcnt(1)
	v_mul_f64 v[99:100], v[83:84], v[103:104]
	s_waitcnt vmcnt(8)
	v_fma_f64 v[77:78], v[77:78], v[161:162], -v[111:112]
	v_mul_f64 v[97:98], v[81:82], v[103:104]
	v_fma_f64 v[79:80], v[79:80], v[161:162], v[91:92]
	v_add_f64 v[93:94], v[93:94], v[95:96]
	v_add_f64 v[2:3], v[2:3], v[89:90]
	s_waitcnt vmcnt(7) lgkmcnt(0)
	v_mul_f64 v[91:92], v[87:88], v[148:149]
	v_mul_f64 v[89:90], v[85:86], v[148:149]
	s_waitcnt vmcnt(5)
	v_fma_f64 v[81:82], v[81:82], v[101:102], -v[99:100]
	v_fma_f64 v[83:84], v[83:84], v[101:102], v[97:98]
	v_add_f64 v[77:78], v[93:94], v[77:78]
	v_add_f64 v[2:3], v[2:3], v[79:80]
	s_waitcnt vmcnt(4)
	v_fma_f64 v[79:80], v[85:86], v[163:164], -v[91:92]
	v_add_f64 v[77:78], v[77:78], v[81:82]
	v_fma_f64 v[81:82], v[87:88], v[163:164], v[89:90]
	v_add_f64 v[2:3], v[2:3], v[83:84]
	v_add_f64 v[77:78], v[77:78], v[79:80]
	;; [unrolled: 1-line block ×3, first 2 shown]
	s_waitcnt vmcnt(2)
	v_add_f64 v[77:78], v[105:106], -v[77:78]
	s_waitcnt vmcnt(0)
	v_add_f64 v[2:3], v[109:110], -v[2:3]
	buffer_store_dword v78, off, s[0:3], 0 offset:244
	buffer_store_dword v77, off, s[0:3], 0 offset:240
	;; [unrolled: 1-line block ×4, first 2 shown]
	v_cmpx_lt_u32_e32 13, v0
	s_cbranch_execz .LBB99_203
; %bb.202:
	v_mov_b32_e32 v2, s35
	s_clause 0x3
	buffer_load_dword v77, v2, s[0:3], 0 offen
	buffer_load_dword v78, v2, s[0:3], 0 offen offset:4
	buffer_load_dword v79, v2, s[0:3], 0 offen offset:8
	;; [unrolled: 1-line block ×3, first 2 shown]
	buffer_store_dword v1, off, s[0:3], 0 offset:224
	buffer_store_dword v1, off, s[0:3], 0 offset:228
	;; [unrolled: 1-line block ×4, first 2 shown]
	s_waitcnt vmcnt(0)
	ds_write_b128 v123, v[77:80]
.LBB99_203:
	s_or_b32 exec_lo, exec_lo, s4
	s_waitcnt lgkmcnt(0)
	s_waitcnt_vscnt null, 0x0
	s_barrier
	buffer_gl0_inv
	s_clause 0x37
	buffer_load_dword v2, off, s[0:3], 0 offset:248
	buffer_load_dword v3, off, s[0:3], 0 offset:252
	;; [unrolled: 1-line block ×56, first 2 shown]
	ds_read_b128 v[77:80], v1 offset:800
	s_clause 0x2
	buffer_load_dword v143, off, s[0:3], 0 offset:476
	buffer_load_dword v147, off, s[0:3], 0 offset:452
	;; [unrolled: 1-line block ×3, first 2 shown]
	ds_read_b128 v[81:84], v1 offset:816
	s_clause 0x4
	buffer_load_dword v151, off, s[0:3], 0 offset:492
	buffer_load_dword v152, off, s[0:3], 0 offset:504
	;; [unrolled: 1-line block ×5, first 2 shown]
	ds_read_b128 v[85:88], v1 offset:832
	s_mov_b32 s4, exec_lo
	s_waitcnt vmcnt(62) lgkmcnt(2)
	v_mul_f64 v[148:149], v[79:80], v[2:3]
	v_mul_f64 v[2:3], v[77:78], v[2:3]
	s_waitcnt vmcnt(60) lgkmcnt(1)
	v_mul_f64 v[155:156], v[83:84], v[89:90]
	v_mul_f64 v[89:90], v[81:82], v[89:90]
	;; [unrolled: 3-line block ×3, first 2 shown]
	v_fma_f64 v[148:149], v[77:78], v[91:92], -v[148:149]
	v_fma_f64 v[2:3], v[79:80], v[91:92], v[2:3]
	s_clause 0x2
	buffer_load_dword v153, off, s[0:3], 0 offset:508
	buffer_load_dword v92, off, s[0:3], 0 offset:484
	;; [unrolled: 1-line block ×3, first 2 shown]
	s_waitcnt vmcnt(57)
	v_fma_f64 v[159:160], v[81:82], v[95:96], -v[155:156]
	ds_read_b128 v[77:80], v1 offset:848
	v_fma_f64 v[89:90], v[83:84], v[95:96], v[89:90]
	s_clause 0x4
	buffer_load_dword v96, off, s[0:3], 0 offset:524
	buffer_load_dword v156, off, s[0:3], 0 offset:536
	;; [unrolled: 1-line block ×5, first 2 shown]
	s_waitcnt vmcnt(56)
	v_fma_f64 v[93:94], v[85:86], v[103:104], -v[93:94]
	ds_read_b128 v[81:84], v1 offset:864
	v_fma_f64 v[103:104], v[87:88], v[103:104], v[157:158]
	v_add_f64 v[148:149], v[148:149], 0
	v_add_f64 v[2:3], v[2:3], 0
	s_waitcnt lgkmcnt(1)
	v_mul_f64 v[162:163], v[77:78], v[97:98]
	v_mul_f64 v[97:98], v[79:80], v[97:98]
	v_add_f64 v[148:149], v[148:149], v[159:160]
	v_add_f64 v[2:3], v[2:3], v[89:90]
	s_clause 0x2
	buffer_load_dword v157, off, s[0:3], 0 offset:540
	buffer_load_dword v90, off, s[0:3], 0 offset:516
	;; [unrolled: 1-line block ×3, first 2 shown]
	s_waitcnt vmcnt(58) lgkmcnt(0)
	v_mul_f64 v[158:159], v[81:82], v[99:100]
	v_mul_f64 v[99:100], v[83:84], v[99:100]
	s_waitcnt vmcnt(56)
	v_fma_f64 v[97:98], v[77:78], v[105:106], -v[97:98]
	ds_read_b128 v[85:88], v1 offset:880
	v_fma_f64 v[105:106], v[79:80], v[105:106], v[162:163]
	v_add_f64 v[93:94], v[148:149], v[93:94]
	v_add_f64 v[2:3], v[2:3], v[103:104]
	s_clause 0x4
	buffer_load_dword v104, off, s[0:3], 0 offset:556
	buffer_load_dword v148, off, s[0:3], 0 offset:568
	;; [unrolled: 1-line block ×5, first 2 shown]
	ds_read_b128 v[77:80], v1 offset:896
	s_waitcnt vmcnt(57) lgkmcnt(1)
	v_mul_f64 v[164:165], v[85:86], v[107:108]
	v_mul_f64 v[107:108], v[87:88], v[107:108]
	s_waitcnt vmcnt(56)
	v_fma_f64 v[99:100], v[81:82], v[101:102], -v[99:100]
	v_add_f64 v[93:94], v[93:94], v[97:98]
	v_fma_f64 v[97:98], v[83:84], v[101:102], v[158:159]
	v_add_f64 v[2:3], v[2:3], v[105:106]
	s_clause 0x2
	buffer_load_dword v149, off, s[0:3], 0 offset:572
	buffer_load_dword v102, off, s[0:3], 0 offset:548
	;; [unrolled: 1-line block ×3, first 2 shown]
	s_waitcnt vmcnt(58) lgkmcnt(0)
	v_mul_f64 v[105:106], v[77:78], v[109:110]
	v_mul_f64 v[109:110], v[79:80], v[109:110]
	s_waitcnt vmcnt(56)
	v_fma_f64 v[107:108], v[85:86], v[113:114], -v[107:108]
	ds_read_b128 v[81:84], v1 offset:912
	v_add_f64 v[93:94], v[93:94], v[99:100]
	v_fma_f64 v[99:100], v[87:88], v[113:114], v[164:165]
	v_add_f64 v[2:3], v[2:3], v[97:98]
	s_clause 0x2
	buffer_load_dword v98, off, s[0:3], 0 offset:588
	buffer_load_dword v97, off, s[0:3], 0 offset:584
	;; [unrolled: 1-line block ×3, first 2 shown]
	ds_read_b128 v[85:88], v1 offset:928
	s_waitcnt vmcnt(55) lgkmcnt(1)
	v_mul_f64 v[113:114], v[81:82], v[115:116]
	v_mul_f64 v[115:116], v[83:84], v[115:116]
	s_waitcnt vmcnt(54)
	v_fma_f64 v[109:110], v[77:78], v[111:112], -v[109:110]
	v_fma_f64 v[105:106], v[79:80], v[111:112], v[105:106]
	v_add_f64 v[93:94], v[93:94], v[107:108]
	v_add_f64 v[2:3], v[2:3], v[99:100]
	s_clause 0x1
	buffer_load_dword v100, off, s[0:3], 0 offset:580
	buffer_load_dword v99, off, s[0:3], 0 offset:576
	s_waitcnt vmcnt(55) lgkmcnt(0)
	v_mul_f64 v[111:112], v[87:88], v[117:118]
	ds_read_b128 v[77:80], v1 offset:944
	s_waitcnt vmcnt(53)
	v_fma_f64 v[115:116], v[81:82], v[121:122], -v[115:116]
	v_mul_f64 v[107:108], v[85:86], v[117:118]
	v_add_f64 v[93:94], v[93:94], v[109:110]
	v_fma_f64 v[109:110], v[83:84], v[121:122], v[113:114]
	v_add_f64 v[2:3], v[2:3], v[105:106]
	ds_read_b128 v[81:84], v1 offset:960
	s_waitcnt vmcnt(49) lgkmcnt(1)
	v_mul_f64 v[113:114], v[79:80], v[124:125]
	s_waitcnt vmcnt(48)
	v_fma_f64 v[111:112], v[85:86], v[119:120], -v[111:112]
	v_mul_f64 v[105:106], v[77:78], v[124:125]
	v_fma_f64 v[107:108], v[87:88], v[119:120], v[107:108]
	v_add_f64 v[93:94], v[93:94], v[115:116]
	s_waitcnt vmcnt(47) lgkmcnt(0)
	v_mul_f64 v[119:120], v[83:84], v[126:127]
	v_add_f64 v[2:3], v[2:3], v[109:110]
	s_clause 0x3
	buffer_load_dword v109, off, s[0:3], 0 offset:224
	buffer_load_dword v110, off, s[0:3], 0 offset:228
	;; [unrolled: 1-line block ×4, first 2 shown]
	s_waitcnt vmcnt(49)
	v_fma_f64 v[113:114], v[77:78], v[130:131], -v[113:114]
	ds_read_b128 v[85:88], v1 offset:976
	v_mul_f64 v[117:118], v[81:82], v[126:127]
	v_fma_f64 v[105:106], v[79:80], v[130:131], v[105:106]
	ds_read_b128 v[77:80], v1 offset:992
	v_add_f64 v[93:94], v[93:94], v[111:112]
	s_waitcnt vmcnt(44)
	v_fma_f64 v[119:120], v[81:82], v[128:129], -v[119:120]
	v_add_f64 v[2:3], v[2:3], v[107:108]
	s_waitcnt lgkmcnt(1)
	v_mul_f64 v[111:112], v[87:88], v[132:133]
	v_mul_f64 v[107:108], v[85:86], v[132:133]
	v_add_f64 v[93:94], v[93:94], v[113:114]
	v_fma_f64 v[113:114], v[83:84], v[128:129], v[117:118]
	v_add_f64 v[2:3], v[2:3], v[105:106]
	s_waitcnt vmcnt(43) lgkmcnt(0)
	v_mul_f64 v[117:118], v[79:80], v[134:135]
	s_waitcnt vmcnt(41)
	v_fma_f64 v[111:112], v[85:86], v[138:139], -v[111:112]
	ds_read_b128 v[81:84], v1 offset:1008
	v_mul_f64 v[105:106], v[77:78], v[134:135]
	v_fma_f64 v[107:108], v[87:88], v[138:139], v[107:108]
	ds_read_b128 v[85:88], v1 offset:1024
	v_add_f64 v[93:94], v[93:94], v[119:120]
	v_add_f64 v[2:3], v[2:3], v[113:114]
	s_waitcnt vmcnt(37) lgkmcnt(1)
	v_mul_f64 v[119:120], v[83:84], v[140:141]
	s_waitcnt vmcnt(36)
	v_fma_f64 v[117:118], v[77:78], v[136:137], -v[117:118]
	v_mul_f64 v[113:114], v[81:82], v[140:141]
	v_fma_f64 v[105:106], v[79:80], v[136:137], v[105:106]
	ds_read_b128 v[77:80], v1 offset:1040
	v_add_f64 v[93:94], v[93:94], v[111:112]
	s_waitcnt vmcnt(35) lgkmcnt(1)
	v_mul_f64 v[111:112], v[87:88], v[142:143]
	v_add_f64 v[2:3], v[2:3], v[107:108]
	s_waitcnt vmcnt(33)
	v_fma_f64 v[119:120], v[81:82], v[146:147], -v[119:120]
	v_mul_f64 v[107:108], v[85:86], v[142:143]
	v_fma_f64 v[113:114], v[83:84], v[146:147], v[113:114]
	ds_read_b128 v[81:84], v1 offset:1056
	v_add_f64 v[93:94], v[93:94], v[117:118]
	s_waitcnt vmcnt(29) lgkmcnt(1)
	v_mul_f64 v[117:118], v[79:80], v[150:151]
	v_add_f64 v[2:3], v[2:3], v[105:106]
	s_waitcnt vmcnt(28)
	v_fma_f64 v[111:112], v[85:86], v[144:145], -v[111:112]
	v_mul_f64 v[105:106], v[77:78], v[150:151]
	v_fma_f64 v[107:108], v[87:88], v[144:145], v[107:108]
	ds_read_b128 v[85:88], v1 offset:1072
	v_add_f64 v[93:94], v[93:94], v[119:120]
	v_add_f64 v[2:3], v[2:3], v[113:114]
	s_waitcnt vmcnt(27) lgkmcnt(1)
	v_mul_f64 v[119:120], v[83:84], v[152:153]
	v_mul_f64 v[113:114], v[81:82], v[152:153]
	s_waitcnt vmcnt(25)
	v_fma_f64 v[117:118], v[77:78], v[91:92], -v[117:118]
	v_fma_f64 v[91:92], v[79:80], v[91:92], v[105:106]
	ds_read_b128 v[77:80], v1 offset:1088
	s_waitcnt vmcnt(21) lgkmcnt(1)
	v_mul_f64 v[105:106], v[85:86], v[95:96]
	v_mul_f64 v[95:96], v[87:88], v[95:96]
	v_add_f64 v[93:94], v[93:94], v[111:112]
	v_add_f64 v[2:3], v[2:3], v[107:108]
	s_waitcnt vmcnt(20)
	v_fma_f64 v[107:108], v[81:82], v[154:155], -v[119:120]
	v_fma_f64 v[111:112], v[83:84], v[154:155], v[113:114]
	ds_read_b128 v[81:84], v1 offset:1104
	v_add_f64 v[93:94], v[93:94], v[117:118]
	v_add_f64 v[2:3], v[2:3], v[91:92]
	s_waitcnt vmcnt(19) lgkmcnt(1)
	v_mul_f64 v[113:114], v[79:80], v[156:157]
	v_mul_f64 v[91:92], v[77:78], v[156:157]
	s_waitcnt vmcnt(17)
	v_fma_f64 v[95:96], v[85:86], v[89:90], -v[95:96]
	v_fma_f64 v[89:90], v[87:88], v[89:90], v[105:106]
	ds_read_b128 v[85:88], v1 offset:1120
	v_add_f64 v[93:94], v[93:94], v[107:108]
	v_add_f64 v[2:3], v[2:3], v[111:112]
	s_waitcnt vmcnt(13) lgkmcnt(1)
	v_mul_f64 v[105:106], v[81:82], v[103:104]
	v_mul_f64 v[103:104], v[83:84], v[103:104]
	s_waitcnt vmcnt(12)
	v_fma_f64 v[77:78], v[77:78], v[161:162], -v[113:114]
	v_fma_f64 v[79:80], v[79:80], v[161:162], v[91:92]
	v_add_f64 v[93:94], v[93:94], v[95:96]
	v_add_f64 v[89:90], v[2:3], v[89:90]
	ds_read_b128 v[1:4], v1 offset:1136
	s_waitcnt vmcnt(11) lgkmcnt(1)
	v_mul_f64 v[95:96], v[87:88], v[148:149]
	v_mul_f64 v[91:92], v[85:86], v[148:149]
	s_waitcnt vmcnt(9)
	v_fma_f64 v[81:82], v[81:82], v[101:102], -v[103:104]
	v_fma_f64 v[83:84], v[83:84], v[101:102], v[105:106]
	v_add_f64 v[77:78], v[93:94], v[77:78]
	v_add_f64 v[79:80], v[89:90], v[79:80]
	s_waitcnt vmcnt(7) lgkmcnt(0)
	v_mul_f64 v[93:94], v[3:4], v[97:98]
	s_waitcnt vmcnt(6)
	v_fma_f64 v[85:86], v[85:86], v[163:164], -v[95:96]
	v_mul_f64 v[89:90], v[1:2], v[97:98]
	v_add_f64 v[77:78], v[77:78], v[81:82]
	v_fma_f64 v[81:82], v[87:88], v[163:164], v[91:92]
	v_add_f64 v[79:80], v[79:80], v[83:84]
	s_waitcnt vmcnt(4)
	v_fma_f64 v[1:2], v[1:2], v[99:100], -v[93:94]
	v_fma_f64 v[3:4], v[3:4], v[99:100], v[89:90]
	v_add_f64 v[77:78], v[77:78], v[85:86]
	v_add_f64 v[79:80], v[79:80], v[81:82]
	;; [unrolled: 1-line block ×4, first 2 shown]
	s_waitcnt vmcnt(2)
	v_add_f64 v[1:2], v[109:110], -v[1:2]
	s_waitcnt vmcnt(0)
	v_add_f64 v[3:4], v[115:116], -v[3:4]
	buffer_store_dword v2, off, s[0:3], 0 offset:228
	buffer_store_dword v1, off, s[0:3], 0 offset:224
	;; [unrolled: 1-line block ×4, first 2 shown]
	v_cmpx_lt_u32_e32 12, v0
	s_cbranch_execz .LBB99_205
; %bb.204:
	v_mov_b32_e32 v4, s36
	v_mov_b32_e32 v77, 0
	s_clause 0x3
	buffer_load_dword v1, v4, s[0:3], 0 offen
	buffer_load_dword v2, v4, s[0:3], 0 offen offset:4
	buffer_load_dword v3, v4, s[0:3], 0 offen offset:8
	;; [unrolled: 1-line block ×3, first 2 shown]
	buffer_store_dword v77, off, s[0:3], 0 offset:208
	buffer_store_dword v77, off, s[0:3], 0 offset:212
	;; [unrolled: 1-line block ×4, first 2 shown]
	s_waitcnt vmcnt(0)
	ds_write_b128 v123, v[1:4]
.LBB99_205:
	s_or_b32 exec_lo, exec_lo, s4
	s_waitcnt lgkmcnt(0)
	s_waitcnt_vscnt null, 0x0
	s_barrier
	buffer_gl0_inv
	s_clause 0x37
	buffer_load_dword v2, off, s[0:3], 0 offset:232
	buffer_load_dword v3, off, s[0:3], 0 offset:236
	;; [unrolled: 1-line block ×56, first 2 shown]
	v_mov_b32_e32 v1, 0
	s_mov_b32 s4, exec_lo
	ds_read_b128 v[77:80], v1 offset:784
	s_clause 0x2
	buffer_load_dword v143, off, s[0:3], 0 offset:460
	buffer_load_dword v147, off, s[0:3], 0 offset:436
	;; [unrolled: 1-line block ×3, first 2 shown]
	ds_read_b128 v[81:84], v1 offset:800
	s_clause 0x4
	buffer_load_dword v151, off, s[0:3], 0 offset:476
	buffer_load_dword v152, off, s[0:3], 0 offset:488
	buffer_load_dword v154, off, s[0:3], 0 offset:480
	buffer_load_dword v150, off, s[0:3], 0 offset:472
	buffer_load_dword v145, off, s[0:3], 0 offset:452
	ds_read_b128 v[85:88], v1 offset:816
	s_waitcnt vmcnt(62) lgkmcnt(2)
	v_mul_f64 v[148:149], v[79:80], v[2:3]
	v_mul_f64 v[2:3], v[77:78], v[2:3]
	s_waitcnt vmcnt(60) lgkmcnt(1)
	v_mul_f64 v[155:156], v[83:84], v[89:90]
	v_mul_f64 v[89:90], v[81:82], v[89:90]
	;; [unrolled: 3-line block ×3, first 2 shown]
	v_fma_f64 v[148:149], v[77:78], v[91:92], -v[148:149]
	v_fma_f64 v[2:3], v[79:80], v[91:92], v[2:3]
	s_clause 0x2
	buffer_load_dword v153, off, s[0:3], 0 offset:492
	buffer_load_dword v92, off, s[0:3], 0 offset:468
	;; [unrolled: 1-line block ×3, first 2 shown]
	s_waitcnt vmcnt(57)
	v_fma_f64 v[159:160], v[81:82], v[95:96], -v[155:156]
	ds_read_b128 v[77:80], v1 offset:832
	v_fma_f64 v[89:90], v[83:84], v[95:96], v[89:90]
	s_clause 0x4
	buffer_load_dword v96, off, s[0:3], 0 offset:508
	buffer_load_dword v156, off, s[0:3], 0 offset:520
	;; [unrolled: 1-line block ×5, first 2 shown]
	s_waitcnt vmcnt(56)
	v_fma_f64 v[93:94], v[85:86], v[103:104], -v[93:94]
	ds_read_b128 v[81:84], v1 offset:848
	v_fma_f64 v[103:104], v[87:88], v[103:104], v[157:158]
	v_add_f64 v[148:149], v[148:149], 0
	v_add_f64 v[2:3], v[2:3], 0
	s_waitcnt lgkmcnt(1)
	v_mul_f64 v[162:163], v[77:78], v[97:98]
	v_mul_f64 v[97:98], v[79:80], v[97:98]
	v_add_f64 v[148:149], v[148:149], v[159:160]
	v_add_f64 v[2:3], v[2:3], v[89:90]
	s_clause 0x2
	buffer_load_dword v157, off, s[0:3], 0 offset:524
	buffer_load_dword v90, off, s[0:3], 0 offset:500
	;; [unrolled: 1-line block ×3, first 2 shown]
	s_waitcnt vmcnt(58) lgkmcnt(0)
	v_mul_f64 v[158:159], v[81:82], v[99:100]
	v_mul_f64 v[99:100], v[83:84], v[99:100]
	s_waitcnt vmcnt(56)
	v_fma_f64 v[97:98], v[77:78], v[105:106], -v[97:98]
	ds_read_b128 v[85:88], v1 offset:864
	v_fma_f64 v[105:106], v[79:80], v[105:106], v[162:163]
	v_add_f64 v[93:94], v[148:149], v[93:94]
	v_add_f64 v[2:3], v[2:3], v[103:104]
	s_clause 0x4
	buffer_load_dword v104, off, s[0:3], 0 offset:540
	buffer_load_dword v148, off, s[0:3], 0 offset:552
	;; [unrolled: 1-line block ×5, first 2 shown]
	ds_read_b128 v[77:80], v1 offset:880
	s_waitcnt vmcnt(57) lgkmcnt(1)
	v_mul_f64 v[164:165], v[85:86], v[107:108]
	v_mul_f64 v[107:108], v[87:88], v[107:108]
	s_waitcnt vmcnt(56)
	v_fma_f64 v[99:100], v[81:82], v[101:102], -v[99:100]
	v_add_f64 v[93:94], v[93:94], v[97:98]
	v_fma_f64 v[97:98], v[83:84], v[101:102], v[158:159]
	v_add_f64 v[2:3], v[2:3], v[105:106]
	s_clause 0x2
	buffer_load_dword v149, off, s[0:3], 0 offset:556
	buffer_load_dword v102, off, s[0:3], 0 offset:532
	;; [unrolled: 1-line block ×3, first 2 shown]
	s_waitcnt vmcnt(58) lgkmcnt(0)
	v_mul_f64 v[105:106], v[77:78], v[109:110]
	v_mul_f64 v[109:110], v[79:80], v[109:110]
	s_waitcnt vmcnt(56)
	v_fma_f64 v[107:108], v[85:86], v[113:114], -v[107:108]
	ds_read_b128 v[81:84], v1 offset:896
	v_add_f64 v[93:94], v[93:94], v[99:100]
	v_fma_f64 v[99:100], v[87:88], v[113:114], v[164:165]
	v_add_f64 v[2:3], v[2:3], v[97:98]
	s_clause 0x4
	buffer_load_dword v98, off, s[0:3], 0 offset:572
	buffer_load_dword v113, off, s[0:3], 0 offset:584
	buffer_load_dword v158, off, s[0:3], 0 offset:576
	buffer_load_dword v97, off, s[0:3], 0 offset:568
	buffer_load_dword v164, off, s[0:3], 0 offset:548
	ds_read_b128 v[85:88], v1 offset:912
	s_waitcnt vmcnt(57) lgkmcnt(1)
	v_mul_f64 v[159:160], v[81:82], v[115:116]
	v_mul_f64 v[115:116], v[83:84], v[115:116]
	s_waitcnt vmcnt(56)
	v_fma_f64 v[109:110], v[77:78], v[111:112], -v[109:110]
	v_fma_f64 v[105:106], v[79:80], v[111:112], v[105:106]
	v_add_f64 v[93:94], v[93:94], v[107:108]
	v_add_f64 v[2:3], v[2:3], v[99:100]
	s_clause 0x2
	buffer_load_dword v114, off, s[0:3], 0 offset:588
	buffer_load_dword v100, off, s[0:3], 0 offset:564
	buffer_load_dword v99, off, s[0:3], 0 offset:560
	s_waitcnt vmcnt(58) lgkmcnt(0)
	v_mul_f64 v[111:112], v[87:88], v[117:118]
	ds_read_b128 v[77:80], v1 offset:928
	s_waitcnt vmcnt(56)
	v_fma_f64 v[115:116], v[81:82], v[121:122], -v[115:116]
	v_mul_f64 v[107:108], v[85:86], v[117:118]
	v_add_f64 v[93:94], v[93:94], v[109:110]
	v_fma_f64 v[109:110], v[83:84], v[121:122], v[159:160]
	v_add_f64 v[2:3], v[2:3], v[105:106]
	buffer_load_dword v159, off, s[0:3], 0 offset:580
	ds_read_b128 v[81:84], v1 offset:944
	s_waitcnt vmcnt(53) lgkmcnt(1)
	v_mul_f64 v[117:118], v[79:80], v[124:125]
	s_waitcnt vmcnt(52)
	v_fma_f64 v[111:112], v[85:86], v[119:120], -v[111:112]
	v_mul_f64 v[105:106], v[77:78], v[124:125]
	v_fma_f64 v[107:108], v[87:88], v[119:120], v[107:108]
	ds_read_b128 v[85:88], v1 offset:960
	v_add_f64 v[93:94], v[93:94], v[115:116]
	v_add_f64 v[2:3], v[2:3], v[109:110]
	s_waitcnt vmcnt(51) lgkmcnt(1)
	v_mul_f64 v[115:116], v[83:84], v[126:127]
	v_mul_f64 v[109:110], v[81:82], v[126:127]
	s_waitcnt vmcnt(49)
	v_fma_f64 v[117:118], v[77:78], v[130:131], -v[117:118]
	v_fma_f64 v[105:106], v[79:80], v[130:131], v[105:106]
	s_waitcnt vmcnt(45) lgkmcnt(0)
	v_mul_f64 v[121:122], v[87:88], v[132:133]
	v_mul_f64 v[119:120], v[85:86], v[132:133]
	v_add_f64 v[93:94], v[93:94], v[111:112]
	v_add_f64 v[2:3], v[2:3], v[107:108]
	s_clause 0x3
	buffer_load_dword v107, off, s[0:3], 0 offset:208
	buffer_load_dword v108, off, s[0:3], 0 offset:212
	;; [unrolled: 1-line block ×4, first 2 shown]
	s_waitcnt vmcnt(48)
	v_fma_f64 v[115:116], v[81:82], v[128:129], -v[115:116]
	ds_read_b128 v[77:80], v1 offset:976
	v_fma_f64 v[109:110], v[83:84], v[128:129], v[109:110]
	ds_read_b128 v[81:84], v1 offset:992
	s_waitcnt vmcnt(45)
	v_fma_f64 v[121:122], v[85:86], v[138:139], -v[121:122]
	v_add_f64 v[93:94], v[93:94], v[117:118]
	v_add_f64 v[2:3], v[2:3], v[105:106]
	s_waitcnt lgkmcnt(1)
	v_mul_f64 v[117:118], v[79:80], v[134:135]
	v_mul_f64 v[105:106], v[77:78], v[134:135]
	v_add_f64 v[93:94], v[93:94], v[115:116]
	v_fma_f64 v[115:116], v[87:88], v[138:139], v[119:120]
	v_add_f64 v[2:3], v[2:3], v[109:110]
	s_waitcnt vmcnt(41) lgkmcnt(0)
	v_mul_f64 v[119:120], v[83:84], v[140:141]
	s_waitcnt vmcnt(40)
	v_fma_f64 v[117:118], v[77:78], v[136:137], -v[117:118]
	ds_read_b128 v[85:88], v1 offset:1008
	v_mul_f64 v[109:110], v[81:82], v[140:141]
	v_fma_f64 v[105:106], v[79:80], v[136:137], v[105:106]
	ds_read_b128 v[77:80], v1 offset:1024
	v_add_f64 v[93:94], v[93:94], v[121:122]
	v_add_f64 v[2:3], v[2:3], v[115:116]
	s_waitcnt vmcnt(39) lgkmcnt(1)
	v_mul_f64 v[121:122], v[87:88], v[142:143]
	s_waitcnt vmcnt(37)
	v_fma_f64 v[119:120], v[81:82], v[146:147], -v[119:120]
	v_mul_f64 v[115:116], v[85:86], v[142:143]
	v_fma_f64 v[109:110], v[83:84], v[146:147], v[109:110]
	ds_read_b128 v[81:84], v1 offset:1040
	v_add_f64 v[93:94], v[93:94], v[117:118]
	s_waitcnt vmcnt(33) lgkmcnt(1)
	v_mul_f64 v[117:118], v[79:80], v[150:151]
	v_add_f64 v[2:3], v[2:3], v[105:106]
	s_waitcnt vmcnt(32)
	v_fma_f64 v[121:122], v[85:86], v[144:145], -v[121:122]
	v_mul_f64 v[105:106], v[77:78], v[150:151]
	v_fma_f64 v[115:116], v[87:88], v[144:145], v[115:116]
	ds_read_b128 v[85:88], v1 offset:1056
	v_add_f64 v[93:94], v[93:94], v[119:120]
	v_add_f64 v[2:3], v[2:3], v[109:110]
	s_waitcnt vmcnt(31) lgkmcnt(1)
	v_mul_f64 v[119:120], v[83:84], v[152:153]
	v_mul_f64 v[109:110], v[81:82], v[152:153]
	s_waitcnt vmcnt(29)
	v_fma_f64 v[117:118], v[77:78], v[91:92], -v[117:118]
	v_fma_f64 v[91:92], v[79:80], v[91:92], v[105:106]
	ds_read_b128 v[77:80], v1 offset:1072
	s_waitcnt vmcnt(25) lgkmcnt(1)
	v_mul_f64 v[105:106], v[85:86], v[95:96]
	v_mul_f64 v[95:96], v[87:88], v[95:96]
	v_add_f64 v[93:94], v[93:94], v[121:122]
	v_add_f64 v[2:3], v[2:3], v[115:116]
	s_waitcnt vmcnt(24)
	v_fma_f64 v[115:116], v[81:82], v[154:155], -v[119:120]
	v_fma_f64 v[109:110], v[83:84], v[154:155], v[109:110]
	ds_read_b128 v[81:84], v1 offset:1088
	v_add_f64 v[93:94], v[93:94], v[117:118]
	v_add_f64 v[2:3], v[2:3], v[91:92]
	s_waitcnt vmcnt(23) lgkmcnt(1)
	v_mul_f64 v[117:118], v[79:80], v[156:157]
	v_mul_f64 v[91:92], v[77:78], v[156:157]
	s_waitcnt vmcnt(21)
	v_fma_f64 v[95:96], v[85:86], v[89:90], -v[95:96]
	v_fma_f64 v[89:90], v[87:88], v[89:90], v[105:106]
	ds_read_b128 v[85:88], v1 offset:1104
	v_add_f64 v[93:94], v[93:94], v[115:116]
	v_add_f64 v[2:3], v[2:3], v[109:110]
	s_waitcnt vmcnt(17) lgkmcnt(1)
	v_mul_f64 v[105:106], v[81:82], v[103:104]
	v_mul_f64 v[103:104], v[83:84], v[103:104]
	;; [unrolled: 9-line block ×4, first 2 shown]
	s_waitcnt vmcnt(8)
	v_fma_f64 v[85:86], v[85:86], v[163:164], -v[95:96]
	v_fma_f64 v[87:88], v[87:88], v[163:164], v[89:90]
	v_add_f64 v[93:94], v[93:94], v[103:104]
	v_add_f64 v[2:3], v[2:3], v[101:102]
	s_waitcnt vmcnt(7) lgkmcnt(0)
	v_mul_f64 v[95:96], v[83:84], v[113:114]
	v_mul_f64 v[89:90], v[81:82], v[113:114]
	s_waitcnt vmcnt(5)
	v_fma_f64 v[77:78], v[77:78], v[99:100], -v[97:98]
	v_fma_f64 v[79:80], v[79:80], v[99:100], v[91:92]
	v_add_f64 v[85:86], v[93:94], v[85:86]
	v_add_f64 v[2:3], v[2:3], v[87:88]
	s_waitcnt vmcnt(4)
	v_fma_f64 v[81:82], v[81:82], v[158:159], -v[95:96]
	v_fma_f64 v[83:84], v[83:84], v[158:159], v[89:90]
	v_add_f64 v[77:78], v[85:86], v[77:78]
	v_add_f64 v[2:3], v[2:3], v[79:80]
	;; [unrolled: 1-line block ×4, first 2 shown]
	s_waitcnt vmcnt(2)
	v_add_f64 v[77:78], v[107:108], -v[77:78]
	s_waitcnt vmcnt(0)
	v_add_f64 v[2:3], v[111:112], -v[2:3]
	buffer_store_dword v78, off, s[0:3], 0 offset:212
	buffer_store_dword v77, off, s[0:3], 0 offset:208
	;; [unrolled: 1-line block ×4, first 2 shown]
	v_cmpx_lt_u32_e32 11, v0
	s_cbranch_execz .LBB99_207
; %bb.206:
	v_mov_b32_e32 v2, s37
	s_clause 0x3
	buffer_load_dword v77, v2, s[0:3], 0 offen
	buffer_load_dword v78, v2, s[0:3], 0 offen offset:4
	buffer_load_dword v79, v2, s[0:3], 0 offen offset:8
	;; [unrolled: 1-line block ×3, first 2 shown]
	buffer_store_dword v1, off, s[0:3], 0 offset:192
	buffer_store_dword v1, off, s[0:3], 0 offset:196
	;; [unrolled: 1-line block ×4, first 2 shown]
	s_waitcnt vmcnt(0)
	ds_write_b128 v123, v[77:80]
.LBB99_207:
	s_or_b32 exec_lo, exec_lo, s4
	s_waitcnt lgkmcnt(0)
	s_waitcnt_vscnt null, 0x0
	s_barrier
	buffer_gl0_inv
	s_clause 0x37
	buffer_load_dword v2, off, s[0:3], 0 offset:216
	buffer_load_dword v3, off, s[0:3], 0 offset:220
	;; [unrolled: 1-line block ×56, first 2 shown]
	ds_read_b128 v[77:80], v1 offset:768
	s_clause 0x2
	buffer_load_dword v143, off, s[0:3], 0 offset:444
	buffer_load_dword v147, off, s[0:3], 0 offset:420
	;; [unrolled: 1-line block ×3, first 2 shown]
	ds_read_b128 v[81:84], v1 offset:784
	s_clause 0x4
	buffer_load_dword v151, off, s[0:3], 0 offset:460
	buffer_load_dword v152, off, s[0:3], 0 offset:472
	buffer_load_dword v154, off, s[0:3], 0 offset:464
	buffer_load_dword v150, off, s[0:3], 0 offset:456
	buffer_load_dword v145, off, s[0:3], 0 offset:436
	ds_read_b128 v[85:88], v1 offset:800
	s_mov_b32 s4, exec_lo
	s_waitcnt vmcnt(62) lgkmcnt(2)
	v_mul_f64 v[148:149], v[79:80], v[2:3]
	v_mul_f64 v[2:3], v[77:78], v[2:3]
	s_waitcnt vmcnt(60) lgkmcnt(1)
	v_mul_f64 v[155:156], v[83:84], v[89:90]
	v_mul_f64 v[89:90], v[81:82], v[89:90]
	;; [unrolled: 3-line block ×3, first 2 shown]
	v_fma_f64 v[148:149], v[77:78], v[91:92], -v[148:149]
	v_fma_f64 v[2:3], v[79:80], v[91:92], v[2:3]
	s_clause 0x2
	buffer_load_dword v153, off, s[0:3], 0 offset:476
	buffer_load_dword v92, off, s[0:3], 0 offset:452
	;; [unrolled: 1-line block ×3, first 2 shown]
	s_waitcnt vmcnt(57)
	v_fma_f64 v[159:160], v[81:82], v[95:96], -v[155:156]
	ds_read_b128 v[77:80], v1 offset:816
	v_fma_f64 v[89:90], v[83:84], v[95:96], v[89:90]
	s_clause 0x4
	buffer_load_dword v96, off, s[0:3], 0 offset:492
	buffer_load_dword v156, off, s[0:3], 0 offset:504
	;; [unrolled: 1-line block ×5, first 2 shown]
	s_waitcnt vmcnt(56)
	v_fma_f64 v[93:94], v[85:86], v[103:104], -v[93:94]
	ds_read_b128 v[81:84], v1 offset:832
	v_fma_f64 v[103:104], v[87:88], v[103:104], v[157:158]
	v_add_f64 v[148:149], v[148:149], 0
	v_add_f64 v[2:3], v[2:3], 0
	s_waitcnt lgkmcnt(1)
	v_mul_f64 v[162:163], v[77:78], v[97:98]
	v_mul_f64 v[97:98], v[79:80], v[97:98]
	v_add_f64 v[148:149], v[148:149], v[159:160]
	v_add_f64 v[2:3], v[2:3], v[89:90]
	s_clause 0x2
	buffer_load_dword v157, off, s[0:3], 0 offset:508
	buffer_load_dword v90, off, s[0:3], 0 offset:484
	;; [unrolled: 1-line block ×3, first 2 shown]
	s_waitcnt vmcnt(58) lgkmcnt(0)
	v_mul_f64 v[158:159], v[81:82], v[99:100]
	v_mul_f64 v[99:100], v[83:84], v[99:100]
	s_waitcnt vmcnt(56)
	v_fma_f64 v[97:98], v[77:78], v[105:106], -v[97:98]
	ds_read_b128 v[85:88], v1 offset:848
	v_fma_f64 v[105:106], v[79:80], v[105:106], v[162:163]
	v_add_f64 v[93:94], v[148:149], v[93:94]
	v_add_f64 v[2:3], v[2:3], v[103:104]
	s_clause 0x4
	buffer_load_dword v104, off, s[0:3], 0 offset:524
	buffer_load_dword v148, off, s[0:3], 0 offset:536
	;; [unrolled: 1-line block ×5, first 2 shown]
	ds_read_b128 v[77:80], v1 offset:864
	s_waitcnt vmcnt(57) lgkmcnt(1)
	v_mul_f64 v[164:165], v[85:86], v[107:108]
	v_mul_f64 v[107:108], v[87:88], v[107:108]
	s_waitcnt vmcnt(56)
	v_fma_f64 v[99:100], v[81:82], v[101:102], -v[99:100]
	v_add_f64 v[93:94], v[93:94], v[97:98]
	v_fma_f64 v[97:98], v[83:84], v[101:102], v[158:159]
	v_add_f64 v[2:3], v[2:3], v[105:106]
	s_clause 0x2
	buffer_load_dword v149, off, s[0:3], 0 offset:540
	buffer_load_dword v102, off, s[0:3], 0 offset:516
	;; [unrolled: 1-line block ×3, first 2 shown]
	s_waitcnt vmcnt(58) lgkmcnt(0)
	v_mul_f64 v[105:106], v[77:78], v[109:110]
	v_mul_f64 v[109:110], v[79:80], v[109:110]
	s_waitcnt vmcnt(56)
	v_fma_f64 v[107:108], v[85:86], v[113:114], -v[107:108]
	ds_read_b128 v[81:84], v1 offset:880
	v_add_f64 v[93:94], v[93:94], v[99:100]
	v_fma_f64 v[99:100], v[87:88], v[113:114], v[164:165]
	v_add_f64 v[2:3], v[2:3], v[97:98]
	s_clause 0x4
	buffer_load_dword v98, off, s[0:3], 0 offset:556
	buffer_load_dword v113, off, s[0:3], 0 offset:568
	;; [unrolled: 1-line block ×5, first 2 shown]
	ds_read_b128 v[85:88], v1 offset:896
	s_waitcnt vmcnt(57) lgkmcnt(1)
	v_mul_f64 v[159:160], v[81:82], v[115:116]
	v_mul_f64 v[115:116], v[83:84], v[115:116]
	s_waitcnt vmcnt(56)
	v_fma_f64 v[109:110], v[77:78], v[111:112], -v[109:110]
	v_fma_f64 v[105:106], v[79:80], v[111:112], v[105:106]
	v_add_f64 v[93:94], v[93:94], v[107:108]
	v_add_f64 v[2:3], v[2:3], v[99:100]
	s_clause 0x2
	buffer_load_dword v114, off, s[0:3], 0 offset:572
	buffer_load_dword v100, off, s[0:3], 0 offset:548
	buffer_load_dword v99, off, s[0:3], 0 offset:544
	s_waitcnt vmcnt(58) lgkmcnt(0)
	v_mul_f64 v[111:112], v[87:88], v[117:118]
	ds_read_b128 v[77:80], v1 offset:912
	s_waitcnt vmcnt(56)
	v_fma_f64 v[115:116], v[81:82], v[121:122], -v[115:116]
	v_mul_f64 v[107:108], v[85:86], v[117:118]
	v_add_f64 v[93:94], v[93:94], v[109:110]
	v_fma_f64 v[109:110], v[83:84], v[121:122], v[159:160]
	v_add_f64 v[2:3], v[2:3], v[105:106]
	s_clause 0x2
	buffer_load_dword v106, off, s[0:3], 0 offset:588
	buffer_load_dword v105, off, s[0:3], 0 offset:584
	;; [unrolled: 1-line block ×3, first 2 shown]
	s_waitcnt vmcnt(55) lgkmcnt(0)
	v_mul_f64 v[121:122], v[79:80], v[124:125]
	s_waitcnt vmcnt(54)
	v_fma_f64 v[111:112], v[85:86], v[119:120], -v[111:112]
	ds_read_b128 v[81:84], v1 offset:928
	v_mul_f64 v[117:118], v[77:78], v[124:125]
	v_fma_f64 v[107:108], v[87:88], v[119:120], v[107:108]
	v_add_f64 v[93:94], v[93:94], v[115:116]
	v_add_f64 v[2:3], v[2:3], v[109:110]
	s_clause 0x1
	buffer_load_dword v110, off, s[0:3], 0 offset:580
	buffer_load_dword v109, off, s[0:3], 0 offset:576
	s_waitcnt vmcnt(55) lgkmcnt(0)
	v_mul_f64 v[119:120], v[83:84], v[126:127]
	s_waitcnt vmcnt(53)
	v_fma_f64 v[121:122], v[77:78], v[130:131], -v[121:122]
	ds_read_b128 v[85:88], v1 offset:944
	v_mul_f64 v[115:116], v[81:82], v[126:127]
	v_add_f64 v[93:94], v[93:94], v[111:112]
	v_fma_f64 v[111:112], v[79:80], v[130:131], v[117:118]
	v_add_f64 v[2:3], v[2:3], v[107:108]
	ds_read_b128 v[77:80], v1 offset:960
	s_waitcnt vmcnt(49) lgkmcnt(1)
	v_mul_f64 v[117:118], v[87:88], v[132:133]
	s_waitcnt vmcnt(48)
	v_fma_f64 v[119:120], v[81:82], v[128:129], -v[119:120]
	v_mul_f64 v[107:108], v[85:86], v[132:133]
	v_fma_f64 v[115:116], v[83:84], v[128:129], v[115:116]
	v_add_f64 v[93:94], v[93:94], v[121:122]
	s_waitcnt vmcnt(47) lgkmcnt(0)
	v_mul_f64 v[126:127], v[79:80], v[134:135]
	v_add_f64 v[2:3], v[2:3], v[111:112]
	s_clause 0x3
	buffer_load_dword v111, off, s[0:3], 0 offset:192
	buffer_load_dword v112, off, s[0:3], 0 offset:196
	;; [unrolled: 1-line block ×4, first 2 shown]
	s_waitcnt vmcnt(49)
	v_fma_f64 v[117:118], v[85:86], v[138:139], -v[117:118]
	ds_read_b128 v[81:84], v1 offset:976
	v_mul_f64 v[124:125], v[77:78], v[134:135]
	v_fma_f64 v[107:108], v[87:88], v[138:139], v[107:108]
	ds_read_b128 v[85:88], v1 offset:992
	v_add_f64 v[93:94], v[93:94], v[119:120]
	s_waitcnt vmcnt(44)
	v_fma_f64 v[126:127], v[77:78], v[136:137], -v[126:127]
	v_add_f64 v[2:3], v[2:3], v[115:116]
	s_waitcnt lgkmcnt(1)
	v_mul_f64 v[119:120], v[83:84], v[140:141]
	v_mul_f64 v[115:116], v[81:82], v[140:141]
	v_add_f64 v[93:94], v[93:94], v[117:118]
	v_fma_f64 v[117:118], v[79:80], v[136:137], v[124:125]
	v_add_f64 v[2:3], v[2:3], v[107:108]
	s_waitcnt vmcnt(43) lgkmcnt(0)
	v_mul_f64 v[124:125], v[87:88], v[142:143]
	s_waitcnt vmcnt(41)
	v_fma_f64 v[119:120], v[81:82], v[146:147], -v[119:120]
	ds_read_b128 v[77:80], v1 offset:1008
	v_mul_f64 v[107:108], v[85:86], v[142:143]
	v_fma_f64 v[115:116], v[83:84], v[146:147], v[115:116]
	ds_read_b128 v[81:84], v1 offset:1024
	v_add_f64 v[93:94], v[93:94], v[126:127]
	v_add_f64 v[2:3], v[2:3], v[117:118]
	s_waitcnt vmcnt(37) lgkmcnt(1)
	v_mul_f64 v[126:127], v[79:80], v[150:151]
	s_waitcnt vmcnt(36)
	v_fma_f64 v[124:125], v[85:86], v[144:145], -v[124:125]
	v_mul_f64 v[117:118], v[77:78], v[150:151]
	v_fma_f64 v[107:108], v[87:88], v[144:145], v[107:108]
	ds_read_b128 v[85:88], v1 offset:1040
	v_add_f64 v[93:94], v[93:94], v[119:120]
	v_add_f64 v[2:3], v[2:3], v[115:116]
	s_waitcnt vmcnt(35) lgkmcnt(1)
	v_mul_f64 v[119:120], v[83:84], v[152:153]
	v_mul_f64 v[115:116], v[81:82], v[152:153]
	s_waitcnt vmcnt(33)
	v_fma_f64 v[126:127], v[77:78], v[91:92], -v[126:127]
	v_fma_f64 v[91:92], v[79:80], v[91:92], v[117:118]
	ds_read_b128 v[77:80], v1 offset:1056
	v_add_f64 v[93:94], v[93:94], v[124:125]
	v_add_f64 v[2:3], v[2:3], v[107:108]
	s_waitcnt vmcnt(29) lgkmcnt(1)
	v_mul_f64 v[107:108], v[85:86], v[95:96]
	v_mul_f64 v[95:96], v[87:88], v[95:96]
	s_waitcnt vmcnt(28)
	v_fma_f64 v[117:118], v[81:82], v[154:155], -v[119:120]
	;; [unrolled: 9-line block ×6, first 2 shown]
	v_fma_f64 v[87:88], v[87:88], v[163:164], v[89:90]
	v_add_f64 v[93:94], v[93:94], v[103:104]
	v_add_f64 v[89:90], v[2:3], v[101:102]
	ds_read_b128 v[1:4], v1 offset:1136
	s_waitcnt vmcnt(11) lgkmcnt(1)
	v_mul_f64 v[101:102], v[83:84], v[113:114]
	v_mul_f64 v[95:96], v[81:82], v[113:114]
	s_waitcnt vmcnt(9)
	v_fma_f64 v[77:78], v[77:78], v[99:100], -v[97:98]
	v_fma_f64 v[79:80], v[79:80], v[99:100], v[91:92]
	v_add_f64 v[85:86], v[93:94], v[85:86]
	v_add_f64 v[87:88], v[89:90], v[87:88]
	s_waitcnt vmcnt(7) lgkmcnt(0)
	v_mul_f64 v[91:92], v[3:4], v[105:106]
	s_waitcnt vmcnt(6)
	v_fma_f64 v[81:82], v[81:82], v[158:159], -v[101:102]
	v_mul_f64 v[89:90], v[1:2], v[105:106]
	v_fma_f64 v[83:84], v[83:84], v[158:159], v[95:96]
	v_add_f64 v[77:78], v[85:86], v[77:78]
	v_add_f64 v[79:80], v[87:88], v[79:80]
	s_waitcnt vmcnt(4)
	v_fma_f64 v[1:2], v[1:2], v[109:110], -v[91:92]
	v_fma_f64 v[3:4], v[3:4], v[109:110], v[89:90]
	v_add_f64 v[77:78], v[77:78], v[81:82]
	v_add_f64 v[79:80], v[79:80], v[83:84]
	v_add_f64 v[1:2], v[77:78], v[1:2]
	v_add_f64 v[3:4], v[79:80], v[3:4]
	s_waitcnt vmcnt(2)
	v_add_f64 v[1:2], v[111:112], -v[1:2]
	s_waitcnt vmcnt(0)
	v_add_f64 v[3:4], v[121:122], -v[3:4]
	buffer_store_dword v2, off, s[0:3], 0 offset:196
	buffer_store_dword v1, off, s[0:3], 0 offset:192
	;; [unrolled: 1-line block ×4, first 2 shown]
	v_cmpx_lt_u32_e32 10, v0
	s_cbranch_execz .LBB99_209
; %bb.208:
	v_mov_b32_e32 v4, s38
	v_mov_b32_e32 v77, 0
	s_clause 0x3
	buffer_load_dword v1, v4, s[0:3], 0 offen
	buffer_load_dword v2, v4, s[0:3], 0 offen offset:4
	buffer_load_dword v3, v4, s[0:3], 0 offen offset:8
	;; [unrolled: 1-line block ×3, first 2 shown]
	buffer_store_dword v77, off, s[0:3], 0 offset:176
	buffer_store_dword v77, off, s[0:3], 0 offset:180
	;; [unrolled: 1-line block ×4, first 2 shown]
	s_waitcnt vmcnt(0)
	ds_write_b128 v123, v[1:4]
.LBB99_209:
	s_or_b32 exec_lo, exec_lo, s4
	s_waitcnt lgkmcnt(0)
	s_waitcnt_vscnt null, 0x0
	s_barrier
	buffer_gl0_inv
	s_clause 0x37
	buffer_load_dword v2, off, s[0:3], 0 offset:200
	buffer_load_dword v3, off, s[0:3], 0 offset:204
	;; [unrolled: 1-line block ×56, first 2 shown]
	v_mov_b32_e32 v1, 0
	s_mov_b32 s4, exec_lo
	ds_read_b128 v[77:80], v1 offset:752
	s_clause 0x2
	buffer_load_dword v143, off, s[0:3], 0 offset:428
	buffer_load_dword v147, off, s[0:3], 0 offset:404
	;; [unrolled: 1-line block ×3, first 2 shown]
	ds_read_b128 v[81:84], v1 offset:768
	s_clause 0x4
	buffer_load_dword v151, off, s[0:3], 0 offset:444
	buffer_load_dword v152, off, s[0:3], 0 offset:456
	;; [unrolled: 1-line block ×5, first 2 shown]
	ds_read_b128 v[85:88], v1 offset:784
	s_waitcnt vmcnt(62) lgkmcnt(2)
	v_mul_f64 v[148:149], v[79:80], v[2:3]
	v_mul_f64 v[2:3], v[77:78], v[2:3]
	s_waitcnt vmcnt(60) lgkmcnt(1)
	v_mul_f64 v[155:156], v[83:84], v[89:90]
	v_mul_f64 v[89:90], v[81:82], v[89:90]
	;; [unrolled: 3-line block ×3, first 2 shown]
	v_fma_f64 v[148:149], v[77:78], v[91:92], -v[148:149]
	v_fma_f64 v[2:3], v[79:80], v[91:92], v[2:3]
	s_clause 0x2
	buffer_load_dword v153, off, s[0:3], 0 offset:460
	buffer_load_dword v92, off, s[0:3], 0 offset:436
	;; [unrolled: 1-line block ×3, first 2 shown]
	s_waitcnt vmcnt(57)
	v_fma_f64 v[159:160], v[81:82], v[95:96], -v[155:156]
	ds_read_b128 v[77:80], v1 offset:800
	v_fma_f64 v[89:90], v[83:84], v[95:96], v[89:90]
	s_clause 0x4
	buffer_load_dword v96, off, s[0:3], 0 offset:476
	buffer_load_dword v156, off, s[0:3], 0 offset:488
	;; [unrolled: 1-line block ×5, first 2 shown]
	s_waitcnt vmcnt(56)
	v_fma_f64 v[93:94], v[85:86], v[103:104], -v[93:94]
	ds_read_b128 v[81:84], v1 offset:816
	v_fma_f64 v[103:104], v[87:88], v[103:104], v[157:158]
	v_add_f64 v[148:149], v[148:149], 0
	v_add_f64 v[2:3], v[2:3], 0
	s_waitcnt lgkmcnt(1)
	v_mul_f64 v[162:163], v[77:78], v[97:98]
	v_mul_f64 v[97:98], v[79:80], v[97:98]
	v_add_f64 v[148:149], v[148:149], v[159:160]
	v_add_f64 v[2:3], v[2:3], v[89:90]
	s_clause 0x2
	buffer_load_dword v157, off, s[0:3], 0 offset:492
	buffer_load_dword v90, off, s[0:3], 0 offset:468
	;; [unrolled: 1-line block ×3, first 2 shown]
	s_waitcnt vmcnt(58) lgkmcnt(0)
	v_mul_f64 v[158:159], v[81:82], v[99:100]
	v_mul_f64 v[99:100], v[83:84], v[99:100]
	s_waitcnt vmcnt(56)
	v_fma_f64 v[97:98], v[77:78], v[105:106], -v[97:98]
	ds_read_b128 v[85:88], v1 offset:832
	v_fma_f64 v[105:106], v[79:80], v[105:106], v[162:163]
	v_add_f64 v[93:94], v[148:149], v[93:94]
	v_add_f64 v[2:3], v[2:3], v[103:104]
	s_clause 0x4
	buffer_load_dword v104, off, s[0:3], 0 offset:508
	buffer_load_dword v148, off, s[0:3], 0 offset:520
	;; [unrolled: 1-line block ×5, first 2 shown]
	ds_read_b128 v[77:80], v1 offset:848
	s_waitcnt vmcnt(57) lgkmcnt(1)
	v_mul_f64 v[164:165], v[85:86], v[107:108]
	v_mul_f64 v[107:108], v[87:88], v[107:108]
	s_waitcnt vmcnt(56)
	v_fma_f64 v[99:100], v[81:82], v[101:102], -v[99:100]
	v_add_f64 v[93:94], v[93:94], v[97:98]
	v_fma_f64 v[97:98], v[83:84], v[101:102], v[158:159]
	v_add_f64 v[2:3], v[2:3], v[105:106]
	s_clause 0x2
	buffer_load_dword v149, off, s[0:3], 0 offset:524
	buffer_load_dword v102, off, s[0:3], 0 offset:500
	;; [unrolled: 1-line block ×3, first 2 shown]
	s_waitcnt vmcnt(58) lgkmcnt(0)
	v_mul_f64 v[105:106], v[77:78], v[109:110]
	v_mul_f64 v[109:110], v[79:80], v[109:110]
	s_waitcnt vmcnt(56)
	v_fma_f64 v[107:108], v[85:86], v[113:114], -v[107:108]
	ds_read_b128 v[81:84], v1 offset:864
	v_add_f64 v[93:94], v[93:94], v[99:100]
	v_fma_f64 v[99:100], v[87:88], v[113:114], v[164:165]
	v_add_f64 v[2:3], v[2:3], v[97:98]
	s_clause 0x4
	buffer_load_dword v98, off, s[0:3], 0 offset:540
	buffer_load_dword v113, off, s[0:3], 0 offset:552
	;; [unrolled: 1-line block ×5, first 2 shown]
	ds_read_b128 v[85:88], v1 offset:880
	s_waitcnt vmcnt(57) lgkmcnt(1)
	v_mul_f64 v[159:160], v[81:82], v[115:116]
	v_mul_f64 v[115:116], v[83:84], v[115:116]
	s_waitcnt vmcnt(56)
	v_fma_f64 v[109:110], v[77:78], v[111:112], -v[109:110]
	v_fma_f64 v[105:106], v[79:80], v[111:112], v[105:106]
	v_add_f64 v[93:94], v[93:94], v[107:108]
	v_add_f64 v[2:3], v[2:3], v[99:100]
	s_clause 0x2
	buffer_load_dword v114, off, s[0:3], 0 offset:556
	buffer_load_dword v100, off, s[0:3], 0 offset:532
	;; [unrolled: 1-line block ×3, first 2 shown]
	s_waitcnt vmcnt(58) lgkmcnt(0)
	v_mul_f64 v[111:112], v[87:88], v[117:118]
	ds_read_b128 v[77:80], v1 offset:896
	s_waitcnt vmcnt(56)
	v_fma_f64 v[115:116], v[81:82], v[121:122], -v[115:116]
	v_mul_f64 v[107:108], v[85:86], v[117:118]
	v_add_f64 v[93:94], v[93:94], v[109:110]
	v_fma_f64 v[109:110], v[83:84], v[121:122], v[159:160]
	v_add_f64 v[2:3], v[2:3], v[105:106]
	s_clause 0x4
	buffer_load_dword v106, off, s[0:3], 0 offset:572
	buffer_load_dword v117, off, s[0:3], 0 offset:584
	buffer_load_dword v121, off, s[0:3], 0 offset:576
	buffer_load_dword v105, off, s[0:3], 0 offset:568
	buffer_load_dword v159, off, s[0:3], 0 offset:548
	s_waitcnt vmcnt(57) lgkmcnt(0)
	v_mul_f64 v[165:166], v[77:78], v[124:125]
	v_mul_f64 v[124:125], v[79:80], v[124:125]
	s_waitcnt vmcnt(56)
	v_fma_f64 v[111:112], v[85:86], v[119:120], -v[111:112]
	ds_read_b128 v[81:84], v1 offset:912
	v_fma_f64 v[107:108], v[87:88], v[119:120], v[107:108]
	v_add_f64 v[93:94], v[93:94], v[115:116]
	v_add_f64 v[2:3], v[2:3], v[109:110]
	s_clause 0x2
	buffer_load_dword v118, off, s[0:3], 0 offset:588
	buffer_load_dword v110, off, s[0:3], 0 offset:564
	;; [unrolled: 1-line block ×3, first 2 shown]
	ds_read_b128 v[85:88], v1 offset:928
	s_waitcnt vmcnt(58) lgkmcnt(1)
	v_mul_f64 v[119:120], v[83:84], v[126:127]
	s_waitcnt vmcnt(56)
	v_fma_f64 v[124:125], v[77:78], v[130:131], -v[124:125]
	v_mul_f64 v[115:116], v[81:82], v[126:127]
	buffer_load_dword v122, off, s[0:3], 0 offset:580
	v_add_f64 v[93:94], v[93:94], v[111:112]
	v_fma_f64 v[111:112], v[79:80], v[130:131], v[165:166]
	v_add_f64 v[2:3], v[2:3], v[107:108]
	ds_read_b128 v[77:80], v1 offset:944
	s_waitcnt vmcnt(53) lgkmcnt(1)
	v_mul_f64 v[126:127], v[87:88], v[132:133]
	s_waitcnt vmcnt(52)
	v_fma_f64 v[119:120], v[81:82], v[128:129], -v[119:120]
	v_mul_f64 v[107:108], v[85:86], v[132:133]
	v_fma_f64 v[115:116], v[83:84], v[128:129], v[115:116]
	ds_read_b128 v[81:84], v1 offset:960
	v_add_f64 v[93:94], v[93:94], v[124:125]
	s_waitcnt vmcnt(51) lgkmcnt(1)
	v_mul_f64 v[124:125], v[79:80], v[134:135]
	v_add_f64 v[2:3], v[2:3], v[111:112]
	v_mul_f64 v[111:112], v[77:78], v[134:135]
	s_waitcnt vmcnt(49)
	v_fma_f64 v[126:127], v[85:86], v[138:139], -v[126:127]
	v_fma_f64 v[107:108], v[87:88], v[138:139], v[107:108]
	s_waitcnt vmcnt(45) lgkmcnt(0)
	v_mul_f64 v[130:131], v[83:84], v[140:141]
	v_mul_f64 v[128:129], v[81:82], v[140:141]
	v_add_f64 v[93:94], v[93:94], v[119:120]
	s_waitcnt vmcnt(44)
	v_fma_f64 v[124:125], v[77:78], v[136:137], -v[124:125]
	v_add_f64 v[2:3], v[2:3], v[115:116]
	s_clause 0x3
	buffer_load_dword v115, off, s[0:3], 0 offset:176
	buffer_load_dword v116, off, s[0:3], 0 offset:180
	;; [unrolled: 1-line block ×4, first 2 shown]
	ds_read_b128 v[85:88], v1 offset:976
	v_fma_f64 v[111:112], v[79:80], v[136:137], v[111:112]
	ds_read_b128 v[77:80], v1 offset:992
	s_waitcnt vmcnt(45)
	v_fma_f64 v[130:131], v[81:82], v[146:147], -v[130:131]
	v_add_f64 v[93:94], v[93:94], v[126:127]
	v_add_f64 v[2:3], v[2:3], v[107:108]
	s_waitcnt lgkmcnt(1)
	v_mul_f64 v[126:127], v[87:88], v[142:143]
	v_mul_f64 v[107:108], v[85:86], v[142:143]
	v_add_f64 v[93:94], v[93:94], v[124:125]
	v_fma_f64 v[124:125], v[83:84], v[146:147], v[128:129]
	v_add_f64 v[2:3], v[2:3], v[111:112]
	s_waitcnt vmcnt(41) lgkmcnt(0)
	v_mul_f64 v[128:129], v[79:80], v[150:151]
	s_waitcnt vmcnt(40)
	v_fma_f64 v[126:127], v[85:86], v[144:145], -v[126:127]
	ds_read_b128 v[81:84], v1 offset:1008
	v_mul_f64 v[111:112], v[77:78], v[150:151]
	v_fma_f64 v[107:108], v[87:88], v[144:145], v[107:108]
	ds_read_b128 v[85:88], v1 offset:1024
	v_add_f64 v[93:94], v[93:94], v[130:131]
	v_add_f64 v[2:3], v[2:3], v[124:125]
	s_waitcnt vmcnt(39) lgkmcnt(1)
	v_mul_f64 v[130:131], v[83:84], v[152:153]
	v_mul_f64 v[124:125], v[81:82], v[152:153]
	s_waitcnt vmcnt(37)
	v_fma_f64 v[128:129], v[77:78], v[91:92], -v[128:129]
	v_fma_f64 v[91:92], v[79:80], v[91:92], v[111:112]
	ds_read_b128 v[77:80], v1 offset:1040
	v_add_f64 v[93:94], v[93:94], v[126:127]
	v_add_f64 v[2:3], v[2:3], v[107:108]
	s_waitcnt vmcnt(33) lgkmcnt(1)
	v_mul_f64 v[107:108], v[85:86], v[95:96]
	v_mul_f64 v[95:96], v[87:88], v[95:96]
	s_waitcnt vmcnt(32)
	v_fma_f64 v[111:112], v[81:82], v[154:155], -v[130:131]
	;; [unrolled: 9-line block ×7, first 2 shown]
	v_fma_f64 v[91:92], v[79:80], v[99:100], v[91:92]
	ds_read_b128 v[77:80], v1 offset:1136
	v_add_f64 v[93:94], v[93:94], v[95:96]
	v_add_f64 v[2:3], v[2:3], v[89:90]
	s_waitcnt vmcnt(9) lgkmcnt(1)
	v_mul_f64 v[95:96], v[87:88], v[105:106]
	s_waitcnt vmcnt(8)
	v_fma_f64 v[81:82], v[81:82], v[158:159], -v[103:104]
	v_mul_f64 v[89:90], v[85:86], v[105:106]
	v_fma_f64 v[83:84], v[83:84], v[158:159], v[101:102]
	v_add_f64 v[93:94], v[93:94], v[97:98]
	v_add_f64 v[2:3], v[2:3], v[91:92]
	s_waitcnt vmcnt(7) lgkmcnt(0)
	v_mul_f64 v[97:98], v[79:80], v[117:118]
	v_mul_f64 v[91:92], v[77:78], v[117:118]
	s_waitcnt vmcnt(5)
	v_fma_f64 v[85:86], v[85:86], v[109:110], -v[95:96]
	v_fma_f64 v[87:88], v[87:88], v[109:110], v[89:90]
	v_add_f64 v[81:82], v[93:94], v[81:82]
	v_add_f64 v[2:3], v[2:3], v[83:84]
	s_waitcnt vmcnt(4)
	v_fma_f64 v[77:78], v[77:78], v[121:122], -v[97:98]
	v_fma_f64 v[79:80], v[79:80], v[121:122], v[91:92]
	v_add_f64 v[81:82], v[81:82], v[85:86]
	v_add_f64 v[2:3], v[2:3], v[87:88]
	v_add_f64 v[77:78], v[81:82], v[77:78]
	v_add_f64 v[2:3], v[2:3], v[79:80]
	s_waitcnt vmcnt(2)
	v_add_f64 v[77:78], v[115:116], -v[77:78]
	s_waitcnt vmcnt(0)
	v_add_f64 v[2:3], v[119:120], -v[2:3]
	buffer_store_dword v78, off, s[0:3], 0 offset:180
	buffer_store_dword v77, off, s[0:3], 0 offset:176
	buffer_store_dword v3, off, s[0:3], 0 offset:188
	buffer_store_dword v2, off, s[0:3], 0 offset:184
	v_cmpx_lt_u32_e32 9, v0
	s_cbranch_execz .LBB99_211
; %bb.210:
	v_mov_b32_e32 v2, s39
	s_clause 0x3
	buffer_load_dword v77, v2, s[0:3], 0 offen
	buffer_load_dword v78, v2, s[0:3], 0 offen offset:4
	buffer_load_dword v79, v2, s[0:3], 0 offen offset:8
	;; [unrolled: 1-line block ×3, first 2 shown]
	buffer_store_dword v1, off, s[0:3], 0 offset:160
	buffer_store_dword v1, off, s[0:3], 0 offset:164
	;; [unrolled: 1-line block ×4, first 2 shown]
	s_waitcnt vmcnt(0)
	ds_write_b128 v123, v[77:80]
.LBB99_211:
	s_or_b32 exec_lo, exec_lo, s4
	s_waitcnt lgkmcnt(0)
	s_waitcnt_vscnt null, 0x0
	s_barrier
	buffer_gl0_inv
	s_clause 0x37
	buffer_load_dword v2, off, s[0:3], 0 offset:184
	buffer_load_dword v3, off, s[0:3], 0 offset:188
	;; [unrolled: 1-line block ×56, first 2 shown]
	ds_read_b128 v[77:80], v1 offset:736
	s_clause 0x2
	buffer_load_dword v143, off, s[0:3], 0 offset:412
	buffer_load_dword v147, off, s[0:3], 0 offset:388
	;; [unrolled: 1-line block ×3, first 2 shown]
	ds_read_b128 v[81:84], v1 offset:752
	s_clause 0x4
	buffer_load_dword v151, off, s[0:3], 0 offset:428
	buffer_load_dword v152, off, s[0:3], 0 offset:440
	buffer_load_dword v154, off, s[0:3], 0 offset:432
	buffer_load_dword v150, off, s[0:3], 0 offset:424
	buffer_load_dword v145, off, s[0:3], 0 offset:404
	ds_read_b128 v[85:88], v1 offset:768
	s_mov_b32 s4, exec_lo
	s_waitcnt vmcnt(62) lgkmcnt(2)
	v_mul_f64 v[148:149], v[79:80], v[2:3]
	v_mul_f64 v[2:3], v[77:78], v[2:3]
	s_waitcnt vmcnt(60) lgkmcnt(1)
	v_mul_f64 v[155:156], v[83:84], v[89:90]
	v_mul_f64 v[89:90], v[81:82], v[89:90]
	;; [unrolled: 3-line block ×3, first 2 shown]
	v_fma_f64 v[148:149], v[77:78], v[91:92], -v[148:149]
	v_fma_f64 v[2:3], v[79:80], v[91:92], v[2:3]
	s_clause 0x2
	buffer_load_dword v153, off, s[0:3], 0 offset:444
	buffer_load_dword v92, off, s[0:3], 0 offset:420
	;; [unrolled: 1-line block ×3, first 2 shown]
	s_waitcnt vmcnt(57)
	v_fma_f64 v[159:160], v[81:82], v[95:96], -v[155:156]
	ds_read_b128 v[77:80], v1 offset:784
	v_fma_f64 v[89:90], v[83:84], v[95:96], v[89:90]
	s_clause 0x4
	buffer_load_dword v96, off, s[0:3], 0 offset:460
	buffer_load_dword v156, off, s[0:3], 0 offset:472
	;; [unrolled: 1-line block ×5, first 2 shown]
	s_waitcnt vmcnt(56)
	v_fma_f64 v[93:94], v[85:86], v[103:104], -v[93:94]
	ds_read_b128 v[81:84], v1 offset:800
	v_fma_f64 v[103:104], v[87:88], v[103:104], v[157:158]
	v_add_f64 v[148:149], v[148:149], 0
	v_add_f64 v[2:3], v[2:3], 0
	s_waitcnt lgkmcnt(1)
	v_mul_f64 v[162:163], v[77:78], v[97:98]
	v_mul_f64 v[97:98], v[79:80], v[97:98]
	v_add_f64 v[148:149], v[148:149], v[159:160]
	v_add_f64 v[2:3], v[2:3], v[89:90]
	s_clause 0x2
	buffer_load_dword v157, off, s[0:3], 0 offset:476
	buffer_load_dword v90, off, s[0:3], 0 offset:452
	;; [unrolled: 1-line block ×3, first 2 shown]
	s_waitcnt vmcnt(58) lgkmcnt(0)
	v_mul_f64 v[158:159], v[81:82], v[99:100]
	v_mul_f64 v[99:100], v[83:84], v[99:100]
	s_waitcnt vmcnt(56)
	v_fma_f64 v[97:98], v[77:78], v[105:106], -v[97:98]
	ds_read_b128 v[85:88], v1 offset:816
	v_fma_f64 v[105:106], v[79:80], v[105:106], v[162:163]
	v_add_f64 v[93:94], v[148:149], v[93:94]
	v_add_f64 v[2:3], v[2:3], v[103:104]
	s_clause 0x4
	buffer_load_dword v104, off, s[0:3], 0 offset:492
	buffer_load_dword v148, off, s[0:3], 0 offset:504
	;; [unrolled: 1-line block ×5, first 2 shown]
	ds_read_b128 v[77:80], v1 offset:832
	s_waitcnt vmcnt(57) lgkmcnt(1)
	v_mul_f64 v[164:165], v[85:86], v[107:108]
	v_mul_f64 v[107:108], v[87:88], v[107:108]
	s_waitcnt vmcnt(56)
	v_fma_f64 v[99:100], v[81:82], v[101:102], -v[99:100]
	v_add_f64 v[93:94], v[93:94], v[97:98]
	v_fma_f64 v[97:98], v[83:84], v[101:102], v[158:159]
	v_add_f64 v[2:3], v[2:3], v[105:106]
	s_clause 0x2
	buffer_load_dword v149, off, s[0:3], 0 offset:508
	buffer_load_dword v102, off, s[0:3], 0 offset:484
	;; [unrolled: 1-line block ×3, first 2 shown]
	s_waitcnt vmcnt(58) lgkmcnt(0)
	v_mul_f64 v[105:106], v[77:78], v[109:110]
	v_mul_f64 v[109:110], v[79:80], v[109:110]
	s_waitcnt vmcnt(56)
	v_fma_f64 v[107:108], v[85:86], v[113:114], -v[107:108]
	ds_read_b128 v[81:84], v1 offset:848
	v_add_f64 v[93:94], v[93:94], v[99:100]
	v_fma_f64 v[99:100], v[87:88], v[113:114], v[164:165]
	v_add_f64 v[2:3], v[2:3], v[97:98]
	s_clause 0x4
	buffer_load_dword v98, off, s[0:3], 0 offset:524
	buffer_load_dword v113, off, s[0:3], 0 offset:536
	;; [unrolled: 1-line block ×5, first 2 shown]
	ds_read_b128 v[85:88], v1 offset:864
	s_waitcnt vmcnt(57) lgkmcnt(1)
	v_mul_f64 v[159:160], v[81:82], v[115:116]
	v_mul_f64 v[115:116], v[83:84], v[115:116]
	s_waitcnt vmcnt(56)
	v_fma_f64 v[109:110], v[77:78], v[111:112], -v[109:110]
	v_fma_f64 v[105:106], v[79:80], v[111:112], v[105:106]
	v_add_f64 v[93:94], v[93:94], v[107:108]
	v_add_f64 v[2:3], v[2:3], v[99:100]
	s_clause 0x2
	buffer_load_dword v114, off, s[0:3], 0 offset:540
	buffer_load_dword v100, off, s[0:3], 0 offset:516
	;; [unrolled: 1-line block ×3, first 2 shown]
	s_waitcnt vmcnt(58) lgkmcnt(0)
	v_mul_f64 v[111:112], v[87:88], v[117:118]
	ds_read_b128 v[77:80], v1 offset:880
	s_waitcnt vmcnt(56)
	v_fma_f64 v[115:116], v[81:82], v[121:122], -v[115:116]
	v_mul_f64 v[107:108], v[85:86], v[117:118]
	v_add_f64 v[93:94], v[93:94], v[109:110]
	v_fma_f64 v[109:110], v[83:84], v[121:122], v[159:160]
	v_add_f64 v[2:3], v[2:3], v[105:106]
	s_clause 0x4
	buffer_load_dword v106, off, s[0:3], 0 offset:556
	buffer_load_dword v117, off, s[0:3], 0 offset:568
	;; [unrolled: 1-line block ×5, first 2 shown]
	s_waitcnt vmcnt(57) lgkmcnt(0)
	v_mul_f64 v[165:166], v[77:78], v[124:125]
	v_mul_f64 v[124:125], v[79:80], v[124:125]
	s_waitcnt vmcnt(56)
	v_fma_f64 v[111:112], v[85:86], v[119:120], -v[111:112]
	ds_read_b128 v[81:84], v1 offset:896
	v_fma_f64 v[107:108], v[87:88], v[119:120], v[107:108]
	v_add_f64 v[93:94], v[93:94], v[115:116]
	v_add_f64 v[2:3], v[2:3], v[109:110]
	s_clause 0x2
	buffer_load_dword v118, off, s[0:3], 0 offset:572
	buffer_load_dword v110, off, s[0:3], 0 offset:548
	;; [unrolled: 1-line block ×3, first 2 shown]
	ds_read_b128 v[85:88], v1 offset:912
	s_waitcnt vmcnt(58) lgkmcnt(1)
	v_mul_f64 v[119:120], v[83:84], v[126:127]
	s_waitcnt vmcnt(56)
	v_fma_f64 v[124:125], v[77:78], v[130:131], -v[124:125]
	v_mul_f64 v[115:116], v[81:82], v[126:127]
	v_add_f64 v[93:94], v[93:94], v[111:112]
	v_fma_f64 v[111:112], v[79:80], v[130:131], v[165:166]
	v_add_f64 v[2:3], v[2:3], v[107:108]
	s_clause 0x2
	buffer_load_dword v108, off, s[0:3], 0 offset:588
	buffer_load_dword v107, off, s[0:3], 0 offset:584
	;; [unrolled: 1-line block ×3, first 2 shown]
	s_waitcnt vmcnt(55) lgkmcnt(0)
	v_mul_f64 v[130:131], v[87:88], v[132:133]
	s_waitcnt vmcnt(54)
	v_fma_f64 v[119:120], v[81:82], v[128:129], -v[119:120]
	ds_read_b128 v[77:80], v1 offset:928
	v_mul_f64 v[126:127], v[85:86], v[132:133]
	v_fma_f64 v[115:116], v[83:84], v[128:129], v[115:116]
	v_add_f64 v[93:94], v[93:94], v[124:125]
	v_add_f64 v[2:3], v[2:3], v[111:112]
	s_clause 0x1
	buffer_load_dword v112, off, s[0:3], 0 offset:580
	buffer_load_dword v111, off, s[0:3], 0 offset:576
	s_waitcnt vmcnt(55) lgkmcnt(0)
	v_mul_f64 v[128:129], v[79:80], v[134:135]
	s_waitcnt vmcnt(53)
	v_fma_f64 v[130:131], v[85:86], v[138:139], -v[130:131]
	ds_read_b128 v[81:84], v1 offset:944
	v_mul_f64 v[124:125], v[77:78], v[134:135]
	v_add_f64 v[93:94], v[93:94], v[119:120]
	v_fma_f64 v[119:120], v[87:88], v[138:139], v[126:127]
	v_add_f64 v[2:3], v[2:3], v[115:116]
	ds_read_b128 v[85:88], v1 offset:960
	s_waitcnt vmcnt(49) lgkmcnt(1)
	v_mul_f64 v[126:127], v[83:84], v[140:141]
	s_waitcnt vmcnt(48)
	v_fma_f64 v[128:129], v[77:78], v[136:137], -v[128:129]
	v_mul_f64 v[115:116], v[81:82], v[140:141]
	v_fma_f64 v[124:125], v[79:80], v[136:137], v[124:125]
	v_add_f64 v[93:94], v[93:94], v[130:131]
	s_waitcnt vmcnt(47) lgkmcnt(0)
	v_mul_f64 v[134:135], v[87:88], v[142:143]
	v_add_f64 v[2:3], v[2:3], v[119:120]
	s_clause 0x3
	buffer_load_dword v119, off, s[0:3], 0 offset:160
	buffer_load_dword v120, off, s[0:3], 0 offset:164
	buffer_load_dword v130, off, s[0:3], 0 offset:168
	buffer_load_dword v131, off, s[0:3], 0 offset:172
	s_waitcnt vmcnt(49)
	v_fma_f64 v[126:127], v[81:82], v[146:147], -v[126:127]
	ds_read_b128 v[77:80], v1 offset:976
	v_mul_f64 v[132:133], v[85:86], v[142:143]
	v_fma_f64 v[115:116], v[83:84], v[146:147], v[115:116]
	ds_read_b128 v[81:84], v1 offset:992
	v_add_f64 v[93:94], v[93:94], v[128:129]
	s_waitcnt vmcnt(44)
	v_fma_f64 v[134:135], v[85:86], v[144:145], -v[134:135]
	v_add_f64 v[2:3], v[2:3], v[124:125]
	s_waitcnt lgkmcnt(1)
	v_mul_f64 v[128:129], v[79:80], v[150:151]
	v_mul_f64 v[124:125], v[77:78], v[150:151]
	v_add_f64 v[93:94], v[93:94], v[126:127]
	v_fma_f64 v[126:127], v[87:88], v[144:145], v[132:133]
	v_add_f64 v[2:3], v[2:3], v[115:116]
	ds_read_b128 v[85:88], v1 offset:1008
	s_waitcnt vmcnt(43) lgkmcnt(1)
	v_mul_f64 v[132:133], v[83:84], v[152:153]
	v_mul_f64 v[115:116], v[81:82], v[152:153]
	s_waitcnt vmcnt(41)
	v_fma_f64 v[128:129], v[77:78], v[91:92], -v[128:129]
	v_fma_f64 v[91:92], v[79:80], v[91:92], v[124:125]
	ds_read_b128 v[77:80], v1 offset:1024
	v_add_f64 v[93:94], v[93:94], v[134:135]
	s_waitcnt vmcnt(37) lgkmcnt(1)
	v_mul_f64 v[124:125], v[85:86], v[95:96]
	v_add_f64 v[2:3], v[2:3], v[126:127]
	v_mul_f64 v[95:96], v[87:88], v[95:96]
	s_waitcnt vmcnt(36)
	v_fma_f64 v[126:127], v[81:82], v[154:155], -v[132:133]
	v_fma_f64 v[115:116], v[83:84], v[154:155], v[115:116]
	ds_read_b128 v[81:84], v1 offset:1040
	v_add_f64 v[93:94], v[93:94], v[128:129]
	v_add_f64 v[2:3], v[2:3], v[91:92]
	s_waitcnt vmcnt(35) lgkmcnt(1)
	v_mul_f64 v[128:129], v[79:80], v[156:157]
	v_mul_f64 v[91:92], v[77:78], v[156:157]
	s_waitcnt vmcnt(33)
	v_fma_f64 v[95:96], v[85:86], v[89:90], -v[95:96]
	v_fma_f64 v[89:90], v[87:88], v[89:90], v[124:125]
	ds_read_b128 v[85:88], v1 offset:1056
	v_add_f64 v[93:94], v[93:94], v[126:127]
	v_add_f64 v[2:3], v[2:3], v[115:116]
	s_waitcnt vmcnt(29) lgkmcnt(1)
	v_mul_f64 v[115:116], v[81:82], v[103:104]
	;; [unrolled: 9-line block ×6, first 2 shown]
	s_waitcnt vmcnt(12)
	v_fma_f64 v[81:82], v[81:82], v[158:159], -v[103:104]
	v_mul_f64 v[89:90], v[85:86], v[105:106]
	v_fma_f64 v[83:84], v[83:84], v[158:159], v[101:102]
	v_add_f64 v[93:94], v[93:94], v[97:98]
	v_add_f64 v[91:92], v[2:3], v[91:92]
	ds_read_b128 v[1:4], v1 offset:1136
	s_waitcnt vmcnt(11) lgkmcnt(1)
	v_mul_f64 v[99:100], v[79:80], v[117:118]
	v_mul_f64 v[97:98], v[77:78], v[117:118]
	s_waitcnt vmcnt(9)
	v_fma_f64 v[85:86], v[85:86], v[109:110], -v[95:96]
	v_fma_f64 v[87:88], v[87:88], v[109:110], v[89:90]
	v_add_f64 v[81:82], v[93:94], v[81:82]
	v_add_f64 v[83:84], v[91:92], v[83:84]
	s_waitcnt vmcnt(7) lgkmcnt(0)
	v_mul_f64 v[91:92], v[3:4], v[107:108]
	s_waitcnt vmcnt(6)
	v_fma_f64 v[77:78], v[77:78], v[121:122], -v[99:100]
	v_mul_f64 v[89:90], v[1:2], v[107:108]
	v_fma_f64 v[79:80], v[79:80], v[121:122], v[97:98]
	v_add_f64 v[81:82], v[81:82], v[85:86]
	v_add_f64 v[83:84], v[83:84], v[87:88]
	s_waitcnt vmcnt(4)
	v_fma_f64 v[1:2], v[1:2], v[111:112], -v[91:92]
	v_fma_f64 v[3:4], v[3:4], v[111:112], v[89:90]
	v_add_f64 v[77:78], v[81:82], v[77:78]
	v_add_f64 v[79:80], v[83:84], v[79:80]
	;; [unrolled: 1-line block ×4, first 2 shown]
	s_waitcnt vmcnt(2)
	v_add_f64 v[1:2], v[119:120], -v[1:2]
	s_waitcnt vmcnt(0)
	v_add_f64 v[3:4], v[130:131], -v[3:4]
	buffer_store_dword v2, off, s[0:3], 0 offset:164
	buffer_store_dword v1, off, s[0:3], 0 offset:160
	;; [unrolled: 1-line block ×4, first 2 shown]
	v_cmpx_lt_u32_e32 8, v0
	s_cbranch_execz .LBB99_213
; %bb.212:
	v_mov_b32_e32 v4, s40
	v_mov_b32_e32 v77, 0
	s_clause 0x3
	buffer_load_dword v1, v4, s[0:3], 0 offen
	buffer_load_dword v2, v4, s[0:3], 0 offen offset:4
	buffer_load_dword v3, v4, s[0:3], 0 offen offset:8
	;; [unrolled: 1-line block ×3, first 2 shown]
	buffer_store_dword v77, off, s[0:3], 0 offset:144
	buffer_store_dword v77, off, s[0:3], 0 offset:148
	;; [unrolled: 1-line block ×4, first 2 shown]
	s_waitcnt vmcnt(0)
	ds_write_b128 v123, v[1:4]
.LBB99_213:
	s_or_b32 exec_lo, exec_lo, s4
	s_waitcnt lgkmcnt(0)
	s_waitcnt_vscnt null, 0x0
	s_barrier
	buffer_gl0_inv
	s_clause 0x37
	buffer_load_dword v2, off, s[0:3], 0 offset:168
	buffer_load_dword v3, off, s[0:3], 0 offset:172
	;; [unrolled: 1-line block ×56, first 2 shown]
	v_mov_b32_e32 v1, 0
	s_mov_b32 s4, exec_lo
	ds_read_b128 v[77:80], v1 offset:720
	s_clause 0x2
	buffer_load_dword v143, off, s[0:3], 0 offset:396
	buffer_load_dword v147, off, s[0:3], 0 offset:372
	buffer_load_dword v146, off, s[0:3], 0 offset:368
	ds_read_b128 v[81:84], v1 offset:736
	s_clause 0x4
	buffer_load_dword v151, off, s[0:3], 0 offset:412
	buffer_load_dword v152, off, s[0:3], 0 offset:424
	;; [unrolled: 1-line block ×5, first 2 shown]
	ds_read_b128 v[85:88], v1 offset:752
	s_waitcnt vmcnt(62) lgkmcnt(2)
	v_mul_f64 v[148:149], v[79:80], v[2:3]
	v_mul_f64 v[2:3], v[77:78], v[2:3]
	s_waitcnt vmcnt(60) lgkmcnt(1)
	v_mul_f64 v[155:156], v[83:84], v[89:90]
	v_mul_f64 v[89:90], v[81:82], v[89:90]
	;; [unrolled: 3-line block ×3, first 2 shown]
	v_fma_f64 v[148:149], v[77:78], v[91:92], -v[148:149]
	v_fma_f64 v[2:3], v[79:80], v[91:92], v[2:3]
	s_clause 0x2
	buffer_load_dword v153, off, s[0:3], 0 offset:428
	buffer_load_dword v92, off, s[0:3], 0 offset:404
	;; [unrolled: 1-line block ×3, first 2 shown]
	s_waitcnt vmcnt(57)
	v_fma_f64 v[159:160], v[81:82], v[95:96], -v[155:156]
	ds_read_b128 v[77:80], v1 offset:768
	v_fma_f64 v[89:90], v[83:84], v[95:96], v[89:90]
	s_clause 0x4
	buffer_load_dword v96, off, s[0:3], 0 offset:444
	buffer_load_dword v156, off, s[0:3], 0 offset:456
	;; [unrolled: 1-line block ×5, first 2 shown]
	s_waitcnt vmcnt(56)
	v_fma_f64 v[93:94], v[85:86], v[103:104], -v[93:94]
	ds_read_b128 v[81:84], v1 offset:784
	v_fma_f64 v[103:104], v[87:88], v[103:104], v[157:158]
	v_add_f64 v[148:149], v[148:149], 0
	v_add_f64 v[2:3], v[2:3], 0
	s_waitcnt lgkmcnt(1)
	v_mul_f64 v[162:163], v[77:78], v[97:98]
	v_mul_f64 v[97:98], v[79:80], v[97:98]
	v_add_f64 v[148:149], v[148:149], v[159:160]
	v_add_f64 v[2:3], v[2:3], v[89:90]
	s_clause 0x2
	buffer_load_dword v157, off, s[0:3], 0 offset:460
	buffer_load_dword v90, off, s[0:3], 0 offset:436
	;; [unrolled: 1-line block ×3, first 2 shown]
	s_waitcnt vmcnt(58) lgkmcnt(0)
	v_mul_f64 v[158:159], v[81:82], v[99:100]
	v_mul_f64 v[99:100], v[83:84], v[99:100]
	s_waitcnt vmcnt(56)
	v_fma_f64 v[97:98], v[77:78], v[105:106], -v[97:98]
	ds_read_b128 v[85:88], v1 offset:800
	v_fma_f64 v[105:106], v[79:80], v[105:106], v[162:163]
	v_add_f64 v[93:94], v[148:149], v[93:94]
	v_add_f64 v[2:3], v[2:3], v[103:104]
	s_clause 0x4
	buffer_load_dword v104, off, s[0:3], 0 offset:476
	buffer_load_dword v148, off, s[0:3], 0 offset:488
	;; [unrolled: 1-line block ×5, first 2 shown]
	ds_read_b128 v[77:80], v1 offset:816
	s_waitcnt vmcnt(57) lgkmcnt(1)
	v_mul_f64 v[164:165], v[85:86], v[107:108]
	v_mul_f64 v[107:108], v[87:88], v[107:108]
	s_waitcnt vmcnt(56)
	v_fma_f64 v[99:100], v[81:82], v[101:102], -v[99:100]
	v_add_f64 v[93:94], v[93:94], v[97:98]
	v_fma_f64 v[97:98], v[83:84], v[101:102], v[158:159]
	v_add_f64 v[2:3], v[2:3], v[105:106]
	s_clause 0x2
	buffer_load_dword v149, off, s[0:3], 0 offset:492
	buffer_load_dword v102, off, s[0:3], 0 offset:468
	;; [unrolled: 1-line block ×3, first 2 shown]
	s_waitcnt vmcnt(58) lgkmcnt(0)
	v_mul_f64 v[105:106], v[77:78], v[109:110]
	v_mul_f64 v[109:110], v[79:80], v[109:110]
	s_waitcnt vmcnt(56)
	v_fma_f64 v[107:108], v[85:86], v[113:114], -v[107:108]
	ds_read_b128 v[81:84], v1 offset:832
	v_add_f64 v[93:94], v[93:94], v[99:100]
	v_fma_f64 v[99:100], v[87:88], v[113:114], v[164:165]
	v_add_f64 v[2:3], v[2:3], v[97:98]
	s_clause 0x4
	buffer_load_dword v98, off, s[0:3], 0 offset:508
	buffer_load_dword v113, off, s[0:3], 0 offset:520
	;; [unrolled: 1-line block ×5, first 2 shown]
	ds_read_b128 v[85:88], v1 offset:848
	s_waitcnt vmcnt(57) lgkmcnt(1)
	v_mul_f64 v[159:160], v[81:82], v[115:116]
	v_mul_f64 v[115:116], v[83:84], v[115:116]
	s_waitcnt vmcnt(56)
	v_fma_f64 v[109:110], v[77:78], v[111:112], -v[109:110]
	v_fma_f64 v[105:106], v[79:80], v[111:112], v[105:106]
	v_add_f64 v[93:94], v[93:94], v[107:108]
	v_add_f64 v[2:3], v[2:3], v[99:100]
	s_clause 0x2
	buffer_load_dword v114, off, s[0:3], 0 offset:524
	buffer_load_dword v100, off, s[0:3], 0 offset:500
	;; [unrolled: 1-line block ×3, first 2 shown]
	s_waitcnt vmcnt(58) lgkmcnt(0)
	v_mul_f64 v[111:112], v[87:88], v[117:118]
	ds_read_b128 v[77:80], v1 offset:864
	s_waitcnt vmcnt(56)
	v_fma_f64 v[115:116], v[81:82], v[121:122], -v[115:116]
	v_mul_f64 v[107:108], v[85:86], v[117:118]
	v_add_f64 v[93:94], v[93:94], v[109:110]
	v_fma_f64 v[109:110], v[83:84], v[121:122], v[159:160]
	v_add_f64 v[2:3], v[2:3], v[105:106]
	s_clause 0x4
	buffer_load_dword v106, off, s[0:3], 0 offset:540
	buffer_load_dword v117, off, s[0:3], 0 offset:552
	;; [unrolled: 1-line block ×5, first 2 shown]
	s_waitcnt vmcnt(57) lgkmcnt(0)
	v_mul_f64 v[165:166], v[77:78], v[124:125]
	v_mul_f64 v[124:125], v[79:80], v[124:125]
	s_waitcnt vmcnt(56)
	v_fma_f64 v[111:112], v[85:86], v[119:120], -v[111:112]
	ds_read_b128 v[81:84], v1 offset:880
	v_fma_f64 v[107:108], v[87:88], v[119:120], v[107:108]
	v_add_f64 v[93:94], v[93:94], v[115:116]
	v_add_f64 v[2:3], v[2:3], v[109:110]
	s_clause 0x2
	buffer_load_dword v118, off, s[0:3], 0 offset:556
	buffer_load_dword v110, off, s[0:3], 0 offset:532
	;; [unrolled: 1-line block ×3, first 2 shown]
	ds_read_b128 v[85:88], v1 offset:896
	s_waitcnt vmcnt(58) lgkmcnt(1)
	v_mul_f64 v[119:120], v[83:84], v[126:127]
	s_waitcnt vmcnt(56)
	v_fma_f64 v[124:125], v[77:78], v[130:131], -v[124:125]
	v_mul_f64 v[115:116], v[81:82], v[126:127]
	v_add_f64 v[93:94], v[93:94], v[111:112]
	v_fma_f64 v[111:112], v[79:80], v[130:131], v[165:166]
	v_add_f64 v[2:3], v[2:3], v[107:108]
	s_clause 0x4
	buffer_load_dword v108, off, s[0:3], 0 offset:572
	buffer_load_dword v126, off, s[0:3], 0 offset:584
	;; [unrolled: 1-line block ×5, first 2 shown]
	s_waitcnt vmcnt(57) lgkmcnt(0)
	v_mul_f64 v[165:166], v[85:86], v[132:133]
	v_mul_f64 v[131:132], v[87:88], v[132:133]
	s_waitcnt vmcnt(56)
	v_fma_f64 v[119:120], v[81:82], v[128:129], -v[119:120]
	ds_read_b128 v[77:80], v1 offset:912
	v_fma_f64 v[115:116], v[83:84], v[128:129], v[115:116]
	v_add_f64 v[93:94], v[93:94], v[124:125]
	v_add_f64 v[2:3], v[2:3], v[111:112]
	s_clause 0x2
	buffer_load_dword v127, off, s[0:3], 0 offset:588
	buffer_load_dword v112, off, s[0:3], 0 offset:564
	;; [unrolled: 1-line block ×3, first 2 shown]
	ds_read_b128 v[81:84], v1 offset:928
	s_waitcnt vmcnt(58) lgkmcnt(1)
	v_mul_f64 v[128:129], v[79:80], v[134:135]
	s_waitcnt vmcnt(56)
	v_fma_f64 v[132:133], v[85:86], v[138:139], -v[131:132]
	v_mul_f64 v[124:125], v[77:78], v[134:135]
	buffer_load_dword v131, off, s[0:3], 0 offset:580
	v_add_f64 v[93:94], v[93:94], v[119:120]
	v_fma_f64 v[119:120], v[87:88], v[138:139], v[165:166]
	v_add_f64 v[2:3], v[2:3], v[115:116]
	ds_read_b128 v[85:88], v1 offset:944
	s_waitcnt vmcnt(53) lgkmcnt(1)
	v_mul_f64 v[134:135], v[83:84], v[140:141]
	s_waitcnt vmcnt(52)
	v_fma_f64 v[128:129], v[77:78], v[136:137], -v[128:129]
	v_mul_f64 v[115:116], v[81:82], v[140:141]
	v_fma_f64 v[124:125], v[79:80], v[136:137], v[124:125]
	ds_read_b128 v[77:80], v1 offset:960
	v_add_f64 v[93:94], v[93:94], v[132:133]
	s_waitcnt vmcnt(51) lgkmcnt(1)
	v_mul_f64 v[132:133], v[87:88], v[142:143]
	v_add_f64 v[2:3], v[2:3], v[119:120]
	v_mul_f64 v[119:120], v[85:86], v[142:143]
	s_waitcnt vmcnt(49)
	v_fma_f64 v[134:135], v[81:82], v[146:147], -v[134:135]
	v_fma_f64 v[115:116], v[83:84], v[146:147], v[115:116]
	s_waitcnt vmcnt(45) lgkmcnt(0)
	v_mul_f64 v[138:139], v[79:80], v[150:151]
	v_mul_f64 v[136:137], v[77:78], v[150:151]
	v_add_f64 v[93:94], v[93:94], v[128:129]
	s_waitcnt vmcnt(44)
	v_fma_f64 v[132:133], v[85:86], v[144:145], -v[132:133]
	v_add_f64 v[2:3], v[2:3], v[124:125]
	s_clause 0x3
	buffer_load_dword v124, off, s[0:3], 0 offset:144
	buffer_load_dword v125, off, s[0:3], 0 offset:148
	;; [unrolled: 1-line block ×4, first 2 shown]
	ds_read_b128 v[81:84], v1 offset:976
	v_fma_f64 v[119:120], v[87:88], v[144:145], v[119:120]
	ds_read_b128 v[85:88], v1 offset:992
	v_add_f64 v[93:94], v[93:94], v[134:135]
	v_add_f64 v[2:3], v[2:3], v[115:116]
	s_waitcnt vmcnt(47) lgkmcnt(1)
	v_mul_f64 v[134:135], v[83:84], v[152:153]
	v_mul_f64 v[115:116], v[81:82], v[152:153]
	s_waitcnt vmcnt(45)
	v_fma_f64 v[138:139], v[77:78], v[91:92], -v[138:139]
	v_fma_f64 v[91:92], v[79:80], v[91:92], v[136:137]
	ds_read_b128 v[77:80], v1 offset:1008
	v_add_f64 v[93:94], v[93:94], v[132:133]
	v_add_f64 v[2:3], v[2:3], v[119:120]
	s_waitcnt vmcnt(41) lgkmcnt(1)
	v_mul_f64 v[119:120], v[85:86], v[95:96]
	v_mul_f64 v[95:96], v[87:88], v[95:96]
	s_waitcnt vmcnt(40)
	v_fma_f64 v[132:133], v[81:82], v[154:155], -v[134:135]
	;; [unrolled: 9-line block ×7, first 2 shown]
	v_fma_f64 v[91:92], v[79:80], v[99:100], v[91:92]
	ds_read_b128 v[77:80], v1 offset:1104
	v_add_f64 v[93:94], v[93:94], v[95:96]
	v_add_f64 v[2:3], v[2:3], v[89:90]
	s_waitcnt vmcnt(17) lgkmcnt(1)
	v_mul_f64 v[95:96], v[87:88], v[105:106]
	s_waitcnt vmcnt(16)
	v_fma_f64 v[99:100], v[81:82], v[158:159], -v[103:104]
	v_mul_f64 v[89:90], v[85:86], v[105:106]
	v_add_f64 v[93:94], v[93:94], v[97:98]
	v_fma_f64 v[97:98], v[83:84], v[158:159], v[101:102]
	v_add_f64 v[2:3], v[2:3], v[91:92]
	ds_read_b128 v[81:84], v1 offset:1120
	s_waitcnt vmcnt(15) lgkmcnt(1)
	v_mul_f64 v[101:102], v[79:80], v[117:118]
	v_mul_f64 v[91:92], v[77:78], v[117:118]
	s_waitcnt vmcnt(13)
	v_fma_f64 v[95:96], v[85:86], v[109:110], -v[95:96]
	v_fma_f64 v[89:90], v[87:88], v[109:110], v[89:90]
	ds_read_b128 v[85:88], v1 offset:1136
	v_add_f64 v[93:94], v[93:94], v[99:100]
	v_add_f64 v[2:3], v[2:3], v[97:98]
	s_waitcnt vmcnt(9) lgkmcnt(1)
	v_mul_f64 v[99:100], v[83:84], v[107:108]
	s_waitcnt vmcnt(8)
	v_fma_f64 v[77:78], v[77:78], v[121:122], -v[101:102]
	v_mul_f64 v[97:98], v[81:82], v[107:108]
	v_fma_f64 v[79:80], v[79:80], v[121:122], v[91:92]
	v_add_f64 v[93:94], v[93:94], v[95:96]
	v_add_f64 v[2:3], v[2:3], v[89:90]
	s_waitcnt vmcnt(7) lgkmcnt(0)
	v_mul_f64 v[91:92], v[87:88], v[126:127]
	v_mul_f64 v[89:90], v[85:86], v[126:127]
	s_waitcnt vmcnt(5)
	v_fma_f64 v[81:82], v[81:82], v[111:112], -v[99:100]
	v_fma_f64 v[83:84], v[83:84], v[111:112], v[97:98]
	v_add_f64 v[77:78], v[93:94], v[77:78]
	v_add_f64 v[2:3], v[2:3], v[79:80]
	s_waitcnt vmcnt(4)
	v_fma_f64 v[79:80], v[85:86], v[130:131], -v[91:92]
	v_add_f64 v[77:78], v[77:78], v[81:82]
	v_fma_f64 v[81:82], v[87:88], v[130:131], v[89:90]
	v_add_f64 v[2:3], v[2:3], v[83:84]
	v_add_f64 v[77:78], v[77:78], v[79:80]
	;; [unrolled: 1-line block ×3, first 2 shown]
	s_waitcnt vmcnt(2)
	v_add_f64 v[77:78], v[124:125], -v[77:78]
	s_waitcnt vmcnt(0)
	v_add_f64 v[2:3], v[128:129], -v[2:3]
	buffer_store_dword v78, off, s[0:3], 0 offset:148
	buffer_store_dword v77, off, s[0:3], 0 offset:144
	;; [unrolled: 1-line block ×4, first 2 shown]
	v_cmpx_lt_u32_e32 7, v0
	s_cbranch_execz .LBB99_215
; %bb.214:
	v_mov_b32_e32 v2, s41
	s_clause 0x3
	buffer_load_dword v77, v2, s[0:3], 0 offen
	buffer_load_dword v78, v2, s[0:3], 0 offen offset:4
	buffer_load_dword v79, v2, s[0:3], 0 offen offset:8
	;; [unrolled: 1-line block ×3, first 2 shown]
	buffer_store_dword v1, off, s[0:3], 0 offset:128
	buffer_store_dword v1, off, s[0:3], 0 offset:132
	;; [unrolled: 1-line block ×4, first 2 shown]
	s_waitcnt vmcnt(0)
	ds_write_b128 v123, v[77:80]
.LBB99_215:
	s_or_b32 exec_lo, exec_lo, s4
	s_waitcnt lgkmcnt(0)
	s_waitcnt_vscnt null, 0x0
	s_barrier
	buffer_gl0_inv
	s_clause 0x37
	buffer_load_dword v2, off, s[0:3], 0 offset:152
	buffer_load_dword v3, off, s[0:3], 0 offset:156
	;; [unrolled: 1-line block ×56, first 2 shown]
	ds_read_b128 v[77:80], v1 offset:704
	s_clause 0x2
	buffer_load_dword v143, off, s[0:3], 0 offset:380
	buffer_load_dword v147, off, s[0:3], 0 offset:356
	;; [unrolled: 1-line block ×3, first 2 shown]
	ds_read_b128 v[81:84], v1 offset:720
	s_clause 0x4
	buffer_load_dword v151, off, s[0:3], 0 offset:396
	buffer_load_dword v152, off, s[0:3], 0 offset:408
	;; [unrolled: 1-line block ×5, first 2 shown]
	ds_read_b128 v[85:88], v1 offset:736
	s_mov_b32 s4, exec_lo
	s_waitcnt vmcnt(62) lgkmcnt(2)
	v_mul_f64 v[148:149], v[79:80], v[2:3]
	v_mul_f64 v[2:3], v[77:78], v[2:3]
	s_waitcnt vmcnt(60) lgkmcnt(1)
	v_mul_f64 v[155:156], v[83:84], v[89:90]
	v_mul_f64 v[89:90], v[81:82], v[89:90]
	;; [unrolled: 3-line block ×3, first 2 shown]
	v_fma_f64 v[148:149], v[77:78], v[91:92], -v[148:149]
	v_fma_f64 v[2:3], v[79:80], v[91:92], v[2:3]
	s_clause 0x2
	buffer_load_dword v153, off, s[0:3], 0 offset:412
	buffer_load_dword v92, off, s[0:3], 0 offset:388
	;; [unrolled: 1-line block ×3, first 2 shown]
	s_waitcnt vmcnt(57)
	v_fma_f64 v[159:160], v[81:82], v[95:96], -v[155:156]
	ds_read_b128 v[77:80], v1 offset:752
	v_fma_f64 v[89:90], v[83:84], v[95:96], v[89:90]
	s_clause 0x4
	buffer_load_dword v96, off, s[0:3], 0 offset:428
	buffer_load_dword v156, off, s[0:3], 0 offset:440
	;; [unrolled: 1-line block ×5, first 2 shown]
	s_waitcnt vmcnt(56)
	v_fma_f64 v[93:94], v[85:86], v[103:104], -v[93:94]
	ds_read_b128 v[81:84], v1 offset:768
	v_fma_f64 v[103:104], v[87:88], v[103:104], v[157:158]
	v_add_f64 v[148:149], v[148:149], 0
	v_add_f64 v[2:3], v[2:3], 0
	s_waitcnt lgkmcnt(1)
	v_mul_f64 v[162:163], v[77:78], v[97:98]
	v_mul_f64 v[97:98], v[79:80], v[97:98]
	v_add_f64 v[148:149], v[148:149], v[159:160]
	v_add_f64 v[2:3], v[2:3], v[89:90]
	s_clause 0x2
	buffer_load_dword v157, off, s[0:3], 0 offset:444
	buffer_load_dword v90, off, s[0:3], 0 offset:420
	;; [unrolled: 1-line block ×3, first 2 shown]
	s_waitcnt vmcnt(58) lgkmcnt(0)
	v_mul_f64 v[158:159], v[81:82], v[99:100]
	v_mul_f64 v[99:100], v[83:84], v[99:100]
	s_waitcnt vmcnt(56)
	v_fma_f64 v[97:98], v[77:78], v[105:106], -v[97:98]
	ds_read_b128 v[85:88], v1 offset:784
	v_fma_f64 v[105:106], v[79:80], v[105:106], v[162:163]
	v_add_f64 v[93:94], v[148:149], v[93:94]
	v_add_f64 v[2:3], v[2:3], v[103:104]
	s_clause 0x4
	buffer_load_dword v104, off, s[0:3], 0 offset:460
	buffer_load_dword v148, off, s[0:3], 0 offset:472
	;; [unrolled: 1-line block ×5, first 2 shown]
	ds_read_b128 v[77:80], v1 offset:800
	s_waitcnt vmcnt(57) lgkmcnt(1)
	v_mul_f64 v[164:165], v[85:86], v[107:108]
	v_mul_f64 v[107:108], v[87:88], v[107:108]
	s_waitcnt vmcnt(56)
	v_fma_f64 v[99:100], v[81:82], v[101:102], -v[99:100]
	v_add_f64 v[93:94], v[93:94], v[97:98]
	v_fma_f64 v[97:98], v[83:84], v[101:102], v[158:159]
	v_add_f64 v[2:3], v[2:3], v[105:106]
	s_clause 0x2
	buffer_load_dword v149, off, s[0:3], 0 offset:476
	buffer_load_dword v102, off, s[0:3], 0 offset:452
	;; [unrolled: 1-line block ×3, first 2 shown]
	s_waitcnt vmcnt(58) lgkmcnt(0)
	v_mul_f64 v[105:106], v[77:78], v[109:110]
	v_mul_f64 v[109:110], v[79:80], v[109:110]
	s_waitcnt vmcnt(56)
	v_fma_f64 v[107:108], v[85:86], v[113:114], -v[107:108]
	ds_read_b128 v[81:84], v1 offset:816
	v_add_f64 v[93:94], v[93:94], v[99:100]
	v_fma_f64 v[99:100], v[87:88], v[113:114], v[164:165]
	v_add_f64 v[2:3], v[2:3], v[97:98]
	s_clause 0x4
	buffer_load_dword v98, off, s[0:3], 0 offset:492
	buffer_load_dword v113, off, s[0:3], 0 offset:504
	;; [unrolled: 1-line block ×5, first 2 shown]
	ds_read_b128 v[85:88], v1 offset:832
	s_waitcnt vmcnt(57) lgkmcnt(1)
	v_mul_f64 v[159:160], v[81:82], v[115:116]
	v_mul_f64 v[115:116], v[83:84], v[115:116]
	s_waitcnt vmcnt(56)
	v_fma_f64 v[109:110], v[77:78], v[111:112], -v[109:110]
	v_fma_f64 v[105:106], v[79:80], v[111:112], v[105:106]
	v_add_f64 v[93:94], v[93:94], v[107:108]
	v_add_f64 v[2:3], v[2:3], v[99:100]
	s_clause 0x2
	buffer_load_dword v114, off, s[0:3], 0 offset:508
	buffer_load_dword v100, off, s[0:3], 0 offset:484
	;; [unrolled: 1-line block ×3, first 2 shown]
	s_waitcnt vmcnt(58) lgkmcnt(0)
	v_mul_f64 v[111:112], v[87:88], v[117:118]
	ds_read_b128 v[77:80], v1 offset:848
	s_waitcnt vmcnt(56)
	v_fma_f64 v[115:116], v[81:82], v[121:122], -v[115:116]
	v_mul_f64 v[107:108], v[85:86], v[117:118]
	v_add_f64 v[93:94], v[93:94], v[109:110]
	v_fma_f64 v[109:110], v[83:84], v[121:122], v[159:160]
	v_add_f64 v[2:3], v[2:3], v[105:106]
	s_clause 0x4
	buffer_load_dword v106, off, s[0:3], 0 offset:524
	buffer_load_dword v117, off, s[0:3], 0 offset:536
	;; [unrolled: 1-line block ×5, first 2 shown]
	s_waitcnt vmcnt(57) lgkmcnt(0)
	v_mul_f64 v[165:166], v[77:78], v[124:125]
	v_mul_f64 v[124:125], v[79:80], v[124:125]
	s_waitcnt vmcnt(56)
	v_fma_f64 v[111:112], v[85:86], v[119:120], -v[111:112]
	ds_read_b128 v[81:84], v1 offset:864
	v_fma_f64 v[107:108], v[87:88], v[119:120], v[107:108]
	v_add_f64 v[93:94], v[93:94], v[115:116]
	v_add_f64 v[2:3], v[2:3], v[109:110]
	s_clause 0x2
	buffer_load_dword v118, off, s[0:3], 0 offset:540
	buffer_load_dword v110, off, s[0:3], 0 offset:516
	buffer_load_dword v109, off, s[0:3], 0 offset:512
	ds_read_b128 v[85:88], v1 offset:880
	s_waitcnt vmcnt(58) lgkmcnt(1)
	v_mul_f64 v[119:120], v[83:84], v[126:127]
	s_waitcnt vmcnt(56)
	v_fma_f64 v[124:125], v[77:78], v[130:131], -v[124:125]
	v_mul_f64 v[115:116], v[81:82], v[126:127]
	v_add_f64 v[93:94], v[93:94], v[111:112]
	v_fma_f64 v[111:112], v[79:80], v[130:131], v[165:166]
	v_add_f64 v[2:3], v[2:3], v[107:108]
	s_clause 0x4
	buffer_load_dword v108, off, s[0:3], 0 offset:556
	buffer_load_dword v126, off, s[0:3], 0 offset:568
	;; [unrolled: 1-line block ×5, first 2 shown]
	s_waitcnt vmcnt(57) lgkmcnt(0)
	v_mul_f64 v[165:166], v[85:86], v[132:133]
	v_mul_f64 v[131:132], v[87:88], v[132:133]
	s_waitcnt vmcnt(56)
	v_fma_f64 v[119:120], v[81:82], v[128:129], -v[119:120]
	ds_read_b128 v[77:80], v1 offset:896
	v_fma_f64 v[115:116], v[83:84], v[128:129], v[115:116]
	v_add_f64 v[93:94], v[93:94], v[124:125]
	v_add_f64 v[2:3], v[2:3], v[111:112]
	s_clause 0x2
	buffer_load_dword v127, off, s[0:3], 0 offset:572
	buffer_load_dword v112, off, s[0:3], 0 offset:548
	;; [unrolled: 1-line block ×3, first 2 shown]
	ds_read_b128 v[81:84], v1 offset:912
	s_waitcnt vmcnt(58) lgkmcnt(1)
	v_mul_f64 v[128:129], v[79:80], v[134:135]
	s_waitcnt vmcnt(56)
	v_fma_f64 v[132:133], v[85:86], v[138:139], -v[131:132]
	v_mul_f64 v[124:125], v[77:78], v[134:135]
	v_add_f64 v[93:94], v[93:94], v[119:120]
	v_fma_f64 v[119:120], v[87:88], v[138:139], v[165:166]
	v_add_f64 v[2:3], v[2:3], v[115:116]
	s_clause 0x2
	buffer_load_dword v116, off, s[0:3], 0 offset:588
	buffer_load_dword v115, off, s[0:3], 0 offset:584
	buffer_load_dword v131, off, s[0:3], 0 offset:564
	s_waitcnt vmcnt(55) lgkmcnt(0)
	v_mul_f64 v[138:139], v[83:84], v[140:141]
	s_waitcnt vmcnt(54)
	v_fma_f64 v[128:129], v[77:78], v[136:137], -v[128:129]
	ds_read_b128 v[85:88], v1 offset:928
	v_mul_f64 v[134:135], v[81:82], v[140:141]
	v_fma_f64 v[124:125], v[79:80], v[136:137], v[124:125]
	v_add_f64 v[93:94], v[93:94], v[132:133]
	v_add_f64 v[2:3], v[2:3], v[119:120]
	s_clause 0x1
	buffer_load_dword v120, off, s[0:3], 0 offset:580
	buffer_load_dword v119, off, s[0:3], 0 offset:576
	s_waitcnt vmcnt(55) lgkmcnt(0)
	v_mul_f64 v[136:137], v[87:88], v[142:143]
	s_waitcnt vmcnt(53)
	v_fma_f64 v[138:139], v[81:82], v[146:147], -v[138:139]
	ds_read_b128 v[77:80], v1 offset:944
	v_mul_f64 v[132:133], v[85:86], v[142:143]
	v_add_f64 v[93:94], v[93:94], v[128:129]
	v_fma_f64 v[128:129], v[83:84], v[146:147], v[134:135]
	v_add_f64 v[2:3], v[2:3], v[124:125]
	ds_read_b128 v[81:84], v1 offset:960
	s_waitcnt vmcnt(49) lgkmcnt(1)
	v_mul_f64 v[134:135], v[79:80], v[150:151]
	s_waitcnt vmcnt(48)
	v_fma_f64 v[136:137], v[85:86], v[144:145], -v[136:137]
	v_mul_f64 v[124:125], v[77:78], v[150:151]
	v_fma_f64 v[132:133], v[87:88], v[144:145], v[132:133]
	v_add_f64 v[93:94], v[93:94], v[138:139]
	v_add_f64 v[2:3], v[2:3], v[128:129]
	s_clause 0x3
	buffer_load_dword v128, off, s[0:3], 0 offset:128
	buffer_load_dword v129, off, s[0:3], 0 offset:132
	;; [unrolled: 1-line block ×4, first 2 shown]
	ds_read_b128 v[85:88], v1 offset:976
	s_waitcnt vmcnt(51) lgkmcnt(1)
	v_mul_f64 v[142:143], v[83:84], v[152:153]
	v_mul_f64 v[140:141], v[81:82], v[152:153]
	s_waitcnt vmcnt(49)
	v_fma_f64 v[134:135], v[77:78], v[91:92], -v[134:135]
	v_fma_f64 v[91:92], v[79:80], v[91:92], v[124:125]
	ds_read_b128 v[77:80], v1 offset:992
	v_add_f64 v[93:94], v[93:94], v[136:137]
	v_add_f64 v[2:3], v[2:3], v[132:133]
	s_waitcnt vmcnt(45) lgkmcnt(1)
	v_mul_f64 v[124:125], v[85:86], v[95:96]
	v_mul_f64 v[95:96], v[87:88], v[95:96]
	s_waitcnt vmcnt(44)
	v_fma_f64 v[132:133], v[81:82], v[154:155], -v[142:143]
	v_add_f64 v[93:94], v[93:94], v[134:135]
	v_fma_f64 v[134:135], v[83:84], v[154:155], v[140:141]
	v_add_f64 v[2:3], v[2:3], v[91:92]
	ds_read_b128 v[81:84], v1 offset:1008
	s_waitcnt vmcnt(43) lgkmcnt(1)
	v_mul_f64 v[136:137], v[79:80], v[156:157]
	v_mul_f64 v[91:92], v[77:78], v[156:157]
	s_waitcnt vmcnt(41)
	v_fma_f64 v[95:96], v[85:86], v[89:90], -v[95:96]
	v_fma_f64 v[89:90], v[87:88], v[89:90], v[124:125]
	ds_read_b128 v[85:88], v1 offset:1024
	v_add_f64 v[93:94], v[93:94], v[132:133]
	v_add_f64 v[2:3], v[2:3], v[134:135]
	s_waitcnt vmcnt(37) lgkmcnt(1)
	v_mul_f64 v[124:125], v[81:82], v[103:104]
	v_mul_f64 v[103:104], v[83:84], v[103:104]
	s_waitcnt vmcnt(36)
	v_fma_f64 v[132:133], v[77:78], v[161:162], -v[136:137]
	v_fma_f64 v[91:92], v[79:80], v[161:162], v[91:92]
	ds_read_b128 v[77:80], v1 offset:1040
	v_add_f64 v[93:94], v[93:94], v[95:96]
	v_add_f64 v[2:3], v[2:3], v[89:90]
	;; [unrolled: 9-line block ×5, first 2 shown]
	s_waitcnt vmcnt(21) lgkmcnt(1)
	v_mul_f64 v[95:96], v[87:88], v[105:106]
	s_waitcnt vmcnt(20)
	v_fma_f64 v[99:100], v[81:82], v[158:159], -v[103:104]
	v_mul_f64 v[89:90], v[85:86], v[105:106]
	v_add_f64 v[93:94], v[93:94], v[97:98]
	v_fma_f64 v[97:98], v[83:84], v[158:159], v[101:102]
	v_add_f64 v[2:3], v[2:3], v[91:92]
	ds_read_b128 v[81:84], v1 offset:1104
	s_waitcnt vmcnt(19) lgkmcnt(1)
	v_mul_f64 v[101:102], v[79:80], v[117:118]
	v_mul_f64 v[91:92], v[77:78], v[117:118]
	s_waitcnt vmcnt(17)
	v_fma_f64 v[95:96], v[85:86], v[109:110], -v[95:96]
	v_fma_f64 v[89:90], v[87:88], v[109:110], v[89:90]
	ds_read_b128 v[85:88], v1 offset:1120
	v_add_f64 v[93:94], v[93:94], v[99:100]
	v_add_f64 v[2:3], v[2:3], v[97:98]
	s_waitcnt vmcnt(13) lgkmcnt(1)
	v_mul_f64 v[99:100], v[83:84], v[107:108]
	s_waitcnt vmcnt(12)
	v_fma_f64 v[77:78], v[77:78], v[121:122], -v[101:102]
	v_mul_f64 v[97:98], v[81:82], v[107:108]
	v_fma_f64 v[79:80], v[79:80], v[121:122], v[91:92]
	v_add_f64 v[93:94], v[93:94], v[95:96]
	v_add_f64 v[89:90], v[2:3], v[89:90]
	ds_read_b128 v[1:4], v1 offset:1136
	s_waitcnt vmcnt(11) lgkmcnt(1)
	v_mul_f64 v[95:96], v[87:88], v[126:127]
	v_mul_f64 v[91:92], v[85:86], v[126:127]
	s_waitcnt vmcnt(9)
	v_fma_f64 v[81:82], v[81:82], v[111:112], -v[99:100]
	v_fma_f64 v[83:84], v[83:84], v[111:112], v[97:98]
	v_add_f64 v[77:78], v[93:94], v[77:78]
	v_add_f64 v[79:80], v[89:90], v[79:80]
	s_waitcnt vmcnt(7) lgkmcnt(0)
	v_mul_f64 v[93:94], v[3:4], v[115:116]
	s_waitcnt vmcnt(6)
	v_fma_f64 v[85:86], v[85:86], v[130:131], -v[95:96]
	v_mul_f64 v[89:90], v[1:2], v[115:116]
	v_add_f64 v[77:78], v[77:78], v[81:82]
	v_fma_f64 v[81:82], v[87:88], v[130:131], v[91:92]
	v_add_f64 v[79:80], v[79:80], v[83:84]
	s_waitcnt vmcnt(4)
	v_fma_f64 v[1:2], v[1:2], v[119:120], -v[93:94]
	v_fma_f64 v[3:4], v[3:4], v[119:120], v[89:90]
	v_add_f64 v[77:78], v[77:78], v[85:86]
	v_add_f64 v[79:80], v[79:80], v[81:82]
	;; [unrolled: 1-line block ×4, first 2 shown]
	s_waitcnt vmcnt(2)
	v_add_f64 v[1:2], v[128:129], -v[1:2]
	s_waitcnt vmcnt(0)
	v_add_f64 v[3:4], v[138:139], -v[3:4]
	buffer_store_dword v2, off, s[0:3], 0 offset:132
	buffer_store_dword v1, off, s[0:3], 0 offset:128
	;; [unrolled: 1-line block ×4, first 2 shown]
	v_cmpx_lt_u32_e32 6, v0
	s_cbranch_execz .LBB99_217
; %bb.216:
	v_mov_b32_e32 v4, s42
	v_mov_b32_e32 v77, 0
	s_clause 0x3
	buffer_load_dword v1, v4, s[0:3], 0 offen
	buffer_load_dword v2, v4, s[0:3], 0 offen offset:4
	buffer_load_dword v3, v4, s[0:3], 0 offen offset:8
	;; [unrolled: 1-line block ×3, first 2 shown]
	buffer_store_dword v77, off, s[0:3], 0 offset:112
	buffer_store_dword v77, off, s[0:3], 0 offset:116
	buffer_store_dword v77, off, s[0:3], 0 offset:120
	buffer_store_dword v77, off, s[0:3], 0 offset:124
	s_waitcnt vmcnt(0)
	ds_write_b128 v123, v[1:4]
.LBB99_217:
	s_or_b32 exec_lo, exec_lo, s4
	s_waitcnt lgkmcnt(0)
	s_waitcnt_vscnt null, 0x0
	s_barrier
	buffer_gl0_inv
	s_clause 0x37
	buffer_load_dword v81, off, s[0:3], 0 offset:136
	buffer_load_dword v82, off, s[0:3], 0 offset:140
	;; [unrolled: 1-line block ×56, first 2 shown]
	v_mov_b32_e32 v83, 0
	s_mov_b32 s4, exec_lo
	ds_read_b128 v[77:80], v83 offset:688
	s_clause 0x2
	buffer_load_dword v143, off, s[0:3], 0 offset:364
	buffer_load_dword v147, off, s[0:3], 0 offset:340
	;; [unrolled: 1-line block ×3, first 2 shown]
	ds_read_b128 v[84:87], v83 offset:704
	s_clause 0x4
	buffer_load_dword v151, off, s[0:3], 0 offset:380
	buffer_load_dword v152, off, s[0:3], 0 offset:392
	;; [unrolled: 1-line block ×5, first 2 shown]
	ds_read_b128 v[88:91], v83 offset:720
	s_waitcnt vmcnt(62) lgkmcnt(2)
	v_mul_f64 v[148:149], v[79:80], v[81:82]
	v_mul_f64 v[81:82], v[77:78], v[81:82]
	s_waitcnt vmcnt(60) lgkmcnt(1)
	v_mul_f64 v[155:156], v[86:87], v[92:93]
	v_mul_f64 v[92:93], v[84:85], v[92:93]
	s_waitcnt vmcnt(56) lgkmcnt(0)
	v_mul_f64 v[159:160], v[90:91], v[3:4]
	v_mul_f64 v[157:158], v[88:89], v[3:4]
	v_fma_f64 v[148:149], v[77:78], v[94:95], -v[148:149]
	v_fma_f64 v[81:82], v[79:80], v[94:95], v[81:82]
	s_clause 0x2
	buffer_load_dword v153, off, s[0:3], 0 offset:396
	buffer_load_dword v95, off, s[0:3], 0 offset:372
	;; [unrolled: 1-line block ×3, first 2 shown]
	s_waitcnt vmcnt(57)
	v_fma_f64 v[84:85], v[84:85], v[1:2], -v[155:156]
	ds_read_b128 v[77:80], v83 offset:736
	v_fma_f64 v[86:87], v[86:87], v[1:2], v[92:93]
	s_clause 0x4
	buffer_load_dword v93, off, s[0:3], 0 offset:412
	buffer_load_dword v156, off, s[0:3], 0 offset:424
	;; [unrolled: 1-line block ×5, first 2 shown]
	s_waitcnt vmcnt(56)
	v_fma_f64 v[88:89], v[88:89], v[102:103], -v[159:160]
	ds_read_b128 v[1:4], v83 offset:752
	v_fma_f64 v[90:91], v[90:91], v[102:103], v[157:158]
	s_clause 0x2
	buffer_load_dword v157, off, s[0:3], 0 offset:428
	buffer_load_dword v103, off, s[0:3], 0 offset:404
	;; [unrolled: 1-line block ×3, first 2 shown]
	v_add_f64 v[148:149], v[148:149], 0
	v_add_f64 v[81:82], v[81:82], 0
	s_waitcnt lgkmcnt(1)
	v_mul_f64 v[162:163], v[77:78], v[96:97]
	v_mul_f64 v[96:97], v[79:80], v[96:97]
	s_waitcnt vmcnt(58) lgkmcnt(0)
	v_mul_f64 v[158:159], v[1:2], v[98:99]
	v_mul_f64 v[98:99], v[3:4], v[98:99]
	v_add_f64 v[148:149], v[148:149], v[84:85]
	v_add_f64 v[81:82], v[81:82], v[86:87]
	ds_read_b128 v[84:87], v83 offset:768
	s_waitcnt vmcnt(56)
	v_fma_f64 v[96:97], v[77:78], v[104:105], -v[96:97]
	v_fma_f64 v[104:105], v[79:80], v[104:105], v[162:163]
	s_waitcnt vmcnt(51)
	v_fma_f64 v[98:99], v[1:2], v[100:101], -v[98:99]
	s_waitcnt lgkmcnt(0)
	v_mul_f64 v[164:165], v[84:85], v[106:107]
	v_add_f64 v[88:89], v[148:149], v[88:89]
	v_add_f64 v[81:82], v[81:82], v[90:91]
	s_clause 0x4
	buffer_load_dword v91, off, s[0:3], 0 offset:444
	buffer_load_dword v148, off, s[0:3], 0 offset:456
	;; [unrolled: 1-line block ×5, first 2 shown]
	v_mul_f64 v[106:107], v[86:87], v[106:107]
	ds_read_b128 v[77:80], v83 offset:784
	v_add_f64 v[88:89], v[88:89], v[96:97]
	v_fma_f64 v[96:97], v[3:4], v[100:101], v[158:159]
	v_add_f64 v[81:82], v[81:82], v[104:105]
	s_clause 0x2
	buffer_load_dword v149, off, s[0:3], 0 offset:460
	buffer_load_dword v101, off, s[0:3], 0 offset:436
	buffer_load_dword v100, off, s[0:3], 0 offset:432
	s_waitcnt vmcnt(58) lgkmcnt(0)
	v_mul_f64 v[104:105], v[77:78], v[108:109]
	v_mul_f64 v[108:109], v[79:80], v[108:109]
	s_waitcnt vmcnt(56)
	v_fma_f64 v[106:107], v[84:85], v[112:113], -v[106:107]
	ds_read_b128 v[1:4], v83 offset:800
	v_add_f64 v[88:89], v[88:89], v[98:99]
	v_fma_f64 v[98:99], v[86:87], v[112:113], v[164:165]
	v_add_f64 v[81:82], v[81:82], v[96:97]
	s_clause 0x4
	buffer_load_dword v97, off, s[0:3], 0 offset:476
	buffer_load_dword v112, off, s[0:3], 0 offset:488
	;; [unrolled: 1-line block ×5, first 2 shown]
	ds_read_b128 v[84:87], v83 offset:816
	s_waitcnt vmcnt(57) lgkmcnt(1)
	v_mul_f64 v[159:160], v[1:2], v[114:115]
	v_mul_f64 v[114:115], v[3:4], v[114:115]
	s_waitcnt vmcnt(56)
	v_fma_f64 v[108:109], v[77:78], v[110:111], -v[108:109]
	v_fma_f64 v[104:105], v[79:80], v[110:111], v[104:105]
	v_add_f64 v[88:89], v[88:89], v[106:107]
	v_add_f64 v[81:82], v[81:82], v[98:99]
	s_clause 0x2
	buffer_load_dword v113, off, s[0:3], 0 offset:492
	buffer_load_dword v99, off, s[0:3], 0 offset:468
	;; [unrolled: 1-line block ×3, first 2 shown]
	s_waitcnt vmcnt(58) lgkmcnt(0)
	v_mul_f64 v[110:111], v[86:87], v[116:117]
	ds_read_b128 v[77:80], v83 offset:832
	s_waitcnt vmcnt(56)
	v_fma_f64 v[114:115], v[1:2], v[120:121], -v[114:115]
	v_mul_f64 v[106:107], v[84:85], v[116:117]
	v_add_f64 v[88:89], v[88:89], v[108:109]
	v_fma_f64 v[108:109], v[3:4], v[120:121], v[159:160]
	v_add_f64 v[81:82], v[81:82], v[104:105]
	s_clause 0x4
	buffer_load_dword v105, off, s[0:3], 0 offset:508
	buffer_load_dword v116, off, s[0:3], 0 offset:520
	buffer_load_dword v120, off, s[0:3], 0 offset:512
	buffer_load_dword v104, off, s[0:3], 0 offset:504
	buffer_load_dword v159, off, s[0:3], 0 offset:484
	s_waitcnt vmcnt(57) lgkmcnt(0)
	v_mul_f64 v[121:122], v[77:78], v[124:125]
	v_mul_f64 v[124:125], v[79:80], v[124:125]
	s_waitcnt vmcnt(56)
	v_fma_f64 v[110:111], v[84:85], v[118:119], -v[110:111]
	ds_read_b128 v[1:4], v83 offset:848
	v_fma_f64 v[106:107], v[86:87], v[118:119], v[106:107]
	v_add_f64 v[88:89], v[88:89], v[114:115]
	v_add_f64 v[81:82], v[81:82], v[108:109]
	s_clause 0x2
	buffer_load_dword v117, off, s[0:3], 0 offset:524
	buffer_load_dword v109, off, s[0:3], 0 offset:500
	buffer_load_dword v108, off, s[0:3], 0 offset:496
	ds_read_b128 v[84:87], v83 offset:864
	s_waitcnt vmcnt(58) lgkmcnt(1)
	v_mul_f64 v[118:119], v[3:4], v[126:127]
	s_waitcnt vmcnt(56)
	v_fma_f64 v[124:125], v[77:78], v[130:131], -v[124:125]
	v_mul_f64 v[114:115], v[1:2], v[126:127]
	v_add_f64 v[88:89], v[88:89], v[110:111]
	v_fma_f64 v[110:111], v[79:80], v[130:131], v[121:122]
	v_add_f64 v[81:82], v[81:82], v[106:107]
	s_clause 0x4
	buffer_load_dword v107, off, s[0:3], 0 offset:540
	buffer_load_dword v126, off, s[0:3], 0 offset:552
	buffer_load_dword v130, off, s[0:3], 0 offset:544
	buffer_load_dword v106, off, s[0:3], 0 offset:536
	buffer_load_dword v121, off, s[0:3], 0 offset:516
	s_waitcnt vmcnt(57) lgkmcnt(0)
	v_mul_f64 v[165:166], v[84:85], v[132:133]
	v_mul_f64 v[131:132], v[86:87], v[132:133]
	s_waitcnt vmcnt(56)
	v_fma_f64 v[118:119], v[1:2], v[128:129], -v[118:119]
	ds_read_b128 v[77:80], v83 offset:880
	v_fma_f64 v[114:115], v[3:4], v[128:129], v[114:115]
	v_add_f64 v[88:89], v[88:89], v[124:125]
	v_add_f64 v[81:82], v[81:82], v[110:111]
	s_clause 0x2
	buffer_load_dword v127, off, s[0:3], 0 offset:556
	buffer_load_dword v111, off, s[0:3], 0 offset:532
	buffer_load_dword v110, off, s[0:3], 0 offset:528
	ds_read_b128 v[1:4], v83 offset:896
	s_waitcnt vmcnt(58) lgkmcnt(1)
	v_mul_f64 v[128:129], v[79:80], v[134:135]
	;; [unrolled: 28-line block ×3, first 2 shown]
	s_waitcnt vmcnt(56)
	v_fma_f64 v[140:141], v[1:2], v[146:147], -v[139:140]
	v_mul_f64 v[132:133], v[84:85], v[142:143]
	buffer_load_dword v139, off, s[0:3], 0 offset:580
	v_add_f64 v[88:89], v[88:89], v[128:129]
	v_fma_f64 v[128:129], v[3:4], v[146:147], v[165:166]
	v_add_f64 v[81:82], v[81:82], v[124:125]
	ds_read_b128 v[1:4], v83 offset:944
	s_waitcnt vmcnt(53) lgkmcnt(1)
	v_mul_f64 v[142:143], v[79:80], v[150:151]
	s_waitcnt vmcnt(52)
	v_fma_f64 v[136:137], v[84:85], v[144:145], -v[136:137]
	v_mul_f64 v[124:125], v[77:78], v[150:151]
	v_fma_f64 v[132:133], v[86:87], v[144:145], v[132:133]
	ds_read_b128 v[84:87], v83 offset:960
	v_add_f64 v[88:89], v[88:89], v[140:141]
	v_add_f64 v[81:82], v[81:82], v[128:129]
	s_waitcnt vmcnt(51) lgkmcnt(1)
	v_mul_f64 v[140:141], v[3:4], v[152:153]
	v_mul_f64 v[128:129], v[1:2], v[152:153]
	s_waitcnt vmcnt(49)
	v_fma_f64 v[142:143], v[77:78], v[94:95], -v[142:143]
	v_fma_f64 v[94:95], v[79:80], v[94:95], v[124:125]
	v_add_f64 v[88:89], v[88:89], v[136:137]
	s_waitcnt vmcnt(45) lgkmcnt(0)
	v_mul_f64 v[136:137], v[84:85], v[92:93]
	v_add_f64 v[81:82], v[81:82], v[132:133]
	s_clause 0x3
	buffer_load_dword v124, off, s[0:3], 0 offset:112
	buffer_load_dword v125, off, s[0:3], 0 offset:116
	;; [unrolled: 1-line block ×4, first 2 shown]
	v_mul_f64 v[92:93], v[86:87], v[92:93]
	ds_read_b128 v[77:80], v83 offset:976
	s_waitcnt vmcnt(48)
	v_fma_f64 v[140:141], v[1:2], v[154:155], -v[140:141]
	v_fma_f64 v[128:129], v[3:4], v[154:155], v[128:129]
	ds_read_b128 v[1:4], v83 offset:992
	v_add_f64 v[88:89], v[88:89], v[142:143]
	v_add_f64 v[81:82], v[81:82], v[94:95]
	s_waitcnt vmcnt(47) lgkmcnt(1)
	v_mul_f64 v[142:143], v[79:80], v[156:157]
	s_waitcnt vmcnt(45)
	v_fma_f64 v[92:93], v[84:85], v[102:103], -v[92:93]
	v_mul_f64 v[94:95], v[77:78], v[156:157]
	v_fma_f64 v[102:103], v[86:87], v[102:103], v[136:137]
	ds_read_b128 v[84:87], v83 offset:1008
	v_add_f64 v[88:89], v[88:89], v[140:141]
	v_add_f64 v[81:82], v[81:82], v[128:129]
	s_waitcnt vmcnt(41) lgkmcnt(1)
	v_mul_f64 v[128:129], v[1:2], v[90:91]
	v_mul_f64 v[90:91], v[3:4], v[90:91]
	s_waitcnt vmcnt(40)
	v_fma_f64 v[136:137], v[77:78], v[161:162], -v[142:143]
	v_add_f64 v[88:89], v[88:89], v[92:93]
	v_fma_f64 v[92:93], v[79:80], v[161:162], v[94:95]
	v_add_f64 v[81:82], v[81:82], v[102:103]
	ds_read_b128 v[77:80], v83 offset:1024
	s_waitcnt vmcnt(39) lgkmcnt(1)
	v_mul_f64 v[102:103], v[86:87], v[148:149]
	v_mul_f64 v[94:95], v[84:85], v[148:149]
	s_waitcnt vmcnt(37)
	v_fma_f64 v[90:91], v[1:2], v[100:101], -v[90:91]
	v_fma_f64 v[100:101], v[3:4], v[100:101], v[128:129]
	ds_read_b128 v[1:4], v83 offset:1040
	v_add_f64 v[88:89], v[88:89], v[136:137]
	v_add_f64 v[81:82], v[81:82], v[92:93]
	s_waitcnt vmcnt(33) lgkmcnt(1)
	v_mul_f64 v[92:93], v[77:78], v[96:97]
	v_mul_f64 v[96:97], v[79:80], v[96:97]
	s_waitcnt vmcnt(32)
	v_fma_f64 v[102:103], v[84:85], v[163:164], -v[102:103]
	v_add_f64 v[88:89], v[88:89], v[90:91]
	v_fma_f64 v[90:91], v[86:87], v[163:164], v[94:95]
	v_add_f64 v[81:82], v[81:82], v[100:101]
	ds_read_b128 v[84:87], v83 offset:1056
	s_waitcnt vmcnt(31) lgkmcnt(1)
	v_mul_f64 v[100:101], v[3:4], v[112:113]
	v_mul_f64 v[94:95], v[1:2], v[112:113]
	s_waitcnt vmcnt(29)
	v_fma_f64 v[96:97], v[77:78], v[98:99], -v[96:97]
	v_fma_f64 v[92:93], v[79:80], v[98:99], v[92:93]
	ds_read_b128 v[77:80], v83 offset:1072
	v_add_f64 v[88:89], v[88:89], v[102:103]
	v_add_f64 v[81:82], v[81:82], v[90:91]
	s_waitcnt vmcnt(25) lgkmcnt(1)
	v_mul_f64 v[98:99], v[86:87], v[104:105]
	s_waitcnt vmcnt(24)
	v_fma_f64 v[100:101], v[1:2], v[158:159], -v[100:101]
	v_mul_f64 v[90:91], v[84:85], v[104:105]
	v_fma_f64 v[94:95], v[3:4], v[158:159], v[94:95]
	ds_read_b128 v[1:4], v83 offset:1088
	v_add_f64 v[88:89], v[88:89], v[96:97]
	v_add_f64 v[81:82], v[81:82], v[92:93]
	s_waitcnt vmcnt(23) lgkmcnt(1)
	v_mul_f64 v[96:97], v[79:80], v[116:117]
	v_mul_f64 v[92:93], v[77:78], v[116:117]
	s_waitcnt vmcnt(21)
	v_fma_f64 v[98:99], v[84:85], v[108:109], -v[98:99]
	v_fma_f64 v[90:91], v[86:87], v[108:109], v[90:91]
	ds_read_b128 v[84:87], v83 offset:1104
	v_add_f64 v[88:89], v[88:89], v[100:101]
	v_add_f64 v[81:82], v[81:82], v[94:95]
	s_waitcnt vmcnt(17) lgkmcnt(1)
	v_mul_f64 v[100:101], v[3:4], v[106:107]
	s_waitcnt vmcnt(16)
	v_fma_f64 v[96:97], v[77:78], v[120:121], -v[96:97]
	v_mul_f64 v[94:95], v[1:2], v[106:107]
	v_fma_f64 v[92:93], v[79:80], v[120:121], v[92:93]
	ds_read_b128 v[77:80], v83 offset:1120
	v_add_f64 v[88:89], v[88:89], v[98:99]
	v_add_f64 v[81:82], v[81:82], v[90:91]
	s_waitcnt vmcnt(15) lgkmcnt(1)
	v_mul_f64 v[98:99], v[86:87], v[126:127]
	v_mul_f64 v[90:91], v[84:85], v[126:127]
	s_waitcnt vmcnt(13)
	v_fma_f64 v[100:101], v[1:2], v[110:111], -v[100:101]
	v_fma_f64 v[94:95], v[3:4], v[110:111], v[94:95]
	ds_read_b128 v[1:4], v83 offset:1136
	v_add_f64 v[88:89], v[88:89], v[96:97]
	v_add_f64 v[81:82], v[81:82], v[92:93]
	s_waitcnt vmcnt(9) lgkmcnt(1)
	v_mul_f64 v[96:97], v[79:80], v[114:115]
	s_waitcnt vmcnt(8)
	v_fma_f64 v[84:85], v[84:85], v[130:131], -v[98:99]
	v_mul_f64 v[92:93], v[77:78], v[114:115]
	v_fma_f64 v[86:87], v[86:87], v[130:131], v[90:91]
	v_add_f64 v[88:89], v[88:89], v[100:101]
	v_add_f64 v[81:82], v[81:82], v[94:95]
	s_waitcnt vmcnt(7) lgkmcnt(0)
	v_mul_f64 v[94:95], v[3:4], v[134:135]
	v_mul_f64 v[90:91], v[1:2], v[134:135]
	s_waitcnt vmcnt(5)
	v_fma_f64 v[77:78], v[77:78], v[118:119], -v[96:97]
	v_fma_f64 v[79:80], v[79:80], v[118:119], v[92:93]
	v_add_f64 v[84:85], v[88:89], v[84:85]
	v_add_f64 v[81:82], v[81:82], v[86:87]
	s_waitcnt vmcnt(4)
	v_fma_f64 v[1:2], v[1:2], v[138:139], -v[94:95]
	v_fma_f64 v[3:4], v[3:4], v[138:139], v[90:91]
	v_add_f64 v[77:78], v[84:85], v[77:78]
	v_add_f64 v[79:80], v[81:82], v[79:80]
	;; [unrolled: 1-line block ×4, first 2 shown]
	s_waitcnt vmcnt(2)
	v_add_f64 v[1:2], v[124:125], -v[1:2]
	s_waitcnt vmcnt(0)
	v_add_f64 v[3:4], v[132:133], -v[3:4]
	buffer_store_dword v2, off, s[0:3], 0 offset:116
	buffer_store_dword v1, off, s[0:3], 0 offset:112
	;; [unrolled: 1-line block ×4, first 2 shown]
	v_cmpx_lt_u32_e32 5, v0
	s_cbranch_execz .LBB99_219
; %bb.218:
	v_mov_b32_e32 v4, s43
	s_clause 0x3
	buffer_load_dword v1, v4, s[0:3], 0 offen
	buffer_load_dword v2, v4, s[0:3], 0 offen offset:4
	buffer_load_dword v3, v4, s[0:3], 0 offen offset:8
	;; [unrolled: 1-line block ×3, first 2 shown]
	buffer_store_dword v83, off, s[0:3], 0 offset:96
	buffer_store_dword v83, off, s[0:3], 0 offset:100
	;; [unrolled: 1-line block ×4, first 2 shown]
	s_waitcnt vmcnt(0)
	ds_write_b128 v123, v[1:4]
.LBB99_219:
	s_or_b32 exec_lo, exec_lo, s4
	s_waitcnt lgkmcnt(0)
	s_waitcnt_vscnt null, 0x0
	s_barrier
	buffer_gl0_inv
	s_clause 0x37
	buffer_load_dword v81, off, s[0:3], 0 offset:120
	buffer_load_dword v82, off, s[0:3], 0 offset:124
	;; [unrolled: 1-line block ×56, first 2 shown]
	ds_read_b128 v[84:87], v83 offset:672
	s_clause 0x2
	buffer_load_dword v143, off, s[0:3], 0 offset:348
	buffer_load_dword v147, off, s[0:3], 0 offset:324
	;; [unrolled: 1-line block ×3, first 2 shown]
	ds_read_b128 v[88:91], v83 offset:688
	s_clause 0x4
	buffer_load_dword v151, off, s[0:3], 0 offset:364
	buffer_load_dword v152, off, s[0:3], 0 offset:376
	;; [unrolled: 1-line block ×5, first 2 shown]
	ds_read_b128 v[92:95], v83 offset:704
	s_clause 0x2
	buffer_load_dword v153, off, s[0:3], 0 offset:380
	buffer_load_dword v158, off, s[0:3], 0 offset:356
	;; [unrolled: 1-line block ×3, first 2 shown]
	s_mov_b32 s4, exec_lo
	s_waitcnt vmcnt(62) lgkmcnt(2)
	v_mul_f64 v[148:149], v[86:87], v[81:82]
	v_mul_f64 v[81:82], v[84:85], v[81:82]
	s_waitcnt lgkmcnt(1)
	v_mul_f64 v[155:156], v[90:91], v[77:78]
	s_waitcnt vmcnt(59) lgkmcnt(0)
	v_mul_f64 v[159:160], v[94:95], v[3:4]
	v_fma_f64 v[84:85], v[84:85], v[79:80], -v[148:149]
	v_mul_f64 v[148:149], v[88:89], v[77:78]
	v_fma_f64 v[81:82], v[86:87], v[79:80], v[81:82]
	s_waitcnt vmcnt(57)
	v_fma_f64 v[88:89], v[88:89], v[1:2], -v[155:156]
	ds_read_b128 v[77:80], v83 offset:720
	v_mul_f64 v[86:87], v[92:93], v[3:4]
	s_waitcnt vmcnt(51)
	v_fma_f64 v[92:93], v[92:93], v[102:103], -v[159:160]
	v_add_f64 v[84:85], v[84:85], 0
	v_fma_f64 v[90:91], v[90:91], v[1:2], v[148:149]
	v_add_f64 v[81:82], v[81:82], 0
	s_clause 0x4
	buffer_load_dword v149, off, s[0:3], 0 offset:396
	buffer_load_dword v161, off, s[0:3], 0 offset:408
	;; [unrolled: 1-line block ×5, first 2 shown]
	s_waitcnt lgkmcnt(0)
	v_mul_f64 v[164:165], v[77:78], v[96:97]
	v_mul_f64 v[96:97], v[79:80], v[96:97]
	ds_read_b128 v[1:4], v83 offset:736
	v_fma_f64 v[94:95], v[94:95], v[102:103], v[86:87]
	v_add_f64 v[88:89], v[84:85], v[88:89]
	v_add_f64 v[81:82], v[81:82], v[90:91]
	s_clause 0x2
	buffer_load_dword v162, off, s[0:3], 0 offset:412
	buffer_load_dword v91, off, s[0:3], 0 offset:388
	;; [unrolled: 1-line block ×3, first 2 shown]
	s_waitcnt vmcnt(58) lgkmcnt(0)
	v_mul_f64 v[102:103], v[1:2], v[98:99]
	v_mul_f64 v[98:99], v[3:4], v[98:99]
	s_waitcnt vmcnt(56)
	v_fma_f64 v[96:97], v[77:78], v[104:105], -v[96:97]
	ds_read_b128 v[84:87], v83 offset:752
	v_add_f64 v[88:89], v[88:89], v[92:93]
	v_fma_f64 v[92:93], v[79:80], v[104:105], v[164:165]
	v_add_f64 v[81:82], v[81:82], v[94:95]
	s_clause 0x4
	buffer_load_dword v95, off, s[0:3], 0 offset:428
	buffer_load_dword v104, off, s[0:3], 0 offset:440
	;; [unrolled: 1-line block ×5, first 2 shown]
	ds_read_b128 v[77:80], v83 offset:768
	s_waitcnt vmcnt(57) lgkmcnt(1)
	v_mul_f64 v[165:166], v[84:85], v[106:107]
	v_mul_f64 v[106:107], v[86:87], v[106:107]
	s_waitcnt vmcnt(56)
	v_fma_f64 v[98:99], v[1:2], v[100:101], -v[98:99]
	v_add_f64 v[88:89], v[88:89], v[96:97]
	v_fma_f64 v[96:97], v[3:4], v[100:101], v[102:103]
	v_add_f64 v[81:82], v[81:82], v[92:93]
	s_clause 0x2
	buffer_load_dword v105, off, s[0:3], 0 offset:444
	buffer_load_dword v93, off, s[0:3], 0 offset:420
	;; [unrolled: 1-line block ×3, first 2 shown]
	s_waitcnt vmcnt(58) lgkmcnt(0)
	v_mul_f64 v[102:103], v[79:80], v[108:109]
	ds_read_b128 v[1:4], v83 offset:784
	s_waitcnt vmcnt(56)
	v_fma_f64 v[106:107], v[84:85], v[112:113], -v[106:107]
	v_mul_f64 v[100:101], v[77:78], v[108:109]
	v_add_f64 v[88:89], v[88:89], v[98:99]
	v_fma_f64 v[98:99], v[86:87], v[112:113], v[165:166]
	v_add_f64 v[81:82], v[81:82], v[96:97]
	s_clause 0x4
	buffer_load_dword v97, off, s[0:3], 0 offset:460
	buffer_load_dword v108, off, s[0:3], 0 offset:472
	buffer_load_dword v112, off, s[0:3], 0 offset:464
	buffer_load_dword v96, off, s[0:3], 0 offset:456
	buffer_load_dword v160, off, s[0:3], 0 offset:436
	s_waitcnt vmcnt(57) lgkmcnt(0)
	v_mul_f64 v[165:166], v[1:2], v[114:115]
	v_mul_f64 v[113:114], v[3:4], v[114:115]
	s_waitcnt vmcnt(56)
	v_fma_f64 v[102:103], v[77:78], v[110:111], -v[102:103]
	ds_read_b128 v[84:87], v83 offset:800
	v_fma_f64 v[100:101], v[79:80], v[110:111], v[100:101]
	v_add_f64 v[88:89], v[88:89], v[106:107]
	v_add_f64 v[81:82], v[81:82], v[98:99]
	s_clause 0x2
	buffer_load_dword v109, off, s[0:3], 0 offset:476
	buffer_load_dword v99, off, s[0:3], 0 offset:452
	buffer_load_dword v98, off, s[0:3], 0 offset:448
	ds_read_b128 v[77:80], v83 offset:816
	s_waitcnt vmcnt(58) lgkmcnt(1)
	v_mul_f64 v[110:111], v[86:87], v[116:117]
	s_waitcnt vmcnt(56)
	v_fma_f64 v[114:115], v[1:2], v[120:121], -v[113:114]
	v_mul_f64 v[106:107], v[84:85], v[116:117]
	v_add_f64 v[88:89], v[88:89], v[102:103]
	v_fma_f64 v[102:103], v[3:4], v[120:121], v[165:166]
	v_add_f64 v[81:82], v[81:82], v[100:101]
	s_clause 0x4
	buffer_load_dword v101, off, s[0:3], 0 offset:492
	buffer_load_dword v116, off, s[0:3], 0 offset:504
	buffer_load_dword v120, off, s[0:3], 0 offset:496
	buffer_load_dword v100, off, s[0:3], 0 offset:488
	buffer_load_dword v113, off, s[0:3], 0 offset:468
	s_waitcnt vmcnt(57) lgkmcnt(0)
	v_mul_f64 v[121:122], v[77:78], v[124:125]
	v_mul_f64 v[124:125], v[79:80], v[124:125]
	s_waitcnt vmcnt(56)
	v_fma_f64 v[110:111], v[84:85], v[118:119], -v[110:111]
	ds_read_b128 v[1:4], v83 offset:832
	v_fma_f64 v[106:107], v[86:87], v[118:119], v[106:107]
	v_add_f64 v[88:89], v[88:89], v[114:115]
	v_add_f64 v[81:82], v[81:82], v[102:103]
	s_clause 0x2
	buffer_load_dword v117, off, s[0:3], 0 offset:508
	buffer_load_dword v103, off, s[0:3], 0 offset:484
	buffer_load_dword v102, off, s[0:3], 0 offset:480
	ds_read_b128 v[84:87], v83 offset:848
	s_waitcnt vmcnt(58) lgkmcnt(1)
	v_mul_f64 v[118:119], v[3:4], v[126:127]
	;; [unrolled: 28-line block ×4, first 2 shown]
	s_waitcnt vmcnt(56)
	v_fma_f64 v[140:141], v[1:2], v[146:147], -v[139:140]
	v_mul_f64 v[132:133], v[84:85], v[142:143]
	v_add_f64 v[88:89], v[88:89], v[128:129]
	v_fma_f64 v[128:129], v[3:4], v[146:147], v[165:166]
	v_add_f64 v[81:82], v[81:82], v[124:125]
	s_clause 0x2
	buffer_load_dword v125, off, s[0:3], 0 offset:588
	buffer_load_dword v124, off, s[0:3], 0 offset:584
	;; [unrolled: 1-line block ×3, first 2 shown]
	s_waitcnt vmcnt(55) lgkmcnt(0)
	v_mul_f64 v[146:147], v[79:80], v[150:151]
	s_waitcnt vmcnt(54)
	v_fma_f64 v[136:137], v[84:85], v[144:145], -v[136:137]
	ds_read_b128 v[1:4], v83 offset:928
	v_mul_f64 v[142:143], v[77:78], v[150:151]
	v_fma_f64 v[132:133], v[86:87], v[144:145], v[132:133]
	v_add_f64 v[88:89], v[88:89], v[140:141]
	v_add_f64 v[81:82], v[81:82], v[128:129]
	s_clause 0x1
	buffer_load_dword v129, off, s[0:3], 0 offset:580
	buffer_load_dword v128, off, s[0:3], 0 offset:576
	s_waitcnt vmcnt(55) lgkmcnt(0)
	v_mul_f64 v[144:145], v[3:4], v[152:153]
	s_waitcnt vmcnt(53)
	v_fma_f64 v[146:147], v[77:78], v[157:158], -v[146:147]
	ds_read_b128 v[84:87], v83 offset:944
	v_mul_f64 v[140:141], v[1:2], v[152:153]
	v_add_f64 v[88:89], v[88:89], v[136:137]
	v_fma_f64 v[136:137], v[79:80], v[157:158], v[142:143]
	v_add_f64 v[81:82], v[81:82], v[132:133]
	ds_read_b128 v[77:80], v83 offset:960
	s_waitcnt vmcnt(49) lgkmcnt(1)
	v_mul_f64 v[142:143], v[86:87], v[148:149]
	s_waitcnt vmcnt(48)
	v_fma_f64 v[144:145], v[1:2], v[154:155], -v[144:145]
	v_mul_f64 v[132:133], v[84:85], v[148:149]
	v_fma_f64 v[140:141], v[3:4], v[154:155], v[140:141]
	v_add_f64 v[88:89], v[88:89], v[146:147]
	v_add_f64 v[81:82], v[81:82], v[136:137]
	s_clause 0x3
	buffer_load_dword v136, off, s[0:3], 0 offset:96
	buffer_load_dword v137, off, s[0:3], 0 offset:100
	;; [unrolled: 1-line block ×4, first 2 shown]
	ds_read_b128 v[1:4], v83 offset:976
	s_waitcnt vmcnt(51) lgkmcnt(1)
	v_mul_f64 v[150:151], v[79:80], v[161:162]
	v_mul_f64 v[148:149], v[77:78], v[161:162]
	s_waitcnt vmcnt(49)
	v_fma_f64 v[142:143], v[84:85], v[90:91], -v[142:143]
	v_fma_f64 v[90:91], v[86:87], v[90:91], v[132:133]
	ds_read_b128 v[84:87], v83 offset:992
	v_add_f64 v[88:89], v[88:89], v[144:145]
	v_add_f64 v[81:82], v[81:82], v[140:141]
	s_waitcnt vmcnt(45) lgkmcnt(1)
	v_mul_f64 v[132:133], v[1:2], v[94:95]
	v_mul_f64 v[94:95], v[3:4], v[94:95]
	s_waitcnt vmcnt(44)
	v_fma_f64 v[140:141], v[77:78], v[163:164], -v[150:151]
	v_add_f64 v[88:89], v[88:89], v[142:143]
	v_fma_f64 v[142:143], v[79:80], v[163:164], v[148:149]
	v_add_f64 v[81:82], v[81:82], v[90:91]
	ds_read_b128 v[77:80], v83 offset:1008
	s_waitcnt vmcnt(43) lgkmcnt(1)
	v_mul_f64 v[90:91], v[84:85], v[104:105]
	v_mul_f64 v[104:105], v[86:87], v[104:105]
	s_waitcnt vmcnt(41)
	v_fma_f64 v[94:95], v[1:2], v[92:93], -v[94:95]
	v_fma_f64 v[92:93], v[3:4], v[92:93], v[132:133]
	ds_read_b128 v[1:4], v83 offset:1024
	v_add_f64 v[88:89], v[88:89], v[140:141]
	v_add_f64 v[81:82], v[81:82], v[142:143]
	s_waitcnt vmcnt(37) lgkmcnt(1)
	v_mul_f64 v[132:133], v[77:78], v[96:97]
	v_mul_f64 v[96:97], v[79:80], v[96:97]
	s_waitcnt vmcnt(36)
	v_fma_f64 v[104:105], v[84:85], v[159:160], -v[104:105]
	v_fma_f64 v[90:91], v[86:87], v[159:160], v[90:91]
	ds_read_b128 v[84:87], v83 offset:1040
	v_add_f64 v[88:89], v[88:89], v[94:95]
	v_add_f64 v[81:82], v[81:82], v[92:93]
	;; [unrolled: 9-line block ×5, first 2 shown]
	s_waitcnt vmcnt(21) lgkmcnt(1)
	v_mul_f64 v[94:95], v[3:4], v[106:107]
	s_waitcnt vmcnt(20)
	v_fma_f64 v[98:99], v[77:78], v[120:121], -v[98:99]
	v_mul_f64 v[92:93], v[1:2], v[106:107]
	v_fma_f64 v[96:97], v[79:80], v[120:121], v[96:97]
	ds_read_b128 v[77:80], v83 offset:1104
	v_add_f64 v[88:89], v[88:89], v[100:101]
	v_add_f64 v[81:82], v[81:82], v[90:91]
	s_waitcnt vmcnt(19) lgkmcnt(1)
	v_mul_f64 v[100:101], v[86:87], v[126:127]
	v_mul_f64 v[90:91], v[84:85], v[126:127]
	s_waitcnt vmcnt(17)
	v_fma_f64 v[94:95], v[1:2], v[110:111], -v[94:95]
	v_fma_f64 v[92:93], v[3:4], v[110:111], v[92:93]
	ds_read_b128 v[1:4], v83 offset:1120
	v_add_f64 v[88:89], v[88:89], v[98:99]
	v_add_f64 v[81:82], v[81:82], v[96:97]
	s_waitcnt vmcnt(13) lgkmcnt(1)
	v_mul_f64 v[98:99], v[79:80], v[114:115]
	s_waitcnt vmcnt(12)
	v_fma_f64 v[100:101], v[84:85], v[130:131], -v[100:101]
	v_mul_f64 v[96:97], v[77:78], v[114:115]
	v_fma_f64 v[85:86], v[86:87], v[130:131], v[90:91]
	v_add_f64 v[88:89], v[88:89], v[94:95]
	v_add_f64 v[90:91], v[81:82], v[92:93]
	ds_read_b128 v[81:84], v83 offset:1136
	s_waitcnt vmcnt(11) lgkmcnt(1)
	v_mul_f64 v[94:95], v[3:4], v[134:135]
	v_mul_f64 v[92:93], v[1:2], v[134:135]
	s_waitcnt vmcnt(9)
	v_fma_f64 v[77:78], v[77:78], v[118:119], -v[98:99]
	v_fma_f64 v[79:80], v[79:80], v[118:119], v[96:97]
	v_add_f64 v[87:88], v[88:89], v[100:101]
	v_add_f64 v[85:86], v[90:91], v[85:86]
	s_waitcnt vmcnt(7) lgkmcnt(0)
	v_mul_f64 v[96:97], v[83:84], v[124:125]
	s_waitcnt vmcnt(6)
	v_fma_f64 v[1:2], v[1:2], v[138:139], -v[94:95]
	v_mul_f64 v[89:90], v[81:82], v[124:125]
	v_fma_f64 v[3:4], v[3:4], v[138:139], v[92:93]
	v_add_f64 v[77:78], v[87:88], v[77:78]
	v_add_f64 v[79:80], v[85:86], v[79:80]
	s_waitcnt vmcnt(4)
	v_fma_f64 v[81:82], v[81:82], v[128:129], -v[96:97]
	v_add_f64 v[1:2], v[77:78], v[1:2]
	v_fma_f64 v[77:78], v[83:84], v[128:129], v[89:90]
	v_add_f64 v[3:4], v[79:80], v[3:4]
	v_add_f64 v[1:2], v[1:2], v[81:82]
	;; [unrolled: 1-line block ×3, first 2 shown]
	s_waitcnt vmcnt(2)
	v_add_f64 v[1:2], v[136:137], -v[1:2]
	s_waitcnt vmcnt(0)
	v_add_f64 v[3:4], v[146:147], -v[3:4]
	buffer_store_dword v2, off, s[0:3], 0 offset:100
	buffer_store_dword v1, off, s[0:3], 0 offset:96
	;; [unrolled: 1-line block ×4, first 2 shown]
	v_cmpx_lt_u32_e32 4, v0
	s_cbranch_execz .LBB99_221
; %bb.220:
	v_mov_b32_e32 v4, s44
	v_mov_b32_e32 v77, 0
	s_clause 0x3
	buffer_load_dword v1, v4, s[0:3], 0 offen
	buffer_load_dword v2, v4, s[0:3], 0 offen offset:4
	buffer_load_dword v3, v4, s[0:3], 0 offen offset:8
	;; [unrolled: 1-line block ×3, first 2 shown]
	buffer_store_dword v77, off, s[0:3], 0 offset:80
	buffer_store_dword v77, off, s[0:3], 0 offset:84
	buffer_store_dword v77, off, s[0:3], 0 offset:88
	buffer_store_dword v77, off, s[0:3], 0 offset:92
	s_waitcnt vmcnt(0)
	ds_write_b128 v123, v[1:4]
.LBB99_221:
	s_or_b32 exec_lo, exec_lo, s4
	s_waitcnt lgkmcnt(0)
	s_waitcnt_vscnt null, 0x0
	s_barrier
	buffer_gl0_inv
	s_clause 0x37
	buffer_load_dword v81, off, s[0:3], 0 offset:104
	buffer_load_dword v82, off, s[0:3], 0 offset:108
	buffer_load_dword v77, off, s[0:3], 0 offset:120
	buffer_load_dword v78, off, s[0:3], 0 offset:124
	buffer_load_dword v79, off, s[0:3], 0 offset:96
	buffer_load_dword v80, off, s[0:3], 0 offset:100
	buffer_load_dword v3, off, s[0:3], 0 offset:136
	buffer_load_dword v4, off, s[0:3], 0 offset:140
	buffer_load_dword v1, off, s[0:3], 0 offset:112
	buffer_load_dword v2, off, s[0:3], 0 offset:116
	buffer_load_dword v86, off, s[0:3], 0 offset:156
	buffer_load_dword v102, off, s[0:3], 0 offset:168
	buffer_load_dword v83, off, s[0:3], 0 offset:160
	buffer_load_dword v85, off, s[0:3], 0 offset:152
	buffer_load_dword v104, off, s[0:3], 0 offset:128
	buffer_load_dword v105, off, s[0:3], 0 offset:132
	buffer_load_dword v103, off, s[0:3], 0 offset:172
	buffer_load_dword v107, off, s[0:3], 0 offset:148
	buffer_load_dword v106, off, s[0:3], 0 offset:144
	buffer_load_dword v109, off, s[0:3], 0 offset:188
	buffer_load_dword v110, off, s[0:3], 0 offset:200
	buffer_load_dword v87, off, s[0:3], 0 offset:192
	buffer_load_dword v108, off, s[0:3], 0 offset:184
	buffer_load_dword v84, off, s[0:3], 0 offset:164
	buffer_load_dword v111, off, s[0:3], 0 offset:204
	buffer_load_dword v113, off, s[0:3], 0 offset:180
	buffer_load_dword v112, off, s[0:3], 0 offset:176
	buffer_load_dword v115, off, s[0:3], 0 offset:220
	buffer_load_dword v116, off, s[0:3], 0 offset:232
	buffer_load_dword v118, off, s[0:3], 0 offset:224
	buffer_load_dword v114, off, s[0:3], 0 offset:216
	buffer_load_dword v88, off, s[0:3], 0 offset:196
	buffer_load_dword v117, off, s[0:3], 0 offset:236
	buffer_load_dword v121, off, s[0:3], 0 offset:212
	buffer_load_dword v120, off, s[0:3], 0 offset:208
	buffer_load_dword v125, off, s[0:3], 0 offset:252
	buffer_load_dword v126, off, s[0:3], 0 offset:264
	buffer_load_dword v128, off, s[0:3], 0 offset:256
	buffer_load_dword v124, off, s[0:3], 0 offset:248
	buffer_load_dword v119, off, s[0:3], 0 offset:228
	buffer_load_dword v127, off, s[0:3], 0 offset:268
	buffer_load_dword v131, off, s[0:3], 0 offset:244
	buffer_load_dword v130, off, s[0:3], 0 offset:240
	buffer_load_dword v133, off, s[0:3], 0 offset:284
	buffer_load_dword v134, off, s[0:3], 0 offset:296
	buffer_load_dword v136, off, s[0:3], 0 offset:288
	buffer_load_dword v132, off, s[0:3], 0 offset:280
	buffer_load_dword v129, off, s[0:3], 0 offset:260
	buffer_load_dword v135, off, s[0:3], 0 offset:300
	buffer_load_dword v139, off, s[0:3], 0 offset:276
	buffer_load_dword v138, off, s[0:3], 0 offset:272
	buffer_load_dword v141, off, s[0:3], 0 offset:316
	buffer_load_dword v142, off, s[0:3], 0 offset:328
	buffer_load_dword v144, off, s[0:3], 0 offset:320
	buffer_load_dword v140, off, s[0:3], 0 offset:312
	buffer_load_dword v137, off, s[0:3], 0 offset:292
	v_mov_b32_e32 v101, 0
	s_mov_b32 s4, exec_lo
	ds_read_b128 v[89:92], v101 offset:656
	s_clause 0x2
	buffer_load_dword v143, off, s[0:3], 0 offset:332
	buffer_load_dword v147, off, s[0:3], 0 offset:308
	;; [unrolled: 1-line block ×3, first 2 shown]
	ds_read_b128 v[93:96], v101 offset:672
	s_clause 0x4
	buffer_load_dword v151, off, s[0:3], 0 offset:348
	buffer_load_dword v152, off, s[0:3], 0 offset:360
	;; [unrolled: 1-line block ×5, first 2 shown]
	ds_read_b128 v[97:100], v101 offset:688
	s_clause 0x2
	buffer_load_dword v153, off, s[0:3], 0 offset:364
	buffer_load_dword v158, off, s[0:3], 0 offset:340
	;; [unrolled: 1-line block ×3, first 2 shown]
	s_waitcnt vmcnt(62) lgkmcnt(2)
	v_mul_f64 v[148:149], v[91:92], v[81:82]
	v_mul_f64 v[81:82], v[89:90], v[81:82]
	s_waitcnt lgkmcnt(1)
	v_mul_f64 v[155:156], v[95:96], v[77:78]
	s_waitcnt vmcnt(59) lgkmcnt(0)
	v_mul_f64 v[159:160], v[99:100], v[3:4]
	v_fma_f64 v[89:90], v[89:90], v[79:80], -v[148:149]
	v_mul_f64 v[148:149], v[93:94], v[77:78]
	v_fma_f64 v[81:82], v[91:92], v[79:80], v[81:82]
	s_waitcnt vmcnt(57)
	v_fma_f64 v[93:94], v[93:94], v[1:2], -v[155:156]
	ds_read_b128 v[77:80], v101 offset:704
	v_mul_f64 v[91:92], v[97:98], v[3:4]
	s_waitcnt vmcnt(51)
	v_fma_f64 v[97:98], v[97:98], v[104:105], -v[159:160]
	v_add_f64 v[89:90], v[89:90], 0
	v_fma_f64 v[95:96], v[95:96], v[1:2], v[148:149]
	v_add_f64 v[81:82], v[81:82], 0
	s_clause 0x4
	buffer_load_dword v149, off, s[0:3], 0 offset:380
	buffer_load_dword v161, off, s[0:3], 0 offset:392
	;; [unrolled: 1-line block ×5, first 2 shown]
	s_waitcnt lgkmcnt(0)
	v_mul_f64 v[164:165], v[77:78], v[85:86]
	v_mul_f64 v[85:86], v[79:80], v[85:86]
	ds_read_b128 v[1:4], v101 offset:720
	v_fma_f64 v[99:100], v[99:100], v[104:105], v[91:92]
	v_add_f64 v[93:94], v[89:90], v[93:94]
	v_add_f64 v[81:82], v[81:82], v[95:96]
	s_clause 0x2
	buffer_load_dword v162, off, s[0:3], 0 offset:396
	buffer_load_dword v96, off, s[0:3], 0 offset:372
	;; [unrolled: 1-line block ×3, first 2 shown]
	s_waitcnt vmcnt(58) lgkmcnt(0)
	v_mul_f64 v[104:105], v[1:2], v[102:103]
	v_mul_f64 v[102:103], v[3:4], v[102:103]
	s_waitcnt vmcnt(56)
	v_fma_f64 v[85:86], v[77:78], v[106:107], -v[85:86]
	ds_read_b128 v[89:92], v101 offset:736
	v_add_f64 v[93:94], v[93:94], v[97:98]
	v_fma_f64 v[97:98], v[79:80], v[106:107], v[164:165]
	v_add_f64 v[81:82], v[81:82], v[99:100]
	s_clause 0x4
	buffer_load_dword v100, off, s[0:3], 0 offset:412
	buffer_load_dword v106, off, s[0:3], 0 offset:424
	;; [unrolled: 1-line block ×5, first 2 shown]
	ds_read_b128 v[77:80], v101 offset:752
	s_waitcnt vmcnt(57) lgkmcnt(1)
	v_mul_f64 v[165:166], v[89:90], v[108:109]
	v_mul_f64 v[108:109], v[91:92], v[108:109]
	s_waitcnt vmcnt(56)
	v_fma_f64 v[102:103], v[1:2], v[83:84], -v[102:103]
	v_fma_f64 v[83:84], v[3:4], v[83:84], v[104:105]
	v_add_f64 v[85:86], v[93:94], v[85:86]
	s_clause 0x2
	buffer_load_dword v107, off, s[0:3], 0 offset:428
	buffer_load_dword v94, off, s[0:3], 0 offset:404
	;; [unrolled: 1-line block ×3, first 2 shown]
	v_add_f64 v[81:82], v[81:82], v[97:98]
	s_waitcnt vmcnt(58) lgkmcnt(0)
	v_mul_f64 v[104:105], v[79:80], v[110:111]
	ds_read_b128 v[1:4], v101 offset:768
	v_mul_f64 v[97:98], v[77:78], v[110:111]
	s_waitcnt vmcnt(56)
	v_fma_f64 v[89:90], v[89:90], v[112:113], -v[108:109]
	v_fma_f64 v[91:92], v[91:92], v[112:113], v[165:166]
	s_clause 0x4
	buffer_load_dword v109, off, s[0:3], 0 offset:444
	buffer_load_dword v110, off, s[0:3], 0 offset:456
	;; [unrolled: 1-line block ×5, first 2 shown]
	v_add_f64 v[85:86], v[85:86], v[102:103]
	v_add_f64 v[102:103], v[81:82], v[83:84]
	s_waitcnt vmcnt(57) lgkmcnt(0)
	v_mul_f64 v[165:166], v[1:2], v[114:115]
	v_mul_f64 v[113:114], v[3:4], v[114:115]
	s_waitcnt vmcnt(56)
	v_fma_f64 v[104:105], v[77:78], v[87:88], -v[104:105]
	ds_read_b128 v[81:84], v101 offset:784
	v_fma_f64 v[87:88], v[79:80], v[87:88], v[97:98]
	v_add_f64 v[85:86], v[85:86], v[89:90]
	v_add_f64 v[89:90], v[102:103], v[91:92]
	s_clause 0x2
	buffer_load_dword v111, off, s[0:3], 0 offset:460
	buffer_load_dword v92, off, s[0:3], 0 offset:436
	;; [unrolled: 1-line block ×3, first 2 shown]
	s_waitcnt vmcnt(58) lgkmcnt(0)
	v_mul_f64 v[102:103], v[83:84], v[116:117]
	s_waitcnt vmcnt(56)
	v_fma_f64 v[114:115], v[1:2], v[120:121], -v[113:114]
	ds_read_b128 v[77:80], v101 offset:800
	v_mul_f64 v[97:98], v[81:82], v[116:117]
	v_add_f64 v[85:86], v[85:86], v[104:105]
	v_fma_f64 v[104:105], v[3:4], v[120:121], v[165:166]
	v_add_f64 v[87:88], v[89:90], v[87:88]
	s_clause 0x4
	buffer_load_dword v90, off, s[0:3], 0 offset:476
	buffer_load_dword v116, off, s[0:3], 0 offset:488
	buffer_load_dword v120, off, s[0:3], 0 offset:480
	buffer_load_dword v89, off, s[0:3], 0 offset:472
	buffer_load_dword v113, off, s[0:3], 0 offset:452
	s_waitcnt vmcnt(57) lgkmcnt(0)
	v_mul_f64 v[121:122], v[77:78], v[124:125]
	v_mul_f64 v[124:125], v[79:80], v[124:125]
	s_waitcnt vmcnt(56)
	v_fma_f64 v[102:103], v[81:82], v[118:119], -v[102:103]
	ds_read_b128 v[1:4], v101 offset:816
	v_fma_f64 v[97:98], v[83:84], v[118:119], v[97:98]
	v_add_f64 v[85:86], v[85:86], v[114:115]
	v_add_f64 v[87:88], v[87:88], v[104:105]
	s_clause 0x2
	buffer_load_dword v117, off, s[0:3], 0 offset:492
	buffer_load_dword v105, off, s[0:3], 0 offset:468
	buffer_load_dword v104, off, s[0:3], 0 offset:464
	ds_read_b128 v[81:84], v101 offset:832
	s_waitcnt vmcnt(58) lgkmcnt(1)
	v_mul_f64 v[118:119], v[3:4], v[126:127]
	s_waitcnt vmcnt(56)
	v_fma_f64 v[124:125], v[77:78], v[130:131], -v[124:125]
	v_mul_f64 v[114:115], v[1:2], v[126:127]
	v_add_f64 v[85:86], v[85:86], v[102:103]
	v_fma_f64 v[102:103], v[79:80], v[130:131], v[121:122]
	v_add_f64 v[87:88], v[87:88], v[97:98]
	s_clause 0x4
	buffer_load_dword v98, off, s[0:3], 0 offset:508
	buffer_load_dword v126, off, s[0:3], 0 offset:520
	buffer_load_dword v130, off, s[0:3], 0 offset:512
	buffer_load_dword v97, off, s[0:3], 0 offset:504
	buffer_load_dword v121, off, s[0:3], 0 offset:484
	s_waitcnt vmcnt(57) lgkmcnt(0)
	v_mul_f64 v[165:166], v[81:82], v[132:133]
	v_mul_f64 v[131:132], v[83:84], v[132:133]
	s_waitcnt vmcnt(56)
	v_fma_f64 v[118:119], v[1:2], v[128:129], -v[118:119]
	ds_read_b128 v[77:80], v101 offset:848
	v_fma_f64 v[114:115], v[3:4], v[128:129], v[114:115]
	v_add_f64 v[85:86], v[85:86], v[124:125]
	v_add_f64 v[87:88], v[87:88], v[102:103]
	s_clause 0x2
	buffer_load_dword v127, off, s[0:3], 0 offset:524
	buffer_load_dword v103, off, s[0:3], 0 offset:500
	buffer_load_dword v102, off, s[0:3], 0 offset:496
	ds_read_b128 v[1:4], v101 offset:864
	s_waitcnt vmcnt(58) lgkmcnt(1)
	v_mul_f64 v[128:129], v[79:80], v[134:135]
	s_waitcnt vmcnt(56)
	v_fma_f64 v[132:133], v[81:82], v[138:139], -v[131:132]
	;; [unrolled: 28-line block ×4, first 2 shown]
	v_mul_f64 v[140:141], v[1:2], v[152:153]
	buffer_load_dword v147, off, s[0:3], 0 offset:580
	v_add_f64 v[85:86], v[85:86], v[136:137]
	v_fma_f64 v[136:137], v[79:80], v[157:158], v[165:166]
	v_add_f64 v[87:88], v[87:88], v[132:133]
	ds_read_b128 v[77:80], v101 offset:944
	s_waitcnt vmcnt(53) lgkmcnt(1)
	v_mul_f64 v[132:133], v[81:82], v[148:149]
	v_mul_f64 v[148:149], v[83:84], v[148:149]
	s_waitcnt vmcnt(52)
	v_fma_f64 v[144:145], v[1:2], v[154:155], -v[144:145]
	v_fma_f64 v[140:141], v[3:4], v[154:155], v[140:141]
	ds_read_b128 v[1:4], v101 offset:960
	v_add_f64 v[85:86], v[85:86], v[150:151]
	v_add_f64 v[87:88], v[87:88], v[136:137]
	s_waitcnt vmcnt(51) lgkmcnt(1)
	v_mul_f64 v[150:151], v[79:80], v[161:162]
	v_mul_f64 v[136:137], v[77:78], v[161:162]
	s_waitcnt vmcnt(49)
	v_fma_f64 v[148:149], v[81:82], v[95:96], -v[148:149]
	v_fma_f64 v[95:96], v[83:84], v[95:96], v[132:133]
	v_add_f64 v[85:86], v[85:86], v[144:145]
	v_add_f64 v[87:88], v[87:88], v[140:141]
	s_clause 0x3
	buffer_load_dword v132, off, s[0:3], 0 offset:80
	buffer_load_dword v133, off, s[0:3], 0 offset:84
	;; [unrolled: 1-line block ×4, first 2 shown]
	ds_read_b128 v[81:84], v101 offset:976
	s_waitcnt vmcnt(49) lgkmcnt(1)
	v_mul_f64 v[144:145], v[1:2], v[99:100]
	v_mul_f64 v[99:100], v[3:4], v[99:100]
	s_waitcnt vmcnt(48)
	v_fma_f64 v[150:151], v[77:78], v[163:164], -v[150:151]
	v_fma_f64 v[136:137], v[79:80], v[163:164], v[136:137]
	ds_read_b128 v[77:80], v101 offset:992
	v_add_f64 v[85:86], v[85:86], v[148:149]
	v_add_f64 v[87:88], v[87:88], v[95:96]
	s_waitcnt vmcnt(47) lgkmcnt(1)
	v_mul_f64 v[95:96], v[81:82], v[106:107]
	v_mul_f64 v[106:107], v[83:84], v[106:107]
	s_waitcnt vmcnt(45)
	v_fma_f64 v[99:100], v[1:2], v[93:94], -v[99:100]
	v_fma_f64 v[93:94], v[3:4], v[93:94], v[144:145]
	ds_read_b128 v[1:4], v101 offset:1008
	v_add_f64 v[85:86], v[85:86], v[150:151]
	v_add_f64 v[87:88], v[87:88], v[136:137]
	s_waitcnt vmcnt(41) lgkmcnt(1)
	v_mul_f64 v[136:137], v[77:78], v[108:109]
	v_mul_f64 v[108:109], v[79:80], v[108:109]
	s_waitcnt vmcnt(40)
	v_fma_f64 v[95:96], v[83:84], v[159:160], v[95:96]
	v_fma_f64 v[106:107], v[81:82], v[159:160], -v[106:107]
	ds_read_b128 v[81:84], v101 offset:1024
	v_add_f64 v[85:86], v[85:86], v[99:100]
	v_add_f64 v[87:88], v[87:88], v[93:94]
	s_waitcnt vmcnt(39) lgkmcnt(1)
	v_mul_f64 v[99:100], v[3:4], v[110:111]
	v_mul_f64 v[93:94], v[1:2], v[110:111]
	s_waitcnt vmcnt(37)
	v_fma_f64 v[108:109], v[77:78], v[91:92], -v[108:109]
	v_fma_f64 v[91:92], v[79:80], v[91:92], v[136:137]
	ds_read_b128 v[77:80], v101 offset:1040
	v_add_f64 v[85:86], v[85:86], v[106:107]
	v_add_f64 v[87:88], v[87:88], v[95:96]
	s_waitcnt vmcnt(33) lgkmcnt(1)
	v_mul_f64 v[95:96], v[81:82], v[89:90]
	v_mul_f64 v[89:90], v[83:84], v[89:90]
	s_waitcnt vmcnt(32)
	v_fma_f64 v[99:100], v[1:2], v[112:113], -v[99:100]
	v_fma_f64 v[93:94], v[3:4], v[112:113], v[93:94]
	;; [unrolled: 9-line block ×3, first 2 shown]
	ds_read_b128 v[81:84], v101 offset:1072
	v_add_f64 v[85:86], v[85:86], v[99:100]
	v_add_f64 v[87:88], v[87:88], v[93:94]
	s_waitcnt vmcnt(25) lgkmcnt(1)
	v_mul_f64 v[93:94], v[1:2], v[97:98]
	v_mul_f64 v[97:98], v[3:4], v[97:98]
	s_waitcnt vmcnt(24)
	v_fma_f64 v[99:100], v[77:78], v[120:121], -v[106:107]
	v_add_f64 v[85:86], v[85:86], v[89:90]
	v_fma_f64 v[89:90], v[79:80], v[120:121], v[91:92]
	v_add_f64 v[87:88], v[87:88], v[95:96]
	ds_read_b128 v[77:80], v101 offset:1088
	s_waitcnt vmcnt(23) lgkmcnt(1)
	v_mul_f64 v[95:96], v[83:84], v[126:127]
	v_mul_f64 v[91:92], v[81:82], v[126:127]
	s_waitcnt vmcnt(21)
	v_fma_f64 v[97:98], v[1:2], v[102:103], -v[97:98]
	v_fma_f64 v[93:94], v[3:4], v[102:103], v[93:94]
	ds_read_b128 v[1:4], v101 offset:1104
	v_add_f64 v[85:86], v[85:86], v[99:100]
	v_add_f64 v[87:88], v[87:88], v[89:90]
	s_waitcnt vmcnt(17) lgkmcnt(1)
	v_mul_f64 v[99:100], v[79:80], v[114:115]
	s_waitcnt vmcnt(16)
	v_fma_f64 v[95:96], v[81:82], v[130:131], -v[95:96]
	v_mul_f64 v[89:90], v[77:78], v[114:115]
	v_fma_f64 v[91:92], v[83:84], v[130:131], v[91:92]
	ds_read_b128 v[81:84], v101 offset:1120
	v_add_f64 v[85:86], v[85:86], v[97:98]
	v_add_f64 v[87:88], v[87:88], v[93:94]
	s_waitcnt vmcnt(15) lgkmcnt(1)
	v_mul_f64 v[97:98], v[3:4], v[134:135]
	v_mul_f64 v[93:94], v[1:2], v[134:135]
	s_waitcnt vmcnt(13)
	v_fma_f64 v[99:100], v[77:78], v[118:119], -v[99:100]
	v_fma_f64 v[89:90], v[79:80], v[118:119], v[89:90]
	ds_read_b128 v[77:80], v101 offset:1136
	v_add_f64 v[85:86], v[85:86], v[95:96]
	v_add_f64 v[87:88], v[87:88], v[91:92]
	s_waitcnt vmcnt(9) lgkmcnt(1)
	v_mul_f64 v[95:96], v[83:84], v[124:125]
	s_waitcnt vmcnt(8)
	v_fma_f64 v[1:2], v[1:2], v[138:139], -v[97:98]
	v_mul_f64 v[91:92], v[81:82], v[124:125]
	v_fma_f64 v[3:4], v[3:4], v[138:139], v[93:94]
	v_add_f64 v[85:86], v[85:86], v[99:100]
	v_add_f64 v[87:88], v[87:88], v[89:90]
	s_waitcnt vmcnt(7) lgkmcnt(0)
	v_mul_f64 v[93:94], v[79:80], v[142:143]
	v_mul_f64 v[89:90], v[77:78], v[142:143]
	s_waitcnt vmcnt(5)
	v_fma_f64 v[81:82], v[81:82], v[128:129], -v[95:96]
	v_fma_f64 v[83:84], v[83:84], v[128:129], v[91:92]
	v_add_f64 v[1:2], v[85:86], v[1:2]
	v_add_f64 v[3:4], v[87:88], v[3:4]
	s_waitcnt vmcnt(4)
	v_fma_f64 v[77:78], v[77:78], v[146:147], -v[93:94]
	v_fma_f64 v[79:80], v[79:80], v[146:147], v[89:90]
	v_add_f64 v[1:2], v[1:2], v[81:82]
	v_add_f64 v[3:4], v[3:4], v[83:84]
	;; [unrolled: 1-line block ×4, first 2 shown]
	s_waitcnt vmcnt(2)
	v_add_f64 v[1:2], v[132:133], -v[1:2]
	s_waitcnt vmcnt(0)
	v_add_f64 v[3:4], v[140:141], -v[3:4]
	buffer_store_dword v2, off, s[0:3], 0 offset:84
	buffer_store_dword v1, off, s[0:3], 0 offset:80
	;; [unrolled: 1-line block ×4, first 2 shown]
	v_cmpx_lt_u32_e32 3, v0
	s_cbranch_execz .LBB99_223
; %bb.222:
	v_mov_b32_e32 v4, s45
	s_clause 0x3
	buffer_load_dword v1, v4, s[0:3], 0 offen
	buffer_load_dword v2, v4, s[0:3], 0 offen offset:4
	buffer_load_dword v3, v4, s[0:3], 0 offen offset:8
	;; [unrolled: 1-line block ×3, first 2 shown]
	buffer_store_dword v101, off, s[0:3], 0 offset:64
	buffer_store_dword v101, off, s[0:3], 0 offset:68
	;; [unrolled: 1-line block ×4, first 2 shown]
	s_waitcnt vmcnt(0)
	ds_write_b128 v123, v[1:4]
.LBB99_223:
	s_or_b32 exec_lo, exec_lo, s4
	s_waitcnt lgkmcnt(0)
	s_waitcnt_vscnt null, 0x0
	s_barrier
	buffer_gl0_inv
	s_clause 0x37
	buffer_load_dword v81, off, s[0:3], 0 offset:88
	buffer_load_dword v82, off, s[0:3], 0 offset:92
	;; [unrolled: 1-line block ×56, first 2 shown]
	ds_read_b128 v[102:105], v101 offset:640
	s_clause 0x2
	buffer_load_dword v143, off, s[0:3], 0 offset:316
	buffer_load_dword v147, off, s[0:3], 0 offset:292
	;; [unrolled: 1-line block ×3, first 2 shown]
	ds_read_b128 v[106:109], v101 offset:656
	s_clause 0x4
	buffer_load_dword v151, off, s[0:3], 0 offset:332
	buffer_load_dword v152, off, s[0:3], 0 offset:344
	;; [unrolled: 1-line block ×5, first 2 shown]
	ds_read_b128 v[110:113], v101 offset:672
	s_clause 0x2
	buffer_load_dword v153, off, s[0:3], 0 offset:348
	buffer_load_dword v158, off, s[0:3], 0 offset:324
	;; [unrolled: 1-line block ×3, first 2 shown]
	s_mov_b32 s4, exec_lo
	s_waitcnt vmcnt(62) lgkmcnt(2)
	v_mul_f64 v[148:149], v[104:105], v[81:82]
	v_mul_f64 v[81:82], v[102:103], v[81:82]
	s_waitcnt lgkmcnt(1)
	v_mul_f64 v[155:156], v[108:109], v[77:78]
	s_waitcnt vmcnt(59) lgkmcnt(0)
	v_mul_f64 v[159:160], v[112:113], v[3:4]
	v_fma_f64 v[102:103], v[102:103], v[79:80], -v[148:149]
	v_mul_f64 v[148:149], v[106:107], v[77:78]
	v_fma_f64 v[81:82], v[104:105], v[79:80], v[81:82]
	s_waitcnt vmcnt(57)
	v_fma_f64 v[106:107], v[106:107], v[1:2], -v[155:156]
	ds_read_b128 v[77:80], v101 offset:688
	v_mul_f64 v[104:105], v[110:111], v[3:4]
	s_waitcnt vmcnt(51)
	v_fma_f64 v[110:111], v[110:111], v[97:98], -v[159:160]
	v_add_f64 v[102:103], v[102:103], 0
	v_fma_f64 v[108:109], v[108:109], v[1:2], v[148:149]
	v_add_f64 v[81:82], v[81:82], 0
	s_clause 0x4
	buffer_load_dword v149, off, s[0:3], 0 offset:364
	buffer_load_dword v161, off, s[0:3], 0 offset:376
	;; [unrolled: 1-line block ×5, first 2 shown]
	s_waitcnt lgkmcnt(0)
	v_mul_f64 v[164:165], v[77:78], v[85:86]
	v_mul_f64 v[85:86], v[79:80], v[85:86]
	ds_read_b128 v[1:4], v101 offset:704
	v_fma_f64 v[97:98], v[112:113], v[97:98], v[104:105]
	v_add_f64 v[106:107], v[102:103], v[106:107]
	v_add_f64 v[81:82], v[81:82], v[108:109]
	s_clause 0x2
	buffer_load_dword v162, off, s[0:3], 0 offset:380
	buffer_load_dword v109, off, s[0:3], 0 offset:356
	;; [unrolled: 1-line block ×3, first 2 shown]
	s_waitcnt vmcnt(58) lgkmcnt(0)
	v_mul_f64 v[112:113], v[1:2], v[89:90]
	v_mul_f64 v[89:90], v[3:4], v[89:90]
	s_waitcnt vmcnt(56)
	v_fma_f64 v[85:86], v[77:78], v[91:92], -v[85:86]
	ds_read_b128 v[102:105], v101 offset:720
	v_fma_f64 v[91:92], v[79:80], v[91:92], v[164:165]
	v_add_f64 v[106:107], v[106:107], v[110:111]
	v_add_f64 v[81:82], v[81:82], v[97:98]
	s_clause 0x4
	buffer_load_dword v98, off, s[0:3], 0 offset:396
	buffer_load_dword v110, off, s[0:3], 0 offset:408
	;; [unrolled: 1-line block ×5, first 2 shown]
	ds_read_b128 v[77:80], v101 offset:736
	s_waitcnt vmcnt(57) lgkmcnt(1)
	v_mul_f64 v[165:166], v[102:103], v[93:94]
	v_mul_f64 v[93:94], v[104:105], v[93:94]
	s_waitcnt vmcnt(56)
	v_fma_f64 v[89:90], v[1:2], v[83:84], -v[89:90]
	v_fma_f64 v[83:84], v[3:4], v[83:84], v[112:113]
	v_add_f64 v[85:86], v[106:107], v[85:86]
	v_add_f64 v[81:82], v[81:82], v[91:92]
	s_clause 0x2
	buffer_load_dword v111, off, s[0:3], 0 offset:412
	buffer_load_dword v92, off, s[0:3], 0 offset:388
	;; [unrolled: 1-line block ×3, first 2 shown]
	s_waitcnt vmcnt(58) lgkmcnt(0)
	v_mul_f64 v[106:107], v[77:78], v[99:100]
	v_mul_f64 v[99:100], v[79:80], v[99:100]
	s_waitcnt vmcnt(56)
	v_fma_f64 v[93:94], v[102:103], v[114:115], -v[93:94]
	ds_read_b128 v[1:4], v101 offset:752
	v_add_f64 v[85:86], v[85:86], v[89:90]
	v_fma_f64 v[89:90], v[104:105], v[114:115], v[165:166]
	v_add_f64 v[102:103], v[81:82], v[83:84]
	s_clause 0x4
	buffer_load_dword v105, off, s[0:3], 0 offset:428
	buffer_load_dword v112, off, s[0:3], 0 offset:440
	buffer_load_dword v114, off, s[0:3], 0 offset:432
	buffer_load_dword v104, off, s[0:3], 0 offset:424
	buffer_load_dword v160, off, s[0:3], 0 offset:404
	ds_read_b128 v[81:84], v101 offset:768
	s_waitcnt vmcnt(57) lgkmcnt(1)
	v_mul_f64 v[165:166], v[1:2], v[116:117]
	v_mul_f64 v[115:116], v[3:4], v[116:117]
	s_waitcnt vmcnt(56)
	v_fma_f64 v[99:100], v[77:78], v[87:88], -v[99:100]
	v_fma_f64 v[87:88], v[79:80], v[87:88], v[106:107]
	v_add_f64 v[85:86], v[85:86], v[93:94]
	s_clause 0x2
	buffer_load_dword v113, off, s[0:3], 0 offset:444
	buffer_load_dword v94, off, s[0:3], 0 offset:420
	;; [unrolled: 1-line block ×3, first 2 shown]
	v_add_f64 v[89:90], v[102:103], v[89:90]
	s_waitcnt vmcnt(58) lgkmcnt(0)
	v_mul_f64 v[106:107], v[83:84], v[118:119]
	ds_read_b128 v[77:80], v101 offset:784
	v_mul_f64 v[102:103], v[81:82], v[118:119]
	s_waitcnt vmcnt(56)
	v_fma_f64 v[116:117], v[1:2], v[120:121], -v[115:116]
	v_add_f64 v[85:86], v[85:86], v[99:100]
	v_fma_f64 v[99:100], v[3:4], v[120:121], v[165:166]
	v_add_f64 v[87:88], v[89:90], v[87:88]
	s_clause 0x4
	buffer_load_dword v90, off, s[0:3], 0 offset:460
	buffer_load_dword v118, off, s[0:3], 0 offset:472
	buffer_load_dword v120, off, s[0:3], 0 offset:464
	buffer_load_dword v89, off, s[0:3], 0 offset:456
	buffer_load_dword v115, off, s[0:3], 0 offset:436
	s_waitcnt vmcnt(57) lgkmcnt(0)
	v_mul_f64 v[121:122], v[77:78], v[124:125]
	v_mul_f64 v[124:125], v[79:80], v[124:125]
	s_waitcnt vmcnt(56)
	v_fma_f64 v[106:107], v[81:82], v[95:96], -v[106:107]
	ds_read_b128 v[1:4], v101 offset:800
	v_fma_f64 v[95:96], v[83:84], v[95:96], v[102:103]
	v_add_f64 v[85:86], v[85:86], v[116:117]
	v_add_f64 v[87:88], v[87:88], v[99:100]
	s_clause 0x2
	buffer_load_dword v119, off, s[0:3], 0 offset:476
	buffer_load_dword v100, off, s[0:3], 0 offset:452
	buffer_load_dword v99, off, s[0:3], 0 offset:448
	ds_read_b128 v[81:84], v101 offset:816
	s_waitcnt vmcnt(58) lgkmcnt(1)
	v_mul_f64 v[116:117], v[3:4], v[126:127]
	s_waitcnt vmcnt(56)
	v_fma_f64 v[124:125], v[77:78], v[130:131], -v[124:125]
	v_mul_f64 v[102:103], v[1:2], v[126:127]
	v_add_f64 v[85:86], v[85:86], v[106:107]
	v_fma_f64 v[106:107], v[79:80], v[130:131], v[121:122]
	v_add_f64 v[87:88], v[87:88], v[95:96]
	s_clause 0x4
	buffer_load_dword v96, off, s[0:3], 0 offset:492
	buffer_load_dword v126, off, s[0:3], 0 offset:504
	buffer_load_dword v130, off, s[0:3], 0 offset:496
	buffer_load_dword v95, off, s[0:3], 0 offset:488
	buffer_load_dword v121, off, s[0:3], 0 offset:468
	s_waitcnt vmcnt(57) lgkmcnt(0)
	v_mul_f64 v[165:166], v[81:82], v[132:133]
	v_mul_f64 v[131:132], v[83:84], v[132:133]
	s_waitcnt vmcnt(56)
	v_fma_f64 v[116:117], v[1:2], v[128:129], -v[116:117]
	ds_read_b128 v[77:80], v101 offset:832
	v_fma_f64 v[102:103], v[3:4], v[128:129], v[102:103]
	v_add_f64 v[85:86], v[85:86], v[124:125]
	v_add_f64 v[87:88], v[87:88], v[106:107]
	s_clause 0x2
	buffer_load_dword v127, off, s[0:3], 0 offset:508
	buffer_load_dword v107, off, s[0:3], 0 offset:484
	buffer_load_dword v106, off, s[0:3], 0 offset:480
	ds_read_b128 v[1:4], v101 offset:848
	s_waitcnt vmcnt(58) lgkmcnt(1)
	v_mul_f64 v[128:129], v[79:80], v[134:135]
	s_waitcnt vmcnt(56)
	v_fma_f64 v[132:133], v[81:82], v[138:139], -v[131:132]
	v_mul_f64 v[124:125], v[77:78], v[134:135]
	;; [unrolled: 28-line block ×4, first 2 shown]
	v_add_f64 v[85:86], v[85:86], v[136:137]
	v_fma_f64 v[136:137], v[79:80], v[157:158], v[165:166]
	v_add_f64 v[87:88], v[87:88], v[132:133]
	s_clause 0x2
	buffer_load_dword v133, off, s[0:3], 0 offset:588
	buffer_load_dword v132, off, s[0:3], 0 offset:584
	;; [unrolled: 1-line block ×3, first 2 shown]
	ds_read_b128 v[77:80], v101 offset:928
	s_waitcnt vmcnt(55) lgkmcnt(1)
	v_mul_f64 v[152:153], v[81:82], v[148:149]
	v_mul_f64 v[148:149], v[83:84], v[148:149]
	s_waitcnt vmcnt(54)
	v_fma_f64 v[144:145], v[1:2], v[154:155], -v[144:145]
	v_fma_f64 v[140:141], v[3:4], v[154:155], v[140:141]
	v_add_f64 v[85:86], v[85:86], v[150:151]
	v_add_f64 v[87:88], v[87:88], v[136:137]
	s_clause 0x1
	buffer_load_dword v137, off, s[0:3], 0 offset:580
	buffer_load_dword v136, off, s[0:3], 0 offset:576
	ds_read_b128 v[1:4], v101 offset:944
	s_waitcnt vmcnt(55) lgkmcnt(1)
	v_mul_f64 v[154:155], v[79:80], v[161:162]
	v_mul_f64 v[150:151], v[77:78], v[161:162]
	s_waitcnt vmcnt(53)
	v_fma_f64 v[148:149], v[81:82], v[108:109], -v[148:149]
	v_fma_f64 v[108:109], v[83:84], v[108:109], v[152:153]
	ds_read_b128 v[81:84], v101 offset:960
	v_add_f64 v[85:86], v[85:86], v[144:145]
	v_add_f64 v[87:88], v[87:88], v[140:141]
	s_waitcnt vmcnt(49) lgkmcnt(1)
	v_mul_f64 v[140:141], v[1:2], v[97:98]
	v_mul_f64 v[97:98], v[3:4], v[97:98]
	s_waitcnt vmcnt(48)
	v_fma_f64 v[144:145], v[77:78], v[163:164], -v[154:155]
	v_add_f64 v[85:86], v[85:86], v[148:149]
	v_fma_f64 v[148:149], v[79:80], v[163:164], v[150:151]
	v_add_f64 v[87:88], v[87:88], v[108:109]
	s_clause 0x3
	buffer_load_dword v108, off, s[0:3], 0 offset:64
	buffer_load_dword v109, off, s[0:3], 0 offset:68
	;; [unrolled: 1-line block ×4, first 2 shown]
	ds_read_b128 v[77:80], v101 offset:976
	s_waitcnt vmcnt(51) lgkmcnt(1)
	v_mul_f64 v[152:153], v[81:82], v[110:111]
	v_mul_f64 v[110:111], v[83:84], v[110:111]
	s_waitcnt vmcnt(49)
	v_fma_f64 v[97:98], v[1:2], v[91:92], -v[97:98]
	v_fma_f64 v[91:92], v[3:4], v[91:92], v[140:141]
	ds_read_b128 v[1:4], v101 offset:992
	v_add_f64 v[85:86], v[85:86], v[144:145]
	v_add_f64 v[87:88], v[87:88], v[148:149]
	s_waitcnt vmcnt(45) lgkmcnt(1)
	v_mul_f64 v[140:141], v[77:78], v[104:105]
	v_mul_f64 v[104:105], v[79:80], v[104:105]
	s_waitcnt vmcnt(44)
	v_fma_f64 v[110:111], v[81:82], v[159:160], -v[110:111]
	v_add_f64 v[85:86], v[85:86], v[97:98]
	v_fma_f64 v[97:98], v[83:84], v[159:160], v[152:153]
	v_add_f64 v[87:88], v[87:88], v[91:92]
	ds_read_b128 v[81:84], v101 offset:1008
	s_waitcnt vmcnt(43) lgkmcnt(1)
	v_mul_f64 v[91:92], v[1:2], v[112:113]
	v_mul_f64 v[112:113], v[3:4], v[112:113]
	s_waitcnt vmcnt(41)
	v_fma_f64 v[104:105], v[77:78], v[93:94], -v[104:105]
	v_fma_f64 v[93:94], v[79:80], v[93:94], v[140:141]
	ds_read_b128 v[77:80], v101 offset:1024
	v_add_f64 v[85:86], v[85:86], v[110:111]
	v_add_f64 v[87:88], v[87:88], v[97:98]
	s_waitcnt vmcnt(37) lgkmcnt(1)
	v_mul_f64 v[97:98], v[81:82], v[89:90]
	v_mul_f64 v[89:90], v[83:84], v[89:90]
	s_waitcnt vmcnt(36)
	v_fma_f64 v[110:111], v[1:2], v[114:115], -v[112:113]
	v_fma_f64 v[91:92], v[3:4], v[114:115], v[91:92]
	ds_read_b128 v[1:4], v101 offset:1040
	v_add_f64 v[85:86], v[85:86], v[104:105]
	v_add_f64 v[87:88], v[87:88], v[93:94]
	;; [unrolled: 9-line block ×3, first 2 shown]
	s_waitcnt vmcnt(29) lgkmcnt(1)
	v_mul_f64 v[91:92], v[1:2], v[95:96]
	v_mul_f64 v[95:96], v[3:4], v[95:96]
	s_waitcnt vmcnt(28)
	v_fma_f64 v[99:100], v[77:78], v[120:121], -v[104:105]
	v_add_f64 v[85:86], v[85:86], v[89:90]
	v_fma_f64 v[89:90], v[79:80], v[120:121], v[93:94]
	v_add_f64 v[87:88], v[87:88], v[97:98]
	ds_read_b128 v[77:80], v101 offset:1072
	s_waitcnt vmcnt(27) lgkmcnt(1)
	v_mul_f64 v[97:98], v[83:84], v[126:127]
	v_mul_f64 v[93:94], v[81:82], v[126:127]
	s_waitcnt vmcnt(25)
	v_fma_f64 v[95:96], v[1:2], v[106:107], -v[95:96]
	v_fma_f64 v[91:92], v[3:4], v[106:107], v[91:92]
	ds_read_b128 v[1:4], v101 offset:1088
	v_add_f64 v[85:86], v[85:86], v[99:100]
	v_add_f64 v[87:88], v[87:88], v[89:90]
	s_waitcnt vmcnt(21) lgkmcnt(1)
	v_mul_f64 v[99:100], v[79:80], v[102:103]
	s_waitcnt vmcnt(20)
	v_fma_f64 v[97:98], v[81:82], v[130:131], -v[97:98]
	v_mul_f64 v[89:90], v[77:78], v[102:103]
	v_fma_f64 v[93:94], v[83:84], v[130:131], v[93:94]
	ds_read_b128 v[81:84], v101 offset:1104
	v_add_f64 v[85:86], v[85:86], v[95:96]
	v_add_f64 v[87:88], v[87:88], v[91:92]
	s_waitcnt vmcnt(19) lgkmcnt(1)
	v_mul_f64 v[95:96], v[3:4], v[134:135]
	v_mul_f64 v[91:92], v[1:2], v[134:135]
	s_waitcnt vmcnt(17)
	v_fma_f64 v[99:100], v[77:78], v[116:117], -v[99:100]
	v_fma_f64 v[89:90], v[79:80], v[116:117], v[89:90]
	ds_read_b128 v[77:80], v101 offset:1120
	v_add_f64 v[85:86], v[85:86], v[97:98]
	v_add_f64 v[87:88], v[87:88], v[93:94]
	s_waitcnt vmcnt(13) lgkmcnt(1)
	v_mul_f64 v[97:98], v[83:84], v[124:125]
	s_waitcnt vmcnt(12)
	v_fma_f64 v[95:96], v[1:2], v[138:139], -v[95:96]
	v_mul_f64 v[93:94], v[81:82], v[124:125]
	v_fma_f64 v[91:92], v[3:4], v[138:139], v[91:92]
	ds_read_b128 v[1:4], v101 offset:1136
	v_add_f64 v[85:86], v[85:86], v[99:100]
	v_add_f64 v[87:88], v[87:88], v[89:90]
	s_waitcnt vmcnt(11) lgkmcnt(1)
	v_mul_f64 v[99:100], v[79:80], v[142:143]
	v_mul_f64 v[89:90], v[77:78], v[142:143]
	s_waitcnt vmcnt(9)
	v_fma_f64 v[81:82], v[81:82], v[128:129], -v[97:98]
	v_fma_f64 v[83:84], v[83:84], v[128:129], v[93:94]
	v_add_f64 v[85:86], v[85:86], v[95:96]
	v_add_f64 v[87:88], v[87:88], v[91:92]
	s_waitcnt vmcnt(7) lgkmcnt(0)
	v_mul_f64 v[93:94], v[3:4], v[132:133]
	s_waitcnt vmcnt(6)
	v_fma_f64 v[77:78], v[77:78], v[146:147], -v[99:100]
	v_mul_f64 v[91:92], v[1:2], v[132:133]
	v_fma_f64 v[79:80], v[79:80], v[146:147], v[89:90]
	v_add_f64 v[81:82], v[85:86], v[81:82]
	v_add_f64 v[83:84], v[87:88], v[83:84]
	s_waitcnt vmcnt(4)
	v_fma_f64 v[1:2], v[1:2], v[136:137], -v[93:94]
	v_fma_f64 v[3:4], v[3:4], v[136:137], v[91:92]
	v_add_f64 v[77:78], v[81:82], v[77:78]
	v_add_f64 v[79:80], v[83:84], v[79:80]
	;; [unrolled: 1-line block ×4, first 2 shown]
	s_waitcnt vmcnt(2)
	v_add_f64 v[1:2], v[108:109], -v[1:2]
	s_waitcnt vmcnt(0)
	v_add_f64 v[3:4], v[150:151], -v[3:4]
	buffer_store_dword v2, off, s[0:3], 0 offset:68
	buffer_store_dword v1, off, s[0:3], 0 offset:64
	;; [unrolled: 1-line block ×4, first 2 shown]
	v_cmpx_lt_u32_e32 2, v0
	s_cbranch_execz .LBB99_225
; %bb.224:
	v_mov_b32_e32 v4, s46
	v_mov_b32_e32 v77, 0
	s_clause 0x3
	buffer_load_dword v1, v4, s[0:3], 0 offen
	buffer_load_dword v2, v4, s[0:3], 0 offen offset:4
	buffer_load_dword v3, v4, s[0:3], 0 offen offset:8
	;; [unrolled: 1-line block ×3, first 2 shown]
	buffer_store_dword v77, off, s[0:3], 0 offset:48
	buffer_store_dword v77, off, s[0:3], 0 offset:52
	;; [unrolled: 1-line block ×4, first 2 shown]
	s_waitcnt vmcnt(0)
	ds_write_b128 v123, v[1:4]
.LBB99_225:
	s_or_b32 exec_lo, exec_lo, s4
	s_waitcnt lgkmcnt(0)
	s_waitcnt_vscnt null, 0x0
	s_barrier
	buffer_gl0_inv
	s_clause 0x37
	buffer_load_dword v81, off, s[0:3], 0 offset:72
	buffer_load_dword v82, off, s[0:3], 0 offset:76
	;; [unrolled: 1-line block ×56, first 2 shown]
	v_mov_b32_e32 v124, 0
	s_mov_b32 s4, exec_lo
	ds_read_b128 v[111:114], v124 offset:624
	s_clause 0x2
	buffer_load_dword v142, off, s[0:3], 0 offset:300
	buffer_load_dword v146, off, s[0:3], 0 offset:276
	;; [unrolled: 1-line block ×3, first 2 shown]
	ds_read_b128 v[115:118], v124 offset:640
	s_clause 0x4
	buffer_load_dword v150, off, s[0:3], 0 offset:316
	buffer_load_dword v151, off, s[0:3], 0 offset:328
	;; [unrolled: 1-line block ×5, first 2 shown]
	ds_read_b128 v[119:122], v124 offset:656
	s_clause 0x2
	buffer_load_dword v152, off, s[0:3], 0 offset:332
	buffer_load_dword v157, off, s[0:3], 0 offset:308
	;; [unrolled: 1-line block ×3, first 2 shown]
	s_waitcnt vmcnt(62) lgkmcnt(2)
	v_mul_f64 v[147:148], v[113:114], v[81:82]
	v_mul_f64 v[81:82], v[111:112], v[81:82]
	s_waitcnt lgkmcnt(1)
	v_mul_f64 v[154:155], v[117:118], v[77:78]
	s_waitcnt vmcnt(59) lgkmcnt(0)
	v_mul_f64 v[158:159], v[121:122], v[3:4]
	v_fma_f64 v[111:112], v[111:112], v[79:80], -v[147:148]
	v_mul_f64 v[147:148], v[115:116], v[77:78]
	v_fma_f64 v[81:82], v[113:114], v[79:80], v[81:82]
	s_waitcnt vmcnt(57)
	v_fma_f64 v[115:116], v[115:116], v[1:2], -v[154:155]
	ds_read_b128 v[77:80], v124 offset:672
	v_mul_f64 v[113:114], v[119:120], v[3:4]
	s_waitcnt vmcnt(51)
	v_fma_f64 v[119:120], v[119:120], v[97:98], -v[158:159]
	v_add_f64 v[111:112], v[111:112], 0
	v_fma_f64 v[117:118], v[117:118], v[1:2], v[147:148]
	v_add_f64 v[81:82], v[81:82], 0
	s_clause 0x4
	buffer_load_dword v148, off, s[0:3], 0 offset:348
	buffer_load_dword v160, off, s[0:3], 0 offset:360
	;; [unrolled: 1-line block ×5, first 2 shown]
	s_waitcnt lgkmcnt(0)
	v_mul_f64 v[163:164], v[77:78], v[85:86]
	v_mul_f64 v[85:86], v[79:80], v[85:86]
	ds_read_b128 v[1:4], v124 offset:688
	v_fma_f64 v[97:98], v[121:122], v[97:98], v[113:114]
	v_add_f64 v[115:116], v[111:112], v[115:116]
	v_add_f64 v[81:82], v[81:82], v[117:118]
	s_clause 0x2
	buffer_load_dword v161, off, s[0:3], 0 offset:364
	buffer_load_dword v118, off, s[0:3], 0 offset:340
	;; [unrolled: 1-line block ×3, first 2 shown]
	s_waitcnt vmcnt(58) lgkmcnt(0)
	v_mul_f64 v[121:122], v[1:2], v[89:90]
	v_mul_f64 v[89:90], v[3:4], v[89:90]
	s_waitcnt vmcnt(56)
	v_fma_f64 v[85:86], v[77:78], v[91:92], -v[85:86]
	ds_read_b128 v[111:114], v124 offset:704
	v_fma_f64 v[91:92], v[79:80], v[91:92], v[163:164]
	v_add_f64 v[115:116], v[115:116], v[119:120]
	v_add_f64 v[81:82], v[81:82], v[97:98]
	s_clause 0x4
	buffer_load_dword v98, off, s[0:3], 0 offset:380
	buffer_load_dword v119, off, s[0:3], 0 offset:392
	;; [unrolled: 1-line block ×5, first 2 shown]
	ds_read_b128 v[77:80], v124 offset:720
	s_waitcnt vmcnt(57) lgkmcnt(1)
	v_mul_f64 v[164:165], v[111:112], v[93:94]
	v_mul_f64 v[93:94], v[113:114], v[93:94]
	s_waitcnt vmcnt(56)
	v_fma_f64 v[89:90], v[1:2], v[83:84], -v[89:90]
	v_fma_f64 v[83:84], v[3:4], v[83:84], v[121:122]
	v_add_f64 v[85:86], v[115:116], v[85:86]
	v_add_f64 v[81:82], v[81:82], v[91:92]
	s_clause 0x2
	buffer_load_dword v120, off, s[0:3], 0 offset:396
	buffer_load_dword v92, off, s[0:3], 0 offset:372
	;; [unrolled: 1-line block ×3, first 2 shown]
	s_waitcnt vmcnt(58) lgkmcnt(0)
	v_mul_f64 v[115:116], v[77:78], v[99:100]
	v_mul_f64 v[99:100], v[79:80], v[99:100]
	s_waitcnt vmcnt(56)
	v_fma_f64 v[93:94], v[111:112], v[101:102], -v[93:94]
	ds_read_b128 v[1:4], v124 offset:736
	v_add_f64 v[85:86], v[85:86], v[89:90]
	v_fma_f64 v[89:90], v[113:114], v[101:102], v[164:165]
	v_add_f64 v[101:102], v[81:82], v[83:84]
	s_clause 0x4
	buffer_load_dword v112, off, s[0:3], 0 offset:412
	buffer_load_dword v113, off, s[0:3], 0 offset:424
	;; [unrolled: 1-line block ×5, first 2 shown]
	ds_read_b128 v[81:84], v124 offset:752
	s_waitcnt vmcnt(57) lgkmcnt(1)
	v_mul_f64 v[164:165], v[1:2], v[103:104]
	v_mul_f64 v[103:104], v[3:4], v[103:104]
	s_waitcnt vmcnt(56)
	v_fma_f64 v[99:100], v[77:78], v[87:88], -v[99:100]
	v_fma_f64 v[87:88], v[79:80], v[87:88], v[115:116]
	v_add_f64 v[85:86], v[85:86], v[93:94]
	s_clause 0x2
	buffer_load_dword v114, off, s[0:3], 0 offset:428
	buffer_load_dword v94, off, s[0:3], 0 offset:404
	;; [unrolled: 1-line block ×3, first 2 shown]
	v_add_f64 v[89:90], v[101:102], v[89:90]
	s_waitcnt vmcnt(58) lgkmcnt(0)
	v_mul_f64 v[101:102], v[81:82], v[107:108]
	v_mul_f64 v[107:108], v[83:84], v[107:108]
	ds_read_b128 v[77:80], v124 offset:768
	s_waitcnt vmcnt(56)
	v_fma_f64 v[103:104], v[1:2], v[109:110], -v[103:104]
	v_add_f64 v[85:86], v[85:86], v[99:100]
	v_fma_f64 v[99:100], v[3:4], v[109:110], v[164:165]
	v_add_f64 v[87:88], v[89:90], v[87:88]
	s_clause 0x4
	buffer_load_dword v90, off, s[0:3], 0 offset:444
	buffer_load_dword v109, off, s[0:3], 0 offset:456
	;; [unrolled: 1-line block ×5, first 2 shown]
	s_waitcnt vmcnt(57) lgkmcnt(0)
	v_mul_f64 v[164:165], v[77:78], v[125:126]
	v_mul_f64 v[125:126], v[79:80], v[125:126]
	s_waitcnt vmcnt(56)
	v_fma_f64 v[107:108], v[81:82], v[95:96], -v[107:108]
	ds_read_b128 v[1:4], v124 offset:784
	v_fma_f64 v[95:96], v[83:84], v[95:96], v[101:102]
	v_add_f64 v[85:86], v[85:86], v[103:104]
	v_add_f64 v[87:88], v[87:88], v[99:100]
	s_clause 0x2
	buffer_load_dword v110, off, s[0:3], 0 offset:460
	buffer_load_dword v100, off, s[0:3], 0 offset:436
	buffer_load_dword v99, off, s[0:3], 0 offset:432
	ds_read_b128 v[81:84], v124 offset:800
	s_waitcnt vmcnt(58) lgkmcnt(1)
	v_mul_f64 v[103:104], v[3:4], v[127:128]
	s_waitcnt vmcnt(56)
	v_fma_f64 v[125:126], v[77:78], v[129:130], -v[125:126]
	v_mul_f64 v[101:102], v[1:2], v[127:128]
	v_add_f64 v[85:86], v[85:86], v[107:108]
	v_fma_f64 v[107:108], v[79:80], v[129:130], v[164:165]
	v_add_f64 v[87:88], v[87:88], v[95:96]
	s_clause 0x4
	buffer_load_dword v96, off, s[0:3], 0 offset:476
	buffer_load_dword v127, off, s[0:3], 0 offset:488
	;; [unrolled: 1-line block ×5, first 2 shown]
	s_waitcnt vmcnt(57) lgkmcnt(0)
	v_mul_f64 v[164:165], v[81:82], v[131:132]
	v_mul_f64 v[130:131], v[83:84], v[131:132]
	s_waitcnt vmcnt(56)
	v_fma_f64 v[103:104], v[1:2], v[105:106], -v[103:104]
	ds_read_b128 v[77:80], v124 offset:816
	v_fma_f64 v[101:102], v[3:4], v[105:106], v[101:102]
	s_clause 0x2
	buffer_load_dword v128, off, s[0:3], 0 offset:492
	buffer_load_dword v106, off, s[0:3], 0 offset:468
	;; [unrolled: 1-line block ×3, first 2 shown]
	ds_read_b128 v[1:4], v124 offset:832
	v_add_f64 v[85:86], v[85:86], v[125:126]
	v_add_f64 v[87:88], v[87:88], v[107:108]
	s_waitcnt vmcnt(58) lgkmcnt(1)
	v_mul_f64 v[125:126], v[79:80], v[133:134]
	s_waitcnt vmcnt(56)
	v_fma_f64 v[131:132], v[81:82], v[137:138], -v[130:131]
	v_mul_f64 v[107:108], v[77:78], v[133:134]
	v_add_f64 v[85:86], v[85:86], v[103:104]
	v_fma_f64 v[103:104], v[83:84], v[137:138], v[164:165]
	v_add_f64 v[87:88], v[87:88], v[101:102]
	s_clause 0x4
	buffer_load_dword v102, off, s[0:3], 0 offset:508
	buffer_load_dword v133, off, s[0:3], 0 offset:520
	;; [unrolled: 1-line block ×5, first 2 shown]
	s_waitcnt vmcnt(57) lgkmcnt(0)
	v_mul_f64 v[164:165], v[1:2], v[139:140]
	v_mul_f64 v[138:139], v[3:4], v[139:140]
	s_waitcnt vmcnt(56)
	v_fma_f64 v[125:126], v[77:78], v[135:136], -v[125:126]
	ds_read_b128 v[81:84], v124 offset:848
	v_fma_f64 v[107:108], v[79:80], v[135:136], v[107:108]
	v_add_f64 v[85:86], v[85:86], v[131:132]
	v_add_f64 v[87:88], v[87:88], v[103:104]
	s_clause 0x2
	buffer_load_dword v134, off, s[0:3], 0 offset:524
	buffer_load_dword v104, off, s[0:3], 0 offset:500
	;; [unrolled: 1-line block ×3, first 2 shown]
	ds_read_b128 v[77:80], v124 offset:864
	s_waitcnt vmcnt(58) lgkmcnt(1)
	v_mul_f64 v[135:136], v[83:84], v[141:142]
	s_waitcnt vmcnt(56)
	v_fma_f64 v[139:140], v[1:2], v[145:146], -v[138:139]
	v_mul_f64 v[131:132], v[81:82], v[141:142]
	v_add_f64 v[85:86], v[85:86], v[125:126]
	v_fma_f64 v[125:126], v[3:4], v[145:146], v[164:165]
	v_add_f64 v[87:88], v[87:88], v[107:108]
	s_clause 0x4
	buffer_load_dword v108, off, s[0:3], 0 offset:540
	buffer_load_dword v141, off, s[0:3], 0 offset:552
	;; [unrolled: 1-line block ×5, first 2 shown]
	s_waitcnt vmcnt(57) lgkmcnt(0)
	v_mul_f64 v[164:165], v[77:78], v[149:150]
	v_mul_f64 v[149:150], v[79:80], v[149:150]
	s_waitcnt vmcnt(56)
	v_fma_f64 v[135:136], v[81:82], v[143:144], -v[135:136]
	ds_read_b128 v[1:4], v124 offset:880
	v_fma_f64 v[131:132], v[83:84], v[143:144], v[131:132]
	v_add_f64 v[85:86], v[85:86], v[139:140]
	v_add_f64 v[87:88], v[87:88], v[125:126]
	s_clause 0x2
	buffer_load_dword v142, off, s[0:3], 0 offset:556
	buffer_load_dword v126, off, s[0:3], 0 offset:532
	buffer_load_dword v125, off, s[0:3], 0 offset:528
	ds_read_b128 v[81:84], v124 offset:896
	s_waitcnt vmcnt(58) lgkmcnt(1)
	v_mul_f64 v[143:144], v[3:4], v[151:152]
	s_waitcnt vmcnt(56)
	v_fma_f64 v[149:150], v[77:78], v[156:157], -v[149:150]
	v_mul_f64 v[139:140], v[1:2], v[151:152]
	v_add_f64 v[85:86], v[85:86], v[135:136]
	v_fma_f64 v[135:136], v[79:80], v[156:157], v[164:165]
	v_add_f64 v[87:88], v[87:88], v[131:132]
	s_clause 0x4
	buffer_load_dword v132, off, s[0:3], 0 offset:572
	buffer_load_dword v151, off, s[0:3], 0 offset:584
	;; [unrolled: 1-line block ×5, first 2 shown]
	ds_read_b128 v[77:80], v124 offset:912
	s_waitcnt vmcnt(57) lgkmcnt(1)
	v_mul_f64 v[156:157], v[81:82], v[147:148]
	v_mul_f64 v[147:148], v[83:84], v[147:148]
	s_waitcnt vmcnt(56)
	v_fma_f64 v[143:144], v[1:2], v[153:154], -v[143:144]
	v_fma_f64 v[139:140], v[3:4], v[153:154], v[139:140]
	v_add_f64 v[85:86], v[85:86], v[149:150]
	v_add_f64 v[87:88], v[87:88], v[135:136]
	s_clause 0x2
	buffer_load_dword v152, off, s[0:3], 0 offset:588
	buffer_load_dword v136, off, s[0:3], 0 offset:564
	;; [unrolled: 1-line block ×3, first 2 shown]
	ds_read_b128 v[1:4], v124 offset:928
	s_waitcnt vmcnt(58) lgkmcnt(1)
	v_mul_f64 v[153:154], v[79:80], v[160:161]
	v_mul_f64 v[149:150], v[77:78], v[160:161]
	s_waitcnt vmcnt(56)
	v_fma_f64 v[147:148], v[81:82], v[117:118], -v[147:148]
	v_fma_f64 v[117:118], v[83:84], v[117:118], v[156:157]
	buffer_load_dword v156, off, s[0:3], 0 offset:580
	ds_read_b128 v[81:84], v124 offset:944
	v_add_f64 v[85:86], v[85:86], v[143:144]
	v_add_f64 v[87:88], v[87:88], v[139:140]
	s_waitcnt vmcnt(53) lgkmcnt(1)
	v_mul_f64 v[139:140], v[1:2], v[97:98]
	v_mul_f64 v[97:98], v[3:4], v[97:98]
	s_waitcnt vmcnt(52)
	v_fma_f64 v[143:144], v[77:78], v[162:163], -v[153:154]
	v_add_f64 v[85:86], v[85:86], v[147:148]
	v_fma_f64 v[147:148], v[79:80], v[162:163], v[149:150]
	v_add_f64 v[87:88], v[87:88], v[117:118]
	ds_read_b128 v[77:80], v124 offset:960
	s_waitcnt vmcnt(51) lgkmcnt(1)
	v_mul_f64 v[117:118], v[81:82], v[119:120]
	v_mul_f64 v[119:120], v[83:84], v[119:120]
	s_waitcnt vmcnt(49)
	v_fma_f64 v[97:98], v[1:2], v[91:92], -v[97:98]
	v_fma_f64 v[91:92], v[3:4], v[91:92], v[139:140]
	v_add_f64 v[85:86], v[85:86], v[143:144]
	s_clause 0x3
	buffer_load_dword v139, off, s[0:3], 0 offset:48
	buffer_load_dword v140, off, s[0:3], 0 offset:52
	;; [unrolled: 1-line block ×4, first 2 shown]
	v_add_f64 v[87:88], v[87:88], v[147:148]
	ds_read_b128 v[1:4], v124 offset:976
	s_waitcnt vmcnt(49) lgkmcnt(1)
	v_mul_f64 v[147:148], v[77:78], v[111:112]
	v_mul_f64 v[111:112], v[79:80], v[111:112]
	s_waitcnt vmcnt(48)
	v_fma_f64 v[119:120], v[81:82], v[158:159], -v[119:120]
	v_add_f64 v[85:86], v[85:86], v[97:98]
	v_fma_f64 v[97:98], v[83:84], v[158:159], v[117:118]
	v_add_f64 v[87:88], v[87:88], v[91:92]
	ds_read_b128 v[81:84], v124 offset:992
	s_waitcnt vmcnt(47) lgkmcnt(1)
	v_mul_f64 v[91:92], v[1:2], v[113:114]
	v_mul_f64 v[113:114], v[3:4], v[113:114]
	s_waitcnt vmcnt(45)
	v_fma_f64 v[111:112], v[77:78], v[93:94], -v[111:112]
	v_fma_f64 v[93:94], v[79:80], v[93:94], v[147:148]
	ds_read_b128 v[77:80], v124 offset:1008
	v_add_f64 v[85:86], v[85:86], v[119:120]
	v_add_f64 v[87:88], v[87:88], v[97:98]
	s_waitcnt vmcnt(41) lgkmcnt(1)
	v_mul_f64 v[97:98], v[81:82], v[89:90]
	v_mul_f64 v[89:90], v[83:84], v[89:90]
	s_waitcnt vmcnt(40)
	v_fma_f64 v[113:114], v[1:2], v[121:122], -v[113:114]
	v_fma_f64 v[91:92], v[3:4], v[121:122], v[91:92]
	ds_read_b128 v[1:4], v124 offset:1024
	v_add_f64 v[85:86], v[85:86], v[111:112]
	v_add_f64 v[87:88], v[87:88], v[93:94]
	;; [unrolled: 9-line block ×3, first 2 shown]
	s_waitcnt vmcnt(33) lgkmcnt(1)
	v_mul_f64 v[91:92], v[1:2], v[95:96]
	v_mul_f64 v[95:96], v[3:4], v[95:96]
	s_waitcnt vmcnt(32)
	v_fma_f64 v[99:100], v[77:78], v[115:116], -v[109:110]
	v_add_f64 v[85:86], v[85:86], v[89:90]
	v_fma_f64 v[89:90], v[79:80], v[115:116], v[93:94]
	v_add_f64 v[87:88], v[87:88], v[97:98]
	ds_read_b128 v[77:80], v124 offset:1056
	s_waitcnt vmcnt(31) lgkmcnt(1)
	v_mul_f64 v[97:98], v[83:84], v[127:128]
	v_mul_f64 v[93:94], v[81:82], v[127:128]
	s_waitcnt vmcnt(29)
	v_fma_f64 v[91:92], v[3:4], v[105:106], v[91:92]
	v_fma_f64 v[95:96], v[1:2], v[105:106], -v[95:96]
	ds_read_b128 v[1:4], v124 offset:1072
	v_add_f64 v[85:86], v[85:86], v[99:100]
	v_add_f64 v[87:88], v[87:88], v[89:90]
	s_waitcnt vmcnt(25) lgkmcnt(1)
	v_mul_f64 v[99:100], v[79:80], v[101:102]
	s_waitcnt vmcnt(24)
	v_fma_f64 v[97:98], v[81:82], v[129:130], -v[97:98]
	v_mul_f64 v[89:90], v[77:78], v[101:102]
	v_fma_f64 v[93:94], v[83:84], v[129:130], v[93:94]
	ds_read_b128 v[81:84], v124 offset:1088
	v_add_f64 v[85:86], v[85:86], v[95:96]
	v_add_f64 v[87:88], v[87:88], v[91:92]
	s_waitcnt vmcnt(23) lgkmcnt(1)
	v_mul_f64 v[95:96], v[3:4], v[133:134]
	v_mul_f64 v[91:92], v[1:2], v[133:134]
	s_waitcnt vmcnt(21)
	v_fma_f64 v[99:100], v[77:78], v[103:104], -v[99:100]
	v_fma_f64 v[89:90], v[79:80], v[103:104], v[89:90]
	ds_read_b128 v[77:80], v124 offset:1104
	v_add_f64 v[85:86], v[85:86], v[97:98]
	v_add_f64 v[87:88], v[87:88], v[93:94]
	s_waitcnt vmcnt(17) lgkmcnt(1)
	v_mul_f64 v[97:98], v[83:84], v[107:108]
	s_waitcnt vmcnt(16)
	v_fma_f64 v[95:96], v[1:2], v[137:138], -v[95:96]
	v_mul_f64 v[93:94], v[81:82], v[107:108]
	v_fma_f64 v[91:92], v[3:4], v[137:138], v[91:92]
	ds_read_b128 v[1:4], v124 offset:1120
	v_add_f64 v[85:86], v[85:86], v[99:100]
	v_add_f64 v[87:88], v[87:88], v[89:90]
	s_waitcnt vmcnt(15) lgkmcnt(1)
	v_mul_f64 v[99:100], v[79:80], v[141:142]
	v_mul_f64 v[89:90], v[77:78], v[141:142]
	s_waitcnt vmcnt(13)
	v_fma_f64 v[97:98], v[81:82], v[125:126], -v[97:98]
	v_fma_f64 v[93:94], v[83:84], v[125:126], v[93:94]
	ds_read_b128 v[81:84], v124 offset:1136
	v_add_f64 v[85:86], v[85:86], v[95:96]
	v_add_f64 v[87:88], v[87:88], v[91:92]
	s_waitcnt vmcnt(9) lgkmcnt(1)
	v_mul_f64 v[95:96], v[3:4], v[131:132]
	s_waitcnt vmcnt(8)
	v_fma_f64 v[77:78], v[77:78], v[145:146], -v[99:100]
	v_mul_f64 v[91:92], v[1:2], v[131:132]
	v_fma_f64 v[79:80], v[79:80], v[145:146], v[89:90]
	v_add_f64 v[85:86], v[85:86], v[97:98]
	v_add_f64 v[87:88], v[87:88], v[93:94]
	s_waitcnt vmcnt(7) lgkmcnt(0)
	v_mul_f64 v[93:94], v[83:84], v[151:152]
	v_mul_f64 v[89:90], v[81:82], v[151:152]
	s_waitcnt vmcnt(5)
	v_fma_f64 v[1:2], v[1:2], v[135:136], -v[95:96]
	v_fma_f64 v[3:4], v[3:4], v[135:136], v[91:92]
	v_add_f64 v[77:78], v[85:86], v[77:78]
	v_add_f64 v[79:80], v[87:88], v[79:80]
	s_waitcnt vmcnt(4)
	v_fma_f64 v[81:82], v[81:82], v[155:156], -v[93:94]
	v_add_f64 v[1:2], v[77:78], v[1:2]
	v_fma_f64 v[77:78], v[83:84], v[155:156], v[89:90]
	v_add_f64 v[3:4], v[79:80], v[3:4]
	v_add_f64 v[1:2], v[1:2], v[81:82]
	;; [unrolled: 1-line block ×3, first 2 shown]
	s_waitcnt vmcnt(2)
	v_add_f64 v[1:2], v[139:140], -v[1:2]
	s_waitcnt vmcnt(0)
	v_add_f64 v[3:4], v[143:144], -v[3:4]
	buffer_store_dword v2, off, s[0:3], 0 offset:52
	buffer_store_dword v1, off, s[0:3], 0 offset:48
	;; [unrolled: 1-line block ×4, first 2 shown]
	v_cmpx_lt_u32_e32 1, v0
	s_cbranch_execz .LBB99_227
; %bb.226:
	v_mov_b32_e32 v4, s47
	s_clause 0x3
	buffer_load_dword v1, v4, s[0:3], 0 offen
	buffer_load_dword v2, v4, s[0:3], 0 offen offset:4
	buffer_load_dword v3, v4, s[0:3], 0 offen offset:8
	buffer_load_dword v4, v4, s[0:3], 0 offen offset:12
	buffer_store_dword v124, off, s[0:3], 0 offset:32
	buffer_store_dword v124, off, s[0:3], 0 offset:36
	;; [unrolled: 1-line block ×4, first 2 shown]
	s_waitcnt vmcnt(0)
	ds_write_b128 v123, v[1:4]
.LBB99_227:
	s_or_b32 exec_lo, exec_lo, s4
	s_waitcnt lgkmcnt(0)
	s_waitcnt_vscnt null, 0x0
	s_barrier
	buffer_gl0_inv
	s_clause 0x37
	buffer_load_dword v81, off, s[0:3], 0 offset:56
	buffer_load_dword v82, off, s[0:3], 0 offset:60
	;; [unrolled: 1-line block ×56, first 2 shown]
	ds_read_b128 v[125:128], v124 offset:608
	s_clause 0x2
	buffer_load_dword v144, off, s[0:3], 0 offset:284
	buffer_load_dword v146, off, s[0:3], 0 offset:260
	;; [unrolled: 1-line block ×3, first 2 shown]
	ds_read_b128 v[129:132], v124 offset:624
	s_clause 0x4
	buffer_load_dword v150, off, s[0:3], 0 offset:300
	buffer_load_dword v151, off, s[0:3], 0 offset:312
	;; [unrolled: 1-line block ×5, first 2 shown]
	ds_read_b128 v[133:136], v124 offset:640
	s_clause 0x2
	buffer_load_dword v152, off, s[0:3], 0 offset:316
	buffer_load_dword v157, off, s[0:3], 0 offset:292
	;; [unrolled: 1-line block ×3, first 2 shown]
	s_mov_b32 s4, exec_lo
	s_waitcnt vmcnt(62) lgkmcnt(2)
	v_mul_f64 v[147:148], v[127:128], v[81:82]
	v_mul_f64 v[81:82], v[125:126], v[81:82]
	s_waitcnt lgkmcnt(1)
	v_mul_f64 v[154:155], v[131:132], v[77:78]
	s_waitcnt vmcnt(59) lgkmcnt(0)
	v_mul_f64 v[158:159], v[135:136], v[3:4]
	v_fma_f64 v[125:126], v[125:126], v[79:80], -v[147:148]
	v_mul_f64 v[147:148], v[129:130], v[77:78]
	v_fma_f64 v[81:82], v[127:128], v[79:80], v[81:82]
	s_waitcnt vmcnt(57)
	v_fma_f64 v[129:130], v[129:130], v[1:2], -v[154:155]
	ds_read_b128 v[77:80], v124 offset:656
	v_mul_f64 v[127:128], v[133:134], v[3:4]
	s_waitcnt vmcnt(51)
	v_fma_f64 v[133:134], v[133:134], v[97:98], -v[158:159]
	v_add_f64 v[125:126], v[125:126], 0
	v_fma_f64 v[131:132], v[131:132], v[1:2], v[147:148]
	v_add_f64 v[81:82], v[81:82], 0
	s_clause 0x4
	buffer_load_dword v148, off, s[0:3], 0 offset:332
	buffer_load_dword v160, off, s[0:3], 0 offset:344
	buffer_load_dword v162, off, s[0:3], 0 offset:336
	buffer_load_dword v147, off, s[0:3], 0 offset:328
	buffer_load_dword v154, off, s[0:3], 0 offset:308
	s_waitcnt lgkmcnt(0)
	v_mul_f64 v[163:164], v[77:78], v[85:86]
	v_mul_f64 v[85:86], v[79:80], v[85:86]
	ds_read_b128 v[1:4], v124 offset:672
	v_fma_f64 v[97:98], v[135:136], v[97:98], v[127:128]
	v_add_f64 v[129:130], v[125:126], v[129:130]
	v_add_f64 v[81:82], v[81:82], v[131:132]
	s_clause 0x2
	buffer_load_dword v161, off, s[0:3], 0 offset:348
	buffer_load_dword v132, off, s[0:3], 0 offset:324
	;; [unrolled: 1-line block ×3, first 2 shown]
	s_waitcnt vmcnt(58) lgkmcnt(0)
	v_mul_f64 v[135:136], v[1:2], v[89:90]
	v_mul_f64 v[89:90], v[3:4], v[89:90]
	s_waitcnt vmcnt(56)
	v_fma_f64 v[85:86], v[77:78], v[91:92], -v[85:86]
	ds_read_b128 v[125:128], v124 offset:688
	v_fma_f64 v[91:92], v[79:80], v[91:92], v[163:164]
	v_add_f64 v[129:130], v[129:130], v[133:134]
	v_add_f64 v[81:82], v[81:82], v[97:98]
	s_clause 0x4
	buffer_load_dword v98, off, s[0:3], 0 offset:364
	buffer_load_dword v133, off, s[0:3], 0 offset:376
	;; [unrolled: 1-line block ×5, first 2 shown]
	ds_read_b128 v[77:80], v124 offset:704
	s_waitcnt vmcnt(57) lgkmcnt(1)
	v_mul_f64 v[164:165], v[125:126], v[93:94]
	v_mul_f64 v[93:94], v[127:128], v[93:94]
	s_waitcnt vmcnt(56)
	v_fma_f64 v[89:90], v[1:2], v[83:84], -v[89:90]
	v_fma_f64 v[83:84], v[3:4], v[83:84], v[135:136]
	v_add_f64 v[85:86], v[129:130], v[85:86]
	v_add_f64 v[81:82], v[81:82], v[91:92]
	s_clause 0x2
	buffer_load_dword v134, off, s[0:3], 0 offset:380
	buffer_load_dword v92, off, s[0:3], 0 offset:356
	buffer_load_dword v91, off, s[0:3], 0 offset:352
	s_waitcnt vmcnt(58) lgkmcnt(0)
	v_mul_f64 v[129:130], v[77:78], v[99:100]
	v_mul_f64 v[99:100], v[79:80], v[99:100]
	s_waitcnt vmcnt(56)
	v_fma_f64 v[93:94], v[125:126], v[101:102], -v[93:94]
	ds_read_b128 v[1:4], v124 offset:720
	v_add_f64 v[85:86], v[85:86], v[89:90]
	v_fma_f64 v[89:90], v[127:128], v[101:102], v[164:165]
	v_add_f64 v[101:102], v[81:82], v[83:84]
	s_clause 0x4
	buffer_load_dword v126, off, s[0:3], 0 offset:396
	buffer_load_dword v127, off, s[0:3], 0 offset:408
	;; [unrolled: 1-line block ×5, first 2 shown]
	ds_read_b128 v[81:84], v124 offset:736
	s_waitcnt vmcnt(57) lgkmcnt(1)
	v_mul_f64 v[164:165], v[1:2], v[103:104]
	v_mul_f64 v[103:104], v[3:4], v[103:104]
	s_waitcnt vmcnt(56)
	v_fma_f64 v[99:100], v[77:78], v[87:88], -v[99:100]
	v_fma_f64 v[87:88], v[79:80], v[87:88], v[129:130]
	v_add_f64 v[85:86], v[85:86], v[93:94]
	s_clause 0x2
	buffer_load_dword v128, off, s[0:3], 0 offset:412
	buffer_load_dword v94, off, s[0:3], 0 offset:388
	;; [unrolled: 1-line block ×3, first 2 shown]
	v_add_f64 v[89:90], v[101:102], v[89:90]
	s_waitcnt vmcnt(58) lgkmcnt(0)
	v_mul_f64 v[101:102], v[81:82], v[107:108]
	v_mul_f64 v[107:108], v[83:84], v[107:108]
	ds_read_b128 v[77:80], v124 offset:752
	s_waitcnt vmcnt(56)
	v_fma_f64 v[103:104], v[1:2], v[109:110], -v[103:104]
	v_add_f64 v[85:86], v[85:86], v[99:100]
	v_fma_f64 v[99:100], v[3:4], v[109:110], v[164:165]
	v_add_f64 v[87:88], v[89:90], v[87:88]
	s_clause 0x4
	buffer_load_dword v90, off, s[0:3], 0 offset:428
	buffer_load_dword v109, off, s[0:3], 0 offset:440
	;; [unrolled: 1-line block ×5, first 2 shown]
	s_waitcnt vmcnt(57) lgkmcnt(0)
	v_mul_f64 v[164:165], v[77:78], v[111:112]
	v_mul_f64 v[111:112], v[79:80], v[111:112]
	s_waitcnt vmcnt(56)
	v_fma_f64 v[107:108], v[81:82], v[95:96], -v[107:108]
	ds_read_b128 v[1:4], v124 offset:768
	v_fma_f64 v[95:96], v[83:84], v[95:96], v[101:102]
	v_add_f64 v[85:86], v[85:86], v[103:104]
	v_add_f64 v[87:88], v[87:88], v[99:100]
	s_clause 0x2
	buffer_load_dword v110, off, s[0:3], 0 offset:444
	buffer_load_dword v100, off, s[0:3], 0 offset:420
	;; [unrolled: 1-line block ×3, first 2 shown]
	ds_read_b128 v[81:84], v124 offset:784
	s_waitcnt vmcnt(58) lgkmcnt(1)
	v_mul_f64 v[103:104], v[3:4], v[115:116]
	s_waitcnt vmcnt(56)
	v_fma_f64 v[111:112], v[77:78], v[117:118], -v[111:112]
	v_mul_f64 v[101:102], v[1:2], v[115:116]
	v_add_f64 v[85:86], v[85:86], v[107:108]
	v_fma_f64 v[107:108], v[79:80], v[117:118], v[164:165]
	v_add_f64 v[87:88], v[87:88], v[95:96]
	s_clause 0x4
	buffer_load_dword v96, off, s[0:3], 0 offset:460
	buffer_load_dword v115, off, s[0:3], 0 offset:472
	;; [unrolled: 1-line block ×5, first 2 shown]
	s_waitcnt vmcnt(57) lgkmcnt(0)
	v_mul_f64 v[164:165], v[81:82], v[119:120]
	v_mul_f64 v[118:119], v[83:84], v[119:120]
	s_waitcnt vmcnt(56)
	v_fma_f64 v[103:104], v[1:2], v[105:106], -v[103:104]
	ds_read_b128 v[77:80], v124 offset:800
	v_fma_f64 v[101:102], v[3:4], v[105:106], v[101:102]
	s_clause 0x2
	buffer_load_dword v116, off, s[0:3], 0 offset:476
	buffer_load_dword v106, off, s[0:3], 0 offset:452
	;; [unrolled: 1-line block ×3, first 2 shown]
	ds_read_b128 v[1:4], v124 offset:816
	v_add_f64 v[85:86], v[85:86], v[111:112]
	v_add_f64 v[87:88], v[87:88], v[107:108]
	s_waitcnt vmcnt(58) lgkmcnt(1)
	v_mul_f64 v[111:112], v[79:80], v[137:138]
	s_waitcnt vmcnt(56)
	v_fma_f64 v[119:120], v[81:82], v[139:140], -v[118:119]
	v_mul_f64 v[107:108], v[77:78], v[137:138]
	v_add_f64 v[85:86], v[85:86], v[103:104]
	v_fma_f64 v[103:104], v[83:84], v[139:140], v[164:165]
	v_add_f64 v[87:88], v[87:88], v[101:102]
	s_clause 0x4
	buffer_load_dword v102, off, s[0:3], 0 offset:492
	buffer_load_dword v137, off, s[0:3], 0 offset:504
	;; [unrolled: 1-line block ×5, first 2 shown]
	s_waitcnt vmcnt(57) lgkmcnt(0)
	v_mul_f64 v[164:165], v[1:2], v[141:142]
	v_mul_f64 v[140:141], v[3:4], v[141:142]
	s_waitcnt vmcnt(56)
	v_fma_f64 v[111:112], v[77:78], v[113:114], -v[111:112]
	ds_read_b128 v[81:84], v124 offset:832
	v_fma_f64 v[107:108], v[79:80], v[113:114], v[107:108]
	v_add_f64 v[85:86], v[85:86], v[119:120]
	v_add_f64 v[87:88], v[87:88], v[103:104]
	s_clause 0x2
	buffer_load_dword v138, off, s[0:3], 0 offset:508
	buffer_load_dword v104, off, s[0:3], 0 offset:484
	;; [unrolled: 1-line block ×3, first 2 shown]
	ds_read_b128 v[77:80], v124 offset:848
	s_waitcnt vmcnt(58) lgkmcnt(1)
	v_mul_f64 v[119:120], v[83:84], v[143:144]
	s_waitcnt vmcnt(56)
	v_fma_f64 v[141:142], v[1:2], v[145:146], -v[140:141]
	v_mul_f64 v[113:114], v[81:82], v[143:144]
	v_add_f64 v[85:86], v[85:86], v[111:112]
	v_fma_f64 v[111:112], v[3:4], v[145:146], v[164:165]
	v_add_f64 v[87:88], v[87:88], v[107:108]
	s_clause 0x4
	buffer_load_dword v108, off, s[0:3], 0 offset:524
	buffer_load_dword v143, off, s[0:3], 0 offset:536
	;; [unrolled: 1-line block ×5, first 2 shown]
	s_waitcnt vmcnt(57) lgkmcnt(0)
	v_mul_f64 v[164:165], v[77:78], v[149:150]
	v_mul_f64 v[149:150], v[79:80], v[149:150]
	s_waitcnt vmcnt(56)
	v_fma_f64 v[119:120], v[81:82], v[121:122], -v[119:120]
	ds_read_b128 v[1:4], v124 offset:864
	v_fma_f64 v[113:114], v[83:84], v[121:122], v[113:114]
	v_add_f64 v[85:86], v[85:86], v[141:142]
	v_add_f64 v[87:88], v[87:88], v[111:112]
	s_clause 0x2
	buffer_load_dword v144, off, s[0:3], 0 offset:540
	buffer_load_dword v112, off, s[0:3], 0 offset:516
	;; [unrolled: 1-line block ×3, first 2 shown]
	ds_read_b128 v[81:84], v124 offset:880
	s_waitcnt vmcnt(58) lgkmcnt(1)
	v_mul_f64 v[141:142], v[3:4], v[151:152]
	s_waitcnt vmcnt(56)
	v_fma_f64 v[149:150], v[77:78], v[156:157], -v[149:150]
	v_mul_f64 v[121:122], v[1:2], v[151:152]
	v_add_f64 v[85:86], v[85:86], v[119:120]
	v_fma_f64 v[119:120], v[79:80], v[156:157], v[164:165]
	v_add_f64 v[87:88], v[87:88], v[113:114]
	s_clause 0x4
	buffer_load_dword v114, off, s[0:3], 0 offset:556
	buffer_load_dword v151, off, s[0:3], 0 offset:568
	;; [unrolled: 1-line block ×5, first 2 shown]
	ds_read_b128 v[77:80], v124 offset:896
	s_waitcnt vmcnt(57) lgkmcnt(1)
	v_mul_f64 v[156:157], v[81:82], v[147:148]
	v_mul_f64 v[147:148], v[83:84], v[147:148]
	s_waitcnt vmcnt(56)
	v_fma_f64 v[141:142], v[1:2], v[153:154], -v[141:142]
	v_fma_f64 v[121:122], v[3:4], v[153:154], v[121:122]
	v_add_f64 v[85:86], v[85:86], v[149:150]
	v_add_f64 v[87:88], v[87:88], v[119:120]
	s_clause 0x2
	buffer_load_dword v152, off, s[0:3], 0 offset:572
	buffer_load_dword v120, off, s[0:3], 0 offset:548
	;; [unrolled: 1-line block ×3, first 2 shown]
	ds_read_b128 v[1:4], v124 offset:912
	s_waitcnt vmcnt(58) lgkmcnt(1)
	v_mul_f64 v[153:154], v[79:80], v[160:161]
	v_mul_f64 v[149:150], v[77:78], v[160:161]
	s_waitcnt vmcnt(56)
	v_fma_f64 v[147:148], v[81:82], v[131:132], -v[147:148]
	v_fma_f64 v[131:132], v[83:84], v[131:132], v[156:157]
	v_add_f64 v[85:86], v[85:86], v[141:142]
	v_add_f64 v[87:88], v[87:88], v[121:122]
	s_clause 0x2
	buffer_load_dword v122, off, s[0:3], 0 offset:588
	buffer_load_dword v121, off, s[0:3], 0 offset:584
	;; [unrolled: 1-line block ×3, first 2 shown]
	ds_read_b128 v[81:84], v124 offset:928
	s_waitcnt vmcnt(55) lgkmcnt(1)
	v_mul_f64 v[141:142], v[1:2], v[97:98]
	v_mul_f64 v[97:98], v[3:4], v[97:98]
	s_waitcnt vmcnt(54)
	v_fma_f64 v[153:154], v[77:78], v[162:163], -v[153:154]
	v_add_f64 v[85:86], v[85:86], v[147:148]
	v_fma_f64 v[147:148], v[79:80], v[162:163], v[149:150]
	v_add_f64 v[87:88], v[87:88], v[131:132]
	s_clause 0x1
	buffer_load_dword v132, off, s[0:3], 0 offset:580
	buffer_load_dword v131, off, s[0:3], 0 offset:576
	ds_read_b128 v[77:80], v124 offset:944
	s_waitcnt vmcnt(55) lgkmcnt(1)
	v_mul_f64 v[149:150], v[81:82], v[133:134]
	v_mul_f64 v[133:134], v[83:84], v[133:134]
	s_waitcnt vmcnt(53)
	v_fma_f64 v[97:98], v[1:2], v[91:92], -v[97:98]
	v_fma_f64 v[91:92], v[3:4], v[91:92], v[141:142]
	ds_read_b128 v[1:4], v124 offset:960
	v_add_f64 v[85:86], v[85:86], v[153:154]
	v_add_f64 v[87:88], v[87:88], v[147:148]
	s_waitcnt vmcnt(49) lgkmcnt(1)
	v_mul_f64 v[141:142], v[77:78], v[125:126]
	v_mul_f64 v[125:126], v[79:80], v[125:126]
	s_waitcnt vmcnt(48)
	v_fma_f64 v[133:134], v[81:82], v[158:159], -v[133:134]
	v_add_f64 v[85:86], v[85:86], v[97:98]
	v_fma_f64 v[97:98], v[83:84], v[158:159], v[149:150]
	v_add_f64 v[87:88], v[87:88], v[91:92]
	s_clause 0x3
	buffer_load_dword v91, off, s[0:3], 0 offset:32
	buffer_load_dword v92, off, s[0:3], 0 offset:36
	buffer_load_dword v147, off, s[0:3], 0 offset:40
	buffer_load_dword v148, off, s[0:3], 0 offset:44
	ds_read_b128 v[81:84], v124 offset:976
	s_waitcnt vmcnt(51) lgkmcnt(1)
	v_mul_f64 v[149:150], v[1:2], v[127:128]
	v_mul_f64 v[127:128], v[3:4], v[127:128]
	s_waitcnt vmcnt(49)
	v_fma_f64 v[125:126], v[77:78], v[93:94], -v[125:126]
	v_fma_f64 v[93:94], v[79:80], v[93:94], v[141:142]
	ds_read_b128 v[77:80], v124 offset:992
	v_add_f64 v[85:86], v[85:86], v[133:134]
	v_add_f64 v[87:88], v[87:88], v[97:98]
	s_waitcnt vmcnt(45) lgkmcnt(1)
	v_mul_f64 v[97:98], v[81:82], v[89:90]
	v_mul_f64 v[89:90], v[83:84], v[89:90]
	s_waitcnt vmcnt(44)
	v_fma_f64 v[127:128], v[1:2], v[135:136], -v[127:128]
	v_add_f64 v[85:86], v[85:86], v[125:126]
	v_fma_f64 v[125:126], v[3:4], v[135:136], v[149:150]
	v_add_f64 v[87:88], v[87:88], v[93:94]
	ds_read_b128 v[1:4], v124 offset:1008
	s_waitcnt vmcnt(43) lgkmcnt(1)
	v_mul_f64 v[93:94], v[77:78], v[109:110]
	v_mul_f64 v[109:110], v[79:80], v[109:110]
	s_waitcnt vmcnt(41)
	v_fma_f64 v[89:90], v[81:82], v[99:100], -v[89:90]
	v_fma_f64 v[97:98], v[83:84], v[99:100], v[97:98]
	ds_read_b128 v[81:84], v124 offset:1024
	v_add_f64 v[85:86], v[85:86], v[127:128]
	v_add_f64 v[87:88], v[87:88], v[125:126]
	s_waitcnt vmcnt(37) lgkmcnt(1)
	v_mul_f64 v[99:100], v[1:2], v[95:96]
	v_mul_f64 v[95:96], v[3:4], v[95:96]
	s_waitcnt vmcnt(36)
	v_fma_f64 v[109:110], v[77:78], v[129:130], -v[109:110]
	v_add_f64 v[85:86], v[85:86], v[89:90]
	v_fma_f64 v[89:90], v[79:80], v[129:130], v[93:94]
	v_add_f64 v[87:88], v[87:88], v[97:98]
	s_waitcnt vmcnt(35) lgkmcnt(0)
	v_mul_f64 v[97:98], v[83:84], v[115:116]
	ds_read_b128 v[77:80], v124 offset:1040
	v_mul_f64 v[93:94], v[81:82], v[115:116]
	s_waitcnt vmcnt(33)
	v_fma_f64 v[99:100], v[3:4], v[105:106], v[99:100]
	v_fma_f64 v[95:96], v[1:2], v[105:106], -v[95:96]
	ds_read_b128 v[1:4], v124 offset:1056
	v_add_f64 v[85:86], v[85:86], v[109:110]
	v_add_f64 v[87:88], v[87:88], v[89:90]
	s_waitcnt vmcnt(29) lgkmcnt(1)
	v_mul_f64 v[89:90], v[77:78], v[101:102]
	v_mul_f64 v[101:102], v[79:80], v[101:102]
	s_waitcnt vmcnt(28)
	v_fma_f64 v[97:98], v[81:82], v[117:118], -v[97:98]
	v_fma_f64 v[93:94], v[83:84], v[117:118], v[93:94]
	ds_read_b128 v[81:84], v124 offset:1072
	v_add_f64 v[85:86], v[85:86], v[95:96]
	v_add_f64 v[87:88], v[87:88], v[99:100]
	s_waitcnt vmcnt(27) lgkmcnt(1)
	v_mul_f64 v[99:100], v[3:4], v[137:138]
	v_mul_f64 v[95:96], v[1:2], v[137:138]
	s_waitcnt vmcnt(25)
	v_fma_f64 v[101:102], v[77:78], v[103:104], -v[101:102]
	v_fma_f64 v[89:90], v[79:80], v[103:104], v[89:90]
	ds_read_b128 v[77:80], v124 offset:1088
	v_add_f64 v[85:86], v[85:86], v[97:98]
	v_add_f64 v[87:88], v[87:88], v[93:94]
	s_waitcnt vmcnt(21) lgkmcnt(1)
	v_mul_f64 v[97:98], v[83:84], v[107:108]
	s_waitcnt vmcnt(20)
	v_fma_f64 v[99:100], v[1:2], v[139:140], -v[99:100]
	v_mul_f64 v[93:94], v[81:82], v[107:108]
	v_fma_f64 v[95:96], v[3:4], v[139:140], v[95:96]
	ds_read_b128 v[1:4], v124 offset:1104
	v_add_f64 v[85:86], v[85:86], v[101:102]
	v_add_f64 v[87:88], v[87:88], v[89:90]
	s_waitcnt vmcnt(19) lgkmcnt(1)
	v_mul_f64 v[101:102], v[79:80], v[143:144]
	v_mul_f64 v[89:90], v[77:78], v[143:144]
	s_waitcnt vmcnt(17)
	v_fma_f64 v[97:98], v[81:82], v[111:112], -v[97:98]
	v_fma_f64 v[93:94], v[83:84], v[111:112], v[93:94]
	ds_read_b128 v[81:84], v124 offset:1120
	v_add_f64 v[85:86], v[85:86], v[99:100]
	v_add_f64 v[87:88], v[87:88], v[95:96]
	s_waitcnt vmcnt(13) lgkmcnt(1)
	v_mul_f64 v[99:100], v[3:4], v[113:114]
	s_waitcnt vmcnt(12)
	v_fma_f64 v[101:102], v[77:78], v[145:146], -v[101:102]
	v_mul_f64 v[95:96], v[1:2], v[113:114]
	v_fma_f64 v[89:90], v[79:80], v[145:146], v[89:90]
	ds_read_b128 v[77:80], v124 offset:1136
	v_add_f64 v[85:86], v[85:86], v[97:98]
	v_add_f64 v[87:88], v[87:88], v[93:94]
	s_waitcnt vmcnt(11) lgkmcnt(1)
	v_mul_f64 v[97:98], v[83:84], v[151:152]
	v_mul_f64 v[93:94], v[81:82], v[151:152]
	s_waitcnt vmcnt(9)
	v_fma_f64 v[1:2], v[1:2], v[119:120], -v[99:100]
	v_fma_f64 v[3:4], v[3:4], v[119:120], v[95:96]
	v_add_f64 v[85:86], v[85:86], v[101:102]
	v_add_f64 v[87:88], v[87:88], v[89:90]
	s_waitcnt vmcnt(7) lgkmcnt(0)
	v_mul_f64 v[95:96], v[79:80], v[121:122]
	s_waitcnt vmcnt(6)
	v_fma_f64 v[81:82], v[81:82], v[155:156], -v[97:98]
	v_mul_f64 v[89:90], v[77:78], v[121:122]
	v_fma_f64 v[83:84], v[83:84], v[155:156], v[93:94]
	v_add_f64 v[1:2], v[85:86], v[1:2]
	v_add_f64 v[3:4], v[87:88], v[3:4]
	s_waitcnt vmcnt(4)
	v_fma_f64 v[77:78], v[77:78], v[131:132], -v[95:96]
	v_fma_f64 v[79:80], v[79:80], v[131:132], v[89:90]
	v_add_f64 v[1:2], v[1:2], v[81:82]
	v_add_f64 v[3:4], v[3:4], v[83:84]
	;; [unrolled: 1-line block ×4, first 2 shown]
	s_waitcnt vmcnt(2)
	v_add_f64 v[1:2], v[91:92], -v[1:2]
	s_waitcnt vmcnt(0)
	v_add_f64 v[3:4], v[147:148], -v[3:4]
	buffer_store_dword v2, off, s[0:3], 0 offset:36
	buffer_store_dword v1, off, s[0:3], 0 offset:32
	;; [unrolled: 1-line block ×4, first 2 shown]
	v_cmpx_ne_u32_e32 0, v0
	s_cbranch_execz .LBB99_229
; %bb.228:
	s_clause 0x3
	buffer_load_dword v0, off, s[0:3], 0 offset:16
	buffer_load_dword v1, off, s[0:3], 0 offset:20
	;; [unrolled: 1-line block ×4, first 2 shown]
	v_mov_b32_e32 v4, 0
	buffer_store_dword v4, off, s[0:3], 0 offset:16
	buffer_store_dword v4, off, s[0:3], 0 offset:20
	;; [unrolled: 1-line block ×4, first 2 shown]
	s_waitcnt vmcnt(0)
	ds_write_b128 v123, v[0:3]
.LBB99_229:
	s_or_b32 exec_lo, exec_lo, s4
	s_waitcnt lgkmcnt(0)
	s_waitcnt_vscnt null, 0x0
	s_barrier
	buffer_gl0_inv
	s_clause 0x37
	buffer_load_dword v81, off, s[0:3], 0 offset:40
	buffer_load_dword v82, off, s[0:3], 0 offset:44
	;; [unrolled: 1-line block ×56, first 2 shown]
	v_mov_b32_e32 v4, 0
	s_and_b32 vcc_lo, exec_lo, s48
	ds_read_b128 v[131:134], v4 offset:592
	s_clause 0x2
	buffer_load_dword v130, off, s[0:3], 0 offset:268
	buffer_load_dword v144, off, s[0:3], 0 offset:244
	;; [unrolled: 1-line block ×3, first 2 shown]
	ds_read_b128 v[135:138], v4 offset:608
	s_clause 0x4
	buffer_load_dword v148, off, s[0:3], 0 offset:284
	buffer_load_dword v149, off, s[0:3], 0 offset:296
	;; [unrolled: 1-line block ×5, first 2 shown]
	ds_read_b128 v[139:142], v4 offset:624
	s_clause 0x2
	buffer_load_dword v150, off, s[0:3], 0 offset:300
	buffer_load_dword v155, off, s[0:3], 0 offset:276
	;; [unrolled: 1-line block ×3, first 2 shown]
	s_waitcnt vmcnt(62) lgkmcnt(2)
	v_mul_f64 v[145:146], v[133:134], v[81:82]
	v_mul_f64 v[81:82], v[131:132], v[81:82]
	s_waitcnt lgkmcnt(1)
	v_mul_f64 v[152:153], v[137:138], v[77:78]
	s_waitcnt vmcnt(59) lgkmcnt(0)
	v_mul_f64 v[156:157], v[141:142], v[2:3]
	v_fma_f64 v[131:132], v[131:132], v[79:80], -v[145:146]
	v_mul_f64 v[145:146], v[135:136], v[77:78]
	v_fma_f64 v[81:82], v[133:134], v[79:80], v[81:82]
	s_waitcnt vmcnt(57)
	v_fma_f64 v[135:136], v[135:136], v[0:1], -v[152:153]
	ds_read_b128 v[77:80], v4 offset:640
	v_mul_f64 v[133:134], v[139:140], v[2:3]
	s_waitcnt vmcnt(51)
	v_fma_f64 v[139:140], v[139:140], v[97:98], -v[156:157]
	v_add_f64 v[131:132], v[131:132], 0
	v_fma_f64 v[137:138], v[137:138], v[0:1], v[145:146]
	v_add_f64 v[81:82], v[81:82], 0
	s_clause 0x4
	buffer_load_dword v146, off, s[0:3], 0 offset:316
	buffer_load_dword v158, off, s[0:3], 0 offset:328
	;; [unrolled: 1-line block ×5, first 2 shown]
	s_waitcnt lgkmcnt(0)
	v_mul_f64 v[161:162], v[77:78], v[85:86]
	v_mul_f64 v[85:86], v[79:80], v[85:86]
	ds_read_b128 v[0:3], v4 offset:656
	v_fma_f64 v[97:98], v[141:142], v[97:98], v[133:134]
	v_add_f64 v[135:136], v[131:132], v[135:136]
	v_add_f64 v[81:82], v[81:82], v[137:138]
	s_clause 0x2
	buffer_load_dword v159, off, s[0:3], 0 offset:332
	buffer_load_dword v138, off, s[0:3], 0 offset:308
	;; [unrolled: 1-line block ×3, first 2 shown]
	s_waitcnt vmcnt(58) lgkmcnt(0)
	v_mul_f64 v[141:142], v[0:1], v[89:90]
	v_mul_f64 v[89:90], v[2:3], v[89:90]
	s_waitcnt vmcnt(56)
	v_fma_f64 v[85:86], v[77:78], v[91:92], -v[85:86]
	ds_read_b128 v[131:134], v4 offset:672
	v_fma_f64 v[91:92], v[79:80], v[91:92], v[161:162]
	v_add_f64 v[135:136], v[135:136], v[139:140]
	v_add_f64 v[81:82], v[81:82], v[97:98]
	s_clause 0x4
	buffer_load_dword v98, off, s[0:3], 0 offset:348
	buffer_load_dword v139, off, s[0:3], 0 offset:360
	;; [unrolled: 1-line block ×5, first 2 shown]
	ds_read_b128 v[77:80], v4 offset:688
	s_waitcnt vmcnt(57) lgkmcnt(1)
	v_mul_f64 v[162:163], v[131:132], v[93:94]
	v_mul_f64 v[93:94], v[133:134], v[93:94]
	s_waitcnt vmcnt(56)
	v_fma_f64 v[89:90], v[0:1], v[83:84], -v[89:90]
	v_fma_f64 v[83:84], v[2:3], v[83:84], v[141:142]
	v_add_f64 v[85:86], v[135:136], v[85:86]
	v_add_f64 v[81:82], v[81:82], v[91:92]
	s_clause 0x2
	buffer_load_dword v140, off, s[0:3], 0 offset:364
	buffer_load_dword v92, off, s[0:3], 0 offset:340
	;; [unrolled: 1-line block ×3, first 2 shown]
	s_waitcnt vmcnt(58) lgkmcnt(0)
	v_mul_f64 v[135:136], v[77:78], v[99:100]
	v_mul_f64 v[99:100], v[79:80], v[99:100]
	s_waitcnt vmcnt(56)
	v_fma_f64 v[93:94], v[131:132], v[101:102], -v[93:94]
	ds_read_b128 v[0:3], v4 offset:704
	v_add_f64 v[85:86], v[85:86], v[89:90]
	v_fma_f64 v[89:90], v[133:134], v[101:102], v[162:163]
	v_add_f64 v[101:102], v[81:82], v[83:84]
	s_clause 0x4
	buffer_load_dword v132, off, s[0:3], 0 offset:380
	buffer_load_dword v133, off, s[0:3], 0 offset:392
	;; [unrolled: 1-line block ×5, first 2 shown]
	ds_read_b128 v[81:84], v4 offset:720
	s_waitcnt vmcnt(57) lgkmcnt(1)
	v_mul_f64 v[162:163], v[0:1], v[103:104]
	v_mul_f64 v[103:104], v[2:3], v[103:104]
	s_waitcnt vmcnt(56)
	v_fma_f64 v[99:100], v[77:78], v[87:88], -v[99:100]
	v_fma_f64 v[87:88], v[79:80], v[87:88], v[135:136]
	v_add_f64 v[85:86], v[85:86], v[93:94]
	s_clause 0x2
	buffer_load_dword v134, off, s[0:3], 0 offset:396
	buffer_load_dword v94, off, s[0:3], 0 offset:372
	;; [unrolled: 1-line block ×3, first 2 shown]
	v_add_f64 v[89:90], v[101:102], v[89:90]
	s_waitcnt vmcnt(58) lgkmcnt(0)
	v_mul_f64 v[101:102], v[81:82], v[107:108]
	v_mul_f64 v[107:108], v[83:84], v[107:108]
	ds_read_b128 v[77:80], v4 offset:736
	s_waitcnt vmcnt(56)
	v_fma_f64 v[103:104], v[0:1], v[109:110], -v[103:104]
	v_add_f64 v[85:86], v[85:86], v[99:100]
	v_fma_f64 v[99:100], v[2:3], v[109:110], v[162:163]
	v_add_f64 v[87:88], v[89:90], v[87:88]
	s_clause 0x4
	buffer_load_dword v90, off, s[0:3], 0 offset:412
	buffer_load_dword v109, off, s[0:3], 0 offset:424
	;; [unrolled: 1-line block ×5, first 2 shown]
	s_waitcnt vmcnt(57) lgkmcnt(0)
	v_mul_f64 v[162:163], v[77:78], v[111:112]
	v_mul_f64 v[111:112], v[79:80], v[111:112]
	s_waitcnt vmcnt(56)
	v_fma_f64 v[107:108], v[81:82], v[95:96], -v[107:108]
	ds_read_b128 v[0:3], v4 offset:752
	v_fma_f64 v[95:96], v[83:84], v[95:96], v[101:102]
	v_add_f64 v[85:86], v[85:86], v[103:104]
	v_add_f64 v[87:88], v[87:88], v[99:100]
	s_clause 0x2
	buffer_load_dword v110, off, s[0:3], 0 offset:428
	buffer_load_dword v100, off, s[0:3], 0 offset:404
	;; [unrolled: 1-line block ×3, first 2 shown]
	ds_read_b128 v[81:84], v4 offset:768
	s_waitcnt vmcnt(58) lgkmcnt(1)
	v_mul_f64 v[103:104], v[2:3], v[115:116]
	s_waitcnt vmcnt(56)
	v_fma_f64 v[111:112], v[77:78], v[117:118], -v[111:112]
	v_mul_f64 v[101:102], v[0:1], v[115:116]
	v_add_f64 v[85:86], v[85:86], v[107:108]
	v_fma_f64 v[107:108], v[79:80], v[117:118], v[162:163]
	v_add_f64 v[87:88], v[87:88], v[95:96]
	s_clause 0x4
	buffer_load_dword v96, off, s[0:3], 0 offset:444
	buffer_load_dword v115, off, s[0:3], 0 offset:456
	;; [unrolled: 1-line block ×5, first 2 shown]
	s_waitcnt vmcnt(57) lgkmcnt(0)
	v_mul_f64 v[162:163], v[81:82], v[119:120]
	v_mul_f64 v[118:119], v[83:84], v[119:120]
	s_waitcnt vmcnt(56)
	v_fma_f64 v[103:104], v[0:1], v[105:106], -v[103:104]
	ds_read_b128 v[77:80], v4 offset:784
	v_fma_f64 v[101:102], v[2:3], v[105:106], v[101:102]
	s_clause 0x2
	buffer_load_dword v116, off, s[0:3], 0 offset:460
	buffer_load_dword v106, off, s[0:3], 0 offset:436
	;; [unrolled: 1-line block ×3, first 2 shown]
	ds_read_b128 v[0:3], v4 offset:800
	v_add_f64 v[85:86], v[85:86], v[111:112]
	v_add_f64 v[87:88], v[87:88], v[107:108]
	s_waitcnt vmcnt(58) lgkmcnt(1)
	v_mul_f64 v[111:112], v[79:80], v[123:124]
	s_waitcnt vmcnt(56)
	v_fma_f64 v[119:120], v[81:82], v[125:126], -v[118:119]
	v_mul_f64 v[107:108], v[77:78], v[123:124]
	v_add_f64 v[85:86], v[85:86], v[103:104]
	v_fma_f64 v[103:104], v[83:84], v[125:126], v[162:163]
	v_add_f64 v[87:88], v[87:88], v[101:102]
	s_clause 0x4
	buffer_load_dword v102, off, s[0:3], 0 offset:476
	buffer_load_dword v123, off, s[0:3], 0 offset:488
	;; [unrolled: 1-line block ×5, first 2 shown]
	s_waitcnt vmcnt(57) lgkmcnt(0)
	v_mul_f64 v[162:163], v[0:1], v[127:128]
	v_mul_f64 v[126:127], v[2:3], v[127:128]
	s_waitcnt vmcnt(56)
	v_fma_f64 v[111:112], v[77:78], v[113:114], -v[111:112]
	ds_read_b128 v[81:84], v4 offset:816
	v_fma_f64 v[107:108], v[79:80], v[113:114], v[107:108]
	v_add_f64 v[85:86], v[85:86], v[119:120]
	v_add_f64 v[87:88], v[87:88], v[103:104]
	s_clause 0x2
	buffer_load_dword v124, off, s[0:3], 0 offset:492
	buffer_load_dword v104, off, s[0:3], 0 offset:468
	;; [unrolled: 1-line block ×3, first 2 shown]
	ds_read_b128 v[77:80], v4 offset:832
	s_waitcnt vmcnt(58) lgkmcnt(1)
	v_mul_f64 v[119:120], v[83:84], v[129:130]
	s_waitcnt vmcnt(56)
	v_fma_f64 v[127:128], v[0:1], v[143:144], -v[126:127]
	v_mul_f64 v[113:114], v[81:82], v[129:130]
	v_add_f64 v[85:86], v[85:86], v[111:112]
	v_fma_f64 v[111:112], v[2:3], v[143:144], v[162:163]
	v_add_f64 v[87:88], v[87:88], v[107:108]
	s_clause 0x4
	buffer_load_dword v108, off, s[0:3], 0 offset:508
	buffer_load_dword v129, off, s[0:3], 0 offset:520
	;; [unrolled: 1-line block ×5, first 2 shown]
	s_waitcnt vmcnt(57) lgkmcnt(0)
	v_mul_f64 v[162:163], v[77:78], v[147:148]
	v_mul_f64 v[147:148], v[79:80], v[147:148]
	s_waitcnt vmcnt(56)
	v_fma_f64 v[119:120], v[81:82], v[121:122], -v[119:120]
	ds_read_b128 v[0:3], v4 offset:848
	v_fma_f64 v[113:114], v[83:84], v[121:122], v[113:114]
	v_add_f64 v[85:86], v[85:86], v[127:128]
	v_add_f64 v[87:88], v[87:88], v[111:112]
	s_clause 0x2
	buffer_load_dword v130, off, s[0:3], 0 offset:524
	buffer_load_dword v112, off, s[0:3], 0 offset:500
	;; [unrolled: 1-line block ×3, first 2 shown]
	ds_read_b128 v[81:84], v4 offset:864
	s_waitcnt vmcnt(58) lgkmcnt(1)
	v_mul_f64 v[127:128], v[2:3], v[149:150]
	s_waitcnt vmcnt(56)
	v_fma_f64 v[147:148], v[77:78], v[154:155], -v[147:148]
	v_mul_f64 v[121:122], v[0:1], v[149:150]
	v_add_f64 v[85:86], v[85:86], v[119:120]
	v_fma_f64 v[119:120], v[79:80], v[154:155], v[162:163]
	v_add_f64 v[87:88], v[87:88], v[113:114]
	s_clause 0x4
	buffer_load_dword v114, off, s[0:3], 0 offset:540
	buffer_load_dword v149, off, s[0:3], 0 offset:552
	;; [unrolled: 1-line block ×5, first 2 shown]
	ds_read_b128 v[77:80], v4 offset:880
	s_waitcnt vmcnt(57) lgkmcnt(1)
	v_mul_f64 v[154:155], v[81:82], v[145:146]
	v_mul_f64 v[145:146], v[83:84], v[145:146]
	s_waitcnt vmcnt(56)
	v_fma_f64 v[127:128], v[0:1], v[151:152], -v[127:128]
	v_fma_f64 v[121:122], v[2:3], v[151:152], v[121:122]
	v_add_f64 v[85:86], v[85:86], v[147:148]
	v_add_f64 v[87:88], v[87:88], v[119:120]
	s_clause 0x2
	buffer_load_dword v150, off, s[0:3], 0 offset:556
	buffer_load_dword v120, off, s[0:3], 0 offset:532
	;; [unrolled: 1-line block ×3, first 2 shown]
	ds_read_b128 v[0:3], v4 offset:896
	s_waitcnt vmcnt(58) lgkmcnt(1)
	v_mul_f64 v[151:152], v[79:80], v[158:159]
	v_mul_f64 v[147:148], v[77:78], v[158:159]
	s_waitcnt vmcnt(56)
	v_fma_f64 v[145:146], v[81:82], v[137:138], -v[145:146]
	v_add_f64 v[85:86], v[85:86], v[127:128]
	v_fma_f64 v[127:128], v[83:84], v[137:138], v[154:155]
	v_add_f64 v[87:88], v[87:88], v[121:122]
	s_clause 0x4
	buffer_load_dword v122, off, s[0:3], 0 offset:572
	buffer_load_dword v137, off, s[0:3], 0 offset:584
	;; [unrolled: 1-line block ×5, first 2 shown]
	ds_read_b128 v[81:84], v4 offset:912
	s_waitcnt vmcnt(57) lgkmcnt(1)
	v_mul_f64 v[162:163], v[0:1], v[97:98]
	v_mul_f64 v[97:98], v[2:3], v[97:98]
	s_waitcnt vmcnt(56)
	v_fma_f64 v[151:152], v[77:78], v[160:161], -v[151:152]
	v_add_f64 v[85:86], v[85:86], v[145:146]
	v_fma_f64 v[145:146], v[79:80], v[160:161], v[147:148]
	v_add_f64 v[87:88], v[87:88], v[127:128]
	s_clause 0x2
	buffer_load_dword v138, off, s[0:3], 0 offset:588
	buffer_load_dword v128, off, s[0:3], 0 offset:564
	;; [unrolled: 1-line block ×3, first 2 shown]
	ds_read_b128 v[77:80], v4 offset:928
	buffer_load_dword v159, off, s[0:3], 0 offset:580
	s_waitcnt vmcnt(59) lgkmcnt(1)
	v_mul_f64 v[147:148], v[81:82], v[139:140]
	v_mul_f64 v[139:140], v[83:84], v[139:140]
	s_waitcnt vmcnt(57)
	v_fma_f64 v[97:98], v[0:1], v[91:92], -v[97:98]
	v_fma_f64 v[91:92], v[2:3], v[91:92], v[162:163]
	ds_read_b128 v[0:3], v4 offset:944
	v_add_f64 v[85:86], v[85:86], v[151:152]
	v_add_f64 v[87:88], v[87:88], v[145:146]
	s_waitcnt vmcnt(53) lgkmcnt(1)
	v_mul_f64 v[145:146], v[77:78], v[131:132]
	v_mul_f64 v[131:132], v[79:80], v[131:132]
	s_waitcnt vmcnt(52)
	v_fma_f64 v[139:140], v[81:82], v[156:157], -v[139:140]
	v_add_f64 v[85:86], v[85:86], v[97:98]
	v_fma_f64 v[97:98], v[83:84], v[156:157], v[147:148]
	v_add_f64 v[87:88], v[87:88], v[91:92]
	ds_read_b128 v[81:84], v4 offset:960
	s_waitcnt vmcnt(51) lgkmcnt(1)
	v_mul_f64 v[91:92], v[0:1], v[133:134]
	v_mul_f64 v[133:134], v[2:3], v[133:134]
	s_waitcnt vmcnt(49)
	v_fma_f64 v[131:132], v[77:78], v[93:94], -v[131:132]
	v_fma_f64 v[93:94], v[79:80], v[93:94], v[145:146]
	v_add_f64 v[85:86], v[85:86], v[139:140]
	v_add_f64 v[87:88], v[87:88], v[97:98]
	s_clause 0x3
	buffer_load_dword v97, off, s[0:3], 0 offset:16
	buffer_load_dword v98, off, s[0:3], 0 offset:20
	;; [unrolled: 1-line block ×4, first 2 shown]
	ds_read_b128 v[77:80], v4 offset:976
	s_waitcnt vmcnt(49) lgkmcnt(1)
	v_mul_f64 v[145:146], v[81:82], v[89:90]
	v_mul_f64 v[89:90], v[83:84], v[89:90]
	s_waitcnt vmcnt(48)
	v_fma_f64 v[133:134], v[0:1], v[141:142], -v[133:134]
	v_fma_f64 v[91:92], v[2:3], v[141:142], v[91:92]
	ds_read_b128 v[0:3], v4 offset:992
	v_add_f64 v[85:86], v[85:86], v[131:132]
	v_add_f64 v[87:88], v[87:88], v[93:94]
	s_waitcnt vmcnt(47) lgkmcnt(1)
	v_mul_f64 v[93:94], v[77:78], v[109:110]
	v_mul_f64 v[109:110], v[79:80], v[109:110]
	s_waitcnt vmcnt(45)
	v_fma_f64 v[89:90], v[81:82], v[99:100], -v[89:90]
	v_fma_f64 v[99:100], v[83:84], v[99:100], v[145:146]
	ds_read_b128 v[81:84], v4 offset:1008
	v_add_f64 v[85:86], v[85:86], v[133:134]
	v_add_f64 v[87:88], v[87:88], v[91:92]
	s_waitcnt vmcnt(41) lgkmcnt(1)
	v_mul_f64 v[91:92], v[0:1], v[95:96]
	v_mul_f64 v[95:96], v[2:3], v[95:96]
	s_waitcnt vmcnt(40)
	v_fma_f64 v[109:110], v[77:78], v[135:136], -v[109:110]
	v_add_f64 v[85:86], v[85:86], v[89:90]
	v_fma_f64 v[89:90], v[79:80], v[135:136], v[93:94]
	v_add_f64 v[87:88], v[87:88], v[99:100]
	ds_read_b128 v[77:80], v4 offset:1024
	s_waitcnt vmcnt(39) lgkmcnt(1)
	v_mul_f64 v[99:100], v[83:84], v[115:116]
	v_mul_f64 v[93:94], v[81:82], v[115:116]
	s_waitcnt vmcnt(37)
	v_fma_f64 v[91:92], v[2:3], v[105:106], v[91:92]
	v_fma_f64 v[95:96], v[0:1], v[105:106], -v[95:96]
	ds_read_b128 v[0:3], v4 offset:1040
	v_add_f64 v[85:86], v[85:86], v[109:110]
	v_add_f64 v[87:88], v[87:88], v[89:90]
	s_waitcnt vmcnt(33) lgkmcnt(1)
	v_mul_f64 v[89:90], v[77:78], v[101:102]
	v_mul_f64 v[101:102], v[79:80], v[101:102]
	s_waitcnt vmcnt(32)
	v_fma_f64 v[99:100], v[81:82], v[117:118], -v[99:100]
	v_fma_f64 v[93:94], v[83:84], v[117:118], v[93:94]
	ds_read_b128 v[81:84], v4 offset:1056
	v_add_f64 v[85:86], v[85:86], v[95:96]
	v_add_f64 v[87:88], v[87:88], v[91:92]
	s_waitcnt vmcnt(31) lgkmcnt(1)
	v_mul_f64 v[95:96], v[2:3], v[123:124]
	v_mul_f64 v[91:92], v[0:1], v[123:124]
	s_waitcnt vmcnt(29)
	v_fma_f64 v[101:102], v[77:78], v[103:104], -v[101:102]
	v_fma_f64 v[89:90], v[79:80], v[103:104], v[89:90]
	ds_read_b128 v[77:80], v4 offset:1072
	v_add_f64 v[85:86], v[85:86], v[99:100]
	v_add_f64 v[87:88], v[87:88], v[93:94]
	s_waitcnt vmcnt(25) lgkmcnt(1)
	v_mul_f64 v[99:100], v[83:84], v[107:108]
	s_waitcnt vmcnt(24)
	v_fma_f64 v[95:96], v[0:1], v[125:126], -v[95:96]
	v_mul_f64 v[93:94], v[81:82], v[107:108]
	v_fma_f64 v[91:92], v[2:3], v[125:126], v[91:92]
	ds_read_b128 v[0:3], v4 offset:1088
	v_add_f64 v[85:86], v[85:86], v[101:102]
	v_add_f64 v[87:88], v[87:88], v[89:90]
	s_waitcnt vmcnt(23) lgkmcnt(1)
	v_mul_f64 v[101:102], v[79:80], v[129:130]
	v_mul_f64 v[89:90], v[77:78], v[129:130]
	s_waitcnt vmcnt(21)
	v_fma_f64 v[99:100], v[81:82], v[111:112], -v[99:100]
	v_fma_f64 v[93:94], v[83:84], v[111:112], v[93:94]
	ds_read_b128 v[81:84], v4 offset:1104
	v_add_f64 v[85:86], v[85:86], v[95:96]
	v_add_f64 v[87:88], v[87:88], v[91:92]
	s_waitcnt vmcnt(17) lgkmcnt(1)
	v_mul_f64 v[95:96], v[2:3], v[113:114]
	s_waitcnt vmcnt(16)
	v_fma_f64 v[101:102], v[77:78], v[143:144], -v[101:102]
	v_mul_f64 v[91:92], v[0:1], v[113:114]
	;; [unrolled: 18-line block ×3, first 2 shown]
	v_fma_f64 v[83:84], v[83:84], v[153:154], v[93:94]
	v_add_f64 v[85:86], v[85:86], v[95:96]
	v_add_f64 v[87:88], v[87:88], v[91:92]
	s_waitcnt vmcnt(7) lgkmcnt(0)
	v_mul_f64 v[93:94], v[2:3], v[137:138]
	v_mul_f64 v[91:92], v[0:1], v[137:138]
	s_waitcnt vmcnt(5)
	v_fma_f64 v[77:78], v[77:78], v[127:128], -v[101:102]
	v_fma_f64 v[79:80], v[79:80], v[127:128], v[89:90]
	v_add_f64 v[81:82], v[85:86], v[81:82]
	v_add_f64 v[83:84], v[87:88], v[83:84]
	s_waitcnt vmcnt(4)
	v_fma_f64 v[0:1], v[0:1], v[158:159], -v[93:94]
	v_fma_f64 v[2:3], v[2:3], v[158:159], v[91:92]
	v_add_f64 v[77:78], v[81:82], v[77:78]
	v_add_f64 v[79:80], v[83:84], v[79:80]
	;; [unrolled: 1-line block ×4, first 2 shown]
	s_waitcnt vmcnt(2)
	v_add_f64 v[0:1], v[97:98], -v[0:1]
	s_waitcnt vmcnt(0)
	v_add_f64 v[2:3], v[139:140], -v[2:3]
	buffer_store_dword v1, off, s[0:3], 0 offset:20
	buffer_store_dword v0, off, s[0:3], 0 offset:16
	;; [unrolled: 1-line block ×4, first 2 shown]
	s_cbranch_vccz .LBB99_300
; %bb.230:
	global_load_dword v0, v4, s[12:13] offset:136
	s_waitcnt vmcnt(0)
	v_add_nc_u32_e32 v0, -1, v0
	v_cmp_ne_u32_e32 vcc_lo, 34, v0
	s_cbranch_vccz .LBB99_232
; %bb.231:
	v_lshlrev_b32_e32 v0, 4, v0
	v_mov_b32_e32 v1, s9
	v_add_nc_u32_e32 v0, 16, v0
	s_clause 0x7
	buffer_load_dword v2, v0, s[0:3], 0 offen
	buffer_load_dword v3, v0, s[0:3], 0 offen offset:4
	buffer_load_dword v4, v0, s[0:3], 0 offen offset:8
	;; [unrolled: 1-line block ×6, first 2 shown]
	buffer_load_dword v81, v1, s[0:3], 0 offen
	s_waitcnt vmcnt(7)
	buffer_store_dword v2, v1, s[0:3], 0 offen
	s_waitcnt vmcnt(6)
	buffer_store_dword v3, v1, s[0:3], 0 offen offset:4
	s_waitcnt vmcnt(5)
	buffer_store_dword v4, v1, s[0:3], 0 offen offset:8
	;; [unrolled: 2-line block ×6, first 2 shown]
	s_waitcnt vmcnt(0)
	buffer_store_dword v81, v0, s[0:3], 0 offen
.LBB99_232:
	v_mov_b32_e32 v0, 0
	global_load_dword v1, v0, s[12:13] offset:132
	s_waitcnt vmcnt(0)
	v_add_nc_u32_e32 v1, -1, v1
	v_cmp_eq_u32_e32 vcc_lo, 33, v1
	s_cbranch_vccnz .LBB99_234
; %bb.233:
	v_lshlrev_b32_e32 v1, 4, v1
	v_mov_b32_e32 v2, s14
	v_add_nc_u32_e32 v1, 16, v1
	s_clause 0x7
	buffer_load_dword v3, v1, s[0:3], 0 offen
	buffer_load_dword v4, v1, s[0:3], 0 offen offset:4
	buffer_load_dword v77, v1, s[0:3], 0 offen offset:8
	;; [unrolled: 1-line block ×6, first 2 shown]
	buffer_load_dword v82, v2, s[0:3], 0 offen
	s_waitcnt vmcnt(7)
	buffer_store_dword v3, v2, s[0:3], 0 offen
	s_waitcnt vmcnt(6)
	buffer_store_dword v4, v2, s[0:3], 0 offen offset:4
	s_waitcnt vmcnt(5)
	buffer_store_dword v77, v2, s[0:3], 0 offen offset:8
	;; [unrolled: 2-line block ×6, first 2 shown]
	s_waitcnt vmcnt(0)
	buffer_store_dword v82, v1, s[0:3], 0 offen
.LBB99_234:
	global_load_dword v0, v0, s[12:13] offset:128
	s_waitcnt vmcnt(0)
	v_add_nc_u32_e32 v0, -1, v0
	v_cmp_eq_u32_e32 vcc_lo, 32, v0
	s_cbranch_vccnz .LBB99_236
; %bb.235:
	v_lshlrev_b32_e32 v0, 4, v0
	v_mov_b32_e32 v1, s15
	v_add_nc_u32_e32 v0, 16, v0
	s_clause 0x7
	buffer_load_dword v2, v0, s[0:3], 0 offen
	buffer_load_dword v3, v0, s[0:3], 0 offen offset:4
	buffer_load_dword v4, v0, s[0:3], 0 offen offset:8
	;; [unrolled: 1-line block ×6, first 2 shown]
	buffer_load_dword v81, v1, s[0:3], 0 offen
	s_waitcnt vmcnt(7)
	buffer_store_dword v2, v1, s[0:3], 0 offen
	s_waitcnt vmcnt(6)
	buffer_store_dword v3, v1, s[0:3], 0 offen offset:4
	s_waitcnt vmcnt(5)
	buffer_store_dword v4, v1, s[0:3], 0 offen offset:8
	;; [unrolled: 2-line block ×6, first 2 shown]
	s_waitcnt vmcnt(0)
	buffer_store_dword v81, v0, s[0:3], 0 offen
.LBB99_236:
	v_mov_b32_e32 v0, 0
	global_load_dword v1, v0, s[12:13] offset:124
	s_waitcnt vmcnt(0)
	v_add_nc_u32_e32 v1, -1, v1
	v_cmp_eq_u32_e32 vcc_lo, 31, v1
	s_cbranch_vccnz .LBB99_238
; %bb.237:
	v_lshlrev_b32_e32 v1, 4, v1
	v_mov_b32_e32 v2, s16
	v_add_nc_u32_e32 v1, 16, v1
	s_clause 0x7
	buffer_load_dword v3, v1, s[0:3], 0 offen
	buffer_load_dword v4, v1, s[0:3], 0 offen offset:4
	buffer_load_dword v77, v1, s[0:3], 0 offen offset:8
	;; [unrolled: 1-line block ×6, first 2 shown]
	buffer_load_dword v82, v2, s[0:3], 0 offen
	s_waitcnt vmcnt(7)
	buffer_store_dword v3, v2, s[0:3], 0 offen
	s_waitcnt vmcnt(6)
	buffer_store_dword v4, v2, s[0:3], 0 offen offset:4
	s_waitcnt vmcnt(5)
	buffer_store_dword v77, v2, s[0:3], 0 offen offset:8
	;; [unrolled: 2-line block ×6, first 2 shown]
	s_waitcnt vmcnt(0)
	buffer_store_dword v82, v1, s[0:3], 0 offen
.LBB99_238:
	global_load_dword v0, v0, s[12:13] offset:120
	s_waitcnt vmcnt(0)
	v_add_nc_u32_e32 v0, -1, v0
	v_cmp_eq_u32_e32 vcc_lo, 30, v0
	s_cbranch_vccnz .LBB99_240
; %bb.239:
	v_lshlrev_b32_e32 v0, 4, v0
	v_mov_b32_e32 v1, s17
	v_add_nc_u32_e32 v0, 16, v0
	s_clause 0x7
	buffer_load_dword v2, v0, s[0:3], 0 offen
	buffer_load_dword v3, v0, s[0:3], 0 offen offset:4
	buffer_load_dword v4, v0, s[0:3], 0 offen offset:8
	buffer_load_dword v77, v0, s[0:3], 0 offen offset:12
	buffer_load_dword v78, v1, s[0:3], 0 offen offset:12
	buffer_load_dword v79, v1, s[0:3], 0 offen offset:8
	buffer_load_dword v80, v1, s[0:3], 0 offen offset:4
	buffer_load_dword v81, v1, s[0:3], 0 offen
	s_waitcnt vmcnt(7)
	buffer_store_dword v2, v1, s[0:3], 0 offen
	s_waitcnt vmcnt(6)
	buffer_store_dword v3, v1, s[0:3], 0 offen offset:4
	s_waitcnt vmcnt(5)
	buffer_store_dword v4, v1, s[0:3], 0 offen offset:8
	;; [unrolled: 2-line block ×6, first 2 shown]
	s_waitcnt vmcnt(0)
	buffer_store_dword v81, v0, s[0:3], 0 offen
.LBB99_240:
	v_mov_b32_e32 v0, 0
	global_load_dword v1, v0, s[12:13] offset:116
	s_waitcnt vmcnt(0)
	v_add_nc_u32_e32 v1, -1, v1
	v_cmp_eq_u32_e32 vcc_lo, 29, v1
	s_cbranch_vccnz .LBB99_242
; %bb.241:
	v_lshlrev_b32_e32 v1, 4, v1
	v_mov_b32_e32 v2, s18
	v_add_nc_u32_e32 v1, 16, v1
	s_clause 0x7
	buffer_load_dword v3, v1, s[0:3], 0 offen
	buffer_load_dword v4, v1, s[0:3], 0 offen offset:4
	buffer_load_dword v77, v1, s[0:3], 0 offen offset:8
	;; [unrolled: 1-line block ×6, first 2 shown]
	buffer_load_dword v82, v2, s[0:3], 0 offen
	s_waitcnt vmcnt(7)
	buffer_store_dword v3, v2, s[0:3], 0 offen
	s_waitcnt vmcnt(6)
	buffer_store_dword v4, v2, s[0:3], 0 offen offset:4
	s_waitcnt vmcnt(5)
	buffer_store_dword v77, v2, s[0:3], 0 offen offset:8
	;; [unrolled: 2-line block ×6, first 2 shown]
	s_waitcnt vmcnt(0)
	buffer_store_dword v82, v1, s[0:3], 0 offen
.LBB99_242:
	global_load_dword v0, v0, s[12:13] offset:112
	s_waitcnt vmcnt(0)
	v_add_nc_u32_e32 v0, -1, v0
	v_cmp_eq_u32_e32 vcc_lo, 28, v0
	s_cbranch_vccnz .LBB99_244
; %bb.243:
	v_lshlrev_b32_e32 v0, 4, v0
	v_mov_b32_e32 v1, s19
	v_add_nc_u32_e32 v0, 16, v0
	s_clause 0x7
	buffer_load_dword v2, v0, s[0:3], 0 offen
	buffer_load_dword v3, v0, s[0:3], 0 offen offset:4
	buffer_load_dword v4, v0, s[0:3], 0 offen offset:8
	;; [unrolled: 1-line block ×6, first 2 shown]
	buffer_load_dword v81, v1, s[0:3], 0 offen
	s_waitcnt vmcnt(7)
	buffer_store_dword v2, v1, s[0:3], 0 offen
	s_waitcnt vmcnt(6)
	buffer_store_dword v3, v1, s[0:3], 0 offen offset:4
	s_waitcnt vmcnt(5)
	buffer_store_dword v4, v1, s[0:3], 0 offen offset:8
	;; [unrolled: 2-line block ×6, first 2 shown]
	s_waitcnt vmcnt(0)
	buffer_store_dword v81, v0, s[0:3], 0 offen
.LBB99_244:
	v_mov_b32_e32 v0, 0
	global_load_dword v1, v0, s[12:13] offset:108
	s_waitcnt vmcnt(0)
	v_add_nc_u32_e32 v1, -1, v1
	v_cmp_eq_u32_e32 vcc_lo, 27, v1
	s_cbranch_vccnz .LBB99_246
; %bb.245:
	v_lshlrev_b32_e32 v1, 4, v1
	v_mov_b32_e32 v2, s20
	v_add_nc_u32_e32 v1, 16, v1
	s_clause 0x7
	buffer_load_dword v3, v1, s[0:3], 0 offen
	buffer_load_dword v4, v1, s[0:3], 0 offen offset:4
	buffer_load_dword v77, v1, s[0:3], 0 offen offset:8
	;; [unrolled: 1-line block ×6, first 2 shown]
	buffer_load_dword v82, v2, s[0:3], 0 offen
	s_waitcnt vmcnt(7)
	buffer_store_dword v3, v2, s[0:3], 0 offen
	s_waitcnt vmcnt(6)
	buffer_store_dword v4, v2, s[0:3], 0 offen offset:4
	s_waitcnt vmcnt(5)
	buffer_store_dword v77, v2, s[0:3], 0 offen offset:8
	;; [unrolled: 2-line block ×6, first 2 shown]
	s_waitcnt vmcnt(0)
	buffer_store_dword v82, v1, s[0:3], 0 offen
.LBB99_246:
	global_load_dword v0, v0, s[12:13] offset:104
	s_waitcnt vmcnt(0)
	v_add_nc_u32_e32 v0, -1, v0
	v_cmp_eq_u32_e32 vcc_lo, 26, v0
	s_cbranch_vccnz .LBB99_248
; %bb.247:
	v_lshlrev_b32_e32 v0, 4, v0
	v_mov_b32_e32 v1, s21
	v_add_nc_u32_e32 v0, 16, v0
	s_clause 0x7
	buffer_load_dword v2, v0, s[0:3], 0 offen
	buffer_load_dword v3, v0, s[0:3], 0 offen offset:4
	buffer_load_dword v4, v0, s[0:3], 0 offen offset:8
	buffer_load_dword v77, v0, s[0:3], 0 offen offset:12
	buffer_load_dword v78, v1, s[0:3], 0 offen offset:12
	buffer_load_dword v79, v1, s[0:3], 0 offen offset:8
	buffer_load_dword v80, v1, s[0:3], 0 offen offset:4
	buffer_load_dword v81, v1, s[0:3], 0 offen
	s_waitcnt vmcnt(7)
	buffer_store_dword v2, v1, s[0:3], 0 offen
	s_waitcnt vmcnt(6)
	buffer_store_dword v3, v1, s[0:3], 0 offen offset:4
	s_waitcnt vmcnt(5)
	buffer_store_dword v4, v1, s[0:3], 0 offen offset:8
	;; [unrolled: 2-line block ×6, first 2 shown]
	s_waitcnt vmcnt(0)
	buffer_store_dword v81, v0, s[0:3], 0 offen
.LBB99_248:
	v_mov_b32_e32 v0, 0
	global_load_dword v1, v0, s[12:13] offset:100
	s_waitcnt vmcnt(0)
	v_add_nc_u32_e32 v1, -1, v1
	v_cmp_eq_u32_e32 vcc_lo, 25, v1
	s_cbranch_vccnz .LBB99_250
; %bb.249:
	v_lshlrev_b32_e32 v1, 4, v1
	v_mov_b32_e32 v2, s22
	v_add_nc_u32_e32 v1, 16, v1
	s_clause 0x7
	buffer_load_dword v3, v1, s[0:3], 0 offen
	buffer_load_dword v4, v1, s[0:3], 0 offen offset:4
	buffer_load_dword v77, v1, s[0:3], 0 offen offset:8
	buffer_load_dword v78, v1, s[0:3], 0 offen offset:12
	buffer_load_dword v79, v2, s[0:3], 0 offen offset:12
	buffer_load_dword v80, v2, s[0:3], 0 offen offset:8
	buffer_load_dword v81, v2, s[0:3], 0 offen offset:4
	buffer_load_dword v82, v2, s[0:3], 0 offen
	s_waitcnt vmcnt(7)
	buffer_store_dword v3, v2, s[0:3], 0 offen
	s_waitcnt vmcnt(6)
	buffer_store_dword v4, v2, s[0:3], 0 offen offset:4
	s_waitcnt vmcnt(5)
	buffer_store_dword v77, v2, s[0:3], 0 offen offset:8
	;; [unrolled: 2-line block ×6, first 2 shown]
	s_waitcnt vmcnt(0)
	buffer_store_dword v82, v1, s[0:3], 0 offen
.LBB99_250:
	global_load_dword v0, v0, s[12:13] offset:96
	s_waitcnt vmcnt(0)
	v_add_nc_u32_e32 v0, -1, v0
	v_cmp_eq_u32_e32 vcc_lo, 24, v0
	s_cbranch_vccnz .LBB99_252
; %bb.251:
	v_lshlrev_b32_e32 v0, 4, v0
	v_mov_b32_e32 v1, s23
	v_add_nc_u32_e32 v0, 16, v0
	s_clause 0x7
	buffer_load_dword v2, v0, s[0:3], 0 offen
	buffer_load_dword v3, v0, s[0:3], 0 offen offset:4
	buffer_load_dword v4, v0, s[0:3], 0 offen offset:8
	;; [unrolled: 1-line block ×6, first 2 shown]
	buffer_load_dword v81, v1, s[0:3], 0 offen
	s_waitcnt vmcnt(7)
	buffer_store_dword v2, v1, s[0:3], 0 offen
	s_waitcnt vmcnt(6)
	buffer_store_dword v3, v1, s[0:3], 0 offen offset:4
	s_waitcnt vmcnt(5)
	buffer_store_dword v4, v1, s[0:3], 0 offen offset:8
	;; [unrolled: 2-line block ×6, first 2 shown]
	s_waitcnt vmcnt(0)
	buffer_store_dword v81, v0, s[0:3], 0 offen
.LBB99_252:
	v_mov_b32_e32 v0, 0
	global_load_dword v1, v0, s[12:13] offset:92
	s_waitcnt vmcnt(0)
	v_add_nc_u32_e32 v1, -1, v1
	v_cmp_eq_u32_e32 vcc_lo, 23, v1
	s_cbranch_vccnz .LBB99_254
; %bb.253:
	v_lshlrev_b32_e32 v1, 4, v1
	v_mov_b32_e32 v2, s24
	v_add_nc_u32_e32 v1, 16, v1
	s_clause 0x7
	buffer_load_dword v3, v1, s[0:3], 0 offen
	buffer_load_dword v4, v1, s[0:3], 0 offen offset:4
	buffer_load_dword v77, v1, s[0:3], 0 offen offset:8
	;; [unrolled: 1-line block ×6, first 2 shown]
	buffer_load_dword v82, v2, s[0:3], 0 offen
	s_waitcnt vmcnt(7)
	buffer_store_dword v3, v2, s[0:3], 0 offen
	s_waitcnt vmcnt(6)
	buffer_store_dword v4, v2, s[0:3], 0 offen offset:4
	s_waitcnt vmcnt(5)
	buffer_store_dword v77, v2, s[0:3], 0 offen offset:8
	;; [unrolled: 2-line block ×6, first 2 shown]
	s_waitcnt vmcnt(0)
	buffer_store_dword v82, v1, s[0:3], 0 offen
.LBB99_254:
	global_load_dword v0, v0, s[12:13] offset:88
	s_waitcnt vmcnt(0)
	v_add_nc_u32_e32 v0, -1, v0
	v_cmp_eq_u32_e32 vcc_lo, 22, v0
	s_cbranch_vccnz .LBB99_256
; %bb.255:
	v_lshlrev_b32_e32 v0, 4, v0
	v_mov_b32_e32 v1, s25
	v_add_nc_u32_e32 v0, 16, v0
	s_clause 0x7
	buffer_load_dword v2, v0, s[0:3], 0 offen
	buffer_load_dword v3, v0, s[0:3], 0 offen offset:4
	buffer_load_dword v4, v0, s[0:3], 0 offen offset:8
	;; [unrolled: 1-line block ×6, first 2 shown]
	buffer_load_dword v81, v1, s[0:3], 0 offen
	s_waitcnt vmcnt(7)
	buffer_store_dword v2, v1, s[0:3], 0 offen
	s_waitcnt vmcnt(6)
	buffer_store_dword v3, v1, s[0:3], 0 offen offset:4
	s_waitcnt vmcnt(5)
	buffer_store_dword v4, v1, s[0:3], 0 offen offset:8
	;; [unrolled: 2-line block ×6, first 2 shown]
	s_waitcnt vmcnt(0)
	buffer_store_dword v81, v0, s[0:3], 0 offen
.LBB99_256:
	v_mov_b32_e32 v0, 0
	global_load_dword v1, v0, s[12:13] offset:84
	s_waitcnt vmcnt(0)
	v_add_nc_u32_e32 v1, -1, v1
	v_cmp_eq_u32_e32 vcc_lo, 21, v1
	s_cbranch_vccnz .LBB99_258
; %bb.257:
	v_lshlrev_b32_e32 v1, 4, v1
	v_mov_b32_e32 v2, s26
	v_add_nc_u32_e32 v1, 16, v1
	s_clause 0x7
	buffer_load_dword v3, v1, s[0:3], 0 offen
	buffer_load_dword v4, v1, s[0:3], 0 offen offset:4
	buffer_load_dword v77, v1, s[0:3], 0 offen offset:8
	;; [unrolled: 1-line block ×6, first 2 shown]
	buffer_load_dword v82, v2, s[0:3], 0 offen
	s_waitcnt vmcnt(7)
	buffer_store_dword v3, v2, s[0:3], 0 offen
	s_waitcnt vmcnt(6)
	buffer_store_dword v4, v2, s[0:3], 0 offen offset:4
	s_waitcnt vmcnt(5)
	buffer_store_dword v77, v2, s[0:3], 0 offen offset:8
	;; [unrolled: 2-line block ×6, first 2 shown]
	s_waitcnt vmcnt(0)
	buffer_store_dword v82, v1, s[0:3], 0 offen
.LBB99_258:
	global_load_dword v0, v0, s[12:13] offset:80
	s_waitcnt vmcnt(0)
	v_add_nc_u32_e32 v0, -1, v0
	v_cmp_eq_u32_e32 vcc_lo, 20, v0
	s_cbranch_vccnz .LBB99_260
; %bb.259:
	v_lshlrev_b32_e32 v0, 4, v0
	v_mov_b32_e32 v1, s27
	v_add_nc_u32_e32 v0, 16, v0
	s_clause 0x7
	buffer_load_dword v2, v0, s[0:3], 0 offen
	buffer_load_dword v3, v0, s[0:3], 0 offen offset:4
	buffer_load_dword v4, v0, s[0:3], 0 offen offset:8
	buffer_load_dword v77, v0, s[0:3], 0 offen offset:12
	buffer_load_dword v78, v1, s[0:3], 0 offen offset:12
	buffer_load_dword v79, v1, s[0:3], 0 offen offset:8
	buffer_load_dword v80, v1, s[0:3], 0 offen offset:4
	buffer_load_dword v81, v1, s[0:3], 0 offen
	s_waitcnt vmcnt(7)
	buffer_store_dword v2, v1, s[0:3], 0 offen
	s_waitcnt vmcnt(6)
	buffer_store_dword v3, v1, s[0:3], 0 offen offset:4
	s_waitcnt vmcnt(5)
	buffer_store_dword v4, v1, s[0:3], 0 offen offset:8
	;; [unrolled: 2-line block ×6, first 2 shown]
	s_waitcnt vmcnt(0)
	buffer_store_dword v81, v0, s[0:3], 0 offen
.LBB99_260:
	v_mov_b32_e32 v0, 0
	global_load_dword v1, v0, s[12:13] offset:76
	s_waitcnt vmcnt(0)
	v_add_nc_u32_e32 v1, -1, v1
	v_cmp_eq_u32_e32 vcc_lo, 19, v1
	s_cbranch_vccnz .LBB99_262
; %bb.261:
	v_lshlrev_b32_e32 v1, 4, v1
	v_mov_b32_e32 v2, s28
	v_add_nc_u32_e32 v1, 16, v1
	s_clause 0x7
	buffer_load_dword v3, v1, s[0:3], 0 offen
	buffer_load_dword v4, v1, s[0:3], 0 offen offset:4
	buffer_load_dword v77, v1, s[0:3], 0 offen offset:8
	;; [unrolled: 1-line block ×6, first 2 shown]
	buffer_load_dword v82, v2, s[0:3], 0 offen
	s_waitcnt vmcnt(7)
	buffer_store_dword v3, v2, s[0:3], 0 offen
	s_waitcnt vmcnt(6)
	buffer_store_dword v4, v2, s[0:3], 0 offen offset:4
	s_waitcnt vmcnt(5)
	buffer_store_dword v77, v2, s[0:3], 0 offen offset:8
	;; [unrolled: 2-line block ×6, first 2 shown]
	s_waitcnt vmcnt(0)
	buffer_store_dword v82, v1, s[0:3], 0 offen
.LBB99_262:
	global_load_dword v0, v0, s[12:13] offset:72
	s_waitcnt vmcnt(0)
	v_add_nc_u32_e32 v0, -1, v0
	v_cmp_eq_u32_e32 vcc_lo, 18, v0
	s_cbranch_vccnz .LBB99_264
; %bb.263:
	v_lshlrev_b32_e32 v0, 4, v0
	v_mov_b32_e32 v1, s29
	v_add_nc_u32_e32 v0, 16, v0
	s_clause 0x7
	buffer_load_dword v2, v0, s[0:3], 0 offen
	buffer_load_dword v3, v0, s[0:3], 0 offen offset:4
	buffer_load_dword v4, v0, s[0:3], 0 offen offset:8
	buffer_load_dword v77, v0, s[0:3], 0 offen offset:12
	buffer_load_dword v78, v1, s[0:3], 0 offen offset:12
	buffer_load_dword v79, v1, s[0:3], 0 offen offset:8
	buffer_load_dword v80, v1, s[0:3], 0 offen offset:4
	buffer_load_dword v81, v1, s[0:3], 0 offen
	s_waitcnt vmcnt(7)
	buffer_store_dword v2, v1, s[0:3], 0 offen
	s_waitcnt vmcnt(6)
	buffer_store_dword v3, v1, s[0:3], 0 offen offset:4
	s_waitcnt vmcnt(5)
	buffer_store_dword v4, v1, s[0:3], 0 offen offset:8
	;; [unrolled: 2-line block ×6, first 2 shown]
	s_waitcnt vmcnt(0)
	buffer_store_dword v81, v0, s[0:3], 0 offen
.LBB99_264:
	v_mov_b32_e32 v0, 0
	global_load_dword v1, v0, s[12:13] offset:68
	s_waitcnt vmcnt(0)
	v_add_nc_u32_e32 v1, -1, v1
	v_cmp_eq_u32_e32 vcc_lo, 17, v1
	s_cbranch_vccnz .LBB99_266
; %bb.265:
	v_lshlrev_b32_e32 v1, 4, v1
	v_mov_b32_e32 v2, s30
	v_add_nc_u32_e32 v1, 16, v1
	s_clause 0x7
	buffer_load_dword v3, v1, s[0:3], 0 offen
	buffer_load_dword v4, v1, s[0:3], 0 offen offset:4
	buffer_load_dword v77, v1, s[0:3], 0 offen offset:8
	;; [unrolled: 1-line block ×6, first 2 shown]
	buffer_load_dword v82, v2, s[0:3], 0 offen
	s_waitcnt vmcnt(7)
	buffer_store_dword v3, v2, s[0:3], 0 offen
	s_waitcnt vmcnt(6)
	buffer_store_dword v4, v2, s[0:3], 0 offen offset:4
	s_waitcnt vmcnt(5)
	buffer_store_dword v77, v2, s[0:3], 0 offen offset:8
	;; [unrolled: 2-line block ×6, first 2 shown]
	s_waitcnt vmcnt(0)
	buffer_store_dword v82, v1, s[0:3], 0 offen
.LBB99_266:
	global_load_dword v0, v0, s[12:13] offset:64
	s_waitcnt vmcnt(0)
	v_add_nc_u32_e32 v0, -1, v0
	v_cmp_eq_u32_e32 vcc_lo, 16, v0
	s_cbranch_vccnz .LBB99_268
; %bb.267:
	v_lshlrev_b32_e32 v0, 4, v0
	v_mov_b32_e32 v1, s31
	v_add_nc_u32_e32 v0, 16, v0
	s_clause 0x7
	buffer_load_dword v2, v0, s[0:3], 0 offen
	buffer_load_dword v3, v0, s[0:3], 0 offen offset:4
	buffer_load_dword v4, v0, s[0:3], 0 offen offset:8
	;; [unrolled: 1-line block ×6, first 2 shown]
	buffer_load_dword v81, v1, s[0:3], 0 offen
	s_waitcnt vmcnt(7)
	buffer_store_dword v2, v1, s[0:3], 0 offen
	s_waitcnt vmcnt(6)
	buffer_store_dword v3, v1, s[0:3], 0 offen offset:4
	s_waitcnt vmcnt(5)
	buffer_store_dword v4, v1, s[0:3], 0 offen offset:8
	;; [unrolled: 2-line block ×6, first 2 shown]
	s_waitcnt vmcnt(0)
	buffer_store_dword v81, v0, s[0:3], 0 offen
.LBB99_268:
	v_mov_b32_e32 v0, 0
	global_load_dword v1, v0, s[12:13] offset:60
	s_waitcnt vmcnt(0)
	v_add_nc_u32_e32 v1, -1, v1
	v_cmp_eq_u32_e32 vcc_lo, 15, v1
	s_cbranch_vccnz .LBB99_270
; %bb.269:
	v_lshlrev_b32_e32 v1, 4, v1
	v_mov_b32_e32 v2, s33
	v_add_nc_u32_e32 v1, 16, v1
	s_clause 0x7
	buffer_load_dword v3, v1, s[0:3], 0 offen
	buffer_load_dword v4, v1, s[0:3], 0 offen offset:4
	buffer_load_dword v77, v1, s[0:3], 0 offen offset:8
	;; [unrolled: 1-line block ×6, first 2 shown]
	buffer_load_dword v82, v2, s[0:3], 0 offen
	s_waitcnt vmcnt(7)
	buffer_store_dword v3, v2, s[0:3], 0 offen
	s_waitcnt vmcnt(6)
	buffer_store_dword v4, v2, s[0:3], 0 offen offset:4
	s_waitcnt vmcnt(5)
	buffer_store_dword v77, v2, s[0:3], 0 offen offset:8
	;; [unrolled: 2-line block ×6, first 2 shown]
	s_waitcnt vmcnt(0)
	buffer_store_dword v82, v1, s[0:3], 0 offen
.LBB99_270:
	global_load_dword v0, v0, s[12:13] offset:56
	s_waitcnt vmcnt(0)
	v_add_nc_u32_e32 v0, -1, v0
	v_cmp_eq_u32_e32 vcc_lo, 14, v0
	s_cbranch_vccnz .LBB99_272
; %bb.271:
	v_lshlrev_b32_e32 v0, 4, v0
	v_mov_b32_e32 v1, s34
	v_add_nc_u32_e32 v0, 16, v0
	s_clause 0x7
	buffer_load_dword v2, v0, s[0:3], 0 offen
	buffer_load_dword v3, v0, s[0:3], 0 offen offset:4
	buffer_load_dword v4, v0, s[0:3], 0 offen offset:8
	;; [unrolled: 1-line block ×6, first 2 shown]
	buffer_load_dword v81, v1, s[0:3], 0 offen
	s_waitcnt vmcnt(7)
	buffer_store_dword v2, v1, s[0:3], 0 offen
	s_waitcnt vmcnt(6)
	buffer_store_dword v3, v1, s[0:3], 0 offen offset:4
	s_waitcnt vmcnt(5)
	buffer_store_dword v4, v1, s[0:3], 0 offen offset:8
	s_waitcnt vmcnt(4)
	buffer_store_dword v77, v1, s[0:3], 0 offen offset:12
	s_waitcnt vmcnt(3)
	buffer_store_dword v78, v0, s[0:3], 0 offen offset:12
	s_waitcnt vmcnt(2)
	buffer_store_dword v79, v0, s[0:3], 0 offen offset:8
	s_waitcnt vmcnt(1)
	buffer_store_dword v80, v0, s[0:3], 0 offen offset:4
	s_waitcnt vmcnt(0)
	buffer_store_dword v81, v0, s[0:3], 0 offen
.LBB99_272:
	v_mov_b32_e32 v0, 0
	global_load_dword v1, v0, s[12:13] offset:52
	s_waitcnt vmcnt(0)
	v_add_nc_u32_e32 v1, -1, v1
	v_cmp_eq_u32_e32 vcc_lo, 13, v1
	s_cbranch_vccnz .LBB99_274
; %bb.273:
	v_lshlrev_b32_e32 v1, 4, v1
	v_mov_b32_e32 v2, s35
	v_add_nc_u32_e32 v1, 16, v1
	s_clause 0x7
	buffer_load_dword v3, v1, s[0:3], 0 offen
	buffer_load_dword v4, v1, s[0:3], 0 offen offset:4
	buffer_load_dword v77, v1, s[0:3], 0 offen offset:8
	;; [unrolled: 1-line block ×6, first 2 shown]
	buffer_load_dword v82, v2, s[0:3], 0 offen
	s_waitcnt vmcnt(7)
	buffer_store_dword v3, v2, s[0:3], 0 offen
	s_waitcnt vmcnt(6)
	buffer_store_dword v4, v2, s[0:3], 0 offen offset:4
	s_waitcnt vmcnt(5)
	buffer_store_dword v77, v2, s[0:3], 0 offen offset:8
	;; [unrolled: 2-line block ×6, first 2 shown]
	s_waitcnt vmcnt(0)
	buffer_store_dword v82, v1, s[0:3], 0 offen
.LBB99_274:
	global_load_dword v0, v0, s[12:13] offset:48
	s_waitcnt vmcnt(0)
	v_add_nc_u32_e32 v0, -1, v0
	v_cmp_eq_u32_e32 vcc_lo, 12, v0
	s_cbranch_vccnz .LBB99_276
; %bb.275:
	v_lshlrev_b32_e32 v0, 4, v0
	v_mov_b32_e32 v1, s36
	v_add_nc_u32_e32 v0, 16, v0
	s_clause 0x7
	buffer_load_dword v2, v0, s[0:3], 0 offen
	buffer_load_dword v3, v0, s[0:3], 0 offen offset:4
	buffer_load_dword v4, v0, s[0:3], 0 offen offset:8
	;; [unrolled: 1-line block ×6, first 2 shown]
	buffer_load_dword v81, v1, s[0:3], 0 offen
	s_waitcnt vmcnt(7)
	buffer_store_dword v2, v1, s[0:3], 0 offen
	s_waitcnt vmcnt(6)
	buffer_store_dword v3, v1, s[0:3], 0 offen offset:4
	s_waitcnt vmcnt(5)
	buffer_store_dword v4, v1, s[0:3], 0 offen offset:8
	;; [unrolled: 2-line block ×6, first 2 shown]
	s_waitcnt vmcnt(0)
	buffer_store_dword v81, v0, s[0:3], 0 offen
.LBB99_276:
	v_mov_b32_e32 v0, 0
	global_load_dword v1, v0, s[12:13] offset:44
	s_waitcnt vmcnt(0)
	v_add_nc_u32_e32 v1, -1, v1
	v_cmp_eq_u32_e32 vcc_lo, 11, v1
	s_cbranch_vccnz .LBB99_278
; %bb.277:
	v_lshlrev_b32_e32 v1, 4, v1
	v_mov_b32_e32 v2, s37
	v_add_nc_u32_e32 v1, 16, v1
	s_clause 0x7
	buffer_load_dword v3, v1, s[0:3], 0 offen
	buffer_load_dword v4, v1, s[0:3], 0 offen offset:4
	buffer_load_dword v77, v1, s[0:3], 0 offen offset:8
	;; [unrolled: 1-line block ×6, first 2 shown]
	buffer_load_dword v82, v2, s[0:3], 0 offen
	s_waitcnt vmcnt(7)
	buffer_store_dword v3, v2, s[0:3], 0 offen
	s_waitcnt vmcnt(6)
	buffer_store_dword v4, v2, s[0:3], 0 offen offset:4
	s_waitcnt vmcnt(5)
	buffer_store_dword v77, v2, s[0:3], 0 offen offset:8
	;; [unrolled: 2-line block ×6, first 2 shown]
	s_waitcnt vmcnt(0)
	buffer_store_dword v82, v1, s[0:3], 0 offen
.LBB99_278:
	global_load_dword v0, v0, s[12:13] offset:40
	s_waitcnt vmcnt(0)
	v_add_nc_u32_e32 v0, -1, v0
	v_cmp_eq_u32_e32 vcc_lo, 10, v0
	s_cbranch_vccnz .LBB99_280
; %bb.279:
	v_lshlrev_b32_e32 v0, 4, v0
	v_mov_b32_e32 v1, s38
	v_add_nc_u32_e32 v0, 16, v0
	s_clause 0x7
	buffer_load_dword v2, v0, s[0:3], 0 offen
	buffer_load_dword v3, v0, s[0:3], 0 offen offset:4
	buffer_load_dword v4, v0, s[0:3], 0 offen offset:8
	;; [unrolled: 1-line block ×6, first 2 shown]
	buffer_load_dword v81, v1, s[0:3], 0 offen
	s_waitcnt vmcnt(7)
	buffer_store_dword v2, v1, s[0:3], 0 offen
	s_waitcnt vmcnt(6)
	buffer_store_dword v3, v1, s[0:3], 0 offen offset:4
	s_waitcnt vmcnt(5)
	buffer_store_dword v4, v1, s[0:3], 0 offen offset:8
	;; [unrolled: 2-line block ×6, first 2 shown]
	s_waitcnt vmcnt(0)
	buffer_store_dword v81, v0, s[0:3], 0 offen
.LBB99_280:
	v_mov_b32_e32 v0, 0
	global_load_dword v1, v0, s[12:13] offset:36
	s_waitcnt vmcnt(0)
	v_add_nc_u32_e32 v1, -1, v1
	v_cmp_eq_u32_e32 vcc_lo, 9, v1
	s_cbranch_vccnz .LBB99_282
; %bb.281:
	v_lshlrev_b32_e32 v1, 4, v1
	v_mov_b32_e32 v2, s39
	v_add_nc_u32_e32 v1, 16, v1
	s_clause 0x7
	buffer_load_dword v3, v1, s[0:3], 0 offen
	buffer_load_dword v4, v1, s[0:3], 0 offen offset:4
	buffer_load_dword v77, v1, s[0:3], 0 offen offset:8
	;; [unrolled: 1-line block ×6, first 2 shown]
	buffer_load_dword v82, v2, s[0:3], 0 offen
	s_waitcnt vmcnt(7)
	buffer_store_dword v3, v2, s[0:3], 0 offen
	s_waitcnt vmcnt(6)
	buffer_store_dword v4, v2, s[0:3], 0 offen offset:4
	s_waitcnt vmcnt(5)
	buffer_store_dword v77, v2, s[0:3], 0 offen offset:8
	;; [unrolled: 2-line block ×6, first 2 shown]
	s_waitcnt vmcnt(0)
	buffer_store_dword v82, v1, s[0:3], 0 offen
.LBB99_282:
	global_load_dword v0, v0, s[12:13] offset:32
	s_waitcnt vmcnt(0)
	v_add_nc_u32_e32 v0, -1, v0
	v_cmp_eq_u32_e32 vcc_lo, 8, v0
	s_cbranch_vccnz .LBB99_284
; %bb.283:
	v_lshlrev_b32_e32 v0, 4, v0
	v_mov_b32_e32 v1, s40
	v_add_nc_u32_e32 v0, 16, v0
	s_clause 0x7
	buffer_load_dword v2, v0, s[0:3], 0 offen
	buffer_load_dword v3, v0, s[0:3], 0 offen offset:4
	buffer_load_dword v4, v0, s[0:3], 0 offen offset:8
	;; [unrolled: 1-line block ×6, first 2 shown]
	buffer_load_dword v81, v1, s[0:3], 0 offen
	s_waitcnt vmcnt(7)
	buffer_store_dword v2, v1, s[0:3], 0 offen
	s_waitcnt vmcnt(6)
	buffer_store_dword v3, v1, s[0:3], 0 offen offset:4
	s_waitcnt vmcnt(5)
	buffer_store_dword v4, v1, s[0:3], 0 offen offset:8
	;; [unrolled: 2-line block ×6, first 2 shown]
	s_waitcnt vmcnt(0)
	buffer_store_dword v81, v0, s[0:3], 0 offen
.LBB99_284:
	v_mov_b32_e32 v0, 0
	global_load_dword v1, v0, s[12:13] offset:28
	s_waitcnt vmcnt(0)
	v_add_nc_u32_e32 v1, -1, v1
	v_cmp_eq_u32_e32 vcc_lo, 7, v1
	s_cbranch_vccnz .LBB99_286
; %bb.285:
	v_lshlrev_b32_e32 v1, 4, v1
	v_mov_b32_e32 v2, s41
	v_add_nc_u32_e32 v1, 16, v1
	s_clause 0x7
	buffer_load_dword v3, v1, s[0:3], 0 offen
	buffer_load_dword v4, v1, s[0:3], 0 offen offset:4
	buffer_load_dword v77, v1, s[0:3], 0 offen offset:8
	;; [unrolled: 1-line block ×6, first 2 shown]
	buffer_load_dword v82, v2, s[0:3], 0 offen
	s_waitcnt vmcnt(7)
	buffer_store_dword v3, v2, s[0:3], 0 offen
	s_waitcnt vmcnt(6)
	buffer_store_dword v4, v2, s[0:3], 0 offen offset:4
	s_waitcnt vmcnt(5)
	buffer_store_dword v77, v2, s[0:3], 0 offen offset:8
	;; [unrolled: 2-line block ×6, first 2 shown]
	s_waitcnt vmcnt(0)
	buffer_store_dword v82, v1, s[0:3], 0 offen
.LBB99_286:
	global_load_dword v0, v0, s[12:13] offset:24
	s_waitcnt vmcnt(0)
	v_add_nc_u32_e32 v0, -1, v0
	v_cmp_eq_u32_e32 vcc_lo, 6, v0
	s_cbranch_vccnz .LBB99_288
; %bb.287:
	v_lshlrev_b32_e32 v0, 4, v0
	v_mov_b32_e32 v1, s42
	v_add_nc_u32_e32 v0, 16, v0
	s_clause 0x7
	buffer_load_dword v2, v0, s[0:3], 0 offen
	buffer_load_dword v3, v0, s[0:3], 0 offen offset:4
	buffer_load_dword v4, v0, s[0:3], 0 offen offset:8
	;; [unrolled: 1-line block ×6, first 2 shown]
	buffer_load_dword v81, v1, s[0:3], 0 offen
	s_waitcnt vmcnt(7)
	buffer_store_dword v2, v1, s[0:3], 0 offen
	s_waitcnt vmcnt(6)
	buffer_store_dword v3, v1, s[0:3], 0 offen offset:4
	s_waitcnt vmcnt(5)
	buffer_store_dword v4, v1, s[0:3], 0 offen offset:8
	;; [unrolled: 2-line block ×6, first 2 shown]
	s_waitcnt vmcnt(0)
	buffer_store_dword v81, v0, s[0:3], 0 offen
.LBB99_288:
	v_mov_b32_e32 v0, 0
	global_load_dword v1, v0, s[12:13] offset:20
	s_waitcnt vmcnt(0)
	v_add_nc_u32_e32 v1, -1, v1
	v_cmp_eq_u32_e32 vcc_lo, 5, v1
	s_cbranch_vccnz .LBB99_290
; %bb.289:
	v_lshlrev_b32_e32 v1, 4, v1
	v_mov_b32_e32 v2, s43
	v_add_nc_u32_e32 v1, 16, v1
	s_clause 0x7
	buffer_load_dword v3, v1, s[0:3], 0 offen
	buffer_load_dword v4, v1, s[0:3], 0 offen offset:4
	buffer_load_dword v77, v1, s[0:3], 0 offen offset:8
	buffer_load_dword v78, v1, s[0:3], 0 offen offset:12
	buffer_load_dword v79, v2, s[0:3], 0 offen offset:12
	buffer_load_dword v80, v2, s[0:3], 0 offen offset:8
	buffer_load_dword v81, v2, s[0:3], 0 offen offset:4
	buffer_load_dword v82, v2, s[0:3], 0 offen
	s_waitcnt vmcnt(7)
	buffer_store_dword v3, v2, s[0:3], 0 offen
	s_waitcnt vmcnt(6)
	buffer_store_dword v4, v2, s[0:3], 0 offen offset:4
	s_waitcnt vmcnt(5)
	buffer_store_dword v77, v2, s[0:3], 0 offen offset:8
	s_waitcnt vmcnt(4)
	buffer_store_dword v78, v2, s[0:3], 0 offen offset:12
	s_waitcnt vmcnt(3)
	buffer_store_dword v79, v1, s[0:3], 0 offen offset:12
	s_waitcnt vmcnt(2)
	buffer_store_dword v80, v1, s[0:3], 0 offen offset:8
	s_waitcnt vmcnt(1)
	buffer_store_dword v81, v1, s[0:3], 0 offen offset:4
	s_waitcnt vmcnt(0)
	buffer_store_dword v82, v1, s[0:3], 0 offen
.LBB99_290:
	global_load_dword v0, v0, s[12:13] offset:16
	s_waitcnt vmcnt(0)
	v_add_nc_u32_e32 v0, -1, v0
	v_cmp_eq_u32_e32 vcc_lo, 4, v0
	s_cbranch_vccnz .LBB99_292
; %bb.291:
	v_lshlrev_b32_e32 v0, 4, v0
	v_mov_b32_e32 v1, s44
	v_add_nc_u32_e32 v0, 16, v0
	s_clause 0x7
	buffer_load_dword v2, v0, s[0:3], 0 offen
	buffer_load_dword v3, v0, s[0:3], 0 offen offset:4
	buffer_load_dword v4, v0, s[0:3], 0 offen offset:8
	;; [unrolled: 1-line block ×6, first 2 shown]
	buffer_load_dword v81, v1, s[0:3], 0 offen
	s_waitcnt vmcnt(7)
	buffer_store_dword v2, v1, s[0:3], 0 offen
	s_waitcnt vmcnt(6)
	buffer_store_dword v3, v1, s[0:3], 0 offen offset:4
	s_waitcnt vmcnt(5)
	buffer_store_dword v4, v1, s[0:3], 0 offen offset:8
	s_waitcnt vmcnt(4)
	buffer_store_dword v77, v1, s[0:3], 0 offen offset:12
	s_waitcnt vmcnt(3)
	buffer_store_dword v78, v0, s[0:3], 0 offen offset:12
	s_waitcnt vmcnt(2)
	buffer_store_dword v79, v0, s[0:3], 0 offen offset:8
	s_waitcnt vmcnt(1)
	buffer_store_dword v80, v0, s[0:3], 0 offen offset:4
	s_waitcnt vmcnt(0)
	buffer_store_dword v81, v0, s[0:3], 0 offen
.LBB99_292:
	v_mov_b32_e32 v0, 0
	global_load_dword v1, v0, s[12:13] offset:12
	s_waitcnt vmcnt(0)
	v_add_nc_u32_e32 v1, -1, v1
	v_cmp_eq_u32_e32 vcc_lo, 3, v1
	s_cbranch_vccnz .LBB99_294
; %bb.293:
	v_lshlrev_b32_e32 v1, 4, v1
	v_mov_b32_e32 v2, s45
	v_add_nc_u32_e32 v1, 16, v1
	s_clause 0x7
	buffer_load_dword v3, v1, s[0:3], 0 offen
	buffer_load_dword v4, v1, s[0:3], 0 offen offset:4
	buffer_load_dword v77, v1, s[0:3], 0 offen offset:8
	;; [unrolled: 1-line block ×6, first 2 shown]
	buffer_load_dword v82, v2, s[0:3], 0 offen
	s_waitcnt vmcnt(7)
	buffer_store_dword v3, v2, s[0:3], 0 offen
	s_waitcnt vmcnt(6)
	buffer_store_dword v4, v2, s[0:3], 0 offen offset:4
	s_waitcnt vmcnt(5)
	buffer_store_dword v77, v2, s[0:3], 0 offen offset:8
	;; [unrolled: 2-line block ×6, first 2 shown]
	s_waitcnt vmcnt(0)
	buffer_store_dword v82, v1, s[0:3], 0 offen
.LBB99_294:
	global_load_dword v0, v0, s[12:13] offset:8
	s_waitcnt vmcnt(0)
	v_add_nc_u32_e32 v0, -1, v0
	v_cmp_eq_u32_e32 vcc_lo, 2, v0
	s_cbranch_vccnz .LBB99_296
; %bb.295:
	v_lshlrev_b32_e32 v0, 4, v0
	v_mov_b32_e32 v1, s46
	v_add_nc_u32_e32 v0, 16, v0
	s_clause 0x7
	buffer_load_dword v2, v0, s[0:3], 0 offen
	buffer_load_dword v3, v0, s[0:3], 0 offen offset:4
	buffer_load_dword v4, v0, s[0:3], 0 offen offset:8
	;; [unrolled: 1-line block ×6, first 2 shown]
	buffer_load_dword v81, v1, s[0:3], 0 offen
	s_waitcnt vmcnt(7)
	buffer_store_dword v2, v1, s[0:3], 0 offen
	s_waitcnt vmcnt(6)
	buffer_store_dword v3, v1, s[0:3], 0 offen offset:4
	s_waitcnt vmcnt(5)
	buffer_store_dword v4, v1, s[0:3], 0 offen offset:8
	;; [unrolled: 2-line block ×6, first 2 shown]
	s_waitcnt vmcnt(0)
	buffer_store_dword v81, v0, s[0:3], 0 offen
.LBB99_296:
	v_mov_b32_e32 v0, 0
	global_load_dword v1, v0, s[12:13] offset:4
	s_waitcnt vmcnt(0)
	v_add_nc_u32_e32 v1, -1, v1
	v_cmp_eq_u32_e32 vcc_lo, 1, v1
	s_cbranch_vccnz .LBB99_298
; %bb.297:
	v_lshlrev_b32_e32 v1, 4, v1
	v_mov_b32_e32 v2, s47
	v_add_nc_u32_e32 v1, 16, v1
	s_clause 0x7
	buffer_load_dword v3, v1, s[0:3], 0 offen
	buffer_load_dword v4, v1, s[0:3], 0 offen offset:4
	buffer_load_dword v77, v1, s[0:3], 0 offen offset:8
	;; [unrolled: 1-line block ×6, first 2 shown]
	buffer_load_dword v82, v2, s[0:3], 0 offen
	s_waitcnt vmcnt(7)
	buffer_store_dword v3, v2, s[0:3], 0 offen
	s_waitcnt vmcnt(6)
	buffer_store_dword v4, v2, s[0:3], 0 offen offset:4
	s_waitcnt vmcnt(5)
	buffer_store_dword v77, v2, s[0:3], 0 offen offset:8
	;; [unrolled: 2-line block ×6, first 2 shown]
	s_waitcnt vmcnt(0)
	buffer_store_dword v82, v1, s[0:3], 0 offen
.LBB99_298:
	global_load_dword v0, v0, s[12:13]
	s_waitcnt vmcnt(0)
	v_add_nc_u32_e32 v0, -1, v0
	v_cmp_eq_u32_e32 vcc_lo, 0, v0
	s_cbranch_vccnz .LBB99_300
; %bb.299:
	v_lshlrev_b32_e32 v0, 4, v0
	v_add_nc_u32_e32 v0, 16, v0
	s_clause 0x7
	buffer_load_dword v1, v0, s[0:3], 0 offen
	buffer_load_dword v2, v0, s[0:3], 0 offen offset:4
	buffer_load_dword v3, v0, s[0:3], 0 offen offset:8
	;; [unrolled: 1-line block ×3, first 2 shown]
	buffer_load_dword v77, off, s[0:3], 0 offset:28
	buffer_load_dword v78, off, s[0:3], 0 offset:24
	;; [unrolled: 1-line block ×4, first 2 shown]
	s_waitcnt vmcnt(7)
	buffer_store_dword v1, off, s[0:3], 0 offset:16
	s_waitcnt vmcnt(6)
	buffer_store_dword v2, off, s[0:3], 0 offset:20
	;; [unrolled: 2-line block ×4, first 2 shown]
	s_waitcnt vmcnt(3)
	buffer_store_dword v77, v0, s[0:3], 0 offen offset:12
	s_waitcnt vmcnt(2)
	buffer_store_dword v78, v0, s[0:3], 0 offen offset:8
	;; [unrolled: 2-line block ×3, first 2 shown]
	s_waitcnt vmcnt(0)
	buffer_store_dword v80, v0, s[0:3], 0 offen
.LBB99_300:
	s_clause 0x3
	buffer_load_dword v0, off, s[0:3], 0 offset:16
	buffer_load_dword v1, off, s[0:3], 0 offset:20
	;; [unrolled: 1-line block ×4, first 2 shown]
	v_mov_b32_e32 v4, s47
	s_waitcnt vmcnt(0)
	flat_store_dwordx4 v[5:6], v[0:3]
	s_clause 0x3
	buffer_load_dword v0, v4, s[0:3], 0 offen
	buffer_load_dword v1, v4, s[0:3], 0 offen offset:4
	buffer_load_dword v2, v4, s[0:3], 0 offen offset:8
	buffer_load_dword v3, v4, s[0:3], 0 offen offset:12
	v_mov_b32_e32 v4, s46
	s_waitcnt vmcnt(0)
	flat_store_dwordx4 v[59:60], v[0:3]
	s_clause 0x3
	buffer_load_dword v0, v4, s[0:3], 0 offen
	buffer_load_dword v1, v4, s[0:3], 0 offen offset:4
	buffer_load_dword v2, v4, s[0:3], 0 offen offset:8
	buffer_load_dword v3, v4, s[0:3], 0 offen offset:12
	;; [unrolled: 8-line block ×35, first 2 shown]
	s_waitcnt vmcnt(0)
	flat_store_dwordx4 v[75:76], v[0:3]
	s_endpgm
	.section	.rodata,"a",@progbits
	.p2align	6, 0x0
	.amdhsa_kernel _ZN9rocsolver6v33100L18getri_kernel_smallILi36E19rocblas_complex_numIdEPKPS3_EEvT1_iilPiilS8_bb
		.amdhsa_group_segment_fixed_size 1160
		.amdhsa_private_segment_fixed_size 608
		.amdhsa_kernarg_size 60
		.amdhsa_user_sgpr_count 6
		.amdhsa_user_sgpr_private_segment_buffer 1
		.amdhsa_user_sgpr_dispatch_ptr 0
		.amdhsa_user_sgpr_queue_ptr 0
		.amdhsa_user_sgpr_kernarg_segment_ptr 1
		.amdhsa_user_sgpr_dispatch_id 0
		.amdhsa_user_sgpr_flat_scratch_init 0
		.amdhsa_user_sgpr_private_segment_size 0
		.amdhsa_wavefront_size32 1
		.amdhsa_uses_dynamic_stack 0
		.amdhsa_system_sgpr_private_segment_wavefront_offset 1
		.amdhsa_system_sgpr_workgroup_id_x 1
		.amdhsa_system_sgpr_workgroup_id_y 0
		.amdhsa_system_sgpr_workgroup_id_z 0
		.amdhsa_system_sgpr_workgroup_info 0
		.amdhsa_system_vgpr_workitem_id 0
		.amdhsa_next_free_vgpr 167
		.amdhsa_next_free_sgpr 65
		.amdhsa_reserve_vcc 1
		.amdhsa_reserve_flat_scratch 0
		.amdhsa_float_round_mode_32 0
		.amdhsa_float_round_mode_16_64 0
		.amdhsa_float_denorm_mode_32 3
		.amdhsa_float_denorm_mode_16_64 3
		.amdhsa_dx10_clamp 1
		.amdhsa_ieee_mode 1
		.amdhsa_fp16_overflow 0
		.amdhsa_workgroup_processor_mode 1
		.amdhsa_memory_ordered 1
		.amdhsa_forward_progress 1
		.amdhsa_shared_vgpr_count 0
		.amdhsa_exception_fp_ieee_invalid_op 0
		.amdhsa_exception_fp_denorm_src 0
		.amdhsa_exception_fp_ieee_div_zero 0
		.amdhsa_exception_fp_ieee_overflow 0
		.amdhsa_exception_fp_ieee_underflow 0
		.amdhsa_exception_fp_ieee_inexact 0
		.amdhsa_exception_int_div_zero 0
	.end_amdhsa_kernel
	.section	.text._ZN9rocsolver6v33100L18getri_kernel_smallILi36E19rocblas_complex_numIdEPKPS3_EEvT1_iilPiilS8_bb,"axG",@progbits,_ZN9rocsolver6v33100L18getri_kernel_smallILi36E19rocblas_complex_numIdEPKPS3_EEvT1_iilPiilS8_bb,comdat
.Lfunc_end99:
	.size	_ZN9rocsolver6v33100L18getri_kernel_smallILi36E19rocblas_complex_numIdEPKPS3_EEvT1_iilPiilS8_bb, .Lfunc_end99-_ZN9rocsolver6v33100L18getri_kernel_smallILi36E19rocblas_complex_numIdEPKPS3_EEvT1_iilPiilS8_bb
                                        ; -- End function
	.set _ZN9rocsolver6v33100L18getri_kernel_smallILi36E19rocblas_complex_numIdEPKPS3_EEvT1_iilPiilS8_bb.num_vgpr, 167
	.set _ZN9rocsolver6v33100L18getri_kernel_smallILi36E19rocblas_complex_numIdEPKPS3_EEvT1_iilPiilS8_bb.num_agpr, 0
	.set _ZN9rocsolver6v33100L18getri_kernel_smallILi36E19rocblas_complex_numIdEPKPS3_EEvT1_iilPiilS8_bb.numbered_sgpr, 65
	.set _ZN9rocsolver6v33100L18getri_kernel_smallILi36E19rocblas_complex_numIdEPKPS3_EEvT1_iilPiilS8_bb.num_named_barrier, 0
	.set _ZN9rocsolver6v33100L18getri_kernel_smallILi36E19rocblas_complex_numIdEPKPS3_EEvT1_iilPiilS8_bb.private_seg_size, 608
	.set _ZN9rocsolver6v33100L18getri_kernel_smallILi36E19rocblas_complex_numIdEPKPS3_EEvT1_iilPiilS8_bb.uses_vcc, 1
	.set _ZN9rocsolver6v33100L18getri_kernel_smallILi36E19rocblas_complex_numIdEPKPS3_EEvT1_iilPiilS8_bb.uses_flat_scratch, 0
	.set _ZN9rocsolver6v33100L18getri_kernel_smallILi36E19rocblas_complex_numIdEPKPS3_EEvT1_iilPiilS8_bb.has_dyn_sized_stack, 0
	.set _ZN9rocsolver6v33100L18getri_kernel_smallILi36E19rocblas_complex_numIdEPKPS3_EEvT1_iilPiilS8_bb.has_recursion, 0
	.set _ZN9rocsolver6v33100L18getri_kernel_smallILi36E19rocblas_complex_numIdEPKPS3_EEvT1_iilPiilS8_bb.has_indirect_call, 0
	.section	.AMDGPU.csdata,"",@progbits
; Kernel info:
; codeLenInByte = 95416
; TotalNumSgprs: 67
; NumVgprs: 167
; ScratchSize: 608
; MemoryBound: 0
; FloatMode: 240
; IeeeMode: 1
; LDSByteSize: 1160 bytes/workgroup (compile time only)
; SGPRBlocks: 0
; VGPRBlocks: 20
; NumSGPRsForWavesPerEU: 67
; NumVGPRsForWavesPerEU: 167
; Occupancy: 5
; WaveLimiterHint : 1
; COMPUTE_PGM_RSRC2:SCRATCH_EN: 1
; COMPUTE_PGM_RSRC2:USER_SGPR: 6
; COMPUTE_PGM_RSRC2:TRAP_HANDLER: 0
; COMPUTE_PGM_RSRC2:TGID_X_EN: 1
; COMPUTE_PGM_RSRC2:TGID_Y_EN: 0
; COMPUTE_PGM_RSRC2:TGID_Z_EN: 0
; COMPUTE_PGM_RSRC2:TIDIG_COMP_CNT: 0
	.section	.text._ZN9rocsolver6v33100L18getri_kernel_smallILi37E19rocblas_complex_numIdEPKPS3_EEvT1_iilPiilS8_bb,"axG",@progbits,_ZN9rocsolver6v33100L18getri_kernel_smallILi37E19rocblas_complex_numIdEPKPS3_EEvT1_iilPiilS8_bb,comdat
	.globl	_ZN9rocsolver6v33100L18getri_kernel_smallILi37E19rocblas_complex_numIdEPKPS3_EEvT1_iilPiilS8_bb ; -- Begin function _ZN9rocsolver6v33100L18getri_kernel_smallILi37E19rocblas_complex_numIdEPKPS3_EEvT1_iilPiilS8_bb
	.p2align	8
	.type	_ZN9rocsolver6v33100L18getri_kernel_smallILi37E19rocblas_complex_numIdEPKPS3_EEvT1_iilPiilS8_bb,@function
_ZN9rocsolver6v33100L18getri_kernel_smallILi37E19rocblas_complex_numIdEPKPS3_EEvT1_iilPiilS8_bb: ; @_ZN9rocsolver6v33100L18getri_kernel_smallILi37E19rocblas_complex_numIdEPKPS3_EEvT1_iilPiilS8_bb
; %bb.0:
	s_add_u32 s0, s0, s7
	s_addc_u32 s1, s1, 0
	s_mov_b32 s7, exec_lo
	v_cmpx_gt_u32_e32 37, v0
	s_cbranch_execz .LBB100_162
; %bb.1:
	s_clause 0x2
	s_load_dword s16, s[4:5], 0x38
	s_load_dwordx2 s[12:13], s[4:5], 0x0
	s_load_dwordx4 s[8:11], s[4:5], 0x28
	s_waitcnt lgkmcnt(0)
	s_bitcmp1_b32 s16, 8
	s_cselect_b32 s49, -1, 0
	s_ashr_i32 s7, s6, 31
	s_lshl_b64 s[14:15], s[6:7], 3
	s_add_u32 s12, s12, s14
	s_addc_u32 s13, s13, s15
	s_load_dwordx2 s[14:15], s[12:13], 0x0
	s_bfe_u32 s12, s16, 0x10008
	s_cmp_eq_u32 s12, 0
                                        ; implicit-def: $sgpr12_sgpr13
	s_cbranch_scc1 .LBB100_3
; %bb.2:
	s_clause 0x1
	s_load_dword s12, s[4:5], 0x20
	s_load_dwordx2 s[16:17], s[4:5], 0x18
	s_mul_i32 s13, s8, s7
	s_mul_hi_u32 s18, s8, s6
	s_mul_i32 s9, s9, s6
	s_add_i32 s13, s18, s13
	s_mul_i32 s8, s8, s6
	s_add_i32 s9, s13, s9
	s_lshl_b64 s[8:9], s[8:9], 2
	s_waitcnt lgkmcnt(0)
	s_ashr_i32 s13, s12, 31
	s_add_u32 s16, s16, s8
	s_addc_u32 s17, s17, s9
	s_lshl_b64 s[8:9], s[12:13], 2
	s_add_u32 s12, s16, s8
	s_addc_u32 s13, s17, s9
.LBB100_3:
	s_clause 0x1
	s_load_dwordx2 s[8:9], s[4:5], 0x8
	s_load_dword s50, s[4:5], 0x38
	v_lshlrev_b32_e32 v85, 4, v0
	s_movk_i32 s16, 0xa0
	s_movk_i32 s17, 0xb0
	;; [unrolled: 1-line block ×17, first 2 shown]
	s_waitcnt lgkmcnt(0)
	s_ashr_i32 s5, s8, 31
	s_mov_b32 s4, s8
	v_add3_u32 v7, s9, s9, v0
	s_lshl_b64 s[4:5], s[4:5], 4
	s_movk_i32 s56, 0x1b0
	s_add_u32 s8, s14, s4
	s_addc_u32 s14, s15, s5
	v_add_co_u32 v5, s4, s8, v85
	v_add_co_ci_u32_e64 v6, null, s14, 0, s4
	s_mov_b32 s4, s9
	s_ashr_i32 s5, s9, 31
	v_ashrrev_i32_e32 v8, 31, v7
	flat_load_dwordx4 v[1:4], v[5:6]
	s_lshl_b64 s[4:5], s[4:5], 4
	s_movk_i32 s15, 0x90
	v_add_co_u32 v59, vcc_lo, v5, s4
	v_add_co_ci_u32_e64 v60, null, s5, v6, vcc_lo
	v_lshlrev_b64 v[8:9], 4, v[7:8]
	v_add_nc_u32_e32 v7, s9, v7
	s_movk_i32 s4, 0x50
	s_movk_i32 s57, 0x1c0
	;; [unrolled: 1-line block ×4, first 2 shown]
	v_add_co_u32 v57, vcc_lo, s8, v8
	v_add_co_ci_u32_e64 v58, null, s14, v9, vcc_lo
	v_ashrrev_i32_e32 v8, 31, v7
	s_movk_i32 s60, 0x1f0
	s_movk_i32 s61, 0x200
	;; [unrolled: 1-line block ×4, first 2 shown]
	v_lshlrev_b64 v[8:9], 4, v[7:8]
	v_add_nc_u32_e32 v7, s9, v7
	s_movk_i32 s64, 0x230
	s_movk_i32 s65, 0x240
	s_add_i32 s44, s4, 16
	s_add_i32 s40, s15, 16
	v_add_co_u32 v53, vcc_lo, s8, v8
	v_add_co_ci_u32_e64 v54, null, s14, v9, vcc_lo
	v_ashrrev_i32_e32 v8, 31, v7
	s_add_i32 s39, s16, 16
	s_add_i32 s38, s17, 16
	s_add_i32 s37, s18, 16
	s_add_i32 s36, s19, 16
	v_lshlrev_b64 v[8:9], 4, v[7:8]
	v_add_nc_u32_e32 v7, s9, v7
	s_add_i32 s35, s20, 16
	s_add_i32 s34, s21, 16
	s_add_i32 s33, s22, 16
	s_add_i32 s31, s23, 16
	v_add_co_u32 v51, vcc_lo, s8, v8
	v_add_co_ci_u32_e64 v52, null, s14, v9, vcc_lo
	v_ashrrev_i32_e32 v8, 31, v7
	s_add_i32 s30, s24, 16
	s_add_i32 s29, s25, 16
	s_add_i32 s28, s26, 16
	s_add_i32 s27, s27, 16
	v_lshlrev_b64 v[8:9], 4, v[7:8]
	v_add_nc_u32_e32 v7, s9, v7
	s_add_i32 s26, s51, 16
	s_add_i32 s25, s52, 16
	;; [unrolled: 13-line block ×3, first 2 shown]
	s_add_i32 s16, s61, 16
	s_add_i32 s15, s62, 16
	v_add_co_u32 v47, vcc_lo, s8, v8
	v_add_co_ci_u32_e64 v48, null, s14, v9, vcc_lo
	v_ashrrev_i32_e32 v8, 31, v7
	s_mov_b32 s5, -1
	s_mov_b32 s48, 32
	s_mov_b32 s47, 48
	;; [unrolled: 1-line block ×3, first 2 shown]
	v_lshlrev_b64 v[8:9], 4, v[7:8]
	v_add_nc_u32_e32 v7, s9, v7
	s_movk_i32 s45, 0x50
	s_waitcnt vmcnt(0) lgkmcnt(0)
	buffer_store_dword v4, off, s[0:3], 0 offset:28
	buffer_store_dword v3, off, s[0:3], 0 offset:24
	buffer_store_dword v2, off, s[0:3], 0 offset:20
	buffer_store_dword v1, off, s[0:3], 0 offset:16
	flat_load_dwordx4 v[1:4], v[59:60]
	v_add_co_u32 v45, vcc_lo, s8, v8
	v_add_co_ci_u32_e64 v46, null, s14, v9, vcc_lo
	v_ashrrev_i32_e32 v8, 31, v7
	s_waitcnt vmcnt(0) lgkmcnt(0)
	buffer_store_dword v4, off, s[0:3], 0 offset:44
	buffer_store_dword v3, off, s[0:3], 0 offset:40
	buffer_store_dword v2, off, s[0:3], 0 offset:36
	buffer_store_dword v1, off, s[0:3], 0 offset:32
	flat_load_dwordx4 v[1:4], v[57:58]
	v_lshlrev_b64 v[8:9], 4, v[7:8]
	v_add_nc_u32_e32 v7, s9, v7
	s_waitcnt vmcnt(0) lgkmcnt(0)
	buffer_store_dword v4, off, s[0:3], 0 offset:60
	buffer_store_dword v3, off, s[0:3], 0 offset:56
	buffer_store_dword v2, off, s[0:3], 0 offset:52
	buffer_store_dword v1, off, s[0:3], 0 offset:48
	flat_load_dwordx4 v[1:4], v[53:54]
	v_add_co_u32 v43, vcc_lo, s8, v8
	v_add_co_ci_u32_e64 v44, null, s14, v9, vcc_lo
	v_ashrrev_i32_e32 v8, 31, v7
	s_waitcnt vmcnt(0) lgkmcnt(0)
	buffer_store_dword v4, off, s[0:3], 0 offset:76
	buffer_store_dword v3, off, s[0:3], 0 offset:72
	buffer_store_dword v2, off, s[0:3], 0 offset:68
	buffer_store_dword v1, off, s[0:3], 0 offset:64
	flat_load_dwordx4 v[1:4], v[51:52]
	v_lshlrev_b64 v[8:9], 4, v[7:8]
	v_add_nc_u32_e32 v7, s9, v7
	;; [unrolled: 17-line block ×6, first 2 shown]
	s_waitcnt vmcnt(0) lgkmcnt(0)
	buffer_store_dword v4, off, s[0:3], 0 offset:220
	buffer_store_dword v3, off, s[0:3], 0 offset:216
	;; [unrolled: 1-line block ×4, first 2 shown]
	v_add_co_u32 v31, vcc_lo, s8, v8
	v_add_co_ci_u32_e64 v32, null, s14, v9, vcc_lo
	v_ashrrev_i32_e32 v8, 31, v7
	flat_load_dwordx4 v[1:4], v[31:32]
	s_waitcnt vmcnt(0) lgkmcnt(0)
	buffer_store_dword v4, off, s[0:3], 0 offset:236
	buffer_store_dword v3, off, s[0:3], 0 offset:232
	buffer_store_dword v2, off, s[0:3], 0 offset:228
	buffer_store_dword v1, off, s[0:3], 0 offset:224
	v_lshlrev_b64 v[8:9], 4, v[7:8]
	v_add_nc_u32_e32 v7, s9, v7
	v_add_co_u32 v29, vcc_lo, s8, v8
	v_add_co_ci_u32_e64 v30, null, s14, v9, vcc_lo
	v_ashrrev_i32_e32 v8, 31, v7
	flat_load_dwordx4 v[1:4], v[29:30]
	s_waitcnt vmcnt(0) lgkmcnt(0)
	buffer_store_dword v4, off, s[0:3], 0 offset:252
	buffer_store_dword v3, off, s[0:3], 0 offset:248
	buffer_store_dword v2, off, s[0:3], 0 offset:244
	buffer_store_dword v1, off, s[0:3], 0 offset:240
	v_lshlrev_b64 v[8:9], 4, v[7:8]
	v_add_nc_u32_e32 v7, s9, v7
	;; [unrolled: 11-line block ×10, first 2 shown]
	v_add_co_u32 v11, vcc_lo, s8, v8
	v_add_co_ci_u32_e64 v12, null, s14, v9, vcc_lo
	v_ashrrev_i32_e32 v8, 31, v7
	v_add_nc_u32_e32 v35, s9, v7
	flat_load_dwordx4 v[1:4], v[11:12]
	s_waitcnt vmcnt(0) lgkmcnt(0)
	buffer_store_dword v4, off, s[0:3], 0 offset:396
	buffer_store_dword v3, off, s[0:3], 0 offset:392
	buffer_store_dword v2, off, s[0:3], 0 offset:388
	buffer_store_dword v1, off, s[0:3], 0 offset:384
	v_lshlrev_b64 v[9:10], 4, v[7:8]
	v_ashrrev_i32_e32 v36, 31, v35
	v_add_nc_u32_e32 v55, s9, v35
	v_add_co_u32 v9, vcc_lo, s8, v9
	v_add_co_ci_u32_e64 v10, null, s14, v10, vcc_lo
	v_lshlrev_b64 v[7:8], 4, v[35:36]
	v_ashrrev_i32_e32 v56, 31, v55
	v_add_nc_u32_e32 v61, s9, v55
	flat_load_dwordx4 v[1:4], v[9:10]
	s_waitcnt vmcnt(0) lgkmcnt(0)
	buffer_store_dword v4, off, s[0:3], 0 offset:412
	buffer_store_dword v3, off, s[0:3], 0 offset:408
	buffer_store_dword v2, off, s[0:3], 0 offset:404
	buffer_store_dword v1, off, s[0:3], 0 offset:400
	v_add_co_u32 v7, vcc_lo, s8, v7
	v_add_co_ci_u32_e64 v8, null, s14, v8, vcc_lo
	v_lshlrev_b64 v[35:36], 4, v[55:56]
	v_ashrrev_i32_e32 v62, 31, v61
	v_add_nc_u32_e32 v63, s9, v61
	flat_load_dwordx4 v[1:4], v[7:8]
	s_waitcnt vmcnt(0) lgkmcnt(0)
	buffer_store_dword v4, off, s[0:3], 0 offset:428
	buffer_store_dword v3, off, s[0:3], 0 offset:424
	buffer_store_dword v2, off, s[0:3], 0 offset:420
	buffer_store_dword v1, off, s[0:3], 0 offset:416
	;; [unrolled: 11-line block ×9, first 2 shown]
	v_add_co_u32 v71, vcc_lo, s8, v71
	v_add_co_ci_u32_e64 v72, null, s14, v72, vcc_lo
	v_lshlrev_b64 v[73:74], 4, v[75:76]
	v_ashrrev_i32_e32 v78, 31, v77
	flat_load_dwordx4 v[1:4], v[71:72]
	s_waitcnt vmcnt(0) lgkmcnt(0)
	buffer_store_dword v4, off, s[0:3], 0 offset:556
	buffer_store_dword v3, off, s[0:3], 0 offset:552
	;; [unrolled: 1-line block ×4, first 2 shown]
	v_add_co_u32 v73, vcc_lo, s8, v73
	v_add_co_ci_u32_e64 v74, null, s14, v74, vcc_lo
	v_lshlrev_b64 v[75:76], 4, v[77:78]
	v_add_nc_u32_e32 v77, s9, v77
	s_movk_i32 s9, 0x70
	flat_load_dwordx4 v[1:4], v[73:74]
	s_add_i32 s42, s9, 16
	s_add_i32 s9, s64, 16
	v_add_co_u32 v75, vcc_lo, s8, v75
	v_add_co_ci_u32_e64 v76, null, s14, v76, vcc_lo
	v_ashrrev_i32_e32 v78, 31, v77
	s_waitcnt vmcnt(0) lgkmcnt(0)
	buffer_store_dword v4, off, s[0:3], 0 offset:572
	buffer_store_dword v3, off, s[0:3], 0 offset:568
	;; [unrolled: 1-line block ×4, first 2 shown]
	flat_load_dwordx4 v[1:4], v[75:76]
	v_lshlrev_b64 v[77:78], 4, v[77:78]
	s_waitcnt vmcnt(0) lgkmcnt(0)
	buffer_store_dword v4, off, s[0:3], 0 offset:588
	buffer_store_dword v3, off, s[0:3], 0 offset:584
	;; [unrolled: 1-line block ×4, first 2 shown]
	v_add_co_u32 v77, vcc_lo, s8, v77
	v_add_co_ci_u32_e64 v78, null, s14, v78, vcc_lo
	s_movk_i32 s8, 0x60
	s_movk_i32 s14, 0x80
	s_add_i32 s43, s8, 16
	flat_load_dwordx4 v[1:4], v[77:78]
	s_add_i32 s41, s14, 16
	s_add_i32 s14, s63, 16
	;; [unrolled: 1-line block ×3, first 2 shown]
	s_bitcmp0_b32 s50, 0
	s_waitcnt vmcnt(0) lgkmcnt(0)
	buffer_store_dword v4, off, s[0:3], 0 offset:604
	buffer_store_dword v3, off, s[0:3], 0 offset:600
	;; [unrolled: 1-line block ×4, first 2 shown]
	s_cbranch_scc1 .LBB100_160
; %bb.4:
	v_cmp_eq_u32_e64 s4, 0, v0
	s_and_saveexec_b32 s5, s4
; %bb.5:
	v_mov_b32_e32 v1, 0
	ds_write_b32 v1, v1 offset:1184
; %bb.6:
	s_or_b32 exec_lo, exec_lo, s5
	v_lshl_add_u32 v86, v0, 4, 16
	s_waitcnt lgkmcnt(0)
	s_waitcnt_vscnt null, 0x0
	s_barrier
	buffer_gl0_inv
	s_clause 0x3
	buffer_load_dword v1, v86, s[0:3], 0 offen
	buffer_load_dword v2, v86, s[0:3], 0 offen offset:4
	buffer_load_dword v3, v86, s[0:3], 0 offen offset:8
	;; [unrolled: 1-line block ×3, first 2 shown]
	s_waitcnt vmcnt(2)
	v_cmp_eq_f64_e32 vcc_lo, 0, v[1:2]
	s_waitcnt vmcnt(0)
	v_cmp_eq_f64_e64 s5, 0, v[3:4]
	s_and_b32 s5, vcc_lo, s5
	s_and_saveexec_b32 s50, s5
	s_cbranch_execz .LBB100_10
; %bb.7:
	v_mov_b32_e32 v1, 0
	s_mov_b32 s51, 0
	ds_read_b32 v2, v1 offset:1184
	s_waitcnt lgkmcnt(0)
	v_readfirstlane_b32 s5, v2
	v_add_nc_u32_e32 v2, 1, v0
	s_cmp_eq_u32 s5, 0
	v_cmp_gt_i32_e32 vcc_lo, s5, v2
	s_cselect_b32 s52, -1, 0
	s_or_b32 s52, s52, vcc_lo
	s_and_b32 exec_lo, exec_lo, s52
	s_cbranch_execz .LBB100_10
; %bb.8:
	v_mov_b32_e32 v3, s5
.LBB100_9:                              ; =>This Inner Loop Header: Depth=1
	ds_cmpst_rtn_b32 v3, v1, v3, v2 offset:1184
	s_waitcnt lgkmcnt(0)
	v_cmp_ne_u32_e32 vcc_lo, 0, v3
	v_cmp_le_i32_e64 s5, v3, v2
	s_and_b32 s5, vcc_lo, s5
	s_and_b32 s5, exec_lo, s5
	s_or_b32 s51, s5, s51
	s_andn2_b32 exec_lo, exec_lo, s51
	s_cbranch_execnz .LBB100_9
.LBB100_10:
	s_or_b32 exec_lo, exec_lo, s50
	v_mov_b32_e32 v1, 0
	s_barrier
	buffer_gl0_inv
	ds_read_b32 v2, v1 offset:1184
	s_and_saveexec_b32 s5, s4
	s_cbranch_execz .LBB100_12
; %bb.11:
	s_lshl_b64 s[50:51], s[6:7], 2
	s_add_u32 s50, s10, s50
	s_addc_u32 s51, s11, s51
	s_waitcnt lgkmcnt(0)
	global_store_dword v1, v2, s[50:51]
.LBB100_12:
	s_or_b32 exec_lo, exec_lo, s5
	s_waitcnt lgkmcnt(0)
	v_cmp_ne_u32_e32 vcc_lo, 0, v2
	s_mov_b32 s5, 0
	s_cbranch_vccnz .LBB100_160
; %bb.13:
	s_clause 0x3
	buffer_load_dword v81, v86, s[0:3], 0 offen
	buffer_load_dword v82, v86, s[0:3], 0 offen offset:4
	buffer_load_dword v83, v86, s[0:3], 0 offen offset:8
	;; [unrolled: 1-line block ×3, first 2 shown]
                                        ; implicit-def: $vgpr79_vgpr80
                                        ; implicit-def: $vgpr3_vgpr4
	s_waitcnt vmcnt(0)
	v_cmp_ngt_f64_e64 s5, |v[81:82]|, |v[83:84]|
	s_and_saveexec_b32 s50, s5
	s_xor_b32 s5, exec_lo, s50
	s_cbranch_execz .LBB100_15
; %bb.14:
	v_div_scale_f64 v[1:2], null, v[83:84], v[83:84], v[81:82]
	v_div_scale_f64 v[87:88], vcc_lo, v[81:82], v[83:84], v[81:82]
	v_rcp_f64_e32 v[3:4], v[1:2]
	v_fma_f64 v[79:80], -v[1:2], v[3:4], 1.0
	v_fma_f64 v[3:4], v[3:4], v[79:80], v[3:4]
	v_fma_f64 v[79:80], -v[1:2], v[3:4], 1.0
	v_fma_f64 v[3:4], v[3:4], v[79:80], v[3:4]
	v_mul_f64 v[79:80], v[87:88], v[3:4]
	v_fma_f64 v[1:2], -v[1:2], v[79:80], v[87:88]
	v_div_fmas_f64 v[1:2], v[1:2], v[3:4], v[79:80]
	v_div_fixup_f64 v[1:2], v[1:2], v[83:84], v[81:82]
	v_fma_f64 v[3:4], v[81:82], v[1:2], v[83:84]
	v_div_scale_f64 v[79:80], null, v[3:4], v[3:4], 1.0
	v_div_scale_f64 v[87:88], vcc_lo, 1.0, v[3:4], 1.0
	v_rcp_f64_e32 v[81:82], v[79:80]
	v_fma_f64 v[83:84], -v[79:80], v[81:82], 1.0
	v_fma_f64 v[81:82], v[81:82], v[83:84], v[81:82]
	v_fma_f64 v[83:84], -v[79:80], v[81:82], 1.0
	v_fma_f64 v[81:82], v[81:82], v[83:84], v[81:82]
	v_mul_f64 v[83:84], v[87:88], v[81:82]
	v_fma_f64 v[79:80], -v[79:80], v[83:84], v[87:88]
	v_div_fmas_f64 v[79:80], v[79:80], v[81:82], v[83:84]
                                        ; implicit-def: $vgpr81_vgpr82
                                        ; implicit-def: $vgpr83_vgpr84
	v_div_fixup_f64 v[3:4], v[79:80], v[3:4], 1.0
	v_mul_f64 v[79:80], v[1:2], v[3:4]
	v_xor_b32_e32 v4, 0x80000000, v4
	v_xor_b32_e32 v2, 0x80000000, v80
	v_mov_b32_e32 v1, v79
.LBB100_15:
	s_andn2_saveexec_b32 s5, s5
	s_cbranch_execz .LBB100_17
; %bb.16:
	v_div_scale_f64 v[1:2], null, v[81:82], v[81:82], v[83:84]
	v_div_scale_f64 v[87:88], vcc_lo, v[83:84], v[81:82], v[83:84]
	v_rcp_f64_e32 v[3:4], v[1:2]
	v_fma_f64 v[79:80], -v[1:2], v[3:4], 1.0
	v_fma_f64 v[3:4], v[3:4], v[79:80], v[3:4]
	v_fma_f64 v[79:80], -v[1:2], v[3:4], 1.0
	v_fma_f64 v[3:4], v[3:4], v[79:80], v[3:4]
	v_mul_f64 v[79:80], v[87:88], v[3:4]
	v_fma_f64 v[1:2], -v[1:2], v[79:80], v[87:88]
	v_div_fmas_f64 v[1:2], v[1:2], v[3:4], v[79:80]
	v_div_fixup_f64 v[1:2], v[1:2], v[81:82], v[83:84]
	v_fma_f64 v[3:4], v[83:84], v[1:2], v[81:82]
	v_div_scale_f64 v[79:80], null, v[3:4], v[3:4], 1.0
	v_rcp_f64_e32 v[81:82], v[79:80]
	v_fma_f64 v[83:84], -v[79:80], v[81:82], 1.0
	v_fma_f64 v[81:82], v[81:82], v[83:84], v[81:82]
	v_fma_f64 v[83:84], -v[79:80], v[81:82], 1.0
	v_fma_f64 v[81:82], v[81:82], v[83:84], v[81:82]
	v_div_scale_f64 v[83:84], vcc_lo, 1.0, v[3:4], 1.0
	v_mul_f64 v[87:88], v[83:84], v[81:82]
	v_fma_f64 v[79:80], -v[79:80], v[87:88], v[83:84]
	v_div_fmas_f64 v[79:80], v[79:80], v[81:82], v[87:88]
	v_div_fixup_f64 v[79:80], v[79:80], v[3:4], 1.0
	v_mul_f64 v[3:4], v[1:2], -v[79:80]
	v_xor_b32_e32 v2, 0x80000000, v80
	v_mov_b32_e32 v1, v79
.LBB100_17:
	s_or_b32 exec_lo, exec_lo, s5
	v_mov_b32_e32 v84, s48
	buffer_store_dword v80, v86, s[0:3], 0 offen offset:4
	buffer_store_dword v79, v86, s[0:3], 0 offen
	buffer_store_dword v4, v86, s[0:3], 0 offen offset:12
	buffer_store_dword v3, v86, s[0:3], 0 offen offset:8
	v_xor_b32_e32 v4, 0x80000000, v4
	v_add_nc_u32_e32 v79, 0x250, v85
	s_clause 0x3
	buffer_load_dword v83, v84, s[0:3], 0 offen offset:12
	buffer_load_dword v82, v84, s[0:3], 0 offen offset:8
	;; [unrolled: 1-line block ×3, first 2 shown]
	buffer_load_dword v80, v84, s[0:3], 0 offen
	ds_write_b128 v85, v[1:4]
	s_waitcnt vmcnt(0)
	ds_write_b128 v85, v[80:83] offset:592
	s_waitcnt lgkmcnt(0)
	s_waitcnt_vscnt null, 0x0
	s_barrier
	buffer_gl0_inv
	s_and_saveexec_b32 s5, s4
	s_cbranch_execz .LBB100_19
; %bb.18:
	s_clause 0x3
	buffer_load_dword v87, v86, s[0:3], 0 offen offset:8
	buffer_load_dword v88, v86, s[0:3], 0 offen offset:12
	buffer_load_dword v89, v86, s[0:3], 0 offen
	buffer_load_dword v90, v86, s[0:3], 0 offen offset:4
	ds_read_b128 v[1:4], v79
	v_mov_b32_e32 v80, 0
	ds_read_b128 v[80:83], v80 offset:16
	s_waitcnt vmcnt(2) lgkmcnt(1)
	v_mul_f64 v[91:92], v[1:2], v[87:88]
	v_mul_f64 v[87:88], v[3:4], v[87:88]
	s_waitcnt vmcnt(0)
	v_fma_f64 v[3:4], v[3:4], v[89:90], v[91:92]
	v_fma_f64 v[1:2], v[1:2], v[89:90], -v[87:88]
	v_add_f64 v[3:4], v[3:4], 0
	v_add_f64 v[1:2], v[1:2], 0
	s_waitcnt lgkmcnt(0)
	v_mul_f64 v[87:88], v[3:4], v[82:83]
	v_mul_f64 v[82:83], v[1:2], v[82:83]
	v_fma_f64 v[1:2], v[1:2], v[80:81], -v[87:88]
	v_fma_f64 v[3:4], v[3:4], v[80:81], v[82:83]
	buffer_store_dword v1, off, s[0:3], 0 offset:32
	buffer_store_dword v2, off, s[0:3], 0 offset:36
	;; [unrolled: 1-line block ×4, first 2 shown]
.LBB100_19:
	s_or_b32 exec_lo, exec_lo, s5
	v_mov_b32_e32 v4, s47
	s_waitcnt_vscnt null, 0x0
	s_barrier
	buffer_gl0_inv
	s_mov_b32 s5, exec_lo
	s_clause 0x3
	buffer_load_dword v1, v4, s[0:3], 0 offen
	buffer_load_dword v2, v4, s[0:3], 0 offen offset:4
	buffer_load_dword v3, v4, s[0:3], 0 offen offset:8
	;; [unrolled: 1-line block ×3, first 2 shown]
	s_waitcnt vmcnt(0)
	ds_write_b128 v79, v[1:4]
	s_waitcnt lgkmcnt(0)
	s_barrier
	buffer_gl0_inv
	v_cmpx_gt_u32_e32 2, v0
	s_cbranch_execz .LBB100_23
; %bb.20:
	s_clause 0x3
	buffer_load_dword v80, v86, s[0:3], 0 offen offset:8
	buffer_load_dword v81, v86, s[0:3], 0 offen offset:12
	buffer_load_dword v82, v86, s[0:3], 0 offen
	buffer_load_dword v83, v86, s[0:3], 0 offen offset:4
	ds_read_b128 v[1:4], v79
	s_waitcnt vmcnt(2) lgkmcnt(0)
	v_mul_f64 v[86:87], v[3:4], v[80:81]
	v_mul_f64 v[80:81], v[1:2], v[80:81]
	s_waitcnt vmcnt(0)
	v_fma_f64 v[1:2], v[1:2], v[82:83], -v[86:87]
	v_fma_f64 v[3:4], v[3:4], v[82:83], v[80:81]
	v_add_f64 v[1:2], v[1:2], 0
	v_add_f64 v[3:4], v[3:4], 0
	s_and_saveexec_b32 s50, s4
	s_cbranch_execz .LBB100_22
; %bb.21:
	s_clause 0x3
	buffer_load_dword v86, off, s[0:3], 0 offset:40
	buffer_load_dword v87, off, s[0:3], 0 offset:44
	;; [unrolled: 1-line block ×4, first 2 shown]
	v_mov_b32_e32 v80, 0
	ds_read_b128 v[80:83], v80 offset:608
	s_waitcnt vmcnt(2) lgkmcnt(0)
	v_mul_f64 v[90:91], v[80:81], v[86:87]
	v_mul_f64 v[86:87], v[82:83], v[86:87]
	s_waitcnt vmcnt(0)
	v_fma_f64 v[82:83], v[82:83], v[88:89], v[90:91]
	v_fma_f64 v[80:81], v[80:81], v[88:89], -v[86:87]
	v_add_f64 v[3:4], v[3:4], v[82:83]
	v_add_f64 v[1:2], v[1:2], v[80:81]
.LBB100_22:
	s_or_b32 exec_lo, exec_lo, s50
	v_mov_b32_e32 v80, 0
	ds_read_b128 v[80:83], v80 offset:32
	s_waitcnt lgkmcnt(0)
	v_mul_f64 v[86:87], v[3:4], v[82:83]
	v_mul_f64 v[82:83], v[1:2], v[82:83]
	v_fma_f64 v[1:2], v[1:2], v[80:81], -v[86:87]
	v_fma_f64 v[3:4], v[3:4], v[80:81], v[82:83]
	buffer_store_dword v2, off, s[0:3], 0 offset:52
	buffer_store_dword v1, off, s[0:3], 0 offset:48
	;; [unrolled: 1-line block ×4, first 2 shown]
.LBB100_23:
	s_or_b32 exec_lo, exec_lo, s5
	v_mov_b32_e32 v4, s46
	s_waitcnt_vscnt null, 0x0
	s_barrier
	buffer_gl0_inv
	v_add_nc_u32_e32 v80, -1, v0
	s_clause 0x3
	buffer_load_dword v1, v4, s[0:3], 0 offen
	buffer_load_dword v2, v4, s[0:3], 0 offen offset:4
	buffer_load_dword v3, v4, s[0:3], 0 offen offset:8
	;; [unrolled: 1-line block ×3, first 2 shown]
	s_mov_b32 s4, exec_lo
	s_waitcnt vmcnt(0)
	ds_write_b128 v79, v[1:4]
	s_waitcnt lgkmcnt(0)
	s_barrier
	buffer_gl0_inv
	v_cmpx_gt_u32_e32 3, v0
	s_cbranch_execz .LBB100_27
; %bb.24:
	v_mov_b32_e32 v1, 0
	v_mov_b32_e32 v3, 0
	v_add_nc_u32_e32 v81, -1, v0
	v_add_nc_u32_e32 v82, 0x250, v85
	v_mov_b32_e32 v2, 0
	v_mov_b32_e32 v4, 0
	v_add_nc_u32_e32 v83, 16, v85
	s_mov_b32 s5, 0
	.p2align	6
.LBB100_25:                             ; =>This Inner Loop Header: Depth=1
	s_clause 0x3
	buffer_load_dword v90, v83, s[0:3], 0 offen offset:8
	buffer_load_dword v91, v83, s[0:3], 0 offen offset:12
	buffer_load_dword v92, v83, s[0:3], 0 offen
	buffer_load_dword v93, v83, s[0:3], 0 offen offset:4
	ds_read_b128 v[86:89], v82
	v_add_nc_u32_e32 v81, 1, v81
	v_add_nc_u32_e32 v82, 16, v82
	;; [unrolled: 1-line block ×3, first 2 shown]
	v_cmp_lt_u32_e32 vcc_lo, 1, v81
	s_or_b32 s5, vcc_lo, s5
	s_waitcnt vmcnt(2) lgkmcnt(0)
	v_mul_f64 v[94:95], v[88:89], v[90:91]
	v_mul_f64 v[90:91], v[86:87], v[90:91]
	s_waitcnt vmcnt(0)
	v_fma_f64 v[86:87], v[86:87], v[92:93], -v[94:95]
	v_fma_f64 v[88:89], v[88:89], v[92:93], v[90:91]
	v_add_f64 v[3:4], v[3:4], v[86:87]
	v_add_f64 v[1:2], v[1:2], v[88:89]
	s_andn2_b32 exec_lo, exec_lo, s5
	s_cbranch_execnz .LBB100_25
; %bb.26:
	s_or_b32 exec_lo, exec_lo, s5
	v_mov_b32_e32 v81, 0
	ds_read_b128 v[81:84], v81 offset:48
	s_waitcnt lgkmcnt(0)
	v_mul_f64 v[86:87], v[1:2], v[83:84]
	v_mul_f64 v[83:84], v[3:4], v[83:84]
	v_fma_f64 v[3:4], v[3:4], v[81:82], -v[86:87]
	v_fma_f64 v[1:2], v[1:2], v[81:82], v[83:84]
	buffer_store_dword v4, off, s[0:3], 0 offset:68
	buffer_store_dword v3, off, s[0:3], 0 offset:64
	buffer_store_dword v2, off, s[0:3], 0 offset:76
	buffer_store_dword v1, off, s[0:3], 0 offset:72
.LBB100_27:
	s_or_b32 exec_lo, exec_lo, s4
	v_mov_b32_e32 v4, s45
	s_waitcnt_vscnt null, 0x0
	s_barrier
	buffer_gl0_inv
	s_mov_b32 s4, exec_lo
	s_clause 0x3
	buffer_load_dword v1, v4, s[0:3], 0 offen
	buffer_load_dword v2, v4, s[0:3], 0 offen offset:4
	buffer_load_dword v3, v4, s[0:3], 0 offen offset:8
	;; [unrolled: 1-line block ×3, first 2 shown]
	s_waitcnt vmcnt(0)
	ds_write_b128 v79, v[1:4]
	s_waitcnt lgkmcnt(0)
	s_barrier
	buffer_gl0_inv
	v_cmpx_gt_u32_e32 4, v0
	s_cbranch_execz .LBB100_31
; %bb.28:
	v_mov_b32_e32 v1, 0
	v_mov_b32_e32 v3, 0
	v_add_nc_u32_e32 v81, -1, v0
	v_add_nc_u32_e32 v82, 0x250, v85
	v_mov_b32_e32 v2, 0
	v_mov_b32_e32 v4, 0
	v_add_nc_u32_e32 v83, 16, v85
	s_mov_b32 s5, 0
	.p2align	6
.LBB100_29:                             ; =>This Inner Loop Header: Depth=1
	s_clause 0x3
	buffer_load_dword v90, v83, s[0:3], 0 offen offset:8
	buffer_load_dword v91, v83, s[0:3], 0 offen offset:12
	buffer_load_dword v92, v83, s[0:3], 0 offen
	buffer_load_dword v93, v83, s[0:3], 0 offen offset:4
	ds_read_b128 v[86:89], v82
	v_add_nc_u32_e32 v81, 1, v81
	v_add_nc_u32_e32 v82, 16, v82
	;; [unrolled: 1-line block ×3, first 2 shown]
	v_cmp_lt_u32_e32 vcc_lo, 2, v81
	s_or_b32 s5, vcc_lo, s5
	s_waitcnt vmcnt(2) lgkmcnt(0)
	v_mul_f64 v[94:95], v[88:89], v[90:91]
	v_mul_f64 v[90:91], v[86:87], v[90:91]
	s_waitcnt vmcnt(0)
	v_fma_f64 v[86:87], v[86:87], v[92:93], -v[94:95]
	v_fma_f64 v[88:89], v[88:89], v[92:93], v[90:91]
	v_add_f64 v[3:4], v[3:4], v[86:87]
	v_add_f64 v[1:2], v[1:2], v[88:89]
	s_andn2_b32 exec_lo, exec_lo, s5
	s_cbranch_execnz .LBB100_29
; %bb.30:
	s_or_b32 exec_lo, exec_lo, s5
	v_mov_b32_e32 v81, 0
	ds_read_b128 v[81:84], v81 offset:64
	s_waitcnt lgkmcnt(0)
	v_mul_f64 v[86:87], v[1:2], v[83:84]
	v_mul_f64 v[83:84], v[3:4], v[83:84]
	v_fma_f64 v[3:4], v[3:4], v[81:82], -v[86:87]
	v_fma_f64 v[1:2], v[1:2], v[81:82], v[83:84]
	buffer_store_dword v4, off, s[0:3], 0 offset:84
	buffer_store_dword v3, off, s[0:3], 0 offset:80
	buffer_store_dword v2, off, s[0:3], 0 offset:92
	buffer_store_dword v1, off, s[0:3], 0 offset:88
.LBB100_31:
	s_or_b32 exec_lo, exec_lo, s4
	v_mov_b32_e32 v4, s44
	s_waitcnt_vscnt null, 0x0
	s_barrier
	buffer_gl0_inv
	s_mov_b32 s4, exec_lo
	s_clause 0x3
	buffer_load_dword v1, v4, s[0:3], 0 offen
	buffer_load_dword v2, v4, s[0:3], 0 offen offset:4
	buffer_load_dword v3, v4, s[0:3], 0 offen offset:8
	;; [unrolled: 1-line block ×3, first 2 shown]
	s_waitcnt vmcnt(0)
	ds_write_b128 v79, v[1:4]
	s_waitcnt lgkmcnt(0)
	s_barrier
	buffer_gl0_inv
	v_cmpx_gt_u32_e32 5, v0
	s_cbranch_execz .LBB100_35
; %bb.32:
	v_mov_b32_e32 v1, 0
	v_mov_b32_e32 v3, 0
	v_add_nc_u32_e32 v81, -1, v0
	v_add_nc_u32_e32 v82, 0x250, v85
	v_mov_b32_e32 v2, 0
	v_mov_b32_e32 v4, 0
	v_add_nc_u32_e32 v83, 16, v85
	s_mov_b32 s5, 0
	.p2align	6
.LBB100_33:                             ; =>This Inner Loop Header: Depth=1
	s_clause 0x3
	buffer_load_dword v90, v83, s[0:3], 0 offen offset:8
	buffer_load_dword v91, v83, s[0:3], 0 offen offset:12
	buffer_load_dword v92, v83, s[0:3], 0 offen
	buffer_load_dword v93, v83, s[0:3], 0 offen offset:4
	ds_read_b128 v[86:89], v82
	v_add_nc_u32_e32 v81, 1, v81
	v_add_nc_u32_e32 v82, 16, v82
	;; [unrolled: 1-line block ×3, first 2 shown]
	v_cmp_lt_u32_e32 vcc_lo, 3, v81
	s_or_b32 s5, vcc_lo, s5
	s_waitcnt vmcnt(2) lgkmcnt(0)
	v_mul_f64 v[94:95], v[88:89], v[90:91]
	v_mul_f64 v[90:91], v[86:87], v[90:91]
	s_waitcnt vmcnt(0)
	v_fma_f64 v[86:87], v[86:87], v[92:93], -v[94:95]
	v_fma_f64 v[88:89], v[88:89], v[92:93], v[90:91]
	v_add_f64 v[3:4], v[3:4], v[86:87]
	v_add_f64 v[1:2], v[1:2], v[88:89]
	s_andn2_b32 exec_lo, exec_lo, s5
	s_cbranch_execnz .LBB100_33
; %bb.34:
	s_or_b32 exec_lo, exec_lo, s5
	v_mov_b32_e32 v81, 0
	ds_read_b128 v[81:84], v81 offset:80
	s_waitcnt lgkmcnt(0)
	v_mul_f64 v[86:87], v[1:2], v[83:84]
	v_mul_f64 v[83:84], v[3:4], v[83:84]
	v_fma_f64 v[3:4], v[3:4], v[81:82], -v[86:87]
	v_fma_f64 v[1:2], v[1:2], v[81:82], v[83:84]
	buffer_store_dword v4, off, s[0:3], 0 offset:100
	buffer_store_dword v3, off, s[0:3], 0 offset:96
	;; [unrolled: 1-line block ×4, first 2 shown]
.LBB100_35:
	s_or_b32 exec_lo, exec_lo, s4
	v_mov_b32_e32 v4, s43
	s_waitcnt_vscnt null, 0x0
	s_barrier
	buffer_gl0_inv
	s_mov_b32 s4, exec_lo
	s_clause 0x3
	buffer_load_dword v1, v4, s[0:3], 0 offen
	buffer_load_dword v2, v4, s[0:3], 0 offen offset:4
	buffer_load_dword v3, v4, s[0:3], 0 offen offset:8
	;; [unrolled: 1-line block ×3, first 2 shown]
	s_waitcnt vmcnt(0)
	ds_write_b128 v79, v[1:4]
	s_waitcnt lgkmcnt(0)
	s_barrier
	buffer_gl0_inv
	v_cmpx_gt_u32_e32 6, v0
	s_cbranch_execz .LBB100_39
; %bb.36:
	v_mov_b32_e32 v1, 0
	v_mov_b32_e32 v3, 0
	v_add_nc_u32_e32 v81, -1, v0
	v_add_nc_u32_e32 v82, 0x250, v85
	v_mov_b32_e32 v2, 0
	v_mov_b32_e32 v4, 0
	v_add_nc_u32_e32 v83, 16, v85
	s_mov_b32 s5, 0
	.p2align	6
.LBB100_37:                             ; =>This Inner Loop Header: Depth=1
	s_clause 0x3
	buffer_load_dword v90, v83, s[0:3], 0 offen offset:8
	buffer_load_dword v91, v83, s[0:3], 0 offen offset:12
	buffer_load_dword v92, v83, s[0:3], 0 offen
	buffer_load_dword v93, v83, s[0:3], 0 offen offset:4
	ds_read_b128 v[86:89], v82
	v_add_nc_u32_e32 v81, 1, v81
	v_add_nc_u32_e32 v82, 16, v82
	;; [unrolled: 1-line block ×3, first 2 shown]
	v_cmp_lt_u32_e32 vcc_lo, 4, v81
	s_or_b32 s5, vcc_lo, s5
	s_waitcnt vmcnt(2) lgkmcnt(0)
	v_mul_f64 v[94:95], v[88:89], v[90:91]
	v_mul_f64 v[90:91], v[86:87], v[90:91]
	s_waitcnt vmcnt(0)
	v_fma_f64 v[86:87], v[86:87], v[92:93], -v[94:95]
	v_fma_f64 v[88:89], v[88:89], v[92:93], v[90:91]
	v_add_f64 v[3:4], v[3:4], v[86:87]
	v_add_f64 v[1:2], v[1:2], v[88:89]
	s_andn2_b32 exec_lo, exec_lo, s5
	s_cbranch_execnz .LBB100_37
; %bb.38:
	s_or_b32 exec_lo, exec_lo, s5
	v_mov_b32_e32 v81, 0
	ds_read_b128 v[81:84], v81 offset:96
	s_waitcnt lgkmcnt(0)
	v_mul_f64 v[86:87], v[1:2], v[83:84]
	v_mul_f64 v[83:84], v[3:4], v[83:84]
	v_fma_f64 v[3:4], v[3:4], v[81:82], -v[86:87]
	v_fma_f64 v[1:2], v[1:2], v[81:82], v[83:84]
	buffer_store_dword v4, off, s[0:3], 0 offset:116
	buffer_store_dword v3, off, s[0:3], 0 offset:112
	;; [unrolled: 1-line block ×4, first 2 shown]
.LBB100_39:
	s_or_b32 exec_lo, exec_lo, s4
	v_mov_b32_e32 v4, s42
	s_waitcnt_vscnt null, 0x0
	s_barrier
	buffer_gl0_inv
	s_mov_b32 s4, exec_lo
	s_clause 0x3
	buffer_load_dword v1, v4, s[0:3], 0 offen
	buffer_load_dword v2, v4, s[0:3], 0 offen offset:4
	buffer_load_dword v3, v4, s[0:3], 0 offen offset:8
	;; [unrolled: 1-line block ×3, first 2 shown]
	s_waitcnt vmcnt(0)
	ds_write_b128 v79, v[1:4]
	s_waitcnt lgkmcnt(0)
	s_barrier
	buffer_gl0_inv
	v_cmpx_gt_u32_e32 7, v0
	s_cbranch_execz .LBB100_43
; %bb.40:
	v_mov_b32_e32 v1, 0
	v_mov_b32_e32 v3, 0
	v_add_nc_u32_e32 v81, -1, v0
	v_add_nc_u32_e32 v82, 0x250, v85
	v_mov_b32_e32 v2, 0
	v_mov_b32_e32 v4, 0
	v_add_nc_u32_e32 v83, 16, v85
	s_mov_b32 s5, 0
	.p2align	6
.LBB100_41:                             ; =>This Inner Loop Header: Depth=1
	s_clause 0x3
	buffer_load_dword v90, v83, s[0:3], 0 offen offset:8
	buffer_load_dword v91, v83, s[0:3], 0 offen offset:12
	buffer_load_dword v92, v83, s[0:3], 0 offen
	buffer_load_dword v93, v83, s[0:3], 0 offen offset:4
	ds_read_b128 v[86:89], v82
	v_add_nc_u32_e32 v81, 1, v81
	v_add_nc_u32_e32 v82, 16, v82
	;; [unrolled: 1-line block ×3, first 2 shown]
	v_cmp_lt_u32_e32 vcc_lo, 5, v81
	s_or_b32 s5, vcc_lo, s5
	s_waitcnt vmcnt(2) lgkmcnt(0)
	v_mul_f64 v[94:95], v[88:89], v[90:91]
	v_mul_f64 v[90:91], v[86:87], v[90:91]
	s_waitcnt vmcnt(0)
	v_fma_f64 v[86:87], v[86:87], v[92:93], -v[94:95]
	v_fma_f64 v[88:89], v[88:89], v[92:93], v[90:91]
	v_add_f64 v[3:4], v[3:4], v[86:87]
	v_add_f64 v[1:2], v[1:2], v[88:89]
	s_andn2_b32 exec_lo, exec_lo, s5
	s_cbranch_execnz .LBB100_41
; %bb.42:
	s_or_b32 exec_lo, exec_lo, s5
	v_mov_b32_e32 v81, 0
	ds_read_b128 v[81:84], v81 offset:112
	s_waitcnt lgkmcnt(0)
	v_mul_f64 v[86:87], v[1:2], v[83:84]
	v_mul_f64 v[83:84], v[3:4], v[83:84]
	v_fma_f64 v[3:4], v[3:4], v[81:82], -v[86:87]
	v_fma_f64 v[1:2], v[1:2], v[81:82], v[83:84]
	buffer_store_dword v4, off, s[0:3], 0 offset:132
	buffer_store_dword v3, off, s[0:3], 0 offset:128
	;; [unrolled: 1-line block ×4, first 2 shown]
.LBB100_43:
	s_or_b32 exec_lo, exec_lo, s4
	v_mov_b32_e32 v4, s41
	s_waitcnt_vscnt null, 0x0
	s_barrier
	buffer_gl0_inv
	s_mov_b32 s4, exec_lo
	s_clause 0x3
	buffer_load_dword v1, v4, s[0:3], 0 offen
	buffer_load_dword v2, v4, s[0:3], 0 offen offset:4
	buffer_load_dword v3, v4, s[0:3], 0 offen offset:8
	;; [unrolled: 1-line block ×3, first 2 shown]
	s_waitcnt vmcnt(0)
	ds_write_b128 v79, v[1:4]
	s_waitcnt lgkmcnt(0)
	s_barrier
	buffer_gl0_inv
	v_cmpx_gt_u32_e32 8, v0
	s_cbranch_execz .LBB100_47
; %bb.44:
	v_mov_b32_e32 v1, 0
	v_mov_b32_e32 v3, 0
	v_add_nc_u32_e32 v81, -1, v0
	v_add_nc_u32_e32 v82, 0x250, v85
	v_mov_b32_e32 v2, 0
	v_mov_b32_e32 v4, 0
	v_add_nc_u32_e32 v83, 16, v85
	s_mov_b32 s5, 0
	.p2align	6
.LBB100_45:                             ; =>This Inner Loop Header: Depth=1
	s_clause 0x3
	buffer_load_dword v90, v83, s[0:3], 0 offen offset:8
	buffer_load_dword v91, v83, s[0:3], 0 offen offset:12
	buffer_load_dword v92, v83, s[0:3], 0 offen
	buffer_load_dword v93, v83, s[0:3], 0 offen offset:4
	ds_read_b128 v[86:89], v82
	v_add_nc_u32_e32 v81, 1, v81
	v_add_nc_u32_e32 v82, 16, v82
	;; [unrolled: 1-line block ×3, first 2 shown]
	v_cmp_lt_u32_e32 vcc_lo, 6, v81
	s_or_b32 s5, vcc_lo, s5
	s_waitcnt vmcnt(2) lgkmcnt(0)
	v_mul_f64 v[94:95], v[88:89], v[90:91]
	v_mul_f64 v[90:91], v[86:87], v[90:91]
	s_waitcnt vmcnt(0)
	v_fma_f64 v[86:87], v[86:87], v[92:93], -v[94:95]
	v_fma_f64 v[88:89], v[88:89], v[92:93], v[90:91]
	v_add_f64 v[3:4], v[3:4], v[86:87]
	v_add_f64 v[1:2], v[1:2], v[88:89]
	s_andn2_b32 exec_lo, exec_lo, s5
	s_cbranch_execnz .LBB100_45
; %bb.46:
	s_or_b32 exec_lo, exec_lo, s5
	v_mov_b32_e32 v81, 0
	ds_read_b128 v[81:84], v81 offset:128
	s_waitcnt lgkmcnt(0)
	v_mul_f64 v[86:87], v[1:2], v[83:84]
	v_mul_f64 v[83:84], v[3:4], v[83:84]
	v_fma_f64 v[3:4], v[3:4], v[81:82], -v[86:87]
	v_fma_f64 v[1:2], v[1:2], v[81:82], v[83:84]
	buffer_store_dword v4, off, s[0:3], 0 offset:148
	buffer_store_dword v3, off, s[0:3], 0 offset:144
	;; [unrolled: 1-line block ×4, first 2 shown]
.LBB100_47:
	s_or_b32 exec_lo, exec_lo, s4
	v_mov_b32_e32 v4, s40
	s_waitcnt_vscnt null, 0x0
	s_barrier
	buffer_gl0_inv
	s_mov_b32 s4, exec_lo
	s_clause 0x3
	buffer_load_dword v1, v4, s[0:3], 0 offen
	buffer_load_dword v2, v4, s[0:3], 0 offen offset:4
	buffer_load_dword v3, v4, s[0:3], 0 offen offset:8
	buffer_load_dword v4, v4, s[0:3], 0 offen offset:12
	s_waitcnt vmcnt(0)
	ds_write_b128 v79, v[1:4]
	s_waitcnt lgkmcnt(0)
	s_barrier
	buffer_gl0_inv
	v_cmpx_gt_u32_e32 9, v0
	s_cbranch_execz .LBB100_51
; %bb.48:
	v_mov_b32_e32 v1, 0
	v_mov_b32_e32 v3, 0
	v_add_nc_u32_e32 v81, -1, v0
	v_add_nc_u32_e32 v82, 0x250, v85
	v_mov_b32_e32 v2, 0
	v_mov_b32_e32 v4, 0
	v_add_nc_u32_e32 v83, 16, v85
	s_mov_b32 s5, 0
	.p2align	6
.LBB100_49:                             ; =>This Inner Loop Header: Depth=1
	s_clause 0x3
	buffer_load_dword v90, v83, s[0:3], 0 offen offset:8
	buffer_load_dword v91, v83, s[0:3], 0 offen offset:12
	buffer_load_dword v92, v83, s[0:3], 0 offen
	buffer_load_dword v93, v83, s[0:3], 0 offen offset:4
	ds_read_b128 v[86:89], v82
	v_add_nc_u32_e32 v81, 1, v81
	v_add_nc_u32_e32 v82, 16, v82
	;; [unrolled: 1-line block ×3, first 2 shown]
	v_cmp_lt_u32_e32 vcc_lo, 7, v81
	s_or_b32 s5, vcc_lo, s5
	s_waitcnt vmcnt(2) lgkmcnt(0)
	v_mul_f64 v[94:95], v[88:89], v[90:91]
	v_mul_f64 v[90:91], v[86:87], v[90:91]
	s_waitcnt vmcnt(0)
	v_fma_f64 v[86:87], v[86:87], v[92:93], -v[94:95]
	v_fma_f64 v[88:89], v[88:89], v[92:93], v[90:91]
	v_add_f64 v[3:4], v[3:4], v[86:87]
	v_add_f64 v[1:2], v[1:2], v[88:89]
	s_andn2_b32 exec_lo, exec_lo, s5
	s_cbranch_execnz .LBB100_49
; %bb.50:
	s_or_b32 exec_lo, exec_lo, s5
	v_mov_b32_e32 v81, 0
	ds_read_b128 v[81:84], v81 offset:144
	s_waitcnt lgkmcnt(0)
	v_mul_f64 v[86:87], v[1:2], v[83:84]
	v_mul_f64 v[83:84], v[3:4], v[83:84]
	v_fma_f64 v[3:4], v[3:4], v[81:82], -v[86:87]
	v_fma_f64 v[1:2], v[1:2], v[81:82], v[83:84]
	buffer_store_dword v4, off, s[0:3], 0 offset:164
	buffer_store_dword v3, off, s[0:3], 0 offset:160
	;; [unrolled: 1-line block ×4, first 2 shown]
.LBB100_51:
	s_or_b32 exec_lo, exec_lo, s4
	v_mov_b32_e32 v4, s39
	s_waitcnt_vscnt null, 0x0
	s_barrier
	buffer_gl0_inv
	s_mov_b32 s4, exec_lo
	s_clause 0x3
	buffer_load_dword v1, v4, s[0:3], 0 offen
	buffer_load_dword v2, v4, s[0:3], 0 offen offset:4
	buffer_load_dword v3, v4, s[0:3], 0 offen offset:8
	;; [unrolled: 1-line block ×3, first 2 shown]
	s_waitcnt vmcnt(0)
	ds_write_b128 v79, v[1:4]
	s_waitcnt lgkmcnt(0)
	s_barrier
	buffer_gl0_inv
	v_cmpx_gt_u32_e32 10, v0
	s_cbranch_execz .LBB100_55
; %bb.52:
	v_mov_b32_e32 v1, 0
	v_mov_b32_e32 v3, 0
	v_add_nc_u32_e32 v81, -1, v0
	v_add_nc_u32_e32 v82, 0x250, v85
	v_mov_b32_e32 v2, 0
	v_mov_b32_e32 v4, 0
	v_add_nc_u32_e32 v83, 16, v85
	s_mov_b32 s5, 0
	.p2align	6
.LBB100_53:                             ; =>This Inner Loop Header: Depth=1
	s_clause 0x3
	buffer_load_dword v90, v83, s[0:3], 0 offen offset:8
	buffer_load_dword v91, v83, s[0:3], 0 offen offset:12
	buffer_load_dword v92, v83, s[0:3], 0 offen
	buffer_load_dword v93, v83, s[0:3], 0 offen offset:4
	ds_read_b128 v[86:89], v82
	v_add_nc_u32_e32 v81, 1, v81
	v_add_nc_u32_e32 v82, 16, v82
	;; [unrolled: 1-line block ×3, first 2 shown]
	v_cmp_lt_u32_e32 vcc_lo, 8, v81
	s_or_b32 s5, vcc_lo, s5
	s_waitcnt vmcnt(2) lgkmcnt(0)
	v_mul_f64 v[94:95], v[88:89], v[90:91]
	v_mul_f64 v[90:91], v[86:87], v[90:91]
	s_waitcnt vmcnt(0)
	v_fma_f64 v[86:87], v[86:87], v[92:93], -v[94:95]
	v_fma_f64 v[88:89], v[88:89], v[92:93], v[90:91]
	v_add_f64 v[3:4], v[3:4], v[86:87]
	v_add_f64 v[1:2], v[1:2], v[88:89]
	s_andn2_b32 exec_lo, exec_lo, s5
	s_cbranch_execnz .LBB100_53
; %bb.54:
	s_or_b32 exec_lo, exec_lo, s5
	v_mov_b32_e32 v81, 0
	ds_read_b128 v[81:84], v81 offset:160
	s_waitcnt lgkmcnt(0)
	v_mul_f64 v[86:87], v[1:2], v[83:84]
	v_mul_f64 v[83:84], v[3:4], v[83:84]
	v_fma_f64 v[3:4], v[3:4], v[81:82], -v[86:87]
	v_fma_f64 v[1:2], v[1:2], v[81:82], v[83:84]
	buffer_store_dword v4, off, s[0:3], 0 offset:180
	buffer_store_dword v3, off, s[0:3], 0 offset:176
	;; [unrolled: 1-line block ×4, first 2 shown]
.LBB100_55:
	s_or_b32 exec_lo, exec_lo, s4
	v_mov_b32_e32 v4, s38
	s_waitcnt_vscnt null, 0x0
	s_barrier
	buffer_gl0_inv
	s_mov_b32 s4, exec_lo
	s_clause 0x3
	buffer_load_dword v1, v4, s[0:3], 0 offen
	buffer_load_dword v2, v4, s[0:3], 0 offen offset:4
	buffer_load_dword v3, v4, s[0:3], 0 offen offset:8
	buffer_load_dword v4, v4, s[0:3], 0 offen offset:12
	s_waitcnt vmcnt(0)
	ds_write_b128 v79, v[1:4]
	s_waitcnt lgkmcnt(0)
	s_barrier
	buffer_gl0_inv
	v_cmpx_gt_u32_e32 11, v0
	s_cbranch_execz .LBB100_59
; %bb.56:
	v_mov_b32_e32 v1, 0
	v_mov_b32_e32 v3, 0
	v_add_nc_u32_e32 v81, -1, v0
	v_add_nc_u32_e32 v82, 0x250, v85
	v_mov_b32_e32 v2, 0
	v_mov_b32_e32 v4, 0
	v_add_nc_u32_e32 v83, 16, v85
	s_mov_b32 s5, 0
	.p2align	6
.LBB100_57:                             ; =>This Inner Loop Header: Depth=1
	s_clause 0x3
	buffer_load_dword v90, v83, s[0:3], 0 offen offset:8
	buffer_load_dword v91, v83, s[0:3], 0 offen offset:12
	buffer_load_dword v92, v83, s[0:3], 0 offen
	buffer_load_dword v93, v83, s[0:3], 0 offen offset:4
	ds_read_b128 v[86:89], v82
	v_add_nc_u32_e32 v81, 1, v81
	v_add_nc_u32_e32 v82, 16, v82
	;; [unrolled: 1-line block ×3, first 2 shown]
	v_cmp_lt_u32_e32 vcc_lo, 9, v81
	s_or_b32 s5, vcc_lo, s5
	s_waitcnt vmcnt(2) lgkmcnt(0)
	v_mul_f64 v[94:95], v[88:89], v[90:91]
	v_mul_f64 v[90:91], v[86:87], v[90:91]
	s_waitcnt vmcnt(0)
	v_fma_f64 v[86:87], v[86:87], v[92:93], -v[94:95]
	v_fma_f64 v[88:89], v[88:89], v[92:93], v[90:91]
	v_add_f64 v[3:4], v[3:4], v[86:87]
	v_add_f64 v[1:2], v[1:2], v[88:89]
	s_andn2_b32 exec_lo, exec_lo, s5
	s_cbranch_execnz .LBB100_57
; %bb.58:
	s_or_b32 exec_lo, exec_lo, s5
	v_mov_b32_e32 v81, 0
	ds_read_b128 v[81:84], v81 offset:176
	s_waitcnt lgkmcnt(0)
	v_mul_f64 v[86:87], v[1:2], v[83:84]
	v_mul_f64 v[83:84], v[3:4], v[83:84]
	v_fma_f64 v[3:4], v[3:4], v[81:82], -v[86:87]
	v_fma_f64 v[1:2], v[1:2], v[81:82], v[83:84]
	buffer_store_dword v4, off, s[0:3], 0 offset:196
	buffer_store_dword v3, off, s[0:3], 0 offset:192
	buffer_store_dword v2, off, s[0:3], 0 offset:204
	buffer_store_dword v1, off, s[0:3], 0 offset:200
.LBB100_59:
	s_or_b32 exec_lo, exec_lo, s4
	v_mov_b32_e32 v4, s37
	s_waitcnt_vscnt null, 0x0
	s_barrier
	buffer_gl0_inv
	s_mov_b32 s4, exec_lo
	s_clause 0x3
	buffer_load_dword v1, v4, s[0:3], 0 offen
	buffer_load_dword v2, v4, s[0:3], 0 offen offset:4
	buffer_load_dword v3, v4, s[0:3], 0 offen offset:8
	;; [unrolled: 1-line block ×3, first 2 shown]
	s_waitcnt vmcnt(0)
	ds_write_b128 v79, v[1:4]
	s_waitcnt lgkmcnt(0)
	s_barrier
	buffer_gl0_inv
	v_cmpx_gt_u32_e32 12, v0
	s_cbranch_execz .LBB100_63
; %bb.60:
	v_mov_b32_e32 v1, 0
	v_mov_b32_e32 v3, 0
	v_add_nc_u32_e32 v81, -1, v0
	v_add_nc_u32_e32 v82, 0x250, v85
	v_mov_b32_e32 v2, 0
	v_mov_b32_e32 v4, 0
	v_add_nc_u32_e32 v83, 16, v85
	s_mov_b32 s5, 0
	.p2align	6
.LBB100_61:                             ; =>This Inner Loop Header: Depth=1
	s_clause 0x3
	buffer_load_dword v90, v83, s[0:3], 0 offen offset:8
	buffer_load_dword v91, v83, s[0:3], 0 offen offset:12
	buffer_load_dword v92, v83, s[0:3], 0 offen
	buffer_load_dword v93, v83, s[0:3], 0 offen offset:4
	ds_read_b128 v[86:89], v82
	v_add_nc_u32_e32 v81, 1, v81
	v_add_nc_u32_e32 v82, 16, v82
	;; [unrolled: 1-line block ×3, first 2 shown]
	v_cmp_lt_u32_e32 vcc_lo, 10, v81
	s_or_b32 s5, vcc_lo, s5
	s_waitcnt vmcnt(2) lgkmcnt(0)
	v_mul_f64 v[94:95], v[88:89], v[90:91]
	v_mul_f64 v[90:91], v[86:87], v[90:91]
	s_waitcnt vmcnt(0)
	v_fma_f64 v[86:87], v[86:87], v[92:93], -v[94:95]
	v_fma_f64 v[88:89], v[88:89], v[92:93], v[90:91]
	v_add_f64 v[3:4], v[3:4], v[86:87]
	v_add_f64 v[1:2], v[1:2], v[88:89]
	s_andn2_b32 exec_lo, exec_lo, s5
	s_cbranch_execnz .LBB100_61
; %bb.62:
	s_or_b32 exec_lo, exec_lo, s5
	v_mov_b32_e32 v81, 0
	ds_read_b128 v[81:84], v81 offset:192
	s_waitcnt lgkmcnt(0)
	v_mul_f64 v[86:87], v[1:2], v[83:84]
	v_mul_f64 v[83:84], v[3:4], v[83:84]
	v_fma_f64 v[3:4], v[3:4], v[81:82], -v[86:87]
	v_fma_f64 v[1:2], v[1:2], v[81:82], v[83:84]
	buffer_store_dword v4, off, s[0:3], 0 offset:212
	buffer_store_dword v3, off, s[0:3], 0 offset:208
	;; [unrolled: 1-line block ×4, first 2 shown]
.LBB100_63:
	s_or_b32 exec_lo, exec_lo, s4
	v_mov_b32_e32 v4, s36
	s_waitcnt_vscnt null, 0x0
	s_barrier
	buffer_gl0_inv
	s_mov_b32 s4, exec_lo
	s_clause 0x3
	buffer_load_dword v1, v4, s[0:3], 0 offen
	buffer_load_dword v2, v4, s[0:3], 0 offen offset:4
	buffer_load_dword v3, v4, s[0:3], 0 offen offset:8
	;; [unrolled: 1-line block ×3, first 2 shown]
	s_waitcnt vmcnt(0)
	ds_write_b128 v79, v[1:4]
	s_waitcnt lgkmcnt(0)
	s_barrier
	buffer_gl0_inv
	v_cmpx_gt_u32_e32 13, v0
	s_cbranch_execz .LBB100_67
; %bb.64:
	v_mov_b32_e32 v1, 0
	v_mov_b32_e32 v3, 0
	v_add_nc_u32_e32 v81, -1, v0
	v_add_nc_u32_e32 v82, 0x250, v85
	v_mov_b32_e32 v2, 0
	v_mov_b32_e32 v4, 0
	v_add_nc_u32_e32 v83, 16, v85
	s_mov_b32 s5, 0
	.p2align	6
.LBB100_65:                             ; =>This Inner Loop Header: Depth=1
	s_clause 0x3
	buffer_load_dword v90, v83, s[0:3], 0 offen offset:8
	buffer_load_dword v91, v83, s[0:3], 0 offen offset:12
	buffer_load_dword v92, v83, s[0:3], 0 offen
	buffer_load_dword v93, v83, s[0:3], 0 offen offset:4
	ds_read_b128 v[86:89], v82
	v_add_nc_u32_e32 v81, 1, v81
	v_add_nc_u32_e32 v82, 16, v82
	;; [unrolled: 1-line block ×3, first 2 shown]
	v_cmp_lt_u32_e32 vcc_lo, 11, v81
	s_or_b32 s5, vcc_lo, s5
	s_waitcnt vmcnt(2) lgkmcnt(0)
	v_mul_f64 v[94:95], v[88:89], v[90:91]
	v_mul_f64 v[90:91], v[86:87], v[90:91]
	s_waitcnt vmcnt(0)
	v_fma_f64 v[86:87], v[86:87], v[92:93], -v[94:95]
	v_fma_f64 v[88:89], v[88:89], v[92:93], v[90:91]
	v_add_f64 v[3:4], v[3:4], v[86:87]
	v_add_f64 v[1:2], v[1:2], v[88:89]
	s_andn2_b32 exec_lo, exec_lo, s5
	s_cbranch_execnz .LBB100_65
; %bb.66:
	s_or_b32 exec_lo, exec_lo, s5
	v_mov_b32_e32 v81, 0
	ds_read_b128 v[81:84], v81 offset:208
	s_waitcnt lgkmcnt(0)
	v_mul_f64 v[86:87], v[1:2], v[83:84]
	v_mul_f64 v[83:84], v[3:4], v[83:84]
	v_fma_f64 v[3:4], v[3:4], v[81:82], -v[86:87]
	v_fma_f64 v[1:2], v[1:2], v[81:82], v[83:84]
	buffer_store_dword v4, off, s[0:3], 0 offset:228
	buffer_store_dword v3, off, s[0:3], 0 offset:224
	;; [unrolled: 1-line block ×4, first 2 shown]
.LBB100_67:
	s_or_b32 exec_lo, exec_lo, s4
	v_mov_b32_e32 v4, s35
	s_waitcnt_vscnt null, 0x0
	s_barrier
	buffer_gl0_inv
	s_mov_b32 s4, exec_lo
	s_clause 0x3
	buffer_load_dword v1, v4, s[0:3], 0 offen
	buffer_load_dword v2, v4, s[0:3], 0 offen offset:4
	buffer_load_dword v3, v4, s[0:3], 0 offen offset:8
	;; [unrolled: 1-line block ×3, first 2 shown]
	s_waitcnt vmcnt(0)
	ds_write_b128 v79, v[1:4]
	s_waitcnt lgkmcnt(0)
	s_barrier
	buffer_gl0_inv
	v_cmpx_gt_u32_e32 14, v0
	s_cbranch_execz .LBB100_71
; %bb.68:
	v_mov_b32_e32 v1, 0
	v_mov_b32_e32 v3, 0
	v_add_nc_u32_e32 v81, -1, v0
	v_add_nc_u32_e32 v82, 0x250, v85
	v_mov_b32_e32 v2, 0
	v_mov_b32_e32 v4, 0
	v_add_nc_u32_e32 v83, 16, v85
	s_mov_b32 s5, 0
	.p2align	6
.LBB100_69:                             ; =>This Inner Loop Header: Depth=1
	s_clause 0x3
	buffer_load_dword v90, v83, s[0:3], 0 offen offset:8
	buffer_load_dword v91, v83, s[0:3], 0 offen offset:12
	buffer_load_dword v92, v83, s[0:3], 0 offen
	buffer_load_dword v93, v83, s[0:3], 0 offen offset:4
	ds_read_b128 v[86:89], v82
	v_add_nc_u32_e32 v81, 1, v81
	v_add_nc_u32_e32 v82, 16, v82
	;; [unrolled: 1-line block ×3, first 2 shown]
	v_cmp_lt_u32_e32 vcc_lo, 12, v81
	s_or_b32 s5, vcc_lo, s5
	s_waitcnt vmcnt(2) lgkmcnt(0)
	v_mul_f64 v[94:95], v[88:89], v[90:91]
	v_mul_f64 v[90:91], v[86:87], v[90:91]
	s_waitcnt vmcnt(0)
	v_fma_f64 v[86:87], v[86:87], v[92:93], -v[94:95]
	v_fma_f64 v[88:89], v[88:89], v[92:93], v[90:91]
	v_add_f64 v[3:4], v[3:4], v[86:87]
	v_add_f64 v[1:2], v[1:2], v[88:89]
	s_andn2_b32 exec_lo, exec_lo, s5
	s_cbranch_execnz .LBB100_69
; %bb.70:
	s_or_b32 exec_lo, exec_lo, s5
	v_mov_b32_e32 v81, 0
	ds_read_b128 v[81:84], v81 offset:224
	s_waitcnt lgkmcnt(0)
	v_mul_f64 v[86:87], v[1:2], v[83:84]
	v_mul_f64 v[83:84], v[3:4], v[83:84]
	v_fma_f64 v[3:4], v[3:4], v[81:82], -v[86:87]
	v_fma_f64 v[1:2], v[1:2], v[81:82], v[83:84]
	buffer_store_dword v4, off, s[0:3], 0 offset:244
	buffer_store_dword v3, off, s[0:3], 0 offset:240
	;; [unrolled: 1-line block ×4, first 2 shown]
.LBB100_71:
	s_or_b32 exec_lo, exec_lo, s4
	v_mov_b32_e32 v4, s34
	s_waitcnt_vscnt null, 0x0
	s_barrier
	buffer_gl0_inv
	s_mov_b32 s4, exec_lo
	s_clause 0x3
	buffer_load_dword v1, v4, s[0:3], 0 offen
	buffer_load_dword v2, v4, s[0:3], 0 offen offset:4
	buffer_load_dword v3, v4, s[0:3], 0 offen offset:8
	;; [unrolled: 1-line block ×3, first 2 shown]
	s_waitcnt vmcnt(0)
	ds_write_b128 v79, v[1:4]
	s_waitcnt lgkmcnt(0)
	s_barrier
	buffer_gl0_inv
	v_cmpx_gt_u32_e32 15, v0
	s_cbranch_execz .LBB100_75
; %bb.72:
	v_mov_b32_e32 v1, 0
	v_mov_b32_e32 v3, 0
	v_add_nc_u32_e32 v81, -1, v0
	v_add_nc_u32_e32 v82, 0x250, v85
	v_mov_b32_e32 v2, 0
	v_mov_b32_e32 v4, 0
	v_add_nc_u32_e32 v83, 16, v85
	s_mov_b32 s5, 0
	.p2align	6
.LBB100_73:                             ; =>This Inner Loop Header: Depth=1
	s_clause 0x3
	buffer_load_dword v90, v83, s[0:3], 0 offen offset:8
	buffer_load_dword v91, v83, s[0:3], 0 offen offset:12
	buffer_load_dword v92, v83, s[0:3], 0 offen
	buffer_load_dword v93, v83, s[0:3], 0 offen offset:4
	ds_read_b128 v[86:89], v82
	v_add_nc_u32_e32 v81, 1, v81
	v_add_nc_u32_e32 v82, 16, v82
	v_add_nc_u32_e32 v83, 16, v83
	v_cmp_lt_u32_e32 vcc_lo, 13, v81
	s_or_b32 s5, vcc_lo, s5
	s_waitcnt vmcnt(2) lgkmcnt(0)
	v_mul_f64 v[94:95], v[88:89], v[90:91]
	v_mul_f64 v[90:91], v[86:87], v[90:91]
	s_waitcnt vmcnt(0)
	v_fma_f64 v[86:87], v[86:87], v[92:93], -v[94:95]
	v_fma_f64 v[88:89], v[88:89], v[92:93], v[90:91]
	v_add_f64 v[3:4], v[3:4], v[86:87]
	v_add_f64 v[1:2], v[1:2], v[88:89]
	s_andn2_b32 exec_lo, exec_lo, s5
	s_cbranch_execnz .LBB100_73
; %bb.74:
	s_or_b32 exec_lo, exec_lo, s5
	v_mov_b32_e32 v81, 0
	ds_read_b128 v[81:84], v81 offset:240
	s_waitcnt lgkmcnt(0)
	v_mul_f64 v[86:87], v[1:2], v[83:84]
	v_mul_f64 v[83:84], v[3:4], v[83:84]
	v_fma_f64 v[3:4], v[3:4], v[81:82], -v[86:87]
	v_fma_f64 v[1:2], v[1:2], v[81:82], v[83:84]
	buffer_store_dword v4, off, s[0:3], 0 offset:260
	buffer_store_dword v3, off, s[0:3], 0 offset:256
	;; [unrolled: 1-line block ×4, first 2 shown]
.LBB100_75:
	s_or_b32 exec_lo, exec_lo, s4
	v_mov_b32_e32 v4, s33
	s_waitcnt_vscnt null, 0x0
	s_barrier
	buffer_gl0_inv
	s_mov_b32 s4, exec_lo
	s_clause 0x3
	buffer_load_dword v1, v4, s[0:3], 0 offen
	buffer_load_dword v2, v4, s[0:3], 0 offen offset:4
	buffer_load_dword v3, v4, s[0:3], 0 offen offset:8
	;; [unrolled: 1-line block ×3, first 2 shown]
	s_waitcnt vmcnt(0)
	ds_write_b128 v79, v[1:4]
	s_waitcnt lgkmcnt(0)
	s_barrier
	buffer_gl0_inv
	v_cmpx_gt_u32_e32 16, v0
	s_cbranch_execz .LBB100_79
; %bb.76:
	v_mov_b32_e32 v1, 0
	v_mov_b32_e32 v3, 0
	v_add_nc_u32_e32 v81, -1, v0
	v_add_nc_u32_e32 v82, 0x250, v85
	v_mov_b32_e32 v2, 0
	v_mov_b32_e32 v4, 0
	v_add_nc_u32_e32 v83, 16, v85
	s_mov_b32 s5, 0
	.p2align	6
.LBB100_77:                             ; =>This Inner Loop Header: Depth=1
	s_clause 0x3
	buffer_load_dword v90, v83, s[0:3], 0 offen offset:8
	buffer_load_dword v91, v83, s[0:3], 0 offen offset:12
	buffer_load_dword v92, v83, s[0:3], 0 offen
	buffer_load_dword v93, v83, s[0:3], 0 offen offset:4
	ds_read_b128 v[86:89], v82
	v_add_nc_u32_e32 v81, 1, v81
	v_add_nc_u32_e32 v82, 16, v82
	;; [unrolled: 1-line block ×3, first 2 shown]
	v_cmp_lt_u32_e32 vcc_lo, 14, v81
	s_or_b32 s5, vcc_lo, s5
	s_waitcnt vmcnt(2) lgkmcnt(0)
	v_mul_f64 v[94:95], v[88:89], v[90:91]
	v_mul_f64 v[90:91], v[86:87], v[90:91]
	s_waitcnt vmcnt(0)
	v_fma_f64 v[86:87], v[86:87], v[92:93], -v[94:95]
	v_fma_f64 v[88:89], v[88:89], v[92:93], v[90:91]
	v_add_f64 v[3:4], v[3:4], v[86:87]
	v_add_f64 v[1:2], v[1:2], v[88:89]
	s_andn2_b32 exec_lo, exec_lo, s5
	s_cbranch_execnz .LBB100_77
; %bb.78:
	s_or_b32 exec_lo, exec_lo, s5
	v_mov_b32_e32 v81, 0
	ds_read_b128 v[81:84], v81 offset:256
	s_waitcnt lgkmcnt(0)
	v_mul_f64 v[86:87], v[1:2], v[83:84]
	v_mul_f64 v[83:84], v[3:4], v[83:84]
	v_fma_f64 v[3:4], v[3:4], v[81:82], -v[86:87]
	v_fma_f64 v[1:2], v[1:2], v[81:82], v[83:84]
	buffer_store_dword v4, off, s[0:3], 0 offset:276
	buffer_store_dword v3, off, s[0:3], 0 offset:272
	;; [unrolled: 1-line block ×4, first 2 shown]
.LBB100_79:
	s_or_b32 exec_lo, exec_lo, s4
	v_mov_b32_e32 v4, s31
	s_waitcnt_vscnt null, 0x0
	s_barrier
	buffer_gl0_inv
	s_mov_b32 s4, exec_lo
	s_clause 0x3
	buffer_load_dword v1, v4, s[0:3], 0 offen
	buffer_load_dword v2, v4, s[0:3], 0 offen offset:4
	buffer_load_dword v3, v4, s[0:3], 0 offen offset:8
	;; [unrolled: 1-line block ×3, first 2 shown]
	s_waitcnt vmcnt(0)
	ds_write_b128 v79, v[1:4]
	s_waitcnt lgkmcnt(0)
	s_barrier
	buffer_gl0_inv
	v_cmpx_gt_u32_e32 17, v0
	s_cbranch_execz .LBB100_83
; %bb.80:
	v_mov_b32_e32 v1, 0
	v_mov_b32_e32 v3, 0
	v_add_nc_u32_e32 v81, -1, v0
	v_add_nc_u32_e32 v82, 0x250, v85
	v_mov_b32_e32 v2, 0
	v_mov_b32_e32 v4, 0
	v_add_nc_u32_e32 v83, 16, v85
	s_mov_b32 s5, 0
	.p2align	6
.LBB100_81:                             ; =>This Inner Loop Header: Depth=1
	s_clause 0x3
	buffer_load_dword v90, v83, s[0:3], 0 offen offset:8
	buffer_load_dword v91, v83, s[0:3], 0 offen offset:12
	buffer_load_dword v92, v83, s[0:3], 0 offen
	buffer_load_dword v93, v83, s[0:3], 0 offen offset:4
	ds_read_b128 v[86:89], v82
	v_add_nc_u32_e32 v81, 1, v81
	v_add_nc_u32_e32 v82, 16, v82
	;; [unrolled: 1-line block ×3, first 2 shown]
	v_cmp_lt_u32_e32 vcc_lo, 15, v81
	s_or_b32 s5, vcc_lo, s5
	s_waitcnt vmcnt(2) lgkmcnt(0)
	v_mul_f64 v[94:95], v[88:89], v[90:91]
	v_mul_f64 v[90:91], v[86:87], v[90:91]
	s_waitcnt vmcnt(0)
	v_fma_f64 v[86:87], v[86:87], v[92:93], -v[94:95]
	v_fma_f64 v[88:89], v[88:89], v[92:93], v[90:91]
	v_add_f64 v[3:4], v[3:4], v[86:87]
	v_add_f64 v[1:2], v[1:2], v[88:89]
	s_andn2_b32 exec_lo, exec_lo, s5
	s_cbranch_execnz .LBB100_81
; %bb.82:
	s_or_b32 exec_lo, exec_lo, s5
	v_mov_b32_e32 v81, 0
	ds_read_b128 v[81:84], v81 offset:272
	s_waitcnt lgkmcnt(0)
	v_mul_f64 v[86:87], v[1:2], v[83:84]
	v_mul_f64 v[83:84], v[3:4], v[83:84]
	v_fma_f64 v[3:4], v[3:4], v[81:82], -v[86:87]
	v_fma_f64 v[1:2], v[1:2], v[81:82], v[83:84]
	buffer_store_dword v4, off, s[0:3], 0 offset:292
	buffer_store_dword v3, off, s[0:3], 0 offset:288
	;; [unrolled: 1-line block ×4, first 2 shown]
.LBB100_83:
	s_or_b32 exec_lo, exec_lo, s4
	v_mov_b32_e32 v4, s30
	s_waitcnt_vscnt null, 0x0
	s_barrier
	buffer_gl0_inv
	s_mov_b32 s4, exec_lo
	s_clause 0x3
	buffer_load_dword v1, v4, s[0:3], 0 offen
	buffer_load_dword v2, v4, s[0:3], 0 offen offset:4
	buffer_load_dword v3, v4, s[0:3], 0 offen offset:8
	;; [unrolled: 1-line block ×3, first 2 shown]
	s_waitcnt vmcnt(0)
	ds_write_b128 v79, v[1:4]
	s_waitcnt lgkmcnt(0)
	s_barrier
	buffer_gl0_inv
	v_cmpx_gt_u32_e32 18, v0
	s_cbranch_execz .LBB100_87
; %bb.84:
	v_mov_b32_e32 v1, 0
	v_mov_b32_e32 v3, 0
	v_add_nc_u32_e32 v81, -1, v0
	v_add_nc_u32_e32 v82, 0x250, v85
	v_mov_b32_e32 v2, 0
	v_mov_b32_e32 v4, 0
	v_add_nc_u32_e32 v83, 16, v85
	s_mov_b32 s5, 0
	.p2align	6
.LBB100_85:                             ; =>This Inner Loop Header: Depth=1
	s_clause 0x3
	buffer_load_dword v90, v83, s[0:3], 0 offen offset:8
	buffer_load_dword v91, v83, s[0:3], 0 offen offset:12
	buffer_load_dword v92, v83, s[0:3], 0 offen
	buffer_load_dword v93, v83, s[0:3], 0 offen offset:4
	ds_read_b128 v[86:89], v82
	v_add_nc_u32_e32 v81, 1, v81
	v_add_nc_u32_e32 v82, 16, v82
	;; [unrolled: 1-line block ×3, first 2 shown]
	v_cmp_lt_u32_e32 vcc_lo, 16, v81
	s_or_b32 s5, vcc_lo, s5
	s_waitcnt vmcnt(2) lgkmcnt(0)
	v_mul_f64 v[94:95], v[88:89], v[90:91]
	v_mul_f64 v[90:91], v[86:87], v[90:91]
	s_waitcnt vmcnt(0)
	v_fma_f64 v[86:87], v[86:87], v[92:93], -v[94:95]
	v_fma_f64 v[88:89], v[88:89], v[92:93], v[90:91]
	v_add_f64 v[3:4], v[3:4], v[86:87]
	v_add_f64 v[1:2], v[1:2], v[88:89]
	s_andn2_b32 exec_lo, exec_lo, s5
	s_cbranch_execnz .LBB100_85
; %bb.86:
	s_or_b32 exec_lo, exec_lo, s5
	v_mov_b32_e32 v81, 0
	ds_read_b128 v[81:84], v81 offset:288
	s_waitcnt lgkmcnt(0)
	v_mul_f64 v[86:87], v[1:2], v[83:84]
	v_mul_f64 v[83:84], v[3:4], v[83:84]
	v_fma_f64 v[3:4], v[3:4], v[81:82], -v[86:87]
	v_fma_f64 v[1:2], v[1:2], v[81:82], v[83:84]
	buffer_store_dword v4, off, s[0:3], 0 offset:308
	buffer_store_dword v3, off, s[0:3], 0 offset:304
	;; [unrolled: 1-line block ×4, first 2 shown]
.LBB100_87:
	s_or_b32 exec_lo, exec_lo, s4
	v_mov_b32_e32 v4, s29
	s_waitcnt_vscnt null, 0x0
	s_barrier
	buffer_gl0_inv
	s_mov_b32 s4, exec_lo
	s_clause 0x3
	buffer_load_dword v1, v4, s[0:3], 0 offen
	buffer_load_dword v2, v4, s[0:3], 0 offen offset:4
	buffer_load_dword v3, v4, s[0:3], 0 offen offset:8
	;; [unrolled: 1-line block ×3, first 2 shown]
	s_waitcnt vmcnt(0)
	ds_write_b128 v79, v[1:4]
	s_waitcnt lgkmcnt(0)
	s_barrier
	buffer_gl0_inv
	v_cmpx_gt_u32_e32 19, v0
	s_cbranch_execz .LBB100_91
; %bb.88:
	v_mov_b32_e32 v1, 0
	v_mov_b32_e32 v3, 0
	v_add_nc_u32_e32 v81, -1, v0
	v_add_nc_u32_e32 v82, 0x250, v85
	v_mov_b32_e32 v2, 0
	v_mov_b32_e32 v4, 0
	v_add_nc_u32_e32 v83, 16, v85
	s_mov_b32 s5, 0
	.p2align	6
.LBB100_89:                             ; =>This Inner Loop Header: Depth=1
	s_clause 0x3
	buffer_load_dword v90, v83, s[0:3], 0 offen offset:8
	buffer_load_dword v91, v83, s[0:3], 0 offen offset:12
	buffer_load_dword v92, v83, s[0:3], 0 offen
	buffer_load_dword v93, v83, s[0:3], 0 offen offset:4
	ds_read_b128 v[86:89], v82
	v_add_nc_u32_e32 v81, 1, v81
	v_add_nc_u32_e32 v82, 16, v82
	v_add_nc_u32_e32 v83, 16, v83
	v_cmp_lt_u32_e32 vcc_lo, 17, v81
	s_or_b32 s5, vcc_lo, s5
	s_waitcnt vmcnt(2) lgkmcnt(0)
	v_mul_f64 v[94:95], v[88:89], v[90:91]
	v_mul_f64 v[90:91], v[86:87], v[90:91]
	s_waitcnt vmcnt(0)
	v_fma_f64 v[86:87], v[86:87], v[92:93], -v[94:95]
	v_fma_f64 v[88:89], v[88:89], v[92:93], v[90:91]
	v_add_f64 v[3:4], v[3:4], v[86:87]
	v_add_f64 v[1:2], v[1:2], v[88:89]
	s_andn2_b32 exec_lo, exec_lo, s5
	s_cbranch_execnz .LBB100_89
; %bb.90:
	s_or_b32 exec_lo, exec_lo, s5
	v_mov_b32_e32 v81, 0
	ds_read_b128 v[81:84], v81 offset:304
	s_waitcnt lgkmcnt(0)
	v_mul_f64 v[86:87], v[1:2], v[83:84]
	v_mul_f64 v[83:84], v[3:4], v[83:84]
	v_fma_f64 v[3:4], v[3:4], v[81:82], -v[86:87]
	v_fma_f64 v[1:2], v[1:2], v[81:82], v[83:84]
	buffer_store_dword v4, off, s[0:3], 0 offset:324
	buffer_store_dword v3, off, s[0:3], 0 offset:320
	;; [unrolled: 1-line block ×4, first 2 shown]
.LBB100_91:
	s_or_b32 exec_lo, exec_lo, s4
	v_mov_b32_e32 v4, s28
	s_waitcnt_vscnt null, 0x0
	s_barrier
	buffer_gl0_inv
	s_mov_b32 s4, exec_lo
	s_clause 0x3
	buffer_load_dword v1, v4, s[0:3], 0 offen
	buffer_load_dword v2, v4, s[0:3], 0 offen offset:4
	buffer_load_dword v3, v4, s[0:3], 0 offen offset:8
	;; [unrolled: 1-line block ×3, first 2 shown]
	s_waitcnt vmcnt(0)
	ds_write_b128 v79, v[1:4]
	s_waitcnt lgkmcnt(0)
	s_barrier
	buffer_gl0_inv
	v_cmpx_gt_u32_e32 20, v0
	s_cbranch_execz .LBB100_95
; %bb.92:
	v_mov_b32_e32 v1, 0
	v_mov_b32_e32 v3, 0
	v_add_nc_u32_e32 v81, -1, v0
	v_add_nc_u32_e32 v82, 0x250, v85
	v_mov_b32_e32 v2, 0
	v_mov_b32_e32 v4, 0
	v_add_nc_u32_e32 v83, 16, v85
	s_mov_b32 s5, 0
	.p2align	6
.LBB100_93:                             ; =>This Inner Loop Header: Depth=1
	s_clause 0x3
	buffer_load_dword v90, v83, s[0:3], 0 offen offset:8
	buffer_load_dword v91, v83, s[0:3], 0 offen offset:12
	buffer_load_dword v92, v83, s[0:3], 0 offen
	buffer_load_dword v93, v83, s[0:3], 0 offen offset:4
	ds_read_b128 v[86:89], v82
	v_add_nc_u32_e32 v81, 1, v81
	v_add_nc_u32_e32 v82, 16, v82
	;; [unrolled: 1-line block ×3, first 2 shown]
	v_cmp_lt_u32_e32 vcc_lo, 18, v81
	s_or_b32 s5, vcc_lo, s5
	s_waitcnt vmcnt(2) lgkmcnt(0)
	v_mul_f64 v[94:95], v[88:89], v[90:91]
	v_mul_f64 v[90:91], v[86:87], v[90:91]
	s_waitcnt vmcnt(0)
	v_fma_f64 v[86:87], v[86:87], v[92:93], -v[94:95]
	v_fma_f64 v[88:89], v[88:89], v[92:93], v[90:91]
	v_add_f64 v[3:4], v[3:4], v[86:87]
	v_add_f64 v[1:2], v[1:2], v[88:89]
	s_andn2_b32 exec_lo, exec_lo, s5
	s_cbranch_execnz .LBB100_93
; %bb.94:
	s_or_b32 exec_lo, exec_lo, s5
	v_mov_b32_e32 v81, 0
	ds_read_b128 v[81:84], v81 offset:320
	s_waitcnt lgkmcnt(0)
	v_mul_f64 v[86:87], v[1:2], v[83:84]
	v_mul_f64 v[83:84], v[3:4], v[83:84]
	v_fma_f64 v[3:4], v[3:4], v[81:82], -v[86:87]
	v_fma_f64 v[1:2], v[1:2], v[81:82], v[83:84]
	buffer_store_dword v4, off, s[0:3], 0 offset:340
	buffer_store_dword v3, off, s[0:3], 0 offset:336
	;; [unrolled: 1-line block ×4, first 2 shown]
.LBB100_95:
	s_or_b32 exec_lo, exec_lo, s4
	v_mov_b32_e32 v4, s27
	s_waitcnt_vscnt null, 0x0
	s_barrier
	buffer_gl0_inv
	s_mov_b32 s4, exec_lo
	s_clause 0x3
	buffer_load_dword v1, v4, s[0:3], 0 offen
	buffer_load_dword v2, v4, s[0:3], 0 offen offset:4
	buffer_load_dword v3, v4, s[0:3], 0 offen offset:8
	;; [unrolled: 1-line block ×3, first 2 shown]
	s_waitcnt vmcnt(0)
	ds_write_b128 v79, v[1:4]
	s_waitcnt lgkmcnt(0)
	s_barrier
	buffer_gl0_inv
	v_cmpx_gt_u32_e32 21, v0
	s_cbranch_execz .LBB100_99
; %bb.96:
	v_mov_b32_e32 v1, 0
	v_mov_b32_e32 v3, 0
	v_add_nc_u32_e32 v81, -1, v0
	v_add_nc_u32_e32 v82, 0x250, v85
	v_mov_b32_e32 v2, 0
	v_mov_b32_e32 v4, 0
	v_add_nc_u32_e32 v83, 16, v85
	s_mov_b32 s5, 0
	.p2align	6
.LBB100_97:                             ; =>This Inner Loop Header: Depth=1
	s_clause 0x3
	buffer_load_dword v90, v83, s[0:3], 0 offen offset:8
	buffer_load_dword v91, v83, s[0:3], 0 offen offset:12
	buffer_load_dword v92, v83, s[0:3], 0 offen
	buffer_load_dword v93, v83, s[0:3], 0 offen offset:4
	ds_read_b128 v[86:89], v82
	v_add_nc_u32_e32 v81, 1, v81
	v_add_nc_u32_e32 v82, 16, v82
	;; [unrolled: 1-line block ×3, first 2 shown]
	v_cmp_lt_u32_e32 vcc_lo, 19, v81
	s_or_b32 s5, vcc_lo, s5
	s_waitcnt vmcnt(2) lgkmcnt(0)
	v_mul_f64 v[94:95], v[88:89], v[90:91]
	v_mul_f64 v[90:91], v[86:87], v[90:91]
	s_waitcnt vmcnt(0)
	v_fma_f64 v[86:87], v[86:87], v[92:93], -v[94:95]
	v_fma_f64 v[88:89], v[88:89], v[92:93], v[90:91]
	v_add_f64 v[3:4], v[3:4], v[86:87]
	v_add_f64 v[1:2], v[1:2], v[88:89]
	s_andn2_b32 exec_lo, exec_lo, s5
	s_cbranch_execnz .LBB100_97
; %bb.98:
	s_or_b32 exec_lo, exec_lo, s5
	v_mov_b32_e32 v81, 0
	ds_read_b128 v[81:84], v81 offset:336
	s_waitcnt lgkmcnt(0)
	v_mul_f64 v[86:87], v[1:2], v[83:84]
	v_mul_f64 v[83:84], v[3:4], v[83:84]
	v_fma_f64 v[3:4], v[3:4], v[81:82], -v[86:87]
	v_fma_f64 v[1:2], v[1:2], v[81:82], v[83:84]
	buffer_store_dword v4, off, s[0:3], 0 offset:356
	buffer_store_dword v3, off, s[0:3], 0 offset:352
	;; [unrolled: 1-line block ×4, first 2 shown]
.LBB100_99:
	s_or_b32 exec_lo, exec_lo, s4
	v_mov_b32_e32 v4, s26
	s_waitcnt_vscnt null, 0x0
	s_barrier
	buffer_gl0_inv
	s_mov_b32 s4, exec_lo
	s_clause 0x3
	buffer_load_dword v1, v4, s[0:3], 0 offen
	buffer_load_dword v2, v4, s[0:3], 0 offen offset:4
	buffer_load_dword v3, v4, s[0:3], 0 offen offset:8
	;; [unrolled: 1-line block ×3, first 2 shown]
	s_waitcnt vmcnt(0)
	ds_write_b128 v79, v[1:4]
	s_waitcnt lgkmcnt(0)
	s_barrier
	buffer_gl0_inv
	v_cmpx_gt_u32_e32 22, v0
	s_cbranch_execz .LBB100_103
; %bb.100:
	v_mov_b32_e32 v1, 0
	v_mov_b32_e32 v3, 0
	v_add_nc_u32_e32 v81, -1, v0
	v_add_nc_u32_e32 v82, 0x250, v85
	v_mov_b32_e32 v2, 0
	v_mov_b32_e32 v4, 0
	v_add_nc_u32_e32 v83, 16, v85
	s_mov_b32 s5, 0
	.p2align	6
.LBB100_101:                            ; =>This Inner Loop Header: Depth=1
	s_clause 0x3
	buffer_load_dword v90, v83, s[0:3], 0 offen offset:8
	buffer_load_dword v91, v83, s[0:3], 0 offen offset:12
	buffer_load_dword v92, v83, s[0:3], 0 offen
	buffer_load_dword v93, v83, s[0:3], 0 offen offset:4
	ds_read_b128 v[86:89], v82
	v_add_nc_u32_e32 v81, 1, v81
	v_add_nc_u32_e32 v82, 16, v82
	;; [unrolled: 1-line block ×3, first 2 shown]
	v_cmp_lt_u32_e32 vcc_lo, 20, v81
	s_or_b32 s5, vcc_lo, s5
	s_waitcnt vmcnt(2) lgkmcnt(0)
	v_mul_f64 v[94:95], v[88:89], v[90:91]
	v_mul_f64 v[90:91], v[86:87], v[90:91]
	s_waitcnt vmcnt(0)
	v_fma_f64 v[86:87], v[86:87], v[92:93], -v[94:95]
	v_fma_f64 v[88:89], v[88:89], v[92:93], v[90:91]
	v_add_f64 v[3:4], v[3:4], v[86:87]
	v_add_f64 v[1:2], v[1:2], v[88:89]
	s_andn2_b32 exec_lo, exec_lo, s5
	s_cbranch_execnz .LBB100_101
; %bb.102:
	s_or_b32 exec_lo, exec_lo, s5
	v_mov_b32_e32 v81, 0
	ds_read_b128 v[81:84], v81 offset:352
	s_waitcnt lgkmcnt(0)
	v_mul_f64 v[86:87], v[1:2], v[83:84]
	v_mul_f64 v[83:84], v[3:4], v[83:84]
	v_fma_f64 v[3:4], v[3:4], v[81:82], -v[86:87]
	v_fma_f64 v[1:2], v[1:2], v[81:82], v[83:84]
	buffer_store_dword v4, off, s[0:3], 0 offset:372
	buffer_store_dword v3, off, s[0:3], 0 offset:368
	;; [unrolled: 1-line block ×4, first 2 shown]
.LBB100_103:
	s_or_b32 exec_lo, exec_lo, s4
	v_mov_b32_e32 v4, s25
	s_waitcnt_vscnt null, 0x0
	s_barrier
	buffer_gl0_inv
	s_mov_b32 s4, exec_lo
	s_clause 0x3
	buffer_load_dword v1, v4, s[0:3], 0 offen
	buffer_load_dword v2, v4, s[0:3], 0 offen offset:4
	buffer_load_dword v3, v4, s[0:3], 0 offen offset:8
	buffer_load_dword v4, v4, s[0:3], 0 offen offset:12
	s_waitcnt vmcnt(0)
	ds_write_b128 v79, v[1:4]
	s_waitcnt lgkmcnt(0)
	s_barrier
	buffer_gl0_inv
	v_cmpx_gt_u32_e32 23, v0
	s_cbranch_execz .LBB100_107
; %bb.104:
	v_mov_b32_e32 v1, 0
	v_mov_b32_e32 v3, 0
	v_add_nc_u32_e32 v81, -1, v0
	v_add_nc_u32_e32 v82, 0x250, v85
	v_mov_b32_e32 v2, 0
	v_mov_b32_e32 v4, 0
	v_add_nc_u32_e32 v83, 16, v85
	s_mov_b32 s5, 0
	.p2align	6
.LBB100_105:                            ; =>This Inner Loop Header: Depth=1
	s_clause 0x3
	buffer_load_dword v90, v83, s[0:3], 0 offen offset:8
	buffer_load_dword v91, v83, s[0:3], 0 offen offset:12
	buffer_load_dword v92, v83, s[0:3], 0 offen
	buffer_load_dword v93, v83, s[0:3], 0 offen offset:4
	ds_read_b128 v[86:89], v82
	v_add_nc_u32_e32 v81, 1, v81
	v_add_nc_u32_e32 v82, 16, v82
	;; [unrolled: 1-line block ×3, first 2 shown]
	v_cmp_lt_u32_e32 vcc_lo, 21, v81
	s_or_b32 s5, vcc_lo, s5
	s_waitcnt vmcnt(2) lgkmcnt(0)
	v_mul_f64 v[94:95], v[88:89], v[90:91]
	v_mul_f64 v[90:91], v[86:87], v[90:91]
	s_waitcnt vmcnt(0)
	v_fma_f64 v[86:87], v[86:87], v[92:93], -v[94:95]
	v_fma_f64 v[88:89], v[88:89], v[92:93], v[90:91]
	v_add_f64 v[3:4], v[3:4], v[86:87]
	v_add_f64 v[1:2], v[1:2], v[88:89]
	s_andn2_b32 exec_lo, exec_lo, s5
	s_cbranch_execnz .LBB100_105
; %bb.106:
	s_or_b32 exec_lo, exec_lo, s5
	v_mov_b32_e32 v81, 0
	ds_read_b128 v[81:84], v81 offset:368
	s_waitcnt lgkmcnt(0)
	v_mul_f64 v[86:87], v[1:2], v[83:84]
	v_mul_f64 v[83:84], v[3:4], v[83:84]
	v_fma_f64 v[3:4], v[3:4], v[81:82], -v[86:87]
	v_fma_f64 v[1:2], v[1:2], v[81:82], v[83:84]
	buffer_store_dword v4, off, s[0:3], 0 offset:388
	buffer_store_dword v3, off, s[0:3], 0 offset:384
	;; [unrolled: 1-line block ×4, first 2 shown]
.LBB100_107:
	s_or_b32 exec_lo, exec_lo, s4
	v_mov_b32_e32 v4, s24
	s_waitcnt_vscnt null, 0x0
	s_barrier
	buffer_gl0_inv
	s_mov_b32 s4, exec_lo
	s_clause 0x3
	buffer_load_dword v1, v4, s[0:3], 0 offen
	buffer_load_dword v2, v4, s[0:3], 0 offen offset:4
	buffer_load_dword v3, v4, s[0:3], 0 offen offset:8
	;; [unrolled: 1-line block ×3, first 2 shown]
	s_waitcnt vmcnt(0)
	ds_write_b128 v79, v[1:4]
	s_waitcnt lgkmcnt(0)
	s_barrier
	buffer_gl0_inv
	v_cmpx_gt_u32_e32 24, v0
	s_cbranch_execz .LBB100_111
; %bb.108:
	v_mov_b32_e32 v1, 0
	v_mov_b32_e32 v3, 0
	v_add_nc_u32_e32 v81, -1, v0
	v_add_nc_u32_e32 v82, 0x250, v85
	v_mov_b32_e32 v2, 0
	v_mov_b32_e32 v4, 0
	v_add_nc_u32_e32 v83, 16, v85
	s_mov_b32 s5, 0
	.p2align	6
.LBB100_109:                            ; =>This Inner Loop Header: Depth=1
	s_clause 0x3
	buffer_load_dword v90, v83, s[0:3], 0 offen offset:8
	buffer_load_dword v91, v83, s[0:3], 0 offen offset:12
	buffer_load_dword v92, v83, s[0:3], 0 offen
	buffer_load_dword v93, v83, s[0:3], 0 offen offset:4
	ds_read_b128 v[86:89], v82
	v_add_nc_u32_e32 v81, 1, v81
	v_add_nc_u32_e32 v82, 16, v82
	;; [unrolled: 1-line block ×3, first 2 shown]
	v_cmp_lt_u32_e32 vcc_lo, 22, v81
	s_or_b32 s5, vcc_lo, s5
	s_waitcnt vmcnt(2) lgkmcnt(0)
	v_mul_f64 v[94:95], v[88:89], v[90:91]
	v_mul_f64 v[90:91], v[86:87], v[90:91]
	s_waitcnt vmcnt(0)
	v_fma_f64 v[86:87], v[86:87], v[92:93], -v[94:95]
	v_fma_f64 v[88:89], v[88:89], v[92:93], v[90:91]
	v_add_f64 v[3:4], v[3:4], v[86:87]
	v_add_f64 v[1:2], v[1:2], v[88:89]
	s_andn2_b32 exec_lo, exec_lo, s5
	s_cbranch_execnz .LBB100_109
; %bb.110:
	s_or_b32 exec_lo, exec_lo, s5
	v_mov_b32_e32 v81, 0
	ds_read_b128 v[81:84], v81 offset:384
	s_waitcnt lgkmcnt(0)
	v_mul_f64 v[86:87], v[1:2], v[83:84]
	v_mul_f64 v[83:84], v[3:4], v[83:84]
	v_fma_f64 v[3:4], v[3:4], v[81:82], -v[86:87]
	v_fma_f64 v[1:2], v[1:2], v[81:82], v[83:84]
	buffer_store_dword v4, off, s[0:3], 0 offset:404
	buffer_store_dword v3, off, s[0:3], 0 offset:400
	;; [unrolled: 1-line block ×4, first 2 shown]
.LBB100_111:
	s_or_b32 exec_lo, exec_lo, s4
	v_mov_b32_e32 v4, s23
	s_waitcnt_vscnt null, 0x0
	s_barrier
	buffer_gl0_inv
	s_mov_b32 s4, exec_lo
	s_clause 0x3
	buffer_load_dword v1, v4, s[0:3], 0 offen
	buffer_load_dword v2, v4, s[0:3], 0 offen offset:4
	buffer_load_dword v3, v4, s[0:3], 0 offen offset:8
	;; [unrolled: 1-line block ×3, first 2 shown]
	s_waitcnt vmcnt(0)
	ds_write_b128 v79, v[1:4]
	s_waitcnt lgkmcnt(0)
	s_barrier
	buffer_gl0_inv
	v_cmpx_gt_u32_e32 25, v0
	s_cbranch_execz .LBB100_115
; %bb.112:
	v_mov_b32_e32 v1, 0
	v_mov_b32_e32 v3, 0
	v_add_nc_u32_e32 v81, -1, v0
	v_add_nc_u32_e32 v82, 0x250, v85
	v_mov_b32_e32 v2, 0
	v_mov_b32_e32 v4, 0
	v_add_nc_u32_e32 v83, 16, v85
	s_mov_b32 s5, 0
	.p2align	6
.LBB100_113:                            ; =>This Inner Loop Header: Depth=1
	s_clause 0x3
	buffer_load_dword v90, v83, s[0:3], 0 offen offset:8
	buffer_load_dword v91, v83, s[0:3], 0 offen offset:12
	buffer_load_dword v92, v83, s[0:3], 0 offen
	buffer_load_dword v93, v83, s[0:3], 0 offen offset:4
	ds_read_b128 v[86:89], v82
	v_add_nc_u32_e32 v81, 1, v81
	v_add_nc_u32_e32 v82, 16, v82
	v_add_nc_u32_e32 v83, 16, v83
	v_cmp_lt_u32_e32 vcc_lo, 23, v81
	s_or_b32 s5, vcc_lo, s5
	s_waitcnt vmcnt(2) lgkmcnt(0)
	v_mul_f64 v[94:95], v[88:89], v[90:91]
	v_mul_f64 v[90:91], v[86:87], v[90:91]
	s_waitcnt vmcnt(0)
	v_fma_f64 v[86:87], v[86:87], v[92:93], -v[94:95]
	v_fma_f64 v[88:89], v[88:89], v[92:93], v[90:91]
	v_add_f64 v[3:4], v[3:4], v[86:87]
	v_add_f64 v[1:2], v[1:2], v[88:89]
	s_andn2_b32 exec_lo, exec_lo, s5
	s_cbranch_execnz .LBB100_113
; %bb.114:
	s_or_b32 exec_lo, exec_lo, s5
	v_mov_b32_e32 v81, 0
	ds_read_b128 v[81:84], v81 offset:400
	s_waitcnt lgkmcnt(0)
	v_mul_f64 v[86:87], v[1:2], v[83:84]
	v_mul_f64 v[83:84], v[3:4], v[83:84]
	v_fma_f64 v[3:4], v[3:4], v[81:82], -v[86:87]
	v_fma_f64 v[1:2], v[1:2], v[81:82], v[83:84]
	buffer_store_dword v4, off, s[0:3], 0 offset:420
	buffer_store_dword v3, off, s[0:3], 0 offset:416
	;; [unrolled: 1-line block ×4, first 2 shown]
.LBB100_115:
	s_or_b32 exec_lo, exec_lo, s4
	v_mov_b32_e32 v4, s22
	s_waitcnt_vscnt null, 0x0
	s_barrier
	buffer_gl0_inv
	s_mov_b32 s4, exec_lo
	s_clause 0x3
	buffer_load_dword v1, v4, s[0:3], 0 offen
	buffer_load_dword v2, v4, s[0:3], 0 offen offset:4
	buffer_load_dword v3, v4, s[0:3], 0 offen offset:8
	;; [unrolled: 1-line block ×3, first 2 shown]
	s_waitcnt vmcnt(0)
	ds_write_b128 v79, v[1:4]
	s_waitcnt lgkmcnt(0)
	s_barrier
	buffer_gl0_inv
	v_cmpx_gt_u32_e32 26, v0
	s_cbranch_execz .LBB100_119
; %bb.116:
	v_mov_b32_e32 v1, 0
	v_mov_b32_e32 v3, 0
	v_add_nc_u32_e32 v81, -1, v0
	v_add_nc_u32_e32 v82, 0x250, v85
	v_mov_b32_e32 v2, 0
	v_mov_b32_e32 v4, 0
	v_add_nc_u32_e32 v83, 16, v85
	s_mov_b32 s5, 0
	.p2align	6
.LBB100_117:                            ; =>This Inner Loop Header: Depth=1
	s_clause 0x3
	buffer_load_dword v90, v83, s[0:3], 0 offen offset:8
	buffer_load_dword v91, v83, s[0:3], 0 offen offset:12
	buffer_load_dword v92, v83, s[0:3], 0 offen
	buffer_load_dword v93, v83, s[0:3], 0 offen offset:4
	ds_read_b128 v[86:89], v82
	v_add_nc_u32_e32 v81, 1, v81
	v_add_nc_u32_e32 v82, 16, v82
	;; [unrolled: 1-line block ×3, first 2 shown]
	v_cmp_lt_u32_e32 vcc_lo, 24, v81
	s_or_b32 s5, vcc_lo, s5
	s_waitcnt vmcnt(2) lgkmcnt(0)
	v_mul_f64 v[94:95], v[88:89], v[90:91]
	v_mul_f64 v[90:91], v[86:87], v[90:91]
	s_waitcnt vmcnt(0)
	v_fma_f64 v[86:87], v[86:87], v[92:93], -v[94:95]
	v_fma_f64 v[88:89], v[88:89], v[92:93], v[90:91]
	v_add_f64 v[3:4], v[3:4], v[86:87]
	v_add_f64 v[1:2], v[1:2], v[88:89]
	s_andn2_b32 exec_lo, exec_lo, s5
	s_cbranch_execnz .LBB100_117
; %bb.118:
	s_or_b32 exec_lo, exec_lo, s5
	v_mov_b32_e32 v81, 0
	ds_read_b128 v[81:84], v81 offset:416
	s_waitcnt lgkmcnt(0)
	v_mul_f64 v[86:87], v[1:2], v[83:84]
	v_mul_f64 v[83:84], v[3:4], v[83:84]
	v_fma_f64 v[3:4], v[3:4], v[81:82], -v[86:87]
	v_fma_f64 v[1:2], v[1:2], v[81:82], v[83:84]
	buffer_store_dword v4, off, s[0:3], 0 offset:436
	buffer_store_dword v3, off, s[0:3], 0 offset:432
	;; [unrolled: 1-line block ×4, first 2 shown]
.LBB100_119:
	s_or_b32 exec_lo, exec_lo, s4
	v_mov_b32_e32 v4, s21
	s_waitcnt_vscnt null, 0x0
	s_barrier
	buffer_gl0_inv
	s_mov_b32 s4, exec_lo
	s_clause 0x3
	buffer_load_dword v1, v4, s[0:3], 0 offen
	buffer_load_dword v2, v4, s[0:3], 0 offen offset:4
	buffer_load_dword v3, v4, s[0:3], 0 offen offset:8
	buffer_load_dword v4, v4, s[0:3], 0 offen offset:12
	s_waitcnt vmcnt(0)
	ds_write_b128 v79, v[1:4]
	s_waitcnt lgkmcnt(0)
	s_barrier
	buffer_gl0_inv
	v_cmpx_gt_u32_e32 27, v0
	s_cbranch_execz .LBB100_123
; %bb.120:
	v_mov_b32_e32 v1, 0
	v_mov_b32_e32 v3, 0
	v_add_nc_u32_e32 v81, -1, v0
	v_add_nc_u32_e32 v82, 0x250, v85
	v_mov_b32_e32 v2, 0
	v_mov_b32_e32 v4, 0
	v_add_nc_u32_e32 v83, 16, v85
	s_mov_b32 s5, 0
	.p2align	6
.LBB100_121:                            ; =>This Inner Loop Header: Depth=1
	s_clause 0x3
	buffer_load_dword v90, v83, s[0:3], 0 offen offset:8
	buffer_load_dword v91, v83, s[0:3], 0 offen offset:12
	buffer_load_dword v92, v83, s[0:3], 0 offen
	buffer_load_dword v93, v83, s[0:3], 0 offen offset:4
	ds_read_b128 v[86:89], v82
	v_add_nc_u32_e32 v81, 1, v81
	v_add_nc_u32_e32 v82, 16, v82
	;; [unrolled: 1-line block ×3, first 2 shown]
	v_cmp_lt_u32_e32 vcc_lo, 25, v81
	s_or_b32 s5, vcc_lo, s5
	s_waitcnt vmcnt(2) lgkmcnt(0)
	v_mul_f64 v[94:95], v[88:89], v[90:91]
	v_mul_f64 v[90:91], v[86:87], v[90:91]
	s_waitcnt vmcnt(0)
	v_fma_f64 v[86:87], v[86:87], v[92:93], -v[94:95]
	v_fma_f64 v[88:89], v[88:89], v[92:93], v[90:91]
	v_add_f64 v[3:4], v[3:4], v[86:87]
	v_add_f64 v[1:2], v[1:2], v[88:89]
	s_andn2_b32 exec_lo, exec_lo, s5
	s_cbranch_execnz .LBB100_121
; %bb.122:
	s_or_b32 exec_lo, exec_lo, s5
	v_mov_b32_e32 v81, 0
	ds_read_b128 v[81:84], v81 offset:432
	s_waitcnt lgkmcnt(0)
	v_mul_f64 v[86:87], v[1:2], v[83:84]
	v_mul_f64 v[83:84], v[3:4], v[83:84]
	v_fma_f64 v[3:4], v[3:4], v[81:82], -v[86:87]
	v_fma_f64 v[1:2], v[1:2], v[81:82], v[83:84]
	buffer_store_dword v4, off, s[0:3], 0 offset:452
	buffer_store_dword v3, off, s[0:3], 0 offset:448
	;; [unrolled: 1-line block ×4, first 2 shown]
.LBB100_123:
	s_or_b32 exec_lo, exec_lo, s4
	v_mov_b32_e32 v4, s20
	s_waitcnt_vscnt null, 0x0
	s_barrier
	buffer_gl0_inv
	s_mov_b32 s4, exec_lo
	s_clause 0x3
	buffer_load_dword v1, v4, s[0:3], 0 offen
	buffer_load_dword v2, v4, s[0:3], 0 offen offset:4
	buffer_load_dword v3, v4, s[0:3], 0 offen offset:8
	buffer_load_dword v4, v4, s[0:3], 0 offen offset:12
	s_waitcnt vmcnt(0)
	ds_write_b128 v79, v[1:4]
	s_waitcnt lgkmcnt(0)
	s_barrier
	buffer_gl0_inv
	v_cmpx_gt_u32_e32 28, v0
	s_cbranch_execz .LBB100_127
; %bb.124:
	v_mov_b32_e32 v1, 0
	v_mov_b32_e32 v3, 0
	v_add_nc_u32_e32 v81, -1, v0
	v_add_nc_u32_e32 v82, 0x250, v85
	v_mov_b32_e32 v2, 0
	v_mov_b32_e32 v4, 0
	v_add_nc_u32_e32 v83, 16, v85
	s_mov_b32 s5, 0
	.p2align	6
.LBB100_125:                            ; =>This Inner Loop Header: Depth=1
	s_clause 0x3
	buffer_load_dword v90, v83, s[0:3], 0 offen offset:8
	buffer_load_dword v91, v83, s[0:3], 0 offen offset:12
	buffer_load_dword v92, v83, s[0:3], 0 offen
	buffer_load_dword v93, v83, s[0:3], 0 offen offset:4
	ds_read_b128 v[86:89], v82
	v_add_nc_u32_e32 v81, 1, v81
	v_add_nc_u32_e32 v82, 16, v82
	;; [unrolled: 1-line block ×3, first 2 shown]
	v_cmp_lt_u32_e32 vcc_lo, 26, v81
	s_or_b32 s5, vcc_lo, s5
	s_waitcnt vmcnt(2) lgkmcnt(0)
	v_mul_f64 v[94:95], v[88:89], v[90:91]
	v_mul_f64 v[90:91], v[86:87], v[90:91]
	s_waitcnt vmcnt(0)
	v_fma_f64 v[86:87], v[86:87], v[92:93], -v[94:95]
	v_fma_f64 v[88:89], v[88:89], v[92:93], v[90:91]
	v_add_f64 v[3:4], v[3:4], v[86:87]
	v_add_f64 v[1:2], v[1:2], v[88:89]
	s_andn2_b32 exec_lo, exec_lo, s5
	s_cbranch_execnz .LBB100_125
; %bb.126:
	s_or_b32 exec_lo, exec_lo, s5
	v_mov_b32_e32 v81, 0
	ds_read_b128 v[81:84], v81 offset:448
	s_waitcnt lgkmcnt(0)
	v_mul_f64 v[86:87], v[1:2], v[83:84]
	v_mul_f64 v[83:84], v[3:4], v[83:84]
	v_fma_f64 v[3:4], v[3:4], v[81:82], -v[86:87]
	v_fma_f64 v[1:2], v[1:2], v[81:82], v[83:84]
	buffer_store_dword v4, off, s[0:3], 0 offset:468
	buffer_store_dword v3, off, s[0:3], 0 offset:464
	;; [unrolled: 1-line block ×4, first 2 shown]
.LBB100_127:
	s_or_b32 exec_lo, exec_lo, s4
	v_mov_b32_e32 v4, s19
	s_waitcnt_vscnt null, 0x0
	s_barrier
	buffer_gl0_inv
	s_mov_b32 s4, exec_lo
	s_clause 0x3
	buffer_load_dword v1, v4, s[0:3], 0 offen
	buffer_load_dword v2, v4, s[0:3], 0 offen offset:4
	buffer_load_dword v3, v4, s[0:3], 0 offen offset:8
	;; [unrolled: 1-line block ×3, first 2 shown]
	s_waitcnt vmcnt(0)
	ds_write_b128 v79, v[1:4]
	s_waitcnt lgkmcnt(0)
	s_barrier
	buffer_gl0_inv
	v_cmpx_gt_u32_e32 29, v0
	s_cbranch_execz .LBB100_131
; %bb.128:
	v_mov_b32_e32 v1, 0
	v_mov_b32_e32 v3, 0
	v_add_nc_u32_e32 v81, -1, v0
	v_add_nc_u32_e32 v82, 0x250, v85
	v_mov_b32_e32 v2, 0
	v_mov_b32_e32 v4, 0
	v_add_nc_u32_e32 v83, 16, v85
	s_mov_b32 s5, 0
	.p2align	6
.LBB100_129:                            ; =>This Inner Loop Header: Depth=1
	s_clause 0x3
	buffer_load_dword v90, v83, s[0:3], 0 offen offset:8
	buffer_load_dword v91, v83, s[0:3], 0 offen offset:12
	buffer_load_dword v92, v83, s[0:3], 0 offen
	buffer_load_dword v93, v83, s[0:3], 0 offen offset:4
	ds_read_b128 v[86:89], v82
	v_add_nc_u32_e32 v81, 1, v81
	v_add_nc_u32_e32 v82, 16, v82
	;; [unrolled: 1-line block ×3, first 2 shown]
	v_cmp_lt_u32_e32 vcc_lo, 27, v81
	s_or_b32 s5, vcc_lo, s5
	s_waitcnt vmcnt(2) lgkmcnt(0)
	v_mul_f64 v[94:95], v[88:89], v[90:91]
	v_mul_f64 v[90:91], v[86:87], v[90:91]
	s_waitcnt vmcnt(0)
	v_fma_f64 v[86:87], v[86:87], v[92:93], -v[94:95]
	v_fma_f64 v[88:89], v[88:89], v[92:93], v[90:91]
	v_add_f64 v[3:4], v[3:4], v[86:87]
	v_add_f64 v[1:2], v[1:2], v[88:89]
	s_andn2_b32 exec_lo, exec_lo, s5
	s_cbranch_execnz .LBB100_129
; %bb.130:
	s_or_b32 exec_lo, exec_lo, s5
	v_mov_b32_e32 v81, 0
	ds_read_b128 v[81:84], v81 offset:464
	s_waitcnt lgkmcnt(0)
	v_mul_f64 v[86:87], v[1:2], v[83:84]
	v_mul_f64 v[83:84], v[3:4], v[83:84]
	v_fma_f64 v[3:4], v[3:4], v[81:82], -v[86:87]
	v_fma_f64 v[1:2], v[1:2], v[81:82], v[83:84]
	buffer_store_dword v4, off, s[0:3], 0 offset:484
	buffer_store_dword v3, off, s[0:3], 0 offset:480
	;; [unrolled: 1-line block ×4, first 2 shown]
.LBB100_131:
	s_or_b32 exec_lo, exec_lo, s4
	v_mov_b32_e32 v4, s18
	s_waitcnt_vscnt null, 0x0
	s_barrier
	buffer_gl0_inv
	s_mov_b32 s4, exec_lo
	s_clause 0x3
	buffer_load_dword v1, v4, s[0:3], 0 offen
	buffer_load_dword v2, v4, s[0:3], 0 offen offset:4
	buffer_load_dword v3, v4, s[0:3], 0 offen offset:8
	;; [unrolled: 1-line block ×3, first 2 shown]
	s_waitcnt vmcnt(0)
	ds_write_b128 v79, v[1:4]
	s_waitcnt lgkmcnt(0)
	s_barrier
	buffer_gl0_inv
	v_cmpx_gt_u32_e32 30, v0
	s_cbranch_execz .LBB100_135
; %bb.132:
	v_mov_b32_e32 v1, 0
	v_mov_b32_e32 v3, 0
	v_add_nc_u32_e32 v81, -1, v0
	v_add_nc_u32_e32 v82, 0x250, v85
	v_mov_b32_e32 v2, 0
	v_mov_b32_e32 v4, 0
	v_add_nc_u32_e32 v83, 16, v85
	s_mov_b32 s5, 0
	.p2align	6
.LBB100_133:                            ; =>This Inner Loop Header: Depth=1
	s_clause 0x3
	buffer_load_dword v90, v83, s[0:3], 0 offen offset:8
	buffer_load_dword v91, v83, s[0:3], 0 offen offset:12
	buffer_load_dword v92, v83, s[0:3], 0 offen
	buffer_load_dword v93, v83, s[0:3], 0 offen offset:4
	ds_read_b128 v[86:89], v82
	v_add_nc_u32_e32 v81, 1, v81
	v_add_nc_u32_e32 v82, 16, v82
	;; [unrolled: 1-line block ×3, first 2 shown]
	v_cmp_lt_u32_e32 vcc_lo, 28, v81
	s_or_b32 s5, vcc_lo, s5
	s_waitcnt vmcnt(2) lgkmcnt(0)
	v_mul_f64 v[94:95], v[88:89], v[90:91]
	v_mul_f64 v[90:91], v[86:87], v[90:91]
	s_waitcnt vmcnt(0)
	v_fma_f64 v[86:87], v[86:87], v[92:93], -v[94:95]
	v_fma_f64 v[88:89], v[88:89], v[92:93], v[90:91]
	v_add_f64 v[3:4], v[3:4], v[86:87]
	v_add_f64 v[1:2], v[1:2], v[88:89]
	s_andn2_b32 exec_lo, exec_lo, s5
	s_cbranch_execnz .LBB100_133
; %bb.134:
	s_or_b32 exec_lo, exec_lo, s5
	v_mov_b32_e32 v81, 0
	ds_read_b128 v[81:84], v81 offset:480
	s_waitcnt lgkmcnt(0)
	v_mul_f64 v[86:87], v[1:2], v[83:84]
	v_mul_f64 v[83:84], v[3:4], v[83:84]
	v_fma_f64 v[3:4], v[3:4], v[81:82], -v[86:87]
	v_fma_f64 v[1:2], v[1:2], v[81:82], v[83:84]
	buffer_store_dword v4, off, s[0:3], 0 offset:500
	buffer_store_dword v3, off, s[0:3], 0 offset:496
	;; [unrolled: 1-line block ×4, first 2 shown]
.LBB100_135:
	s_or_b32 exec_lo, exec_lo, s4
	v_mov_b32_e32 v4, s17
	s_waitcnt_vscnt null, 0x0
	s_barrier
	buffer_gl0_inv
	s_mov_b32 s4, exec_lo
	s_clause 0x3
	buffer_load_dword v1, v4, s[0:3], 0 offen
	buffer_load_dword v2, v4, s[0:3], 0 offen offset:4
	buffer_load_dword v3, v4, s[0:3], 0 offen offset:8
	;; [unrolled: 1-line block ×3, first 2 shown]
	s_waitcnt vmcnt(0)
	ds_write_b128 v79, v[1:4]
	s_waitcnt lgkmcnt(0)
	s_barrier
	buffer_gl0_inv
	v_cmpx_gt_u32_e32 31, v0
	s_cbranch_execz .LBB100_139
; %bb.136:
	v_mov_b32_e32 v1, 0
	v_mov_b32_e32 v3, 0
	v_add_nc_u32_e32 v81, -1, v0
	v_add_nc_u32_e32 v82, 0x250, v85
	v_mov_b32_e32 v2, 0
	v_mov_b32_e32 v4, 0
	v_add_nc_u32_e32 v83, 16, v85
	s_mov_b32 s5, 0
	.p2align	6
.LBB100_137:                            ; =>This Inner Loop Header: Depth=1
	s_clause 0x3
	buffer_load_dword v90, v83, s[0:3], 0 offen offset:8
	buffer_load_dword v91, v83, s[0:3], 0 offen offset:12
	buffer_load_dword v92, v83, s[0:3], 0 offen
	buffer_load_dword v93, v83, s[0:3], 0 offen offset:4
	ds_read_b128 v[86:89], v82
	v_add_nc_u32_e32 v81, 1, v81
	v_add_nc_u32_e32 v82, 16, v82
	v_add_nc_u32_e32 v83, 16, v83
	v_cmp_lt_u32_e32 vcc_lo, 29, v81
	s_or_b32 s5, vcc_lo, s5
	s_waitcnt vmcnt(2) lgkmcnt(0)
	v_mul_f64 v[94:95], v[88:89], v[90:91]
	v_mul_f64 v[90:91], v[86:87], v[90:91]
	s_waitcnt vmcnt(0)
	v_fma_f64 v[86:87], v[86:87], v[92:93], -v[94:95]
	v_fma_f64 v[88:89], v[88:89], v[92:93], v[90:91]
	v_add_f64 v[3:4], v[3:4], v[86:87]
	v_add_f64 v[1:2], v[1:2], v[88:89]
	s_andn2_b32 exec_lo, exec_lo, s5
	s_cbranch_execnz .LBB100_137
; %bb.138:
	s_or_b32 exec_lo, exec_lo, s5
	v_mov_b32_e32 v81, 0
	ds_read_b128 v[81:84], v81 offset:496
	s_waitcnt lgkmcnt(0)
	v_mul_f64 v[86:87], v[1:2], v[83:84]
	v_mul_f64 v[83:84], v[3:4], v[83:84]
	v_fma_f64 v[3:4], v[3:4], v[81:82], -v[86:87]
	v_fma_f64 v[1:2], v[1:2], v[81:82], v[83:84]
	buffer_store_dword v4, off, s[0:3], 0 offset:516
	buffer_store_dword v3, off, s[0:3], 0 offset:512
	;; [unrolled: 1-line block ×4, first 2 shown]
.LBB100_139:
	s_or_b32 exec_lo, exec_lo, s4
	v_mov_b32_e32 v4, s16
	s_waitcnt_vscnt null, 0x0
	s_barrier
	buffer_gl0_inv
	s_mov_b32 s4, exec_lo
	s_clause 0x3
	buffer_load_dword v1, v4, s[0:3], 0 offen
	buffer_load_dword v2, v4, s[0:3], 0 offen offset:4
	buffer_load_dword v3, v4, s[0:3], 0 offen offset:8
	;; [unrolled: 1-line block ×3, first 2 shown]
	s_waitcnt vmcnt(0)
	ds_write_b128 v79, v[1:4]
	s_waitcnt lgkmcnt(0)
	s_barrier
	buffer_gl0_inv
	v_cmpx_gt_u32_e32 32, v0
	s_cbranch_execz .LBB100_143
; %bb.140:
	v_mov_b32_e32 v1, 0
	v_mov_b32_e32 v3, 0
	v_add_nc_u32_e32 v81, -1, v0
	v_add_nc_u32_e32 v82, 0x250, v85
	v_mov_b32_e32 v2, 0
	v_mov_b32_e32 v4, 0
	v_add_nc_u32_e32 v83, 16, v85
	s_mov_b32 s5, 0
	.p2align	6
.LBB100_141:                            ; =>This Inner Loop Header: Depth=1
	s_clause 0x3
	buffer_load_dword v90, v83, s[0:3], 0 offen offset:8
	buffer_load_dword v91, v83, s[0:3], 0 offen offset:12
	buffer_load_dword v92, v83, s[0:3], 0 offen
	buffer_load_dword v93, v83, s[0:3], 0 offen offset:4
	ds_read_b128 v[86:89], v82
	v_add_nc_u32_e32 v81, 1, v81
	v_add_nc_u32_e32 v82, 16, v82
	;; [unrolled: 1-line block ×3, first 2 shown]
	v_cmp_lt_u32_e32 vcc_lo, 30, v81
	s_or_b32 s5, vcc_lo, s5
	s_waitcnt vmcnt(2) lgkmcnt(0)
	v_mul_f64 v[94:95], v[88:89], v[90:91]
	v_mul_f64 v[90:91], v[86:87], v[90:91]
	s_waitcnt vmcnt(0)
	v_fma_f64 v[86:87], v[86:87], v[92:93], -v[94:95]
	v_fma_f64 v[88:89], v[88:89], v[92:93], v[90:91]
	v_add_f64 v[3:4], v[3:4], v[86:87]
	v_add_f64 v[1:2], v[1:2], v[88:89]
	s_andn2_b32 exec_lo, exec_lo, s5
	s_cbranch_execnz .LBB100_141
; %bb.142:
	s_or_b32 exec_lo, exec_lo, s5
	v_mov_b32_e32 v81, 0
	ds_read_b128 v[81:84], v81 offset:512
	s_waitcnt lgkmcnt(0)
	v_mul_f64 v[86:87], v[1:2], v[83:84]
	v_mul_f64 v[83:84], v[3:4], v[83:84]
	v_fma_f64 v[3:4], v[3:4], v[81:82], -v[86:87]
	v_fma_f64 v[1:2], v[1:2], v[81:82], v[83:84]
	buffer_store_dword v4, off, s[0:3], 0 offset:532
	buffer_store_dword v3, off, s[0:3], 0 offset:528
	;; [unrolled: 1-line block ×4, first 2 shown]
.LBB100_143:
	s_or_b32 exec_lo, exec_lo, s4
	v_mov_b32_e32 v4, s15
	s_waitcnt_vscnt null, 0x0
	s_barrier
	buffer_gl0_inv
	s_mov_b32 s4, exec_lo
	s_clause 0x3
	buffer_load_dword v1, v4, s[0:3], 0 offen
	buffer_load_dword v2, v4, s[0:3], 0 offen offset:4
	buffer_load_dword v3, v4, s[0:3], 0 offen offset:8
	;; [unrolled: 1-line block ×3, first 2 shown]
	s_waitcnt vmcnt(0)
	ds_write_b128 v79, v[1:4]
	s_waitcnt lgkmcnt(0)
	s_barrier
	buffer_gl0_inv
	v_cmpx_gt_u32_e32 33, v0
	s_cbranch_execz .LBB100_147
; %bb.144:
	v_mov_b32_e32 v1, 0
	v_mov_b32_e32 v3, 0
	v_add_nc_u32_e32 v81, -1, v0
	v_add_nc_u32_e32 v82, 0x250, v85
	v_mov_b32_e32 v2, 0
	v_mov_b32_e32 v4, 0
	v_add_nc_u32_e32 v83, 16, v85
	s_mov_b32 s5, 0
	.p2align	6
.LBB100_145:                            ; =>This Inner Loop Header: Depth=1
	s_clause 0x3
	buffer_load_dword v90, v83, s[0:3], 0 offen offset:8
	buffer_load_dword v91, v83, s[0:3], 0 offen offset:12
	buffer_load_dword v92, v83, s[0:3], 0 offen
	buffer_load_dword v93, v83, s[0:3], 0 offen offset:4
	ds_read_b128 v[86:89], v82
	v_add_nc_u32_e32 v81, 1, v81
	v_add_nc_u32_e32 v82, 16, v82
	;; [unrolled: 1-line block ×3, first 2 shown]
	v_cmp_lt_u32_e32 vcc_lo, 31, v81
	s_or_b32 s5, vcc_lo, s5
	s_waitcnt vmcnt(2) lgkmcnt(0)
	v_mul_f64 v[94:95], v[88:89], v[90:91]
	v_mul_f64 v[90:91], v[86:87], v[90:91]
	s_waitcnt vmcnt(0)
	v_fma_f64 v[86:87], v[86:87], v[92:93], -v[94:95]
	v_fma_f64 v[88:89], v[88:89], v[92:93], v[90:91]
	v_add_f64 v[3:4], v[3:4], v[86:87]
	v_add_f64 v[1:2], v[1:2], v[88:89]
	s_andn2_b32 exec_lo, exec_lo, s5
	s_cbranch_execnz .LBB100_145
; %bb.146:
	s_or_b32 exec_lo, exec_lo, s5
	v_mov_b32_e32 v81, 0
	ds_read_b128 v[81:84], v81 offset:528
	s_waitcnt lgkmcnt(0)
	v_mul_f64 v[86:87], v[1:2], v[83:84]
	v_mul_f64 v[83:84], v[3:4], v[83:84]
	v_fma_f64 v[3:4], v[3:4], v[81:82], -v[86:87]
	v_fma_f64 v[1:2], v[1:2], v[81:82], v[83:84]
	buffer_store_dword v4, off, s[0:3], 0 offset:548
	buffer_store_dword v3, off, s[0:3], 0 offset:544
	;; [unrolled: 1-line block ×4, first 2 shown]
.LBB100_147:
	s_or_b32 exec_lo, exec_lo, s4
	v_mov_b32_e32 v4, s14
	s_waitcnt_vscnt null, 0x0
	s_barrier
	buffer_gl0_inv
	s_mov_b32 s4, exec_lo
	s_clause 0x3
	buffer_load_dword v1, v4, s[0:3], 0 offen
	buffer_load_dword v2, v4, s[0:3], 0 offen offset:4
	buffer_load_dword v3, v4, s[0:3], 0 offen offset:8
	;; [unrolled: 1-line block ×3, first 2 shown]
	s_waitcnt vmcnt(0)
	ds_write_b128 v79, v[1:4]
	s_waitcnt lgkmcnt(0)
	s_barrier
	buffer_gl0_inv
	v_cmpx_gt_u32_e32 34, v0
	s_cbranch_execz .LBB100_151
; %bb.148:
	v_mov_b32_e32 v1, 0
	v_mov_b32_e32 v3, 0
	v_add_nc_u32_e32 v81, -1, v0
	v_add_nc_u32_e32 v82, 0x250, v85
	v_mov_b32_e32 v2, 0
	v_mov_b32_e32 v4, 0
	v_add_nc_u32_e32 v83, 16, v85
	s_mov_b32 s5, 0
	.p2align	6
.LBB100_149:                            ; =>This Inner Loop Header: Depth=1
	s_clause 0x3
	buffer_load_dword v90, v83, s[0:3], 0 offen offset:8
	buffer_load_dword v91, v83, s[0:3], 0 offen offset:12
	buffer_load_dword v92, v83, s[0:3], 0 offen
	buffer_load_dword v93, v83, s[0:3], 0 offen offset:4
	ds_read_b128 v[86:89], v82
	v_add_nc_u32_e32 v81, 1, v81
	v_add_nc_u32_e32 v82, 16, v82
	;; [unrolled: 1-line block ×3, first 2 shown]
	v_cmp_lt_u32_e32 vcc_lo, 32, v81
	s_or_b32 s5, vcc_lo, s5
	s_waitcnt vmcnt(2) lgkmcnt(0)
	v_mul_f64 v[94:95], v[88:89], v[90:91]
	v_mul_f64 v[90:91], v[86:87], v[90:91]
	s_waitcnt vmcnt(0)
	v_fma_f64 v[86:87], v[86:87], v[92:93], -v[94:95]
	v_fma_f64 v[88:89], v[88:89], v[92:93], v[90:91]
	v_add_f64 v[3:4], v[3:4], v[86:87]
	v_add_f64 v[1:2], v[1:2], v[88:89]
	s_andn2_b32 exec_lo, exec_lo, s5
	s_cbranch_execnz .LBB100_149
; %bb.150:
	s_or_b32 exec_lo, exec_lo, s5
	v_mov_b32_e32 v81, 0
	ds_read_b128 v[81:84], v81 offset:544
	s_waitcnt lgkmcnt(0)
	v_mul_f64 v[86:87], v[1:2], v[83:84]
	v_mul_f64 v[83:84], v[3:4], v[83:84]
	v_fma_f64 v[3:4], v[3:4], v[81:82], -v[86:87]
	v_fma_f64 v[1:2], v[1:2], v[81:82], v[83:84]
	buffer_store_dword v4, off, s[0:3], 0 offset:564
	buffer_store_dword v3, off, s[0:3], 0 offset:560
	;; [unrolled: 1-line block ×4, first 2 shown]
.LBB100_151:
	s_or_b32 exec_lo, exec_lo, s4
	v_mov_b32_e32 v4, s9
	s_waitcnt_vscnt null, 0x0
	s_barrier
	buffer_gl0_inv
	s_mov_b32 s4, exec_lo
	s_clause 0x3
	buffer_load_dword v1, v4, s[0:3], 0 offen
	buffer_load_dword v2, v4, s[0:3], 0 offen offset:4
	buffer_load_dword v3, v4, s[0:3], 0 offen offset:8
	;; [unrolled: 1-line block ×3, first 2 shown]
	s_waitcnt vmcnt(0)
	ds_write_b128 v79, v[1:4]
	s_waitcnt lgkmcnt(0)
	s_barrier
	buffer_gl0_inv
	v_cmpx_gt_u32_e32 35, v0
	s_cbranch_execz .LBB100_155
; %bb.152:
	v_mov_b32_e32 v1, 0
	v_mov_b32_e32 v3, 0
	v_add_nc_u32_e32 v81, -1, v0
	v_add_nc_u32_e32 v82, 0x250, v85
	v_mov_b32_e32 v2, 0
	v_mov_b32_e32 v4, 0
	v_add_nc_u32_e32 v83, 16, v85
	s_mov_b32 s5, 0
	.p2align	6
.LBB100_153:                            ; =>This Inner Loop Header: Depth=1
	s_clause 0x3
	buffer_load_dword v90, v83, s[0:3], 0 offen offset:8
	buffer_load_dword v91, v83, s[0:3], 0 offen offset:12
	buffer_load_dword v92, v83, s[0:3], 0 offen
	buffer_load_dword v93, v83, s[0:3], 0 offen offset:4
	ds_read_b128 v[86:89], v82
	v_add_nc_u32_e32 v81, 1, v81
	v_add_nc_u32_e32 v82, 16, v82
	;; [unrolled: 1-line block ×3, first 2 shown]
	v_cmp_lt_u32_e32 vcc_lo, 33, v81
	s_or_b32 s5, vcc_lo, s5
	s_waitcnt vmcnt(2) lgkmcnt(0)
	v_mul_f64 v[94:95], v[88:89], v[90:91]
	v_mul_f64 v[90:91], v[86:87], v[90:91]
	s_waitcnt vmcnt(0)
	v_fma_f64 v[86:87], v[86:87], v[92:93], -v[94:95]
	v_fma_f64 v[88:89], v[88:89], v[92:93], v[90:91]
	v_add_f64 v[3:4], v[3:4], v[86:87]
	v_add_f64 v[1:2], v[1:2], v[88:89]
	s_andn2_b32 exec_lo, exec_lo, s5
	s_cbranch_execnz .LBB100_153
; %bb.154:
	s_or_b32 exec_lo, exec_lo, s5
	v_mov_b32_e32 v81, 0
	ds_read_b128 v[81:84], v81 offset:560
	s_waitcnt lgkmcnt(0)
	v_mul_f64 v[86:87], v[1:2], v[83:84]
	v_mul_f64 v[83:84], v[3:4], v[83:84]
	v_fma_f64 v[3:4], v[3:4], v[81:82], -v[86:87]
	v_fma_f64 v[1:2], v[1:2], v[81:82], v[83:84]
	buffer_store_dword v4, off, s[0:3], 0 offset:580
	buffer_store_dword v3, off, s[0:3], 0 offset:576
	;; [unrolled: 1-line block ×4, first 2 shown]
.LBB100_155:
	s_or_b32 exec_lo, exec_lo, s4
	v_mov_b32_e32 v4, s8
	s_waitcnt_vscnt null, 0x0
	s_barrier
	buffer_gl0_inv
	s_mov_b32 s4, exec_lo
	s_clause 0x3
	buffer_load_dword v1, v4, s[0:3], 0 offen
	buffer_load_dword v2, v4, s[0:3], 0 offen offset:4
	buffer_load_dword v3, v4, s[0:3], 0 offen offset:8
	;; [unrolled: 1-line block ×3, first 2 shown]
	s_waitcnt vmcnt(0)
	ds_write_b128 v79, v[1:4]
	s_waitcnt lgkmcnt(0)
	s_barrier
	buffer_gl0_inv
	v_cmpx_ne_u32_e32 36, v0
	s_cbranch_execz .LBB100_159
; %bb.156:
	v_mov_b32_e32 v1, 0
	v_mov_b32_e32 v3, 0
	;; [unrolled: 1-line block ×4, first 2 shown]
	v_add_nc_u32_e32 v81, 16, v85
	s_mov_b32 s5, 0
	.p2align	6
.LBB100_157:                            ; =>This Inner Loop Header: Depth=1
	s_clause 0x3
	buffer_load_dword v86, v81, s[0:3], 0 offen offset:8
	buffer_load_dword v87, v81, s[0:3], 0 offen offset:12
	buffer_load_dword v88, v81, s[0:3], 0 offen
	buffer_load_dword v89, v81, s[0:3], 0 offen offset:4
	ds_read_b128 v[82:85], v79
	v_add_nc_u32_e32 v80, 1, v80
	v_add_nc_u32_e32 v79, 16, v79
	;; [unrolled: 1-line block ×3, first 2 shown]
	v_cmp_lt_u32_e32 vcc_lo, 34, v80
	s_or_b32 s5, vcc_lo, s5
	s_waitcnt vmcnt(2) lgkmcnt(0)
	v_mul_f64 v[90:91], v[84:85], v[86:87]
	v_mul_f64 v[86:87], v[82:83], v[86:87]
	s_waitcnt vmcnt(0)
	v_fma_f64 v[82:83], v[82:83], v[88:89], -v[90:91]
	v_fma_f64 v[84:85], v[84:85], v[88:89], v[86:87]
	v_add_f64 v[3:4], v[3:4], v[82:83]
	v_add_f64 v[1:2], v[1:2], v[84:85]
	s_andn2_b32 exec_lo, exec_lo, s5
	s_cbranch_execnz .LBB100_157
; %bb.158:
	s_or_b32 exec_lo, exec_lo, s5
	v_mov_b32_e32 v79, 0
	ds_read_b128 v[79:82], v79 offset:576
	s_waitcnt lgkmcnt(0)
	v_mul_f64 v[83:84], v[1:2], v[81:82]
	v_mul_f64 v[81:82], v[3:4], v[81:82]
	v_fma_f64 v[3:4], v[3:4], v[79:80], -v[83:84]
	v_fma_f64 v[1:2], v[1:2], v[79:80], v[81:82]
	buffer_store_dword v4, off, s[0:3], 0 offset:596
	buffer_store_dword v3, off, s[0:3], 0 offset:592
	;; [unrolled: 1-line block ×4, first 2 shown]
.LBB100_159:
	s_or_b32 exec_lo, exec_lo, s4
	s_mov_b32 s5, -1
	s_waitcnt_vscnt null, 0x0
	s_barrier
	buffer_gl0_inv
.LBB100_160:
	s_and_b32 vcc_lo, exec_lo, s5
	s_cbranch_vccz .LBB100_162
; %bb.161:
	s_lshl_b64 s[4:5], s[6:7], 2
	v_mov_b32_e32 v1, 0
	s_add_u32 s4, s10, s4
	s_addc_u32 s5, s11, s5
	global_load_dword v1, v1, s[4:5]
	s_waitcnt vmcnt(0)
	v_cmp_ne_u32_e32 vcc_lo, 0, v1
	s_cbranch_vccz .LBB100_163
.LBB100_162:
	s_endpgm
.LBB100_163:
	v_lshl_add_u32 v133, v0, 4, 0x250
	s_mov_b32 s4, exec_lo
	v_cmpx_eq_u32_e32 36, v0
	s_cbranch_execz .LBB100_165
; %bb.164:
	v_mov_b32_e32 v4, s9
	v_mov_b32_e32 v79, 0
	s_clause 0x3
	buffer_load_dword v1, v4, s[0:3], 0 offen
	buffer_load_dword v2, v4, s[0:3], 0 offen offset:4
	buffer_load_dword v3, v4, s[0:3], 0 offen offset:8
	;; [unrolled: 1-line block ×3, first 2 shown]
	buffer_store_dword v79, off, s[0:3], 0 offset:576
	buffer_store_dword v79, off, s[0:3], 0 offset:580
	;; [unrolled: 1-line block ×4, first 2 shown]
	s_waitcnt vmcnt(0)
	ds_write_b128 v133, v[1:4]
.LBB100_165:
	s_or_b32 exec_lo, exec_lo, s4
	s_waitcnt lgkmcnt(0)
	s_waitcnt_vscnt null, 0x0
	s_barrier
	buffer_gl0_inv
	s_clause 0x7
	buffer_load_dword v2, off, s[0:3], 0 offset:600
	buffer_load_dword v3, off, s[0:3], 0 offset:604
	;; [unrolled: 1-line block ×8, first 2 shown]
	v_mov_b32_e32 v1, 0
	s_mov_b32 s4, exec_lo
	ds_read_b128 v[79:82], v1 offset:1168
	s_waitcnt vmcnt(6) lgkmcnt(0)
	v_mul_f64 v[89:90], v[81:82], v[2:3]
	v_mul_f64 v[2:3], v[79:80], v[2:3]
	s_waitcnt vmcnt(4)
	v_fma_f64 v[79:80], v[79:80], v[83:84], -v[89:90]
	v_fma_f64 v[2:3], v[81:82], v[83:84], v[2:3]
	v_add_f64 v[79:80], v[79:80], 0
	v_add_f64 v[2:3], v[2:3], 0
	s_waitcnt vmcnt(2)
	v_add_f64 v[79:80], v[85:86], -v[79:80]
	s_waitcnt vmcnt(0)
	v_add_f64 v[2:3], v[87:88], -v[2:3]
	buffer_store_dword v79, off, s[0:3], 0 offset:576
	buffer_store_dword v80, off, s[0:3], 0 offset:580
	;; [unrolled: 1-line block ×4, first 2 shown]
	v_cmpx_lt_u32_e32 34, v0
	s_cbranch_execz .LBB100_167
; %bb.166:
	v_mov_b32_e32 v2, s14
	s_clause 0x3
	buffer_load_dword v79, v2, s[0:3], 0 offen
	buffer_load_dword v80, v2, s[0:3], 0 offen offset:4
	buffer_load_dword v81, v2, s[0:3], 0 offen offset:8
	;; [unrolled: 1-line block ×3, first 2 shown]
	buffer_store_dword v1, off, s[0:3], 0 offset:560
	buffer_store_dword v1, off, s[0:3], 0 offset:564
	;; [unrolled: 1-line block ×4, first 2 shown]
	s_waitcnt vmcnt(0)
	ds_write_b128 v133, v[79:82]
.LBB100_167:
	s_or_b32 exec_lo, exec_lo, s4
	s_waitcnt lgkmcnt(0)
	s_waitcnt_vscnt null, 0x0
	s_barrier
	buffer_gl0_inv
	s_clause 0xb
	buffer_load_dword v83, off, s[0:3], 0 offset:584
	buffer_load_dword v84, off, s[0:3], 0 offset:588
	buffer_load_dword v85, off, s[0:3], 0 offset:600
	buffer_load_dword v86, off, s[0:3], 0 offset:604
	buffer_load_dword v87, off, s[0:3], 0 offset:576
	buffer_load_dword v88, off, s[0:3], 0 offset:580
	buffer_load_dword v89, off, s[0:3], 0 offset:592
	buffer_load_dword v90, off, s[0:3], 0 offset:596
	buffer_load_dword v91, off, s[0:3], 0 offset:560
	buffer_load_dword v92, off, s[0:3], 0 offset:564
	buffer_load_dword v93, off, s[0:3], 0 offset:568
	buffer_load_dword v94, off, s[0:3], 0 offset:572
	ds_read_b128 v[79:82], v1 offset:1152
	ds_read_b128 v[1:4], v1 offset:1168
	s_mov_b32 s4, exec_lo
	s_waitcnt vmcnt(10) lgkmcnt(1)
	v_mul_f64 v[95:96], v[81:82], v[83:84]
	v_mul_f64 v[83:84], v[79:80], v[83:84]
	s_waitcnt vmcnt(8) lgkmcnt(0)
	v_mul_f64 v[97:98], v[3:4], v[85:86]
	v_mul_f64 v[85:86], v[1:2], v[85:86]
	s_waitcnt vmcnt(6)
	v_fma_f64 v[79:80], v[79:80], v[87:88], -v[95:96]
	v_fma_f64 v[81:82], v[81:82], v[87:88], v[83:84]
	s_waitcnt vmcnt(4)
	v_fma_f64 v[1:2], v[1:2], v[89:90], -v[97:98]
	v_fma_f64 v[3:4], v[3:4], v[89:90], v[85:86]
	v_add_f64 v[79:80], v[79:80], 0
	v_add_f64 v[81:82], v[81:82], 0
	;; [unrolled: 1-line block ×4, first 2 shown]
	s_waitcnt vmcnt(2)
	v_add_f64 v[1:2], v[91:92], -v[1:2]
	s_waitcnt vmcnt(0)
	v_add_f64 v[3:4], v[93:94], -v[3:4]
	buffer_store_dword v1, off, s[0:3], 0 offset:560
	buffer_store_dword v2, off, s[0:3], 0 offset:564
	;; [unrolled: 1-line block ×4, first 2 shown]
	v_cmpx_lt_u32_e32 33, v0
	s_cbranch_execz .LBB100_169
; %bb.168:
	v_mov_b32_e32 v4, s15
	v_mov_b32_e32 v79, 0
	s_clause 0x3
	buffer_load_dword v1, v4, s[0:3], 0 offen
	buffer_load_dword v2, v4, s[0:3], 0 offen offset:4
	buffer_load_dword v3, v4, s[0:3], 0 offen offset:8
	;; [unrolled: 1-line block ×3, first 2 shown]
	buffer_store_dword v79, off, s[0:3], 0 offset:544
	buffer_store_dword v79, off, s[0:3], 0 offset:548
	;; [unrolled: 1-line block ×4, first 2 shown]
	s_waitcnt vmcnt(0)
	ds_write_b128 v133, v[1:4]
.LBB100_169:
	s_or_b32 exec_lo, exec_lo, s4
	s_waitcnt lgkmcnt(0)
	s_waitcnt_vscnt null, 0x0
	s_barrier
	buffer_gl0_inv
	s_clause 0xf
	buffer_load_dword v2, off, s[0:3], 0 offset:568
	buffer_load_dword v3, off, s[0:3], 0 offset:572
	;; [unrolled: 1-line block ×16, first 2 shown]
	v_mov_b32_e32 v1, 0
	ds_read_b128 v[79:82], v1 offset:1136
	ds_read_b128 v[83:86], v1 offset:1152
	;; [unrolled: 1-line block ×3, first 2 shown]
	s_mov_b32 s4, exec_lo
	s_waitcnt vmcnt(14) lgkmcnt(2)
	v_mul_f64 v[105:106], v[81:82], v[2:3]
	v_mul_f64 v[2:3], v[79:80], v[2:3]
	s_waitcnt vmcnt(12) lgkmcnt(1)
	v_mul_f64 v[107:108], v[85:86], v[91:92]
	v_mul_f64 v[91:92], v[83:84], v[91:92]
	s_waitcnt vmcnt(10)
	v_fma_f64 v[79:80], v[79:80], v[93:94], -v[105:106]
	v_fma_f64 v[2:3], v[81:82], v[93:94], v[2:3]
	s_waitcnt vmcnt(8) lgkmcnt(0)
	v_mul_f64 v[93:94], v[89:90], v[95:96]
	s_waitcnt vmcnt(6)
	v_fma_f64 v[83:84], v[83:84], v[97:98], -v[107:108]
	v_mul_f64 v[81:82], v[87:88], v[95:96]
	v_fma_f64 v[85:86], v[85:86], v[97:98], v[91:92]
	v_add_f64 v[79:80], v[79:80], 0
	v_add_f64 v[2:3], v[2:3], 0
	s_waitcnt vmcnt(4)
	v_fma_f64 v[87:88], v[87:88], v[99:100], -v[93:94]
	v_fma_f64 v[81:82], v[89:90], v[99:100], v[81:82]
	v_add_f64 v[79:80], v[79:80], v[83:84]
	v_add_f64 v[2:3], v[2:3], v[85:86]
	;; [unrolled: 1-line block ×4, first 2 shown]
	s_waitcnt vmcnt(2)
	v_add_f64 v[79:80], v[101:102], -v[79:80]
	s_waitcnt vmcnt(0)
	v_add_f64 v[2:3], v[103:104], -v[2:3]
	buffer_store_dword v79, off, s[0:3], 0 offset:544
	buffer_store_dword v80, off, s[0:3], 0 offset:548
	;; [unrolled: 1-line block ×4, first 2 shown]
	v_cmpx_lt_u32_e32 32, v0
	s_cbranch_execz .LBB100_171
; %bb.170:
	v_mov_b32_e32 v2, s16
	s_clause 0x3
	buffer_load_dword v79, v2, s[0:3], 0 offen
	buffer_load_dword v80, v2, s[0:3], 0 offen offset:4
	buffer_load_dword v81, v2, s[0:3], 0 offen offset:8
	;; [unrolled: 1-line block ×3, first 2 shown]
	buffer_store_dword v1, off, s[0:3], 0 offset:528
	buffer_store_dword v1, off, s[0:3], 0 offset:532
	;; [unrolled: 1-line block ×4, first 2 shown]
	s_waitcnt vmcnt(0)
	ds_write_b128 v133, v[79:82]
.LBB100_171:
	s_or_b32 exec_lo, exec_lo, s4
	s_waitcnt lgkmcnt(0)
	s_waitcnt_vscnt null, 0x0
	s_barrier
	buffer_gl0_inv
	s_clause 0x13
	buffer_load_dword v2, off, s[0:3], 0 offset:552
	buffer_load_dword v3, off, s[0:3], 0 offset:556
	;; [unrolled: 1-line block ×20, first 2 shown]
	ds_read_b128 v[79:82], v1 offset:1120
	ds_read_b128 v[83:86], v1 offset:1136
	;; [unrolled: 1-line block ×3, first 2 shown]
	s_mov_b32 s4, exec_lo
	s_waitcnt vmcnt(18) lgkmcnt(2)
	v_mul_f64 v[109:110], v[81:82], v[2:3]
	v_mul_f64 v[2:3], v[79:80], v[2:3]
	s_waitcnt vmcnt(16) lgkmcnt(1)
	v_mul_f64 v[111:112], v[85:86], v[91:92]
	v_mul_f64 v[91:92], v[83:84], v[91:92]
	s_waitcnt vmcnt(14)
	v_fma_f64 v[79:80], v[79:80], v[93:94], -v[109:110]
	v_fma_f64 v[81:82], v[81:82], v[93:94], v[2:3]
	s_waitcnt vmcnt(12) lgkmcnt(0)
	v_mul_f64 v[93:94], v[87:88], v[95:96]
	v_mul_f64 v[95:96], v[89:90], v[95:96]
	s_waitcnt vmcnt(10)
	v_fma_f64 v[83:84], v[83:84], v[97:98], -v[111:112]
	ds_read_b128 v[1:4], v1 offset:1168
	v_fma_f64 v[85:86], v[85:86], v[97:98], v[91:92]
	v_add_f64 v[79:80], v[79:80], 0
	v_add_f64 v[81:82], v[81:82], 0
	s_waitcnt vmcnt(8) lgkmcnt(0)
	v_mul_f64 v[97:98], v[3:4], v[99:100]
	s_waitcnt vmcnt(6)
	v_fma_f64 v[87:88], v[87:88], v[101:102], -v[95:96]
	v_mul_f64 v[91:92], v[1:2], v[99:100]
	v_add_f64 v[79:80], v[79:80], v[83:84]
	v_fma_f64 v[83:84], v[89:90], v[101:102], v[93:94]
	v_add_f64 v[81:82], v[81:82], v[85:86]
	s_waitcnt vmcnt(4)
	v_fma_f64 v[1:2], v[1:2], v[103:104], -v[97:98]
	v_fma_f64 v[3:4], v[3:4], v[103:104], v[91:92]
	v_add_f64 v[79:80], v[79:80], v[87:88]
	v_add_f64 v[81:82], v[81:82], v[83:84]
	v_add_f64 v[1:2], v[79:80], v[1:2]
	v_add_f64 v[3:4], v[81:82], v[3:4]
	s_waitcnt vmcnt(2)
	v_add_f64 v[1:2], v[105:106], -v[1:2]
	s_waitcnt vmcnt(0)
	v_add_f64 v[3:4], v[107:108], -v[3:4]
	buffer_store_dword v1, off, s[0:3], 0 offset:528
	buffer_store_dword v2, off, s[0:3], 0 offset:532
	;; [unrolled: 1-line block ×4, first 2 shown]
	v_cmpx_lt_u32_e32 31, v0
	s_cbranch_execz .LBB100_173
; %bb.172:
	v_mov_b32_e32 v4, s17
	v_mov_b32_e32 v79, 0
	s_clause 0x3
	buffer_load_dword v1, v4, s[0:3], 0 offen
	buffer_load_dword v2, v4, s[0:3], 0 offen offset:4
	buffer_load_dword v3, v4, s[0:3], 0 offen offset:8
	;; [unrolled: 1-line block ×3, first 2 shown]
	buffer_store_dword v79, off, s[0:3], 0 offset:512
	buffer_store_dword v79, off, s[0:3], 0 offset:516
	;; [unrolled: 1-line block ×4, first 2 shown]
	s_waitcnt vmcnt(0)
	ds_write_b128 v133, v[1:4]
.LBB100_173:
	s_or_b32 exec_lo, exec_lo, s4
	s_waitcnt lgkmcnt(0)
	s_waitcnt_vscnt null, 0x0
	s_barrier
	buffer_gl0_inv
	s_clause 0x17
	buffer_load_dword v2, off, s[0:3], 0 offset:536
	buffer_load_dword v3, off, s[0:3], 0 offset:540
	;; [unrolled: 1-line block ×24, first 2 shown]
	v_mov_b32_e32 v1, 0
	ds_read_b128 v[79:82], v1 offset:1104
	ds_read_b128 v[83:86], v1 offset:1120
	;; [unrolled: 1-line block ×3, first 2 shown]
	s_mov_b32 s4, exec_lo
	s_waitcnt vmcnt(22) lgkmcnt(2)
	v_mul_f64 v[113:114], v[81:82], v[2:3]
	v_mul_f64 v[2:3], v[79:80], v[2:3]
	s_waitcnt vmcnt(20) lgkmcnt(1)
	v_mul_f64 v[115:116], v[85:86], v[91:92]
	v_mul_f64 v[91:92], v[83:84], v[91:92]
	s_waitcnt vmcnt(18)
	v_fma_f64 v[113:114], v[79:80], v[93:94], -v[113:114]
	v_fma_f64 v[2:3], v[81:82], v[93:94], v[2:3]
	ds_read_b128 v[79:82], v1 offset:1152
	s_waitcnt vmcnt(16) lgkmcnt(1)
	v_mul_f64 v[93:94], v[87:88], v[95:96]
	v_mul_f64 v[95:96], v[89:90], v[95:96]
	s_waitcnt vmcnt(14)
	v_fma_f64 v[115:116], v[83:84], v[97:98], -v[115:116]
	v_fma_f64 v[91:92], v[85:86], v[97:98], v[91:92]
	ds_read_b128 v[83:86], v1 offset:1168
	s_waitcnt vmcnt(10) lgkmcnt(1)
	v_mul_f64 v[97:98], v[79:80], v[99:100]
	v_add_f64 v[113:114], v[113:114], 0
	v_add_f64 v[2:3], v[2:3], 0
	v_mul_f64 v[99:100], v[81:82], v[99:100]
	s_waitcnt vmcnt(8)
	v_fma_f64 v[87:88], v[87:88], v[105:106], -v[95:96]
	v_fma_f64 v[89:90], v[89:90], v[105:106], v[93:94]
	s_waitcnt vmcnt(7) lgkmcnt(0)
	v_mul_f64 v[93:94], v[85:86], v[101:102]
	s_waitcnt vmcnt(5)
	v_fma_f64 v[81:82], v[81:82], v[107:108], v[97:98]
	v_add_f64 v[95:96], v[113:114], v[115:116]
	v_add_f64 v[2:3], v[2:3], v[91:92]
	v_fma_f64 v[79:80], v[79:80], v[107:108], -v[99:100]
	v_mul_f64 v[91:92], v[83:84], v[101:102]
	s_waitcnt vmcnt(4)
	v_fma_f64 v[83:84], v[83:84], v[103:104], -v[93:94]
	v_add_f64 v[87:88], v[95:96], v[87:88]
	v_add_f64 v[2:3], v[2:3], v[89:90]
	v_fma_f64 v[85:86], v[85:86], v[103:104], v[91:92]
	v_add_f64 v[79:80], v[87:88], v[79:80]
	v_add_f64 v[2:3], v[2:3], v[81:82]
	v_add_f64 v[79:80], v[79:80], v[83:84]
	v_add_f64 v[2:3], v[2:3], v[85:86]
	s_waitcnt vmcnt(2)
	v_add_f64 v[79:80], v[109:110], -v[79:80]
	s_waitcnt vmcnt(0)
	v_add_f64 v[2:3], v[111:112], -v[2:3]
	buffer_store_dword v80, off, s[0:3], 0 offset:516
	buffer_store_dword v79, off, s[0:3], 0 offset:512
	;; [unrolled: 1-line block ×4, first 2 shown]
	v_cmpx_lt_u32_e32 30, v0
	s_cbranch_execz .LBB100_175
; %bb.174:
	v_mov_b32_e32 v2, s18
	s_clause 0x3
	buffer_load_dword v79, v2, s[0:3], 0 offen
	buffer_load_dword v80, v2, s[0:3], 0 offen offset:4
	buffer_load_dword v81, v2, s[0:3], 0 offen offset:8
	;; [unrolled: 1-line block ×3, first 2 shown]
	buffer_store_dword v1, off, s[0:3], 0 offset:496
	buffer_store_dword v1, off, s[0:3], 0 offset:500
	;; [unrolled: 1-line block ×4, first 2 shown]
	s_waitcnt vmcnt(0)
	ds_write_b128 v133, v[79:82]
.LBB100_175:
	s_or_b32 exec_lo, exec_lo, s4
	s_waitcnt lgkmcnt(0)
	s_waitcnt_vscnt null, 0x0
	s_barrier
	buffer_gl0_inv
	s_clause 0x1b
	buffer_load_dword v2, off, s[0:3], 0 offset:520
	buffer_load_dword v3, off, s[0:3], 0 offset:524
	;; [unrolled: 1-line block ×28, first 2 shown]
	ds_read_b128 v[79:82], v1 offset:1088
	ds_read_b128 v[83:86], v1 offset:1104
	;; [unrolled: 1-line block ×3, first 2 shown]
	s_mov_b32 s4, exec_lo
	s_waitcnt vmcnt(26) lgkmcnt(2)
	v_mul_f64 v[117:118], v[81:82], v[2:3]
	v_mul_f64 v[2:3], v[79:80], v[2:3]
	s_waitcnt vmcnt(24) lgkmcnt(1)
	v_mul_f64 v[119:120], v[85:86], v[91:92]
	v_mul_f64 v[91:92], v[83:84], v[91:92]
	s_waitcnt vmcnt(22)
	v_fma_f64 v[117:118], v[79:80], v[93:94], -v[117:118]
	v_fma_f64 v[2:3], v[81:82], v[93:94], v[2:3]
	ds_read_b128 v[79:82], v1 offset:1136
	s_waitcnt vmcnt(20) lgkmcnt(1)
	v_mul_f64 v[93:94], v[87:88], v[95:96]
	v_mul_f64 v[95:96], v[89:90], v[95:96]
	s_waitcnt vmcnt(18)
	v_fma_f64 v[119:120], v[83:84], v[97:98], -v[119:120]
	v_fma_f64 v[91:92], v[85:86], v[97:98], v[91:92]
	ds_read_b128 v[83:86], v1 offset:1152
	s_waitcnt vmcnt(14) lgkmcnt(1)
	v_mul_f64 v[97:98], v[79:80], v[99:100]
	v_add_f64 v[117:118], v[117:118], 0
	v_add_f64 v[2:3], v[2:3], 0
	v_mul_f64 v[99:100], v[81:82], v[99:100]
	s_waitcnt vmcnt(12)
	v_fma_f64 v[87:88], v[87:88], v[105:106], -v[95:96]
	v_fma_f64 v[89:90], v[89:90], v[105:106], v[93:94]
	s_waitcnt vmcnt(11) lgkmcnt(0)
	v_mul_f64 v[93:94], v[83:84], v[101:102]
	v_mul_f64 v[101:102], v[85:86], v[101:102]
	s_waitcnt vmcnt(9)
	v_fma_f64 v[81:82], v[81:82], v[107:108], v[97:98]
	v_add_f64 v[95:96], v[117:118], v[119:120]
	v_add_f64 v[91:92], v[2:3], v[91:92]
	v_fma_f64 v[79:80], v[79:80], v[107:108], -v[99:100]
	ds_read_b128 v[1:4], v1 offset:1168
	s_waitcnt vmcnt(6)
	v_fma_f64 v[85:86], v[85:86], v[103:104], v[93:94]
	v_fma_f64 v[83:84], v[83:84], v[103:104], -v[101:102]
	v_add_f64 v[87:88], v[95:96], v[87:88]
	v_add_f64 v[89:90], v[91:92], v[89:90]
	s_waitcnt lgkmcnt(0)
	v_mul_f64 v[95:96], v[3:4], v[109:110]
	v_mul_f64 v[91:92], v[1:2], v[109:110]
	v_add_f64 v[79:80], v[87:88], v[79:80]
	v_add_f64 v[81:82], v[89:90], v[81:82]
	s_waitcnt vmcnt(4)
	v_fma_f64 v[1:2], v[1:2], v[111:112], -v[95:96]
	v_fma_f64 v[3:4], v[3:4], v[111:112], v[91:92]
	v_add_f64 v[79:80], v[79:80], v[83:84]
	v_add_f64 v[81:82], v[81:82], v[85:86]
	;; [unrolled: 1-line block ×4, first 2 shown]
	s_waitcnt vmcnt(2)
	v_add_f64 v[1:2], v[113:114], -v[1:2]
	s_waitcnt vmcnt(0)
	v_add_f64 v[3:4], v[115:116], -v[3:4]
	buffer_store_dword v2, off, s[0:3], 0 offset:500
	buffer_store_dword v1, off, s[0:3], 0 offset:496
	;; [unrolled: 1-line block ×4, first 2 shown]
	v_cmpx_lt_u32_e32 29, v0
	s_cbranch_execz .LBB100_177
; %bb.176:
	v_mov_b32_e32 v4, s19
	v_mov_b32_e32 v79, 0
	s_clause 0x3
	buffer_load_dword v1, v4, s[0:3], 0 offen
	buffer_load_dword v2, v4, s[0:3], 0 offen offset:4
	buffer_load_dword v3, v4, s[0:3], 0 offen offset:8
	;; [unrolled: 1-line block ×3, first 2 shown]
	buffer_store_dword v79, off, s[0:3], 0 offset:480
	buffer_store_dword v79, off, s[0:3], 0 offset:484
	;; [unrolled: 1-line block ×4, first 2 shown]
	s_waitcnt vmcnt(0)
	ds_write_b128 v133, v[1:4]
.LBB100_177:
	s_or_b32 exec_lo, exec_lo, s4
	s_waitcnt lgkmcnt(0)
	s_waitcnt_vscnt null, 0x0
	s_barrier
	buffer_gl0_inv
	s_clause 0x1f
	buffer_load_dword v2, off, s[0:3], 0 offset:504
	buffer_load_dword v3, off, s[0:3], 0 offset:508
	;; [unrolled: 1-line block ×32, first 2 shown]
	v_mov_b32_e32 v1, 0
	ds_read_b128 v[79:82], v1 offset:1072
	ds_read_b128 v[83:86], v1 offset:1088
	;; [unrolled: 1-line block ×3, first 2 shown]
	s_mov_b32 s4, exec_lo
	s_waitcnt vmcnt(30) lgkmcnt(2)
	v_mul_f64 v[121:122], v[81:82], v[2:3]
	v_mul_f64 v[2:3], v[79:80], v[2:3]
	s_waitcnt vmcnt(28) lgkmcnt(1)
	v_mul_f64 v[123:124], v[85:86], v[91:92]
	v_mul_f64 v[91:92], v[83:84], v[91:92]
	s_waitcnt vmcnt(26)
	v_fma_f64 v[121:122], v[79:80], v[93:94], -v[121:122]
	v_fma_f64 v[2:3], v[81:82], v[93:94], v[2:3]
	ds_read_b128 v[79:82], v1 offset:1120
	s_waitcnt vmcnt(24) lgkmcnt(1)
	v_mul_f64 v[93:94], v[87:88], v[95:96]
	v_mul_f64 v[95:96], v[89:90], v[95:96]
	s_waitcnt vmcnt(22)
	v_fma_f64 v[123:124], v[83:84], v[97:98], -v[123:124]
	v_fma_f64 v[91:92], v[85:86], v[97:98], v[91:92]
	ds_read_b128 v[83:86], v1 offset:1136
	s_waitcnt vmcnt(18) lgkmcnt(1)
	v_mul_f64 v[97:98], v[79:80], v[99:100]
	v_add_f64 v[121:122], v[121:122], 0
	v_add_f64 v[2:3], v[2:3], 0
	v_mul_f64 v[99:100], v[81:82], v[99:100]
	s_waitcnt vmcnt(16)
	v_fma_f64 v[95:96], v[87:88], v[105:106], -v[95:96]
	v_fma_f64 v[93:94], v[89:90], v[105:106], v[93:94]
	ds_read_b128 v[87:90], v1 offset:1152
	s_waitcnt vmcnt(13)
	v_fma_f64 v[97:98], v[81:82], v[107:108], v[97:98]
	v_add_f64 v[121:122], v[121:122], v[123:124]
	v_add_f64 v[2:3], v[2:3], v[91:92]
	s_waitcnt lgkmcnt(1)
	v_mul_f64 v[91:92], v[83:84], v[101:102]
	v_mul_f64 v[101:102], v[85:86], v[101:102]
	v_fma_f64 v[99:100], v[79:80], v[107:108], -v[99:100]
	s_waitcnt vmcnt(9) lgkmcnt(0)
	v_mul_f64 v[105:106], v[89:90], v[109:110]
	ds_read_b128 v[79:82], v1 offset:1168
	v_add_f64 v[95:96], v[121:122], v[95:96]
	v_add_f64 v[2:3], v[2:3], v[93:94]
	v_mul_f64 v[93:94], v[87:88], v[109:110]
	s_waitcnt vmcnt(8)
	v_fma_f64 v[83:84], v[83:84], v[103:104], -v[101:102]
	v_fma_f64 v[85:86], v[85:86], v[103:104], v[91:92]
	s_waitcnt vmcnt(5)
	v_fma_f64 v[87:88], v[87:88], v[115:116], -v[105:106]
	s_waitcnt lgkmcnt(0)
	v_mul_f64 v[91:92], v[79:80], v[111:112]
	v_add_f64 v[95:96], v[95:96], v[99:100]
	v_add_f64 v[2:3], v[2:3], v[97:98]
	v_mul_f64 v[97:98], v[81:82], v[111:112]
	v_fma_f64 v[89:90], v[89:90], v[115:116], v[93:94]
	s_waitcnt vmcnt(4)
	v_fma_f64 v[81:82], v[81:82], v[113:114], v[91:92]
	v_add_f64 v[83:84], v[95:96], v[83:84]
	v_add_f64 v[2:3], v[2:3], v[85:86]
	v_fma_f64 v[79:80], v[79:80], v[113:114], -v[97:98]
	v_add_f64 v[83:84], v[83:84], v[87:88]
	v_add_f64 v[2:3], v[2:3], v[89:90]
	;; [unrolled: 1-line block ×4, first 2 shown]
	s_waitcnt vmcnt(2)
	v_add_f64 v[79:80], v[117:118], -v[79:80]
	s_waitcnt vmcnt(0)
	v_add_f64 v[2:3], v[119:120], -v[2:3]
	buffer_store_dword v80, off, s[0:3], 0 offset:484
	buffer_store_dword v79, off, s[0:3], 0 offset:480
	;; [unrolled: 1-line block ×4, first 2 shown]
	v_cmpx_lt_u32_e32 28, v0
	s_cbranch_execz .LBB100_179
; %bb.178:
	v_mov_b32_e32 v2, s20
	s_clause 0x3
	buffer_load_dword v79, v2, s[0:3], 0 offen
	buffer_load_dword v80, v2, s[0:3], 0 offen offset:4
	buffer_load_dword v81, v2, s[0:3], 0 offen offset:8
	;; [unrolled: 1-line block ×3, first 2 shown]
	buffer_store_dword v1, off, s[0:3], 0 offset:464
	buffer_store_dword v1, off, s[0:3], 0 offset:468
	;; [unrolled: 1-line block ×4, first 2 shown]
	s_waitcnt vmcnt(0)
	ds_write_b128 v133, v[79:82]
.LBB100_179:
	s_or_b32 exec_lo, exec_lo, s4
	s_waitcnt lgkmcnt(0)
	s_waitcnt_vscnt null, 0x0
	s_barrier
	buffer_gl0_inv
	s_clause 0x23
	buffer_load_dword v2, off, s[0:3], 0 offset:488
	buffer_load_dword v3, off, s[0:3], 0 offset:492
	;; [unrolled: 1-line block ×36, first 2 shown]
	ds_read_b128 v[79:82], v1 offset:1056
	ds_read_b128 v[83:86], v1 offset:1072
	;; [unrolled: 1-line block ×3, first 2 shown]
	s_mov_b32 s4, exec_lo
	s_waitcnt vmcnt(34) lgkmcnt(2)
	v_mul_f64 v[125:126], v[81:82], v[2:3]
	v_mul_f64 v[2:3], v[79:80], v[2:3]
	s_waitcnt vmcnt(32) lgkmcnt(1)
	v_mul_f64 v[127:128], v[85:86], v[91:92]
	v_mul_f64 v[91:92], v[83:84], v[91:92]
	s_waitcnt vmcnt(30)
	v_fma_f64 v[125:126], v[79:80], v[93:94], -v[125:126]
	v_fma_f64 v[2:3], v[81:82], v[93:94], v[2:3]
	ds_read_b128 v[79:82], v1 offset:1104
	s_waitcnt vmcnt(28) lgkmcnt(1)
	v_mul_f64 v[93:94], v[87:88], v[95:96]
	v_mul_f64 v[95:96], v[89:90], v[95:96]
	s_waitcnt vmcnt(26)
	v_fma_f64 v[127:128], v[83:84], v[97:98], -v[127:128]
	v_fma_f64 v[91:92], v[85:86], v[97:98], v[91:92]
	ds_read_b128 v[83:86], v1 offset:1120
	s_waitcnt vmcnt(22) lgkmcnt(1)
	v_mul_f64 v[97:98], v[79:80], v[99:100]
	v_add_f64 v[125:126], v[125:126], 0
	v_add_f64 v[2:3], v[2:3], 0
	v_mul_f64 v[99:100], v[81:82], v[99:100]
	s_waitcnt vmcnt(20)
	v_fma_f64 v[95:96], v[87:88], v[105:106], -v[95:96]
	v_fma_f64 v[93:94], v[89:90], v[105:106], v[93:94]
	ds_read_b128 v[87:90], v1 offset:1136
	s_waitcnt vmcnt(17)
	v_fma_f64 v[97:98], v[81:82], v[107:108], v[97:98]
	v_add_f64 v[125:126], v[125:126], v[127:128]
	v_add_f64 v[2:3], v[2:3], v[91:92]
	s_waitcnt lgkmcnt(1)
	v_mul_f64 v[91:92], v[83:84], v[101:102]
	v_mul_f64 v[101:102], v[85:86], v[101:102]
	v_fma_f64 v[99:100], v[79:80], v[107:108], -v[99:100]
	s_waitcnt vmcnt(13) lgkmcnt(0)
	v_mul_f64 v[105:106], v[89:90], v[109:110]
	ds_read_b128 v[79:82], v1 offset:1152
	v_add_f64 v[95:96], v[125:126], v[95:96]
	v_add_f64 v[2:3], v[2:3], v[93:94]
	v_mul_f64 v[93:94], v[87:88], v[109:110]
	s_waitcnt vmcnt(12)
	v_fma_f64 v[83:84], v[83:84], v[103:104], -v[101:102]
	v_fma_f64 v[85:86], v[85:86], v[103:104], v[91:92]
	s_waitcnt vmcnt(9)
	v_fma_f64 v[87:88], v[87:88], v[115:116], -v[105:106]
	v_add_f64 v[95:96], v[95:96], v[99:100]
	v_add_f64 v[91:92], v[2:3], v[97:98]
	s_waitcnt lgkmcnt(0)
	v_mul_f64 v[99:100], v[81:82], v[111:112]
	ds_read_b128 v[1:4], v1 offset:1168
	v_mul_f64 v[97:98], v[79:80], v[111:112]
	v_fma_f64 v[89:90], v[89:90], v[115:116], v[93:94]
	v_add_f64 v[83:84], v[95:96], v[83:84]
	v_add_f64 v[85:86], v[91:92], v[85:86]
	s_waitcnt vmcnt(7) lgkmcnt(0)
	v_mul_f64 v[93:94], v[3:4], v[117:118]
	s_waitcnt vmcnt(6)
	v_fma_f64 v[79:80], v[79:80], v[113:114], -v[99:100]
	v_mul_f64 v[91:92], v[1:2], v[117:118]
	v_fma_f64 v[81:82], v[81:82], v[113:114], v[97:98]
	v_add_f64 v[83:84], v[83:84], v[87:88]
	v_add_f64 v[85:86], v[85:86], v[89:90]
	s_waitcnt vmcnt(4)
	v_fma_f64 v[1:2], v[1:2], v[119:120], -v[93:94]
	v_fma_f64 v[3:4], v[3:4], v[119:120], v[91:92]
	v_add_f64 v[79:80], v[83:84], v[79:80]
	v_add_f64 v[81:82], v[85:86], v[81:82]
	;; [unrolled: 1-line block ×4, first 2 shown]
	s_waitcnt vmcnt(2)
	v_add_f64 v[1:2], v[121:122], -v[1:2]
	s_waitcnt vmcnt(0)
	v_add_f64 v[3:4], v[123:124], -v[3:4]
	buffer_store_dword v2, off, s[0:3], 0 offset:468
	buffer_store_dword v1, off, s[0:3], 0 offset:464
	;; [unrolled: 1-line block ×4, first 2 shown]
	v_cmpx_lt_u32_e32 27, v0
	s_cbranch_execz .LBB100_181
; %bb.180:
	v_mov_b32_e32 v4, s21
	v_mov_b32_e32 v79, 0
	s_clause 0x3
	buffer_load_dword v1, v4, s[0:3], 0 offen
	buffer_load_dword v2, v4, s[0:3], 0 offen offset:4
	buffer_load_dword v3, v4, s[0:3], 0 offen offset:8
	;; [unrolled: 1-line block ×3, first 2 shown]
	buffer_store_dword v79, off, s[0:3], 0 offset:448
	buffer_store_dword v79, off, s[0:3], 0 offset:452
	;; [unrolled: 1-line block ×4, first 2 shown]
	s_waitcnt vmcnt(0)
	ds_write_b128 v133, v[1:4]
.LBB100_181:
	s_or_b32 exec_lo, exec_lo, s4
	s_waitcnt lgkmcnt(0)
	s_waitcnt_vscnt null, 0x0
	s_barrier
	buffer_gl0_inv
	s_clause 0x27
	buffer_load_dword v2, off, s[0:3], 0 offset:472
	buffer_load_dword v3, off, s[0:3], 0 offset:476
	;; [unrolled: 1-line block ×40, first 2 shown]
	v_mov_b32_e32 v1, 0
	ds_read_b128 v[79:82], v1 offset:1040
	ds_read_b128 v[83:86], v1 offset:1056
	;; [unrolled: 1-line block ×3, first 2 shown]
	s_mov_b32 s4, exec_lo
	s_waitcnt vmcnt(38) lgkmcnt(2)
	v_mul_f64 v[129:130], v[81:82], v[2:3]
	v_mul_f64 v[2:3], v[79:80], v[2:3]
	s_waitcnt vmcnt(36) lgkmcnt(1)
	v_mul_f64 v[131:132], v[85:86], v[91:92]
	v_mul_f64 v[91:92], v[83:84], v[91:92]
	s_waitcnt vmcnt(34)
	v_fma_f64 v[129:130], v[79:80], v[93:94], -v[129:130]
	v_fma_f64 v[2:3], v[81:82], v[93:94], v[2:3]
	ds_read_b128 v[79:82], v1 offset:1088
	s_waitcnt vmcnt(32) lgkmcnt(1)
	v_mul_f64 v[93:94], v[87:88], v[95:96]
	v_mul_f64 v[95:96], v[89:90], v[95:96]
	s_waitcnt vmcnt(30)
	v_fma_f64 v[131:132], v[83:84], v[97:98], -v[131:132]
	v_fma_f64 v[91:92], v[85:86], v[97:98], v[91:92]
	ds_read_b128 v[83:86], v1 offset:1104
	s_waitcnt vmcnt(26) lgkmcnt(1)
	v_mul_f64 v[97:98], v[79:80], v[99:100]
	v_add_f64 v[129:130], v[129:130], 0
	v_add_f64 v[2:3], v[2:3], 0
	v_mul_f64 v[99:100], v[81:82], v[99:100]
	s_waitcnt vmcnt(24)
	v_fma_f64 v[95:96], v[87:88], v[105:106], -v[95:96]
	v_fma_f64 v[93:94], v[89:90], v[105:106], v[93:94]
	ds_read_b128 v[87:90], v1 offset:1120
	s_waitcnt vmcnt(21)
	v_fma_f64 v[97:98], v[81:82], v[107:108], v[97:98]
	v_add_f64 v[129:130], v[129:130], v[131:132]
	v_add_f64 v[2:3], v[2:3], v[91:92]
	s_waitcnt lgkmcnt(1)
	v_mul_f64 v[91:92], v[83:84], v[101:102]
	v_mul_f64 v[101:102], v[85:86], v[101:102]
	v_fma_f64 v[99:100], v[79:80], v[107:108], -v[99:100]
	s_waitcnt vmcnt(17) lgkmcnt(0)
	v_mul_f64 v[105:106], v[89:90], v[109:110]
	ds_read_b128 v[79:82], v1 offset:1136
	v_add_f64 v[95:96], v[129:130], v[95:96]
	v_add_f64 v[2:3], v[2:3], v[93:94]
	v_mul_f64 v[93:94], v[87:88], v[109:110]
	s_waitcnt vmcnt(16)
	v_fma_f64 v[101:102], v[83:84], v[103:104], -v[101:102]
	v_fma_f64 v[91:92], v[85:86], v[103:104], v[91:92]
	ds_read_b128 v[83:86], v1 offset:1152
	s_waitcnt vmcnt(13)
	v_fma_f64 v[103:104], v[87:88], v[115:116], -v[105:106]
	v_add_f64 v[95:96], v[95:96], v[99:100]
	v_add_f64 v[2:3], v[2:3], v[97:98]
	s_waitcnt lgkmcnt(1)
	v_mul_f64 v[99:100], v[81:82], v[111:112]
	v_mul_f64 v[97:98], v[79:80], v[111:112]
	v_fma_f64 v[93:94], v[89:90], v[115:116], v[93:94]
	ds_read_b128 v[87:90], v1 offset:1168
	v_add_f64 v[95:96], v[95:96], v[101:102]
	v_add_f64 v[2:3], v[2:3], v[91:92]
	s_waitcnt vmcnt(9) lgkmcnt(1)
	v_mul_f64 v[101:102], v[85:86], v[117:118]
	s_waitcnt vmcnt(8)
	v_fma_f64 v[79:80], v[79:80], v[113:114], -v[99:100]
	v_mul_f64 v[91:92], v[83:84], v[117:118]
	v_fma_f64 v[81:82], v[81:82], v[113:114], v[97:98]
	s_waitcnt vmcnt(7) lgkmcnt(0)
	v_mul_f64 v[97:98], v[89:90], v[119:120]
	v_add_f64 v[95:96], v[95:96], v[103:104]
	v_add_f64 v[2:3], v[2:3], v[93:94]
	s_waitcnt vmcnt(5)
	v_fma_f64 v[83:84], v[83:84], v[123:124], -v[101:102]
	v_mul_f64 v[93:94], v[87:88], v[119:120]
	v_fma_f64 v[85:86], v[85:86], v[123:124], v[91:92]
	v_add_f64 v[79:80], v[95:96], v[79:80]
	v_add_f64 v[2:3], v[2:3], v[81:82]
	s_waitcnt vmcnt(4)
	v_fma_f64 v[81:82], v[87:88], v[121:122], -v[97:98]
	v_add_f64 v[79:80], v[79:80], v[83:84]
	v_fma_f64 v[83:84], v[89:90], v[121:122], v[93:94]
	v_add_f64 v[2:3], v[2:3], v[85:86]
	v_add_f64 v[79:80], v[79:80], v[81:82]
	;; [unrolled: 1-line block ×3, first 2 shown]
	s_waitcnt vmcnt(2)
	v_add_f64 v[79:80], v[125:126], -v[79:80]
	s_waitcnt vmcnt(0)
	v_add_f64 v[2:3], v[127:128], -v[2:3]
	buffer_store_dword v80, off, s[0:3], 0 offset:452
	buffer_store_dword v79, off, s[0:3], 0 offset:448
	;; [unrolled: 1-line block ×4, first 2 shown]
	v_cmpx_lt_u32_e32 26, v0
	s_cbranch_execz .LBB100_183
; %bb.182:
	v_mov_b32_e32 v2, s22
	s_clause 0x3
	buffer_load_dword v79, v2, s[0:3], 0 offen
	buffer_load_dword v80, v2, s[0:3], 0 offen offset:4
	buffer_load_dword v81, v2, s[0:3], 0 offen offset:8
	;; [unrolled: 1-line block ×3, first 2 shown]
	buffer_store_dword v1, off, s[0:3], 0 offset:432
	buffer_store_dword v1, off, s[0:3], 0 offset:436
	;; [unrolled: 1-line block ×4, first 2 shown]
	s_waitcnt vmcnt(0)
	ds_write_b128 v133, v[79:82]
.LBB100_183:
	s_or_b32 exec_lo, exec_lo, s4
	s_waitcnt lgkmcnt(0)
	s_waitcnt_vscnt null, 0x0
	s_barrier
	buffer_gl0_inv
	s_clause 0x2b
	buffer_load_dword v2, off, s[0:3], 0 offset:456
	buffer_load_dword v3, off, s[0:3], 0 offset:460
	buffer_load_dword v91, off, s[0:3], 0 offset:472
	buffer_load_dword v92, off, s[0:3], 0 offset:476
	buffer_load_dword v93, off, s[0:3], 0 offset:448
	buffer_load_dword v94, off, s[0:3], 0 offset:452
	buffer_load_dword v95, off, s[0:3], 0 offset:488
	buffer_load_dword v96, off, s[0:3], 0 offset:492
	buffer_load_dword v97, off, s[0:3], 0 offset:464
	buffer_load_dword v98, off, s[0:3], 0 offset:468
	buffer_load_dword v100, off, s[0:3], 0 offset:508
	buffer_load_dword v101, off, s[0:3], 0 offset:520
	buffer_load_dword v103, off, s[0:3], 0 offset:512
	buffer_load_dword v99, off, s[0:3], 0 offset:504
	buffer_load_dword v105, off, s[0:3], 0 offset:480
	buffer_load_dword v106, off, s[0:3], 0 offset:484
	buffer_load_dword v102, off, s[0:3], 0 offset:524
	buffer_load_dword v108, off, s[0:3], 0 offset:500
	buffer_load_dword v107, off, s[0:3], 0 offset:496
	buffer_load_dword v110, off, s[0:3], 0 offset:540
	buffer_load_dword v111, off, s[0:3], 0 offset:552
	buffer_load_dword v113, off, s[0:3], 0 offset:544
	buffer_load_dword v109, off, s[0:3], 0 offset:536
	buffer_load_dword v104, off, s[0:3], 0 offset:516
	buffer_load_dword v112, off, s[0:3], 0 offset:556
	buffer_load_dword v116, off, s[0:3], 0 offset:532
	buffer_load_dword v115, off, s[0:3], 0 offset:528
	buffer_load_dword v118, off, s[0:3], 0 offset:572
	buffer_load_dword v119, off, s[0:3], 0 offset:584
	buffer_load_dword v121, off, s[0:3], 0 offset:576
	buffer_load_dword v117, off, s[0:3], 0 offset:568
	buffer_load_dword v114, off, s[0:3], 0 offset:548
	buffer_load_dword v120, off, s[0:3], 0 offset:588
	buffer_load_dword v124, off, s[0:3], 0 offset:564
	buffer_load_dword v123, off, s[0:3], 0 offset:560
	buffer_load_dword v126, off, s[0:3], 0 offset:604
	buffer_load_dword v125, off, s[0:3], 0 offset:600
	buffer_load_dword v122, off, s[0:3], 0 offset:580
	buffer_load_dword v128, off, s[0:3], 0 offset:596
	buffer_load_dword v127, off, s[0:3], 0 offset:592
	buffer_load_dword v129, off, s[0:3], 0 offset:432
	buffer_load_dword v130, off, s[0:3], 0 offset:436
	buffer_load_dword v131, off, s[0:3], 0 offset:440
	buffer_load_dword v132, off, s[0:3], 0 offset:444
	ds_read_b128 v[79:82], v1 offset:1024
	ds_read_b128 v[83:86], v1 offset:1040
	;; [unrolled: 1-line block ×3, first 2 shown]
	s_mov_b32 s4, exec_lo
	s_waitcnt vmcnt(42) lgkmcnt(2)
	v_mul_f64 v[134:135], v[81:82], v[2:3]
	v_mul_f64 v[2:3], v[79:80], v[2:3]
	s_waitcnt vmcnt(40) lgkmcnt(1)
	v_mul_f64 v[136:137], v[85:86], v[91:92]
	v_mul_f64 v[91:92], v[83:84], v[91:92]
	s_waitcnt vmcnt(38)
	v_fma_f64 v[134:135], v[79:80], v[93:94], -v[134:135]
	v_fma_f64 v[2:3], v[81:82], v[93:94], v[2:3]
	ds_read_b128 v[79:82], v1 offset:1072
	s_waitcnt vmcnt(36) lgkmcnt(1)
	v_mul_f64 v[93:94], v[87:88], v[95:96]
	v_mul_f64 v[95:96], v[89:90], v[95:96]
	s_waitcnt vmcnt(34)
	v_fma_f64 v[136:137], v[83:84], v[97:98], -v[136:137]
	v_fma_f64 v[91:92], v[85:86], v[97:98], v[91:92]
	ds_read_b128 v[83:86], v1 offset:1088
	s_waitcnt vmcnt(30) lgkmcnt(1)
	v_mul_f64 v[97:98], v[79:80], v[99:100]
	v_add_f64 v[134:135], v[134:135], 0
	v_add_f64 v[2:3], v[2:3], 0
	v_mul_f64 v[99:100], v[81:82], v[99:100]
	s_waitcnt vmcnt(28)
	v_fma_f64 v[95:96], v[87:88], v[105:106], -v[95:96]
	v_fma_f64 v[93:94], v[89:90], v[105:106], v[93:94]
	ds_read_b128 v[87:90], v1 offset:1104
	s_waitcnt vmcnt(25)
	v_fma_f64 v[97:98], v[81:82], v[107:108], v[97:98]
	v_add_f64 v[134:135], v[134:135], v[136:137]
	v_add_f64 v[2:3], v[2:3], v[91:92]
	s_waitcnt lgkmcnt(1)
	v_mul_f64 v[91:92], v[83:84], v[101:102]
	v_mul_f64 v[101:102], v[85:86], v[101:102]
	v_fma_f64 v[99:100], v[79:80], v[107:108], -v[99:100]
	s_waitcnt vmcnt(21) lgkmcnt(0)
	v_mul_f64 v[105:106], v[89:90], v[109:110]
	ds_read_b128 v[79:82], v1 offset:1120
	v_add_f64 v[95:96], v[134:135], v[95:96]
	v_add_f64 v[2:3], v[2:3], v[93:94]
	v_mul_f64 v[93:94], v[87:88], v[109:110]
	s_waitcnt vmcnt(20)
	v_fma_f64 v[101:102], v[83:84], v[103:104], -v[101:102]
	v_fma_f64 v[91:92], v[85:86], v[103:104], v[91:92]
	ds_read_b128 v[83:86], v1 offset:1136
	s_waitcnt vmcnt(17)
	v_fma_f64 v[103:104], v[87:88], v[115:116], -v[105:106]
	v_add_f64 v[95:96], v[95:96], v[99:100]
	v_add_f64 v[2:3], v[2:3], v[97:98]
	s_waitcnt lgkmcnt(1)
	v_mul_f64 v[99:100], v[81:82], v[111:112]
	v_mul_f64 v[97:98], v[79:80], v[111:112]
	v_fma_f64 v[93:94], v[89:90], v[115:116], v[93:94]
	ds_read_b128 v[87:90], v1 offset:1152
	v_add_f64 v[95:96], v[95:96], v[101:102]
	v_add_f64 v[2:3], v[2:3], v[91:92]
	s_waitcnt vmcnt(13) lgkmcnt(1)
	v_mul_f64 v[101:102], v[85:86], v[117:118]
	s_waitcnt vmcnt(12)
	v_fma_f64 v[79:80], v[79:80], v[113:114], -v[99:100]
	v_mul_f64 v[91:92], v[83:84], v[117:118]
	v_fma_f64 v[81:82], v[81:82], v[113:114], v[97:98]
	s_waitcnt vmcnt(11) lgkmcnt(0)
	v_mul_f64 v[99:100], v[89:90], v[119:120]
	v_mul_f64 v[97:98], v[87:88], v[119:120]
	v_add_f64 v[95:96], v[95:96], v[103:104]
	v_add_f64 v[93:94], v[2:3], v[93:94]
	s_waitcnt vmcnt(9)
	v_fma_f64 v[83:84], v[83:84], v[123:124], -v[101:102]
	ds_read_b128 v[1:4], v1 offset:1168
	v_fma_f64 v[85:86], v[85:86], v[123:124], v[91:92]
	s_waitcnt vmcnt(6)
	v_fma_f64 v[87:88], v[87:88], v[121:122], -v[99:100]
	v_add_f64 v[79:80], v[95:96], v[79:80]
	v_add_f64 v[81:82], v[93:94], v[81:82]
	s_waitcnt lgkmcnt(0)
	v_mul_f64 v[93:94], v[3:4], v[125:126]
	v_mul_f64 v[91:92], v[1:2], v[125:126]
	v_add_f64 v[79:80], v[79:80], v[83:84]
	v_fma_f64 v[83:84], v[89:90], v[121:122], v[97:98]
	v_add_f64 v[81:82], v[81:82], v[85:86]
	s_waitcnt vmcnt(4)
	v_fma_f64 v[1:2], v[1:2], v[127:128], -v[93:94]
	v_fma_f64 v[3:4], v[3:4], v[127:128], v[91:92]
	v_add_f64 v[79:80], v[79:80], v[87:88]
	v_add_f64 v[81:82], v[81:82], v[83:84]
	;; [unrolled: 1-line block ×4, first 2 shown]
	s_waitcnt vmcnt(2)
	v_add_f64 v[1:2], v[129:130], -v[1:2]
	s_waitcnt vmcnt(0)
	v_add_f64 v[3:4], v[131:132], -v[3:4]
	buffer_store_dword v2, off, s[0:3], 0 offset:436
	buffer_store_dword v1, off, s[0:3], 0 offset:432
	;; [unrolled: 1-line block ×4, first 2 shown]
	v_cmpx_lt_u32_e32 25, v0
	s_cbranch_execz .LBB100_185
; %bb.184:
	v_mov_b32_e32 v4, s23
	v_mov_b32_e32 v79, 0
	s_clause 0x3
	buffer_load_dword v1, v4, s[0:3], 0 offen
	buffer_load_dword v2, v4, s[0:3], 0 offen offset:4
	buffer_load_dword v3, v4, s[0:3], 0 offen offset:8
	buffer_load_dword v4, v4, s[0:3], 0 offen offset:12
	buffer_store_dword v79, off, s[0:3], 0 offset:416
	buffer_store_dword v79, off, s[0:3], 0 offset:420
	;; [unrolled: 1-line block ×4, first 2 shown]
	s_waitcnt vmcnt(0)
	ds_write_b128 v133, v[1:4]
.LBB100_185:
	s_or_b32 exec_lo, exec_lo, s4
	s_waitcnt lgkmcnt(0)
	s_waitcnt_vscnt null, 0x0
	s_barrier
	buffer_gl0_inv
	s_clause 0x2f
	buffer_load_dword v2, off, s[0:3], 0 offset:440
	buffer_load_dword v3, off, s[0:3], 0 offset:444
	buffer_load_dword v91, off, s[0:3], 0 offset:456
	buffer_load_dword v92, off, s[0:3], 0 offset:460
	buffer_load_dword v93, off, s[0:3], 0 offset:432
	buffer_load_dword v94, off, s[0:3], 0 offset:436
	buffer_load_dword v95, off, s[0:3], 0 offset:472
	buffer_load_dword v96, off, s[0:3], 0 offset:476
	buffer_load_dword v97, off, s[0:3], 0 offset:448
	buffer_load_dword v98, off, s[0:3], 0 offset:452
	buffer_load_dword v100, off, s[0:3], 0 offset:492
	buffer_load_dword v101, off, s[0:3], 0 offset:504
	buffer_load_dword v103, off, s[0:3], 0 offset:496
	buffer_load_dword v99, off, s[0:3], 0 offset:488
	buffer_load_dword v105, off, s[0:3], 0 offset:464
	buffer_load_dword v106, off, s[0:3], 0 offset:468
	buffer_load_dword v102, off, s[0:3], 0 offset:508
	buffer_load_dword v108, off, s[0:3], 0 offset:484
	buffer_load_dword v107, off, s[0:3], 0 offset:480
	buffer_load_dword v110, off, s[0:3], 0 offset:524
	buffer_load_dword v111, off, s[0:3], 0 offset:536
	buffer_load_dword v113, off, s[0:3], 0 offset:528
	buffer_load_dword v109, off, s[0:3], 0 offset:520
	buffer_load_dword v104, off, s[0:3], 0 offset:500
	buffer_load_dword v112, off, s[0:3], 0 offset:540
	buffer_load_dword v116, off, s[0:3], 0 offset:516
	buffer_load_dword v115, off, s[0:3], 0 offset:512
	buffer_load_dword v118, off, s[0:3], 0 offset:556
	buffer_load_dword v119, off, s[0:3], 0 offset:568
	buffer_load_dword v121, off, s[0:3], 0 offset:560
	buffer_load_dword v117, off, s[0:3], 0 offset:552
	buffer_load_dword v114, off, s[0:3], 0 offset:532
	buffer_load_dword v120, off, s[0:3], 0 offset:572
	buffer_load_dword v124, off, s[0:3], 0 offset:548
	buffer_load_dword v123, off, s[0:3], 0 offset:544
	buffer_load_dword v126, off, s[0:3], 0 offset:588
	buffer_load_dword v127, off, s[0:3], 0 offset:600
	buffer_load_dword v129, off, s[0:3], 0 offset:592
	buffer_load_dword v125, off, s[0:3], 0 offset:584
	buffer_load_dword v122, off, s[0:3], 0 offset:564
	buffer_load_dword v128, off, s[0:3], 0 offset:604
	buffer_load_dword v132, off, s[0:3], 0 offset:580
	buffer_load_dword v131, off, s[0:3], 0 offset:576
	buffer_load_dword v130, off, s[0:3], 0 offset:596
	buffer_load_dword v134, off, s[0:3], 0 offset:416
	buffer_load_dword v135, off, s[0:3], 0 offset:420
	buffer_load_dword v136, off, s[0:3], 0 offset:424
	buffer_load_dword v137, off, s[0:3], 0 offset:428
	v_mov_b32_e32 v1, 0
	ds_read_b128 v[79:82], v1 offset:1008
	ds_read_b128 v[83:86], v1 offset:1024
	;; [unrolled: 1-line block ×3, first 2 shown]
	s_mov_b32 s4, exec_lo
	s_waitcnt vmcnt(46) lgkmcnt(2)
	v_mul_f64 v[138:139], v[81:82], v[2:3]
	v_mul_f64 v[2:3], v[79:80], v[2:3]
	s_waitcnt vmcnt(44) lgkmcnt(1)
	v_mul_f64 v[140:141], v[85:86], v[91:92]
	v_mul_f64 v[91:92], v[83:84], v[91:92]
	s_waitcnt vmcnt(42)
	v_fma_f64 v[138:139], v[79:80], v[93:94], -v[138:139]
	v_fma_f64 v[2:3], v[81:82], v[93:94], v[2:3]
	ds_read_b128 v[79:82], v1 offset:1056
	s_waitcnt vmcnt(40) lgkmcnt(1)
	v_mul_f64 v[93:94], v[87:88], v[95:96]
	v_mul_f64 v[95:96], v[89:90], v[95:96]
	s_waitcnt vmcnt(38)
	v_fma_f64 v[140:141], v[83:84], v[97:98], -v[140:141]
	v_fma_f64 v[91:92], v[85:86], v[97:98], v[91:92]
	ds_read_b128 v[83:86], v1 offset:1072
	s_waitcnt vmcnt(34) lgkmcnt(1)
	v_mul_f64 v[97:98], v[79:80], v[99:100]
	v_add_f64 v[138:139], v[138:139], 0
	v_add_f64 v[2:3], v[2:3], 0
	v_mul_f64 v[99:100], v[81:82], v[99:100]
	s_waitcnt vmcnt(32)
	v_fma_f64 v[95:96], v[87:88], v[105:106], -v[95:96]
	v_fma_f64 v[93:94], v[89:90], v[105:106], v[93:94]
	ds_read_b128 v[87:90], v1 offset:1088
	s_waitcnt vmcnt(29)
	v_fma_f64 v[97:98], v[81:82], v[107:108], v[97:98]
	v_add_f64 v[138:139], v[138:139], v[140:141]
	v_add_f64 v[2:3], v[2:3], v[91:92]
	s_waitcnt lgkmcnt(1)
	v_mul_f64 v[91:92], v[83:84], v[101:102]
	v_mul_f64 v[101:102], v[85:86], v[101:102]
	v_fma_f64 v[99:100], v[79:80], v[107:108], -v[99:100]
	s_waitcnt vmcnt(25) lgkmcnt(0)
	v_mul_f64 v[105:106], v[89:90], v[109:110]
	ds_read_b128 v[79:82], v1 offset:1104
	v_add_f64 v[95:96], v[138:139], v[95:96]
	v_add_f64 v[2:3], v[2:3], v[93:94]
	v_mul_f64 v[93:94], v[87:88], v[109:110]
	s_waitcnt vmcnt(24)
	v_fma_f64 v[101:102], v[83:84], v[103:104], -v[101:102]
	v_fma_f64 v[91:92], v[85:86], v[103:104], v[91:92]
	ds_read_b128 v[83:86], v1 offset:1120
	s_waitcnt vmcnt(21)
	v_fma_f64 v[103:104], v[87:88], v[115:116], -v[105:106]
	v_add_f64 v[95:96], v[95:96], v[99:100]
	v_add_f64 v[2:3], v[2:3], v[97:98]
	s_waitcnt lgkmcnt(1)
	v_mul_f64 v[99:100], v[81:82], v[111:112]
	v_mul_f64 v[97:98], v[79:80], v[111:112]
	v_fma_f64 v[93:94], v[89:90], v[115:116], v[93:94]
	ds_read_b128 v[87:90], v1 offset:1136
	v_add_f64 v[95:96], v[95:96], v[101:102]
	v_add_f64 v[2:3], v[2:3], v[91:92]
	s_waitcnt vmcnt(17) lgkmcnt(1)
	v_mul_f64 v[101:102], v[85:86], v[117:118]
	s_waitcnt vmcnt(16)
	v_fma_f64 v[99:100], v[79:80], v[113:114], -v[99:100]
	v_mul_f64 v[91:92], v[83:84], v[117:118]
	v_fma_f64 v[97:98], v[81:82], v[113:114], v[97:98]
	ds_read_b128 v[79:82], v1 offset:1152
	v_add_f64 v[95:96], v[95:96], v[103:104]
	v_add_f64 v[2:3], v[2:3], v[93:94]
	s_waitcnt vmcnt(15) lgkmcnt(1)
	v_mul_f64 v[103:104], v[89:90], v[119:120]
	s_waitcnt vmcnt(13)
	v_fma_f64 v[101:102], v[83:84], v[123:124], -v[101:102]
	;; [unrolled: 9-line block ×3, first 2 shown]
	v_mul_f64 v[97:98], v[79:80], v[125:126]
	v_fma_f64 v[89:90], v[89:90], v[121:122], v[93:94]
	s_waitcnt vmcnt(7) lgkmcnt(0)
	v_mul_f64 v[93:94], v[85:86], v[127:128]
	v_add_f64 v[95:96], v[95:96], v[101:102]
	v_add_f64 v[2:3], v[2:3], v[91:92]
	s_waitcnt vmcnt(5)
	v_fma_f64 v[79:80], v[79:80], v[131:132], -v[99:100]
	v_mul_f64 v[91:92], v[83:84], v[127:128]
	v_fma_f64 v[81:82], v[81:82], v[131:132], v[97:98]
	s_waitcnt vmcnt(4)
	v_fma_f64 v[83:84], v[83:84], v[129:130], -v[93:94]
	v_add_f64 v[87:88], v[95:96], v[87:88]
	v_add_f64 v[2:3], v[2:3], v[89:90]
	v_fma_f64 v[85:86], v[85:86], v[129:130], v[91:92]
	v_add_f64 v[79:80], v[87:88], v[79:80]
	v_add_f64 v[2:3], v[2:3], v[81:82]
	;; [unrolled: 1-line block ×4, first 2 shown]
	s_waitcnt vmcnt(2)
	v_add_f64 v[79:80], v[134:135], -v[79:80]
	s_waitcnt vmcnt(0)
	v_add_f64 v[2:3], v[136:137], -v[2:3]
	buffer_store_dword v80, off, s[0:3], 0 offset:420
	buffer_store_dword v79, off, s[0:3], 0 offset:416
	buffer_store_dword v3, off, s[0:3], 0 offset:428
	buffer_store_dword v2, off, s[0:3], 0 offset:424
	v_cmpx_lt_u32_e32 24, v0
	s_cbranch_execz .LBB100_187
; %bb.186:
	v_mov_b32_e32 v2, s24
	s_clause 0x3
	buffer_load_dword v79, v2, s[0:3], 0 offen
	buffer_load_dword v80, v2, s[0:3], 0 offen offset:4
	buffer_load_dword v81, v2, s[0:3], 0 offen offset:8
	;; [unrolled: 1-line block ×3, first 2 shown]
	buffer_store_dword v1, off, s[0:3], 0 offset:400
	buffer_store_dword v1, off, s[0:3], 0 offset:404
	buffer_store_dword v1, off, s[0:3], 0 offset:408
	buffer_store_dword v1, off, s[0:3], 0 offset:412
	s_waitcnt vmcnt(0)
	ds_write_b128 v133, v[79:82]
.LBB100_187:
	s_or_b32 exec_lo, exec_lo, s4
	s_waitcnt lgkmcnt(0)
	s_waitcnt_vscnt null, 0x0
	s_barrier
	buffer_gl0_inv
	s_clause 0x2f
	buffer_load_dword v2, off, s[0:3], 0 offset:424
	buffer_load_dword v3, off, s[0:3], 0 offset:428
	;; [unrolled: 1-line block ×48, first 2 shown]
	ds_read_b128 v[79:82], v1 offset:992
	s_clause 0x3
	buffer_load_dword v138, off, s[0:3], 0 offset:400
	buffer_load_dword v139, off, s[0:3], 0 offset:404
	;; [unrolled: 1-line block ×4, first 2 shown]
	ds_read_b128 v[83:86], v1 offset:1008
	ds_read_b128 v[87:90], v1 offset:1024
	s_mov_b32 s4, exec_lo
	s_waitcnt vmcnt(50) lgkmcnt(2)
	v_mul_f64 v[142:143], v[81:82], v[2:3]
	v_mul_f64 v[2:3], v[79:80], v[2:3]
	s_waitcnt vmcnt(48) lgkmcnt(1)
	v_mul_f64 v[144:145], v[85:86], v[91:92]
	v_mul_f64 v[91:92], v[83:84], v[91:92]
	s_waitcnt vmcnt(46)
	v_fma_f64 v[142:143], v[79:80], v[93:94], -v[142:143]
	v_fma_f64 v[2:3], v[81:82], v[93:94], v[2:3]
	s_waitcnt vmcnt(44) lgkmcnt(0)
	v_mul_f64 v[93:94], v[87:88], v[95:96]
	v_mul_f64 v[95:96], v[89:90], v[95:96]
	s_waitcnt vmcnt(42)
	v_fma_f64 v[144:145], v[83:84], v[97:98], -v[144:145]
	ds_read_b128 v[79:82], v1 offset:1040
	v_fma_f64 v[91:92], v[85:86], v[97:98], v[91:92]
	ds_read_b128 v[83:86], v1 offset:1056
	v_add_f64 v[142:143], v[142:143], 0
	v_add_f64 v[2:3], v[2:3], 0
	s_waitcnt vmcnt(36)
	v_fma_f64 v[93:94], v[89:90], v[105:106], v[93:94]
	s_waitcnt lgkmcnt(1)
	v_mul_f64 v[97:98], v[79:80], v[99:100]
	v_mul_f64 v[99:100], v[81:82], v[99:100]
	v_fma_f64 v[95:96], v[87:88], v[105:106], -v[95:96]
	ds_read_b128 v[87:90], v1 offset:1072
	v_add_f64 v[142:143], v[142:143], v[144:145]
	v_add_f64 v[2:3], v[2:3], v[91:92]
	s_waitcnt vmcnt(35) lgkmcnt(1)
	v_mul_f64 v[91:92], v[83:84], v[101:102]
	v_mul_f64 v[101:102], v[85:86], v[101:102]
	s_waitcnt vmcnt(33)
	v_fma_f64 v[99:100], v[79:80], v[107:108], -v[99:100]
	v_fma_f64 v[97:98], v[81:82], v[107:108], v[97:98]
	ds_read_b128 v[79:82], v1 offset:1088
	s_waitcnt vmcnt(29) lgkmcnt(1)
	v_mul_f64 v[105:106], v[89:90], v[109:110]
	v_add_f64 v[95:96], v[142:143], v[95:96]
	v_add_f64 v[2:3], v[2:3], v[93:94]
	v_mul_f64 v[93:94], v[87:88], v[109:110]
	s_waitcnt vmcnt(28)
	v_fma_f64 v[101:102], v[83:84], v[103:104], -v[101:102]
	v_fma_f64 v[91:92], v[85:86], v[103:104], v[91:92]
	ds_read_b128 v[83:86], v1 offset:1104
	s_waitcnt vmcnt(25)
	v_fma_f64 v[103:104], v[87:88], v[115:116], -v[105:106]
	v_add_f64 v[95:96], v[95:96], v[99:100]
	v_add_f64 v[2:3], v[2:3], v[97:98]
	s_waitcnt lgkmcnt(1)
	v_mul_f64 v[99:100], v[81:82], v[111:112]
	v_mul_f64 v[97:98], v[79:80], v[111:112]
	v_fma_f64 v[93:94], v[89:90], v[115:116], v[93:94]
	ds_read_b128 v[87:90], v1 offset:1120
	v_add_f64 v[95:96], v[95:96], v[101:102]
	v_add_f64 v[2:3], v[2:3], v[91:92]
	s_waitcnt vmcnt(21) lgkmcnt(1)
	v_mul_f64 v[101:102], v[85:86], v[117:118]
	s_waitcnt vmcnt(20)
	v_fma_f64 v[99:100], v[79:80], v[113:114], -v[99:100]
	v_mul_f64 v[91:92], v[83:84], v[117:118]
	v_fma_f64 v[97:98], v[81:82], v[113:114], v[97:98]
	ds_read_b128 v[79:82], v1 offset:1136
	v_add_f64 v[95:96], v[95:96], v[103:104]
	v_add_f64 v[2:3], v[2:3], v[93:94]
	s_waitcnt vmcnt(19) lgkmcnt(1)
	v_mul_f64 v[103:104], v[89:90], v[119:120]
	s_waitcnt vmcnt(17)
	v_fma_f64 v[101:102], v[83:84], v[123:124], -v[101:102]
	;; [unrolled: 9-line block ×3, first 2 shown]
	v_mul_f64 v[97:98], v[79:80], v[125:126]
	v_fma_f64 v[89:90], v[89:90], v[121:122], v[93:94]
	s_waitcnt vmcnt(11) lgkmcnt(0)
	v_mul_f64 v[93:94], v[83:84], v[127:128]
	v_add_f64 v[95:96], v[95:96], v[101:102]
	v_add_f64 v[91:92], v[2:3], v[91:92]
	v_mul_f64 v[101:102], v[85:86], v[127:128]
	s_waitcnt vmcnt(9)
	v_fma_f64 v[79:80], v[79:80], v[131:132], -v[99:100]
	ds_read_b128 v[1:4], v1 offset:1168
	v_fma_f64 v[81:82], v[81:82], v[131:132], v[97:98]
	s_waitcnt vmcnt(6)
	v_fma_f64 v[85:86], v[85:86], v[129:130], v[93:94]
	v_add_f64 v[87:88], v[95:96], v[87:88]
	v_add_f64 v[89:90], v[91:92], v[89:90]
	s_waitcnt lgkmcnt(0)
	v_mul_f64 v[95:96], v[3:4], v[134:135]
	v_fma_f64 v[83:84], v[83:84], v[129:130], -v[101:102]
	v_mul_f64 v[91:92], v[1:2], v[134:135]
	v_add_f64 v[79:80], v[87:88], v[79:80]
	v_add_f64 v[81:82], v[89:90], v[81:82]
	s_waitcnt vmcnt(4)
	v_fma_f64 v[1:2], v[1:2], v[136:137], -v[95:96]
	v_fma_f64 v[3:4], v[3:4], v[136:137], v[91:92]
	v_add_f64 v[79:80], v[79:80], v[83:84]
	v_add_f64 v[81:82], v[81:82], v[85:86]
	;; [unrolled: 1-line block ×4, first 2 shown]
	s_waitcnt vmcnt(2)
	v_add_f64 v[1:2], v[138:139], -v[1:2]
	s_waitcnt vmcnt(0)
	v_add_f64 v[3:4], v[140:141], -v[3:4]
	buffer_store_dword v2, off, s[0:3], 0 offset:404
	buffer_store_dword v1, off, s[0:3], 0 offset:400
	;; [unrolled: 1-line block ×4, first 2 shown]
	v_cmpx_lt_u32_e32 23, v0
	s_cbranch_execz .LBB100_189
; %bb.188:
	v_mov_b32_e32 v4, s25
	v_mov_b32_e32 v79, 0
	s_clause 0x3
	buffer_load_dword v1, v4, s[0:3], 0 offen
	buffer_load_dword v2, v4, s[0:3], 0 offen offset:4
	buffer_load_dword v3, v4, s[0:3], 0 offen offset:8
	;; [unrolled: 1-line block ×3, first 2 shown]
	buffer_store_dword v79, off, s[0:3], 0 offset:384
	buffer_store_dword v79, off, s[0:3], 0 offset:388
	;; [unrolled: 1-line block ×4, first 2 shown]
	s_waitcnt vmcnt(0)
	ds_write_b128 v133, v[1:4]
.LBB100_189:
	s_or_b32 exec_lo, exec_lo, s4
	s_waitcnt lgkmcnt(0)
	s_waitcnt_vscnt null, 0x0
	s_barrier
	buffer_gl0_inv
	s_clause 0x33
	buffer_load_dword v2, off, s[0:3], 0 offset:408
	buffer_load_dword v3, off, s[0:3], 0 offset:412
	;; [unrolled: 1-line block ×52, first 2 shown]
	v_mov_b32_e32 v1, 0
	ds_read_b128 v[79:82], v1 offset:976
	ds_read_b128 v[83:86], v1 offset:992
	s_clause 0x3
	buffer_load_dword v144, off, s[0:3], 0 offset:384
	buffer_load_dword v145, off, s[0:3], 0 offset:388
	;; [unrolled: 1-line block ×4, first 2 shown]
	ds_read_b128 v[87:90], v1 offset:1008
	s_mov_b32 s4, exec_lo
	s_waitcnt vmcnt(54) lgkmcnt(2)
	v_mul_f64 v[142:143], v[81:82], v[2:3]
	v_mul_f64 v[2:3], v[79:80], v[2:3]
	s_waitcnt vmcnt(52) lgkmcnt(1)
	v_mul_f64 v[148:149], v[85:86], v[91:92]
	v_mul_f64 v[91:92], v[83:84], v[91:92]
	s_waitcnt vmcnt(50)
	v_fma_f64 v[142:143], v[79:80], v[93:94], -v[142:143]
	v_fma_f64 v[2:3], v[81:82], v[93:94], v[2:3]
	ds_read_b128 v[79:82], v1 offset:1024
	s_waitcnt vmcnt(48) lgkmcnt(1)
	v_mul_f64 v[93:94], v[87:88], v[95:96]
	v_mul_f64 v[95:96], v[89:90], v[95:96]
	s_waitcnt vmcnt(46)
	v_fma_f64 v[148:149], v[83:84], v[97:98], -v[148:149]
	v_fma_f64 v[91:92], v[85:86], v[97:98], v[91:92]
	ds_read_b128 v[83:86], v1 offset:1040
	s_waitcnt vmcnt(42) lgkmcnt(1)
	v_mul_f64 v[97:98], v[79:80], v[99:100]
	v_add_f64 v[142:143], v[142:143], 0
	v_add_f64 v[2:3], v[2:3], 0
	v_mul_f64 v[99:100], v[81:82], v[99:100]
	s_waitcnt vmcnt(40)
	v_fma_f64 v[95:96], v[87:88], v[105:106], -v[95:96]
	v_fma_f64 v[93:94], v[89:90], v[105:106], v[93:94]
	ds_read_b128 v[87:90], v1 offset:1056
	s_waitcnt vmcnt(37)
	v_fma_f64 v[97:98], v[81:82], v[107:108], v[97:98]
	v_add_f64 v[142:143], v[142:143], v[148:149]
	v_add_f64 v[2:3], v[2:3], v[91:92]
	s_waitcnt lgkmcnt(1)
	v_mul_f64 v[91:92], v[83:84], v[101:102]
	v_mul_f64 v[101:102], v[85:86], v[101:102]
	v_fma_f64 v[99:100], v[79:80], v[107:108], -v[99:100]
	s_waitcnt vmcnt(33) lgkmcnt(0)
	v_mul_f64 v[105:106], v[89:90], v[109:110]
	ds_read_b128 v[79:82], v1 offset:1072
	v_add_f64 v[95:96], v[142:143], v[95:96]
	v_add_f64 v[2:3], v[2:3], v[93:94]
	v_mul_f64 v[93:94], v[87:88], v[109:110]
	s_waitcnt vmcnt(32)
	v_fma_f64 v[101:102], v[83:84], v[103:104], -v[101:102]
	v_fma_f64 v[91:92], v[85:86], v[103:104], v[91:92]
	ds_read_b128 v[83:86], v1 offset:1088
	s_waitcnt vmcnt(29)
	v_fma_f64 v[103:104], v[87:88], v[115:116], -v[105:106]
	v_add_f64 v[95:96], v[95:96], v[99:100]
	v_add_f64 v[2:3], v[2:3], v[97:98]
	s_waitcnt lgkmcnt(1)
	v_mul_f64 v[99:100], v[81:82], v[111:112]
	v_mul_f64 v[97:98], v[79:80], v[111:112]
	v_fma_f64 v[93:94], v[89:90], v[115:116], v[93:94]
	ds_read_b128 v[87:90], v1 offset:1104
	v_add_f64 v[95:96], v[95:96], v[101:102]
	v_add_f64 v[2:3], v[2:3], v[91:92]
	s_waitcnt vmcnt(25) lgkmcnt(1)
	v_mul_f64 v[101:102], v[85:86], v[117:118]
	s_waitcnt vmcnt(24)
	v_fma_f64 v[99:100], v[79:80], v[113:114], -v[99:100]
	v_mul_f64 v[91:92], v[83:84], v[117:118]
	v_fma_f64 v[97:98], v[81:82], v[113:114], v[97:98]
	ds_read_b128 v[79:82], v1 offset:1120
	v_add_f64 v[95:96], v[95:96], v[103:104]
	v_add_f64 v[2:3], v[2:3], v[93:94]
	s_waitcnt vmcnt(23) lgkmcnt(1)
	v_mul_f64 v[103:104], v[89:90], v[119:120]
	s_waitcnt vmcnt(21)
	v_fma_f64 v[101:102], v[83:84], v[123:124], -v[101:102]
	;; [unrolled: 9-line block ×5, first 2 shown]
	v_mul_f64 v[93:94], v[87:88], v[134:135]
	v_fma_f64 v[85:86], v[85:86], v[129:130], v[91:92]
	s_waitcnt vmcnt(7) lgkmcnt(0)
	v_mul_f64 v[91:92], v[79:80], v[136:137]
	v_add_f64 v[95:96], v[95:96], v[99:100]
	v_add_f64 v[2:3], v[2:3], v[97:98]
	v_mul_f64 v[97:98], v[81:82], v[136:137]
	s_waitcnt vmcnt(5)
	v_fma_f64 v[87:88], v[87:88], v[140:141], -v[103:104]
	v_fma_f64 v[89:90], v[89:90], v[140:141], v[93:94]
	s_waitcnt vmcnt(4)
	v_fma_f64 v[81:82], v[81:82], v[138:139], v[91:92]
	v_add_f64 v[83:84], v[95:96], v[83:84]
	v_add_f64 v[2:3], v[2:3], v[85:86]
	v_fma_f64 v[79:80], v[79:80], v[138:139], -v[97:98]
	v_add_f64 v[83:84], v[83:84], v[87:88]
	v_add_f64 v[2:3], v[2:3], v[89:90]
	;; [unrolled: 1-line block ×4, first 2 shown]
	s_waitcnt vmcnt(2)
	v_add_f64 v[79:80], v[144:145], -v[79:80]
	s_waitcnt vmcnt(0)
	v_add_f64 v[2:3], v[146:147], -v[2:3]
	buffer_store_dword v80, off, s[0:3], 0 offset:388
	buffer_store_dword v79, off, s[0:3], 0 offset:384
	;; [unrolled: 1-line block ×4, first 2 shown]
	v_cmpx_lt_u32_e32 22, v0
	s_cbranch_execz .LBB100_191
; %bb.190:
	v_mov_b32_e32 v2, s26
	s_clause 0x3
	buffer_load_dword v79, v2, s[0:3], 0 offen
	buffer_load_dword v80, v2, s[0:3], 0 offen offset:4
	buffer_load_dword v81, v2, s[0:3], 0 offen offset:8
	buffer_load_dword v82, v2, s[0:3], 0 offen offset:12
	buffer_store_dword v1, off, s[0:3], 0 offset:368
	buffer_store_dword v1, off, s[0:3], 0 offset:372
	;; [unrolled: 1-line block ×4, first 2 shown]
	s_waitcnt vmcnt(0)
	ds_write_b128 v133, v[79:82]
.LBB100_191:
	s_or_b32 exec_lo, exec_lo, s4
	s_waitcnt lgkmcnt(0)
	s_waitcnt_vscnt null, 0x0
	s_barrier
	buffer_gl0_inv
	s_clause 0x35
	buffer_load_dword v2, off, s[0:3], 0 offset:392
	buffer_load_dword v3, off, s[0:3], 0 offset:396
	;; [unrolled: 1-line block ×54, first 2 shown]
	ds_read_b128 v[79:82], v1 offset:960
	s_clause 0x1
	buffer_load_dword v145, off, s[0:3], 0 offset:596
	buffer_load_dword v144, off, s[0:3], 0 offset:592
	ds_read_b128 v[83:86], v1 offset:976
	ds_read_b128 v[87:90], v1 offset:992
	s_mov_b32 s4, exec_lo
	s_waitcnt vmcnt(54) lgkmcnt(2)
	v_mul_f64 v[146:147], v[81:82], v[2:3]
	v_mul_f64 v[2:3], v[79:80], v[2:3]
	s_waitcnt vmcnt(52) lgkmcnt(1)
	v_mul_f64 v[148:149], v[85:86], v[91:92]
	v_mul_f64 v[91:92], v[83:84], v[91:92]
	s_waitcnt vmcnt(48) lgkmcnt(0)
	v_mul_f64 v[152:153], v[87:88], v[95:96]
	v_mul_f64 v[95:96], v[89:90], v[95:96]
	v_fma_f64 v[146:147], v[79:80], v[93:94], -v[146:147]
	v_fma_f64 v[2:3], v[81:82], v[93:94], v[2:3]
	s_clause 0x3
	buffer_load_dword v93, off, s[0:3], 0 offset:368
	buffer_load_dword v94, off, s[0:3], 0 offset:372
	;; [unrolled: 1-line block ×4, first 2 shown]
	s_waitcnt vmcnt(50)
	v_fma_f64 v[148:149], v[83:84], v[97:98], -v[148:149]
	ds_read_b128 v[79:82], v1 offset:1008
	v_fma_f64 v[91:92], v[85:86], v[97:98], v[91:92]
	ds_read_b128 v[83:86], v1 offset:1024
	s_waitcnt vmcnt(44)
	v_fma_f64 v[95:96], v[87:88], v[105:106], -v[95:96]
	v_fma_f64 v[105:106], v[89:90], v[105:106], v[152:153]
	ds_read_b128 v[87:90], v1 offset:1040
	v_add_f64 v[146:147], v[146:147], 0
	v_add_f64 v[2:3], v[2:3], 0
	s_waitcnt lgkmcnt(2)
	v_mul_f64 v[97:98], v[79:80], v[99:100]
	v_mul_f64 v[99:100], v[81:82], v[99:100]
	v_add_f64 v[146:147], v[146:147], v[148:149]
	v_add_f64 v[2:3], v[2:3], v[91:92]
	s_waitcnt vmcnt(43) lgkmcnt(1)
	v_mul_f64 v[91:92], v[83:84], v[101:102]
	v_mul_f64 v[101:102], v[85:86], v[101:102]
	s_waitcnt vmcnt(41)
	v_fma_f64 v[99:100], v[79:80], v[107:108], -v[99:100]
	v_fma_f64 v[97:98], v[81:82], v[107:108], v[97:98]
	ds_read_b128 v[79:82], v1 offset:1056
	s_waitcnt vmcnt(37) lgkmcnt(1)
	v_mul_f64 v[107:108], v[89:90], v[109:110]
	v_add_f64 v[95:96], v[146:147], v[95:96]
	v_add_f64 v[2:3], v[2:3], v[105:106]
	v_mul_f64 v[105:106], v[87:88], v[109:110]
	s_waitcnt vmcnt(36)
	v_fma_f64 v[101:102], v[83:84], v[103:104], -v[101:102]
	v_fma_f64 v[91:92], v[85:86], v[103:104], v[91:92]
	ds_read_b128 v[83:86], v1 offset:1072
	s_waitcnt vmcnt(33)
	v_fma_f64 v[103:104], v[87:88], v[115:116], -v[107:108]
	v_add_f64 v[95:96], v[95:96], v[99:100]
	v_add_f64 v[2:3], v[2:3], v[97:98]
	s_waitcnt lgkmcnt(1)
	v_mul_f64 v[99:100], v[81:82], v[111:112]
	v_mul_f64 v[97:98], v[79:80], v[111:112]
	v_add_f64 v[95:96], v[95:96], v[101:102]
	v_fma_f64 v[101:102], v[89:90], v[115:116], v[105:106]
	v_add_f64 v[2:3], v[2:3], v[91:92]
	ds_read_b128 v[87:90], v1 offset:1088
	s_waitcnt vmcnt(29) lgkmcnt(1)
	v_mul_f64 v[105:106], v[85:86], v[117:118]
	s_waitcnt vmcnt(28)
	v_fma_f64 v[99:100], v[79:80], v[113:114], -v[99:100]
	v_mul_f64 v[91:92], v[83:84], v[117:118]
	v_fma_f64 v[97:98], v[81:82], v[113:114], v[97:98]
	ds_read_b128 v[79:82], v1 offset:1104
	v_add_f64 v[95:96], v[95:96], v[103:104]
	s_waitcnt vmcnt(27) lgkmcnt(1)
	v_mul_f64 v[103:104], v[89:90], v[119:120]
	v_add_f64 v[2:3], v[2:3], v[101:102]
	v_mul_f64 v[101:102], v[87:88], v[119:120]
	s_waitcnt vmcnt(25)
	v_fma_f64 v[105:106], v[83:84], v[123:124], -v[105:106]
	v_fma_f64 v[91:92], v[85:86], v[123:124], v[91:92]
	ds_read_b128 v[83:86], v1 offset:1120
	v_add_f64 v[95:96], v[95:96], v[99:100]
	s_waitcnt vmcnt(21) lgkmcnt(1)
	v_mul_f64 v[99:100], v[81:82], v[125:126]
	v_add_f64 v[2:3], v[2:3], v[97:98]
	s_waitcnt vmcnt(20)
	v_fma_f64 v[103:104], v[87:88], v[121:122], -v[103:104]
	v_mul_f64 v[97:98], v[79:80], v[125:126]
	v_fma_f64 v[101:102], v[89:90], v[121:122], v[101:102]
	ds_read_b128 v[87:90], v1 offset:1136
	v_add_f64 v[95:96], v[95:96], v[105:106]
	s_waitcnt vmcnt(19) lgkmcnt(1)
	v_mul_f64 v[105:106], v[85:86], v[127:128]
	v_add_f64 v[2:3], v[2:3], v[91:92]
	s_waitcnt vmcnt(17)
	v_fma_f64 v[99:100], v[79:80], v[131:132], -v[99:100]
	v_mul_f64 v[91:92], v[83:84], v[127:128]
	;; [unrolled: 9-line block ×3, first 2 shown]
	v_fma_f64 v[85:86], v[85:86], v[129:130], v[91:92]
	v_add_f64 v[95:96], v[95:96], v[99:100]
	s_waitcnt vmcnt(11) lgkmcnt(0)
	v_mul_f64 v[99:100], v[81:82], v[136:137]
	v_add_f64 v[91:92], v[2:3], v[97:98]
	s_waitcnt vmcnt(9)
	v_fma_f64 v[87:88], v[87:88], v[140:141], -v[103:104]
	ds_read_b128 v[1:4], v1 offset:1168
	v_mul_f64 v[97:98], v[79:80], v[136:137]
	v_fma_f64 v[89:90], v[89:90], v[140:141], v[101:102]
	v_add_f64 v[83:84], v[95:96], v[83:84]
	s_waitcnt vmcnt(6)
	v_fma_f64 v[79:80], v[79:80], v[138:139], -v[99:100]
	v_add_f64 v[85:86], v[91:92], v[85:86]
	s_waitcnt lgkmcnt(0)
	v_mul_f64 v[95:96], v[3:4], v[142:143]
	v_mul_f64 v[91:92], v[1:2], v[142:143]
	v_fma_f64 v[81:82], v[81:82], v[138:139], v[97:98]
	v_add_f64 v[83:84], v[83:84], v[87:88]
	v_add_f64 v[85:86], v[85:86], v[89:90]
	s_waitcnt vmcnt(4)
	v_fma_f64 v[1:2], v[1:2], v[144:145], -v[95:96]
	v_fma_f64 v[3:4], v[3:4], v[144:145], v[91:92]
	v_add_f64 v[79:80], v[83:84], v[79:80]
	v_add_f64 v[81:82], v[85:86], v[81:82]
	;; [unrolled: 1-line block ×4, first 2 shown]
	s_waitcnt vmcnt(2)
	v_add_f64 v[1:2], v[93:94], -v[1:2]
	s_waitcnt vmcnt(0)
	v_add_f64 v[3:4], v[150:151], -v[3:4]
	buffer_store_dword v2, off, s[0:3], 0 offset:372
	buffer_store_dword v1, off, s[0:3], 0 offset:368
	;; [unrolled: 1-line block ×4, first 2 shown]
	v_cmpx_lt_u32_e32 21, v0
	s_cbranch_execz .LBB100_193
; %bb.192:
	v_mov_b32_e32 v4, s27
	v_mov_b32_e32 v79, 0
	s_clause 0x3
	buffer_load_dword v1, v4, s[0:3], 0 offen
	buffer_load_dword v2, v4, s[0:3], 0 offen offset:4
	buffer_load_dword v3, v4, s[0:3], 0 offen offset:8
	;; [unrolled: 1-line block ×3, first 2 shown]
	buffer_store_dword v79, off, s[0:3], 0 offset:352
	buffer_store_dword v79, off, s[0:3], 0 offset:356
	;; [unrolled: 1-line block ×4, first 2 shown]
	s_waitcnt vmcnt(0)
	ds_write_b128 v133, v[1:4]
.LBB100_193:
	s_or_b32 exec_lo, exec_lo, s4
	s_waitcnt lgkmcnt(0)
	s_waitcnt_vscnt null, 0x0
	s_barrier
	buffer_gl0_inv
	s_clause 0x37
	buffer_load_dword v2, off, s[0:3], 0 offset:376
	buffer_load_dword v3, off, s[0:3], 0 offset:380
	;; [unrolled: 1-line block ×56, first 2 shown]
	v_mov_b32_e32 v1, 0
	s_mov_b32 s4, exec_lo
	ds_read_b128 v[79:82], v1 offset:944
	s_clause 0x2
	buffer_load_dword v145, off, s[0:3], 0 offset:604
	buffer_load_dword v149, off, s[0:3], 0 offset:580
	;; [unrolled: 1-line block ×3, first 2 shown]
	ds_read_b128 v[83:86], v1 offset:960
	ds_read_b128 v[87:90], v1 offset:976
	buffer_load_dword v147, off, s[0:3], 0 offset:596
	s_waitcnt vmcnt(58) lgkmcnt(2)
	v_mul_f64 v[150:151], v[81:82], v[2:3]
	v_mul_f64 v[2:3], v[79:80], v[2:3]
	s_waitcnt vmcnt(56) lgkmcnt(1)
	v_mul_f64 v[152:153], v[85:86], v[91:92]
	v_mul_f64 v[91:92], v[83:84], v[91:92]
	s_waitcnt vmcnt(54)
	v_fma_f64 v[150:151], v[79:80], v[93:94], -v[150:151]
	v_fma_f64 v[2:3], v[81:82], v[93:94], v[2:3]
	s_waitcnt vmcnt(52) lgkmcnt(0)
	v_mul_f64 v[93:94], v[87:88], v[95:96]
	v_mul_f64 v[95:96], v[89:90], v[95:96]
	s_waitcnt vmcnt(50)
	v_fma_f64 v[152:153], v[83:84], v[97:98], -v[152:153]
	ds_read_b128 v[79:82], v1 offset:992
	v_fma_f64 v[91:92], v[85:86], v[97:98], v[91:92]
	s_clause 0x3
	buffer_load_dword v97, off, s[0:3], 0 offset:352
	buffer_load_dword v98, off, s[0:3], 0 offset:356
	;; [unrolled: 1-line block ×4, first 2 shown]
	ds_read_b128 v[83:86], v1 offset:1008
	v_add_f64 v[150:151], v[150:151], 0
	v_add_f64 v[2:3], v[2:3], 0
	s_waitcnt vmcnt(48)
	v_fma_f64 v[93:94], v[89:90], v[105:106], v[93:94]
	s_waitcnt lgkmcnt(1)
	v_mul_f64 v[156:157], v[79:80], v[99:100]
	v_mul_f64 v[99:100], v[81:82], v[99:100]
	v_fma_f64 v[95:96], v[87:88], v[105:106], -v[95:96]
	ds_read_b128 v[87:90], v1 offset:1024
	v_add_f64 v[150:151], v[150:151], v[152:153]
	v_add_f64 v[2:3], v[2:3], v[91:92]
	s_waitcnt vmcnt(47) lgkmcnt(1)
	v_mul_f64 v[91:92], v[83:84], v[101:102]
	v_mul_f64 v[101:102], v[85:86], v[101:102]
	s_waitcnt vmcnt(45)
	v_fma_f64 v[99:100], v[79:80], v[107:108], -v[99:100]
	v_fma_f64 v[105:106], v[81:82], v[107:108], v[156:157]
	s_waitcnt vmcnt(41) lgkmcnt(0)
	v_mul_f64 v[107:108], v[89:90], v[109:110]
	ds_read_b128 v[79:82], v1 offset:1040
	v_add_f64 v[95:96], v[150:151], v[95:96]
	v_add_f64 v[2:3], v[2:3], v[93:94]
	v_mul_f64 v[93:94], v[87:88], v[109:110]
	s_waitcnt vmcnt(40)
	v_fma_f64 v[101:102], v[83:84], v[103:104], -v[101:102]
	v_fma_f64 v[91:92], v[85:86], v[103:104], v[91:92]
	ds_read_b128 v[83:86], v1 offset:1056
	s_waitcnt vmcnt(39) lgkmcnt(1)
	v_mul_f64 v[103:104], v[81:82], v[111:112]
	v_add_f64 v[95:96], v[95:96], v[99:100]
	v_add_f64 v[2:3], v[2:3], v[105:106]
	s_waitcnt vmcnt(37)
	v_fma_f64 v[105:106], v[87:88], v[115:116], -v[107:108]
	v_mul_f64 v[99:100], v[79:80], v[111:112]
	v_fma_f64 v[93:94], v[89:90], v[115:116], v[93:94]
	ds_read_b128 v[87:90], v1 offset:1072
	s_waitcnt vmcnt(32)
	v_fma_f64 v[103:104], v[79:80], v[113:114], -v[103:104]
	v_add_f64 v[95:96], v[95:96], v[101:102]
	v_add_f64 v[2:3], v[2:3], v[91:92]
	s_waitcnt lgkmcnt(1)
	v_mul_f64 v[101:102], v[85:86], v[117:118]
	v_mul_f64 v[91:92], v[83:84], v[117:118]
	v_fma_f64 v[99:100], v[81:82], v[113:114], v[99:100]
	ds_read_b128 v[79:82], v1 offset:1088
	v_add_f64 v[95:96], v[95:96], v[105:106]
	v_add_f64 v[2:3], v[2:3], v[93:94]
	s_waitcnt vmcnt(31) lgkmcnt(1)
	v_mul_f64 v[105:106], v[89:90], v[119:120]
	s_waitcnt vmcnt(29)
	v_fma_f64 v[101:102], v[83:84], v[123:124], -v[101:102]
	v_mul_f64 v[93:94], v[87:88], v[119:120]
	v_fma_f64 v[91:92], v[85:86], v[123:124], v[91:92]
	ds_read_b128 v[83:86], v1 offset:1104
	v_add_f64 v[95:96], v[95:96], v[103:104]
	v_add_f64 v[2:3], v[2:3], v[99:100]
	s_waitcnt vmcnt(25) lgkmcnt(1)
	v_mul_f64 v[103:104], v[81:82], v[125:126]
	s_waitcnt vmcnt(24)
	v_fma_f64 v[105:106], v[87:88], v[121:122], -v[105:106]
	;; [unrolled: 9-line block ×6, first 2 shown]
	v_mul_f64 v[91:92], v[83:84], v[142:143]
	v_fma_f64 v[81:82], v[81:82], v[138:139], v[99:100]
	s_waitcnt vmcnt(7) lgkmcnt(0)
	v_mul_f64 v[99:100], v[89:90], v[144:145]
	v_add_f64 v[95:96], v[95:96], v[105:106]
	v_add_f64 v[2:3], v[2:3], v[93:94]
	s_waitcnt vmcnt(5)
	v_fma_f64 v[83:84], v[83:84], v[148:149], -v[101:102]
	v_mul_f64 v[93:94], v[87:88], v[144:145]
	v_fma_f64 v[85:86], v[85:86], v[148:149], v[91:92]
	v_add_f64 v[79:80], v[95:96], v[79:80]
	v_add_f64 v[2:3], v[2:3], v[81:82]
	s_waitcnt vmcnt(4)
	v_fma_f64 v[81:82], v[87:88], v[146:147], -v[99:100]
	v_add_f64 v[79:80], v[79:80], v[83:84]
	v_fma_f64 v[83:84], v[89:90], v[146:147], v[93:94]
	v_add_f64 v[2:3], v[2:3], v[85:86]
	v_add_f64 v[79:80], v[79:80], v[81:82]
	;; [unrolled: 1-line block ×3, first 2 shown]
	s_waitcnt vmcnt(2)
	v_add_f64 v[79:80], v[97:98], -v[79:80]
	s_waitcnt vmcnt(0)
	v_add_f64 v[2:3], v[154:155], -v[2:3]
	buffer_store_dword v80, off, s[0:3], 0 offset:356
	buffer_store_dword v79, off, s[0:3], 0 offset:352
	buffer_store_dword v3, off, s[0:3], 0 offset:364
	buffer_store_dword v2, off, s[0:3], 0 offset:360
	v_cmpx_lt_u32_e32 20, v0
	s_cbranch_execz .LBB100_195
; %bb.194:
	v_mov_b32_e32 v2, s28
	s_clause 0x3
	buffer_load_dword v79, v2, s[0:3], 0 offen
	buffer_load_dword v80, v2, s[0:3], 0 offen offset:4
	buffer_load_dword v81, v2, s[0:3], 0 offen offset:8
	;; [unrolled: 1-line block ×3, first 2 shown]
	buffer_store_dword v1, off, s[0:3], 0 offset:336
	buffer_store_dword v1, off, s[0:3], 0 offset:340
	;; [unrolled: 1-line block ×4, first 2 shown]
	s_waitcnt vmcnt(0)
	ds_write_b128 v133, v[79:82]
.LBB100_195:
	s_or_b32 exec_lo, exec_lo, s4
	s_waitcnt lgkmcnt(0)
	s_waitcnt_vscnt null, 0x0
	s_barrier
	buffer_gl0_inv
	s_clause 0x37
	buffer_load_dword v2, off, s[0:3], 0 offset:360
	buffer_load_dword v3, off, s[0:3], 0 offset:364
	buffer_load_dword v91, off, s[0:3], 0 offset:376
	buffer_load_dword v92, off, s[0:3], 0 offset:380
	buffer_load_dword v93, off, s[0:3], 0 offset:352
	buffer_load_dword v94, off, s[0:3], 0 offset:356
	buffer_load_dword v95, off, s[0:3], 0 offset:392
	buffer_load_dword v96, off, s[0:3], 0 offset:396
	buffer_load_dword v97, off, s[0:3], 0 offset:368
	buffer_load_dword v98, off, s[0:3], 0 offset:372
	buffer_load_dword v100, off, s[0:3], 0 offset:412
	buffer_load_dword v101, off, s[0:3], 0 offset:424
	buffer_load_dword v103, off, s[0:3], 0 offset:416
	buffer_load_dword v99, off, s[0:3], 0 offset:408
	buffer_load_dword v105, off, s[0:3], 0 offset:384
	buffer_load_dword v106, off, s[0:3], 0 offset:388
	buffer_load_dword v102, off, s[0:3], 0 offset:428
	buffer_load_dword v108, off, s[0:3], 0 offset:404
	buffer_load_dword v107, off, s[0:3], 0 offset:400
	buffer_load_dword v110, off, s[0:3], 0 offset:444
	buffer_load_dword v111, off, s[0:3], 0 offset:456
	buffer_load_dword v113, off, s[0:3], 0 offset:448
	buffer_load_dword v109, off, s[0:3], 0 offset:440
	buffer_load_dword v104, off, s[0:3], 0 offset:420
	buffer_load_dword v112, off, s[0:3], 0 offset:460
	buffer_load_dword v116, off, s[0:3], 0 offset:436
	buffer_load_dword v115, off, s[0:3], 0 offset:432
	buffer_load_dword v118, off, s[0:3], 0 offset:476
	buffer_load_dword v119, off, s[0:3], 0 offset:488
	buffer_load_dword v121, off, s[0:3], 0 offset:480
	buffer_load_dword v117, off, s[0:3], 0 offset:472
	buffer_load_dword v114, off, s[0:3], 0 offset:452
	buffer_load_dword v120, off, s[0:3], 0 offset:492
	buffer_load_dword v124, off, s[0:3], 0 offset:468
	buffer_load_dword v123, off, s[0:3], 0 offset:464
	buffer_load_dword v126, off, s[0:3], 0 offset:508
	buffer_load_dword v127, off, s[0:3], 0 offset:520
	buffer_load_dword v129, off, s[0:3], 0 offset:512
	buffer_load_dword v125, off, s[0:3], 0 offset:504
	buffer_load_dword v122, off, s[0:3], 0 offset:484
	buffer_load_dword v128, off, s[0:3], 0 offset:524
	buffer_load_dword v132, off, s[0:3], 0 offset:500
	buffer_load_dword v131, off, s[0:3], 0 offset:496
	buffer_load_dword v135, off, s[0:3], 0 offset:540
	buffer_load_dword v136, off, s[0:3], 0 offset:552
	buffer_load_dword v138, off, s[0:3], 0 offset:544
	buffer_load_dword v134, off, s[0:3], 0 offset:536
	buffer_load_dword v130, off, s[0:3], 0 offset:516
	buffer_load_dword v137, off, s[0:3], 0 offset:556
	buffer_load_dword v141, off, s[0:3], 0 offset:532
	buffer_load_dword v140, off, s[0:3], 0 offset:528
	buffer_load_dword v143, off, s[0:3], 0 offset:572
	buffer_load_dword v144, off, s[0:3], 0 offset:584
	buffer_load_dword v146, off, s[0:3], 0 offset:576
	buffer_load_dword v142, off, s[0:3], 0 offset:568
	buffer_load_dword v139, off, s[0:3], 0 offset:548
	ds_read_b128 v[79:82], v1 offset:928
	s_clause 0x2
	buffer_load_dword v145, off, s[0:3], 0 offset:588
	buffer_load_dword v149, off, s[0:3], 0 offset:564
	;; [unrolled: 1-line block ×3, first 2 shown]
	ds_read_b128 v[83:86], v1 offset:944
	s_clause 0x2
	buffer_load_dword v153, off, s[0:3], 0 offset:604
	buffer_load_dword v152, off, s[0:3], 0 offset:600
	;; [unrolled: 1-line block ×3, first 2 shown]
	ds_read_b128 v[87:90], v1 offset:960
	s_mov_b32 s4, exec_lo
	s_waitcnt vmcnt(60) lgkmcnt(2)
	v_mul_f64 v[150:151], v[81:82], v[2:3]
	v_mul_f64 v[2:3], v[79:80], v[2:3]
	s_waitcnt vmcnt(58) lgkmcnt(1)
	v_mul_f64 v[154:155], v[85:86], v[91:92]
	v_mul_f64 v[91:92], v[83:84], v[91:92]
	s_waitcnt vmcnt(54) lgkmcnt(0)
	v_mul_f64 v[156:157], v[87:88], v[95:96]
	v_mul_f64 v[95:96], v[89:90], v[95:96]
	v_fma_f64 v[150:151], v[79:80], v[93:94], -v[150:151]
	v_fma_f64 v[2:3], v[81:82], v[93:94], v[2:3]
	s_clause 0x1
	buffer_load_dword v94, off, s[0:3], 0 offset:596
	buffer_load_dword v93, off, s[0:3], 0 offset:592
	s_waitcnt vmcnt(54)
	v_fma_f64 v[154:155], v[83:84], v[97:98], -v[154:155]
	ds_read_b128 v[79:82], v1 offset:976
	v_fma_f64 v[91:92], v[85:86], v[97:98], v[91:92]
	ds_read_b128 v[83:86], v1 offset:992
	s_waitcnt vmcnt(48)
	v_fma_f64 v[95:96], v[87:88], v[105:106], -v[95:96]
	v_fma_f64 v[105:106], v[89:90], v[105:106], v[156:157]
	v_add_f64 v[150:151], v[150:151], 0
	v_add_f64 v[2:3], v[2:3], 0
	s_waitcnt lgkmcnt(1)
	v_mul_f64 v[97:98], v[79:80], v[99:100]
	v_mul_f64 v[99:100], v[81:82], v[99:100]
	s_waitcnt vmcnt(47) lgkmcnt(0)
	v_mul_f64 v[156:157], v[83:84], v[101:102]
	v_mul_f64 v[101:102], v[85:86], v[101:102]
	v_add_f64 v[150:151], v[150:151], v[154:155]
	v_add_f64 v[2:3], v[2:3], v[91:92]
	s_clause 0x3
	buffer_load_dword v91, off, s[0:3], 0 offset:336
	buffer_load_dword v92, off, s[0:3], 0 offset:340
	;; [unrolled: 1-line block ×4, first 2 shown]
	s_waitcnt vmcnt(49)
	v_fma_f64 v[99:100], v[79:80], v[107:108], -v[99:100]
	ds_read_b128 v[87:90], v1 offset:1008
	v_fma_f64 v[97:98], v[81:82], v[107:108], v[97:98]
	ds_read_b128 v[79:82], v1 offset:1024
	s_waitcnt vmcnt(44)
	v_fma_f64 v[101:102], v[83:84], v[103:104], -v[101:102]
	v_add_f64 v[95:96], v[150:151], v[95:96]
	v_add_f64 v[2:3], v[2:3], v[105:106]
	s_waitcnt lgkmcnt(1)
	v_mul_f64 v[107:108], v[89:90], v[109:110]
	v_mul_f64 v[105:106], v[87:88], v[109:110]
	v_add_f64 v[95:96], v[95:96], v[99:100]
	v_fma_f64 v[99:100], v[85:86], v[103:104], v[156:157]
	v_add_f64 v[2:3], v[2:3], v[97:98]
	s_waitcnt vmcnt(43) lgkmcnt(0)
	v_mul_f64 v[103:104], v[81:82], v[111:112]
	s_waitcnt vmcnt(41)
	v_fma_f64 v[107:108], v[87:88], v[115:116], -v[107:108]
	ds_read_b128 v[83:86], v1 offset:1040
	v_mul_f64 v[97:98], v[79:80], v[111:112]
	v_add_f64 v[95:96], v[95:96], v[101:102]
	v_fma_f64 v[101:102], v[89:90], v[115:116], v[105:106]
	v_add_f64 v[2:3], v[2:3], v[99:100]
	ds_read_b128 v[87:90], v1 offset:1056
	s_waitcnt vmcnt(37) lgkmcnt(1)
	v_mul_f64 v[105:106], v[85:86], v[117:118]
	s_waitcnt vmcnt(36)
	v_fma_f64 v[103:104], v[79:80], v[113:114], -v[103:104]
	v_mul_f64 v[99:100], v[83:84], v[117:118]
	v_fma_f64 v[97:98], v[81:82], v[113:114], v[97:98]
	ds_read_b128 v[79:82], v1 offset:1072
	v_add_f64 v[95:96], v[95:96], v[107:108]
	s_waitcnt vmcnt(35) lgkmcnt(1)
	v_mul_f64 v[107:108], v[89:90], v[119:120]
	v_add_f64 v[2:3], v[2:3], v[101:102]
	v_mul_f64 v[101:102], v[87:88], v[119:120]
	s_waitcnt vmcnt(33)
	v_fma_f64 v[105:106], v[83:84], v[123:124], -v[105:106]
	v_fma_f64 v[99:100], v[85:86], v[123:124], v[99:100]
	ds_read_b128 v[83:86], v1 offset:1088
	v_add_f64 v[95:96], v[95:96], v[103:104]
	s_waitcnt vmcnt(29) lgkmcnt(1)
	v_mul_f64 v[103:104], v[81:82], v[125:126]
	v_add_f64 v[2:3], v[2:3], v[97:98]
	s_waitcnt vmcnt(28)
	v_fma_f64 v[107:108], v[87:88], v[121:122], -v[107:108]
	v_mul_f64 v[97:98], v[79:80], v[125:126]
	v_fma_f64 v[101:102], v[89:90], v[121:122], v[101:102]
	ds_read_b128 v[87:90], v1 offset:1104
	v_add_f64 v[95:96], v[95:96], v[105:106]
	s_waitcnt vmcnt(27) lgkmcnt(1)
	v_mul_f64 v[105:106], v[85:86], v[127:128]
	v_add_f64 v[2:3], v[2:3], v[99:100]
	s_waitcnt vmcnt(25)
	v_fma_f64 v[103:104], v[79:80], v[131:132], -v[103:104]
	v_mul_f64 v[99:100], v[83:84], v[127:128]
	;; [unrolled: 9-line block ×5, first 2 shown]
	v_fma_f64 v[81:82], v[81:82], v[138:139], v[97:98]
	s_waitcnt vmcnt(11) lgkmcnt(0)
	v_mul_f64 v[103:104], v[89:90], v[144:145]
	v_add_f64 v[95:96], v[95:96], v[107:108]
	s_waitcnt vmcnt(9)
	v_fma_f64 v[83:84], v[83:84], v[148:149], -v[105:106]
	v_add_f64 v[97:98], v[2:3], v[101:102]
	ds_read_b128 v[1:4], v1 offset:1168
	v_mul_f64 v[101:102], v[87:88], v[144:145]
	v_fma_f64 v[85:86], v[85:86], v[148:149], v[99:100]
	s_waitcnt vmcnt(6)
	v_fma_f64 v[87:88], v[87:88], v[146:147], -v[103:104]
	v_add_f64 v[79:80], v[95:96], v[79:80]
	s_waitcnt lgkmcnt(0)
	v_mul_f64 v[95:96], v[1:2], v[152:153]
	v_add_f64 v[81:82], v[97:98], v[81:82]
	v_mul_f64 v[97:98], v[3:4], v[152:153]
	v_add_f64 v[79:80], v[79:80], v[83:84]
	v_fma_f64 v[83:84], v[89:90], v[146:147], v[101:102]
	v_add_f64 v[81:82], v[81:82], v[85:86]
	s_waitcnt vmcnt(4)
	v_fma_f64 v[1:2], v[1:2], v[93:94], -v[97:98]
	v_fma_f64 v[3:4], v[3:4], v[93:94], v[95:96]
	v_add_f64 v[79:80], v[79:80], v[87:88]
	v_add_f64 v[81:82], v[81:82], v[83:84]
	;; [unrolled: 1-line block ×4, first 2 shown]
	s_waitcnt vmcnt(2)
	v_add_f64 v[1:2], v[91:92], -v[1:2]
	s_waitcnt vmcnt(0)
	v_add_f64 v[3:4], v[154:155], -v[3:4]
	buffer_store_dword v2, off, s[0:3], 0 offset:340
	buffer_store_dword v1, off, s[0:3], 0 offset:336
	;; [unrolled: 1-line block ×4, first 2 shown]
	v_cmpx_lt_u32_e32 19, v0
	s_cbranch_execz .LBB100_197
; %bb.196:
	v_mov_b32_e32 v4, s29
	v_mov_b32_e32 v79, 0
	s_clause 0x3
	buffer_load_dword v1, v4, s[0:3], 0 offen
	buffer_load_dword v2, v4, s[0:3], 0 offen offset:4
	buffer_load_dword v3, v4, s[0:3], 0 offen offset:8
	;; [unrolled: 1-line block ×3, first 2 shown]
	buffer_store_dword v79, off, s[0:3], 0 offset:320
	buffer_store_dword v79, off, s[0:3], 0 offset:324
	;; [unrolled: 1-line block ×4, first 2 shown]
	s_waitcnt vmcnt(0)
	ds_write_b128 v133, v[1:4]
.LBB100_197:
	s_or_b32 exec_lo, exec_lo, s4
	s_waitcnt lgkmcnt(0)
	s_waitcnt_vscnt null, 0x0
	s_barrier
	buffer_gl0_inv
	s_clause 0x35
	buffer_load_dword v2, off, s[0:3], 0 offset:344
	buffer_load_dword v3, off, s[0:3], 0 offset:348
	;; [unrolled: 1-line block ×54, first 2 shown]
	v_mov_b32_e32 v1, 0
	s_mov_b32 s4, exec_lo
	ds_read_b128 v[79:82], v1 offset:912
	s_clause 0x3
	buffer_load_dword v144, off, s[0:3], 0 offset:568
	buffer_load_dword v145, off, s[0:3], 0 offset:572
	;; [unrolled: 1-line block ×4, first 2 shown]
	ds_read_b128 v[83:86], v1 offset:928
	s_clause 0x3
	buffer_load_dword v151, off, s[0:3], 0 offset:588
	buffer_load_dword v150, off, s[0:3], 0 offset:584
	;; [unrolled: 1-line block ×4, first 2 shown]
	ds_read_b128 v[87:90], v1 offset:944
	s_waitcnt vmcnt(60) lgkmcnt(2)
	v_mul_f64 v[148:149], v[81:82], v[2:3]
	v_mul_f64 v[2:3], v[79:80], v[2:3]
	s_waitcnt vmcnt(58) lgkmcnt(1)
	v_mul_f64 v[154:155], v[85:86], v[91:92]
	v_mul_f64 v[91:92], v[83:84], v[91:92]
	;; [unrolled: 3-line block ×3, first 2 shown]
	v_fma_f64 v[148:149], v[79:80], v[93:94], -v[148:149]
	v_fma_f64 v[2:3], v[81:82], v[93:94], v[2:3]
	s_clause 0x3
	buffer_load_dword v93, off, s[0:3], 0 offset:600
	buffer_load_dword v94, off, s[0:3], 0 offset:604
	;; [unrolled: 1-line block ×4, first 2 shown]
	s_waitcnt vmcnt(56)
	v_fma_f64 v[154:155], v[83:84], v[97:98], -v[154:155]
	ds_read_b128 v[79:82], v1 offset:960
	v_fma_f64 v[91:92], v[85:86], v[97:98], v[91:92]
	s_clause 0x1
	buffer_load_dword v97, off, s[0:3], 0 offset:592
	buffer_load_dword v98, off, s[0:3], 0 offset:596
	s_waitcnt vmcnt(54)
	v_fma_f64 v[95:96], v[87:88], v[101:102], -v[95:96]
	ds_read_b128 v[83:86], v1 offset:976
	v_fma_f64 v[101:102], v[89:90], v[101:102], v[158:159]
	ds_read_b128 v[87:90], v1 offset:992
	v_add_f64 v[148:149], v[148:149], 0
	v_add_f64 v[2:3], v[2:3], 0
	s_waitcnt lgkmcnt(2)
	v_mul_f64 v[160:161], v[79:80], v[99:100]
	v_mul_f64 v[99:100], v[81:82], v[99:100]
	v_add_f64 v[148:149], v[148:149], v[154:155]
	v_add_f64 v[2:3], v[2:3], v[91:92]
	s_waitcnt vmcnt(52) lgkmcnt(1)
	v_mul_f64 v[91:92], v[83:84], v[103:104]
	v_mul_f64 v[103:104], v[85:86], v[103:104]
	s_waitcnt vmcnt(50)
	v_fma_f64 v[99:100], v[79:80], v[105:106], -v[99:100]
	v_fma_f64 v[105:106], v[81:82], v[105:106], v[160:161]
	s_waitcnt vmcnt(48) lgkmcnt(0)
	v_mul_f64 v[154:155], v[87:88], v[107:108]
	v_mul_f64 v[107:108], v[89:90], v[107:108]
	v_add_f64 v[95:96], v[148:149], v[95:96]
	v_add_f64 v[2:3], v[2:3], v[101:102]
	s_clause 0x3
	buffer_load_dword v101, off, s[0:3], 0 offset:320
	buffer_load_dword v102, off, s[0:3], 0 offset:324
	;; [unrolled: 1-line block ×4, first 2 shown]
	s_waitcnt vmcnt(50)
	v_fma_f64 v[103:104], v[83:84], v[109:110], -v[103:104]
	ds_read_b128 v[79:82], v1 offset:1008
	v_fma_f64 v[91:92], v[85:86], v[109:110], v[91:92]
	ds_read_b128 v[83:86], v1 offset:1024
	s_waitcnt vmcnt(46)
	v_fma_f64 v[107:108], v[87:88], v[113:114], -v[107:108]
	v_add_f64 v[95:96], v[95:96], v[99:100]
	v_add_f64 v[2:3], v[2:3], v[105:106]
	s_waitcnt lgkmcnt(1)
	v_mul_f64 v[105:106], v[81:82], v[111:112]
	v_mul_f64 v[99:100], v[79:80], v[111:112]
	s_waitcnt vmcnt(44) lgkmcnt(0)
	v_mul_f64 v[109:110], v[85:86], v[115:116]
	v_add_f64 v[95:96], v[95:96], v[103:104]
	v_fma_f64 v[103:104], v[89:90], v[113:114], v[154:155]
	v_add_f64 v[2:3], v[2:3], v[91:92]
	s_waitcnt vmcnt(42)
	v_fma_f64 v[105:106], v[79:80], v[117:118], -v[105:106]
	ds_read_b128 v[87:90], v1 offset:1040
	v_mul_f64 v[91:92], v[83:84], v[115:116]
	v_fma_f64 v[99:100], v[81:82], v[117:118], v[99:100]
	ds_read_b128 v[79:82], v1 offset:1056
	s_waitcnt vmcnt(38)
	v_fma_f64 v[109:110], v[83:84], v[121:122], -v[109:110]
	v_add_f64 v[95:96], v[95:96], v[107:108]
	v_add_f64 v[2:3], v[2:3], v[103:104]
	s_waitcnt lgkmcnt(1)
	v_mul_f64 v[107:108], v[89:90], v[119:120]
	v_mul_f64 v[103:104], v[87:88], v[119:120]
	v_fma_f64 v[91:92], v[85:86], v[121:122], v[91:92]
	ds_read_b128 v[83:86], v1 offset:1072
	v_add_f64 v[95:96], v[95:96], v[105:106]
	s_waitcnt vmcnt(36) lgkmcnt(1)
	v_mul_f64 v[105:106], v[81:82], v[123:124]
	v_add_f64 v[2:3], v[2:3], v[99:100]
	s_waitcnt vmcnt(34)
	v_fma_f64 v[107:108], v[87:88], v[125:126], -v[107:108]
	v_mul_f64 v[99:100], v[79:80], v[123:124]
	v_fma_f64 v[103:104], v[89:90], v[125:126], v[103:104]
	ds_read_b128 v[87:90], v1 offset:1088
	v_add_f64 v[95:96], v[95:96], v[109:110]
	s_waitcnt vmcnt(32) lgkmcnt(1)
	v_mul_f64 v[109:110], v[85:86], v[127:128]
	v_add_f64 v[2:3], v[2:3], v[91:92]
	s_waitcnt vmcnt(30)
	v_fma_f64 v[105:106], v[79:80], v[129:130], -v[105:106]
	;; [unrolled: 9-line block ×7, first 2 shown]
	v_mul_f64 v[99:100], v[79:80], v[150:151]
	v_fma_f64 v[89:90], v[89:90], v[152:153], v[103:104]
	v_add_f64 v[95:96], v[95:96], v[109:110]
	v_add_f64 v[2:3], v[2:3], v[91:92]
	s_waitcnt vmcnt(8) lgkmcnt(0)
	v_mul_f64 v[91:92], v[83:84], v[93:94]
	v_mul_f64 v[93:94], v[85:86], v[93:94]
	s_waitcnt vmcnt(6)
	v_fma_f64 v[79:80], v[79:80], v[156:157], -v[105:106]
	v_fma_f64 v[81:82], v[81:82], v[156:157], v[99:100]
	v_add_f64 v[87:88], v[95:96], v[87:88]
	v_add_f64 v[2:3], v[2:3], v[89:90]
	s_waitcnt vmcnt(4)
	v_fma_f64 v[85:86], v[85:86], v[97:98], v[91:92]
	v_fma_f64 v[83:84], v[83:84], v[97:98], -v[93:94]
	v_add_f64 v[79:80], v[87:88], v[79:80]
	v_add_f64 v[2:3], v[2:3], v[81:82]
	;; [unrolled: 1-line block ×4, first 2 shown]
	s_waitcnt vmcnt(2)
	v_add_f64 v[79:80], v[101:102], -v[79:80]
	s_waitcnt vmcnt(0)
	v_add_f64 v[2:3], v[148:149], -v[2:3]
	buffer_store_dword v80, off, s[0:3], 0 offset:324
	buffer_store_dword v79, off, s[0:3], 0 offset:320
	;; [unrolled: 1-line block ×4, first 2 shown]
	v_cmpx_lt_u32_e32 18, v0
	s_cbranch_execz .LBB100_199
; %bb.198:
	v_mov_b32_e32 v2, s30
	s_clause 0x3
	buffer_load_dword v79, v2, s[0:3], 0 offen
	buffer_load_dword v80, v2, s[0:3], 0 offen offset:4
	buffer_load_dword v81, v2, s[0:3], 0 offen offset:8
	;; [unrolled: 1-line block ×3, first 2 shown]
	buffer_store_dword v1, off, s[0:3], 0 offset:304
	buffer_store_dword v1, off, s[0:3], 0 offset:308
	;; [unrolled: 1-line block ×4, first 2 shown]
	s_waitcnt vmcnt(0)
	ds_write_b128 v133, v[79:82]
.LBB100_199:
	s_or_b32 exec_lo, exec_lo, s4
	s_waitcnt lgkmcnt(0)
	s_waitcnt_vscnt null, 0x0
	s_barrier
	buffer_gl0_inv
	s_clause 0x37
	buffer_load_dword v2, off, s[0:3], 0 offset:328
	buffer_load_dword v3, off, s[0:3], 0 offset:332
	;; [unrolled: 1-line block ×56, first 2 shown]
	ds_read_b128 v[79:82], v1 offset:896
	s_clause 0x2
	buffer_load_dword v145, off, s[0:3], 0 offset:556
	buffer_load_dword v149, off, s[0:3], 0 offset:532
	;; [unrolled: 1-line block ×3, first 2 shown]
	ds_read_b128 v[83:86], v1 offset:912
	s_clause 0x4
	buffer_load_dword v153, off, s[0:3], 0 offset:572
	buffer_load_dword v154, off, s[0:3], 0 offset:584
	;; [unrolled: 1-line block ×5, first 2 shown]
	ds_read_b128 v[87:90], v1 offset:928
	s_mov_b32 s4, exec_lo
	s_waitcnt vmcnt(62) lgkmcnt(2)
	v_mul_f64 v[150:151], v[81:82], v[2:3]
	v_mul_f64 v[2:3], v[79:80], v[2:3]
	s_waitcnt vmcnt(60) lgkmcnt(1)
	v_mul_f64 v[157:158], v[85:86], v[91:92]
	v_mul_f64 v[91:92], v[83:84], v[91:92]
	;; [unrolled: 3-line block ×3, first 2 shown]
	v_fma_f64 v[150:151], v[79:80], v[93:94], -v[150:151]
	v_fma_f64 v[2:3], v[81:82], v[93:94], v[2:3]
	s_clause 0x2
	buffer_load_dword v155, off, s[0:3], 0 offset:588
	buffer_load_dword v94, off, s[0:3], 0 offset:564
	buffer_load_dword v93, off, s[0:3], 0 offset:560
	s_waitcnt vmcnt(57)
	v_fma_f64 v[161:162], v[83:84], v[97:98], -v[157:158]
	ds_read_b128 v[79:82], v1 offset:944
	v_fma_f64 v[91:92], v[85:86], v[97:98], v[91:92]
	s_clause 0x2
	buffer_load_dword v98, off, s[0:3], 0 offset:604
	buffer_load_dword v97, off, s[0:3], 0 offset:600
	;; [unrolled: 1-line block ×3, first 2 shown]
	s_waitcnt vmcnt(54)
	v_fma_f64 v[95:96], v[87:88], v[105:106], -v[95:96]
	ds_read_b128 v[83:86], v1 offset:960
	v_fma_f64 v[105:106], v[89:90], v[105:106], v[159:160]
	v_add_f64 v[150:151], v[150:151], 0
	v_add_f64 v[2:3], v[2:3], 0
	s_waitcnt lgkmcnt(1)
	v_mul_f64 v[163:164], v[79:80], v[99:100]
	v_mul_f64 v[99:100], v[81:82], v[99:100]
	s_waitcnt vmcnt(53) lgkmcnt(0)
	v_mul_f64 v[158:159], v[83:84], v[101:102]
	v_mul_f64 v[101:102], v[85:86], v[101:102]
	v_add_f64 v[150:151], v[150:151], v[161:162]
	v_add_f64 v[2:3], v[2:3], v[91:92]
	s_clause 0x1
	buffer_load_dword v92, off, s[0:3], 0 offset:596
	buffer_load_dword v91, off, s[0:3], 0 offset:592
	s_waitcnt vmcnt(53)
	v_fma_f64 v[99:100], v[79:80], v[107:108], -v[99:100]
	ds_read_b128 v[87:90], v1 offset:976
	v_fma_f64 v[107:108], v[81:82], v[107:108], v[163:164]
	ds_read_b128 v[79:82], v1 offset:992
	s_waitcnt vmcnt(48)
	v_fma_f64 v[101:102], v[83:84], v[103:104], -v[101:102]
	v_add_f64 v[95:96], v[150:151], v[95:96]
	v_add_f64 v[2:3], v[2:3], v[105:106]
	s_waitcnt lgkmcnt(1)
	v_mul_f64 v[105:106], v[87:88], v[109:110]
	v_mul_f64 v[109:110], v[89:90], v[109:110]
	s_waitcnt vmcnt(47) lgkmcnt(0)
	v_mul_f64 v[150:151], v[79:80], v[111:112]
	v_mul_f64 v[111:112], v[81:82], v[111:112]
	v_add_f64 v[95:96], v[95:96], v[99:100]
	v_fma_f64 v[99:100], v[85:86], v[103:104], v[158:159]
	v_add_f64 v[2:3], v[2:3], v[107:108]
	s_clause 0x3
	buffer_load_dword v103, off, s[0:3], 0 offset:304
	buffer_load_dword v104, off, s[0:3], 0 offset:308
	;; [unrolled: 1-line block ×4, first 2 shown]
	s_waitcnt vmcnt(49)
	v_fma_f64 v[109:110], v[87:88], v[115:116], -v[109:110]
	ds_read_b128 v[83:86], v1 offset:1008
	s_waitcnt vmcnt(44)
	v_fma_f64 v[111:112], v[79:80], v[113:114], -v[111:112]
	v_add_f64 v[95:96], v[95:96], v[101:102]
	v_fma_f64 v[101:102], v[89:90], v[115:116], v[105:106]
	v_add_f64 v[2:3], v[2:3], v[99:100]
	ds_read_b128 v[87:90], v1 offset:1024
	s_waitcnt lgkmcnt(1)
	v_mul_f64 v[105:106], v[85:86], v[117:118]
	v_mul_f64 v[99:100], v[83:84], v[117:118]
	v_add_f64 v[95:96], v[95:96], v[109:110]
	v_fma_f64 v[109:110], v[81:82], v[113:114], v[150:151]
	v_add_f64 v[2:3], v[2:3], v[101:102]
	s_waitcnt vmcnt(43) lgkmcnt(0)
	v_mul_f64 v[113:114], v[89:90], v[119:120]
	s_waitcnt vmcnt(41)
	v_fma_f64 v[105:106], v[83:84], v[123:124], -v[105:106]
	ds_read_b128 v[79:82], v1 offset:1040
	v_mul_f64 v[101:102], v[87:88], v[119:120]
	v_fma_f64 v[99:100], v[85:86], v[123:124], v[99:100]
	ds_read_b128 v[83:86], v1 offset:1056
	v_add_f64 v[95:96], v[95:96], v[111:112]
	v_add_f64 v[2:3], v[2:3], v[109:110]
	s_waitcnt vmcnt(37) lgkmcnt(1)
	v_mul_f64 v[111:112], v[81:82], v[125:126]
	s_waitcnt vmcnt(36)
	v_fma_f64 v[113:114], v[87:88], v[121:122], -v[113:114]
	v_mul_f64 v[109:110], v[79:80], v[125:126]
	v_fma_f64 v[101:102], v[89:90], v[121:122], v[101:102]
	ds_read_b128 v[87:90], v1 offset:1072
	v_add_f64 v[95:96], v[95:96], v[105:106]
	s_waitcnt vmcnt(35) lgkmcnt(1)
	v_mul_f64 v[105:106], v[85:86], v[127:128]
	v_add_f64 v[2:3], v[2:3], v[99:100]
	s_waitcnt vmcnt(33)
	v_fma_f64 v[111:112], v[79:80], v[131:132], -v[111:112]
	v_mul_f64 v[99:100], v[83:84], v[127:128]
	v_fma_f64 v[109:110], v[81:82], v[131:132], v[109:110]
	ds_read_b128 v[79:82], v1 offset:1088
	v_add_f64 v[95:96], v[95:96], v[113:114]
	s_waitcnt vmcnt(29) lgkmcnt(1)
	v_mul_f64 v[113:114], v[89:90], v[134:135]
	v_add_f64 v[2:3], v[2:3], v[101:102]
	;; [unrolled: 9-line block ×6, first 2 shown]
	s_waitcnt vmcnt(12)
	v_fma_f64 v[87:88], v[87:88], v[146:147], -v[113:114]
	v_mul_f64 v[109:110], v[79:80], v[152:153]
	v_fma_f64 v[89:90], v[89:90], v[146:147], v[101:102]
	v_add_f64 v[95:96], v[95:96], v[105:106]
	v_add_f64 v[99:100], v[2:3], v[99:100]
	ds_read_b128 v[1:4], v1 offset:1168
	s_waitcnt vmcnt(11) lgkmcnt(1)
	v_mul_f64 v[105:106], v[85:86], v[154:155]
	v_mul_f64 v[101:102], v[83:84], v[154:155]
	s_waitcnt vmcnt(9)
	v_fma_f64 v[79:80], v[79:80], v[93:94], -v[111:112]
	v_fma_f64 v[81:82], v[81:82], v[93:94], v[109:110]
	v_add_f64 v[87:88], v[95:96], v[87:88]
	s_waitcnt vmcnt(7) lgkmcnt(0)
	v_mul_f64 v[95:96], v[3:4], v[97:98]
	v_add_f64 v[89:90], v[99:100], v[89:90]
	v_mul_f64 v[93:94], v[1:2], v[97:98]
	s_waitcnt vmcnt(6)
	v_fma_f64 v[83:84], v[83:84], v[156:157], -v[105:106]
	v_fma_f64 v[85:86], v[85:86], v[156:157], v[101:102]
	v_add_f64 v[79:80], v[87:88], v[79:80]
	v_add_f64 v[81:82], v[89:90], v[81:82]
	s_waitcnt vmcnt(4)
	v_fma_f64 v[1:2], v[1:2], v[91:92], -v[95:96]
	v_fma_f64 v[3:4], v[3:4], v[91:92], v[93:94]
	v_add_f64 v[79:80], v[79:80], v[83:84]
	v_add_f64 v[81:82], v[81:82], v[85:86]
	;; [unrolled: 1-line block ×4, first 2 shown]
	s_waitcnt vmcnt(2)
	v_add_f64 v[1:2], v[103:104], -v[1:2]
	s_waitcnt vmcnt(0)
	v_add_f64 v[3:4], v[107:108], -v[3:4]
	buffer_store_dword v2, off, s[0:3], 0 offset:308
	buffer_store_dword v1, off, s[0:3], 0 offset:304
	;; [unrolled: 1-line block ×4, first 2 shown]
	v_cmpx_lt_u32_e32 17, v0
	s_cbranch_execz .LBB100_201
; %bb.200:
	v_mov_b32_e32 v4, s31
	v_mov_b32_e32 v79, 0
	s_clause 0x3
	buffer_load_dword v1, v4, s[0:3], 0 offen
	buffer_load_dword v2, v4, s[0:3], 0 offen offset:4
	buffer_load_dword v3, v4, s[0:3], 0 offen offset:8
	;; [unrolled: 1-line block ×3, first 2 shown]
	buffer_store_dword v79, off, s[0:3], 0 offset:288
	buffer_store_dword v79, off, s[0:3], 0 offset:292
	;; [unrolled: 1-line block ×4, first 2 shown]
	s_waitcnt vmcnt(0)
	ds_write_b128 v133, v[1:4]
.LBB100_201:
	s_or_b32 exec_lo, exec_lo, s4
	s_waitcnt lgkmcnt(0)
	s_waitcnt_vscnt null, 0x0
	s_barrier
	buffer_gl0_inv
	s_clause 0x37
	buffer_load_dword v2, off, s[0:3], 0 offset:312
	buffer_load_dword v3, off, s[0:3], 0 offset:316
	;; [unrolled: 1-line block ×56, first 2 shown]
	v_mov_b32_e32 v1, 0
	s_mov_b32 s4, exec_lo
	ds_read_b128 v[79:82], v1 offset:880
	s_clause 0x2
	buffer_load_dword v145, off, s[0:3], 0 offset:540
	buffer_load_dword v149, off, s[0:3], 0 offset:516
	;; [unrolled: 1-line block ×3, first 2 shown]
	ds_read_b128 v[83:86], v1 offset:896
	s_clause 0x4
	buffer_load_dword v153, off, s[0:3], 0 offset:556
	buffer_load_dword v154, off, s[0:3], 0 offset:568
	;; [unrolled: 1-line block ×5, first 2 shown]
	ds_read_b128 v[87:90], v1 offset:912
	s_waitcnt vmcnt(62) lgkmcnt(2)
	v_mul_f64 v[150:151], v[81:82], v[2:3]
	v_mul_f64 v[2:3], v[79:80], v[2:3]
	s_waitcnt vmcnt(60) lgkmcnt(1)
	v_mul_f64 v[157:158], v[85:86], v[91:92]
	v_mul_f64 v[91:92], v[83:84], v[91:92]
	;; [unrolled: 3-line block ×3, first 2 shown]
	v_fma_f64 v[150:151], v[79:80], v[93:94], -v[150:151]
	v_fma_f64 v[2:3], v[81:82], v[93:94], v[2:3]
	s_clause 0x2
	buffer_load_dword v155, off, s[0:3], 0 offset:572
	buffer_load_dword v94, off, s[0:3], 0 offset:548
	;; [unrolled: 1-line block ×3, first 2 shown]
	s_waitcnt vmcnt(57)
	v_fma_f64 v[161:162], v[83:84], v[97:98], -v[157:158]
	ds_read_b128 v[79:82], v1 offset:928
	v_fma_f64 v[91:92], v[85:86], v[97:98], v[91:92]
	s_clause 0x4
	buffer_load_dword v98, off, s[0:3], 0 offset:588
	buffer_load_dword v158, off, s[0:3], 0 offset:600
	;; [unrolled: 1-line block ×5, first 2 shown]
	s_waitcnt vmcnt(56)
	v_fma_f64 v[95:96], v[87:88], v[105:106], -v[95:96]
	ds_read_b128 v[83:86], v1 offset:944
	v_fma_f64 v[105:106], v[89:90], v[105:106], v[159:160]
	v_add_f64 v[150:151], v[150:151], 0
	v_add_f64 v[2:3], v[2:3], 0
	s_waitcnt lgkmcnt(1)
	v_mul_f64 v[164:165], v[79:80], v[99:100]
	v_mul_f64 v[99:100], v[81:82], v[99:100]
	v_add_f64 v[150:151], v[150:151], v[161:162]
	v_add_f64 v[2:3], v[2:3], v[91:92]
	s_clause 0x2
	buffer_load_dword v159, off, s[0:3], 0 offset:604
	buffer_load_dword v92, off, s[0:3], 0 offset:580
	;; [unrolled: 1-line block ×3, first 2 shown]
	s_waitcnt vmcnt(58) lgkmcnt(0)
	v_mul_f64 v[160:161], v[83:84], v[101:102]
	v_mul_f64 v[101:102], v[85:86], v[101:102]
	s_waitcnt vmcnt(56)
	v_fma_f64 v[99:100], v[79:80], v[107:108], -v[99:100]
	ds_read_b128 v[87:90], v1 offset:960
	v_fma_f64 v[107:108], v[81:82], v[107:108], v[164:165]
	buffer_load_dword v164, off, s[0:3], 0 offset:596
	ds_read_b128 v[79:82], v1 offset:976
	v_add_f64 v[95:96], v[150:151], v[95:96]
	v_add_f64 v[2:3], v[2:3], v[105:106]
	s_waitcnt vmcnt(53) lgkmcnt(1)
	v_mul_f64 v[105:106], v[87:88], v[109:110]
	v_mul_f64 v[109:110], v[89:90], v[109:110]
	s_waitcnt vmcnt(52)
	v_fma_f64 v[101:102], v[83:84], v[103:104], -v[101:102]
	v_add_f64 v[95:96], v[95:96], v[99:100]
	v_fma_f64 v[99:100], v[85:86], v[103:104], v[160:161]
	v_add_f64 v[2:3], v[2:3], v[107:108]
	s_waitcnt vmcnt(51) lgkmcnt(0)
	v_mul_f64 v[107:108], v[81:82], v[111:112]
	ds_read_b128 v[83:86], v1 offset:992
	s_waitcnt vmcnt(49)
	v_fma_f64 v[109:110], v[87:88], v[115:116], -v[109:110]
	v_mul_f64 v[103:104], v[79:80], v[111:112]
	v_add_f64 v[95:96], v[95:96], v[101:102]
	v_fma_f64 v[101:102], v[89:90], v[115:116], v[105:106]
	v_add_f64 v[2:3], v[2:3], v[99:100]
	s_clause 0x3
	buffer_load_dword v99, off, s[0:3], 0 offset:288
	buffer_load_dword v100, off, s[0:3], 0 offset:292
	;; [unrolled: 1-line block ×4, first 2 shown]
	s_waitcnt vmcnt(49) lgkmcnt(0)
	v_mul_f64 v[115:116], v[85:86], v[117:118]
	s_waitcnt vmcnt(48)
	v_fma_f64 v[107:108], v[79:80], v[113:114], -v[107:108]
	ds_read_b128 v[87:90], v1 offset:1008
	v_mul_f64 v[111:112], v[83:84], v[117:118]
	v_fma_f64 v[103:104], v[81:82], v[113:114], v[103:104]
	ds_read_b128 v[79:82], v1 offset:1024
	v_add_f64 v[95:96], v[95:96], v[109:110]
	v_add_f64 v[2:3], v[2:3], v[101:102]
	s_waitcnt vmcnt(47) lgkmcnt(1)
	v_mul_f64 v[109:110], v[89:90], v[119:120]
	s_waitcnt vmcnt(45)
	v_fma_f64 v[113:114], v[83:84], v[123:124], -v[115:116]
	v_mul_f64 v[101:102], v[87:88], v[119:120]
	v_add_f64 v[95:96], v[95:96], v[107:108]
	v_fma_f64 v[107:108], v[85:86], v[123:124], v[111:112]
	v_add_f64 v[2:3], v[2:3], v[103:104]
	s_waitcnt vmcnt(41) lgkmcnt(0)
	v_mul_f64 v[111:112], v[81:82], v[125:126]
	s_waitcnt vmcnt(40)
	v_fma_f64 v[109:110], v[87:88], v[121:122], -v[109:110]
	ds_read_b128 v[83:86], v1 offset:1040
	v_mul_f64 v[103:104], v[79:80], v[125:126]
	v_fma_f64 v[101:102], v[89:90], v[121:122], v[101:102]
	ds_read_b128 v[87:90], v1 offset:1056
	v_add_f64 v[95:96], v[95:96], v[113:114]
	v_add_f64 v[2:3], v[2:3], v[107:108]
	s_waitcnt vmcnt(39) lgkmcnt(1)
	v_mul_f64 v[113:114], v[85:86], v[127:128]
	s_waitcnt vmcnt(37)
	v_fma_f64 v[111:112], v[79:80], v[131:132], -v[111:112]
	v_mul_f64 v[107:108], v[83:84], v[127:128]
	v_fma_f64 v[103:104], v[81:82], v[131:132], v[103:104]
	ds_read_b128 v[79:82], v1 offset:1072
	v_add_f64 v[95:96], v[95:96], v[109:110]
	s_waitcnt vmcnt(33) lgkmcnt(1)
	v_mul_f64 v[109:110], v[89:90], v[134:135]
	v_add_f64 v[2:3], v[2:3], v[101:102]
	s_waitcnt vmcnt(32)
	v_fma_f64 v[113:114], v[83:84], v[129:130], -v[113:114]
	v_mul_f64 v[101:102], v[87:88], v[134:135]
	v_fma_f64 v[107:108], v[85:86], v[129:130], v[107:108]
	ds_read_b128 v[83:86], v1 offset:1088
	v_add_f64 v[95:96], v[95:96], v[111:112]
	s_waitcnt vmcnt(31) lgkmcnt(1)
	v_mul_f64 v[111:112], v[81:82], v[136:137]
	v_add_f64 v[2:3], v[2:3], v[103:104]
	;; [unrolled: 9-line block ×5, first 2 shown]
	s_waitcnt vmcnt(16)
	v_fma_f64 v[109:110], v[87:88], v[146:147], -v[109:110]
	v_mul_f64 v[103:104], v[79:80], v[152:153]
	v_fma_f64 v[101:102], v[89:90], v[146:147], v[101:102]
	ds_read_b128 v[87:90], v1 offset:1152
	v_add_f64 v[95:96], v[95:96], v[113:114]
	v_add_f64 v[2:3], v[2:3], v[107:108]
	s_waitcnt vmcnt(15) lgkmcnt(1)
	v_mul_f64 v[113:114], v[85:86], v[154:155]
	v_mul_f64 v[107:108], v[83:84], v[154:155]
	s_waitcnt vmcnt(13)
	v_fma_f64 v[111:112], v[79:80], v[93:94], -v[111:112]
	v_fma_f64 v[93:94], v[81:82], v[93:94], v[103:104]
	ds_read_b128 v[79:82], v1 offset:1168
	v_add_f64 v[95:96], v[95:96], v[109:110]
	v_add_f64 v[2:3], v[2:3], v[101:102]
	s_waitcnt vmcnt(9) lgkmcnt(1)
	v_mul_f64 v[101:102], v[87:88], v[97:98]
	v_mul_f64 v[97:98], v[89:90], v[97:98]
	s_waitcnt vmcnt(8)
	v_fma_f64 v[83:84], v[83:84], v[156:157], -v[113:114]
	v_fma_f64 v[85:86], v[85:86], v[156:157], v[107:108]
	v_add_f64 v[95:96], v[95:96], v[111:112]
	v_add_f64 v[2:3], v[2:3], v[93:94]
	s_waitcnt vmcnt(7) lgkmcnt(0)
	v_mul_f64 v[103:104], v[81:82], v[158:159]
	v_mul_f64 v[93:94], v[79:80], v[158:159]
	s_waitcnt vmcnt(5)
	v_fma_f64 v[87:88], v[87:88], v[91:92], -v[97:98]
	v_fma_f64 v[89:90], v[89:90], v[91:92], v[101:102]
	v_add_f64 v[83:84], v[95:96], v[83:84]
	v_add_f64 v[2:3], v[2:3], v[85:86]
	s_waitcnt vmcnt(4)
	v_fma_f64 v[79:80], v[79:80], v[163:164], -v[103:104]
	v_fma_f64 v[81:82], v[81:82], v[163:164], v[93:94]
	v_add_f64 v[83:84], v[83:84], v[87:88]
	v_add_f64 v[2:3], v[2:3], v[89:90]
	;; [unrolled: 1-line block ×4, first 2 shown]
	s_waitcnt vmcnt(2)
	v_add_f64 v[79:80], v[99:100], -v[79:80]
	s_waitcnt vmcnt(0)
	v_add_f64 v[2:3], v[105:106], -v[2:3]
	buffer_store_dword v80, off, s[0:3], 0 offset:292
	buffer_store_dword v79, off, s[0:3], 0 offset:288
	;; [unrolled: 1-line block ×4, first 2 shown]
	v_cmpx_lt_u32_e32 16, v0
	s_cbranch_execz .LBB100_203
; %bb.202:
	v_mov_b32_e32 v2, s33
	s_clause 0x3
	buffer_load_dword v79, v2, s[0:3], 0 offen
	buffer_load_dword v80, v2, s[0:3], 0 offen offset:4
	buffer_load_dword v81, v2, s[0:3], 0 offen offset:8
	;; [unrolled: 1-line block ×3, first 2 shown]
	buffer_store_dword v1, off, s[0:3], 0 offset:272
	buffer_store_dword v1, off, s[0:3], 0 offset:276
	;; [unrolled: 1-line block ×4, first 2 shown]
	s_waitcnt vmcnt(0)
	ds_write_b128 v133, v[79:82]
.LBB100_203:
	s_or_b32 exec_lo, exec_lo, s4
	s_waitcnt lgkmcnt(0)
	s_waitcnt_vscnt null, 0x0
	s_barrier
	buffer_gl0_inv
	s_clause 0x37
	buffer_load_dword v2, off, s[0:3], 0 offset:296
	buffer_load_dword v3, off, s[0:3], 0 offset:300
	;; [unrolled: 1-line block ×56, first 2 shown]
	ds_read_b128 v[79:82], v1 offset:864
	s_clause 0x2
	buffer_load_dword v145, off, s[0:3], 0 offset:524
	buffer_load_dword v149, off, s[0:3], 0 offset:500
	;; [unrolled: 1-line block ×3, first 2 shown]
	ds_read_b128 v[83:86], v1 offset:880
	s_clause 0x4
	buffer_load_dword v153, off, s[0:3], 0 offset:540
	buffer_load_dword v154, off, s[0:3], 0 offset:552
	;; [unrolled: 1-line block ×5, first 2 shown]
	ds_read_b128 v[87:90], v1 offset:896
	s_mov_b32 s4, exec_lo
	s_waitcnt vmcnt(62) lgkmcnt(2)
	v_mul_f64 v[150:151], v[81:82], v[2:3]
	v_mul_f64 v[2:3], v[79:80], v[2:3]
	s_waitcnt vmcnt(60) lgkmcnt(1)
	v_mul_f64 v[157:158], v[85:86], v[91:92]
	v_mul_f64 v[91:92], v[83:84], v[91:92]
	;; [unrolled: 3-line block ×3, first 2 shown]
	v_fma_f64 v[150:151], v[79:80], v[93:94], -v[150:151]
	v_fma_f64 v[2:3], v[81:82], v[93:94], v[2:3]
	s_clause 0x2
	buffer_load_dword v155, off, s[0:3], 0 offset:556
	buffer_load_dword v94, off, s[0:3], 0 offset:532
	;; [unrolled: 1-line block ×3, first 2 shown]
	s_waitcnt vmcnt(57)
	v_fma_f64 v[161:162], v[83:84], v[97:98], -v[157:158]
	ds_read_b128 v[79:82], v1 offset:912
	v_fma_f64 v[91:92], v[85:86], v[97:98], v[91:92]
	s_clause 0x4
	buffer_load_dword v98, off, s[0:3], 0 offset:572
	buffer_load_dword v158, off, s[0:3], 0 offset:584
	buffer_load_dword v163, off, s[0:3], 0 offset:576
	buffer_load_dword v97, off, s[0:3], 0 offset:568
	buffer_load_dword v157, off, s[0:3], 0 offset:548
	s_waitcnt vmcnt(56)
	v_fma_f64 v[95:96], v[87:88], v[105:106], -v[95:96]
	ds_read_b128 v[83:86], v1 offset:928
	v_fma_f64 v[105:106], v[89:90], v[105:106], v[159:160]
	v_add_f64 v[150:151], v[150:151], 0
	v_add_f64 v[2:3], v[2:3], 0
	s_waitcnt lgkmcnt(1)
	v_mul_f64 v[164:165], v[79:80], v[99:100]
	v_mul_f64 v[99:100], v[81:82], v[99:100]
	v_add_f64 v[150:151], v[150:151], v[161:162]
	v_add_f64 v[2:3], v[2:3], v[91:92]
	s_clause 0x2
	buffer_load_dword v159, off, s[0:3], 0 offset:588
	buffer_load_dword v92, off, s[0:3], 0 offset:564
	;; [unrolled: 1-line block ×3, first 2 shown]
	s_waitcnt vmcnt(58) lgkmcnt(0)
	v_mul_f64 v[160:161], v[83:84], v[101:102]
	v_mul_f64 v[101:102], v[85:86], v[101:102]
	s_waitcnt vmcnt(56)
	v_fma_f64 v[99:100], v[79:80], v[107:108], -v[99:100]
	ds_read_b128 v[87:90], v1 offset:944
	v_fma_f64 v[107:108], v[81:82], v[107:108], v[164:165]
	v_add_f64 v[95:96], v[150:151], v[95:96]
	v_add_f64 v[2:3], v[2:3], v[105:106]
	s_clause 0x2
	buffer_load_dword v106, off, s[0:3], 0 offset:604
	buffer_load_dword v105, off, s[0:3], 0 offset:600
	;; [unrolled: 1-line block ×3, first 2 shown]
	ds_read_b128 v[79:82], v1 offset:960
	s_waitcnt vmcnt(55) lgkmcnt(1)
	v_mul_f64 v[150:151], v[87:88], v[109:110]
	v_mul_f64 v[109:110], v[89:90], v[109:110]
	s_waitcnt vmcnt(54)
	v_fma_f64 v[101:102], v[83:84], v[103:104], -v[101:102]
	v_add_f64 v[95:96], v[95:96], v[99:100]
	v_fma_f64 v[99:100], v[85:86], v[103:104], v[160:161]
	v_add_f64 v[2:3], v[2:3], v[107:108]
	s_clause 0x1
	buffer_load_dword v104, off, s[0:3], 0 offset:596
	buffer_load_dword v103, off, s[0:3], 0 offset:592
	s_waitcnt vmcnt(55) lgkmcnt(0)
	v_mul_f64 v[107:108], v[79:80], v[111:112]
	v_mul_f64 v[111:112], v[81:82], v[111:112]
	s_waitcnt vmcnt(53)
	v_fma_f64 v[109:110], v[87:88], v[115:116], -v[109:110]
	ds_read_b128 v[83:86], v1 offset:976
	v_add_f64 v[95:96], v[95:96], v[101:102]
	v_fma_f64 v[101:102], v[89:90], v[115:116], v[150:151]
	v_add_f64 v[2:3], v[2:3], v[99:100]
	ds_read_b128 v[87:90], v1 offset:992
	s_waitcnt vmcnt(48)
	v_fma_f64 v[107:108], v[81:82], v[113:114], v[107:108]
	s_waitcnt lgkmcnt(1)
	v_mul_f64 v[115:116], v[85:86], v[117:118]
	v_fma_f64 v[111:112], v[79:80], v[113:114], -v[111:112]
	v_mul_f64 v[99:100], v[83:84], v[117:118]
	v_add_f64 v[95:96], v[95:96], v[109:110]
	s_waitcnt vmcnt(47) lgkmcnt(0)
	v_mul_f64 v[117:118], v[89:90], v[119:120]
	v_add_f64 v[2:3], v[2:3], v[101:102]
	s_clause 0x3
	buffer_load_dword v101, off, s[0:3], 0 offset:272
	buffer_load_dword v102, off, s[0:3], 0 offset:276
	;; [unrolled: 1-line block ×4, first 2 shown]
	ds_read_b128 v[79:82], v1 offset:1008
	s_waitcnt vmcnt(49)
	v_fma_f64 v[115:116], v[83:84], v[123:124], -v[115:116]
	v_mul_f64 v[113:114], v[87:88], v[119:120]
	v_fma_f64 v[99:100], v[85:86], v[123:124], v[99:100]
	ds_read_b128 v[83:86], v1 offset:1024
	v_add_f64 v[95:96], v[95:96], v[111:112]
	s_waitcnt vmcnt(44)
	v_fma_f64 v[117:118], v[87:88], v[121:122], -v[117:118]
	v_add_f64 v[2:3], v[2:3], v[107:108]
	s_waitcnt lgkmcnt(1)
	v_mul_f64 v[111:112], v[81:82], v[125:126]
	v_mul_f64 v[107:108], v[79:80], v[125:126]
	v_fma_f64 v[113:114], v[89:90], v[121:122], v[113:114]
	ds_read_b128 v[87:90], v1 offset:1040
	v_add_f64 v[95:96], v[95:96], v[115:116]
	s_waitcnt vmcnt(43) lgkmcnt(1)
	v_mul_f64 v[115:116], v[85:86], v[127:128]
	v_add_f64 v[2:3], v[2:3], v[99:100]
	s_waitcnt vmcnt(41)
	v_fma_f64 v[111:112], v[79:80], v[131:132], -v[111:112]
	v_mul_f64 v[99:100], v[83:84], v[127:128]
	v_fma_f64 v[107:108], v[81:82], v[131:132], v[107:108]
	ds_read_b128 v[79:82], v1 offset:1056
	v_add_f64 v[95:96], v[95:96], v[117:118]
	s_waitcnt vmcnt(37) lgkmcnt(1)
	v_mul_f64 v[117:118], v[89:90], v[134:135]
	v_add_f64 v[2:3], v[2:3], v[113:114]
	s_waitcnt vmcnt(36)
	v_fma_f64 v[115:116], v[83:84], v[129:130], -v[115:116]
	;; [unrolled: 9-line block ×6, first 2 shown]
	v_mul_f64 v[107:108], v[79:80], v[152:153]
	v_fma_f64 v[113:114], v[89:90], v[146:147], v[113:114]
	ds_read_b128 v[87:90], v1 offset:1136
	v_add_f64 v[95:96], v[95:96], v[115:116]
	v_add_f64 v[2:3], v[2:3], v[99:100]
	s_waitcnt vmcnt(19) lgkmcnt(1)
	v_mul_f64 v[115:116], v[85:86], v[154:155]
	v_mul_f64 v[99:100], v[83:84], v[154:155]
	s_waitcnt vmcnt(17)
	v_fma_f64 v[111:112], v[79:80], v[93:94], -v[111:112]
	v_fma_f64 v[93:94], v[81:82], v[93:94], v[107:108]
	ds_read_b128 v[79:82], v1 offset:1152
	s_waitcnt vmcnt(13) lgkmcnt(1)
	v_mul_f64 v[107:108], v[87:88], v[97:98]
	v_mul_f64 v[97:98], v[89:90], v[97:98]
	v_add_f64 v[95:96], v[95:96], v[117:118]
	v_add_f64 v[2:3], v[2:3], v[113:114]
	s_waitcnt vmcnt(12)
	v_fma_f64 v[83:84], v[83:84], v[156:157], -v[115:116]
	v_fma_f64 v[85:86], v[85:86], v[156:157], v[99:100]
	v_add_f64 v[95:96], v[95:96], v[111:112]
	v_add_f64 v[93:94], v[2:3], v[93:94]
	ds_read_b128 v[1:4], v1 offset:1168
	s_waitcnt vmcnt(11) lgkmcnt(1)
	v_mul_f64 v[111:112], v[81:82], v[158:159]
	v_mul_f64 v[99:100], v[79:80], v[158:159]
	s_waitcnt vmcnt(9)
	v_fma_f64 v[87:88], v[87:88], v[91:92], -v[97:98]
	v_fma_f64 v[89:90], v[89:90], v[91:92], v[107:108]
	v_add_f64 v[83:84], v[95:96], v[83:84]
	v_add_f64 v[85:86], v[93:94], v[85:86]
	s_waitcnt vmcnt(7) lgkmcnt(0)
	v_mul_f64 v[93:94], v[3:4], v[105:106]
	s_waitcnt vmcnt(6)
	v_fma_f64 v[79:80], v[79:80], v[163:164], -v[111:112]
	v_mul_f64 v[91:92], v[1:2], v[105:106]
	v_fma_f64 v[81:82], v[81:82], v[163:164], v[99:100]
	v_add_f64 v[83:84], v[83:84], v[87:88]
	v_add_f64 v[85:86], v[85:86], v[89:90]
	s_waitcnt vmcnt(4)
	v_fma_f64 v[1:2], v[1:2], v[103:104], -v[93:94]
	v_fma_f64 v[3:4], v[3:4], v[103:104], v[91:92]
	v_add_f64 v[79:80], v[83:84], v[79:80]
	v_add_f64 v[81:82], v[85:86], v[81:82]
	;; [unrolled: 1-line block ×4, first 2 shown]
	s_waitcnt vmcnt(2)
	v_add_f64 v[1:2], v[101:102], -v[1:2]
	s_waitcnt vmcnt(0)
	v_add_f64 v[3:4], v[109:110], -v[3:4]
	buffer_store_dword v2, off, s[0:3], 0 offset:276
	buffer_store_dword v1, off, s[0:3], 0 offset:272
	;; [unrolled: 1-line block ×4, first 2 shown]
	v_cmpx_lt_u32_e32 15, v0
	s_cbranch_execz .LBB100_205
; %bb.204:
	v_mov_b32_e32 v4, s34
	v_mov_b32_e32 v79, 0
	s_clause 0x3
	buffer_load_dword v1, v4, s[0:3], 0 offen
	buffer_load_dword v2, v4, s[0:3], 0 offen offset:4
	buffer_load_dword v3, v4, s[0:3], 0 offen offset:8
	;; [unrolled: 1-line block ×3, first 2 shown]
	buffer_store_dword v79, off, s[0:3], 0 offset:256
	buffer_store_dword v79, off, s[0:3], 0 offset:260
	;; [unrolled: 1-line block ×4, first 2 shown]
	s_waitcnt vmcnt(0)
	ds_write_b128 v133, v[1:4]
.LBB100_205:
	s_or_b32 exec_lo, exec_lo, s4
	s_waitcnt lgkmcnt(0)
	s_waitcnt_vscnt null, 0x0
	s_barrier
	buffer_gl0_inv
	s_clause 0x37
	buffer_load_dword v2, off, s[0:3], 0 offset:280
	buffer_load_dword v3, off, s[0:3], 0 offset:284
	;; [unrolled: 1-line block ×56, first 2 shown]
	v_mov_b32_e32 v1, 0
	s_mov_b32 s4, exec_lo
	ds_read_b128 v[79:82], v1 offset:848
	s_clause 0x2
	buffer_load_dword v145, off, s[0:3], 0 offset:508
	buffer_load_dword v149, off, s[0:3], 0 offset:484
	;; [unrolled: 1-line block ×3, first 2 shown]
	ds_read_b128 v[83:86], v1 offset:864
	s_clause 0x4
	buffer_load_dword v153, off, s[0:3], 0 offset:524
	buffer_load_dword v154, off, s[0:3], 0 offset:536
	;; [unrolled: 1-line block ×5, first 2 shown]
	ds_read_b128 v[87:90], v1 offset:880
	s_waitcnt vmcnt(62) lgkmcnt(2)
	v_mul_f64 v[150:151], v[81:82], v[2:3]
	v_mul_f64 v[2:3], v[79:80], v[2:3]
	s_waitcnt vmcnt(60) lgkmcnt(1)
	v_mul_f64 v[157:158], v[85:86], v[91:92]
	v_mul_f64 v[91:92], v[83:84], v[91:92]
	;; [unrolled: 3-line block ×3, first 2 shown]
	v_fma_f64 v[150:151], v[79:80], v[93:94], -v[150:151]
	v_fma_f64 v[2:3], v[81:82], v[93:94], v[2:3]
	s_clause 0x2
	buffer_load_dword v155, off, s[0:3], 0 offset:540
	buffer_load_dword v94, off, s[0:3], 0 offset:516
	;; [unrolled: 1-line block ×3, first 2 shown]
	s_waitcnt vmcnt(57)
	v_fma_f64 v[161:162], v[83:84], v[97:98], -v[157:158]
	ds_read_b128 v[79:82], v1 offset:896
	v_fma_f64 v[91:92], v[85:86], v[97:98], v[91:92]
	s_clause 0x4
	buffer_load_dword v98, off, s[0:3], 0 offset:556
	buffer_load_dword v158, off, s[0:3], 0 offset:568
	;; [unrolled: 1-line block ×5, first 2 shown]
	s_waitcnt vmcnt(56)
	v_fma_f64 v[95:96], v[87:88], v[105:106], -v[95:96]
	ds_read_b128 v[83:86], v1 offset:912
	v_fma_f64 v[105:106], v[89:90], v[105:106], v[159:160]
	v_add_f64 v[150:151], v[150:151], 0
	v_add_f64 v[2:3], v[2:3], 0
	s_waitcnt lgkmcnt(1)
	v_mul_f64 v[164:165], v[79:80], v[99:100]
	v_mul_f64 v[99:100], v[81:82], v[99:100]
	v_add_f64 v[150:151], v[150:151], v[161:162]
	v_add_f64 v[2:3], v[2:3], v[91:92]
	s_clause 0x2
	buffer_load_dword v159, off, s[0:3], 0 offset:572
	buffer_load_dword v92, off, s[0:3], 0 offset:548
	;; [unrolled: 1-line block ×3, first 2 shown]
	s_waitcnt vmcnt(58) lgkmcnt(0)
	v_mul_f64 v[160:161], v[83:84], v[101:102]
	v_mul_f64 v[101:102], v[85:86], v[101:102]
	s_waitcnt vmcnt(56)
	v_fma_f64 v[99:100], v[79:80], v[107:108], -v[99:100]
	ds_read_b128 v[87:90], v1 offset:928
	v_fma_f64 v[107:108], v[81:82], v[107:108], v[164:165]
	v_add_f64 v[95:96], v[150:151], v[95:96]
	v_add_f64 v[2:3], v[2:3], v[105:106]
	s_clause 0x4
	buffer_load_dword v106, off, s[0:3], 0 offset:588
	buffer_load_dword v150, off, s[0:3], 0 offset:600
	buffer_load_dword v165, off, s[0:3], 0 offset:592
	buffer_load_dword v105, off, s[0:3], 0 offset:584
	buffer_load_dword v164, off, s[0:3], 0 offset:564
	ds_read_b128 v[79:82], v1 offset:944
	s_waitcnt vmcnt(57) lgkmcnt(1)
	v_mul_f64 v[166:167], v[87:88], v[109:110]
	v_mul_f64 v[109:110], v[89:90], v[109:110]
	s_waitcnt vmcnt(56)
	v_fma_f64 v[101:102], v[83:84], v[103:104], -v[101:102]
	v_add_f64 v[95:96], v[95:96], v[99:100]
	v_fma_f64 v[99:100], v[85:86], v[103:104], v[160:161]
	v_add_f64 v[2:3], v[2:3], v[107:108]
	s_clause 0x2
	buffer_load_dword v151, off, s[0:3], 0 offset:604
	buffer_load_dword v104, off, s[0:3], 0 offset:580
	;; [unrolled: 1-line block ×3, first 2 shown]
	s_waitcnt vmcnt(58) lgkmcnt(0)
	v_mul_f64 v[107:108], v[79:80], v[111:112]
	v_mul_f64 v[111:112], v[81:82], v[111:112]
	s_waitcnt vmcnt(56)
	v_fma_f64 v[109:110], v[87:88], v[115:116], -v[109:110]
	ds_read_b128 v[83:86], v1 offset:960
	v_add_f64 v[95:96], v[95:96], v[101:102]
	v_fma_f64 v[101:102], v[89:90], v[115:116], v[166:167]
	v_add_f64 v[2:3], v[2:3], v[99:100]
	buffer_load_dword v166, off, s[0:3], 0 offset:596
	ds_read_b128 v[87:90], v1 offset:976
	s_waitcnt vmcnt(53) lgkmcnt(1)
	v_mul_f64 v[115:116], v[85:86], v[117:118]
	s_waitcnt vmcnt(52)
	v_fma_f64 v[111:112], v[79:80], v[113:114], -v[111:112]
	v_mul_f64 v[99:100], v[83:84], v[117:118]
	v_fma_f64 v[107:108], v[81:82], v[113:114], v[107:108]
	ds_read_b128 v[79:82], v1 offset:992
	v_add_f64 v[95:96], v[95:96], v[109:110]
	v_add_f64 v[2:3], v[2:3], v[101:102]
	s_waitcnt vmcnt(51) lgkmcnt(1)
	v_mul_f64 v[109:110], v[89:90], v[119:120]
	v_mul_f64 v[101:102], v[87:88], v[119:120]
	s_waitcnt vmcnt(49)
	v_fma_f64 v[113:114], v[83:84], v[123:124], -v[115:116]
	v_fma_f64 v[99:100], v[85:86], v[123:124], v[99:100]
	s_waitcnt vmcnt(45) lgkmcnt(0)
	v_mul_f64 v[117:118], v[81:82], v[125:126]
	v_mul_f64 v[115:116], v[79:80], v[125:126]
	v_add_f64 v[95:96], v[95:96], v[111:112]
	v_add_f64 v[2:3], v[2:3], v[107:108]
	s_clause 0x3
	buffer_load_dword v107, off, s[0:3], 0 offset:256
	buffer_load_dword v108, off, s[0:3], 0 offset:260
	;; [unrolled: 1-line block ×4, first 2 shown]
	s_waitcnt vmcnt(48)
	v_fma_f64 v[109:110], v[87:88], v[121:122], -v[109:110]
	ds_read_b128 v[83:86], v1 offset:1008
	v_fma_f64 v[101:102], v[89:90], v[121:122], v[101:102]
	ds_read_b128 v[87:90], v1 offset:1024
	s_waitcnt vmcnt(45)
	v_fma_f64 v[117:118], v[79:80], v[131:132], -v[117:118]
	v_add_f64 v[95:96], v[95:96], v[113:114]
	v_add_f64 v[2:3], v[2:3], v[99:100]
	s_waitcnt lgkmcnt(1)
	v_mul_f64 v[113:114], v[85:86], v[127:128]
	v_mul_f64 v[99:100], v[83:84], v[127:128]
	v_add_f64 v[95:96], v[95:96], v[109:110]
	v_fma_f64 v[109:110], v[81:82], v[131:132], v[115:116]
	v_add_f64 v[2:3], v[2:3], v[101:102]
	s_waitcnt vmcnt(41) lgkmcnt(0)
	v_mul_f64 v[115:116], v[89:90], v[134:135]
	s_waitcnt vmcnt(40)
	v_fma_f64 v[113:114], v[83:84], v[129:130], -v[113:114]
	ds_read_b128 v[79:82], v1 offset:1040
	v_mul_f64 v[101:102], v[87:88], v[134:135]
	v_fma_f64 v[99:100], v[85:86], v[129:130], v[99:100]
	ds_read_b128 v[83:86], v1 offset:1056
	v_add_f64 v[95:96], v[95:96], v[117:118]
	v_add_f64 v[2:3], v[2:3], v[109:110]
	s_waitcnt vmcnt(39) lgkmcnt(1)
	v_mul_f64 v[117:118], v[81:82], v[136:137]
	s_waitcnt vmcnt(37)
	v_fma_f64 v[115:116], v[87:88], v[140:141], -v[115:116]
	v_mul_f64 v[109:110], v[79:80], v[136:137]
	v_fma_f64 v[101:102], v[89:90], v[140:141], v[101:102]
	ds_read_b128 v[87:90], v1 offset:1072
	v_add_f64 v[95:96], v[95:96], v[113:114]
	s_waitcnt vmcnt(33) lgkmcnt(1)
	v_mul_f64 v[113:114], v[85:86], v[142:143]
	v_add_f64 v[2:3], v[2:3], v[99:100]
	s_waitcnt vmcnt(32)
	v_fma_f64 v[117:118], v[79:80], v[138:139], -v[117:118]
	v_mul_f64 v[99:100], v[83:84], v[142:143]
	v_fma_f64 v[109:110], v[81:82], v[138:139], v[109:110]
	ds_read_b128 v[79:82], v1 offset:1088
	v_add_f64 v[95:96], v[95:96], v[115:116]
	s_waitcnt vmcnt(31) lgkmcnt(1)
	v_mul_f64 v[115:116], v[89:90], v[144:145]
	v_add_f64 v[2:3], v[2:3], v[101:102]
	s_waitcnt vmcnt(29)
	v_fma_f64 v[113:114], v[83:84], v[148:149], -v[113:114]
	v_mul_f64 v[101:102], v[87:88], v[144:145]
	v_fma_f64 v[99:100], v[85:86], v[148:149], v[99:100]
	ds_read_b128 v[83:86], v1 offset:1104
	v_add_f64 v[95:96], v[95:96], v[117:118]
	s_waitcnt vmcnt(25) lgkmcnt(1)
	v_mul_f64 v[117:118], v[81:82], v[152:153]
	v_add_f64 v[2:3], v[2:3], v[109:110]
	s_waitcnt vmcnt(24)
	v_fma_f64 v[115:116], v[87:88], v[146:147], -v[115:116]
	v_mul_f64 v[109:110], v[79:80], v[152:153]
	v_fma_f64 v[101:102], v[89:90], v[146:147], v[101:102]
	ds_read_b128 v[87:90], v1 offset:1120
	v_add_f64 v[95:96], v[95:96], v[113:114]
	v_add_f64 v[2:3], v[2:3], v[99:100]
	s_waitcnt vmcnt(23) lgkmcnt(1)
	v_mul_f64 v[113:114], v[85:86], v[154:155]
	v_mul_f64 v[99:100], v[83:84], v[154:155]
	s_waitcnt vmcnt(21)
	v_fma_f64 v[117:118], v[79:80], v[93:94], -v[117:118]
	v_fma_f64 v[93:94], v[81:82], v[93:94], v[109:110]
	ds_read_b128 v[79:82], v1 offset:1136
	v_add_f64 v[95:96], v[95:96], v[115:116]
	v_add_f64 v[2:3], v[2:3], v[101:102]
	s_waitcnt vmcnt(17) lgkmcnt(1)
	v_mul_f64 v[101:102], v[87:88], v[97:98]
	v_mul_f64 v[97:98], v[89:90], v[97:98]
	s_waitcnt vmcnt(16)
	v_fma_f64 v[109:110], v[83:84], v[156:157], -v[113:114]
	;; [unrolled: 9-line block ×3, first 2 shown]
	v_fma_f64 v[91:92], v[89:90], v[91:92], v[101:102]
	ds_read_b128 v[87:90], v1 offset:1168
	v_add_f64 v[95:96], v[95:96], v[109:110]
	v_add_f64 v[2:3], v[2:3], v[99:100]
	s_waitcnt vmcnt(9) lgkmcnt(1)
	v_mul_f64 v[101:102], v[85:86], v[105:106]
	s_waitcnt vmcnt(8)
	v_fma_f64 v[79:80], v[79:80], v[163:164], -v[113:114]
	v_mul_f64 v[99:100], v[83:84], v[105:106]
	v_fma_f64 v[81:82], v[81:82], v[163:164], v[93:94]
	v_add_f64 v[95:96], v[95:96], v[97:98]
	v_add_f64 v[2:3], v[2:3], v[91:92]
	s_waitcnt vmcnt(7) lgkmcnt(0)
	v_mul_f64 v[93:94], v[89:90], v[150:151]
	v_mul_f64 v[91:92], v[87:88], v[150:151]
	s_waitcnt vmcnt(5)
	v_fma_f64 v[83:84], v[83:84], v[103:104], -v[101:102]
	v_fma_f64 v[85:86], v[85:86], v[103:104], v[99:100]
	v_add_f64 v[79:80], v[95:96], v[79:80]
	v_add_f64 v[2:3], v[2:3], v[81:82]
	s_waitcnt vmcnt(4)
	v_fma_f64 v[81:82], v[87:88], v[165:166], -v[93:94]
	v_add_f64 v[79:80], v[79:80], v[83:84]
	v_fma_f64 v[83:84], v[89:90], v[165:166], v[91:92]
	v_add_f64 v[2:3], v[2:3], v[85:86]
	v_add_f64 v[79:80], v[79:80], v[81:82]
	;; [unrolled: 1-line block ×3, first 2 shown]
	s_waitcnt vmcnt(2)
	v_add_f64 v[79:80], v[107:108], -v[79:80]
	s_waitcnt vmcnt(0)
	v_add_f64 v[2:3], v[111:112], -v[2:3]
	buffer_store_dword v80, off, s[0:3], 0 offset:260
	buffer_store_dword v79, off, s[0:3], 0 offset:256
	;; [unrolled: 1-line block ×4, first 2 shown]
	v_cmpx_lt_u32_e32 14, v0
	s_cbranch_execz .LBB100_207
; %bb.206:
	v_mov_b32_e32 v2, s35
	s_clause 0x3
	buffer_load_dword v79, v2, s[0:3], 0 offen
	buffer_load_dword v80, v2, s[0:3], 0 offen offset:4
	buffer_load_dword v81, v2, s[0:3], 0 offen offset:8
	;; [unrolled: 1-line block ×3, first 2 shown]
	buffer_store_dword v1, off, s[0:3], 0 offset:240
	buffer_store_dword v1, off, s[0:3], 0 offset:244
	;; [unrolled: 1-line block ×4, first 2 shown]
	s_waitcnt vmcnt(0)
	ds_write_b128 v133, v[79:82]
.LBB100_207:
	s_or_b32 exec_lo, exec_lo, s4
	s_waitcnt lgkmcnt(0)
	s_waitcnt_vscnt null, 0x0
	s_barrier
	buffer_gl0_inv
	s_clause 0x37
	buffer_load_dword v2, off, s[0:3], 0 offset:264
	buffer_load_dword v3, off, s[0:3], 0 offset:268
	;; [unrolled: 1-line block ×56, first 2 shown]
	ds_read_b128 v[79:82], v1 offset:832
	s_clause 0x2
	buffer_load_dword v145, off, s[0:3], 0 offset:492
	buffer_load_dword v149, off, s[0:3], 0 offset:468
	;; [unrolled: 1-line block ×3, first 2 shown]
	ds_read_b128 v[83:86], v1 offset:848
	s_clause 0x4
	buffer_load_dword v153, off, s[0:3], 0 offset:508
	buffer_load_dword v154, off, s[0:3], 0 offset:520
	;; [unrolled: 1-line block ×5, first 2 shown]
	ds_read_b128 v[87:90], v1 offset:864
	s_mov_b32 s4, exec_lo
	s_waitcnt vmcnt(62) lgkmcnt(2)
	v_mul_f64 v[150:151], v[81:82], v[2:3]
	v_mul_f64 v[2:3], v[79:80], v[2:3]
	s_waitcnt vmcnt(60) lgkmcnt(1)
	v_mul_f64 v[157:158], v[85:86], v[91:92]
	v_mul_f64 v[91:92], v[83:84], v[91:92]
	s_waitcnt vmcnt(56) lgkmcnt(0)
	v_mul_f64 v[159:160], v[87:88], v[95:96]
	v_mul_f64 v[95:96], v[89:90], v[95:96]
	v_fma_f64 v[150:151], v[79:80], v[93:94], -v[150:151]
	v_fma_f64 v[2:3], v[81:82], v[93:94], v[2:3]
	s_clause 0x2
	buffer_load_dword v155, off, s[0:3], 0 offset:524
	buffer_load_dword v94, off, s[0:3], 0 offset:500
	;; [unrolled: 1-line block ×3, first 2 shown]
	s_waitcnt vmcnt(57)
	v_fma_f64 v[161:162], v[83:84], v[97:98], -v[157:158]
	ds_read_b128 v[79:82], v1 offset:880
	v_fma_f64 v[91:92], v[85:86], v[97:98], v[91:92]
	s_clause 0x4
	buffer_load_dword v98, off, s[0:3], 0 offset:540
	buffer_load_dword v158, off, s[0:3], 0 offset:552
	;; [unrolled: 1-line block ×5, first 2 shown]
	s_waitcnt vmcnt(56)
	v_fma_f64 v[95:96], v[87:88], v[105:106], -v[95:96]
	ds_read_b128 v[83:86], v1 offset:896
	v_fma_f64 v[105:106], v[89:90], v[105:106], v[159:160]
	v_add_f64 v[150:151], v[150:151], 0
	v_add_f64 v[2:3], v[2:3], 0
	s_waitcnt lgkmcnt(1)
	v_mul_f64 v[164:165], v[79:80], v[99:100]
	v_mul_f64 v[99:100], v[81:82], v[99:100]
	v_add_f64 v[150:151], v[150:151], v[161:162]
	v_add_f64 v[2:3], v[2:3], v[91:92]
	s_clause 0x2
	buffer_load_dword v159, off, s[0:3], 0 offset:556
	buffer_load_dword v92, off, s[0:3], 0 offset:532
	;; [unrolled: 1-line block ×3, first 2 shown]
	s_waitcnt vmcnt(58) lgkmcnt(0)
	v_mul_f64 v[160:161], v[83:84], v[101:102]
	v_mul_f64 v[101:102], v[85:86], v[101:102]
	s_waitcnt vmcnt(56)
	v_fma_f64 v[99:100], v[79:80], v[107:108], -v[99:100]
	ds_read_b128 v[87:90], v1 offset:912
	v_fma_f64 v[107:108], v[81:82], v[107:108], v[164:165]
	v_add_f64 v[95:96], v[150:151], v[95:96]
	v_add_f64 v[2:3], v[2:3], v[105:106]
	s_clause 0x4
	buffer_load_dword v106, off, s[0:3], 0 offset:572
	buffer_load_dword v150, off, s[0:3], 0 offset:584
	;; [unrolled: 1-line block ×5, first 2 shown]
	ds_read_b128 v[79:82], v1 offset:928
	s_waitcnt vmcnt(57) lgkmcnt(1)
	v_mul_f64 v[166:167], v[87:88], v[109:110]
	v_mul_f64 v[109:110], v[89:90], v[109:110]
	s_waitcnt vmcnt(56)
	v_fma_f64 v[101:102], v[83:84], v[103:104], -v[101:102]
	v_add_f64 v[95:96], v[95:96], v[99:100]
	v_fma_f64 v[99:100], v[85:86], v[103:104], v[160:161]
	v_add_f64 v[2:3], v[2:3], v[107:108]
	s_clause 0x2
	buffer_load_dword v151, off, s[0:3], 0 offset:588
	buffer_load_dword v104, off, s[0:3], 0 offset:564
	;; [unrolled: 1-line block ×3, first 2 shown]
	s_waitcnt vmcnt(58) lgkmcnt(0)
	v_mul_f64 v[107:108], v[79:80], v[111:112]
	v_mul_f64 v[111:112], v[81:82], v[111:112]
	s_waitcnt vmcnt(56)
	v_fma_f64 v[109:110], v[87:88], v[115:116], -v[109:110]
	ds_read_b128 v[83:86], v1 offset:944
	v_add_f64 v[95:96], v[95:96], v[101:102]
	v_fma_f64 v[101:102], v[89:90], v[115:116], v[166:167]
	v_add_f64 v[2:3], v[2:3], v[99:100]
	s_clause 0x2
	buffer_load_dword v100, off, s[0:3], 0 offset:604
	buffer_load_dword v99, off, s[0:3], 0 offset:600
	;; [unrolled: 1-line block ×3, first 2 shown]
	ds_read_b128 v[87:90], v1 offset:960
	s_waitcnt vmcnt(55) lgkmcnt(1)
	v_mul_f64 v[115:116], v[83:84], v[117:118]
	v_mul_f64 v[117:118], v[85:86], v[117:118]
	s_waitcnt vmcnt(54)
	v_fma_f64 v[111:112], v[79:80], v[113:114], -v[111:112]
	v_fma_f64 v[107:108], v[81:82], v[113:114], v[107:108]
	v_add_f64 v[95:96], v[95:96], v[109:110]
	v_add_f64 v[2:3], v[2:3], v[101:102]
	s_clause 0x1
	buffer_load_dword v102, off, s[0:3], 0 offset:596
	buffer_load_dword v101, off, s[0:3], 0 offset:592
	s_waitcnt vmcnt(55) lgkmcnt(0)
	v_mul_f64 v[113:114], v[89:90], v[119:120]
	ds_read_b128 v[79:82], v1 offset:976
	s_waitcnt vmcnt(53)
	v_fma_f64 v[117:118], v[83:84], v[123:124], -v[117:118]
	v_mul_f64 v[109:110], v[87:88], v[119:120]
	v_add_f64 v[95:96], v[95:96], v[111:112]
	v_fma_f64 v[111:112], v[85:86], v[123:124], v[115:116]
	v_add_f64 v[2:3], v[2:3], v[107:108]
	ds_read_b128 v[83:86], v1 offset:992
	s_waitcnt vmcnt(49) lgkmcnt(1)
	v_mul_f64 v[115:116], v[81:82], v[125:126]
	s_waitcnt vmcnt(48)
	v_fma_f64 v[113:114], v[87:88], v[121:122], -v[113:114]
	v_mul_f64 v[107:108], v[79:80], v[125:126]
	v_fma_f64 v[109:110], v[89:90], v[121:122], v[109:110]
	v_add_f64 v[95:96], v[95:96], v[117:118]
	s_waitcnt vmcnt(47) lgkmcnt(0)
	v_mul_f64 v[121:122], v[85:86], v[127:128]
	v_add_f64 v[2:3], v[2:3], v[111:112]
	s_clause 0x3
	buffer_load_dword v111, off, s[0:3], 0 offset:240
	buffer_load_dword v112, off, s[0:3], 0 offset:244
	buffer_load_dword v117, off, s[0:3], 0 offset:248
	buffer_load_dword v118, off, s[0:3], 0 offset:252
	s_waitcnt vmcnt(49)
	v_fma_f64 v[115:116], v[79:80], v[131:132], -v[115:116]
	ds_read_b128 v[87:90], v1 offset:1008
	v_mul_f64 v[119:120], v[83:84], v[127:128]
	v_fma_f64 v[107:108], v[81:82], v[131:132], v[107:108]
	ds_read_b128 v[79:82], v1 offset:1024
	v_add_f64 v[95:96], v[95:96], v[113:114]
	s_waitcnt vmcnt(44)
	v_fma_f64 v[121:122], v[83:84], v[129:130], -v[121:122]
	v_add_f64 v[2:3], v[2:3], v[109:110]
	s_waitcnt lgkmcnt(1)
	v_mul_f64 v[113:114], v[89:90], v[134:135]
	v_mul_f64 v[109:110], v[87:88], v[134:135]
	v_add_f64 v[95:96], v[95:96], v[115:116]
	v_fma_f64 v[115:116], v[85:86], v[129:130], v[119:120]
	v_add_f64 v[2:3], v[2:3], v[107:108]
	s_waitcnt vmcnt(43) lgkmcnt(0)
	v_mul_f64 v[119:120], v[81:82], v[136:137]
	s_waitcnt vmcnt(41)
	v_fma_f64 v[113:114], v[87:88], v[140:141], -v[113:114]
	ds_read_b128 v[83:86], v1 offset:1040
	v_mul_f64 v[107:108], v[79:80], v[136:137]
	v_fma_f64 v[109:110], v[89:90], v[140:141], v[109:110]
	ds_read_b128 v[87:90], v1 offset:1056
	v_add_f64 v[95:96], v[95:96], v[121:122]
	v_add_f64 v[2:3], v[2:3], v[115:116]
	s_waitcnt vmcnt(37) lgkmcnt(1)
	v_mul_f64 v[121:122], v[85:86], v[142:143]
	s_waitcnt vmcnt(36)
	v_fma_f64 v[119:120], v[79:80], v[138:139], -v[119:120]
	v_mul_f64 v[115:116], v[83:84], v[142:143]
	v_fma_f64 v[107:108], v[81:82], v[138:139], v[107:108]
	ds_read_b128 v[79:82], v1 offset:1072
	v_add_f64 v[95:96], v[95:96], v[113:114]
	s_waitcnt vmcnt(35) lgkmcnt(1)
	v_mul_f64 v[113:114], v[89:90], v[144:145]
	v_add_f64 v[2:3], v[2:3], v[109:110]
	s_waitcnt vmcnt(33)
	v_fma_f64 v[121:122], v[83:84], v[148:149], -v[121:122]
	v_mul_f64 v[109:110], v[87:88], v[144:145]
	v_fma_f64 v[115:116], v[85:86], v[148:149], v[115:116]
	ds_read_b128 v[83:86], v1 offset:1088
	v_add_f64 v[95:96], v[95:96], v[119:120]
	s_waitcnt vmcnt(29) lgkmcnt(1)
	v_mul_f64 v[119:120], v[81:82], v[152:153]
	v_add_f64 v[2:3], v[2:3], v[107:108]
	s_waitcnt vmcnt(28)
	v_fma_f64 v[113:114], v[87:88], v[146:147], -v[113:114]
	v_mul_f64 v[107:108], v[79:80], v[152:153]
	v_fma_f64 v[109:110], v[89:90], v[146:147], v[109:110]
	ds_read_b128 v[87:90], v1 offset:1104
	v_add_f64 v[95:96], v[95:96], v[121:122]
	v_add_f64 v[2:3], v[2:3], v[115:116]
	s_waitcnt vmcnt(27) lgkmcnt(1)
	v_mul_f64 v[121:122], v[85:86], v[154:155]
	v_mul_f64 v[115:116], v[83:84], v[154:155]
	s_waitcnt vmcnt(25)
	v_fma_f64 v[119:120], v[79:80], v[93:94], -v[119:120]
	v_fma_f64 v[93:94], v[81:82], v[93:94], v[107:108]
	ds_read_b128 v[79:82], v1 offset:1120
	s_waitcnt vmcnt(21) lgkmcnt(1)
	v_mul_f64 v[107:108], v[87:88], v[97:98]
	v_mul_f64 v[97:98], v[89:90], v[97:98]
	v_add_f64 v[95:96], v[95:96], v[113:114]
	v_add_f64 v[2:3], v[2:3], v[109:110]
	s_waitcnt vmcnt(20)
	v_fma_f64 v[109:110], v[83:84], v[156:157], -v[121:122]
	v_fma_f64 v[113:114], v[85:86], v[156:157], v[115:116]
	ds_read_b128 v[83:86], v1 offset:1136
	v_add_f64 v[95:96], v[95:96], v[119:120]
	v_add_f64 v[2:3], v[2:3], v[93:94]
	s_waitcnt vmcnt(19) lgkmcnt(1)
	v_mul_f64 v[115:116], v[81:82], v[158:159]
	v_mul_f64 v[93:94], v[79:80], v[158:159]
	s_waitcnt vmcnt(17)
	v_fma_f64 v[97:98], v[87:88], v[91:92], -v[97:98]
	v_fma_f64 v[91:92], v[89:90], v[91:92], v[107:108]
	ds_read_b128 v[87:90], v1 offset:1152
	v_add_f64 v[95:96], v[95:96], v[109:110]
	v_add_f64 v[2:3], v[2:3], v[113:114]
	s_waitcnt vmcnt(13) lgkmcnt(1)
	v_mul_f64 v[107:108], v[83:84], v[105:106]
	v_mul_f64 v[105:106], v[85:86], v[105:106]
	s_waitcnt vmcnt(12)
	v_fma_f64 v[79:80], v[79:80], v[163:164], -v[115:116]
	v_fma_f64 v[81:82], v[81:82], v[163:164], v[93:94]
	v_add_f64 v[95:96], v[95:96], v[97:98]
	v_add_f64 v[91:92], v[2:3], v[91:92]
	ds_read_b128 v[1:4], v1 offset:1168
	s_waitcnt vmcnt(11) lgkmcnt(1)
	v_mul_f64 v[97:98], v[89:90], v[150:151]
	v_mul_f64 v[93:94], v[87:88], v[150:151]
	s_waitcnt vmcnt(9)
	v_fma_f64 v[83:84], v[83:84], v[103:104], -v[105:106]
	v_fma_f64 v[85:86], v[85:86], v[103:104], v[107:108]
	v_add_f64 v[79:80], v[95:96], v[79:80]
	v_add_f64 v[81:82], v[91:92], v[81:82]
	s_waitcnt vmcnt(7) lgkmcnt(0)
	v_mul_f64 v[95:96], v[3:4], v[99:100]
	s_waitcnt vmcnt(6)
	v_fma_f64 v[87:88], v[87:88], v[165:166], -v[97:98]
	v_mul_f64 v[91:92], v[1:2], v[99:100]
	v_add_f64 v[79:80], v[79:80], v[83:84]
	v_fma_f64 v[83:84], v[89:90], v[165:166], v[93:94]
	v_add_f64 v[81:82], v[81:82], v[85:86]
	s_waitcnt vmcnt(4)
	v_fma_f64 v[1:2], v[1:2], v[101:102], -v[95:96]
	v_fma_f64 v[3:4], v[3:4], v[101:102], v[91:92]
	v_add_f64 v[79:80], v[79:80], v[87:88]
	v_add_f64 v[81:82], v[81:82], v[83:84]
	;; [unrolled: 1-line block ×4, first 2 shown]
	s_waitcnt vmcnt(2)
	v_add_f64 v[1:2], v[111:112], -v[1:2]
	s_waitcnt vmcnt(0)
	v_add_f64 v[3:4], v[117:118], -v[3:4]
	buffer_store_dword v2, off, s[0:3], 0 offset:244
	buffer_store_dword v1, off, s[0:3], 0 offset:240
	;; [unrolled: 1-line block ×4, first 2 shown]
	v_cmpx_lt_u32_e32 13, v0
	s_cbranch_execz .LBB100_209
; %bb.208:
	v_mov_b32_e32 v4, s36
	v_mov_b32_e32 v79, 0
	s_clause 0x3
	buffer_load_dword v1, v4, s[0:3], 0 offen
	buffer_load_dword v2, v4, s[0:3], 0 offen offset:4
	buffer_load_dword v3, v4, s[0:3], 0 offen offset:8
	buffer_load_dword v4, v4, s[0:3], 0 offen offset:12
	buffer_store_dword v79, off, s[0:3], 0 offset:224
	buffer_store_dword v79, off, s[0:3], 0 offset:228
	;; [unrolled: 1-line block ×4, first 2 shown]
	s_waitcnt vmcnt(0)
	ds_write_b128 v133, v[1:4]
.LBB100_209:
	s_or_b32 exec_lo, exec_lo, s4
	s_waitcnt lgkmcnt(0)
	s_waitcnt_vscnt null, 0x0
	s_barrier
	buffer_gl0_inv
	s_clause 0x37
	buffer_load_dword v2, off, s[0:3], 0 offset:248
	buffer_load_dword v3, off, s[0:3], 0 offset:252
	;; [unrolled: 1-line block ×56, first 2 shown]
	v_mov_b32_e32 v1, 0
	s_mov_b32 s4, exec_lo
	ds_read_b128 v[79:82], v1 offset:816
	s_clause 0x2
	buffer_load_dword v145, off, s[0:3], 0 offset:476
	buffer_load_dword v149, off, s[0:3], 0 offset:452
	;; [unrolled: 1-line block ×3, first 2 shown]
	ds_read_b128 v[83:86], v1 offset:832
	s_clause 0x4
	buffer_load_dword v153, off, s[0:3], 0 offset:492
	buffer_load_dword v154, off, s[0:3], 0 offset:504
	;; [unrolled: 1-line block ×5, first 2 shown]
	ds_read_b128 v[87:90], v1 offset:848
	s_waitcnt vmcnt(62) lgkmcnt(2)
	v_mul_f64 v[150:151], v[81:82], v[2:3]
	v_mul_f64 v[2:3], v[79:80], v[2:3]
	s_waitcnt vmcnt(60) lgkmcnt(1)
	v_mul_f64 v[157:158], v[85:86], v[91:92]
	v_mul_f64 v[91:92], v[83:84], v[91:92]
	;; [unrolled: 3-line block ×3, first 2 shown]
	v_fma_f64 v[150:151], v[79:80], v[93:94], -v[150:151]
	v_fma_f64 v[2:3], v[81:82], v[93:94], v[2:3]
	s_clause 0x2
	buffer_load_dword v155, off, s[0:3], 0 offset:508
	buffer_load_dword v94, off, s[0:3], 0 offset:484
	;; [unrolled: 1-line block ×3, first 2 shown]
	s_waitcnt vmcnt(57)
	v_fma_f64 v[161:162], v[83:84], v[97:98], -v[157:158]
	ds_read_b128 v[79:82], v1 offset:864
	v_fma_f64 v[91:92], v[85:86], v[97:98], v[91:92]
	s_clause 0x4
	buffer_load_dword v98, off, s[0:3], 0 offset:524
	buffer_load_dword v158, off, s[0:3], 0 offset:536
	;; [unrolled: 1-line block ×5, first 2 shown]
	s_waitcnt vmcnt(56)
	v_fma_f64 v[95:96], v[87:88], v[105:106], -v[95:96]
	ds_read_b128 v[83:86], v1 offset:880
	v_fma_f64 v[105:106], v[89:90], v[105:106], v[159:160]
	v_add_f64 v[150:151], v[150:151], 0
	v_add_f64 v[2:3], v[2:3], 0
	s_waitcnt lgkmcnt(1)
	v_mul_f64 v[164:165], v[79:80], v[99:100]
	v_mul_f64 v[99:100], v[81:82], v[99:100]
	v_add_f64 v[150:151], v[150:151], v[161:162]
	v_add_f64 v[2:3], v[2:3], v[91:92]
	s_clause 0x2
	buffer_load_dword v159, off, s[0:3], 0 offset:540
	buffer_load_dword v92, off, s[0:3], 0 offset:516
	;; [unrolled: 1-line block ×3, first 2 shown]
	s_waitcnt vmcnt(58) lgkmcnt(0)
	v_mul_f64 v[160:161], v[83:84], v[101:102]
	v_mul_f64 v[101:102], v[85:86], v[101:102]
	s_waitcnt vmcnt(56)
	v_fma_f64 v[99:100], v[79:80], v[107:108], -v[99:100]
	ds_read_b128 v[87:90], v1 offset:896
	v_fma_f64 v[107:108], v[81:82], v[107:108], v[164:165]
	v_add_f64 v[95:96], v[150:151], v[95:96]
	v_add_f64 v[2:3], v[2:3], v[105:106]
	s_clause 0x4
	buffer_load_dword v106, off, s[0:3], 0 offset:556
	buffer_load_dword v150, off, s[0:3], 0 offset:568
	;; [unrolled: 1-line block ×5, first 2 shown]
	ds_read_b128 v[79:82], v1 offset:912
	s_waitcnt vmcnt(57) lgkmcnt(1)
	v_mul_f64 v[166:167], v[87:88], v[109:110]
	v_mul_f64 v[109:110], v[89:90], v[109:110]
	s_waitcnt vmcnt(56)
	v_fma_f64 v[101:102], v[83:84], v[103:104], -v[101:102]
	v_add_f64 v[95:96], v[95:96], v[99:100]
	v_fma_f64 v[99:100], v[85:86], v[103:104], v[160:161]
	v_add_f64 v[2:3], v[2:3], v[107:108]
	s_clause 0x2
	buffer_load_dword v151, off, s[0:3], 0 offset:572
	buffer_load_dword v104, off, s[0:3], 0 offset:548
	;; [unrolled: 1-line block ×3, first 2 shown]
	s_waitcnt vmcnt(58) lgkmcnt(0)
	v_mul_f64 v[107:108], v[79:80], v[111:112]
	v_mul_f64 v[111:112], v[81:82], v[111:112]
	s_waitcnt vmcnt(56)
	v_fma_f64 v[109:110], v[87:88], v[115:116], -v[109:110]
	ds_read_b128 v[83:86], v1 offset:928
	v_add_f64 v[95:96], v[95:96], v[101:102]
	v_fma_f64 v[101:102], v[89:90], v[115:116], v[166:167]
	v_add_f64 v[2:3], v[2:3], v[99:100]
	s_clause 0x4
	buffer_load_dword v100, off, s[0:3], 0 offset:588
	buffer_load_dword v115, off, s[0:3], 0 offset:600
	;; [unrolled: 1-line block ×5, first 2 shown]
	ds_read_b128 v[87:90], v1 offset:944
	s_waitcnt vmcnt(57) lgkmcnt(1)
	v_mul_f64 v[161:162], v[83:84], v[117:118]
	v_mul_f64 v[117:118], v[85:86], v[117:118]
	s_waitcnt vmcnt(56)
	v_fma_f64 v[111:112], v[79:80], v[113:114], -v[111:112]
	v_fma_f64 v[107:108], v[81:82], v[113:114], v[107:108]
	v_add_f64 v[95:96], v[95:96], v[109:110]
	v_add_f64 v[2:3], v[2:3], v[101:102]
	s_clause 0x2
	buffer_load_dword v116, off, s[0:3], 0 offset:604
	buffer_load_dword v102, off, s[0:3], 0 offset:580
	;; [unrolled: 1-line block ×3, first 2 shown]
	s_waitcnt vmcnt(58) lgkmcnt(0)
	v_mul_f64 v[113:114], v[89:90], v[119:120]
	ds_read_b128 v[79:82], v1 offset:960
	s_waitcnt vmcnt(56)
	v_fma_f64 v[117:118], v[83:84], v[123:124], -v[117:118]
	v_mul_f64 v[109:110], v[87:88], v[119:120]
	v_add_f64 v[95:96], v[95:96], v[111:112]
	v_fma_f64 v[111:112], v[85:86], v[123:124], v[161:162]
	v_add_f64 v[2:3], v[2:3], v[107:108]
	buffer_load_dword v161, off, s[0:3], 0 offset:596
	ds_read_b128 v[83:86], v1 offset:976
	s_waitcnt vmcnt(53) lgkmcnt(1)
	v_mul_f64 v[119:120], v[81:82], v[125:126]
	s_waitcnt vmcnt(52)
	v_fma_f64 v[113:114], v[87:88], v[121:122], -v[113:114]
	v_mul_f64 v[107:108], v[79:80], v[125:126]
	v_fma_f64 v[109:110], v[89:90], v[121:122], v[109:110]
	ds_read_b128 v[87:90], v1 offset:992
	v_add_f64 v[95:96], v[95:96], v[117:118]
	v_add_f64 v[2:3], v[2:3], v[111:112]
	s_waitcnt vmcnt(51) lgkmcnt(1)
	v_mul_f64 v[117:118], v[85:86], v[127:128]
	v_mul_f64 v[111:112], v[83:84], v[127:128]
	s_waitcnt vmcnt(49)
	v_fma_f64 v[119:120], v[79:80], v[131:132], -v[119:120]
	v_fma_f64 v[107:108], v[81:82], v[131:132], v[107:108]
	s_waitcnt vmcnt(45) lgkmcnt(0)
	v_mul_f64 v[123:124], v[89:90], v[134:135]
	v_mul_f64 v[121:122], v[87:88], v[134:135]
	v_add_f64 v[95:96], v[95:96], v[113:114]
	v_add_f64 v[2:3], v[2:3], v[109:110]
	s_clause 0x3
	buffer_load_dword v109, off, s[0:3], 0 offset:224
	buffer_load_dword v110, off, s[0:3], 0 offset:228
	;; [unrolled: 1-line block ×4, first 2 shown]
	s_waitcnt vmcnt(48)
	v_fma_f64 v[117:118], v[83:84], v[129:130], -v[117:118]
	ds_read_b128 v[79:82], v1 offset:1008
	v_fma_f64 v[111:112], v[85:86], v[129:130], v[111:112]
	ds_read_b128 v[83:86], v1 offset:1024
	s_waitcnt vmcnt(45)
	v_fma_f64 v[123:124], v[87:88], v[140:141], -v[123:124]
	v_add_f64 v[95:96], v[95:96], v[119:120]
	v_add_f64 v[2:3], v[2:3], v[107:108]
	s_waitcnt lgkmcnt(1)
	v_mul_f64 v[119:120], v[81:82], v[136:137]
	v_mul_f64 v[107:108], v[79:80], v[136:137]
	v_add_f64 v[95:96], v[95:96], v[117:118]
	v_fma_f64 v[117:118], v[89:90], v[140:141], v[121:122]
	v_add_f64 v[2:3], v[2:3], v[111:112]
	s_waitcnt vmcnt(41) lgkmcnt(0)
	v_mul_f64 v[121:122], v[85:86], v[142:143]
	s_waitcnt vmcnt(40)
	v_fma_f64 v[119:120], v[79:80], v[138:139], -v[119:120]
	ds_read_b128 v[87:90], v1 offset:1040
	v_mul_f64 v[111:112], v[83:84], v[142:143]
	v_fma_f64 v[107:108], v[81:82], v[138:139], v[107:108]
	ds_read_b128 v[79:82], v1 offset:1056
	v_add_f64 v[95:96], v[95:96], v[123:124]
	v_add_f64 v[2:3], v[2:3], v[117:118]
	s_waitcnt vmcnt(39) lgkmcnt(1)
	v_mul_f64 v[123:124], v[89:90], v[144:145]
	s_waitcnt vmcnt(37)
	v_fma_f64 v[121:122], v[83:84], v[148:149], -v[121:122]
	v_mul_f64 v[117:118], v[87:88], v[144:145]
	v_fma_f64 v[111:112], v[85:86], v[148:149], v[111:112]
	ds_read_b128 v[83:86], v1 offset:1072
	v_add_f64 v[95:96], v[95:96], v[119:120]
	s_waitcnt vmcnt(33) lgkmcnt(1)
	v_mul_f64 v[119:120], v[81:82], v[152:153]
	v_add_f64 v[2:3], v[2:3], v[107:108]
	s_waitcnt vmcnt(32)
	v_fma_f64 v[123:124], v[87:88], v[146:147], -v[123:124]
	v_mul_f64 v[107:108], v[79:80], v[152:153]
	v_fma_f64 v[117:118], v[89:90], v[146:147], v[117:118]
	ds_read_b128 v[87:90], v1 offset:1088
	v_add_f64 v[95:96], v[95:96], v[121:122]
	v_add_f64 v[2:3], v[2:3], v[111:112]
	s_waitcnt vmcnt(31) lgkmcnt(1)
	v_mul_f64 v[121:122], v[85:86], v[154:155]
	v_mul_f64 v[111:112], v[83:84], v[154:155]
	s_waitcnt vmcnt(29)
	v_fma_f64 v[119:120], v[79:80], v[93:94], -v[119:120]
	v_fma_f64 v[93:94], v[81:82], v[93:94], v[107:108]
	ds_read_b128 v[79:82], v1 offset:1104
	s_waitcnt vmcnt(25) lgkmcnt(1)
	v_mul_f64 v[107:108], v[87:88], v[97:98]
	v_mul_f64 v[97:98], v[89:90], v[97:98]
	v_add_f64 v[95:96], v[95:96], v[123:124]
	v_add_f64 v[2:3], v[2:3], v[117:118]
	s_waitcnt vmcnt(24)
	v_fma_f64 v[117:118], v[83:84], v[156:157], -v[121:122]
	v_fma_f64 v[111:112], v[85:86], v[156:157], v[111:112]
	ds_read_b128 v[83:86], v1 offset:1120
	v_add_f64 v[95:96], v[95:96], v[119:120]
	v_add_f64 v[2:3], v[2:3], v[93:94]
	s_waitcnt vmcnt(23) lgkmcnt(1)
	v_mul_f64 v[119:120], v[81:82], v[158:159]
	v_mul_f64 v[93:94], v[79:80], v[158:159]
	s_waitcnt vmcnt(21)
	v_fma_f64 v[97:98], v[87:88], v[91:92], -v[97:98]
	v_fma_f64 v[91:92], v[89:90], v[91:92], v[107:108]
	ds_read_b128 v[87:90], v1 offset:1136
	v_add_f64 v[95:96], v[95:96], v[117:118]
	v_add_f64 v[2:3], v[2:3], v[111:112]
	s_waitcnt vmcnt(17) lgkmcnt(1)
	v_mul_f64 v[107:108], v[83:84], v[105:106]
	v_mul_f64 v[105:106], v[85:86], v[105:106]
	;; [unrolled: 9-line block ×4, first 2 shown]
	s_waitcnt vmcnt(8)
	v_fma_f64 v[87:88], v[87:88], v[165:166], -v[97:98]
	v_fma_f64 v[89:90], v[89:90], v[165:166], v[91:92]
	v_add_f64 v[95:96], v[95:96], v[105:106]
	v_add_f64 v[2:3], v[2:3], v[103:104]
	s_waitcnt vmcnt(7) lgkmcnt(0)
	v_mul_f64 v[97:98], v[85:86], v[115:116]
	v_mul_f64 v[91:92], v[83:84], v[115:116]
	s_waitcnt vmcnt(5)
	v_fma_f64 v[79:80], v[79:80], v[101:102], -v[99:100]
	v_fma_f64 v[81:82], v[81:82], v[101:102], v[93:94]
	v_add_f64 v[87:88], v[95:96], v[87:88]
	v_add_f64 v[2:3], v[2:3], v[89:90]
	s_waitcnt vmcnt(4)
	v_fma_f64 v[83:84], v[83:84], v[160:161], -v[97:98]
	v_fma_f64 v[85:86], v[85:86], v[160:161], v[91:92]
	v_add_f64 v[79:80], v[87:88], v[79:80]
	v_add_f64 v[2:3], v[2:3], v[81:82]
	;; [unrolled: 1-line block ×4, first 2 shown]
	s_waitcnt vmcnt(2)
	v_add_f64 v[79:80], v[109:110], -v[79:80]
	s_waitcnt vmcnt(0)
	v_add_f64 v[2:3], v[113:114], -v[2:3]
	buffer_store_dword v80, off, s[0:3], 0 offset:228
	buffer_store_dword v79, off, s[0:3], 0 offset:224
	buffer_store_dword v3, off, s[0:3], 0 offset:236
	buffer_store_dword v2, off, s[0:3], 0 offset:232
	v_cmpx_lt_u32_e32 12, v0
	s_cbranch_execz .LBB100_211
; %bb.210:
	v_mov_b32_e32 v2, s37
	s_clause 0x3
	buffer_load_dword v79, v2, s[0:3], 0 offen
	buffer_load_dword v80, v2, s[0:3], 0 offen offset:4
	buffer_load_dword v81, v2, s[0:3], 0 offen offset:8
	;; [unrolled: 1-line block ×3, first 2 shown]
	buffer_store_dword v1, off, s[0:3], 0 offset:208
	buffer_store_dword v1, off, s[0:3], 0 offset:212
	;; [unrolled: 1-line block ×4, first 2 shown]
	s_waitcnt vmcnt(0)
	ds_write_b128 v133, v[79:82]
.LBB100_211:
	s_or_b32 exec_lo, exec_lo, s4
	s_waitcnt lgkmcnt(0)
	s_waitcnt_vscnt null, 0x0
	s_barrier
	buffer_gl0_inv
	s_clause 0x37
	buffer_load_dword v2, off, s[0:3], 0 offset:232
	buffer_load_dword v3, off, s[0:3], 0 offset:236
	;; [unrolled: 1-line block ×56, first 2 shown]
	ds_read_b128 v[79:82], v1 offset:800
	s_clause 0x2
	buffer_load_dword v145, off, s[0:3], 0 offset:460
	buffer_load_dword v149, off, s[0:3], 0 offset:436
	;; [unrolled: 1-line block ×3, first 2 shown]
	ds_read_b128 v[83:86], v1 offset:816
	s_clause 0x4
	buffer_load_dword v153, off, s[0:3], 0 offset:476
	buffer_load_dword v154, off, s[0:3], 0 offset:488
	;; [unrolled: 1-line block ×5, first 2 shown]
	ds_read_b128 v[87:90], v1 offset:832
	s_mov_b32 s4, exec_lo
	s_waitcnt vmcnt(62) lgkmcnt(2)
	v_mul_f64 v[150:151], v[81:82], v[2:3]
	v_mul_f64 v[2:3], v[79:80], v[2:3]
	s_waitcnt vmcnt(60) lgkmcnt(1)
	v_mul_f64 v[157:158], v[85:86], v[91:92]
	v_mul_f64 v[91:92], v[83:84], v[91:92]
	;; [unrolled: 3-line block ×3, first 2 shown]
	v_fma_f64 v[150:151], v[79:80], v[93:94], -v[150:151]
	v_fma_f64 v[2:3], v[81:82], v[93:94], v[2:3]
	s_clause 0x2
	buffer_load_dword v155, off, s[0:3], 0 offset:492
	buffer_load_dword v94, off, s[0:3], 0 offset:468
	;; [unrolled: 1-line block ×3, first 2 shown]
	s_waitcnt vmcnt(57)
	v_fma_f64 v[161:162], v[83:84], v[97:98], -v[157:158]
	ds_read_b128 v[79:82], v1 offset:848
	v_fma_f64 v[91:92], v[85:86], v[97:98], v[91:92]
	s_clause 0x4
	buffer_load_dword v98, off, s[0:3], 0 offset:508
	buffer_load_dword v158, off, s[0:3], 0 offset:520
	;; [unrolled: 1-line block ×5, first 2 shown]
	s_waitcnt vmcnt(56)
	v_fma_f64 v[95:96], v[87:88], v[105:106], -v[95:96]
	ds_read_b128 v[83:86], v1 offset:864
	v_fma_f64 v[105:106], v[89:90], v[105:106], v[159:160]
	v_add_f64 v[150:151], v[150:151], 0
	v_add_f64 v[2:3], v[2:3], 0
	s_waitcnt lgkmcnt(1)
	v_mul_f64 v[164:165], v[79:80], v[99:100]
	v_mul_f64 v[99:100], v[81:82], v[99:100]
	v_add_f64 v[150:151], v[150:151], v[161:162]
	v_add_f64 v[2:3], v[2:3], v[91:92]
	s_clause 0x2
	buffer_load_dword v159, off, s[0:3], 0 offset:524
	buffer_load_dword v92, off, s[0:3], 0 offset:500
	;; [unrolled: 1-line block ×3, first 2 shown]
	s_waitcnt vmcnt(58) lgkmcnt(0)
	v_mul_f64 v[160:161], v[83:84], v[101:102]
	v_mul_f64 v[101:102], v[85:86], v[101:102]
	s_waitcnt vmcnt(56)
	v_fma_f64 v[99:100], v[79:80], v[107:108], -v[99:100]
	ds_read_b128 v[87:90], v1 offset:880
	v_fma_f64 v[107:108], v[81:82], v[107:108], v[164:165]
	v_add_f64 v[95:96], v[150:151], v[95:96]
	v_add_f64 v[2:3], v[2:3], v[105:106]
	s_clause 0x4
	buffer_load_dword v106, off, s[0:3], 0 offset:540
	buffer_load_dword v150, off, s[0:3], 0 offset:552
	;; [unrolled: 1-line block ×5, first 2 shown]
	ds_read_b128 v[79:82], v1 offset:896
	s_waitcnt vmcnt(57) lgkmcnt(1)
	v_mul_f64 v[166:167], v[87:88], v[109:110]
	v_mul_f64 v[109:110], v[89:90], v[109:110]
	s_waitcnt vmcnt(56)
	v_fma_f64 v[101:102], v[83:84], v[103:104], -v[101:102]
	v_add_f64 v[95:96], v[95:96], v[99:100]
	v_fma_f64 v[99:100], v[85:86], v[103:104], v[160:161]
	v_add_f64 v[2:3], v[2:3], v[107:108]
	s_clause 0x2
	buffer_load_dword v151, off, s[0:3], 0 offset:556
	buffer_load_dword v104, off, s[0:3], 0 offset:532
	;; [unrolled: 1-line block ×3, first 2 shown]
	s_waitcnt vmcnt(58) lgkmcnt(0)
	v_mul_f64 v[107:108], v[79:80], v[111:112]
	v_mul_f64 v[111:112], v[81:82], v[111:112]
	s_waitcnt vmcnt(56)
	v_fma_f64 v[109:110], v[87:88], v[115:116], -v[109:110]
	ds_read_b128 v[83:86], v1 offset:912
	v_add_f64 v[95:96], v[95:96], v[101:102]
	v_fma_f64 v[101:102], v[89:90], v[115:116], v[166:167]
	v_add_f64 v[2:3], v[2:3], v[99:100]
	s_clause 0x4
	buffer_load_dword v100, off, s[0:3], 0 offset:572
	buffer_load_dword v115, off, s[0:3], 0 offset:584
	;; [unrolled: 1-line block ×5, first 2 shown]
	ds_read_b128 v[87:90], v1 offset:928
	s_waitcnt vmcnt(57) lgkmcnt(1)
	v_mul_f64 v[161:162], v[83:84], v[117:118]
	v_mul_f64 v[117:118], v[85:86], v[117:118]
	s_waitcnt vmcnt(56)
	v_fma_f64 v[111:112], v[79:80], v[113:114], -v[111:112]
	v_fma_f64 v[107:108], v[81:82], v[113:114], v[107:108]
	v_add_f64 v[95:96], v[95:96], v[109:110]
	v_add_f64 v[2:3], v[2:3], v[101:102]
	s_clause 0x2
	buffer_load_dword v116, off, s[0:3], 0 offset:588
	buffer_load_dword v102, off, s[0:3], 0 offset:564
	;; [unrolled: 1-line block ×3, first 2 shown]
	s_waitcnt vmcnt(58) lgkmcnt(0)
	v_mul_f64 v[113:114], v[89:90], v[119:120]
	ds_read_b128 v[79:82], v1 offset:944
	s_waitcnt vmcnt(56)
	v_fma_f64 v[117:118], v[83:84], v[123:124], -v[117:118]
	v_mul_f64 v[109:110], v[87:88], v[119:120]
	v_add_f64 v[95:96], v[95:96], v[111:112]
	v_fma_f64 v[111:112], v[85:86], v[123:124], v[161:162]
	v_add_f64 v[2:3], v[2:3], v[107:108]
	s_clause 0x2
	buffer_load_dword v108, off, s[0:3], 0 offset:604
	buffer_load_dword v107, off, s[0:3], 0 offset:600
	;; [unrolled: 1-line block ×3, first 2 shown]
	s_waitcnt vmcnt(55) lgkmcnt(0)
	v_mul_f64 v[123:124], v[81:82], v[125:126]
	s_waitcnt vmcnt(54)
	v_fma_f64 v[113:114], v[87:88], v[121:122], -v[113:114]
	ds_read_b128 v[83:86], v1 offset:960
	v_mul_f64 v[119:120], v[79:80], v[125:126]
	v_fma_f64 v[109:110], v[89:90], v[121:122], v[109:110]
	v_add_f64 v[95:96], v[95:96], v[117:118]
	v_add_f64 v[2:3], v[2:3], v[111:112]
	s_clause 0x1
	buffer_load_dword v112, off, s[0:3], 0 offset:596
	buffer_load_dword v111, off, s[0:3], 0 offset:592
	s_waitcnt vmcnt(55) lgkmcnt(0)
	v_mul_f64 v[121:122], v[85:86], v[127:128]
	s_waitcnt vmcnt(53)
	v_fma_f64 v[123:124], v[79:80], v[131:132], -v[123:124]
	ds_read_b128 v[87:90], v1 offset:976
	v_mul_f64 v[117:118], v[83:84], v[127:128]
	v_add_f64 v[95:96], v[95:96], v[113:114]
	v_fma_f64 v[113:114], v[81:82], v[131:132], v[119:120]
	v_add_f64 v[2:3], v[2:3], v[109:110]
	ds_read_b128 v[79:82], v1 offset:992
	s_waitcnt vmcnt(49) lgkmcnt(1)
	v_mul_f64 v[119:120], v[89:90], v[134:135]
	s_waitcnt vmcnt(48)
	v_fma_f64 v[121:122], v[83:84], v[129:130], -v[121:122]
	v_mul_f64 v[109:110], v[87:88], v[134:135]
	v_fma_f64 v[117:118], v[85:86], v[129:130], v[117:118]
	v_add_f64 v[95:96], v[95:96], v[123:124]
	s_waitcnt vmcnt(47) lgkmcnt(0)
	v_mul_f64 v[127:128], v[81:82], v[136:137]
	v_add_f64 v[2:3], v[2:3], v[113:114]
	s_clause 0x3
	buffer_load_dword v113, off, s[0:3], 0 offset:208
	buffer_load_dword v114, off, s[0:3], 0 offset:212
	;; [unrolled: 1-line block ×4, first 2 shown]
	s_waitcnt vmcnt(49)
	v_fma_f64 v[119:120], v[87:88], v[140:141], -v[119:120]
	ds_read_b128 v[83:86], v1 offset:1008
	v_mul_f64 v[125:126], v[79:80], v[136:137]
	v_fma_f64 v[109:110], v[89:90], v[140:141], v[109:110]
	ds_read_b128 v[87:90], v1 offset:1024
	v_add_f64 v[95:96], v[95:96], v[121:122]
	s_waitcnt vmcnt(44)
	v_fma_f64 v[127:128], v[79:80], v[138:139], -v[127:128]
	v_add_f64 v[2:3], v[2:3], v[117:118]
	s_waitcnt lgkmcnt(1)
	v_mul_f64 v[121:122], v[85:86], v[142:143]
	v_mul_f64 v[117:118], v[83:84], v[142:143]
	v_add_f64 v[95:96], v[95:96], v[119:120]
	v_fma_f64 v[119:120], v[81:82], v[138:139], v[125:126]
	v_add_f64 v[2:3], v[2:3], v[109:110]
	s_waitcnt vmcnt(43) lgkmcnt(0)
	v_mul_f64 v[125:126], v[89:90], v[144:145]
	s_waitcnt vmcnt(41)
	v_fma_f64 v[121:122], v[83:84], v[148:149], -v[121:122]
	ds_read_b128 v[79:82], v1 offset:1040
	v_mul_f64 v[109:110], v[87:88], v[144:145]
	v_fma_f64 v[117:118], v[85:86], v[148:149], v[117:118]
	ds_read_b128 v[83:86], v1 offset:1056
	v_add_f64 v[95:96], v[95:96], v[127:128]
	v_add_f64 v[2:3], v[2:3], v[119:120]
	s_waitcnt vmcnt(37) lgkmcnt(1)
	v_mul_f64 v[127:128], v[81:82], v[152:153]
	s_waitcnt vmcnt(36)
	v_fma_f64 v[125:126], v[87:88], v[146:147], -v[125:126]
	v_mul_f64 v[119:120], v[79:80], v[152:153]
	v_fma_f64 v[109:110], v[89:90], v[146:147], v[109:110]
	ds_read_b128 v[87:90], v1 offset:1072
	v_add_f64 v[95:96], v[95:96], v[121:122]
	v_add_f64 v[2:3], v[2:3], v[117:118]
	s_waitcnt vmcnt(35) lgkmcnt(1)
	v_mul_f64 v[121:122], v[85:86], v[154:155]
	v_mul_f64 v[117:118], v[83:84], v[154:155]
	s_waitcnt vmcnt(33)
	v_fma_f64 v[127:128], v[79:80], v[93:94], -v[127:128]
	v_fma_f64 v[93:94], v[81:82], v[93:94], v[119:120]
	ds_read_b128 v[79:82], v1 offset:1088
	v_add_f64 v[95:96], v[95:96], v[125:126]
	v_add_f64 v[2:3], v[2:3], v[109:110]
	s_waitcnt vmcnt(29) lgkmcnt(1)
	v_mul_f64 v[109:110], v[87:88], v[97:98]
	v_mul_f64 v[97:98], v[89:90], v[97:98]
	s_waitcnt vmcnt(28)
	v_fma_f64 v[119:120], v[83:84], v[156:157], -v[121:122]
	;; [unrolled: 9-line block ×6, first 2 shown]
	v_fma_f64 v[89:90], v[89:90], v[165:166], v[91:92]
	v_add_f64 v[95:96], v[95:96], v[105:106]
	v_add_f64 v[91:92], v[2:3], v[103:104]
	ds_read_b128 v[1:4], v1 offset:1168
	s_waitcnt vmcnt(11) lgkmcnt(1)
	v_mul_f64 v[103:104], v[85:86], v[115:116]
	v_mul_f64 v[97:98], v[83:84], v[115:116]
	s_waitcnt vmcnt(9)
	v_fma_f64 v[79:80], v[79:80], v[101:102], -v[99:100]
	v_fma_f64 v[81:82], v[81:82], v[101:102], v[93:94]
	v_add_f64 v[87:88], v[95:96], v[87:88]
	v_add_f64 v[89:90], v[91:92], v[89:90]
	s_waitcnt vmcnt(7) lgkmcnt(0)
	v_mul_f64 v[93:94], v[3:4], v[107:108]
	s_waitcnt vmcnt(6)
	v_fma_f64 v[83:84], v[83:84], v[160:161], -v[103:104]
	v_mul_f64 v[91:92], v[1:2], v[107:108]
	v_fma_f64 v[85:86], v[85:86], v[160:161], v[97:98]
	v_add_f64 v[79:80], v[87:88], v[79:80]
	v_add_f64 v[81:82], v[89:90], v[81:82]
	s_waitcnt vmcnt(4)
	v_fma_f64 v[1:2], v[1:2], v[111:112], -v[93:94]
	v_fma_f64 v[3:4], v[3:4], v[111:112], v[91:92]
	v_add_f64 v[79:80], v[79:80], v[83:84]
	v_add_f64 v[81:82], v[81:82], v[85:86]
	;; [unrolled: 1-line block ×4, first 2 shown]
	s_waitcnt vmcnt(2)
	v_add_f64 v[1:2], v[113:114], -v[1:2]
	s_waitcnt vmcnt(0)
	v_add_f64 v[3:4], v[123:124], -v[3:4]
	buffer_store_dword v2, off, s[0:3], 0 offset:212
	buffer_store_dword v1, off, s[0:3], 0 offset:208
	;; [unrolled: 1-line block ×4, first 2 shown]
	v_cmpx_lt_u32_e32 11, v0
	s_cbranch_execz .LBB100_213
; %bb.212:
	v_mov_b32_e32 v4, s38
	v_mov_b32_e32 v79, 0
	s_clause 0x3
	buffer_load_dword v1, v4, s[0:3], 0 offen
	buffer_load_dword v2, v4, s[0:3], 0 offen offset:4
	buffer_load_dword v3, v4, s[0:3], 0 offen offset:8
	;; [unrolled: 1-line block ×3, first 2 shown]
	buffer_store_dword v79, off, s[0:3], 0 offset:192
	buffer_store_dword v79, off, s[0:3], 0 offset:196
	;; [unrolled: 1-line block ×4, first 2 shown]
	s_waitcnt vmcnt(0)
	ds_write_b128 v133, v[1:4]
.LBB100_213:
	s_or_b32 exec_lo, exec_lo, s4
	s_waitcnt lgkmcnt(0)
	s_waitcnt_vscnt null, 0x0
	s_barrier
	buffer_gl0_inv
	s_clause 0x37
	buffer_load_dword v2, off, s[0:3], 0 offset:216
	buffer_load_dword v3, off, s[0:3], 0 offset:220
	;; [unrolled: 1-line block ×56, first 2 shown]
	v_mov_b32_e32 v1, 0
	s_mov_b32 s4, exec_lo
	ds_read_b128 v[79:82], v1 offset:784
	s_clause 0x2
	buffer_load_dword v145, off, s[0:3], 0 offset:444
	buffer_load_dword v149, off, s[0:3], 0 offset:420
	buffer_load_dword v148, off, s[0:3], 0 offset:416
	ds_read_b128 v[83:86], v1 offset:800
	s_clause 0x4
	buffer_load_dword v153, off, s[0:3], 0 offset:460
	buffer_load_dword v154, off, s[0:3], 0 offset:472
	;; [unrolled: 1-line block ×5, first 2 shown]
	ds_read_b128 v[87:90], v1 offset:816
	s_waitcnt vmcnt(62) lgkmcnt(2)
	v_mul_f64 v[150:151], v[81:82], v[2:3]
	v_mul_f64 v[2:3], v[79:80], v[2:3]
	s_waitcnt vmcnt(60) lgkmcnt(1)
	v_mul_f64 v[157:158], v[85:86], v[91:92]
	v_mul_f64 v[91:92], v[83:84], v[91:92]
	;; [unrolled: 3-line block ×3, first 2 shown]
	v_fma_f64 v[150:151], v[79:80], v[93:94], -v[150:151]
	v_fma_f64 v[2:3], v[81:82], v[93:94], v[2:3]
	s_clause 0x2
	buffer_load_dword v155, off, s[0:3], 0 offset:476
	buffer_load_dword v94, off, s[0:3], 0 offset:452
	;; [unrolled: 1-line block ×3, first 2 shown]
	s_waitcnt vmcnt(57)
	v_fma_f64 v[161:162], v[83:84], v[97:98], -v[157:158]
	ds_read_b128 v[79:82], v1 offset:832
	v_fma_f64 v[91:92], v[85:86], v[97:98], v[91:92]
	s_clause 0x4
	buffer_load_dword v98, off, s[0:3], 0 offset:492
	buffer_load_dword v158, off, s[0:3], 0 offset:504
	;; [unrolled: 1-line block ×5, first 2 shown]
	s_waitcnt vmcnt(56)
	v_fma_f64 v[95:96], v[87:88], v[105:106], -v[95:96]
	ds_read_b128 v[83:86], v1 offset:848
	v_fma_f64 v[105:106], v[89:90], v[105:106], v[159:160]
	v_add_f64 v[150:151], v[150:151], 0
	v_add_f64 v[2:3], v[2:3], 0
	s_waitcnt lgkmcnt(1)
	v_mul_f64 v[164:165], v[79:80], v[99:100]
	v_mul_f64 v[99:100], v[81:82], v[99:100]
	v_add_f64 v[150:151], v[150:151], v[161:162]
	v_add_f64 v[2:3], v[2:3], v[91:92]
	s_clause 0x2
	buffer_load_dword v159, off, s[0:3], 0 offset:508
	buffer_load_dword v92, off, s[0:3], 0 offset:484
	;; [unrolled: 1-line block ×3, first 2 shown]
	s_waitcnt vmcnt(58) lgkmcnt(0)
	v_mul_f64 v[160:161], v[83:84], v[101:102]
	v_mul_f64 v[101:102], v[85:86], v[101:102]
	s_waitcnt vmcnt(56)
	v_fma_f64 v[99:100], v[79:80], v[107:108], -v[99:100]
	ds_read_b128 v[87:90], v1 offset:864
	v_fma_f64 v[107:108], v[81:82], v[107:108], v[164:165]
	v_add_f64 v[95:96], v[150:151], v[95:96]
	v_add_f64 v[2:3], v[2:3], v[105:106]
	s_clause 0x4
	buffer_load_dword v106, off, s[0:3], 0 offset:524
	buffer_load_dword v150, off, s[0:3], 0 offset:536
	;; [unrolled: 1-line block ×5, first 2 shown]
	ds_read_b128 v[79:82], v1 offset:880
	s_waitcnt vmcnt(57) lgkmcnt(1)
	v_mul_f64 v[166:167], v[87:88], v[109:110]
	v_mul_f64 v[109:110], v[89:90], v[109:110]
	s_waitcnt vmcnt(56)
	v_fma_f64 v[101:102], v[83:84], v[103:104], -v[101:102]
	v_add_f64 v[95:96], v[95:96], v[99:100]
	v_fma_f64 v[99:100], v[85:86], v[103:104], v[160:161]
	v_add_f64 v[2:3], v[2:3], v[107:108]
	s_clause 0x2
	buffer_load_dword v151, off, s[0:3], 0 offset:540
	buffer_load_dword v104, off, s[0:3], 0 offset:516
	;; [unrolled: 1-line block ×3, first 2 shown]
	s_waitcnt vmcnt(58) lgkmcnt(0)
	v_mul_f64 v[107:108], v[79:80], v[111:112]
	v_mul_f64 v[111:112], v[81:82], v[111:112]
	s_waitcnt vmcnt(56)
	v_fma_f64 v[109:110], v[87:88], v[115:116], -v[109:110]
	ds_read_b128 v[83:86], v1 offset:896
	v_add_f64 v[95:96], v[95:96], v[101:102]
	v_fma_f64 v[101:102], v[89:90], v[115:116], v[166:167]
	v_add_f64 v[2:3], v[2:3], v[99:100]
	s_clause 0x4
	buffer_load_dword v100, off, s[0:3], 0 offset:556
	buffer_load_dword v115, off, s[0:3], 0 offset:568
	;; [unrolled: 1-line block ×5, first 2 shown]
	ds_read_b128 v[87:90], v1 offset:912
	s_waitcnt vmcnt(57) lgkmcnt(1)
	v_mul_f64 v[161:162], v[83:84], v[117:118]
	v_mul_f64 v[117:118], v[85:86], v[117:118]
	s_waitcnt vmcnt(56)
	v_fma_f64 v[111:112], v[79:80], v[113:114], -v[111:112]
	v_fma_f64 v[107:108], v[81:82], v[113:114], v[107:108]
	v_add_f64 v[95:96], v[95:96], v[109:110]
	v_add_f64 v[2:3], v[2:3], v[101:102]
	s_clause 0x2
	buffer_load_dword v116, off, s[0:3], 0 offset:572
	buffer_load_dword v102, off, s[0:3], 0 offset:548
	;; [unrolled: 1-line block ×3, first 2 shown]
	s_waitcnt vmcnt(58) lgkmcnt(0)
	v_mul_f64 v[113:114], v[89:90], v[119:120]
	ds_read_b128 v[79:82], v1 offset:928
	s_waitcnt vmcnt(56)
	v_fma_f64 v[117:118], v[83:84], v[123:124], -v[117:118]
	v_mul_f64 v[109:110], v[87:88], v[119:120]
	v_add_f64 v[95:96], v[95:96], v[111:112]
	v_fma_f64 v[111:112], v[85:86], v[123:124], v[161:162]
	v_add_f64 v[2:3], v[2:3], v[107:108]
	s_clause 0x4
	buffer_load_dword v108, off, s[0:3], 0 offset:588
	buffer_load_dword v119, off, s[0:3], 0 offset:600
	;; [unrolled: 1-line block ×5, first 2 shown]
	s_waitcnt vmcnt(57) lgkmcnt(0)
	v_mul_f64 v[167:168], v[79:80], v[125:126]
	v_mul_f64 v[124:125], v[81:82], v[125:126]
	s_waitcnt vmcnt(56)
	v_fma_f64 v[113:114], v[87:88], v[121:122], -v[113:114]
	ds_read_b128 v[83:86], v1 offset:944
	v_fma_f64 v[109:110], v[89:90], v[121:122], v[109:110]
	v_add_f64 v[95:96], v[95:96], v[117:118]
	v_add_f64 v[2:3], v[2:3], v[111:112]
	s_clause 0x2
	buffer_load_dword v120, off, s[0:3], 0 offset:604
	buffer_load_dword v112, off, s[0:3], 0 offset:580
	;; [unrolled: 1-line block ×3, first 2 shown]
	ds_read_b128 v[87:90], v1 offset:960
	s_waitcnt vmcnt(58) lgkmcnt(1)
	v_mul_f64 v[121:122], v[85:86], v[127:128]
	s_waitcnt vmcnt(56)
	v_fma_f64 v[125:126], v[79:80], v[131:132], -v[124:125]
	v_mul_f64 v[117:118], v[83:84], v[127:128]
	buffer_load_dword v124, off, s[0:3], 0 offset:596
	v_add_f64 v[95:96], v[95:96], v[113:114]
	v_fma_f64 v[113:114], v[81:82], v[131:132], v[167:168]
	v_add_f64 v[2:3], v[2:3], v[109:110]
	ds_read_b128 v[79:82], v1 offset:976
	s_waitcnt vmcnt(53) lgkmcnt(1)
	v_mul_f64 v[127:128], v[89:90], v[134:135]
	s_waitcnt vmcnt(52)
	v_fma_f64 v[121:122], v[83:84], v[129:130], -v[121:122]
	v_mul_f64 v[109:110], v[87:88], v[134:135]
	v_fma_f64 v[117:118], v[85:86], v[129:130], v[117:118]
	ds_read_b128 v[83:86], v1 offset:992
	v_add_f64 v[95:96], v[95:96], v[125:126]
	s_waitcnt vmcnt(51) lgkmcnt(1)
	v_mul_f64 v[125:126], v[81:82], v[136:137]
	v_add_f64 v[2:3], v[2:3], v[113:114]
	v_mul_f64 v[113:114], v[79:80], v[136:137]
	s_waitcnt vmcnt(49)
	v_fma_f64 v[127:128], v[87:88], v[140:141], -v[127:128]
	v_fma_f64 v[109:110], v[89:90], v[140:141], v[109:110]
	s_waitcnt vmcnt(45) lgkmcnt(0)
	v_mul_f64 v[131:132], v[85:86], v[142:143]
	v_mul_f64 v[129:130], v[83:84], v[142:143]
	v_add_f64 v[95:96], v[95:96], v[121:122]
	s_waitcnt vmcnt(44)
	v_fma_f64 v[125:126], v[79:80], v[138:139], -v[125:126]
	v_add_f64 v[2:3], v[2:3], v[117:118]
	s_clause 0x3
	buffer_load_dword v117, off, s[0:3], 0 offset:192
	buffer_load_dword v118, off, s[0:3], 0 offset:196
	;; [unrolled: 1-line block ×4, first 2 shown]
	ds_read_b128 v[87:90], v1 offset:1008
	v_fma_f64 v[113:114], v[81:82], v[138:139], v[113:114]
	ds_read_b128 v[79:82], v1 offset:1024
	s_waitcnt vmcnt(45)
	v_fma_f64 v[131:132], v[83:84], v[148:149], -v[131:132]
	v_add_f64 v[95:96], v[95:96], v[127:128]
	v_add_f64 v[2:3], v[2:3], v[109:110]
	s_waitcnt lgkmcnt(1)
	v_mul_f64 v[127:128], v[89:90], v[144:145]
	v_mul_f64 v[109:110], v[87:88], v[144:145]
	v_add_f64 v[95:96], v[95:96], v[125:126]
	v_fma_f64 v[125:126], v[85:86], v[148:149], v[129:130]
	v_add_f64 v[2:3], v[2:3], v[113:114]
	s_waitcnt vmcnt(41) lgkmcnt(0)
	v_mul_f64 v[129:130], v[81:82], v[152:153]
	s_waitcnt vmcnt(40)
	v_fma_f64 v[127:128], v[87:88], v[146:147], -v[127:128]
	ds_read_b128 v[83:86], v1 offset:1040
	v_mul_f64 v[113:114], v[79:80], v[152:153]
	v_fma_f64 v[109:110], v[89:90], v[146:147], v[109:110]
	ds_read_b128 v[87:90], v1 offset:1056
	v_add_f64 v[95:96], v[95:96], v[131:132]
	v_add_f64 v[2:3], v[2:3], v[125:126]
	s_waitcnt vmcnt(39) lgkmcnt(1)
	v_mul_f64 v[131:132], v[85:86], v[154:155]
	v_mul_f64 v[125:126], v[83:84], v[154:155]
	s_waitcnt vmcnt(37)
	v_fma_f64 v[129:130], v[79:80], v[93:94], -v[129:130]
	v_fma_f64 v[93:94], v[81:82], v[93:94], v[113:114]
	ds_read_b128 v[79:82], v1 offset:1072
	v_add_f64 v[95:96], v[95:96], v[127:128]
	v_add_f64 v[2:3], v[2:3], v[109:110]
	s_waitcnt vmcnt(33) lgkmcnt(1)
	v_mul_f64 v[109:110], v[87:88], v[97:98]
	v_mul_f64 v[97:98], v[89:90], v[97:98]
	s_waitcnt vmcnt(32)
	v_fma_f64 v[113:114], v[83:84], v[156:157], -v[131:132]
	v_fma_f64 v[125:126], v[85:86], v[156:157], v[125:126]
	ds_read_b128 v[83:86], v1 offset:1088
	v_add_f64 v[95:96], v[95:96], v[129:130]
	v_add_f64 v[2:3], v[2:3], v[93:94]
	s_waitcnt vmcnt(31) lgkmcnt(1)
	v_mul_f64 v[127:128], v[81:82], v[158:159]
	v_mul_f64 v[93:94], v[79:80], v[158:159]
	s_waitcnt vmcnt(29)
	v_fma_f64 v[97:98], v[87:88], v[91:92], -v[97:98]
	v_fma_f64 v[91:92], v[89:90], v[91:92], v[109:110]
	ds_read_b128 v[87:90], v1 offset:1104
	v_add_f64 v[95:96], v[95:96], v[113:114]
	v_add_f64 v[2:3], v[2:3], v[125:126]
	s_waitcnt vmcnt(25) lgkmcnt(1)
	v_mul_f64 v[109:110], v[83:84], v[105:106]
	v_mul_f64 v[105:106], v[85:86], v[105:106]
	s_waitcnt vmcnt(24)
	v_fma_f64 v[113:114], v[79:80], v[163:164], -v[127:128]
	v_fma_f64 v[93:94], v[81:82], v[163:164], v[93:94]
	ds_read_b128 v[79:82], v1 offset:1120
	v_add_f64 v[95:96], v[95:96], v[97:98]
	v_add_f64 v[2:3], v[2:3], v[91:92]
	s_waitcnt vmcnt(23) lgkmcnt(1)
	v_mul_f64 v[97:98], v[89:90], v[150:151]
	v_mul_f64 v[91:92], v[87:88], v[150:151]
	s_waitcnt vmcnt(21)
	v_fma_f64 v[105:106], v[83:84], v[103:104], -v[105:106]
	v_fma_f64 v[103:104], v[85:86], v[103:104], v[109:110]
	ds_read_b128 v[83:86], v1 offset:1136
	v_add_f64 v[95:96], v[95:96], v[113:114]
	v_add_f64 v[2:3], v[2:3], v[93:94]
	s_waitcnt vmcnt(17) lgkmcnt(1)
	v_mul_f64 v[93:94], v[79:80], v[99:100]
	v_mul_f64 v[99:100], v[81:82], v[99:100]
	s_waitcnt vmcnt(16)
	v_fma_f64 v[97:98], v[87:88], v[165:166], -v[97:98]
	v_fma_f64 v[91:92], v[89:90], v[165:166], v[91:92]
	ds_read_b128 v[87:90], v1 offset:1152
	v_add_f64 v[95:96], v[95:96], v[105:106]
	v_add_f64 v[2:3], v[2:3], v[103:104]
	s_waitcnt vmcnt(15) lgkmcnt(1)
	v_mul_f64 v[105:106], v[85:86], v[115:116]
	v_mul_f64 v[103:104], v[83:84], v[115:116]
	s_waitcnt vmcnt(13)
	v_fma_f64 v[99:100], v[79:80], v[101:102], -v[99:100]
	v_fma_f64 v[93:94], v[81:82], v[101:102], v[93:94]
	ds_read_b128 v[79:82], v1 offset:1168
	v_add_f64 v[95:96], v[95:96], v[97:98]
	v_add_f64 v[2:3], v[2:3], v[91:92]
	s_waitcnt vmcnt(9) lgkmcnt(1)
	v_mul_f64 v[97:98], v[89:90], v[107:108]
	s_waitcnt vmcnt(8)
	v_fma_f64 v[83:84], v[83:84], v[160:161], -v[105:106]
	v_mul_f64 v[91:92], v[87:88], v[107:108]
	v_fma_f64 v[85:86], v[85:86], v[160:161], v[103:104]
	v_add_f64 v[95:96], v[95:96], v[99:100]
	v_add_f64 v[2:3], v[2:3], v[93:94]
	s_waitcnt vmcnt(7) lgkmcnt(0)
	v_mul_f64 v[99:100], v[81:82], v[119:120]
	v_mul_f64 v[93:94], v[79:80], v[119:120]
	s_waitcnt vmcnt(5)
	v_fma_f64 v[87:88], v[87:88], v[111:112], -v[97:98]
	v_fma_f64 v[89:90], v[89:90], v[111:112], v[91:92]
	v_add_f64 v[83:84], v[95:96], v[83:84]
	v_add_f64 v[2:3], v[2:3], v[85:86]
	s_waitcnt vmcnt(4)
	v_fma_f64 v[79:80], v[79:80], v[123:124], -v[99:100]
	v_fma_f64 v[81:82], v[81:82], v[123:124], v[93:94]
	v_add_f64 v[83:84], v[83:84], v[87:88]
	v_add_f64 v[2:3], v[2:3], v[89:90]
	;; [unrolled: 1-line block ×4, first 2 shown]
	s_waitcnt vmcnt(2)
	v_add_f64 v[79:80], v[117:118], -v[79:80]
	s_waitcnt vmcnt(0)
	v_add_f64 v[2:3], v[121:122], -v[2:3]
	buffer_store_dword v80, off, s[0:3], 0 offset:196
	buffer_store_dword v79, off, s[0:3], 0 offset:192
	;; [unrolled: 1-line block ×4, first 2 shown]
	v_cmpx_lt_u32_e32 10, v0
	s_cbranch_execz .LBB100_215
; %bb.214:
	v_mov_b32_e32 v2, s39
	s_clause 0x3
	buffer_load_dword v79, v2, s[0:3], 0 offen
	buffer_load_dword v80, v2, s[0:3], 0 offen offset:4
	buffer_load_dword v81, v2, s[0:3], 0 offen offset:8
	;; [unrolled: 1-line block ×3, first 2 shown]
	buffer_store_dword v1, off, s[0:3], 0 offset:176
	buffer_store_dword v1, off, s[0:3], 0 offset:180
	;; [unrolled: 1-line block ×4, first 2 shown]
	s_waitcnt vmcnt(0)
	ds_write_b128 v133, v[79:82]
.LBB100_215:
	s_or_b32 exec_lo, exec_lo, s4
	s_waitcnt lgkmcnt(0)
	s_waitcnt_vscnt null, 0x0
	s_barrier
	buffer_gl0_inv
	s_clause 0x37
	buffer_load_dword v2, off, s[0:3], 0 offset:200
	buffer_load_dword v3, off, s[0:3], 0 offset:204
	;; [unrolled: 1-line block ×56, first 2 shown]
	ds_read_b128 v[79:82], v1 offset:768
	s_clause 0x2
	buffer_load_dword v145, off, s[0:3], 0 offset:428
	buffer_load_dword v149, off, s[0:3], 0 offset:404
	;; [unrolled: 1-line block ×3, first 2 shown]
	ds_read_b128 v[83:86], v1 offset:784
	s_clause 0x4
	buffer_load_dword v153, off, s[0:3], 0 offset:444
	buffer_load_dword v154, off, s[0:3], 0 offset:456
	;; [unrolled: 1-line block ×5, first 2 shown]
	ds_read_b128 v[87:90], v1 offset:800
	s_mov_b32 s4, exec_lo
	s_waitcnt vmcnt(62) lgkmcnt(2)
	v_mul_f64 v[150:151], v[81:82], v[2:3]
	v_mul_f64 v[2:3], v[79:80], v[2:3]
	s_waitcnt vmcnt(60) lgkmcnt(1)
	v_mul_f64 v[157:158], v[85:86], v[91:92]
	v_mul_f64 v[91:92], v[83:84], v[91:92]
	;; [unrolled: 3-line block ×3, first 2 shown]
	v_fma_f64 v[150:151], v[79:80], v[93:94], -v[150:151]
	v_fma_f64 v[2:3], v[81:82], v[93:94], v[2:3]
	s_clause 0x2
	buffer_load_dword v155, off, s[0:3], 0 offset:460
	buffer_load_dword v94, off, s[0:3], 0 offset:436
	;; [unrolled: 1-line block ×3, first 2 shown]
	s_waitcnt vmcnt(57)
	v_fma_f64 v[161:162], v[83:84], v[97:98], -v[157:158]
	ds_read_b128 v[79:82], v1 offset:816
	v_fma_f64 v[91:92], v[85:86], v[97:98], v[91:92]
	s_clause 0x4
	buffer_load_dword v98, off, s[0:3], 0 offset:476
	buffer_load_dword v158, off, s[0:3], 0 offset:488
	;; [unrolled: 1-line block ×5, first 2 shown]
	s_waitcnt vmcnt(56)
	v_fma_f64 v[95:96], v[87:88], v[105:106], -v[95:96]
	ds_read_b128 v[83:86], v1 offset:832
	v_fma_f64 v[105:106], v[89:90], v[105:106], v[159:160]
	v_add_f64 v[150:151], v[150:151], 0
	v_add_f64 v[2:3], v[2:3], 0
	s_waitcnt lgkmcnt(1)
	v_mul_f64 v[164:165], v[79:80], v[99:100]
	v_mul_f64 v[99:100], v[81:82], v[99:100]
	v_add_f64 v[150:151], v[150:151], v[161:162]
	v_add_f64 v[2:3], v[2:3], v[91:92]
	s_clause 0x2
	buffer_load_dword v159, off, s[0:3], 0 offset:492
	buffer_load_dword v92, off, s[0:3], 0 offset:468
	;; [unrolled: 1-line block ×3, first 2 shown]
	s_waitcnt vmcnt(58) lgkmcnt(0)
	v_mul_f64 v[160:161], v[83:84], v[101:102]
	v_mul_f64 v[101:102], v[85:86], v[101:102]
	s_waitcnt vmcnt(56)
	v_fma_f64 v[99:100], v[79:80], v[107:108], -v[99:100]
	ds_read_b128 v[87:90], v1 offset:848
	v_fma_f64 v[107:108], v[81:82], v[107:108], v[164:165]
	v_add_f64 v[95:96], v[150:151], v[95:96]
	v_add_f64 v[2:3], v[2:3], v[105:106]
	s_clause 0x4
	buffer_load_dword v106, off, s[0:3], 0 offset:508
	buffer_load_dword v150, off, s[0:3], 0 offset:520
	;; [unrolled: 1-line block ×5, first 2 shown]
	ds_read_b128 v[79:82], v1 offset:864
	s_waitcnt vmcnt(57) lgkmcnt(1)
	v_mul_f64 v[166:167], v[87:88], v[109:110]
	v_mul_f64 v[109:110], v[89:90], v[109:110]
	s_waitcnt vmcnt(56)
	v_fma_f64 v[101:102], v[83:84], v[103:104], -v[101:102]
	v_add_f64 v[95:96], v[95:96], v[99:100]
	v_fma_f64 v[99:100], v[85:86], v[103:104], v[160:161]
	v_add_f64 v[2:3], v[2:3], v[107:108]
	s_clause 0x2
	buffer_load_dword v151, off, s[0:3], 0 offset:524
	buffer_load_dword v104, off, s[0:3], 0 offset:500
	;; [unrolled: 1-line block ×3, first 2 shown]
	s_waitcnt vmcnt(58) lgkmcnt(0)
	v_mul_f64 v[107:108], v[79:80], v[111:112]
	v_mul_f64 v[111:112], v[81:82], v[111:112]
	s_waitcnt vmcnt(56)
	v_fma_f64 v[109:110], v[87:88], v[115:116], -v[109:110]
	ds_read_b128 v[83:86], v1 offset:880
	v_add_f64 v[95:96], v[95:96], v[101:102]
	v_fma_f64 v[101:102], v[89:90], v[115:116], v[166:167]
	v_add_f64 v[2:3], v[2:3], v[99:100]
	s_clause 0x4
	buffer_load_dword v100, off, s[0:3], 0 offset:540
	buffer_load_dword v115, off, s[0:3], 0 offset:552
	buffer_load_dword v160, off, s[0:3], 0 offset:544
	buffer_load_dword v99, off, s[0:3], 0 offset:536
	buffer_load_dword v166, off, s[0:3], 0 offset:516
	ds_read_b128 v[87:90], v1 offset:896
	s_waitcnt vmcnt(57) lgkmcnt(1)
	v_mul_f64 v[161:162], v[83:84], v[117:118]
	v_mul_f64 v[117:118], v[85:86], v[117:118]
	s_waitcnt vmcnt(56)
	v_fma_f64 v[111:112], v[79:80], v[113:114], -v[111:112]
	v_fma_f64 v[107:108], v[81:82], v[113:114], v[107:108]
	v_add_f64 v[95:96], v[95:96], v[109:110]
	v_add_f64 v[2:3], v[2:3], v[101:102]
	s_clause 0x2
	buffer_load_dword v116, off, s[0:3], 0 offset:556
	buffer_load_dword v102, off, s[0:3], 0 offset:532
	;; [unrolled: 1-line block ×3, first 2 shown]
	s_waitcnt vmcnt(58) lgkmcnt(0)
	v_mul_f64 v[113:114], v[89:90], v[119:120]
	ds_read_b128 v[79:82], v1 offset:912
	s_waitcnt vmcnt(56)
	v_fma_f64 v[117:118], v[83:84], v[123:124], -v[117:118]
	v_mul_f64 v[109:110], v[87:88], v[119:120]
	v_add_f64 v[95:96], v[95:96], v[111:112]
	v_fma_f64 v[111:112], v[85:86], v[123:124], v[161:162]
	v_add_f64 v[2:3], v[2:3], v[107:108]
	s_clause 0x4
	buffer_load_dword v108, off, s[0:3], 0 offset:572
	buffer_load_dword v119, off, s[0:3], 0 offset:584
	;; [unrolled: 1-line block ×5, first 2 shown]
	s_waitcnt vmcnt(57) lgkmcnt(0)
	v_mul_f64 v[167:168], v[79:80], v[125:126]
	v_mul_f64 v[124:125], v[81:82], v[125:126]
	s_waitcnt vmcnt(56)
	v_fma_f64 v[113:114], v[87:88], v[121:122], -v[113:114]
	ds_read_b128 v[83:86], v1 offset:928
	v_fma_f64 v[109:110], v[89:90], v[121:122], v[109:110]
	v_add_f64 v[95:96], v[95:96], v[117:118]
	v_add_f64 v[2:3], v[2:3], v[111:112]
	s_clause 0x2
	buffer_load_dword v120, off, s[0:3], 0 offset:588
	buffer_load_dword v112, off, s[0:3], 0 offset:564
	;; [unrolled: 1-line block ×3, first 2 shown]
	ds_read_b128 v[87:90], v1 offset:944
	s_waitcnt vmcnt(58) lgkmcnt(1)
	v_mul_f64 v[121:122], v[85:86], v[127:128]
	s_waitcnt vmcnt(56)
	v_fma_f64 v[125:126], v[79:80], v[131:132], -v[124:125]
	v_mul_f64 v[117:118], v[83:84], v[127:128]
	v_add_f64 v[95:96], v[95:96], v[113:114]
	v_fma_f64 v[113:114], v[81:82], v[131:132], v[167:168]
	v_add_f64 v[2:3], v[2:3], v[109:110]
	s_clause 0x2
	buffer_load_dword v110, off, s[0:3], 0 offset:604
	buffer_load_dword v109, off, s[0:3], 0 offset:600
	;; [unrolled: 1-line block ×3, first 2 shown]
	s_waitcnt vmcnt(55) lgkmcnt(0)
	v_mul_f64 v[131:132], v[89:90], v[134:135]
	s_waitcnt vmcnt(54)
	v_fma_f64 v[121:122], v[83:84], v[129:130], -v[121:122]
	ds_read_b128 v[79:82], v1 offset:960
	v_mul_f64 v[127:128], v[87:88], v[134:135]
	v_fma_f64 v[117:118], v[85:86], v[129:130], v[117:118]
	v_add_f64 v[95:96], v[95:96], v[125:126]
	v_add_f64 v[2:3], v[2:3], v[113:114]
	s_clause 0x1
	buffer_load_dword v114, off, s[0:3], 0 offset:596
	buffer_load_dword v113, off, s[0:3], 0 offset:592
	s_waitcnt vmcnt(55) lgkmcnt(0)
	v_mul_f64 v[129:130], v[81:82], v[136:137]
	s_waitcnt vmcnt(53)
	v_fma_f64 v[131:132], v[87:88], v[140:141], -v[131:132]
	ds_read_b128 v[83:86], v1 offset:976
	v_mul_f64 v[125:126], v[79:80], v[136:137]
	v_add_f64 v[95:96], v[95:96], v[121:122]
	v_fma_f64 v[121:122], v[89:90], v[140:141], v[127:128]
	v_add_f64 v[2:3], v[2:3], v[117:118]
	ds_read_b128 v[87:90], v1 offset:992
	s_waitcnt vmcnt(49) lgkmcnt(1)
	v_mul_f64 v[127:128], v[85:86], v[142:143]
	s_waitcnt vmcnt(48)
	v_fma_f64 v[129:130], v[79:80], v[138:139], -v[129:130]
	v_mul_f64 v[117:118], v[83:84], v[142:143]
	v_fma_f64 v[125:126], v[81:82], v[138:139], v[125:126]
	v_add_f64 v[95:96], v[95:96], v[131:132]
	s_waitcnt vmcnt(47) lgkmcnt(0)
	v_mul_f64 v[136:137], v[89:90], v[144:145]
	v_add_f64 v[2:3], v[2:3], v[121:122]
	s_clause 0x3
	buffer_load_dword v121, off, s[0:3], 0 offset:176
	buffer_load_dword v122, off, s[0:3], 0 offset:180
	;; [unrolled: 1-line block ×4, first 2 shown]
	s_waitcnt vmcnt(49)
	v_fma_f64 v[127:128], v[83:84], v[148:149], -v[127:128]
	ds_read_b128 v[79:82], v1 offset:1008
	v_mul_f64 v[134:135], v[87:88], v[144:145]
	v_fma_f64 v[117:118], v[85:86], v[148:149], v[117:118]
	ds_read_b128 v[83:86], v1 offset:1024
	v_add_f64 v[95:96], v[95:96], v[129:130]
	s_waitcnt vmcnt(44)
	v_fma_f64 v[136:137], v[87:88], v[146:147], -v[136:137]
	v_add_f64 v[2:3], v[2:3], v[125:126]
	s_waitcnt lgkmcnt(1)
	v_mul_f64 v[129:130], v[81:82], v[152:153]
	v_mul_f64 v[125:126], v[79:80], v[152:153]
	v_add_f64 v[95:96], v[95:96], v[127:128]
	v_fma_f64 v[127:128], v[89:90], v[146:147], v[134:135]
	v_add_f64 v[2:3], v[2:3], v[117:118]
	ds_read_b128 v[87:90], v1 offset:1040
	s_waitcnt vmcnt(43) lgkmcnt(1)
	v_mul_f64 v[134:135], v[85:86], v[154:155]
	v_mul_f64 v[117:118], v[83:84], v[154:155]
	s_waitcnt vmcnt(41)
	v_fma_f64 v[129:130], v[79:80], v[93:94], -v[129:130]
	v_fma_f64 v[93:94], v[81:82], v[93:94], v[125:126]
	ds_read_b128 v[79:82], v1 offset:1056
	v_add_f64 v[95:96], v[95:96], v[136:137]
	s_waitcnt vmcnt(37) lgkmcnt(1)
	v_mul_f64 v[125:126], v[87:88], v[97:98]
	v_add_f64 v[2:3], v[2:3], v[127:128]
	v_mul_f64 v[97:98], v[89:90], v[97:98]
	s_waitcnt vmcnt(36)
	v_fma_f64 v[127:128], v[83:84], v[156:157], -v[134:135]
	v_fma_f64 v[117:118], v[85:86], v[156:157], v[117:118]
	ds_read_b128 v[83:86], v1 offset:1072
	v_add_f64 v[95:96], v[95:96], v[129:130]
	v_add_f64 v[2:3], v[2:3], v[93:94]
	s_waitcnt vmcnt(35) lgkmcnt(1)
	v_mul_f64 v[129:130], v[81:82], v[158:159]
	v_mul_f64 v[93:94], v[79:80], v[158:159]
	s_waitcnt vmcnt(33)
	v_fma_f64 v[97:98], v[87:88], v[91:92], -v[97:98]
	v_fma_f64 v[91:92], v[89:90], v[91:92], v[125:126]
	ds_read_b128 v[87:90], v1 offset:1088
	v_add_f64 v[95:96], v[95:96], v[127:128]
	v_add_f64 v[2:3], v[2:3], v[117:118]
	s_waitcnt vmcnt(29) lgkmcnt(1)
	v_mul_f64 v[117:118], v[83:84], v[105:106]
	;; [unrolled: 9-line block ×6, first 2 shown]
	s_waitcnt vmcnt(12)
	v_fma_f64 v[83:84], v[83:84], v[160:161], -v[105:106]
	v_mul_f64 v[91:92], v[87:88], v[107:108]
	v_fma_f64 v[85:86], v[85:86], v[160:161], v[103:104]
	v_add_f64 v[95:96], v[95:96], v[99:100]
	v_add_f64 v[93:94], v[2:3], v[93:94]
	ds_read_b128 v[1:4], v1 offset:1168
	s_waitcnt vmcnt(11) lgkmcnt(1)
	v_mul_f64 v[101:102], v[81:82], v[119:120]
	v_mul_f64 v[99:100], v[79:80], v[119:120]
	s_waitcnt vmcnt(9)
	v_fma_f64 v[87:88], v[87:88], v[111:112], -v[97:98]
	v_fma_f64 v[89:90], v[89:90], v[111:112], v[91:92]
	v_add_f64 v[83:84], v[95:96], v[83:84]
	v_add_f64 v[85:86], v[93:94], v[85:86]
	s_waitcnt vmcnt(7) lgkmcnt(0)
	v_mul_f64 v[93:94], v[3:4], v[109:110]
	s_waitcnt vmcnt(6)
	v_fma_f64 v[79:80], v[79:80], v[123:124], -v[101:102]
	v_mul_f64 v[91:92], v[1:2], v[109:110]
	v_fma_f64 v[81:82], v[81:82], v[123:124], v[99:100]
	v_add_f64 v[83:84], v[83:84], v[87:88]
	v_add_f64 v[85:86], v[85:86], v[89:90]
	s_waitcnt vmcnt(4)
	v_fma_f64 v[1:2], v[1:2], v[113:114], -v[93:94]
	v_fma_f64 v[3:4], v[3:4], v[113:114], v[91:92]
	v_add_f64 v[79:80], v[83:84], v[79:80]
	v_add_f64 v[81:82], v[85:86], v[81:82]
	;; [unrolled: 1-line block ×4, first 2 shown]
	s_waitcnt vmcnt(2)
	v_add_f64 v[1:2], v[121:122], -v[1:2]
	s_waitcnt vmcnt(0)
	v_add_f64 v[3:4], v[131:132], -v[3:4]
	buffer_store_dword v2, off, s[0:3], 0 offset:180
	buffer_store_dword v1, off, s[0:3], 0 offset:176
	;; [unrolled: 1-line block ×4, first 2 shown]
	v_cmpx_lt_u32_e32 9, v0
	s_cbranch_execz .LBB100_217
; %bb.216:
	v_mov_b32_e32 v4, s40
	v_mov_b32_e32 v79, 0
	s_clause 0x3
	buffer_load_dword v1, v4, s[0:3], 0 offen
	buffer_load_dword v2, v4, s[0:3], 0 offen offset:4
	buffer_load_dword v3, v4, s[0:3], 0 offen offset:8
	buffer_load_dword v4, v4, s[0:3], 0 offen offset:12
	buffer_store_dword v79, off, s[0:3], 0 offset:160
	buffer_store_dword v79, off, s[0:3], 0 offset:164
	;; [unrolled: 1-line block ×4, first 2 shown]
	s_waitcnt vmcnt(0)
	ds_write_b128 v133, v[1:4]
.LBB100_217:
	s_or_b32 exec_lo, exec_lo, s4
	s_waitcnt lgkmcnt(0)
	s_waitcnt_vscnt null, 0x0
	s_barrier
	buffer_gl0_inv
	s_clause 0x37
	buffer_load_dword v2, off, s[0:3], 0 offset:184
	buffer_load_dword v3, off, s[0:3], 0 offset:188
	;; [unrolled: 1-line block ×56, first 2 shown]
	v_mov_b32_e32 v1, 0
	s_mov_b32 s4, exec_lo
	ds_read_b128 v[79:82], v1 offset:752
	s_clause 0x2
	buffer_load_dword v145, off, s[0:3], 0 offset:412
	buffer_load_dword v149, off, s[0:3], 0 offset:388
	;; [unrolled: 1-line block ×3, first 2 shown]
	ds_read_b128 v[83:86], v1 offset:768
	s_clause 0x4
	buffer_load_dword v153, off, s[0:3], 0 offset:428
	buffer_load_dword v154, off, s[0:3], 0 offset:440
	;; [unrolled: 1-line block ×5, first 2 shown]
	ds_read_b128 v[87:90], v1 offset:784
	s_waitcnt vmcnt(62) lgkmcnt(2)
	v_mul_f64 v[150:151], v[81:82], v[2:3]
	v_mul_f64 v[2:3], v[79:80], v[2:3]
	s_waitcnt vmcnt(60) lgkmcnt(1)
	v_mul_f64 v[157:158], v[85:86], v[91:92]
	v_mul_f64 v[91:92], v[83:84], v[91:92]
	;; [unrolled: 3-line block ×3, first 2 shown]
	v_fma_f64 v[150:151], v[79:80], v[93:94], -v[150:151]
	v_fma_f64 v[2:3], v[81:82], v[93:94], v[2:3]
	s_clause 0x2
	buffer_load_dword v155, off, s[0:3], 0 offset:444
	buffer_load_dword v94, off, s[0:3], 0 offset:420
	buffer_load_dword v93, off, s[0:3], 0 offset:416
	s_waitcnt vmcnt(57)
	v_fma_f64 v[161:162], v[83:84], v[97:98], -v[157:158]
	ds_read_b128 v[79:82], v1 offset:800
	v_fma_f64 v[91:92], v[85:86], v[97:98], v[91:92]
	s_clause 0x4
	buffer_load_dword v98, off, s[0:3], 0 offset:460
	buffer_load_dword v158, off, s[0:3], 0 offset:472
	;; [unrolled: 1-line block ×5, first 2 shown]
	s_waitcnt vmcnt(56)
	v_fma_f64 v[95:96], v[87:88], v[105:106], -v[95:96]
	ds_read_b128 v[83:86], v1 offset:816
	v_fma_f64 v[105:106], v[89:90], v[105:106], v[159:160]
	v_add_f64 v[150:151], v[150:151], 0
	v_add_f64 v[2:3], v[2:3], 0
	s_waitcnt lgkmcnt(1)
	v_mul_f64 v[164:165], v[79:80], v[99:100]
	v_mul_f64 v[99:100], v[81:82], v[99:100]
	v_add_f64 v[150:151], v[150:151], v[161:162]
	v_add_f64 v[2:3], v[2:3], v[91:92]
	s_clause 0x2
	buffer_load_dword v159, off, s[0:3], 0 offset:476
	buffer_load_dword v92, off, s[0:3], 0 offset:452
	;; [unrolled: 1-line block ×3, first 2 shown]
	s_waitcnt vmcnt(58) lgkmcnt(0)
	v_mul_f64 v[160:161], v[83:84], v[101:102]
	v_mul_f64 v[101:102], v[85:86], v[101:102]
	s_waitcnt vmcnt(56)
	v_fma_f64 v[99:100], v[79:80], v[107:108], -v[99:100]
	ds_read_b128 v[87:90], v1 offset:832
	v_fma_f64 v[107:108], v[81:82], v[107:108], v[164:165]
	v_add_f64 v[95:96], v[150:151], v[95:96]
	v_add_f64 v[2:3], v[2:3], v[105:106]
	s_clause 0x4
	buffer_load_dword v106, off, s[0:3], 0 offset:492
	buffer_load_dword v150, off, s[0:3], 0 offset:504
	;; [unrolled: 1-line block ×5, first 2 shown]
	ds_read_b128 v[79:82], v1 offset:848
	s_waitcnt vmcnt(57) lgkmcnt(1)
	v_mul_f64 v[166:167], v[87:88], v[109:110]
	v_mul_f64 v[109:110], v[89:90], v[109:110]
	s_waitcnt vmcnt(56)
	v_fma_f64 v[101:102], v[83:84], v[103:104], -v[101:102]
	v_add_f64 v[95:96], v[95:96], v[99:100]
	v_fma_f64 v[99:100], v[85:86], v[103:104], v[160:161]
	v_add_f64 v[2:3], v[2:3], v[107:108]
	s_clause 0x2
	buffer_load_dword v151, off, s[0:3], 0 offset:508
	buffer_load_dword v104, off, s[0:3], 0 offset:484
	;; [unrolled: 1-line block ×3, first 2 shown]
	s_waitcnt vmcnt(58) lgkmcnt(0)
	v_mul_f64 v[107:108], v[79:80], v[111:112]
	v_mul_f64 v[111:112], v[81:82], v[111:112]
	s_waitcnt vmcnt(56)
	v_fma_f64 v[109:110], v[87:88], v[115:116], -v[109:110]
	ds_read_b128 v[83:86], v1 offset:864
	v_add_f64 v[95:96], v[95:96], v[101:102]
	v_fma_f64 v[101:102], v[89:90], v[115:116], v[166:167]
	v_add_f64 v[2:3], v[2:3], v[99:100]
	s_clause 0x4
	buffer_load_dword v100, off, s[0:3], 0 offset:524
	buffer_load_dword v115, off, s[0:3], 0 offset:536
	;; [unrolled: 1-line block ×5, first 2 shown]
	ds_read_b128 v[87:90], v1 offset:880
	s_waitcnt vmcnt(57) lgkmcnt(1)
	v_mul_f64 v[161:162], v[83:84], v[117:118]
	v_mul_f64 v[117:118], v[85:86], v[117:118]
	s_waitcnt vmcnt(56)
	v_fma_f64 v[111:112], v[79:80], v[113:114], -v[111:112]
	v_fma_f64 v[107:108], v[81:82], v[113:114], v[107:108]
	v_add_f64 v[95:96], v[95:96], v[109:110]
	v_add_f64 v[2:3], v[2:3], v[101:102]
	s_clause 0x2
	buffer_load_dword v116, off, s[0:3], 0 offset:540
	buffer_load_dword v102, off, s[0:3], 0 offset:516
	;; [unrolled: 1-line block ×3, first 2 shown]
	s_waitcnt vmcnt(58) lgkmcnt(0)
	v_mul_f64 v[113:114], v[89:90], v[119:120]
	ds_read_b128 v[79:82], v1 offset:896
	s_waitcnt vmcnt(56)
	v_fma_f64 v[117:118], v[83:84], v[123:124], -v[117:118]
	v_mul_f64 v[109:110], v[87:88], v[119:120]
	v_add_f64 v[95:96], v[95:96], v[111:112]
	v_fma_f64 v[111:112], v[85:86], v[123:124], v[161:162]
	v_add_f64 v[2:3], v[2:3], v[107:108]
	s_clause 0x4
	buffer_load_dword v108, off, s[0:3], 0 offset:556
	buffer_load_dword v119, off, s[0:3], 0 offset:568
	;; [unrolled: 1-line block ×5, first 2 shown]
	s_waitcnt vmcnt(57) lgkmcnt(0)
	v_mul_f64 v[167:168], v[79:80], v[125:126]
	v_mul_f64 v[124:125], v[81:82], v[125:126]
	s_waitcnt vmcnt(56)
	v_fma_f64 v[113:114], v[87:88], v[121:122], -v[113:114]
	ds_read_b128 v[83:86], v1 offset:912
	v_fma_f64 v[109:110], v[89:90], v[121:122], v[109:110]
	v_add_f64 v[95:96], v[95:96], v[117:118]
	v_add_f64 v[2:3], v[2:3], v[111:112]
	s_clause 0x2
	buffer_load_dword v120, off, s[0:3], 0 offset:572
	buffer_load_dword v112, off, s[0:3], 0 offset:548
	;; [unrolled: 1-line block ×3, first 2 shown]
	ds_read_b128 v[87:90], v1 offset:928
	s_waitcnt vmcnt(58) lgkmcnt(1)
	v_mul_f64 v[121:122], v[85:86], v[127:128]
	s_waitcnt vmcnt(56)
	v_fma_f64 v[125:126], v[79:80], v[131:132], -v[124:125]
	v_mul_f64 v[117:118], v[83:84], v[127:128]
	v_add_f64 v[95:96], v[95:96], v[113:114]
	v_fma_f64 v[113:114], v[81:82], v[131:132], v[167:168]
	v_add_f64 v[2:3], v[2:3], v[109:110]
	s_clause 0x4
	buffer_load_dword v110, off, s[0:3], 0 offset:588
	buffer_load_dword v127, off, s[0:3], 0 offset:600
	;; [unrolled: 1-line block ×5, first 2 shown]
	s_waitcnt vmcnt(57) lgkmcnt(0)
	v_mul_f64 v[167:168], v[87:88], v[134:135]
	v_mul_f64 v[134:135], v[89:90], v[134:135]
	s_waitcnt vmcnt(56)
	v_fma_f64 v[121:122], v[83:84], v[129:130], -v[121:122]
	ds_read_b128 v[79:82], v1 offset:944
	v_fma_f64 v[117:118], v[85:86], v[129:130], v[117:118]
	v_add_f64 v[95:96], v[95:96], v[125:126]
	v_add_f64 v[2:3], v[2:3], v[113:114]
	s_clause 0x2
	buffer_load_dword v128, off, s[0:3], 0 offset:604
	buffer_load_dword v114, off, s[0:3], 0 offset:580
	;; [unrolled: 1-line block ×3, first 2 shown]
	ds_read_b128 v[83:86], v1 offset:960
	s_waitcnt vmcnt(58) lgkmcnt(1)
	v_mul_f64 v[129:130], v[81:82], v[136:137]
	s_waitcnt vmcnt(56)
	v_fma_f64 v[134:135], v[87:88], v[140:141], -v[134:135]
	v_mul_f64 v[125:126], v[79:80], v[136:137]
	buffer_load_dword v132, off, s[0:3], 0 offset:596
	v_add_f64 v[95:96], v[95:96], v[121:122]
	v_fma_f64 v[121:122], v[89:90], v[140:141], v[167:168]
	v_add_f64 v[2:3], v[2:3], v[117:118]
	ds_read_b128 v[87:90], v1 offset:976
	s_waitcnt vmcnt(53) lgkmcnt(1)
	v_mul_f64 v[136:137], v[85:86], v[142:143]
	s_waitcnt vmcnt(52)
	v_fma_f64 v[129:130], v[79:80], v[138:139], -v[129:130]
	v_mul_f64 v[117:118], v[83:84], v[142:143]
	v_fma_f64 v[125:126], v[81:82], v[138:139], v[125:126]
	ds_read_b128 v[79:82], v1 offset:992
	v_add_f64 v[95:96], v[95:96], v[134:135]
	s_waitcnt vmcnt(51) lgkmcnt(1)
	v_mul_f64 v[134:135], v[89:90], v[144:145]
	v_add_f64 v[2:3], v[2:3], v[121:122]
	v_mul_f64 v[121:122], v[87:88], v[144:145]
	s_waitcnt vmcnt(49)
	v_fma_f64 v[136:137], v[83:84], v[148:149], -v[136:137]
	v_fma_f64 v[117:118], v[85:86], v[148:149], v[117:118]
	s_waitcnt vmcnt(45) lgkmcnt(0)
	v_mul_f64 v[140:141], v[81:82], v[152:153]
	v_mul_f64 v[138:139], v[79:80], v[152:153]
	v_add_f64 v[95:96], v[95:96], v[129:130]
	s_waitcnt vmcnt(44)
	v_fma_f64 v[134:135], v[87:88], v[146:147], -v[134:135]
	v_add_f64 v[2:3], v[2:3], v[125:126]
	s_clause 0x3
	buffer_load_dword v125, off, s[0:3], 0 offset:160
	buffer_load_dword v126, off, s[0:3], 0 offset:164
	;; [unrolled: 1-line block ×4, first 2 shown]
	ds_read_b128 v[83:86], v1 offset:1008
	v_fma_f64 v[121:122], v[89:90], v[146:147], v[121:122]
	ds_read_b128 v[87:90], v1 offset:1024
	v_add_f64 v[95:96], v[95:96], v[136:137]
	v_add_f64 v[2:3], v[2:3], v[117:118]
	s_waitcnt vmcnt(47) lgkmcnt(1)
	v_mul_f64 v[136:137], v[85:86], v[154:155]
	v_mul_f64 v[117:118], v[83:84], v[154:155]
	s_waitcnt vmcnt(45)
	v_fma_f64 v[140:141], v[79:80], v[93:94], -v[140:141]
	v_fma_f64 v[93:94], v[81:82], v[93:94], v[138:139]
	ds_read_b128 v[79:82], v1 offset:1040
	v_add_f64 v[95:96], v[95:96], v[134:135]
	v_add_f64 v[2:3], v[2:3], v[121:122]
	s_waitcnt vmcnt(41) lgkmcnt(1)
	v_mul_f64 v[121:122], v[87:88], v[97:98]
	v_mul_f64 v[97:98], v[89:90], v[97:98]
	s_waitcnt vmcnt(40)
	v_fma_f64 v[134:135], v[83:84], v[156:157], -v[136:137]
	;; [unrolled: 9-line block ×7, first 2 shown]
	v_fma_f64 v[93:94], v[81:82], v[101:102], v[93:94]
	ds_read_b128 v[79:82], v1 offset:1136
	v_add_f64 v[95:96], v[95:96], v[97:98]
	v_add_f64 v[2:3], v[2:3], v[91:92]
	s_waitcnt vmcnt(17) lgkmcnt(1)
	v_mul_f64 v[97:98], v[89:90], v[107:108]
	s_waitcnt vmcnt(16)
	v_fma_f64 v[101:102], v[83:84], v[160:161], -v[105:106]
	v_mul_f64 v[91:92], v[87:88], v[107:108]
	v_add_f64 v[95:96], v[95:96], v[99:100]
	v_fma_f64 v[99:100], v[85:86], v[160:161], v[103:104]
	v_add_f64 v[2:3], v[2:3], v[93:94]
	ds_read_b128 v[83:86], v1 offset:1152
	s_waitcnt vmcnt(15) lgkmcnt(1)
	v_mul_f64 v[103:104], v[81:82], v[119:120]
	v_mul_f64 v[93:94], v[79:80], v[119:120]
	s_waitcnt vmcnt(13)
	v_fma_f64 v[97:98], v[87:88], v[111:112], -v[97:98]
	v_fma_f64 v[91:92], v[89:90], v[111:112], v[91:92]
	ds_read_b128 v[87:90], v1 offset:1168
	v_add_f64 v[95:96], v[95:96], v[101:102]
	v_add_f64 v[2:3], v[2:3], v[99:100]
	s_waitcnt vmcnt(9) lgkmcnt(1)
	v_mul_f64 v[101:102], v[85:86], v[109:110]
	s_waitcnt vmcnt(8)
	v_fma_f64 v[79:80], v[79:80], v[123:124], -v[103:104]
	v_mul_f64 v[99:100], v[83:84], v[109:110]
	v_fma_f64 v[81:82], v[81:82], v[123:124], v[93:94]
	v_add_f64 v[95:96], v[95:96], v[97:98]
	v_add_f64 v[2:3], v[2:3], v[91:92]
	s_waitcnt vmcnt(7) lgkmcnt(0)
	v_mul_f64 v[93:94], v[89:90], v[127:128]
	v_mul_f64 v[91:92], v[87:88], v[127:128]
	s_waitcnt vmcnt(5)
	v_fma_f64 v[83:84], v[83:84], v[113:114], -v[101:102]
	v_fma_f64 v[85:86], v[85:86], v[113:114], v[99:100]
	v_add_f64 v[79:80], v[95:96], v[79:80]
	v_add_f64 v[2:3], v[2:3], v[81:82]
	s_waitcnt vmcnt(4)
	v_fma_f64 v[81:82], v[87:88], v[131:132], -v[93:94]
	v_add_f64 v[79:80], v[79:80], v[83:84]
	v_fma_f64 v[83:84], v[89:90], v[131:132], v[91:92]
	v_add_f64 v[2:3], v[2:3], v[85:86]
	v_add_f64 v[79:80], v[79:80], v[81:82]
	;; [unrolled: 1-line block ×3, first 2 shown]
	s_waitcnt vmcnt(2)
	v_add_f64 v[79:80], v[125:126], -v[79:80]
	s_waitcnt vmcnt(0)
	v_add_f64 v[2:3], v[129:130], -v[2:3]
	buffer_store_dword v80, off, s[0:3], 0 offset:164
	buffer_store_dword v79, off, s[0:3], 0 offset:160
	;; [unrolled: 1-line block ×4, first 2 shown]
	v_cmpx_lt_u32_e32 8, v0
	s_cbranch_execz .LBB100_219
; %bb.218:
	v_mov_b32_e32 v2, s41
	s_clause 0x3
	buffer_load_dword v79, v2, s[0:3], 0 offen
	buffer_load_dword v80, v2, s[0:3], 0 offen offset:4
	buffer_load_dword v81, v2, s[0:3], 0 offen offset:8
	;; [unrolled: 1-line block ×3, first 2 shown]
	buffer_store_dword v1, off, s[0:3], 0 offset:144
	buffer_store_dword v1, off, s[0:3], 0 offset:148
	;; [unrolled: 1-line block ×4, first 2 shown]
	s_waitcnt vmcnt(0)
	ds_write_b128 v133, v[79:82]
.LBB100_219:
	s_or_b32 exec_lo, exec_lo, s4
	s_waitcnt lgkmcnt(0)
	s_waitcnt_vscnt null, 0x0
	s_barrier
	buffer_gl0_inv
	s_clause 0x37
	buffer_load_dword v2, off, s[0:3], 0 offset:168
	buffer_load_dword v3, off, s[0:3], 0 offset:172
	;; [unrolled: 1-line block ×56, first 2 shown]
	ds_read_b128 v[79:82], v1 offset:736
	s_clause 0x2
	buffer_load_dword v145, off, s[0:3], 0 offset:396
	buffer_load_dword v149, off, s[0:3], 0 offset:372
	;; [unrolled: 1-line block ×3, first 2 shown]
	ds_read_b128 v[83:86], v1 offset:752
	s_clause 0x4
	buffer_load_dword v153, off, s[0:3], 0 offset:412
	buffer_load_dword v154, off, s[0:3], 0 offset:424
	;; [unrolled: 1-line block ×5, first 2 shown]
	ds_read_b128 v[87:90], v1 offset:768
	s_mov_b32 s4, exec_lo
	s_waitcnt vmcnt(62) lgkmcnt(2)
	v_mul_f64 v[150:151], v[81:82], v[2:3]
	v_mul_f64 v[2:3], v[79:80], v[2:3]
	s_waitcnt vmcnt(60) lgkmcnt(1)
	v_mul_f64 v[157:158], v[85:86], v[91:92]
	v_mul_f64 v[91:92], v[83:84], v[91:92]
	;; [unrolled: 3-line block ×3, first 2 shown]
	v_fma_f64 v[150:151], v[79:80], v[93:94], -v[150:151]
	v_fma_f64 v[2:3], v[81:82], v[93:94], v[2:3]
	s_clause 0x2
	buffer_load_dword v155, off, s[0:3], 0 offset:428
	buffer_load_dword v94, off, s[0:3], 0 offset:404
	;; [unrolled: 1-line block ×3, first 2 shown]
	s_waitcnt vmcnt(57)
	v_fma_f64 v[161:162], v[83:84], v[97:98], -v[157:158]
	ds_read_b128 v[79:82], v1 offset:784
	v_fma_f64 v[91:92], v[85:86], v[97:98], v[91:92]
	s_clause 0x4
	buffer_load_dword v98, off, s[0:3], 0 offset:444
	buffer_load_dword v158, off, s[0:3], 0 offset:456
	;; [unrolled: 1-line block ×5, first 2 shown]
	s_waitcnt vmcnt(56)
	v_fma_f64 v[95:96], v[87:88], v[105:106], -v[95:96]
	ds_read_b128 v[83:86], v1 offset:800
	v_fma_f64 v[105:106], v[89:90], v[105:106], v[159:160]
	v_add_f64 v[150:151], v[150:151], 0
	v_add_f64 v[2:3], v[2:3], 0
	s_waitcnt lgkmcnt(1)
	v_mul_f64 v[164:165], v[79:80], v[99:100]
	v_mul_f64 v[99:100], v[81:82], v[99:100]
	v_add_f64 v[150:151], v[150:151], v[161:162]
	v_add_f64 v[2:3], v[2:3], v[91:92]
	s_clause 0x2
	buffer_load_dword v159, off, s[0:3], 0 offset:460
	buffer_load_dword v92, off, s[0:3], 0 offset:436
	;; [unrolled: 1-line block ×3, first 2 shown]
	s_waitcnt vmcnt(58) lgkmcnt(0)
	v_mul_f64 v[160:161], v[83:84], v[101:102]
	v_mul_f64 v[101:102], v[85:86], v[101:102]
	s_waitcnt vmcnt(56)
	v_fma_f64 v[99:100], v[79:80], v[107:108], -v[99:100]
	ds_read_b128 v[87:90], v1 offset:816
	v_fma_f64 v[107:108], v[81:82], v[107:108], v[164:165]
	v_add_f64 v[95:96], v[150:151], v[95:96]
	v_add_f64 v[2:3], v[2:3], v[105:106]
	s_clause 0x4
	buffer_load_dword v106, off, s[0:3], 0 offset:476
	buffer_load_dword v150, off, s[0:3], 0 offset:488
	;; [unrolled: 1-line block ×5, first 2 shown]
	ds_read_b128 v[79:82], v1 offset:832
	s_waitcnt vmcnt(57) lgkmcnt(1)
	v_mul_f64 v[166:167], v[87:88], v[109:110]
	v_mul_f64 v[109:110], v[89:90], v[109:110]
	s_waitcnt vmcnt(56)
	v_fma_f64 v[101:102], v[83:84], v[103:104], -v[101:102]
	v_add_f64 v[95:96], v[95:96], v[99:100]
	v_fma_f64 v[99:100], v[85:86], v[103:104], v[160:161]
	v_add_f64 v[2:3], v[2:3], v[107:108]
	s_clause 0x2
	buffer_load_dword v151, off, s[0:3], 0 offset:492
	buffer_load_dword v104, off, s[0:3], 0 offset:468
	;; [unrolled: 1-line block ×3, first 2 shown]
	s_waitcnt vmcnt(58) lgkmcnt(0)
	v_mul_f64 v[107:108], v[79:80], v[111:112]
	v_mul_f64 v[111:112], v[81:82], v[111:112]
	s_waitcnt vmcnt(56)
	v_fma_f64 v[109:110], v[87:88], v[115:116], -v[109:110]
	ds_read_b128 v[83:86], v1 offset:848
	v_add_f64 v[95:96], v[95:96], v[101:102]
	v_fma_f64 v[101:102], v[89:90], v[115:116], v[166:167]
	v_add_f64 v[2:3], v[2:3], v[99:100]
	s_clause 0x4
	buffer_load_dword v100, off, s[0:3], 0 offset:508
	buffer_load_dword v115, off, s[0:3], 0 offset:520
	;; [unrolled: 1-line block ×5, first 2 shown]
	ds_read_b128 v[87:90], v1 offset:864
	s_waitcnt vmcnt(57) lgkmcnt(1)
	v_mul_f64 v[161:162], v[83:84], v[117:118]
	v_mul_f64 v[117:118], v[85:86], v[117:118]
	s_waitcnt vmcnt(56)
	v_fma_f64 v[111:112], v[79:80], v[113:114], -v[111:112]
	v_fma_f64 v[107:108], v[81:82], v[113:114], v[107:108]
	v_add_f64 v[95:96], v[95:96], v[109:110]
	v_add_f64 v[2:3], v[2:3], v[101:102]
	s_clause 0x2
	buffer_load_dword v116, off, s[0:3], 0 offset:524
	buffer_load_dword v102, off, s[0:3], 0 offset:500
	;; [unrolled: 1-line block ×3, first 2 shown]
	s_waitcnt vmcnt(58) lgkmcnt(0)
	v_mul_f64 v[113:114], v[89:90], v[119:120]
	ds_read_b128 v[79:82], v1 offset:880
	s_waitcnt vmcnt(56)
	v_fma_f64 v[117:118], v[83:84], v[123:124], -v[117:118]
	v_mul_f64 v[109:110], v[87:88], v[119:120]
	v_add_f64 v[95:96], v[95:96], v[111:112]
	v_fma_f64 v[111:112], v[85:86], v[123:124], v[161:162]
	v_add_f64 v[2:3], v[2:3], v[107:108]
	s_clause 0x4
	buffer_load_dword v108, off, s[0:3], 0 offset:540
	buffer_load_dword v119, off, s[0:3], 0 offset:552
	;; [unrolled: 1-line block ×5, first 2 shown]
	s_waitcnt vmcnt(57) lgkmcnt(0)
	v_mul_f64 v[167:168], v[79:80], v[125:126]
	v_mul_f64 v[124:125], v[81:82], v[125:126]
	s_waitcnt vmcnt(56)
	v_fma_f64 v[113:114], v[87:88], v[121:122], -v[113:114]
	ds_read_b128 v[83:86], v1 offset:896
	v_fma_f64 v[109:110], v[89:90], v[121:122], v[109:110]
	v_add_f64 v[95:96], v[95:96], v[117:118]
	v_add_f64 v[2:3], v[2:3], v[111:112]
	s_clause 0x2
	buffer_load_dword v120, off, s[0:3], 0 offset:556
	buffer_load_dword v112, off, s[0:3], 0 offset:532
	buffer_load_dword v111, off, s[0:3], 0 offset:528
	ds_read_b128 v[87:90], v1 offset:912
	s_waitcnt vmcnt(58) lgkmcnt(1)
	v_mul_f64 v[121:122], v[85:86], v[127:128]
	s_waitcnt vmcnt(56)
	v_fma_f64 v[125:126], v[79:80], v[131:132], -v[124:125]
	v_mul_f64 v[117:118], v[83:84], v[127:128]
	v_add_f64 v[95:96], v[95:96], v[113:114]
	v_fma_f64 v[113:114], v[81:82], v[131:132], v[167:168]
	v_add_f64 v[2:3], v[2:3], v[109:110]
	s_clause 0x4
	buffer_load_dword v110, off, s[0:3], 0 offset:572
	buffer_load_dword v127, off, s[0:3], 0 offset:584
	;; [unrolled: 1-line block ×5, first 2 shown]
	s_waitcnt vmcnt(57) lgkmcnt(0)
	v_mul_f64 v[167:168], v[87:88], v[134:135]
	v_mul_f64 v[134:135], v[89:90], v[134:135]
	s_waitcnt vmcnt(56)
	v_fma_f64 v[121:122], v[83:84], v[129:130], -v[121:122]
	ds_read_b128 v[79:82], v1 offset:928
	v_fma_f64 v[117:118], v[85:86], v[129:130], v[117:118]
	v_add_f64 v[95:96], v[95:96], v[125:126]
	v_add_f64 v[2:3], v[2:3], v[113:114]
	s_clause 0x2
	buffer_load_dword v128, off, s[0:3], 0 offset:588
	buffer_load_dword v114, off, s[0:3], 0 offset:564
	;; [unrolled: 1-line block ×3, first 2 shown]
	ds_read_b128 v[83:86], v1 offset:944
	s_waitcnt vmcnt(58) lgkmcnt(1)
	v_mul_f64 v[129:130], v[81:82], v[136:137]
	s_waitcnt vmcnt(56)
	v_fma_f64 v[134:135], v[87:88], v[140:141], -v[134:135]
	v_mul_f64 v[125:126], v[79:80], v[136:137]
	v_add_f64 v[95:96], v[95:96], v[121:122]
	v_fma_f64 v[121:122], v[89:90], v[140:141], v[167:168]
	v_add_f64 v[2:3], v[2:3], v[117:118]
	s_clause 0x2
	buffer_load_dword v118, off, s[0:3], 0 offset:604
	buffer_load_dword v117, off, s[0:3], 0 offset:600
	;; [unrolled: 1-line block ×3, first 2 shown]
	s_waitcnt vmcnt(55) lgkmcnt(0)
	v_mul_f64 v[140:141], v[85:86], v[142:143]
	s_waitcnt vmcnt(54)
	v_fma_f64 v[129:130], v[79:80], v[138:139], -v[129:130]
	ds_read_b128 v[87:90], v1 offset:960
	v_mul_f64 v[136:137], v[83:84], v[142:143]
	v_fma_f64 v[125:126], v[81:82], v[138:139], v[125:126]
	v_add_f64 v[95:96], v[95:96], v[134:135]
	v_add_f64 v[2:3], v[2:3], v[121:122]
	s_clause 0x1
	buffer_load_dword v122, off, s[0:3], 0 offset:596
	buffer_load_dword v121, off, s[0:3], 0 offset:592
	s_waitcnt vmcnt(55) lgkmcnt(0)
	v_mul_f64 v[138:139], v[89:90], v[144:145]
	s_waitcnt vmcnt(53)
	v_fma_f64 v[140:141], v[83:84], v[148:149], -v[140:141]
	ds_read_b128 v[79:82], v1 offset:976
	v_mul_f64 v[134:135], v[87:88], v[144:145]
	v_add_f64 v[95:96], v[95:96], v[129:130]
	v_fma_f64 v[129:130], v[85:86], v[148:149], v[136:137]
	v_add_f64 v[2:3], v[2:3], v[125:126]
	ds_read_b128 v[83:86], v1 offset:992
	s_waitcnt vmcnt(49) lgkmcnt(1)
	v_mul_f64 v[136:137], v[81:82], v[152:153]
	s_waitcnt vmcnt(48)
	v_fma_f64 v[138:139], v[87:88], v[146:147], -v[138:139]
	v_mul_f64 v[125:126], v[79:80], v[152:153]
	v_fma_f64 v[134:135], v[89:90], v[146:147], v[134:135]
	v_add_f64 v[95:96], v[95:96], v[140:141]
	v_add_f64 v[2:3], v[2:3], v[129:130]
	s_clause 0x3
	buffer_load_dword v129, off, s[0:3], 0 offset:144
	buffer_load_dword v130, off, s[0:3], 0 offset:148
	;; [unrolled: 1-line block ×4, first 2 shown]
	ds_read_b128 v[87:90], v1 offset:1008
	s_waitcnt vmcnt(51) lgkmcnt(1)
	v_mul_f64 v[144:145], v[85:86], v[154:155]
	v_mul_f64 v[142:143], v[83:84], v[154:155]
	s_waitcnt vmcnt(49)
	v_fma_f64 v[136:137], v[79:80], v[93:94], -v[136:137]
	v_fma_f64 v[93:94], v[81:82], v[93:94], v[125:126]
	ds_read_b128 v[79:82], v1 offset:1024
	v_add_f64 v[95:96], v[95:96], v[138:139]
	v_add_f64 v[2:3], v[2:3], v[134:135]
	s_waitcnt vmcnt(45) lgkmcnt(1)
	v_mul_f64 v[125:126], v[87:88], v[97:98]
	v_mul_f64 v[97:98], v[89:90], v[97:98]
	s_waitcnt vmcnt(44)
	v_fma_f64 v[134:135], v[83:84], v[156:157], -v[144:145]
	v_add_f64 v[95:96], v[95:96], v[136:137]
	v_fma_f64 v[136:137], v[85:86], v[156:157], v[142:143]
	v_add_f64 v[2:3], v[2:3], v[93:94]
	ds_read_b128 v[83:86], v1 offset:1040
	s_waitcnt vmcnt(43) lgkmcnt(1)
	v_mul_f64 v[138:139], v[81:82], v[158:159]
	v_mul_f64 v[93:94], v[79:80], v[158:159]
	s_waitcnt vmcnt(41)
	v_fma_f64 v[97:98], v[87:88], v[91:92], -v[97:98]
	v_fma_f64 v[91:92], v[89:90], v[91:92], v[125:126]
	ds_read_b128 v[87:90], v1 offset:1056
	v_add_f64 v[95:96], v[95:96], v[134:135]
	v_add_f64 v[2:3], v[2:3], v[136:137]
	s_waitcnt vmcnt(37) lgkmcnt(1)
	v_mul_f64 v[125:126], v[83:84], v[105:106]
	v_mul_f64 v[105:106], v[85:86], v[105:106]
	s_waitcnt vmcnt(36)
	v_fma_f64 v[134:135], v[79:80], v[163:164], -v[138:139]
	v_fma_f64 v[93:94], v[81:82], v[163:164], v[93:94]
	ds_read_b128 v[79:82], v1 offset:1072
	v_add_f64 v[95:96], v[95:96], v[97:98]
	v_add_f64 v[2:3], v[2:3], v[91:92]
	;; [unrolled: 9-line block ×5, first 2 shown]
	s_waitcnt vmcnt(21) lgkmcnt(1)
	v_mul_f64 v[97:98], v[89:90], v[107:108]
	s_waitcnt vmcnt(20)
	v_fma_f64 v[101:102], v[83:84], v[160:161], -v[105:106]
	v_mul_f64 v[91:92], v[87:88], v[107:108]
	v_add_f64 v[95:96], v[95:96], v[99:100]
	v_fma_f64 v[99:100], v[85:86], v[160:161], v[103:104]
	v_add_f64 v[2:3], v[2:3], v[93:94]
	ds_read_b128 v[83:86], v1 offset:1136
	s_waitcnt vmcnt(19) lgkmcnt(1)
	v_mul_f64 v[103:104], v[81:82], v[119:120]
	v_mul_f64 v[93:94], v[79:80], v[119:120]
	s_waitcnt vmcnt(17)
	v_fma_f64 v[97:98], v[87:88], v[111:112], -v[97:98]
	v_fma_f64 v[91:92], v[89:90], v[111:112], v[91:92]
	ds_read_b128 v[87:90], v1 offset:1152
	v_add_f64 v[95:96], v[95:96], v[101:102]
	v_add_f64 v[2:3], v[2:3], v[99:100]
	s_waitcnt vmcnt(13) lgkmcnt(1)
	v_mul_f64 v[101:102], v[85:86], v[109:110]
	s_waitcnt vmcnt(12)
	v_fma_f64 v[79:80], v[79:80], v[123:124], -v[103:104]
	v_mul_f64 v[99:100], v[83:84], v[109:110]
	v_fma_f64 v[81:82], v[81:82], v[123:124], v[93:94]
	v_add_f64 v[95:96], v[95:96], v[97:98]
	v_add_f64 v[91:92], v[2:3], v[91:92]
	ds_read_b128 v[1:4], v1 offset:1168
	s_waitcnt vmcnt(11) lgkmcnt(1)
	v_mul_f64 v[97:98], v[89:90], v[127:128]
	v_mul_f64 v[93:94], v[87:88], v[127:128]
	s_waitcnt vmcnt(9)
	v_fma_f64 v[83:84], v[83:84], v[113:114], -v[101:102]
	v_fma_f64 v[85:86], v[85:86], v[113:114], v[99:100]
	v_add_f64 v[79:80], v[95:96], v[79:80]
	v_add_f64 v[81:82], v[91:92], v[81:82]
	s_waitcnt vmcnt(7) lgkmcnt(0)
	v_mul_f64 v[95:96], v[3:4], v[117:118]
	s_waitcnt vmcnt(6)
	v_fma_f64 v[87:88], v[87:88], v[131:132], -v[97:98]
	v_mul_f64 v[91:92], v[1:2], v[117:118]
	v_add_f64 v[79:80], v[79:80], v[83:84]
	v_fma_f64 v[83:84], v[89:90], v[131:132], v[93:94]
	v_add_f64 v[81:82], v[81:82], v[85:86]
	s_waitcnt vmcnt(4)
	v_fma_f64 v[1:2], v[1:2], v[121:122], -v[95:96]
	v_fma_f64 v[3:4], v[3:4], v[121:122], v[91:92]
	v_add_f64 v[79:80], v[79:80], v[87:88]
	v_add_f64 v[81:82], v[81:82], v[83:84]
	;; [unrolled: 1-line block ×4, first 2 shown]
	s_waitcnt vmcnt(2)
	v_add_f64 v[1:2], v[129:130], -v[1:2]
	s_waitcnt vmcnt(0)
	v_add_f64 v[3:4], v[140:141], -v[3:4]
	buffer_store_dword v2, off, s[0:3], 0 offset:148
	buffer_store_dword v1, off, s[0:3], 0 offset:144
	;; [unrolled: 1-line block ×4, first 2 shown]
	v_cmpx_lt_u32_e32 7, v0
	s_cbranch_execz .LBB100_221
; %bb.220:
	v_mov_b32_e32 v4, s42
	v_mov_b32_e32 v79, 0
	s_clause 0x3
	buffer_load_dword v1, v4, s[0:3], 0 offen
	buffer_load_dword v2, v4, s[0:3], 0 offen offset:4
	buffer_load_dword v3, v4, s[0:3], 0 offen offset:8
	;; [unrolled: 1-line block ×3, first 2 shown]
	buffer_store_dword v79, off, s[0:3], 0 offset:128
	buffer_store_dword v79, off, s[0:3], 0 offset:132
	buffer_store_dword v79, off, s[0:3], 0 offset:136
	buffer_store_dword v79, off, s[0:3], 0 offset:140
	s_waitcnt vmcnt(0)
	ds_write_b128 v133, v[1:4]
.LBB100_221:
	s_or_b32 exec_lo, exec_lo, s4
	s_waitcnt lgkmcnt(0)
	s_waitcnt_vscnt null, 0x0
	s_barrier
	buffer_gl0_inv
	s_clause 0x37
	buffer_load_dword v83, off, s[0:3], 0 offset:152
	buffer_load_dword v84, off, s[0:3], 0 offset:156
	buffer_load_dword v94, off, s[0:3], 0 offset:168
	buffer_load_dword v95, off, s[0:3], 0 offset:172
	buffer_load_dword v96, off, s[0:3], 0 offset:144
	buffer_load_dword v97, off, s[0:3], 0 offset:148
	buffer_load_dword v3, off, s[0:3], 0 offset:184
	buffer_load_dword v4, off, s[0:3], 0 offset:188
	buffer_load_dword v1, off, s[0:3], 0 offset:160
	buffer_load_dword v2, off, s[0:3], 0 offset:164
	buffer_load_dword v99, off, s[0:3], 0 offset:204
	buffer_load_dword v100, off, s[0:3], 0 offset:216
	buffer_load_dword v102, off, s[0:3], 0 offset:208
	buffer_load_dword v98, off, s[0:3], 0 offset:200
	buffer_load_dword v104, off, s[0:3], 0 offset:176
	buffer_load_dword v105, off, s[0:3], 0 offset:180
	buffer_load_dword v101, off, s[0:3], 0 offset:220
	buffer_load_dword v107, off, s[0:3], 0 offset:196
	buffer_load_dword v106, off, s[0:3], 0 offset:192
	buffer_load_dword v109, off, s[0:3], 0 offset:236
	buffer_load_dword v110, off, s[0:3], 0 offset:248
	buffer_load_dword v112, off, s[0:3], 0 offset:240
	buffer_load_dword v108, off, s[0:3], 0 offset:232
	buffer_load_dword v103, off, s[0:3], 0 offset:212
	buffer_load_dword v111, off, s[0:3], 0 offset:252
	buffer_load_dword v115, off, s[0:3], 0 offset:228
	buffer_load_dword v114, off, s[0:3], 0 offset:224
	buffer_load_dword v117, off, s[0:3], 0 offset:268
	buffer_load_dword v118, off, s[0:3], 0 offset:280
	buffer_load_dword v120, off, s[0:3], 0 offset:272
	buffer_load_dword v116, off, s[0:3], 0 offset:264
	buffer_load_dword v113, off, s[0:3], 0 offset:244
	buffer_load_dword v119, off, s[0:3], 0 offset:284
	buffer_load_dword v123, off, s[0:3], 0 offset:260
	buffer_load_dword v122, off, s[0:3], 0 offset:256
	buffer_load_dword v125, off, s[0:3], 0 offset:300
	buffer_load_dword v126, off, s[0:3], 0 offset:312
	buffer_load_dword v128, off, s[0:3], 0 offset:304
	buffer_load_dword v124, off, s[0:3], 0 offset:296
	buffer_load_dword v121, off, s[0:3], 0 offset:276
	buffer_load_dword v127, off, s[0:3], 0 offset:316
	buffer_load_dword v131, off, s[0:3], 0 offset:292
	buffer_load_dword v130, off, s[0:3], 0 offset:288
	buffer_load_dword v135, off, s[0:3], 0 offset:332
	buffer_load_dword v136, off, s[0:3], 0 offset:344
	buffer_load_dword v138, off, s[0:3], 0 offset:336
	buffer_load_dword v134, off, s[0:3], 0 offset:328
	buffer_load_dword v129, off, s[0:3], 0 offset:308
	buffer_load_dword v137, off, s[0:3], 0 offset:348
	buffer_load_dword v141, off, s[0:3], 0 offset:324
	buffer_load_dword v140, off, s[0:3], 0 offset:320
	buffer_load_dword v143, off, s[0:3], 0 offset:364
	buffer_load_dword v144, off, s[0:3], 0 offset:376
	buffer_load_dword v146, off, s[0:3], 0 offset:368
	buffer_load_dword v142, off, s[0:3], 0 offset:360
	buffer_load_dword v139, off, s[0:3], 0 offset:340
	v_mov_b32_e32 v85, 0
	s_mov_b32 s4, exec_lo
	ds_read_b128 v[79:82], v85 offset:720
	s_clause 0x2
	buffer_load_dword v145, off, s[0:3], 0 offset:380
	buffer_load_dword v149, off, s[0:3], 0 offset:356
	;; [unrolled: 1-line block ×3, first 2 shown]
	ds_read_b128 v[86:89], v85 offset:736
	s_clause 0x4
	buffer_load_dword v153, off, s[0:3], 0 offset:396
	buffer_load_dword v154, off, s[0:3], 0 offset:408
	;; [unrolled: 1-line block ×5, first 2 shown]
	ds_read_b128 v[90:93], v85 offset:752
	s_waitcnt vmcnt(62) lgkmcnt(2)
	v_mul_f64 v[150:151], v[81:82], v[83:84]
	v_mul_f64 v[83:84], v[79:80], v[83:84]
	s_waitcnt vmcnt(60) lgkmcnt(1)
	v_mul_f64 v[157:158], v[88:89], v[94:95]
	v_mul_f64 v[94:95], v[86:87], v[94:95]
	;; [unrolled: 3-line block ×3, first 2 shown]
	v_fma_f64 v[150:151], v[79:80], v[96:97], -v[150:151]
	v_fma_f64 v[83:84], v[81:82], v[96:97], v[83:84]
	s_clause 0x2
	buffer_load_dword v155, off, s[0:3], 0 offset:412
	buffer_load_dword v97, off, s[0:3], 0 offset:388
	;; [unrolled: 1-line block ×3, first 2 shown]
	s_waitcnt vmcnt(57)
	v_fma_f64 v[86:87], v[86:87], v[1:2], -v[157:158]
	ds_read_b128 v[79:82], v85 offset:768
	v_fma_f64 v[88:89], v[88:89], v[1:2], v[94:95]
	s_clause 0x4
	buffer_load_dword v95, off, s[0:3], 0 offset:428
	buffer_load_dword v158, off, s[0:3], 0 offset:440
	;; [unrolled: 1-line block ×5, first 2 shown]
	s_waitcnt vmcnt(56)
	v_fma_f64 v[90:91], v[90:91], v[104:105], -v[161:162]
	ds_read_b128 v[1:4], v85 offset:784
	v_fma_f64 v[92:93], v[92:93], v[104:105], v[159:160]
	s_clause 0x2
	buffer_load_dword v159, off, s[0:3], 0 offset:444
	buffer_load_dword v105, off, s[0:3], 0 offset:420
	;; [unrolled: 1-line block ×3, first 2 shown]
	v_add_f64 v[150:151], v[150:151], 0
	v_add_f64 v[83:84], v[83:84], 0
	s_waitcnt lgkmcnt(1)
	v_mul_f64 v[164:165], v[79:80], v[98:99]
	v_mul_f64 v[98:99], v[81:82], v[98:99]
	s_waitcnt vmcnt(58) lgkmcnt(0)
	v_mul_f64 v[160:161], v[1:2], v[100:101]
	v_mul_f64 v[100:101], v[3:4], v[100:101]
	v_add_f64 v[150:151], v[150:151], v[86:87]
	v_add_f64 v[83:84], v[83:84], v[88:89]
	ds_read_b128 v[86:89], v85 offset:800
	s_waitcnt vmcnt(56)
	v_fma_f64 v[98:99], v[79:80], v[106:107], -v[98:99]
	v_fma_f64 v[106:107], v[81:82], v[106:107], v[164:165]
	s_waitcnt vmcnt(51)
	v_fma_f64 v[100:101], v[1:2], v[102:103], -v[100:101]
	s_waitcnt lgkmcnt(0)
	v_mul_f64 v[166:167], v[86:87], v[108:109]
	v_add_f64 v[90:91], v[150:151], v[90:91]
	v_add_f64 v[83:84], v[83:84], v[92:93]
	s_clause 0x4
	buffer_load_dword v93, off, s[0:3], 0 offset:460
	buffer_load_dword v150, off, s[0:3], 0 offset:472
	;; [unrolled: 1-line block ×5, first 2 shown]
	v_mul_f64 v[108:109], v[88:89], v[108:109]
	ds_read_b128 v[79:82], v85 offset:816
	v_add_f64 v[90:91], v[90:91], v[98:99]
	v_fma_f64 v[98:99], v[3:4], v[102:103], v[160:161]
	v_add_f64 v[83:84], v[83:84], v[106:107]
	s_clause 0x2
	buffer_load_dword v151, off, s[0:3], 0 offset:476
	buffer_load_dword v103, off, s[0:3], 0 offset:452
	;; [unrolled: 1-line block ×3, first 2 shown]
	s_waitcnt vmcnt(58) lgkmcnt(0)
	v_mul_f64 v[106:107], v[79:80], v[110:111]
	v_mul_f64 v[110:111], v[81:82], v[110:111]
	s_waitcnt vmcnt(56)
	v_fma_f64 v[108:109], v[86:87], v[114:115], -v[108:109]
	ds_read_b128 v[1:4], v85 offset:832
	v_add_f64 v[90:91], v[90:91], v[100:101]
	v_fma_f64 v[100:101], v[88:89], v[114:115], v[166:167]
	v_add_f64 v[83:84], v[83:84], v[98:99]
	s_clause 0x4
	buffer_load_dword v99, off, s[0:3], 0 offset:492
	buffer_load_dword v114, off, s[0:3], 0 offset:504
	;; [unrolled: 1-line block ×5, first 2 shown]
	ds_read_b128 v[86:89], v85 offset:848
	s_waitcnt vmcnt(57) lgkmcnt(1)
	v_mul_f64 v[161:162], v[1:2], v[116:117]
	v_mul_f64 v[116:117], v[3:4], v[116:117]
	s_waitcnt vmcnt(56)
	v_fma_f64 v[110:111], v[79:80], v[112:113], -v[110:111]
	v_fma_f64 v[106:107], v[81:82], v[112:113], v[106:107]
	v_add_f64 v[90:91], v[90:91], v[108:109]
	v_add_f64 v[83:84], v[83:84], v[100:101]
	s_clause 0x2
	buffer_load_dword v115, off, s[0:3], 0 offset:508
	buffer_load_dword v101, off, s[0:3], 0 offset:484
	;; [unrolled: 1-line block ×3, first 2 shown]
	s_waitcnt vmcnt(58) lgkmcnt(0)
	v_mul_f64 v[112:113], v[88:89], v[118:119]
	ds_read_b128 v[79:82], v85 offset:864
	s_waitcnt vmcnt(56)
	v_fma_f64 v[116:117], v[1:2], v[122:123], -v[116:117]
	v_mul_f64 v[108:109], v[86:87], v[118:119]
	v_add_f64 v[90:91], v[90:91], v[110:111]
	v_fma_f64 v[110:111], v[3:4], v[122:123], v[161:162]
	v_add_f64 v[83:84], v[83:84], v[106:107]
	s_clause 0x4
	buffer_load_dword v107, off, s[0:3], 0 offset:524
	buffer_load_dword v118, off, s[0:3], 0 offset:536
	buffer_load_dword v122, off, s[0:3], 0 offset:528
	buffer_load_dword v106, off, s[0:3], 0 offset:520
	buffer_load_dword v161, off, s[0:3], 0 offset:500
	s_waitcnt vmcnt(57) lgkmcnt(0)
	v_mul_f64 v[167:168], v[79:80], v[124:125]
	v_mul_f64 v[123:124], v[81:82], v[124:125]
	s_waitcnt vmcnt(56)
	v_fma_f64 v[112:113], v[86:87], v[120:121], -v[112:113]
	ds_read_b128 v[1:4], v85 offset:880
	v_fma_f64 v[108:109], v[88:89], v[120:121], v[108:109]
	v_add_f64 v[90:91], v[90:91], v[116:117]
	v_add_f64 v[83:84], v[83:84], v[110:111]
	s_clause 0x2
	buffer_load_dword v119, off, s[0:3], 0 offset:540
	buffer_load_dword v111, off, s[0:3], 0 offset:516
	buffer_load_dword v110, off, s[0:3], 0 offset:512
	ds_read_b128 v[86:89], v85 offset:896
	s_waitcnt vmcnt(58) lgkmcnt(1)
	v_mul_f64 v[120:121], v[3:4], v[126:127]
	s_waitcnt vmcnt(56)
	v_fma_f64 v[124:125], v[79:80], v[130:131], -v[123:124]
	v_mul_f64 v[116:117], v[1:2], v[126:127]
	v_add_f64 v[90:91], v[90:91], v[112:113]
	v_fma_f64 v[112:113], v[81:82], v[130:131], v[167:168]
	v_add_f64 v[83:84], v[83:84], v[108:109]
	s_clause 0x4
	buffer_load_dword v109, off, s[0:3], 0 offset:556
	buffer_load_dword v126, off, s[0:3], 0 offset:568
	buffer_load_dword v130, off, s[0:3], 0 offset:560
	buffer_load_dword v108, off, s[0:3], 0 offset:552
	buffer_load_dword v123, off, s[0:3], 0 offset:532
	s_waitcnt vmcnt(57) lgkmcnt(0)
	v_mul_f64 v[131:132], v[86:87], v[134:135]
	v_mul_f64 v[134:135], v[88:89], v[134:135]
	s_waitcnt vmcnt(56)
	v_fma_f64 v[120:121], v[1:2], v[128:129], -v[120:121]
	ds_read_b128 v[79:82], v85 offset:912
	v_fma_f64 v[116:117], v[3:4], v[128:129], v[116:117]
	v_add_f64 v[90:91], v[90:91], v[124:125]
	v_add_f64 v[83:84], v[83:84], v[112:113]
	s_clause 0x2
	buffer_load_dword v127, off, s[0:3], 0 offset:572
	buffer_load_dword v113, off, s[0:3], 0 offset:548
	buffer_load_dword v112, off, s[0:3], 0 offset:544
	ds_read_b128 v[1:4], v85 offset:928
	s_waitcnt vmcnt(58) lgkmcnt(1)
	v_mul_f64 v[128:129], v[81:82], v[136:137]
	;; [unrolled: 28-line block ×3, first 2 shown]
	s_waitcnt vmcnt(56)
	v_fma_f64 v[142:143], v[1:2], v[148:149], -v[141:142]
	v_mul_f64 v[134:135], v[86:87], v[144:145]
	buffer_load_dword v141, off, s[0:3], 0 offset:596
	v_add_f64 v[90:91], v[90:91], v[128:129]
	v_fma_f64 v[128:129], v[3:4], v[148:149], v[167:168]
	v_add_f64 v[83:84], v[83:84], v[124:125]
	ds_read_b128 v[1:4], v85 offset:976
	s_waitcnt vmcnt(53) lgkmcnt(1)
	v_mul_f64 v[144:145], v[81:82], v[152:153]
	s_waitcnt vmcnt(52)
	v_fma_f64 v[138:139], v[86:87], v[146:147], -v[138:139]
	v_mul_f64 v[124:125], v[79:80], v[152:153]
	v_fma_f64 v[134:135], v[88:89], v[146:147], v[134:135]
	ds_read_b128 v[86:89], v85 offset:992
	v_add_f64 v[90:91], v[90:91], v[142:143]
	v_add_f64 v[83:84], v[83:84], v[128:129]
	s_waitcnt vmcnt(51) lgkmcnt(1)
	v_mul_f64 v[142:143], v[3:4], v[154:155]
	v_mul_f64 v[128:129], v[1:2], v[154:155]
	s_waitcnt vmcnt(49)
	v_fma_f64 v[144:145], v[79:80], v[96:97], -v[144:145]
	v_fma_f64 v[96:97], v[81:82], v[96:97], v[124:125]
	v_add_f64 v[90:91], v[90:91], v[138:139]
	s_waitcnt vmcnt(45) lgkmcnt(0)
	v_mul_f64 v[138:139], v[86:87], v[94:95]
	v_add_f64 v[83:84], v[83:84], v[134:135]
	s_clause 0x3
	buffer_load_dword v124, off, s[0:3], 0 offset:128
	buffer_load_dword v125, off, s[0:3], 0 offset:132
	;; [unrolled: 1-line block ×4, first 2 shown]
	v_mul_f64 v[94:95], v[88:89], v[94:95]
	ds_read_b128 v[79:82], v85 offset:1008
	s_waitcnt vmcnt(48)
	v_fma_f64 v[142:143], v[1:2], v[156:157], -v[142:143]
	v_fma_f64 v[128:129], v[3:4], v[156:157], v[128:129]
	ds_read_b128 v[1:4], v85 offset:1024
	v_add_f64 v[90:91], v[90:91], v[144:145]
	v_add_f64 v[83:84], v[83:84], v[96:97]
	s_waitcnt vmcnt(47) lgkmcnt(1)
	v_mul_f64 v[144:145], v[81:82], v[158:159]
	s_waitcnt vmcnt(45)
	v_fma_f64 v[94:95], v[86:87], v[104:105], -v[94:95]
	v_mul_f64 v[96:97], v[79:80], v[158:159]
	v_fma_f64 v[104:105], v[88:89], v[104:105], v[138:139]
	ds_read_b128 v[86:89], v85 offset:1040
	v_add_f64 v[90:91], v[90:91], v[142:143]
	v_add_f64 v[83:84], v[83:84], v[128:129]
	s_waitcnt vmcnt(41) lgkmcnt(1)
	v_mul_f64 v[128:129], v[1:2], v[92:93]
	v_mul_f64 v[92:93], v[3:4], v[92:93]
	s_waitcnt vmcnt(40)
	v_fma_f64 v[138:139], v[79:80], v[163:164], -v[144:145]
	v_add_f64 v[90:91], v[90:91], v[94:95]
	v_fma_f64 v[94:95], v[81:82], v[163:164], v[96:97]
	v_add_f64 v[83:84], v[83:84], v[104:105]
	ds_read_b128 v[79:82], v85 offset:1056
	s_waitcnt vmcnt(39) lgkmcnt(1)
	v_mul_f64 v[104:105], v[88:89], v[150:151]
	v_mul_f64 v[96:97], v[86:87], v[150:151]
	s_waitcnt vmcnt(37)
	v_fma_f64 v[92:93], v[1:2], v[102:103], -v[92:93]
	v_fma_f64 v[102:103], v[3:4], v[102:103], v[128:129]
	ds_read_b128 v[1:4], v85 offset:1072
	v_add_f64 v[90:91], v[90:91], v[138:139]
	v_add_f64 v[83:84], v[83:84], v[94:95]
	s_waitcnt vmcnt(33) lgkmcnt(1)
	v_mul_f64 v[94:95], v[79:80], v[98:99]
	v_mul_f64 v[98:99], v[81:82], v[98:99]
	s_waitcnt vmcnt(32)
	v_fma_f64 v[104:105], v[86:87], v[165:166], -v[104:105]
	v_add_f64 v[90:91], v[90:91], v[92:93]
	v_fma_f64 v[92:93], v[88:89], v[165:166], v[96:97]
	v_add_f64 v[83:84], v[83:84], v[102:103]
	ds_read_b128 v[86:89], v85 offset:1088
	s_waitcnt vmcnt(31) lgkmcnt(1)
	v_mul_f64 v[102:103], v[3:4], v[114:115]
	v_mul_f64 v[96:97], v[1:2], v[114:115]
	s_waitcnt vmcnt(29)
	v_fma_f64 v[98:99], v[79:80], v[100:101], -v[98:99]
	v_fma_f64 v[94:95], v[81:82], v[100:101], v[94:95]
	ds_read_b128 v[79:82], v85 offset:1104
	v_add_f64 v[90:91], v[90:91], v[104:105]
	v_add_f64 v[83:84], v[83:84], v[92:93]
	s_waitcnt vmcnt(25) lgkmcnt(1)
	v_mul_f64 v[100:101], v[88:89], v[106:107]
	s_waitcnt vmcnt(24)
	v_fma_f64 v[102:103], v[1:2], v[160:161], -v[102:103]
	v_mul_f64 v[92:93], v[86:87], v[106:107]
	v_fma_f64 v[96:97], v[3:4], v[160:161], v[96:97]
	ds_read_b128 v[1:4], v85 offset:1120
	v_add_f64 v[90:91], v[90:91], v[98:99]
	v_add_f64 v[83:84], v[83:84], v[94:95]
	s_waitcnt vmcnt(23) lgkmcnt(1)
	v_mul_f64 v[98:99], v[81:82], v[118:119]
	v_mul_f64 v[94:95], v[79:80], v[118:119]
	s_waitcnt vmcnt(21)
	v_fma_f64 v[100:101], v[86:87], v[110:111], -v[100:101]
	v_fma_f64 v[92:93], v[88:89], v[110:111], v[92:93]
	ds_read_b128 v[86:89], v85 offset:1136
	v_add_f64 v[90:91], v[90:91], v[102:103]
	v_add_f64 v[83:84], v[83:84], v[96:97]
	s_waitcnt vmcnt(17) lgkmcnt(1)
	v_mul_f64 v[102:103], v[3:4], v[108:109]
	s_waitcnt vmcnt(16)
	v_fma_f64 v[98:99], v[79:80], v[122:123], -v[98:99]
	v_mul_f64 v[96:97], v[1:2], v[108:109]
	v_fma_f64 v[94:95], v[81:82], v[122:123], v[94:95]
	ds_read_b128 v[79:82], v85 offset:1152
	v_add_f64 v[90:91], v[90:91], v[100:101]
	v_add_f64 v[83:84], v[83:84], v[92:93]
	s_waitcnt vmcnt(15) lgkmcnt(1)
	v_mul_f64 v[100:101], v[88:89], v[126:127]
	v_mul_f64 v[92:93], v[86:87], v[126:127]
	s_waitcnt vmcnt(13)
	v_fma_f64 v[102:103], v[1:2], v[112:113], -v[102:103]
	v_fma_f64 v[96:97], v[3:4], v[112:113], v[96:97]
	ds_read_b128 v[1:4], v85 offset:1168
	v_add_f64 v[90:91], v[90:91], v[98:99]
	v_add_f64 v[83:84], v[83:84], v[94:95]
	s_waitcnt vmcnt(9) lgkmcnt(1)
	v_mul_f64 v[98:99], v[81:82], v[116:117]
	s_waitcnt vmcnt(8)
	v_fma_f64 v[86:87], v[86:87], v[130:131], -v[100:101]
	v_mul_f64 v[94:95], v[79:80], v[116:117]
	v_fma_f64 v[88:89], v[88:89], v[130:131], v[92:93]
	v_add_f64 v[90:91], v[90:91], v[102:103]
	v_add_f64 v[83:84], v[83:84], v[96:97]
	s_waitcnt vmcnt(7) lgkmcnt(0)
	v_mul_f64 v[96:97], v[3:4], v[136:137]
	v_mul_f64 v[92:93], v[1:2], v[136:137]
	s_waitcnt vmcnt(5)
	v_fma_f64 v[79:80], v[79:80], v[120:121], -v[98:99]
	v_fma_f64 v[81:82], v[81:82], v[120:121], v[94:95]
	v_add_f64 v[86:87], v[90:91], v[86:87]
	v_add_f64 v[83:84], v[83:84], v[88:89]
	s_waitcnt vmcnt(4)
	v_fma_f64 v[1:2], v[1:2], v[140:141], -v[96:97]
	v_fma_f64 v[3:4], v[3:4], v[140:141], v[92:93]
	v_add_f64 v[79:80], v[86:87], v[79:80]
	v_add_f64 v[81:82], v[83:84], v[81:82]
	;; [unrolled: 1-line block ×4, first 2 shown]
	s_waitcnt vmcnt(2)
	v_add_f64 v[1:2], v[124:125], -v[1:2]
	s_waitcnt vmcnt(0)
	v_add_f64 v[3:4], v[134:135], -v[3:4]
	buffer_store_dword v2, off, s[0:3], 0 offset:132
	buffer_store_dword v1, off, s[0:3], 0 offset:128
	;; [unrolled: 1-line block ×4, first 2 shown]
	v_cmpx_lt_u32_e32 6, v0
	s_cbranch_execz .LBB100_223
; %bb.222:
	v_mov_b32_e32 v4, s43
	s_clause 0x3
	buffer_load_dword v1, v4, s[0:3], 0 offen
	buffer_load_dword v2, v4, s[0:3], 0 offen offset:4
	buffer_load_dword v3, v4, s[0:3], 0 offen offset:8
	;; [unrolled: 1-line block ×3, first 2 shown]
	buffer_store_dword v85, off, s[0:3], 0 offset:112
	buffer_store_dword v85, off, s[0:3], 0 offset:116
	;; [unrolled: 1-line block ×4, first 2 shown]
	s_waitcnt vmcnt(0)
	ds_write_b128 v133, v[1:4]
.LBB100_223:
	s_or_b32 exec_lo, exec_lo, s4
	s_waitcnt lgkmcnt(0)
	s_waitcnt_vscnt null, 0x0
	s_barrier
	buffer_gl0_inv
	s_clause 0x37
	buffer_load_dword v83, off, s[0:3], 0 offset:136
	buffer_load_dword v84, off, s[0:3], 0 offset:140
	;; [unrolled: 1-line block ×56, first 2 shown]
	ds_read_b128 v[86:89], v85 offset:704
	s_clause 0x2
	buffer_load_dword v145, off, s[0:3], 0 offset:364
	buffer_load_dword v149, off, s[0:3], 0 offset:340
	;; [unrolled: 1-line block ×3, first 2 shown]
	ds_read_b128 v[90:93], v85 offset:720
	s_clause 0x4
	buffer_load_dword v153, off, s[0:3], 0 offset:380
	buffer_load_dword v154, off, s[0:3], 0 offset:392
	;; [unrolled: 1-line block ×5, first 2 shown]
	ds_read_b128 v[94:97], v85 offset:736
	s_clause 0x2
	buffer_load_dword v155, off, s[0:3], 0 offset:396
	buffer_load_dword v160, off, s[0:3], 0 offset:372
	;; [unrolled: 1-line block ×3, first 2 shown]
	s_mov_b32 s4, exec_lo
	s_waitcnt vmcnt(62) lgkmcnt(2)
	v_mul_f64 v[150:151], v[88:89], v[83:84]
	v_mul_f64 v[83:84], v[86:87], v[83:84]
	s_waitcnt lgkmcnt(1)
	v_mul_f64 v[157:158], v[92:93], v[79:80]
	s_waitcnt vmcnt(59) lgkmcnt(0)
	v_mul_f64 v[161:162], v[96:97], v[3:4]
	v_fma_f64 v[86:87], v[86:87], v[81:82], -v[150:151]
	v_mul_f64 v[150:151], v[90:91], v[79:80]
	v_fma_f64 v[83:84], v[88:89], v[81:82], v[83:84]
	s_waitcnt vmcnt(57)
	v_fma_f64 v[90:91], v[90:91], v[1:2], -v[157:158]
	ds_read_b128 v[79:82], v85 offset:752
	v_mul_f64 v[88:89], v[94:95], v[3:4]
	s_waitcnt vmcnt(51)
	v_fma_f64 v[94:95], v[94:95], v[104:105], -v[161:162]
	v_add_f64 v[86:87], v[86:87], 0
	v_fma_f64 v[92:93], v[92:93], v[1:2], v[150:151]
	v_add_f64 v[83:84], v[83:84], 0
	s_clause 0x4
	buffer_load_dword v151, off, s[0:3], 0 offset:412
	buffer_load_dword v163, off, s[0:3], 0 offset:424
	;; [unrolled: 1-line block ×5, first 2 shown]
	s_waitcnt lgkmcnt(0)
	v_mul_f64 v[166:167], v[79:80], v[98:99]
	v_mul_f64 v[98:99], v[81:82], v[98:99]
	ds_read_b128 v[1:4], v85 offset:768
	v_fma_f64 v[96:97], v[96:97], v[104:105], v[88:89]
	v_add_f64 v[90:91], v[86:87], v[90:91]
	v_add_f64 v[83:84], v[83:84], v[92:93]
	s_clause 0x2
	buffer_load_dword v164, off, s[0:3], 0 offset:428
	buffer_load_dword v93, off, s[0:3], 0 offset:404
	;; [unrolled: 1-line block ×3, first 2 shown]
	s_waitcnt vmcnt(58) lgkmcnt(0)
	v_mul_f64 v[104:105], v[1:2], v[100:101]
	v_mul_f64 v[100:101], v[3:4], v[100:101]
	s_waitcnt vmcnt(56)
	v_fma_f64 v[98:99], v[79:80], v[106:107], -v[98:99]
	ds_read_b128 v[86:89], v85 offset:784
	v_add_f64 v[90:91], v[90:91], v[94:95]
	v_fma_f64 v[94:95], v[81:82], v[106:107], v[166:167]
	v_add_f64 v[83:84], v[83:84], v[96:97]
	s_clause 0x4
	buffer_load_dword v97, off, s[0:3], 0 offset:444
	buffer_load_dword v106, off, s[0:3], 0 offset:456
	;; [unrolled: 1-line block ×5, first 2 shown]
	ds_read_b128 v[79:82], v85 offset:800
	s_waitcnt vmcnt(57) lgkmcnt(1)
	v_mul_f64 v[167:168], v[86:87], v[108:109]
	v_mul_f64 v[108:109], v[88:89], v[108:109]
	s_waitcnt vmcnt(56)
	v_fma_f64 v[100:101], v[1:2], v[102:103], -v[100:101]
	v_add_f64 v[90:91], v[90:91], v[98:99]
	v_fma_f64 v[98:99], v[3:4], v[102:103], v[104:105]
	v_add_f64 v[83:84], v[83:84], v[94:95]
	s_clause 0x2
	buffer_load_dword v107, off, s[0:3], 0 offset:460
	buffer_load_dword v95, off, s[0:3], 0 offset:436
	;; [unrolled: 1-line block ×3, first 2 shown]
	s_waitcnt vmcnt(58) lgkmcnt(0)
	v_mul_f64 v[104:105], v[81:82], v[110:111]
	ds_read_b128 v[1:4], v85 offset:816
	s_waitcnt vmcnt(56)
	v_fma_f64 v[108:109], v[86:87], v[114:115], -v[108:109]
	v_mul_f64 v[102:103], v[79:80], v[110:111]
	v_add_f64 v[90:91], v[90:91], v[100:101]
	v_fma_f64 v[100:101], v[88:89], v[114:115], v[167:168]
	v_add_f64 v[83:84], v[83:84], v[98:99]
	s_clause 0x4
	buffer_load_dword v99, off, s[0:3], 0 offset:476
	buffer_load_dword v110, off, s[0:3], 0 offset:488
	buffer_load_dword v114, off, s[0:3], 0 offset:480
	buffer_load_dword v98, off, s[0:3], 0 offset:472
	buffer_load_dword v162, off, s[0:3], 0 offset:452
	s_waitcnt vmcnt(57) lgkmcnt(0)
	v_mul_f64 v[167:168], v[1:2], v[116:117]
	v_mul_f64 v[115:116], v[3:4], v[116:117]
	s_waitcnt vmcnt(56)
	v_fma_f64 v[104:105], v[79:80], v[112:113], -v[104:105]
	ds_read_b128 v[86:89], v85 offset:832
	v_fma_f64 v[102:103], v[81:82], v[112:113], v[102:103]
	v_add_f64 v[90:91], v[90:91], v[108:109]
	v_add_f64 v[83:84], v[83:84], v[100:101]
	s_clause 0x2
	buffer_load_dword v111, off, s[0:3], 0 offset:492
	buffer_load_dword v101, off, s[0:3], 0 offset:468
	buffer_load_dword v100, off, s[0:3], 0 offset:464
	ds_read_b128 v[79:82], v85 offset:848
	s_waitcnt vmcnt(58) lgkmcnt(1)
	v_mul_f64 v[112:113], v[88:89], v[118:119]
	s_waitcnt vmcnt(56)
	v_fma_f64 v[116:117], v[1:2], v[122:123], -v[115:116]
	v_mul_f64 v[108:109], v[86:87], v[118:119]
	v_add_f64 v[90:91], v[90:91], v[104:105]
	v_fma_f64 v[104:105], v[3:4], v[122:123], v[167:168]
	v_add_f64 v[83:84], v[83:84], v[102:103]
	s_clause 0x4
	buffer_load_dword v103, off, s[0:3], 0 offset:508
	buffer_load_dword v118, off, s[0:3], 0 offset:520
	buffer_load_dword v122, off, s[0:3], 0 offset:512
	buffer_load_dword v102, off, s[0:3], 0 offset:504
	buffer_load_dword v115, off, s[0:3], 0 offset:484
	s_waitcnt vmcnt(57) lgkmcnt(0)
	v_mul_f64 v[167:168], v[79:80], v[124:125]
	v_mul_f64 v[123:124], v[81:82], v[124:125]
	s_waitcnt vmcnt(56)
	v_fma_f64 v[112:113], v[86:87], v[120:121], -v[112:113]
	ds_read_b128 v[1:4], v85 offset:864
	v_fma_f64 v[108:109], v[88:89], v[120:121], v[108:109]
	v_add_f64 v[90:91], v[90:91], v[116:117]
	v_add_f64 v[83:84], v[83:84], v[104:105]
	s_clause 0x2
	buffer_load_dword v119, off, s[0:3], 0 offset:524
	buffer_load_dword v105, off, s[0:3], 0 offset:500
	buffer_load_dword v104, off, s[0:3], 0 offset:496
	ds_read_b128 v[86:89], v85 offset:880
	s_waitcnt vmcnt(58) lgkmcnt(1)
	v_mul_f64 v[120:121], v[3:4], v[126:127]
	;; [unrolled: 28-line block ×4, first 2 shown]
	s_waitcnt vmcnt(56)
	v_fma_f64 v[142:143], v[1:2], v[148:149], -v[141:142]
	v_mul_f64 v[134:135], v[86:87], v[144:145]
	v_add_f64 v[90:91], v[90:91], v[128:129]
	v_fma_f64 v[128:129], v[3:4], v[148:149], v[167:168]
	v_add_f64 v[83:84], v[83:84], v[124:125]
	s_clause 0x2
	buffer_load_dword v125, off, s[0:3], 0 offset:604
	buffer_load_dword v124, off, s[0:3], 0 offset:600
	;; [unrolled: 1-line block ×3, first 2 shown]
	s_waitcnt vmcnt(55) lgkmcnt(0)
	v_mul_f64 v[148:149], v[81:82], v[152:153]
	s_waitcnt vmcnt(54)
	v_fma_f64 v[138:139], v[86:87], v[146:147], -v[138:139]
	ds_read_b128 v[1:4], v85 offset:960
	v_mul_f64 v[144:145], v[79:80], v[152:153]
	v_fma_f64 v[134:135], v[88:89], v[146:147], v[134:135]
	v_add_f64 v[90:91], v[90:91], v[142:143]
	v_add_f64 v[83:84], v[83:84], v[128:129]
	s_clause 0x1
	buffer_load_dword v129, off, s[0:3], 0 offset:596
	buffer_load_dword v128, off, s[0:3], 0 offset:592
	s_waitcnt vmcnt(55) lgkmcnt(0)
	v_mul_f64 v[146:147], v[3:4], v[154:155]
	s_waitcnt vmcnt(53)
	v_fma_f64 v[148:149], v[79:80], v[159:160], -v[148:149]
	ds_read_b128 v[86:89], v85 offset:976
	v_mul_f64 v[142:143], v[1:2], v[154:155]
	v_add_f64 v[90:91], v[90:91], v[138:139]
	v_fma_f64 v[138:139], v[81:82], v[159:160], v[144:145]
	v_add_f64 v[83:84], v[83:84], v[134:135]
	ds_read_b128 v[79:82], v85 offset:992
	s_waitcnt vmcnt(49) lgkmcnt(1)
	v_mul_f64 v[144:145], v[88:89], v[150:151]
	s_waitcnt vmcnt(48)
	v_fma_f64 v[146:147], v[1:2], v[156:157], -v[146:147]
	v_mul_f64 v[134:135], v[86:87], v[150:151]
	v_fma_f64 v[142:143], v[3:4], v[156:157], v[142:143]
	v_add_f64 v[90:91], v[90:91], v[148:149]
	v_add_f64 v[83:84], v[83:84], v[138:139]
	s_clause 0x3
	buffer_load_dword v138, off, s[0:3], 0 offset:112
	buffer_load_dword v139, off, s[0:3], 0 offset:116
	;; [unrolled: 1-line block ×4, first 2 shown]
	ds_read_b128 v[1:4], v85 offset:1008
	s_waitcnt vmcnt(51) lgkmcnt(1)
	v_mul_f64 v[152:153], v[81:82], v[163:164]
	v_mul_f64 v[150:151], v[79:80], v[163:164]
	s_waitcnt vmcnt(49)
	v_fma_f64 v[144:145], v[86:87], v[92:93], -v[144:145]
	v_fma_f64 v[92:93], v[88:89], v[92:93], v[134:135]
	ds_read_b128 v[86:89], v85 offset:1024
	v_add_f64 v[90:91], v[90:91], v[146:147]
	v_add_f64 v[83:84], v[83:84], v[142:143]
	s_waitcnt vmcnt(45) lgkmcnt(1)
	v_mul_f64 v[134:135], v[1:2], v[96:97]
	v_mul_f64 v[96:97], v[3:4], v[96:97]
	s_waitcnt vmcnt(44)
	v_fma_f64 v[142:143], v[79:80], v[165:166], -v[152:153]
	v_add_f64 v[90:91], v[90:91], v[144:145]
	v_fma_f64 v[144:145], v[81:82], v[165:166], v[150:151]
	v_add_f64 v[83:84], v[83:84], v[92:93]
	ds_read_b128 v[79:82], v85 offset:1040
	s_waitcnt vmcnt(43) lgkmcnt(1)
	v_mul_f64 v[92:93], v[86:87], v[106:107]
	v_mul_f64 v[106:107], v[88:89], v[106:107]
	s_waitcnt vmcnt(41)
	v_fma_f64 v[96:97], v[1:2], v[94:95], -v[96:97]
	v_fma_f64 v[94:95], v[3:4], v[94:95], v[134:135]
	ds_read_b128 v[1:4], v85 offset:1056
	v_add_f64 v[90:91], v[90:91], v[142:143]
	v_add_f64 v[83:84], v[83:84], v[144:145]
	s_waitcnt vmcnt(37) lgkmcnt(1)
	v_mul_f64 v[134:135], v[79:80], v[98:99]
	v_mul_f64 v[98:99], v[81:82], v[98:99]
	s_waitcnt vmcnt(36)
	v_fma_f64 v[106:107], v[86:87], v[161:162], -v[106:107]
	v_fma_f64 v[92:93], v[88:89], v[161:162], v[92:93]
	ds_read_b128 v[86:89], v85 offset:1072
	v_add_f64 v[90:91], v[90:91], v[96:97]
	v_add_f64 v[83:84], v[83:84], v[94:95]
	;; [unrolled: 9-line block ×5, first 2 shown]
	s_waitcnt vmcnt(21) lgkmcnt(1)
	v_mul_f64 v[96:97], v[3:4], v[108:109]
	s_waitcnt vmcnt(20)
	v_fma_f64 v[100:101], v[79:80], v[122:123], -v[100:101]
	v_mul_f64 v[94:95], v[1:2], v[108:109]
	v_fma_f64 v[98:99], v[81:82], v[122:123], v[98:99]
	ds_read_b128 v[79:82], v85 offset:1136
	v_add_f64 v[90:91], v[90:91], v[102:103]
	v_add_f64 v[83:84], v[83:84], v[92:93]
	s_waitcnt vmcnt(19) lgkmcnt(1)
	v_mul_f64 v[102:103], v[88:89], v[126:127]
	v_mul_f64 v[92:93], v[86:87], v[126:127]
	s_waitcnt vmcnt(17)
	v_fma_f64 v[96:97], v[1:2], v[112:113], -v[96:97]
	v_fma_f64 v[94:95], v[3:4], v[112:113], v[94:95]
	ds_read_b128 v[1:4], v85 offset:1152
	v_add_f64 v[90:91], v[90:91], v[100:101]
	v_add_f64 v[83:84], v[83:84], v[98:99]
	s_waitcnt vmcnt(13) lgkmcnt(1)
	v_mul_f64 v[100:101], v[81:82], v[116:117]
	s_waitcnt vmcnt(12)
	v_fma_f64 v[102:103], v[86:87], v[130:131], -v[102:103]
	v_mul_f64 v[98:99], v[79:80], v[116:117]
	v_fma_f64 v[87:88], v[88:89], v[130:131], v[92:93]
	v_add_f64 v[90:91], v[90:91], v[96:97]
	v_add_f64 v[92:93], v[83:84], v[94:95]
	ds_read_b128 v[83:86], v85 offset:1168
	s_waitcnt vmcnt(11) lgkmcnt(1)
	v_mul_f64 v[96:97], v[3:4], v[136:137]
	v_mul_f64 v[94:95], v[1:2], v[136:137]
	s_waitcnt vmcnt(9)
	v_fma_f64 v[79:80], v[79:80], v[120:121], -v[100:101]
	v_fma_f64 v[81:82], v[81:82], v[120:121], v[98:99]
	v_add_f64 v[89:90], v[90:91], v[102:103]
	v_add_f64 v[87:88], v[92:93], v[87:88]
	s_waitcnt vmcnt(7) lgkmcnt(0)
	v_mul_f64 v[98:99], v[85:86], v[124:125]
	s_waitcnt vmcnt(6)
	v_fma_f64 v[1:2], v[1:2], v[140:141], -v[96:97]
	v_mul_f64 v[91:92], v[83:84], v[124:125]
	v_fma_f64 v[3:4], v[3:4], v[140:141], v[94:95]
	v_add_f64 v[79:80], v[89:90], v[79:80]
	v_add_f64 v[81:82], v[87:88], v[81:82]
	s_waitcnt vmcnt(4)
	v_fma_f64 v[83:84], v[83:84], v[128:129], -v[98:99]
	v_add_f64 v[1:2], v[79:80], v[1:2]
	v_fma_f64 v[79:80], v[85:86], v[128:129], v[91:92]
	v_add_f64 v[3:4], v[81:82], v[3:4]
	v_add_f64 v[1:2], v[1:2], v[83:84]
	;; [unrolled: 1-line block ×3, first 2 shown]
	s_waitcnt vmcnt(2)
	v_add_f64 v[1:2], v[138:139], -v[1:2]
	s_waitcnt vmcnt(0)
	v_add_f64 v[3:4], v[148:149], -v[3:4]
	buffer_store_dword v2, off, s[0:3], 0 offset:116
	buffer_store_dword v1, off, s[0:3], 0 offset:112
	;; [unrolled: 1-line block ×4, first 2 shown]
	v_cmpx_lt_u32_e32 5, v0
	s_cbranch_execz .LBB100_225
; %bb.224:
	v_mov_b32_e32 v4, s44
	v_mov_b32_e32 v79, 0
	s_clause 0x3
	buffer_load_dword v1, v4, s[0:3], 0 offen
	buffer_load_dword v2, v4, s[0:3], 0 offen offset:4
	buffer_load_dword v3, v4, s[0:3], 0 offen offset:8
	;; [unrolled: 1-line block ×3, first 2 shown]
	buffer_store_dword v79, off, s[0:3], 0 offset:96
	buffer_store_dword v79, off, s[0:3], 0 offset:100
	;; [unrolled: 1-line block ×4, first 2 shown]
	s_waitcnt vmcnt(0)
	ds_write_b128 v133, v[1:4]
.LBB100_225:
	s_or_b32 exec_lo, exec_lo, s4
	s_waitcnt lgkmcnt(0)
	s_waitcnt_vscnt null, 0x0
	s_barrier
	buffer_gl0_inv
	s_clause 0x37
	buffer_load_dword v83, off, s[0:3], 0 offset:120
	buffer_load_dword v84, off, s[0:3], 0 offset:124
	;; [unrolled: 1-line block ×56, first 2 shown]
	v_mov_b32_e32 v103, 0
	s_mov_b32 s4, exec_lo
	ds_read_b128 v[91:94], v103 offset:688
	s_clause 0x2
	buffer_load_dword v145, off, s[0:3], 0 offset:348
	buffer_load_dword v149, off, s[0:3], 0 offset:324
	;; [unrolled: 1-line block ×3, first 2 shown]
	ds_read_b128 v[95:98], v103 offset:704
	s_clause 0x4
	buffer_load_dword v153, off, s[0:3], 0 offset:364
	buffer_load_dword v154, off, s[0:3], 0 offset:376
	;; [unrolled: 1-line block ×5, first 2 shown]
	ds_read_b128 v[99:102], v103 offset:720
	s_clause 0x2
	buffer_load_dword v155, off, s[0:3], 0 offset:380
	buffer_load_dword v160, off, s[0:3], 0 offset:356
	;; [unrolled: 1-line block ×3, first 2 shown]
	s_waitcnt vmcnt(62) lgkmcnt(2)
	v_mul_f64 v[150:151], v[93:94], v[83:84]
	v_mul_f64 v[83:84], v[91:92], v[83:84]
	s_waitcnt lgkmcnt(1)
	v_mul_f64 v[157:158], v[97:98], v[79:80]
	s_waitcnt vmcnt(59) lgkmcnt(0)
	v_mul_f64 v[161:162], v[101:102], v[3:4]
	v_fma_f64 v[91:92], v[91:92], v[81:82], -v[150:151]
	v_mul_f64 v[150:151], v[95:96], v[79:80]
	v_fma_f64 v[83:84], v[93:94], v[81:82], v[83:84]
	s_waitcnt vmcnt(57)
	v_fma_f64 v[95:96], v[95:96], v[1:2], -v[157:158]
	ds_read_b128 v[79:82], v103 offset:736
	v_mul_f64 v[93:94], v[99:100], v[3:4]
	s_waitcnt vmcnt(51)
	v_fma_f64 v[99:100], v[99:100], v[106:107], -v[161:162]
	v_add_f64 v[91:92], v[91:92], 0
	v_fma_f64 v[97:98], v[97:98], v[1:2], v[150:151]
	v_add_f64 v[83:84], v[83:84], 0
	s_clause 0x4
	buffer_load_dword v151, off, s[0:3], 0 offset:396
	buffer_load_dword v163, off, s[0:3], 0 offset:408
	buffer_load_dword v165, off, s[0:3], 0 offset:400
	buffer_load_dword v150, off, s[0:3], 0 offset:392
	buffer_load_dword v157, off, s[0:3], 0 offset:372
	s_waitcnt lgkmcnt(0)
	v_mul_f64 v[166:167], v[79:80], v[87:88]
	v_mul_f64 v[87:88], v[81:82], v[87:88]
	ds_read_b128 v[1:4], v103 offset:752
	v_fma_f64 v[101:102], v[101:102], v[106:107], v[93:94]
	v_add_f64 v[95:96], v[91:92], v[95:96]
	v_add_f64 v[83:84], v[83:84], v[97:98]
	s_clause 0x2
	buffer_load_dword v164, off, s[0:3], 0 offset:412
	buffer_load_dword v98, off, s[0:3], 0 offset:388
	;; [unrolled: 1-line block ×3, first 2 shown]
	s_waitcnt vmcnt(58) lgkmcnt(0)
	v_mul_f64 v[106:107], v[1:2], v[104:105]
	v_mul_f64 v[104:105], v[3:4], v[104:105]
	s_waitcnt vmcnt(56)
	v_fma_f64 v[87:88], v[79:80], v[108:109], -v[87:88]
	ds_read_b128 v[91:94], v103 offset:768
	v_add_f64 v[95:96], v[95:96], v[99:100]
	v_fma_f64 v[99:100], v[81:82], v[108:109], v[166:167]
	v_add_f64 v[83:84], v[83:84], v[101:102]
	s_clause 0x4
	buffer_load_dword v102, off, s[0:3], 0 offset:428
	buffer_load_dword v108, off, s[0:3], 0 offset:440
	;; [unrolled: 1-line block ×5, first 2 shown]
	ds_read_b128 v[79:82], v103 offset:784
	s_waitcnt vmcnt(57) lgkmcnt(1)
	v_mul_f64 v[167:168], v[91:92], v[110:111]
	v_mul_f64 v[110:111], v[93:94], v[110:111]
	s_waitcnt vmcnt(56)
	v_fma_f64 v[104:105], v[1:2], v[85:86], -v[104:105]
	v_fma_f64 v[85:86], v[3:4], v[85:86], v[106:107]
	v_add_f64 v[87:88], v[95:96], v[87:88]
	s_clause 0x2
	buffer_load_dword v109, off, s[0:3], 0 offset:444
	buffer_load_dword v96, off, s[0:3], 0 offset:420
	;; [unrolled: 1-line block ×3, first 2 shown]
	v_add_f64 v[83:84], v[83:84], v[99:100]
	s_waitcnt vmcnt(58) lgkmcnt(0)
	v_mul_f64 v[106:107], v[81:82], v[112:113]
	ds_read_b128 v[1:4], v103 offset:800
	v_mul_f64 v[99:100], v[79:80], v[112:113]
	s_waitcnt vmcnt(56)
	v_fma_f64 v[91:92], v[91:92], v[114:115], -v[110:111]
	v_fma_f64 v[93:94], v[93:94], v[114:115], v[167:168]
	s_clause 0x4
	buffer_load_dword v111, off, s[0:3], 0 offset:460
	buffer_load_dword v112, off, s[0:3], 0 offset:472
	buffer_load_dword v114, off, s[0:3], 0 offset:464
	buffer_load_dword v110, off, s[0:3], 0 offset:456
	buffer_load_dword v162, off, s[0:3], 0 offset:436
	v_add_f64 v[87:88], v[87:88], v[104:105]
	v_add_f64 v[104:105], v[83:84], v[85:86]
	s_waitcnt vmcnt(57) lgkmcnt(0)
	v_mul_f64 v[167:168], v[1:2], v[116:117]
	v_mul_f64 v[115:116], v[3:4], v[116:117]
	s_waitcnt vmcnt(56)
	v_fma_f64 v[106:107], v[79:80], v[89:90], -v[106:107]
	ds_read_b128 v[83:86], v103 offset:816
	v_fma_f64 v[89:90], v[81:82], v[89:90], v[99:100]
	v_add_f64 v[87:88], v[87:88], v[91:92]
	v_add_f64 v[91:92], v[104:105], v[93:94]
	s_clause 0x2
	buffer_load_dword v113, off, s[0:3], 0 offset:476
	buffer_load_dword v94, off, s[0:3], 0 offset:452
	;; [unrolled: 1-line block ×3, first 2 shown]
	s_waitcnt vmcnt(58) lgkmcnt(0)
	v_mul_f64 v[104:105], v[85:86], v[118:119]
	s_waitcnt vmcnt(56)
	v_fma_f64 v[116:117], v[1:2], v[122:123], -v[115:116]
	ds_read_b128 v[79:82], v103 offset:832
	v_mul_f64 v[99:100], v[83:84], v[118:119]
	v_add_f64 v[87:88], v[87:88], v[106:107]
	v_fma_f64 v[106:107], v[3:4], v[122:123], v[167:168]
	v_add_f64 v[89:90], v[91:92], v[89:90]
	s_clause 0x4
	buffer_load_dword v92, off, s[0:3], 0 offset:492
	buffer_load_dword v118, off, s[0:3], 0 offset:504
	buffer_load_dword v122, off, s[0:3], 0 offset:496
	buffer_load_dword v91, off, s[0:3], 0 offset:488
	buffer_load_dword v115, off, s[0:3], 0 offset:468
	s_waitcnt vmcnt(57) lgkmcnt(0)
	v_mul_f64 v[167:168], v[79:80], v[124:125]
	v_mul_f64 v[123:124], v[81:82], v[124:125]
	s_waitcnt vmcnt(56)
	v_fma_f64 v[104:105], v[83:84], v[120:121], -v[104:105]
	ds_read_b128 v[1:4], v103 offset:848
	v_fma_f64 v[99:100], v[85:86], v[120:121], v[99:100]
	v_add_f64 v[87:88], v[87:88], v[116:117]
	v_add_f64 v[89:90], v[89:90], v[106:107]
	s_clause 0x2
	buffer_load_dword v119, off, s[0:3], 0 offset:508
	buffer_load_dword v107, off, s[0:3], 0 offset:484
	buffer_load_dword v106, off, s[0:3], 0 offset:480
	ds_read_b128 v[83:86], v103 offset:864
	s_waitcnt vmcnt(58) lgkmcnt(1)
	v_mul_f64 v[120:121], v[3:4], v[126:127]
	s_waitcnt vmcnt(56)
	v_fma_f64 v[124:125], v[79:80], v[130:131], -v[123:124]
	v_mul_f64 v[116:117], v[1:2], v[126:127]
	v_add_f64 v[87:88], v[87:88], v[104:105]
	v_fma_f64 v[104:105], v[81:82], v[130:131], v[167:168]
	v_add_f64 v[89:90], v[89:90], v[99:100]
	s_clause 0x4
	buffer_load_dword v100, off, s[0:3], 0 offset:524
	buffer_load_dword v126, off, s[0:3], 0 offset:536
	buffer_load_dword v130, off, s[0:3], 0 offset:528
	buffer_load_dword v99, off, s[0:3], 0 offset:520
	buffer_load_dword v123, off, s[0:3], 0 offset:500
	s_waitcnt vmcnt(57) lgkmcnt(0)
	v_mul_f64 v[131:132], v[83:84], v[134:135]
	v_mul_f64 v[134:135], v[85:86], v[134:135]
	s_waitcnt vmcnt(56)
	v_fma_f64 v[120:121], v[1:2], v[128:129], -v[120:121]
	ds_read_b128 v[79:82], v103 offset:880
	v_fma_f64 v[116:117], v[3:4], v[128:129], v[116:117]
	v_add_f64 v[87:88], v[87:88], v[124:125]
	v_add_f64 v[89:90], v[89:90], v[104:105]
	s_clause 0x2
	buffer_load_dword v127, off, s[0:3], 0 offset:540
	buffer_load_dword v105, off, s[0:3], 0 offset:516
	buffer_load_dword v104, off, s[0:3], 0 offset:512
	ds_read_b128 v[1:4], v103 offset:896
	s_waitcnt vmcnt(58) lgkmcnt(1)
	v_mul_f64 v[128:129], v[81:82], v[136:137]
	s_waitcnt vmcnt(56)
	v_fma_f64 v[134:135], v[83:84], v[140:141], -v[134:135]
	;; [unrolled: 28-line block ×4, first 2 shown]
	v_mul_f64 v[142:143], v[1:2], v[154:155]
	buffer_load_dword v149, off, s[0:3], 0 offset:596
	v_add_f64 v[87:88], v[87:88], v[138:139]
	v_fma_f64 v[138:139], v[81:82], v[159:160], v[167:168]
	v_add_f64 v[89:90], v[89:90], v[134:135]
	ds_read_b128 v[79:82], v103 offset:976
	s_waitcnt vmcnt(53) lgkmcnt(1)
	v_mul_f64 v[134:135], v[83:84], v[150:151]
	v_mul_f64 v[150:151], v[85:86], v[150:151]
	s_waitcnt vmcnt(52)
	v_fma_f64 v[146:147], v[1:2], v[156:157], -v[146:147]
	v_fma_f64 v[142:143], v[3:4], v[156:157], v[142:143]
	ds_read_b128 v[1:4], v103 offset:992
	v_add_f64 v[87:88], v[87:88], v[152:153]
	v_add_f64 v[89:90], v[89:90], v[138:139]
	s_waitcnt vmcnt(51) lgkmcnt(1)
	v_mul_f64 v[152:153], v[81:82], v[163:164]
	v_mul_f64 v[138:139], v[79:80], v[163:164]
	s_waitcnt vmcnt(49)
	v_fma_f64 v[150:151], v[83:84], v[97:98], -v[150:151]
	v_fma_f64 v[97:98], v[85:86], v[97:98], v[134:135]
	v_add_f64 v[87:88], v[87:88], v[146:147]
	v_add_f64 v[89:90], v[89:90], v[142:143]
	s_clause 0x3
	buffer_load_dword v134, off, s[0:3], 0 offset:96
	buffer_load_dword v135, off, s[0:3], 0 offset:100
	;; [unrolled: 1-line block ×4, first 2 shown]
	ds_read_b128 v[83:86], v103 offset:1008
	s_waitcnt vmcnt(49) lgkmcnt(1)
	v_mul_f64 v[146:147], v[1:2], v[101:102]
	v_mul_f64 v[101:102], v[3:4], v[101:102]
	s_waitcnt vmcnt(48)
	v_fma_f64 v[152:153], v[79:80], v[165:166], -v[152:153]
	v_fma_f64 v[138:139], v[81:82], v[165:166], v[138:139]
	ds_read_b128 v[79:82], v103 offset:1024
	v_add_f64 v[87:88], v[87:88], v[150:151]
	v_add_f64 v[89:90], v[89:90], v[97:98]
	s_waitcnt vmcnt(47) lgkmcnt(1)
	v_mul_f64 v[97:98], v[83:84], v[108:109]
	v_mul_f64 v[108:109], v[85:86], v[108:109]
	s_waitcnt vmcnt(45)
	v_fma_f64 v[101:102], v[1:2], v[95:96], -v[101:102]
	v_fma_f64 v[95:96], v[3:4], v[95:96], v[146:147]
	ds_read_b128 v[1:4], v103 offset:1040
	v_add_f64 v[87:88], v[87:88], v[152:153]
	v_add_f64 v[89:90], v[89:90], v[138:139]
	s_waitcnt vmcnt(41) lgkmcnt(1)
	v_mul_f64 v[138:139], v[79:80], v[110:111]
	v_mul_f64 v[110:111], v[81:82], v[110:111]
	s_waitcnt vmcnt(40)
	v_fma_f64 v[97:98], v[85:86], v[161:162], v[97:98]
	v_fma_f64 v[108:109], v[83:84], v[161:162], -v[108:109]
	ds_read_b128 v[83:86], v103 offset:1056
	v_add_f64 v[87:88], v[87:88], v[101:102]
	v_add_f64 v[89:90], v[89:90], v[95:96]
	s_waitcnt vmcnt(39) lgkmcnt(1)
	v_mul_f64 v[101:102], v[3:4], v[112:113]
	v_mul_f64 v[95:96], v[1:2], v[112:113]
	s_waitcnt vmcnt(37)
	v_fma_f64 v[110:111], v[79:80], v[93:94], -v[110:111]
	v_fma_f64 v[93:94], v[81:82], v[93:94], v[138:139]
	ds_read_b128 v[79:82], v103 offset:1072
	v_add_f64 v[87:88], v[87:88], v[108:109]
	v_add_f64 v[89:90], v[89:90], v[97:98]
	s_waitcnt vmcnt(33) lgkmcnt(1)
	v_mul_f64 v[97:98], v[83:84], v[91:92]
	v_mul_f64 v[91:92], v[85:86], v[91:92]
	s_waitcnt vmcnt(32)
	v_fma_f64 v[101:102], v[1:2], v[114:115], -v[101:102]
	v_fma_f64 v[95:96], v[3:4], v[114:115], v[95:96]
	;; [unrolled: 9-line block ×3, first 2 shown]
	ds_read_b128 v[83:86], v103 offset:1104
	v_add_f64 v[87:88], v[87:88], v[101:102]
	v_add_f64 v[89:90], v[89:90], v[95:96]
	s_waitcnt vmcnt(25) lgkmcnt(1)
	v_mul_f64 v[95:96], v[1:2], v[99:100]
	v_mul_f64 v[99:100], v[3:4], v[99:100]
	s_waitcnt vmcnt(24)
	v_fma_f64 v[101:102], v[79:80], v[122:123], -v[108:109]
	v_add_f64 v[87:88], v[87:88], v[91:92]
	v_fma_f64 v[91:92], v[81:82], v[122:123], v[93:94]
	v_add_f64 v[89:90], v[89:90], v[97:98]
	ds_read_b128 v[79:82], v103 offset:1120
	s_waitcnt vmcnt(23) lgkmcnt(1)
	v_mul_f64 v[97:98], v[85:86], v[126:127]
	v_mul_f64 v[93:94], v[83:84], v[126:127]
	s_waitcnt vmcnt(21)
	v_fma_f64 v[99:100], v[1:2], v[104:105], -v[99:100]
	v_fma_f64 v[95:96], v[3:4], v[104:105], v[95:96]
	ds_read_b128 v[1:4], v103 offset:1136
	v_add_f64 v[87:88], v[87:88], v[101:102]
	v_add_f64 v[89:90], v[89:90], v[91:92]
	s_waitcnt vmcnt(17) lgkmcnt(1)
	v_mul_f64 v[101:102], v[81:82], v[116:117]
	s_waitcnt vmcnt(16)
	v_fma_f64 v[97:98], v[83:84], v[130:131], -v[97:98]
	v_mul_f64 v[91:92], v[79:80], v[116:117]
	v_fma_f64 v[93:94], v[85:86], v[130:131], v[93:94]
	ds_read_b128 v[83:86], v103 offset:1152
	v_add_f64 v[87:88], v[87:88], v[99:100]
	v_add_f64 v[89:90], v[89:90], v[95:96]
	s_waitcnt vmcnt(15) lgkmcnt(1)
	v_mul_f64 v[99:100], v[3:4], v[136:137]
	v_mul_f64 v[95:96], v[1:2], v[136:137]
	s_waitcnt vmcnt(13)
	v_fma_f64 v[101:102], v[79:80], v[120:121], -v[101:102]
	v_fma_f64 v[91:92], v[81:82], v[120:121], v[91:92]
	ds_read_b128 v[79:82], v103 offset:1168
	v_add_f64 v[87:88], v[87:88], v[97:98]
	v_add_f64 v[89:90], v[89:90], v[93:94]
	s_waitcnt vmcnt(9) lgkmcnt(1)
	v_mul_f64 v[97:98], v[85:86], v[124:125]
	s_waitcnt vmcnt(8)
	v_fma_f64 v[1:2], v[1:2], v[140:141], -v[99:100]
	v_mul_f64 v[93:94], v[83:84], v[124:125]
	v_fma_f64 v[3:4], v[3:4], v[140:141], v[95:96]
	v_add_f64 v[87:88], v[87:88], v[101:102]
	v_add_f64 v[89:90], v[89:90], v[91:92]
	s_waitcnt vmcnt(7) lgkmcnt(0)
	v_mul_f64 v[95:96], v[81:82], v[144:145]
	v_mul_f64 v[91:92], v[79:80], v[144:145]
	s_waitcnt vmcnt(5)
	v_fma_f64 v[83:84], v[83:84], v[128:129], -v[97:98]
	v_fma_f64 v[85:86], v[85:86], v[128:129], v[93:94]
	v_add_f64 v[1:2], v[87:88], v[1:2]
	v_add_f64 v[3:4], v[89:90], v[3:4]
	s_waitcnt vmcnt(4)
	v_fma_f64 v[79:80], v[79:80], v[148:149], -v[95:96]
	v_fma_f64 v[81:82], v[81:82], v[148:149], v[91:92]
	v_add_f64 v[1:2], v[1:2], v[83:84]
	v_add_f64 v[3:4], v[3:4], v[85:86]
	v_add_f64 v[1:2], v[1:2], v[79:80]
	v_add_f64 v[3:4], v[3:4], v[81:82]
	s_waitcnt vmcnt(2)
	v_add_f64 v[1:2], v[134:135], -v[1:2]
	s_waitcnt vmcnt(0)
	v_add_f64 v[3:4], v[142:143], -v[3:4]
	buffer_store_dword v2, off, s[0:3], 0 offset:100
	buffer_store_dword v1, off, s[0:3], 0 offset:96
	;; [unrolled: 1-line block ×4, first 2 shown]
	v_cmpx_lt_u32_e32 4, v0
	s_cbranch_execz .LBB100_227
; %bb.226:
	v_mov_b32_e32 v4, s45
	s_clause 0x3
	buffer_load_dword v1, v4, s[0:3], 0 offen
	buffer_load_dword v2, v4, s[0:3], 0 offen offset:4
	buffer_load_dword v3, v4, s[0:3], 0 offen offset:8
	;; [unrolled: 1-line block ×3, first 2 shown]
	buffer_store_dword v103, off, s[0:3], 0 offset:80
	buffer_store_dword v103, off, s[0:3], 0 offset:84
	;; [unrolled: 1-line block ×4, first 2 shown]
	s_waitcnt vmcnt(0)
	ds_write_b128 v133, v[1:4]
.LBB100_227:
	s_or_b32 exec_lo, exec_lo, s4
	s_waitcnt lgkmcnt(0)
	s_waitcnt_vscnt null, 0x0
	s_barrier
	buffer_gl0_inv
	s_clause 0x37
	buffer_load_dword v83, off, s[0:3], 0 offset:104
	buffer_load_dword v84, off, s[0:3], 0 offset:108
	;; [unrolled: 1-line block ×56, first 2 shown]
	ds_read_b128 v[104:107], v103 offset:672
	s_clause 0x2
	buffer_load_dword v145, off, s[0:3], 0 offset:332
	buffer_load_dword v149, off, s[0:3], 0 offset:308
	;; [unrolled: 1-line block ×3, first 2 shown]
	ds_read_b128 v[108:111], v103 offset:688
	s_clause 0x4
	buffer_load_dword v153, off, s[0:3], 0 offset:348
	buffer_load_dword v154, off, s[0:3], 0 offset:360
	;; [unrolled: 1-line block ×5, first 2 shown]
	ds_read_b128 v[112:115], v103 offset:704
	s_clause 0x2
	buffer_load_dword v155, off, s[0:3], 0 offset:364
	buffer_load_dword v160, off, s[0:3], 0 offset:340
	;; [unrolled: 1-line block ×3, first 2 shown]
	s_mov_b32 s4, exec_lo
	s_waitcnt vmcnt(62) lgkmcnt(2)
	v_mul_f64 v[150:151], v[106:107], v[83:84]
	v_mul_f64 v[83:84], v[104:105], v[83:84]
	s_waitcnt lgkmcnt(1)
	v_mul_f64 v[157:158], v[110:111], v[79:80]
	s_waitcnt vmcnt(59) lgkmcnt(0)
	v_mul_f64 v[161:162], v[114:115], v[3:4]
	v_fma_f64 v[104:105], v[104:105], v[81:82], -v[150:151]
	v_mul_f64 v[150:151], v[108:109], v[79:80]
	v_fma_f64 v[83:84], v[106:107], v[81:82], v[83:84]
	s_waitcnt vmcnt(57)
	v_fma_f64 v[108:109], v[108:109], v[1:2], -v[157:158]
	ds_read_b128 v[79:82], v103 offset:720
	v_mul_f64 v[106:107], v[112:113], v[3:4]
	s_waitcnt vmcnt(51)
	v_fma_f64 v[112:113], v[112:113], v[99:100], -v[161:162]
	v_add_f64 v[104:105], v[104:105], 0
	v_fma_f64 v[110:111], v[110:111], v[1:2], v[150:151]
	v_add_f64 v[83:84], v[83:84], 0
	s_clause 0x4
	buffer_load_dword v151, off, s[0:3], 0 offset:380
	buffer_load_dword v163, off, s[0:3], 0 offset:392
	;; [unrolled: 1-line block ×5, first 2 shown]
	s_waitcnt lgkmcnt(0)
	v_mul_f64 v[166:167], v[79:80], v[87:88]
	v_mul_f64 v[87:88], v[81:82], v[87:88]
	ds_read_b128 v[1:4], v103 offset:736
	v_fma_f64 v[99:100], v[114:115], v[99:100], v[106:107]
	v_add_f64 v[108:109], v[104:105], v[108:109]
	v_add_f64 v[83:84], v[83:84], v[110:111]
	s_clause 0x2
	buffer_load_dword v164, off, s[0:3], 0 offset:396
	buffer_load_dword v111, off, s[0:3], 0 offset:372
	;; [unrolled: 1-line block ×3, first 2 shown]
	s_waitcnt vmcnt(58) lgkmcnt(0)
	v_mul_f64 v[114:115], v[1:2], v[91:92]
	v_mul_f64 v[91:92], v[3:4], v[91:92]
	s_waitcnt vmcnt(56)
	v_fma_f64 v[87:88], v[79:80], v[93:94], -v[87:88]
	ds_read_b128 v[104:107], v103 offset:752
	v_fma_f64 v[93:94], v[81:82], v[93:94], v[166:167]
	v_add_f64 v[108:109], v[108:109], v[112:113]
	v_add_f64 v[83:84], v[83:84], v[99:100]
	s_clause 0x4
	buffer_load_dword v100, off, s[0:3], 0 offset:412
	buffer_load_dword v112, off, s[0:3], 0 offset:424
	;; [unrolled: 1-line block ×5, first 2 shown]
	ds_read_b128 v[79:82], v103 offset:768
	s_waitcnt vmcnt(57) lgkmcnt(1)
	v_mul_f64 v[167:168], v[104:105], v[95:96]
	v_mul_f64 v[95:96], v[106:107], v[95:96]
	s_waitcnt vmcnt(56)
	v_fma_f64 v[91:92], v[1:2], v[85:86], -v[91:92]
	v_fma_f64 v[85:86], v[3:4], v[85:86], v[114:115]
	v_add_f64 v[87:88], v[108:109], v[87:88]
	v_add_f64 v[83:84], v[83:84], v[93:94]
	s_clause 0x2
	buffer_load_dword v113, off, s[0:3], 0 offset:428
	buffer_load_dword v94, off, s[0:3], 0 offset:404
	;; [unrolled: 1-line block ×3, first 2 shown]
	s_waitcnt vmcnt(58) lgkmcnt(0)
	v_mul_f64 v[108:109], v[79:80], v[101:102]
	v_mul_f64 v[101:102], v[81:82], v[101:102]
	s_waitcnt vmcnt(56)
	v_fma_f64 v[95:96], v[104:105], v[116:117], -v[95:96]
	ds_read_b128 v[1:4], v103 offset:784
	v_add_f64 v[87:88], v[87:88], v[91:92]
	v_fma_f64 v[91:92], v[106:107], v[116:117], v[167:168]
	v_add_f64 v[104:105], v[83:84], v[85:86]
	s_clause 0x4
	buffer_load_dword v107, off, s[0:3], 0 offset:444
	buffer_load_dword v114, off, s[0:3], 0 offset:456
	;; [unrolled: 1-line block ×5, first 2 shown]
	ds_read_b128 v[83:86], v103 offset:800
	s_waitcnt vmcnt(57) lgkmcnt(1)
	v_mul_f64 v[167:168], v[1:2], v[118:119]
	v_mul_f64 v[117:118], v[3:4], v[118:119]
	s_waitcnt vmcnt(56)
	v_fma_f64 v[101:102], v[79:80], v[89:90], -v[101:102]
	v_fma_f64 v[89:90], v[81:82], v[89:90], v[108:109]
	v_add_f64 v[87:88], v[87:88], v[95:96]
	s_clause 0x2
	buffer_load_dword v115, off, s[0:3], 0 offset:460
	buffer_load_dword v96, off, s[0:3], 0 offset:436
	;; [unrolled: 1-line block ×3, first 2 shown]
	v_add_f64 v[91:92], v[104:105], v[91:92]
	s_waitcnt vmcnt(58) lgkmcnt(0)
	v_mul_f64 v[108:109], v[85:86], v[120:121]
	ds_read_b128 v[79:82], v103 offset:816
	v_mul_f64 v[104:105], v[83:84], v[120:121]
	s_waitcnt vmcnt(56)
	v_fma_f64 v[118:119], v[1:2], v[122:123], -v[117:118]
	v_add_f64 v[87:88], v[87:88], v[101:102]
	v_fma_f64 v[101:102], v[3:4], v[122:123], v[167:168]
	v_add_f64 v[89:90], v[91:92], v[89:90]
	s_clause 0x4
	buffer_load_dword v92, off, s[0:3], 0 offset:476
	buffer_load_dword v120, off, s[0:3], 0 offset:488
	buffer_load_dword v122, off, s[0:3], 0 offset:480
	buffer_load_dword v91, off, s[0:3], 0 offset:472
	buffer_load_dword v117, off, s[0:3], 0 offset:452
	s_waitcnt vmcnt(57) lgkmcnt(0)
	v_mul_f64 v[167:168], v[79:80], v[124:125]
	v_mul_f64 v[123:124], v[81:82], v[124:125]
	s_waitcnt vmcnt(56)
	v_fma_f64 v[108:109], v[83:84], v[97:98], -v[108:109]
	ds_read_b128 v[1:4], v103 offset:832
	v_fma_f64 v[97:98], v[85:86], v[97:98], v[104:105]
	v_add_f64 v[87:88], v[87:88], v[118:119]
	v_add_f64 v[89:90], v[89:90], v[101:102]
	s_clause 0x2
	buffer_load_dword v121, off, s[0:3], 0 offset:492
	buffer_load_dword v102, off, s[0:3], 0 offset:468
	buffer_load_dword v101, off, s[0:3], 0 offset:464
	ds_read_b128 v[83:86], v103 offset:848
	s_waitcnt vmcnt(58) lgkmcnt(1)
	v_mul_f64 v[118:119], v[3:4], v[126:127]
	s_waitcnt vmcnt(56)
	v_fma_f64 v[124:125], v[79:80], v[130:131], -v[123:124]
	v_mul_f64 v[104:105], v[1:2], v[126:127]
	v_add_f64 v[87:88], v[87:88], v[108:109]
	v_fma_f64 v[108:109], v[81:82], v[130:131], v[167:168]
	v_add_f64 v[89:90], v[89:90], v[97:98]
	s_clause 0x4
	buffer_load_dword v98, off, s[0:3], 0 offset:508
	buffer_load_dword v126, off, s[0:3], 0 offset:520
	buffer_load_dword v130, off, s[0:3], 0 offset:512
	buffer_load_dword v97, off, s[0:3], 0 offset:504
	buffer_load_dword v123, off, s[0:3], 0 offset:484
	s_waitcnt vmcnt(57) lgkmcnt(0)
	v_mul_f64 v[131:132], v[83:84], v[134:135]
	v_mul_f64 v[134:135], v[85:86], v[134:135]
	s_waitcnt vmcnt(56)
	v_fma_f64 v[118:119], v[1:2], v[128:129], -v[118:119]
	ds_read_b128 v[79:82], v103 offset:864
	v_fma_f64 v[104:105], v[3:4], v[128:129], v[104:105]
	v_add_f64 v[87:88], v[87:88], v[124:125]
	v_add_f64 v[89:90], v[89:90], v[108:109]
	s_clause 0x2
	buffer_load_dword v127, off, s[0:3], 0 offset:524
	buffer_load_dword v109, off, s[0:3], 0 offset:500
	buffer_load_dword v108, off, s[0:3], 0 offset:496
	ds_read_b128 v[1:4], v103 offset:880
	s_waitcnt vmcnt(58) lgkmcnt(1)
	v_mul_f64 v[128:129], v[81:82], v[136:137]
	s_waitcnt vmcnt(56)
	v_fma_f64 v[134:135], v[83:84], v[140:141], -v[134:135]
	v_mul_f64 v[124:125], v[79:80], v[136:137]
	;; [unrolled: 28-line block ×4, first 2 shown]
	v_add_f64 v[87:88], v[87:88], v[138:139]
	v_fma_f64 v[138:139], v[81:82], v[159:160], v[167:168]
	v_add_f64 v[89:90], v[89:90], v[134:135]
	s_clause 0x2
	buffer_load_dword v135, off, s[0:3], 0 offset:604
	buffer_load_dword v134, off, s[0:3], 0 offset:600
	;; [unrolled: 1-line block ×3, first 2 shown]
	ds_read_b128 v[79:82], v103 offset:960
	s_waitcnt vmcnt(55) lgkmcnt(1)
	v_mul_f64 v[154:155], v[83:84], v[150:151]
	v_mul_f64 v[150:151], v[85:86], v[150:151]
	s_waitcnt vmcnt(54)
	v_fma_f64 v[146:147], v[1:2], v[156:157], -v[146:147]
	v_fma_f64 v[142:143], v[3:4], v[156:157], v[142:143]
	v_add_f64 v[87:88], v[87:88], v[152:153]
	v_add_f64 v[89:90], v[89:90], v[138:139]
	s_clause 0x1
	buffer_load_dword v139, off, s[0:3], 0 offset:596
	buffer_load_dword v138, off, s[0:3], 0 offset:592
	ds_read_b128 v[1:4], v103 offset:976
	s_waitcnt vmcnt(55) lgkmcnt(1)
	v_mul_f64 v[156:157], v[81:82], v[163:164]
	v_mul_f64 v[152:153], v[79:80], v[163:164]
	s_waitcnt vmcnt(53)
	v_fma_f64 v[150:151], v[83:84], v[110:111], -v[150:151]
	v_fma_f64 v[110:111], v[85:86], v[110:111], v[154:155]
	ds_read_b128 v[83:86], v103 offset:992
	v_add_f64 v[87:88], v[87:88], v[146:147]
	v_add_f64 v[89:90], v[89:90], v[142:143]
	s_waitcnt vmcnt(49) lgkmcnt(1)
	v_mul_f64 v[142:143], v[1:2], v[99:100]
	v_mul_f64 v[99:100], v[3:4], v[99:100]
	s_waitcnt vmcnt(48)
	v_fma_f64 v[146:147], v[79:80], v[165:166], -v[156:157]
	v_add_f64 v[87:88], v[87:88], v[150:151]
	v_fma_f64 v[150:151], v[81:82], v[165:166], v[152:153]
	v_add_f64 v[89:90], v[89:90], v[110:111]
	s_clause 0x3
	buffer_load_dword v110, off, s[0:3], 0 offset:80
	buffer_load_dword v111, off, s[0:3], 0 offset:84
	buffer_load_dword v152, off, s[0:3], 0 offset:88
	buffer_load_dword v153, off, s[0:3], 0 offset:92
	ds_read_b128 v[79:82], v103 offset:1008
	s_waitcnt vmcnt(51) lgkmcnt(1)
	v_mul_f64 v[154:155], v[83:84], v[112:113]
	v_mul_f64 v[112:113], v[85:86], v[112:113]
	s_waitcnt vmcnt(49)
	v_fma_f64 v[99:100], v[1:2], v[93:94], -v[99:100]
	v_fma_f64 v[93:94], v[3:4], v[93:94], v[142:143]
	ds_read_b128 v[1:4], v103 offset:1024
	v_add_f64 v[87:88], v[87:88], v[146:147]
	v_add_f64 v[89:90], v[89:90], v[150:151]
	s_waitcnt vmcnt(45) lgkmcnt(1)
	v_mul_f64 v[142:143], v[79:80], v[106:107]
	v_mul_f64 v[106:107], v[81:82], v[106:107]
	s_waitcnt vmcnt(44)
	v_fma_f64 v[112:113], v[83:84], v[161:162], -v[112:113]
	v_add_f64 v[87:88], v[87:88], v[99:100]
	v_fma_f64 v[99:100], v[85:86], v[161:162], v[154:155]
	v_add_f64 v[89:90], v[89:90], v[93:94]
	ds_read_b128 v[83:86], v103 offset:1040
	s_waitcnt vmcnt(43) lgkmcnt(1)
	v_mul_f64 v[93:94], v[1:2], v[114:115]
	v_mul_f64 v[114:115], v[3:4], v[114:115]
	s_waitcnt vmcnt(41)
	v_fma_f64 v[106:107], v[79:80], v[95:96], -v[106:107]
	v_fma_f64 v[95:96], v[81:82], v[95:96], v[142:143]
	ds_read_b128 v[79:82], v103 offset:1056
	v_add_f64 v[87:88], v[87:88], v[112:113]
	v_add_f64 v[89:90], v[89:90], v[99:100]
	s_waitcnt vmcnt(37) lgkmcnt(1)
	v_mul_f64 v[99:100], v[83:84], v[91:92]
	v_mul_f64 v[91:92], v[85:86], v[91:92]
	s_waitcnt vmcnt(36)
	v_fma_f64 v[112:113], v[1:2], v[116:117], -v[114:115]
	v_fma_f64 v[93:94], v[3:4], v[116:117], v[93:94]
	ds_read_b128 v[1:4], v103 offset:1072
	v_add_f64 v[87:88], v[87:88], v[106:107]
	v_add_f64 v[89:90], v[89:90], v[95:96]
	;; [unrolled: 9-line block ×3, first 2 shown]
	s_waitcnt vmcnt(29) lgkmcnt(1)
	v_mul_f64 v[93:94], v[1:2], v[97:98]
	v_mul_f64 v[97:98], v[3:4], v[97:98]
	s_waitcnt vmcnt(28)
	v_fma_f64 v[101:102], v[79:80], v[122:123], -v[106:107]
	v_add_f64 v[87:88], v[87:88], v[91:92]
	v_fma_f64 v[91:92], v[81:82], v[122:123], v[95:96]
	v_add_f64 v[89:90], v[89:90], v[99:100]
	ds_read_b128 v[79:82], v103 offset:1104
	s_waitcnt vmcnt(27) lgkmcnt(1)
	v_mul_f64 v[99:100], v[85:86], v[126:127]
	v_mul_f64 v[95:96], v[83:84], v[126:127]
	s_waitcnt vmcnt(25)
	v_fma_f64 v[97:98], v[1:2], v[108:109], -v[97:98]
	v_fma_f64 v[93:94], v[3:4], v[108:109], v[93:94]
	ds_read_b128 v[1:4], v103 offset:1120
	v_add_f64 v[87:88], v[87:88], v[101:102]
	v_add_f64 v[89:90], v[89:90], v[91:92]
	s_waitcnt vmcnt(21) lgkmcnt(1)
	v_mul_f64 v[101:102], v[81:82], v[104:105]
	s_waitcnt vmcnt(20)
	v_fma_f64 v[99:100], v[83:84], v[130:131], -v[99:100]
	v_mul_f64 v[91:92], v[79:80], v[104:105]
	v_fma_f64 v[95:96], v[85:86], v[130:131], v[95:96]
	ds_read_b128 v[83:86], v103 offset:1136
	v_add_f64 v[87:88], v[87:88], v[97:98]
	v_add_f64 v[89:90], v[89:90], v[93:94]
	s_waitcnt vmcnt(19) lgkmcnt(1)
	v_mul_f64 v[97:98], v[3:4], v[136:137]
	v_mul_f64 v[93:94], v[1:2], v[136:137]
	s_waitcnt vmcnt(17)
	v_fma_f64 v[101:102], v[79:80], v[118:119], -v[101:102]
	v_fma_f64 v[91:92], v[81:82], v[118:119], v[91:92]
	ds_read_b128 v[79:82], v103 offset:1152
	v_add_f64 v[87:88], v[87:88], v[99:100]
	v_add_f64 v[89:90], v[89:90], v[95:96]
	s_waitcnt vmcnt(13) lgkmcnt(1)
	v_mul_f64 v[99:100], v[85:86], v[124:125]
	s_waitcnt vmcnt(12)
	v_fma_f64 v[97:98], v[1:2], v[140:141], -v[97:98]
	v_mul_f64 v[95:96], v[83:84], v[124:125]
	v_fma_f64 v[93:94], v[3:4], v[140:141], v[93:94]
	ds_read_b128 v[1:4], v103 offset:1168
	v_add_f64 v[87:88], v[87:88], v[101:102]
	v_add_f64 v[89:90], v[89:90], v[91:92]
	s_waitcnt vmcnt(11) lgkmcnt(1)
	v_mul_f64 v[101:102], v[81:82], v[144:145]
	v_mul_f64 v[91:92], v[79:80], v[144:145]
	s_waitcnt vmcnt(9)
	v_fma_f64 v[83:84], v[83:84], v[128:129], -v[99:100]
	v_fma_f64 v[85:86], v[85:86], v[128:129], v[95:96]
	v_add_f64 v[87:88], v[87:88], v[97:98]
	v_add_f64 v[89:90], v[89:90], v[93:94]
	s_waitcnt vmcnt(7) lgkmcnt(0)
	v_mul_f64 v[95:96], v[3:4], v[134:135]
	s_waitcnt vmcnt(6)
	v_fma_f64 v[79:80], v[79:80], v[148:149], -v[101:102]
	v_mul_f64 v[93:94], v[1:2], v[134:135]
	v_fma_f64 v[81:82], v[81:82], v[148:149], v[91:92]
	v_add_f64 v[83:84], v[87:88], v[83:84]
	v_add_f64 v[85:86], v[89:90], v[85:86]
	s_waitcnt vmcnt(4)
	v_fma_f64 v[1:2], v[1:2], v[138:139], -v[95:96]
	v_fma_f64 v[3:4], v[3:4], v[138:139], v[93:94]
	v_add_f64 v[79:80], v[83:84], v[79:80]
	v_add_f64 v[81:82], v[85:86], v[81:82]
	;; [unrolled: 1-line block ×4, first 2 shown]
	s_waitcnt vmcnt(2)
	v_add_f64 v[1:2], v[110:111], -v[1:2]
	s_waitcnt vmcnt(0)
	v_add_f64 v[3:4], v[152:153], -v[3:4]
	buffer_store_dword v2, off, s[0:3], 0 offset:84
	buffer_store_dword v1, off, s[0:3], 0 offset:80
	;; [unrolled: 1-line block ×4, first 2 shown]
	v_cmpx_lt_u32_e32 3, v0
	s_cbranch_execz .LBB100_229
; %bb.228:
	v_mov_b32_e32 v4, s46
	v_mov_b32_e32 v79, 0
	s_clause 0x3
	buffer_load_dword v1, v4, s[0:3], 0 offen
	buffer_load_dword v2, v4, s[0:3], 0 offen offset:4
	buffer_load_dword v3, v4, s[0:3], 0 offen offset:8
	;; [unrolled: 1-line block ×3, first 2 shown]
	buffer_store_dword v79, off, s[0:3], 0 offset:64
	buffer_store_dword v79, off, s[0:3], 0 offset:68
	;; [unrolled: 1-line block ×4, first 2 shown]
	s_waitcnt vmcnt(0)
	ds_write_b128 v133, v[1:4]
.LBB100_229:
	s_or_b32 exec_lo, exec_lo, s4
	s_waitcnt lgkmcnt(0)
	s_waitcnt_vscnt null, 0x0
	s_barrier
	buffer_gl0_inv
	s_clause 0x37
	buffer_load_dword v83, off, s[0:3], 0 offset:88
	buffer_load_dword v84, off, s[0:3], 0 offset:92
	;; [unrolled: 1-line block ×56, first 2 shown]
	v_mov_b32_e32 v125, 0
	s_mov_b32 s4, exec_lo
	ds_read_b128 v[113:116], v125 offset:656
	s_clause 0x2
	buffer_load_dword v145, off, s[0:3], 0 offset:316
	buffer_load_dword v149, off, s[0:3], 0 offset:292
	;; [unrolled: 1-line block ×3, first 2 shown]
	ds_read_b128 v[117:120], v125 offset:672
	s_clause 0x4
	buffer_load_dword v153, off, s[0:3], 0 offset:332
	buffer_load_dword v154, off, s[0:3], 0 offset:344
	;; [unrolled: 1-line block ×5, first 2 shown]
	ds_read_b128 v[121:124], v125 offset:688
	s_clause 0x2
	buffer_load_dword v155, off, s[0:3], 0 offset:348
	buffer_load_dword v160, off, s[0:3], 0 offset:324
	buffer_load_dword v159, off, s[0:3], 0 offset:320
	s_waitcnt vmcnt(62) lgkmcnt(2)
	v_mul_f64 v[150:151], v[115:116], v[83:84]
	v_mul_f64 v[83:84], v[113:114], v[83:84]
	s_waitcnt lgkmcnt(1)
	v_mul_f64 v[157:158], v[119:120], v[79:80]
	s_waitcnt vmcnt(59) lgkmcnt(0)
	v_mul_f64 v[161:162], v[123:124], v[3:4]
	v_fma_f64 v[113:114], v[113:114], v[81:82], -v[150:151]
	v_mul_f64 v[150:151], v[117:118], v[79:80]
	v_fma_f64 v[83:84], v[115:116], v[81:82], v[83:84]
	s_waitcnt vmcnt(57)
	v_fma_f64 v[117:118], v[117:118], v[1:2], -v[157:158]
	ds_read_b128 v[79:82], v125 offset:704
	v_mul_f64 v[115:116], v[121:122], v[3:4]
	s_waitcnt vmcnt(51)
	v_fma_f64 v[121:122], v[121:122], v[99:100], -v[161:162]
	v_add_f64 v[113:114], v[113:114], 0
	v_fma_f64 v[119:120], v[119:120], v[1:2], v[150:151]
	v_add_f64 v[83:84], v[83:84], 0
	s_clause 0x4
	buffer_load_dword v151, off, s[0:3], 0 offset:364
	buffer_load_dword v163, off, s[0:3], 0 offset:376
	;; [unrolled: 1-line block ×5, first 2 shown]
	s_waitcnt lgkmcnt(0)
	v_mul_f64 v[166:167], v[79:80], v[87:88]
	v_mul_f64 v[87:88], v[81:82], v[87:88]
	ds_read_b128 v[1:4], v125 offset:720
	v_fma_f64 v[99:100], v[123:124], v[99:100], v[115:116]
	v_add_f64 v[117:118], v[113:114], v[117:118]
	v_add_f64 v[83:84], v[83:84], v[119:120]
	s_clause 0x2
	buffer_load_dword v164, off, s[0:3], 0 offset:380
	buffer_load_dword v120, off, s[0:3], 0 offset:356
	;; [unrolled: 1-line block ×3, first 2 shown]
	s_waitcnt vmcnt(58) lgkmcnt(0)
	v_mul_f64 v[123:124], v[1:2], v[91:92]
	v_mul_f64 v[91:92], v[3:4], v[91:92]
	s_waitcnt vmcnt(56)
	v_fma_f64 v[87:88], v[79:80], v[93:94], -v[87:88]
	ds_read_b128 v[113:116], v125 offset:736
	v_fma_f64 v[93:94], v[81:82], v[93:94], v[166:167]
	v_add_f64 v[117:118], v[117:118], v[121:122]
	v_add_f64 v[83:84], v[83:84], v[99:100]
	s_clause 0x4
	buffer_load_dword v100, off, s[0:3], 0 offset:396
	buffer_load_dword v121, off, s[0:3], 0 offset:408
	;; [unrolled: 1-line block ×5, first 2 shown]
	ds_read_b128 v[79:82], v125 offset:752
	s_waitcnt vmcnt(57) lgkmcnt(1)
	v_mul_f64 v[167:168], v[113:114], v[95:96]
	v_mul_f64 v[95:96], v[115:116], v[95:96]
	s_waitcnt vmcnt(56)
	v_fma_f64 v[91:92], v[1:2], v[85:86], -v[91:92]
	v_fma_f64 v[85:86], v[3:4], v[85:86], v[123:124]
	v_add_f64 v[87:88], v[117:118], v[87:88]
	v_add_f64 v[83:84], v[83:84], v[93:94]
	s_clause 0x2
	buffer_load_dword v122, off, s[0:3], 0 offset:412
	buffer_load_dword v94, off, s[0:3], 0 offset:388
	;; [unrolled: 1-line block ×3, first 2 shown]
	s_waitcnt vmcnt(58) lgkmcnt(0)
	v_mul_f64 v[117:118], v[79:80], v[101:102]
	v_mul_f64 v[101:102], v[81:82], v[101:102]
	s_waitcnt vmcnt(56)
	v_fma_f64 v[95:96], v[113:114], v[103:104], -v[95:96]
	ds_read_b128 v[1:4], v125 offset:768
	v_add_f64 v[87:88], v[87:88], v[91:92]
	v_fma_f64 v[91:92], v[115:116], v[103:104], v[167:168]
	v_add_f64 v[103:104], v[83:84], v[85:86]
	s_clause 0x4
	buffer_load_dword v114, off, s[0:3], 0 offset:428
	buffer_load_dword v115, off, s[0:3], 0 offset:440
	;; [unrolled: 1-line block ×5, first 2 shown]
	ds_read_b128 v[83:86], v125 offset:784
	s_waitcnt vmcnt(57) lgkmcnt(1)
	v_mul_f64 v[167:168], v[1:2], v[105:106]
	v_mul_f64 v[105:106], v[3:4], v[105:106]
	s_waitcnt vmcnt(56)
	v_fma_f64 v[101:102], v[79:80], v[89:90], -v[101:102]
	v_fma_f64 v[89:90], v[81:82], v[89:90], v[117:118]
	v_add_f64 v[87:88], v[87:88], v[95:96]
	s_clause 0x2
	buffer_load_dword v116, off, s[0:3], 0 offset:444
	buffer_load_dword v96, off, s[0:3], 0 offset:420
	;; [unrolled: 1-line block ×3, first 2 shown]
	v_add_f64 v[91:92], v[103:104], v[91:92]
	s_waitcnt vmcnt(58) lgkmcnt(0)
	v_mul_f64 v[103:104], v[83:84], v[109:110]
	v_mul_f64 v[109:110], v[85:86], v[109:110]
	ds_read_b128 v[79:82], v125 offset:800
	s_waitcnt vmcnt(56)
	v_fma_f64 v[105:106], v[1:2], v[111:112], -v[105:106]
	v_add_f64 v[87:88], v[87:88], v[101:102]
	v_fma_f64 v[101:102], v[3:4], v[111:112], v[167:168]
	v_add_f64 v[89:90], v[91:92], v[89:90]
	s_clause 0x4
	buffer_load_dword v92, off, s[0:3], 0 offset:460
	buffer_load_dword v111, off, s[0:3], 0 offset:472
	;; [unrolled: 1-line block ×5, first 2 shown]
	s_waitcnt vmcnt(57) lgkmcnt(0)
	v_mul_f64 v[167:168], v[79:80], v[126:127]
	v_mul_f64 v[126:127], v[81:82], v[126:127]
	s_waitcnt vmcnt(56)
	v_fma_f64 v[109:110], v[83:84], v[97:98], -v[109:110]
	ds_read_b128 v[1:4], v125 offset:816
	v_fma_f64 v[97:98], v[85:86], v[97:98], v[103:104]
	v_add_f64 v[87:88], v[87:88], v[105:106]
	v_add_f64 v[89:90], v[89:90], v[101:102]
	s_clause 0x2
	buffer_load_dword v112, off, s[0:3], 0 offset:476
	buffer_load_dword v102, off, s[0:3], 0 offset:452
	;; [unrolled: 1-line block ×3, first 2 shown]
	ds_read_b128 v[83:86], v125 offset:832
	s_waitcnt vmcnt(58) lgkmcnt(1)
	v_mul_f64 v[105:106], v[3:4], v[128:129]
	s_waitcnt vmcnt(56)
	v_fma_f64 v[126:127], v[79:80], v[130:131], -v[126:127]
	v_mul_f64 v[103:104], v[1:2], v[128:129]
	v_add_f64 v[87:88], v[87:88], v[109:110]
	v_fma_f64 v[109:110], v[81:82], v[130:131], v[167:168]
	v_add_f64 v[89:90], v[89:90], v[97:98]
	s_clause 0x4
	buffer_load_dword v98, off, s[0:3], 0 offset:492
	buffer_load_dword v128, off, s[0:3], 0 offset:504
	;; [unrolled: 1-line block ×5, first 2 shown]
	s_waitcnt vmcnt(57) lgkmcnt(0)
	v_mul_f64 v[131:132], v[83:84], v[134:135]
	v_mul_f64 v[134:135], v[85:86], v[134:135]
	s_waitcnt vmcnt(56)
	v_fma_f64 v[105:106], v[1:2], v[107:108], -v[105:106]
	ds_read_b128 v[79:82], v125 offset:848
	v_fma_f64 v[103:104], v[3:4], v[107:108], v[103:104]
	s_clause 0x2
	buffer_load_dword v129, off, s[0:3], 0 offset:508
	buffer_load_dword v108, off, s[0:3], 0 offset:484
	;; [unrolled: 1-line block ×3, first 2 shown]
	ds_read_b128 v[1:4], v125 offset:864
	v_add_f64 v[87:88], v[87:88], v[126:127]
	v_add_f64 v[89:90], v[89:90], v[109:110]
	s_waitcnt vmcnt(58) lgkmcnt(1)
	v_mul_f64 v[126:127], v[81:82], v[136:137]
	s_waitcnt vmcnt(56)
	v_fma_f64 v[134:135], v[83:84], v[140:141], -v[134:135]
	v_mul_f64 v[109:110], v[79:80], v[136:137]
	s_waitcnt vmcnt(52) lgkmcnt(0)
	v_mul_f64 v[167:168], v[1:2], v[142:143]
	v_add_f64 v[87:88], v[87:88], v[105:106]
	v_fma_f64 v[105:106], v[85:86], v[140:141], v[131:132]
	v_add_f64 v[89:90], v[89:90], v[103:104]
	s_clause 0x4
	buffer_load_dword v104, off, s[0:3], 0 offset:524
	buffer_load_dword v136, off, s[0:3], 0 offset:536
	;; [unrolled: 1-line block ×5, first 2 shown]
	v_mul_f64 v[141:142], v[3:4], v[142:143]
	s_waitcnt vmcnt(56)
	v_fma_f64 v[126:127], v[79:80], v[138:139], -v[126:127]
	ds_read_b128 v[83:86], v125 offset:880
	v_fma_f64 v[109:110], v[81:82], v[138:139], v[109:110]
	v_add_f64 v[87:88], v[87:88], v[134:135]
	v_add_f64 v[89:90], v[89:90], v[105:106]
	s_clause 0x2
	buffer_load_dword v137, off, s[0:3], 0 offset:540
	buffer_load_dword v106, off, s[0:3], 0 offset:516
	;; [unrolled: 1-line block ×3, first 2 shown]
	s_waitcnt vmcnt(58) lgkmcnt(0)
	v_mul_f64 v[138:139], v[85:86], v[144:145]
	s_waitcnt vmcnt(56)
	v_fma_f64 v[142:143], v[1:2], v[148:149], -v[141:142]
	ds_read_b128 v[79:82], v125 offset:896
	v_mul_f64 v[134:135], v[83:84], v[144:145]
	v_add_f64 v[87:88], v[87:88], v[126:127]
	v_fma_f64 v[126:127], v[3:4], v[148:149], v[167:168]
	v_add_f64 v[89:90], v[89:90], v[109:110]
	s_clause 0x4
	buffer_load_dword v110, off, s[0:3], 0 offset:556
	buffer_load_dword v144, off, s[0:3], 0 offset:568
	;; [unrolled: 1-line block ×5, first 2 shown]
	s_waitcnt vmcnt(57) lgkmcnt(0)
	v_mul_f64 v[167:168], v[79:80], v[152:153]
	v_mul_f64 v[152:153], v[81:82], v[152:153]
	s_waitcnt vmcnt(56)
	v_fma_f64 v[138:139], v[83:84], v[146:147], -v[138:139]
	ds_read_b128 v[1:4], v125 offset:912
	v_fma_f64 v[134:135], v[85:86], v[146:147], v[134:135]
	v_add_f64 v[87:88], v[87:88], v[142:143]
	v_add_f64 v[89:90], v[89:90], v[126:127]
	s_clause 0x2
	buffer_load_dword v145, off, s[0:3], 0 offset:572
	buffer_load_dword v127, off, s[0:3], 0 offset:548
	;; [unrolled: 1-line block ×3, first 2 shown]
	ds_read_b128 v[83:86], v125 offset:928
	s_waitcnt vmcnt(58) lgkmcnt(1)
	v_mul_f64 v[146:147], v[3:4], v[154:155]
	s_waitcnt vmcnt(56)
	v_fma_f64 v[152:153], v[79:80], v[159:160], -v[152:153]
	v_mul_f64 v[142:143], v[1:2], v[154:155]
	v_add_f64 v[87:88], v[87:88], v[138:139]
	v_fma_f64 v[138:139], v[81:82], v[159:160], v[167:168]
	v_add_f64 v[89:90], v[89:90], v[134:135]
	s_clause 0x4
	buffer_load_dword v135, off, s[0:3], 0 offset:588
	buffer_load_dword v154, off, s[0:3], 0 offset:600
	;; [unrolled: 1-line block ×5, first 2 shown]
	ds_read_b128 v[79:82], v125 offset:944
	s_waitcnt vmcnt(57) lgkmcnt(1)
	v_mul_f64 v[159:160], v[83:84], v[150:151]
	v_mul_f64 v[150:151], v[85:86], v[150:151]
	s_waitcnt vmcnt(56)
	v_fma_f64 v[146:147], v[1:2], v[156:157], -v[146:147]
	v_fma_f64 v[142:143], v[3:4], v[156:157], v[142:143]
	v_add_f64 v[87:88], v[87:88], v[152:153]
	v_add_f64 v[89:90], v[89:90], v[138:139]
	s_clause 0x2
	buffer_load_dword v155, off, s[0:3], 0 offset:604
	buffer_load_dword v139, off, s[0:3], 0 offset:580
	buffer_load_dword v138, off, s[0:3], 0 offset:576
	ds_read_b128 v[1:4], v125 offset:960
	s_waitcnt vmcnt(58) lgkmcnt(1)
	v_mul_f64 v[156:157], v[81:82], v[163:164]
	v_mul_f64 v[152:153], v[79:80], v[163:164]
	s_waitcnt vmcnt(56)
	v_fma_f64 v[150:151], v[83:84], v[119:120], -v[150:151]
	v_fma_f64 v[119:120], v[85:86], v[119:120], v[159:160]
	buffer_load_dword v159, off, s[0:3], 0 offset:596
	ds_read_b128 v[83:86], v125 offset:976
	v_add_f64 v[87:88], v[87:88], v[146:147]
	v_add_f64 v[89:90], v[89:90], v[142:143]
	s_waitcnt vmcnt(53) lgkmcnt(1)
	v_mul_f64 v[142:143], v[1:2], v[99:100]
	v_mul_f64 v[99:100], v[3:4], v[99:100]
	s_waitcnt vmcnt(52)
	v_fma_f64 v[146:147], v[79:80], v[165:166], -v[156:157]
	v_add_f64 v[87:88], v[87:88], v[150:151]
	v_fma_f64 v[150:151], v[81:82], v[165:166], v[152:153]
	v_add_f64 v[89:90], v[89:90], v[119:120]
	ds_read_b128 v[79:82], v125 offset:992
	s_waitcnt vmcnt(51) lgkmcnt(1)
	v_mul_f64 v[119:120], v[83:84], v[121:122]
	v_mul_f64 v[121:122], v[85:86], v[121:122]
	s_waitcnt vmcnt(49)
	v_fma_f64 v[99:100], v[1:2], v[93:94], -v[99:100]
	v_fma_f64 v[93:94], v[3:4], v[93:94], v[142:143]
	v_add_f64 v[87:88], v[87:88], v[146:147]
	s_clause 0x3
	buffer_load_dword v142, off, s[0:3], 0 offset:64
	buffer_load_dword v143, off, s[0:3], 0 offset:68
	;; [unrolled: 1-line block ×4, first 2 shown]
	v_add_f64 v[89:90], v[89:90], v[150:151]
	ds_read_b128 v[1:4], v125 offset:1008
	s_waitcnt vmcnt(49) lgkmcnt(1)
	v_mul_f64 v[150:151], v[79:80], v[113:114]
	v_mul_f64 v[113:114], v[81:82], v[113:114]
	s_waitcnt vmcnt(48)
	v_fma_f64 v[121:122], v[83:84], v[161:162], -v[121:122]
	v_add_f64 v[87:88], v[87:88], v[99:100]
	v_fma_f64 v[99:100], v[85:86], v[161:162], v[119:120]
	v_add_f64 v[89:90], v[89:90], v[93:94]
	ds_read_b128 v[83:86], v125 offset:1024
	s_waitcnt vmcnt(47) lgkmcnt(1)
	v_mul_f64 v[93:94], v[1:2], v[115:116]
	v_mul_f64 v[115:116], v[3:4], v[115:116]
	s_waitcnt vmcnt(45)
	v_fma_f64 v[113:114], v[79:80], v[95:96], -v[113:114]
	v_fma_f64 v[95:96], v[81:82], v[95:96], v[150:151]
	ds_read_b128 v[79:82], v125 offset:1040
	v_add_f64 v[87:88], v[87:88], v[121:122]
	v_add_f64 v[89:90], v[89:90], v[99:100]
	s_waitcnt vmcnt(41) lgkmcnt(1)
	v_mul_f64 v[99:100], v[83:84], v[91:92]
	v_mul_f64 v[91:92], v[85:86], v[91:92]
	s_waitcnt vmcnt(40)
	v_fma_f64 v[115:116], v[1:2], v[123:124], -v[115:116]
	v_fma_f64 v[93:94], v[3:4], v[123:124], v[93:94]
	ds_read_b128 v[1:4], v125 offset:1056
	v_add_f64 v[87:88], v[87:88], v[113:114]
	v_add_f64 v[89:90], v[89:90], v[95:96]
	;; [unrolled: 9-line block ×3, first 2 shown]
	s_waitcnt vmcnt(33) lgkmcnt(1)
	v_mul_f64 v[93:94], v[1:2], v[97:98]
	v_mul_f64 v[97:98], v[3:4], v[97:98]
	s_waitcnt vmcnt(32)
	v_fma_f64 v[101:102], v[79:80], v[117:118], -v[111:112]
	v_add_f64 v[87:88], v[87:88], v[91:92]
	v_fma_f64 v[91:92], v[81:82], v[117:118], v[95:96]
	v_add_f64 v[89:90], v[89:90], v[99:100]
	ds_read_b128 v[79:82], v125 offset:1088
	s_waitcnt vmcnt(31) lgkmcnt(1)
	v_mul_f64 v[99:100], v[85:86], v[128:129]
	v_mul_f64 v[95:96], v[83:84], v[128:129]
	s_waitcnt vmcnt(29)
	v_fma_f64 v[93:94], v[3:4], v[107:108], v[93:94]
	v_fma_f64 v[97:98], v[1:2], v[107:108], -v[97:98]
	ds_read_b128 v[1:4], v125 offset:1104
	v_add_f64 v[87:88], v[87:88], v[101:102]
	v_add_f64 v[89:90], v[89:90], v[91:92]
	s_waitcnt vmcnt(25) lgkmcnt(1)
	v_mul_f64 v[101:102], v[81:82], v[103:104]
	s_waitcnt vmcnt(24)
	v_fma_f64 v[99:100], v[83:84], v[130:131], -v[99:100]
	v_mul_f64 v[91:92], v[79:80], v[103:104]
	v_fma_f64 v[95:96], v[85:86], v[130:131], v[95:96]
	ds_read_b128 v[83:86], v125 offset:1120
	v_add_f64 v[87:88], v[87:88], v[97:98]
	v_add_f64 v[89:90], v[89:90], v[93:94]
	s_waitcnt vmcnt(23) lgkmcnt(1)
	v_mul_f64 v[97:98], v[3:4], v[136:137]
	v_mul_f64 v[93:94], v[1:2], v[136:137]
	s_waitcnt vmcnt(21)
	v_fma_f64 v[101:102], v[79:80], v[105:106], -v[101:102]
	v_fma_f64 v[91:92], v[81:82], v[105:106], v[91:92]
	ds_read_b128 v[79:82], v125 offset:1136
	v_add_f64 v[87:88], v[87:88], v[99:100]
	v_add_f64 v[89:90], v[89:90], v[95:96]
	s_waitcnt vmcnt(17) lgkmcnt(1)
	v_mul_f64 v[99:100], v[85:86], v[109:110]
	s_waitcnt vmcnt(16)
	v_fma_f64 v[97:98], v[1:2], v[140:141], -v[97:98]
	v_mul_f64 v[95:96], v[83:84], v[109:110]
	v_fma_f64 v[93:94], v[3:4], v[140:141], v[93:94]
	ds_read_b128 v[1:4], v125 offset:1152
	v_add_f64 v[87:88], v[87:88], v[101:102]
	v_add_f64 v[89:90], v[89:90], v[91:92]
	s_waitcnt vmcnt(15) lgkmcnt(1)
	v_mul_f64 v[101:102], v[81:82], v[144:145]
	v_mul_f64 v[91:92], v[79:80], v[144:145]
	s_waitcnt vmcnt(13)
	v_fma_f64 v[99:100], v[83:84], v[126:127], -v[99:100]
	v_fma_f64 v[95:96], v[85:86], v[126:127], v[95:96]
	ds_read_b128 v[83:86], v125 offset:1168
	v_add_f64 v[87:88], v[87:88], v[97:98]
	v_add_f64 v[89:90], v[89:90], v[93:94]
	s_waitcnt vmcnt(9) lgkmcnt(1)
	v_mul_f64 v[97:98], v[3:4], v[134:135]
	s_waitcnt vmcnt(8)
	v_fma_f64 v[79:80], v[79:80], v[148:149], -v[101:102]
	v_mul_f64 v[93:94], v[1:2], v[134:135]
	v_fma_f64 v[81:82], v[81:82], v[148:149], v[91:92]
	v_add_f64 v[87:88], v[87:88], v[99:100]
	v_add_f64 v[89:90], v[89:90], v[95:96]
	s_waitcnt vmcnt(7) lgkmcnt(0)
	v_mul_f64 v[95:96], v[85:86], v[154:155]
	v_mul_f64 v[91:92], v[83:84], v[154:155]
	s_waitcnt vmcnt(5)
	v_fma_f64 v[1:2], v[1:2], v[138:139], -v[97:98]
	v_fma_f64 v[3:4], v[3:4], v[138:139], v[93:94]
	v_add_f64 v[79:80], v[87:88], v[79:80]
	v_add_f64 v[81:82], v[89:90], v[81:82]
	s_waitcnt vmcnt(4)
	v_fma_f64 v[83:84], v[83:84], v[158:159], -v[95:96]
	v_add_f64 v[1:2], v[79:80], v[1:2]
	v_fma_f64 v[79:80], v[85:86], v[158:159], v[91:92]
	v_add_f64 v[3:4], v[81:82], v[3:4]
	v_add_f64 v[1:2], v[1:2], v[83:84]
	;; [unrolled: 1-line block ×3, first 2 shown]
	s_waitcnt vmcnt(2)
	v_add_f64 v[1:2], v[142:143], -v[1:2]
	s_waitcnt vmcnt(0)
	v_add_f64 v[3:4], v[146:147], -v[3:4]
	buffer_store_dword v2, off, s[0:3], 0 offset:68
	buffer_store_dword v1, off, s[0:3], 0 offset:64
	;; [unrolled: 1-line block ×4, first 2 shown]
	v_cmpx_lt_u32_e32 2, v0
	s_cbranch_execz .LBB100_231
; %bb.230:
	v_mov_b32_e32 v4, s47
	s_clause 0x3
	buffer_load_dword v1, v4, s[0:3], 0 offen
	buffer_load_dword v2, v4, s[0:3], 0 offen offset:4
	buffer_load_dword v3, v4, s[0:3], 0 offen offset:8
	;; [unrolled: 1-line block ×3, first 2 shown]
	buffer_store_dword v125, off, s[0:3], 0 offset:48
	buffer_store_dword v125, off, s[0:3], 0 offset:52
	buffer_store_dword v125, off, s[0:3], 0 offset:56
	buffer_store_dword v125, off, s[0:3], 0 offset:60
	s_waitcnt vmcnt(0)
	ds_write_b128 v133, v[1:4]
.LBB100_231:
	s_or_b32 exec_lo, exec_lo, s4
	s_waitcnt lgkmcnt(0)
	s_waitcnt_vscnt null, 0x0
	s_barrier
	buffer_gl0_inv
	s_clause 0x37
	buffer_load_dword v83, off, s[0:3], 0 offset:72
	buffer_load_dword v84, off, s[0:3], 0 offset:76
	;; [unrolled: 1-line block ×56, first 2 shown]
	ds_read_b128 v[126:129], v125 offset:640
	s_clause 0x2
	buffer_load_dword v147, off, s[0:3], 0 offset:300
	buffer_load_dword v149, off, s[0:3], 0 offset:276
	buffer_load_dword v148, off, s[0:3], 0 offset:272
	ds_read_b128 v[134:137], v125 offset:656
	s_clause 0x4
	buffer_load_dword v153, off, s[0:3], 0 offset:316
	buffer_load_dword v154, off, s[0:3], 0 offset:328
	;; [unrolled: 1-line block ×5, first 2 shown]
	ds_read_b128 v[138:141], v125 offset:672
	s_clause 0x2
	buffer_load_dword v155, off, s[0:3], 0 offset:332
	buffer_load_dword v160, off, s[0:3], 0 offset:308
	;; [unrolled: 1-line block ×3, first 2 shown]
	s_mov_b32 s4, exec_lo
	s_waitcnt vmcnt(62) lgkmcnt(2)
	v_mul_f64 v[150:151], v[128:129], v[83:84]
	v_mul_f64 v[83:84], v[126:127], v[83:84]
	s_waitcnt lgkmcnt(1)
	v_mul_f64 v[157:158], v[136:137], v[79:80]
	s_waitcnt vmcnt(59) lgkmcnt(0)
	v_mul_f64 v[161:162], v[140:141], v[3:4]
	v_fma_f64 v[126:127], v[126:127], v[81:82], -v[150:151]
	v_mul_f64 v[150:151], v[134:135], v[79:80]
	v_fma_f64 v[83:84], v[128:129], v[81:82], v[83:84]
	s_waitcnt vmcnt(57)
	v_fma_f64 v[134:135], v[134:135], v[1:2], -v[157:158]
	ds_read_b128 v[79:82], v125 offset:688
	v_mul_f64 v[128:129], v[138:139], v[3:4]
	s_waitcnt vmcnt(51)
	v_fma_f64 v[138:139], v[138:139], v[99:100], -v[161:162]
	v_add_f64 v[126:127], v[126:127], 0
	v_fma_f64 v[136:137], v[136:137], v[1:2], v[150:151]
	v_add_f64 v[83:84], v[83:84], 0
	s_clause 0x4
	buffer_load_dword v151, off, s[0:3], 0 offset:348
	buffer_load_dword v163, off, s[0:3], 0 offset:360
	;; [unrolled: 1-line block ×5, first 2 shown]
	s_waitcnt lgkmcnt(0)
	v_mul_f64 v[166:167], v[79:80], v[87:88]
	v_mul_f64 v[87:88], v[81:82], v[87:88]
	ds_read_b128 v[1:4], v125 offset:704
	v_fma_f64 v[99:100], v[140:141], v[99:100], v[128:129]
	v_add_f64 v[134:135], v[126:127], v[134:135]
	v_add_f64 v[83:84], v[83:84], v[136:137]
	s_clause 0x2
	buffer_load_dword v164, off, s[0:3], 0 offset:364
	buffer_load_dword v137, off, s[0:3], 0 offset:340
	;; [unrolled: 1-line block ×3, first 2 shown]
	s_waitcnt vmcnt(58) lgkmcnt(0)
	v_mul_f64 v[140:141], v[1:2], v[91:92]
	v_mul_f64 v[91:92], v[3:4], v[91:92]
	s_waitcnt vmcnt(56)
	v_fma_f64 v[87:88], v[79:80], v[93:94], -v[87:88]
	ds_read_b128 v[126:129], v125 offset:720
	v_fma_f64 v[93:94], v[81:82], v[93:94], v[166:167]
	v_add_f64 v[134:135], v[134:135], v[138:139]
	v_add_f64 v[83:84], v[83:84], v[99:100]
	s_clause 0x4
	buffer_load_dword v100, off, s[0:3], 0 offset:380
	buffer_load_dword v138, off, s[0:3], 0 offset:392
	;; [unrolled: 1-line block ×5, first 2 shown]
	ds_read_b128 v[79:82], v125 offset:736
	s_waitcnt vmcnt(57) lgkmcnt(1)
	v_mul_f64 v[167:168], v[126:127], v[95:96]
	v_mul_f64 v[95:96], v[128:129], v[95:96]
	s_waitcnt vmcnt(56)
	v_fma_f64 v[91:92], v[1:2], v[85:86], -v[91:92]
	v_fma_f64 v[85:86], v[3:4], v[85:86], v[140:141]
	v_add_f64 v[87:88], v[134:135], v[87:88]
	v_add_f64 v[83:84], v[83:84], v[93:94]
	s_clause 0x2
	buffer_load_dword v139, off, s[0:3], 0 offset:396
	buffer_load_dword v94, off, s[0:3], 0 offset:372
	buffer_load_dword v93, off, s[0:3], 0 offset:368
	s_waitcnt vmcnt(58) lgkmcnt(0)
	v_mul_f64 v[134:135], v[79:80], v[101:102]
	v_mul_f64 v[101:102], v[81:82], v[101:102]
	s_waitcnt vmcnt(56)
	v_fma_f64 v[95:96], v[126:127], v[103:104], -v[95:96]
	ds_read_b128 v[1:4], v125 offset:752
	v_add_f64 v[87:88], v[87:88], v[91:92]
	v_fma_f64 v[91:92], v[128:129], v[103:104], v[167:168]
	v_add_f64 v[103:104], v[83:84], v[85:86]
	s_clause 0x4
	buffer_load_dword v127, off, s[0:3], 0 offset:412
	buffer_load_dword v128, off, s[0:3], 0 offset:424
	;; [unrolled: 1-line block ×5, first 2 shown]
	ds_read_b128 v[83:86], v125 offset:768
	s_waitcnt vmcnt(57) lgkmcnt(1)
	v_mul_f64 v[167:168], v[1:2], v[105:106]
	v_mul_f64 v[105:106], v[3:4], v[105:106]
	s_waitcnt vmcnt(56)
	v_fma_f64 v[101:102], v[79:80], v[89:90], -v[101:102]
	v_fma_f64 v[89:90], v[81:82], v[89:90], v[134:135]
	v_add_f64 v[87:88], v[87:88], v[95:96]
	s_clause 0x2
	buffer_load_dword v129, off, s[0:3], 0 offset:428
	buffer_load_dword v96, off, s[0:3], 0 offset:404
	;; [unrolled: 1-line block ×3, first 2 shown]
	v_add_f64 v[91:92], v[103:104], v[91:92]
	s_waitcnt vmcnt(58) lgkmcnt(0)
	v_mul_f64 v[103:104], v[83:84], v[109:110]
	v_mul_f64 v[109:110], v[85:86], v[109:110]
	ds_read_b128 v[79:82], v125 offset:784
	s_waitcnt vmcnt(56)
	v_fma_f64 v[105:106], v[1:2], v[111:112], -v[105:106]
	v_add_f64 v[87:88], v[87:88], v[101:102]
	v_fma_f64 v[101:102], v[3:4], v[111:112], v[167:168]
	v_add_f64 v[89:90], v[91:92], v[89:90]
	s_clause 0x4
	buffer_load_dword v92, off, s[0:3], 0 offset:444
	buffer_load_dword v111, off, s[0:3], 0 offset:456
	;; [unrolled: 1-line block ×5, first 2 shown]
	s_waitcnt vmcnt(57) lgkmcnt(0)
	v_mul_f64 v[167:168], v[79:80], v[113:114]
	v_mul_f64 v[113:114], v[81:82], v[113:114]
	s_waitcnt vmcnt(56)
	v_fma_f64 v[109:110], v[83:84], v[97:98], -v[109:110]
	ds_read_b128 v[1:4], v125 offset:800
	v_fma_f64 v[97:98], v[85:86], v[97:98], v[103:104]
	v_add_f64 v[87:88], v[87:88], v[105:106]
	v_add_f64 v[89:90], v[89:90], v[101:102]
	s_clause 0x2
	buffer_load_dword v112, off, s[0:3], 0 offset:460
	buffer_load_dword v102, off, s[0:3], 0 offset:436
	;; [unrolled: 1-line block ×3, first 2 shown]
	ds_read_b128 v[83:86], v125 offset:816
	s_waitcnt vmcnt(58) lgkmcnt(1)
	v_mul_f64 v[105:106], v[3:4], v[117:118]
	s_waitcnt vmcnt(56)
	v_fma_f64 v[113:114], v[79:80], v[119:120], -v[113:114]
	v_mul_f64 v[103:104], v[1:2], v[117:118]
	v_add_f64 v[87:88], v[87:88], v[109:110]
	v_fma_f64 v[109:110], v[81:82], v[119:120], v[167:168]
	v_add_f64 v[89:90], v[89:90], v[97:98]
	s_clause 0x4
	buffer_load_dword v98, off, s[0:3], 0 offset:476
	buffer_load_dword v117, off, s[0:3], 0 offset:488
	;; [unrolled: 1-line block ×5, first 2 shown]
	s_waitcnt vmcnt(57) lgkmcnt(0)
	v_mul_f64 v[167:168], v[83:84], v[121:122]
	v_mul_f64 v[120:121], v[85:86], v[121:122]
	s_waitcnt vmcnt(56)
	v_fma_f64 v[105:106], v[1:2], v[107:108], -v[105:106]
	ds_read_b128 v[79:82], v125 offset:832
	v_fma_f64 v[103:104], v[3:4], v[107:108], v[103:104]
	s_clause 0x2
	buffer_load_dword v118, off, s[0:3], 0 offset:492
	buffer_load_dword v108, off, s[0:3], 0 offset:468
	;; [unrolled: 1-line block ×3, first 2 shown]
	ds_read_b128 v[1:4], v125 offset:848
	v_add_f64 v[87:88], v[87:88], v[113:114]
	v_add_f64 v[89:90], v[89:90], v[109:110]
	s_waitcnt vmcnt(58) lgkmcnt(1)
	v_mul_f64 v[113:114], v[81:82], v[130:131]
	s_waitcnt vmcnt(56)
	v_fma_f64 v[121:122], v[83:84], v[142:143], -v[120:121]
	v_mul_f64 v[109:110], v[79:80], v[130:131]
	v_add_f64 v[87:88], v[87:88], v[105:106]
	v_fma_f64 v[105:106], v[85:86], v[142:143], v[167:168]
	v_add_f64 v[89:90], v[89:90], v[103:104]
	s_clause 0x4
	buffer_load_dword v104, off, s[0:3], 0 offset:508
	buffer_load_dword v130, off, s[0:3], 0 offset:520
	;; [unrolled: 1-line block ×5, first 2 shown]
	s_waitcnt vmcnt(57) lgkmcnt(0)
	v_mul_f64 v[167:168], v[1:2], v[144:145]
	v_mul_f64 v[143:144], v[3:4], v[144:145]
	s_waitcnt vmcnt(56)
	v_fma_f64 v[113:114], v[79:80], v[115:116], -v[113:114]
	ds_read_b128 v[83:86], v125 offset:864
	v_fma_f64 v[109:110], v[81:82], v[115:116], v[109:110]
	v_add_f64 v[87:88], v[87:88], v[121:122]
	v_add_f64 v[89:90], v[89:90], v[105:106]
	s_clause 0x2
	buffer_load_dword v131, off, s[0:3], 0 offset:524
	buffer_load_dword v106, off, s[0:3], 0 offset:500
	;; [unrolled: 1-line block ×3, first 2 shown]
	ds_read_b128 v[79:82], v125 offset:880
	s_waitcnt vmcnt(58) lgkmcnt(1)
	v_mul_f64 v[121:122], v[85:86], v[146:147]
	s_waitcnt vmcnt(56)
	v_fma_f64 v[144:145], v[1:2], v[148:149], -v[143:144]
	v_mul_f64 v[115:116], v[83:84], v[146:147]
	v_add_f64 v[87:88], v[87:88], v[113:114]
	v_fma_f64 v[113:114], v[3:4], v[148:149], v[167:168]
	v_add_f64 v[89:90], v[89:90], v[109:110]
	s_clause 0x4
	buffer_load_dword v110, off, s[0:3], 0 offset:540
	buffer_load_dword v146, off, s[0:3], 0 offset:552
	;; [unrolled: 1-line block ×5, first 2 shown]
	s_waitcnt vmcnt(57) lgkmcnt(0)
	v_mul_f64 v[167:168], v[79:80], v[152:153]
	v_mul_f64 v[152:153], v[81:82], v[152:153]
	s_waitcnt vmcnt(56)
	v_fma_f64 v[121:122], v[83:84], v[123:124], -v[121:122]
	ds_read_b128 v[1:4], v125 offset:896
	v_fma_f64 v[115:116], v[85:86], v[123:124], v[115:116]
	v_add_f64 v[87:88], v[87:88], v[144:145]
	v_add_f64 v[89:90], v[89:90], v[113:114]
	s_clause 0x2
	buffer_load_dword v147, off, s[0:3], 0 offset:556
	buffer_load_dword v114, off, s[0:3], 0 offset:532
	;; [unrolled: 1-line block ×3, first 2 shown]
	ds_read_b128 v[83:86], v125 offset:912
	s_waitcnt vmcnt(58) lgkmcnt(1)
	v_mul_f64 v[144:145], v[3:4], v[154:155]
	s_waitcnt vmcnt(56)
	v_fma_f64 v[152:153], v[79:80], v[159:160], -v[152:153]
	v_mul_f64 v[123:124], v[1:2], v[154:155]
	v_add_f64 v[87:88], v[87:88], v[121:122]
	v_fma_f64 v[121:122], v[81:82], v[159:160], v[167:168]
	v_add_f64 v[89:90], v[89:90], v[115:116]
	s_clause 0x4
	buffer_load_dword v116, off, s[0:3], 0 offset:572
	buffer_load_dword v154, off, s[0:3], 0 offset:584
	;; [unrolled: 1-line block ×5, first 2 shown]
	ds_read_b128 v[79:82], v125 offset:928
	s_waitcnt vmcnt(57) lgkmcnt(1)
	v_mul_f64 v[159:160], v[83:84], v[150:151]
	v_mul_f64 v[150:151], v[85:86], v[150:151]
	s_waitcnt vmcnt(56)
	v_fma_f64 v[144:145], v[1:2], v[156:157], -v[144:145]
	v_fma_f64 v[123:124], v[3:4], v[156:157], v[123:124]
	v_add_f64 v[87:88], v[87:88], v[152:153]
	v_add_f64 v[89:90], v[89:90], v[121:122]
	s_clause 0x2
	buffer_load_dword v155, off, s[0:3], 0 offset:588
	buffer_load_dword v122, off, s[0:3], 0 offset:564
	;; [unrolled: 1-line block ×3, first 2 shown]
	ds_read_b128 v[1:4], v125 offset:944
	s_waitcnt vmcnt(58) lgkmcnt(1)
	v_mul_f64 v[156:157], v[81:82], v[163:164]
	v_mul_f64 v[152:153], v[79:80], v[163:164]
	s_waitcnt vmcnt(56)
	v_fma_f64 v[150:151], v[83:84], v[136:137], -v[150:151]
	v_fma_f64 v[136:137], v[85:86], v[136:137], v[159:160]
	v_add_f64 v[87:88], v[87:88], v[144:145]
	v_add_f64 v[89:90], v[89:90], v[123:124]
	s_clause 0x2
	buffer_load_dword v124, off, s[0:3], 0 offset:604
	buffer_load_dword v123, off, s[0:3], 0 offset:600
	;; [unrolled: 1-line block ×3, first 2 shown]
	ds_read_b128 v[83:86], v125 offset:960
	s_waitcnt vmcnt(55) lgkmcnt(1)
	v_mul_f64 v[144:145], v[1:2], v[99:100]
	v_mul_f64 v[99:100], v[3:4], v[99:100]
	s_waitcnt vmcnt(54)
	v_fma_f64 v[156:157], v[79:80], v[165:166], -v[156:157]
	v_add_f64 v[87:88], v[87:88], v[150:151]
	v_fma_f64 v[150:151], v[81:82], v[165:166], v[152:153]
	v_add_f64 v[89:90], v[89:90], v[136:137]
	s_clause 0x1
	buffer_load_dword v137, off, s[0:3], 0 offset:596
	buffer_load_dword v136, off, s[0:3], 0 offset:592
	ds_read_b128 v[79:82], v125 offset:976
	s_waitcnt vmcnt(55) lgkmcnt(1)
	v_mul_f64 v[152:153], v[83:84], v[138:139]
	v_mul_f64 v[138:139], v[85:86], v[138:139]
	s_waitcnt vmcnt(53)
	v_fma_f64 v[99:100], v[1:2], v[93:94], -v[99:100]
	v_fma_f64 v[93:94], v[3:4], v[93:94], v[144:145]
	ds_read_b128 v[1:4], v125 offset:992
	v_add_f64 v[87:88], v[87:88], v[156:157]
	v_add_f64 v[89:90], v[89:90], v[150:151]
	s_waitcnt vmcnt(49) lgkmcnt(1)
	v_mul_f64 v[144:145], v[79:80], v[126:127]
	v_mul_f64 v[126:127], v[81:82], v[126:127]
	s_waitcnt vmcnt(48)
	v_fma_f64 v[138:139], v[83:84], v[161:162], -v[138:139]
	v_add_f64 v[87:88], v[87:88], v[99:100]
	v_fma_f64 v[99:100], v[85:86], v[161:162], v[152:153]
	v_add_f64 v[89:90], v[89:90], v[93:94]
	s_clause 0x3
	buffer_load_dword v93, off, s[0:3], 0 offset:48
	buffer_load_dword v94, off, s[0:3], 0 offset:52
	;; [unrolled: 1-line block ×4, first 2 shown]
	ds_read_b128 v[83:86], v125 offset:1008
	s_waitcnt vmcnt(51) lgkmcnt(1)
	v_mul_f64 v[152:153], v[1:2], v[128:129]
	v_mul_f64 v[128:129], v[3:4], v[128:129]
	s_waitcnt vmcnt(49)
	v_fma_f64 v[126:127], v[79:80], v[95:96], -v[126:127]
	v_fma_f64 v[95:96], v[81:82], v[95:96], v[144:145]
	ds_read_b128 v[79:82], v125 offset:1024
	v_add_f64 v[87:88], v[87:88], v[138:139]
	v_add_f64 v[89:90], v[89:90], v[99:100]
	s_waitcnt vmcnt(45) lgkmcnt(1)
	v_mul_f64 v[99:100], v[83:84], v[91:92]
	v_mul_f64 v[91:92], v[85:86], v[91:92]
	s_waitcnt vmcnt(44)
	v_fma_f64 v[128:129], v[1:2], v[140:141], -v[128:129]
	v_add_f64 v[87:88], v[87:88], v[126:127]
	v_fma_f64 v[126:127], v[3:4], v[140:141], v[152:153]
	v_add_f64 v[89:90], v[89:90], v[95:96]
	ds_read_b128 v[1:4], v125 offset:1040
	s_waitcnt vmcnt(43) lgkmcnt(1)
	v_mul_f64 v[95:96], v[79:80], v[111:112]
	v_mul_f64 v[111:112], v[81:82], v[111:112]
	s_waitcnt vmcnt(41)
	v_fma_f64 v[91:92], v[83:84], v[101:102], -v[91:92]
	v_fma_f64 v[99:100], v[85:86], v[101:102], v[99:100]
	ds_read_b128 v[83:86], v125 offset:1056
	v_add_f64 v[87:88], v[87:88], v[128:129]
	v_add_f64 v[89:90], v[89:90], v[126:127]
	s_waitcnt vmcnt(37) lgkmcnt(1)
	v_mul_f64 v[101:102], v[1:2], v[97:98]
	v_mul_f64 v[97:98], v[3:4], v[97:98]
	s_waitcnt vmcnt(36)
	v_fma_f64 v[111:112], v[79:80], v[134:135], -v[111:112]
	v_add_f64 v[87:88], v[87:88], v[91:92]
	v_fma_f64 v[91:92], v[81:82], v[134:135], v[95:96]
	v_add_f64 v[89:90], v[89:90], v[99:100]
	s_waitcnt vmcnt(35) lgkmcnt(0)
	v_mul_f64 v[99:100], v[85:86], v[117:118]
	ds_read_b128 v[79:82], v125 offset:1072
	v_mul_f64 v[95:96], v[83:84], v[117:118]
	s_waitcnt vmcnt(33)
	v_fma_f64 v[101:102], v[3:4], v[107:108], v[101:102]
	v_fma_f64 v[97:98], v[1:2], v[107:108], -v[97:98]
	ds_read_b128 v[1:4], v125 offset:1088
	v_add_f64 v[87:88], v[87:88], v[111:112]
	v_add_f64 v[89:90], v[89:90], v[91:92]
	s_waitcnt vmcnt(29) lgkmcnt(1)
	v_mul_f64 v[91:92], v[79:80], v[103:104]
	v_mul_f64 v[103:104], v[81:82], v[103:104]
	s_waitcnt vmcnt(28)
	v_fma_f64 v[99:100], v[83:84], v[119:120], -v[99:100]
	v_fma_f64 v[95:96], v[85:86], v[119:120], v[95:96]
	ds_read_b128 v[83:86], v125 offset:1104
	v_add_f64 v[87:88], v[87:88], v[97:98]
	v_add_f64 v[89:90], v[89:90], v[101:102]
	s_waitcnt vmcnt(27) lgkmcnt(1)
	v_mul_f64 v[101:102], v[3:4], v[130:131]
	v_mul_f64 v[97:98], v[1:2], v[130:131]
	s_waitcnt vmcnt(25)
	v_fma_f64 v[103:104], v[79:80], v[105:106], -v[103:104]
	v_fma_f64 v[91:92], v[81:82], v[105:106], v[91:92]
	ds_read_b128 v[79:82], v125 offset:1120
	v_add_f64 v[87:88], v[87:88], v[99:100]
	v_add_f64 v[89:90], v[89:90], v[95:96]
	s_waitcnt vmcnt(21) lgkmcnt(1)
	v_mul_f64 v[99:100], v[85:86], v[109:110]
	s_waitcnt vmcnt(20)
	v_fma_f64 v[101:102], v[1:2], v[142:143], -v[101:102]
	v_mul_f64 v[95:96], v[83:84], v[109:110]
	v_fma_f64 v[97:98], v[3:4], v[142:143], v[97:98]
	ds_read_b128 v[1:4], v125 offset:1136
	v_add_f64 v[87:88], v[87:88], v[103:104]
	v_add_f64 v[89:90], v[89:90], v[91:92]
	s_waitcnt vmcnt(19) lgkmcnt(1)
	v_mul_f64 v[103:104], v[81:82], v[146:147]
	v_mul_f64 v[91:92], v[79:80], v[146:147]
	s_waitcnt vmcnt(17)
	v_fma_f64 v[99:100], v[83:84], v[113:114], -v[99:100]
	v_fma_f64 v[95:96], v[85:86], v[113:114], v[95:96]
	ds_read_b128 v[83:86], v125 offset:1152
	v_add_f64 v[87:88], v[87:88], v[101:102]
	v_add_f64 v[89:90], v[89:90], v[97:98]
	s_waitcnt vmcnt(13) lgkmcnt(1)
	v_mul_f64 v[101:102], v[3:4], v[115:116]
	s_waitcnt vmcnt(12)
	v_fma_f64 v[103:104], v[79:80], v[148:149], -v[103:104]
	v_mul_f64 v[97:98], v[1:2], v[115:116]
	v_fma_f64 v[91:92], v[81:82], v[148:149], v[91:92]
	ds_read_b128 v[79:82], v125 offset:1168
	v_add_f64 v[87:88], v[87:88], v[99:100]
	v_add_f64 v[89:90], v[89:90], v[95:96]
	s_waitcnt vmcnt(11) lgkmcnt(1)
	v_mul_f64 v[99:100], v[85:86], v[154:155]
	v_mul_f64 v[95:96], v[83:84], v[154:155]
	s_waitcnt vmcnt(9)
	v_fma_f64 v[1:2], v[1:2], v[121:122], -v[101:102]
	v_fma_f64 v[3:4], v[3:4], v[121:122], v[97:98]
	v_add_f64 v[87:88], v[87:88], v[103:104]
	v_add_f64 v[89:90], v[89:90], v[91:92]
	s_waitcnt vmcnt(7) lgkmcnt(0)
	v_mul_f64 v[97:98], v[81:82], v[123:124]
	s_waitcnt vmcnt(6)
	v_fma_f64 v[83:84], v[83:84], v[158:159], -v[99:100]
	v_mul_f64 v[91:92], v[79:80], v[123:124]
	v_fma_f64 v[85:86], v[85:86], v[158:159], v[95:96]
	v_add_f64 v[1:2], v[87:88], v[1:2]
	v_add_f64 v[3:4], v[89:90], v[3:4]
	s_waitcnt vmcnt(4)
	v_fma_f64 v[79:80], v[79:80], v[136:137], -v[97:98]
	v_fma_f64 v[81:82], v[81:82], v[136:137], v[91:92]
	v_add_f64 v[1:2], v[1:2], v[83:84]
	v_add_f64 v[3:4], v[3:4], v[85:86]
	;; [unrolled: 1-line block ×4, first 2 shown]
	s_waitcnt vmcnt(2)
	v_add_f64 v[1:2], v[93:94], -v[1:2]
	s_waitcnt vmcnt(0)
	v_add_f64 v[3:4], v[150:151], -v[3:4]
	buffer_store_dword v2, off, s[0:3], 0 offset:52
	buffer_store_dword v1, off, s[0:3], 0 offset:48
	;; [unrolled: 1-line block ×4, first 2 shown]
	v_cmpx_lt_u32_e32 1, v0
	s_cbranch_execz .LBB100_233
; %bb.232:
	v_mov_b32_e32 v4, s48
	v_mov_b32_e32 v79, 0
	s_clause 0x3
	buffer_load_dword v1, v4, s[0:3], 0 offen
	buffer_load_dword v2, v4, s[0:3], 0 offen offset:4
	buffer_load_dword v3, v4, s[0:3], 0 offen offset:8
	buffer_load_dword v4, v4, s[0:3], 0 offen offset:12
	buffer_store_dword v79, off, s[0:3], 0 offset:32
	buffer_store_dword v79, off, s[0:3], 0 offset:36
	;; [unrolled: 1-line block ×4, first 2 shown]
	s_waitcnt vmcnt(0)
	ds_write_b128 v133, v[1:4]
.LBB100_233:
	s_or_b32 exec_lo, exec_lo, s4
	s_waitcnt lgkmcnt(0)
	s_waitcnt_vscnt null, 0x0
	s_barrier
	buffer_gl0_inv
	s_clause 0x37
	buffer_load_dword v83, off, s[0:3], 0 offset:56
	buffer_load_dword v84, off, s[0:3], 0 offset:60
	;; [unrolled: 1-line block ×56, first 2 shown]
	v_mov_b32_e32 v135, 0
	s_mov_b32 s4, exec_lo
	ds_read_b128 v[136:139], v135 offset:624
	s_clause 0x2
	buffer_load_dword v132, off, s[0:3], 0 offset:284
	buffer_load_dword v149, off, s[0:3], 0 offset:260
	;; [unrolled: 1-line block ×3, first 2 shown]
	ds_read_b128 v[140:143], v135 offset:640
	s_clause 0x4
	buffer_load_dword v153, off, s[0:3], 0 offset:300
	buffer_load_dword v154, off, s[0:3], 0 offset:312
	;; [unrolled: 1-line block ×5, first 2 shown]
	ds_read_b128 v[144:147], v135 offset:656
	s_clause 0x2
	buffer_load_dword v155, off, s[0:3], 0 offset:316
	buffer_load_dword v160, off, s[0:3], 0 offset:292
	;; [unrolled: 1-line block ×3, first 2 shown]
	s_waitcnt vmcnt(62) lgkmcnt(2)
	v_mul_f64 v[150:151], v[138:139], v[83:84]
	v_mul_f64 v[83:84], v[136:137], v[83:84]
	s_waitcnt lgkmcnt(1)
	v_mul_f64 v[157:158], v[142:143], v[79:80]
	s_waitcnt vmcnt(59) lgkmcnt(0)
	v_mul_f64 v[161:162], v[146:147], v[3:4]
	v_fma_f64 v[136:137], v[136:137], v[81:82], -v[150:151]
	v_mul_f64 v[150:151], v[140:141], v[79:80]
	v_fma_f64 v[83:84], v[138:139], v[81:82], v[83:84]
	s_waitcnt vmcnt(57)
	v_fma_f64 v[140:141], v[140:141], v[1:2], -v[157:158]
	ds_read_b128 v[79:82], v135 offset:672
	v_mul_f64 v[138:139], v[144:145], v[3:4]
	s_waitcnt vmcnt(51)
	v_fma_f64 v[144:145], v[144:145], v[99:100], -v[161:162]
	v_add_f64 v[136:137], v[136:137], 0
	v_fma_f64 v[142:143], v[142:143], v[1:2], v[150:151]
	v_add_f64 v[83:84], v[83:84], 0
	s_clause 0x4
	buffer_load_dword v151, off, s[0:3], 0 offset:332
	buffer_load_dword v163, off, s[0:3], 0 offset:344
	;; [unrolled: 1-line block ×5, first 2 shown]
	s_waitcnt lgkmcnt(0)
	v_mul_f64 v[166:167], v[79:80], v[87:88]
	v_mul_f64 v[87:88], v[81:82], v[87:88]
	ds_read_b128 v[1:4], v135 offset:688
	v_fma_f64 v[99:100], v[146:147], v[99:100], v[138:139]
	v_add_f64 v[140:141], v[136:137], v[140:141]
	v_add_f64 v[83:84], v[83:84], v[142:143]
	s_clause 0x2
	buffer_load_dword v164, off, s[0:3], 0 offset:348
	buffer_load_dword v143, off, s[0:3], 0 offset:324
	;; [unrolled: 1-line block ×3, first 2 shown]
	s_waitcnt vmcnt(58) lgkmcnt(0)
	v_mul_f64 v[146:147], v[1:2], v[91:92]
	v_mul_f64 v[91:92], v[3:4], v[91:92]
	s_waitcnt vmcnt(56)
	v_fma_f64 v[87:88], v[79:80], v[93:94], -v[87:88]
	ds_read_b128 v[136:139], v135 offset:704
	v_fma_f64 v[93:94], v[81:82], v[93:94], v[166:167]
	v_add_f64 v[140:141], v[140:141], v[144:145]
	v_add_f64 v[83:84], v[83:84], v[99:100]
	s_clause 0x4
	buffer_load_dword v100, off, s[0:3], 0 offset:364
	buffer_load_dword v144, off, s[0:3], 0 offset:376
	;; [unrolled: 1-line block ×5, first 2 shown]
	ds_read_b128 v[79:82], v135 offset:720
	s_waitcnt vmcnt(57) lgkmcnt(1)
	v_mul_f64 v[167:168], v[136:137], v[95:96]
	v_mul_f64 v[95:96], v[138:139], v[95:96]
	s_waitcnt vmcnt(56)
	v_fma_f64 v[91:92], v[1:2], v[85:86], -v[91:92]
	v_fma_f64 v[85:86], v[3:4], v[85:86], v[146:147]
	v_add_f64 v[87:88], v[140:141], v[87:88]
	v_add_f64 v[83:84], v[83:84], v[93:94]
	s_clause 0x2
	buffer_load_dword v145, off, s[0:3], 0 offset:380
	buffer_load_dword v94, off, s[0:3], 0 offset:356
	;; [unrolled: 1-line block ×3, first 2 shown]
	s_waitcnt vmcnt(58) lgkmcnt(0)
	v_mul_f64 v[140:141], v[79:80], v[101:102]
	v_mul_f64 v[101:102], v[81:82], v[101:102]
	s_waitcnt vmcnt(56)
	v_fma_f64 v[95:96], v[136:137], v[103:104], -v[95:96]
	ds_read_b128 v[1:4], v135 offset:736
	v_add_f64 v[87:88], v[87:88], v[91:92]
	v_fma_f64 v[91:92], v[138:139], v[103:104], v[167:168]
	v_add_f64 v[103:104], v[83:84], v[85:86]
	s_clause 0x4
	buffer_load_dword v137, off, s[0:3], 0 offset:396
	buffer_load_dword v138, off, s[0:3], 0 offset:408
	;; [unrolled: 1-line block ×5, first 2 shown]
	ds_read_b128 v[83:86], v135 offset:752
	s_waitcnt vmcnt(57) lgkmcnt(1)
	v_mul_f64 v[167:168], v[1:2], v[105:106]
	v_mul_f64 v[105:106], v[3:4], v[105:106]
	s_waitcnt vmcnt(56)
	v_fma_f64 v[101:102], v[79:80], v[89:90], -v[101:102]
	v_fma_f64 v[89:90], v[81:82], v[89:90], v[140:141]
	v_add_f64 v[87:88], v[87:88], v[95:96]
	s_clause 0x2
	buffer_load_dword v139, off, s[0:3], 0 offset:412
	buffer_load_dword v96, off, s[0:3], 0 offset:388
	;; [unrolled: 1-line block ×3, first 2 shown]
	v_add_f64 v[91:92], v[103:104], v[91:92]
	s_waitcnt vmcnt(58) lgkmcnt(0)
	v_mul_f64 v[103:104], v[83:84], v[109:110]
	v_mul_f64 v[109:110], v[85:86], v[109:110]
	ds_read_b128 v[79:82], v135 offset:768
	s_waitcnt vmcnt(56)
	v_fma_f64 v[105:106], v[1:2], v[111:112], -v[105:106]
	v_add_f64 v[87:88], v[87:88], v[101:102]
	v_fma_f64 v[101:102], v[3:4], v[111:112], v[167:168]
	v_add_f64 v[89:90], v[91:92], v[89:90]
	s_clause 0x4
	buffer_load_dword v92, off, s[0:3], 0 offset:428
	buffer_load_dword v111, off, s[0:3], 0 offset:440
	;; [unrolled: 1-line block ×5, first 2 shown]
	s_waitcnt vmcnt(57) lgkmcnt(0)
	v_mul_f64 v[167:168], v[79:80], v[113:114]
	v_mul_f64 v[113:114], v[81:82], v[113:114]
	s_waitcnt vmcnt(56)
	v_fma_f64 v[109:110], v[83:84], v[97:98], -v[109:110]
	ds_read_b128 v[1:4], v135 offset:784
	v_fma_f64 v[97:98], v[85:86], v[97:98], v[103:104]
	v_add_f64 v[87:88], v[87:88], v[105:106]
	v_add_f64 v[89:90], v[89:90], v[101:102]
	s_clause 0x2
	buffer_load_dword v112, off, s[0:3], 0 offset:444
	buffer_load_dword v102, off, s[0:3], 0 offset:420
	;; [unrolled: 1-line block ×3, first 2 shown]
	ds_read_b128 v[83:86], v135 offset:800
	s_waitcnt vmcnt(58) lgkmcnt(1)
	v_mul_f64 v[105:106], v[3:4], v[117:118]
	s_waitcnt vmcnt(56)
	v_fma_f64 v[113:114], v[79:80], v[119:120], -v[113:114]
	v_mul_f64 v[103:104], v[1:2], v[117:118]
	v_add_f64 v[87:88], v[87:88], v[109:110]
	v_fma_f64 v[109:110], v[81:82], v[119:120], v[167:168]
	v_add_f64 v[89:90], v[89:90], v[97:98]
	s_clause 0x4
	buffer_load_dword v98, off, s[0:3], 0 offset:460
	buffer_load_dword v117, off, s[0:3], 0 offset:472
	;; [unrolled: 1-line block ×5, first 2 shown]
	s_waitcnt vmcnt(57) lgkmcnt(0)
	v_mul_f64 v[167:168], v[83:84], v[121:122]
	v_mul_f64 v[120:121], v[85:86], v[121:122]
	s_waitcnt vmcnt(56)
	v_fma_f64 v[105:106], v[1:2], v[107:108], -v[105:106]
	ds_read_b128 v[79:82], v135 offset:816
	v_fma_f64 v[103:104], v[3:4], v[107:108], v[103:104]
	s_clause 0x2
	buffer_load_dword v118, off, s[0:3], 0 offset:476
	buffer_load_dword v108, off, s[0:3], 0 offset:452
	;; [unrolled: 1-line block ×3, first 2 shown]
	ds_read_b128 v[1:4], v135 offset:832
	v_add_f64 v[87:88], v[87:88], v[113:114]
	v_add_f64 v[89:90], v[89:90], v[109:110]
	s_waitcnt vmcnt(58) lgkmcnt(1)
	v_mul_f64 v[113:114], v[81:82], v[125:126]
	s_waitcnt vmcnt(56)
	v_fma_f64 v[121:122], v[83:84], v[127:128], -v[120:121]
	v_mul_f64 v[109:110], v[79:80], v[125:126]
	v_add_f64 v[87:88], v[87:88], v[105:106]
	v_fma_f64 v[105:106], v[85:86], v[127:128], v[167:168]
	v_add_f64 v[89:90], v[89:90], v[103:104]
	s_clause 0x4
	buffer_load_dword v104, off, s[0:3], 0 offset:492
	buffer_load_dword v125, off, s[0:3], 0 offset:504
	;; [unrolled: 1-line block ×5, first 2 shown]
	s_waitcnt vmcnt(57) lgkmcnt(0)
	v_mul_f64 v[167:168], v[1:2], v[129:130]
	v_mul_f64 v[128:129], v[3:4], v[129:130]
	s_waitcnt vmcnt(56)
	v_fma_f64 v[113:114], v[79:80], v[115:116], -v[113:114]
	ds_read_b128 v[83:86], v135 offset:848
	v_fma_f64 v[109:110], v[81:82], v[115:116], v[109:110]
	v_add_f64 v[87:88], v[87:88], v[121:122]
	v_add_f64 v[89:90], v[89:90], v[105:106]
	s_clause 0x2
	buffer_load_dword v126, off, s[0:3], 0 offset:508
	buffer_load_dword v106, off, s[0:3], 0 offset:484
	;; [unrolled: 1-line block ×3, first 2 shown]
	ds_read_b128 v[79:82], v135 offset:864
	s_waitcnt vmcnt(58) lgkmcnt(1)
	v_mul_f64 v[121:122], v[85:86], v[131:132]
	s_waitcnt vmcnt(56)
	v_fma_f64 v[129:130], v[1:2], v[148:149], -v[128:129]
	v_mul_f64 v[115:116], v[83:84], v[131:132]
	v_add_f64 v[87:88], v[87:88], v[113:114]
	v_fma_f64 v[113:114], v[3:4], v[148:149], v[167:168]
	v_add_f64 v[89:90], v[89:90], v[109:110]
	s_clause 0x4
	buffer_load_dword v110, off, s[0:3], 0 offset:524
	buffer_load_dword v131, off, s[0:3], 0 offset:536
	;; [unrolled: 1-line block ×5, first 2 shown]
	s_waitcnt vmcnt(57) lgkmcnt(0)
	v_mul_f64 v[167:168], v[79:80], v[152:153]
	v_mul_f64 v[152:153], v[81:82], v[152:153]
	s_waitcnt vmcnt(56)
	v_fma_f64 v[121:122], v[83:84], v[123:124], -v[121:122]
	ds_read_b128 v[1:4], v135 offset:880
	v_fma_f64 v[115:116], v[85:86], v[123:124], v[115:116]
	v_add_f64 v[87:88], v[87:88], v[129:130]
	v_add_f64 v[89:90], v[89:90], v[113:114]
	s_clause 0x2
	buffer_load_dword v132, off, s[0:3], 0 offset:540
	buffer_load_dword v114, off, s[0:3], 0 offset:516
	;; [unrolled: 1-line block ×3, first 2 shown]
	ds_read_b128 v[83:86], v135 offset:896
	s_waitcnt vmcnt(58) lgkmcnt(1)
	v_mul_f64 v[129:130], v[3:4], v[154:155]
	s_waitcnt vmcnt(56)
	v_fma_f64 v[152:153], v[79:80], v[159:160], -v[152:153]
	v_mul_f64 v[123:124], v[1:2], v[154:155]
	v_add_f64 v[87:88], v[87:88], v[121:122]
	v_fma_f64 v[121:122], v[81:82], v[159:160], v[167:168]
	v_add_f64 v[89:90], v[89:90], v[115:116]
	s_clause 0x4
	buffer_load_dword v116, off, s[0:3], 0 offset:556
	buffer_load_dword v154, off, s[0:3], 0 offset:568
	;; [unrolled: 1-line block ×5, first 2 shown]
	ds_read_b128 v[79:82], v135 offset:912
	s_waitcnt vmcnt(57) lgkmcnt(1)
	v_mul_f64 v[159:160], v[83:84], v[150:151]
	v_mul_f64 v[150:151], v[85:86], v[150:151]
	s_waitcnt vmcnt(56)
	v_fma_f64 v[129:130], v[1:2], v[156:157], -v[129:130]
	v_fma_f64 v[123:124], v[3:4], v[156:157], v[123:124]
	v_add_f64 v[87:88], v[87:88], v[152:153]
	v_add_f64 v[89:90], v[89:90], v[121:122]
	s_clause 0x2
	buffer_load_dword v155, off, s[0:3], 0 offset:572
	buffer_load_dword v122, off, s[0:3], 0 offset:548
	;; [unrolled: 1-line block ×3, first 2 shown]
	ds_read_b128 v[1:4], v135 offset:928
	s_waitcnt vmcnt(58) lgkmcnt(1)
	v_mul_f64 v[156:157], v[81:82], v[163:164]
	v_mul_f64 v[152:153], v[79:80], v[163:164]
	s_waitcnt vmcnt(56)
	v_fma_f64 v[150:151], v[83:84], v[142:143], -v[150:151]
	v_add_f64 v[87:88], v[87:88], v[129:130]
	v_fma_f64 v[129:130], v[85:86], v[142:143], v[159:160]
	v_add_f64 v[89:90], v[89:90], v[123:124]
	s_clause 0x4
	buffer_load_dword v124, off, s[0:3], 0 offset:588
	buffer_load_dword v142, off, s[0:3], 0 offset:600
	;; [unrolled: 1-line block ×5, first 2 shown]
	ds_read_b128 v[83:86], v135 offset:944
	s_waitcnt vmcnt(57) lgkmcnt(1)
	v_mul_f64 v[167:168], v[1:2], v[99:100]
	v_mul_f64 v[99:100], v[3:4], v[99:100]
	s_waitcnt vmcnt(56)
	v_fma_f64 v[156:157], v[79:80], v[165:166], -v[156:157]
	v_add_f64 v[87:88], v[87:88], v[150:151]
	v_fma_f64 v[150:151], v[81:82], v[165:166], v[152:153]
	v_add_f64 v[89:90], v[89:90], v[129:130]
	s_clause 0x2
	buffer_load_dword v143, off, s[0:3], 0 offset:604
	buffer_load_dword v130, off, s[0:3], 0 offset:580
	;; [unrolled: 1-line block ×3, first 2 shown]
	ds_read_b128 v[79:82], v135 offset:960
	buffer_load_dword v164, off, s[0:3], 0 offset:596
	s_waitcnt vmcnt(59) lgkmcnt(1)
	v_mul_f64 v[152:153], v[83:84], v[144:145]
	v_mul_f64 v[144:145], v[85:86], v[144:145]
	s_waitcnt vmcnt(57)
	v_fma_f64 v[99:100], v[1:2], v[93:94], -v[99:100]
	v_fma_f64 v[93:94], v[3:4], v[93:94], v[167:168]
	ds_read_b128 v[1:4], v135 offset:976
	v_add_f64 v[87:88], v[87:88], v[156:157]
	v_add_f64 v[89:90], v[89:90], v[150:151]
	s_waitcnt vmcnt(53) lgkmcnt(1)
	v_mul_f64 v[150:151], v[79:80], v[136:137]
	v_mul_f64 v[136:137], v[81:82], v[136:137]
	s_waitcnt vmcnt(52)
	v_fma_f64 v[144:145], v[83:84], v[161:162], -v[144:145]
	v_add_f64 v[87:88], v[87:88], v[99:100]
	v_fma_f64 v[99:100], v[85:86], v[161:162], v[152:153]
	v_add_f64 v[89:90], v[89:90], v[93:94]
	ds_read_b128 v[83:86], v135 offset:992
	s_waitcnt vmcnt(51) lgkmcnt(1)
	v_mul_f64 v[93:94], v[1:2], v[138:139]
	v_mul_f64 v[138:139], v[3:4], v[138:139]
	s_waitcnt vmcnt(49)
	v_fma_f64 v[136:137], v[79:80], v[95:96], -v[136:137]
	v_fma_f64 v[95:96], v[81:82], v[95:96], v[150:151]
	v_add_f64 v[87:88], v[87:88], v[144:145]
	v_add_f64 v[89:90], v[89:90], v[99:100]
	s_clause 0x3
	buffer_load_dword v99, off, s[0:3], 0 offset:32
	buffer_load_dword v100, off, s[0:3], 0 offset:36
	;; [unrolled: 1-line block ×4, first 2 shown]
	ds_read_b128 v[79:82], v135 offset:1008
	s_waitcnt vmcnt(49) lgkmcnt(1)
	v_mul_f64 v[150:151], v[83:84], v[91:92]
	v_mul_f64 v[91:92], v[85:86], v[91:92]
	s_waitcnt vmcnt(48)
	v_fma_f64 v[138:139], v[1:2], v[146:147], -v[138:139]
	v_fma_f64 v[93:94], v[3:4], v[146:147], v[93:94]
	ds_read_b128 v[1:4], v135 offset:1024
	v_add_f64 v[87:88], v[87:88], v[136:137]
	v_add_f64 v[89:90], v[89:90], v[95:96]
	s_waitcnt vmcnt(47) lgkmcnt(1)
	v_mul_f64 v[95:96], v[79:80], v[111:112]
	v_mul_f64 v[111:112], v[81:82], v[111:112]
	s_waitcnt vmcnt(45)
	v_fma_f64 v[91:92], v[83:84], v[101:102], -v[91:92]
	v_fma_f64 v[101:102], v[85:86], v[101:102], v[150:151]
	ds_read_b128 v[83:86], v135 offset:1040
	v_add_f64 v[87:88], v[87:88], v[138:139]
	v_add_f64 v[89:90], v[89:90], v[93:94]
	s_waitcnt vmcnt(41) lgkmcnt(1)
	v_mul_f64 v[93:94], v[1:2], v[97:98]
	v_mul_f64 v[97:98], v[3:4], v[97:98]
	s_waitcnt vmcnt(40)
	v_fma_f64 v[111:112], v[79:80], v[140:141], -v[111:112]
	v_add_f64 v[87:88], v[87:88], v[91:92]
	v_fma_f64 v[91:92], v[81:82], v[140:141], v[95:96]
	v_add_f64 v[89:90], v[89:90], v[101:102]
	ds_read_b128 v[79:82], v135 offset:1056
	s_waitcnt vmcnt(39) lgkmcnt(1)
	v_mul_f64 v[101:102], v[85:86], v[117:118]
	v_mul_f64 v[95:96], v[83:84], v[117:118]
	s_waitcnt vmcnt(37)
	v_fma_f64 v[93:94], v[3:4], v[107:108], v[93:94]
	v_fma_f64 v[97:98], v[1:2], v[107:108], -v[97:98]
	ds_read_b128 v[1:4], v135 offset:1072
	v_add_f64 v[87:88], v[87:88], v[111:112]
	v_add_f64 v[89:90], v[89:90], v[91:92]
	s_waitcnt vmcnt(33) lgkmcnt(1)
	v_mul_f64 v[91:92], v[79:80], v[103:104]
	v_mul_f64 v[103:104], v[81:82], v[103:104]
	s_waitcnt vmcnt(32)
	v_fma_f64 v[101:102], v[83:84], v[119:120], -v[101:102]
	v_fma_f64 v[95:96], v[85:86], v[119:120], v[95:96]
	ds_read_b128 v[83:86], v135 offset:1088
	v_add_f64 v[87:88], v[87:88], v[97:98]
	v_add_f64 v[89:90], v[89:90], v[93:94]
	s_waitcnt vmcnt(31) lgkmcnt(1)
	v_mul_f64 v[97:98], v[3:4], v[125:126]
	v_mul_f64 v[93:94], v[1:2], v[125:126]
	s_waitcnt vmcnt(29)
	v_fma_f64 v[103:104], v[79:80], v[105:106], -v[103:104]
	v_fma_f64 v[91:92], v[81:82], v[105:106], v[91:92]
	ds_read_b128 v[79:82], v135 offset:1104
	v_add_f64 v[87:88], v[87:88], v[101:102]
	v_add_f64 v[89:90], v[89:90], v[95:96]
	s_waitcnt vmcnt(25) lgkmcnt(1)
	v_mul_f64 v[101:102], v[85:86], v[109:110]
	s_waitcnt vmcnt(24)
	v_fma_f64 v[97:98], v[1:2], v[127:128], -v[97:98]
	v_mul_f64 v[95:96], v[83:84], v[109:110]
	v_fma_f64 v[93:94], v[3:4], v[127:128], v[93:94]
	ds_read_b128 v[1:4], v135 offset:1120
	v_add_f64 v[87:88], v[87:88], v[103:104]
	v_add_f64 v[89:90], v[89:90], v[91:92]
	s_waitcnt vmcnt(23) lgkmcnt(1)
	v_mul_f64 v[103:104], v[81:82], v[131:132]
	v_mul_f64 v[91:92], v[79:80], v[131:132]
	s_waitcnt vmcnt(21)
	v_fma_f64 v[101:102], v[83:84], v[113:114], -v[101:102]
	v_fma_f64 v[95:96], v[85:86], v[113:114], v[95:96]
	ds_read_b128 v[83:86], v135 offset:1136
	v_add_f64 v[87:88], v[87:88], v[97:98]
	v_add_f64 v[89:90], v[89:90], v[93:94]
	s_waitcnt vmcnt(17) lgkmcnt(1)
	v_mul_f64 v[97:98], v[3:4], v[115:116]
	s_waitcnt vmcnt(16)
	v_fma_f64 v[103:104], v[79:80], v[148:149], -v[103:104]
	v_mul_f64 v[93:94], v[1:2], v[115:116]
	;; [unrolled: 18-line block ×3, first 2 shown]
	v_fma_f64 v[85:86], v[85:86], v[158:159], v[95:96]
	v_add_f64 v[87:88], v[87:88], v[97:98]
	v_add_f64 v[89:90], v[89:90], v[93:94]
	s_waitcnt vmcnt(7) lgkmcnt(0)
	v_mul_f64 v[95:96], v[3:4], v[142:143]
	v_mul_f64 v[93:94], v[1:2], v[142:143]
	s_waitcnt vmcnt(5)
	v_fma_f64 v[79:80], v[79:80], v[129:130], -v[103:104]
	v_fma_f64 v[81:82], v[81:82], v[129:130], v[91:92]
	v_add_f64 v[83:84], v[87:88], v[83:84]
	v_add_f64 v[85:86], v[89:90], v[85:86]
	s_waitcnt vmcnt(4)
	v_fma_f64 v[1:2], v[1:2], v[163:164], -v[95:96]
	v_fma_f64 v[3:4], v[3:4], v[163:164], v[93:94]
	v_add_f64 v[79:80], v[83:84], v[79:80]
	v_add_f64 v[81:82], v[85:86], v[81:82]
	;; [unrolled: 1-line block ×4, first 2 shown]
	s_waitcnt vmcnt(2)
	v_add_f64 v[1:2], v[99:100], -v[1:2]
	s_waitcnt vmcnt(0)
	v_add_f64 v[3:4], v[144:145], -v[3:4]
	buffer_store_dword v2, off, s[0:3], 0 offset:36
	buffer_store_dword v1, off, s[0:3], 0 offset:32
	;; [unrolled: 1-line block ×4, first 2 shown]
	v_cmpx_ne_u32_e32 0, v0
	s_cbranch_execz .LBB100_235
; %bb.234:
	s_clause 0x3
	buffer_load_dword v0, off, s[0:3], 0 offset:16
	buffer_load_dword v1, off, s[0:3], 0 offset:20
	;; [unrolled: 1-line block ×4, first 2 shown]
	buffer_store_dword v135, off, s[0:3], 0 offset:16
	buffer_store_dword v135, off, s[0:3], 0 offset:20
	;; [unrolled: 1-line block ×4, first 2 shown]
	s_waitcnt vmcnt(0)
	ds_write_b128 v133, v[0:3]
.LBB100_235:
	s_or_b32 exec_lo, exec_lo, s4
	s_waitcnt lgkmcnt(0)
	s_waitcnt_vscnt null, 0x0
	s_barrier
	buffer_gl0_inv
	s_clause 0x37
	buffer_load_dword v83, off, s[0:3], 0 offset:40
	buffer_load_dword v84, off, s[0:3], 0 offset:44
	;; [unrolled: 1-line block ×56, first 2 shown]
	ds_read_b128 v[136:139], v135 offset:608
	s_clause 0x2
	buffer_load_dword v132, off, s[0:3], 0 offset:268
	buffer_load_dword v134, off, s[0:3], 0 offset:244
	;; [unrolled: 1-line block ×3, first 2 shown]
	ds_read_b128 v[140:143], v135 offset:624
	s_clause 0x4
	buffer_load_dword v151, off, s[0:3], 0 offset:284
	buffer_load_dword v152, off, s[0:3], 0 offset:296
	;; [unrolled: 1-line block ×5, first 2 shown]
	ds_read_b128 v[144:147], v135 offset:640
	s_clause 0x2
	buffer_load_dword v153, off, s[0:3], 0 offset:300
	buffer_load_dword v158, off, s[0:3], 0 offset:276
	buffer_load_dword v157, off, s[0:3], 0 offset:272
	s_and_b32 vcc_lo, exec_lo, s49
	s_waitcnt vmcnt(62) lgkmcnt(2)
	v_mul_f64 v[148:149], v[138:139], v[83:84]
	v_mul_f64 v[83:84], v[136:137], v[83:84]
	s_waitcnt lgkmcnt(1)
	v_mul_f64 v[155:156], v[142:143], v[79:80]
	s_waitcnt vmcnt(59) lgkmcnt(0)
	v_mul_f64 v[159:160], v[146:147], v[2:3]
	v_fma_f64 v[136:137], v[136:137], v[81:82], -v[148:149]
	v_mul_f64 v[148:149], v[140:141], v[79:80]
	v_fma_f64 v[83:84], v[138:139], v[81:82], v[83:84]
	s_waitcnt vmcnt(57)
	v_fma_f64 v[140:141], v[140:141], v[0:1], -v[155:156]
	ds_read_b128 v[79:82], v135 offset:656
	v_mul_f64 v[138:139], v[144:145], v[2:3]
	s_waitcnt vmcnt(51)
	v_fma_f64 v[144:145], v[144:145], v[99:100], -v[159:160]
	v_add_f64 v[136:137], v[136:137], 0
	v_fma_f64 v[142:143], v[142:143], v[0:1], v[148:149]
	v_add_f64 v[83:84], v[83:84], 0
	s_clause 0x4
	buffer_load_dword v149, off, s[0:3], 0 offset:316
	buffer_load_dword v161, off, s[0:3], 0 offset:328
	;; [unrolled: 1-line block ×5, first 2 shown]
	s_waitcnt lgkmcnt(0)
	v_mul_f64 v[164:165], v[79:80], v[87:88]
	v_mul_f64 v[87:88], v[81:82], v[87:88]
	ds_read_b128 v[0:3], v135 offset:672
	v_fma_f64 v[99:100], v[146:147], v[99:100], v[138:139]
	v_add_f64 v[140:141], v[136:137], v[140:141]
	v_add_f64 v[83:84], v[83:84], v[142:143]
	s_clause 0x2
	buffer_load_dword v162, off, s[0:3], 0 offset:332
	buffer_load_dword v143, off, s[0:3], 0 offset:308
	;; [unrolled: 1-line block ×3, first 2 shown]
	s_waitcnt vmcnt(58) lgkmcnt(0)
	v_mul_f64 v[146:147], v[0:1], v[91:92]
	v_mul_f64 v[91:92], v[2:3], v[91:92]
	s_waitcnt vmcnt(56)
	v_fma_f64 v[87:88], v[79:80], v[93:94], -v[87:88]
	ds_read_b128 v[136:139], v135 offset:688
	v_fma_f64 v[93:94], v[81:82], v[93:94], v[164:165]
	v_add_f64 v[140:141], v[140:141], v[144:145]
	v_add_f64 v[83:84], v[83:84], v[99:100]
	s_clause 0x4
	buffer_load_dword v100, off, s[0:3], 0 offset:348
	buffer_load_dword v144, off, s[0:3], 0 offset:360
	;; [unrolled: 1-line block ×5, first 2 shown]
	ds_read_b128 v[79:82], v135 offset:704
	s_waitcnt vmcnt(57) lgkmcnt(1)
	v_mul_f64 v[165:166], v[136:137], v[95:96]
	v_mul_f64 v[95:96], v[138:139], v[95:96]
	s_waitcnt vmcnt(56)
	v_fma_f64 v[91:92], v[0:1], v[85:86], -v[91:92]
	v_fma_f64 v[85:86], v[2:3], v[85:86], v[146:147]
	v_add_f64 v[87:88], v[140:141], v[87:88]
	v_add_f64 v[83:84], v[83:84], v[93:94]
	s_clause 0x2
	buffer_load_dword v145, off, s[0:3], 0 offset:364
	buffer_load_dword v94, off, s[0:3], 0 offset:340
	;; [unrolled: 1-line block ×3, first 2 shown]
	s_waitcnt vmcnt(58) lgkmcnt(0)
	v_mul_f64 v[140:141], v[79:80], v[101:102]
	v_mul_f64 v[101:102], v[81:82], v[101:102]
	s_waitcnt vmcnt(56)
	v_fma_f64 v[95:96], v[136:137], v[103:104], -v[95:96]
	ds_read_b128 v[0:3], v135 offset:720
	v_add_f64 v[87:88], v[87:88], v[91:92]
	v_fma_f64 v[91:92], v[138:139], v[103:104], v[165:166]
	v_add_f64 v[103:104], v[83:84], v[85:86]
	s_clause 0x4
	buffer_load_dword v137, off, s[0:3], 0 offset:380
	buffer_load_dword v138, off, s[0:3], 0 offset:392
	;; [unrolled: 1-line block ×5, first 2 shown]
	ds_read_b128 v[83:86], v135 offset:736
	s_waitcnt vmcnt(57) lgkmcnt(1)
	v_mul_f64 v[165:166], v[0:1], v[105:106]
	v_mul_f64 v[105:106], v[2:3], v[105:106]
	s_waitcnt vmcnt(56)
	v_fma_f64 v[101:102], v[79:80], v[89:90], -v[101:102]
	v_fma_f64 v[89:90], v[81:82], v[89:90], v[140:141]
	v_add_f64 v[87:88], v[87:88], v[95:96]
	s_clause 0x2
	buffer_load_dword v139, off, s[0:3], 0 offset:396
	buffer_load_dword v96, off, s[0:3], 0 offset:372
	;; [unrolled: 1-line block ×3, first 2 shown]
	v_add_f64 v[91:92], v[103:104], v[91:92]
	s_waitcnt vmcnt(58) lgkmcnt(0)
	v_mul_f64 v[103:104], v[83:84], v[109:110]
	v_mul_f64 v[109:110], v[85:86], v[109:110]
	ds_read_b128 v[79:82], v135 offset:752
	s_waitcnt vmcnt(56)
	v_fma_f64 v[105:106], v[0:1], v[111:112], -v[105:106]
	v_add_f64 v[87:88], v[87:88], v[101:102]
	v_fma_f64 v[101:102], v[2:3], v[111:112], v[165:166]
	v_add_f64 v[89:90], v[91:92], v[89:90]
	s_clause 0x4
	buffer_load_dword v92, off, s[0:3], 0 offset:412
	buffer_load_dword v111, off, s[0:3], 0 offset:424
	buffer_load_dword v140, off, s[0:3], 0 offset:416
	buffer_load_dword v91, off, s[0:3], 0 offset:408
	buffer_load_dword v147, off, s[0:3], 0 offset:388
	s_waitcnt vmcnt(57) lgkmcnt(0)
	v_mul_f64 v[165:166], v[79:80], v[113:114]
	v_mul_f64 v[113:114], v[81:82], v[113:114]
	s_waitcnt vmcnt(56)
	v_fma_f64 v[109:110], v[83:84], v[97:98], -v[109:110]
	ds_read_b128 v[0:3], v135 offset:768
	v_fma_f64 v[97:98], v[85:86], v[97:98], v[103:104]
	v_add_f64 v[87:88], v[87:88], v[105:106]
	v_add_f64 v[89:90], v[89:90], v[101:102]
	s_clause 0x2
	buffer_load_dword v112, off, s[0:3], 0 offset:428
	buffer_load_dword v102, off, s[0:3], 0 offset:404
	;; [unrolled: 1-line block ×3, first 2 shown]
	ds_read_b128 v[83:86], v135 offset:784
	s_waitcnt vmcnt(58) lgkmcnt(1)
	v_mul_f64 v[105:106], v[2:3], v[117:118]
	s_waitcnt vmcnt(56)
	v_fma_f64 v[113:114], v[79:80], v[119:120], -v[113:114]
	v_mul_f64 v[103:104], v[0:1], v[117:118]
	v_add_f64 v[87:88], v[87:88], v[109:110]
	v_fma_f64 v[109:110], v[81:82], v[119:120], v[165:166]
	v_add_f64 v[89:90], v[89:90], v[97:98]
	s_clause 0x4
	buffer_load_dword v98, off, s[0:3], 0 offset:444
	buffer_load_dword v117, off, s[0:3], 0 offset:456
	;; [unrolled: 1-line block ×5, first 2 shown]
	s_waitcnt vmcnt(57) lgkmcnt(0)
	v_mul_f64 v[165:166], v[83:84], v[121:122]
	v_mul_f64 v[120:121], v[85:86], v[121:122]
	s_waitcnt vmcnt(56)
	v_fma_f64 v[105:106], v[0:1], v[107:108], -v[105:106]
	ds_read_b128 v[79:82], v135 offset:800
	v_fma_f64 v[103:104], v[2:3], v[107:108], v[103:104]
	s_clause 0x2
	buffer_load_dword v118, off, s[0:3], 0 offset:460
	buffer_load_dword v108, off, s[0:3], 0 offset:436
	;; [unrolled: 1-line block ×3, first 2 shown]
	ds_read_b128 v[0:3], v135 offset:816
	v_add_f64 v[87:88], v[87:88], v[113:114]
	v_add_f64 v[89:90], v[89:90], v[109:110]
	s_waitcnt vmcnt(58) lgkmcnt(1)
	v_mul_f64 v[113:114], v[81:82], v[125:126]
	s_waitcnt vmcnt(56)
	v_fma_f64 v[121:122], v[83:84], v[127:128], -v[120:121]
	v_mul_f64 v[109:110], v[79:80], v[125:126]
	v_add_f64 v[87:88], v[87:88], v[105:106]
	v_fma_f64 v[105:106], v[85:86], v[127:128], v[165:166]
	v_add_f64 v[89:90], v[89:90], v[103:104]
	s_clause 0x4
	buffer_load_dword v104, off, s[0:3], 0 offset:476
	buffer_load_dword v125, off, s[0:3], 0 offset:488
	;; [unrolled: 1-line block ×5, first 2 shown]
	s_waitcnt vmcnt(57) lgkmcnt(0)
	v_mul_f64 v[165:166], v[0:1], v[129:130]
	v_mul_f64 v[128:129], v[2:3], v[129:130]
	s_waitcnt vmcnt(56)
	v_fma_f64 v[113:114], v[79:80], v[115:116], -v[113:114]
	ds_read_b128 v[83:86], v135 offset:832
	v_fma_f64 v[109:110], v[81:82], v[115:116], v[109:110]
	v_add_f64 v[87:88], v[87:88], v[121:122]
	v_add_f64 v[89:90], v[89:90], v[105:106]
	s_clause 0x2
	buffer_load_dword v126, off, s[0:3], 0 offset:492
	buffer_load_dword v106, off, s[0:3], 0 offset:468
	;; [unrolled: 1-line block ×3, first 2 shown]
	ds_read_b128 v[79:82], v135 offset:848
	s_waitcnt vmcnt(58) lgkmcnt(1)
	v_mul_f64 v[121:122], v[85:86], v[131:132]
	s_waitcnt vmcnt(56)
	v_fma_f64 v[129:130], v[0:1], v[133:134], -v[128:129]
	v_mul_f64 v[115:116], v[83:84], v[131:132]
	v_add_f64 v[87:88], v[87:88], v[113:114]
	v_fma_f64 v[113:114], v[2:3], v[133:134], v[165:166]
	v_add_f64 v[89:90], v[89:90], v[109:110]
	s_clause 0x4
	buffer_load_dword v110, off, s[0:3], 0 offset:508
	buffer_load_dword v131, off, s[0:3], 0 offset:520
	;; [unrolled: 1-line block ×5, first 2 shown]
	s_waitcnt vmcnt(57) lgkmcnt(0)
	v_mul_f64 v[165:166], v[79:80], v[150:151]
	v_mul_f64 v[150:151], v[81:82], v[150:151]
	s_waitcnt vmcnt(56)
	v_fma_f64 v[121:122], v[83:84], v[123:124], -v[121:122]
	ds_read_b128 v[0:3], v135 offset:864
	v_fma_f64 v[115:116], v[85:86], v[123:124], v[115:116]
	v_add_f64 v[87:88], v[87:88], v[129:130]
	v_add_f64 v[89:90], v[89:90], v[113:114]
	s_clause 0x2
	buffer_load_dword v132, off, s[0:3], 0 offset:524
	buffer_load_dword v114, off, s[0:3], 0 offset:500
	;; [unrolled: 1-line block ×3, first 2 shown]
	ds_read_b128 v[83:86], v135 offset:880
	s_waitcnt vmcnt(58) lgkmcnt(1)
	v_mul_f64 v[129:130], v[2:3], v[152:153]
	s_waitcnt vmcnt(56)
	v_fma_f64 v[150:151], v[79:80], v[157:158], -v[150:151]
	v_mul_f64 v[123:124], v[0:1], v[152:153]
	v_add_f64 v[87:88], v[87:88], v[121:122]
	v_fma_f64 v[121:122], v[81:82], v[157:158], v[165:166]
	v_add_f64 v[89:90], v[89:90], v[115:116]
	s_clause 0x4
	buffer_load_dword v116, off, s[0:3], 0 offset:540
	buffer_load_dword v152, off, s[0:3], 0 offset:552
	buffer_load_dword v156, off, s[0:3], 0 offset:544
	buffer_load_dword v115, off, s[0:3], 0 offset:536
	buffer_load_dword v134, off, s[0:3], 0 offset:516
	ds_read_b128 v[79:82], v135 offset:896
	s_waitcnt vmcnt(57) lgkmcnt(1)
	v_mul_f64 v[157:158], v[83:84], v[148:149]
	v_mul_f64 v[148:149], v[85:86], v[148:149]
	s_waitcnt vmcnt(56)
	v_fma_f64 v[129:130], v[0:1], v[154:155], -v[129:130]
	v_fma_f64 v[123:124], v[2:3], v[154:155], v[123:124]
	v_add_f64 v[87:88], v[87:88], v[150:151]
	v_add_f64 v[89:90], v[89:90], v[121:122]
	s_clause 0x2
	buffer_load_dword v153, off, s[0:3], 0 offset:556
	buffer_load_dword v122, off, s[0:3], 0 offset:532
	;; [unrolled: 1-line block ×3, first 2 shown]
	ds_read_b128 v[0:3], v135 offset:912
	s_waitcnt vmcnt(58) lgkmcnt(1)
	v_mul_f64 v[154:155], v[81:82], v[161:162]
	v_mul_f64 v[150:151], v[79:80], v[161:162]
	s_waitcnt vmcnt(56)
	v_fma_f64 v[148:149], v[83:84], v[142:143], -v[148:149]
	v_add_f64 v[87:88], v[87:88], v[129:130]
	v_fma_f64 v[129:130], v[85:86], v[142:143], v[157:158]
	v_add_f64 v[89:90], v[89:90], v[123:124]
	s_clause 0x4
	buffer_load_dword v124, off, s[0:3], 0 offset:572
	buffer_load_dword v142, off, s[0:3], 0 offset:584
	;; [unrolled: 1-line block ×5, first 2 shown]
	ds_read_b128 v[83:86], v135 offset:928
	s_waitcnt vmcnt(57) lgkmcnt(1)
	v_mul_f64 v[165:166], v[0:1], v[99:100]
	v_mul_f64 v[99:100], v[2:3], v[99:100]
	s_waitcnt vmcnt(56)
	v_fma_f64 v[154:155], v[79:80], v[163:164], -v[154:155]
	v_add_f64 v[87:88], v[87:88], v[148:149]
	v_fma_f64 v[148:149], v[81:82], v[163:164], v[150:151]
	v_add_f64 v[89:90], v[89:90], v[129:130]
	s_clause 0x2
	buffer_load_dword v143, off, s[0:3], 0 offset:588
	buffer_load_dword v130, off, s[0:3], 0 offset:564
	;; [unrolled: 1-line block ×3, first 2 shown]
	ds_read_b128 v[79:82], v135 offset:944
	s_waitcnt vmcnt(58) lgkmcnt(1)
	v_mul_f64 v[150:151], v[83:84], v[144:145]
	v_mul_f64 v[144:145], v[85:86], v[144:145]
	s_waitcnt vmcnt(56)
	v_fma_f64 v[99:100], v[0:1], v[93:94], -v[99:100]
	v_fma_f64 v[93:94], v[2:3], v[93:94], v[165:166]
	v_add_f64 v[87:88], v[87:88], v[154:155]
	v_add_f64 v[89:90], v[89:90], v[148:149]
	s_clause 0x2
	buffer_load_dword v149, off, s[0:3], 0 offset:604
	buffer_load_dword v148, off, s[0:3], 0 offset:600
	;; [unrolled: 1-line block ×3, first 2 shown]
	ds_read_b128 v[0:3], v135 offset:960
	s_waitcnt vmcnt(55) lgkmcnt(1)
	v_mul_f64 v[154:155], v[79:80], v[136:137]
	v_mul_f64 v[136:137], v[81:82], v[136:137]
	s_waitcnt vmcnt(54)
	v_fma_f64 v[144:145], v[83:84], v[159:160], -v[144:145]
	v_add_f64 v[87:88], v[87:88], v[99:100]
	v_fma_f64 v[99:100], v[85:86], v[159:160], v[150:151]
	v_add_f64 v[89:90], v[89:90], v[93:94]
	s_clause 0x1
	buffer_load_dword v94, off, s[0:3], 0 offset:596
	buffer_load_dword v93, off, s[0:3], 0 offset:592
	ds_read_b128 v[83:86], v135 offset:976
	s_waitcnt vmcnt(55) lgkmcnt(1)
	v_mul_f64 v[150:151], v[0:1], v[138:139]
	v_mul_f64 v[138:139], v[2:3], v[138:139]
	s_waitcnt vmcnt(53)
	v_fma_f64 v[136:137], v[79:80], v[95:96], -v[136:137]
	v_fma_f64 v[95:96], v[81:82], v[95:96], v[154:155]
	ds_read_b128 v[79:82], v135 offset:992
	v_add_f64 v[87:88], v[87:88], v[144:145]
	v_add_f64 v[89:90], v[89:90], v[99:100]
	s_waitcnt vmcnt(49) lgkmcnt(1)
	v_mul_f64 v[99:100], v[83:84], v[91:92]
	v_mul_f64 v[91:92], v[85:86], v[91:92]
	s_waitcnt vmcnt(48)
	v_fma_f64 v[138:139], v[0:1], v[146:147], -v[138:139]
	v_add_f64 v[87:88], v[87:88], v[136:137]
	v_fma_f64 v[136:137], v[2:3], v[146:147], v[150:151]
	v_add_f64 v[89:90], v[89:90], v[95:96]
	s_clause 0x3
	buffer_load_dword v95, off, s[0:3], 0 offset:16
	buffer_load_dword v96, off, s[0:3], 0 offset:20
	;; [unrolled: 1-line block ×4, first 2 shown]
	ds_read_b128 v[0:3], v135 offset:1008
	s_waitcnt vmcnt(51) lgkmcnt(1)
	v_mul_f64 v[146:147], v[79:80], v[111:112]
	v_mul_f64 v[111:112], v[81:82], v[111:112]
	s_waitcnt vmcnt(49)
	v_fma_f64 v[91:92], v[83:84], v[101:102], -v[91:92]
	v_fma_f64 v[99:100], v[85:86], v[101:102], v[99:100]
	ds_read_b128 v[83:86], v135 offset:1024
	v_add_f64 v[87:88], v[87:88], v[138:139]
	v_add_f64 v[89:90], v[89:90], v[136:137]
	s_waitcnt vmcnt(45) lgkmcnt(1)
	v_mul_f64 v[101:102], v[0:1], v[97:98]
	v_mul_f64 v[97:98], v[2:3], v[97:98]
	s_waitcnt vmcnt(44)
	v_fma_f64 v[111:112], v[79:80], v[140:141], -v[111:112]
	v_add_f64 v[87:88], v[87:88], v[91:92]
	v_fma_f64 v[91:92], v[81:82], v[140:141], v[146:147]
	v_add_f64 v[89:90], v[89:90], v[99:100]
	s_waitcnt vmcnt(43) lgkmcnt(0)
	v_mul_f64 v[99:100], v[83:84], v[117:118]
	v_mul_f64 v[117:118], v[85:86], v[117:118]
	ds_read_b128 v[79:82], v135 offset:1040
	s_waitcnt vmcnt(41)
	v_fma_f64 v[101:102], v[2:3], v[107:108], v[101:102]
	v_fma_f64 v[97:98], v[0:1], v[107:108], -v[97:98]
	ds_read_b128 v[0:3], v135 offset:1056
	v_add_f64 v[87:88], v[87:88], v[111:112]
	v_add_f64 v[89:90], v[89:90], v[91:92]
	s_waitcnt vmcnt(37) lgkmcnt(1)
	v_mul_f64 v[91:92], v[79:80], v[103:104]
	v_mul_f64 v[103:104], v[81:82], v[103:104]
	s_waitcnt vmcnt(36)
	v_fma_f64 v[107:108], v[83:84], v[119:120], -v[117:118]
	v_add_f64 v[87:88], v[87:88], v[97:98]
	v_fma_f64 v[97:98], v[85:86], v[119:120], v[99:100]
	v_add_f64 v[89:90], v[89:90], v[101:102]
	ds_read_b128 v[83:86], v135 offset:1072
	s_waitcnt vmcnt(35) lgkmcnt(1)
	v_mul_f64 v[101:102], v[2:3], v[125:126]
	v_mul_f64 v[99:100], v[0:1], v[125:126]
	s_waitcnt vmcnt(33)
	v_fma_f64 v[103:104], v[79:80], v[105:106], -v[103:104]
	v_fma_f64 v[91:92], v[81:82], v[105:106], v[91:92]
	ds_read_b128 v[79:82], v135 offset:1088
	v_add_f64 v[87:88], v[87:88], v[107:108]
	v_add_f64 v[89:90], v[89:90], v[97:98]
	s_waitcnt vmcnt(29) lgkmcnt(1)
	v_mul_f64 v[105:106], v[85:86], v[109:110]
	s_waitcnt vmcnt(28)
	v_fma_f64 v[101:102], v[0:1], v[127:128], -v[101:102]
	v_mul_f64 v[97:98], v[83:84], v[109:110]
	v_fma_f64 v[99:100], v[2:3], v[127:128], v[99:100]
	ds_read_b128 v[0:3], v135 offset:1104
	v_add_f64 v[87:88], v[87:88], v[103:104]
	v_add_f64 v[89:90], v[89:90], v[91:92]
	s_waitcnt vmcnt(27) lgkmcnt(1)
	v_mul_f64 v[103:104], v[81:82], v[131:132]
	v_mul_f64 v[91:92], v[79:80], v[131:132]
	s_waitcnt vmcnt(25)
	v_fma_f64 v[105:106], v[83:84], v[113:114], -v[105:106]
	v_fma_f64 v[97:98], v[85:86], v[113:114], v[97:98]
	ds_read_b128 v[83:86], v135 offset:1120
	v_add_f64 v[87:88], v[87:88], v[101:102]
	v_add_f64 v[89:90], v[89:90], v[99:100]
	s_waitcnt vmcnt(21) lgkmcnt(1)
	v_mul_f64 v[101:102], v[2:3], v[115:116]
	s_waitcnt vmcnt(20)
	v_fma_f64 v[103:104], v[79:80], v[133:134], -v[103:104]
	v_mul_f64 v[99:100], v[0:1], v[115:116]
	v_fma_f64 v[91:92], v[81:82], v[133:134], v[91:92]
	ds_read_b128 v[79:82], v135 offset:1136
	v_add_f64 v[87:88], v[87:88], v[105:106]
	v_add_f64 v[89:90], v[89:90], v[97:98]
	s_waitcnt vmcnt(19) lgkmcnt(1)
	v_mul_f64 v[105:106], v[85:86], v[152:153]
	v_mul_f64 v[97:98], v[83:84], v[152:153]
	s_waitcnt vmcnt(17)
	v_fma_f64 v[101:102], v[0:1], v[121:122], -v[101:102]
	v_fma_f64 v[99:100], v[2:3], v[121:122], v[99:100]
	ds_read_b128 v[0:3], v135 offset:1152
	v_add_f64 v[87:88], v[87:88], v[103:104]
	v_add_f64 v[89:90], v[89:90], v[91:92]
	s_waitcnt vmcnt(13) lgkmcnt(1)
	v_mul_f64 v[103:104], v[81:82], v[123:124]
	s_waitcnt vmcnt(12)
	v_fma_f64 v[105:106], v[83:84], v[156:157], -v[105:106]
	v_mul_f64 v[91:92], v[79:80], v[123:124]
	v_fma_f64 v[97:98], v[85:86], v[156:157], v[97:98]
	ds_read_b128 v[83:86], v135 offset:1168
	v_add_f64 v[87:88], v[87:88], v[101:102]
	v_add_f64 v[89:90], v[89:90], v[99:100]
	s_waitcnt vmcnt(11) lgkmcnt(1)
	v_mul_f64 v[101:102], v[2:3], v[142:143]
	v_mul_f64 v[99:100], v[0:1], v[142:143]
	s_waitcnt vmcnt(9)
	v_fma_f64 v[79:80], v[79:80], v[129:130], -v[103:104]
	v_fma_f64 v[81:82], v[81:82], v[129:130], v[91:92]
	v_add_f64 v[87:88], v[87:88], v[105:106]
	v_add_f64 v[89:90], v[89:90], v[97:98]
	s_waitcnt vmcnt(7) lgkmcnt(0)
	v_mul_f64 v[97:98], v[85:86], v[148:149]
	s_waitcnt vmcnt(6)
	v_fma_f64 v[0:1], v[0:1], v[161:162], -v[101:102]
	v_mul_f64 v[91:92], v[83:84], v[148:149]
	v_fma_f64 v[2:3], v[2:3], v[161:162], v[99:100]
	v_add_f64 v[79:80], v[87:88], v[79:80]
	v_add_f64 v[81:82], v[89:90], v[81:82]
	s_waitcnt vmcnt(4)
	v_fma_f64 v[83:84], v[83:84], v[93:94], -v[97:98]
	v_add_f64 v[0:1], v[79:80], v[0:1]
	v_fma_f64 v[79:80], v[85:86], v[93:94], v[91:92]
	v_add_f64 v[2:3], v[81:82], v[2:3]
	v_add_f64 v[0:1], v[0:1], v[83:84]
	;; [unrolled: 1-line block ×3, first 2 shown]
	s_waitcnt vmcnt(2)
	v_add_f64 v[0:1], v[95:96], -v[0:1]
	s_waitcnt vmcnt(0)
	v_add_f64 v[2:3], v[144:145], -v[2:3]
	buffer_store_dword v1, off, s[0:3], 0 offset:20
	buffer_store_dword v0, off, s[0:3], 0 offset:16
	;; [unrolled: 1-line block ×4, first 2 shown]
	s_cbranch_vccz .LBB100_308
; %bb.236:
	v_mov_b32_e32 v0, 0
	global_load_dword v1, v0, s[12:13] offset:140
	s_waitcnt vmcnt(0)
	v_add_nc_u32_e32 v1, -1, v1
	v_cmp_ne_u32_e32 vcc_lo, 35, v1
	s_cbranch_vccz .LBB100_238
; %bb.237:
	v_lshlrev_b32_e32 v1, 4, v1
	v_mov_b32_e32 v2, s9
	v_add_nc_u32_e32 v1, 16, v1
	s_clause 0x7
	buffer_load_dword v3, v1, s[0:3], 0 offen
	buffer_load_dword v4, v1, s[0:3], 0 offen offset:4
	buffer_load_dword v79, v1, s[0:3], 0 offen offset:8
	;; [unrolled: 1-line block ×6, first 2 shown]
	buffer_load_dword v84, v2, s[0:3], 0 offen
	s_waitcnt vmcnt(7)
	buffer_store_dword v3, v2, s[0:3], 0 offen
	s_waitcnt vmcnt(6)
	buffer_store_dword v4, v2, s[0:3], 0 offen offset:4
	s_waitcnt vmcnt(5)
	buffer_store_dword v79, v2, s[0:3], 0 offen offset:8
	;; [unrolled: 2-line block ×6, first 2 shown]
	s_waitcnt vmcnt(0)
	buffer_store_dword v84, v1, s[0:3], 0 offen
.LBB100_238:
	global_load_dword v0, v0, s[12:13] offset:136
	s_waitcnt vmcnt(0)
	v_add_nc_u32_e32 v0, -1, v0
	v_cmp_eq_u32_e32 vcc_lo, 34, v0
	s_cbranch_vccnz .LBB100_240
; %bb.239:
	v_lshlrev_b32_e32 v0, 4, v0
	v_mov_b32_e32 v1, s14
	v_add_nc_u32_e32 v0, 16, v0
	s_clause 0x7
	buffer_load_dword v2, v0, s[0:3], 0 offen
	buffer_load_dword v3, v0, s[0:3], 0 offen offset:4
	buffer_load_dword v4, v0, s[0:3], 0 offen offset:8
	;; [unrolled: 1-line block ×6, first 2 shown]
	buffer_load_dword v83, v1, s[0:3], 0 offen
	s_waitcnt vmcnt(7)
	buffer_store_dword v2, v1, s[0:3], 0 offen
	s_waitcnt vmcnt(6)
	buffer_store_dword v3, v1, s[0:3], 0 offen offset:4
	s_waitcnt vmcnt(5)
	buffer_store_dword v4, v1, s[0:3], 0 offen offset:8
	;; [unrolled: 2-line block ×6, first 2 shown]
	s_waitcnt vmcnt(0)
	buffer_store_dword v83, v0, s[0:3], 0 offen
.LBB100_240:
	v_mov_b32_e32 v0, 0
	global_load_dword v1, v0, s[12:13] offset:132
	s_waitcnt vmcnt(0)
	v_add_nc_u32_e32 v1, -1, v1
	v_cmp_eq_u32_e32 vcc_lo, 33, v1
	s_cbranch_vccnz .LBB100_242
; %bb.241:
	v_lshlrev_b32_e32 v1, 4, v1
	v_mov_b32_e32 v2, s15
	v_add_nc_u32_e32 v1, 16, v1
	s_clause 0x7
	buffer_load_dword v3, v1, s[0:3], 0 offen
	buffer_load_dword v4, v1, s[0:3], 0 offen offset:4
	buffer_load_dword v79, v1, s[0:3], 0 offen offset:8
	;; [unrolled: 1-line block ×6, first 2 shown]
	buffer_load_dword v84, v2, s[0:3], 0 offen
	s_waitcnt vmcnt(7)
	buffer_store_dword v3, v2, s[0:3], 0 offen
	s_waitcnt vmcnt(6)
	buffer_store_dword v4, v2, s[0:3], 0 offen offset:4
	s_waitcnt vmcnt(5)
	buffer_store_dword v79, v2, s[0:3], 0 offen offset:8
	;; [unrolled: 2-line block ×6, first 2 shown]
	s_waitcnt vmcnt(0)
	buffer_store_dword v84, v1, s[0:3], 0 offen
.LBB100_242:
	global_load_dword v0, v0, s[12:13] offset:128
	s_waitcnt vmcnt(0)
	v_add_nc_u32_e32 v0, -1, v0
	v_cmp_eq_u32_e32 vcc_lo, 32, v0
	s_cbranch_vccnz .LBB100_244
; %bb.243:
	v_lshlrev_b32_e32 v0, 4, v0
	v_mov_b32_e32 v1, s16
	v_add_nc_u32_e32 v0, 16, v0
	s_clause 0x7
	buffer_load_dword v2, v0, s[0:3], 0 offen
	buffer_load_dword v3, v0, s[0:3], 0 offen offset:4
	buffer_load_dword v4, v0, s[0:3], 0 offen offset:8
	buffer_load_dword v79, v0, s[0:3], 0 offen offset:12
	buffer_load_dword v80, v1, s[0:3], 0 offen offset:12
	buffer_load_dword v81, v1, s[0:3], 0 offen offset:8
	buffer_load_dword v82, v1, s[0:3], 0 offen offset:4
	buffer_load_dword v83, v1, s[0:3], 0 offen
	s_waitcnt vmcnt(7)
	buffer_store_dword v2, v1, s[0:3], 0 offen
	s_waitcnt vmcnt(6)
	buffer_store_dword v3, v1, s[0:3], 0 offen offset:4
	s_waitcnt vmcnt(5)
	buffer_store_dword v4, v1, s[0:3], 0 offen offset:8
	;; [unrolled: 2-line block ×6, first 2 shown]
	s_waitcnt vmcnt(0)
	buffer_store_dword v83, v0, s[0:3], 0 offen
.LBB100_244:
	v_mov_b32_e32 v0, 0
	global_load_dword v1, v0, s[12:13] offset:124
	s_waitcnt vmcnt(0)
	v_add_nc_u32_e32 v1, -1, v1
	v_cmp_eq_u32_e32 vcc_lo, 31, v1
	s_cbranch_vccnz .LBB100_246
; %bb.245:
	v_lshlrev_b32_e32 v1, 4, v1
	v_mov_b32_e32 v2, s17
	v_add_nc_u32_e32 v1, 16, v1
	s_clause 0x7
	buffer_load_dword v3, v1, s[0:3], 0 offen
	buffer_load_dword v4, v1, s[0:3], 0 offen offset:4
	buffer_load_dword v79, v1, s[0:3], 0 offen offset:8
	;; [unrolled: 1-line block ×6, first 2 shown]
	buffer_load_dword v84, v2, s[0:3], 0 offen
	s_waitcnt vmcnt(7)
	buffer_store_dword v3, v2, s[0:3], 0 offen
	s_waitcnt vmcnt(6)
	buffer_store_dword v4, v2, s[0:3], 0 offen offset:4
	s_waitcnt vmcnt(5)
	buffer_store_dword v79, v2, s[0:3], 0 offen offset:8
	;; [unrolled: 2-line block ×6, first 2 shown]
	s_waitcnt vmcnt(0)
	buffer_store_dword v84, v1, s[0:3], 0 offen
.LBB100_246:
	global_load_dword v0, v0, s[12:13] offset:120
	s_waitcnt vmcnt(0)
	v_add_nc_u32_e32 v0, -1, v0
	v_cmp_eq_u32_e32 vcc_lo, 30, v0
	s_cbranch_vccnz .LBB100_248
; %bb.247:
	v_lshlrev_b32_e32 v0, 4, v0
	v_mov_b32_e32 v1, s18
	v_add_nc_u32_e32 v0, 16, v0
	s_clause 0x7
	buffer_load_dword v2, v0, s[0:3], 0 offen
	buffer_load_dword v3, v0, s[0:3], 0 offen offset:4
	buffer_load_dword v4, v0, s[0:3], 0 offen offset:8
	;; [unrolled: 1-line block ×6, first 2 shown]
	buffer_load_dword v83, v1, s[0:3], 0 offen
	s_waitcnt vmcnt(7)
	buffer_store_dword v2, v1, s[0:3], 0 offen
	s_waitcnt vmcnt(6)
	buffer_store_dword v3, v1, s[0:3], 0 offen offset:4
	s_waitcnt vmcnt(5)
	buffer_store_dword v4, v1, s[0:3], 0 offen offset:8
	;; [unrolled: 2-line block ×6, first 2 shown]
	s_waitcnt vmcnt(0)
	buffer_store_dword v83, v0, s[0:3], 0 offen
.LBB100_248:
	v_mov_b32_e32 v0, 0
	global_load_dword v1, v0, s[12:13] offset:116
	s_waitcnt vmcnt(0)
	v_add_nc_u32_e32 v1, -1, v1
	v_cmp_eq_u32_e32 vcc_lo, 29, v1
	s_cbranch_vccnz .LBB100_250
; %bb.249:
	v_lshlrev_b32_e32 v1, 4, v1
	v_mov_b32_e32 v2, s19
	v_add_nc_u32_e32 v1, 16, v1
	s_clause 0x7
	buffer_load_dword v3, v1, s[0:3], 0 offen
	buffer_load_dword v4, v1, s[0:3], 0 offen offset:4
	buffer_load_dword v79, v1, s[0:3], 0 offen offset:8
	;; [unrolled: 1-line block ×6, first 2 shown]
	buffer_load_dword v84, v2, s[0:3], 0 offen
	s_waitcnt vmcnt(7)
	buffer_store_dword v3, v2, s[0:3], 0 offen
	s_waitcnt vmcnt(6)
	buffer_store_dword v4, v2, s[0:3], 0 offen offset:4
	s_waitcnt vmcnt(5)
	buffer_store_dword v79, v2, s[0:3], 0 offen offset:8
	;; [unrolled: 2-line block ×6, first 2 shown]
	s_waitcnt vmcnt(0)
	buffer_store_dword v84, v1, s[0:3], 0 offen
.LBB100_250:
	global_load_dword v0, v0, s[12:13] offset:112
	s_waitcnt vmcnt(0)
	v_add_nc_u32_e32 v0, -1, v0
	v_cmp_eq_u32_e32 vcc_lo, 28, v0
	s_cbranch_vccnz .LBB100_252
; %bb.251:
	v_lshlrev_b32_e32 v0, 4, v0
	v_mov_b32_e32 v1, s20
	v_add_nc_u32_e32 v0, 16, v0
	s_clause 0x7
	buffer_load_dword v2, v0, s[0:3], 0 offen
	buffer_load_dword v3, v0, s[0:3], 0 offen offset:4
	buffer_load_dword v4, v0, s[0:3], 0 offen offset:8
	;; [unrolled: 1-line block ×6, first 2 shown]
	buffer_load_dword v83, v1, s[0:3], 0 offen
	s_waitcnt vmcnt(7)
	buffer_store_dword v2, v1, s[0:3], 0 offen
	s_waitcnt vmcnt(6)
	buffer_store_dword v3, v1, s[0:3], 0 offen offset:4
	s_waitcnt vmcnt(5)
	buffer_store_dword v4, v1, s[0:3], 0 offen offset:8
	;; [unrolled: 2-line block ×6, first 2 shown]
	s_waitcnt vmcnt(0)
	buffer_store_dword v83, v0, s[0:3], 0 offen
.LBB100_252:
	v_mov_b32_e32 v0, 0
	global_load_dword v1, v0, s[12:13] offset:108
	s_waitcnt vmcnt(0)
	v_add_nc_u32_e32 v1, -1, v1
	v_cmp_eq_u32_e32 vcc_lo, 27, v1
	s_cbranch_vccnz .LBB100_254
; %bb.253:
	v_lshlrev_b32_e32 v1, 4, v1
	v_mov_b32_e32 v2, s21
	v_add_nc_u32_e32 v1, 16, v1
	s_clause 0x7
	buffer_load_dword v3, v1, s[0:3], 0 offen
	buffer_load_dword v4, v1, s[0:3], 0 offen offset:4
	buffer_load_dword v79, v1, s[0:3], 0 offen offset:8
	;; [unrolled: 1-line block ×6, first 2 shown]
	buffer_load_dword v84, v2, s[0:3], 0 offen
	s_waitcnt vmcnt(7)
	buffer_store_dword v3, v2, s[0:3], 0 offen
	s_waitcnt vmcnt(6)
	buffer_store_dword v4, v2, s[0:3], 0 offen offset:4
	s_waitcnt vmcnt(5)
	buffer_store_dword v79, v2, s[0:3], 0 offen offset:8
	;; [unrolled: 2-line block ×6, first 2 shown]
	s_waitcnt vmcnt(0)
	buffer_store_dword v84, v1, s[0:3], 0 offen
.LBB100_254:
	global_load_dword v0, v0, s[12:13] offset:104
	s_waitcnt vmcnt(0)
	v_add_nc_u32_e32 v0, -1, v0
	v_cmp_eq_u32_e32 vcc_lo, 26, v0
	s_cbranch_vccnz .LBB100_256
; %bb.255:
	v_lshlrev_b32_e32 v0, 4, v0
	v_mov_b32_e32 v1, s22
	v_add_nc_u32_e32 v0, 16, v0
	s_clause 0x7
	buffer_load_dword v2, v0, s[0:3], 0 offen
	buffer_load_dword v3, v0, s[0:3], 0 offen offset:4
	buffer_load_dword v4, v0, s[0:3], 0 offen offset:8
	;; [unrolled: 1-line block ×6, first 2 shown]
	buffer_load_dword v83, v1, s[0:3], 0 offen
	s_waitcnt vmcnt(7)
	buffer_store_dword v2, v1, s[0:3], 0 offen
	s_waitcnt vmcnt(6)
	buffer_store_dword v3, v1, s[0:3], 0 offen offset:4
	s_waitcnt vmcnt(5)
	buffer_store_dword v4, v1, s[0:3], 0 offen offset:8
	;; [unrolled: 2-line block ×6, first 2 shown]
	s_waitcnt vmcnt(0)
	buffer_store_dword v83, v0, s[0:3], 0 offen
.LBB100_256:
	v_mov_b32_e32 v0, 0
	global_load_dword v1, v0, s[12:13] offset:100
	s_waitcnt vmcnt(0)
	v_add_nc_u32_e32 v1, -1, v1
	v_cmp_eq_u32_e32 vcc_lo, 25, v1
	s_cbranch_vccnz .LBB100_258
; %bb.257:
	v_lshlrev_b32_e32 v1, 4, v1
	v_mov_b32_e32 v2, s23
	v_add_nc_u32_e32 v1, 16, v1
	s_clause 0x7
	buffer_load_dword v3, v1, s[0:3], 0 offen
	buffer_load_dword v4, v1, s[0:3], 0 offen offset:4
	buffer_load_dword v79, v1, s[0:3], 0 offen offset:8
	;; [unrolled: 1-line block ×6, first 2 shown]
	buffer_load_dword v84, v2, s[0:3], 0 offen
	s_waitcnt vmcnt(7)
	buffer_store_dword v3, v2, s[0:3], 0 offen
	s_waitcnt vmcnt(6)
	buffer_store_dword v4, v2, s[0:3], 0 offen offset:4
	s_waitcnt vmcnt(5)
	buffer_store_dword v79, v2, s[0:3], 0 offen offset:8
	;; [unrolled: 2-line block ×6, first 2 shown]
	s_waitcnt vmcnt(0)
	buffer_store_dword v84, v1, s[0:3], 0 offen
.LBB100_258:
	global_load_dword v0, v0, s[12:13] offset:96
	s_waitcnt vmcnt(0)
	v_add_nc_u32_e32 v0, -1, v0
	v_cmp_eq_u32_e32 vcc_lo, 24, v0
	s_cbranch_vccnz .LBB100_260
; %bb.259:
	v_lshlrev_b32_e32 v0, 4, v0
	v_mov_b32_e32 v1, s24
	v_add_nc_u32_e32 v0, 16, v0
	s_clause 0x7
	buffer_load_dword v2, v0, s[0:3], 0 offen
	buffer_load_dword v3, v0, s[0:3], 0 offen offset:4
	buffer_load_dword v4, v0, s[0:3], 0 offen offset:8
	;; [unrolled: 1-line block ×6, first 2 shown]
	buffer_load_dword v83, v1, s[0:3], 0 offen
	s_waitcnt vmcnt(7)
	buffer_store_dword v2, v1, s[0:3], 0 offen
	s_waitcnt vmcnt(6)
	buffer_store_dword v3, v1, s[0:3], 0 offen offset:4
	s_waitcnt vmcnt(5)
	buffer_store_dword v4, v1, s[0:3], 0 offen offset:8
	;; [unrolled: 2-line block ×6, first 2 shown]
	s_waitcnt vmcnt(0)
	buffer_store_dword v83, v0, s[0:3], 0 offen
.LBB100_260:
	v_mov_b32_e32 v0, 0
	global_load_dword v1, v0, s[12:13] offset:92
	s_waitcnt vmcnt(0)
	v_add_nc_u32_e32 v1, -1, v1
	v_cmp_eq_u32_e32 vcc_lo, 23, v1
	s_cbranch_vccnz .LBB100_262
; %bb.261:
	v_lshlrev_b32_e32 v1, 4, v1
	v_mov_b32_e32 v2, s25
	v_add_nc_u32_e32 v1, 16, v1
	s_clause 0x7
	buffer_load_dword v3, v1, s[0:3], 0 offen
	buffer_load_dword v4, v1, s[0:3], 0 offen offset:4
	buffer_load_dword v79, v1, s[0:3], 0 offen offset:8
	;; [unrolled: 1-line block ×6, first 2 shown]
	buffer_load_dword v84, v2, s[0:3], 0 offen
	s_waitcnt vmcnt(7)
	buffer_store_dword v3, v2, s[0:3], 0 offen
	s_waitcnt vmcnt(6)
	buffer_store_dword v4, v2, s[0:3], 0 offen offset:4
	s_waitcnt vmcnt(5)
	buffer_store_dword v79, v2, s[0:3], 0 offen offset:8
	;; [unrolled: 2-line block ×6, first 2 shown]
	s_waitcnt vmcnt(0)
	buffer_store_dword v84, v1, s[0:3], 0 offen
.LBB100_262:
	global_load_dword v0, v0, s[12:13] offset:88
	s_waitcnt vmcnt(0)
	v_add_nc_u32_e32 v0, -1, v0
	v_cmp_eq_u32_e32 vcc_lo, 22, v0
	s_cbranch_vccnz .LBB100_264
; %bb.263:
	v_lshlrev_b32_e32 v0, 4, v0
	v_mov_b32_e32 v1, s26
	v_add_nc_u32_e32 v0, 16, v0
	s_clause 0x7
	buffer_load_dword v2, v0, s[0:3], 0 offen
	buffer_load_dword v3, v0, s[0:3], 0 offen offset:4
	buffer_load_dword v4, v0, s[0:3], 0 offen offset:8
	;; [unrolled: 1-line block ×6, first 2 shown]
	buffer_load_dword v83, v1, s[0:3], 0 offen
	s_waitcnt vmcnt(7)
	buffer_store_dword v2, v1, s[0:3], 0 offen
	s_waitcnt vmcnt(6)
	buffer_store_dword v3, v1, s[0:3], 0 offen offset:4
	s_waitcnt vmcnt(5)
	buffer_store_dword v4, v1, s[0:3], 0 offen offset:8
	;; [unrolled: 2-line block ×6, first 2 shown]
	s_waitcnt vmcnt(0)
	buffer_store_dword v83, v0, s[0:3], 0 offen
.LBB100_264:
	v_mov_b32_e32 v0, 0
	global_load_dword v1, v0, s[12:13] offset:84
	s_waitcnt vmcnt(0)
	v_add_nc_u32_e32 v1, -1, v1
	v_cmp_eq_u32_e32 vcc_lo, 21, v1
	s_cbranch_vccnz .LBB100_266
; %bb.265:
	v_lshlrev_b32_e32 v1, 4, v1
	v_mov_b32_e32 v2, s27
	v_add_nc_u32_e32 v1, 16, v1
	s_clause 0x7
	buffer_load_dword v3, v1, s[0:3], 0 offen
	buffer_load_dword v4, v1, s[0:3], 0 offen offset:4
	buffer_load_dword v79, v1, s[0:3], 0 offen offset:8
	;; [unrolled: 1-line block ×6, first 2 shown]
	buffer_load_dword v84, v2, s[0:3], 0 offen
	s_waitcnt vmcnt(7)
	buffer_store_dword v3, v2, s[0:3], 0 offen
	s_waitcnt vmcnt(6)
	buffer_store_dword v4, v2, s[0:3], 0 offen offset:4
	s_waitcnt vmcnt(5)
	buffer_store_dword v79, v2, s[0:3], 0 offen offset:8
	;; [unrolled: 2-line block ×6, first 2 shown]
	s_waitcnt vmcnt(0)
	buffer_store_dword v84, v1, s[0:3], 0 offen
.LBB100_266:
	global_load_dword v0, v0, s[12:13] offset:80
	s_waitcnt vmcnt(0)
	v_add_nc_u32_e32 v0, -1, v0
	v_cmp_eq_u32_e32 vcc_lo, 20, v0
	s_cbranch_vccnz .LBB100_268
; %bb.267:
	v_lshlrev_b32_e32 v0, 4, v0
	v_mov_b32_e32 v1, s28
	v_add_nc_u32_e32 v0, 16, v0
	s_clause 0x7
	buffer_load_dword v2, v0, s[0:3], 0 offen
	buffer_load_dword v3, v0, s[0:3], 0 offen offset:4
	buffer_load_dword v4, v0, s[0:3], 0 offen offset:8
	;; [unrolled: 1-line block ×6, first 2 shown]
	buffer_load_dword v83, v1, s[0:3], 0 offen
	s_waitcnt vmcnt(7)
	buffer_store_dword v2, v1, s[0:3], 0 offen
	s_waitcnt vmcnt(6)
	buffer_store_dword v3, v1, s[0:3], 0 offen offset:4
	s_waitcnt vmcnt(5)
	buffer_store_dword v4, v1, s[0:3], 0 offen offset:8
	;; [unrolled: 2-line block ×6, first 2 shown]
	s_waitcnt vmcnt(0)
	buffer_store_dword v83, v0, s[0:3], 0 offen
.LBB100_268:
	v_mov_b32_e32 v0, 0
	global_load_dword v1, v0, s[12:13] offset:76
	s_waitcnt vmcnt(0)
	v_add_nc_u32_e32 v1, -1, v1
	v_cmp_eq_u32_e32 vcc_lo, 19, v1
	s_cbranch_vccnz .LBB100_270
; %bb.269:
	v_lshlrev_b32_e32 v1, 4, v1
	v_mov_b32_e32 v2, s29
	v_add_nc_u32_e32 v1, 16, v1
	s_clause 0x7
	buffer_load_dword v3, v1, s[0:3], 0 offen
	buffer_load_dword v4, v1, s[0:3], 0 offen offset:4
	buffer_load_dword v79, v1, s[0:3], 0 offen offset:8
	;; [unrolled: 1-line block ×6, first 2 shown]
	buffer_load_dword v84, v2, s[0:3], 0 offen
	s_waitcnt vmcnt(7)
	buffer_store_dword v3, v2, s[0:3], 0 offen
	s_waitcnt vmcnt(6)
	buffer_store_dword v4, v2, s[0:3], 0 offen offset:4
	s_waitcnt vmcnt(5)
	buffer_store_dword v79, v2, s[0:3], 0 offen offset:8
	;; [unrolled: 2-line block ×6, first 2 shown]
	s_waitcnt vmcnt(0)
	buffer_store_dword v84, v1, s[0:3], 0 offen
.LBB100_270:
	global_load_dword v0, v0, s[12:13] offset:72
	s_waitcnt vmcnt(0)
	v_add_nc_u32_e32 v0, -1, v0
	v_cmp_eq_u32_e32 vcc_lo, 18, v0
	s_cbranch_vccnz .LBB100_272
; %bb.271:
	v_lshlrev_b32_e32 v0, 4, v0
	v_mov_b32_e32 v1, s30
	v_add_nc_u32_e32 v0, 16, v0
	s_clause 0x7
	buffer_load_dword v2, v0, s[0:3], 0 offen
	buffer_load_dword v3, v0, s[0:3], 0 offen offset:4
	buffer_load_dword v4, v0, s[0:3], 0 offen offset:8
	;; [unrolled: 1-line block ×6, first 2 shown]
	buffer_load_dword v83, v1, s[0:3], 0 offen
	s_waitcnt vmcnt(7)
	buffer_store_dword v2, v1, s[0:3], 0 offen
	s_waitcnt vmcnt(6)
	buffer_store_dword v3, v1, s[0:3], 0 offen offset:4
	s_waitcnt vmcnt(5)
	buffer_store_dword v4, v1, s[0:3], 0 offen offset:8
	;; [unrolled: 2-line block ×6, first 2 shown]
	s_waitcnt vmcnt(0)
	buffer_store_dword v83, v0, s[0:3], 0 offen
.LBB100_272:
	v_mov_b32_e32 v0, 0
	global_load_dword v1, v0, s[12:13] offset:68
	s_waitcnt vmcnt(0)
	v_add_nc_u32_e32 v1, -1, v1
	v_cmp_eq_u32_e32 vcc_lo, 17, v1
	s_cbranch_vccnz .LBB100_274
; %bb.273:
	v_lshlrev_b32_e32 v1, 4, v1
	v_mov_b32_e32 v2, s31
	v_add_nc_u32_e32 v1, 16, v1
	s_clause 0x7
	buffer_load_dword v3, v1, s[0:3], 0 offen
	buffer_load_dword v4, v1, s[0:3], 0 offen offset:4
	buffer_load_dword v79, v1, s[0:3], 0 offen offset:8
	;; [unrolled: 1-line block ×6, first 2 shown]
	buffer_load_dword v84, v2, s[0:3], 0 offen
	s_waitcnt vmcnt(7)
	buffer_store_dword v3, v2, s[0:3], 0 offen
	s_waitcnt vmcnt(6)
	buffer_store_dword v4, v2, s[0:3], 0 offen offset:4
	s_waitcnt vmcnt(5)
	buffer_store_dword v79, v2, s[0:3], 0 offen offset:8
	;; [unrolled: 2-line block ×6, first 2 shown]
	s_waitcnt vmcnt(0)
	buffer_store_dword v84, v1, s[0:3], 0 offen
.LBB100_274:
	global_load_dword v0, v0, s[12:13] offset:64
	s_waitcnt vmcnt(0)
	v_add_nc_u32_e32 v0, -1, v0
	v_cmp_eq_u32_e32 vcc_lo, 16, v0
	s_cbranch_vccnz .LBB100_276
; %bb.275:
	v_lshlrev_b32_e32 v0, 4, v0
	v_mov_b32_e32 v1, s33
	v_add_nc_u32_e32 v0, 16, v0
	s_clause 0x7
	buffer_load_dword v2, v0, s[0:3], 0 offen
	buffer_load_dword v3, v0, s[0:3], 0 offen offset:4
	buffer_load_dword v4, v0, s[0:3], 0 offen offset:8
	;; [unrolled: 1-line block ×6, first 2 shown]
	buffer_load_dword v83, v1, s[0:3], 0 offen
	s_waitcnt vmcnt(7)
	buffer_store_dword v2, v1, s[0:3], 0 offen
	s_waitcnt vmcnt(6)
	buffer_store_dword v3, v1, s[0:3], 0 offen offset:4
	s_waitcnt vmcnt(5)
	buffer_store_dword v4, v1, s[0:3], 0 offen offset:8
	;; [unrolled: 2-line block ×6, first 2 shown]
	s_waitcnt vmcnt(0)
	buffer_store_dword v83, v0, s[0:3], 0 offen
.LBB100_276:
	v_mov_b32_e32 v0, 0
	global_load_dword v1, v0, s[12:13] offset:60
	s_waitcnt vmcnt(0)
	v_add_nc_u32_e32 v1, -1, v1
	v_cmp_eq_u32_e32 vcc_lo, 15, v1
	s_cbranch_vccnz .LBB100_278
; %bb.277:
	v_lshlrev_b32_e32 v1, 4, v1
	v_mov_b32_e32 v2, s34
	v_add_nc_u32_e32 v1, 16, v1
	s_clause 0x7
	buffer_load_dword v3, v1, s[0:3], 0 offen
	buffer_load_dword v4, v1, s[0:3], 0 offen offset:4
	buffer_load_dword v79, v1, s[0:3], 0 offen offset:8
	;; [unrolled: 1-line block ×6, first 2 shown]
	buffer_load_dword v84, v2, s[0:3], 0 offen
	s_waitcnt vmcnt(7)
	buffer_store_dword v3, v2, s[0:3], 0 offen
	s_waitcnt vmcnt(6)
	buffer_store_dword v4, v2, s[0:3], 0 offen offset:4
	s_waitcnt vmcnt(5)
	buffer_store_dword v79, v2, s[0:3], 0 offen offset:8
	;; [unrolled: 2-line block ×6, first 2 shown]
	s_waitcnt vmcnt(0)
	buffer_store_dword v84, v1, s[0:3], 0 offen
.LBB100_278:
	global_load_dword v0, v0, s[12:13] offset:56
	s_waitcnt vmcnt(0)
	v_add_nc_u32_e32 v0, -1, v0
	v_cmp_eq_u32_e32 vcc_lo, 14, v0
	s_cbranch_vccnz .LBB100_280
; %bb.279:
	v_lshlrev_b32_e32 v0, 4, v0
	v_mov_b32_e32 v1, s35
	v_add_nc_u32_e32 v0, 16, v0
	s_clause 0x7
	buffer_load_dword v2, v0, s[0:3], 0 offen
	buffer_load_dword v3, v0, s[0:3], 0 offen offset:4
	buffer_load_dword v4, v0, s[0:3], 0 offen offset:8
	buffer_load_dword v79, v0, s[0:3], 0 offen offset:12
	buffer_load_dword v80, v1, s[0:3], 0 offen offset:12
	buffer_load_dword v81, v1, s[0:3], 0 offen offset:8
	buffer_load_dword v82, v1, s[0:3], 0 offen offset:4
	buffer_load_dword v83, v1, s[0:3], 0 offen
	s_waitcnt vmcnt(7)
	buffer_store_dword v2, v1, s[0:3], 0 offen
	s_waitcnt vmcnt(6)
	buffer_store_dword v3, v1, s[0:3], 0 offen offset:4
	s_waitcnt vmcnt(5)
	buffer_store_dword v4, v1, s[0:3], 0 offen offset:8
	;; [unrolled: 2-line block ×6, first 2 shown]
	s_waitcnt vmcnt(0)
	buffer_store_dword v83, v0, s[0:3], 0 offen
.LBB100_280:
	v_mov_b32_e32 v0, 0
	global_load_dword v1, v0, s[12:13] offset:52
	s_waitcnt vmcnt(0)
	v_add_nc_u32_e32 v1, -1, v1
	v_cmp_eq_u32_e32 vcc_lo, 13, v1
	s_cbranch_vccnz .LBB100_282
; %bb.281:
	v_lshlrev_b32_e32 v1, 4, v1
	v_mov_b32_e32 v2, s36
	v_add_nc_u32_e32 v1, 16, v1
	s_clause 0x7
	buffer_load_dword v3, v1, s[0:3], 0 offen
	buffer_load_dword v4, v1, s[0:3], 0 offen offset:4
	buffer_load_dword v79, v1, s[0:3], 0 offen offset:8
	;; [unrolled: 1-line block ×6, first 2 shown]
	buffer_load_dword v84, v2, s[0:3], 0 offen
	s_waitcnt vmcnt(7)
	buffer_store_dword v3, v2, s[0:3], 0 offen
	s_waitcnt vmcnt(6)
	buffer_store_dword v4, v2, s[0:3], 0 offen offset:4
	s_waitcnt vmcnt(5)
	buffer_store_dword v79, v2, s[0:3], 0 offen offset:8
	;; [unrolled: 2-line block ×6, first 2 shown]
	s_waitcnt vmcnt(0)
	buffer_store_dword v84, v1, s[0:3], 0 offen
.LBB100_282:
	global_load_dword v0, v0, s[12:13] offset:48
	s_waitcnt vmcnt(0)
	v_add_nc_u32_e32 v0, -1, v0
	v_cmp_eq_u32_e32 vcc_lo, 12, v0
	s_cbranch_vccnz .LBB100_284
; %bb.283:
	v_lshlrev_b32_e32 v0, 4, v0
	v_mov_b32_e32 v1, s37
	v_add_nc_u32_e32 v0, 16, v0
	s_clause 0x7
	buffer_load_dword v2, v0, s[0:3], 0 offen
	buffer_load_dword v3, v0, s[0:3], 0 offen offset:4
	buffer_load_dword v4, v0, s[0:3], 0 offen offset:8
	buffer_load_dword v79, v0, s[0:3], 0 offen offset:12
	buffer_load_dword v80, v1, s[0:3], 0 offen offset:12
	buffer_load_dword v81, v1, s[0:3], 0 offen offset:8
	buffer_load_dword v82, v1, s[0:3], 0 offen offset:4
	buffer_load_dword v83, v1, s[0:3], 0 offen
	s_waitcnt vmcnt(7)
	buffer_store_dword v2, v1, s[0:3], 0 offen
	s_waitcnt vmcnt(6)
	buffer_store_dword v3, v1, s[0:3], 0 offen offset:4
	s_waitcnt vmcnt(5)
	buffer_store_dword v4, v1, s[0:3], 0 offen offset:8
	;; [unrolled: 2-line block ×6, first 2 shown]
	s_waitcnt vmcnt(0)
	buffer_store_dword v83, v0, s[0:3], 0 offen
.LBB100_284:
	v_mov_b32_e32 v0, 0
	global_load_dword v1, v0, s[12:13] offset:44
	s_waitcnt vmcnt(0)
	v_add_nc_u32_e32 v1, -1, v1
	v_cmp_eq_u32_e32 vcc_lo, 11, v1
	s_cbranch_vccnz .LBB100_286
; %bb.285:
	v_lshlrev_b32_e32 v1, 4, v1
	v_mov_b32_e32 v2, s38
	v_add_nc_u32_e32 v1, 16, v1
	s_clause 0x7
	buffer_load_dword v3, v1, s[0:3], 0 offen
	buffer_load_dword v4, v1, s[0:3], 0 offen offset:4
	buffer_load_dword v79, v1, s[0:3], 0 offen offset:8
	;; [unrolled: 1-line block ×6, first 2 shown]
	buffer_load_dword v84, v2, s[0:3], 0 offen
	s_waitcnt vmcnt(7)
	buffer_store_dword v3, v2, s[0:3], 0 offen
	s_waitcnt vmcnt(6)
	buffer_store_dword v4, v2, s[0:3], 0 offen offset:4
	s_waitcnt vmcnt(5)
	buffer_store_dword v79, v2, s[0:3], 0 offen offset:8
	s_waitcnt vmcnt(4)
	buffer_store_dword v80, v2, s[0:3], 0 offen offset:12
	s_waitcnt vmcnt(3)
	buffer_store_dword v81, v1, s[0:3], 0 offen offset:12
	s_waitcnt vmcnt(2)
	buffer_store_dword v82, v1, s[0:3], 0 offen offset:8
	s_waitcnt vmcnt(1)
	buffer_store_dword v83, v1, s[0:3], 0 offen offset:4
	s_waitcnt vmcnt(0)
	buffer_store_dword v84, v1, s[0:3], 0 offen
.LBB100_286:
	global_load_dword v0, v0, s[12:13] offset:40
	s_waitcnt vmcnt(0)
	v_add_nc_u32_e32 v0, -1, v0
	v_cmp_eq_u32_e32 vcc_lo, 10, v0
	s_cbranch_vccnz .LBB100_288
; %bb.287:
	v_lshlrev_b32_e32 v0, 4, v0
	v_mov_b32_e32 v1, s39
	v_add_nc_u32_e32 v0, 16, v0
	s_clause 0x7
	buffer_load_dword v2, v0, s[0:3], 0 offen
	buffer_load_dword v3, v0, s[0:3], 0 offen offset:4
	buffer_load_dword v4, v0, s[0:3], 0 offen offset:8
	;; [unrolled: 1-line block ×6, first 2 shown]
	buffer_load_dword v83, v1, s[0:3], 0 offen
	s_waitcnt vmcnt(7)
	buffer_store_dword v2, v1, s[0:3], 0 offen
	s_waitcnt vmcnt(6)
	buffer_store_dword v3, v1, s[0:3], 0 offen offset:4
	s_waitcnt vmcnt(5)
	buffer_store_dword v4, v1, s[0:3], 0 offen offset:8
	;; [unrolled: 2-line block ×6, first 2 shown]
	s_waitcnt vmcnt(0)
	buffer_store_dword v83, v0, s[0:3], 0 offen
.LBB100_288:
	v_mov_b32_e32 v0, 0
	global_load_dword v1, v0, s[12:13] offset:36
	s_waitcnt vmcnt(0)
	v_add_nc_u32_e32 v1, -1, v1
	v_cmp_eq_u32_e32 vcc_lo, 9, v1
	s_cbranch_vccnz .LBB100_290
; %bb.289:
	v_lshlrev_b32_e32 v1, 4, v1
	v_mov_b32_e32 v2, s40
	v_add_nc_u32_e32 v1, 16, v1
	s_clause 0x7
	buffer_load_dword v3, v1, s[0:3], 0 offen
	buffer_load_dword v4, v1, s[0:3], 0 offen offset:4
	buffer_load_dword v79, v1, s[0:3], 0 offen offset:8
	buffer_load_dword v80, v1, s[0:3], 0 offen offset:12
	buffer_load_dword v81, v2, s[0:3], 0 offen offset:12
	buffer_load_dword v82, v2, s[0:3], 0 offen offset:8
	buffer_load_dword v83, v2, s[0:3], 0 offen offset:4
	buffer_load_dword v84, v2, s[0:3], 0 offen
	s_waitcnt vmcnt(7)
	buffer_store_dword v3, v2, s[0:3], 0 offen
	s_waitcnt vmcnt(6)
	buffer_store_dword v4, v2, s[0:3], 0 offen offset:4
	s_waitcnt vmcnt(5)
	buffer_store_dword v79, v2, s[0:3], 0 offen offset:8
	;; [unrolled: 2-line block ×6, first 2 shown]
	s_waitcnt vmcnt(0)
	buffer_store_dword v84, v1, s[0:3], 0 offen
.LBB100_290:
	global_load_dword v0, v0, s[12:13] offset:32
	s_waitcnt vmcnt(0)
	v_add_nc_u32_e32 v0, -1, v0
	v_cmp_eq_u32_e32 vcc_lo, 8, v0
	s_cbranch_vccnz .LBB100_292
; %bb.291:
	v_lshlrev_b32_e32 v0, 4, v0
	v_mov_b32_e32 v1, s41
	v_add_nc_u32_e32 v0, 16, v0
	s_clause 0x7
	buffer_load_dword v2, v0, s[0:3], 0 offen
	buffer_load_dword v3, v0, s[0:3], 0 offen offset:4
	buffer_load_dword v4, v0, s[0:3], 0 offen offset:8
	;; [unrolled: 1-line block ×6, first 2 shown]
	buffer_load_dword v83, v1, s[0:3], 0 offen
	s_waitcnt vmcnt(7)
	buffer_store_dword v2, v1, s[0:3], 0 offen
	s_waitcnt vmcnt(6)
	buffer_store_dword v3, v1, s[0:3], 0 offen offset:4
	s_waitcnt vmcnt(5)
	buffer_store_dword v4, v1, s[0:3], 0 offen offset:8
	;; [unrolled: 2-line block ×6, first 2 shown]
	s_waitcnt vmcnt(0)
	buffer_store_dword v83, v0, s[0:3], 0 offen
.LBB100_292:
	v_mov_b32_e32 v0, 0
	global_load_dword v1, v0, s[12:13] offset:28
	s_waitcnt vmcnt(0)
	v_add_nc_u32_e32 v1, -1, v1
	v_cmp_eq_u32_e32 vcc_lo, 7, v1
	s_cbranch_vccnz .LBB100_294
; %bb.293:
	v_lshlrev_b32_e32 v1, 4, v1
	v_mov_b32_e32 v2, s42
	v_add_nc_u32_e32 v1, 16, v1
	s_clause 0x7
	buffer_load_dword v3, v1, s[0:3], 0 offen
	buffer_load_dword v4, v1, s[0:3], 0 offen offset:4
	buffer_load_dword v79, v1, s[0:3], 0 offen offset:8
	;; [unrolled: 1-line block ×6, first 2 shown]
	buffer_load_dword v84, v2, s[0:3], 0 offen
	s_waitcnt vmcnt(7)
	buffer_store_dword v3, v2, s[0:3], 0 offen
	s_waitcnt vmcnt(6)
	buffer_store_dword v4, v2, s[0:3], 0 offen offset:4
	s_waitcnt vmcnt(5)
	buffer_store_dword v79, v2, s[0:3], 0 offen offset:8
	;; [unrolled: 2-line block ×6, first 2 shown]
	s_waitcnt vmcnt(0)
	buffer_store_dword v84, v1, s[0:3], 0 offen
.LBB100_294:
	global_load_dword v0, v0, s[12:13] offset:24
	s_waitcnt vmcnt(0)
	v_add_nc_u32_e32 v0, -1, v0
	v_cmp_eq_u32_e32 vcc_lo, 6, v0
	s_cbranch_vccnz .LBB100_296
; %bb.295:
	v_lshlrev_b32_e32 v0, 4, v0
	v_mov_b32_e32 v1, s43
	v_add_nc_u32_e32 v0, 16, v0
	s_clause 0x7
	buffer_load_dword v2, v0, s[0:3], 0 offen
	buffer_load_dword v3, v0, s[0:3], 0 offen offset:4
	buffer_load_dword v4, v0, s[0:3], 0 offen offset:8
	;; [unrolled: 1-line block ×6, first 2 shown]
	buffer_load_dword v83, v1, s[0:3], 0 offen
	s_waitcnt vmcnt(7)
	buffer_store_dword v2, v1, s[0:3], 0 offen
	s_waitcnt vmcnt(6)
	buffer_store_dword v3, v1, s[0:3], 0 offen offset:4
	s_waitcnt vmcnt(5)
	buffer_store_dword v4, v1, s[0:3], 0 offen offset:8
	;; [unrolled: 2-line block ×6, first 2 shown]
	s_waitcnt vmcnt(0)
	buffer_store_dword v83, v0, s[0:3], 0 offen
.LBB100_296:
	v_mov_b32_e32 v0, 0
	global_load_dword v1, v0, s[12:13] offset:20
	s_waitcnt vmcnt(0)
	v_add_nc_u32_e32 v1, -1, v1
	v_cmp_eq_u32_e32 vcc_lo, 5, v1
	s_cbranch_vccnz .LBB100_298
; %bb.297:
	v_lshlrev_b32_e32 v1, 4, v1
	v_mov_b32_e32 v2, s44
	v_add_nc_u32_e32 v1, 16, v1
	s_clause 0x7
	buffer_load_dword v3, v1, s[0:3], 0 offen
	buffer_load_dword v4, v1, s[0:3], 0 offen offset:4
	buffer_load_dword v79, v1, s[0:3], 0 offen offset:8
	;; [unrolled: 1-line block ×6, first 2 shown]
	buffer_load_dword v84, v2, s[0:3], 0 offen
	s_waitcnt vmcnt(7)
	buffer_store_dword v3, v2, s[0:3], 0 offen
	s_waitcnt vmcnt(6)
	buffer_store_dword v4, v2, s[0:3], 0 offen offset:4
	s_waitcnt vmcnt(5)
	buffer_store_dword v79, v2, s[0:3], 0 offen offset:8
	;; [unrolled: 2-line block ×6, first 2 shown]
	s_waitcnt vmcnt(0)
	buffer_store_dword v84, v1, s[0:3], 0 offen
.LBB100_298:
	global_load_dword v0, v0, s[12:13] offset:16
	s_waitcnt vmcnt(0)
	v_add_nc_u32_e32 v0, -1, v0
	v_cmp_eq_u32_e32 vcc_lo, 4, v0
	s_cbranch_vccnz .LBB100_300
; %bb.299:
	v_lshlrev_b32_e32 v0, 4, v0
	v_mov_b32_e32 v1, s45
	v_add_nc_u32_e32 v0, 16, v0
	s_clause 0x7
	buffer_load_dword v2, v0, s[0:3], 0 offen
	buffer_load_dword v3, v0, s[0:3], 0 offen offset:4
	buffer_load_dword v4, v0, s[0:3], 0 offen offset:8
	;; [unrolled: 1-line block ×6, first 2 shown]
	buffer_load_dword v83, v1, s[0:3], 0 offen
	s_waitcnt vmcnt(7)
	buffer_store_dword v2, v1, s[0:3], 0 offen
	s_waitcnt vmcnt(6)
	buffer_store_dword v3, v1, s[0:3], 0 offen offset:4
	s_waitcnt vmcnt(5)
	buffer_store_dword v4, v1, s[0:3], 0 offen offset:8
	;; [unrolled: 2-line block ×6, first 2 shown]
	s_waitcnt vmcnt(0)
	buffer_store_dword v83, v0, s[0:3], 0 offen
.LBB100_300:
	v_mov_b32_e32 v0, 0
	global_load_dword v1, v0, s[12:13] offset:12
	s_waitcnt vmcnt(0)
	v_add_nc_u32_e32 v1, -1, v1
	v_cmp_eq_u32_e32 vcc_lo, 3, v1
	s_cbranch_vccnz .LBB100_302
; %bb.301:
	v_lshlrev_b32_e32 v1, 4, v1
	v_mov_b32_e32 v2, s46
	v_add_nc_u32_e32 v1, 16, v1
	s_clause 0x7
	buffer_load_dword v3, v1, s[0:3], 0 offen
	buffer_load_dword v4, v1, s[0:3], 0 offen offset:4
	buffer_load_dword v79, v1, s[0:3], 0 offen offset:8
	;; [unrolled: 1-line block ×6, first 2 shown]
	buffer_load_dword v84, v2, s[0:3], 0 offen
	s_waitcnt vmcnt(7)
	buffer_store_dword v3, v2, s[0:3], 0 offen
	s_waitcnt vmcnt(6)
	buffer_store_dword v4, v2, s[0:3], 0 offen offset:4
	s_waitcnt vmcnt(5)
	buffer_store_dword v79, v2, s[0:3], 0 offen offset:8
	;; [unrolled: 2-line block ×6, first 2 shown]
	s_waitcnt vmcnt(0)
	buffer_store_dword v84, v1, s[0:3], 0 offen
.LBB100_302:
	global_load_dword v0, v0, s[12:13] offset:8
	s_waitcnt vmcnt(0)
	v_add_nc_u32_e32 v0, -1, v0
	v_cmp_eq_u32_e32 vcc_lo, 2, v0
	s_cbranch_vccnz .LBB100_304
; %bb.303:
	v_lshlrev_b32_e32 v0, 4, v0
	v_mov_b32_e32 v1, s47
	v_add_nc_u32_e32 v0, 16, v0
	s_clause 0x7
	buffer_load_dword v2, v0, s[0:3], 0 offen
	buffer_load_dword v3, v0, s[0:3], 0 offen offset:4
	buffer_load_dword v4, v0, s[0:3], 0 offen offset:8
	;; [unrolled: 1-line block ×6, first 2 shown]
	buffer_load_dword v83, v1, s[0:3], 0 offen
	s_waitcnt vmcnt(7)
	buffer_store_dword v2, v1, s[0:3], 0 offen
	s_waitcnt vmcnt(6)
	buffer_store_dword v3, v1, s[0:3], 0 offen offset:4
	s_waitcnt vmcnt(5)
	buffer_store_dword v4, v1, s[0:3], 0 offen offset:8
	;; [unrolled: 2-line block ×6, first 2 shown]
	s_waitcnt vmcnt(0)
	buffer_store_dword v83, v0, s[0:3], 0 offen
.LBB100_304:
	v_mov_b32_e32 v0, 0
	global_load_dword v1, v0, s[12:13] offset:4
	s_waitcnt vmcnt(0)
	v_add_nc_u32_e32 v1, -1, v1
	v_cmp_eq_u32_e32 vcc_lo, 1, v1
	s_cbranch_vccnz .LBB100_306
; %bb.305:
	v_lshlrev_b32_e32 v1, 4, v1
	v_mov_b32_e32 v2, s48
	v_add_nc_u32_e32 v1, 16, v1
	s_clause 0x7
	buffer_load_dword v3, v1, s[0:3], 0 offen
	buffer_load_dword v4, v1, s[0:3], 0 offen offset:4
	buffer_load_dword v79, v1, s[0:3], 0 offen offset:8
	;; [unrolled: 1-line block ×6, first 2 shown]
	buffer_load_dword v84, v2, s[0:3], 0 offen
	s_waitcnt vmcnt(7)
	buffer_store_dword v3, v2, s[0:3], 0 offen
	s_waitcnt vmcnt(6)
	buffer_store_dword v4, v2, s[0:3], 0 offen offset:4
	s_waitcnt vmcnt(5)
	buffer_store_dword v79, v2, s[0:3], 0 offen offset:8
	;; [unrolled: 2-line block ×6, first 2 shown]
	s_waitcnt vmcnt(0)
	buffer_store_dword v84, v1, s[0:3], 0 offen
.LBB100_306:
	global_load_dword v0, v0, s[12:13]
	s_waitcnt vmcnt(0)
	v_add_nc_u32_e32 v0, -1, v0
	v_cmp_eq_u32_e32 vcc_lo, 0, v0
	s_cbranch_vccnz .LBB100_308
; %bb.307:
	v_lshlrev_b32_e32 v0, 4, v0
	v_add_nc_u32_e32 v0, 16, v0
	s_clause 0x7
	buffer_load_dword v1, v0, s[0:3], 0 offen
	buffer_load_dword v2, v0, s[0:3], 0 offen offset:4
	buffer_load_dword v3, v0, s[0:3], 0 offen offset:8
	;; [unrolled: 1-line block ×3, first 2 shown]
	buffer_load_dword v79, off, s[0:3], 0 offset:28
	buffer_load_dword v80, off, s[0:3], 0 offset:24
	;; [unrolled: 1-line block ×4, first 2 shown]
	s_waitcnt vmcnt(7)
	buffer_store_dword v1, off, s[0:3], 0 offset:16
	s_waitcnt vmcnt(6)
	buffer_store_dword v2, off, s[0:3], 0 offset:20
	;; [unrolled: 2-line block ×4, first 2 shown]
	s_waitcnt vmcnt(3)
	buffer_store_dword v79, v0, s[0:3], 0 offen offset:12
	s_waitcnt vmcnt(2)
	buffer_store_dword v80, v0, s[0:3], 0 offen offset:8
	;; [unrolled: 2-line block ×3, first 2 shown]
	s_waitcnt vmcnt(0)
	buffer_store_dword v82, v0, s[0:3], 0 offen
.LBB100_308:
	s_clause 0x3
	buffer_load_dword v0, off, s[0:3], 0 offset:16
	buffer_load_dword v1, off, s[0:3], 0 offset:20
	;; [unrolled: 1-line block ×4, first 2 shown]
	v_mov_b32_e32 v4, s48
	s_waitcnt vmcnt(0)
	flat_store_dwordx4 v[5:6], v[0:3]
	s_clause 0x3
	buffer_load_dword v0, v4, s[0:3], 0 offen
	buffer_load_dword v1, v4, s[0:3], 0 offen offset:4
	buffer_load_dword v2, v4, s[0:3], 0 offen offset:8
	buffer_load_dword v3, v4, s[0:3], 0 offen offset:12
	v_mov_b32_e32 v4, s47
	s_waitcnt vmcnt(0)
	flat_store_dwordx4 v[59:60], v[0:3]
	s_clause 0x3
	buffer_load_dword v0, v4, s[0:3], 0 offen
	buffer_load_dword v1, v4, s[0:3], 0 offen offset:4
	buffer_load_dword v2, v4, s[0:3], 0 offen offset:8
	buffer_load_dword v3, v4, s[0:3], 0 offen offset:12
	;; [unrolled: 8-line block ×36, first 2 shown]
	s_waitcnt vmcnt(0)
	flat_store_dwordx4 v[77:78], v[0:3]
	s_endpgm
	.section	.rodata,"a",@progbits
	.p2align	6, 0x0
	.amdhsa_kernel _ZN9rocsolver6v33100L18getri_kernel_smallILi37E19rocblas_complex_numIdEPKPS3_EEvT1_iilPiilS8_bb
		.amdhsa_group_segment_fixed_size 1192
		.amdhsa_private_segment_fixed_size 624
		.amdhsa_kernarg_size 60
		.amdhsa_user_sgpr_count 6
		.amdhsa_user_sgpr_private_segment_buffer 1
		.amdhsa_user_sgpr_dispatch_ptr 0
		.amdhsa_user_sgpr_queue_ptr 0
		.amdhsa_user_sgpr_kernarg_segment_ptr 1
		.amdhsa_user_sgpr_dispatch_id 0
		.amdhsa_user_sgpr_flat_scratch_init 0
		.amdhsa_user_sgpr_private_segment_size 0
		.amdhsa_wavefront_size32 1
		.amdhsa_uses_dynamic_stack 0
		.amdhsa_system_sgpr_private_segment_wavefront_offset 1
		.amdhsa_system_sgpr_workgroup_id_x 1
		.amdhsa_system_sgpr_workgroup_id_y 0
		.amdhsa_system_sgpr_workgroup_id_z 0
		.amdhsa_system_sgpr_workgroup_info 0
		.amdhsa_system_vgpr_workitem_id 0
		.amdhsa_next_free_vgpr 169
		.amdhsa_next_free_sgpr 66
		.amdhsa_reserve_vcc 1
		.amdhsa_reserve_flat_scratch 0
		.amdhsa_float_round_mode_32 0
		.amdhsa_float_round_mode_16_64 0
		.amdhsa_float_denorm_mode_32 3
		.amdhsa_float_denorm_mode_16_64 3
		.amdhsa_dx10_clamp 1
		.amdhsa_ieee_mode 1
		.amdhsa_fp16_overflow 0
		.amdhsa_workgroup_processor_mode 1
		.amdhsa_memory_ordered 1
		.amdhsa_forward_progress 1
		.amdhsa_shared_vgpr_count 0
		.amdhsa_exception_fp_ieee_invalid_op 0
		.amdhsa_exception_fp_denorm_src 0
		.amdhsa_exception_fp_ieee_div_zero 0
		.amdhsa_exception_fp_ieee_overflow 0
		.amdhsa_exception_fp_ieee_underflow 0
		.amdhsa_exception_fp_ieee_inexact 0
		.amdhsa_exception_int_div_zero 0
	.end_amdhsa_kernel
	.section	.text._ZN9rocsolver6v33100L18getri_kernel_smallILi37E19rocblas_complex_numIdEPKPS3_EEvT1_iilPiilS8_bb,"axG",@progbits,_ZN9rocsolver6v33100L18getri_kernel_smallILi37E19rocblas_complex_numIdEPKPS3_EEvT1_iilPiilS8_bb,comdat
.Lfunc_end100:
	.size	_ZN9rocsolver6v33100L18getri_kernel_smallILi37E19rocblas_complex_numIdEPKPS3_EEvT1_iilPiilS8_bb, .Lfunc_end100-_ZN9rocsolver6v33100L18getri_kernel_smallILi37E19rocblas_complex_numIdEPKPS3_EEvT1_iilPiilS8_bb
                                        ; -- End function
	.set _ZN9rocsolver6v33100L18getri_kernel_smallILi37E19rocblas_complex_numIdEPKPS3_EEvT1_iilPiilS8_bb.num_vgpr, 169
	.set _ZN9rocsolver6v33100L18getri_kernel_smallILi37E19rocblas_complex_numIdEPKPS3_EEvT1_iilPiilS8_bb.num_agpr, 0
	.set _ZN9rocsolver6v33100L18getri_kernel_smallILi37E19rocblas_complex_numIdEPKPS3_EEvT1_iilPiilS8_bb.numbered_sgpr, 66
	.set _ZN9rocsolver6v33100L18getri_kernel_smallILi37E19rocblas_complex_numIdEPKPS3_EEvT1_iilPiilS8_bb.num_named_barrier, 0
	.set _ZN9rocsolver6v33100L18getri_kernel_smallILi37E19rocblas_complex_numIdEPKPS3_EEvT1_iilPiilS8_bb.private_seg_size, 624
	.set _ZN9rocsolver6v33100L18getri_kernel_smallILi37E19rocblas_complex_numIdEPKPS3_EEvT1_iilPiilS8_bb.uses_vcc, 1
	.set _ZN9rocsolver6v33100L18getri_kernel_smallILi37E19rocblas_complex_numIdEPKPS3_EEvT1_iilPiilS8_bb.uses_flat_scratch, 0
	.set _ZN9rocsolver6v33100L18getri_kernel_smallILi37E19rocblas_complex_numIdEPKPS3_EEvT1_iilPiilS8_bb.has_dyn_sized_stack, 0
	.set _ZN9rocsolver6v33100L18getri_kernel_smallILi37E19rocblas_complex_numIdEPKPS3_EEvT1_iilPiilS8_bb.has_recursion, 0
	.set _ZN9rocsolver6v33100L18getri_kernel_smallILi37E19rocblas_complex_numIdEPKPS3_EEvT1_iilPiilS8_bb.has_indirect_call, 0
	.section	.AMDGPU.csdata,"",@progbits
; Kernel info:
; codeLenInByte = 99944
; TotalNumSgprs: 68
; NumVgprs: 169
; ScratchSize: 624
; MemoryBound: 0
; FloatMode: 240
; IeeeMode: 1
; LDSByteSize: 1192 bytes/workgroup (compile time only)
; SGPRBlocks: 0
; VGPRBlocks: 21
; NumSGPRsForWavesPerEU: 68
; NumVGPRsForWavesPerEU: 169
; Occupancy: 5
; WaveLimiterHint : 1
; COMPUTE_PGM_RSRC2:SCRATCH_EN: 1
; COMPUTE_PGM_RSRC2:USER_SGPR: 6
; COMPUTE_PGM_RSRC2:TRAP_HANDLER: 0
; COMPUTE_PGM_RSRC2:TGID_X_EN: 1
; COMPUTE_PGM_RSRC2:TGID_Y_EN: 0
; COMPUTE_PGM_RSRC2:TGID_Z_EN: 0
; COMPUTE_PGM_RSRC2:TIDIG_COMP_CNT: 0
	.section	.text._ZN9rocsolver6v33100L18getri_kernel_smallILi38E19rocblas_complex_numIdEPKPS3_EEvT1_iilPiilS8_bb,"axG",@progbits,_ZN9rocsolver6v33100L18getri_kernel_smallILi38E19rocblas_complex_numIdEPKPS3_EEvT1_iilPiilS8_bb,comdat
	.globl	_ZN9rocsolver6v33100L18getri_kernel_smallILi38E19rocblas_complex_numIdEPKPS3_EEvT1_iilPiilS8_bb ; -- Begin function _ZN9rocsolver6v33100L18getri_kernel_smallILi38E19rocblas_complex_numIdEPKPS3_EEvT1_iilPiilS8_bb
	.p2align	8
	.type	_ZN9rocsolver6v33100L18getri_kernel_smallILi38E19rocblas_complex_numIdEPKPS3_EEvT1_iilPiilS8_bb,@function
_ZN9rocsolver6v33100L18getri_kernel_smallILi38E19rocblas_complex_numIdEPKPS3_EEvT1_iilPiilS8_bb: ; @_ZN9rocsolver6v33100L18getri_kernel_smallILi38E19rocblas_complex_numIdEPKPS3_EEvT1_iilPiilS8_bb
; %bb.0:
	s_add_u32 s0, s0, s7
	s_addc_u32 s1, s1, 0
	s_mov_b32 s7, exec_lo
	v_cmpx_gt_u32_e32 38, v0
	s_cbranch_execz .LBB101_166
; %bb.1:
	s_clause 0x2
	s_load_dword s16, s[4:5], 0x38
	s_load_dwordx2 s[12:13], s[4:5], 0x0
	s_load_dwordx4 s[8:11], s[4:5], 0x28
	s_waitcnt lgkmcnt(0)
	s_bitcmp1_b32 s16, 8
	s_cselect_b32 s50, -1, 0
	s_ashr_i32 s7, s6, 31
	s_lshl_b64 s[14:15], s[6:7], 3
	s_add_u32 s12, s12, s14
	s_addc_u32 s13, s13, s15
	s_load_dwordx2 s[14:15], s[12:13], 0x0
	s_bfe_u32 s12, s16, 0x10008
	s_cmp_eq_u32 s12, 0
                                        ; implicit-def: $sgpr12_sgpr13
	s_cbranch_scc1 .LBB101_3
; %bb.2:
	s_clause 0x1
	s_load_dword s12, s[4:5], 0x20
	s_load_dwordx2 s[16:17], s[4:5], 0x18
	s_mul_i32 s13, s8, s7
	s_mul_hi_u32 s18, s8, s6
	s_mul_i32 s9, s9, s6
	s_add_i32 s13, s18, s13
	s_mul_i32 s8, s8, s6
	s_add_i32 s9, s13, s9
	s_lshl_b64 s[8:9], s[8:9], 2
	s_waitcnt lgkmcnt(0)
	s_ashr_i32 s13, s12, 31
	s_add_u32 s16, s16, s8
	s_addc_u32 s17, s17, s9
	s_lshl_b64 s[8:9], s[12:13], 2
	s_add_u32 s12, s16, s8
	s_addc_u32 s13, s17, s9
.LBB101_3:
	s_clause 0x1
	s_load_dwordx2 s[8:9], s[4:5], 0x8
	s_load_dword s51, s[4:5], 0x38
	v_lshlrev_b32_e32 v87, 4, v0
	s_movk_i32 s16, 0xa0
	s_movk_i32 s17, 0xb0
	;; [unrolled: 1-line block ×17, first 2 shown]
	s_waitcnt lgkmcnt(0)
	s_ashr_i32 s5, s8, 31
	s_mov_b32 s4, s8
	v_add3_u32 v7, s9, s9, v0
	s_lshl_b64 s[4:5], s[4:5], 4
	s_movk_i32 s57, 0x1b0
	s_add_u32 s8, s14, s4
	s_addc_u32 s14, s15, s5
	v_add_co_u32 v5, s4, s8, v87
	v_add_co_ci_u32_e64 v6, null, s14, 0, s4
	s_mov_b32 s4, s9
	s_ashr_i32 s5, s9, 31
	v_ashrrev_i32_e32 v8, 31, v7
	flat_load_dwordx4 v[1:4], v[5:6]
	s_lshl_b64 s[4:5], s[4:5], 4
	s_movk_i32 s15, 0x90
	v_add_co_u32 v59, vcc_lo, v5, s4
	v_add_co_ci_u32_e64 v60, null, s5, v6, vcc_lo
	v_lshlrev_b64 v[8:9], 4, v[7:8]
	v_add_nc_u32_e32 v7, s9, v7
	s_movk_i32 s4, 0x50
	s_movk_i32 s58, 0x1c0
	;; [unrolled: 1-line block ×4, first 2 shown]
	v_add_co_u32 v57, vcc_lo, s8, v8
	v_add_co_ci_u32_e64 v58, null, s14, v9, vcc_lo
	v_ashrrev_i32_e32 v8, 31, v7
	s_movk_i32 s61, 0x1f0
	s_movk_i32 s62, 0x200
	s_movk_i32 s63, 0x210
	s_movk_i32 s64, 0x220
	v_lshlrev_b64 v[8:9], 4, v[7:8]
	v_add_nc_u32_e32 v7, s9, v7
	s_movk_i32 s65, 0x230
	s_movk_i32 s66, 0x240
	;; [unrolled: 1-line block ×3, first 2 shown]
	s_add_i32 s45, s4, 16
	v_add_co_u32 v53, vcc_lo, s8, v8
	v_add_co_ci_u32_e64 v54, null, s14, v9, vcc_lo
	v_ashrrev_i32_e32 v8, 31, v7
	s_add_i32 s41, s15, 16
	s_add_i32 s40, s16, 16
	s_add_i32 s39, s17, 16
	s_add_i32 s38, s18, 16
	v_lshlrev_b64 v[8:9], 4, v[7:8]
	v_add_nc_u32_e32 v7, s9, v7
	s_add_i32 s37, s19, 16
	s_add_i32 s36, s20, 16
	s_add_i32 s35, s21, 16
	s_add_i32 s34, s22, 16
	v_add_co_u32 v51, vcc_lo, s8, v8
	v_add_co_ci_u32_e64 v52, null, s14, v9, vcc_lo
	v_ashrrev_i32_e32 v8, 31, v7
	s_add_i32 s33, s23, 16
	s_add_i32 s31, s24, 16
	s_add_i32 s30, s25, 16
	s_add_i32 s29, s26, 16
	v_lshlrev_b64 v[8:9], 4, v[7:8]
	v_add_nc_u32_e32 v7, s9, v7
	s_add_i32 s28, s27, 16
	s_add_i32 s27, s52, 16
	s_add_i32 s26, s53, 16
	;; [unrolled: 13-line block ×3, first 2 shown]
	s_add_i32 s17, s62, 16
	v_add_co_u32 v47, vcc_lo, s8, v8
	v_add_co_ci_u32_e64 v48, null, s14, v9, vcc_lo
	v_ashrrev_i32_e32 v8, 31, v7
	s_add_i32 s16, s63, 16
	s_add_i32 s15, s64, 16
	s_mov_b32 s5, -1
	s_mov_b32 s49, 32
	v_lshlrev_b64 v[8:9], 4, v[7:8]
	v_add_nc_u32_e32 v7, s9, v7
	s_mov_b32 s48, 48
	s_mov_b32 s47, 64
	s_movk_i32 s46, 0x50
	s_waitcnt vmcnt(0) lgkmcnt(0)
	buffer_store_dword v4, off, s[0:3], 0 offset:28
	buffer_store_dword v3, off, s[0:3], 0 offset:24
	buffer_store_dword v2, off, s[0:3], 0 offset:20
	buffer_store_dword v1, off, s[0:3], 0 offset:16
	flat_load_dwordx4 v[1:4], v[59:60]
	v_add_co_u32 v45, vcc_lo, s8, v8
	v_add_co_ci_u32_e64 v46, null, s14, v9, vcc_lo
	v_ashrrev_i32_e32 v8, 31, v7
	s_waitcnt vmcnt(0) lgkmcnt(0)
	buffer_store_dword v4, off, s[0:3], 0 offset:44
	buffer_store_dword v3, off, s[0:3], 0 offset:40
	buffer_store_dword v2, off, s[0:3], 0 offset:36
	buffer_store_dword v1, off, s[0:3], 0 offset:32
	flat_load_dwordx4 v[1:4], v[57:58]
	v_lshlrev_b64 v[8:9], 4, v[7:8]
	v_add_nc_u32_e32 v7, s9, v7
	s_waitcnt vmcnt(0) lgkmcnt(0)
	buffer_store_dword v4, off, s[0:3], 0 offset:60
	buffer_store_dword v3, off, s[0:3], 0 offset:56
	buffer_store_dword v2, off, s[0:3], 0 offset:52
	buffer_store_dword v1, off, s[0:3], 0 offset:48
	flat_load_dwordx4 v[1:4], v[53:54]
	v_add_co_u32 v43, vcc_lo, s8, v8
	v_add_co_ci_u32_e64 v44, null, s14, v9, vcc_lo
	v_ashrrev_i32_e32 v8, 31, v7
	s_waitcnt vmcnt(0) lgkmcnt(0)
	buffer_store_dword v4, off, s[0:3], 0 offset:76
	buffer_store_dword v3, off, s[0:3], 0 offset:72
	buffer_store_dword v2, off, s[0:3], 0 offset:68
	buffer_store_dword v1, off, s[0:3], 0 offset:64
	flat_load_dwordx4 v[1:4], v[51:52]
	v_lshlrev_b64 v[8:9], 4, v[7:8]
	v_add_nc_u32_e32 v7, s9, v7
	;; [unrolled: 17-line block ×6, first 2 shown]
	s_waitcnt vmcnt(0) lgkmcnt(0)
	buffer_store_dword v4, off, s[0:3], 0 offset:220
	buffer_store_dword v3, off, s[0:3], 0 offset:216
	;; [unrolled: 1-line block ×4, first 2 shown]
	v_add_co_u32 v31, vcc_lo, s8, v8
	v_add_co_ci_u32_e64 v32, null, s14, v9, vcc_lo
	v_ashrrev_i32_e32 v8, 31, v7
	flat_load_dwordx4 v[1:4], v[31:32]
	s_waitcnt vmcnt(0) lgkmcnt(0)
	buffer_store_dword v4, off, s[0:3], 0 offset:236
	buffer_store_dword v3, off, s[0:3], 0 offset:232
	buffer_store_dword v2, off, s[0:3], 0 offset:228
	buffer_store_dword v1, off, s[0:3], 0 offset:224
	v_lshlrev_b64 v[8:9], 4, v[7:8]
	v_add_nc_u32_e32 v7, s9, v7
	v_add_co_u32 v29, vcc_lo, s8, v8
	v_add_co_ci_u32_e64 v30, null, s14, v9, vcc_lo
	v_ashrrev_i32_e32 v8, 31, v7
	flat_load_dwordx4 v[1:4], v[29:30]
	s_waitcnt vmcnt(0) lgkmcnt(0)
	buffer_store_dword v4, off, s[0:3], 0 offset:252
	buffer_store_dword v3, off, s[0:3], 0 offset:248
	buffer_store_dword v2, off, s[0:3], 0 offset:244
	buffer_store_dword v1, off, s[0:3], 0 offset:240
	v_lshlrev_b64 v[8:9], 4, v[7:8]
	v_add_nc_u32_e32 v7, s9, v7
	v_add_co_u32 v27, vcc_lo, s8, v8
	v_add_co_ci_u32_e64 v28, null, s14, v9, vcc_lo
	v_ashrrev_i32_e32 v8, 31, v7
	flat_load_dwordx4 v[1:4], v[27:28]
	s_waitcnt vmcnt(0) lgkmcnt(0)
	buffer_store_dword v4, off, s[0:3], 0 offset:268
	buffer_store_dword v3, off, s[0:3], 0 offset:264
	buffer_store_dword v2, off, s[0:3], 0 offset:260
	buffer_store_dword v1, off, s[0:3], 0 offset:256
	v_lshlrev_b64 v[8:9], 4, v[7:8]
	v_add_nc_u32_e32 v7, s9, v7
	v_add_co_u32 v25, vcc_lo, s8, v8
	v_add_co_ci_u32_e64 v26, null, s14, v9, vcc_lo
	v_ashrrev_i32_e32 v8, 31, v7
	flat_load_dwordx4 v[1:4], v[25:26]
	s_waitcnt vmcnt(0) lgkmcnt(0)
	buffer_store_dword v4, off, s[0:3], 0 offset:284
	buffer_store_dword v3, off, s[0:3], 0 offset:280
	buffer_store_dword v2, off, s[0:3], 0 offset:276
	buffer_store_dword v1, off, s[0:3], 0 offset:272
	v_lshlrev_b64 v[8:9], 4, v[7:8]
	v_add_nc_u32_e32 v7, s9, v7
	v_add_co_u32 v23, vcc_lo, s8, v8
	v_add_co_ci_u32_e64 v24, null, s14, v9, vcc_lo
	v_ashrrev_i32_e32 v8, 31, v7
	flat_load_dwordx4 v[1:4], v[23:24]
	s_waitcnt vmcnt(0) lgkmcnt(0)
	buffer_store_dword v4, off, s[0:3], 0 offset:300
	buffer_store_dword v3, off, s[0:3], 0 offset:296
	buffer_store_dword v2, off, s[0:3], 0 offset:292
	buffer_store_dword v1, off, s[0:3], 0 offset:288
	v_lshlrev_b64 v[8:9], 4, v[7:8]
	v_add_nc_u32_e32 v7, s9, v7
	v_add_co_u32 v21, vcc_lo, s8, v8
	v_add_co_ci_u32_e64 v22, null, s14, v9, vcc_lo
	v_ashrrev_i32_e32 v8, 31, v7
	flat_load_dwordx4 v[1:4], v[21:22]
	s_waitcnt vmcnt(0) lgkmcnt(0)
	buffer_store_dword v4, off, s[0:3], 0 offset:316
	buffer_store_dword v3, off, s[0:3], 0 offset:312
	buffer_store_dword v2, off, s[0:3], 0 offset:308
	buffer_store_dword v1, off, s[0:3], 0 offset:304
	v_lshlrev_b64 v[8:9], 4, v[7:8]
	v_add_nc_u32_e32 v7, s9, v7
	v_add_co_u32 v19, vcc_lo, s8, v8
	v_add_co_ci_u32_e64 v20, null, s14, v9, vcc_lo
	v_ashrrev_i32_e32 v8, 31, v7
	flat_load_dwordx4 v[1:4], v[19:20]
	s_waitcnt vmcnt(0) lgkmcnt(0)
	buffer_store_dword v4, off, s[0:3], 0 offset:332
	buffer_store_dword v3, off, s[0:3], 0 offset:328
	buffer_store_dword v2, off, s[0:3], 0 offset:324
	buffer_store_dword v1, off, s[0:3], 0 offset:320
	v_lshlrev_b64 v[8:9], 4, v[7:8]
	v_add_nc_u32_e32 v7, s9, v7
	v_add_co_u32 v17, vcc_lo, s8, v8
	v_add_co_ci_u32_e64 v18, null, s14, v9, vcc_lo
	v_ashrrev_i32_e32 v8, 31, v7
	flat_load_dwordx4 v[1:4], v[17:18]
	s_waitcnt vmcnt(0) lgkmcnt(0)
	buffer_store_dword v4, off, s[0:3], 0 offset:348
	buffer_store_dword v3, off, s[0:3], 0 offset:344
	buffer_store_dword v2, off, s[0:3], 0 offset:340
	buffer_store_dword v1, off, s[0:3], 0 offset:336
	v_lshlrev_b64 v[8:9], 4, v[7:8]
	v_add_nc_u32_e32 v7, s9, v7
	v_add_co_u32 v15, vcc_lo, s8, v8
	v_add_co_ci_u32_e64 v16, null, s14, v9, vcc_lo
	v_ashrrev_i32_e32 v8, 31, v7
	flat_load_dwordx4 v[1:4], v[15:16]
	s_waitcnt vmcnt(0) lgkmcnt(0)
	buffer_store_dword v4, off, s[0:3], 0 offset:364
	buffer_store_dword v3, off, s[0:3], 0 offset:360
	buffer_store_dword v2, off, s[0:3], 0 offset:356
	buffer_store_dword v1, off, s[0:3], 0 offset:352
	v_lshlrev_b64 v[8:9], 4, v[7:8]
	v_add_nc_u32_e32 v7, s9, v7
	v_add_co_u32 v13, vcc_lo, s8, v8
	v_add_co_ci_u32_e64 v14, null, s14, v9, vcc_lo
	v_ashrrev_i32_e32 v8, 31, v7
	flat_load_dwordx4 v[1:4], v[13:14]
	s_waitcnt vmcnt(0) lgkmcnt(0)
	buffer_store_dword v4, off, s[0:3], 0 offset:380
	buffer_store_dword v3, off, s[0:3], 0 offset:376
	buffer_store_dword v2, off, s[0:3], 0 offset:372
	buffer_store_dword v1, off, s[0:3], 0 offset:368
	v_lshlrev_b64 v[8:9], 4, v[7:8]
	v_add_nc_u32_e32 v7, s9, v7
	v_add_co_u32 v11, vcc_lo, s8, v8
	v_add_co_ci_u32_e64 v12, null, s14, v9, vcc_lo
	v_ashrrev_i32_e32 v8, 31, v7
	v_add_nc_u32_e32 v35, s9, v7
	flat_load_dwordx4 v[1:4], v[11:12]
	s_waitcnt vmcnt(0) lgkmcnt(0)
	buffer_store_dword v4, off, s[0:3], 0 offset:396
	buffer_store_dword v3, off, s[0:3], 0 offset:392
	;; [unrolled: 1-line block ×4, first 2 shown]
	v_lshlrev_b64 v[9:10], 4, v[7:8]
	v_ashrrev_i32_e32 v36, 31, v35
	v_add_nc_u32_e32 v55, s9, v35
	v_add_co_u32 v9, vcc_lo, s8, v9
	v_add_co_ci_u32_e64 v10, null, s14, v10, vcc_lo
	v_lshlrev_b64 v[7:8], 4, v[35:36]
	v_ashrrev_i32_e32 v56, 31, v55
	v_add_nc_u32_e32 v61, s9, v55
	flat_load_dwordx4 v[1:4], v[9:10]
	s_waitcnt vmcnt(0) lgkmcnt(0)
	buffer_store_dword v4, off, s[0:3], 0 offset:412
	buffer_store_dword v3, off, s[0:3], 0 offset:408
	buffer_store_dword v2, off, s[0:3], 0 offset:404
	buffer_store_dword v1, off, s[0:3], 0 offset:400
	v_add_co_u32 v7, vcc_lo, s8, v7
	v_add_co_ci_u32_e64 v8, null, s14, v8, vcc_lo
	v_lshlrev_b64 v[35:36], 4, v[55:56]
	v_ashrrev_i32_e32 v62, 31, v61
	v_add_nc_u32_e32 v63, s9, v61
	flat_load_dwordx4 v[1:4], v[7:8]
	s_waitcnt vmcnt(0) lgkmcnt(0)
	buffer_store_dword v4, off, s[0:3], 0 offset:428
	buffer_store_dword v3, off, s[0:3], 0 offset:424
	buffer_store_dword v2, off, s[0:3], 0 offset:420
	buffer_store_dword v1, off, s[0:3], 0 offset:416
	;; [unrolled: 11-line block ×10, first 2 shown]
	v_add_co_u32 v73, vcc_lo, s8, v73
	v_add_co_ci_u32_e64 v74, null, s14, v74, vcc_lo
	v_lshlrev_b64 v[75:76], 4, v[77:78]
	v_ashrrev_i32_e32 v80, 31, v79
	flat_load_dwordx4 v[1:4], v[73:74]
	s_waitcnt vmcnt(0) lgkmcnt(0)
	buffer_store_dword v4, off, s[0:3], 0 offset:572
	buffer_store_dword v3, off, s[0:3], 0 offset:568
	;; [unrolled: 1-line block ×4, first 2 shown]
	v_add_co_u32 v75, vcc_lo, s8, v75
	v_add_co_ci_u32_e64 v76, null, s14, v76, vcc_lo
	v_lshlrev_b64 v[77:78], 4, v[79:80]
	v_add_nc_u32_e32 v79, s9, v79
	s_movk_i32 s9, 0x70
	flat_load_dwordx4 v[1:4], v[75:76]
	s_add_i32 s43, s9, 16
	s_add_i32 s9, s66, 16
	v_add_co_u32 v77, vcc_lo, s8, v77
	v_add_co_ci_u32_e64 v78, null, s14, v78, vcc_lo
	v_ashrrev_i32_e32 v80, 31, v79
	s_waitcnt vmcnt(0) lgkmcnt(0)
	buffer_store_dword v4, off, s[0:3], 0 offset:588
	buffer_store_dword v3, off, s[0:3], 0 offset:584
	;; [unrolled: 1-line block ×4, first 2 shown]
	flat_load_dwordx4 v[1:4], v[77:78]
	v_lshlrev_b64 v[79:80], 4, v[79:80]
	s_waitcnt vmcnt(0) lgkmcnt(0)
	buffer_store_dword v4, off, s[0:3], 0 offset:604
	buffer_store_dword v3, off, s[0:3], 0 offset:600
	;; [unrolled: 1-line block ×4, first 2 shown]
	v_add_co_u32 v79, vcc_lo, s8, v79
	v_add_co_ci_u32_e64 v80, null, s14, v80, vcc_lo
	s_movk_i32 s8, 0x60
	s_movk_i32 s14, 0x80
	s_add_i32 s44, s8, 16
	flat_load_dwordx4 v[1:4], v[79:80]
	s_add_i32 s42, s14, 16
	s_add_i32 s14, s65, 16
	;; [unrolled: 1-line block ×3, first 2 shown]
	s_bitcmp0_b32 s51, 0
	s_waitcnt vmcnt(0) lgkmcnt(0)
	buffer_store_dword v4, off, s[0:3], 0 offset:620
	buffer_store_dword v3, off, s[0:3], 0 offset:616
	;; [unrolled: 1-line block ×4, first 2 shown]
	s_cbranch_scc1 .LBB101_164
; %bb.4:
	v_cmp_eq_u32_e64 s4, 0, v0
	s_and_saveexec_b32 s5, s4
; %bb.5:
	v_mov_b32_e32 v1, 0
	ds_write_b32 v1, v1 offset:1216
; %bb.6:
	s_or_b32 exec_lo, exec_lo, s5
	v_lshl_add_u32 v88, v0, 4, 16
	s_waitcnt lgkmcnt(0)
	s_waitcnt_vscnt null, 0x0
	s_barrier
	buffer_gl0_inv
	s_clause 0x3
	buffer_load_dword v1, v88, s[0:3], 0 offen
	buffer_load_dword v2, v88, s[0:3], 0 offen offset:4
	buffer_load_dword v3, v88, s[0:3], 0 offen offset:8
	;; [unrolled: 1-line block ×3, first 2 shown]
	s_waitcnt vmcnt(2)
	v_cmp_eq_f64_e32 vcc_lo, 0, v[1:2]
	s_waitcnt vmcnt(0)
	v_cmp_eq_f64_e64 s5, 0, v[3:4]
	s_and_b32 s5, vcc_lo, s5
	s_and_saveexec_b32 s51, s5
	s_cbranch_execz .LBB101_10
; %bb.7:
	v_mov_b32_e32 v1, 0
	s_mov_b32 s52, 0
	ds_read_b32 v2, v1 offset:1216
	s_waitcnt lgkmcnt(0)
	v_readfirstlane_b32 s5, v2
	v_add_nc_u32_e32 v2, 1, v0
	s_cmp_eq_u32 s5, 0
	v_cmp_gt_i32_e32 vcc_lo, s5, v2
	s_cselect_b32 s53, -1, 0
	s_or_b32 s53, s53, vcc_lo
	s_and_b32 exec_lo, exec_lo, s53
	s_cbranch_execz .LBB101_10
; %bb.8:
	v_mov_b32_e32 v3, s5
.LBB101_9:                              ; =>This Inner Loop Header: Depth=1
	ds_cmpst_rtn_b32 v3, v1, v3, v2 offset:1216
	s_waitcnt lgkmcnt(0)
	v_cmp_ne_u32_e32 vcc_lo, 0, v3
	v_cmp_le_i32_e64 s5, v3, v2
	s_and_b32 s5, vcc_lo, s5
	s_and_b32 s5, exec_lo, s5
	s_or_b32 s52, s5, s52
	s_andn2_b32 exec_lo, exec_lo, s52
	s_cbranch_execnz .LBB101_9
.LBB101_10:
	s_or_b32 exec_lo, exec_lo, s51
	v_mov_b32_e32 v1, 0
	s_barrier
	buffer_gl0_inv
	ds_read_b32 v2, v1 offset:1216
	s_and_saveexec_b32 s5, s4
	s_cbranch_execz .LBB101_12
; %bb.11:
	s_lshl_b64 s[52:53], s[6:7], 2
	s_add_u32 s52, s10, s52
	s_addc_u32 s53, s11, s53
	s_waitcnt lgkmcnt(0)
	global_store_dword v1, v2, s[52:53]
.LBB101_12:
	s_or_b32 exec_lo, exec_lo, s5
	s_waitcnt lgkmcnt(0)
	v_cmp_ne_u32_e32 vcc_lo, 0, v2
	s_mov_b32 s5, 0
	s_cbranch_vccnz .LBB101_164
; %bb.13:
	s_clause 0x3
	buffer_load_dword v83, v88, s[0:3], 0 offen
	buffer_load_dword v84, v88, s[0:3], 0 offen offset:4
	buffer_load_dword v85, v88, s[0:3], 0 offen offset:8
	;; [unrolled: 1-line block ×3, first 2 shown]
                                        ; implicit-def: $vgpr81_vgpr82
                                        ; implicit-def: $vgpr3_vgpr4
	s_waitcnt vmcnt(0)
	v_cmp_ngt_f64_e64 s5, |v[83:84]|, |v[85:86]|
	s_and_saveexec_b32 s51, s5
	s_xor_b32 s5, exec_lo, s51
	s_cbranch_execz .LBB101_15
; %bb.14:
	v_div_scale_f64 v[1:2], null, v[85:86], v[85:86], v[83:84]
	v_div_scale_f64 v[89:90], vcc_lo, v[83:84], v[85:86], v[83:84]
	v_rcp_f64_e32 v[3:4], v[1:2]
	v_fma_f64 v[81:82], -v[1:2], v[3:4], 1.0
	v_fma_f64 v[3:4], v[3:4], v[81:82], v[3:4]
	v_fma_f64 v[81:82], -v[1:2], v[3:4], 1.0
	v_fma_f64 v[3:4], v[3:4], v[81:82], v[3:4]
	v_mul_f64 v[81:82], v[89:90], v[3:4]
	v_fma_f64 v[1:2], -v[1:2], v[81:82], v[89:90]
	v_div_fmas_f64 v[1:2], v[1:2], v[3:4], v[81:82]
	v_div_fixup_f64 v[1:2], v[1:2], v[85:86], v[83:84]
	v_fma_f64 v[3:4], v[83:84], v[1:2], v[85:86]
	v_div_scale_f64 v[81:82], null, v[3:4], v[3:4], 1.0
	v_div_scale_f64 v[89:90], vcc_lo, 1.0, v[3:4], 1.0
	v_rcp_f64_e32 v[83:84], v[81:82]
	v_fma_f64 v[85:86], -v[81:82], v[83:84], 1.0
	v_fma_f64 v[83:84], v[83:84], v[85:86], v[83:84]
	v_fma_f64 v[85:86], -v[81:82], v[83:84], 1.0
	v_fma_f64 v[83:84], v[83:84], v[85:86], v[83:84]
	v_mul_f64 v[85:86], v[89:90], v[83:84]
	v_fma_f64 v[81:82], -v[81:82], v[85:86], v[89:90]
	v_div_fmas_f64 v[81:82], v[81:82], v[83:84], v[85:86]
                                        ; implicit-def: $vgpr83_vgpr84
                                        ; implicit-def: $vgpr85_vgpr86
	v_div_fixup_f64 v[3:4], v[81:82], v[3:4], 1.0
	v_mul_f64 v[81:82], v[1:2], v[3:4]
	v_xor_b32_e32 v4, 0x80000000, v4
	v_xor_b32_e32 v2, 0x80000000, v82
	v_mov_b32_e32 v1, v81
.LBB101_15:
	s_andn2_saveexec_b32 s5, s5
	s_cbranch_execz .LBB101_17
; %bb.16:
	v_div_scale_f64 v[1:2], null, v[83:84], v[83:84], v[85:86]
	v_div_scale_f64 v[89:90], vcc_lo, v[85:86], v[83:84], v[85:86]
	v_rcp_f64_e32 v[3:4], v[1:2]
	v_fma_f64 v[81:82], -v[1:2], v[3:4], 1.0
	v_fma_f64 v[3:4], v[3:4], v[81:82], v[3:4]
	v_fma_f64 v[81:82], -v[1:2], v[3:4], 1.0
	v_fma_f64 v[3:4], v[3:4], v[81:82], v[3:4]
	v_mul_f64 v[81:82], v[89:90], v[3:4]
	v_fma_f64 v[1:2], -v[1:2], v[81:82], v[89:90]
	v_div_fmas_f64 v[1:2], v[1:2], v[3:4], v[81:82]
	v_div_fixup_f64 v[1:2], v[1:2], v[83:84], v[85:86]
	v_fma_f64 v[3:4], v[85:86], v[1:2], v[83:84]
	v_div_scale_f64 v[81:82], null, v[3:4], v[3:4], 1.0
	v_rcp_f64_e32 v[83:84], v[81:82]
	v_fma_f64 v[85:86], -v[81:82], v[83:84], 1.0
	v_fma_f64 v[83:84], v[83:84], v[85:86], v[83:84]
	v_fma_f64 v[85:86], -v[81:82], v[83:84], 1.0
	v_fma_f64 v[83:84], v[83:84], v[85:86], v[83:84]
	v_div_scale_f64 v[85:86], vcc_lo, 1.0, v[3:4], 1.0
	v_mul_f64 v[89:90], v[85:86], v[83:84]
	v_fma_f64 v[81:82], -v[81:82], v[89:90], v[85:86]
	v_div_fmas_f64 v[81:82], v[81:82], v[83:84], v[89:90]
	v_div_fixup_f64 v[81:82], v[81:82], v[3:4], 1.0
	v_mul_f64 v[3:4], v[1:2], -v[81:82]
	v_xor_b32_e32 v2, 0x80000000, v82
	v_mov_b32_e32 v1, v81
.LBB101_17:
	s_or_b32 exec_lo, exec_lo, s5
	v_mov_b32_e32 v86, s49
	buffer_store_dword v82, v88, s[0:3], 0 offen offset:4
	buffer_store_dword v81, v88, s[0:3], 0 offen
	buffer_store_dword v4, v88, s[0:3], 0 offen offset:12
	buffer_store_dword v3, v88, s[0:3], 0 offen offset:8
	v_xor_b32_e32 v4, 0x80000000, v4
	v_add_nc_u32_e32 v81, 0x260, v87
	s_clause 0x3
	buffer_load_dword v85, v86, s[0:3], 0 offen offset:12
	buffer_load_dword v84, v86, s[0:3], 0 offen offset:8
	;; [unrolled: 1-line block ×3, first 2 shown]
	buffer_load_dword v82, v86, s[0:3], 0 offen
	ds_write_b128 v87, v[1:4]
	s_waitcnt vmcnt(0)
	ds_write_b128 v87, v[82:85] offset:608
	s_waitcnt lgkmcnt(0)
	s_waitcnt_vscnt null, 0x0
	s_barrier
	buffer_gl0_inv
	s_and_saveexec_b32 s5, s4
	s_cbranch_execz .LBB101_19
; %bb.18:
	s_clause 0x3
	buffer_load_dword v89, v88, s[0:3], 0 offen offset:8
	buffer_load_dword v90, v88, s[0:3], 0 offen offset:12
	buffer_load_dword v91, v88, s[0:3], 0 offen
	buffer_load_dword v92, v88, s[0:3], 0 offen offset:4
	ds_read_b128 v[1:4], v81
	v_mov_b32_e32 v82, 0
	ds_read_b128 v[82:85], v82 offset:16
	s_waitcnt vmcnt(2) lgkmcnt(1)
	v_mul_f64 v[93:94], v[1:2], v[89:90]
	v_mul_f64 v[89:90], v[3:4], v[89:90]
	s_waitcnt vmcnt(0)
	v_fma_f64 v[3:4], v[3:4], v[91:92], v[93:94]
	v_fma_f64 v[1:2], v[1:2], v[91:92], -v[89:90]
	v_add_f64 v[3:4], v[3:4], 0
	v_add_f64 v[1:2], v[1:2], 0
	s_waitcnt lgkmcnt(0)
	v_mul_f64 v[89:90], v[3:4], v[84:85]
	v_mul_f64 v[84:85], v[1:2], v[84:85]
	v_fma_f64 v[1:2], v[1:2], v[82:83], -v[89:90]
	v_fma_f64 v[3:4], v[3:4], v[82:83], v[84:85]
	buffer_store_dword v1, off, s[0:3], 0 offset:32
	buffer_store_dword v2, off, s[0:3], 0 offset:36
	;; [unrolled: 1-line block ×4, first 2 shown]
.LBB101_19:
	s_or_b32 exec_lo, exec_lo, s5
	v_mov_b32_e32 v4, s48
	s_waitcnt_vscnt null, 0x0
	s_barrier
	buffer_gl0_inv
	s_mov_b32 s5, exec_lo
	s_clause 0x3
	buffer_load_dword v1, v4, s[0:3], 0 offen
	buffer_load_dword v2, v4, s[0:3], 0 offen offset:4
	buffer_load_dword v3, v4, s[0:3], 0 offen offset:8
	;; [unrolled: 1-line block ×3, first 2 shown]
	s_waitcnt vmcnt(0)
	ds_write_b128 v81, v[1:4]
	s_waitcnt lgkmcnt(0)
	s_barrier
	buffer_gl0_inv
	v_cmpx_gt_u32_e32 2, v0
	s_cbranch_execz .LBB101_23
; %bb.20:
	s_clause 0x3
	buffer_load_dword v82, v88, s[0:3], 0 offen offset:8
	buffer_load_dword v83, v88, s[0:3], 0 offen offset:12
	buffer_load_dword v84, v88, s[0:3], 0 offen
	buffer_load_dword v85, v88, s[0:3], 0 offen offset:4
	ds_read_b128 v[1:4], v81
	s_waitcnt vmcnt(2) lgkmcnt(0)
	v_mul_f64 v[88:89], v[3:4], v[82:83]
	v_mul_f64 v[82:83], v[1:2], v[82:83]
	s_waitcnt vmcnt(0)
	v_fma_f64 v[1:2], v[1:2], v[84:85], -v[88:89]
	v_fma_f64 v[3:4], v[3:4], v[84:85], v[82:83]
	v_add_f64 v[1:2], v[1:2], 0
	v_add_f64 v[3:4], v[3:4], 0
	s_and_saveexec_b32 s51, s4
	s_cbranch_execz .LBB101_22
; %bb.21:
	s_clause 0x3
	buffer_load_dword v88, off, s[0:3], 0 offset:40
	buffer_load_dword v89, off, s[0:3], 0 offset:44
	;; [unrolled: 1-line block ×4, first 2 shown]
	v_mov_b32_e32 v82, 0
	ds_read_b128 v[82:85], v82 offset:624
	s_waitcnt vmcnt(2) lgkmcnt(0)
	v_mul_f64 v[92:93], v[82:83], v[88:89]
	v_mul_f64 v[88:89], v[84:85], v[88:89]
	s_waitcnt vmcnt(0)
	v_fma_f64 v[84:85], v[84:85], v[90:91], v[92:93]
	v_fma_f64 v[82:83], v[82:83], v[90:91], -v[88:89]
	v_add_f64 v[3:4], v[3:4], v[84:85]
	v_add_f64 v[1:2], v[1:2], v[82:83]
.LBB101_22:
	s_or_b32 exec_lo, exec_lo, s51
	v_mov_b32_e32 v82, 0
	ds_read_b128 v[82:85], v82 offset:32
	s_waitcnt lgkmcnt(0)
	v_mul_f64 v[88:89], v[3:4], v[84:85]
	v_mul_f64 v[84:85], v[1:2], v[84:85]
	v_fma_f64 v[1:2], v[1:2], v[82:83], -v[88:89]
	v_fma_f64 v[3:4], v[3:4], v[82:83], v[84:85]
	buffer_store_dword v2, off, s[0:3], 0 offset:52
	buffer_store_dword v1, off, s[0:3], 0 offset:48
	;; [unrolled: 1-line block ×4, first 2 shown]
.LBB101_23:
	s_or_b32 exec_lo, exec_lo, s5
	v_mov_b32_e32 v4, s47
	s_waitcnt_vscnt null, 0x0
	s_barrier
	buffer_gl0_inv
	v_add_nc_u32_e32 v82, -1, v0
	s_clause 0x3
	buffer_load_dword v1, v4, s[0:3], 0 offen
	buffer_load_dword v2, v4, s[0:3], 0 offen offset:4
	buffer_load_dword v3, v4, s[0:3], 0 offen offset:8
	;; [unrolled: 1-line block ×3, first 2 shown]
	s_mov_b32 s4, exec_lo
	s_waitcnt vmcnt(0)
	ds_write_b128 v81, v[1:4]
	s_waitcnt lgkmcnt(0)
	s_barrier
	buffer_gl0_inv
	v_cmpx_gt_u32_e32 3, v0
	s_cbranch_execz .LBB101_27
; %bb.24:
	v_mov_b32_e32 v1, 0
	v_mov_b32_e32 v3, 0
	v_add_nc_u32_e32 v83, -1, v0
	v_add_nc_u32_e32 v84, 0x260, v87
	v_mov_b32_e32 v2, 0
	v_mov_b32_e32 v4, 0
	v_add_nc_u32_e32 v85, 16, v87
	s_mov_b32 s5, 0
	.p2align	6
.LBB101_25:                             ; =>This Inner Loop Header: Depth=1
	s_clause 0x3
	buffer_load_dword v92, v85, s[0:3], 0 offen offset:8
	buffer_load_dword v93, v85, s[0:3], 0 offen offset:12
	buffer_load_dword v94, v85, s[0:3], 0 offen
	buffer_load_dword v95, v85, s[0:3], 0 offen offset:4
	ds_read_b128 v[88:91], v84
	v_add_nc_u32_e32 v83, 1, v83
	v_add_nc_u32_e32 v84, 16, v84
	v_add_nc_u32_e32 v85, 16, v85
	v_cmp_lt_u32_e32 vcc_lo, 1, v83
	s_or_b32 s5, vcc_lo, s5
	s_waitcnt vmcnt(2) lgkmcnt(0)
	v_mul_f64 v[96:97], v[90:91], v[92:93]
	v_mul_f64 v[92:93], v[88:89], v[92:93]
	s_waitcnt vmcnt(0)
	v_fma_f64 v[88:89], v[88:89], v[94:95], -v[96:97]
	v_fma_f64 v[90:91], v[90:91], v[94:95], v[92:93]
	v_add_f64 v[3:4], v[3:4], v[88:89]
	v_add_f64 v[1:2], v[1:2], v[90:91]
	s_andn2_b32 exec_lo, exec_lo, s5
	s_cbranch_execnz .LBB101_25
; %bb.26:
	s_or_b32 exec_lo, exec_lo, s5
	v_mov_b32_e32 v83, 0
	ds_read_b128 v[83:86], v83 offset:48
	s_waitcnt lgkmcnt(0)
	v_mul_f64 v[88:89], v[1:2], v[85:86]
	v_mul_f64 v[85:86], v[3:4], v[85:86]
	v_fma_f64 v[3:4], v[3:4], v[83:84], -v[88:89]
	v_fma_f64 v[1:2], v[1:2], v[83:84], v[85:86]
	buffer_store_dword v4, off, s[0:3], 0 offset:68
	buffer_store_dword v3, off, s[0:3], 0 offset:64
	;; [unrolled: 1-line block ×4, first 2 shown]
.LBB101_27:
	s_or_b32 exec_lo, exec_lo, s4
	v_mov_b32_e32 v4, s46
	s_waitcnt_vscnt null, 0x0
	s_barrier
	buffer_gl0_inv
	s_mov_b32 s4, exec_lo
	s_clause 0x3
	buffer_load_dword v1, v4, s[0:3], 0 offen
	buffer_load_dword v2, v4, s[0:3], 0 offen offset:4
	buffer_load_dword v3, v4, s[0:3], 0 offen offset:8
	;; [unrolled: 1-line block ×3, first 2 shown]
	s_waitcnt vmcnt(0)
	ds_write_b128 v81, v[1:4]
	s_waitcnt lgkmcnt(0)
	s_barrier
	buffer_gl0_inv
	v_cmpx_gt_u32_e32 4, v0
	s_cbranch_execz .LBB101_31
; %bb.28:
	v_mov_b32_e32 v1, 0
	v_mov_b32_e32 v3, 0
	v_add_nc_u32_e32 v83, -1, v0
	v_add_nc_u32_e32 v84, 0x260, v87
	v_mov_b32_e32 v2, 0
	v_mov_b32_e32 v4, 0
	v_add_nc_u32_e32 v85, 16, v87
	s_mov_b32 s5, 0
	.p2align	6
.LBB101_29:                             ; =>This Inner Loop Header: Depth=1
	s_clause 0x3
	buffer_load_dword v92, v85, s[0:3], 0 offen offset:8
	buffer_load_dword v93, v85, s[0:3], 0 offen offset:12
	buffer_load_dword v94, v85, s[0:3], 0 offen
	buffer_load_dword v95, v85, s[0:3], 0 offen offset:4
	ds_read_b128 v[88:91], v84
	v_add_nc_u32_e32 v83, 1, v83
	v_add_nc_u32_e32 v84, 16, v84
	;; [unrolled: 1-line block ×3, first 2 shown]
	v_cmp_lt_u32_e32 vcc_lo, 2, v83
	s_or_b32 s5, vcc_lo, s5
	s_waitcnt vmcnt(2) lgkmcnt(0)
	v_mul_f64 v[96:97], v[90:91], v[92:93]
	v_mul_f64 v[92:93], v[88:89], v[92:93]
	s_waitcnt vmcnt(0)
	v_fma_f64 v[88:89], v[88:89], v[94:95], -v[96:97]
	v_fma_f64 v[90:91], v[90:91], v[94:95], v[92:93]
	v_add_f64 v[3:4], v[3:4], v[88:89]
	v_add_f64 v[1:2], v[1:2], v[90:91]
	s_andn2_b32 exec_lo, exec_lo, s5
	s_cbranch_execnz .LBB101_29
; %bb.30:
	s_or_b32 exec_lo, exec_lo, s5
	v_mov_b32_e32 v83, 0
	ds_read_b128 v[83:86], v83 offset:64
	s_waitcnt lgkmcnt(0)
	v_mul_f64 v[88:89], v[1:2], v[85:86]
	v_mul_f64 v[85:86], v[3:4], v[85:86]
	v_fma_f64 v[3:4], v[3:4], v[83:84], -v[88:89]
	v_fma_f64 v[1:2], v[1:2], v[83:84], v[85:86]
	buffer_store_dword v4, off, s[0:3], 0 offset:84
	buffer_store_dword v3, off, s[0:3], 0 offset:80
	;; [unrolled: 1-line block ×4, first 2 shown]
.LBB101_31:
	s_or_b32 exec_lo, exec_lo, s4
	v_mov_b32_e32 v4, s45
	s_waitcnt_vscnt null, 0x0
	s_barrier
	buffer_gl0_inv
	s_mov_b32 s4, exec_lo
	s_clause 0x3
	buffer_load_dword v1, v4, s[0:3], 0 offen
	buffer_load_dword v2, v4, s[0:3], 0 offen offset:4
	buffer_load_dword v3, v4, s[0:3], 0 offen offset:8
	;; [unrolled: 1-line block ×3, first 2 shown]
	s_waitcnt vmcnt(0)
	ds_write_b128 v81, v[1:4]
	s_waitcnt lgkmcnt(0)
	s_barrier
	buffer_gl0_inv
	v_cmpx_gt_u32_e32 5, v0
	s_cbranch_execz .LBB101_35
; %bb.32:
	v_mov_b32_e32 v1, 0
	v_mov_b32_e32 v3, 0
	v_add_nc_u32_e32 v83, -1, v0
	v_add_nc_u32_e32 v84, 0x260, v87
	v_mov_b32_e32 v2, 0
	v_mov_b32_e32 v4, 0
	v_add_nc_u32_e32 v85, 16, v87
	s_mov_b32 s5, 0
	.p2align	6
.LBB101_33:                             ; =>This Inner Loop Header: Depth=1
	s_clause 0x3
	buffer_load_dword v92, v85, s[0:3], 0 offen offset:8
	buffer_load_dword v93, v85, s[0:3], 0 offen offset:12
	buffer_load_dword v94, v85, s[0:3], 0 offen
	buffer_load_dword v95, v85, s[0:3], 0 offen offset:4
	ds_read_b128 v[88:91], v84
	v_add_nc_u32_e32 v83, 1, v83
	v_add_nc_u32_e32 v84, 16, v84
	;; [unrolled: 1-line block ×3, first 2 shown]
	v_cmp_lt_u32_e32 vcc_lo, 3, v83
	s_or_b32 s5, vcc_lo, s5
	s_waitcnt vmcnt(2) lgkmcnt(0)
	v_mul_f64 v[96:97], v[90:91], v[92:93]
	v_mul_f64 v[92:93], v[88:89], v[92:93]
	s_waitcnt vmcnt(0)
	v_fma_f64 v[88:89], v[88:89], v[94:95], -v[96:97]
	v_fma_f64 v[90:91], v[90:91], v[94:95], v[92:93]
	v_add_f64 v[3:4], v[3:4], v[88:89]
	v_add_f64 v[1:2], v[1:2], v[90:91]
	s_andn2_b32 exec_lo, exec_lo, s5
	s_cbranch_execnz .LBB101_33
; %bb.34:
	s_or_b32 exec_lo, exec_lo, s5
	v_mov_b32_e32 v83, 0
	ds_read_b128 v[83:86], v83 offset:80
	s_waitcnt lgkmcnt(0)
	v_mul_f64 v[88:89], v[1:2], v[85:86]
	v_mul_f64 v[85:86], v[3:4], v[85:86]
	v_fma_f64 v[3:4], v[3:4], v[83:84], -v[88:89]
	v_fma_f64 v[1:2], v[1:2], v[83:84], v[85:86]
	buffer_store_dword v4, off, s[0:3], 0 offset:100
	buffer_store_dword v3, off, s[0:3], 0 offset:96
	;; [unrolled: 1-line block ×4, first 2 shown]
.LBB101_35:
	s_or_b32 exec_lo, exec_lo, s4
	v_mov_b32_e32 v4, s44
	s_waitcnt_vscnt null, 0x0
	s_barrier
	buffer_gl0_inv
	s_mov_b32 s4, exec_lo
	s_clause 0x3
	buffer_load_dword v1, v4, s[0:3], 0 offen
	buffer_load_dword v2, v4, s[0:3], 0 offen offset:4
	buffer_load_dword v3, v4, s[0:3], 0 offen offset:8
	;; [unrolled: 1-line block ×3, first 2 shown]
	s_waitcnt vmcnt(0)
	ds_write_b128 v81, v[1:4]
	s_waitcnt lgkmcnt(0)
	s_barrier
	buffer_gl0_inv
	v_cmpx_gt_u32_e32 6, v0
	s_cbranch_execz .LBB101_39
; %bb.36:
	v_mov_b32_e32 v1, 0
	v_mov_b32_e32 v3, 0
	v_add_nc_u32_e32 v83, -1, v0
	v_add_nc_u32_e32 v84, 0x260, v87
	v_mov_b32_e32 v2, 0
	v_mov_b32_e32 v4, 0
	v_add_nc_u32_e32 v85, 16, v87
	s_mov_b32 s5, 0
	.p2align	6
.LBB101_37:                             ; =>This Inner Loop Header: Depth=1
	s_clause 0x3
	buffer_load_dword v92, v85, s[0:3], 0 offen offset:8
	buffer_load_dword v93, v85, s[0:3], 0 offen offset:12
	buffer_load_dword v94, v85, s[0:3], 0 offen
	buffer_load_dword v95, v85, s[0:3], 0 offen offset:4
	ds_read_b128 v[88:91], v84
	v_add_nc_u32_e32 v83, 1, v83
	v_add_nc_u32_e32 v84, 16, v84
	;; [unrolled: 1-line block ×3, first 2 shown]
	v_cmp_lt_u32_e32 vcc_lo, 4, v83
	s_or_b32 s5, vcc_lo, s5
	s_waitcnt vmcnt(2) lgkmcnt(0)
	v_mul_f64 v[96:97], v[90:91], v[92:93]
	v_mul_f64 v[92:93], v[88:89], v[92:93]
	s_waitcnt vmcnt(0)
	v_fma_f64 v[88:89], v[88:89], v[94:95], -v[96:97]
	v_fma_f64 v[90:91], v[90:91], v[94:95], v[92:93]
	v_add_f64 v[3:4], v[3:4], v[88:89]
	v_add_f64 v[1:2], v[1:2], v[90:91]
	s_andn2_b32 exec_lo, exec_lo, s5
	s_cbranch_execnz .LBB101_37
; %bb.38:
	s_or_b32 exec_lo, exec_lo, s5
	v_mov_b32_e32 v83, 0
	ds_read_b128 v[83:86], v83 offset:96
	s_waitcnt lgkmcnt(0)
	v_mul_f64 v[88:89], v[1:2], v[85:86]
	v_mul_f64 v[85:86], v[3:4], v[85:86]
	v_fma_f64 v[3:4], v[3:4], v[83:84], -v[88:89]
	v_fma_f64 v[1:2], v[1:2], v[83:84], v[85:86]
	buffer_store_dword v4, off, s[0:3], 0 offset:116
	buffer_store_dword v3, off, s[0:3], 0 offset:112
	;; [unrolled: 1-line block ×4, first 2 shown]
.LBB101_39:
	s_or_b32 exec_lo, exec_lo, s4
	v_mov_b32_e32 v4, s43
	s_waitcnt_vscnt null, 0x0
	s_barrier
	buffer_gl0_inv
	s_mov_b32 s4, exec_lo
	s_clause 0x3
	buffer_load_dword v1, v4, s[0:3], 0 offen
	buffer_load_dword v2, v4, s[0:3], 0 offen offset:4
	buffer_load_dword v3, v4, s[0:3], 0 offen offset:8
	;; [unrolled: 1-line block ×3, first 2 shown]
	s_waitcnt vmcnt(0)
	ds_write_b128 v81, v[1:4]
	s_waitcnt lgkmcnt(0)
	s_barrier
	buffer_gl0_inv
	v_cmpx_gt_u32_e32 7, v0
	s_cbranch_execz .LBB101_43
; %bb.40:
	v_mov_b32_e32 v1, 0
	v_mov_b32_e32 v3, 0
	v_add_nc_u32_e32 v83, -1, v0
	v_add_nc_u32_e32 v84, 0x260, v87
	v_mov_b32_e32 v2, 0
	v_mov_b32_e32 v4, 0
	v_add_nc_u32_e32 v85, 16, v87
	s_mov_b32 s5, 0
	.p2align	6
.LBB101_41:                             ; =>This Inner Loop Header: Depth=1
	s_clause 0x3
	buffer_load_dword v92, v85, s[0:3], 0 offen offset:8
	buffer_load_dword v93, v85, s[0:3], 0 offen offset:12
	buffer_load_dword v94, v85, s[0:3], 0 offen
	buffer_load_dword v95, v85, s[0:3], 0 offen offset:4
	ds_read_b128 v[88:91], v84
	v_add_nc_u32_e32 v83, 1, v83
	v_add_nc_u32_e32 v84, 16, v84
	v_add_nc_u32_e32 v85, 16, v85
	v_cmp_lt_u32_e32 vcc_lo, 5, v83
	s_or_b32 s5, vcc_lo, s5
	s_waitcnt vmcnt(2) lgkmcnt(0)
	v_mul_f64 v[96:97], v[90:91], v[92:93]
	v_mul_f64 v[92:93], v[88:89], v[92:93]
	s_waitcnt vmcnt(0)
	v_fma_f64 v[88:89], v[88:89], v[94:95], -v[96:97]
	v_fma_f64 v[90:91], v[90:91], v[94:95], v[92:93]
	v_add_f64 v[3:4], v[3:4], v[88:89]
	v_add_f64 v[1:2], v[1:2], v[90:91]
	s_andn2_b32 exec_lo, exec_lo, s5
	s_cbranch_execnz .LBB101_41
; %bb.42:
	s_or_b32 exec_lo, exec_lo, s5
	v_mov_b32_e32 v83, 0
	ds_read_b128 v[83:86], v83 offset:112
	s_waitcnt lgkmcnt(0)
	v_mul_f64 v[88:89], v[1:2], v[85:86]
	v_mul_f64 v[85:86], v[3:4], v[85:86]
	v_fma_f64 v[3:4], v[3:4], v[83:84], -v[88:89]
	v_fma_f64 v[1:2], v[1:2], v[83:84], v[85:86]
	buffer_store_dword v4, off, s[0:3], 0 offset:132
	buffer_store_dword v3, off, s[0:3], 0 offset:128
	;; [unrolled: 1-line block ×4, first 2 shown]
.LBB101_43:
	s_or_b32 exec_lo, exec_lo, s4
	v_mov_b32_e32 v4, s42
	s_waitcnt_vscnt null, 0x0
	s_barrier
	buffer_gl0_inv
	s_mov_b32 s4, exec_lo
	s_clause 0x3
	buffer_load_dword v1, v4, s[0:3], 0 offen
	buffer_load_dword v2, v4, s[0:3], 0 offen offset:4
	buffer_load_dword v3, v4, s[0:3], 0 offen offset:8
	;; [unrolled: 1-line block ×3, first 2 shown]
	s_waitcnt vmcnt(0)
	ds_write_b128 v81, v[1:4]
	s_waitcnt lgkmcnt(0)
	s_barrier
	buffer_gl0_inv
	v_cmpx_gt_u32_e32 8, v0
	s_cbranch_execz .LBB101_47
; %bb.44:
	v_mov_b32_e32 v1, 0
	v_mov_b32_e32 v3, 0
	v_add_nc_u32_e32 v83, -1, v0
	v_add_nc_u32_e32 v84, 0x260, v87
	v_mov_b32_e32 v2, 0
	v_mov_b32_e32 v4, 0
	v_add_nc_u32_e32 v85, 16, v87
	s_mov_b32 s5, 0
	.p2align	6
.LBB101_45:                             ; =>This Inner Loop Header: Depth=1
	s_clause 0x3
	buffer_load_dword v92, v85, s[0:3], 0 offen offset:8
	buffer_load_dword v93, v85, s[0:3], 0 offen offset:12
	buffer_load_dword v94, v85, s[0:3], 0 offen
	buffer_load_dword v95, v85, s[0:3], 0 offen offset:4
	ds_read_b128 v[88:91], v84
	v_add_nc_u32_e32 v83, 1, v83
	v_add_nc_u32_e32 v84, 16, v84
	;; [unrolled: 1-line block ×3, first 2 shown]
	v_cmp_lt_u32_e32 vcc_lo, 6, v83
	s_or_b32 s5, vcc_lo, s5
	s_waitcnt vmcnt(2) lgkmcnt(0)
	v_mul_f64 v[96:97], v[90:91], v[92:93]
	v_mul_f64 v[92:93], v[88:89], v[92:93]
	s_waitcnt vmcnt(0)
	v_fma_f64 v[88:89], v[88:89], v[94:95], -v[96:97]
	v_fma_f64 v[90:91], v[90:91], v[94:95], v[92:93]
	v_add_f64 v[3:4], v[3:4], v[88:89]
	v_add_f64 v[1:2], v[1:2], v[90:91]
	s_andn2_b32 exec_lo, exec_lo, s5
	s_cbranch_execnz .LBB101_45
; %bb.46:
	s_or_b32 exec_lo, exec_lo, s5
	v_mov_b32_e32 v83, 0
	ds_read_b128 v[83:86], v83 offset:128
	s_waitcnt lgkmcnt(0)
	v_mul_f64 v[88:89], v[1:2], v[85:86]
	v_mul_f64 v[85:86], v[3:4], v[85:86]
	v_fma_f64 v[3:4], v[3:4], v[83:84], -v[88:89]
	v_fma_f64 v[1:2], v[1:2], v[83:84], v[85:86]
	buffer_store_dword v4, off, s[0:3], 0 offset:148
	buffer_store_dword v3, off, s[0:3], 0 offset:144
	;; [unrolled: 1-line block ×4, first 2 shown]
.LBB101_47:
	s_or_b32 exec_lo, exec_lo, s4
	v_mov_b32_e32 v4, s41
	s_waitcnt_vscnt null, 0x0
	s_barrier
	buffer_gl0_inv
	s_mov_b32 s4, exec_lo
	s_clause 0x3
	buffer_load_dword v1, v4, s[0:3], 0 offen
	buffer_load_dword v2, v4, s[0:3], 0 offen offset:4
	buffer_load_dword v3, v4, s[0:3], 0 offen offset:8
	;; [unrolled: 1-line block ×3, first 2 shown]
	s_waitcnt vmcnt(0)
	ds_write_b128 v81, v[1:4]
	s_waitcnt lgkmcnt(0)
	s_barrier
	buffer_gl0_inv
	v_cmpx_gt_u32_e32 9, v0
	s_cbranch_execz .LBB101_51
; %bb.48:
	v_mov_b32_e32 v1, 0
	v_mov_b32_e32 v3, 0
	v_add_nc_u32_e32 v83, -1, v0
	v_add_nc_u32_e32 v84, 0x260, v87
	v_mov_b32_e32 v2, 0
	v_mov_b32_e32 v4, 0
	v_add_nc_u32_e32 v85, 16, v87
	s_mov_b32 s5, 0
	.p2align	6
.LBB101_49:                             ; =>This Inner Loop Header: Depth=1
	s_clause 0x3
	buffer_load_dword v92, v85, s[0:3], 0 offen offset:8
	buffer_load_dword v93, v85, s[0:3], 0 offen offset:12
	buffer_load_dword v94, v85, s[0:3], 0 offen
	buffer_load_dword v95, v85, s[0:3], 0 offen offset:4
	ds_read_b128 v[88:91], v84
	v_add_nc_u32_e32 v83, 1, v83
	v_add_nc_u32_e32 v84, 16, v84
	;; [unrolled: 1-line block ×3, first 2 shown]
	v_cmp_lt_u32_e32 vcc_lo, 7, v83
	s_or_b32 s5, vcc_lo, s5
	s_waitcnt vmcnt(2) lgkmcnt(0)
	v_mul_f64 v[96:97], v[90:91], v[92:93]
	v_mul_f64 v[92:93], v[88:89], v[92:93]
	s_waitcnt vmcnt(0)
	v_fma_f64 v[88:89], v[88:89], v[94:95], -v[96:97]
	v_fma_f64 v[90:91], v[90:91], v[94:95], v[92:93]
	v_add_f64 v[3:4], v[3:4], v[88:89]
	v_add_f64 v[1:2], v[1:2], v[90:91]
	s_andn2_b32 exec_lo, exec_lo, s5
	s_cbranch_execnz .LBB101_49
; %bb.50:
	s_or_b32 exec_lo, exec_lo, s5
	v_mov_b32_e32 v83, 0
	ds_read_b128 v[83:86], v83 offset:144
	s_waitcnt lgkmcnt(0)
	v_mul_f64 v[88:89], v[1:2], v[85:86]
	v_mul_f64 v[85:86], v[3:4], v[85:86]
	v_fma_f64 v[3:4], v[3:4], v[83:84], -v[88:89]
	v_fma_f64 v[1:2], v[1:2], v[83:84], v[85:86]
	buffer_store_dword v4, off, s[0:3], 0 offset:164
	buffer_store_dword v3, off, s[0:3], 0 offset:160
	;; [unrolled: 1-line block ×4, first 2 shown]
.LBB101_51:
	s_or_b32 exec_lo, exec_lo, s4
	v_mov_b32_e32 v4, s40
	s_waitcnt_vscnt null, 0x0
	s_barrier
	buffer_gl0_inv
	s_mov_b32 s4, exec_lo
	s_clause 0x3
	buffer_load_dword v1, v4, s[0:3], 0 offen
	buffer_load_dword v2, v4, s[0:3], 0 offen offset:4
	buffer_load_dword v3, v4, s[0:3], 0 offen offset:8
	;; [unrolled: 1-line block ×3, first 2 shown]
	s_waitcnt vmcnt(0)
	ds_write_b128 v81, v[1:4]
	s_waitcnt lgkmcnt(0)
	s_barrier
	buffer_gl0_inv
	v_cmpx_gt_u32_e32 10, v0
	s_cbranch_execz .LBB101_55
; %bb.52:
	v_mov_b32_e32 v1, 0
	v_mov_b32_e32 v3, 0
	v_add_nc_u32_e32 v83, -1, v0
	v_add_nc_u32_e32 v84, 0x260, v87
	v_mov_b32_e32 v2, 0
	v_mov_b32_e32 v4, 0
	v_add_nc_u32_e32 v85, 16, v87
	s_mov_b32 s5, 0
	.p2align	6
.LBB101_53:                             ; =>This Inner Loop Header: Depth=1
	s_clause 0x3
	buffer_load_dword v92, v85, s[0:3], 0 offen offset:8
	buffer_load_dword v93, v85, s[0:3], 0 offen offset:12
	buffer_load_dword v94, v85, s[0:3], 0 offen
	buffer_load_dword v95, v85, s[0:3], 0 offen offset:4
	ds_read_b128 v[88:91], v84
	v_add_nc_u32_e32 v83, 1, v83
	v_add_nc_u32_e32 v84, 16, v84
	;; [unrolled: 1-line block ×3, first 2 shown]
	v_cmp_lt_u32_e32 vcc_lo, 8, v83
	s_or_b32 s5, vcc_lo, s5
	s_waitcnt vmcnt(2) lgkmcnt(0)
	v_mul_f64 v[96:97], v[90:91], v[92:93]
	v_mul_f64 v[92:93], v[88:89], v[92:93]
	s_waitcnt vmcnt(0)
	v_fma_f64 v[88:89], v[88:89], v[94:95], -v[96:97]
	v_fma_f64 v[90:91], v[90:91], v[94:95], v[92:93]
	v_add_f64 v[3:4], v[3:4], v[88:89]
	v_add_f64 v[1:2], v[1:2], v[90:91]
	s_andn2_b32 exec_lo, exec_lo, s5
	s_cbranch_execnz .LBB101_53
; %bb.54:
	s_or_b32 exec_lo, exec_lo, s5
	v_mov_b32_e32 v83, 0
	ds_read_b128 v[83:86], v83 offset:160
	s_waitcnt lgkmcnt(0)
	v_mul_f64 v[88:89], v[1:2], v[85:86]
	v_mul_f64 v[85:86], v[3:4], v[85:86]
	v_fma_f64 v[3:4], v[3:4], v[83:84], -v[88:89]
	v_fma_f64 v[1:2], v[1:2], v[83:84], v[85:86]
	buffer_store_dword v4, off, s[0:3], 0 offset:180
	buffer_store_dword v3, off, s[0:3], 0 offset:176
	buffer_store_dword v2, off, s[0:3], 0 offset:188
	buffer_store_dword v1, off, s[0:3], 0 offset:184
.LBB101_55:
	s_or_b32 exec_lo, exec_lo, s4
	v_mov_b32_e32 v4, s39
	s_waitcnt_vscnt null, 0x0
	s_barrier
	buffer_gl0_inv
	s_mov_b32 s4, exec_lo
	s_clause 0x3
	buffer_load_dword v1, v4, s[0:3], 0 offen
	buffer_load_dword v2, v4, s[0:3], 0 offen offset:4
	buffer_load_dword v3, v4, s[0:3], 0 offen offset:8
	;; [unrolled: 1-line block ×3, first 2 shown]
	s_waitcnt vmcnt(0)
	ds_write_b128 v81, v[1:4]
	s_waitcnt lgkmcnt(0)
	s_barrier
	buffer_gl0_inv
	v_cmpx_gt_u32_e32 11, v0
	s_cbranch_execz .LBB101_59
; %bb.56:
	v_mov_b32_e32 v1, 0
	v_mov_b32_e32 v3, 0
	v_add_nc_u32_e32 v83, -1, v0
	v_add_nc_u32_e32 v84, 0x260, v87
	v_mov_b32_e32 v2, 0
	v_mov_b32_e32 v4, 0
	v_add_nc_u32_e32 v85, 16, v87
	s_mov_b32 s5, 0
	.p2align	6
.LBB101_57:                             ; =>This Inner Loop Header: Depth=1
	s_clause 0x3
	buffer_load_dword v92, v85, s[0:3], 0 offen offset:8
	buffer_load_dword v93, v85, s[0:3], 0 offen offset:12
	buffer_load_dword v94, v85, s[0:3], 0 offen
	buffer_load_dword v95, v85, s[0:3], 0 offen offset:4
	ds_read_b128 v[88:91], v84
	v_add_nc_u32_e32 v83, 1, v83
	v_add_nc_u32_e32 v84, 16, v84
	;; [unrolled: 1-line block ×3, first 2 shown]
	v_cmp_lt_u32_e32 vcc_lo, 9, v83
	s_or_b32 s5, vcc_lo, s5
	s_waitcnt vmcnt(2) lgkmcnt(0)
	v_mul_f64 v[96:97], v[90:91], v[92:93]
	v_mul_f64 v[92:93], v[88:89], v[92:93]
	s_waitcnt vmcnt(0)
	v_fma_f64 v[88:89], v[88:89], v[94:95], -v[96:97]
	v_fma_f64 v[90:91], v[90:91], v[94:95], v[92:93]
	v_add_f64 v[3:4], v[3:4], v[88:89]
	v_add_f64 v[1:2], v[1:2], v[90:91]
	s_andn2_b32 exec_lo, exec_lo, s5
	s_cbranch_execnz .LBB101_57
; %bb.58:
	s_or_b32 exec_lo, exec_lo, s5
	v_mov_b32_e32 v83, 0
	ds_read_b128 v[83:86], v83 offset:176
	s_waitcnt lgkmcnt(0)
	v_mul_f64 v[88:89], v[1:2], v[85:86]
	v_mul_f64 v[85:86], v[3:4], v[85:86]
	v_fma_f64 v[3:4], v[3:4], v[83:84], -v[88:89]
	v_fma_f64 v[1:2], v[1:2], v[83:84], v[85:86]
	buffer_store_dword v4, off, s[0:3], 0 offset:196
	buffer_store_dword v3, off, s[0:3], 0 offset:192
	buffer_store_dword v2, off, s[0:3], 0 offset:204
	buffer_store_dword v1, off, s[0:3], 0 offset:200
.LBB101_59:
	s_or_b32 exec_lo, exec_lo, s4
	v_mov_b32_e32 v4, s38
	s_waitcnt_vscnt null, 0x0
	s_barrier
	buffer_gl0_inv
	s_mov_b32 s4, exec_lo
	s_clause 0x3
	buffer_load_dword v1, v4, s[0:3], 0 offen
	buffer_load_dword v2, v4, s[0:3], 0 offen offset:4
	buffer_load_dword v3, v4, s[0:3], 0 offen offset:8
	;; [unrolled: 1-line block ×3, first 2 shown]
	s_waitcnt vmcnt(0)
	ds_write_b128 v81, v[1:4]
	s_waitcnt lgkmcnt(0)
	s_barrier
	buffer_gl0_inv
	v_cmpx_gt_u32_e32 12, v0
	s_cbranch_execz .LBB101_63
; %bb.60:
	v_mov_b32_e32 v1, 0
	v_mov_b32_e32 v3, 0
	v_add_nc_u32_e32 v83, -1, v0
	v_add_nc_u32_e32 v84, 0x260, v87
	v_mov_b32_e32 v2, 0
	v_mov_b32_e32 v4, 0
	v_add_nc_u32_e32 v85, 16, v87
	s_mov_b32 s5, 0
	.p2align	6
.LBB101_61:                             ; =>This Inner Loop Header: Depth=1
	s_clause 0x3
	buffer_load_dword v92, v85, s[0:3], 0 offen offset:8
	buffer_load_dword v93, v85, s[0:3], 0 offen offset:12
	buffer_load_dword v94, v85, s[0:3], 0 offen
	buffer_load_dword v95, v85, s[0:3], 0 offen offset:4
	ds_read_b128 v[88:91], v84
	v_add_nc_u32_e32 v83, 1, v83
	v_add_nc_u32_e32 v84, 16, v84
	;; [unrolled: 1-line block ×3, first 2 shown]
	v_cmp_lt_u32_e32 vcc_lo, 10, v83
	s_or_b32 s5, vcc_lo, s5
	s_waitcnt vmcnt(2) lgkmcnt(0)
	v_mul_f64 v[96:97], v[90:91], v[92:93]
	v_mul_f64 v[92:93], v[88:89], v[92:93]
	s_waitcnt vmcnt(0)
	v_fma_f64 v[88:89], v[88:89], v[94:95], -v[96:97]
	v_fma_f64 v[90:91], v[90:91], v[94:95], v[92:93]
	v_add_f64 v[3:4], v[3:4], v[88:89]
	v_add_f64 v[1:2], v[1:2], v[90:91]
	s_andn2_b32 exec_lo, exec_lo, s5
	s_cbranch_execnz .LBB101_61
; %bb.62:
	s_or_b32 exec_lo, exec_lo, s5
	v_mov_b32_e32 v83, 0
	ds_read_b128 v[83:86], v83 offset:192
	s_waitcnt lgkmcnt(0)
	v_mul_f64 v[88:89], v[1:2], v[85:86]
	v_mul_f64 v[85:86], v[3:4], v[85:86]
	v_fma_f64 v[3:4], v[3:4], v[83:84], -v[88:89]
	v_fma_f64 v[1:2], v[1:2], v[83:84], v[85:86]
	buffer_store_dword v4, off, s[0:3], 0 offset:212
	buffer_store_dword v3, off, s[0:3], 0 offset:208
	buffer_store_dword v2, off, s[0:3], 0 offset:220
	buffer_store_dword v1, off, s[0:3], 0 offset:216
.LBB101_63:
	s_or_b32 exec_lo, exec_lo, s4
	v_mov_b32_e32 v4, s37
	s_waitcnt_vscnt null, 0x0
	s_barrier
	buffer_gl0_inv
	s_mov_b32 s4, exec_lo
	s_clause 0x3
	buffer_load_dword v1, v4, s[0:3], 0 offen
	buffer_load_dword v2, v4, s[0:3], 0 offen offset:4
	buffer_load_dword v3, v4, s[0:3], 0 offen offset:8
	;; [unrolled: 1-line block ×3, first 2 shown]
	s_waitcnt vmcnt(0)
	ds_write_b128 v81, v[1:4]
	s_waitcnt lgkmcnt(0)
	s_barrier
	buffer_gl0_inv
	v_cmpx_gt_u32_e32 13, v0
	s_cbranch_execz .LBB101_67
; %bb.64:
	v_mov_b32_e32 v1, 0
	v_mov_b32_e32 v3, 0
	v_add_nc_u32_e32 v83, -1, v0
	v_add_nc_u32_e32 v84, 0x260, v87
	v_mov_b32_e32 v2, 0
	v_mov_b32_e32 v4, 0
	v_add_nc_u32_e32 v85, 16, v87
	s_mov_b32 s5, 0
	.p2align	6
.LBB101_65:                             ; =>This Inner Loop Header: Depth=1
	s_clause 0x3
	buffer_load_dword v92, v85, s[0:3], 0 offen offset:8
	buffer_load_dword v93, v85, s[0:3], 0 offen offset:12
	buffer_load_dword v94, v85, s[0:3], 0 offen
	buffer_load_dword v95, v85, s[0:3], 0 offen offset:4
	ds_read_b128 v[88:91], v84
	v_add_nc_u32_e32 v83, 1, v83
	v_add_nc_u32_e32 v84, 16, v84
	;; [unrolled: 1-line block ×3, first 2 shown]
	v_cmp_lt_u32_e32 vcc_lo, 11, v83
	s_or_b32 s5, vcc_lo, s5
	s_waitcnt vmcnt(2) lgkmcnt(0)
	v_mul_f64 v[96:97], v[90:91], v[92:93]
	v_mul_f64 v[92:93], v[88:89], v[92:93]
	s_waitcnt vmcnt(0)
	v_fma_f64 v[88:89], v[88:89], v[94:95], -v[96:97]
	v_fma_f64 v[90:91], v[90:91], v[94:95], v[92:93]
	v_add_f64 v[3:4], v[3:4], v[88:89]
	v_add_f64 v[1:2], v[1:2], v[90:91]
	s_andn2_b32 exec_lo, exec_lo, s5
	s_cbranch_execnz .LBB101_65
; %bb.66:
	s_or_b32 exec_lo, exec_lo, s5
	v_mov_b32_e32 v83, 0
	ds_read_b128 v[83:86], v83 offset:208
	s_waitcnt lgkmcnt(0)
	v_mul_f64 v[88:89], v[1:2], v[85:86]
	v_mul_f64 v[85:86], v[3:4], v[85:86]
	v_fma_f64 v[3:4], v[3:4], v[83:84], -v[88:89]
	v_fma_f64 v[1:2], v[1:2], v[83:84], v[85:86]
	buffer_store_dword v4, off, s[0:3], 0 offset:228
	buffer_store_dword v3, off, s[0:3], 0 offset:224
	;; [unrolled: 1-line block ×4, first 2 shown]
.LBB101_67:
	s_or_b32 exec_lo, exec_lo, s4
	v_mov_b32_e32 v4, s36
	s_waitcnt_vscnt null, 0x0
	s_barrier
	buffer_gl0_inv
	s_mov_b32 s4, exec_lo
	s_clause 0x3
	buffer_load_dword v1, v4, s[0:3], 0 offen
	buffer_load_dword v2, v4, s[0:3], 0 offen offset:4
	buffer_load_dword v3, v4, s[0:3], 0 offen offset:8
	;; [unrolled: 1-line block ×3, first 2 shown]
	s_waitcnt vmcnt(0)
	ds_write_b128 v81, v[1:4]
	s_waitcnt lgkmcnt(0)
	s_barrier
	buffer_gl0_inv
	v_cmpx_gt_u32_e32 14, v0
	s_cbranch_execz .LBB101_71
; %bb.68:
	v_mov_b32_e32 v1, 0
	v_mov_b32_e32 v3, 0
	v_add_nc_u32_e32 v83, -1, v0
	v_add_nc_u32_e32 v84, 0x260, v87
	v_mov_b32_e32 v2, 0
	v_mov_b32_e32 v4, 0
	v_add_nc_u32_e32 v85, 16, v87
	s_mov_b32 s5, 0
	.p2align	6
.LBB101_69:                             ; =>This Inner Loop Header: Depth=1
	s_clause 0x3
	buffer_load_dword v92, v85, s[0:3], 0 offen offset:8
	buffer_load_dword v93, v85, s[0:3], 0 offen offset:12
	buffer_load_dword v94, v85, s[0:3], 0 offen
	buffer_load_dword v95, v85, s[0:3], 0 offen offset:4
	ds_read_b128 v[88:91], v84
	v_add_nc_u32_e32 v83, 1, v83
	v_add_nc_u32_e32 v84, 16, v84
	v_add_nc_u32_e32 v85, 16, v85
	v_cmp_lt_u32_e32 vcc_lo, 12, v83
	s_or_b32 s5, vcc_lo, s5
	s_waitcnt vmcnt(2) lgkmcnt(0)
	v_mul_f64 v[96:97], v[90:91], v[92:93]
	v_mul_f64 v[92:93], v[88:89], v[92:93]
	s_waitcnt vmcnt(0)
	v_fma_f64 v[88:89], v[88:89], v[94:95], -v[96:97]
	v_fma_f64 v[90:91], v[90:91], v[94:95], v[92:93]
	v_add_f64 v[3:4], v[3:4], v[88:89]
	v_add_f64 v[1:2], v[1:2], v[90:91]
	s_andn2_b32 exec_lo, exec_lo, s5
	s_cbranch_execnz .LBB101_69
; %bb.70:
	s_or_b32 exec_lo, exec_lo, s5
	v_mov_b32_e32 v83, 0
	ds_read_b128 v[83:86], v83 offset:224
	s_waitcnt lgkmcnt(0)
	v_mul_f64 v[88:89], v[1:2], v[85:86]
	v_mul_f64 v[85:86], v[3:4], v[85:86]
	v_fma_f64 v[3:4], v[3:4], v[83:84], -v[88:89]
	v_fma_f64 v[1:2], v[1:2], v[83:84], v[85:86]
	buffer_store_dword v4, off, s[0:3], 0 offset:244
	buffer_store_dword v3, off, s[0:3], 0 offset:240
	;; [unrolled: 1-line block ×4, first 2 shown]
.LBB101_71:
	s_or_b32 exec_lo, exec_lo, s4
	v_mov_b32_e32 v4, s35
	s_waitcnt_vscnt null, 0x0
	s_barrier
	buffer_gl0_inv
	s_mov_b32 s4, exec_lo
	s_clause 0x3
	buffer_load_dword v1, v4, s[0:3], 0 offen
	buffer_load_dword v2, v4, s[0:3], 0 offen offset:4
	buffer_load_dword v3, v4, s[0:3], 0 offen offset:8
	buffer_load_dword v4, v4, s[0:3], 0 offen offset:12
	s_waitcnt vmcnt(0)
	ds_write_b128 v81, v[1:4]
	s_waitcnt lgkmcnt(0)
	s_barrier
	buffer_gl0_inv
	v_cmpx_gt_u32_e32 15, v0
	s_cbranch_execz .LBB101_75
; %bb.72:
	v_mov_b32_e32 v1, 0
	v_mov_b32_e32 v3, 0
	v_add_nc_u32_e32 v83, -1, v0
	v_add_nc_u32_e32 v84, 0x260, v87
	v_mov_b32_e32 v2, 0
	v_mov_b32_e32 v4, 0
	v_add_nc_u32_e32 v85, 16, v87
	s_mov_b32 s5, 0
	.p2align	6
.LBB101_73:                             ; =>This Inner Loop Header: Depth=1
	s_clause 0x3
	buffer_load_dword v92, v85, s[0:3], 0 offen offset:8
	buffer_load_dword v93, v85, s[0:3], 0 offen offset:12
	buffer_load_dword v94, v85, s[0:3], 0 offen
	buffer_load_dword v95, v85, s[0:3], 0 offen offset:4
	ds_read_b128 v[88:91], v84
	v_add_nc_u32_e32 v83, 1, v83
	v_add_nc_u32_e32 v84, 16, v84
	;; [unrolled: 1-line block ×3, first 2 shown]
	v_cmp_lt_u32_e32 vcc_lo, 13, v83
	s_or_b32 s5, vcc_lo, s5
	s_waitcnt vmcnt(2) lgkmcnt(0)
	v_mul_f64 v[96:97], v[90:91], v[92:93]
	v_mul_f64 v[92:93], v[88:89], v[92:93]
	s_waitcnt vmcnt(0)
	v_fma_f64 v[88:89], v[88:89], v[94:95], -v[96:97]
	v_fma_f64 v[90:91], v[90:91], v[94:95], v[92:93]
	v_add_f64 v[3:4], v[3:4], v[88:89]
	v_add_f64 v[1:2], v[1:2], v[90:91]
	s_andn2_b32 exec_lo, exec_lo, s5
	s_cbranch_execnz .LBB101_73
; %bb.74:
	s_or_b32 exec_lo, exec_lo, s5
	v_mov_b32_e32 v83, 0
	ds_read_b128 v[83:86], v83 offset:240
	s_waitcnt lgkmcnt(0)
	v_mul_f64 v[88:89], v[1:2], v[85:86]
	v_mul_f64 v[85:86], v[3:4], v[85:86]
	v_fma_f64 v[3:4], v[3:4], v[83:84], -v[88:89]
	v_fma_f64 v[1:2], v[1:2], v[83:84], v[85:86]
	buffer_store_dword v4, off, s[0:3], 0 offset:260
	buffer_store_dword v3, off, s[0:3], 0 offset:256
	;; [unrolled: 1-line block ×4, first 2 shown]
.LBB101_75:
	s_or_b32 exec_lo, exec_lo, s4
	v_mov_b32_e32 v4, s34
	s_waitcnt_vscnt null, 0x0
	s_barrier
	buffer_gl0_inv
	s_mov_b32 s4, exec_lo
	s_clause 0x3
	buffer_load_dword v1, v4, s[0:3], 0 offen
	buffer_load_dword v2, v4, s[0:3], 0 offen offset:4
	buffer_load_dword v3, v4, s[0:3], 0 offen offset:8
	;; [unrolled: 1-line block ×3, first 2 shown]
	s_waitcnt vmcnt(0)
	ds_write_b128 v81, v[1:4]
	s_waitcnt lgkmcnt(0)
	s_barrier
	buffer_gl0_inv
	v_cmpx_gt_u32_e32 16, v0
	s_cbranch_execz .LBB101_79
; %bb.76:
	v_mov_b32_e32 v1, 0
	v_mov_b32_e32 v3, 0
	v_add_nc_u32_e32 v83, -1, v0
	v_add_nc_u32_e32 v84, 0x260, v87
	v_mov_b32_e32 v2, 0
	v_mov_b32_e32 v4, 0
	v_add_nc_u32_e32 v85, 16, v87
	s_mov_b32 s5, 0
	.p2align	6
.LBB101_77:                             ; =>This Inner Loop Header: Depth=1
	s_clause 0x3
	buffer_load_dword v92, v85, s[0:3], 0 offen offset:8
	buffer_load_dword v93, v85, s[0:3], 0 offen offset:12
	buffer_load_dword v94, v85, s[0:3], 0 offen
	buffer_load_dword v95, v85, s[0:3], 0 offen offset:4
	ds_read_b128 v[88:91], v84
	v_add_nc_u32_e32 v83, 1, v83
	v_add_nc_u32_e32 v84, 16, v84
	;; [unrolled: 1-line block ×3, first 2 shown]
	v_cmp_lt_u32_e32 vcc_lo, 14, v83
	s_or_b32 s5, vcc_lo, s5
	s_waitcnt vmcnt(2) lgkmcnt(0)
	v_mul_f64 v[96:97], v[90:91], v[92:93]
	v_mul_f64 v[92:93], v[88:89], v[92:93]
	s_waitcnt vmcnt(0)
	v_fma_f64 v[88:89], v[88:89], v[94:95], -v[96:97]
	v_fma_f64 v[90:91], v[90:91], v[94:95], v[92:93]
	v_add_f64 v[3:4], v[3:4], v[88:89]
	v_add_f64 v[1:2], v[1:2], v[90:91]
	s_andn2_b32 exec_lo, exec_lo, s5
	s_cbranch_execnz .LBB101_77
; %bb.78:
	s_or_b32 exec_lo, exec_lo, s5
	v_mov_b32_e32 v83, 0
	ds_read_b128 v[83:86], v83 offset:256
	s_waitcnt lgkmcnt(0)
	v_mul_f64 v[88:89], v[1:2], v[85:86]
	v_mul_f64 v[85:86], v[3:4], v[85:86]
	v_fma_f64 v[3:4], v[3:4], v[83:84], -v[88:89]
	v_fma_f64 v[1:2], v[1:2], v[83:84], v[85:86]
	buffer_store_dword v4, off, s[0:3], 0 offset:276
	buffer_store_dword v3, off, s[0:3], 0 offset:272
	;; [unrolled: 1-line block ×4, first 2 shown]
.LBB101_79:
	s_or_b32 exec_lo, exec_lo, s4
	v_mov_b32_e32 v4, s33
	s_waitcnt_vscnt null, 0x0
	s_barrier
	buffer_gl0_inv
	s_mov_b32 s4, exec_lo
	s_clause 0x3
	buffer_load_dword v1, v4, s[0:3], 0 offen
	buffer_load_dword v2, v4, s[0:3], 0 offen offset:4
	buffer_load_dword v3, v4, s[0:3], 0 offen offset:8
	;; [unrolled: 1-line block ×3, first 2 shown]
	s_waitcnt vmcnt(0)
	ds_write_b128 v81, v[1:4]
	s_waitcnt lgkmcnt(0)
	s_barrier
	buffer_gl0_inv
	v_cmpx_gt_u32_e32 17, v0
	s_cbranch_execz .LBB101_83
; %bb.80:
	v_mov_b32_e32 v1, 0
	v_mov_b32_e32 v3, 0
	v_add_nc_u32_e32 v83, -1, v0
	v_add_nc_u32_e32 v84, 0x260, v87
	v_mov_b32_e32 v2, 0
	v_mov_b32_e32 v4, 0
	v_add_nc_u32_e32 v85, 16, v87
	s_mov_b32 s5, 0
	.p2align	6
.LBB101_81:                             ; =>This Inner Loop Header: Depth=1
	s_clause 0x3
	buffer_load_dword v92, v85, s[0:3], 0 offen offset:8
	buffer_load_dword v93, v85, s[0:3], 0 offen offset:12
	buffer_load_dword v94, v85, s[0:3], 0 offen
	buffer_load_dword v95, v85, s[0:3], 0 offen offset:4
	ds_read_b128 v[88:91], v84
	v_add_nc_u32_e32 v83, 1, v83
	v_add_nc_u32_e32 v84, 16, v84
	;; [unrolled: 1-line block ×3, first 2 shown]
	v_cmp_lt_u32_e32 vcc_lo, 15, v83
	s_or_b32 s5, vcc_lo, s5
	s_waitcnt vmcnt(2) lgkmcnt(0)
	v_mul_f64 v[96:97], v[90:91], v[92:93]
	v_mul_f64 v[92:93], v[88:89], v[92:93]
	s_waitcnt vmcnt(0)
	v_fma_f64 v[88:89], v[88:89], v[94:95], -v[96:97]
	v_fma_f64 v[90:91], v[90:91], v[94:95], v[92:93]
	v_add_f64 v[3:4], v[3:4], v[88:89]
	v_add_f64 v[1:2], v[1:2], v[90:91]
	s_andn2_b32 exec_lo, exec_lo, s5
	s_cbranch_execnz .LBB101_81
; %bb.82:
	s_or_b32 exec_lo, exec_lo, s5
	v_mov_b32_e32 v83, 0
	ds_read_b128 v[83:86], v83 offset:272
	s_waitcnt lgkmcnt(0)
	v_mul_f64 v[88:89], v[1:2], v[85:86]
	v_mul_f64 v[85:86], v[3:4], v[85:86]
	v_fma_f64 v[3:4], v[3:4], v[83:84], -v[88:89]
	v_fma_f64 v[1:2], v[1:2], v[83:84], v[85:86]
	buffer_store_dword v4, off, s[0:3], 0 offset:292
	buffer_store_dword v3, off, s[0:3], 0 offset:288
	;; [unrolled: 1-line block ×4, first 2 shown]
.LBB101_83:
	s_or_b32 exec_lo, exec_lo, s4
	v_mov_b32_e32 v4, s31
	s_waitcnt_vscnt null, 0x0
	s_barrier
	buffer_gl0_inv
	s_mov_b32 s4, exec_lo
	s_clause 0x3
	buffer_load_dword v1, v4, s[0:3], 0 offen
	buffer_load_dword v2, v4, s[0:3], 0 offen offset:4
	buffer_load_dword v3, v4, s[0:3], 0 offen offset:8
	;; [unrolled: 1-line block ×3, first 2 shown]
	s_waitcnt vmcnt(0)
	ds_write_b128 v81, v[1:4]
	s_waitcnt lgkmcnt(0)
	s_barrier
	buffer_gl0_inv
	v_cmpx_gt_u32_e32 18, v0
	s_cbranch_execz .LBB101_87
; %bb.84:
	v_mov_b32_e32 v1, 0
	v_mov_b32_e32 v3, 0
	v_add_nc_u32_e32 v83, -1, v0
	v_add_nc_u32_e32 v84, 0x260, v87
	v_mov_b32_e32 v2, 0
	v_mov_b32_e32 v4, 0
	v_add_nc_u32_e32 v85, 16, v87
	s_mov_b32 s5, 0
	.p2align	6
.LBB101_85:                             ; =>This Inner Loop Header: Depth=1
	s_clause 0x3
	buffer_load_dword v92, v85, s[0:3], 0 offen offset:8
	buffer_load_dword v93, v85, s[0:3], 0 offen offset:12
	buffer_load_dword v94, v85, s[0:3], 0 offen
	buffer_load_dword v95, v85, s[0:3], 0 offen offset:4
	ds_read_b128 v[88:91], v84
	v_add_nc_u32_e32 v83, 1, v83
	v_add_nc_u32_e32 v84, 16, v84
	;; [unrolled: 1-line block ×3, first 2 shown]
	v_cmp_lt_u32_e32 vcc_lo, 16, v83
	s_or_b32 s5, vcc_lo, s5
	s_waitcnt vmcnt(2) lgkmcnt(0)
	v_mul_f64 v[96:97], v[90:91], v[92:93]
	v_mul_f64 v[92:93], v[88:89], v[92:93]
	s_waitcnt vmcnt(0)
	v_fma_f64 v[88:89], v[88:89], v[94:95], -v[96:97]
	v_fma_f64 v[90:91], v[90:91], v[94:95], v[92:93]
	v_add_f64 v[3:4], v[3:4], v[88:89]
	v_add_f64 v[1:2], v[1:2], v[90:91]
	s_andn2_b32 exec_lo, exec_lo, s5
	s_cbranch_execnz .LBB101_85
; %bb.86:
	s_or_b32 exec_lo, exec_lo, s5
	v_mov_b32_e32 v83, 0
	ds_read_b128 v[83:86], v83 offset:288
	s_waitcnt lgkmcnt(0)
	v_mul_f64 v[88:89], v[1:2], v[85:86]
	v_mul_f64 v[85:86], v[3:4], v[85:86]
	v_fma_f64 v[3:4], v[3:4], v[83:84], -v[88:89]
	v_fma_f64 v[1:2], v[1:2], v[83:84], v[85:86]
	buffer_store_dword v4, off, s[0:3], 0 offset:308
	buffer_store_dword v3, off, s[0:3], 0 offset:304
	buffer_store_dword v2, off, s[0:3], 0 offset:316
	buffer_store_dword v1, off, s[0:3], 0 offset:312
.LBB101_87:
	s_or_b32 exec_lo, exec_lo, s4
	v_mov_b32_e32 v4, s30
	s_waitcnt_vscnt null, 0x0
	s_barrier
	buffer_gl0_inv
	s_mov_b32 s4, exec_lo
	s_clause 0x3
	buffer_load_dword v1, v4, s[0:3], 0 offen
	buffer_load_dword v2, v4, s[0:3], 0 offen offset:4
	buffer_load_dword v3, v4, s[0:3], 0 offen offset:8
	;; [unrolled: 1-line block ×3, first 2 shown]
	s_waitcnt vmcnt(0)
	ds_write_b128 v81, v[1:4]
	s_waitcnt lgkmcnt(0)
	s_barrier
	buffer_gl0_inv
	v_cmpx_gt_u32_e32 19, v0
	s_cbranch_execz .LBB101_91
; %bb.88:
	v_mov_b32_e32 v1, 0
	v_mov_b32_e32 v3, 0
	v_add_nc_u32_e32 v83, -1, v0
	v_add_nc_u32_e32 v84, 0x260, v87
	v_mov_b32_e32 v2, 0
	v_mov_b32_e32 v4, 0
	v_add_nc_u32_e32 v85, 16, v87
	s_mov_b32 s5, 0
	.p2align	6
.LBB101_89:                             ; =>This Inner Loop Header: Depth=1
	s_clause 0x3
	buffer_load_dword v92, v85, s[0:3], 0 offen offset:8
	buffer_load_dword v93, v85, s[0:3], 0 offen offset:12
	buffer_load_dword v94, v85, s[0:3], 0 offen
	buffer_load_dword v95, v85, s[0:3], 0 offen offset:4
	ds_read_b128 v[88:91], v84
	v_add_nc_u32_e32 v83, 1, v83
	v_add_nc_u32_e32 v84, 16, v84
	;; [unrolled: 1-line block ×3, first 2 shown]
	v_cmp_lt_u32_e32 vcc_lo, 17, v83
	s_or_b32 s5, vcc_lo, s5
	s_waitcnt vmcnt(2) lgkmcnt(0)
	v_mul_f64 v[96:97], v[90:91], v[92:93]
	v_mul_f64 v[92:93], v[88:89], v[92:93]
	s_waitcnt vmcnt(0)
	v_fma_f64 v[88:89], v[88:89], v[94:95], -v[96:97]
	v_fma_f64 v[90:91], v[90:91], v[94:95], v[92:93]
	v_add_f64 v[3:4], v[3:4], v[88:89]
	v_add_f64 v[1:2], v[1:2], v[90:91]
	s_andn2_b32 exec_lo, exec_lo, s5
	s_cbranch_execnz .LBB101_89
; %bb.90:
	s_or_b32 exec_lo, exec_lo, s5
	v_mov_b32_e32 v83, 0
	ds_read_b128 v[83:86], v83 offset:304
	s_waitcnt lgkmcnt(0)
	v_mul_f64 v[88:89], v[1:2], v[85:86]
	v_mul_f64 v[85:86], v[3:4], v[85:86]
	v_fma_f64 v[3:4], v[3:4], v[83:84], -v[88:89]
	v_fma_f64 v[1:2], v[1:2], v[83:84], v[85:86]
	buffer_store_dword v4, off, s[0:3], 0 offset:324
	buffer_store_dword v3, off, s[0:3], 0 offset:320
	;; [unrolled: 1-line block ×4, first 2 shown]
.LBB101_91:
	s_or_b32 exec_lo, exec_lo, s4
	v_mov_b32_e32 v4, s29
	s_waitcnt_vscnt null, 0x0
	s_barrier
	buffer_gl0_inv
	s_mov_b32 s4, exec_lo
	s_clause 0x3
	buffer_load_dword v1, v4, s[0:3], 0 offen
	buffer_load_dword v2, v4, s[0:3], 0 offen offset:4
	buffer_load_dword v3, v4, s[0:3], 0 offen offset:8
	;; [unrolled: 1-line block ×3, first 2 shown]
	s_waitcnt vmcnt(0)
	ds_write_b128 v81, v[1:4]
	s_waitcnt lgkmcnt(0)
	s_barrier
	buffer_gl0_inv
	v_cmpx_gt_u32_e32 20, v0
	s_cbranch_execz .LBB101_95
; %bb.92:
	v_mov_b32_e32 v1, 0
	v_mov_b32_e32 v3, 0
	v_add_nc_u32_e32 v83, -1, v0
	v_add_nc_u32_e32 v84, 0x260, v87
	v_mov_b32_e32 v2, 0
	v_mov_b32_e32 v4, 0
	v_add_nc_u32_e32 v85, 16, v87
	s_mov_b32 s5, 0
	.p2align	6
.LBB101_93:                             ; =>This Inner Loop Header: Depth=1
	s_clause 0x3
	buffer_load_dword v92, v85, s[0:3], 0 offen offset:8
	buffer_load_dword v93, v85, s[0:3], 0 offen offset:12
	buffer_load_dword v94, v85, s[0:3], 0 offen
	buffer_load_dword v95, v85, s[0:3], 0 offen offset:4
	ds_read_b128 v[88:91], v84
	v_add_nc_u32_e32 v83, 1, v83
	v_add_nc_u32_e32 v84, 16, v84
	;; [unrolled: 1-line block ×3, first 2 shown]
	v_cmp_lt_u32_e32 vcc_lo, 18, v83
	s_or_b32 s5, vcc_lo, s5
	s_waitcnt vmcnt(2) lgkmcnt(0)
	v_mul_f64 v[96:97], v[90:91], v[92:93]
	v_mul_f64 v[92:93], v[88:89], v[92:93]
	s_waitcnt vmcnt(0)
	v_fma_f64 v[88:89], v[88:89], v[94:95], -v[96:97]
	v_fma_f64 v[90:91], v[90:91], v[94:95], v[92:93]
	v_add_f64 v[3:4], v[3:4], v[88:89]
	v_add_f64 v[1:2], v[1:2], v[90:91]
	s_andn2_b32 exec_lo, exec_lo, s5
	s_cbranch_execnz .LBB101_93
; %bb.94:
	s_or_b32 exec_lo, exec_lo, s5
	v_mov_b32_e32 v83, 0
	ds_read_b128 v[83:86], v83 offset:320
	s_waitcnt lgkmcnt(0)
	v_mul_f64 v[88:89], v[1:2], v[85:86]
	v_mul_f64 v[85:86], v[3:4], v[85:86]
	v_fma_f64 v[3:4], v[3:4], v[83:84], -v[88:89]
	v_fma_f64 v[1:2], v[1:2], v[83:84], v[85:86]
	buffer_store_dword v4, off, s[0:3], 0 offset:340
	buffer_store_dword v3, off, s[0:3], 0 offset:336
	;; [unrolled: 1-line block ×4, first 2 shown]
.LBB101_95:
	s_or_b32 exec_lo, exec_lo, s4
	v_mov_b32_e32 v4, s28
	s_waitcnt_vscnt null, 0x0
	s_barrier
	buffer_gl0_inv
	s_mov_b32 s4, exec_lo
	s_clause 0x3
	buffer_load_dword v1, v4, s[0:3], 0 offen
	buffer_load_dword v2, v4, s[0:3], 0 offen offset:4
	buffer_load_dword v3, v4, s[0:3], 0 offen offset:8
	;; [unrolled: 1-line block ×3, first 2 shown]
	s_waitcnt vmcnt(0)
	ds_write_b128 v81, v[1:4]
	s_waitcnt lgkmcnt(0)
	s_barrier
	buffer_gl0_inv
	v_cmpx_gt_u32_e32 21, v0
	s_cbranch_execz .LBB101_99
; %bb.96:
	v_mov_b32_e32 v1, 0
	v_mov_b32_e32 v3, 0
	v_add_nc_u32_e32 v83, -1, v0
	v_add_nc_u32_e32 v84, 0x260, v87
	v_mov_b32_e32 v2, 0
	v_mov_b32_e32 v4, 0
	v_add_nc_u32_e32 v85, 16, v87
	s_mov_b32 s5, 0
	.p2align	6
.LBB101_97:                             ; =>This Inner Loop Header: Depth=1
	s_clause 0x3
	buffer_load_dword v92, v85, s[0:3], 0 offen offset:8
	buffer_load_dword v93, v85, s[0:3], 0 offen offset:12
	buffer_load_dword v94, v85, s[0:3], 0 offen
	buffer_load_dword v95, v85, s[0:3], 0 offen offset:4
	ds_read_b128 v[88:91], v84
	v_add_nc_u32_e32 v83, 1, v83
	v_add_nc_u32_e32 v84, 16, v84
	;; [unrolled: 1-line block ×3, first 2 shown]
	v_cmp_lt_u32_e32 vcc_lo, 19, v83
	s_or_b32 s5, vcc_lo, s5
	s_waitcnt vmcnt(2) lgkmcnt(0)
	v_mul_f64 v[96:97], v[90:91], v[92:93]
	v_mul_f64 v[92:93], v[88:89], v[92:93]
	s_waitcnt vmcnt(0)
	v_fma_f64 v[88:89], v[88:89], v[94:95], -v[96:97]
	v_fma_f64 v[90:91], v[90:91], v[94:95], v[92:93]
	v_add_f64 v[3:4], v[3:4], v[88:89]
	v_add_f64 v[1:2], v[1:2], v[90:91]
	s_andn2_b32 exec_lo, exec_lo, s5
	s_cbranch_execnz .LBB101_97
; %bb.98:
	s_or_b32 exec_lo, exec_lo, s5
	v_mov_b32_e32 v83, 0
	ds_read_b128 v[83:86], v83 offset:336
	s_waitcnt lgkmcnt(0)
	v_mul_f64 v[88:89], v[1:2], v[85:86]
	v_mul_f64 v[85:86], v[3:4], v[85:86]
	v_fma_f64 v[3:4], v[3:4], v[83:84], -v[88:89]
	v_fma_f64 v[1:2], v[1:2], v[83:84], v[85:86]
	buffer_store_dword v4, off, s[0:3], 0 offset:356
	buffer_store_dword v3, off, s[0:3], 0 offset:352
	;; [unrolled: 1-line block ×4, first 2 shown]
.LBB101_99:
	s_or_b32 exec_lo, exec_lo, s4
	v_mov_b32_e32 v4, s27
	s_waitcnt_vscnt null, 0x0
	s_barrier
	buffer_gl0_inv
	s_mov_b32 s4, exec_lo
	s_clause 0x3
	buffer_load_dword v1, v4, s[0:3], 0 offen
	buffer_load_dword v2, v4, s[0:3], 0 offen offset:4
	buffer_load_dword v3, v4, s[0:3], 0 offen offset:8
	;; [unrolled: 1-line block ×3, first 2 shown]
	s_waitcnt vmcnt(0)
	ds_write_b128 v81, v[1:4]
	s_waitcnt lgkmcnt(0)
	s_barrier
	buffer_gl0_inv
	v_cmpx_gt_u32_e32 22, v0
	s_cbranch_execz .LBB101_103
; %bb.100:
	v_mov_b32_e32 v1, 0
	v_mov_b32_e32 v3, 0
	v_add_nc_u32_e32 v83, -1, v0
	v_add_nc_u32_e32 v84, 0x260, v87
	v_mov_b32_e32 v2, 0
	v_mov_b32_e32 v4, 0
	v_add_nc_u32_e32 v85, 16, v87
	s_mov_b32 s5, 0
	.p2align	6
.LBB101_101:                            ; =>This Inner Loop Header: Depth=1
	s_clause 0x3
	buffer_load_dword v92, v85, s[0:3], 0 offen offset:8
	buffer_load_dword v93, v85, s[0:3], 0 offen offset:12
	buffer_load_dword v94, v85, s[0:3], 0 offen
	buffer_load_dword v95, v85, s[0:3], 0 offen offset:4
	ds_read_b128 v[88:91], v84
	v_add_nc_u32_e32 v83, 1, v83
	v_add_nc_u32_e32 v84, 16, v84
	;; [unrolled: 1-line block ×3, first 2 shown]
	v_cmp_lt_u32_e32 vcc_lo, 20, v83
	s_or_b32 s5, vcc_lo, s5
	s_waitcnt vmcnt(2) lgkmcnt(0)
	v_mul_f64 v[96:97], v[90:91], v[92:93]
	v_mul_f64 v[92:93], v[88:89], v[92:93]
	s_waitcnt vmcnt(0)
	v_fma_f64 v[88:89], v[88:89], v[94:95], -v[96:97]
	v_fma_f64 v[90:91], v[90:91], v[94:95], v[92:93]
	v_add_f64 v[3:4], v[3:4], v[88:89]
	v_add_f64 v[1:2], v[1:2], v[90:91]
	s_andn2_b32 exec_lo, exec_lo, s5
	s_cbranch_execnz .LBB101_101
; %bb.102:
	s_or_b32 exec_lo, exec_lo, s5
	v_mov_b32_e32 v83, 0
	ds_read_b128 v[83:86], v83 offset:352
	s_waitcnt lgkmcnt(0)
	v_mul_f64 v[88:89], v[1:2], v[85:86]
	v_mul_f64 v[85:86], v[3:4], v[85:86]
	v_fma_f64 v[3:4], v[3:4], v[83:84], -v[88:89]
	v_fma_f64 v[1:2], v[1:2], v[83:84], v[85:86]
	buffer_store_dword v4, off, s[0:3], 0 offset:372
	buffer_store_dword v3, off, s[0:3], 0 offset:368
	;; [unrolled: 1-line block ×4, first 2 shown]
.LBB101_103:
	s_or_b32 exec_lo, exec_lo, s4
	v_mov_b32_e32 v4, s26
	s_waitcnt_vscnt null, 0x0
	s_barrier
	buffer_gl0_inv
	s_mov_b32 s4, exec_lo
	s_clause 0x3
	buffer_load_dword v1, v4, s[0:3], 0 offen
	buffer_load_dword v2, v4, s[0:3], 0 offen offset:4
	buffer_load_dword v3, v4, s[0:3], 0 offen offset:8
	;; [unrolled: 1-line block ×3, first 2 shown]
	s_waitcnt vmcnt(0)
	ds_write_b128 v81, v[1:4]
	s_waitcnt lgkmcnt(0)
	s_barrier
	buffer_gl0_inv
	v_cmpx_gt_u32_e32 23, v0
	s_cbranch_execz .LBB101_107
; %bb.104:
	v_mov_b32_e32 v1, 0
	v_mov_b32_e32 v3, 0
	v_add_nc_u32_e32 v83, -1, v0
	v_add_nc_u32_e32 v84, 0x260, v87
	v_mov_b32_e32 v2, 0
	v_mov_b32_e32 v4, 0
	v_add_nc_u32_e32 v85, 16, v87
	s_mov_b32 s5, 0
	.p2align	6
.LBB101_105:                            ; =>This Inner Loop Header: Depth=1
	s_clause 0x3
	buffer_load_dword v92, v85, s[0:3], 0 offen offset:8
	buffer_load_dword v93, v85, s[0:3], 0 offen offset:12
	buffer_load_dword v94, v85, s[0:3], 0 offen
	buffer_load_dword v95, v85, s[0:3], 0 offen offset:4
	ds_read_b128 v[88:91], v84
	v_add_nc_u32_e32 v83, 1, v83
	v_add_nc_u32_e32 v84, 16, v84
	;; [unrolled: 1-line block ×3, first 2 shown]
	v_cmp_lt_u32_e32 vcc_lo, 21, v83
	s_or_b32 s5, vcc_lo, s5
	s_waitcnt vmcnt(2) lgkmcnt(0)
	v_mul_f64 v[96:97], v[90:91], v[92:93]
	v_mul_f64 v[92:93], v[88:89], v[92:93]
	s_waitcnt vmcnt(0)
	v_fma_f64 v[88:89], v[88:89], v[94:95], -v[96:97]
	v_fma_f64 v[90:91], v[90:91], v[94:95], v[92:93]
	v_add_f64 v[3:4], v[3:4], v[88:89]
	v_add_f64 v[1:2], v[1:2], v[90:91]
	s_andn2_b32 exec_lo, exec_lo, s5
	s_cbranch_execnz .LBB101_105
; %bb.106:
	s_or_b32 exec_lo, exec_lo, s5
	v_mov_b32_e32 v83, 0
	ds_read_b128 v[83:86], v83 offset:368
	s_waitcnt lgkmcnt(0)
	v_mul_f64 v[88:89], v[1:2], v[85:86]
	v_mul_f64 v[85:86], v[3:4], v[85:86]
	v_fma_f64 v[3:4], v[3:4], v[83:84], -v[88:89]
	v_fma_f64 v[1:2], v[1:2], v[83:84], v[85:86]
	buffer_store_dword v4, off, s[0:3], 0 offset:388
	buffer_store_dword v3, off, s[0:3], 0 offset:384
	;; [unrolled: 1-line block ×4, first 2 shown]
.LBB101_107:
	s_or_b32 exec_lo, exec_lo, s4
	v_mov_b32_e32 v4, s25
	s_waitcnt_vscnt null, 0x0
	s_barrier
	buffer_gl0_inv
	s_mov_b32 s4, exec_lo
	s_clause 0x3
	buffer_load_dword v1, v4, s[0:3], 0 offen
	buffer_load_dword v2, v4, s[0:3], 0 offen offset:4
	buffer_load_dword v3, v4, s[0:3], 0 offen offset:8
	;; [unrolled: 1-line block ×3, first 2 shown]
	s_waitcnt vmcnt(0)
	ds_write_b128 v81, v[1:4]
	s_waitcnt lgkmcnt(0)
	s_barrier
	buffer_gl0_inv
	v_cmpx_gt_u32_e32 24, v0
	s_cbranch_execz .LBB101_111
; %bb.108:
	v_mov_b32_e32 v1, 0
	v_mov_b32_e32 v3, 0
	v_add_nc_u32_e32 v83, -1, v0
	v_add_nc_u32_e32 v84, 0x260, v87
	v_mov_b32_e32 v2, 0
	v_mov_b32_e32 v4, 0
	v_add_nc_u32_e32 v85, 16, v87
	s_mov_b32 s5, 0
	.p2align	6
.LBB101_109:                            ; =>This Inner Loop Header: Depth=1
	s_clause 0x3
	buffer_load_dword v92, v85, s[0:3], 0 offen offset:8
	buffer_load_dword v93, v85, s[0:3], 0 offen offset:12
	buffer_load_dword v94, v85, s[0:3], 0 offen
	buffer_load_dword v95, v85, s[0:3], 0 offen offset:4
	ds_read_b128 v[88:91], v84
	v_add_nc_u32_e32 v83, 1, v83
	v_add_nc_u32_e32 v84, 16, v84
	;; [unrolled: 1-line block ×3, first 2 shown]
	v_cmp_lt_u32_e32 vcc_lo, 22, v83
	s_or_b32 s5, vcc_lo, s5
	s_waitcnt vmcnt(2) lgkmcnt(0)
	v_mul_f64 v[96:97], v[90:91], v[92:93]
	v_mul_f64 v[92:93], v[88:89], v[92:93]
	s_waitcnt vmcnt(0)
	v_fma_f64 v[88:89], v[88:89], v[94:95], -v[96:97]
	v_fma_f64 v[90:91], v[90:91], v[94:95], v[92:93]
	v_add_f64 v[3:4], v[3:4], v[88:89]
	v_add_f64 v[1:2], v[1:2], v[90:91]
	s_andn2_b32 exec_lo, exec_lo, s5
	s_cbranch_execnz .LBB101_109
; %bb.110:
	s_or_b32 exec_lo, exec_lo, s5
	v_mov_b32_e32 v83, 0
	ds_read_b128 v[83:86], v83 offset:384
	s_waitcnt lgkmcnt(0)
	v_mul_f64 v[88:89], v[1:2], v[85:86]
	v_mul_f64 v[85:86], v[3:4], v[85:86]
	v_fma_f64 v[3:4], v[3:4], v[83:84], -v[88:89]
	v_fma_f64 v[1:2], v[1:2], v[83:84], v[85:86]
	buffer_store_dword v4, off, s[0:3], 0 offset:404
	buffer_store_dword v3, off, s[0:3], 0 offset:400
	;; [unrolled: 1-line block ×4, first 2 shown]
.LBB101_111:
	s_or_b32 exec_lo, exec_lo, s4
	v_mov_b32_e32 v4, s24
	s_waitcnt_vscnt null, 0x0
	s_barrier
	buffer_gl0_inv
	s_mov_b32 s4, exec_lo
	s_clause 0x3
	buffer_load_dword v1, v4, s[0:3], 0 offen
	buffer_load_dword v2, v4, s[0:3], 0 offen offset:4
	buffer_load_dword v3, v4, s[0:3], 0 offen offset:8
	;; [unrolled: 1-line block ×3, first 2 shown]
	s_waitcnt vmcnt(0)
	ds_write_b128 v81, v[1:4]
	s_waitcnt lgkmcnt(0)
	s_barrier
	buffer_gl0_inv
	v_cmpx_gt_u32_e32 25, v0
	s_cbranch_execz .LBB101_115
; %bb.112:
	v_mov_b32_e32 v1, 0
	v_mov_b32_e32 v3, 0
	v_add_nc_u32_e32 v83, -1, v0
	v_add_nc_u32_e32 v84, 0x260, v87
	v_mov_b32_e32 v2, 0
	v_mov_b32_e32 v4, 0
	v_add_nc_u32_e32 v85, 16, v87
	s_mov_b32 s5, 0
	.p2align	6
.LBB101_113:                            ; =>This Inner Loop Header: Depth=1
	s_clause 0x3
	buffer_load_dword v92, v85, s[0:3], 0 offen offset:8
	buffer_load_dword v93, v85, s[0:3], 0 offen offset:12
	buffer_load_dword v94, v85, s[0:3], 0 offen
	buffer_load_dword v95, v85, s[0:3], 0 offen offset:4
	ds_read_b128 v[88:91], v84
	v_add_nc_u32_e32 v83, 1, v83
	v_add_nc_u32_e32 v84, 16, v84
	;; [unrolled: 1-line block ×3, first 2 shown]
	v_cmp_lt_u32_e32 vcc_lo, 23, v83
	s_or_b32 s5, vcc_lo, s5
	s_waitcnt vmcnt(2) lgkmcnt(0)
	v_mul_f64 v[96:97], v[90:91], v[92:93]
	v_mul_f64 v[92:93], v[88:89], v[92:93]
	s_waitcnt vmcnt(0)
	v_fma_f64 v[88:89], v[88:89], v[94:95], -v[96:97]
	v_fma_f64 v[90:91], v[90:91], v[94:95], v[92:93]
	v_add_f64 v[3:4], v[3:4], v[88:89]
	v_add_f64 v[1:2], v[1:2], v[90:91]
	s_andn2_b32 exec_lo, exec_lo, s5
	s_cbranch_execnz .LBB101_113
; %bb.114:
	s_or_b32 exec_lo, exec_lo, s5
	v_mov_b32_e32 v83, 0
	ds_read_b128 v[83:86], v83 offset:400
	s_waitcnt lgkmcnt(0)
	v_mul_f64 v[88:89], v[1:2], v[85:86]
	v_mul_f64 v[85:86], v[3:4], v[85:86]
	v_fma_f64 v[3:4], v[3:4], v[83:84], -v[88:89]
	v_fma_f64 v[1:2], v[1:2], v[83:84], v[85:86]
	buffer_store_dword v4, off, s[0:3], 0 offset:420
	buffer_store_dword v3, off, s[0:3], 0 offset:416
	;; [unrolled: 1-line block ×4, first 2 shown]
.LBB101_115:
	s_or_b32 exec_lo, exec_lo, s4
	v_mov_b32_e32 v4, s23
	s_waitcnt_vscnt null, 0x0
	s_barrier
	buffer_gl0_inv
	s_mov_b32 s4, exec_lo
	s_clause 0x3
	buffer_load_dword v1, v4, s[0:3], 0 offen
	buffer_load_dword v2, v4, s[0:3], 0 offen offset:4
	buffer_load_dword v3, v4, s[0:3], 0 offen offset:8
	buffer_load_dword v4, v4, s[0:3], 0 offen offset:12
	s_waitcnt vmcnt(0)
	ds_write_b128 v81, v[1:4]
	s_waitcnt lgkmcnt(0)
	s_barrier
	buffer_gl0_inv
	v_cmpx_gt_u32_e32 26, v0
	s_cbranch_execz .LBB101_119
; %bb.116:
	v_mov_b32_e32 v1, 0
	v_mov_b32_e32 v3, 0
	v_add_nc_u32_e32 v83, -1, v0
	v_add_nc_u32_e32 v84, 0x260, v87
	v_mov_b32_e32 v2, 0
	v_mov_b32_e32 v4, 0
	v_add_nc_u32_e32 v85, 16, v87
	s_mov_b32 s5, 0
	.p2align	6
.LBB101_117:                            ; =>This Inner Loop Header: Depth=1
	s_clause 0x3
	buffer_load_dword v92, v85, s[0:3], 0 offen offset:8
	buffer_load_dword v93, v85, s[0:3], 0 offen offset:12
	buffer_load_dword v94, v85, s[0:3], 0 offen
	buffer_load_dword v95, v85, s[0:3], 0 offen offset:4
	ds_read_b128 v[88:91], v84
	v_add_nc_u32_e32 v83, 1, v83
	v_add_nc_u32_e32 v84, 16, v84
	;; [unrolled: 1-line block ×3, first 2 shown]
	v_cmp_lt_u32_e32 vcc_lo, 24, v83
	s_or_b32 s5, vcc_lo, s5
	s_waitcnt vmcnt(2) lgkmcnt(0)
	v_mul_f64 v[96:97], v[90:91], v[92:93]
	v_mul_f64 v[92:93], v[88:89], v[92:93]
	s_waitcnt vmcnt(0)
	v_fma_f64 v[88:89], v[88:89], v[94:95], -v[96:97]
	v_fma_f64 v[90:91], v[90:91], v[94:95], v[92:93]
	v_add_f64 v[3:4], v[3:4], v[88:89]
	v_add_f64 v[1:2], v[1:2], v[90:91]
	s_andn2_b32 exec_lo, exec_lo, s5
	s_cbranch_execnz .LBB101_117
; %bb.118:
	s_or_b32 exec_lo, exec_lo, s5
	v_mov_b32_e32 v83, 0
	ds_read_b128 v[83:86], v83 offset:416
	s_waitcnt lgkmcnt(0)
	v_mul_f64 v[88:89], v[1:2], v[85:86]
	v_mul_f64 v[85:86], v[3:4], v[85:86]
	v_fma_f64 v[3:4], v[3:4], v[83:84], -v[88:89]
	v_fma_f64 v[1:2], v[1:2], v[83:84], v[85:86]
	buffer_store_dword v4, off, s[0:3], 0 offset:436
	buffer_store_dword v3, off, s[0:3], 0 offset:432
	;; [unrolled: 1-line block ×4, first 2 shown]
.LBB101_119:
	s_or_b32 exec_lo, exec_lo, s4
	v_mov_b32_e32 v4, s22
	s_waitcnt_vscnt null, 0x0
	s_barrier
	buffer_gl0_inv
	s_mov_b32 s4, exec_lo
	s_clause 0x3
	buffer_load_dword v1, v4, s[0:3], 0 offen
	buffer_load_dword v2, v4, s[0:3], 0 offen offset:4
	buffer_load_dword v3, v4, s[0:3], 0 offen offset:8
	;; [unrolled: 1-line block ×3, first 2 shown]
	s_waitcnt vmcnt(0)
	ds_write_b128 v81, v[1:4]
	s_waitcnt lgkmcnt(0)
	s_barrier
	buffer_gl0_inv
	v_cmpx_gt_u32_e32 27, v0
	s_cbranch_execz .LBB101_123
; %bb.120:
	v_mov_b32_e32 v1, 0
	v_mov_b32_e32 v3, 0
	v_add_nc_u32_e32 v83, -1, v0
	v_add_nc_u32_e32 v84, 0x260, v87
	v_mov_b32_e32 v2, 0
	v_mov_b32_e32 v4, 0
	v_add_nc_u32_e32 v85, 16, v87
	s_mov_b32 s5, 0
	.p2align	6
.LBB101_121:                            ; =>This Inner Loop Header: Depth=1
	s_clause 0x3
	buffer_load_dword v92, v85, s[0:3], 0 offen offset:8
	buffer_load_dword v93, v85, s[0:3], 0 offen offset:12
	buffer_load_dword v94, v85, s[0:3], 0 offen
	buffer_load_dword v95, v85, s[0:3], 0 offen offset:4
	ds_read_b128 v[88:91], v84
	v_add_nc_u32_e32 v83, 1, v83
	v_add_nc_u32_e32 v84, 16, v84
	;; [unrolled: 1-line block ×3, first 2 shown]
	v_cmp_lt_u32_e32 vcc_lo, 25, v83
	s_or_b32 s5, vcc_lo, s5
	s_waitcnt vmcnt(2) lgkmcnt(0)
	v_mul_f64 v[96:97], v[90:91], v[92:93]
	v_mul_f64 v[92:93], v[88:89], v[92:93]
	s_waitcnt vmcnt(0)
	v_fma_f64 v[88:89], v[88:89], v[94:95], -v[96:97]
	v_fma_f64 v[90:91], v[90:91], v[94:95], v[92:93]
	v_add_f64 v[3:4], v[3:4], v[88:89]
	v_add_f64 v[1:2], v[1:2], v[90:91]
	s_andn2_b32 exec_lo, exec_lo, s5
	s_cbranch_execnz .LBB101_121
; %bb.122:
	s_or_b32 exec_lo, exec_lo, s5
	v_mov_b32_e32 v83, 0
	ds_read_b128 v[83:86], v83 offset:432
	s_waitcnt lgkmcnt(0)
	v_mul_f64 v[88:89], v[1:2], v[85:86]
	v_mul_f64 v[85:86], v[3:4], v[85:86]
	v_fma_f64 v[3:4], v[3:4], v[83:84], -v[88:89]
	v_fma_f64 v[1:2], v[1:2], v[83:84], v[85:86]
	buffer_store_dword v4, off, s[0:3], 0 offset:452
	buffer_store_dword v3, off, s[0:3], 0 offset:448
	buffer_store_dword v2, off, s[0:3], 0 offset:460
	buffer_store_dword v1, off, s[0:3], 0 offset:456
.LBB101_123:
	s_or_b32 exec_lo, exec_lo, s4
	v_mov_b32_e32 v4, s21
	s_waitcnt_vscnt null, 0x0
	s_barrier
	buffer_gl0_inv
	s_mov_b32 s4, exec_lo
	s_clause 0x3
	buffer_load_dword v1, v4, s[0:3], 0 offen
	buffer_load_dword v2, v4, s[0:3], 0 offen offset:4
	buffer_load_dword v3, v4, s[0:3], 0 offen offset:8
	;; [unrolled: 1-line block ×3, first 2 shown]
	s_waitcnt vmcnt(0)
	ds_write_b128 v81, v[1:4]
	s_waitcnt lgkmcnt(0)
	s_barrier
	buffer_gl0_inv
	v_cmpx_gt_u32_e32 28, v0
	s_cbranch_execz .LBB101_127
; %bb.124:
	v_mov_b32_e32 v1, 0
	v_mov_b32_e32 v3, 0
	v_add_nc_u32_e32 v83, -1, v0
	v_add_nc_u32_e32 v84, 0x260, v87
	v_mov_b32_e32 v2, 0
	v_mov_b32_e32 v4, 0
	v_add_nc_u32_e32 v85, 16, v87
	s_mov_b32 s5, 0
	.p2align	6
.LBB101_125:                            ; =>This Inner Loop Header: Depth=1
	s_clause 0x3
	buffer_load_dword v92, v85, s[0:3], 0 offen offset:8
	buffer_load_dword v93, v85, s[0:3], 0 offen offset:12
	buffer_load_dword v94, v85, s[0:3], 0 offen
	buffer_load_dword v95, v85, s[0:3], 0 offen offset:4
	ds_read_b128 v[88:91], v84
	v_add_nc_u32_e32 v83, 1, v83
	v_add_nc_u32_e32 v84, 16, v84
	;; [unrolled: 1-line block ×3, first 2 shown]
	v_cmp_lt_u32_e32 vcc_lo, 26, v83
	s_or_b32 s5, vcc_lo, s5
	s_waitcnt vmcnt(2) lgkmcnt(0)
	v_mul_f64 v[96:97], v[90:91], v[92:93]
	v_mul_f64 v[92:93], v[88:89], v[92:93]
	s_waitcnt vmcnt(0)
	v_fma_f64 v[88:89], v[88:89], v[94:95], -v[96:97]
	v_fma_f64 v[90:91], v[90:91], v[94:95], v[92:93]
	v_add_f64 v[3:4], v[3:4], v[88:89]
	v_add_f64 v[1:2], v[1:2], v[90:91]
	s_andn2_b32 exec_lo, exec_lo, s5
	s_cbranch_execnz .LBB101_125
; %bb.126:
	s_or_b32 exec_lo, exec_lo, s5
	v_mov_b32_e32 v83, 0
	ds_read_b128 v[83:86], v83 offset:448
	s_waitcnt lgkmcnt(0)
	v_mul_f64 v[88:89], v[1:2], v[85:86]
	v_mul_f64 v[85:86], v[3:4], v[85:86]
	v_fma_f64 v[3:4], v[3:4], v[83:84], -v[88:89]
	v_fma_f64 v[1:2], v[1:2], v[83:84], v[85:86]
	buffer_store_dword v4, off, s[0:3], 0 offset:468
	buffer_store_dword v3, off, s[0:3], 0 offset:464
	;; [unrolled: 1-line block ×4, first 2 shown]
.LBB101_127:
	s_or_b32 exec_lo, exec_lo, s4
	v_mov_b32_e32 v4, s20
	s_waitcnt_vscnt null, 0x0
	s_barrier
	buffer_gl0_inv
	s_mov_b32 s4, exec_lo
	s_clause 0x3
	buffer_load_dword v1, v4, s[0:3], 0 offen
	buffer_load_dword v2, v4, s[0:3], 0 offen offset:4
	buffer_load_dword v3, v4, s[0:3], 0 offen offset:8
	;; [unrolled: 1-line block ×3, first 2 shown]
	s_waitcnt vmcnt(0)
	ds_write_b128 v81, v[1:4]
	s_waitcnt lgkmcnt(0)
	s_barrier
	buffer_gl0_inv
	v_cmpx_gt_u32_e32 29, v0
	s_cbranch_execz .LBB101_131
; %bb.128:
	v_mov_b32_e32 v1, 0
	v_mov_b32_e32 v3, 0
	v_add_nc_u32_e32 v83, -1, v0
	v_add_nc_u32_e32 v84, 0x260, v87
	v_mov_b32_e32 v2, 0
	v_mov_b32_e32 v4, 0
	v_add_nc_u32_e32 v85, 16, v87
	s_mov_b32 s5, 0
	.p2align	6
.LBB101_129:                            ; =>This Inner Loop Header: Depth=1
	s_clause 0x3
	buffer_load_dword v92, v85, s[0:3], 0 offen offset:8
	buffer_load_dword v93, v85, s[0:3], 0 offen offset:12
	buffer_load_dword v94, v85, s[0:3], 0 offen
	buffer_load_dword v95, v85, s[0:3], 0 offen offset:4
	ds_read_b128 v[88:91], v84
	v_add_nc_u32_e32 v83, 1, v83
	v_add_nc_u32_e32 v84, 16, v84
	;; [unrolled: 1-line block ×3, first 2 shown]
	v_cmp_lt_u32_e32 vcc_lo, 27, v83
	s_or_b32 s5, vcc_lo, s5
	s_waitcnt vmcnt(2) lgkmcnt(0)
	v_mul_f64 v[96:97], v[90:91], v[92:93]
	v_mul_f64 v[92:93], v[88:89], v[92:93]
	s_waitcnt vmcnt(0)
	v_fma_f64 v[88:89], v[88:89], v[94:95], -v[96:97]
	v_fma_f64 v[90:91], v[90:91], v[94:95], v[92:93]
	v_add_f64 v[3:4], v[3:4], v[88:89]
	v_add_f64 v[1:2], v[1:2], v[90:91]
	s_andn2_b32 exec_lo, exec_lo, s5
	s_cbranch_execnz .LBB101_129
; %bb.130:
	s_or_b32 exec_lo, exec_lo, s5
	v_mov_b32_e32 v83, 0
	ds_read_b128 v[83:86], v83 offset:464
	s_waitcnt lgkmcnt(0)
	v_mul_f64 v[88:89], v[1:2], v[85:86]
	v_mul_f64 v[85:86], v[3:4], v[85:86]
	v_fma_f64 v[3:4], v[3:4], v[83:84], -v[88:89]
	v_fma_f64 v[1:2], v[1:2], v[83:84], v[85:86]
	buffer_store_dword v4, off, s[0:3], 0 offset:484
	buffer_store_dword v3, off, s[0:3], 0 offset:480
	;; [unrolled: 1-line block ×4, first 2 shown]
.LBB101_131:
	s_or_b32 exec_lo, exec_lo, s4
	v_mov_b32_e32 v4, s19
	s_waitcnt_vscnt null, 0x0
	s_barrier
	buffer_gl0_inv
	s_mov_b32 s4, exec_lo
	s_clause 0x3
	buffer_load_dword v1, v4, s[0:3], 0 offen
	buffer_load_dword v2, v4, s[0:3], 0 offen offset:4
	buffer_load_dword v3, v4, s[0:3], 0 offen offset:8
	;; [unrolled: 1-line block ×3, first 2 shown]
	s_waitcnt vmcnt(0)
	ds_write_b128 v81, v[1:4]
	s_waitcnt lgkmcnt(0)
	s_barrier
	buffer_gl0_inv
	v_cmpx_gt_u32_e32 30, v0
	s_cbranch_execz .LBB101_135
; %bb.132:
	v_mov_b32_e32 v1, 0
	v_mov_b32_e32 v3, 0
	v_add_nc_u32_e32 v83, -1, v0
	v_add_nc_u32_e32 v84, 0x260, v87
	v_mov_b32_e32 v2, 0
	v_mov_b32_e32 v4, 0
	v_add_nc_u32_e32 v85, 16, v87
	s_mov_b32 s5, 0
	.p2align	6
.LBB101_133:                            ; =>This Inner Loop Header: Depth=1
	s_clause 0x3
	buffer_load_dword v92, v85, s[0:3], 0 offen offset:8
	buffer_load_dword v93, v85, s[0:3], 0 offen offset:12
	buffer_load_dword v94, v85, s[0:3], 0 offen
	buffer_load_dword v95, v85, s[0:3], 0 offen offset:4
	ds_read_b128 v[88:91], v84
	v_add_nc_u32_e32 v83, 1, v83
	v_add_nc_u32_e32 v84, 16, v84
	;; [unrolled: 1-line block ×3, first 2 shown]
	v_cmp_lt_u32_e32 vcc_lo, 28, v83
	s_or_b32 s5, vcc_lo, s5
	s_waitcnt vmcnt(2) lgkmcnt(0)
	v_mul_f64 v[96:97], v[90:91], v[92:93]
	v_mul_f64 v[92:93], v[88:89], v[92:93]
	s_waitcnt vmcnt(0)
	v_fma_f64 v[88:89], v[88:89], v[94:95], -v[96:97]
	v_fma_f64 v[90:91], v[90:91], v[94:95], v[92:93]
	v_add_f64 v[3:4], v[3:4], v[88:89]
	v_add_f64 v[1:2], v[1:2], v[90:91]
	s_andn2_b32 exec_lo, exec_lo, s5
	s_cbranch_execnz .LBB101_133
; %bb.134:
	s_or_b32 exec_lo, exec_lo, s5
	v_mov_b32_e32 v83, 0
	ds_read_b128 v[83:86], v83 offset:480
	s_waitcnt lgkmcnt(0)
	v_mul_f64 v[88:89], v[1:2], v[85:86]
	v_mul_f64 v[85:86], v[3:4], v[85:86]
	v_fma_f64 v[3:4], v[3:4], v[83:84], -v[88:89]
	v_fma_f64 v[1:2], v[1:2], v[83:84], v[85:86]
	buffer_store_dword v4, off, s[0:3], 0 offset:500
	buffer_store_dword v3, off, s[0:3], 0 offset:496
	buffer_store_dword v2, off, s[0:3], 0 offset:508
	buffer_store_dword v1, off, s[0:3], 0 offset:504
.LBB101_135:
	s_or_b32 exec_lo, exec_lo, s4
	v_mov_b32_e32 v4, s18
	s_waitcnt_vscnt null, 0x0
	s_barrier
	buffer_gl0_inv
	s_mov_b32 s4, exec_lo
	s_clause 0x3
	buffer_load_dword v1, v4, s[0:3], 0 offen
	buffer_load_dword v2, v4, s[0:3], 0 offen offset:4
	buffer_load_dword v3, v4, s[0:3], 0 offen offset:8
	;; [unrolled: 1-line block ×3, first 2 shown]
	s_waitcnt vmcnt(0)
	ds_write_b128 v81, v[1:4]
	s_waitcnt lgkmcnt(0)
	s_barrier
	buffer_gl0_inv
	v_cmpx_gt_u32_e32 31, v0
	s_cbranch_execz .LBB101_139
; %bb.136:
	v_mov_b32_e32 v1, 0
	v_mov_b32_e32 v3, 0
	v_add_nc_u32_e32 v83, -1, v0
	v_add_nc_u32_e32 v84, 0x260, v87
	v_mov_b32_e32 v2, 0
	v_mov_b32_e32 v4, 0
	v_add_nc_u32_e32 v85, 16, v87
	s_mov_b32 s5, 0
	.p2align	6
.LBB101_137:                            ; =>This Inner Loop Header: Depth=1
	s_clause 0x3
	buffer_load_dword v92, v85, s[0:3], 0 offen offset:8
	buffer_load_dword v93, v85, s[0:3], 0 offen offset:12
	buffer_load_dword v94, v85, s[0:3], 0 offen
	buffer_load_dword v95, v85, s[0:3], 0 offen offset:4
	ds_read_b128 v[88:91], v84
	v_add_nc_u32_e32 v83, 1, v83
	v_add_nc_u32_e32 v84, 16, v84
	;; [unrolled: 1-line block ×3, first 2 shown]
	v_cmp_lt_u32_e32 vcc_lo, 29, v83
	s_or_b32 s5, vcc_lo, s5
	s_waitcnt vmcnt(2) lgkmcnt(0)
	v_mul_f64 v[96:97], v[90:91], v[92:93]
	v_mul_f64 v[92:93], v[88:89], v[92:93]
	s_waitcnt vmcnt(0)
	v_fma_f64 v[88:89], v[88:89], v[94:95], -v[96:97]
	v_fma_f64 v[90:91], v[90:91], v[94:95], v[92:93]
	v_add_f64 v[3:4], v[3:4], v[88:89]
	v_add_f64 v[1:2], v[1:2], v[90:91]
	s_andn2_b32 exec_lo, exec_lo, s5
	s_cbranch_execnz .LBB101_137
; %bb.138:
	s_or_b32 exec_lo, exec_lo, s5
	v_mov_b32_e32 v83, 0
	ds_read_b128 v[83:86], v83 offset:496
	s_waitcnt lgkmcnt(0)
	v_mul_f64 v[88:89], v[1:2], v[85:86]
	v_mul_f64 v[85:86], v[3:4], v[85:86]
	v_fma_f64 v[3:4], v[3:4], v[83:84], -v[88:89]
	v_fma_f64 v[1:2], v[1:2], v[83:84], v[85:86]
	buffer_store_dword v4, off, s[0:3], 0 offset:516
	buffer_store_dword v3, off, s[0:3], 0 offset:512
	;; [unrolled: 1-line block ×4, first 2 shown]
.LBB101_139:
	s_or_b32 exec_lo, exec_lo, s4
	v_mov_b32_e32 v4, s17
	s_waitcnt_vscnt null, 0x0
	s_barrier
	buffer_gl0_inv
	s_mov_b32 s4, exec_lo
	s_clause 0x3
	buffer_load_dword v1, v4, s[0:3], 0 offen
	buffer_load_dword v2, v4, s[0:3], 0 offen offset:4
	buffer_load_dword v3, v4, s[0:3], 0 offen offset:8
	;; [unrolled: 1-line block ×3, first 2 shown]
	s_waitcnt vmcnt(0)
	ds_write_b128 v81, v[1:4]
	s_waitcnt lgkmcnt(0)
	s_barrier
	buffer_gl0_inv
	v_cmpx_gt_u32_e32 32, v0
	s_cbranch_execz .LBB101_143
; %bb.140:
	v_mov_b32_e32 v1, 0
	v_mov_b32_e32 v3, 0
	v_add_nc_u32_e32 v83, -1, v0
	v_add_nc_u32_e32 v84, 0x260, v87
	v_mov_b32_e32 v2, 0
	v_mov_b32_e32 v4, 0
	v_add_nc_u32_e32 v85, 16, v87
	s_mov_b32 s5, 0
	.p2align	6
.LBB101_141:                            ; =>This Inner Loop Header: Depth=1
	s_clause 0x3
	buffer_load_dword v92, v85, s[0:3], 0 offen offset:8
	buffer_load_dword v93, v85, s[0:3], 0 offen offset:12
	buffer_load_dword v94, v85, s[0:3], 0 offen
	buffer_load_dword v95, v85, s[0:3], 0 offen offset:4
	ds_read_b128 v[88:91], v84
	v_add_nc_u32_e32 v83, 1, v83
	v_add_nc_u32_e32 v84, 16, v84
	;; [unrolled: 1-line block ×3, first 2 shown]
	v_cmp_lt_u32_e32 vcc_lo, 30, v83
	s_or_b32 s5, vcc_lo, s5
	s_waitcnt vmcnt(2) lgkmcnt(0)
	v_mul_f64 v[96:97], v[90:91], v[92:93]
	v_mul_f64 v[92:93], v[88:89], v[92:93]
	s_waitcnt vmcnt(0)
	v_fma_f64 v[88:89], v[88:89], v[94:95], -v[96:97]
	v_fma_f64 v[90:91], v[90:91], v[94:95], v[92:93]
	v_add_f64 v[3:4], v[3:4], v[88:89]
	v_add_f64 v[1:2], v[1:2], v[90:91]
	s_andn2_b32 exec_lo, exec_lo, s5
	s_cbranch_execnz .LBB101_141
; %bb.142:
	s_or_b32 exec_lo, exec_lo, s5
	v_mov_b32_e32 v83, 0
	ds_read_b128 v[83:86], v83 offset:512
	s_waitcnt lgkmcnt(0)
	v_mul_f64 v[88:89], v[1:2], v[85:86]
	v_mul_f64 v[85:86], v[3:4], v[85:86]
	v_fma_f64 v[3:4], v[3:4], v[83:84], -v[88:89]
	v_fma_f64 v[1:2], v[1:2], v[83:84], v[85:86]
	buffer_store_dword v4, off, s[0:3], 0 offset:532
	buffer_store_dword v3, off, s[0:3], 0 offset:528
	buffer_store_dword v2, off, s[0:3], 0 offset:540
	buffer_store_dword v1, off, s[0:3], 0 offset:536
.LBB101_143:
	s_or_b32 exec_lo, exec_lo, s4
	v_mov_b32_e32 v4, s16
	s_waitcnt_vscnt null, 0x0
	s_barrier
	buffer_gl0_inv
	s_mov_b32 s4, exec_lo
	s_clause 0x3
	buffer_load_dword v1, v4, s[0:3], 0 offen
	buffer_load_dword v2, v4, s[0:3], 0 offen offset:4
	buffer_load_dword v3, v4, s[0:3], 0 offen offset:8
	;; [unrolled: 1-line block ×3, first 2 shown]
	s_waitcnt vmcnt(0)
	ds_write_b128 v81, v[1:4]
	s_waitcnt lgkmcnt(0)
	s_barrier
	buffer_gl0_inv
	v_cmpx_gt_u32_e32 33, v0
	s_cbranch_execz .LBB101_147
; %bb.144:
	v_mov_b32_e32 v1, 0
	v_mov_b32_e32 v3, 0
	v_add_nc_u32_e32 v83, -1, v0
	v_add_nc_u32_e32 v84, 0x260, v87
	v_mov_b32_e32 v2, 0
	v_mov_b32_e32 v4, 0
	v_add_nc_u32_e32 v85, 16, v87
	s_mov_b32 s5, 0
	.p2align	6
.LBB101_145:                            ; =>This Inner Loop Header: Depth=1
	s_clause 0x3
	buffer_load_dword v92, v85, s[0:3], 0 offen offset:8
	buffer_load_dword v93, v85, s[0:3], 0 offen offset:12
	buffer_load_dword v94, v85, s[0:3], 0 offen
	buffer_load_dword v95, v85, s[0:3], 0 offen offset:4
	ds_read_b128 v[88:91], v84
	v_add_nc_u32_e32 v83, 1, v83
	v_add_nc_u32_e32 v84, 16, v84
	;; [unrolled: 1-line block ×3, first 2 shown]
	v_cmp_lt_u32_e32 vcc_lo, 31, v83
	s_or_b32 s5, vcc_lo, s5
	s_waitcnt vmcnt(2) lgkmcnt(0)
	v_mul_f64 v[96:97], v[90:91], v[92:93]
	v_mul_f64 v[92:93], v[88:89], v[92:93]
	s_waitcnt vmcnt(0)
	v_fma_f64 v[88:89], v[88:89], v[94:95], -v[96:97]
	v_fma_f64 v[90:91], v[90:91], v[94:95], v[92:93]
	v_add_f64 v[3:4], v[3:4], v[88:89]
	v_add_f64 v[1:2], v[1:2], v[90:91]
	s_andn2_b32 exec_lo, exec_lo, s5
	s_cbranch_execnz .LBB101_145
; %bb.146:
	s_or_b32 exec_lo, exec_lo, s5
	v_mov_b32_e32 v83, 0
	ds_read_b128 v[83:86], v83 offset:528
	s_waitcnt lgkmcnt(0)
	v_mul_f64 v[88:89], v[1:2], v[85:86]
	v_mul_f64 v[85:86], v[3:4], v[85:86]
	v_fma_f64 v[3:4], v[3:4], v[83:84], -v[88:89]
	v_fma_f64 v[1:2], v[1:2], v[83:84], v[85:86]
	buffer_store_dword v4, off, s[0:3], 0 offset:548
	buffer_store_dword v3, off, s[0:3], 0 offset:544
	;; [unrolled: 1-line block ×4, first 2 shown]
.LBB101_147:
	s_or_b32 exec_lo, exec_lo, s4
	v_mov_b32_e32 v4, s15
	s_waitcnt_vscnt null, 0x0
	s_barrier
	buffer_gl0_inv
	s_mov_b32 s4, exec_lo
	s_clause 0x3
	buffer_load_dword v1, v4, s[0:3], 0 offen
	buffer_load_dword v2, v4, s[0:3], 0 offen offset:4
	buffer_load_dword v3, v4, s[0:3], 0 offen offset:8
	;; [unrolled: 1-line block ×3, first 2 shown]
	s_waitcnt vmcnt(0)
	ds_write_b128 v81, v[1:4]
	s_waitcnt lgkmcnt(0)
	s_barrier
	buffer_gl0_inv
	v_cmpx_gt_u32_e32 34, v0
	s_cbranch_execz .LBB101_151
; %bb.148:
	v_mov_b32_e32 v1, 0
	v_mov_b32_e32 v3, 0
	v_add_nc_u32_e32 v83, -1, v0
	v_add_nc_u32_e32 v84, 0x260, v87
	v_mov_b32_e32 v2, 0
	v_mov_b32_e32 v4, 0
	v_add_nc_u32_e32 v85, 16, v87
	s_mov_b32 s5, 0
	.p2align	6
.LBB101_149:                            ; =>This Inner Loop Header: Depth=1
	s_clause 0x3
	buffer_load_dword v92, v85, s[0:3], 0 offen offset:8
	buffer_load_dword v93, v85, s[0:3], 0 offen offset:12
	buffer_load_dword v94, v85, s[0:3], 0 offen
	buffer_load_dword v95, v85, s[0:3], 0 offen offset:4
	ds_read_b128 v[88:91], v84
	v_add_nc_u32_e32 v83, 1, v83
	v_add_nc_u32_e32 v84, 16, v84
	;; [unrolled: 1-line block ×3, first 2 shown]
	v_cmp_lt_u32_e32 vcc_lo, 32, v83
	s_or_b32 s5, vcc_lo, s5
	s_waitcnt vmcnt(2) lgkmcnt(0)
	v_mul_f64 v[96:97], v[90:91], v[92:93]
	v_mul_f64 v[92:93], v[88:89], v[92:93]
	s_waitcnt vmcnt(0)
	v_fma_f64 v[88:89], v[88:89], v[94:95], -v[96:97]
	v_fma_f64 v[90:91], v[90:91], v[94:95], v[92:93]
	v_add_f64 v[3:4], v[3:4], v[88:89]
	v_add_f64 v[1:2], v[1:2], v[90:91]
	s_andn2_b32 exec_lo, exec_lo, s5
	s_cbranch_execnz .LBB101_149
; %bb.150:
	s_or_b32 exec_lo, exec_lo, s5
	v_mov_b32_e32 v83, 0
	ds_read_b128 v[83:86], v83 offset:544
	s_waitcnt lgkmcnt(0)
	v_mul_f64 v[88:89], v[1:2], v[85:86]
	v_mul_f64 v[85:86], v[3:4], v[85:86]
	v_fma_f64 v[3:4], v[3:4], v[83:84], -v[88:89]
	v_fma_f64 v[1:2], v[1:2], v[83:84], v[85:86]
	buffer_store_dword v4, off, s[0:3], 0 offset:564
	buffer_store_dword v3, off, s[0:3], 0 offset:560
	;; [unrolled: 1-line block ×4, first 2 shown]
.LBB101_151:
	s_or_b32 exec_lo, exec_lo, s4
	v_mov_b32_e32 v4, s14
	s_waitcnt_vscnt null, 0x0
	s_barrier
	buffer_gl0_inv
	s_mov_b32 s4, exec_lo
	s_clause 0x3
	buffer_load_dword v1, v4, s[0:3], 0 offen
	buffer_load_dword v2, v4, s[0:3], 0 offen offset:4
	buffer_load_dword v3, v4, s[0:3], 0 offen offset:8
	;; [unrolled: 1-line block ×3, first 2 shown]
	s_waitcnt vmcnt(0)
	ds_write_b128 v81, v[1:4]
	s_waitcnt lgkmcnt(0)
	s_barrier
	buffer_gl0_inv
	v_cmpx_gt_u32_e32 35, v0
	s_cbranch_execz .LBB101_155
; %bb.152:
	v_mov_b32_e32 v1, 0
	v_mov_b32_e32 v3, 0
	v_add_nc_u32_e32 v83, -1, v0
	v_add_nc_u32_e32 v84, 0x260, v87
	v_mov_b32_e32 v2, 0
	v_mov_b32_e32 v4, 0
	v_add_nc_u32_e32 v85, 16, v87
	s_mov_b32 s5, 0
	.p2align	6
.LBB101_153:                            ; =>This Inner Loop Header: Depth=1
	s_clause 0x3
	buffer_load_dword v92, v85, s[0:3], 0 offen offset:8
	buffer_load_dword v93, v85, s[0:3], 0 offen offset:12
	buffer_load_dword v94, v85, s[0:3], 0 offen
	buffer_load_dword v95, v85, s[0:3], 0 offen offset:4
	ds_read_b128 v[88:91], v84
	v_add_nc_u32_e32 v83, 1, v83
	v_add_nc_u32_e32 v84, 16, v84
	;; [unrolled: 1-line block ×3, first 2 shown]
	v_cmp_lt_u32_e32 vcc_lo, 33, v83
	s_or_b32 s5, vcc_lo, s5
	s_waitcnt vmcnt(2) lgkmcnt(0)
	v_mul_f64 v[96:97], v[90:91], v[92:93]
	v_mul_f64 v[92:93], v[88:89], v[92:93]
	s_waitcnt vmcnt(0)
	v_fma_f64 v[88:89], v[88:89], v[94:95], -v[96:97]
	v_fma_f64 v[90:91], v[90:91], v[94:95], v[92:93]
	v_add_f64 v[3:4], v[3:4], v[88:89]
	v_add_f64 v[1:2], v[1:2], v[90:91]
	s_andn2_b32 exec_lo, exec_lo, s5
	s_cbranch_execnz .LBB101_153
; %bb.154:
	s_or_b32 exec_lo, exec_lo, s5
	v_mov_b32_e32 v83, 0
	ds_read_b128 v[83:86], v83 offset:560
	s_waitcnt lgkmcnt(0)
	v_mul_f64 v[88:89], v[1:2], v[85:86]
	v_mul_f64 v[85:86], v[3:4], v[85:86]
	v_fma_f64 v[3:4], v[3:4], v[83:84], -v[88:89]
	v_fma_f64 v[1:2], v[1:2], v[83:84], v[85:86]
	buffer_store_dword v4, off, s[0:3], 0 offset:580
	buffer_store_dword v3, off, s[0:3], 0 offset:576
	;; [unrolled: 1-line block ×4, first 2 shown]
.LBB101_155:
	s_or_b32 exec_lo, exec_lo, s4
	v_mov_b32_e32 v4, s9
	s_waitcnt_vscnt null, 0x0
	s_barrier
	buffer_gl0_inv
	s_mov_b32 s4, exec_lo
	s_clause 0x3
	buffer_load_dword v1, v4, s[0:3], 0 offen
	buffer_load_dword v2, v4, s[0:3], 0 offen offset:4
	buffer_load_dword v3, v4, s[0:3], 0 offen offset:8
	;; [unrolled: 1-line block ×3, first 2 shown]
	s_waitcnt vmcnt(0)
	ds_write_b128 v81, v[1:4]
	s_waitcnt lgkmcnt(0)
	s_barrier
	buffer_gl0_inv
	v_cmpx_gt_u32_e32 36, v0
	s_cbranch_execz .LBB101_159
; %bb.156:
	v_mov_b32_e32 v1, 0
	v_mov_b32_e32 v3, 0
	v_add_nc_u32_e32 v83, -1, v0
	v_add_nc_u32_e32 v84, 0x260, v87
	v_mov_b32_e32 v2, 0
	v_mov_b32_e32 v4, 0
	v_add_nc_u32_e32 v85, 16, v87
	s_mov_b32 s5, 0
	.p2align	6
.LBB101_157:                            ; =>This Inner Loop Header: Depth=1
	s_clause 0x3
	buffer_load_dword v92, v85, s[0:3], 0 offen offset:8
	buffer_load_dword v93, v85, s[0:3], 0 offen offset:12
	buffer_load_dword v94, v85, s[0:3], 0 offen
	buffer_load_dword v95, v85, s[0:3], 0 offen offset:4
	ds_read_b128 v[88:91], v84
	v_add_nc_u32_e32 v83, 1, v83
	v_add_nc_u32_e32 v84, 16, v84
	;; [unrolled: 1-line block ×3, first 2 shown]
	v_cmp_lt_u32_e32 vcc_lo, 34, v83
	s_or_b32 s5, vcc_lo, s5
	s_waitcnt vmcnt(2) lgkmcnt(0)
	v_mul_f64 v[96:97], v[90:91], v[92:93]
	v_mul_f64 v[92:93], v[88:89], v[92:93]
	s_waitcnt vmcnt(0)
	v_fma_f64 v[88:89], v[88:89], v[94:95], -v[96:97]
	v_fma_f64 v[90:91], v[90:91], v[94:95], v[92:93]
	v_add_f64 v[3:4], v[3:4], v[88:89]
	v_add_f64 v[1:2], v[1:2], v[90:91]
	s_andn2_b32 exec_lo, exec_lo, s5
	s_cbranch_execnz .LBB101_157
; %bb.158:
	s_or_b32 exec_lo, exec_lo, s5
	v_mov_b32_e32 v83, 0
	ds_read_b128 v[83:86], v83 offset:576
	s_waitcnt lgkmcnt(0)
	v_mul_f64 v[88:89], v[1:2], v[85:86]
	v_mul_f64 v[85:86], v[3:4], v[85:86]
	v_fma_f64 v[3:4], v[3:4], v[83:84], -v[88:89]
	v_fma_f64 v[1:2], v[1:2], v[83:84], v[85:86]
	buffer_store_dword v4, off, s[0:3], 0 offset:596
	buffer_store_dword v3, off, s[0:3], 0 offset:592
	;; [unrolled: 1-line block ×4, first 2 shown]
.LBB101_159:
	s_or_b32 exec_lo, exec_lo, s4
	v_mov_b32_e32 v4, s8
	s_waitcnt_vscnt null, 0x0
	s_barrier
	buffer_gl0_inv
	s_mov_b32 s4, exec_lo
	s_clause 0x3
	buffer_load_dword v1, v4, s[0:3], 0 offen
	buffer_load_dword v2, v4, s[0:3], 0 offen offset:4
	buffer_load_dword v3, v4, s[0:3], 0 offen offset:8
	;; [unrolled: 1-line block ×3, first 2 shown]
	s_waitcnt vmcnt(0)
	ds_write_b128 v81, v[1:4]
	s_waitcnt lgkmcnt(0)
	s_barrier
	buffer_gl0_inv
	v_cmpx_ne_u32_e32 37, v0
	s_cbranch_execz .LBB101_163
; %bb.160:
	v_mov_b32_e32 v1, 0
	v_mov_b32_e32 v3, 0
	;; [unrolled: 1-line block ×4, first 2 shown]
	v_add_nc_u32_e32 v83, 16, v87
	s_mov_b32 s5, 0
	.p2align	6
.LBB101_161:                            ; =>This Inner Loop Header: Depth=1
	s_clause 0x3
	buffer_load_dword v88, v83, s[0:3], 0 offen offset:8
	buffer_load_dword v89, v83, s[0:3], 0 offen offset:12
	buffer_load_dword v90, v83, s[0:3], 0 offen
	buffer_load_dword v91, v83, s[0:3], 0 offen offset:4
	ds_read_b128 v[84:87], v81
	v_add_nc_u32_e32 v82, 1, v82
	v_add_nc_u32_e32 v81, 16, v81
	;; [unrolled: 1-line block ×3, first 2 shown]
	v_cmp_lt_u32_e32 vcc_lo, 35, v82
	s_or_b32 s5, vcc_lo, s5
	s_waitcnt vmcnt(2) lgkmcnt(0)
	v_mul_f64 v[92:93], v[86:87], v[88:89]
	v_mul_f64 v[88:89], v[84:85], v[88:89]
	s_waitcnt vmcnt(0)
	v_fma_f64 v[84:85], v[84:85], v[90:91], -v[92:93]
	v_fma_f64 v[86:87], v[86:87], v[90:91], v[88:89]
	v_add_f64 v[3:4], v[3:4], v[84:85]
	v_add_f64 v[1:2], v[1:2], v[86:87]
	s_andn2_b32 exec_lo, exec_lo, s5
	s_cbranch_execnz .LBB101_161
; %bb.162:
	s_or_b32 exec_lo, exec_lo, s5
	v_mov_b32_e32 v81, 0
	ds_read_b128 v[81:84], v81 offset:592
	s_waitcnt lgkmcnt(0)
	v_mul_f64 v[85:86], v[1:2], v[83:84]
	v_mul_f64 v[83:84], v[3:4], v[83:84]
	v_fma_f64 v[3:4], v[3:4], v[81:82], -v[85:86]
	v_fma_f64 v[1:2], v[1:2], v[81:82], v[83:84]
	buffer_store_dword v4, off, s[0:3], 0 offset:612
	buffer_store_dword v3, off, s[0:3], 0 offset:608
	;; [unrolled: 1-line block ×4, first 2 shown]
.LBB101_163:
	s_or_b32 exec_lo, exec_lo, s4
	s_mov_b32 s5, -1
	s_waitcnt_vscnt null, 0x0
	s_barrier
	buffer_gl0_inv
.LBB101_164:
	s_and_b32 vcc_lo, exec_lo, s5
	s_cbranch_vccz .LBB101_166
; %bb.165:
	s_lshl_b64 s[4:5], s[6:7], 2
	v_mov_b32_e32 v1, 0
	s_add_u32 s4, s10, s4
	s_addc_u32 s5, s11, s5
	global_load_dword v1, v1, s[4:5]
	s_waitcnt vmcnt(0)
	v_cmp_ne_u32_e32 vcc_lo, 0, v1
	s_cbranch_vccz .LBB101_167
.LBB101_166:
	s_endpgm
.LBB101_167:
	v_lshl_add_u32 v137, v0, 4, 0x260
	s_mov_b32 s4, exec_lo
	v_cmpx_eq_u32_e32 37, v0
	s_cbranch_execz .LBB101_169
; %bb.168:
	v_mov_b32_e32 v4, s9
	v_mov_b32_e32 v81, 0
	s_clause 0x3
	buffer_load_dword v1, v4, s[0:3], 0 offen
	buffer_load_dword v2, v4, s[0:3], 0 offen offset:4
	buffer_load_dword v3, v4, s[0:3], 0 offen offset:8
	;; [unrolled: 1-line block ×3, first 2 shown]
	buffer_store_dword v81, off, s[0:3], 0 offset:592
	buffer_store_dword v81, off, s[0:3], 0 offset:596
	;; [unrolled: 1-line block ×4, first 2 shown]
	s_waitcnt vmcnt(0)
	ds_write_b128 v137, v[1:4]
.LBB101_169:
	s_or_b32 exec_lo, exec_lo, s4
	s_waitcnt lgkmcnt(0)
	s_waitcnt_vscnt null, 0x0
	s_barrier
	buffer_gl0_inv
	s_clause 0x7
	buffer_load_dword v2, off, s[0:3], 0 offset:616
	buffer_load_dword v3, off, s[0:3], 0 offset:620
	;; [unrolled: 1-line block ×8, first 2 shown]
	v_mov_b32_e32 v1, 0
	s_mov_b32 s4, exec_lo
	ds_read_b128 v[81:84], v1 offset:1200
	s_waitcnt vmcnt(6) lgkmcnt(0)
	v_mul_f64 v[91:92], v[83:84], v[2:3]
	v_mul_f64 v[2:3], v[81:82], v[2:3]
	s_waitcnt vmcnt(4)
	v_fma_f64 v[81:82], v[81:82], v[85:86], -v[91:92]
	v_fma_f64 v[2:3], v[83:84], v[85:86], v[2:3]
	v_add_f64 v[81:82], v[81:82], 0
	v_add_f64 v[2:3], v[2:3], 0
	s_waitcnt vmcnt(2)
	v_add_f64 v[81:82], v[87:88], -v[81:82]
	s_waitcnt vmcnt(0)
	v_add_f64 v[2:3], v[89:90], -v[2:3]
	buffer_store_dword v81, off, s[0:3], 0 offset:592
	buffer_store_dword v82, off, s[0:3], 0 offset:596
	;; [unrolled: 1-line block ×4, first 2 shown]
	v_cmpx_lt_u32_e32 35, v0
	s_cbranch_execz .LBB101_171
; %bb.170:
	v_mov_b32_e32 v2, s14
	s_clause 0x3
	buffer_load_dword v81, v2, s[0:3], 0 offen
	buffer_load_dword v82, v2, s[0:3], 0 offen offset:4
	buffer_load_dword v83, v2, s[0:3], 0 offen offset:8
	;; [unrolled: 1-line block ×3, first 2 shown]
	buffer_store_dword v1, off, s[0:3], 0 offset:576
	buffer_store_dword v1, off, s[0:3], 0 offset:580
	;; [unrolled: 1-line block ×4, first 2 shown]
	s_waitcnt vmcnt(0)
	ds_write_b128 v137, v[81:84]
.LBB101_171:
	s_or_b32 exec_lo, exec_lo, s4
	s_waitcnt lgkmcnt(0)
	s_waitcnt_vscnt null, 0x0
	s_barrier
	buffer_gl0_inv
	s_clause 0xb
	buffer_load_dword v85, off, s[0:3], 0 offset:600
	buffer_load_dword v86, off, s[0:3], 0 offset:604
	;; [unrolled: 1-line block ×12, first 2 shown]
	ds_read_b128 v[81:84], v1 offset:1184
	ds_read_b128 v[1:4], v1 offset:1200
	s_mov_b32 s4, exec_lo
	s_waitcnt vmcnt(10) lgkmcnt(1)
	v_mul_f64 v[97:98], v[83:84], v[85:86]
	v_mul_f64 v[85:86], v[81:82], v[85:86]
	s_waitcnt vmcnt(8) lgkmcnt(0)
	v_mul_f64 v[99:100], v[3:4], v[87:88]
	v_mul_f64 v[87:88], v[1:2], v[87:88]
	s_waitcnt vmcnt(6)
	v_fma_f64 v[81:82], v[81:82], v[89:90], -v[97:98]
	v_fma_f64 v[83:84], v[83:84], v[89:90], v[85:86]
	s_waitcnt vmcnt(4)
	v_fma_f64 v[1:2], v[1:2], v[91:92], -v[99:100]
	v_fma_f64 v[3:4], v[3:4], v[91:92], v[87:88]
	v_add_f64 v[81:82], v[81:82], 0
	v_add_f64 v[83:84], v[83:84], 0
	;; [unrolled: 1-line block ×4, first 2 shown]
	s_waitcnt vmcnt(2)
	v_add_f64 v[1:2], v[93:94], -v[1:2]
	s_waitcnt vmcnt(0)
	v_add_f64 v[3:4], v[95:96], -v[3:4]
	buffer_store_dword v1, off, s[0:3], 0 offset:576
	buffer_store_dword v2, off, s[0:3], 0 offset:580
	;; [unrolled: 1-line block ×4, first 2 shown]
	v_cmpx_lt_u32_e32 34, v0
	s_cbranch_execz .LBB101_173
; %bb.172:
	v_mov_b32_e32 v4, s15
	v_mov_b32_e32 v81, 0
	s_clause 0x3
	buffer_load_dword v1, v4, s[0:3], 0 offen
	buffer_load_dword v2, v4, s[0:3], 0 offen offset:4
	buffer_load_dword v3, v4, s[0:3], 0 offen offset:8
	;; [unrolled: 1-line block ×3, first 2 shown]
	buffer_store_dword v81, off, s[0:3], 0 offset:560
	buffer_store_dword v81, off, s[0:3], 0 offset:564
	;; [unrolled: 1-line block ×4, first 2 shown]
	s_waitcnt vmcnt(0)
	ds_write_b128 v137, v[1:4]
.LBB101_173:
	s_or_b32 exec_lo, exec_lo, s4
	s_waitcnt lgkmcnt(0)
	s_waitcnt_vscnt null, 0x0
	s_barrier
	buffer_gl0_inv
	s_clause 0xf
	buffer_load_dword v2, off, s[0:3], 0 offset:584
	buffer_load_dword v3, off, s[0:3], 0 offset:588
	;; [unrolled: 1-line block ×16, first 2 shown]
	v_mov_b32_e32 v1, 0
	ds_read_b128 v[81:84], v1 offset:1168
	ds_read_b128 v[85:88], v1 offset:1184
	;; [unrolled: 1-line block ×3, first 2 shown]
	s_mov_b32 s4, exec_lo
	s_waitcnt vmcnt(14) lgkmcnt(2)
	v_mul_f64 v[107:108], v[83:84], v[2:3]
	v_mul_f64 v[2:3], v[81:82], v[2:3]
	s_waitcnt vmcnt(12) lgkmcnt(1)
	v_mul_f64 v[109:110], v[87:88], v[93:94]
	v_mul_f64 v[93:94], v[85:86], v[93:94]
	s_waitcnt vmcnt(10)
	v_fma_f64 v[81:82], v[81:82], v[95:96], -v[107:108]
	v_fma_f64 v[2:3], v[83:84], v[95:96], v[2:3]
	s_waitcnt vmcnt(8) lgkmcnt(0)
	v_mul_f64 v[95:96], v[91:92], v[97:98]
	s_waitcnt vmcnt(6)
	v_fma_f64 v[85:86], v[85:86], v[99:100], -v[109:110]
	v_mul_f64 v[83:84], v[89:90], v[97:98]
	v_fma_f64 v[87:88], v[87:88], v[99:100], v[93:94]
	v_add_f64 v[81:82], v[81:82], 0
	v_add_f64 v[2:3], v[2:3], 0
	s_waitcnt vmcnt(4)
	v_fma_f64 v[89:90], v[89:90], v[101:102], -v[95:96]
	v_fma_f64 v[83:84], v[91:92], v[101:102], v[83:84]
	v_add_f64 v[81:82], v[81:82], v[85:86]
	v_add_f64 v[2:3], v[2:3], v[87:88]
	;; [unrolled: 1-line block ×4, first 2 shown]
	s_waitcnt vmcnt(2)
	v_add_f64 v[81:82], v[103:104], -v[81:82]
	s_waitcnt vmcnt(0)
	v_add_f64 v[2:3], v[105:106], -v[2:3]
	buffer_store_dword v81, off, s[0:3], 0 offset:560
	buffer_store_dword v82, off, s[0:3], 0 offset:564
	;; [unrolled: 1-line block ×4, first 2 shown]
	v_cmpx_lt_u32_e32 33, v0
	s_cbranch_execz .LBB101_175
; %bb.174:
	v_mov_b32_e32 v2, s16
	s_clause 0x3
	buffer_load_dword v81, v2, s[0:3], 0 offen
	buffer_load_dword v82, v2, s[0:3], 0 offen offset:4
	buffer_load_dword v83, v2, s[0:3], 0 offen offset:8
	;; [unrolled: 1-line block ×3, first 2 shown]
	buffer_store_dword v1, off, s[0:3], 0 offset:544
	buffer_store_dword v1, off, s[0:3], 0 offset:548
	;; [unrolled: 1-line block ×4, first 2 shown]
	s_waitcnt vmcnt(0)
	ds_write_b128 v137, v[81:84]
.LBB101_175:
	s_or_b32 exec_lo, exec_lo, s4
	s_waitcnt lgkmcnt(0)
	s_waitcnt_vscnt null, 0x0
	s_barrier
	buffer_gl0_inv
	s_clause 0x13
	buffer_load_dword v2, off, s[0:3], 0 offset:568
	buffer_load_dword v3, off, s[0:3], 0 offset:572
	;; [unrolled: 1-line block ×20, first 2 shown]
	ds_read_b128 v[81:84], v1 offset:1152
	ds_read_b128 v[85:88], v1 offset:1168
	;; [unrolled: 1-line block ×3, first 2 shown]
	s_mov_b32 s4, exec_lo
	s_waitcnt vmcnt(18) lgkmcnt(2)
	v_mul_f64 v[111:112], v[83:84], v[2:3]
	v_mul_f64 v[2:3], v[81:82], v[2:3]
	s_waitcnt vmcnt(16) lgkmcnt(1)
	v_mul_f64 v[113:114], v[87:88], v[93:94]
	v_mul_f64 v[93:94], v[85:86], v[93:94]
	s_waitcnt vmcnt(14)
	v_fma_f64 v[81:82], v[81:82], v[95:96], -v[111:112]
	v_fma_f64 v[83:84], v[83:84], v[95:96], v[2:3]
	s_waitcnt vmcnt(12) lgkmcnt(0)
	v_mul_f64 v[95:96], v[89:90], v[97:98]
	v_mul_f64 v[97:98], v[91:92], v[97:98]
	s_waitcnt vmcnt(10)
	v_fma_f64 v[85:86], v[85:86], v[99:100], -v[113:114]
	ds_read_b128 v[1:4], v1 offset:1200
	v_fma_f64 v[87:88], v[87:88], v[99:100], v[93:94]
	v_add_f64 v[81:82], v[81:82], 0
	v_add_f64 v[83:84], v[83:84], 0
	s_waitcnt vmcnt(8) lgkmcnt(0)
	v_mul_f64 v[99:100], v[3:4], v[101:102]
	s_waitcnt vmcnt(6)
	v_fma_f64 v[89:90], v[89:90], v[103:104], -v[97:98]
	v_mul_f64 v[93:94], v[1:2], v[101:102]
	v_add_f64 v[81:82], v[81:82], v[85:86]
	v_fma_f64 v[85:86], v[91:92], v[103:104], v[95:96]
	v_add_f64 v[83:84], v[83:84], v[87:88]
	s_waitcnt vmcnt(4)
	v_fma_f64 v[1:2], v[1:2], v[105:106], -v[99:100]
	v_fma_f64 v[3:4], v[3:4], v[105:106], v[93:94]
	v_add_f64 v[81:82], v[81:82], v[89:90]
	v_add_f64 v[83:84], v[83:84], v[85:86]
	;; [unrolled: 1-line block ×4, first 2 shown]
	s_waitcnt vmcnt(2)
	v_add_f64 v[1:2], v[107:108], -v[1:2]
	s_waitcnt vmcnt(0)
	v_add_f64 v[3:4], v[109:110], -v[3:4]
	buffer_store_dword v1, off, s[0:3], 0 offset:544
	buffer_store_dword v2, off, s[0:3], 0 offset:548
	;; [unrolled: 1-line block ×4, first 2 shown]
	v_cmpx_lt_u32_e32 32, v0
	s_cbranch_execz .LBB101_177
; %bb.176:
	v_mov_b32_e32 v4, s17
	v_mov_b32_e32 v81, 0
	s_clause 0x3
	buffer_load_dword v1, v4, s[0:3], 0 offen
	buffer_load_dword v2, v4, s[0:3], 0 offen offset:4
	buffer_load_dword v3, v4, s[0:3], 0 offen offset:8
	;; [unrolled: 1-line block ×3, first 2 shown]
	buffer_store_dword v81, off, s[0:3], 0 offset:528
	buffer_store_dword v81, off, s[0:3], 0 offset:532
	;; [unrolled: 1-line block ×4, first 2 shown]
	s_waitcnt vmcnt(0)
	ds_write_b128 v137, v[1:4]
.LBB101_177:
	s_or_b32 exec_lo, exec_lo, s4
	s_waitcnt lgkmcnt(0)
	s_waitcnt_vscnt null, 0x0
	s_barrier
	buffer_gl0_inv
	s_clause 0x17
	buffer_load_dword v2, off, s[0:3], 0 offset:552
	buffer_load_dword v3, off, s[0:3], 0 offset:556
	;; [unrolled: 1-line block ×24, first 2 shown]
	v_mov_b32_e32 v1, 0
	ds_read_b128 v[81:84], v1 offset:1136
	ds_read_b128 v[85:88], v1 offset:1152
	;; [unrolled: 1-line block ×3, first 2 shown]
	s_mov_b32 s4, exec_lo
	s_waitcnt vmcnt(22) lgkmcnt(2)
	v_mul_f64 v[115:116], v[83:84], v[2:3]
	v_mul_f64 v[2:3], v[81:82], v[2:3]
	s_waitcnt vmcnt(20) lgkmcnt(1)
	v_mul_f64 v[117:118], v[87:88], v[93:94]
	v_mul_f64 v[93:94], v[85:86], v[93:94]
	s_waitcnt vmcnt(18)
	v_fma_f64 v[115:116], v[81:82], v[95:96], -v[115:116]
	v_fma_f64 v[2:3], v[83:84], v[95:96], v[2:3]
	ds_read_b128 v[81:84], v1 offset:1184
	s_waitcnt vmcnt(16) lgkmcnt(1)
	v_mul_f64 v[95:96], v[89:90], v[97:98]
	v_mul_f64 v[97:98], v[91:92], v[97:98]
	s_waitcnt vmcnt(14)
	v_fma_f64 v[117:118], v[85:86], v[99:100], -v[117:118]
	v_fma_f64 v[93:94], v[87:88], v[99:100], v[93:94]
	ds_read_b128 v[85:88], v1 offset:1200
	s_waitcnt vmcnt(10) lgkmcnt(1)
	v_mul_f64 v[99:100], v[81:82], v[101:102]
	v_add_f64 v[115:116], v[115:116], 0
	v_add_f64 v[2:3], v[2:3], 0
	v_mul_f64 v[101:102], v[83:84], v[101:102]
	s_waitcnt vmcnt(8)
	v_fma_f64 v[89:90], v[89:90], v[107:108], -v[97:98]
	v_fma_f64 v[91:92], v[91:92], v[107:108], v[95:96]
	s_waitcnt vmcnt(7) lgkmcnt(0)
	v_mul_f64 v[95:96], v[87:88], v[103:104]
	s_waitcnt vmcnt(5)
	v_fma_f64 v[83:84], v[83:84], v[109:110], v[99:100]
	v_add_f64 v[97:98], v[115:116], v[117:118]
	v_add_f64 v[2:3], v[2:3], v[93:94]
	v_fma_f64 v[81:82], v[81:82], v[109:110], -v[101:102]
	v_mul_f64 v[93:94], v[85:86], v[103:104]
	s_waitcnt vmcnt(4)
	v_fma_f64 v[85:86], v[85:86], v[105:106], -v[95:96]
	v_add_f64 v[89:90], v[97:98], v[89:90]
	v_add_f64 v[2:3], v[2:3], v[91:92]
	v_fma_f64 v[87:88], v[87:88], v[105:106], v[93:94]
	v_add_f64 v[81:82], v[89:90], v[81:82]
	v_add_f64 v[2:3], v[2:3], v[83:84]
	;; [unrolled: 1-line block ×4, first 2 shown]
	s_waitcnt vmcnt(2)
	v_add_f64 v[81:82], v[111:112], -v[81:82]
	s_waitcnt vmcnt(0)
	v_add_f64 v[2:3], v[113:114], -v[2:3]
	buffer_store_dword v82, off, s[0:3], 0 offset:532
	buffer_store_dword v81, off, s[0:3], 0 offset:528
	buffer_store_dword v3, off, s[0:3], 0 offset:540
	buffer_store_dword v2, off, s[0:3], 0 offset:536
	v_cmpx_lt_u32_e32 31, v0
	s_cbranch_execz .LBB101_179
; %bb.178:
	v_mov_b32_e32 v2, s18
	s_clause 0x3
	buffer_load_dword v81, v2, s[0:3], 0 offen
	buffer_load_dword v82, v2, s[0:3], 0 offen offset:4
	buffer_load_dword v83, v2, s[0:3], 0 offen offset:8
	;; [unrolled: 1-line block ×3, first 2 shown]
	buffer_store_dword v1, off, s[0:3], 0 offset:512
	buffer_store_dword v1, off, s[0:3], 0 offset:516
	buffer_store_dword v1, off, s[0:3], 0 offset:520
	buffer_store_dword v1, off, s[0:3], 0 offset:524
	s_waitcnt vmcnt(0)
	ds_write_b128 v137, v[81:84]
.LBB101_179:
	s_or_b32 exec_lo, exec_lo, s4
	s_waitcnt lgkmcnt(0)
	s_waitcnt_vscnt null, 0x0
	s_barrier
	buffer_gl0_inv
	s_clause 0x1b
	buffer_load_dword v2, off, s[0:3], 0 offset:536
	buffer_load_dword v3, off, s[0:3], 0 offset:540
	;; [unrolled: 1-line block ×28, first 2 shown]
	ds_read_b128 v[81:84], v1 offset:1120
	ds_read_b128 v[85:88], v1 offset:1136
	;; [unrolled: 1-line block ×3, first 2 shown]
	s_mov_b32 s4, exec_lo
	s_waitcnt vmcnt(26) lgkmcnt(2)
	v_mul_f64 v[119:120], v[83:84], v[2:3]
	v_mul_f64 v[2:3], v[81:82], v[2:3]
	s_waitcnt vmcnt(24) lgkmcnt(1)
	v_mul_f64 v[121:122], v[87:88], v[93:94]
	v_mul_f64 v[93:94], v[85:86], v[93:94]
	s_waitcnt vmcnt(22)
	v_fma_f64 v[119:120], v[81:82], v[95:96], -v[119:120]
	v_fma_f64 v[2:3], v[83:84], v[95:96], v[2:3]
	ds_read_b128 v[81:84], v1 offset:1168
	s_waitcnt vmcnt(20) lgkmcnt(1)
	v_mul_f64 v[95:96], v[89:90], v[97:98]
	v_mul_f64 v[97:98], v[91:92], v[97:98]
	s_waitcnt vmcnt(18)
	v_fma_f64 v[121:122], v[85:86], v[99:100], -v[121:122]
	v_fma_f64 v[93:94], v[87:88], v[99:100], v[93:94]
	ds_read_b128 v[85:88], v1 offset:1184
	s_waitcnt vmcnt(14) lgkmcnt(1)
	v_mul_f64 v[99:100], v[81:82], v[101:102]
	v_add_f64 v[119:120], v[119:120], 0
	v_add_f64 v[2:3], v[2:3], 0
	v_mul_f64 v[101:102], v[83:84], v[101:102]
	s_waitcnt vmcnt(12)
	v_fma_f64 v[89:90], v[89:90], v[107:108], -v[97:98]
	v_fma_f64 v[91:92], v[91:92], v[107:108], v[95:96]
	s_waitcnt vmcnt(11) lgkmcnt(0)
	v_mul_f64 v[95:96], v[85:86], v[103:104]
	v_mul_f64 v[103:104], v[87:88], v[103:104]
	s_waitcnt vmcnt(9)
	v_fma_f64 v[83:84], v[83:84], v[109:110], v[99:100]
	v_add_f64 v[97:98], v[119:120], v[121:122]
	v_add_f64 v[93:94], v[2:3], v[93:94]
	v_fma_f64 v[81:82], v[81:82], v[109:110], -v[101:102]
	ds_read_b128 v[1:4], v1 offset:1200
	s_waitcnt vmcnt(6)
	v_fma_f64 v[87:88], v[87:88], v[105:106], v[95:96]
	v_fma_f64 v[85:86], v[85:86], v[105:106], -v[103:104]
	v_add_f64 v[89:90], v[97:98], v[89:90]
	v_add_f64 v[91:92], v[93:94], v[91:92]
	s_waitcnt lgkmcnt(0)
	v_mul_f64 v[97:98], v[3:4], v[111:112]
	v_mul_f64 v[93:94], v[1:2], v[111:112]
	v_add_f64 v[81:82], v[89:90], v[81:82]
	v_add_f64 v[83:84], v[91:92], v[83:84]
	s_waitcnt vmcnt(4)
	v_fma_f64 v[1:2], v[1:2], v[113:114], -v[97:98]
	v_fma_f64 v[3:4], v[3:4], v[113:114], v[93:94]
	v_add_f64 v[81:82], v[81:82], v[85:86]
	v_add_f64 v[83:84], v[83:84], v[87:88]
	;; [unrolled: 1-line block ×4, first 2 shown]
	s_waitcnt vmcnt(2)
	v_add_f64 v[1:2], v[115:116], -v[1:2]
	s_waitcnt vmcnt(0)
	v_add_f64 v[3:4], v[117:118], -v[3:4]
	buffer_store_dword v2, off, s[0:3], 0 offset:516
	buffer_store_dword v1, off, s[0:3], 0 offset:512
	buffer_store_dword v4, off, s[0:3], 0 offset:524
	buffer_store_dword v3, off, s[0:3], 0 offset:520
	v_cmpx_lt_u32_e32 30, v0
	s_cbranch_execz .LBB101_181
; %bb.180:
	v_mov_b32_e32 v4, s19
	v_mov_b32_e32 v81, 0
	s_clause 0x3
	buffer_load_dword v1, v4, s[0:3], 0 offen
	buffer_load_dword v2, v4, s[0:3], 0 offen offset:4
	buffer_load_dword v3, v4, s[0:3], 0 offen offset:8
	;; [unrolled: 1-line block ×3, first 2 shown]
	buffer_store_dword v81, off, s[0:3], 0 offset:496
	buffer_store_dword v81, off, s[0:3], 0 offset:500
	;; [unrolled: 1-line block ×4, first 2 shown]
	s_waitcnt vmcnt(0)
	ds_write_b128 v137, v[1:4]
.LBB101_181:
	s_or_b32 exec_lo, exec_lo, s4
	s_waitcnt lgkmcnt(0)
	s_waitcnt_vscnt null, 0x0
	s_barrier
	buffer_gl0_inv
	s_clause 0x1f
	buffer_load_dword v2, off, s[0:3], 0 offset:520
	buffer_load_dword v3, off, s[0:3], 0 offset:524
	;; [unrolled: 1-line block ×32, first 2 shown]
	v_mov_b32_e32 v1, 0
	ds_read_b128 v[81:84], v1 offset:1104
	ds_read_b128 v[85:88], v1 offset:1120
	;; [unrolled: 1-line block ×3, first 2 shown]
	s_mov_b32 s4, exec_lo
	s_waitcnt vmcnt(30) lgkmcnt(2)
	v_mul_f64 v[123:124], v[83:84], v[2:3]
	v_mul_f64 v[2:3], v[81:82], v[2:3]
	s_waitcnt vmcnt(28) lgkmcnt(1)
	v_mul_f64 v[125:126], v[87:88], v[93:94]
	v_mul_f64 v[93:94], v[85:86], v[93:94]
	s_waitcnt vmcnt(26)
	v_fma_f64 v[123:124], v[81:82], v[95:96], -v[123:124]
	v_fma_f64 v[2:3], v[83:84], v[95:96], v[2:3]
	ds_read_b128 v[81:84], v1 offset:1152
	s_waitcnt vmcnt(24) lgkmcnt(1)
	v_mul_f64 v[95:96], v[89:90], v[97:98]
	v_mul_f64 v[97:98], v[91:92], v[97:98]
	s_waitcnt vmcnt(22)
	v_fma_f64 v[125:126], v[85:86], v[99:100], -v[125:126]
	v_fma_f64 v[93:94], v[87:88], v[99:100], v[93:94]
	ds_read_b128 v[85:88], v1 offset:1168
	s_waitcnt vmcnt(18) lgkmcnt(1)
	v_mul_f64 v[99:100], v[81:82], v[101:102]
	v_add_f64 v[123:124], v[123:124], 0
	v_add_f64 v[2:3], v[2:3], 0
	v_mul_f64 v[101:102], v[83:84], v[101:102]
	s_waitcnt vmcnt(16)
	v_fma_f64 v[97:98], v[89:90], v[107:108], -v[97:98]
	v_fma_f64 v[95:96], v[91:92], v[107:108], v[95:96]
	ds_read_b128 v[89:92], v1 offset:1184
	s_waitcnt vmcnt(13)
	v_fma_f64 v[99:100], v[83:84], v[109:110], v[99:100]
	v_add_f64 v[123:124], v[123:124], v[125:126]
	v_add_f64 v[2:3], v[2:3], v[93:94]
	s_waitcnt lgkmcnt(1)
	v_mul_f64 v[93:94], v[85:86], v[103:104]
	v_mul_f64 v[103:104], v[87:88], v[103:104]
	v_fma_f64 v[101:102], v[81:82], v[109:110], -v[101:102]
	s_waitcnt vmcnt(9) lgkmcnt(0)
	v_mul_f64 v[107:108], v[91:92], v[111:112]
	ds_read_b128 v[81:84], v1 offset:1200
	v_add_f64 v[97:98], v[123:124], v[97:98]
	v_add_f64 v[2:3], v[2:3], v[95:96]
	v_mul_f64 v[95:96], v[89:90], v[111:112]
	s_waitcnt vmcnt(8)
	v_fma_f64 v[85:86], v[85:86], v[105:106], -v[103:104]
	v_fma_f64 v[87:88], v[87:88], v[105:106], v[93:94]
	s_waitcnt vmcnt(5)
	v_fma_f64 v[89:90], v[89:90], v[117:118], -v[107:108]
	s_waitcnt lgkmcnt(0)
	v_mul_f64 v[93:94], v[81:82], v[113:114]
	v_add_f64 v[97:98], v[97:98], v[101:102]
	v_add_f64 v[2:3], v[2:3], v[99:100]
	v_mul_f64 v[99:100], v[83:84], v[113:114]
	v_fma_f64 v[91:92], v[91:92], v[117:118], v[95:96]
	s_waitcnt vmcnt(4)
	v_fma_f64 v[83:84], v[83:84], v[115:116], v[93:94]
	v_add_f64 v[85:86], v[97:98], v[85:86]
	v_add_f64 v[2:3], v[2:3], v[87:88]
	v_fma_f64 v[81:82], v[81:82], v[115:116], -v[99:100]
	v_add_f64 v[85:86], v[85:86], v[89:90]
	v_add_f64 v[2:3], v[2:3], v[91:92]
	;; [unrolled: 1-line block ×4, first 2 shown]
	s_waitcnt vmcnt(2)
	v_add_f64 v[81:82], v[119:120], -v[81:82]
	s_waitcnt vmcnt(0)
	v_add_f64 v[2:3], v[121:122], -v[2:3]
	buffer_store_dword v82, off, s[0:3], 0 offset:500
	buffer_store_dword v81, off, s[0:3], 0 offset:496
	;; [unrolled: 1-line block ×4, first 2 shown]
	v_cmpx_lt_u32_e32 29, v0
	s_cbranch_execz .LBB101_183
; %bb.182:
	v_mov_b32_e32 v2, s20
	s_clause 0x3
	buffer_load_dword v81, v2, s[0:3], 0 offen
	buffer_load_dword v82, v2, s[0:3], 0 offen offset:4
	buffer_load_dword v83, v2, s[0:3], 0 offen offset:8
	;; [unrolled: 1-line block ×3, first 2 shown]
	buffer_store_dword v1, off, s[0:3], 0 offset:480
	buffer_store_dword v1, off, s[0:3], 0 offset:484
	;; [unrolled: 1-line block ×4, first 2 shown]
	s_waitcnt vmcnt(0)
	ds_write_b128 v137, v[81:84]
.LBB101_183:
	s_or_b32 exec_lo, exec_lo, s4
	s_waitcnt lgkmcnt(0)
	s_waitcnt_vscnt null, 0x0
	s_barrier
	buffer_gl0_inv
	s_clause 0x23
	buffer_load_dword v2, off, s[0:3], 0 offset:504
	buffer_load_dword v3, off, s[0:3], 0 offset:508
	;; [unrolled: 1-line block ×36, first 2 shown]
	ds_read_b128 v[81:84], v1 offset:1088
	ds_read_b128 v[85:88], v1 offset:1104
	;; [unrolled: 1-line block ×3, first 2 shown]
	s_mov_b32 s4, exec_lo
	s_waitcnt vmcnt(34) lgkmcnt(2)
	v_mul_f64 v[127:128], v[83:84], v[2:3]
	v_mul_f64 v[2:3], v[81:82], v[2:3]
	s_waitcnt vmcnt(32) lgkmcnt(1)
	v_mul_f64 v[129:130], v[87:88], v[93:94]
	v_mul_f64 v[93:94], v[85:86], v[93:94]
	s_waitcnt vmcnt(30)
	v_fma_f64 v[127:128], v[81:82], v[95:96], -v[127:128]
	v_fma_f64 v[2:3], v[83:84], v[95:96], v[2:3]
	ds_read_b128 v[81:84], v1 offset:1136
	s_waitcnt vmcnt(28) lgkmcnt(1)
	v_mul_f64 v[95:96], v[89:90], v[97:98]
	v_mul_f64 v[97:98], v[91:92], v[97:98]
	s_waitcnt vmcnt(26)
	v_fma_f64 v[129:130], v[85:86], v[99:100], -v[129:130]
	v_fma_f64 v[93:94], v[87:88], v[99:100], v[93:94]
	ds_read_b128 v[85:88], v1 offset:1152
	s_waitcnt vmcnt(22) lgkmcnt(1)
	v_mul_f64 v[99:100], v[81:82], v[101:102]
	v_add_f64 v[127:128], v[127:128], 0
	v_add_f64 v[2:3], v[2:3], 0
	v_mul_f64 v[101:102], v[83:84], v[101:102]
	s_waitcnt vmcnt(20)
	v_fma_f64 v[97:98], v[89:90], v[107:108], -v[97:98]
	v_fma_f64 v[95:96], v[91:92], v[107:108], v[95:96]
	ds_read_b128 v[89:92], v1 offset:1168
	s_waitcnt vmcnt(17)
	v_fma_f64 v[99:100], v[83:84], v[109:110], v[99:100]
	v_add_f64 v[127:128], v[127:128], v[129:130]
	v_add_f64 v[2:3], v[2:3], v[93:94]
	s_waitcnt lgkmcnt(1)
	v_mul_f64 v[93:94], v[85:86], v[103:104]
	v_mul_f64 v[103:104], v[87:88], v[103:104]
	v_fma_f64 v[101:102], v[81:82], v[109:110], -v[101:102]
	s_waitcnt vmcnt(13) lgkmcnt(0)
	v_mul_f64 v[107:108], v[91:92], v[111:112]
	ds_read_b128 v[81:84], v1 offset:1184
	v_add_f64 v[97:98], v[127:128], v[97:98]
	v_add_f64 v[2:3], v[2:3], v[95:96]
	v_mul_f64 v[95:96], v[89:90], v[111:112]
	s_waitcnt vmcnt(12)
	v_fma_f64 v[85:86], v[85:86], v[105:106], -v[103:104]
	v_fma_f64 v[87:88], v[87:88], v[105:106], v[93:94]
	s_waitcnt vmcnt(9)
	v_fma_f64 v[89:90], v[89:90], v[117:118], -v[107:108]
	v_add_f64 v[97:98], v[97:98], v[101:102]
	v_add_f64 v[93:94], v[2:3], v[99:100]
	s_waitcnt lgkmcnt(0)
	v_mul_f64 v[101:102], v[83:84], v[113:114]
	ds_read_b128 v[1:4], v1 offset:1200
	v_mul_f64 v[99:100], v[81:82], v[113:114]
	v_fma_f64 v[91:92], v[91:92], v[117:118], v[95:96]
	v_add_f64 v[85:86], v[97:98], v[85:86]
	v_add_f64 v[87:88], v[93:94], v[87:88]
	s_waitcnt vmcnt(7) lgkmcnt(0)
	v_mul_f64 v[95:96], v[3:4], v[119:120]
	s_waitcnt vmcnt(6)
	v_fma_f64 v[81:82], v[81:82], v[115:116], -v[101:102]
	v_mul_f64 v[93:94], v[1:2], v[119:120]
	v_fma_f64 v[83:84], v[83:84], v[115:116], v[99:100]
	v_add_f64 v[85:86], v[85:86], v[89:90]
	v_add_f64 v[87:88], v[87:88], v[91:92]
	s_waitcnt vmcnt(4)
	v_fma_f64 v[1:2], v[1:2], v[121:122], -v[95:96]
	v_fma_f64 v[3:4], v[3:4], v[121:122], v[93:94]
	v_add_f64 v[81:82], v[85:86], v[81:82]
	v_add_f64 v[83:84], v[87:88], v[83:84]
	;; [unrolled: 1-line block ×4, first 2 shown]
	s_waitcnt vmcnt(2)
	v_add_f64 v[1:2], v[123:124], -v[1:2]
	s_waitcnt vmcnt(0)
	v_add_f64 v[3:4], v[125:126], -v[3:4]
	buffer_store_dword v2, off, s[0:3], 0 offset:484
	buffer_store_dword v1, off, s[0:3], 0 offset:480
	;; [unrolled: 1-line block ×4, first 2 shown]
	v_cmpx_lt_u32_e32 28, v0
	s_cbranch_execz .LBB101_185
; %bb.184:
	v_mov_b32_e32 v4, s21
	v_mov_b32_e32 v81, 0
	s_clause 0x3
	buffer_load_dword v1, v4, s[0:3], 0 offen
	buffer_load_dword v2, v4, s[0:3], 0 offen offset:4
	buffer_load_dword v3, v4, s[0:3], 0 offen offset:8
	;; [unrolled: 1-line block ×3, first 2 shown]
	buffer_store_dword v81, off, s[0:3], 0 offset:464
	buffer_store_dword v81, off, s[0:3], 0 offset:468
	;; [unrolled: 1-line block ×4, first 2 shown]
	s_waitcnt vmcnt(0)
	ds_write_b128 v137, v[1:4]
.LBB101_185:
	s_or_b32 exec_lo, exec_lo, s4
	s_waitcnt lgkmcnt(0)
	s_waitcnt_vscnt null, 0x0
	s_barrier
	buffer_gl0_inv
	s_clause 0x27
	buffer_load_dword v2, off, s[0:3], 0 offset:488
	buffer_load_dword v3, off, s[0:3], 0 offset:492
	;; [unrolled: 1-line block ×40, first 2 shown]
	v_mov_b32_e32 v1, 0
	ds_read_b128 v[81:84], v1 offset:1072
	ds_read_b128 v[85:88], v1 offset:1088
	;; [unrolled: 1-line block ×3, first 2 shown]
	s_mov_b32 s4, exec_lo
	s_waitcnt vmcnt(38) lgkmcnt(2)
	v_mul_f64 v[131:132], v[83:84], v[2:3]
	v_mul_f64 v[2:3], v[81:82], v[2:3]
	s_waitcnt vmcnt(36) lgkmcnt(1)
	v_mul_f64 v[133:134], v[87:88], v[93:94]
	v_mul_f64 v[93:94], v[85:86], v[93:94]
	s_waitcnt vmcnt(34)
	v_fma_f64 v[131:132], v[81:82], v[95:96], -v[131:132]
	v_fma_f64 v[2:3], v[83:84], v[95:96], v[2:3]
	ds_read_b128 v[81:84], v1 offset:1120
	s_waitcnt vmcnt(32) lgkmcnt(1)
	v_mul_f64 v[95:96], v[89:90], v[97:98]
	v_mul_f64 v[97:98], v[91:92], v[97:98]
	s_waitcnt vmcnt(30)
	v_fma_f64 v[133:134], v[85:86], v[99:100], -v[133:134]
	v_fma_f64 v[93:94], v[87:88], v[99:100], v[93:94]
	ds_read_b128 v[85:88], v1 offset:1136
	s_waitcnt vmcnt(26) lgkmcnt(1)
	v_mul_f64 v[99:100], v[81:82], v[101:102]
	v_add_f64 v[131:132], v[131:132], 0
	v_add_f64 v[2:3], v[2:3], 0
	v_mul_f64 v[101:102], v[83:84], v[101:102]
	s_waitcnt vmcnt(24)
	v_fma_f64 v[97:98], v[89:90], v[107:108], -v[97:98]
	v_fma_f64 v[95:96], v[91:92], v[107:108], v[95:96]
	ds_read_b128 v[89:92], v1 offset:1152
	s_waitcnt vmcnt(21)
	v_fma_f64 v[99:100], v[83:84], v[109:110], v[99:100]
	v_add_f64 v[131:132], v[131:132], v[133:134]
	v_add_f64 v[2:3], v[2:3], v[93:94]
	s_waitcnt lgkmcnt(1)
	v_mul_f64 v[93:94], v[85:86], v[103:104]
	v_mul_f64 v[103:104], v[87:88], v[103:104]
	v_fma_f64 v[101:102], v[81:82], v[109:110], -v[101:102]
	s_waitcnt vmcnt(17) lgkmcnt(0)
	v_mul_f64 v[107:108], v[91:92], v[111:112]
	ds_read_b128 v[81:84], v1 offset:1168
	v_add_f64 v[97:98], v[131:132], v[97:98]
	v_add_f64 v[2:3], v[2:3], v[95:96]
	v_mul_f64 v[95:96], v[89:90], v[111:112]
	s_waitcnt vmcnt(16)
	v_fma_f64 v[103:104], v[85:86], v[105:106], -v[103:104]
	v_fma_f64 v[93:94], v[87:88], v[105:106], v[93:94]
	ds_read_b128 v[85:88], v1 offset:1184
	s_waitcnt vmcnt(13)
	v_fma_f64 v[105:106], v[89:90], v[117:118], -v[107:108]
	v_add_f64 v[97:98], v[97:98], v[101:102]
	v_add_f64 v[2:3], v[2:3], v[99:100]
	s_waitcnt lgkmcnt(1)
	v_mul_f64 v[101:102], v[83:84], v[113:114]
	v_mul_f64 v[99:100], v[81:82], v[113:114]
	v_fma_f64 v[95:96], v[91:92], v[117:118], v[95:96]
	ds_read_b128 v[89:92], v1 offset:1200
	v_add_f64 v[97:98], v[97:98], v[103:104]
	v_add_f64 v[2:3], v[2:3], v[93:94]
	s_waitcnt vmcnt(9) lgkmcnt(1)
	v_mul_f64 v[103:104], v[87:88], v[119:120]
	s_waitcnt vmcnt(8)
	v_fma_f64 v[81:82], v[81:82], v[115:116], -v[101:102]
	v_mul_f64 v[93:94], v[85:86], v[119:120]
	v_fma_f64 v[83:84], v[83:84], v[115:116], v[99:100]
	s_waitcnt vmcnt(7) lgkmcnt(0)
	v_mul_f64 v[99:100], v[91:92], v[121:122]
	v_add_f64 v[97:98], v[97:98], v[105:106]
	v_add_f64 v[2:3], v[2:3], v[95:96]
	s_waitcnt vmcnt(5)
	v_fma_f64 v[85:86], v[85:86], v[125:126], -v[103:104]
	v_mul_f64 v[95:96], v[89:90], v[121:122]
	v_fma_f64 v[87:88], v[87:88], v[125:126], v[93:94]
	v_add_f64 v[81:82], v[97:98], v[81:82]
	v_add_f64 v[2:3], v[2:3], v[83:84]
	s_waitcnt vmcnt(4)
	v_fma_f64 v[83:84], v[89:90], v[123:124], -v[99:100]
	v_add_f64 v[81:82], v[81:82], v[85:86]
	v_fma_f64 v[85:86], v[91:92], v[123:124], v[95:96]
	v_add_f64 v[2:3], v[2:3], v[87:88]
	v_add_f64 v[81:82], v[81:82], v[83:84]
	;; [unrolled: 1-line block ×3, first 2 shown]
	s_waitcnt vmcnt(2)
	v_add_f64 v[81:82], v[127:128], -v[81:82]
	s_waitcnt vmcnt(0)
	v_add_f64 v[2:3], v[129:130], -v[2:3]
	buffer_store_dword v82, off, s[0:3], 0 offset:468
	buffer_store_dword v81, off, s[0:3], 0 offset:464
	;; [unrolled: 1-line block ×4, first 2 shown]
	v_cmpx_lt_u32_e32 27, v0
	s_cbranch_execz .LBB101_187
; %bb.186:
	v_mov_b32_e32 v2, s22
	s_clause 0x3
	buffer_load_dword v81, v2, s[0:3], 0 offen
	buffer_load_dword v82, v2, s[0:3], 0 offen offset:4
	buffer_load_dword v83, v2, s[0:3], 0 offen offset:8
	;; [unrolled: 1-line block ×3, first 2 shown]
	buffer_store_dword v1, off, s[0:3], 0 offset:448
	buffer_store_dword v1, off, s[0:3], 0 offset:452
	;; [unrolled: 1-line block ×4, first 2 shown]
	s_waitcnt vmcnt(0)
	ds_write_b128 v137, v[81:84]
.LBB101_187:
	s_or_b32 exec_lo, exec_lo, s4
	s_waitcnt lgkmcnt(0)
	s_waitcnt_vscnt null, 0x0
	s_barrier
	buffer_gl0_inv
	s_clause 0x2b
	buffer_load_dword v2, off, s[0:3], 0 offset:472
	buffer_load_dword v3, off, s[0:3], 0 offset:476
	;; [unrolled: 1-line block ×44, first 2 shown]
	ds_read_b128 v[81:84], v1 offset:1056
	ds_read_b128 v[85:88], v1 offset:1072
	;; [unrolled: 1-line block ×3, first 2 shown]
	s_mov_b32 s4, exec_lo
	s_waitcnt vmcnt(42) lgkmcnt(2)
	v_mul_f64 v[135:136], v[83:84], v[2:3]
	v_mul_f64 v[2:3], v[81:82], v[2:3]
	s_waitcnt vmcnt(40) lgkmcnt(1)
	v_mul_f64 v[138:139], v[87:88], v[93:94]
	v_mul_f64 v[93:94], v[85:86], v[93:94]
	s_waitcnt vmcnt(38)
	v_fma_f64 v[135:136], v[81:82], v[95:96], -v[135:136]
	v_fma_f64 v[2:3], v[83:84], v[95:96], v[2:3]
	ds_read_b128 v[81:84], v1 offset:1104
	s_waitcnt vmcnt(36) lgkmcnt(1)
	v_mul_f64 v[95:96], v[89:90], v[97:98]
	v_mul_f64 v[97:98], v[91:92], v[97:98]
	s_waitcnt vmcnt(34)
	v_fma_f64 v[138:139], v[85:86], v[99:100], -v[138:139]
	v_fma_f64 v[93:94], v[87:88], v[99:100], v[93:94]
	ds_read_b128 v[85:88], v1 offset:1120
	s_waitcnt vmcnt(30) lgkmcnt(1)
	v_mul_f64 v[99:100], v[81:82], v[101:102]
	v_add_f64 v[135:136], v[135:136], 0
	v_add_f64 v[2:3], v[2:3], 0
	v_mul_f64 v[101:102], v[83:84], v[101:102]
	s_waitcnt vmcnt(28)
	v_fma_f64 v[97:98], v[89:90], v[107:108], -v[97:98]
	v_fma_f64 v[95:96], v[91:92], v[107:108], v[95:96]
	ds_read_b128 v[89:92], v1 offset:1136
	s_waitcnt vmcnt(25)
	v_fma_f64 v[99:100], v[83:84], v[109:110], v[99:100]
	v_add_f64 v[135:136], v[135:136], v[138:139]
	v_add_f64 v[2:3], v[2:3], v[93:94]
	s_waitcnt lgkmcnt(1)
	v_mul_f64 v[93:94], v[85:86], v[103:104]
	v_mul_f64 v[103:104], v[87:88], v[103:104]
	v_fma_f64 v[101:102], v[81:82], v[109:110], -v[101:102]
	s_waitcnt vmcnt(21) lgkmcnt(0)
	v_mul_f64 v[107:108], v[91:92], v[111:112]
	ds_read_b128 v[81:84], v1 offset:1152
	v_add_f64 v[97:98], v[135:136], v[97:98]
	v_add_f64 v[2:3], v[2:3], v[95:96]
	v_mul_f64 v[95:96], v[89:90], v[111:112]
	s_waitcnt vmcnt(20)
	v_fma_f64 v[103:104], v[85:86], v[105:106], -v[103:104]
	v_fma_f64 v[93:94], v[87:88], v[105:106], v[93:94]
	ds_read_b128 v[85:88], v1 offset:1168
	s_waitcnt vmcnt(17)
	v_fma_f64 v[105:106], v[89:90], v[117:118], -v[107:108]
	v_add_f64 v[97:98], v[97:98], v[101:102]
	v_add_f64 v[2:3], v[2:3], v[99:100]
	s_waitcnt lgkmcnt(1)
	v_mul_f64 v[101:102], v[83:84], v[113:114]
	v_mul_f64 v[99:100], v[81:82], v[113:114]
	v_fma_f64 v[95:96], v[91:92], v[117:118], v[95:96]
	ds_read_b128 v[89:92], v1 offset:1184
	v_add_f64 v[97:98], v[97:98], v[103:104]
	v_add_f64 v[2:3], v[2:3], v[93:94]
	s_waitcnt vmcnt(13) lgkmcnt(1)
	v_mul_f64 v[103:104], v[87:88], v[119:120]
	s_waitcnt vmcnt(12)
	v_fma_f64 v[81:82], v[81:82], v[115:116], -v[101:102]
	v_mul_f64 v[93:94], v[85:86], v[119:120]
	v_fma_f64 v[83:84], v[83:84], v[115:116], v[99:100]
	s_waitcnt vmcnt(11) lgkmcnt(0)
	v_mul_f64 v[101:102], v[91:92], v[121:122]
	v_mul_f64 v[99:100], v[89:90], v[121:122]
	v_add_f64 v[97:98], v[97:98], v[105:106]
	v_add_f64 v[95:96], v[2:3], v[95:96]
	s_waitcnt vmcnt(9)
	v_fma_f64 v[85:86], v[85:86], v[125:126], -v[103:104]
	ds_read_b128 v[1:4], v1 offset:1200
	v_fma_f64 v[87:88], v[87:88], v[125:126], v[93:94]
	s_waitcnt vmcnt(6)
	v_fma_f64 v[89:90], v[89:90], v[123:124], -v[101:102]
	v_add_f64 v[81:82], v[97:98], v[81:82]
	v_add_f64 v[83:84], v[95:96], v[83:84]
	s_waitcnt lgkmcnt(0)
	v_mul_f64 v[95:96], v[3:4], v[127:128]
	v_mul_f64 v[93:94], v[1:2], v[127:128]
	v_add_f64 v[81:82], v[81:82], v[85:86]
	v_fma_f64 v[85:86], v[91:92], v[123:124], v[99:100]
	v_add_f64 v[83:84], v[83:84], v[87:88]
	s_waitcnt vmcnt(4)
	v_fma_f64 v[1:2], v[1:2], v[129:130], -v[95:96]
	v_fma_f64 v[3:4], v[3:4], v[129:130], v[93:94]
	v_add_f64 v[81:82], v[81:82], v[89:90]
	v_add_f64 v[83:84], v[83:84], v[85:86]
	;; [unrolled: 1-line block ×4, first 2 shown]
	s_waitcnt vmcnt(2)
	v_add_f64 v[1:2], v[131:132], -v[1:2]
	s_waitcnt vmcnt(0)
	v_add_f64 v[3:4], v[133:134], -v[3:4]
	buffer_store_dword v2, off, s[0:3], 0 offset:452
	buffer_store_dword v1, off, s[0:3], 0 offset:448
	;; [unrolled: 1-line block ×4, first 2 shown]
	v_cmpx_lt_u32_e32 26, v0
	s_cbranch_execz .LBB101_189
; %bb.188:
	v_mov_b32_e32 v4, s23
	v_mov_b32_e32 v81, 0
	s_clause 0x3
	buffer_load_dword v1, v4, s[0:3], 0 offen
	buffer_load_dword v2, v4, s[0:3], 0 offen offset:4
	buffer_load_dword v3, v4, s[0:3], 0 offen offset:8
	;; [unrolled: 1-line block ×3, first 2 shown]
	buffer_store_dword v81, off, s[0:3], 0 offset:432
	buffer_store_dword v81, off, s[0:3], 0 offset:436
	;; [unrolled: 1-line block ×4, first 2 shown]
	s_waitcnt vmcnt(0)
	ds_write_b128 v137, v[1:4]
.LBB101_189:
	s_or_b32 exec_lo, exec_lo, s4
	s_waitcnt lgkmcnt(0)
	s_waitcnt_vscnt null, 0x0
	s_barrier
	buffer_gl0_inv
	s_clause 0x2f
	buffer_load_dword v2, off, s[0:3], 0 offset:456
	buffer_load_dword v3, off, s[0:3], 0 offset:460
	;; [unrolled: 1-line block ×48, first 2 shown]
	v_mov_b32_e32 v1, 0
	ds_read_b128 v[81:84], v1 offset:1040
	ds_read_b128 v[85:88], v1 offset:1056
	;; [unrolled: 1-line block ×3, first 2 shown]
	s_mov_b32 s4, exec_lo
	s_waitcnt vmcnt(46) lgkmcnt(2)
	v_mul_f64 v[140:141], v[83:84], v[2:3]
	v_mul_f64 v[2:3], v[81:82], v[2:3]
	s_waitcnt vmcnt(44) lgkmcnt(1)
	v_mul_f64 v[142:143], v[87:88], v[93:94]
	v_mul_f64 v[93:94], v[85:86], v[93:94]
	s_waitcnt vmcnt(42)
	v_fma_f64 v[140:141], v[81:82], v[95:96], -v[140:141]
	v_fma_f64 v[2:3], v[83:84], v[95:96], v[2:3]
	ds_read_b128 v[81:84], v1 offset:1088
	s_waitcnt vmcnt(40) lgkmcnt(1)
	v_mul_f64 v[95:96], v[89:90], v[97:98]
	v_mul_f64 v[97:98], v[91:92], v[97:98]
	s_waitcnt vmcnt(38)
	v_fma_f64 v[142:143], v[85:86], v[99:100], -v[142:143]
	v_fma_f64 v[93:94], v[87:88], v[99:100], v[93:94]
	ds_read_b128 v[85:88], v1 offset:1104
	s_waitcnt vmcnt(34) lgkmcnt(1)
	v_mul_f64 v[99:100], v[81:82], v[101:102]
	v_add_f64 v[140:141], v[140:141], 0
	v_add_f64 v[2:3], v[2:3], 0
	v_mul_f64 v[101:102], v[83:84], v[101:102]
	s_waitcnt vmcnt(32)
	v_fma_f64 v[97:98], v[89:90], v[107:108], -v[97:98]
	v_fma_f64 v[95:96], v[91:92], v[107:108], v[95:96]
	ds_read_b128 v[89:92], v1 offset:1120
	s_waitcnt vmcnt(29)
	v_fma_f64 v[99:100], v[83:84], v[109:110], v[99:100]
	v_add_f64 v[140:141], v[140:141], v[142:143]
	v_add_f64 v[2:3], v[2:3], v[93:94]
	s_waitcnt lgkmcnt(1)
	v_mul_f64 v[93:94], v[85:86], v[103:104]
	v_mul_f64 v[103:104], v[87:88], v[103:104]
	v_fma_f64 v[101:102], v[81:82], v[109:110], -v[101:102]
	s_waitcnt vmcnt(25) lgkmcnt(0)
	v_mul_f64 v[107:108], v[91:92], v[111:112]
	ds_read_b128 v[81:84], v1 offset:1136
	v_add_f64 v[97:98], v[140:141], v[97:98]
	v_add_f64 v[2:3], v[2:3], v[95:96]
	v_mul_f64 v[95:96], v[89:90], v[111:112]
	s_waitcnt vmcnt(24)
	v_fma_f64 v[103:104], v[85:86], v[105:106], -v[103:104]
	v_fma_f64 v[93:94], v[87:88], v[105:106], v[93:94]
	ds_read_b128 v[85:88], v1 offset:1152
	s_waitcnt vmcnt(21)
	v_fma_f64 v[105:106], v[89:90], v[117:118], -v[107:108]
	v_add_f64 v[97:98], v[97:98], v[101:102]
	v_add_f64 v[2:3], v[2:3], v[99:100]
	s_waitcnt lgkmcnt(1)
	v_mul_f64 v[101:102], v[83:84], v[113:114]
	v_mul_f64 v[99:100], v[81:82], v[113:114]
	v_fma_f64 v[95:96], v[91:92], v[117:118], v[95:96]
	ds_read_b128 v[89:92], v1 offset:1168
	v_add_f64 v[97:98], v[97:98], v[103:104]
	v_add_f64 v[2:3], v[2:3], v[93:94]
	s_waitcnt vmcnt(17) lgkmcnt(1)
	v_mul_f64 v[103:104], v[87:88], v[119:120]
	s_waitcnt vmcnt(16)
	v_fma_f64 v[101:102], v[81:82], v[115:116], -v[101:102]
	v_mul_f64 v[93:94], v[85:86], v[119:120]
	v_fma_f64 v[99:100], v[83:84], v[115:116], v[99:100]
	ds_read_b128 v[81:84], v1 offset:1184
	v_add_f64 v[97:98], v[97:98], v[105:106]
	v_add_f64 v[2:3], v[2:3], v[95:96]
	s_waitcnt vmcnt(15) lgkmcnt(1)
	v_mul_f64 v[105:106], v[91:92], v[121:122]
	s_waitcnt vmcnt(13)
	v_fma_f64 v[103:104], v[85:86], v[125:126], -v[103:104]
	;; [unrolled: 9-line block ×3, first 2 shown]
	v_mul_f64 v[99:100], v[81:82], v[127:128]
	v_fma_f64 v[91:92], v[91:92], v[123:124], v[95:96]
	s_waitcnt vmcnt(7) lgkmcnt(0)
	v_mul_f64 v[95:96], v[87:88], v[129:130]
	v_add_f64 v[97:98], v[97:98], v[103:104]
	v_add_f64 v[2:3], v[2:3], v[93:94]
	s_waitcnt vmcnt(5)
	v_fma_f64 v[81:82], v[81:82], v[133:134], -v[101:102]
	v_mul_f64 v[93:94], v[85:86], v[129:130]
	v_fma_f64 v[83:84], v[83:84], v[133:134], v[99:100]
	s_waitcnt vmcnt(4)
	v_fma_f64 v[85:86], v[85:86], v[131:132], -v[95:96]
	v_add_f64 v[89:90], v[97:98], v[89:90]
	v_add_f64 v[2:3], v[2:3], v[91:92]
	v_fma_f64 v[87:88], v[87:88], v[131:132], v[93:94]
	v_add_f64 v[81:82], v[89:90], v[81:82]
	v_add_f64 v[2:3], v[2:3], v[83:84]
	;; [unrolled: 1-line block ×4, first 2 shown]
	s_waitcnt vmcnt(2)
	v_add_f64 v[81:82], v[135:136], -v[81:82]
	s_waitcnt vmcnt(0)
	v_add_f64 v[2:3], v[138:139], -v[2:3]
	buffer_store_dword v82, off, s[0:3], 0 offset:436
	buffer_store_dword v81, off, s[0:3], 0 offset:432
	;; [unrolled: 1-line block ×4, first 2 shown]
	v_cmpx_lt_u32_e32 25, v0
	s_cbranch_execz .LBB101_191
; %bb.190:
	v_mov_b32_e32 v2, s24
	s_clause 0x3
	buffer_load_dword v81, v2, s[0:3], 0 offen
	buffer_load_dword v82, v2, s[0:3], 0 offen offset:4
	buffer_load_dword v83, v2, s[0:3], 0 offen offset:8
	;; [unrolled: 1-line block ×3, first 2 shown]
	buffer_store_dword v1, off, s[0:3], 0 offset:416
	buffer_store_dword v1, off, s[0:3], 0 offset:420
	;; [unrolled: 1-line block ×4, first 2 shown]
	s_waitcnt vmcnt(0)
	ds_write_b128 v137, v[81:84]
.LBB101_191:
	s_or_b32 exec_lo, exec_lo, s4
	s_waitcnt lgkmcnt(0)
	s_waitcnt_vscnt null, 0x0
	s_barrier
	buffer_gl0_inv
	s_clause 0x2f
	buffer_load_dword v2, off, s[0:3], 0 offset:440
	buffer_load_dword v3, off, s[0:3], 0 offset:444
	;; [unrolled: 1-line block ×48, first 2 shown]
	ds_read_b128 v[81:84], v1 offset:1024
	s_clause 0x3
	buffer_load_dword v140, off, s[0:3], 0 offset:416
	buffer_load_dword v141, off, s[0:3], 0 offset:420
	;; [unrolled: 1-line block ×4, first 2 shown]
	ds_read_b128 v[85:88], v1 offset:1040
	ds_read_b128 v[89:92], v1 offset:1056
	s_mov_b32 s4, exec_lo
	s_waitcnt vmcnt(50) lgkmcnt(2)
	v_mul_f64 v[144:145], v[83:84], v[2:3]
	v_mul_f64 v[2:3], v[81:82], v[2:3]
	s_waitcnt vmcnt(48) lgkmcnt(1)
	v_mul_f64 v[146:147], v[87:88], v[93:94]
	v_mul_f64 v[93:94], v[85:86], v[93:94]
	s_waitcnt vmcnt(46)
	v_fma_f64 v[144:145], v[81:82], v[95:96], -v[144:145]
	v_fma_f64 v[2:3], v[83:84], v[95:96], v[2:3]
	s_waitcnt vmcnt(44) lgkmcnt(0)
	v_mul_f64 v[95:96], v[89:90], v[97:98]
	v_mul_f64 v[97:98], v[91:92], v[97:98]
	s_waitcnt vmcnt(42)
	v_fma_f64 v[146:147], v[85:86], v[99:100], -v[146:147]
	ds_read_b128 v[81:84], v1 offset:1072
	v_fma_f64 v[93:94], v[87:88], v[99:100], v[93:94]
	ds_read_b128 v[85:88], v1 offset:1088
	v_add_f64 v[144:145], v[144:145], 0
	v_add_f64 v[2:3], v[2:3], 0
	s_waitcnt vmcnt(36)
	v_fma_f64 v[95:96], v[91:92], v[107:108], v[95:96]
	s_waitcnt lgkmcnt(1)
	v_mul_f64 v[99:100], v[81:82], v[101:102]
	v_mul_f64 v[101:102], v[83:84], v[101:102]
	v_fma_f64 v[97:98], v[89:90], v[107:108], -v[97:98]
	ds_read_b128 v[89:92], v1 offset:1104
	v_add_f64 v[144:145], v[144:145], v[146:147]
	v_add_f64 v[2:3], v[2:3], v[93:94]
	s_waitcnt vmcnt(35) lgkmcnt(1)
	v_mul_f64 v[93:94], v[85:86], v[103:104]
	v_mul_f64 v[103:104], v[87:88], v[103:104]
	s_waitcnt vmcnt(33)
	v_fma_f64 v[101:102], v[81:82], v[109:110], -v[101:102]
	v_fma_f64 v[99:100], v[83:84], v[109:110], v[99:100]
	ds_read_b128 v[81:84], v1 offset:1120
	s_waitcnt vmcnt(29) lgkmcnt(1)
	v_mul_f64 v[107:108], v[91:92], v[111:112]
	v_add_f64 v[97:98], v[144:145], v[97:98]
	v_add_f64 v[2:3], v[2:3], v[95:96]
	v_mul_f64 v[95:96], v[89:90], v[111:112]
	s_waitcnt vmcnt(28)
	v_fma_f64 v[103:104], v[85:86], v[105:106], -v[103:104]
	v_fma_f64 v[93:94], v[87:88], v[105:106], v[93:94]
	ds_read_b128 v[85:88], v1 offset:1136
	s_waitcnt vmcnt(25)
	v_fma_f64 v[105:106], v[89:90], v[117:118], -v[107:108]
	v_add_f64 v[97:98], v[97:98], v[101:102]
	v_add_f64 v[2:3], v[2:3], v[99:100]
	s_waitcnt lgkmcnt(1)
	v_mul_f64 v[101:102], v[83:84], v[113:114]
	v_mul_f64 v[99:100], v[81:82], v[113:114]
	v_fma_f64 v[95:96], v[91:92], v[117:118], v[95:96]
	ds_read_b128 v[89:92], v1 offset:1152
	v_add_f64 v[97:98], v[97:98], v[103:104]
	v_add_f64 v[2:3], v[2:3], v[93:94]
	s_waitcnt vmcnt(21) lgkmcnt(1)
	v_mul_f64 v[103:104], v[87:88], v[119:120]
	s_waitcnt vmcnt(20)
	v_fma_f64 v[101:102], v[81:82], v[115:116], -v[101:102]
	v_mul_f64 v[93:94], v[85:86], v[119:120]
	v_fma_f64 v[99:100], v[83:84], v[115:116], v[99:100]
	ds_read_b128 v[81:84], v1 offset:1168
	v_add_f64 v[97:98], v[97:98], v[105:106]
	v_add_f64 v[2:3], v[2:3], v[95:96]
	s_waitcnt vmcnt(19) lgkmcnt(1)
	v_mul_f64 v[105:106], v[91:92], v[121:122]
	s_waitcnt vmcnt(17)
	v_fma_f64 v[103:104], v[85:86], v[125:126], -v[103:104]
	;; [unrolled: 9-line block ×3, first 2 shown]
	v_mul_f64 v[99:100], v[81:82], v[127:128]
	v_fma_f64 v[91:92], v[91:92], v[123:124], v[95:96]
	s_waitcnt vmcnt(11) lgkmcnt(0)
	v_mul_f64 v[95:96], v[85:86], v[129:130]
	v_add_f64 v[97:98], v[97:98], v[103:104]
	v_add_f64 v[93:94], v[2:3], v[93:94]
	v_mul_f64 v[103:104], v[87:88], v[129:130]
	s_waitcnt vmcnt(9)
	v_fma_f64 v[81:82], v[81:82], v[133:134], -v[101:102]
	ds_read_b128 v[1:4], v1 offset:1200
	v_fma_f64 v[83:84], v[83:84], v[133:134], v[99:100]
	s_waitcnt vmcnt(6)
	v_fma_f64 v[87:88], v[87:88], v[131:132], v[95:96]
	v_add_f64 v[89:90], v[97:98], v[89:90]
	v_add_f64 v[91:92], v[93:94], v[91:92]
	s_waitcnt lgkmcnt(0)
	v_mul_f64 v[97:98], v[3:4], v[135:136]
	v_fma_f64 v[85:86], v[85:86], v[131:132], -v[103:104]
	v_mul_f64 v[93:94], v[1:2], v[135:136]
	v_add_f64 v[81:82], v[89:90], v[81:82]
	v_add_f64 v[83:84], v[91:92], v[83:84]
	s_waitcnt vmcnt(4)
	v_fma_f64 v[1:2], v[1:2], v[138:139], -v[97:98]
	v_fma_f64 v[3:4], v[3:4], v[138:139], v[93:94]
	v_add_f64 v[81:82], v[81:82], v[85:86]
	v_add_f64 v[83:84], v[83:84], v[87:88]
	;; [unrolled: 1-line block ×4, first 2 shown]
	s_waitcnt vmcnt(2)
	v_add_f64 v[1:2], v[140:141], -v[1:2]
	s_waitcnt vmcnt(0)
	v_add_f64 v[3:4], v[142:143], -v[3:4]
	buffer_store_dword v2, off, s[0:3], 0 offset:420
	buffer_store_dword v1, off, s[0:3], 0 offset:416
	;; [unrolled: 1-line block ×4, first 2 shown]
	v_cmpx_lt_u32_e32 24, v0
	s_cbranch_execz .LBB101_193
; %bb.192:
	v_mov_b32_e32 v4, s25
	v_mov_b32_e32 v81, 0
	s_clause 0x3
	buffer_load_dword v1, v4, s[0:3], 0 offen
	buffer_load_dword v2, v4, s[0:3], 0 offen offset:4
	buffer_load_dword v3, v4, s[0:3], 0 offen offset:8
	;; [unrolled: 1-line block ×3, first 2 shown]
	buffer_store_dword v81, off, s[0:3], 0 offset:400
	buffer_store_dword v81, off, s[0:3], 0 offset:404
	;; [unrolled: 1-line block ×4, first 2 shown]
	s_waitcnt vmcnt(0)
	ds_write_b128 v137, v[1:4]
.LBB101_193:
	s_or_b32 exec_lo, exec_lo, s4
	s_waitcnt lgkmcnt(0)
	s_waitcnt_vscnt null, 0x0
	s_barrier
	buffer_gl0_inv
	s_clause 0x33
	buffer_load_dword v2, off, s[0:3], 0 offset:424
	buffer_load_dword v3, off, s[0:3], 0 offset:428
	;; [unrolled: 1-line block ×52, first 2 shown]
	v_mov_b32_e32 v1, 0
	ds_read_b128 v[81:84], v1 offset:1008
	ds_read_b128 v[85:88], v1 offset:1024
	s_clause 0x3
	buffer_load_dword v146, off, s[0:3], 0 offset:400
	buffer_load_dword v147, off, s[0:3], 0 offset:404
	;; [unrolled: 1-line block ×4, first 2 shown]
	ds_read_b128 v[89:92], v1 offset:1040
	s_mov_b32 s4, exec_lo
	s_waitcnt vmcnt(54) lgkmcnt(2)
	v_mul_f64 v[144:145], v[83:84], v[2:3]
	v_mul_f64 v[2:3], v[81:82], v[2:3]
	s_waitcnt vmcnt(52) lgkmcnt(1)
	v_mul_f64 v[150:151], v[87:88], v[93:94]
	v_mul_f64 v[93:94], v[85:86], v[93:94]
	s_waitcnt vmcnt(50)
	v_fma_f64 v[144:145], v[81:82], v[95:96], -v[144:145]
	v_fma_f64 v[2:3], v[83:84], v[95:96], v[2:3]
	ds_read_b128 v[81:84], v1 offset:1056
	s_waitcnt vmcnt(48) lgkmcnt(1)
	v_mul_f64 v[95:96], v[89:90], v[97:98]
	v_mul_f64 v[97:98], v[91:92], v[97:98]
	s_waitcnt vmcnt(46)
	v_fma_f64 v[150:151], v[85:86], v[99:100], -v[150:151]
	v_fma_f64 v[93:94], v[87:88], v[99:100], v[93:94]
	ds_read_b128 v[85:88], v1 offset:1072
	s_waitcnt vmcnt(42) lgkmcnt(1)
	v_mul_f64 v[99:100], v[81:82], v[101:102]
	v_add_f64 v[144:145], v[144:145], 0
	v_add_f64 v[2:3], v[2:3], 0
	v_mul_f64 v[101:102], v[83:84], v[101:102]
	s_waitcnt vmcnt(40)
	v_fma_f64 v[97:98], v[89:90], v[107:108], -v[97:98]
	v_fma_f64 v[95:96], v[91:92], v[107:108], v[95:96]
	ds_read_b128 v[89:92], v1 offset:1088
	s_waitcnt vmcnt(37)
	v_fma_f64 v[99:100], v[83:84], v[109:110], v[99:100]
	v_add_f64 v[144:145], v[144:145], v[150:151]
	v_add_f64 v[2:3], v[2:3], v[93:94]
	s_waitcnt lgkmcnt(1)
	v_mul_f64 v[93:94], v[85:86], v[103:104]
	v_mul_f64 v[103:104], v[87:88], v[103:104]
	v_fma_f64 v[101:102], v[81:82], v[109:110], -v[101:102]
	s_waitcnt vmcnt(33) lgkmcnt(0)
	v_mul_f64 v[107:108], v[91:92], v[111:112]
	ds_read_b128 v[81:84], v1 offset:1104
	v_add_f64 v[97:98], v[144:145], v[97:98]
	v_add_f64 v[2:3], v[2:3], v[95:96]
	v_mul_f64 v[95:96], v[89:90], v[111:112]
	s_waitcnt vmcnt(32)
	v_fma_f64 v[103:104], v[85:86], v[105:106], -v[103:104]
	v_fma_f64 v[93:94], v[87:88], v[105:106], v[93:94]
	ds_read_b128 v[85:88], v1 offset:1120
	s_waitcnt vmcnt(29)
	v_fma_f64 v[105:106], v[89:90], v[117:118], -v[107:108]
	v_add_f64 v[97:98], v[97:98], v[101:102]
	v_add_f64 v[2:3], v[2:3], v[99:100]
	s_waitcnt lgkmcnt(1)
	v_mul_f64 v[101:102], v[83:84], v[113:114]
	v_mul_f64 v[99:100], v[81:82], v[113:114]
	v_fma_f64 v[95:96], v[91:92], v[117:118], v[95:96]
	ds_read_b128 v[89:92], v1 offset:1136
	v_add_f64 v[97:98], v[97:98], v[103:104]
	v_add_f64 v[2:3], v[2:3], v[93:94]
	s_waitcnt vmcnt(25) lgkmcnt(1)
	v_mul_f64 v[103:104], v[87:88], v[119:120]
	s_waitcnt vmcnt(24)
	v_fma_f64 v[101:102], v[81:82], v[115:116], -v[101:102]
	v_mul_f64 v[93:94], v[85:86], v[119:120]
	v_fma_f64 v[99:100], v[83:84], v[115:116], v[99:100]
	ds_read_b128 v[81:84], v1 offset:1152
	v_add_f64 v[97:98], v[97:98], v[105:106]
	v_add_f64 v[2:3], v[2:3], v[95:96]
	s_waitcnt vmcnt(23) lgkmcnt(1)
	v_mul_f64 v[105:106], v[91:92], v[121:122]
	s_waitcnt vmcnt(21)
	v_fma_f64 v[103:104], v[85:86], v[125:126], -v[103:104]
	;; [unrolled: 9-line block ×5, first 2 shown]
	v_mul_f64 v[95:96], v[89:90], v[135:136]
	v_fma_f64 v[87:88], v[87:88], v[131:132], v[93:94]
	s_waitcnt vmcnt(7) lgkmcnt(0)
	v_mul_f64 v[93:94], v[81:82], v[138:139]
	v_add_f64 v[97:98], v[97:98], v[101:102]
	v_add_f64 v[2:3], v[2:3], v[99:100]
	v_mul_f64 v[99:100], v[83:84], v[138:139]
	s_waitcnt vmcnt(5)
	v_fma_f64 v[89:90], v[89:90], v[142:143], -v[105:106]
	v_fma_f64 v[91:92], v[91:92], v[142:143], v[95:96]
	s_waitcnt vmcnt(4)
	v_fma_f64 v[83:84], v[83:84], v[140:141], v[93:94]
	v_add_f64 v[85:86], v[97:98], v[85:86]
	v_add_f64 v[2:3], v[2:3], v[87:88]
	v_fma_f64 v[81:82], v[81:82], v[140:141], -v[99:100]
	v_add_f64 v[85:86], v[85:86], v[89:90]
	v_add_f64 v[2:3], v[2:3], v[91:92]
	;; [unrolled: 1-line block ×4, first 2 shown]
	s_waitcnt vmcnt(2)
	v_add_f64 v[81:82], v[146:147], -v[81:82]
	s_waitcnt vmcnt(0)
	v_add_f64 v[2:3], v[148:149], -v[2:3]
	buffer_store_dword v82, off, s[0:3], 0 offset:404
	buffer_store_dword v81, off, s[0:3], 0 offset:400
	;; [unrolled: 1-line block ×4, first 2 shown]
	v_cmpx_lt_u32_e32 23, v0
	s_cbranch_execz .LBB101_195
; %bb.194:
	v_mov_b32_e32 v2, s26
	s_clause 0x3
	buffer_load_dword v81, v2, s[0:3], 0 offen
	buffer_load_dword v82, v2, s[0:3], 0 offen offset:4
	buffer_load_dword v83, v2, s[0:3], 0 offen offset:8
	;; [unrolled: 1-line block ×3, first 2 shown]
	buffer_store_dword v1, off, s[0:3], 0 offset:384
	buffer_store_dword v1, off, s[0:3], 0 offset:388
	;; [unrolled: 1-line block ×4, first 2 shown]
	s_waitcnt vmcnt(0)
	ds_write_b128 v137, v[81:84]
.LBB101_195:
	s_or_b32 exec_lo, exec_lo, s4
	s_waitcnt lgkmcnt(0)
	s_waitcnt_vscnt null, 0x0
	s_barrier
	buffer_gl0_inv
	s_clause 0x35
	buffer_load_dword v2, off, s[0:3], 0 offset:408
	buffer_load_dword v3, off, s[0:3], 0 offset:412
	;; [unrolled: 1-line block ×54, first 2 shown]
	ds_read_b128 v[81:84], v1 offset:992
	s_clause 0x1
	buffer_load_dword v147, off, s[0:3], 0 offset:612
	buffer_load_dword v146, off, s[0:3], 0 offset:608
	ds_read_b128 v[85:88], v1 offset:1008
	ds_read_b128 v[89:92], v1 offset:1024
	s_mov_b32 s4, exec_lo
	s_waitcnt vmcnt(54) lgkmcnt(2)
	v_mul_f64 v[148:149], v[83:84], v[2:3]
	v_mul_f64 v[2:3], v[81:82], v[2:3]
	s_waitcnt vmcnt(52) lgkmcnt(1)
	v_mul_f64 v[150:151], v[87:88], v[93:94]
	v_mul_f64 v[93:94], v[85:86], v[93:94]
	s_waitcnt vmcnt(48) lgkmcnt(0)
	v_mul_f64 v[154:155], v[89:90], v[97:98]
	v_mul_f64 v[97:98], v[91:92], v[97:98]
	v_fma_f64 v[148:149], v[81:82], v[95:96], -v[148:149]
	v_fma_f64 v[2:3], v[83:84], v[95:96], v[2:3]
	s_clause 0x3
	buffer_load_dword v95, off, s[0:3], 0 offset:384
	buffer_load_dword v96, off, s[0:3], 0 offset:388
	;; [unrolled: 1-line block ×4, first 2 shown]
	s_waitcnt vmcnt(50)
	v_fma_f64 v[150:151], v[85:86], v[99:100], -v[150:151]
	ds_read_b128 v[81:84], v1 offset:1040
	v_fma_f64 v[93:94], v[87:88], v[99:100], v[93:94]
	ds_read_b128 v[85:88], v1 offset:1056
	s_waitcnt vmcnt(44)
	v_fma_f64 v[97:98], v[89:90], v[107:108], -v[97:98]
	v_fma_f64 v[107:108], v[91:92], v[107:108], v[154:155]
	ds_read_b128 v[89:92], v1 offset:1072
	v_add_f64 v[148:149], v[148:149], 0
	v_add_f64 v[2:3], v[2:3], 0
	s_waitcnt lgkmcnt(2)
	v_mul_f64 v[99:100], v[81:82], v[101:102]
	v_mul_f64 v[101:102], v[83:84], v[101:102]
	v_add_f64 v[148:149], v[148:149], v[150:151]
	v_add_f64 v[2:3], v[2:3], v[93:94]
	s_waitcnt vmcnt(43) lgkmcnt(1)
	v_mul_f64 v[93:94], v[85:86], v[103:104]
	v_mul_f64 v[103:104], v[87:88], v[103:104]
	s_waitcnt vmcnt(41)
	v_fma_f64 v[101:102], v[81:82], v[109:110], -v[101:102]
	v_fma_f64 v[99:100], v[83:84], v[109:110], v[99:100]
	ds_read_b128 v[81:84], v1 offset:1088
	s_waitcnt vmcnt(37) lgkmcnt(1)
	v_mul_f64 v[109:110], v[91:92], v[111:112]
	v_add_f64 v[97:98], v[148:149], v[97:98]
	v_add_f64 v[2:3], v[2:3], v[107:108]
	v_mul_f64 v[107:108], v[89:90], v[111:112]
	s_waitcnt vmcnt(36)
	v_fma_f64 v[103:104], v[85:86], v[105:106], -v[103:104]
	v_fma_f64 v[93:94], v[87:88], v[105:106], v[93:94]
	ds_read_b128 v[85:88], v1 offset:1104
	s_waitcnt vmcnt(33)
	v_fma_f64 v[105:106], v[89:90], v[117:118], -v[109:110]
	v_add_f64 v[97:98], v[97:98], v[101:102]
	v_add_f64 v[2:3], v[2:3], v[99:100]
	s_waitcnt lgkmcnt(1)
	v_mul_f64 v[101:102], v[83:84], v[113:114]
	v_mul_f64 v[99:100], v[81:82], v[113:114]
	v_add_f64 v[97:98], v[97:98], v[103:104]
	v_fma_f64 v[103:104], v[91:92], v[117:118], v[107:108]
	v_add_f64 v[2:3], v[2:3], v[93:94]
	ds_read_b128 v[89:92], v1 offset:1120
	s_waitcnt vmcnt(29) lgkmcnt(1)
	v_mul_f64 v[107:108], v[87:88], v[119:120]
	s_waitcnt vmcnt(28)
	v_fma_f64 v[101:102], v[81:82], v[115:116], -v[101:102]
	v_mul_f64 v[93:94], v[85:86], v[119:120]
	v_fma_f64 v[99:100], v[83:84], v[115:116], v[99:100]
	ds_read_b128 v[81:84], v1 offset:1136
	v_add_f64 v[97:98], v[97:98], v[105:106]
	s_waitcnt vmcnt(27) lgkmcnt(1)
	v_mul_f64 v[105:106], v[91:92], v[121:122]
	v_add_f64 v[2:3], v[2:3], v[103:104]
	v_mul_f64 v[103:104], v[89:90], v[121:122]
	s_waitcnt vmcnt(25)
	v_fma_f64 v[107:108], v[85:86], v[125:126], -v[107:108]
	v_fma_f64 v[93:94], v[87:88], v[125:126], v[93:94]
	ds_read_b128 v[85:88], v1 offset:1152
	v_add_f64 v[97:98], v[97:98], v[101:102]
	s_waitcnt vmcnt(21) lgkmcnt(1)
	v_mul_f64 v[101:102], v[83:84], v[127:128]
	v_add_f64 v[2:3], v[2:3], v[99:100]
	s_waitcnt vmcnt(20)
	v_fma_f64 v[105:106], v[89:90], v[123:124], -v[105:106]
	v_mul_f64 v[99:100], v[81:82], v[127:128]
	v_fma_f64 v[103:104], v[91:92], v[123:124], v[103:104]
	ds_read_b128 v[89:92], v1 offset:1168
	v_add_f64 v[97:98], v[97:98], v[107:108]
	s_waitcnt vmcnt(19) lgkmcnt(1)
	v_mul_f64 v[107:108], v[87:88], v[129:130]
	v_add_f64 v[2:3], v[2:3], v[93:94]
	s_waitcnt vmcnt(17)
	v_fma_f64 v[101:102], v[81:82], v[133:134], -v[101:102]
	v_mul_f64 v[93:94], v[85:86], v[129:130]
	;; [unrolled: 9-line block ×3, first 2 shown]
	v_fma_f64 v[87:88], v[87:88], v[131:132], v[93:94]
	v_add_f64 v[97:98], v[97:98], v[101:102]
	s_waitcnt vmcnt(11) lgkmcnt(0)
	v_mul_f64 v[101:102], v[83:84], v[138:139]
	v_add_f64 v[93:94], v[2:3], v[99:100]
	s_waitcnt vmcnt(9)
	v_fma_f64 v[89:90], v[89:90], v[142:143], -v[105:106]
	ds_read_b128 v[1:4], v1 offset:1200
	v_mul_f64 v[99:100], v[81:82], v[138:139]
	v_fma_f64 v[91:92], v[91:92], v[142:143], v[103:104]
	v_add_f64 v[85:86], v[97:98], v[85:86]
	s_waitcnt vmcnt(6)
	v_fma_f64 v[81:82], v[81:82], v[140:141], -v[101:102]
	v_add_f64 v[87:88], v[93:94], v[87:88]
	s_waitcnt lgkmcnt(0)
	v_mul_f64 v[97:98], v[3:4], v[144:145]
	v_mul_f64 v[93:94], v[1:2], v[144:145]
	v_fma_f64 v[83:84], v[83:84], v[140:141], v[99:100]
	v_add_f64 v[85:86], v[85:86], v[89:90]
	v_add_f64 v[87:88], v[87:88], v[91:92]
	s_waitcnt vmcnt(4)
	v_fma_f64 v[1:2], v[1:2], v[146:147], -v[97:98]
	v_fma_f64 v[3:4], v[3:4], v[146:147], v[93:94]
	v_add_f64 v[81:82], v[85:86], v[81:82]
	v_add_f64 v[83:84], v[87:88], v[83:84]
	v_add_f64 v[1:2], v[81:82], v[1:2]
	v_add_f64 v[3:4], v[83:84], v[3:4]
	s_waitcnt vmcnt(2)
	v_add_f64 v[1:2], v[95:96], -v[1:2]
	s_waitcnt vmcnt(0)
	v_add_f64 v[3:4], v[152:153], -v[3:4]
	buffer_store_dword v2, off, s[0:3], 0 offset:388
	buffer_store_dword v1, off, s[0:3], 0 offset:384
	;; [unrolled: 1-line block ×4, first 2 shown]
	v_cmpx_lt_u32_e32 22, v0
	s_cbranch_execz .LBB101_197
; %bb.196:
	v_mov_b32_e32 v4, s27
	v_mov_b32_e32 v81, 0
	s_clause 0x3
	buffer_load_dword v1, v4, s[0:3], 0 offen
	buffer_load_dword v2, v4, s[0:3], 0 offen offset:4
	buffer_load_dword v3, v4, s[0:3], 0 offen offset:8
	;; [unrolled: 1-line block ×3, first 2 shown]
	buffer_store_dword v81, off, s[0:3], 0 offset:368
	buffer_store_dword v81, off, s[0:3], 0 offset:372
	;; [unrolled: 1-line block ×4, first 2 shown]
	s_waitcnt vmcnt(0)
	ds_write_b128 v137, v[1:4]
.LBB101_197:
	s_or_b32 exec_lo, exec_lo, s4
	s_waitcnt lgkmcnt(0)
	s_waitcnt_vscnt null, 0x0
	s_barrier
	buffer_gl0_inv
	s_clause 0x35
	buffer_load_dword v2, off, s[0:3], 0 offset:392
	buffer_load_dword v3, off, s[0:3], 0 offset:396
	;; [unrolled: 1-line block ×54, first 2 shown]
	v_mov_b32_e32 v1, 0
	s_mov_b32 s4, exec_lo
	ds_read_b128 v[81:84], v1 offset:976
	s_clause 0x3
	buffer_load_dword v146, off, s[0:3], 0 offset:616
	buffer_load_dword v147, off, s[0:3], 0 offset:620
	;; [unrolled: 1-line block ×4, first 2 shown]
	ds_read_b128 v[85:88], v1 offset:992
	s_clause 0x1
	buffer_load_dword v152, off, s[0:3], 0 offset:608
	buffer_load_dword v153, off, s[0:3], 0 offset:612
	ds_read_b128 v[89:92], v1 offset:1008
	s_waitcnt vmcnt(58) lgkmcnt(2)
	v_mul_f64 v[150:151], v[83:84], v[2:3]
	v_mul_f64 v[2:3], v[81:82], v[2:3]
	s_waitcnt vmcnt(56) lgkmcnt(1)
	v_mul_f64 v[154:155], v[87:88], v[93:94]
	v_mul_f64 v[93:94], v[85:86], v[93:94]
	s_waitcnt vmcnt(54)
	v_fma_f64 v[150:151], v[81:82], v[95:96], -v[150:151]
	v_fma_f64 v[2:3], v[83:84], v[95:96], v[2:3]
	ds_read_b128 v[81:84], v1 offset:1024
	s_waitcnt vmcnt(52) lgkmcnt(1)
	v_mul_f64 v[95:96], v[89:90], v[97:98]
	v_mul_f64 v[97:98], v[91:92], v[97:98]
	s_waitcnt vmcnt(50)
	v_fma_f64 v[154:155], v[85:86], v[99:100], -v[154:155]
	v_fma_f64 v[93:94], v[87:88], v[99:100], v[93:94]
	s_clause 0x3
	buffer_load_dword v99, off, s[0:3], 0 offset:368
	buffer_load_dword v100, off, s[0:3], 0 offset:372
	;; [unrolled: 1-line block ×4, first 2 shown]
	ds_read_b128 v[85:88], v1 offset:1040
	s_waitcnt vmcnt(52) lgkmcnt(1)
	v_mul_f64 v[158:159], v[81:82], v[101:102]
	v_add_f64 v[150:151], v[150:151], 0
	v_add_f64 v[2:3], v[2:3], 0
	v_mul_f64 v[101:102], v[83:84], v[101:102]
	s_waitcnt vmcnt(50)
	v_fma_f64 v[97:98], v[89:90], v[103:104], -v[97:98]
	v_fma_f64 v[95:96], v[91:92], v[103:104], v[95:96]
	ds_read_b128 v[89:92], v1 offset:1056
	s_waitcnt vmcnt(48) lgkmcnt(1)
	v_mul_f64 v[103:104], v[87:88], v[105:106]
	v_add_f64 v[150:151], v[150:151], v[154:155]
	v_add_f64 v[2:3], v[2:3], v[93:94]
	s_waitcnt vmcnt(46)
	v_fma_f64 v[101:102], v[81:82], v[107:108], -v[101:102]
	v_mul_f64 v[93:94], v[85:86], v[105:106]
	v_fma_f64 v[105:106], v[83:84], v[107:108], v[158:159]
	s_waitcnt vmcnt(44) lgkmcnt(0)
	v_mul_f64 v[107:108], v[91:92], v[109:110]
	s_waitcnt vmcnt(42)
	v_fma_f64 v[103:104], v[85:86], v[111:112], -v[103:104]
	ds_read_b128 v[81:84], v1 offset:1072
	v_add_f64 v[97:98], v[150:151], v[97:98]
	v_add_f64 v[2:3], v[2:3], v[95:96]
	v_mul_f64 v[95:96], v[89:90], v[109:110]
	v_fma_f64 v[93:94], v[87:88], v[111:112], v[93:94]
	ds_read_b128 v[85:88], v1 offset:1088
	s_waitcnt vmcnt(38)
	v_fma_f64 v[107:108], v[89:90], v[115:116], -v[107:108]
	v_add_f64 v[97:98], v[97:98], v[101:102]
	v_add_f64 v[2:3], v[2:3], v[105:106]
	s_waitcnt lgkmcnt(1)
	v_mul_f64 v[105:106], v[83:84], v[113:114]
	v_mul_f64 v[101:102], v[81:82], v[113:114]
	v_fma_f64 v[95:96], v[91:92], v[115:116], v[95:96]
	ds_read_b128 v[89:92], v1 offset:1104
	v_add_f64 v[97:98], v[97:98], v[103:104]
	v_add_f64 v[2:3], v[2:3], v[93:94]
	s_waitcnt vmcnt(36) lgkmcnt(1)
	v_mul_f64 v[103:104], v[87:88], v[117:118]
	s_waitcnt vmcnt(34)
	v_fma_f64 v[105:106], v[81:82], v[119:120], -v[105:106]
	v_mul_f64 v[93:94], v[85:86], v[117:118]
	v_fma_f64 v[101:102], v[83:84], v[119:120], v[101:102]
	ds_read_b128 v[81:84], v1 offset:1120
	v_add_f64 v[97:98], v[97:98], v[107:108]
	v_add_f64 v[2:3], v[2:3], v[95:96]
	s_waitcnt vmcnt(32) lgkmcnt(1)
	v_mul_f64 v[107:108], v[91:92], v[121:122]
	s_waitcnt vmcnt(30)
	v_fma_f64 v[103:104], v[85:86], v[123:124], -v[103:104]
	;; [unrolled: 9-line block ×7, first 2 shown]
	v_mul_f64 v[93:94], v[85:86], v[142:143]
	v_fma_f64 v[83:84], v[83:84], v[144:145], v[101:102]
	s_waitcnt vmcnt(8) lgkmcnt(0)
	v_mul_f64 v[101:102], v[91:92], v[146:147]
	v_add_f64 v[97:98], v[97:98], v[107:108]
	v_add_f64 v[2:3], v[2:3], v[95:96]
	s_waitcnt vmcnt(6)
	v_fma_f64 v[85:86], v[85:86], v[148:149], -v[103:104]
	v_mul_f64 v[95:96], v[89:90], v[146:147]
	v_fma_f64 v[87:88], v[87:88], v[148:149], v[93:94]
	v_add_f64 v[81:82], v[97:98], v[81:82]
	v_add_f64 v[2:3], v[2:3], v[83:84]
	s_waitcnt vmcnt(4)
	v_fma_f64 v[83:84], v[89:90], v[152:153], -v[101:102]
	v_add_f64 v[81:82], v[81:82], v[85:86]
	v_fma_f64 v[85:86], v[91:92], v[152:153], v[95:96]
	v_add_f64 v[2:3], v[2:3], v[87:88]
	v_add_f64 v[81:82], v[81:82], v[83:84]
	;; [unrolled: 1-line block ×3, first 2 shown]
	s_waitcnt vmcnt(2)
	v_add_f64 v[81:82], v[99:100], -v[81:82]
	s_waitcnt vmcnt(0)
	v_add_f64 v[2:3], v[156:157], -v[2:3]
	buffer_store_dword v82, off, s[0:3], 0 offset:372
	buffer_store_dword v81, off, s[0:3], 0 offset:368
	;; [unrolled: 1-line block ×4, first 2 shown]
	v_cmpx_lt_u32_e32 21, v0
	s_cbranch_execz .LBB101_199
; %bb.198:
	v_mov_b32_e32 v2, s28
	s_clause 0x3
	buffer_load_dword v81, v2, s[0:3], 0 offen
	buffer_load_dword v82, v2, s[0:3], 0 offen offset:4
	buffer_load_dword v83, v2, s[0:3], 0 offen offset:8
	;; [unrolled: 1-line block ×3, first 2 shown]
	buffer_store_dword v1, off, s[0:3], 0 offset:352
	buffer_store_dword v1, off, s[0:3], 0 offset:356
	;; [unrolled: 1-line block ×4, first 2 shown]
	s_waitcnt vmcnt(0)
	ds_write_b128 v137, v[81:84]
.LBB101_199:
	s_or_b32 exec_lo, exec_lo, s4
	s_waitcnt lgkmcnt(0)
	s_waitcnt_vscnt null, 0x0
	s_barrier
	buffer_gl0_inv
	s_clause 0x37
	buffer_load_dword v2, off, s[0:3], 0 offset:376
	buffer_load_dword v3, off, s[0:3], 0 offset:380
	;; [unrolled: 1-line block ×56, first 2 shown]
	ds_read_b128 v[81:84], v1 offset:960
	s_clause 0x2
	buffer_load_dword v147, off, s[0:3], 0 offset:604
	buffer_load_dword v151, off, s[0:3], 0 offset:580
	;; [unrolled: 1-line block ×3, first 2 shown]
	ds_read_b128 v[85:88], v1 offset:976
	s_clause 0x2
	buffer_load_dword v155, off, s[0:3], 0 offset:620
	buffer_load_dword v154, off, s[0:3], 0 offset:616
	;; [unrolled: 1-line block ×3, first 2 shown]
	ds_read_b128 v[89:92], v1 offset:992
	s_mov_b32 s4, exec_lo
	s_waitcnt vmcnt(60) lgkmcnt(2)
	v_mul_f64 v[152:153], v[83:84], v[2:3]
	v_mul_f64 v[2:3], v[81:82], v[2:3]
	s_waitcnt vmcnt(58) lgkmcnt(1)
	v_mul_f64 v[156:157], v[87:88], v[93:94]
	v_mul_f64 v[93:94], v[85:86], v[93:94]
	;; [unrolled: 3-line block ×3, first 2 shown]
	v_fma_f64 v[152:153], v[81:82], v[95:96], -v[152:153]
	v_fma_f64 v[2:3], v[83:84], v[95:96], v[2:3]
	s_clause 0x1
	buffer_load_dword v96, off, s[0:3], 0 offset:612
	buffer_load_dword v95, off, s[0:3], 0 offset:608
	s_waitcnt vmcnt(54)
	v_fma_f64 v[156:157], v[85:86], v[99:100], -v[156:157]
	ds_read_b128 v[81:84], v1 offset:1008
	v_fma_f64 v[93:94], v[87:88], v[99:100], v[93:94]
	ds_read_b128 v[85:88], v1 offset:1024
	s_waitcnt vmcnt(48)
	v_fma_f64 v[97:98], v[89:90], v[107:108], -v[97:98]
	v_fma_f64 v[107:108], v[91:92], v[107:108], v[158:159]
	v_add_f64 v[152:153], v[152:153], 0
	v_add_f64 v[2:3], v[2:3], 0
	s_waitcnt lgkmcnt(1)
	v_mul_f64 v[99:100], v[81:82], v[101:102]
	v_mul_f64 v[101:102], v[83:84], v[101:102]
	s_waitcnt vmcnt(47) lgkmcnt(0)
	v_mul_f64 v[158:159], v[85:86], v[103:104]
	v_mul_f64 v[103:104], v[87:88], v[103:104]
	v_add_f64 v[152:153], v[152:153], v[156:157]
	v_add_f64 v[2:3], v[2:3], v[93:94]
	s_clause 0x3
	buffer_load_dword v93, off, s[0:3], 0 offset:352
	buffer_load_dword v94, off, s[0:3], 0 offset:356
	buffer_load_dword v156, off, s[0:3], 0 offset:360
	buffer_load_dword v157, off, s[0:3], 0 offset:364
	s_waitcnt vmcnt(49)
	v_fma_f64 v[101:102], v[81:82], v[109:110], -v[101:102]
	ds_read_b128 v[89:92], v1 offset:1040
	v_fma_f64 v[99:100], v[83:84], v[109:110], v[99:100]
	ds_read_b128 v[81:84], v1 offset:1056
	s_waitcnt vmcnt(44)
	v_fma_f64 v[103:104], v[85:86], v[105:106], -v[103:104]
	v_add_f64 v[97:98], v[152:153], v[97:98]
	v_add_f64 v[2:3], v[2:3], v[107:108]
	s_waitcnt lgkmcnt(1)
	v_mul_f64 v[109:110], v[91:92], v[111:112]
	v_mul_f64 v[107:108], v[89:90], v[111:112]
	v_add_f64 v[97:98], v[97:98], v[101:102]
	v_fma_f64 v[101:102], v[87:88], v[105:106], v[158:159]
	v_add_f64 v[2:3], v[2:3], v[99:100]
	s_waitcnt vmcnt(43) lgkmcnt(0)
	v_mul_f64 v[105:106], v[83:84], v[113:114]
	s_waitcnt vmcnt(41)
	v_fma_f64 v[109:110], v[89:90], v[117:118], -v[109:110]
	ds_read_b128 v[85:88], v1 offset:1072
	v_mul_f64 v[99:100], v[81:82], v[113:114]
	v_add_f64 v[97:98], v[97:98], v[103:104]
	v_fma_f64 v[103:104], v[91:92], v[117:118], v[107:108]
	v_add_f64 v[2:3], v[2:3], v[101:102]
	ds_read_b128 v[89:92], v1 offset:1088
	s_waitcnt vmcnt(37) lgkmcnt(1)
	v_mul_f64 v[107:108], v[87:88], v[119:120]
	s_waitcnt vmcnt(36)
	v_fma_f64 v[105:106], v[81:82], v[115:116], -v[105:106]
	v_mul_f64 v[101:102], v[85:86], v[119:120]
	v_fma_f64 v[99:100], v[83:84], v[115:116], v[99:100]
	ds_read_b128 v[81:84], v1 offset:1104
	v_add_f64 v[97:98], v[97:98], v[109:110]
	s_waitcnt vmcnt(35) lgkmcnt(1)
	v_mul_f64 v[109:110], v[91:92], v[121:122]
	v_add_f64 v[2:3], v[2:3], v[103:104]
	v_mul_f64 v[103:104], v[89:90], v[121:122]
	s_waitcnt vmcnt(33)
	v_fma_f64 v[107:108], v[85:86], v[125:126], -v[107:108]
	v_fma_f64 v[101:102], v[87:88], v[125:126], v[101:102]
	ds_read_b128 v[85:88], v1 offset:1120
	v_add_f64 v[97:98], v[97:98], v[105:106]
	s_waitcnt vmcnt(29) lgkmcnt(1)
	v_mul_f64 v[105:106], v[83:84], v[127:128]
	v_add_f64 v[2:3], v[2:3], v[99:100]
	s_waitcnt vmcnt(28)
	v_fma_f64 v[109:110], v[89:90], v[123:124], -v[109:110]
	v_mul_f64 v[99:100], v[81:82], v[127:128]
	v_fma_f64 v[103:104], v[91:92], v[123:124], v[103:104]
	ds_read_b128 v[89:92], v1 offset:1136
	v_add_f64 v[97:98], v[97:98], v[107:108]
	s_waitcnt vmcnt(27) lgkmcnt(1)
	v_mul_f64 v[107:108], v[87:88], v[129:130]
	v_add_f64 v[2:3], v[2:3], v[101:102]
	s_waitcnt vmcnt(25)
	v_fma_f64 v[105:106], v[81:82], v[133:134], -v[105:106]
	v_mul_f64 v[101:102], v[85:86], v[129:130]
	;; [unrolled: 9-line block ×5, first 2 shown]
	v_fma_f64 v[83:84], v[83:84], v[140:141], v[99:100]
	s_waitcnt vmcnt(11) lgkmcnt(0)
	v_mul_f64 v[105:106], v[91:92], v[146:147]
	v_add_f64 v[97:98], v[97:98], v[109:110]
	s_waitcnt vmcnt(9)
	v_fma_f64 v[85:86], v[85:86], v[150:151], -v[107:108]
	v_add_f64 v[99:100], v[2:3], v[103:104]
	ds_read_b128 v[1:4], v1 offset:1200
	v_mul_f64 v[103:104], v[89:90], v[146:147]
	v_fma_f64 v[87:88], v[87:88], v[150:151], v[101:102]
	s_waitcnt vmcnt(6)
	v_fma_f64 v[89:90], v[89:90], v[148:149], -v[105:106]
	v_add_f64 v[81:82], v[97:98], v[81:82]
	s_waitcnt lgkmcnt(0)
	v_mul_f64 v[97:98], v[1:2], v[154:155]
	v_add_f64 v[83:84], v[99:100], v[83:84]
	v_mul_f64 v[99:100], v[3:4], v[154:155]
	v_add_f64 v[81:82], v[81:82], v[85:86]
	v_fma_f64 v[85:86], v[91:92], v[148:149], v[103:104]
	v_add_f64 v[83:84], v[83:84], v[87:88]
	s_waitcnt vmcnt(4)
	v_fma_f64 v[1:2], v[1:2], v[95:96], -v[99:100]
	v_fma_f64 v[3:4], v[3:4], v[95:96], v[97:98]
	v_add_f64 v[81:82], v[81:82], v[89:90]
	v_add_f64 v[83:84], v[83:84], v[85:86]
	;; [unrolled: 1-line block ×4, first 2 shown]
	s_waitcnt vmcnt(2)
	v_add_f64 v[1:2], v[93:94], -v[1:2]
	s_waitcnt vmcnt(0)
	v_add_f64 v[3:4], v[156:157], -v[3:4]
	buffer_store_dword v2, off, s[0:3], 0 offset:356
	buffer_store_dword v1, off, s[0:3], 0 offset:352
	;; [unrolled: 1-line block ×4, first 2 shown]
	v_cmpx_lt_u32_e32 20, v0
	s_cbranch_execz .LBB101_201
; %bb.200:
	v_mov_b32_e32 v4, s29
	v_mov_b32_e32 v81, 0
	s_clause 0x3
	buffer_load_dword v1, v4, s[0:3], 0 offen
	buffer_load_dword v2, v4, s[0:3], 0 offen offset:4
	buffer_load_dword v3, v4, s[0:3], 0 offen offset:8
	;; [unrolled: 1-line block ×3, first 2 shown]
	buffer_store_dword v81, off, s[0:3], 0 offset:336
	buffer_store_dword v81, off, s[0:3], 0 offset:340
	;; [unrolled: 1-line block ×4, first 2 shown]
	s_waitcnt vmcnt(0)
	ds_write_b128 v137, v[1:4]
.LBB101_201:
	s_or_b32 exec_lo, exec_lo, s4
	s_waitcnt lgkmcnt(0)
	s_waitcnt_vscnt null, 0x0
	s_barrier
	buffer_gl0_inv
	s_clause 0x37
	buffer_load_dword v2, off, s[0:3], 0 offset:360
	buffer_load_dword v3, off, s[0:3], 0 offset:364
	;; [unrolled: 1-line block ×56, first 2 shown]
	v_mov_b32_e32 v1, 0
	s_mov_b32 s4, exec_lo
	ds_read_b128 v[81:84], v1 offset:944
	s_clause 0x2
	buffer_load_dword v147, off, s[0:3], 0 offset:588
	buffer_load_dword v151, off, s[0:3], 0 offset:564
	;; [unrolled: 1-line block ×3, first 2 shown]
	ds_read_b128 v[85:88], v1 offset:960
	s_clause 0x4
	buffer_load_dword v155, off, s[0:3], 0 offset:604
	buffer_load_dword v156, off, s[0:3], 0 offset:616
	;; [unrolled: 1-line block ×5, first 2 shown]
	ds_read_b128 v[89:92], v1 offset:976
	s_waitcnt vmcnt(62) lgkmcnt(2)
	v_mul_f64 v[152:153], v[83:84], v[2:3]
	v_mul_f64 v[2:3], v[81:82], v[2:3]
	s_waitcnt vmcnt(60) lgkmcnt(1)
	v_mul_f64 v[159:160], v[87:88], v[93:94]
	v_mul_f64 v[93:94], v[85:86], v[93:94]
	;; [unrolled: 3-line block ×3, first 2 shown]
	v_fma_f64 v[152:153], v[81:82], v[95:96], -v[152:153]
	v_fma_f64 v[2:3], v[83:84], v[95:96], v[2:3]
	s_clause 0x2
	buffer_load_dword v157, off, s[0:3], 0 offset:620
	buffer_load_dword v96, off, s[0:3], 0 offset:596
	;; [unrolled: 1-line block ×3, first 2 shown]
	s_waitcnt vmcnt(57)
	v_fma_f64 v[163:164], v[85:86], v[99:100], -v[159:160]
	ds_read_b128 v[81:84], v1 offset:992
	v_fma_f64 v[93:94], v[87:88], v[99:100], v[93:94]
	buffer_load_dword v159, off, s[0:3], 0 offset:612
	ds_read_b128 v[85:88], v1 offset:1008
	s_waitcnt vmcnt(52)
	v_fma_f64 v[97:98], v[89:90], v[107:108], -v[97:98]
	v_fma_f64 v[107:108], v[91:92], v[107:108], v[161:162]
	ds_read_b128 v[89:92], v1 offset:1024
	v_add_f64 v[152:153], v[152:153], 0
	v_add_f64 v[2:3], v[2:3], 0
	s_waitcnt lgkmcnt(2)
	v_mul_f64 v[99:100], v[81:82], v[101:102]
	v_mul_f64 v[101:102], v[83:84], v[101:102]
	v_add_f64 v[152:153], v[152:153], v[163:164]
	v_add_f64 v[2:3], v[2:3], v[93:94]
	s_waitcnt vmcnt(51) lgkmcnt(1)
	v_mul_f64 v[93:94], v[85:86], v[103:104]
	v_mul_f64 v[103:104], v[87:88], v[103:104]
	s_waitcnt vmcnt(49)
	v_fma_f64 v[101:102], v[81:82], v[109:110], -v[101:102]
	v_fma_f64 v[99:100], v[83:84], v[109:110], v[99:100]
	v_add_f64 v[97:98], v[152:153], v[97:98]
	v_add_f64 v[2:3], v[2:3], v[107:108]
	s_clause 0x3
	buffer_load_dword v107, off, s[0:3], 0 offset:336
	buffer_load_dword v108, off, s[0:3], 0 offset:340
	;; [unrolled: 1-line block ×4, first 2 shown]
	s_waitcnt vmcnt(49) lgkmcnt(0)
	v_mul_f64 v[152:153], v[89:90], v[111:112]
	v_mul_f64 v[111:112], v[91:92], v[111:112]
	s_waitcnt vmcnt(48)
	v_fma_f64 v[103:104], v[85:86], v[105:106], -v[103:104]
	ds_read_b128 v[81:84], v1 offset:1040
	v_fma_f64 v[93:94], v[87:88], v[105:106], v[93:94]
	ds_read_b128 v[85:88], v1 offset:1056
	v_add_f64 v[97:98], v[97:98], v[101:102]
	v_add_f64 v[2:3], v[2:3], v[99:100]
	s_waitcnt vmcnt(47) lgkmcnt(1)
	v_mul_f64 v[101:102], v[83:84], v[113:114]
	s_waitcnt vmcnt(45)
	v_fma_f64 v[105:106], v[89:90], v[117:118], -v[111:112]
	v_mul_f64 v[99:100], v[81:82], v[113:114]
	s_waitcnt vmcnt(41) lgkmcnt(0)
	v_mul_f64 v[111:112], v[87:88], v[119:120]
	v_add_f64 v[97:98], v[97:98], v[103:104]
	v_fma_f64 v[103:104], v[91:92], v[117:118], v[152:153]
	v_add_f64 v[2:3], v[2:3], v[93:94]
	ds_read_b128 v[89:92], v1 offset:1072
	s_waitcnt vmcnt(40)
	v_fma_f64 v[101:102], v[81:82], v[115:116], -v[101:102]
	v_mul_f64 v[93:94], v[85:86], v[119:120]
	v_fma_f64 v[99:100], v[83:84], v[115:116], v[99:100]
	ds_read_b128 v[81:84], v1 offset:1088
	s_waitcnt vmcnt(37)
	v_fma_f64 v[111:112], v[85:86], v[125:126], -v[111:112]
	v_add_f64 v[97:98], v[97:98], v[105:106]
	s_waitcnt lgkmcnt(1)
	v_mul_f64 v[105:106], v[91:92], v[121:122]
	v_add_f64 v[2:3], v[2:3], v[103:104]
	v_mul_f64 v[103:104], v[89:90], v[121:122]
	v_fma_f64 v[93:94], v[87:88], v[125:126], v[93:94]
	ds_read_b128 v[85:88], v1 offset:1104
	v_add_f64 v[97:98], v[97:98], v[101:102]
	s_waitcnt vmcnt(33) lgkmcnt(1)
	v_mul_f64 v[101:102], v[83:84], v[127:128]
	v_add_f64 v[2:3], v[2:3], v[99:100]
	s_waitcnt vmcnt(32)
	v_fma_f64 v[105:106], v[89:90], v[123:124], -v[105:106]
	v_mul_f64 v[99:100], v[81:82], v[127:128]
	v_fma_f64 v[103:104], v[91:92], v[123:124], v[103:104]
	ds_read_b128 v[89:92], v1 offset:1120
	v_add_f64 v[97:98], v[97:98], v[111:112]
	s_waitcnt vmcnt(31) lgkmcnt(1)
	v_mul_f64 v[111:112], v[87:88], v[129:130]
	v_add_f64 v[2:3], v[2:3], v[93:94]
	s_waitcnt vmcnt(29)
	v_fma_f64 v[101:102], v[81:82], v[133:134], -v[101:102]
	;; [unrolled: 9-line block ×7, first 2 shown]
	v_mul_f64 v[99:100], v[81:82], v[154:155]
	v_fma_f64 v[91:92], v[91:92], v[148:149], v[103:104]
	v_add_f64 v[97:98], v[97:98], v[111:112]
	v_add_f64 v[2:3], v[2:3], v[93:94]
	s_waitcnt vmcnt(7) lgkmcnt(0)
	v_mul_f64 v[103:104], v[87:88], v[156:157]
	v_mul_f64 v[93:94], v[85:86], v[156:157]
	s_waitcnt vmcnt(5)
	v_fma_f64 v[81:82], v[81:82], v[95:96], -v[101:102]
	v_fma_f64 v[83:84], v[83:84], v[95:96], v[99:100]
	v_add_f64 v[89:90], v[97:98], v[89:90]
	v_add_f64 v[2:3], v[2:3], v[91:92]
	s_waitcnt vmcnt(4)
	v_fma_f64 v[85:86], v[85:86], v[158:159], -v[103:104]
	v_fma_f64 v[87:88], v[87:88], v[158:159], v[93:94]
	v_add_f64 v[81:82], v[89:90], v[81:82]
	v_add_f64 v[2:3], v[2:3], v[83:84]
	v_add_f64 v[81:82], v[81:82], v[85:86]
	v_add_f64 v[2:3], v[2:3], v[87:88]
	s_waitcnt vmcnt(2)
	v_add_f64 v[81:82], v[107:108], -v[81:82]
	s_waitcnt vmcnt(0)
	v_add_f64 v[2:3], v[109:110], -v[2:3]
	buffer_store_dword v82, off, s[0:3], 0 offset:340
	buffer_store_dword v81, off, s[0:3], 0 offset:336
	;; [unrolled: 1-line block ×4, first 2 shown]
	v_cmpx_lt_u32_e32 19, v0
	s_cbranch_execz .LBB101_203
; %bb.202:
	v_mov_b32_e32 v2, s30
	s_clause 0x3
	buffer_load_dword v81, v2, s[0:3], 0 offen
	buffer_load_dword v82, v2, s[0:3], 0 offen offset:4
	buffer_load_dword v83, v2, s[0:3], 0 offen offset:8
	;; [unrolled: 1-line block ×3, first 2 shown]
	buffer_store_dword v1, off, s[0:3], 0 offset:320
	buffer_store_dword v1, off, s[0:3], 0 offset:324
	;; [unrolled: 1-line block ×4, first 2 shown]
	s_waitcnt vmcnt(0)
	ds_write_b128 v137, v[81:84]
.LBB101_203:
	s_or_b32 exec_lo, exec_lo, s4
	s_waitcnt lgkmcnt(0)
	s_waitcnt_vscnt null, 0x0
	s_barrier
	buffer_gl0_inv
	s_clause 0x37
	buffer_load_dword v2, off, s[0:3], 0 offset:344
	buffer_load_dword v3, off, s[0:3], 0 offset:348
	;; [unrolled: 1-line block ×56, first 2 shown]
	ds_read_b128 v[81:84], v1 offset:928
	s_clause 0x2
	buffer_load_dword v147, off, s[0:3], 0 offset:572
	buffer_load_dword v151, off, s[0:3], 0 offset:548
	;; [unrolled: 1-line block ×3, first 2 shown]
	ds_read_b128 v[85:88], v1 offset:944
	s_clause 0x4
	buffer_load_dword v155, off, s[0:3], 0 offset:588
	buffer_load_dword v156, off, s[0:3], 0 offset:600
	;; [unrolled: 1-line block ×5, first 2 shown]
	ds_read_b128 v[89:92], v1 offset:960
	s_mov_b32 s4, exec_lo
	s_waitcnt vmcnt(62) lgkmcnt(2)
	v_mul_f64 v[152:153], v[83:84], v[2:3]
	v_mul_f64 v[2:3], v[81:82], v[2:3]
	s_waitcnt vmcnt(60) lgkmcnt(1)
	v_mul_f64 v[159:160], v[87:88], v[93:94]
	v_mul_f64 v[93:94], v[85:86], v[93:94]
	;; [unrolled: 3-line block ×3, first 2 shown]
	v_fma_f64 v[152:153], v[81:82], v[95:96], -v[152:153]
	v_fma_f64 v[2:3], v[83:84], v[95:96], v[2:3]
	s_clause 0x2
	buffer_load_dword v157, off, s[0:3], 0 offset:604
	buffer_load_dword v96, off, s[0:3], 0 offset:580
	;; [unrolled: 1-line block ×3, first 2 shown]
	s_waitcnt vmcnt(57)
	v_fma_f64 v[163:164], v[85:86], v[99:100], -v[159:160]
	ds_read_b128 v[81:84], v1 offset:976
	v_fma_f64 v[93:94], v[87:88], v[99:100], v[93:94]
	s_clause 0x2
	buffer_load_dword v100, off, s[0:3], 0 offset:620
	buffer_load_dword v99, off, s[0:3], 0 offset:616
	;; [unrolled: 1-line block ×3, first 2 shown]
	s_waitcnt vmcnt(54)
	v_fma_f64 v[97:98], v[89:90], v[107:108], -v[97:98]
	ds_read_b128 v[85:88], v1 offset:992
	v_fma_f64 v[107:108], v[91:92], v[107:108], v[161:162]
	v_add_f64 v[152:153], v[152:153], 0
	v_add_f64 v[2:3], v[2:3], 0
	s_waitcnt lgkmcnt(1)
	v_mul_f64 v[165:166], v[81:82], v[101:102]
	v_mul_f64 v[101:102], v[83:84], v[101:102]
	s_waitcnt vmcnt(53) lgkmcnt(0)
	v_mul_f64 v[160:161], v[85:86], v[103:104]
	v_mul_f64 v[103:104], v[87:88], v[103:104]
	v_add_f64 v[152:153], v[152:153], v[163:164]
	v_add_f64 v[2:3], v[2:3], v[93:94]
	s_clause 0x1
	buffer_load_dword v94, off, s[0:3], 0 offset:612
	buffer_load_dword v93, off, s[0:3], 0 offset:608
	s_waitcnt vmcnt(53)
	v_fma_f64 v[101:102], v[81:82], v[109:110], -v[101:102]
	ds_read_b128 v[89:92], v1 offset:1008
	v_fma_f64 v[109:110], v[83:84], v[109:110], v[165:166]
	ds_read_b128 v[81:84], v1 offset:1024
	s_waitcnt vmcnt(48)
	v_fma_f64 v[103:104], v[85:86], v[105:106], -v[103:104]
	v_add_f64 v[97:98], v[152:153], v[97:98]
	v_add_f64 v[2:3], v[2:3], v[107:108]
	s_waitcnt lgkmcnt(1)
	v_mul_f64 v[107:108], v[89:90], v[111:112]
	v_mul_f64 v[111:112], v[91:92], v[111:112]
	s_waitcnt vmcnt(47) lgkmcnt(0)
	v_mul_f64 v[152:153], v[81:82], v[113:114]
	v_mul_f64 v[113:114], v[83:84], v[113:114]
	v_add_f64 v[97:98], v[97:98], v[101:102]
	v_fma_f64 v[101:102], v[87:88], v[105:106], v[160:161]
	v_add_f64 v[2:3], v[2:3], v[109:110]
	s_clause 0x3
	buffer_load_dword v105, off, s[0:3], 0 offset:320
	buffer_load_dword v106, off, s[0:3], 0 offset:324
	;; [unrolled: 1-line block ×4, first 2 shown]
	s_waitcnt vmcnt(49)
	v_fma_f64 v[111:112], v[89:90], v[117:118], -v[111:112]
	ds_read_b128 v[85:88], v1 offset:1040
	s_waitcnt vmcnt(44)
	v_fma_f64 v[113:114], v[81:82], v[115:116], -v[113:114]
	v_add_f64 v[97:98], v[97:98], v[103:104]
	v_fma_f64 v[103:104], v[91:92], v[117:118], v[107:108]
	v_add_f64 v[2:3], v[2:3], v[101:102]
	ds_read_b128 v[89:92], v1 offset:1056
	s_waitcnt lgkmcnt(1)
	v_mul_f64 v[107:108], v[87:88], v[119:120]
	v_mul_f64 v[101:102], v[85:86], v[119:120]
	v_add_f64 v[97:98], v[97:98], v[111:112]
	v_fma_f64 v[111:112], v[83:84], v[115:116], v[152:153]
	v_add_f64 v[2:3], v[2:3], v[103:104]
	s_waitcnt vmcnt(43) lgkmcnt(0)
	v_mul_f64 v[115:116], v[91:92], v[121:122]
	s_waitcnt vmcnt(41)
	v_fma_f64 v[107:108], v[85:86], v[125:126], -v[107:108]
	ds_read_b128 v[81:84], v1 offset:1072
	v_mul_f64 v[103:104], v[89:90], v[121:122]
	v_fma_f64 v[101:102], v[87:88], v[125:126], v[101:102]
	ds_read_b128 v[85:88], v1 offset:1088
	v_add_f64 v[97:98], v[97:98], v[113:114]
	v_add_f64 v[2:3], v[2:3], v[111:112]
	s_waitcnt vmcnt(37) lgkmcnt(1)
	v_mul_f64 v[113:114], v[83:84], v[127:128]
	s_waitcnt vmcnt(36)
	v_fma_f64 v[115:116], v[89:90], v[123:124], -v[115:116]
	v_mul_f64 v[111:112], v[81:82], v[127:128]
	v_fma_f64 v[103:104], v[91:92], v[123:124], v[103:104]
	ds_read_b128 v[89:92], v1 offset:1104
	v_add_f64 v[97:98], v[97:98], v[107:108]
	s_waitcnt vmcnt(35) lgkmcnt(1)
	v_mul_f64 v[107:108], v[87:88], v[129:130]
	v_add_f64 v[2:3], v[2:3], v[101:102]
	s_waitcnt vmcnt(33)
	v_fma_f64 v[113:114], v[81:82], v[133:134], -v[113:114]
	v_mul_f64 v[101:102], v[85:86], v[129:130]
	v_fma_f64 v[111:112], v[83:84], v[133:134], v[111:112]
	ds_read_b128 v[81:84], v1 offset:1120
	v_add_f64 v[97:98], v[97:98], v[115:116]
	s_waitcnt vmcnt(29) lgkmcnt(1)
	v_mul_f64 v[115:116], v[91:92], v[135:136]
	v_add_f64 v[2:3], v[2:3], v[103:104]
	;; [unrolled: 9-line block ×6, first 2 shown]
	s_waitcnt vmcnt(12)
	v_fma_f64 v[89:90], v[89:90], v[148:149], -v[115:116]
	v_mul_f64 v[111:112], v[81:82], v[154:155]
	v_fma_f64 v[91:92], v[91:92], v[148:149], v[103:104]
	v_add_f64 v[97:98], v[97:98], v[107:108]
	v_add_f64 v[101:102], v[2:3], v[101:102]
	ds_read_b128 v[1:4], v1 offset:1200
	s_waitcnt vmcnt(11) lgkmcnt(1)
	v_mul_f64 v[107:108], v[87:88], v[156:157]
	v_mul_f64 v[103:104], v[85:86], v[156:157]
	s_waitcnt vmcnt(9)
	v_fma_f64 v[81:82], v[81:82], v[95:96], -v[113:114]
	v_fma_f64 v[83:84], v[83:84], v[95:96], v[111:112]
	v_add_f64 v[89:90], v[97:98], v[89:90]
	s_waitcnt vmcnt(7) lgkmcnt(0)
	v_mul_f64 v[97:98], v[3:4], v[99:100]
	v_add_f64 v[91:92], v[101:102], v[91:92]
	v_mul_f64 v[95:96], v[1:2], v[99:100]
	s_waitcnt vmcnt(6)
	v_fma_f64 v[85:86], v[85:86], v[158:159], -v[107:108]
	v_fma_f64 v[87:88], v[87:88], v[158:159], v[103:104]
	v_add_f64 v[81:82], v[89:90], v[81:82]
	v_add_f64 v[83:84], v[91:92], v[83:84]
	s_waitcnt vmcnt(4)
	v_fma_f64 v[1:2], v[1:2], v[93:94], -v[97:98]
	v_fma_f64 v[3:4], v[3:4], v[93:94], v[95:96]
	v_add_f64 v[81:82], v[81:82], v[85:86]
	v_add_f64 v[83:84], v[83:84], v[87:88]
	;; [unrolled: 1-line block ×4, first 2 shown]
	s_waitcnt vmcnt(2)
	v_add_f64 v[1:2], v[105:106], -v[1:2]
	s_waitcnt vmcnt(0)
	v_add_f64 v[3:4], v[109:110], -v[3:4]
	buffer_store_dword v2, off, s[0:3], 0 offset:324
	buffer_store_dword v1, off, s[0:3], 0 offset:320
	;; [unrolled: 1-line block ×4, first 2 shown]
	v_cmpx_lt_u32_e32 18, v0
	s_cbranch_execz .LBB101_205
; %bb.204:
	v_mov_b32_e32 v4, s31
	v_mov_b32_e32 v81, 0
	s_clause 0x3
	buffer_load_dword v1, v4, s[0:3], 0 offen
	buffer_load_dword v2, v4, s[0:3], 0 offen offset:4
	buffer_load_dword v3, v4, s[0:3], 0 offen offset:8
	;; [unrolled: 1-line block ×3, first 2 shown]
	buffer_store_dword v81, off, s[0:3], 0 offset:304
	buffer_store_dword v81, off, s[0:3], 0 offset:308
	;; [unrolled: 1-line block ×4, first 2 shown]
	s_waitcnt vmcnt(0)
	ds_write_b128 v137, v[1:4]
.LBB101_205:
	s_or_b32 exec_lo, exec_lo, s4
	s_waitcnt lgkmcnt(0)
	s_waitcnt_vscnt null, 0x0
	s_barrier
	buffer_gl0_inv
	s_clause 0x37
	buffer_load_dword v2, off, s[0:3], 0 offset:328
	buffer_load_dword v3, off, s[0:3], 0 offset:332
	;; [unrolled: 1-line block ×56, first 2 shown]
	v_mov_b32_e32 v1, 0
	s_mov_b32 s4, exec_lo
	ds_read_b128 v[81:84], v1 offset:912
	s_clause 0x2
	buffer_load_dword v147, off, s[0:3], 0 offset:556
	buffer_load_dword v151, off, s[0:3], 0 offset:532
	;; [unrolled: 1-line block ×3, first 2 shown]
	ds_read_b128 v[85:88], v1 offset:928
	s_clause 0x4
	buffer_load_dword v155, off, s[0:3], 0 offset:572
	buffer_load_dword v156, off, s[0:3], 0 offset:584
	;; [unrolled: 1-line block ×5, first 2 shown]
	ds_read_b128 v[89:92], v1 offset:944
	s_waitcnt vmcnt(62) lgkmcnt(2)
	v_mul_f64 v[152:153], v[83:84], v[2:3]
	v_mul_f64 v[2:3], v[81:82], v[2:3]
	s_waitcnt vmcnt(60) lgkmcnt(1)
	v_mul_f64 v[159:160], v[87:88], v[93:94]
	v_mul_f64 v[93:94], v[85:86], v[93:94]
	;; [unrolled: 3-line block ×3, first 2 shown]
	v_fma_f64 v[152:153], v[81:82], v[95:96], -v[152:153]
	v_fma_f64 v[2:3], v[83:84], v[95:96], v[2:3]
	s_clause 0x2
	buffer_load_dword v157, off, s[0:3], 0 offset:588
	buffer_load_dword v96, off, s[0:3], 0 offset:564
	;; [unrolled: 1-line block ×3, first 2 shown]
	s_waitcnt vmcnt(57)
	v_fma_f64 v[163:164], v[85:86], v[99:100], -v[159:160]
	ds_read_b128 v[81:84], v1 offset:960
	v_fma_f64 v[93:94], v[87:88], v[99:100], v[93:94]
	s_clause 0x4
	buffer_load_dword v100, off, s[0:3], 0 offset:604
	buffer_load_dword v160, off, s[0:3], 0 offset:616
	;; [unrolled: 1-line block ×5, first 2 shown]
	s_waitcnt vmcnt(56)
	v_fma_f64 v[97:98], v[89:90], v[107:108], -v[97:98]
	ds_read_b128 v[85:88], v1 offset:976
	v_fma_f64 v[107:108], v[91:92], v[107:108], v[161:162]
	v_add_f64 v[152:153], v[152:153], 0
	v_add_f64 v[2:3], v[2:3], 0
	s_waitcnt lgkmcnt(1)
	v_mul_f64 v[166:167], v[81:82], v[101:102]
	v_mul_f64 v[101:102], v[83:84], v[101:102]
	v_add_f64 v[152:153], v[152:153], v[163:164]
	v_add_f64 v[2:3], v[2:3], v[93:94]
	s_clause 0x2
	buffer_load_dword v161, off, s[0:3], 0 offset:620
	buffer_load_dword v94, off, s[0:3], 0 offset:596
	;; [unrolled: 1-line block ×3, first 2 shown]
	s_waitcnt vmcnt(58) lgkmcnt(0)
	v_mul_f64 v[162:163], v[85:86], v[103:104]
	v_mul_f64 v[103:104], v[87:88], v[103:104]
	s_waitcnt vmcnt(56)
	v_fma_f64 v[101:102], v[81:82], v[109:110], -v[101:102]
	ds_read_b128 v[89:92], v1 offset:992
	v_fma_f64 v[109:110], v[83:84], v[109:110], v[166:167]
	buffer_load_dword v166, off, s[0:3], 0 offset:612
	ds_read_b128 v[81:84], v1 offset:1008
	v_add_f64 v[97:98], v[152:153], v[97:98]
	v_add_f64 v[2:3], v[2:3], v[107:108]
	s_waitcnt vmcnt(53) lgkmcnt(1)
	v_mul_f64 v[107:108], v[89:90], v[111:112]
	v_mul_f64 v[111:112], v[91:92], v[111:112]
	s_waitcnt vmcnt(52)
	v_fma_f64 v[103:104], v[85:86], v[105:106], -v[103:104]
	v_add_f64 v[97:98], v[97:98], v[101:102]
	v_fma_f64 v[101:102], v[87:88], v[105:106], v[162:163]
	v_add_f64 v[2:3], v[2:3], v[109:110]
	s_waitcnt vmcnt(51) lgkmcnt(0)
	v_mul_f64 v[109:110], v[83:84], v[113:114]
	ds_read_b128 v[85:88], v1 offset:1024
	s_waitcnt vmcnt(49)
	v_fma_f64 v[111:112], v[89:90], v[117:118], -v[111:112]
	v_mul_f64 v[105:106], v[81:82], v[113:114]
	v_add_f64 v[97:98], v[97:98], v[103:104]
	v_fma_f64 v[103:104], v[91:92], v[117:118], v[107:108]
	v_add_f64 v[2:3], v[2:3], v[101:102]
	s_clause 0x3
	buffer_load_dword v101, off, s[0:3], 0 offset:304
	buffer_load_dword v102, off, s[0:3], 0 offset:308
	;; [unrolled: 1-line block ×4, first 2 shown]
	s_waitcnt vmcnt(49) lgkmcnt(0)
	v_mul_f64 v[117:118], v[87:88], v[119:120]
	s_waitcnt vmcnt(48)
	v_fma_f64 v[109:110], v[81:82], v[115:116], -v[109:110]
	ds_read_b128 v[89:92], v1 offset:1040
	v_mul_f64 v[113:114], v[85:86], v[119:120]
	v_fma_f64 v[105:106], v[83:84], v[115:116], v[105:106]
	ds_read_b128 v[81:84], v1 offset:1056
	v_add_f64 v[97:98], v[97:98], v[111:112]
	v_add_f64 v[2:3], v[2:3], v[103:104]
	s_waitcnt vmcnt(47) lgkmcnt(1)
	v_mul_f64 v[111:112], v[91:92], v[121:122]
	s_waitcnt vmcnt(45)
	v_fma_f64 v[115:116], v[85:86], v[125:126], -v[117:118]
	v_mul_f64 v[103:104], v[89:90], v[121:122]
	v_add_f64 v[97:98], v[97:98], v[109:110]
	v_fma_f64 v[109:110], v[87:88], v[125:126], v[113:114]
	v_add_f64 v[2:3], v[2:3], v[105:106]
	s_waitcnt vmcnt(41) lgkmcnt(0)
	v_mul_f64 v[113:114], v[83:84], v[127:128]
	s_waitcnt vmcnt(40)
	v_fma_f64 v[111:112], v[89:90], v[123:124], -v[111:112]
	ds_read_b128 v[85:88], v1 offset:1072
	v_mul_f64 v[105:106], v[81:82], v[127:128]
	v_fma_f64 v[103:104], v[91:92], v[123:124], v[103:104]
	ds_read_b128 v[89:92], v1 offset:1088
	v_add_f64 v[97:98], v[97:98], v[115:116]
	v_add_f64 v[2:3], v[2:3], v[109:110]
	s_waitcnt vmcnt(39) lgkmcnt(1)
	v_mul_f64 v[115:116], v[87:88], v[129:130]
	s_waitcnt vmcnt(37)
	v_fma_f64 v[113:114], v[81:82], v[133:134], -v[113:114]
	v_mul_f64 v[109:110], v[85:86], v[129:130]
	v_fma_f64 v[105:106], v[83:84], v[133:134], v[105:106]
	ds_read_b128 v[81:84], v1 offset:1104
	v_add_f64 v[97:98], v[97:98], v[111:112]
	s_waitcnt vmcnt(33) lgkmcnt(1)
	v_mul_f64 v[111:112], v[91:92], v[135:136]
	v_add_f64 v[2:3], v[2:3], v[103:104]
	s_waitcnt vmcnt(32)
	v_fma_f64 v[115:116], v[85:86], v[131:132], -v[115:116]
	v_mul_f64 v[103:104], v[89:90], v[135:136]
	v_fma_f64 v[109:110], v[87:88], v[131:132], v[109:110]
	ds_read_b128 v[85:88], v1 offset:1120
	v_add_f64 v[97:98], v[97:98], v[113:114]
	s_waitcnt vmcnt(31) lgkmcnt(1)
	v_mul_f64 v[113:114], v[83:84], v[138:139]
	v_add_f64 v[2:3], v[2:3], v[105:106]
	;; [unrolled: 9-line block ×5, first 2 shown]
	s_waitcnt vmcnt(16)
	v_fma_f64 v[111:112], v[89:90], v[148:149], -v[111:112]
	v_mul_f64 v[105:106], v[81:82], v[154:155]
	v_fma_f64 v[103:104], v[91:92], v[148:149], v[103:104]
	ds_read_b128 v[89:92], v1 offset:1184
	v_add_f64 v[97:98], v[97:98], v[115:116]
	v_add_f64 v[2:3], v[2:3], v[109:110]
	s_waitcnt vmcnt(15) lgkmcnt(1)
	v_mul_f64 v[115:116], v[87:88], v[156:157]
	v_mul_f64 v[109:110], v[85:86], v[156:157]
	s_waitcnt vmcnt(13)
	v_fma_f64 v[113:114], v[81:82], v[95:96], -v[113:114]
	v_fma_f64 v[95:96], v[83:84], v[95:96], v[105:106]
	ds_read_b128 v[81:84], v1 offset:1200
	v_add_f64 v[97:98], v[97:98], v[111:112]
	v_add_f64 v[2:3], v[2:3], v[103:104]
	s_waitcnt vmcnt(9) lgkmcnt(1)
	v_mul_f64 v[103:104], v[89:90], v[99:100]
	v_mul_f64 v[99:100], v[91:92], v[99:100]
	s_waitcnt vmcnt(8)
	v_fma_f64 v[85:86], v[85:86], v[158:159], -v[115:116]
	v_fma_f64 v[87:88], v[87:88], v[158:159], v[109:110]
	v_add_f64 v[97:98], v[97:98], v[113:114]
	v_add_f64 v[2:3], v[2:3], v[95:96]
	s_waitcnt vmcnt(7) lgkmcnt(0)
	v_mul_f64 v[105:106], v[83:84], v[160:161]
	v_mul_f64 v[95:96], v[81:82], v[160:161]
	s_waitcnt vmcnt(5)
	v_fma_f64 v[89:90], v[89:90], v[93:94], -v[99:100]
	v_fma_f64 v[91:92], v[91:92], v[93:94], v[103:104]
	v_add_f64 v[85:86], v[97:98], v[85:86]
	v_add_f64 v[2:3], v[2:3], v[87:88]
	s_waitcnt vmcnt(4)
	v_fma_f64 v[81:82], v[81:82], v[165:166], -v[105:106]
	v_fma_f64 v[83:84], v[83:84], v[165:166], v[95:96]
	v_add_f64 v[85:86], v[85:86], v[89:90]
	v_add_f64 v[2:3], v[2:3], v[91:92]
	;; [unrolled: 1-line block ×4, first 2 shown]
	s_waitcnt vmcnt(2)
	v_add_f64 v[81:82], v[101:102], -v[81:82]
	s_waitcnt vmcnt(0)
	v_add_f64 v[2:3], v[107:108], -v[2:3]
	buffer_store_dword v82, off, s[0:3], 0 offset:308
	buffer_store_dword v81, off, s[0:3], 0 offset:304
	;; [unrolled: 1-line block ×4, first 2 shown]
	v_cmpx_lt_u32_e32 17, v0
	s_cbranch_execz .LBB101_207
; %bb.206:
	v_mov_b32_e32 v2, s33
	s_clause 0x3
	buffer_load_dword v81, v2, s[0:3], 0 offen
	buffer_load_dword v82, v2, s[0:3], 0 offen offset:4
	buffer_load_dword v83, v2, s[0:3], 0 offen offset:8
	;; [unrolled: 1-line block ×3, first 2 shown]
	buffer_store_dword v1, off, s[0:3], 0 offset:288
	buffer_store_dword v1, off, s[0:3], 0 offset:292
	;; [unrolled: 1-line block ×4, first 2 shown]
	s_waitcnt vmcnt(0)
	ds_write_b128 v137, v[81:84]
.LBB101_207:
	s_or_b32 exec_lo, exec_lo, s4
	s_waitcnt lgkmcnt(0)
	s_waitcnt_vscnt null, 0x0
	s_barrier
	buffer_gl0_inv
	s_clause 0x37
	buffer_load_dword v2, off, s[0:3], 0 offset:312
	buffer_load_dword v3, off, s[0:3], 0 offset:316
	;; [unrolled: 1-line block ×56, first 2 shown]
	ds_read_b128 v[81:84], v1 offset:896
	s_clause 0x2
	buffer_load_dword v147, off, s[0:3], 0 offset:540
	buffer_load_dword v151, off, s[0:3], 0 offset:516
	;; [unrolled: 1-line block ×3, first 2 shown]
	ds_read_b128 v[85:88], v1 offset:912
	s_clause 0x4
	buffer_load_dword v155, off, s[0:3], 0 offset:556
	buffer_load_dword v156, off, s[0:3], 0 offset:568
	;; [unrolled: 1-line block ×5, first 2 shown]
	ds_read_b128 v[89:92], v1 offset:928
	s_mov_b32 s4, exec_lo
	s_waitcnt vmcnt(62) lgkmcnt(2)
	v_mul_f64 v[152:153], v[83:84], v[2:3]
	v_mul_f64 v[2:3], v[81:82], v[2:3]
	s_waitcnt vmcnt(60) lgkmcnt(1)
	v_mul_f64 v[159:160], v[87:88], v[93:94]
	v_mul_f64 v[93:94], v[85:86], v[93:94]
	;; [unrolled: 3-line block ×3, first 2 shown]
	v_fma_f64 v[152:153], v[81:82], v[95:96], -v[152:153]
	v_fma_f64 v[2:3], v[83:84], v[95:96], v[2:3]
	s_clause 0x2
	buffer_load_dword v157, off, s[0:3], 0 offset:572
	buffer_load_dword v96, off, s[0:3], 0 offset:548
	;; [unrolled: 1-line block ×3, first 2 shown]
	s_waitcnt vmcnt(57)
	v_fma_f64 v[163:164], v[85:86], v[99:100], -v[159:160]
	ds_read_b128 v[81:84], v1 offset:944
	v_fma_f64 v[93:94], v[87:88], v[99:100], v[93:94]
	s_clause 0x4
	buffer_load_dword v100, off, s[0:3], 0 offset:588
	buffer_load_dword v160, off, s[0:3], 0 offset:600
	;; [unrolled: 1-line block ×5, first 2 shown]
	s_waitcnt vmcnt(56)
	v_fma_f64 v[97:98], v[89:90], v[107:108], -v[97:98]
	ds_read_b128 v[85:88], v1 offset:960
	v_fma_f64 v[107:108], v[91:92], v[107:108], v[161:162]
	v_add_f64 v[152:153], v[152:153], 0
	v_add_f64 v[2:3], v[2:3], 0
	s_waitcnt lgkmcnt(1)
	v_mul_f64 v[166:167], v[81:82], v[101:102]
	v_mul_f64 v[101:102], v[83:84], v[101:102]
	v_add_f64 v[152:153], v[152:153], v[163:164]
	v_add_f64 v[2:3], v[2:3], v[93:94]
	s_clause 0x2
	buffer_load_dword v161, off, s[0:3], 0 offset:604
	buffer_load_dword v94, off, s[0:3], 0 offset:580
	;; [unrolled: 1-line block ×3, first 2 shown]
	s_waitcnt vmcnt(58) lgkmcnt(0)
	v_mul_f64 v[162:163], v[85:86], v[103:104]
	v_mul_f64 v[103:104], v[87:88], v[103:104]
	s_waitcnt vmcnt(56)
	v_fma_f64 v[101:102], v[81:82], v[109:110], -v[101:102]
	ds_read_b128 v[89:92], v1 offset:976
	v_fma_f64 v[109:110], v[83:84], v[109:110], v[166:167]
	v_add_f64 v[97:98], v[152:153], v[97:98]
	v_add_f64 v[2:3], v[2:3], v[107:108]
	s_clause 0x2
	buffer_load_dword v108, off, s[0:3], 0 offset:620
	buffer_load_dword v107, off, s[0:3], 0 offset:616
	;; [unrolled: 1-line block ×3, first 2 shown]
	ds_read_b128 v[81:84], v1 offset:992
	s_waitcnt vmcnt(55) lgkmcnt(1)
	v_mul_f64 v[152:153], v[89:90], v[111:112]
	v_mul_f64 v[111:112], v[91:92], v[111:112]
	s_waitcnt vmcnt(54)
	v_fma_f64 v[103:104], v[85:86], v[105:106], -v[103:104]
	v_add_f64 v[97:98], v[97:98], v[101:102]
	v_fma_f64 v[101:102], v[87:88], v[105:106], v[162:163]
	v_add_f64 v[2:3], v[2:3], v[109:110]
	s_clause 0x1
	buffer_load_dword v106, off, s[0:3], 0 offset:612
	buffer_load_dword v105, off, s[0:3], 0 offset:608
	s_waitcnt vmcnt(55) lgkmcnt(0)
	v_mul_f64 v[109:110], v[81:82], v[113:114]
	v_mul_f64 v[113:114], v[83:84], v[113:114]
	s_waitcnt vmcnt(53)
	v_fma_f64 v[111:112], v[89:90], v[117:118], -v[111:112]
	ds_read_b128 v[85:88], v1 offset:1008
	v_add_f64 v[97:98], v[97:98], v[103:104]
	v_fma_f64 v[103:104], v[91:92], v[117:118], v[152:153]
	v_add_f64 v[2:3], v[2:3], v[101:102]
	ds_read_b128 v[89:92], v1 offset:1024
	s_waitcnt vmcnt(48)
	v_fma_f64 v[109:110], v[83:84], v[115:116], v[109:110]
	s_waitcnt lgkmcnt(1)
	v_mul_f64 v[117:118], v[87:88], v[119:120]
	v_fma_f64 v[113:114], v[81:82], v[115:116], -v[113:114]
	v_mul_f64 v[101:102], v[85:86], v[119:120]
	v_add_f64 v[97:98], v[97:98], v[111:112]
	s_waitcnt vmcnt(47) lgkmcnt(0)
	v_mul_f64 v[119:120], v[91:92], v[121:122]
	v_add_f64 v[2:3], v[2:3], v[103:104]
	s_clause 0x3
	buffer_load_dword v103, off, s[0:3], 0 offset:288
	buffer_load_dword v104, off, s[0:3], 0 offset:292
	;; [unrolled: 1-line block ×4, first 2 shown]
	ds_read_b128 v[81:84], v1 offset:1040
	s_waitcnt vmcnt(49)
	v_fma_f64 v[117:118], v[85:86], v[125:126], -v[117:118]
	v_mul_f64 v[115:116], v[89:90], v[121:122]
	v_fma_f64 v[101:102], v[87:88], v[125:126], v[101:102]
	ds_read_b128 v[85:88], v1 offset:1056
	v_add_f64 v[97:98], v[97:98], v[113:114]
	s_waitcnt vmcnt(44)
	v_fma_f64 v[119:120], v[89:90], v[123:124], -v[119:120]
	v_add_f64 v[2:3], v[2:3], v[109:110]
	s_waitcnt lgkmcnt(1)
	v_mul_f64 v[113:114], v[83:84], v[127:128]
	v_mul_f64 v[109:110], v[81:82], v[127:128]
	v_fma_f64 v[115:116], v[91:92], v[123:124], v[115:116]
	ds_read_b128 v[89:92], v1 offset:1072
	v_add_f64 v[97:98], v[97:98], v[117:118]
	s_waitcnt vmcnt(43) lgkmcnt(1)
	v_mul_f64 v[117:118], v[87:88], v[129:130]
	v_add_f64 v[2:3], v[2:3], v[101:102]
	s_waitcnt vmcnt(41)
	v_fma_f64 v[113:114], v[81:82], v[133:134], -v[113:114]
	v_mul_f64 v[101:102], v[85:86], v[129:130]
	v_fma_f64 v[109:110], v[83:84], v[133:134], v[109:110]
	ds_read_b128 v[81:84], v1 offset:1088
	v_add_f64 v[97:98], v[97:98], v[119:120]
	s_waitcnt vmcnt(37) lgkmcnt(1)
	v_mul_f64 v[119:120], v[91:92], v[135:136]
	v_add_f64 v[2:3], v[2:3], v[115:116]
	s_waitcnt vmcnt(36)
	v_fma_f64 v[117:118], v[85:86], v[131:132], -v[117:118]
	;; [unrolled: 9-line block ×6, first 2 shown]
	v_mul_f64 v[109:110], v[81:82], v[154:155]
	v_fma_f64 v[115:116], v[91:92], v[148:149], v[115:116]
	ds_read_b128 v[89:92], v1 offset:1168
	v_add_f64 v[97:98], v[97:98], v[117:118]
	v_add_f64 v[2:3], v[2:3], v[101:102]
	s_waitcnt vmcnt(19) lgkmcnt(1)
	v_mul_f64 v[117:118], v[87:88], v[156:157]
	v_mul_f64 v[101:102], v[85:86], v[156:157]
	s_waitcnt vmcnt(17)
	v_fma_f64 v[113:114], v[81:82], v[95:96], -v[113:114]
	v_fma_f64 v[95:96], v[83:84], v[95:96], v[109:110]
	ds_read_b128 v[81:84], v1 offset:1184
	s_waitcnt vmcnt(13) lgkmcnt(1)
	v_mul_f64 v[109:110], v[89:90], v[99:100]
	v_mul_f64 v[99:100], v[91:92], v[99:100]
	v_add_f64 v[97:98], v[97:98], v[119:120]
	v_add_f64 v[2:3], v[2:3], v[115:116]
	s_waitcnt vmcnt(12)
	v_fma_f64 v[85:86], v[85:86], v[158:159], -v[117:118]
	v_fma_f64 v[87:88], v[87:88], v[158:159], v[101:102]
	v_add_f64 v[97:98], v[97:98], v[113:114]
	v_add_f64 v[95:96], v[2:3], v[95:96]
	ds_read_b128 v[1:4], v1 offset:1200
	s_waitcnt vmcnt(11) lgkmcnt(1)
	v_mul_f64 v[113:114], v[83:84], v[160:161]
	v_mul_f64 v[101:102], v[81:82], v[160:161]
	s_waitcnt vmcnt(9)
	v_fma_f64 v[89:90], v[89:90], v[93:94], -v[99:100]
	v_fma_f64 v[91:92], v[91:92], v[93:94], v[109:110]
	v_add_f64 v[85:86], v[97:98], v[85:86]
	v_add_f64 v[87:88], v[95:96], v[87:88]
	s_waitcnt vmcnt(7) lgkmcnt(0)
	v_mul_f64 v[95:96], v[3:4], v[107:108]
	s_waitcnt vmcnt(6)
	v_fma_f64 v[81:82], v[81:82], v[165:166], -v[113:114]
	v_mul_f64 v[93:94], v[1:2], v[107:108]
	v_fma_f64 v[83:84], v[83:84], v[165:166], v[101:102]
	v_add_f64 v[85:86], v[85:86], v[89:90]
	v_add_f64 v[87:88], v[87:88], v[91:92]
	s_waitcnt vmcnt(4)
	v_fma_f64 v[1:2], v[1:2], v[105:106], -v[95:96]
	v_fma_f64 v[3:4], v[3:4], v[105:106], v[93:94]
	v_add_f64 v[81:82], v[85:86], v[81:82]
	v_add_f64 v[83:84], v[87:88], v[83:84]
	;; [unrolled: 1-line block ×4, first 2 shown]
	s_waitcnt vmcnt(2)
	v_add_f64 v[1:2], v[103:104], -v[1:2]
	s_waitcnt vmcnt(0)
	v_add_f64 v[3:4], v[111:112], -v[3:4]
	buffer_store_dword v2, off, s[0:3], 0 offset:292
	buffer_store_dword v1, off, s[0:3], 0 offset:288
	;; [unrolled: 1-line block ×4, first 2 shown]
	v_cmpx_lt_u32_e32 16, v0
	s_cbranch_execz .LBB101_209
; %bb.208:
	v_mov_b32_e32 v4, s34
	v_mov_b32_e32 v81, 0
	s_clause 0x3
	buffer_load_dword v1, v4, s[0:3], 0 offen
	buffer_load_dword v2, v4, s[0:3], 0 offen offset:4
	buffer_load_dword v3, v4, s[0:3], 0 offen offset:8
	;; [unrolled: 1-line block ×3, first 2 shown]
	buffer_store_dword v81, off, s[0:3], 0 offset:272
	buffer_store_dword v81, off, s[0:3], 0 offset:276
	;; [unrolled: 1-line block ×4, first 2 shown]
	s_waitcnt vmcnt(0)
	ds_write_b128 v137, v[1:4]
.LBB101_209:
	s_or_b32 exec_lo, exec_lo, s4
	s_waitcnt lgkmcnt(0)
	s_waitcnt_vscnt null, 0x0
	s_barrier
	buffer_gl0_inv
	s_clause 0x37
	buffer_load_dword v2, off, s[0:3], 0 offset:296
	buffer_load_dword v3, off, s[0:3], 0 offset:300
	;; [unrolled: 1-line block ×56, first 2 shown]
	v_mov_b32_e32 v1, 0
	s_mov_b32 s4, exec_lo
	ds_read_b128 v[81:84], v1 offset:880
	s_clause 0x2
	buffer_load_dword v147, off, s[0:3], 0 offset:524
	buffer_load_dword v151, off, s[0:3], 0 offset:500
	buffer_load_dword v150, off, s[0:3], 0 offset:496
	ds_read_b128 v[85:88], v1 offset:896
	s_clause 0x4
	buffer_load_dword v155, off, s[0:3], 0 offset:540
	buffer_load_dword v156, off, s[0:3], 0 offset:552
	;; [unrolled: 1-line block ×5, first 2 shown]
	ds_read_b128 v[89:92], v1 offset:912
	s_waitcnt vmcnt(62) lgkmcnt(2)
	v_mul_f64 v[152:153], v[83:84], v[2:3]
	v_mul_f64 v[2:3], v[81:82], v[2:3]
	s_waitcnt vmcnt(60) lgkmcnt(1)
	v_mul_f64 v[159:160], v[87:88], v[93:94]
	v_mul_f64 v[93:94], v[85:86], v[93:94]
	;; [unrolled: 3-line block ×3, first 2 shown]
	v_fma_f64 v[152:153], v[81:82], v[95:96], -v[152:153]
	v_fma_f64 v[2:3], v[83:84], v[95:96], v[2:3]
	s_clause 0x2
	buffer_load_dword v157, off, s[0:3], 0 offset:556
	buffer_load_dword v96, off, s[0:3], 0 offset:532
	;; [unrolled: 1-line block ×3, first 2 shown]
	s_waitcnt vmcnt(57)
	v_fma_f64 v[163:164], v[85:86], v[99:100], -v[159:160]
	ds_read_b128 v[81:84], v1 offset:928
	v_fma_f64 v[93:94], v[87:88], v[99:100], v[93:94]
	s_clause 0x4
	buffer_load_dword v100, off, s[0:3], 0 offset:572
	buffer_load_dword v160, off, s[0:3], 0 offset:584
	;; [unrolled: 1-line block ×5, first 2 shown]
	s_waitcnt vmcnt(56)
	v_fma_f64 v[97:98], v[89:90], v[107:108], -v[97:98]
	ds_read_b128 v[85:88], v1 offset:944
	v_fma_f64 v[107:108], v[91:92], v[107:108], v[161:162]
	v_add_f64 v[152:153], v[152:153], 0
	v_add_f64 v[2:3], v[2:3], 0
	s_waitcnt lgkmcnt(1)
	v_mul_f64 v[166:167], v[81:82], v[101:102]
	v_mul_f64 v[101:102], v[83:84], v[101:102]
	v_add_f64 v[152:153], v[152:153], v[163:164]
	v_add_f64 v[2:3], v[2:3], v[93:94]
	s_clause 0x2
	buffer_load_dword v161, off, s[0:3], 0 offset:588
	buffer_load_dword v94, off, s[0:3], 0 offset:564
	;; [unrolled: 1-line block ×3, first 2 shown]
	s_waitcnt vmcnt(58) lgkmcnt(0)
	v_mul_f64 v[162:163], v[85:86], v[103:104]
	v_mul_f64 v[103:104], v[87:88], v[103:104]
	s_waitcnt vmcnt(56)
	v_fma_f64 v[101:102], v[81:82], v[109:110], -v[101:102]
	ds_read_b128 v[89:92], v1 offset:960
	v_fma_f64 v[109:110], v[83:84], v[109:110], v[166:167]
	v_add_f64 v[97:98], v[152:153], v[97:98]
	v_add_f64 v[2:3], v[2:3], v[107:108]
	s_clause 0x4
	buffer_load_dword v108, off, s[0:3], 0 offset:604
	buffer_load_dword v152, off, s[0:3], 0 offset:616
	;; [unrolled: 1-line block ×5, first 2 shown]
	ds_read_b128 v[81:84], v1 offset:976
	s_waitcnt vmcnt(57) lgkmcnt(1)
	v_mul_f64 v[168:169], v[89:90], v[111:112]
	v_mul_f64 v[111:112], v[91:92], v[111:112]
	s_waitcnt vmcnt(56)
	v_fma_f64 v[103:104], v[85:86], v[105:106], -v[103:104]
	v_add_f64 v[97:98], v[97:98], v[101:102]
	v_fma_f64 v[101:102], v[87:88], v[105:106], v[162:163]
	v_add_f64 v[2:3], v[2:3], v[109:110]
	s_clause 0x2
	buffer_load_dword v153, off, s[0:3], 0 offset:620
	buffer_load_dword v106, off, s[0:3], 0 offset:596
	;; [unrolled: 1-line block ×3, first 2 shown]
	s_waitcnt vmcnt(58) lgkmcnt(0)
	v_mul_f64 v[109:110], v[81:82], v[113:114]
	v_mul_f64 v[113:114], v[83:84], v[113:114]
	s_waitcnt vmcnt(56)
	v_fma_f64 v[111:112], v[89:90], v[117:118], -v[111:112]
	ds_read_b128 v[85:88], v1 offset:992
	v_add_f64 v[97:98], v[97:98], v[103:104]
	v_fma_f64 v[103:104], v[91:92], v[117:118], v[168:169]
	v_add_f64 v[2:3], v[2:3], v[101:102]
	buffer_load_dword v168, off, s[0:3], 0 offset:612
	ds_read_b128 v[89:92], v1 offset:1008
	s_waitcnt vmcnt(53) lgkmcnt(1)
	v_mul_f64 v[117:118], v[87:88], v[119:120]
	s_waitcnt vmcnt(52)
	v_fma_f64 v[113:114], v[81:82], v[115:116], -v[113:114]
	v_mul_f64 v[101:102], v[85:86], v[119:120]
	v_fma_f64 v[109:110], v[83:84], v[115:116], v[109:110]
	ds_read_b128 v[81:84], v1 offset:1024
	v_add_f64 v[97:98], v[97:98], v[111:112]
	v_add_f64 v[2:3], v[2:3], v[103:104]
	s_waitcnt vmcnt(51) lgkmcnt(1)
	v_mul_f64 v[111:112], v[91:92], v[121:122]
	v_mul_f64 v[103:104], v[89:90], v[121:122]
	s_waitcnt vmcnt(49)
	v_fma_f64 v[115:116], v[85:86], v[125:126], -v[117:118]
	v_fma_f64 v[101:102], v[87:88], v[125:126], v[101:102]
	s_waitcnt vmcnt(45) lgkmcnt(0)
	v_mul_f64 v[119:120], v[83:84], v[127:128]
	v_mul_f64 v[117:118], v[81:82], v[127:128]
	v_add_f64 v[97:98], v[97:98], v[113:114]
	v_add_f64 v[2:3], v[2:3], v[109:110]
	s_clause 0x3
	buffer_load_dword v109, off, s[0:3], 0 offset:272
	buffer_load_dword v110, off, s[0:3], 0 offset:276
	;; [unrolled: 1-line block ×4, first 2 shown]
	s_waitcnt vmcnt(48)
	v_fma_f64 v[111:112], v[89:90], v[123:124], -v[111:112]
	ds_read_b128 v[85:88], v1 offset:1040
	v_fma_f64 v[103:104], v[91:92], v[123:124], v[103:104]
	ds_read_b128 v[89:92], v1 offset:1056
	s_waitcnt vmcnt(45)
	v_fma_f64 v[119:120], v[81:82], v[133:134], -v[119:120]
	v_add_f64 v[97:98], v[97:98], v[115:116]
	v_add_f64 v[2:3], v[2:3], v[101:102]
	s_waitcnt lgkmcnt(1)
	v_mul_f64 v[115:116], v[87:88], v[129:130]
	v_mul_f64 v[101:102], v[85:86], v[129:130]
	v_add_f64 v[97:98], v[97:98], v[111:112]
	v_fma_f64 v[111:112], v[83:84], v[133:134], v[117:118]
	v_add_f64 v[2:3], v[2:3], v[103:104]
	s_waitcnt vmcnt(41) lgkmcnt(0)
	v_mul_f64 v[117:118], v[91:92], v[135:136]
	s_waitcnt vmcnt(40)
	v_fma_f64 v[115:116], v[85:86], v[131:132], -v[115:116]
	ds_read_b128 v[81:84], v1 offset:1072
	v_mul_f64 v[103:104], v[89:90], v[135:136]
	v_fma_f64 v[101:102], v[87:88], v[131:132], v[101:102]
	ds_read_b128 v[85:88], v1 offset:1088
	v_add_f64 v[97:98], v[97:98], v[119:120]
	v_add_f64 v[2:3], v[2:3], v[111:112]
	s_waitcnt vmcnt(39) lgkmcnt(1)
	v_mul_f64 v[119:120], v[83:84], v[138:139]
	s_waitcnt vmcnt(37)
	v_fma_f64 v[117:118], v[89:90], v[142:143], -v[117:118]
	v_mul_f64 v[111:112], v[81:82], v[138:139]
	v_fma_f64 v[103:104], v[91:92], v[142:143], v[103:104]
	ds_read_b128 v[89:92], v1 offset:1104
	v_add_f64 v[97:98], v[97:98], v[115:116]
	s_waitcnt vmcnt(33) lgkmcnt(1)
	v_mul_f64 v[115:116], v[87:88], v[144:145]
	v_add_f64 v[2:3], v[2:3], v[101:102]
	s_waitcnt vmcnt(32)
	v_fma_f64 v[119:120], v[81:82], v[140:141], -v[119:120]
	v_mul_f64 v[101:102], v[85:86], v[144:145]
	v_fma_f64 v[111:112], v[83:84], v[140:141], v[111:112]
	ds_read_b128 v[81:84], v1 offset:1120
	v_add_f64 v[97:98], v[97:98], v[117:118]
	s_waitcnt vmcnt(31) lgkmcnt(1)
	v_mul_f64 v[117:118], v[91:92], v[146:147]
	v_add_f64 v[2:3], v[2:3], v[103:104]
	;; [unrolled: 9-line block ×3, first 2 shown]
	s_waitcnt vmcnt(24)
	v_fma_f64 v[117:118], v[89:90], v[148:149], -v[117:118]
	v_mul_f64 v[111:112], v[81:82], v[154:155]
	v_fma_f64 v[103:104], v[91:92], v[148:149], v[103:104]
	ds_read_b128 v[89:92], v1 offset:1152
	v_add_f64 v[97:98], v[97:98], v[115:116]
	v_add_f64 v[2:3], v[2:3], v[101:102]
	s_waitcnt vmcnt(23) lgkmcnt(1)
	v_mul_f64 v[115:116], v[87:88], v[156:157]
	v_mul_f64 v[101:102], v[85:86], v[156:157]
	s_waitcnt vmcnt(21)
	v_fma_f64 v[119:120], v[81:82], v[95:96], -v[119:120]
	v_fma_f64 v[95:96], v[83:84], v[95:96], v[111:112]
	ds_read_b128 v[81:84], v1 offset:1168
	v_add_f64 v[97:98], v[97:98], v[117:118]
	v_add_f64 v[2:3], v[2:3], v[103:104]
	s_waitcnt vmcnt(17) lgkmcnt(1)
	v_mul_f64 v[103:104], v[89:90], v[99:100]
	v_mul_f64 v[99:100], v[91:92], v[99:100]
	s_waitcnt vmcnt(16)
	v_fma_f64 v[111:112], v[85:86], v[158:159], -v[115:116]
	;; [unrolled: 9-line block ×3, first 2 shown]
	v_fma_f64 v[93:94], v[91:92], v[93:94], v[103:104]
	ds_read_b128 v[89:92], v1 offset:1200
	v_add_f64 v[97:98], v[97:98], v[111:112]
	v_add_f64 v[2:3], v[2:3], v[101:102]
	s_waitcnt vmcnt(9) lgkmcnt(1)
	v_mul_f64 v[103:104], v[87:88], v[107:108]
	s_waitcnt vmcnt(8)
	v_fma_f64 v[81:82], v[81:82], v[165:166], -v[115:116]
	v_mul_f64 v[101:102], v[85:86], v[107:108]
	v_fma_f64 v[83:84], v[83:84], v[165:166], v[95:96]
	v_add_f64 v[97:98], v[97:98], v[99:100]
	v_add_f64 v[2:3], v[2:3], v[93:94]
	s_waitcnt vmcnt(7) lgkmcnt(0)
	v_mul_f64 v[95:96], v[91:92], v[152:153]
	v_mul_f64 v[93:94], v[89:90], v[152:153]
	s_waitcnt vmcnt(5)
	v_fma_f64 v[85:86], v[85:86], v[105:106], -v[103:104]
	v_fma_f64 v[87:88], v[87:88], v[105:106], v[101:102]
	v_add_f64 v[81:82], v[97:98], v[81:82]
	v_add_f64 v[2:3], v[2:3], v[83:84]
	s_waitcnt vmcnt(4)
	v_fma_f64 v[83:84], v[89:90], v[167:168], -v[95:96]
	v_add_f64 v[81:82], v[81:82], v[85:86]
	v_fma_f64 v[85:86], v[91:92], v[167:168], v[93:94]
	v_add_f64 v[2:3], v[2:3], v[87:88]
	v_add_f64 v[81:82], v[81:82], v[83:84]
	;; [unrolled: 1-line block ×3, first 2 shown]
	s_waitcnt vmcnt(2)
	v_add_f64 v[81:82], v[109:110], -v[81:82]
	s_waitcnt vmcnt(0)
	v_add_f64 v[2:3], v[113:114], -v[2:3]
	buffer_store_dword v82, off, s[0:3], 0 offset:276
	buffer_store_dword v81, off, s[0:3], 0 offset:272
	;; [unrolled: 1-line block ×4, first 2 shown]
	v_cmpx_lt_u32_e32 15, v0
	s_cbranch_execz .LBB101_211
; %bb.210:
	v_mov_b32_e32 v2, s35
	s_clause 0x3
	buffer_load_dword v81, v2, s[0:3], 0 offen
	buffer_load_dword v82, v2, s[0:3], 0 offen offset:4
	buffer_load_dword v83, v2, s[0:3], 0 offen offset:8
	;; [unrolled: 1-line block ×3, first 2 shown]
	buffer_store_dword v1, off, s[0:3], 0 offset:256
	buffer_store_dword v1, off, s[0:3], 0 offset:260
	;; [unrolled: 1-line block ×4, first 2 shown]
	s_waitcnt vmcnt(0)
	ds_write_b128 v137, v[81:84]
.LBB101_211:
	s_or_b32 exec_lo, exec_lo, s4
	s_waitcnt lgkmcnt(0)
	s_waitcnt_vscnt null, 0x0
	s_barrier
	buffer_gl0_inv
	s_clause 0x37
	buffer_load_dword v2, off, s[0:3], 0 offset:280
	buffer_load_dword v3, off, s[0:3], 0 offset:284
	;; [unrolled: 1-line block ×56, first 2 shown]
	ds_read_b128 v[81:84], v1 offset:864
	s_clause 0x2
	buffer_load_dword v147, off, s[0:3], 0 offset:508
	buffer_load_dword v151, off, s[0:3], 0 offset:484
	;; [unrolled: 1-line block ×3, first 2 shown]
	ds_read_b128 v[85:88], v1 offset:880
	s_clause 0x4
	buffer_load_dword v155, off, s[0:3], 0 offset:524
	buffer_load_dword v156, off, s[0:3], 0 offset:536
	;; [unrolled: 1-line block ×5, first 2 shown]
	ds_read_b128 v[89:92], v1 offset:896
	s_mov_b32 s4, exec_lo
	s_waitcnt vmcnt(62) lgkmcnt(2)
	v_mul_f64 v[152:153], v[83:84], v[2:3]
	v_mul_f64 v[2:3], v[81:82], v[2:3]
	s_waitcnt vmcnt(60) lgkmcnt(1)
	v_mul_f64 v[159:160], v[87:88], v[93:94]
	v_mul_f64 v[93:94], v[85:86], v[93:94]
	;; [unrolled: 3-line block ×3, first 2 shown]
	v_fma_f64 v[152:153], v[81:82], v[95:96], -v[152:153]
	v_fma_f64 v[2:3], v[83:84], v[95:96], v[2:3]
	s_clause 0x2
	buffer_load_dword v157, off, s[0:3], 0 offset:540
	buffer_load_dword v96, off, s[0:3], 0 offset:516
	;; [unrolled: 1-line block ×3, first 2 shown]
	s_waitcnt vmcnt(57)
	v_fma_f64 v[163:164], v[85:86], v[99:100], -v[159:160]
	ds_read_b128 v[81:84], v1 offset:912
	v_fma_f64 v[93:94], v[87:88], v[99:100], v[93:94]
	s_clause 0x4
	buffer_load_dword v100, off, s[0:3], 0 offset:556
	buffer_load_dword v160, off, s[0:3], 0 offset:568
	;; [unrolled: 1-line block ×5, first 2 shown]
	s_waitcnt vmcnt(56)
	v_fma_f64 v[97:98], v[89:90], v[107:108], -v[97:98]
	ds_read_b128 v[85:88], v1 offset:928
	v_fma_f64 v[107:108], v[91:92], v[107:108], v[161:162]
	v_add_f64 v[152:153], v[152:153], 0
	v_add_f64 v[2:3], v[2:3], 0
	s_waitcnt lgkmcnt(1)
	v_mul_f64 v[166:167], v[81:82], v[101:102]
	v_mul_f64 v[101:102], v[83:84], v[101:102]
	v_add_f64 v[152:153], v[152:153], v[163:164]
	v_add_f64 v[2:3], v[2:3], v[93:94]
	s_clause 0x2
	buffer_load_dword v161, off, s[0:3], 0 offset:572
	buffer_load_dword v94, off, s[0:3], 0 offset:548
	;; [unrolled: 1-line block ×3, first 2 shown]
	s_waitcnt vmcnt(58) lgkmcnt(0)
	v_mul_f64 v[162:163], v[85:86], v[103:104]
	v_mul_f64 v[103:104], v[87:88], v[103:104]
	s_waitcnt vmcnt(56)
	v_fma_f64 v[101:102], v[81:82], v[109:110], -v[101:102]
	ds_read_b128 v[89:92], v1 offset:944
	v_fma_f64 v[109:110], v[83:84], v[109:110], v[166:167]
	v_add_f64 v[97:98], v[152:153], v[97:98]
	v_add_f64 v[2:3], v[2:3], v[107:108]
	s_clause 0x4
	buffer_load_dword v108, off, s[0:3], 0 offset:588
	buffer_load_dword v152, off, s[0:3], 0 offset:600
	;; [unrolled: 1-line block ×5, first 2 shown]
	ds_read_b128 v[81:84], v1 offset:960
	s_waitcnt vmcnt(57) lgkmcnt(1)
	v_mul_f64 v[168:169], v[89:90], v[111:112]
	v_mul_f64 v[111:112], v[91:92], v[111:112]
	s_waitcnt vmcnt(56)
	v_fma_f64 v[103:104], v[85:86], v[105:106], -v[103:104]
	v_add_f64 v[97:98], v[97:98], v[101:102]
	v_fma_f64 v[101:102], v[87:88], v[105:106], v[162:163]
	v_add_f64 v[2:3], v[2:3], v[109:110]
	s_clause 0x2
	buffer_load_dword v153, off, s[0:3], 0 offset:604
	buffer_load_dword v106, off, s[0:3], 0 offset:580
	;; [unrolled: 1-line block ×3, first 2 shown]
	s_waitcnt vmcnt(58) lgkmcnt(0)
	v_mul_f64 v[109:110], v[81:82], v[113:114]
	v_mul_f64 v[113:114], v[83:84], v[113:114]
	s_waitcnt vmcnt(56)
	v_fma_f64 v[111:112], v[89:90], v[117:118], -v[111:112]
	ds_read_b128 v[85:88], v1 offset:976
	v_add_f64 v[97:98], v[97:98], v[103:104]
	v_fma_f64 v[103:104], v[91:92], v[117:118], v[168:169]
	v_add_f64 v[2:3], v[2:3], v[101:102]
	s_clause 0x2
	buffer_load_dword v102, off, s[0:3], 0 offset:620
	buffer_load_dword v101, off, s[0:3], 0 offset:616
	;; [unrolled: 1-line block ×3, first 2 shown]
	ds_read_b128 v[89:92], v1 offset:992
	s_waitcnt vmcnt(55) lgkmcnt(1)
	v_mul_f64 v[117:118], v[85:86], v[119:120]
	v_mul_f64 v[119:120], v[87:88], v[119:120]
	s_waitcnt vmcnt(54)
	v_fma_f64 v[113:114], v[81:82], v[115:116], -v[113:114]
	v_fma_f64 v[109:110], v[83:84], v[115:116], v[109:110]
	v_add_f64 v[97:98], v[97:98], v[111:112]
	v_add_f64 v[2:3], v[2:3], v[103:104]
	s_clause 0x1
	buffer_load_dword v104, off, s[0:3], 0 offset:612
	buffer_load_dword v103, off, s[0:3], 0 offset:608
	s_waitcnt vmcnt(55) lgkmcnt(0)
	v_mul_f64 v[115:116], v[91:92], v[121:122]
	ds_read_b128 v[81:84], v1 offset:1008
	s_waitcnt vmcnt(53)
	v_fma_f64 v[119:120], v[85:86], v[125:126], -v[119:120]
	v_mul_f64 v[111:112], v[89:90], v[121:122]
	v_add_f64 v[97:98], v[97:98], v[113:114]
	v_fma_f64 v[113:114], v[87:88], v[125:126], v[117:118]
	v_add_f64 v[2:3], v[2:3], v[109:110]
	ds_read_b128 v[85:88], v1 offset:1024
	s_waitcnt vmcnt(49) lgkmcnt(1)
	v_mul_f64 v[117:118], v[83:84], v[127:128]
	s_waitcnt vmcnt(48)
	v_fma_f64 v[115:116], v[89:90], v[123:124], -v[115:116]
	v_mul_f64 v[109:110], v[81:82], v[127:128]
	v_fma_f64 v[111:112], v[91:92], v[123:124], v[111:112]
	v_add_f64 v[97:98], v[97:98], v[119:120]
	s_waitcnt vmcnt(47) lgkmcnt(0)
	v_mul_f64 v[123:124], v[87:88], v[129:130]
	v_add_f64 v[2:3], v[2:3], v[113:114]
	s_clause 0x3
	buffer_load_dword v113, off, s[0:3], 0 offset:256
	buffer_load_dword v114, off, s[0:3], 0 offset:260
	;; [unrolled: 1-line block ×4, first 2 shown]
	s_waitcnt vmcnt(49)
	v_fma_f64 v[117:118], v[81:82], v[133:134], -v[117:118]
	ds_read_b128 v[89:92], v1 offset:1040
	v_mul_f64 v[121:122], v[85:86], v[129:130]
	v_fma_f64 v[109:110], v[83:84], v[133:134], v[109:110]
	ds_read_b128 v[81:84], v1 offset:1056
	v_add_f64 v[97:98], v[97:98], v[115:116]
	s_waitcnt vmcnt(44)
	v_fma_f64 v[123:124], v[85:86], v[131:132], -v[123:124]
	v_add_f64 v[2:3], v[2:3], v[111:112]
	s_waitcnt lgkmcnt(1)
	v_mul_f64 v[115:116], v[91:92], v[135:136]
	v_mul_f64 v[111:112], v[89:90], v[135:136]
	v_add_f64 v[97:98], v[97:98], v[117:118]
	v_fma_f64 v[117:118], v[87:88], v[131:132], v[121:122]
	v_add_f64 v[2:3], v[2:3], v[109:110]
	s_waitcnt vmcnt(43) lgkmcnt(0)
	v_mul_f64 v[121:122], v[83:84], v[138:139]
	s_waitcnt vmcnt(41)
	v_fma_f64 v[115:116], v[89:90], v[142:143], -v[115:116]
	ds_read_b128 v[85:88], v1 offset:1072
	v_mul_f64 v[109:110], v[81:82], v[138:139]
	v_fma_f64 v[111:112], v[91:92], v[142:143], v[111:112]
	ds_read_b128 v[89:92], v1 offset:1088
	v_add_f64 v[97:98], v[97:98], v[123:124]
	v_add_f64 v[2:3], v[2:3], v[117:118]
	s_waitcnt vmcnt(37) lgkmcnt(1)
	v_mul_f64 v[123:124], v[87:88], v[144:145]
	s_waitcnt vmcnt(36)
	v_fma_f64 v[121:122], v[81:82], v[140:141], -v[121:122]
	v_mul_f64 v[117:118], v[85:86], v[144:145]
	v_fma_f64 v[109:110], v[83:84], v[140:141], v[109:110]
	ds_read_b128 v[81:84], v1 offset:1104
	v_add_f64 v[97:98], v[97:98], v[115:116]
	s_waitcnt vmcnt(35) lgkmcnt(1)
	v_mul_f64 v[115:116], v[91:92], v[146:147]
	v_add_f64 v[2:3], v[2:3], v[111:112]
	s_waitcnt vmcnt(33)
	v_fma_f64 v[123:124], v[85:86], v[150:151], -v[123:124]
	v_mul_f64 v[111:112], v[89:90], v[146:147]
	v_fma_f64 v[117:118], v[87:88], v[150:151], v[117:118]
	ds_read_b128 v[85:88], v1 offset:1120
	v_add_f64 v[97:98], v[97:98], v[121:122]
	s_waitcnt vmcnt(29) lgkmcnt(1)
	v_mul_f64 v[121:122], v[83:84], v[154:155]
	v_add_f64 v[2:3], v[2:3], v[109:110]
	s_waitcnt vmcnt(28)
	v_fma_f64 v[115:116], v[89:90], v[148:149], -v[115:116]
	v_mul_f64 v[109:110], v[81:82], v[154:155]
	v_fma_f64 v[111:112], v[91:92], v[148:149], v[111:112]
	ds_read_b128 v[89:92], v1 offset:1136
	v_add_f64 v[97:98], v[97:98], v[123:124]
	v_add_f64 v[2:3], v[2:3], v[117:118]
	s_waitcnt vmcnt(27) lgkmcnt(1)
	v_mul_f64 v[123:124], v[87:88], v[156:157]
	v_mul_f64 v[117:118], v[85:86], v[156:157]
	s_waitcnt vmcnt(25)
	v_fma_f64 v[121:122], v[81:82], v[95:96], -v[121:122]
	v_fma_f64 v[95:96], v[83:84], v[95:96], v[109:110]
	ds_read_b128 v[81:84], v1 offset:1152
	s_waitcnt vmcnt(21) lgkmcnt(1)
	v_mul_f64 v[109:110], v[89:90], v[99:100]
	v_mul_f64 v[99:100], v[91:92], v[99:100]
	v_add_f64 v[97:98], v[97:98], v[115:116]
	v_add_f64 v[2:3], v[2:3], v[111:112]
	s_waitcnt vmcnt(20)
	v_fma_f64 v[111:112], v[85:86], v[158:159], -v[123:124]
	v_fma_f64 v[115:116], v[87:88], v[158:159], v[117:118]
	ds_read_b128 v[85:88], v1 offset:1168
	v_add_f64 v[97:98], v[97:98], v[121:122]
	v_add_f64 v[2:3], v[2:3], v[95:96]
	s_waitcnt vmcnt(19) lgkmcnt(1)
	v_mul_f64 v[117:118], v[83:84], v[160:161]
	v_mul_f64 v[95:96], v[81:82], v[160:161]
	s_waitcnt vmcnt(17)
	v_fma_f64 v[99:100], v[89:90], v[93:94], -v[99:100]
	v_fma_f64 v[93:94], v[91:92], v[93:94], v[109:110]
	ds_read_b128 v[89:92], v1 offset:1184
	v_add_f64 v[97:98], v[97:98], v[111:112]
	v_add_f64 v[2:3], v[2:3], v[115:116]
	s_waitcnt vmcnt(13) lgkmcnt(1)
	v_mul_f64 v[109:110], v[85:86], v[107:108]
	v_mul_f64 v[107:108], v[87:88], v[107:108]
	s_waitcnt vmcnt(12)
	v_fma_f64 v[81:82], v[81:82], v[165:166], -v[117:118]
	v_fma_f64 v[83:84], v[83:84], v[165:166], v[95:96]
	v_add_f64 v[97:98], v[97:98], v[99:100]
	v_add_f64 v[93:94], v[2:3], v[93:94]
	ds_read_b128 v[1:4], v1 offset:1200
	s_waitcnt vmcnt(11) lgkmcnt(1)
	v_mul_f64 v[99:100], v[91:92], v[152:153]
	v_mul_f64 v[95:96], v[89:90], v[152:153]
	s_waitcnt vmcnt(9)
	v_fma_f64 v[85:86], v[85:86], v[105:106], -v[107:108]
	v_fma_f64 v[87:88], v[87:88], v[105:106], v[109:110]
	v_add_f64 v[81:82], v[97:98], v[81:82]
	v_add_f64 v[83:84], v[93:94], v[83:84]
	s_waitcnt vmcnt(7) lgkmcnt(0)
	v_mul_f64 v[97:98], v[3:4], v[101:102]
	s_waitcnt vmcnt(6)
	v_fma_f64 v[89:90], v[89:90], v[167:168], -v[99:100]
	v_mul_f64 v[93:94], v[1:2], v[101:102]
	v_add_f64 v[81:82], v[81:82], v[85:86]
	v_fma_f64 v[85:86], v[91:92], v[167:168], v[95:96]
	v_add_f64 v[83:84], v[83:84], v[87:88]
	s_waitcnt vmcnt(4)
	v_fma_f64 v[1:2], v[1:2], v[103:104], -v[97:98]
	v_fma_f64 v[3:4], v[3:4], v[103:104], v[93:94]
	v_add_f64 v[81:82], v[81:82], v[89:90]
	v_add_f64 v[83:84], v[83:84], v[85:86]
	;; [unrolled: 1-line block ×4, first 2 shown]
	s_waitcnt vmcnt(2)
	v_add_f64 v[1:2], v[113:114], -v[1:2]
	s_waitcnt vmcnt(0)
	v_add_f64 v[3:4], v[119:120], -v[3:4]
	buffer_store_dword v2, off, s[0:3], 0 offset:260
	buffer_store_dword v1, off, s[0:3], 0 offset:256
	;; [unrolled: 1-line block ×4, first 2 shown]
	v_cmpx_lt_u32_e32 14, v0
	s_cbranch_execz .LBB101_213
; %bb.212:
	v_mov_b32_e32 v4, s36
	v_mov_b32_e32 v81, 0
	s_clause 0x3
	buffer_load_dword v1, v4, s[0:3], 0 offen
	buffer_load_dword v2, v4, s[0:3], 0 offen offset:4
	buffer_load_dword v3, v4, s[0:3], 0 offen offset:8
	;; [unrolled: 1-line block ×3, first 2 shown]
	buffer_store_dword v81, off, s[0:3], 0 offset:240
	buffer_store_dword v81, off, s[0:3], 0 offset:244
	;; [unrolled: 1-line block ×4, first 2 shown]
	s_waitcnt vmcnt(0)
	ds_write_b128 v137, v[1:4]
.LBB101_213:
	s_or_b32 exec_lo, exec_lo, s4
	s_waitcnt lgkmcnt(0)
	s_waitcnt_vscnt null, 0x0
	s_barrier
	buffer_gl0_inv
	s_clause 0x37
	buffer_load_dword v2, off, s[0:3], 0 offset:264
	buffer_load_dword v3, off, s[0:3], 0 offset:268
	;; [unrolled: 1-line block ×56, first 2 shown]
	v_mov_b32_e32 v1, 0
	s_mov_b32 s4, exec_lo
	ds_read_b128 v[81:84], v1 offset:848
	s_clause 0x2
	buffer_load_dword v147, off, s[0:3], 0 offset:492
	buffer_load_dword v151, off, s[0:3], 0 offset:468
	;; [unrolled: 1-line block ×3, first 2 shown]
	ds_read_b128 v[85:88], v1 offset:864
	s_clause 0x4
	buffer_load_dword v155, off, s[0:3], 0 offset:508
	buffer_load_dword v156, off, s[0:3], 0 offset:520
	;; [unrolled: 1-line block ×5, first 2 shown]
	ds_read_b128 v[89:92], v1 offset:880
	s_waitcnt vmcnt(62) lgkmcnt(2)
	v_mul_f64 v[152:153], v[83:84], v[2:3]
	v_mul_f64 v[2:3], v[81:82], v[2:3]
	s_waitcnt vmcnt(60) lgkmcnt(1)
	v_mul_f64 v[159:160], v[87:88], v[93:94]
	v_mul_f64 v[93:94], v[85:86], v[93:94]
	;; [unrolled: 3-line block ×3, first 2 shown]
	v_fma_f64 v[152:153], v[81:82], v[95:96], -v[152:153]
	v_fma_f64 v[2:3], v[83:84], v[95:96], v[2:3]
	s_clause 0x2
	buffer_load_dword v157, off, s[0:3], 0 offset:524
	buffer_load_dword v96, off, s[0:3], 0 offset:500
	;; [unrolled: 1-line block ×3, first 2 shown]
	s_waitcnt vmcnt(57)
	v_fma_f64 v[163:164], v[85:86], v[99:100], -v[159:160]
	ds_read_b128 v[81:84], v1 offset:896
	v_fma_f64 v[93:94], v[87:88], v[99:100], v[93:94]
	s_clause 0x4
	buffer_load_dword v100, off, s[0:3], 0 offset:540
	buffer_load_dword v160, off, s[0:3], 0 offset:552
	;; [unrolled: 1-line block ×5, first 2 shown]
	s_waitcnt vmcnt(56)
	v_fma_f64 v[97:98], v[89:90], v[107:108], -v[97:98]
	ds_read_b128 v[85:88], v1 offset:912
	v_fma_f64 v[107:108], v[91:92], v[107:108], v[161:162]
	v_add_f64 v[152:153], v[152:153], 0
	v_add_f64 v[2:3], v[2:3], 0
	s_waitcnt lgkmcnt(1)
	v_mul_f64 v[166:167], v[81:82], v[101:102]
	v_mul_f64 v[101:102], v[83:84], v[101:102]
	v_add_f64 v[152:153], v[152:153], v[163:164]
	v_add_f64 v[2:3], v[2:3], v[93:94]
	s_clause 0x2
	buffer_load_dword v161, off, s[0:3], 0 offset:556
	buffer_load_dword v94, off, s[0:3], 0 offset:532
	;; [unrolled: 1-line block ×3, first 2 shown]
	s_waitcnt vmcnt(58) lgkmcnt(0)
	v_mul_f64 v[162:163], v[85:86], v[103:104]
	v_mul_f64 v[103:104], v[87:88], v[103:104]
	s_waitcnt vmcnt(56)
	v_fma_f64 v[101:102], v[81:82], v[109:110], -v[101:102]
	ds_read_b128 v[89:92], v1 offset:928
	v_fma_f64 v[109:110], v[83:84], v[109:110], v[166:167]
	v_add_f64 v[97:98], v[152:153], v[97:98]
	v_add_f64 v[2:3], v[2:3], v[107:108]
	s_clause 0x4
	buffer_load_dword v108, off, s[0:3], 0 offset:572
	buffer_load_dword v152, off, s[0:3], 0 offset:584
	;; [unrolled: 1-line block ×5, first 2 shown]
	ds_read_b128 v[81:84], v1 offset:944
	s_waitcnt vmcnt(57) lgkmcnt(1)
	v_mul_f64 v[168:169], v[89:90], v[111:112]
	v_mul_f64 v[111:112], v[91:92], v[111:112]
	s_waitcnt vmcnt(56)
	v_fma_f64 v[103:104], v[85:86], v[105:106], -v[103:104]
	v_add_f64 v[97:98], v[97:98], v[101:102]
	v_fma_f64 v[101:102], v[87:88], v[105:106], v[162:163]
	v_add_f64 v[2:3], v[2:3], v[109:110]
	s_clause 0x2
	buffer_load_dword v153, off, s[0:3], 0 offset:588
	buffer_load_dword v106, off, s[0:3], 0 offset:564
	buffer_load_dword v105, off, s[0:3], 0 offset:560
	s_waitcnt vmcnt(58) lgkmcnt(0)
	v_mul_f64 v[109:110], v[81:82], v[113:114]
	v_mul_f64 v[113:114], v[83:84], v[113:114]
	s_waitcnt vmcnt(56)
	v_fma_f64 v[111:112], v[89:90], v[117:118], -v[111:112]
	ds_read_b128 v[85:88], v1 offset:960
	v_add_f64 v[97:98], v[97:98], v[103:104]
	v_fma_f64 v[103:104], v[91:92], v[117:118], v[168:169]
	v_add_f64 v[2:3], v[2:3], v[101:102]
	s_clause 0x4
	buffer_load_dword v102, off, s[0:3], 0 offset:604
	buffer_load_dword v117, off, s[0:3], 0 offset:616
	;; [unrolled: 1-line block ×5, first 2 shown]
	ds_read_b128 v[89:92], v1 offset:976
	s_waitcnt vmcnt(57) lgkmcnt(1)
	v_mul_f64 v[163:164], v[85:86], v[119:120]
	v_mul_f64 v[119:120], v[87:88], v[119:120]
	s_waitcnt vmcnt(56)
	v_fma_f64 v[113:114], v[81:82], v[115:116], -v[113:114]
	v_fma_f64 v[109:110], v[83:84], v[115:116], v[109:110]
	v_add_f64 v[97:98], v[97:98], v[111:112]
	v_add_f64 v[2:3], v[2:3], v[103:104]
	s_clause 0x2
	buffer_load_dword v118, off, s[0:3], 0 offset:620
	buffer_load_dword v104, off, s[0:3], 0 offset:596
	;; [unrolled: 1-line block ×3, first 2 shown]
	s_waitcnt vmcnt(58) lgkmcnt(0)
	v_mul_f64 v[115:116], v[91:92], v[121:122]
	ds_read_b128 v[81:84], v1 offset:992
	s_waitcnt vmcnt(56)
	v_fma_f64 v[119:120], v[85:86], v[125:126], -v[119:120]
	v_mul_f64 v[111:112], v[89:90], v[121:122]
	v_add_f64 v[97:98], v[97:98], v[113:114]
	v_fma_f64 v[113:114], v[87:88], v[125:126], v[163:164]
	v_add_f64 v[2:3], v[2:3], v[109:110]
	buffer_load_dword v163, off, s[0:3], 0 offset:612
	ds_read_b128 v[85:88], v1 offset:1008
	s_waitcnt vmcnt(53) lgkmcnt(1)
	v_mul_f64 v[121:122], v[83:84], v[127:128]
	s_waitcnt vmcnt(52)
	v_fma_f64 v[115:116], v[89:90], v[123:124], -v[115:116]
	v_mul_f64 v[109:110], v[81:82], v[127:128]
	v_fma_f64 v[111:112], v[91:92], v[123:124], v[111:112]
	ds_read_b128 v[89:92], v1 offset:1024
	v_add_f64 v[97:98], v[97:98], v[119:120]
	v_add_f64 v[2:3], v[2:3], v[113:114]
	s_waitcnt vmcnt(51) lgkmcnt(1)
	v_mul_f64 v[119:120], v[87:88], v[129:130]
	v_mul_f64 v[113:114], v[85:86], v[129:130]
	s_waitcnt vmcnt(49)
	v_fma_f64 v[121:122], v[81:82], v[133:134], -v[121:122]
	v_fma_f64 v[109:110], v[83:84], v[133:134], v[109:110]
	s_waitcnt vmcnt(45) lgkmcnt(0)
	v_mul_f64 v[125:126], v[91:92], v[135:136]
	v_mul_f64 v[123:124], v[89:90], v[135:136]
	v_add_f64 v[97:98], v[97:98], v[115:116]
	v_add_f64 v[2:3], v[2:3], v[111:112]
	s_clause 0x3
	buffer_load_dword v111, off, s[0:3], 0 offset:240
	buffer_load_dword v112, off, s[0:3], 0 offset:244
	;; [unrolled: 1-line block ×4, first 2 shown]
	s_waitcnt vmcnt(48)
	v_fma_f64 v[119:120], v[85:86], v[131:132], -v[119:120]
	ds_read_b128 v[81:84], v1 offset:1040
	v_fma_f64 v[113:114], v[87:88], v[131:132], v[113:114]
	ds_read_b128 v[85:88], v1 offset:1056
	s_waitcnt vmcnt(45)
	v_fma_f64 v[125:126], v[89:90], v[142:143], -v[125:126]
	v_add_f64 v[97:98], v[97:98], v[121:122]
	v_add_f64 v[2:3], v[2:3], v[109:110]
	s_waitcnt lgkmcnt(1)
	v_mul_f64 v[121:122], v[83:84], v[138:139]
	v_mul_f64 v[109:110], v[81:82], v[138:139]
	v_add_f64 v[97:98], v[97:98], v[119:120]
	v_fma_f64 v[119:120], v[91:92], v[142:143], v[123:124]
	v_add_f64 v[2:3], v[2:3], v[113:114]
	s_waitcnt vmcnt(41) lgkmcnt(0)
	v_mul_f64 v[123:124], v[87:88], v[144:145]
	s_waitcnt vmcnt(40)
	v_fma_f64 v[121:122], v[81:82], v[140:141], -v[121:122]
	ds_read_b128 v[89:92], v1 offset:1072
	v_mul_f64 v[113:114], v[85:86], v[144:145]
	v_fma_f64 v[109:110], v[83:84], v[140:141], v[109:110]
	ds_read_b128 v[81:84], v1 offset:1088
	v_add_f64 v[97:98], v[97:98], v[125:126]
	v_add_f64 v[2:3], v[2:3], v[119:120]
	s_waitcnt vmcnt(39) lgkmcnt(1)
	v_mul_f64 v[125:126], v[91:92], v[146:147]
	s_waitcnt vmcnt(37)
	v_fma_f64 v[123:124], v[85:86], v[150:151], -v[123:124]
	v_mul_f64 v[119:120], v[89:90], v[146:147]
	v_fma_f64 v[113:114], v[87:88], v[150:151], v[113:114]
	ds_read_b128 v[85:88], v1 offset:1104
	v_add_f64 v[97:98], v[97:98], v[121:122]
	s_waitcnt vmcnt(33) lgkmcnt(1)
	v_mul_f64 v[121:122], v[83:84], v[154:155]
	v_add_f64 v[2:3], v[2:3], v[109:110]
	s_waitcnt vmcnt(32)
	v_fma_f64 v[125:126], v[89:90], v[148:149], -v[125:126]
	v_mul_f64 v[109:110], v[81:82], v[154:155]
	v_fma_f64 v[119:120], v[91:92], v[148:149], v[119:120]
	ds_read_b128 v[89:92], v1 offset:1120
	v_add_f64 v[97:98], v[97:98], v[123:124]
	v_add_f64 v[2:3], v[2:3], v[113:114]
	s_waitcnt vmcnt(31) lgkmcnt(1)
	v_mul_f64 v[123:124], v[87:88], v[156:157]
	v_mul_f64 v[113:114], v[85:86], v[156:157]
	s_waitcnt vmcnt(29)
	v_fma_f64 v[121:122], v[81:82], v[95:96], -v[121:122]
	v_fma_f64 v[95:96], v[83:84], v[95:96], v[109:110]
	ds_read_b128 v[81:84], v1 offset:1136
	s_waitcnt vmcnt(25) lgkmcnt(1)
	v_mul_f64 v[109:110], v[89:90], v[99:100]
	v_mul_f64 v[99:100], v[91:92], v[99:100]
	v_add_f64 v[97:98], v[97:98], v[125:126]
	v_add_f64 v[2:3], v[2:3], v[119:120]
	s_waitcnt vmcnt(24)
	v_fma_f64 v[119:120], v[85:86], v[158:159], -v[123:124]
	v_fma_f64 v[113:114], v[87:88], v[158:159], v[113:114]
	ds_read_b128 v[85:88], v1 offset:1152
	v_add_f64 v[97:98], v[97:98], v[121:122]
	v_add_f64 v[2:3], v[2:3], v[95:96]
	s_waitcnt vmcnt(23) lgkmcnt(1)
	v_mul_f64 v[121:122], v[83:84], v[160:161]
	v_mul_f64 v[95:96], v[81:82], v[160:161]
	s_waitcnt vmcnt(21)
	v_fma_f64 v[99:100], v[89:90], v[93:94], -v[99:100]
	v_fma_f64 v[93:94], v[91:92], v[93:94], v[109:110]
	ds_read_b128 v[89:92], v1 offset:1168
	v_add_f64 v[97:98], v[97:98], v[119:120]
	v_add_f64 v[2:3], v[2:3], v[113:114]
	s_waitcnt vmcnt(17) lgkmcnt(1)
	v_mul_f64 v[109:110], v[85:86], v[107:108]
	v_mul_f64 v[107:108], v[87:88], v[107:108]
	s_waitcnt vmcnt(16)
	v_fma_f64 v[113:114], v[81:82], v[165:166], -v[121:122]
	v_fma_f64 v[95:96], v[83:84], v[165:166], v[95:96]
	ds_read_b128 v[81:84], v1 offset:1184
	v_add_f64 v[97:98], v[97:98], v[99:100]
	v_add_f64 v[2:3], v[2:3], v[93:94]
	s_waitcnt vmcnt(15) lgkmcnt(1)
	v_mul_f64 v[99:100], v[91:92], v[152:153]
	v_mul_f64 v[93:94], v[89:90], v[152:153]
	s_waitcnt vmcnt(13)
	v_fma_f64 v[107:108], v[85:86], v[105:106], -v[107:108]
	v_fma_f64 v[105:106], v[87:88], v[105:106], v[109:110]
	ds_read_b128 v[85:88], v1 offset:1200
	v_add_f64 v[97:98], v[97:98], v[113:114]
	v_add_f64 v[2:3], v[2:3], v[95:96]
	s_waitcnt vmcnt(9) lgkmcnt(1)
	v_mul_f64 v[95:96], v[81:82], v[101:102]
	v_mul_f64 v[101:102], v[83:84], v[101:102]
	s_waitcnt vmcnt(8)
	v_fma_f64 v[89:90], v[89:90], v[167:168], -v[99:100]
	v_fma_f64 v[91:92], v[91:92], v[167:168], v[93:94]
	v_add_f64 v[97:98], v[97:98], v[107:108]
	v_add_f64 v[2:3], v[2:3], v[105:106]
	s_waitcnt vmcnt(7) lgkmcnt(0)
	v_mul_f64 v[99:100], v[87:88], v[117:118]
	v_mul_f64 v[93:94], v[85:86], v[117:118]
	s_waitcnt vmcnt(5)
	v_fma_f64 v[81:82], v[81:82], v[103:104], -v[101:102]
	v_fma_f64 v[83:84], v[83:84], v[103:104], v[95:96]
	v_add_f64 v[89:90], v[97:98], v[89:90]
	v_add_f64 v[2:3], v[2:3], v[91:92]
	s_waitcnt vmcnt(4)
	v_fma_f64 v[85:86], v[85:86], v[162:163], -v[99:100]
	v_fma_f64 v[87:88], v[87:88], v[162:163], v[93:94]
	v_add_f64 v[81:82], v[89:90], v[81:82]
	v_add_f64 v[2:3], v[2:3], v[83:84]
	;; [unrolled: 1-line block ×4, first 2 shown]
	s_waitcnt vmcnt(2)
	v_add_f64 v[81:82], v[111:112], -v[81:82]
	s_waitcnt vmcnt(0)
	v_add_f64 v[2:3], v[115:116], -v[2:3]
	buffer_store_dword v82, off, s[0:3], 0 offset:244
	buffer_store_dword v81, off, s[0:3], 0 offset:240
	;; [unrolled: 1-line block ×4, first 2 shown]
	v_cmpx_lt_u32_e32 13, v0
	s_cbranch_execz .LBB101_215
; %bb.214:
	v_mov_b32_e32 v2, s37
	s_clause 0x3
	buffer_load_dword v81, v2, s[0:3], 0 offen
	buffer_load_dword v82, v2, s[0:3], 0 offen offset:4
	buffer_load_dword v83, v2, s[0:3], 0 offen offset:8
	;; [unrolled: 1-line block ×3, first 2 shown]
	buffer_store_dword v1, off, s[0:3], 0 offset:224
	buffer_store_dword v1, off, s[0:3], 0 offset:228
	;; [unrolled: 1-line block ×4, first 2 shown]
	s_waitcnt vmcnt(0)
	ds_write_b128 v137, v[81:84]
.LBB101_215:
	s_or_b32 exec_lo, exec_lo, s4
	s_waitcnt lgkmcnt(0)
	s_waitcnt_vscnt null, 0x0
	s_barrier
	buffer_gl0_inv
	s_clause 0x37
	buffer_load_dword v2, off, s[0:3], 0 offset:248
	buffer_load_dword v3, off, s[0:3], 0 offset:252
	;; [unrolled: 1-line block ×56, first 2 shown]
	ds_read_b128 v[81:84], v1 offset:832
	s_clause 0x2
	buffer_load_dword v147, off, s[0:3], 0 offset:476
	buffer_load_dword v151, off, s[0:3], 0 offset:452
	;; [unrolled: 1-line block ×3, first 2 shown]
	ds_read_b128 v[85:88], v1 offset:848
	s_clause 0x4
	buffer_load_dword v155, off, s[0:3], 0 offset:492
	buffer_load_dword v156, off, s[0:3], 0 offset:504
	;; [unrolled: 1-line block ×5, first 2 shown]
	ds_read_b128 v[89:92], v1 offset:864
	s_mov_b32 s4, exec_lo
	s_waitcnt vmcnt(62) lgkmcnt(2)
	v_mul_f64 v[152:153], v[83:84], v[2:3]
	v_mul_f64 v[2:3], v[81:82], v[2:3]
	s_waitcnt vmcnt(60) lgkmcnt(1)
	v_mul_f64 v[159:160], v[87:88], v[93:94]
	v_mul_f64 v[93:94], v[85:86], v[93:94]
	;; [unrolled: 3-line block ×3, first 2 shown]
	v_fma_f64 v[152:153], v[81:82], v[95:96], -v[152:153]
	v_fma_f64 v[2:3], v[83:84], v[95:96], v[2:3]
	s_clause 0x2
	buffer_load_dword v157, off, s[0:3], 0 offset:508
	buffer_load_dword v96, off, s[0:3], 0 offset:484
	;; [unrolled: 1-line block ×3, first 2 shown]
	s_waitcnt vmcnt(57)
	v_fma_f64 v[163:164], v[85:86], v[99:100], -v[159:160]
	ds_read_b128 v[81:84], v1 offset:880
	v_fma_f64 v[93:94], v[87:88], v[99:100], v[93:94]
	s_clause 0x4
	buffer_load_dword v100, off, s[0:3], 0 offset:524
	buffer_load_dword v160, off, s[0:3], 0 offset:536
	;; [unrolled: 1-line block ×5, first 2 shown]
	s_waitcnt vmcnt(56)
	v_fma_f64 v[97:98], v[89:90], v[107:108], -v[97:98]
	ds_read_b128 v[85:88], v1 offset:896
	v_fma_f64 v[107:108], v[91:92], v[107:108], v[161:162]
	v_add_f64 v[152:153], v[152:153], 0
	v_add_f64 v[2:3], v[2:3], 0
	s_waitcnt lgkmcnt(1)
	v_mul_f64 v[166:167], v[81:82], v[101:102]
	v_mul_f64 v[101:102], v[83:84], v[101:102]
	v_add_f64 v[152:153], v[152:153], v[163:164]
	v_add_f64 v[2:3], v[2:3], v[93:94]
	s_clause 0x2
	buffer_load_dword v161, off, s[0:3], 0 offset:540
	buffer_load_dword v94, off, s[0:3], 0 offset:516
	buffer_load_dword v93, off, s[0:3], 0 offset:512
	s_waitcnt vmcnt(58) lgkmcnt(0)
	v_mul_f64 v[162:163], v[85:86], v[103:104]
	v_mul_f64 v[103:104], v[87:88], v[103:104]
	s_waitcnt vmcnt(56)
	v_fma_f64 v[101:102], v[81:82], v[109:110], -v[101:102]
	ds_read_b128 v[89:92], v1 offset:912
	v_fma_f64 v[109:110], v[83:84], v[109:110], v[166:167]
	v_add_f64 v[97:98], v[152:153], v[97:98]
	v_add_f64 v[2:3], v[2:3], v[107:108]
	s_clause 0x4
	buffer_load_dword v108, off, s[0:3], 0 offset:556
	buffer_load_dword v152, off, s[0:3], 0 offset:568
	;; [unrolled: 1-line block ×5, first 2 shown]
	ds_read_b128 v[81:84], v1 offset:928
	s_waitcnt vmcnt(57) lgkmcnt(1)
	v_mul_f64 v[168:169], v[89:90], v[111:112]
	v_mul_f64 v[111:112], v[91:92], v[111:112]
	s_waitcnt vmcnt(56)
	v_fma_f64 v[103:104], v[85:86], v[105:106], -v[103:104]
	v_add_f64 v[97:98], v[97:98], v[101:102]
	v_fma_f64 v[101:102], v[87:88], v[105:106], v[162:163]
	v_add_f64 v[2:3], v[2:3], v[109:110]
	s_clause 0x2
	buffer_load_dword v153, off, s[0:3], 0 offset:572
	buffer_load_dword v106, off, s[0:3], 0 offset:548
	;; [unrolled: 1-line block ×3, first 2 shown]
	s_waitcnt vmcnt(58) lgkmcnt(0)
	v_mul_f64 v[109:110], v[81:82], v[113:114]
	v_mul_f64 v[113:114], v[83:84], v[113:114]
	s_waitcnt vmcnt(56)
	v_fma_f64 v[111:112], v[89:90], v[117:118], -v[111:112]
	ds_read_b128 v[85:88], v1 offset:944
	v_add_f64 v[97:98], v[97:98], v[103:104]
	v_fma_f64 v[103:104], v[91:92], v[117:118], v[168:169]
	v_add_f64 v[2:3], v[2:3], v[101:102]
	s_clause 0x4
	buffer_load_dword v102, off, s[0:3], 0 offset:588
	buffer_load_dword v117, off, s[0:3], 0 offset:600
	;; [unrolled: 1-line block ×5, first 2 shown]
	ds_read_b128 v[89:92], v1 offset:960
	s_waitcnt vmcnt(57) lgkmcnt(1)
	v_mul_f64 v[163:164], v[85:86], v[119:120]
	v_mul_f64 v[119:120], v[87:88], v[119:120]
	s_waitcnt vmcnt(56)
	v_fma_f64 v[113:114], v[81:82], v[115:116], -v[113:114]
	v_fma_f64 v[109:110], v[83:84], v[115:116], v[109:110]
	v_add_f64 v[97:98], v[97:98], v[111:112]
	v_add_f64 v[2:3], v[2:3], v[103:104]
	s_clause 0x2
	buffer_load_dword v118, off, s[0:3], 0 offset:604
	buffer_load_dword v104, off, s[0:3], 0 offset:580
	;; [unrolled: 1-line block ×3, first 2 shown]
	s_waitcnt vmcnt(58) lgkmcnt(0)
	v_mul_f64 v[115:116], v[91:92], v[121:122]
	ds_read_b128 v[81:84], v1 offset:976
	s_waitcnt vmcnt(56)
	v_fma_f64 v[119:120], v[85:86], v[125:126], -v[119:120]
	v_mul_f64 v[111:112], v[89:90], v[121:122]
	v_add_f64 v[97:98], v[97:98], v[113:114]
	v_fma_f64 v[113:114], v[87:88], v[125:126], v[163:164]
	v_add_f64 v[2:3], v[2:3], v[109:110]
	s_clause 0x2
	buffer_load_dword v110, off, s[0:3], 0 offset:620
	buffer_load_dword v109, off, s[0:3], 0 offset:616
	;; [unrolled: 1-line block ×3, first 2 shown]
	s_waitcnt vmcnt(55) lgkmcnt(0)
	v_mul_f64 v[125:126], v[83:84], v[127:128]
	s_waitcnt vmcnt(54)
	v_fma_f64 v[115:116], v[89:90], v[123:124], -v[115:116]
	ds_read_b128 v[85:88], v1 offset:992
	v_mul_f64 v[121:122], v[81:82], v[127:128]
	v_fma_f64 v[111:112], v[91:92], v[123:124], v[111:112]
	v_add_f64 v[97:98], v[97:98], v[119:120]
	v_add_f64 v[2:3], v[2:3], v[113:114]
	s_clause 0x1
	buffer_load_dword v114, off, s[0:3], 0 offset:612
	buffer_load_dword v113, off, s[0:3], 0 offset:608
	s_waitcnt vmcnt(55) lgkmcnt(0)
	v_mul_f64 v[123:124], v[87:88], v[129:130]
	s_waitcnt vmcnt(53)
	v_fma_f64 v[125:126], v[81:82], v[133:134], -v[125:126]
	ds_read_b128 v[89:92], v1 offset:1008
	v_mul_f64 v[119:120], v[85:86], v[129:130]
	v_add_f64 v[97:98], v[97:98], v[115:116]
	v_fma_f64 v[115:116], v[83:84], v[133:134], v[121:122]
	v_add_f64 v[2:3], v[2:3], v[111:112]
	ds_read_b128 v[81:84], v1 offset:1024
	s_waitcnt vmcnt(49) lgkmcnt(1)
	v_mul_f64 v[121:122], v[91:92], v[135:136]
	s_waitcnt vmcnt(48)
	v_fma_f64 v[123:124], v[85:86], v[131:132], -v[123:124]
	v_mul_f64 v[111:112], v[89:90], v[135:136]
	v_fma_f64 v[119:120], v[87:88], v[131:132], v[119:120]
	v_add_f64 v[97:98], v[97:98], v[125:126]
	s_waitcnt vmcnt(47) lgkmcnt(0)
	v_mul_f64 v[129:130], v[83:84], v[138:139]
	v_add_f64 v[2:3], v[2:3], v[115:116]
	s_clause 0x3
	buffer_load_dword v115, off, s[0:3], 0 offset:224
	buffer_load_dword v116, off, s[0:3], 0 offset:228
	;; [unrolled: 1-line block ×4, first 2 shown]
	s_waitcnt vmcnt(49)
	v_fma_f64 v[121:122], v[89:90], v[142:143], -v[121:122]
	ds_read_b128 v[85:88], v1 offset:1040
	v_mul_f64 v[127:128], v[81:82], v[138:139]
	v_fma_f64 v[111:112], v[91:92], v[142:143], v[111:112]
	ds_read_b128 v[89:92], v1 offset:1056
	v_add_f64 v[97:98], v[97:98], v[123:124]
	s_waitcnt vmcnt(44)
	v_fma_f64 v[129:130], v[81:82], v[140:141], -v[129:130]
	v_add_f64 v[2:3], v[2:3], v[119:120]
	s_waitcnt lgkmcnt(1)
	v_mul_f64 v[123:124], v[87:88], v[144:145]
	v_mul_f64 v[119:120], v[85:86], v[144:145]
	v_add_f64 v[97:98], v[97:98], v[121:122]
	v_fma_f64 v[121:122], v[83:84], v[140:141], v[127:128]
	v_add_f64 v[2:3], v[2:3], v[111:112]
	s_waitcnt vmcnt(43) lgkmcnt(0)
	v_mul_f64 v[127:128], v[91:92], v[146:147]
	s_waitcnt vmcnt(41)
	v_fma_f64 v[123:124], v[85:86], v[150:151], -v[123:124]
	ds_read_b128 v[81:84], v1 offset:1072
	v_mul_f64 v[111:112], v[89:90], v[146:147]
	v_fma_f64 v[119:120], v[87:88], v[150:151], v[119:120]
	ds_read_b128 v[85:88], v1 offset:1088
	v_add_f64 v[97:98], v[97:98], v[129:130]
	v_add_f64 v[2:3], v[2:3], v[121:122]
	s_waitcnt vmcnt(37) lgkmcnt(1)
	v_mul_f64 v[129:130], v[83:84], v[154:155]
	s_waitcnt vmcnt(36)
	v_fma_f64 v[127:128], v[89:90], v[148:149], -v[127:128]
	v_mul_f64 v[121:122], v[81:82], v[154:155]
	v_fma_f64 v[111:112], v[91:92], v[148:149], v[111:112]
	ds_read_b128 v[89:92], v1 offset:1104
	v_add_f64 v[97:98], v[97:98], v[123:124]
	v_add_f64 v[2:3], v[2:3], v[119:120]
	s_waitcnt vmcnt(35) lgkmcnt(1)
	v_mul_f64 v[123:124], v[87:88], v[156:157]
	v_mul_f64 v[119:120], v[85:86], v[156:157]
	s_waitcnt vmcnt(33)
	v_fma_f64 v[129:130], v[81:82], v[95:96], -v[129:130]
	v_fma_f64 v[95:96], v[83:84], v[95:96], v[121:122]
	ds_read_b128 v[81:84], v1 offset:1120
	v_add_f64 v[97:98], v[97:98], v[127:128]
	v_add_f64 v[2:3], v[2:3], v[111:112]
	s_waitcnt vmcnt(29) lgkmcnt(1)
	v_mul_f64 v[111:112], v[89:90], v[99:100]
	v_mul_f64 v[99:100], v[91:92], v[99:100]
	s_waitcnt vmcnt(28)
	v_fma_f64 v[121:122], v[85:86], v[158:159], -v[123:124]
	;; [unrolled: 9-line block ×6, first 2 shown]
	v_fma_f64 v[91:92], v[91:92], v[167:168], v[93:94]
	v_add_f64 v[97:98], v[97:98], v[107:108]
	v_add_f64 v[93:94], v[2:3], v[105:106]
	ds_read_b128 v[1:4], v1 offset:1200
	s_waitcnt vmcnt(11) lgkmcnt(1)
	v_mul_f64 v[105:106], v[87:88], v[117:118]
	v_mul_f64 v[99:100], v[85:86], v[117:118]
	s_waitcnt vmcnt(9)
	v_fma_f64 v[81:82], v[81:82], v[103:104], -v[101:102]
	v_fma_f64 v[83:84], v[83:84], v[103:104], v[95:96]
	v_add_f64 v[89:90], v[97:98], v[89:90]
	v_add_f64 v[91:92], v[93:94], v[91:92]
	s_waitcnt vmcnt(7) lgkmcnt(0)
	v_mul_f64 v[95:96], v[3:4], v[109:110]
	s_waitcnt vmcnt(6)
	v_fma_f64 v[85:86], v[85:86], v[162:163], -v[105:106]
	v_mul_f64 v[93:94], v[1:2], v[109:110]
	v_fma_f64 v[87:88], v[87:88], v[162:163], v[99:100]
	v_add_f64 v[81:82], v[89:90], v[81:82]
	v_add_f64 v[83:84], v[91:92], v[83:84]
	s_waitcnt vmcnt(4)
	v_fma_f64 v[1:2], v[1:2], v[113:114], -v[95:96]
	v_fma_f64 v[3:4], v[3:4], v[113:114], v[93:94]
	v_add_f64 v[81:82], v[81:82], v[85:86]
	v_add_f64 v[83:84], v[83:84], v[87:88]
	;; [unrolled: 1-line block ×4, first 2 shown]
	s_waitcnt vmcnt(2)
	v_add_f64 v[1:2], v[115:116], -v[1:2]
	s_waitcnt vmcnt(0)
	v_add_f64 v[3:4], v[125:126], -v[3:4]
	buffer_store_dword v2, off, s[0:3], 0 offset:228
	buffer_store_dword v1, off, s[0:3], 0 offset:224
	;; [unrolled: 1-line block ×4, first 2 shown]
	v_cmpx_lt_u32_e32 12, v0
	s_cbranch_execz .LBB101_217
; %bb.216:
	v_mov_b32_e32 v4, s38
	v_mov_b32_e32 v81, 0
	s_clause 0x3
	buffer_load_dword v1, v4, s[0:3], 0 offen
	buffer_load_dword v2, v4, s[0:3], 0 offen offset:4
	buffer_load_dword v3, v4, s[0:3], 0 offen offset:8
	buffer_load_dword v4, v4, s[0:3], 0 offen offset:12
	buffer_store_dword v81, off, s[0:3], 0 offset:208
	buffer_store_dword v81, off, s[0:3], 0 offset:212
	;; [unrolled: 1-line block ×4, first 2 shown]
	s_waitcnt vmcnt(0)
	ds_write_b128 v137, v[1:4]
.LBB101_217:
	s_or_b32 exec_lo, exec_lo, s4
	s_waitcnt lgkmcnt(0)
	s_waitcnt_vscnt null, 0x0
	s_barrier
	buffer_gl0_inv
	s_clause 0x37
	buffer_load_dword v2, off, s[0:3], 0 offset:232
	buffer_load_dword v3, off, s[0:3], 0 offset:236
	;; [unrolled: 1-line block ×56, first 2 shown]
	v_mov_b32_e32 v1, 0
	s_mov_b32 s4, exec_lo
	ds_read_b128 v[81:84], v1 offset:816
	s_clause 0x2
	buffer_load_dword v147, off, s[0:3], 0 offset:460
	buffer_load_dword v151, off, s[0:3], 0 offset:436
	;; [unrolled: 1-line block ×3, first 2 shown]
	ds_read_b128 v[85:88], v1 offset:832
	s_clause 0x4
	buffer_load_dword v155, off, s[0:3], 0 offset:476
	buffer_load_dword v156, off, s[0:3], 0 offset:488
	;; [unrolled: 1-line block ×5, first 2 shown]
	ds_read_b128 v[89:92], v1 offset:848
	s_waitcnt vmcnt(62) lgkmcnt(2)
	v_mul_f64 v[152:153], v[83:84], v[2:3]
	v_mul_f64 v[2:3], v[81:82], v[2:3]
	s_waitcnt vmcnt(60) lgkmcnt(1)
	v_mul_f64 v[159:160], v[87:88], v[93:94]
	v_mul_f64 v[93:94], v[85:86], v[93:94]
	s_waitcnt vmcnt(56) lgkmcnt(0)
	v_mul_f64 v[161:162], v[89:90], v[97:98]
	v_mul_f64 v[97:98], v[91:92], v[97:98]
	v_fma_f64 v[152:153], v[81:82], v[95:96], -v[152:153]
	v_fma_f64 v[2:3], v[83:84], v[95:96], v[2:3]
	s_clause 0x2
	buffer_load_dword v157, off, s[0:3], 0 offset:492
	buffer_load_dword v96, off, s[0:3], 0 offset:468
	;; [unrolled: 1-line block ×3, first 2 shown]
	s_waitcnt vmcnt(57)
	v_fma_f64 v[163:164], v[85:86], v[99:100], -v[159:160]
	ds_read_b128 v[81:84], v1 offset:864
	v_fma_f64 v[93:94], v[87:88], v[99:100], v[93:94]
	s_clause 0x4
	buffer_load_dword v100, off, s[0:3], 0 offset:508
	buffer_load_dword v160, off, s[0:3], 0 offset:520
	;; [unrolled: 1-line block ×5, first 2 shown]
	s_waitcnt vmcnt(56)
	v_fma_f64 v[97:98], v[89:90], v[107:108], -v[97:98]
	ds_read_b128 v[85:88], v1 offset:880
	v_fma_f64 v[107:108], v[91:92], v[107:108], v[161:162]
	v_add_f64 v[152:153], v[152:153], 0
	v_add_f64 v[2:3], v[2:3], 0
	s_waitcnt lgkmcnt(1)
	v_mul_f64 v[166:167], v[81:82], v[101:102]
	v_mul_f64 v[101:102], v[83:84], v[101:102]
	v_add_f64 v[152:153], v[152:153], v[163:164]
	v_add_f64 v[2:3], v[2:3], v[93:94]
	s_clause 0x2
	buffer_load_dword v161, off, s[0:3], 0 offset:524
	buffer_load_dword v94, off, s[0:3], 0 offset:500
	;; [unrolled: 1-line block ×3, first 2 shown]
	s_waitcnt vmcnt(58) lgkmcnt(0)
	v_mul_f64 v[162:163], v[85:86], v[103:104]
	v_mul_f64 v[103:104], v[87:88], v[103:104]
	s_waitcnt vmcnt(56)
	v_fma_f64 v[101:102], v[81:82], v[109:110], -v[101:102]
	ds_read_b128 v[89:92], v1 offset:896
	v_fma_f64 v[109:110], v[83:84], v[109:110], v[166:167]
	v_add_f64 v[97:98], v[152:153], v[97:98]
	v_add_f64 v[2:3], v[2:3], v[107:108]
	s_clause 0x4
	buffer_load_dword v108, off, s[0:3], 0 offset:540
	buffer_load_dword v152, off, s[0:3], 0 offset:552
	;; [unrolled: 1-line block ×5, first 2 shown]
	ds_read_b128 v[81:84], v1 offset:912
	s_waitcnt vmcnt(57) lgkmcnt(1)
	v_mul_f64 v[168:169], v[89:90], v[111:112]
	v_mul_f64 v[111:112], v[91:92], v[111:112]
	s_waitcnt vmcnt(56)
	v_fma_f64 v[103:104], v[85:86], v[105:106], -v[103:104]
	v_add_f64 v[97:98], v[97:98], v[101:102]
	v_fma_f64 v[101:102], v[87:88], v[105:106], v[162:163]
	v_add_f64 v[2:3], v[2:3], v[109:110]
	s_clause 0x2
	buffer_load_dword v153, off, s[0:3], 0 offset:556
	buffer_load_dword v106, off, s[0:3], 0 offset:532
	;; [unrolled: 1-line block ×3, first 2 shown]
	s_waitcnt vmcnt(58) lgkmcnt(0)
	v_mul_f64 v[109:110], v[81:82], v[113:114]
	v_mul_f64 v[113:114], v[83:84], v[113:114]
	s_waitcnt vmcnt(56)
	v_fma_f64 v[111:112], v[89:90], v[117:118], -v[111:112]
	ds_read_b128 v[85:88], v1 offset:928
	v_add_f64 v[97:98], v[97:98], v[103:104]
	v_fma_f64 v[103:104], v[91:92], v[117:118], v[168:169]
	v_add_f64 v[2:3], v[2:3], v[101:102]
	s_clause 0x4
	buffer_load_dword v102, off, s[0:3], 0 offset:572
	buffer_load_dword v117, off, s[0:3], 0 offset:584
	;; [unrolled: 1-line block ×5, first 2 shown]
	ds_read_b128 v[89:92], v1 offset:944
	s_waitcnt vmcnt(57) lgkmcnt(1)
	v_mul_f64 v[163:164], v[85:86], v[119:120]
	v_mul_f64 v[119:120], v[87:88], v[119:120]
	s_waitcnt vmcnt(56)
	v_fma_f64 v[113:114], v[81:82], v[115:116], -v[113:114]
	v_fma_f64 v[109:110], v[83:84], v[115:116], v[109:110]
	v_add_f64 v[97:98], v[97:98], v[111:112]
	v_add_f64 v[2:3], v[2:3], v[103:104]
	s_clause 0x2
	buffer_load_dword v118, off, s[0:3], 0 offset:588
	buffer_load_dword v104, off, s[0:3], 0 offset:564
	;; [unrolled: 1-line block ×3, first 2 shown]
	s_waitcnt vmcnt(58) lgkmcnt(0)
	v_mul_f64 v[115:116], v[91:92], v[121:122]
	ds_read_b128 v[81:84], v1 offset:960
	s_waitcnt vmcnt(56)
	v_fma_f64 v[119:120], v[85:86], v[125:126], -v[119:120]
	v_mul_f64 v[111:112], v[89:90], v[121:122]
	v_add_f64 v[97:98], v[97:98], v[113:114]
	v_fma_f64 v[113:114], v[87:88], v[125:126], v[163:164]
	v_add_f64 v[2:3], v[2:3], v[109:110]
	s_clause 0x4
	buffer_load_dword v110, off, s[0:3], 0 offset:604
	buffer_load_dword v121, off, s[0:3], 0 offset:616
	buffer_load_dword v125, off, s[0:3], 0 offset:608
	buffer_load_dword v109, off, s[0:3], 0 offset:600
	buffer_load_dword v163, off, s[0:3], 0 offset:580
	s_waitcnt vmcnt(57) lgkmcnt(0)
	v_mul_f64 v[169:170], v[81:82], v[127:128]
	v_mul_f64 v[126:127], v[83:84], v[127:128]
	s_waitcnt vmcnt(56)
	v_fma_f64 v[115:116], v[89:90], v[123:124], -v[115:116]
	ds_read_b128 v[85:88], v1 offset:976
	v_fma_f64 v[111:112], v[91:92], v[123:124], v[111:112]
	v_add_f64 v[97:98], v[97:98], v[119:120]
	v_add_f64 v[2:3], v[2:3], v[113:114]
	s_clause 0x2
	buffer_load_dword v122, off, s[0:3], 0 offset:620
	buffer_load_dword v114, off, s[0:3], 0 offset:596
	;; [unrolled: 1-line block ×3, first 2 shown]
	ds_read_b128 v[89:92], v1 offset:992
	s_waitcnt vmcnt(58) lgkmcnt(1)
	v_mul_f64 v[123:124], v[87:88], v[129:130]
	s_waitcnt vmcnt(56)
	v_fma_f64 v[127:128], v[81:82], v[133:134], -v[126:127]
	v_mul_f64 v[119:120], v[85:86], v[129:130]
	buffer_load_dword v126, off, s[0:3], 0 offset:612
	v_add_f64 v[97:98], v[97:98], v[115:116]
	v_fma_f64 v[115:116], v[83:84], v[133:134], v[169:170]
	v_add_f64 v[2:3], v[2:3], v[111:112]
	ds_read_b128 v[81:84], v1 offset:1008
	s_waitcnt vmcnt(53) lgkmcnt(1)
	v_mul_f64 v[129:130], v[91:92], v[135:136]
	s_waitcnt vmcnt(52)
	v_fma_f64 v[123:124], v[85:86], v[131:132], -v[123:124]
	v_mul_f64 v[111:112], v[89:90], v[135:136]
	v_fma_f64 v[119:120], v[87:88], v[131:132], v[119:120]
	ds_read_b128 v[85:88], v1 offset:1024
	v_add_f64 v[97:98], v[97:98], v[127:128]
	s_waitcnt vmcnt(51) lgkmcnt(1)
	v_mul_f64 v[127:128], v[83:84], v[138:139]
	v_add_f64 v[2:3], v[2:3], v[115:116]
	v_mul_f64 v[115:116], v[81:82], v[138:139]
	s_waitcnt vmcnt(49)
	v_fma_f64 v[129:130], v[89:90], v[142:143], -v[129:130]
	v_fma_f64 v[111:112], v[91:92], v[142:143], v[111:112]
	s_waitcnt vmcnt(45) lgkmcnt(0)
	v_mul_f64 v[133:134], v[87:88], v[144:145]
	v_mul_f64 v[131:132], v[85:86], v[144:145]
	v_add_f64 v[97:98], v[97:98], v[123:124]
	s_waitcnt vmcnt(44)
	v_fma_f64 v[127:128], v[81:82], v[140:141], -v[127:128]
	v_add_f64 v[2:3], v[2:3], v[119:120]
	s_clause 0x3
	buffer_load_dword v119, off, s[0:3], 0 offset:208
	buffer_load_dword v120, off, s[0:3], 0 offset:212
	;; [unrolled: 1-line block ×4, first 2 shown]
	ds_read_b128 v[89:92], v1 offset:1040
	v_fma_f64 v[115:116], v[83:84], v[140:141], v[115:116]
	ds_read_b128 v[81:84], v1 offset:1056
	s_waitcnt vmcnt(45)
	v_fma_f64 v[133:134], v[85:86], v[150:151], -v[133:134]
	v_add_f64 v[97:98], v[97:98], v[129:130]
	v_add_f64 v[2:3], v[2:3], v[111:112]
	s_waitcnt lgkmcnt(1)
	v_mul_f64 v[129:130], v[91:92], v[146:147]
	v_mul_f64 v[111:112], v[89:90], v[146:147]
	v_add_f64 v[97:98], v[97:98], v[127:128]
	v_fma_f64 v[127:128], v[87:88], v[150:151], v[131:132]
	v_add_f64 v[2:3], v[2:3], v[115:116]
	s_waitcnt vmcnt(41) lgkmcnt(0)
	v_mul_f64 v[131:132], v[83:84], v[154:155]
	s_waitcnt vmcnt(40)
	v_fma_f64 v[129:130], v[89:90], v[148:149], -v[129:130]
	ds_read_b128 v[85:88], v1 offset:1072
	v_mul_f64 v[115:116], v[81:82], v[154:155]
	v_fma_f64 v[111:112], v[91:92], v[148:149], v[111:112]
	ds_read_b128 v[89:92], v1 offset:1088
	v_add_f64 v[97:98], v[97:98], v[133:134]
	v_add_f64 v[2:3], v[2:3], v[127:128]
	s_waitcnt vmcnt(39) lgkmcnt(1)
	v_mul_f64 v[133:134], v[87:88], v[156:157]
	v_mul_f64 v[127:128], v[85:86], v[156:157]
	s_waitcnt vmcnt(37)
	v_fma_f64 v[131:132], v[81:82], v[95:96], -v[131:132]
	v_fma_f64 v[95:96], v[83:84], v[95:96], v[115:116]
	ds_read_b128 v[81:84], v1 offset:1104
	v_add_f64 v[97:98], v[97:98], v[129:130]
	v_add_f64 v[2:3], v[2:3], v[111:112]
	s_waitcnt vmcnt(33) lgkmcnt(1)
	v_mul_f64 v[111:112], v[89:90], v[99:100]
	v_mul_f64 v[99:100], v[91:92], v[99:100]
	s_waitcnt vmcnt(32)
	v_fma_f64 v[115:116], v[85:86], v[158:159], -v[133:134]
	;; [unrolled: 9-line block ×7, first 2 shown]
	v_fma_f64 v[95:96], v[83:84], v[103:104], v[95:96]
	ds_read_b128 v[81:84], v1 offset:1200
	v_add_f64 v[97:98], v[97:98], v[99:100]
	v_add_f64 v[2:3], v[2:3], v[93:94]
	s_waitcnt vmcnt(9) lgkmcnt(1)
	v_mul_f64 v[99:100], v[91:92], v[109:110]
	s_waitcnt vmcnt(8)
	v_fma_f64 v[85:86], v[85:86], v[162:163], -v[107:108]
	v_mul_f64 v[93:94], v[89:90], v[109:110]
	v_fma_f64 v[87:88], v[87:88], v[162:163], v[105:106]
	v_add_f64 v[97:98], v[97:98], v[101:102]
	v_add_f64 v[2:3], v[2:3], v[95:96]
	s_waitcnt vmcnt(7) lgkmcnt(0)
	v_mul_f64 v[101:102], v[83:84], v[121:122]
	v_mul_f64 v[95:96], v[81:82], v[121:122]
	s_waitcnt vmcnt(5)
	v_fma_f64 v[89:90], v[89:90], v[113:114], -v[99:100]
	v_fma_f64 v[91:92], v[91:92], v[113:114], v[93:94]
	v_add_f64 v[85:86], v[97:98], v[85:86]
	v_add_f64 v[2:3], v[2:3], v[87:88]
	s_waitcnt vmcnt(4)
	v_fma_f64 v[81:82], v[81:82], v[125:126], -v[101:102]
	v_fma_f64 v[83:84], v[83:84], v[125:126], v[95:96]
	v_add_f64 v[85:86], v[85:86], v[89:90]
	v_add_f64 v[2:3], v[2:3], v[91:92]
	;; [unrolled: 1-line block ×4, first 2 shown]
	s_waitcnt vmcnt(2)
	v_add_f64 v[81:82], v[119:120], -v[81:82]
	s_waitcnt vmcnt(0)
	v_add_f64 v[2:3], v[123:124], -v[2:3]
	buffer_store_dword v82, off, s[0:3], 0 offset:212
	buffer_store_dword v81, off, s[0:3], 0 offset:208
	;; [unrolled: 1-line block ×4, first 2 shown]
	v_cmpx_lt_u32_e32 11, v0
	s_cbranch_execz .LBB101_219
; %bb.218:
	v_mov_b32_e32 v2, s39
	s_clause 0x3
	buffer_load_dword v81, v2, s[0:3], 0 offen
	buffer_load_dword v82, v2, s[0:3], 0 offen offset:4
	buffer_load_dword v83, v2, s[0:3], 0 offen offset:8
	;; [unrolled: 1-line block ×3, first 2 shown]
	buffer_store_dword v1, off, s[0:3], 0 offset:192
	buffer_store_dword v1, off, s[0:3], 0 offset:196
	;; [unrolled: 1-line block ×4, first 2 shown]
	s_waitcnt vmcnt(0)
	ds_write_b128 v137, v[81:84]
.LBB101_219:
	s_or_b32 exec_lo, exec_lo, s4
	s_waitcnt lgkmcnt(0)
	s_waitcnt_vscnt null, 0x0
	s_barrier
	buffer_gl0_inv
	s_clause 0x37
	buffer_load_dword v2, off, s[0:3], 0 offset:216
	buffer_load_dword v3, off, s[0:3], 0 offset:220
	;; [unrolled: 1-line block ×56, first 2 shown]
	ds_read_b128 v[81:84], v1 offset:800
	s_clause 0x2
	buffer_load_dword v147, off, s[0:3], 0 offset:444
	buffer_load_dword v151, off, s[0:3], 0 offset:420
	;; [unrolled: 1-line block ×3, first 2 shown]
	ds_read_b128 v[85:88], v1 offset:816
	s_clause 0x4
	buffer_load_dword v155, off, s[0:3], 0 offset:460
	buffer_load_dword v156, off, s[0:3], 0 offset:472
	;; [unrolled: 1-line block ×5, first 2 shown]
	ds_read_b128 v[89:92], v1 offset:832
	s_mov_b32 s4, exec_lo
	s_waitcnt vmcnt(62) lgkmcnt(2)
	v_mul_f64 v[152:153], v[83:84], v[2:3]
	v_mul_f64 v[2:3], v[81:82], v[2:3]
	s_waitcnt vmcnt(60) lgkmcnt(1)
	v_mul_f64 v[159:160], v[87:88], v[93:94]
	v_mul_f64 v[93:94], v[85:86], v[93:94]
	;; [unrolled: 3-line block ×3, first 2 shown]
	v_fma_f64 v[152:153], v[81:82], v[95:96], -v[152:153]
	v_fma_f64 v[2:3], v[83:84], v[95:96], v[2:3]
	s_clause 0x2
	buffer_load_dword v157, off, s[0:3], 0 offset:476
	buffer_load_dword v96, off, s[0:3], 0 offset:452
	;; [unrolled: 1-line block ×3, first 2 shown]
	s_waitcnt vmcnt(57)
	v_fma_f64 v[163:164], v[85:86], v[99:100], -v[159:160]
	ds_read_b128 v[81:84], v1 offset:848
	v_fma_f64 v[93:94], v[87:88], v[99:100], v[93:94]
	s_clause 0x4
	buffer_load_dword v100, off, s[0:3], 0 offset:492
	buffer_load_dword v160, off, s[0:3], 0 offset:504
	;; [unrolled: 1-line block ×5, first 2 shown]
	s_waitcnt vmcnt(56)
	v_fma_f64 v[97:98], v[89:90], v[107:108], -v[97:98]
	ds_read_b128 v[85:88], v1 offset:864
	v_fma_f64 v[107:108], v[91:92], v[107:108], v[161:162]
	v_add_f64 v[152:153], v[152:153], 0
	v_add_f64 v[2:3], v[2:3], 0
	s_waitcnt lgkmcnt(1)
	v_mul_f64 v[166:167], v[81:82], v[101:102]
	v_mul_f64 v[101:102], v[83:84], v[101:102]
	v_add_f64 v[152:153], v[152:153], v[163:164]
	v_add_f64 v[2:3], v[2:3], v[93:94]
	s_clause 0x2
	buffer_load_dword v161, off, s[0:3], 0 offset:508
	buffer_load_dword v94, off, s[0:3], 0 offset:484
	buffer_load_dword v93, off, s[0:3], 0 offset:480
	s_waitcnt vmcnt(58) lgkmcnt(0)
	v_mul_f64 v[162:163], v[85:86], v[103:104]
	v_mul_f64 v[103:104], v[87:88], v[103:104]
	s_waitcnt vmcnt(56)
	v_fma_f64 v[101:102], v[81:82], v[109:110], -v[101:102]
	ds_read_b128 v[89:92], v1 offset:880
	v_fma_f64 v[109:110], v[83:84], v[109:110], v[166:167]
	v_add_f64 v[97:98], v[152:153], v[97:98]
	v_add_f64 v[2:3], v[2:3], v[107:108]
	s_clause 0x4
	buffer_load_dword v108, off, s[0:3], 0 offset:524
	buffer_load_dword v152, off, s[0:3], 0 offset:536
	;; [unrolled: 1-line block ×5, first 2 shown]
	ds_read_b128 v[81:84], v1 offset:896
	s_waitcnt vmcnt(57) lgkmcnt(1)
	v_mul_f64 v[168:169], v[89:90], v[111:112]
	v_mul_f64 v[111:112], v[91:92], v[111:112]
	s_waitcnt vmcnt(56)
	v_fma_f64 v[103:104], v[85:86], v[105:106], -v[103:104]
	v_add_f64 v[97:98], v[97:98], v[101:102]
	v_fma_f64 v[101:102], v[87:88], v[105:106], v[162:163]
	v_add_f64 v[2:3], v[2:3], v[109:110]
	s_clause 0x2
	buffer_load_dword v153, off, s[0:3], 0 offset:540
	buffer_load_dword v106, off, s[0:3], 0 offset:516
	;; [unrolled: 1-line block ×3, first 2 shown]
	s_waitcnt vmcnt(58) lgkmcnt(0)
	v_mul_f64 v[109:110], v[81:82], v[113:114]
	v_mul_f64 v[113:114], v[83:84], v[113:114]
	s_waitcnt vmcnt(56)
	v_fma_f64 v[111:112], v[89:90], v[117:118], -v[111:112]
	ds_read_b128 v[85:88], v1 offset:912
	v_add_f64 v[97:98], v[97:98], v[103:104]
	v_fma_f64 v[103:104], v[91:92], v[117:118], v[168:169]
	v_add_f64 v[2:3], v[2:3], v[101:102]
	s_clause 0x4
	buffer_load_dword v102, off, s[0:3], 0 offset:556
	buffer_load_dword v117, off, s[0:3], 0 offset:568
	;; [unrolled: 1-line block ×5, first 2 shown]
	ds_read_b128 v[89:92], v1 offset:928
	s_waitcnt vmcnt(57) lgkmcnt(1)
	v_mul_f64 v[163:164], v[85:86], v[119:120]
	v_mul_f64 v[119:120], v[87:88], v[119:120]
	s_waitcnt vmcnt(56)
	v_fma_f64 v[113:114], v[81:82], v[115:116], -v[113:114]
	v_fma_f64 v[109:110], v[83:84], v[115:116], v[109:110]
	v_add_f64 v[97:98], v[97:98], v[111:112]
	v_add_f64 v[2:3], v[2:3], v[103:104]
	s_clause 0x2
	buffer_load_dword v118, off, s[0:3], 0 offset:572
	buffer_load_dword v104, off, s[0:3], 0 offset:548
	;; [unrolled: 1-line block ×3, first 2 shown]
	s_waitcnt vmcnt(58) lgkmcnt(0)
	v_mul_f64 v[115:116], v[91:92], v[121:122]
	ds_read_b128 v[81:84], v1 offset:944
	s_waitcnt vmcnt(56)
	v_fma_f64 v[119:120], v[85:86], v[125:126], -v[119:120]
	v_mul_f64 v[111:112], v[89:90], v[121:122]
	v_add_f64 v[97:98], v[97:98], v[113:114]
	v_fma_f64 v[113:114], v[87:88], v[125:126], v[163:164]
	v_add_f64 v[2:3], v[2:3], v[109:110]
	s_clause 0x4
	buffer_load_dword v110, off, s[0:3], 0 offset:588
	buffer_load_dword v121, off, s[0:3], 0 offset:600
	;; [unrolled: 1-line block ×5, first 2 shown]
	s_waitcnt vmcnt(57) lgkmcnt(0)
	v_mul_f64 v[169:170], v[81:82], v[127:128]
	v_mul_f64 v[126:127], v[83:84], v[127:128]
	s_waitcnt vmcnt(56)
	v_fma_f64 v[115:116], v[89:90], v[123:124], -v[115:116]
	ds_read_b128 v[85:88], v1 offset:960
	v_fma_f64 v[111:112], v[91:92], v[123:124], v[111:112]
	v_add_f64 v[97:98], v[97:98], v[119:120]
	v_add_f64 v[2:3], v[2:3], v[113:114]
	s_clause 0x2
	buffer_load_dword v122, off, s[0:3], 0 offset:604
	buffer_load_dword v114, off, s[0:3], 0 offset:580
	;; [unrolled: 1-line block ×3, first 2 shown]
	ds_read_b128 v[89:92], v1 offset:976
	s_waitcnt vmcnt(58) lgkmcnt(1)
	v_mul_f64 v[123:124], v[87:88], v[129:130]
	s_waitcnt vmcnt(56)
	v_fma_f64 v[127:128], v[81:82], v[133:134], -v[126:127]
	v_mul_f64 v[119:120], v[85:86], v[129:130]
	v_add_f64 v[97:98], v[97:98], v[115:116]
	v_fma_f64 v[115:116], v[83:84], v[133:134], v[169:170]
	v_add_f64 v[2:3], v[2:3], v[111:112]
	s_clause 0x2
	buffer_load_dword v112, off, s[0:3], 0 offset:620
	buffer_load_dword v111, off, s[0:3], 0 offset:616
	;; [unrolled: 1-line block ×3, first 2 shown]
	s_waitcnt vmcnt(55) lgkmcnt(0)
	v_mul_f64 v[133:134], v[91:92], v[135:136]
	s_waitcnt vmcnt(54)
	v_fma_f64 v[123:124], v[85:86], v[131:132], -v[123:124]
	ds_read_b128 v[81:84], v1 offset:992
	v_mul_f64 v[129:130], v[89:90], v[135:136]
	v_fma_f64 v[119:120], v[87:88], v[131:132], v[119:120]
	v_add_f64 v[97:98], v[97:98], v[127:128]
	v_add_f64 v[2:3], v[2:3], v[115:116]
	s_clause 0x1
	buffer_load_dword v116, off, s[0:3], 0 offset:612
	buffer_load_dword v115, off, s[0:3], 0 offset:608
	s_waitcnt vmcnt(55) lgkmcnt(0)
	v_mul_f64 v[131:132], v[83:84], v[138:139]
	s_waitcnt vmcnt(53)
	v_fma_f64 v[133:134], v[89:90], v[142:143], -v[133:134]
	ds_read_b128 v[85:88], v1 offset:1008
	v_mul_f64 v[127:128], v[81:82], v[138:139]
	v_add_f64 v[97:98], v[97:98], v[123:124]
	v_fma_f64 v[123:124], v[91:92], v[142:143], v[129:130]
	v_add_f64 v[2:3], v[2:3], v[119:120]
	ds_read_b128 v[89:92], v1 offset:1024
	s_waitcnt vmcnt(49) lgkmcnt(1)
	v_mul_f64 v[129:130], v[87:88], v[144:145]
	s_waitcnt vmcnt(48)
	v_fma_f64 v[131:132], v[81:82], v[140:141], -v[131:132]
	v_mul_f64 v[119:120], v[85:86], v[144:145]
	v_fma_f64 v[127:128], v[83:84], v[140:141], v[127:128]
	v_add_f64 v[97:98], v[97:98], v[133:134]
	s_waitcnt vmcnt(47) lgkmcnt(0)
	v_mul_f64 v[138:139], v[91:92], v[146:147]
	v_add_f64 v[2:3], v[2:3], v[123:124]
	s_clause 0x3
	buffer_load_dword v123, off, s[0:3], 0 offset:192
	buffer_load_dword v124, off, s[0:3], 0 offset:196
	;; [unrolled: 1-line block ×4, first 2 shown]
	s_waitcnt vmcnt(49)
	v_fma_f64 v[129:130], v[85:86], v[150:151], -v[129:130]
	ds_read_b128 v[81:84], v1 offset:1040
	v_mul_f64 v[135:136], v[89:90], v[146:147]
	v_fma_f64 v[119:120], v[87:88], v[150:151], v[119:120]
	ds_read_b128 v[85:88], v1 offset:1056
	v_add_f64 v[97:98], v[97:98], v[131:132]
	s_waitcnt vmcnt(44)
	v_fma_f64 v[138:139], v[89:90], v[148:149], -v[138:139]
	v_add_f64 v[2:3], v[2:3], v[127:128]
	s_waitcnt lgkmcnt(1)
	v_mul_f64 v[131:132], v[83:84], v[154:155]
	v_mul_f64 v[127:128], v[81:82], v[154:155]
	v_add_f64 v[97:98], v[97:98], v[129:130]
	v_fma_f64 v[129:130], v[91:92], v[148:149], v[135:136]
	v_add_f64 v[2:3], v[2:3], v[119:120]
	ds_read_b128 v[89:92], v1 offset:1072
	s_waitcnt vmcnt(43) lgkmcnt(1)
	v_mul_f64 v[135:136], v[87:88], v[156:157]
	v_mul_f64 v[119:120], v[85:86], v[156:157]
	s_waitcnt vmcnt(41)
	v_fma_f64 v[131:132], v[81:82], v[95:96], -v[131:132]
	v_fma_f64 v[95:96], v[83:84], v[95:96], v[127:128]
	ds_read_b128 v[81:84], v1 offset:1088
	v_add_f64 v[97:98], v[97:98], v[138:139]
	s_waitcnt vmcnt(37) lgkmcnt(1)
	v_mul_f64 v[127:128], v[89:90], v[99:100]
	v_add_f64 v[2:3], v[2:3], v[129:130]
	v_mul_f64 v[99:100], v[91:92], v[99:100]
	s_waitcnt vmcnt(36)
	v_fma_f64 v[129:130], v[85:86], v[158:159], -v[135:136]
	v_fma_f64 v[119:120], v[87:88], v[158:159], v[119:120]
	ds_read_b128 v[85:88], v1 offset:1104
	v_add_f64 v[97:98], v[97:98], v[131:132]
	v_add_f64 v[2:3], v[2:3], v[95:96]
	s_waitcnt vmcnt(35) lgkmcnt(1)
	v_mul_f64 v[131:132], v[83:84], v[160:161]
	v_mul_f64 v[95:96], v[81:82], v[160:161]
	s_waitcnt vmcnt(33)
	v_fma_f64 v[99:100], v[89:90], v[93:94], -v[99:100]
	v_fma_f64 v[93:94], v[91:92], v[93:94], v[127:128]
	ds_read_b128 v[89:92], v1 offset:1120
	v_add_f64 v[97:98], v[97:98], v[129:130]
	v_add_f64 v[2:3], v[2:3], v[119:120]
	s_waitcnt vmcnt(29) lgkmcnt(1)
	v_mul_f64 v[119:120], v[85:86], v[107:108]
	v_mul_f64 v[107:108], v[87:88], v[107:108]
	s_waitcnt vmcnt(28)
	v_fma_f64 v[127:128], v[81:82], v[165:166], -v[131:132]
	v_fma_f64 v[95:96], v[83:84], v[165:166], v[95:96]
	ds_read_b128 v[81:84], v1 offset:1136
	v_add_f64 v[97:98], v[97:98], v[99:100]
	v_add_f64 v[2:3], v[2:3], v[93:94]
	s_waitcnt vmcnt(27) lgkmcnt(1)
	v_mul_f64 v[99:100], v[91:92], v[152:153]
	v_mul_f64 v[93:94], v[89:90], v[152:153]
	s_waitcnt vmcnt(25)
	v_fma_f64 v[107:108], v[85:86], v[105:106], -v[107:108]
	v_fma_f64 v[105:106], v[87:88], v[105:106], v[119:120]
	ds_read_b128 v[85:88], v1 offset:1152
	v_add_f64 v[97:98], v[97:98], v[127:128]
	v_add_f64 v[2:3], v[2:3], v[95:96]
	s_waitcnt vmcnt(21) lgkmcnt(1)
	v_mul_f64 v[95:96], v[81:82], v[101:102]
	v_mul_f64 v[101:102], v[83:84], v[101:102]
	s_waitcnt vmcnt(20)
	v_fma_f64 v[99:100], v[89:90], v[167:168], -v[99:100]
	v_fma_f64 v[93:94], v[91:92], v[167:168], v[93:94]
	ds_read_b128 v[89:92], v1 offset:1168
	v_add_f64 v[97:98], v[97:98], v[107:108]
	v_add_f64 v[2:3], v[2:3], v[105:106]
	s_waitcnt vmcnt(19) lgkmcnt(1)
	v_mul_f64 v[107:108], v[87:88], v[117:118]
	v_mul_f64 v[105:106], v[85:86], v[117:118]
	s_waitcnt vmcnt(17)
	v_fma_f64 v[101:102], v[81:82], v[103:104], -v[101:102]
	v_fma_f64 v[95:96], v[83:84], v[103:104], v[95:96]
	ds_read_b128 v[81:84], v1 offset:1184
	v_add_f64 v[97:98], v[97:98], v[99:100]
	v_add_f64 v[2:3], v[2:3], v[93:94]
	s_waitcnt vmcnt(13) lgkmcnt(1)
	v_mul_f64 v[99:100], v[91:92], v[109:110]
	s_waitcnt vmcnt(12)
	v_fma_f64 v[85:86], v[85:86], v[162:163], -v[107:108]
	v_mul_f64 v[93:94], v[89:90], v[109:110]
	v_fma_f64 v[87:88], v[87:88], v[162:163], v[105:106]
	v_add_f64 v[97:98], v[97:98], v[101:102]
	v_add_f64 v[95:96], v[2:3], v[95:96]
	ds_read_b128 v[1:4], v1 offset:1200
	s_waitcnt vmcnt(11) lgkmcnt(1)
	v_mul_f64 v[103:104], v[83:84], v[121:122]
	v_mul_f64 v[101:102], v[81:82], v[121:122]
	s_waitcnt vmcnt(9)
	v_fma_f64 v[89:90], v[89:90], v[113:114], -v[99:100]
	v_fma_f64 v[91:92], v[91:92], v[113:114], v[93:94]
	v_add_f64 v[85:86], v[97:98], v[85:86]
	v_add_f64 v[87:88], v[95:96], v[87:88]
	s_waitcnt vmcnt(7) lgkmcnt(0)
	v_mul_f64 v[95:96], v[3:4], v[111:112]
	s_waitcnt vmcnt(6)
	v_fma_f64 v[81:82], v[81:82], v[125:126], -v[103:104]
	v_mul_f64 v[93:94], v[1:2], v[111:112]
	v_fma_f64 v[83:84], v[83:84], v[125:126], v[101:102]
	v_add_f64 v[85:86], v[85:86], v[89:90]
	v_add_f64 v[87:88], v[87:88], v[91:92]
	s_waitcnt vmcnt(4)
	v_fma_f64 v[1:2], v[1:2], v[115:116], -v[95:96]
	v_fma_f64 v[3:4], v[3:4], v[115:116], v[93:94]
	v_add_f64 v[81:82], v[85:86], v[81:82]
	v_add_f64 v[83:84], v[87:88], v[83:84]
	;; [unrolled: 1-line block ×4, first 2 shown]
	s_waitcnt vmcnt(2)
	v_add_f64 v[1:2], v[123:124], -v[1:2]
	s_waitcnt vmcnt(0)
	v_add_f64 v[3:4], v[133:134], -v[3:4]
	buffer_store_dword v2, off, s[0:3], 0 offset:196
	buffer_store_dword v1, off, s[0:3], 0 offset:192
	;; [unrolled: 1-line block ×4, first 2 shown]
	v_cmpx_lt_u32_e32 10, v0
	s_cbranch_execz .LBB101_221
; %bb.220:
	v_mov_b32_e32 v4, s40
	v_mov_b32_e32 v81, 0
	s_clause 0x3
	buffer_load_dword v1, v4, s[0:3], 0 offen
	buffer_load_dword v2, v4, s[0:3], 0 offen offset:4
	buffer_load_dword v3, v4, s[0:3], 0 offen offset:8
	;; [unrolled: 1-line block ×3, first 2 shown]
	buffer_store_dword v81, off, s[0:3], 0 offset:176
	buffer_store_dword v81, off, s[0:3], 0 offset:180
	;; [unrolled: 1-line block ×4, first 2 shown]
	s_waitcnt vmcnt(0)
	ds_write_b128 v137, v[1:4]
.LBB101_221:
	s_or_b32 exec_lo, exec_lo, s4
	s_waitcnt lgkmcnt(0)
	s_waitcnt_vscnt null, 0x0
	s_barrier
	buffer_gl0_inv
	s_clause 0x37
	buffer_load_dword v2, off, s[0:3], 0 offset:200
	buffer_load_dword v3, off, s[0:3], 0 offset:204
	;; [unrolled: 1-line block ×56, first 2 shown]
	v_mov_b32_e32 v1, 0
	s_mov_b32 s4, exec_lo
	ds_read_b128 v[81:84], v1 offset:784
	s_clause 0x2
	buffer_load_dword v147, off, s[0:3], 0 offset:428
	buffer_load_dword v151, off, s[0:3], 0 offset:404
	;; [unrolled: 1-line block ×3, first 2 shown]
	ds_read_b128 v[85:88], v1 offset:800
	s_clause 0x4
	buffer_load_dword v155, off, s[0:3], 0 offset:444
	buffer_load_dword v156, off, s[0:3], 0 offset:456
	;; [unrolled: 1-line block ×5, first 2 shown]
	ds_read_b128 v[89:92], v1 offset:816
	s_waitcnt vmcnt(62) lgkmcnt(2)
	v_mul_f64 v[152:153], v[83:84], v[2:3]
	v_mul_f64 v[2:3], v[81:82], v[2:3]
	s_waitcnt vmcnt(60) lgkmcnt(1)
	v_mul_f64 v[159:160], v[87:88], v[93:94]
	v_mul_f64 v[93:94], v[85:86], v[93:94]
	;; [unrolled: 3-line block ×3, first 2 shown]
	v_fma_f64 v[152:153], v[81:82], v[95:96], -v[152:153]
	v_fma_f64 v[2:3], v[83:84], v[95:96], v[2:3]
	s_clause 0x2
	buffer_load_dword v157, off, s[0:3], 0 offset:460
	buffer_load_dword v96, off, s[0:3], 0 offset:436
	;; [unrolled: 1-line block ×3, first 2 shown]
	s_waitcnt vmcnt(57)
	v_fma_f64 v[163:164], v[85:86], v[99:100], -v[159:160]
	ds_read_b128 v[81:84], v1 offset:832
	v_fma_f64 v[93:94], v[87:88], v[99:100], v[93:94]
	s_clause 0x4
	buffer_load_dword v100, off, s[0:3], 0 offset:476
	buffer_load_dword v160, off, s[0:3], 0 offset:488
	;; [unrolled: 1-line block ×5, first 2 shown]
	s_waitcnt vmcnt(56)
	v_fma_f64 v[97:98], v[89:90], v[107:108], -v[97:98]
	ds_read_b128 v[85:88], v1 offset:848
	v_fma_f64 v[107:108], v[91:92], v[107:108], v[161:162]
	v_add_f64 v[152:153], v[152:153], 0
	v_add_f64 v[2:3], v[2:3], 0
	s_waitcnt lgkmcnt(1)
	v_mul_f64 v[166:167], v[81:82], v[101:102]
	v_mul_f64 v[101:102], v[83:84], v[101:102]
	v_add_f64 v[152:153], v[152:153], v[163:164]
	v_add_f64 v[2:3], v[2:3], v[93:94]
	s_clause 0x2
	buffer_load_dword v161, off, s[0:3], 0 offset:492
	buffer_load_dword v94, off, s[0:3], 0 offset:468
	;; [unrolled: 1-line block ×3, first 2 shown]
	s_waitcnt vmcnt(58) lgkmcnt(0)
	v_mul_f64 v[162:163], v[85:86], v[103:104]
	v_mul_f64 v[103:104], v[87:88], v[103:104]
	s_waitcnt vmcnt(56)
	v_fma_f64 v[101:102], v[81:82], v[109:110], -v[101:102]
	ds_read_b128 v[89:92], v1 offset:864
	v_fma_f64 v[109:110], v[83:84], v[109:110], v[166:167]
	v_add_f64 v[97:98], v[152:153], v[97:98]
	v_add_f64 v[2:3], v[2:3], v[107:108]
	s_clause 0x4
	buffer_load_dword v108, off, s[0:3], 0 offset:508
	buffer_load_dword v152, off, s[0:3], 0 offset:520
	;; [unrolled: 1-line block ×5, first 2 shown]
	ds_read_b128 v[81:84], v1 offset:880
	s_waitcnt vmcnt(57) lgkmcnt(1)
	v_mul_f64 v[168:169], v[89:90], v[111:112]
	v_mul_f64 v[111:112], v[91:92], v[111:112]
	s_waitcnt vmcnt(56)
	v_fma_f64 v[103:104], v[85:86], v[105:106], -v[103:104]
	v_add_f64 v[97:98], v[97:98], v[101:102]
	v_fma_f64 v[101:102], v[87:88], v[105:106], v[162:163]
	v_add_f64 v[2:3], v[2:3], v[109:110]
	s_clause 0x2
	buffer_load_dword v153, off, s[0:3], 0 offset:524
	buffer_load_dword v106, off, s[0:3], 0 offset:500
	;; [unrolled: 1-line block ×3, first 2 shown]
	s_waitcnt vmcnt(58) lgkmcnt(0)
	v_mul_f64 v[109:110], v[81:82], v[113:114]
	v_mul_f64 v[113:114], v[83:84], v[113:114]
	s_waitcnt vmcnt(56)
	v_fma_f64 v[111:112], v[89:90], v[117:118], -v[111:112]
	ds_read_b128 v[85:88], v1 offset:896
	v_add_f64 v[97:98], v[97:98], v[103:104]
	v_fma_f64 v[103:104], v[91:92], v[117:118], v[168:169]
	v_add_f64 v[2:3], v[2:3], v[101:102]
	s_clause 0x4
	buffer_load_dword v102, off, s[0:3], 0 offset:540
	buffer_load_dword v117, off, s[0:3], 0 offset:552
	;; [unrolled: 1-line block ×5, first 2 shown]
	ds_read_b128 v[89:92], v1 offset:912
	s_waitcnt vmcnt(57) lgkmcnt(1)
	v_mul_f64 v[163:164], v[85:86], v[119:120]
	v_mul_f64 v[119:120], v[87:88], v[119:120]
	s_waitcnt vmcnt(56)
	v_fma_f64 v[113:114], v[81:82], v[115:116], -v[113:114]
	v_fma_f64 v[109:110], v[83:84], v[115:116], v[109:110]
	v_add_f64 v[97:98], v[97:98], v[111:112]
	v_add_f64 v[2:3], v[2:3], v[103:104]
	s_clause 0x2
	buffer_load_dword v118, off, s[0:3], 0 offset:556
	buffer_load_dword v104, off, s[0:3], 0 offset:532
	;; [unrolled: 1-line block ×3, first 2 shown]
	s_waitcnt vmcnt(58) lgkmcnt(0)
	v_mul_f64 v[115:116], v[91:92], v[121:122]
	ds_read_b128 v[81:84], v1 offset:928
	s_waitcnt vmcnt(56)
	v_fma_f64 v[119:120], v[85:86], v[125:126], -v[119:120]
	v_mul_f64 v[111:112], v[89:90], v[121:122]
	v_add_f64 v[97:98], v[97:98], v[113:114]
	v_fma_f64 v[113:114], v[87:88], v[125:126], v[163:164]
	v_add_f64 v[2:3], v[2:3], v[109:110]
	s_clause 0x4
	buffer_load_dword v110, off, s[0:3], 0 offset:572
	buffer_load_dword v121, off, s[0:3], 0 offset:584
	;; [unrolled: 1-line block ×5, first 2 shown]
	s_waitcnt vmcnt(57) lgkmcnt(0)
	v_mul_f64 v[169:170], v[81:82], v[127:128]
	v_mul_f64 v[126:127], v[83:84], v[127:128]
	s_waitcnt vmcnt(56)
	v_fma_f64 v[115:116], v[89:90], v[123:124], -v[115:116]
	ds_read_b128 v[85:88], v1 offset:944
	v_fma_f64 v[111:112], v[91:92], v[123:124], v[111:112]
	v_add_f64 v[97:98], v[97:98], v[119:120]
	v_add_f64 v[2:3], v[2:3], v[113:114]
	s_clause 0x2
	buffer_load_dword v122, off, s[0:3], 0 offset:588
	buffer_load_dword v114, off, s[0:3], 0 offset:564
	;; [unrolled: 1-line block ×3, first 2 shown]
	ds_read_b128 v[89:92], v1 offset:960
	s_waitcnt vmcnt(58) lgkmcnt(1)
	v_mul_f64 v[123:124], v[87:88], v[129:130]
	s_waitcnt vmcnt(56)
	v_fma_f64 v[127:128], v[81:82], v[133:134], -v[126:127]
	v_mul_f64 v[119:120], v[85:86], v[129:130]
	v_add_f64 v[97:98], v[97:98], v[115:116]
	v_fma_f64 v[115:116], v[83:84], v[133:134], v[169:170]
	v_add_f64 v[2:3], v[2:3], v[111:112]
	s_clause 0x4
	buffer_load_dword v112, off, s[0:3], 0 offset:604
	buffer_load_dword v129, off, s[0:3], 0 offset:616
	buffer_load_dword v133, off, s[0:3], 0 offset:608
	buffer_load_dword v111, off, s[0:3], 0 offset:600
	buffer_load_dword v126, off, s[0:3], 0 offset:580
	s_waitcnt vmcnt(57) lgkmcnt(0)
	v_mul_f64 v[169:170], v[89:90], v[135:136]
	v_mul_f64 v[134:135], v[91:92], v[135:136]
	s_waitcnt vmcnt(56)
	v_fma_f64 v[123:124], v[85:86], v[131:132], -v[123:124]
	ds_read_b128 v[81:84], v1 offset:976
	v_fma_f64 v[119:120], v[87:88], v[131:132], v[119:120]
	v_add_f64 v[97:98], v[97:98], v[127:128]
	v_add_f64 v[2:3], v[2:3], v[115:116]
	s_clause 0x2
	buffer_load_dword v130, off, s[0:3], 0 offset:620
	buffer_load_dword v116, off, s[0:3], 0 offset:596
	;; [unrolled: 1-line block ×3, first 2 shown]
	ds_read_b128 v[85:88], v1 offset:992
	s_waitcnt vmcnt(58) lgkmcnt(1)
	v_mul_f64 v[131:132], v[83:84], v[138:139]
	s_waitcnt vmcnt(56)
	v_fma_f64 v[135:136], v[89:90], v[142:143], -v[134:135]
	v_mul_f64 v[127:128], v[81:82], v[138:139]
	buffer_load_dword v134, off, s[0:3], 0 offset:612
	v_add_f64 v[97:98], v[97:98], v[123:124]
	v_fma_f64 v[123:124], v[91:92], v[142:143], v[169:170]
	v_add_f64 v[2:3], v[2:3], v[119:120]
	ds_read_b128 v[89:92], v1 offset:1008
	s_waitcnt vmcnt(53) lgkmcnt(1)
	v_mul_f64 v[138:139], v[87:88], v[144:145]
	s_waitcnt vmcnt(52)
	v_fma_f64 v[131:132], v[81:82], v[140:141], -v[131:132]
	v_mul_f64 v[119:120], v[85:86], v[144:145]
	v_fma_f64 v[127:128], v[83:84], v[140:141], v[127:128]
	ds_read_b128 v[81:84], v1 offset:1024
	v_add_f64 v[97:98], v[97:98], v[135:136]
	s_waitcnt vmcnt(51) lgkmcnt(1)
	v_mul_f64 v[135:136], v[91:92], v[146:147]
	v_add_f64 v[2:3], v[2:3], v[123:124]
	v_mul_f64 v[123:124], v[89:90], v[146:147]
	s_waitcnt vmcnt(49)
	v_fma_f64 v[138:139], v[85:86], v[150:151], -v[138:139]
	v_fma_f64 v[119:120], v[87:88], v[150:151], v[119:120]
	s_waitcnt vmcnt(45) lgkmcnt(0)
	v_mul_f64 v[142:143], v[83:84], v[154:155]
	v_mul_f64 v[140:141], v[81:82], v[154:155]
	v_add_f64 v[97:98], v[97:98], v[131:132]
	s_waitcnt vmcnt(44)
	v_fma_f64 v[135:136], v[89:90], v[148:149], -v[135:136]
	v_add_f64 v[2:3], v[2:3], v[127:128]
	s_clause 0x3
	buffer_load_dword v127, off, s[0:3], 0 offset:176
	buffer_load_dword v128, off, s[0:3], 0 offset:180
	;; [unrolled: 1-line block ×4, first 2 shown]
	ds_read_b128 v[85:88], v1 offset:1040
	v_fma_f64 v[123:124], v[91:92], v[148:149], v[123:124]
	ds_read_b128 v[89:92], v1 offset:1056
	v_add_f64 v[97:98], v[97:98], v[138:139]
	v_add_f64 v[2:3], v[2:3], v[119:120]
	s_waitcnt vmcnt(47) lgkmcnt(1)
	v_mul_f64 v[138:139], v[87:88], v[156:157]
	v_mul_f64 v[119:120], v[85:86], v[156:157]
	s_waitcnt vmcnt(45)
	v_fma_f64 v[142:143], v[81:82], v[95:96], -v[142:143]
	v_fma_f64 v[95:96], v[83:84], v[95:96], v[140:141]
	ds_read_b128 v[81:84], v1 offset:1072
	v_add_f64 v[97:98], v[97:98], v[135:136]
	v_add_f64 v[2:3], v[2:3], v[123:124]
	s_waitcnt vmcnt(41) lgkmcnt(1)
	v_mul_f64 v[123:124], v[89:90], v[99:100]
	v_mul_f64 v[99:100], v[91:92], v[99:100]
	s_waitcnt vmcnt(40)
	v_fma_f64 v[135:136], v[85:86], v[158:159], -v[138:139]
	v_fma_f64 v[119:120], v[87:88], v[158:159], v[119:120]
	ds_read_b128 v[85:88], v1 offset:1088
	v_add_f64 v[97:98], v[97:98], v[142:143]
	v_add_f64 v[2:3], v[2:3], v[95:96]
	s_waitcnt vmcnt(39) lgkmcnt(1)
	v_mul_f64 v[138:139], v[83:84], v[160:161]
	v_mul_f64 v[95:96], v[81:82], v[160:161]
	s_waitcnt vmcnt(37)
	v_fma_f64 v[99:100], v[89:90], v[93:94], -v[99:100]
	v_fma_f64 v[93:94], v[91:92], v[93:94], v[123:124]
	ds_read_b128 v[89:92], v1 offset:1104
	v_add_f64 v[97:98], v[97:98], v[135:136]
	v_add_f64 v[2:3], v[2:3], v[119:120]
	s_waitcnt vmcnt(33) lgkmcnt(1)
	v_mul_f64 v[119:120], v[85:86], v[107:108]
	v_mul_f64 v[107:108], v[87:88], v[107:108]
	s_waitcnt vmcnt(32)
	v_fma_f64 v[123:124], v[81:82], v[165:166], -v[138:139]
	v_fma_f64 v[95:96], v[83:84], v[165:166], v[95:96]
	ds_read_b128 v[81:84], v1 offset:1120
	v_add_f64 v[97:98], v[97:98], v[99:100]
	v_add_f64 v[2:3], v[2:3], v[93:94]
	s_waitcnt vmcnt(31) lgkmcnt(1)
	v_mul_f64 v[99:100], v[91:92], v[152:153]
	v_mul_f64 v[93:94], v[89:90], v[152:153]
	s_waitcnt vmcnt(29)
	v_fma_f64 v[107:108], v[85:86], v[105:106], -v[107:108]
	v_fma_f64 v[105:106], v[87:88], v[105:106], v[119:120]
	ds_read_b128 v[85:88], v1 offset:1136
	v_add_f64 v[97:98], v[97:98], v[123:124]
	v_add_f64 v[2:3], v[2:3], v[95:96]
	s_waitcnt vmcnt(25) lgkmcnt(1)
	v_mul_f64 v[95:96], v[81:82], v[101:102]
	v_mul_f64 v[101:102], v[83:84], v[101:102]
	s_waitcnt vmcnt(24)
	v_fma_f64 v[99:100], v[89:90], v[167:168], -v[99:100]
	v_fma_f64 v[93:94], v[91:92], v[167:168], v[93:94]
	ds_read_b128 v[89:92], v1 offset:1152
	v_add_f64 v[97:98], v[97:98], v[107:108]
	v_add_f64 v[2:3], v[2:3], v[105:106]
	s_waitcnt vmcnt(23) lgkmcnt(1)
	v_mul_f64 v[107:108], v[87:88], v[117:118]
	v_mul_f64 v[105:106], v[85:86], v[117:118]
	s_waitcnt vmcnt(21)
	v_fma_f64 v[101:102], v[81:82], v[103:104], -v[101:102]
	v_fma_f64 v[95:96], v[83:84], v[103:104], v[95:96]
	ds_read_b128 v[81:84], v1 offset:1168
	v_add_f64 v[97:98], v[97:98], v[99:100]
	v_add_f64 v[2:3], v[2:3], v[93:94]
	s_waitcnt vmcnt(17) lgkmcnt(1)
	v_mul_f64 v[99:100], v[91:92], v[109:110]
	s_waitcnt vmcnt(16)
	v_fma_f64 v[103:104], v[85:86], v[162:163], -v[107:108]
	v_mul_f64 v[93:94], v[89:90], v[109:110]
	v_add_f64 v[97:98], v[97:98], v[101:102]
	v_fma_f64 v[101:102], v[87:88], v[162:163], v[105:106]
	v_add_f64 v[2:3], v[2:3], v[95:96]
	ds_read_b128 v[85:88], v1 offset:1184
	s_waitcnt vmcnt(15) lgkmcnt(1)
	v_mul_f64 v[105:106], v[83:84], v[121:122]
	v_mul_f64 v[95:96], v[81:82], v[121:122]
	s_waitcnt vmcnt(13)
	v_fma_f64 v[99:100], v[89:90], v[113:114], -v[99:100]
	v_fma_f64 v[93:94], v[91:92], v[113:114], v[93:94]
	ds_read_b128 v[89:92], v1 offset:1200
	v_add_f64 v[97:98], v[97:98], v[103:104]
	v_add_f64 v[2:3], v[2:3], v[101:102]
	s_waitcnt vmcnt(9) lgkmcnt(1)
	v_mul_f64 v[103:104], v[87:88], v[111:112]
	s_waitcnt vmcnt(8)
	v_fma_f64 v[81:82], v[81:82], v[125:126], -v[105:106]
	v_mul_f64 v[101:102], v[85:86], v[111:112]
	v_fma_f64 v[83:84], v[83:84], v[125:126], v[95:96]
	v_add_f64 v[97:98], v[97:98], v[99:100]
	v_add_f64 v[2:3], v[2:3], v[93:94]
	s_waitcnt vmcnt(7) lgkmcnt(0)
	v_mul_f64 v[95:96], v[91:92], v[129:130]
	v_mul_f64 v[93:94], v[89:90], v[129:130]
	s_waitcnt vmcnt(5)
	v_fma_f64 v[85:86], v[85:86], v[115:116], -v[103:104]
	v_fma_f64 v[87:88], v[87:88], v[115:116], v[101:102]
	v_add_f64 v[81:82], v[97:98], v[81:82]
	v_add_f64 v[2:3], v[2:3], v[83:84]
	s_waitcnt vmcnt(4)
	v_fma_f64 v[83:84], v[89:90], v[133:134], -v[95:96]
	v_add_f64 v[81:82], v[81:82], v[85:86]
	v_fma_f64 v[85:86], v[91:92], v[133:134], v[93:94]
	v_add_f64 v[2:3], v[2:3], v[87:88]
	v_add_f64 v[81:82], v[81:82], v[83:84]
	;; [unrolled: 1-line block ×3, first 2 shown]
	s_waitcnt vmcnt(2)
	v_add_f64 v[81:82], v[127:128], -v[81:82]
	s_waitcnt vmcnt(0)
	v_add_f64 v[2:3], v[131:132], -v[2:3]
	buffer_store_dword v82, off, s[0:3], 0 offset:180
	buffer_store_dword v81, off, s[0:3], 0 offset:176
	;; [unrolled: 1-line block ×4, first 2 shown]
	v_cmpx_lt_u32_e32 9, v0
	s_cbranch_execz .LBB101_223
; %bb.222:
	v_mov_b32_e32 v2, s41
	s_clause 0x3
	buffer_load_dword v81, v2, s[0:3], 0 offen
	buffer_load_dword v82, v2, s[0:3], 0 offen offset:4
	buffer_load_dword v83, v2, s[0:3], 0 offen offset:8
	;; [unrolled: 1-line block ×3, first 2 shown]
	buffer_store_dword v1, off, s[0:3], 0 offset:160
	buffer_store_dword v1, off, s[0:3], 0 offset:164
	;; [unrolled: 1-line block ×4, first 2 shown]
	s_waitcnt vmcnt(0)
	ds_write_b128 v137, v[81:84]
.LBB101_223:
	s_or_b32 exec_lo, exec_lo, s4
	s_waitcnt lgkmcnt(0)
	s_waitcnt_vscnt null, 0x0
	s_barrier
	buffer_gl0_inv
	s_clause 0x37
	buffer_load_dword v2, off, s[0:3], 0 offset:184
	buffer_load_dword v3, off, s[0:3], 0 offset:188
	;; [unrolled: 1-line block ×56, first 2 shown]
	ds_read_b128 v[81:84], v1 offset:768
	s_clause 0x2
	buffer_load_dword v147, off, s[0:3], 0 offset:412
	buffer_load_dword v151, off, s[0:3], 0 offset:388
	;; [unrolled: 1-line block ×3, first 2 shown]
	ds_read_b128 v[85:88], v1 offset:784
	s_clause 0x4
	buffer_load_dword v155, off, s[0:3], 0 offset:428
	buffer_load_dword v156, off, s[0:3], 0 offset:440
	;; [unrolled: 1-line block ×5, first 2 shown]
	ds_read_b128 v[89:92], v1 offset:800
	s_mov_b32 s4, exec_lo
	s_waitcnt vmcnt(62) lgkmcnt(2)
	v_mul_f64 v[152:153], v[83:84], v[2:3]
	v_mul_f64 v[2:3], v[81:82], v[2:3]
	s_waitcnt vmcnt(60) lgkmcnt(1)
	v_mul_f64 v[159:160], v[87:88], v[93:94]
	v_mul_f64 v[93:94], v[85:86], v[93:94]
	;; [unrolled: 3-line block ×3, first 2 shown]
	v_fma_f64 v[152:153], v[81:82], v[95:96], -v[152:153]
	v_fma_f64 v[2:3], v[83:84], v[95:96], v[2:3]
	s_clause 0x2
	buffer_load_dword v157, off, s[0:3], 0 offset:444
	buffer_load_dword v96, off, s[0:3], 0 offset:420
	;; [unrolled: 1-line block ×3, first 2 shown]
	s_waitcnt vmcnt(57)
	v_fma_f64 v[163:164], v[85:86], v[99:100], -v[159:160]
	ds_read_b128 v[81:84], v1 offset:816
	v_fma_f64 v[93:94], v[87:88], v[99:100], v[93:94]
	s_clause 0x4
	buffer_load_dword v100, off, s[0:3], 0 offset:460
	buffer_load_dword v160, off, s[0:3], 0 offset:472
	;; [unrolled: 1-line block ×5, first 2 shown]
	s_waitcnt vmcnt(56)
	v_fma_f64 v[97:98], v[89:90], v[107:108], -v[97:98]
	ds_read_b128 v[85:88], v1 offset:832
	v_fma_f64 v[107:108], v[91:92], v[107:108], v[161:162]
	v_add_f64 v[152:153], v[152:153], 0
	v_add_f64 v[2:3], v[2:3], 0
	s_waitcnt lgkmcnt(1)
	v_mul_f64 v[166:167], v[81:82], v[101:102]
	v_mul_f64 v[101:102], v[83:84], v[101:102]
	v_add_f64 v[152:153], v[152:153], v[163:164]
	v_add_f64 v[2:3], v[2:3], v[93:94]
	s_clause 0x2
	buffer_load_dword v161, off, s[0:3], 0 offset:476
	buffer_load_dword v94, off, s[0:3], 0 offset:452
	;; [unrolled: 1-line block ×3, first 2 shown]
	s_waitcnt vmcnt(58) lgkmcnt(0)
	v_mul_f64 v[162:163], v[85:86], v[103:104]
	v_mul_f64 v[103:104], v[87:88], v[103:104]
	s_waitcnt vmcnt(56)
	v_fma_f64 v[101:102], v[81:82], v[109:110], -v[101:102]
	ds_read_b128 v[89:92], v1 offset:848
	v_fma_f64 v[109:110], v[83:84], v[109:110], v[166:167]
	v_add_f64 v[97:98], v[152:153], v[97:98]
	v_add_f64 v[2:3], v[2:3], v[107:108]
	s_clause 0x4
	buffer_load_dword v108, off, s[0:3], 0 offset:492
	buffer_load_dword v152, off, s[0:3], 0 offset:504
	;; [unrolled: 1-line block ×5, first 2 shown]
	ds_read_b128 v[81:84], v1 offset:864
	s_waitcnt vmcnt(57) lgkmcnt(1)
	v_mul_f64 v[168:169], v[89:90], v[111:112]
	v_mul_f64 v[111:112], v[91:92], v[111:112]
	s_waitcnt vmcnt(56)
	v_fma_f64 v[103:104], v[85:86], v[105:106], -v[103:104]
	v_add_f64 v[97:98], v[97:98], v[101:102]
	v_fma_f64 v[101:102], v[87:88], v[105:106], v[162:163]
	v_add_f64 v[2:3], v[2:3], v[109:110]
	s_clause 0x2
	buffer_load_dword v153, off, s[0:3], 0 offset:508
	buffer_load_dword v106, off, s[0:3], 0 offset:484
	;; [unrolled: 1-line block ×3, first 2 shown]
	s_waitcnt vmcnt(58) lgkmcnt(0)
	v_mul_f64 v[109:110], v[81:82], v[113:114]
	v_mul_f64 v[113:114], v[83:84], v[113:114]
	s_waitcnt vmcnt(56)
	v_fma_f64 v[111:112], v[89:90], v[117:118], -v[111:112]
	ds_read_b128 v[85:88], v1 offset:880
	v_add_f64 v[97:98], v[97:98], v[103:104]
	v_fma_f64 v[103:104], v[91:92], v[117:118], v[168:169]
	v_add_f64 v[2:3], v[2:3], v[101:102]
	s_clause 0x4
	buffer_load_dword v102, off, s[0:3], 0 offset:524
	buffer_load_dword v117, off, s[0:3], 0 offset:536
	;; [unrolled: 1-line block ×5, first 2 shown]
	ds_read_b128 v[89:92], v1 offset:896
	s_waitcnt vmcnt(57) lgkmcnt(1)
	v_mul_f64 v[163:164], v[85:86], v[119:120]
	v_mul_f64 v[119:120], v[87:88], v[119:120]
	s_waitcnt vmcnt(56)
	v_fma_f64 v[113:114], v[81:82], v[115:116], -v[113:114]
	v_fma_f64 v[109:110], v[83:84], v[115:116], v[109:110]
	v_add_f64 v[97:98], v[97:98], v[111:112]
	v_add_f64 v[2:3], v[2:3], v[103:104]
	s_clause 0x2
	buffer_load_dword v118, off, s[0:3], 0 offset:540
	buffer_load_dword v104, off, s[0:3], 0 offset:516
	;; [unrolled: 1-line block ×3, first 2 shown]
	s_waitcnt vmcnt(58) lgkmcnt(0)
	v_mul_f64 v[115:116], v[91:92], v[121:122]
	ds_read_b128 v[81:84], v1 offset:912
	s_waitcnt vmcnt(56)
	v_fma_f64 v[119:120], v[85:86], v[125:126], -v[119:120]
	v_mul_f64 v[111:112], v[89:90], v[121:122]
	v_add_f64 v[97:98], v[97:98], v[113:114]
	v_fma_f64 v[113:114], v[87:88], v[125:126], v[163:164]
	v_add_f64 v[2:3], v[2:3], v[109:110]
	s_clause 0x4
	buffer_load_dword v110, off, s[0:3], 0 offset:556
	buffer_load_dword v121, off, s[0:3], 0 offset:568
	;; [unrolled: 1-line block ×5, first 2 shown]
	s_waitcnt vmcnt(57) lgkmcnt(0)
	v_mul_f64 v[169:170], v[81:82], v[127:128]
	v_mul_f64 v[126:127], v[83:84], v[127:128]
	s_waitcnt vmcnt(56)
	v_fma_f64 v[115:116], v[89:90], v[123:124], -v[115:116]
	ds_read_b128 v[85:88], v1 offset:928
	v_fma_f64 v[111:112], v[91:92], v[123:124], v[111:112]
	v_add_f64 v[97:98], v[97:98], v[119:120]
	v_add_f64 v[2:3], v[2:3], v[113:114]
	s_clause 0x2
	buffer_load_dword v122, off, s[0:3], 0 offset:572
	buffer_load_dword v114, off, s[0:3], 0 offset:548
	;; [unrolled: 1-line block ×3, first 2 shown]
	ds_read_b128 v[89:92], v1 offset:944
	s_waitcnt vmcnt(58) lgkmcnt(1)
	v_mul_f64 v[123:124], v[87:88], v[129:130]
	s_waitcnt vmcnt(56)
	v_fma_f64 v[127:128], v[81:82], v[133:134], -v[126:127]
	v_mul_f64 v[119:120], v[85:86], v[129:130]
	v_add_f64 v[97:98], v[97:98], v[115:116]
	v_fma_f64 v[115:116], v[83:84], v[133:134], v[169:170]
	v_add_f64 v[2:3], v[2:3], v[111:112]
	s_clause 0x4
	buffer_load_dword v112, off, s[0:3], 0 offset:588
	buffer_load_dword v129, off, s[0:3], 0 offset:600
	;; [unrolled: 1-line block ×5, first 2 shown]
	s_waitcnt vmcnt(57) lgkmcnt(0)
	v_mul_f64 v[169:170], v[89:90], v[135:136]
	v_mul_f64 v[134:135], v[91:92], v[135:136]
	s_waitcnt vmcnt(56)
	v_fma_f64 v[123:124], v[85:86], v[131:132], -v[123:124]
	ds_read_b128 v[81:84], v1 offset:960
	v_fma_f64 v[119:120], v[87:88], v[131:132], v[119:120]
	v_add_f64 v[97:98], v[97:98], v[127:128]
	v_add_f64 v[2:3], v[2:3], v[115:116]
	s_clause 0x2
	buffer_load_dword v130, off, s[0:3], 0 offset:604
	buffer_load_dword v116, off, s[0:3], 0 offset:580
	;; [unrolled: 1-line block ×3, first 2 shown]
	ds_read_b128 v[85:88], v1 offset:976
	s_waitcnt vmcnt(58) lgkmcnt(1)
	v_mul_f64 v[131:132], v[83:84], v[138:139]
	s_waitcnt vmcnt(56)
	v_fma_f64 v[135:136], v[89:90], v[142:143], -v[134:135]
	v_mul_f64 v[127:128], v[81:82], v[138:139]
	v_add_f64 v[97:98], v[97:98], v[123:124]
	v_fma_f64 v[123:124], v[91:92], v[142:143], v[169:170]
	v_add_f64 v[2:3], v[2:3], v[119:120]
	s_clause 0x2
	buffer_load_dword v120, off, s[0:3], 0 offset:620
	buffer_load_dword v119, off, s[0:3], 0 offset:616
	;; [unrolled: 1-line block ×3, first 2 shown]
	s_waitcnt vmcnt(55) lgkmcnt(0)
	v_mul_f64 v[142:143], v[87:88], v[144:145]
	s_waitcnt vmcnt(54)
	v_fma_f64 v[131:132], v[81:82], v[140:141], -v[131:132]
	ds_read_b128 v[89:92], v1 offset:992
	v_mul_f64 v[138:139], v[85:86], v[144:145]
	v_fma_f64 v[127:128], v[83:84], v[140:141], v[127:128]
	v_add_f64 v[97:98], v[97:98], v[135:136]
	v_add_f64 v[2:3], v[2:3], v[123:124]
	s_clause 0x1
	buffer_load_dword v124, off, s[0:3], 0 offset:612
	buffer_load_dword v123, off, s[0:3], 0 offset:608
	s_waitcnt vmcnt(55) lgkmcnt(0)
	v_mul_f64 v[140:141], v[91:92], v[146:147]
	s_waitcnt vmcnt(53)
	v_fma_f64 v[142:143], v[85:86], v[150:151], -v[142:143]
	ds_read_b128 v[81:84], v1 offset:1008
	v_mul_f64 v[135:136], v[89:90], v[146:147]
	v_add_f64 v[97:98], v[97:98], v[131:132]
	v_fma_f64 v[131:132], v[87:88], v[150:151], v[138:139]
	v_add_f64 v[2:3], v[2:3], v[127:128]
	ds_read_b128 v[85:88], v1 offset:1024
	s_waitcnt vmcnt(49) lgkmcnt(1)
	v_mul_f64 v[138:139], v[83:84], v[154:155]
	s_waitcnt vmcnt(48)
	v_fma_f64 v[140:141], v[89:90], v[148:149], -v[140:141]
	v_mul_f64 v[127:128], v[81:82], v[154:155]
	v_fma_f64 v[135:136], v[91:92], v[148:149], v[135:136]
	v_add_f64 v[97:98], v[97:98], v[142:143]
	v_add_f64 v[2:3], v[2:3], v[131:132]
	s_clause 0x3
	buffer_load_dword v131, off, s[0:3], 0 offset:160
	buffer_load_dword v132, off, s[0:3], 0 offset:164
	;; [unrolled: 1-line block ×4, first 2 shown]
	ds_read_b128 v[89:92], v1 offset:1040
	s_waitcnt vmcnt(51) lgkmcnt(1)
	v_mul_f64 v[146:147], v[87:88], v[156:157]
	v_mul_f64 v[144:145], v[85:86], v[156:157]
	s_waitcnt vmcnt(49)
	v_fma_f64 v[138:139], v[81:82], v[95:96], -v[138:139]
	v_fma_f64 v[95:96], v[83:84], v[95:96], v[127:128]
	ds_read_b128 v[81:84], v1 offset:1056
	v_add_f64 v[97:98], v[97:98], v[140:141]
	v_add_f64 v[2:3], v[2:3], v[135:136]
	s_waitcnt vmcnt(45) lgkmcnt(1)
	v_mul_f64 v[127:128], v[89:90], v[99:100]
	v_mul_f64 v[99:100], v[91:92], v[99:100]
	s_waitcnt vmcnt(44)
	v_fma_f64 v[135:136], v[85:86], v[158:159], -v[146:147]
	v_add_f64 v[97:98], v[97:98], v[138:139]
	v_fma_f64 v[138:139], v[87:88], v[158:159], v[144:145]
	v_add_f64 v[2:3], v[2:3], v[95:96]
	ds_read_b128 v[85:88], v1 offset:1072
	s_waitcnt vmcnt(43) lgkmcnt(1)
	v_mul_f64 v[140:141], v[83:84], v[160:161]
	v_mul_f64 v[95:96], v[81:82], v[160:161]
	s_waitcnt vmcnt(41)
	v_fma_f64 v[99:100], v[89:90], v[93:94], -v[99:100]
	v_fma_f64 v[93:94], v[91:92], v[93:94], v[127:128]
	ds_read_b128 v[89:92], v1 offset:1088
	v_add_f64 v[97:98], v[97:98], v[135:136]
	v_add_f64 v[2:3], v[2:3], v[138:139]
	s_waitcnt vmcnt(37) lgkmcnt(1)
	v_mul_f64 v[127:128], v[85:86], v[107:108]
	v_mul_f64 v[107:108], v[87:88], v[107:108]
	s_waitcnt vmcnt(36)
	v_fma_f64 v[135:136], v[81:82], v[165:166], -v[140:141]
	v_fma_f64 v[95:96], v[83:84], v[165:166], v[95:96]
	ds_read_b128 v[81:84], v1 offset:1104
	v_add_f64 v[97:98], v[97:98], v[99:100]
	v_add_f64 v[2:3], v[2:3], v[93:94]
	;; [unrolled: 9-line block ×5, first 2 shown]
	s_waitcnt vmcnt(21) lgkmcnt(1)
	v_mul_f64 v[99:100], v[91:92], v[109:110]
	s_waitcnt vmcnt(20)
	v_fma_f64 v[103:104], v[85:86], v[162:163], -v[107:108]
	v_mul_f64 v[93:94], v[89:90], v[109:110]
	v_add_f64 v[97:98], v[97:98], v[101:102]
	v_fma_f64 v[101:102], v[87:88], v[162:163], v[105:106]
	v_add_f64 v[2:3], v[2:3], v[95:96]
	ds_read_b128 v[85:88], v1 offset:1168
	s_waitcnt vmcnt(19) lgkmcnt(1)
	v_mul_f64 v[105:106], v[83:84], v[121:122]
	v_mul_f64 v[95:96], v[81:82], v[121:122]
	s_waitcnt vmcnt(17)
	v_fma_f64 v[99:100], v[89:90], v[113:114], -v[99:100]
	v_fma_f64 v[93:94], v[91:92], v[113:114], v[93:94]
	ds_read_b128 v[89:92], v1 offset:1184
	v_add_f64 v[97:98], v[97:98], v[103:104]
	v_add_f64 v[2:3], v[2:3], v[101:102]
	s_waitcnt vmcnt(13) lgkmcnt(1)
	v_mul_f64 v[103:104], v[87:88], v[111:112]
	s_waitcnt vmcnt(12)
	v_fma_f64 v[81:82], v[81:82], v[125:126], -v[105:106]
	v_mul_f64 v[101:102], v[85:86], v[111:112]
	v_fma_f64 v[83:84], v[83:84], v[125:126], v[95:96]
	v_add_f64 v[97:98], v[97:98], v[99:100]
	v_add_f64 v[93:94], v[2:3], v[93:94]
	ds_read_b128 v[1:4], v1 offset:1200
	s_waitcnt vmcnt(11) lgkmcnt(1)
	v_mul_f64 v[99:100], v[91:92], v[129:130]
	v_mul_f64 v[95:96], v[89:90], v[129:130]
	s_waitcnt vmcnt(9)
	v_fma_f64 v[85:86], v[85:86], v[115:116], -v[103:104]
	v_fma_f64 v[87:88], v[87:88], v[115:116], v[101:102]
	v_add_f64 v[81:82], v[97:98], v[81:82]
	v_add_f64 v[83:84], v[93:94], v[83:84]
	s_waitcnt vmcnt(7) lgkmcnt(0)
	v_mul_f64 v[97:98], v[3:4], v[119:120]
	s_waitcnt vmcnt(6)
	v_fma_f64 v[89:90], v[89:90], v[133:134], -v[99:100]
	v_mul_f64 v[93:94], v[1:2], v[119:120]
	v_add_f64 v[81:82], v[81:82], v[85:86]
	v_fma_f64 v[85:86], v[91:92], v[133:134], v[95:96]
	v_add_f64 v[83:84], v[83:84], v[87:88]
	s_waitcnt vmcnt(4)
	v_fma_f64 v[1:2], v[1:2], v[123:124], -v[97:98]
	v_fma_f64 v[3:4], v[3:4], v[123:124], v[93:94]
	v_add_f64 v[81:82], v[81:82], v[89:90]
	v_add_f64 v[83:84], v[83:84], v[85:86]
	;; [unrolled: 1-line block ×4, first 2 shown]
	s_waitcnt vmcnt(2)
	v_add_f64 v[1:2], v[131:132], -v[1:2]
	s_waitcnt vmcnt(0)
	v_add_f64 v[3:4], v[142:143], -v[3:4]
	buffer_store_dword v2, off, s[0:3], 0 offset:164
	buffer_store_dword v1, off, s[0:3], 0 offset:160
	;; [unrolled: 1-line block ×4, first 2 shown]
	v_cmpx_lt_u32_e32 8, v0
	s_cbranch_execz .LBB101_225
; %bb.224:
	v_mov_b32_e32 v4, s42
	v_mov_b32_e32 v81, 0
	s_clause 0x3
	buffer_load_dword v1, v4, s[0:3], 0 offen
	buffer_load_dword v2, v4, s[0:3], 0 offen offset:4
	buffer_load_dword v3, v4, s[0:3], 0 offen offset:8
	;; [unrolled: 1-line block ×3, first 2 shown]
	buffer_store_dword v81, off, s[0:3], 0 offset:144
	buffer_store_dword v81, off, s[0:3], 0 offset:148
	;; [unrolled: 1-line block ×4, first 2 shown]
	s_waitcnt vmcnt(0)
	ds_write_b128 v137, v[1:4]
.LBB101_225:
	s_or_b32 exec_lo, exec_lo, s4
	s_waitcnt lgkmcnt(0)
	s_waitcnt_vscnt null, 0x0
	s_barrier
	buffer_gl0_inv
	s_clause 0x37
	buffer_load_dword v85, off, s[0:3], 0 offset:168
	buffer_load_dword v86, off, s[0:3], 0 offset:172
	;; [unrolled: 1-line block ×56, first 2 shown]
	v_mov_b32_e32 v87, 0
	s_mov_b32 s4, exec_lo
	ds_read_b128 v[81:84], v87 offset:752
	s_clause 0x2
	buffer_load_dword v147, off, s[0:3], 0 offset:396
	buffer_load_dword v151, off, s[0:3], 0 offset:372
	;; [unrolled: 1-line block ×3, first 2 shown]
	ds_read_b128 v[88:91], v87 offset:768
	s_clause 0x4
	buffer_load_dword v155, off, s[0:3], 0 offset:412
	buffer_load_dword v156, off, s[0:3], 0 offset:424
	;; [unrolled: 1-line block ×5, first 2 shown]
	ds_read_b128 v[92:95], v87 offset:784
	s_waitcnt vmcnt(62) lgkmcnt(2)
	v_mul_f64 v[152:153], v[83:84], v[85:86]
	v_mul_f64 v[85:86], v[81:82], v[85:86]
	s_waitcnt vmcnt(60) lgkmcnt(1)
	v_mul_f64 v[159:160], v[90:91], v[96:97]
	v_mul_f64 v[96:97], v[88:89], v[96:97]
	;; [unrolled: 3-line block ×3, first 2 shown]
	v_fma_f64 v[152:153], v[81:82], v[98:99], -v[152:153]
	v_fma_f64 v[85:86], v[83:84], v[98:99], v[85:86]
	s_clause 0x2
	buffer_load_dword v157, off, s[0:3], 0 offset:428
	buffer_load_dword v99, off, s[0:3], 0 offset:404
	;; [unrolled: 1-line block ×3, first 2 shown]
	s_waitcnt vmcnt(57)
	v_fma_f64 v[88:89], v[88:89], v[1:2], -v[159:160]
	ds_read_b128 v[81:84], v87 offset:800
	v_fma_f64 v[90:91], v[90:91], v[1:2], v[96:97]
	s_clause 0x4
	buffer_load_dword v97, off, s[0:3], 0 offset:444
	buffer_load_dword v160, off, s[0:3], 0 offset:456
	;; [unrolled: 1-line block ×5, first 2 shown]
	s_waitcnt vmcnt(56)
	v_fma_f64 v[92:93], v[92:93], v[106:107], -v[163:164]
	ds_read_b128 v[1:4], v87 offset:816
	v_fma_f64 v[94:95], v[94:95], v[106:107], v[161:162]
	s_clause 0x2
	buffer_load_dword v161, off, s[0:3], 0 offset:460
	buffer_load_dword v107, off, s[0:3], 0 offset:436
	;; [unrolled: 1-line block ×3, first 2 shown]
	v_add_f64 v[152:153], v[152:153], 0
	v_add_f64 v[85:86], v[85:86], 0
	s_waitcnt lgkmcnt(1)
	v_mul_f64 v[166:167], v[81:82], v[100:101]
	v_mul_f64 v[100:101], v[83:84], v[100:101]
	s_waitcnt vmcnt(58) lgkmcnt(0)
	v_mul_f64 v[162:163], v[1:2], v[102:103]
	v_mul_f64 v[102:103], v[3:4], v[102:103]
	v_add_f64 v[152:153], v[152:153], v[88:89]
	v_add_f64 v[85:86], v[85:86], v[90:91]
	ds_read_b128 v[88:91], v87 offset:832
	s_waitcnt vmcnt(56)
	v_fma_f64 v[100:101], v[81:82], v[108:109], -v[100:101]
	v_fma_f64 v[108:109], v[83:84], v[108:109], v[166:167]
	s_waitcnt vmcnt(51)
	v_fma_f64 v[102:103], v[1:2], v[104:105], -v[102:103]
	s_waitcnt lgkmcnt(0)
	v_mul_f64 v[168:169], v[88:89], v[110:111]
	v_add_f64 v[92:93], v[152:153], v[92:93]
	v_add_f64 v[85:86], v[85:86], v[94:95]
	s_clause 0x4
	buffer_load_dword v95, off, s[0:3], 0 offset:476
	buffer_load_dword v152, off, s[0:3], 0 offset:488
	;; [unrolled: 1-line block ×5, first 2 shown]
	v_mul_f64 v[110:111], v[90:91], v[110:111]
	ds_read_b128 v[81:84], v87 offset:848
	v_add_f64 v[92:93], v[92:93], v[100:101]
	v_fma_f64 v[100:101], v[3:4], v[104:105], v[162:163]
	v_add_f64 v[85:86], v[85:86], v[108:109]
	s_clause 0x2
	buffer_load_dword v153, off, s[0:3], 0 offset:492
	buffer_load_dword v105, off, s[0:3], 0 offset:468
	;; [unrolled: 1-line block ×3, first 2 shown]
	s_waitcnt vmcnt(58) lgkmcnt(0)
	v_mul_f64 v[108:109], v[81:82], v[112:113]
	v_mul_f64 v[112:113], v[83:84], v[112:113]
	s_waitcnt vmcnt(56)
	v_fma_f64 v[110:111], v[88:89], v[116:117], -v[110:111]
	ds_read_b128 v[1:4], v87 offset:864
	v_add_f64 v[92:93], v[92:93], v[102:103]
	v_fma_f64 v[102:103], v[90:91], v[116:117], v[168:169]
	v_add_f64 v[85:86], v[85:86], v[100:101]
	s_clause 0x4
	buffer_load_dword v101, off, s[0:3], 0 offset:508
	buffer_load_dword v116, off, s[0:3], 0 offset:520
	;; [unrolled: 1-line block ×5, first 2 shown]
	ds_read_b128 v[88:91], v87 offset:880
	s_waitcnt vmcnt(57) lgkmcnt(1)
	v_mul_f64 v[163:164], v[1:2], v[118:119]
	v_mul_f64 v[118:119], v[3:4], v[118:119]
	s_waitcnt vmcnt(56)
	v_fma_f64 v[112:113], v[81:82], v[114:115], -v[112:113]
	v_fma_f64 v[108:109], v[83:84], v[114:115], v[108:109]
	v_add_f64 v[92:93], v[92:93], v[110:111]
	v_add_f64 v[85:86], v[85:86], v[102:103]
	s_clause 0x2
	buffer_load_dword v117, off, s[0:3], 0 offset:524
	buffer_load_dword v103, off, s[0:3], 0 offset:500
	;; [unrolled: 1-line block ×3, first 2 shown]
	s_waitcnt vmcnt(58) lgkmcnt(0)
	v_mul_f64 v[114:115], v[90:91], v[120:121]
	ds_read_b128 v[81:84], v87 offset:896
	s_waitcnt vmcnt(56)
	v_fma_f64 v[118:119], v[1:2], v[124:125], -v[118:119]
	v_mul_f64 v[110:111], v[88:89], v[120:121]
	v_add_f64 v[92:93], v[92:93], v[112:113]
	v_fma_f64 v[112:113], v[3:4], v[124:125], v[163:164]
	v_add_f64 v[85:86], v[85:86], v[108:109]
	s_clause 0x4
	buffer_load_dword v109, off, s[0:3], 0 offset:540
	buffer_load_dword v120, off, s[0:3], 0 offset:552
	buffer_load_dword v124, off, s[0:3], 0 offset:544
	buffer_load_dword v108, off, s[0:3], 0 offset:536
	buffer_load_dword v163, off, s[0:3], 0 offset:516
	s_waitcnt vmcnt(57) lgkmcnt(0)
	v_mul_f64 v[169:170], v[81:82], v[126:127]
	v_mul_f64 v[125:126], v[83:84], v[126:127]
	s_waitcnt vmcnt(56)
	v_fma_f64 v[114:115], v[88:89], v[122:123], -v[114:115]
	ds_read_b128 v[1:4], v87 offset:912
	v_fma_f64 v[110:111], v[90:91], v[122:123], v[110:111]
	v_add_f64 v[92:93], v[92:93], v[118:119]
	v_add_f64 v[85:86], v[85:86], v[112:113]
	s_clause 0x2
	buffer_load_dword v121, off, s[0:3], 0 offset:556
	buffer_load_dword v113, off, s[0:3], 0 offset:532
	buffer_load_dword v112, off, s[0:3], 0 offset:528
	ds_read_b128 v[88:91], v87 offset:928
	s_waitcnt vmcnt(58) lgkmcnt(1)
	v_mul_f64 v[122:123], v[3:4], v[128:129]
	s_waitcnt vmcnt(56)
	v_fma_f64 v[126:127], v[81:82], v[132:133], -v[125:126]
	v_mul_f64 v[118:119], v[1:2], v[128:129]
	v_add_f64 v[92:93], v[92:93], v[114:115]
	v_fma_f64 v[114:115], v[83:84], v[132:133], v[169:170]
	v_add_f64 v[85:86], v[85:86], v[110:111]
	s_clause 0x4
	buffer_load_dword v111, off, s[0:3], 0 offset:572
	buffer_load_dword v128, off, s[0:3], 0 offset:584
	buffer_load_dword v132, off, s[0:3], 0 offset:576
	buffer_load_dword v110, off, s[0:3], 0 offset:568
	buffer_load_dword v125, off, s[0:3], 0 offset:548
	s_waitcnt vmcnt(57) lgkmcnt(0)
	v_mul_f64 v[169:170], v[88:89], v[134:135]
	v_mul_f64 v[133:134], v[90:91], v[134:135]
	s_waitcnt vmcnt(56)
	v_fma_f64 v[122:123], v[1:2], v[130:131], -v[122:123]
	ds_read_b128 v[81:84], v87 offset:944
	v_fma_f64 v[118:119], v[3:4], v[130:131], v[118:119]
	v_add_f64 v[92:93], v[92:93], v[126:127]
	v_add_f64 v[85:86], v[85:86], v[114:115]
	s_clause 0x2
	buffer_load_dword v129, off, s[0:3], 0 offset:588
	buffer_load_dword v115, off, s[0:3], 0 offset:564
	buffer_load_dword v114, off, s[0:3], 0 offset:560
	ds_read_b128 v[1:4], v87 offset:960
	s_waitcnt vmcnt(58) lgkmcnt(1)
	v_mul_f64 v[130:131], v[83:84], v[138:139]
	;; [unrolled: 28-line block ×3, first 2 shown]
	s_waitcnt vmcnt(56)
	v_fma_f64 v[144:145], v[1:2], v[150:151], -v[143:144]
	v_mul_f64 v[134:135], v[88:89], v[146:147]
	buffer_load_dword v143, off, s[0:3], 0 offset:612
	v_add_f64 v[92:93], v[92:93], v[130:131]
	v_fma_f64 v[130:131], v[3:4], v[150:151], v[169:170]
	v_add_f64 v[85:86], v[85:86], v[126:127]
	ds_read_b128 v[1:4], v87 offset:1008
	s_waitcnt vmcnt(53) lgkmcnt(1)
	v_mul_f64 v[146:147], v[83:84], v[154:155]
	s_waitcnt vmcnt(52)
	v_fma_f64 v[140:141], v[88:89], v[148:149], -v[140:141]
	v_mul_f64 v[126:127], v[81:82], v[154:155]
	v_fma_f64 v[134:135], v[90:91], v[148:149], v[134:135]
	ds_read_b128 v[88:91], v87 offset:1024
	v_add_f64 v[92:93], v[92:93], v[144:145]
	v_add_f64 v[85:86], v[85:86], v[130:131]
	s_waitcnt vmcnt(51) lgkmcnt(1)
	v_mul_f64 v[144:145], v[3:4], v[156:157]
	v_mul_f64 v[130:131], v[1:2], v[156:157]
	s_waitcnt vmcnt(49)
	v_fma_f64 v[146:147], v[81:82], v[98:99], -v[146:147]
	v_fma_f64 v[98:99], v[83:84], v[98:99], v[126:127]
	v_add_f64 v[92:93], v[92:93], v[140:141]
	s_waitcnt vmcnt(45) lgkmcnt(0)
	v_mul_f64 v[140:141], v[88:89], v[96:97]
	v_add_f64 v[85:86], v[85:86], v[134:135]
	s_clause 0x3
	buffer_load_dword v126, off, s[0:3], 0 offset:144
	buffer_load_dword v127, off, s[0:3], 0 offset:148
	;; [unrolled: 1-line block ×4, first 2 shown]
	v_mul_f64 v[96:97], v[90:91], v[96:97]
	ds_read_b128 v[81:84], v87 offset:1040
	s_waitcnt vmcnt(48)
	v_fma_f64 v[144:145], v[1:2], v[158:159], -v[144:145]
	v_fma_f64 v[130:131], v[3:4], v[158:159], v[130:131]
	ds_read_b128 v[1:4], v87 offset:1056
	v_add_f64 v[92:93], v[92:93], v[146:147]
	v_add_f64 v[85:86], v[85:86], v[98:99]
	s_waitcnt vmcnt(47) lgkmcnt(1)
	v_mul_f64 v[146:147], v[83:84], v[160:161]
	s_waitcnt vmcnt(45)
	v_fma_f64 v[96:97], v[88:89], v[106:107], -v[96:97]
	v_mul_f64 v[98:99], v[81:82], v[160:161]
	v_fma_f64 v[106:107], v[90:91], v[106:107], v[140:141]
	ds_read_b128 v[88:91], v87 offset:1072
	v_add_f64 v[92:93], v[92:93], v[144:145]
	v_add_f64 v[85:86], v[85:86], v[130:131]
	s_waitcnt vmcnt(41) lgkmcnt(1)
	v_mul_f64 v[130:131], v[1:2], v[94:95]
	v_mul_f64 v[94:95], v[3:4], v[94:95]
	s_waitcnt vmcnt(40)
	v_fma_f64 v[140:141], v[81:82], v[165:166], -v[146:147]
	v_add_f64 v[92:93], v[92:93], v[96:97]
	v_fma_f64 v[96:97], v[83:84], v[165:166], v[98:99]
	v_add_f64 v[85:86], v[85:86], v[106:107]
	ds_read_b128 v[81:84], v87 offset:1088
	s_waitcnt vmcnt(39) lgkmcnt(1)
	v_mul_f64 v[106:107], v[90:91], v[152:153]
	v_mul_f64 v[98:99], v[88:89], v[152:153]
	s_waitcnt vmcnt(37)
	v_fma_f64 v[94:95], v[1:2], v[104:105], -v[94:95]
	v_fma_f64 v[104:105], v[3:4], v[104:105], v[130:131]
	ds_read_b128 v[1:4], v87 offset:1104
	v_add_f64 v[92:93], v[92:93], v[140:141]
	v_add_f64 v[85:86], v[85:86], v[96:97]
	s_waitcnt vmcnt(33) lgkmcnt(1)
	v_mul_f64 v[96:97], v[81:82], v[100:101]
	v_mul_f64 v[100:101], v[83:84], v[100:101]
	s_waitcnt vmcnt(32)
	v_fma_f64 v[106:107], v[88:89], v[167:168], -v[106:107]
	v_add_f64 v[92:93], v[92:93], v[94:95]
	v_fma_f64 v[94:95], v[90:91], v[167:168], v[98:99]
	v_add_f64 v[85:86], v[85:86], v[104:105]
	ds_read_b128 v[88:91], v87 offset:1120
	s_waitcnt vmcnt(31) lgkmcnt(1)
	v_mul_f64 v[104:105], v[3:4], v[116:117]
	v_mul_f64 v[98:99], v[1:2], v[116:117]
	s_waitcnt vmcnt(29)
	v_fma_f64 v[100:101], v[81:82], v[102:103], -v[100:101]
	v_fma_f64 v[96:97], v[83:84], v[102:103], v[96:97]
	ds_read_b128 v[81:84], v87 offset:1136
	v_add_f64 v[92:93], v[92:93], v[106:107]
	v_add_f64 v[85:86], v[85:86], v[94:95]
	s_waitcnt vmcnt(25) lgkmcnt(1)
	v_mul_f64 v[102:103], v[90:91], v[108:109]
	s_waitcnt vmcnt(24)
	v_fma_f64 v[104:105], v[1:2], v[162:163], -v[104:105]
	v_mul_f64 v[94:95], v[88:89], v[108:109]
	v_fma_f64 v[98:99], v[3:4], v[162:163], v[98:99]
	ds_read_b128 v[1:4], v87 offset:1152
	v_add_f64 v[92:93], v[92:93], v[100:101]
	v_add_f64 v[85:86], v[85:86], v[96:97]
	s_waitcnt vmcnt(23) lgkmcnt(1)
	v_mul_f64 v[100:101], v[83:84], v[120:121]
	v_mul_f64 v[96:97], v[81:82], v[120:121]
	s_waitcnt vmcnt(21)
	v_fma_f64 v[102:103], v[88:89], v[112:113], -v[102:103]
	v_fma_f64 v[94:95], v[90:91], v[112:113], v[94:95]
	ds_read_b128 v[88:91], v87 offset:1168
	v_add_f64 v[92:93], v[92:93], v[104:105]
	v_add_f64 v[85:86], v[85:86], v[98:99]
	s_waitcnt vmcnt(17) lgkmcnt(1)
	v_mul_f64 v[104:105], v[3:4], v[110:111]
	s_waitcnt vmcnt(16)
	v_fma_f64 v[100:101], v[81:82], v[124:125], -v[100:101]
	v_mul_f64 v[98:99], v[1:2], v[110:111]
	v_fma_f64 v[96:97], v[83:84], v[124:125], v[96:97]
	ds_read_b128 v[81:84], v87 offset:1184
	v_add_f64 v[92:93], v[92:93], v[102:103]
	v_add_f64 v[85:86], v[85:86], v[94:95]
	s_waitcnt vmcnt(15) lgkmcnt(1)
	v_mul_f64 v[102:103], v[90:91], v[128:129]
	v_mul_f64 v[94:95], v[88:89], v[128:129]
	s_waitcnt vmcnt(13)
	v_fma_f64 v[104:105], v[1:2], v[114:115], -v[104:105]
	v_fma_f64 v[98:99], v[3:4], v[114:115], v[98:99]
	ds_read_b128 v[1:4], v87 offset:1200
	v_add_f64 v[92:93], v[92:93], v[100:101]
	v_add_f64 v[85:86], v[85:86], v[96:97]
	s_waitcnt vmcnt(9) lgkmcnt(1)
	v_mul_f64 v[100:101], v[83:84], v[118:119]
	s_waitcnt vmcnt(8)
	v_fma_f64 v[88:89], v[88:89], v[132:133], -v[102:103]
	v_mul_f64 v[96:97], v[81:82], v[118:119]
	v_fma_f64 v[90:91], v[90:91], v[132:133], v[94:95]
	v_add_f64 v[92:93], v[92:93], v[104:105]
	v_add_f64 v[85:86], v[85:86], v[98:99]
	s_waitcnt vmcnt(7) lgkmcnt(0)
	v_mul_f64 v[98:99], v[3:4], v[138:139]
	v_mul_f64 v[94:95], v[1:2], v[138:139]
	s_waitcnt vmcnt(5)
	v_fma_f64 v[81:82], v[81:82], v[122:123], -v[100:101]
	v_fma_f64 v[83:84], v[83:84], v[122:123], v[96:97]
	v_add_f64 v[88:89], v[92:93], v[88:89]
	v_add_f64 v[85:86], v[85:86], v[90:91]
	s_waitcnt vmcnt(4)
	v_fma_f64 v[1:2], v[1:2], v[142:143], -v[98:99]
	v_fma_f64 v[3:4], v[3:4], v[142:143], v[94:95]
	v_add_f64 v[81:82], v[88:89], v[81:82]
	v_add_f64 v[83:84], v[85:86], v[83:84]
	;; [unrolled: 1-line block ×4, first 2 shown]
	s_waitcnt vmcnt(2)
	v_add_f64 v[1:2], v[126:127], -v[1:2]
	s_waitcnt vmcnt(0)
	v_add_f64 v[3:4], v[134:135], -v[3:4]
	buffer_store_dword v2, off, s[0:3], 0 offset:148
	buffer_store_dword v1, off, s[0:3], 0 offset:144
	;; [unrolled: 1-line block ×4, first 2 shown]
	v_cmpx_lt_u32_e32 7, v0
	s_cbranch_execz .LBB101_227
; %bb.226:
	v_mov_b32_e32 v4, s43
	s_clause 0x3
	buffer_load_dword v1, v4, s[0:3], 0 offen
	buffer_load_dword v2, v4, s[0:3], 0 offen offset:4
	buffer_load_dword v3, v4, s[0:3], 0 offen offset:8
	;; [unrolled: 1-line block ×3, first 2 shown]
	buffer_store_dword v87, off, s[0:3], 0 offset:128
	buffer_store_dword v87, off, s[0:3], 0 offset:132
	;; [unrolled: 1-line block ×4, first 2 shown]
	s_waitcnt vmcnt(0)
	ds_write_b128 v137, v[1:4]
.LBB101_227:
	s_or_b32 exec_lo, exec_lo, s4
	s_waitcnt lgkmcnt(0)
	s_waitcnt_vscnt null, 0x0
	s_barrier
	buffer_gl0_inv
	s_clause 0x37
	buffer_load_dword v85, off, s[0:3], 0 offset:152
	buffer_load_dword v86, off, s[0:3], 0 offset:156
	;; [unrolled: 1-line block ×56, first 2 shown]
	ds_read_b128 v[88:91], v87 offset:736
	s_clause 0x2
	buffer_load_dword v147, off, s[0:3], 0 offset:380
	buffer_load_dword v151, off, s[0:3], 0 offset:356
	;; [unrolled: 1-line block ×3, first 2 shown]
	ds_read_b128 v[92:95], v87 offset:752
	s_clause 0x4
	buffer_load_dword v155, off, s[0:3], 0 offset:396
	buffer_load_dword v156, off, s[0:3], 0 offset:408
	;; [unrolled: 1-line block ×5, first 2 shown]
	ds_read_b128 v[96:99], v87 offset:768
	s_clause 0x2
	buffer_load_dword v157, off, s[0:3], 0 offset:412
	buffer_load_dword v162, off, s[0:3], 0 offset:388
	;; [unrolled: 1-line block ×3, first 2 shown]
	s_mov_b32 s4, exec_lo
	s_waitcnt vmcnt(62) lgkmcnt(2)
	v_mul_f64 v[152:153], v[90:91], v[85:86]
	v_mul_f64 v[85:86], v[88:89], v[85:86]
	s_waitcnt lgkmcnt(1)
	v_mul_f64 v[159:160], v[94:95], v[81:82]
	s_waitcnt vmcnt(59) lgkmcnt(0)
	v_mul_f64 v[163:164], v[98:99], v[3:4]
	v_fma_f64 v[88:89], v[88:89], v[83:84], -v[152:153]
	v_mul_f64 v[152:153], v[92:93], v[81:82]
	v_fma_f64 v[85:86], v[90:91], v[83:84], v[85:86]
	s_waitcnt vmcnt(57)
	v_fma_f64 v[92:93], v[92:93], v[1:2], -v[159:160]
	ds_read_b128 v[81:84], v87 offset:784
	v_mul_f64 v[90:91], v[96:97], v[3:4]
	s_waitcnt vmcnt(51)
	v_fma_f64 v[96:97], v[96:97], v[106:107], -v[163:164]
	v_add_f64 v[88:89], v[88:89], 0
	v_fma_f64 v[94:95], v[94:95], v[1:2], v[152:153]
	v_add_f64 v[85:86], v[85:86], 0
	s_clause 0x4
	buffer_load_dword v153, off, s[0:3], 0 offset:428
	buffer_load_dword v165, off, s[0:3], 0 offset:440
	;; [unrolled: 1-line block ×5, first 2 shown]
	s_waitcnt lgkmcnt(0)
	v_mul_f64 v[168:169], v[81:82], v[100:101]
	v_mul_f64 v[100:101], v[83:84], v[100:101]
	ds_read_b128 v[1:4], v87 offset:800
	v_fma_f64 v[98:99], v[98:99], v[106:107], v[90:91]
	v_add_f64 v[92:93], v[88:89], v[92:93]
	v_add_f64 v[85:86], v[85:86], v[94:95]
	s_clause 0x2
	buffer_load_dword v166, off, s[0:3], 0 offset:444
	buffer_load_dword v95, off, s[0:3], 0 offset:420
	;; [unrolled: 1-line block ×3, first 2 shown]
	s_waitcnt vmcnt(58) lgkmcnt(0)
	v_mul_f64 v[106:107], v[1:2], v[102:103]
	v_mul_f64 v[102:103], v[3:4], v[102:103]
	s_waitcnt vmcnt(56)
	v_fma_f64 v[100:101], v[81:82], v[108:109], -v[100:101]
	ds_read_b128 v[88:91], v87 offset:816
	v_add_f64 v[92:93], v[92:93], v[96:97]
	v_fma_f64 v[96:97], v[83:84], v[108:109], v[168:169]
	v_add_f64 v[85:86], v[85:86], v[98:99]
	s_clause 0x4
	buffer_load_dword v99, off, s[0:3], 0 offset:460
	buffer_load_dword v108, off, s[0:3], 0 offset:472
	;; [unrolled: 1-line block ×5, first 2 shown]
	ds_read_b128 v[81:84], v87 offset:832
	s_waitcnt vmcnt(57) lgkmcnt(1)
	v_mul_f64 v[169:170], v[88:89], v[110:111]
	v_mul_f64 v[110:111], v[90:91], v[110:111]
	s_waitcnt vmcnt(56)
	v_fma_f64 v[102:103], v[1:2], v[104:105], -v[102:103]
	v_add_f64 v[92:93], v[92:93], v[100:101]
	v_fma_f64 v[100:101], v[3:4], v[104:105], v[106:107]
	v_add_f64 v[85:86], v[85:86], v[96:97]
	s_clause 0x2
	buffer_load_dword v109, off, s[0:3], 0 offset:476
	buffer_load_dword v97, off, s[0:3], 0 offset:452
	buffer_load_dword v96, off, s[0:3], 0 offset:448
	s_waitcnt vmcnt(58) lgkmcnt(0)
	v_mul_f64 v[106:107], v[83:84], v[112:113]
	ds_read_b128 v[1:4], v87 offset:848
	s_waitcnt vmcnt(56)
	v_fma_f64 v[110:111], v[88:89], v[116:117], -v[110:111]
	v_mul_f64 v[104:105], v[81:82], v[112:113]
	v_add_f64 v[92:93], v[92:93], v[102:103]
	v_fma_f64 v[102:103], v[90:91], v[116:117], v[169:170]
	v_add_f64 v[85:86], v[85:86], v[100:101]
	s_clause 0x4
	buffer_load_dword v101, off, s[0:3], 0 offset:492
	buffer_load_dword v112, off, s[0:3], 0 offset:504
	buffer_load_dword v116, off, s[0:3], 0 offset:496
	buffer_load_dword v100, off, s[0:3], 0 offset:488
	buffer_load_dword v164, off, s[0:3], 0 offset:468
	s_waitcnt vmcnt(57) lgkmcnt(0)
	v_mul_f64 v[169:170], v[1:2], v[118:119]
	v_mul_f64 v[117:118], v[3:4], v[118:119]
	s_waitcnt vmcnt(56)
	v_fma_f64 v[106:107], v[81:82], v[114:115], -v[106:107]
	ds_read_b128 v[88:91], v87 offset:864
	v_fma_f64 v[104:105], v[83:84], v[114:115], v[104:105]
	v_add_f64 v[92:93], v[92:93], v[110:111]
	v_add_f64 v[85:86], v[85:86], v[102:103]
	s_clause 0x2
	buffer_load_dword v113, off, s[0:3], 0 offset:508
	buffer_load_dword v103, off, s[0:3], 0 offset:484
	buffer_load_dword v102, off, s[0:3], 0 offset:480
	ds_read_b128 v[81:84], v87 offset:880
	s_waitcnt vmcnt(58) lgkmcnt(1)
	v_mul_f64 v[114:115], v[90:91], v[120:121]
	s_waitcnt vmcnt(56)
	v_fma_f64 v[118:119], v[1:2], v[124:125], -v[117:118]
	v_mul_f64 v[110:111], v[88:89], v[120:121]
	v_add_f64 v[92:93], v[92:93], v[106:107]
	v_fma_f64 v[106:107], v[3:4], v[124:125], v[169:170]
	v_add_f64 v[85:86], v[85:86], v[104:105]
	s_clause 0x4
	buffer_load_dword v105, off, s[0:3], 0 offset:524
	buffer_load_dword v120, off, s[0:3], 0 offset:536
	buffer_load_dword v124, off, s[0:3], 0 offset:528
	buffer_load_dword v104, off, s[0:3], 0 offset:520
	buffer_load_dword v117, off, s[0:3], 0 offset:500
	s_waitcnt vmcnt(57) lgkmcnt(0)
	v_mul_f64 v[169:170], v[81:82], v[126:127]
	v_mul_f64 v[125:126], v[83:84], v[126:127]
	s_waitcnt vmcnt(56)
	v_fma_f64 v[114:115], v[88:89], v[122:123], -v[114:115]
	ds_read_b128 v[1:4], v87 offset:896
	v_fma_f64 v[110:111], v[90:91], v[122:123], v[110:111]
	v_add_f64 v[92:93], v[92:93], v[118:119]
	v_add_f64 v[85:86], v[85:86], v[106:107]
	s_clause 0x2
	buffer_load_dword v121, off, s[0:3], 0 offset:540
	buffer_load_dword v107, off, s[0:3], 0 offset:516
	buffer_load_dword v106, off, s[0:3], 0 offset:512
	ds_read_b128 v[88:91], v87 offset:912
	s_waitcnt vmcnt(58) lgkmcnt(1)
	v_mul_f64 v[122:123], v[3:4], v[128:129]
	;; [unrolled: 28-line block ×4, first 2 shown]
	s_waitcnt vmcnt(56)
	v_fma_f64 v[144:145], v[1:2], v[150:151], -v[143:144]
	v_mul_f64 v[134:135], v[88:89], v[146:147]
	v_add_f64 v[92:93], v[92:93], v[130:131]
	v_fma_f64 v[130:131], v[3:4], v[150:151], v[169:170]
	v_add_f64 v[85:86], v[85:86], v[126:127]
	s_clause 0x2
	buffer_load_dword v127, off, s[0:3], 0 offset:620
	buffer_load_dword v126, off, s[0:3], 0 offset:616
	;; [unrolled: 1-line block ×3, first 2 shown]
	s_waitcnt vmcnt(55) lgkmcnt(0)
	v_mul_f64 v[150:151], v[83:84], v[154:155]
	s_waitcnt vmcnt(54)
	v_fma_f64 v[140:141], v[88:89], v[148:149], -v[140:141]
	ds_read_b128 v[1:4], v87 offset:992
	v_mul_f64 v[146:147], v[81:82], v[154:155]
	v_fma_f64 v[134:135], v[90:91], v[148:149], v[134:135]
	v_add_f64 v[92:93], v[92:93], v[144:145]
	v_add_f64 v[85:86], v[85:86], v[130:131]
	s_clause 0x1
	buffer_load_dword v131, off, s[0:3], 0 offset:612
	buffer_load_dword v130, off, s[0:3], 0 offset:608
	s_waitcnt vmcnt(55) lgkmcnt(0)
	v_mul_f64 v[148:149], v[3:4], v[156:157]
	s_waitcnt vmcnt(53)
	v_fma_f64 v[150:151], v[81:82], v[161:162], -v[150:151]
	ds_read_b128 v[88:91], v87 offset:1008
	v_mul_f64 v[144:145], v[1:2], v[156:157]
	v_add_f64 v[92:93], v[92:93], v[140:141]
	v_fma_f64 v[140:141], v[83:84], v[161:162], v[146:147]
	v_add_f64 v[85:86], v[85:86], v[134:135]
	ds_read_b128 v[81:84], v87 offset:1024
	s_waitcnt vmcnt(49) lgkmcnt(1)
	v_mul_f64 v[146:147], v[90:91], v[152:153]
	s_waitcnt vmcnt(48)
	v_fma_f64 v[148:149], v[1:2], v[158:159], -v[148:149]
	v_mul_f64 v[134:135], v[88:89], v[152:153]
	v_fma_f64 v[144:145], v[3:4], v[158:159], v[144:145]
	v_add_f64 v[92:93], v[92:93], v[150:151]
	v_add_f64 v[85:86], v[85:86], v[140:141]
	s_clause 0x3
	buffer_load_dword v140, off, s[0:3], 0 offset:128
	buffer_load_dword v141, off, s[0:3], 0 offset:132
	;; [unrolled: 1-line block ×4, first 2 shown]
	ds_read_b128 v[1:4], v87 offset:1040
	s_waitcnt vmcnt(51) lgkmcnt(1)
	v_mul_f64 v[154:155], v[83:84], v[165:166]
	v_mul_f64 v[152:153], v[81:82], v[165:166]
	s_waitcnt vmcnt(49)
	v_fma_f64 v[146:147], v[88:89], v[94:95], -v[146:147]
	v_fma_f64 v[94:95], v[90:91], v[94:95], v[134:135]
	ds_read_b128 v[88:91], v87 offset:1056
	v_add_f64 v[92:93], v[92:93], v[148:149]
	v_add_f64 v[85:86], v[85:86], v[144:145]
	s_waitcnt vmcnt(45) lgkmcnt(1)
	v_mul_f64 v[134:135], v[1:2], v[98:99]
	v_mul_f64 v[98:99], v[3:4], v[98:99]
	s_waitcnt vmcnt(44)
	v_fma_f64 v[144:145], v[81:82], v[167:168], -v[154:155]
	v_add_f64 v[92:93], v[92:93], v[146:147]
	v_fma_f64 v[146:147], v[83:84], v[167:168], v[152:153]
	v_add_f64 v[85:86], v[85:86], v[94:95]
	ds_read_b128 v[81:84], v87 offset:1072
	s_waitcnt vmcnt(43) lgkmcnt(1)
	v_mul_f64 v[94:95], v[88:89], v[108:109]
	v_mul_f64 v[108:109], v[90:91], v[108:109]
	s_waitcnt vmcnt(41)
	v_fma_f64 v[98:99], v[1:2], v[96:97], -v[98:99]
	v_fma_f64 v[96:97], v[3:4], v[96:97], v[134:135]
	ds_read_b128 v[1:4], v87 offset:1088
	v_add_f64 v[92:93], v[92:93], v[144:145]
	v_add_f64 v[85:86], v[85:86], v[146:147]
	s_waitcnt vmcnt(37) lgkmcnt(1)
	v_mul_f64 v[134:135], v[81:82], v[100:101]
	v_mul_f64 v[100:101], v[83:84], v[100:101]
	s_waitcnt vmcnt(36)
	v_fma_f64 v[108:109], v[88:89], v[163:164], -v[108:109]
	v_fma_f64 v[94:95], v[90:91], v[163:164], v[94:95]
	ds_read_b128 v[88:91], v87 offset:1104
	v_add_f64 v[92:93], v[92:93], v[98:99]
	v_add_f64 v[85:86], v[85:86], v[96:97]
	;; [unrolled: 9-line block ×5, first 2 shown]
	s_waitcnt vmcnt(21) lgkmcnt(1)
	v_mul_f64 v[98:99], v[3:4], v[110:111]
	s_waitcnt vmcnt(20)
	v_fma_f64 v[102:103], v[81:82], v[124:125], -v[102:103]
	v_mul_f64 v[96:97], v[1:2], v[110:111]
	v_fma_f64 v[100:101], v[83:84], v[124:125], v[100:101]
	ds_read_b128 v[81:84], v87 offset:1168
	v_add_f64 v[92:93], v[92:93], v[104:105]
	v_add_f64 v[85:86], v[85:86], v[94:95]
	s_waitcnt vmcnt(19) lgkmcnt(1)
	v_mul_f64 v[104:105], v[90:91], v[128:129]
	v_mul_f64 v[94:95], v[88:89], v[128:129]
	s_waitcnt vmcnt(17)
	v_fma_f64 v[98:99], v[1:2], v[114:115], -v[98:99]
	v_fma_f64 v[96:97], v[3:4], v[114:115], v[96:97]
	ds_read_b128 v[1:4], v87 offset:1184
	v_add_f64 v[92:93], v[92:93], v[102:103]
	v_add_f64 v[85:86], v[85:86], v[100:101]
	s_waitcnt vmcnt(13) lgkmcnt(1)
	v_mul_f64 v[102:103], v[83:84], v[118:119]
	s_waitcnt vmcnt(12)
	v_fma_f64 v[104:105], v[88:89], v[132:133], -v[104:105]
	v_mul_f64 v[100:101], v[81:82], v[118:119]
	v_fma_f64 v[89:90], v[90:91], v[132:133], v[94:95]
	v_add_f64 v[92:93], v[92:93], v[98:99]
	v_add_f64 v[94:95], v[85:86], v[96:97]
	ds_read_b128 v[85:88], v87 offset:1200
	s_waitcnt vmcnt(11) lgkmcnt(1)
	v_mul_f64 v[98:99], v[3:4], v[138:139]
	v_mul_f64 v[96:97], v[1:2], v[138:139]
	s_waitcnt vmcnt(9)
	v_fma_f64 v[81:82], v[81:82], v[122:123], -v[102:103]
	v_fma_f64 v[83:84], v[83:84], v[122:123], v[100:101]
	v_add_f64 v[91:92], v[92:93], v[104:105]
	v_add_f64 v[89:90], v[94:95], v[89:90]
	s_waitcnt vmcnt(7) lgkmcnt(0)
	v_mul_f64 v[100:101], v[87:88], v[126:127]
	s_waitcnt vmcnt(6)
	v_fma_f64 v[1:2], v[1:2], v[142:143], -v[98:99]
	v_mul_f64 v[93:94], v[85:86], v[126:127]
	v_fma_f64 v[3:4], v[3:4], v[142:143], v[96:97]
	v_add_f64 v[81:82], v[91:92], v[81:82]
	v_add_f64 v[83:84], v[89:90], v[83:84]
	s_waitcnt vmcnt(4)
	v_fma_f64 v[85:86], v[85:86], v[130:131], -v[100:101]
	v_add_f64 v[1:2], v[81:82], v[1:2]
	v_fma_f64 v[81:82], v[87:88], v[130:131], v[93:94]
	v_add_f64 v[3:4], v[83:84], v[3:4]
	v_add_f64 v[1:2], v[1:2], v[85:86]
	;; [unrolled: 1-line block ×3, first 2 shown]
	s_waitcnt vmcnt(2)
	v_add_f64 v[1:2], v[140:141], -v[1:2]
	s_waitcnt vmcnt(0)
	v_add_f64 v[3:4], v[150:151], -v[3:4]
	buffer_store_dword v2, off, s[0:3], 0 offset:132
	buffer_store_dword v1, off, s[0:3], 0 offset:128
	;; [unrolled: 1-line block ×4, first 2 shown]
	v_cmpx_lt_u32_e32 6, v0
	s_cbranch_execz .LBB101_229
; %bb.228:
	v_mov_b32_e32 v4, s44
	v_mov_b32_e32 v81, 0
	s_clause 0x3
	buffer_load_dword v1, v4, s[0:3], 0 offen
	buffer_load_dword v2, v4, s[0:3], 0 offen offset:4
	buffer_load_dword v3, v4, s[0:3], 0 offen offset:8
	;; [unrolled: 1-line block ×3, first 2 shown]
	buffer_store_dword v81, off, s[0:3], 0 offset:112
	buffer_store_dword v81, off, s[0:3], 0 offset:116
	;; [unrolled: 1-line block ×4, first 2 shown]
	s_waitcnt vmcnt(0)
	ds_write_b128 v137, v[1:4]
.LBB101_229:
	s_or_b32 exec_lo, exec_lo, s4
	s_waitcnt lgkmcnt(0)
	s_waitcnt_vscnt null, 0x0
	s_barrier
	buffer_gl0_inv
	s_clause 0x37
	buffer_load_dword v85, off, s[0:3], 0 offset:136
	buffer_load_dword v86, off, s[0:3], 0 offset:140
	;; [unrolled: 1-line block ×56, first 2 shown]
	v_mov_b32_e32 v105, 0
	s_mov_b32 s4, exec_lo
	ds_read_b128 v[93:96], v105 offset:720
	s_clause 0x2
	buffer_load_dword v147, off, s[0:3], 0 offset:364
	buffer_load_dword v151, off, s[0:3], 0 offset:340
	;; [unrolled: 1-line block ×3, first 2 shown]
	ds_read_b128 v[97:100], v105 offset:736
	s_clause 0x4
	buffer_load_dword v155, off, s[0:3], 0 offset:380
	buffer_load_dword v156, off, s[0:3], 0 offset:392
	;; [unrolled: 1-line block ×5, first 2 shown]
	ds_read_b128 v[101:104], v105 offset:752
	s_clause 0x2
	buffer_load_dword v157, off, s[0:3], 0 offset:396
	buffer_load_dword v162, off, s[0:3], 0 offset:372
	;; [unrolled: 1-line block ×3, first 2 shown]
	s_waitcnt vmcnt(62) lgkmcnt(2)
	v_mul_f64 v[152:153], v[95:96], v[85:86]
	v_mul_f64 v[85:86], v[93:94], v[85:86]
	s_waitcnt lgkmcnt(1)
	v_mul_f64 v[159:160], v[99:100], v[81:82]
	s_waitcnt vmcnt(59) lgkmcnt(0)
	v_mul_f64 v[163:164], v[103:104], v[3:4]
	v_fma_f64 v[93:94], v[93:94], v[83:84], -v[152:153]
	v_mul_f64 v[152:153], v[97:98], v[81:82]
	v_fma_f64 v[85:86], v[95:96], v[83:84], v[85:86]
	s_waitcnt vmcnt(57)
	v_fma_f64 v[97:98], v[97:98], v[1:2], -v[159:160]
	ds_read_b128 v[81:84], v105 offset:768
	v_mul_f64 v[95:96], v[101:102], v[3:4]
	s_waitcnt vmcnt(51)
	v_fma_f64 v[101:102], v[101:102], v[108:109], -v[163:164]
	v_add_f64 v[93:94], v[93:94], 0
	v_fma_f64 v[99:100], v[99:100], v[1:2], v[152:153]
	v_add_f64 v[85:86], v[85:86], 0
	s_clause 0x4
	buffer_load_dword v153, off, s[0:3], 0 offset:412
	buffer_load_dword v165, off, s[0:3], 0 offset:424
	;; [unrolled: 1-line block ×5, first 2 shown]
	s_waitcnt lgkmcnt(0)
	v_mul_f64 v[168:169], v[81:82], v[89:90]
	v_mul_f64 v[89:90], v[83:84], v[89:90]
	ds_read_b128 v[1:4], v105 offset:784
	v_fma_f64 v[103:104], v[103:104], v[108:109], v[95:96]
	v_add_f64 v[97:98], v[93:94], v[97:98]
	v_add_f64 v[85:86], v[85:86], v[99:100]
	s_clause 0x2
	buffer_load_dword v166, off, s[0:3], 0 offset:428
	buffer_load_dword v100, off, s[0:3], 0 offset:404
	;; [unrolled: 1-line block ×3, first 2 shown]
	s_waitcnt vmcnt(58) lgkmcnt(0)
	v_mul_f64 v[108:109], v[1:2], v[106:107]
	v_mul_f64 v[106:107], v[3:4], v[106:107]
	s_waitcnt vmcnt(56)
	v_fma_f64 v[89:90], v[81:82], v[110:111], -v[89:90]
	ds_read_b128 v[93:96], v105 offset:800
	v_add_f64 v[97:98], v[97:98], v[101:102]
	v_fma_f64 v[101:102], v[83:84], v[110:111], v[168:169]
	v_add_f64 v[85:86], v[85:86], v[103:104]
	s_clause 0x4
	buffer_load_dword v104, off, s[0:3], 0 offset:444
	buffer_load_dword v110, off, s[0:3], 0 offset:456
	buffer_load_dword v163, off, s[0:3], 0 offset:448
	buffer_load_dword v103, off, s[0:3], 0 offset:440
	buffer_load_dword v168, off, s[0:3], 0 offset:420
	ds_read_b128 v[81:84], v105 offset:816
	s_waitcnt vmcnt(57) lgkmcnt(1)
	v_mul_f64 v[169:170], v[93:94], v[112:113]
	v_mul_f64 v[112:113], v[95:96], v[112:113]
	s_waitcnt vmcnt(56)
	v_fma_f64 v[106:107], v[1:2], v[87:88], -v[106:107]
	v_fma_f64 v[87:88], v[3:4], v[87:88], v[108:109]
	v_add_f64 v[89:90], v[97:98], v[89:90]
	s_clause 0x2
	buffer_load_dword v111, off, s[0:3], 0 offset:460
	buffer_load_dword v98, off, s[0:3], 0 offset:436
	buffer_load_dword v97, off, s[0:3], 0 offset:432
	v_add_f64 v[85:86], v[85:86], v[101:102]
	s_waitcnt vmcnt(58) lgkmcnt(0)
	v_mul_f64 v[108:109], v[83:84], v[114:115]
	ds_read_b128 v[1:4], v105 offset:832
	v_mul_f64 v[101:102], v[81:82], v[114:115]
	s_waitcnt vmcnt(56)
	v_fma_f64 v[93:94], v[93:94], v[116:117], -v[112:113]
	v_fma_f64 v[95:96], v[95:96], v[116:117], v[169:170]
	s_clause 0x4
	buffer_load_dword v113, off, s[0:3], 0 offset:476
	buffer_load_dword v114, off, s[0:3], 0 offset:488
	;; [unrolled: 1-line block ×5, first 2 shown]
	v_add_f64 v[89:90], v[89:90], v[106:107]
	v_add_f64 v[106:107], v[85:86], v[87:88]
	s_waitcnt vmcnt(57) lgkmcnt(0)
	v_mul_f64 v[169:170], v[1:2], v[118:119]
	v_mul_f64 v[117:118], v[3:4], v[118:119]
	s_waitcnt vmcnt(56)
	v_fma_f64 v[108:109], v[81:82], v[91:92], -v[108:109]
	ds_read_b128 v[85:88], v105 offset:848
	v_fma_f64 v[91:92], v[83:84], v[91:92], v[101:102]
	v_add_f64 v[89:90], v[89:90], v[93:94]
	v_add_f64 v[93:94], v[106:107], v[95:96]
	s_clause 0x2
	buffer_load_dword v115, off, s[0:3], 0 offset:492
	buffer_load_dword v96, off, s[0:3], 0 offset:468
	;; [unrolled: 1-line block ×3, first 2 shown]
	s_waitcnt vmcnt(58) lgkmcnt(0)
	v_mul_f64 v[106:107], v[87:88], v[120:121]
	s_waitcnt vmcnt(56)
	v_fma_f64 v[118:119], v[1:2], v[124:125], -v[117:118]
	ds_read_b128 v[81:84], v105 offset:864
	v_mul_f64 v[101:102], v[85:86], v[120:121]
	v_add_f64 v[89:90], v[89:90], v[108:109]
	v_fma_f64 v[108:109], v[3:4], v[124:125], v[169:170]
	v_add_f64 v[91:92], v[93:94], v[91:92]
	s_clause 0x4
	buffer_load_dword v94, off, s[0:3], 0 offset:508
	buffer_load_dword v120, off, s[0:3], 0 offset:520
	buffer_load_dword v124, off, s[0:3], 0 offset:512
	buffer_load_dword v93, off, s[0:3], 0 offset:504
	buffer_load_dword v117, off, s[0:3], 0 offset:484
	s_waitcnt vmcnt(57) lgkmcnt(0)
	v_mul_f64 v[169:170], v[81:82], v[126:127]
	v_mul_f64 v[125:126], v[83:84], v[126:127]
	s_waitcnt vmcnt(56)
	v_fma_f64 v[106:107], v[85:86], v[122:123], -v[106:107]
	ds_read_b128 v[1:4], v105 offset:880
	v_fma_f64 v[101:102], v[87:88], v[122:123], v[101:102]
	v_add_f64 v[89:90], v[89:90], v[118:119]
	v_add_f64 v[91:92], v[91:92], v[108:109]
	s_clause 0x2
	buffer_load_dword v121, off, s[0:3], 0 offset:524
	buffer_load_dword v109, off, s[0:3], 0 offset:500
	buffer_load_dword v108, off, s[0:3], 0 offset:496
	ds_read_b128 v[85:88], v105 offset:896
	s_waitcnt vmcnt(58) lgkmcnt(1)
	v_mul_f64 v[122:123], v[3:4], v[128:129]
	s_waitcnt vmcnt(56)
	v_fma_f64 v[126:127], v[81:82], v[132:133], -v[125:126]
	v_mul_f64 v[118:119], v[1:2], v[128:129]
	v_add_f64 v[89:90], v[89:90], v[106:107]
	v_fma_f64 v[106:107], v[83:84], v[132:133], v[169:170]
	v_add_f64 v[91:92], v[91:92], v[101:102]
	s_clause 0x4
	buffer_load_dword v102, off, s[0:3], 0 offset:540
	buffer_load_dword v128, off, s[0:3], 0 offset:552
	buffer_load_dword v132, off, s[0:3], 0 offset:544
	buffer_load_dword v101, off, s[0:3], 0 offset:536
	buffer_load_dword v125, off, s[0:3], 0 offset:516
	s_waitcnt vmcnt(57) lgkmcnt(0)
	v_mul_f64 v[169:170], v[85:86], v[134:135]
	v_mul_f64 v[133:134], v[87:88], v[134:135]
	s_waitcnt vmcnt(56)
	v_fma_f64 v[122:123], v[1:2], v[130:131], -v[122:123]
	ds_read_b128 v[81:84], v105 offset:912
	v_fma_f64 v[118:119], v[3:4], v[130:131], v[118:119]
	v_add_f64 v[89:90], v[89:90], v[126:127]
	v_add_f64 v[91:92], v[91:92], v[106:107]
	s_clause 0x2
	buffer_load_dword v129, off, s[0:3], 0 offset:556
	buffer_load_dword v107, off, s[0:3], 0 offset:532
	buffer_load_dword v106, off, s[0:3], 0 offset:528
	ds_read_b128 v[1:4], v105 offset:928
	s_waitcnt vmcnt(58) lgkmcnt(1)
	v_mul_f64 v[130:131], v[83:84], v[138:139]
	s_waitcnt vmcnt(56)
	v_fma_f64 v[134:135], v[85:86], v[142:143], -v[133:134]
	;; [unrolled: 28-line block ×4, first 2 shown]
	v_mul_f64 v[144:145], v[1:2], v[156:157]
	buffer_load_dword v151, off, s[0:3], 0 offset:612
	v_add_f64 v[89:90], v[89:90], v[140:141]
	v_fma_f64 v[140:141], v[83:84], v[161:162], v[169:170]
	v_add_f64 v[91:92], v[91:92], v[134:135]
	ds_read_b128 v[81:84], v105 offset:1008
	s_waitcnt vmcnt(53) lgkmcnt(1)
	v_mul_f64 v[134:135], v[85:86], v[152:153]
	v_mul_f64 v[152:153], v[87:88], v[152:153]
	s_waitcnt vmcnt(52)
	v_fma_f64 v[148:149], v[1:2], v[158:159], -v[148:149]
	v_fma_f64 v[144:145], v[3:4], v[158:159], v[144:145]
	ds_read_b128 v[1:4], v105 offset:1024
	v_add_f64 v[89:90], v[89:90], v[154:155]
	v_add_f64 v[91:92], v[91:92], v[140:141]
	s_waitcnt vmcnt(51) lgkmcnt(1)
	v_mul_f64 v[154:155], v[83:84], v[165:166]
	v_mul_f64 v[140:141], v[81:82], v[165:166]
	s_waitcnt vmcnt(49)
	v_fma_f64 v[152:153], v[85:86], v[99:100], -v[152:153]
	v_fma_f64 v[99:100], v[87:88], v[99:100], v[134:135]
	v_add_f64 v[89:90], v[89:90], v[148:149]
	v_add_f64 v[91:92], v[91:92], v[144:145]
	s_clause 0x3
	buffer_load_dword v134, off, s[0:3], 0 offset:112
	buffer_load_dword v135, off, s[0:3], 0 offset:116
	;; [unrolled: 1-line block ×4, first 2 shown]
	ds_read_b128 v[85:88], v105 offset:1040
	s_waitcnt vmcnt(49) lgkmcnt(1)
	v_mul_f64 v[148:149], v[1:2], v[103:104]
	v_mul_f64 v[103:104], v[3:4], v[103:104]
	s_waitcnt vmcnt(48)
	v_fma_f64 v[154:155], v[81:82], v[167:168], -v[154:155]
	v_fma_f64 v[140:141], v[83:84], v[167:168], v[140:141]
	ds_read_b128 v[81:84], v105 offset:1056
	v_add_f64 v[89:90], v[89:90], v[152:153]
	v_add_f64 v[91:92], v[91:92], v[99:100]
	s_waitcnt vmcnt(47) lgkmcnt(1)
	v_mul_f64 v[99:100], v[85:86], v[110:111]
	v_mul_f64 v[110:111], v[87:88], v[110:111]
	s_waitcnt vmcnt(45)
	v_fma_f64 v[103:104], v[1:2], v[97:98], -v[103:104]
	v_fma_f64 v[97:98], v[3:4], v[97:98], v[148:149]
	ds_read_b128 v[1:4], v105 offset:1072
	v_add_f64 v[89:90], v[89:90], v[154:155]
	v_add_f64 v[91:92], v[91:92], v[140:141]
	s_waitcnt vmcnt(41) lgkmcnt(1)
	v_mul_f64 v[140:141], v[81:82], v[112:113]
	v_mul_f64 v[112:113], v[83:84], v[112:113]
	s_waitcnt vmcnt(40)
	v_fma_f64 v[99:100], v[87:88], v[163:164], v[99:100]
	v_fma_f64 v[110:111], v[85:86], v[163:164], -v[110:111]
	ds_read_b128 v[85:88], v105 offset:1088
	v_add_f64 v[89:90], v[89:90], v[103:104]
	v_add_f64 v[91:92], v[91:92], v[97:98]
	s_waitcnt vmcnt(39) lgkmcnt(1)
	v_mul_f64 v[103:104], v[3:4], v[114:115]
	v_mul_f64 v[97:98], v[1:2], v[114:115]
	s_waitcnt vmcnt(37)
	v_fma_f64 v[112:113], v[81:82], v[95:96], -v[112:113]
	v_fma_f64 v[95:96], v[83:84], v[95:96], v[140:141]
	ds_read_b128 v[81:84], v105 offset:1104
	v_add_f64 v[89:90], v[89:90], v[110:111]
	v_add_f64 v[91:92], v[91:92], v[99:100]
	s_waitcnt vmcnt(33) lgkmcnt(1)
	v_mul_f64 v[99:100], v[85:86], v[93:94]
	v_mul_f64 v[93:94], v[87:88], v[93:94]
	s_waitcnt vmcnt(32)
	v_fma_f64 v[103:104], v[1:2], v[116:117], -v[103:104]
	v_fma_f64 v[97:98], v[3:4], v[116:117], v[97:98]
	;; [unrolled: 9-line block ×3, first 2 shown]
	ds_read_b128 v[85:88], v105 offset:1136
	v_add_f64 v[89:90], v[89:90], v[103:104]
	v_add_f64 v[91:92], v[91:92], v[97:98]
	s_waitcnt vmcnt(25) lgkmcnt(1)
	v_mul_f64 v[97:98], v[1:2], v[101:102]
	v_mul_f64 v[101:102], v[3:4], v[101:102]
	s_waitcnt vmcnt(24)
	v_fma_f64 v[103:104], v[81:82], v[124:125], -v[110:111]
	v_add_f64 v[89:90], v[89:90], v[93:94]
	v_fma_f64 v[93:94], v[83:84], v[124:125], v[95:96]
	v_add_f64 v[91:92], v[91:92], v[99:100]
	ds_read_b128 v[81:84], v105 offset:1152
	s_waitcnt vmcnt(23) lgkmcnt(1)
	v_mul_f64 v[99:100], v[87:88], v[128:129]
	v_mul_f64 v[95:96], v[85:86], v[128:129]
	s_waitcnt vmcnt(21)
	v_fma_f64 v[101:102], v[1:2], v[106:107], -v[101:102]
	v_fma_f64 v[97:98], v[3:4], v[106:107], v[97:98]
	ds_read_b128 v[1:4], v105 offset:1168
	v_add_f64 v[89:90], v[89:90], v[103:104]
	v_add_f64 v[91:92], v[91:92], v[93:94]
	s_waitcnt vmcnt(17) lgkmcnt(1)
	v_mul_f64 v[103:104], v[83:84], v[118:119]
	s_waitcnt vmcnt(16)
	v_fma_f64 v[99:100], v[85:86], v[132:133], -v[99:100]
	v_mul_f64 v[93:94], v[81:82], v[118:119]
	v_fma_f64 v[95:96], v[87:88], v[132:133], v[95:96]
	ds_read_b128 v[85:88], v105 offset:1184
	v_add_f64 v[89:90], v[89:90], v[101:102]
	v_add_f64 v[91:92], v[91:92], v[97:98]
	s_waitcnt vmcnt(15) lgkmcnt(1)
	v_mul_f64 v[101:102], v[3:4], v[138:139]
	v_mul_f64 v[97:98], v[1:2], v[138:139]
	s_waitcnt vmcnt(13)
	v_fma_f64 v[103:104], v[81:82], v[122:123], -v[103:104]
	v_fma_f64 v[93:94], v[83:84], v[122:123], v[93:94]
	ds_read_b128 v[81:84], v105 offset:1200
	v_add_f64 v[89:90], v[89:90], v[99:100]
	v_add_f64 v[91:92], v[91:92], v[95:96]
	s_waitcnt vmcnt(9) lgkmcnt(1)
	v_mul_f64 v[99:100], v[87:88], v[126:127]
	s_waitcnt vmcnt(8)
	v_fma_f64 v[1:2], v[1:2], v[142:143], -v[101:102]
	v_mul_f64 v[95:96], v[85:86], v[126:127]
	v_fma_f64 v[3:4], v[3:4], v[142:143], v[97:98]
	v_add_f64 v[89:90], v[89:90], v[103:104]
	v_add_f64 v[91:92], v[91:92], v[93:94]
	s_waitcnt vmcnt(7) lgkmcnt(0)
	v_mul_f64 v[97:98], v[83:84], v[146:147]
	v_mul_f64 v[93:94], v[81:82], v[146:147]
	s_waitcnt vmcnt(5)
	v_fma_f64 v[85:86], v[85:86], v[130:131], -v[99:100]
	v_fma_f64 v[87:88], v[87:88], v[130:131], v[95:96]
	v_add_f64 v[1:2], v[89:90], v[1:2]
	v_add_f64 v[3:4], v[91:92], v[3:4]
	s_waitcnt vmcnt(4)
	v_fma_f64 v[81:82], v[81:82], v[150:151], -v[97:98]
	v_fma_f64 v[83:84], v[83:84], v[150:151], v[93:94]
	v_add_f64 v[1:2], v[1:2], v[85:86]
	v_add_f64 v[3:4], v[3:4], v[87:88]
	;; [unrolled: 1-line block ×4, first 2 shown]
	s_waitcnt vmcnt(2)
	v_add_f64 v[1:2], v[134:135], -v[1:2]
	s_waitcnt vmcnt(0)
	v_add_f64 v[3:4], v[144:145], -v[3:4]
	buffer_store_dword v2, off, s[0:3], 0 offset:116
	buffer_store_dword v1, off, s[0:3], 0 offset:112
	;; [unrolled: 1-line block ×4, first 2 shown]
	v_cmpx_lt_u32_e32 5, v0
	s_cbranch_execz .LBB101_231
; %bb.230:
	v_mov_b32_e32 v4, s45
	s_clause 0x3
	buffer_load_dword v1, v4, s[0:3], 0 offen
	buffer_load_dword v2, v4, s[0:3], 0 offen offset:4
	buffer_load_dword v3, v4, s[0:3], 0 offen offset:8
	;; [unrolled: 1-line block ×3, first 2 shown]
	buffer_store_dword v105, off, s[0:3], 0 offset:96
	buffer_store_dword v105, off, s[0:3], 0 offset:100
	;; [unrolled: 1-line block ×4, first 2 shown]
	s_waitcnt vmcnt(0)
	ds_write_b128 v137, v[1:4]
.LBB101_231:
	s_or_b32 exec_lo, exec_lo, s4
	s_waitcnt lgkmcnt(0)
	s_waitcnt_vscnt null, 0x0
	s_barrier
	buffer_gl0_inv
	s_clause 0x37
	buffer_load_dword v85, off, s[0:3], 0 offset:120
	buffer_load_dword v86, off, s[0:3], 0 offset:124
	;; [unrolled: 1-line block ×56, first 2 shown]
	ds_read_b128 v[106:109], v105 offset:704
	s_clause 0x2
	buffer_load_dword v147, off, s[0:3], 0 offset:348
	buffer_load_dword v151, off, s[0:3], 0 offset:324
	buffer_load_dword v150, off, s[0:3], 0 offset:320
	ds_read_b128 v[110:113], v105 offset:720
	s_clause 0x4
	buffer_load_dword v155, off, s[0:3], 0 offset:364
	buffer_load_dword v156, off, s[0:3], 0 offset:376
	;; [unrolled: 1-line block ×5, first 2 shown]
	ds_read_b128 v[114:117], v105 offset:736
	s_clause 0x2
	buffer_load_dword v157, off, s[0:3], 0 offset:380
	buffer_load_dword v162, off, s[0:3], 0 offset:356
	;; [unrolled: 1-line block ×3, first 2 shown]
	s_mov_b32 s4, exec_lo
	s_waitcnt vmcnt(62) lgkmcnt(2)
	v_mul_f64 v[152:153], v[108:109], v[85:86]
	v_mul_f64 v[85:86], v[106:107], v[85:86]
	s_waitcnt lgkmcnt(1)
	v_mul_f64 v[159:160], v[112:113], v[81:82]
	s_waitcnt vmcnt(59) lgkmcnt(0)
	v_mul_f64 v[163:164], v[116:117], v[3:4]
	v_fma_f64 v[106:107], v[106:107], v[83:84], -v[152:153]
	v_mul_f64 v[152:153], v[110:111], v[81:82]
	v_fma_f64 v[85:86], v[108:109], v[83:84], v[85:86]
	s_waitcnt vmcnt(57)
	v_fma_f64 v[110:111], v[110:111], v[1:2], -v[159:160]
	ds_read_b128 v[81:84], v105 offset:752
	v_mul_f64 v[108:109], v[114:115], v[3:4]
	s_waitcnt vmcnt(51)
	v_fma_f64 v[114:115], v[114:115], v[101:102], -v[163:164]
	v_add_f64 v[106:107], v[106:107], 0
	v_fma_f64 v[112:113], v[112:113], v[1:2], v[152:153]
	v_add_f64 v[85:86], v[85:86], 0
	s_clause 0x4
	buffer_load_dword v153, off, s[0:3], 0 offset:396
	buffer_load_dword v165, off, s[0:3], 0 offset:408
	;; [unrolled: 1-line block ×5, first 2 shown]
	s_waitcnt lgkmcnt(0)
	v_mul_f64 v[168:169], v[81:82], v[89:90]
	v_mul_f64 v[89:90], v[83:84], v[89:90]
	ds_read_b128 v[1:4], v105 offset:768
	v_fma_f64 v[101:102], v[116:117], v[101:102], v[108:109]
	v_add_f64 v[110:111], v[106:107], v[110:111]
	v_add_f64 v[85:86], v[85:86], v[112:113]
	s_clause 0x2
	buffer_load_dword v166, off, s[0:3], 0 offset:412
	buffer_load_dword v113, off, s[0:3], 0 offset:388
	;; [unrolled: 1-line block ×3, first 2 shown]
	s_waitcnt vmcnt(58) lgkmcnt(0)
	v_mul_f64 v[116:117], v[1:2], v[93:94]
	v_mul_f64 v[93:94], v[3:4], v[93:94]
	s_waitcnt vmcnt(56)
	v_fma_f64 v[89:90], v[81:82], v[95:96], -v[89:90]
	ds_read_b128 v[106:109], v105 offset:784
	v_fma_f64 v[95:96], v[83:84], v[95:96], v[168:169]
	v_add_f64 v[110:111], v[110:111], v[114:115]
	v_add_f64 v[85:86], v[85:86], v[101:102]
	s_clause 0x4
	buffer_load_dword v102, off, s[0:3], 0 offset:428
	buffer_load_dword v114, off, s[0:3], 0 offset:440
	;; [unrolled: 1-line block ×5, first 2 shown]
	ds_read_b128 v[81:84], v105 offset:800
	s_waitcnt vmcnt(57) lgkmcnt(1)
	v_mul_f64 v[169:170], v[106:107], v[97:98]
	v_mul_f64 v[97:98], v[108:109], v[97:98]
	s_waitcnt vmcnt(56)
	v_fma_f64 v[93:94], v[1:2], v[87:88], -v[93:94]
	v_fma_f64 v[87:88], v[3:4], v[87:88], v[116:117]
	v_add_f64 v[89:90], v[110:111], v[89:90]
	v_add_f64 v[85:86], v[85:86], v[95:96]
	s_clause 0x2
	buffer_load_dword v115, off, s[0:3], 0 offset:444
	buffer_load_dword v96, off, s[0:3], 0 offset:420
	;; [unrolled: 1-line block ×3, first 2 shown]
	s_waitcnt vmcnt(58) lgkmcnt(0)
	v_mul_f64 v[110:111], v[81:82], v[103:104]
	v_mul_f64 v[103:104], v[83:84], v[103:104]
	s_waitcnt vmcnt(56)
	v_fma_f64 v[97:98], v[106:107], v[118:119], -v[97:98]
	ds_read_b128 v[1:4], v105 offset:816
	v_add_f64 v[89:90], v[89:90], v[93:94]
	v_fma_f64 v[93:94], v[108:109], v[118:119], v[169:170]
	v_add_f64 v[106:107], v[85:86], v[87:88]
	s_clause 0x4
	buffer_load_dword v109, off, s[0:3], 0 offset:460
	buffer_load_dword v116, off, s[0:3], 0 offset:472
	;; [unrolled: 1-line block ×5, first 2 shown]
	ds_read_b128 v[85:88], v105 offset:832
	s_waitcnt vmcnt(57) lgkmcnt(1)
	v_mul_f64 v[169:170], v[1:2], v[120:121]
	v_mul_f64 v[119:120], v[3:4], v[120:121]
	s_waitcnt vmcnt(56)
	v_fma_f64 v[103:104], v[81:82], v[91:92], -v[103:104]
	v_fma_f64 v[91:92], v[83:84], v[91:92], v[110:111]
	v_add_f64 v[89:90], v[89:90], v[97:98]
	s_clause 0x2
	buffer_load_dword v117, off, s[0:3], 0 offset:476
	buffer_load_dword v98, off, s[0:3], 0 offset:452
	;; [unrolled: 1-line block ×3, first 2 shown]
	v_add_f64 v[93:94], v[106:107], v[93:94]
	s_waitcnt vmcnt(58) lgkmcnt(0)
	v_mul_f64 v[110:111], v[87:88], v[122:123]
	ds_read_b128 v[81:84], v105 offset:848
	v_mul_f64 v[106:107], v[85:86], v[122:123]
	s_waitcnt vmcnt(56)
	v_fma_f64 v[120:121], v[1:2], v[124:125], -v[119:120]
	v_add_f64 v[89:90], v[89:90], v[103:104]
	v_fma_f64 v[103:104], v[3:4], v[124:125], v[169:170]
	v_add_f64 v[91:92], v[93:94], v[91:92]
	s_clause 0x4
	buffer_load_dword v94, off, s[0:3], 0 offset:492
	buffer_load_dword v122, off, s[0:3], 0 offset:504
	buffer_load_dword v124, off, s[0:3], 0 offset:496
	buffer_load_dword v93, off, s[0:3], 0 offset:488
	buffer_load_dword v119, off, s[0:3], 0 offset:468
	s_waitcnt vmcnt(57) lgkmcnt(0)
	v_mul_f64 v[169:170], v[81:82], v[126:127]
	v_mul_f64 v[125:126], v[83:84], v[126:127]
	s_waitcnt vmcnt(56)
	v_fma_f64 v[110:111], v[85:86], v[99:100], -v[110:111]
	ds_read_b128 v[1:4], v105 offset:864
	v_fma_f64 v[99:100], v[87:88], v[99:100], v[106:107]
	v_add_f64 v[89:90], v[89:90], v[120:121]
	v_add_f64 v[91:92], v[91:92], v[103:104]
	s_clause 0x2
	buffer_load_dword v123, off, s[0:3], 0 offset:508
	buffer_load_dword v104, off, s[0:3], 0 offset:484
	buffer_load_dword v103, off, s[0:3], 0 offset:480
	ds_read_b128 v[85:88], v105 offset:880
	s_waitcnt vmcnt(58) lgkmcnt(1)
	v_mul_f64 v[120:121], v[3:4], v[128:129]
	s_waitcnt vmcnt(56)
	v_fma_f64 v[126:127], v[81:82], v[132:133], -v[125:126]
	v_mul_f64 v[106:107], v[1:2], v[128:129]
	v_add_f64 v[89:90], v[89:90], v[110:111]
	v_fma_f64 v[110:111], v[83:84], v[132:133], v[169:170]
	v_add_f64 v[91:92], v[91:92], v[99:100]
	s_clause 0x4
	buffer_load_dword v100, off, s[0:3], 0 offset:524
	buffer_load_dword v128, off, s[0:3], 0 offset:536
	buffer_load_dword v132, off, s[0:3], 0 offset:528
	buffer_load_dword v99, off, s[0:3], 0 offset:520
	buffer_load_dword v125, off, s[0:3], 0 offset:500
	s_waitcnt vmcnt(57) lgkmcnt(0)
	v_mul_f64 v[169:170], v[85:86], v[134:135]
	v_mul_f64 v[133:134], v[87:88], v[134:135]
	s_waitcnt vmcnt(56)
	v_fma_f64 v[120:121], v[1:2], v[130:131], -v[120:121]
	ds_read_b128 v[81:84], v105 offset:896
	v_fma_f64 v[106:107], v[3:4], v[130:131], v[106:107]
	v_add_f64 v[89:90], v[89:90], v[126:127]
	v_add_f64 v[91:92], v[91:92], v[110:111]
	s_clause 0x2
	buffer_load_dword v129, off, s[0:3], 0 offset:540
	buffer_load_dword v111, off, s[0:3], 0 offset:516
	buffer_load_dword v110, off, s[0:3], 0 offset:512
	ds_read_b128 v[1:4], v105 offset:912
	s_waitcnt vmcnt(58) lgkmcnt(1)
	v_mul_f64 v[130:131], v[83:84], v[138:139]
	s_waitcnt vmcnt(56)
	v_fma_f64 v[134:135], v[85:86], v[142:143], -v[133:134]
	v_mul_f64 v[126:127], v[81:82], v[138:139]
	;; [unrolled: 28-line block ×4, first 2 shown]
	v_add_f64 v[89:90], v[89:90], v[140:141]
	v_fma_f64 v[140:141], v[83:84], v[161:162], v[169:170]
	v_add_f64 v[91:92], v[91:92], v[134:135]
	s_clause 0x2
	buffer_load_dword v135, off, s[0:3], 0 offset:620
	buffer_load_dword v134, off, s[0:3], 0 offset:616
	;; [unrolled: 1-line block ×3, first 2 shown]
	ds_read_b128 v[81:84], v105 offset:992
	s_waitcnt vmcnt(55) lgkmcnt(1)
	v_mul_f64 v[156:157], v[85:86], v[152:153]
	v_mul_f64 v[152:153], v[87:88], v[152:153]
	s_waitcnt vmcnt(54)
	v_fma_f64 v[148:149], v[1:2], v[158:159], -v[148:149]
	v_fma_f64 v[144:145], v[3:4], v[158:159], v[144:145]
	v_add_f64 v[89:90], v[89:90], v[154:155]
	v_add_f64 v[91:92], v[91:92], v[140:141]
	s_clause 0x1
	buffer_load_dword v141, off, s[0:3], 0 offset:612
	buffer_load_dword v140, off, s[0:3], 0 offset:608
	ds_read_b128 v[1:4], v105 offset:1008
	s_waitcnt vmcnt(55) lgkmcnt(1)
	v_mul_f64 v[158:159], v[83:84], v[165:166]
	v_mul_f64 v[154:155], v[81:82], v[165:166]
	s_waitcnt vmcnt(53)
	v_fma_f64 v[152:153], v[85:86], v[112:113], -v[152:153]
	v_fma_f64 v[112:113], v[87:88], v[112:113], v[156:157]
	ds_read_b128 v[85:88], v105 offset:1024
	v_add_f64 v[89:90], v[89:90], v[148:149]
	v_add_f64 v[91:92], v[91:92], v[144:145]
	s_waitcnt vmcnt(49) lgkmcnt(1)
	v_mul_f64 v[144:145], v[1:2], v[101:102]
	v_mul_f64 v[101:102], v[3:4], v[101:102]
	s_waitcnt vmcnt(48)
	v_fma_f64 v[148:149], v[81:82], v[167:168], -v[158:159]
	v_add_f64 v[89:90], v[89:90], v[152:153]
	v_fma_f64 v[152:153], v[83:84], v[167:168], v[154:155]
	v_add_f64 v[91:92], v[91:92], v[112:113]
	s_clause 0x3
	buffer_load_dword v112, off, s[0:3], 0 offset:96
	buffer_load_dword v113, off, s[0:3], 0 offset:100
	;; [unrolled: 1-line block ×4, first 2 shown]
	ds_read_b128 v[81:84], v105 offset:1040
	s_waitcnt vmcnt(51) lgkmcnt(1)
	v_mul_f64 v[156:157], v[85:86], v[114:115]
	v_mul_f64 v[114:115], v[87:88], v[114:115]
	s_waitcnt vmcnt(49)
	v_fma_f64 v[101:102], v[1:2], v[95:96], -v[101:102]
	v_fma_f64 v[95:96], v[3:4], v[95:96], v[144:145]
	ds_read_b128 v[1:4], v105 offset:1056
	v_add_f64 v[89:90], v[89:90], v[148:149]
	v_add_f64 v[91:92], v[91:92], v[152:153]
	s_waitcnt vmcnt(45) lgkmcnt(1)
	v_mul_f64 v[144:145], v[81:82], v[108:109]
	v_mul_f64 v[108:109], v[83:84], v[108:109]
	s_waitcnt vmcnt(44)
	v_fma_f64 v[114:115], v[85:86], v[163:164], -v[114:115]
	v_add_f64 v[89:90], v[89:90], v[101:102]
	v_fma_f64 v[101:102], v[87:88], v[163:164], v[156:157]
	v_add_f64 v[91:92], v[91:92], v[95:96]
	ds_read_b128 v[85:88], v105 offset:1072
	s_waitcnt vmcnt(43) lgkmcnt(1)
	v_mul_f64 v[95:96], v[1:2], v[116:117]
	v_mul_f64 v[116:117], v[3:4], v[116:117]
	s_waitcnt vmcnt(41)
	v_fma_f64 v[108:109], v[81:82], v[97:98], -v[108:109]
	v_fma_f64 v[97:98], v[83:84], v[97:98], v[144:145]
	ds_read_b128 v[81:84], v105 offset:1088
	v_add_f64 v[89:90], v[89:90], v[114:115]
	v_add_f64 v[91:92], v[91:92], v[101:102]
	s_waitcnt vmcnt(37) lgkmcnt(1)
	v_mul_f64 v[101:102], v[85:86], v[93:94]
	v_mul_f64 v[93:94], v[87:88], v[93:94]
	s_waitcnt vmcnt(36)
	v_fma_f64 v[114:115], v[1:2], v[118:119], -v[116:117]
	v_fma_f64 v[95:96], v[3:4], v[118:119], v[95:96]
	ds_read_b128 v[1:4], v105 offset:1104
	v_add_f64 v[89:90], v[89:90], v[108:109]
	v_add_f64 v[91:92], v[91:92], v[97:98]
	;; [unrolled: 9-line block ×3, first 2 shown]
	s_waitcnt vmcnt(29) lgkmcnt(1)
	v_mul_f64 v[95:96], v[1:2], v[99:100]
	v_mul_f64 v[99:100], v[3:4], v[99:100]
	s_waitcnt vmcnt(28)
	v_fma_f64 v[103:104], v[81:82], v[124:125], -v[108:109]
	v_add_f64 v[89:90], v[89:90], v[93:94]
	v_fma_f64 v[93:94], v[83:84], v[124:125], v[97:98]
	v_add_f64 v[91:92], v[91:92], v[101:102]
	ds_read_b128 v[81:84], v105 offset:1136
	s_waitcnt vmcnt(27) lgkmcnt(1)
	v_mul_f64 v[101:102], v[87:88], v[128:129]
	v_mul_f64 v[97:98], v[85:86], v[128:129]
	s_waitcnt vmcnt(25)
	v_fma_f64 v[99:100], v[1:2], v[110:111], -v[99:100]
	v_fma_f64 v[95:96], v[3:4], v[110:111], v[95:96]
	ds_read_b128 v[1:4], v105 offset:1152
	v_add_f64 v[89:90], v[89:90], v[103:104]
	v_add_f64 v[91:92], v[91:92], v[93:94]
	s_waitcnt vmcnt(21) lgkmcnt(1)
	v_mul_f64 v[103:104], v[83:84], v[106:107]
	s_waitcnt vmcnt(20)
	v_fma_f64 v[101:102], v[85:86], v[132:133], -v[101:102]
	v_mul_f64 v[93:94], v[81:82], v[106:107]
	v_fma_f64 v[97:98], v[87:88], v[132:133], v[97:98]
	ds_read_b128 v[85:88], v105 offset:1168
	v_add_f64 v[89:90], v[89:90], v[99:100]
	v_add_f64 v[91:92], v[91:92], v[95:96]
	s_waitcnt vmcnt(19) lgkmcnt(1)
	v_mul_f64 v[99:100], v[3:4], v[138:139]
	v_mul_f64 v[95:96], v[1:2], v[138:139]
	s_waitcnt vmcnt(17)
	v_fma_f64 v[103:104], v[81:82], v[120:121], -v[103:104]
	v_fma_f64 v[93:94], v[83:84], v[120:121], v[93:94]
	ds_read_b128 v[81:84], v105 offset:1184
	v_add_f64 v[89:90], v[89:90], v[101:102]
	v_add_f64 v[91:92], v[91:92], v[97:98]
	s_waitcnt vmcnt(13) lgkmcnt(1)
	v_mul_f64 v[101:102], v[87:88], v[126:127]
	s_waitcnt vmcnt(12)
	v_fma_f64 v[99:100], v[1:2], v[142:143], -v[99:100]
	v_mul_f64 v[97:98], v[85:86], v[126:127]
	v_fma_f64 v[95:96], v[3:4], v[142:143], v[95:96]
	ds_read_b128 v[1:4], v105 offset:1200
	v_add_f64 v[89:90], v[89:90], v[103:104]
	v_add_f64 v[91:92], v[91:92], v[93:94]
	s_waitcnt vmcnt(11) lgkmcnt(1)
	v_mul_f64 v[103:104], v[83:84], v[146:147]
	v_mul_f64 v[93:94], v[81:82], v[146:147]
	s_waitcnt vmcnt(9)
	v_fma_f64 v[85:86], v[85:86], v[130:131], -v[101:102]
	v_fma_f64 v[87:88], v[87:88], v[130:131], v[97:98]
	v_add_f64 v[89:90], v[89:90], v[99:100]
	v_add_f64 v[91:92], v[91:92], v[95:96]
	s_waitcnt vmcnt(7) lgkmcnt(0)
	v_mul_f64 v[97:98], v[3:4], v[134:135]
	s_waitcnt vmcnt(6)
	v_fma_f64 v[81:82], v[81:82], v[150:151], -v[103:104]
	v_mul_f64 v[95:96], v[1:2], v[134:135]
	v_fma_f64 v[83:84], v[83:84], v[150:151], v[93:94]
	v_add_f64 v[85:86], v[89:90], v[85:86]
	v_add_f64 v[87:88], v[91:92], v[87:88]
	s_waitcnt vmcnt(4)
	v_fma_f64 v[1:2], v[1:2], v[140:141], -v[97:98]
	v_fma_f64 v[3:4], v[3:4], v[140:141], v[95:96]
	v_add_f64 v[81:82], v[85:86], v[81:82]
	v_add_f64 v[83:84], v[87:88], v[83:84]
	;; [unrolled: 1-line block ×4, first 2 shown]
	s_waitcnt vmcnt(2)
	v_add_f64 v[1:2], v[112:113], -v[1:2]
	s_waitcnt vmcnt(0)
	v_add_f64 v[3:4], v[154:155], -v[3:4]
	buffer_store_dword v2, off, s[0:3], 0 offset:100
	buffer_store_dword v1, off, s[0:3], 0 offset:96
	;; [unrolled: 1-line block ×4, first 2 shown]
	v_cmpx_lt_u32_e32 4, v0
	s_cbranch_execz .LBB101_233
; %bb.232:
	v_mov_b32_e32 v4, s46
	v_mov_b32_e32 v81, 0
	s_clause 0x3
	buffer_load_dword v1, v4, s[0:3], 0 offen
	buffer_load_dword v2, v4, s[0:3], 0 offen offset:4
	buffer_load_dword v3, v4, s[0:3], 0 offen offset:8
	;; [unrolled: 1-line block ×3, first 2 shown]
	buffer_store_dword v81, off, s[0:3], 0 offset:80
	buffer_store_dword v81, off, s[0:3], 0 offset:84
	;; [unrolled: 1-line block ×4, first 2 shown]
	s_waitcnt vmcnt(0)
	ds_write_b128 v137, v[1:4]
.LBB101_233:
	s_or_b32 exec_lo, exec_lo, s4
	s_waitcnt lgkmcnt(0)
	s_waitcnt_vscnt null, 0x0
	s_barrier
	buffer_gl0_inv
	s_clause 0x37
	buffer_load_dword v85, off, s[0:3], 0 offset:104
	buffer_load_dword v86, off, s[0:3], 0 offset:108
	buffer_load_dword v81, off, s[0:3], 0 offset:120
	buffer_load_dword v82, off, s[0:3], 0 offset:124
	buffer_load_dword v83, off, s[0:3], 0 offset:96
	buffer_load_dword v84, off, s[0:3], 0 offset:100
	buffer_load_dword v3, off, s[0:3], 0 offset:136
	buffer_load_dword v4, off, s[0:3], 0 offset:140
	buffer_load_dword v1, off, s[0:3], 0 offset:112
	buffer_load_dword v2, off, s[0:3], 0 offset:116
	buffer_load_dword v90, off, s[0:3], 0 offset:156
	buffer_load_dword v93, off, s[0:3], 0 offset:168
	buffer_load_dword v87, off, s[0:3], 0 offset:160
	buffer_load_dword v89, off, s[0:3], 0 offset:152
	buffer_load_dword v101, off, s[0:3], 0 offset:128
	buffer_load_dword v102, off, s[0:3], 0 offset:132
	buffer_load_dword v94, off, s[0:3], 0 offset:172
	buffer_load_dword v96, off, s[0:3], 0 offset:148
	buffer_load_dword v95, off, s[0:3], 0 offset:144
	buffer_load_dword v98, off, s[0:3], 0 offset:188
	buffer_load_dword v103, off, s[0:3], 0 offset:200
	buffer_load_dword v91, off, s[0:3], 0 offset:192
	buffer_load_dword v97, off, s[0:3], 0 offset:184
	buffer_load_dword v88, off, s[0:3], 0 offset:164
	buffer_load_dword v104, off, s[0:3], 0 offset:204
	buffer_load_dword v106, off, s[0:3], 0 offset:180
	buffer_load_dword v105, off, s[0:3], 0 offset:176
	buffer_load_dword v108, off, s[0:3], 0 offset:220
	buffer_load_dword v111, off, s[0:3], 0 offset:232
	buffer_load_dword v99, off, s[0:3], 0 offset:224
	buffer_load_dword v107, off, s[0:3], 0 offset:216
	buffer_load_dword v92, off, s[0:3], 0 offset:196
	buffer_load_dword v112, off, s[0:3], 0 offset:236
	buffer_load_dword v114, off, s[0:3], 0 offset:212
	buffer_load_dword v113, off, s[0:3], 0 offset:208
	buffer_load_dword v129, off, s[0:3], 0 offset:252
	buffer_load_dword v130, off, s[0:3], 0 offset:264
	buffer_load_dword v109, off, s[0:3], 0 offset:256
	buffer_load_dword v128, off, s[0:3], 0 offset:248
	buffer_load_dword v100, off, s[0:3], 0 offset:228
	buffer_load_dword v131, off, s[0:3], 0 offset:268
	buffer_load_dword v133, off, s[0:3], 0 offset:244
	buffer_load_dword v132, off, s[0:3], 0 offset:240
	buffer_load_dword v135, off, s[0:3], 0 offset:284
	buffer_load_dword v138, off, s[0:3], 0 offset:296
	buffer_load_dword v140, off, s[0:3], 0 offset:288
	buffer_load_dword v134, off, s[0:3], 0 offset:280
	buffer_load_dword v110, off, s[0:3], 0 offset:260
	buffer_load_dword v139, off, s[0:3], 0 offset:300
	buffer_load_dword v143, off, s[0:3], 0 offset:276
	buffer_load_dword v142, off, s[0:3], 0 offset:272
	buffer_load_dword v145, off, s[0:3], 0 offset:316
	buffer_load_dword v146, off, s[0:3], 0 offset:328
	buffer_load_dword v148, off, s[0:3], 0 offset:320
	buffer_load_dword v144, off, s[0:3], 0 offset:312
	buffer_load_dword v141, off, s[0:3], 0 offset:292
	v_mov_b32_e32 v127, 0
	s_mov_b32 s4, exec_lo
	ds_read_b128 v[115:118], v127 offset:688
	s_clause 0x2
	buffer_load_dword v147, off, s[0:3], 0 offset:332
	buffer_load_dword v151, off, s[0:3], 0 offset:308
	;; [unrolled: 1-line block ×3, first 2 shown]
	ds_read_b128 v[119:122], v127 offset:704
	s_clause 0x4
	buffer_load_dword v155, off, s[0:3], 0 offset:348
	buffer_load_dword v156, off, s[0:3], 0 offset:360
	;; [unrolled: 1-line block ×5, first 2 shown]
	ds_read_b128 v[123:126], v127 offset:720
	s_clause 0x2
	buffer_load_dword v157, off, s[0:3], 0 offset:364
	buffer_load_dword v162, off, s[0:3], 0 offset:340
	;; [unrolled: 1-line block ×3, first 2 shown]
	s_waitcnt vmcnt(62) lgkmcnt(2)
	v_mul_f64 v[152:153], v[117:118], v[85:86]
	v_mul_f64 v[85:86], v[115:116], v[85:86]
	s_waitcnt lgkmcnt(1)
	v_mul_f64 v[159:160], v[121:122], v[81:82]
	s_waitcnt vmcnt(59) lgkmcnt(0)
	v_mul_f64 v[163:164], v[125:126], v[3:4]
	v_fma_f64 v[115:116], v[115:116], v[83:84], -v[152:153]
	v_mul_f64 v[152:153], v[119:120], v[81:82]
	v_fma_f64 v[85:86], v[117:118], v[83:84], v[85:86]
	s_waitcnt vmcnt(57)
	v_fma_f64 v[119:120], v[119:120], v[1:2], -v[159:160]
	ds_read_b128 v[81:84], v127 offset:736
	v_mul_f64 v[117:118], v[123:124], v[3:4]
	s_waitcnt vmcnt(51)
	v_fma_f64 v[123:124], v[123:124], v[101:102], -v[163:164]
	v_add_f64 v[115:116], v[115:116], 0
	v_fma_f64 v[121:122], v[121:122], v[1:2], v[152:153]
	v_add_f64 v[85:86], v[85:86], 0
	s_clause 0x4
	buffer_load_dword v153, off, s[0:3], 0 offset:380
	buffer_load_dword v165, off, s[0:3], 0 offset:392
	;; [unrolled: 1-line block ×5, first 2 shown]
	s_waitcnt lgkmcnt(0)
	v_mul_f64 v[168:169], v[81:82], v[89:90]
	v_mul_f64 v[89:90], v[83:84], v[89:90]
	ds_read_b128 v[1:4], v127 offset:752
	v_fma_f64 v[101:102], v[125:126], v[101:102], v[117:118]
	v_add_f64 v[119:120], v[115:116], v[119:120]
	v_add_f64 v[85:86], v[85:86], v[121:122]
	s_clause 0x2
	buffer_load_dword v166, off, s[0:3], 0 offset:396
	buffer_load_dword v122, off, s[0:3], 0 offset:372
	;; [unrolled: 1-line block ×3, first 2 shown]
	s_waitcnt vmcnt(58) lgkmcnt(0)
	v_mul_f64 v[125:126], v[1:2], v[93:94]
	v_mul_f64 v[93:94], v[3:4], v[93:94]
	s_waitcnt vmcnt(56)
	v_fma_f64 v[89:90], v[81:82], v[95:96], -v[89:90]
	ds_read_b128 v[115:118], v127 offset:768
	v_fma_f64 v[95:96], v[83:84], v[95:96], v[168:169]
	v_add_f64 v[119:120], v[119:120], v[123:124]
	v_add_f64 v[85:86], v[85:86], v[101:102]
	s_clause 0x4
	buffer_load_dword v102, off, s[0:3], 0 offset:412
	buffer_load_dword v123, off, s[0:3], 0 offset:424
	;; [unrolled: 1-line block ×5, first 2 shown]
	ds_read_b128 v[81:84], v127 offset:784
	s_waitcnt vmcnt(57) lgkmcnt(1)
	v_mul_f64 v[169:170], v[115:116], v[97:98]
	v_mul_f64 v[97:98], v[117:118], v[97:98]
	s_waitcnt vmcnt(56)
	v_fma_f64 v[93:94], v[1:2], v[87:88], -v[93:94]
	v_fma_f64 v[87:88], v[3:4], v[87:88], v[125:126]
	v_add_f64 v[89:90], v[119:120], v[89:90]
	v_add_f64 v[85:86], v[85:86], v[95:96]
	s_clause 0x2
	buffer_load_dword v124, off, s[0:3], 0 offset:428
	buffer_load_dword v96, off, s[0:3], 0 offset:404
	;; [unrolled: 1-line block ×3, first 2 shown]
	s_waitcnt vmcnt(58) lgkmcnt(0)
	v_mul_f64 v[119:120], v[81:82], v[103:104]
	v_mul_f64 v[103:104], v[83:84], v[103:104]
	s_waitcnt vmcnt(56)
	v_fma_f64 v[97:98], v[115:116], v[105:106], -v[97:98]
	ds_read_b128 v[1:4], v127 offset:800
	v_add_f64 v[89:90], v[89:90], v[93:94]
	v_fma_f64 v[93:94], v[117:118], v[105:106], v[169:170]
	v_add_f64 v[105:106], v[85:86], v[87:88]
	s_clause 0x4
	buffer_load_dword v116, off, s[0:3], 0 offset:444
	buffer_load_dword v117, off, s[0:3], 0 offset:456
	;; [unrolled: 1-line block ×5, first 2 shown]
	ds_read_b128 v[85:88], v127 offset:816
	s_waitcnt vmcnt(57) lgkmcnt(1)
	v_mul_f64 v[169:170], v[1:2], v[107:108]
	v_mul_f64 v[107:108], v[3:4], v[107:108]
	s_waitcnt vmcnt(56)
	v_fma_f64 v[103:104], v[81:82], v[91:92], -v[103:104]
	v_fma_f64 v[91:92], v[83:84], v[91:92], v[119:120]
	v_add_f64 v[89:90], v[89:90], v[97:98]
	s_clause 0x2
	buffer_load_dword v118, off, s[0:3], 0 offset:460
	buffer_load_dword v98, off, s[0:3], 0 offset:436
	;; [unrolled: 1-line block ×3, first 2 shown]
	v_add_f64 v[93:94], v[105:106], v[93:94]
	s_waitcnt vmcnt(58) lgkmcnt(0)
	v_mul_f64 v[105:106], v[85:86], v[111:112]
	v_mul_f64 v[111:112], v[87:88], v[111:112]
	ds_read_b128 v[81:84], v127 offset:832
	s_waitcnt vmcnt(56)
	v_fma_f64 v[107:108], v[1:2], v[113:114], -v[107:108]
	v_add_f64 v[89:90], v[89:90], v[103:104]
	v_fma_f64 v[103:104], v[3:4], v[113:114], v[169:170]
	v_add_f64 v[91:92], v[93:94], v[91:92]
	s_clause 0x4
	buffer_load_dword v94, off, s[0:3], 0 offset:476
	buffer_load_dword v113, off, s[0:3], 0 offset:488
	;; [unrolled: 1-line block ×5, first 2 shown]
	s_waitcnt vmcnt(57) lgkmcnt(0)
	v_mul_f64 v[169:170], v[81:82], v[128:129]
	v_mul_f64 v[128:129], v[83:84], v[128:129]
	s_waitcnt vmcnt(56)
	v_fma_f64 v[111:112], v[85:86], v[99:100], -v[111:112]
	ds_read_b128 v[1:4], v127 offset:848
	v_fma_f64 v[99:100], v[87:88], v[99:100], v[105:106]
	v_add_f64 v[89:90], v[89:90], v[107:108]
	v_add_f64 v[91:92], v[91:92], v[103:104]
	s_clause 0x2
	buffer_load_dword v114, off, s[0:3], 0 offset:492
	buffer_load_dword v104, off, s[0:3], 0 offset:468
	;; [unrolled: 1-line block ×3, first 2 shown]
	ds_read_b128 v[85:88], v127 offset:864
	s_waitcnt vmcnt(58) lgkmcnt(1)
	v_mul_f64 v[107:108], v[3:4], v[130:131]
	s_waitcnt vmcnt(56)
	v_fma_f64 v[128:129], v[81:82], v[132:133], -v[128:129]
	v_mul_f64 v[105:106], v[1:2], v[130:131]
	v_add_f64 v[89:90], v[89:90], v[111:112]
	v_fma_f64 v[111:112], v[83:84], v[132:133], v[169:170]
	v_add_f64 v[91:92], v[91:92], v[99:100]
	s_clause 0x4
	buffer_load_dword v100, off, s[0:3], 0 offset:508
	buffer_load_dword v130, off, s[0:3], 0 offset:520
	;; [unrolled: 1-line block ×5, first 2 shown]
	s_waitcnt vmcnt(57) lgkmcnt(0)
	v_mul_f64 v[169:170], v[85:86], v[134:135]
	v_mul_f64 v[133:134], v[87:88], v[134:135]
	s_waitcnt vmcnt(56)
	v_fma_f64 v[107:108], v[1:2], v[109:110], -v[107:108]
	ds_read_b128 v[81:84], v127 offset:880
	v_fma_f64 v[105:106], v[3:4], v[109:110], v[105:106]
	s_clause 0x2
	buffer_load_dword v131, off, s[0:3], 0 offset:524
	buffer_load_dword v110, off, s[0:3], 0 offset:500
	;; [unrolled: 1-line block ×3, first 2 shown]
	ds_read_b128 v[1:4], v127 offset:896
	v_add_f64 v[89:90], v[89:90], v[128:129]
	v_add_f64 v[91:92], v[91:92], v[111:112]
	s_waitcnt vmcnt(58) lgkmcnt(1)
	v_mul_f64 v[128:129], v[83:84], v[138:139]
	s_waitcnt vmcnt(56)
	v_fma_f64 v[134:135], v[85:86], v[142:143], -v[133:134]
	v_mul_f64 v[111:112], v[81:82], v[138:139]
	v_add_f64 v[89:90], v[89:90], v[107:108]
	v_fma_f64 v[107:108], v[87:88], v[142:143], v[169:170]
	v_add_f64 v[91:92], v[91:92], v[105:106]
	s_clause 0x4
	buffer_load_dword v106, off, s[0:3], 0 offset:540
	buffer_load_dword v138, off, s[0:3], 0 offset:552
	;; [unrolled: 1-line block ×5, first 2 shown]
	s_waitcnt vmcnt(57) lgkmcnt(0)
	v_mul_f64 v[169:170], v[1:2], v[144:145]
	v_mul_f64 v[143:144], v[3:4], v[144:145]
	s_waitcnt vmcnt(56)
	v_fma_f64 v[128:129], v[81:82], v[140:141], -v[128:129]
	ds_read_b128 v[85:88], v127 offset:912
	v_fma_f64 v[111:112], v[83:84], v[140:141], v[111:112]
	v_add_f64 v[89:90], v[89:90], v[134:135]
	v_add_f64 v[91:92], v[91:92], v[107:108]
	s_clause 0x2
	buffer_load_dword v139, off, s[0:3], 0 offset:556
	buffer_load_dword v108, off, s[0:3], 0 offset:532
	;; [unrolled: 1-line block ×3, first 2 shown]
	ds_read_b128 v[81:84], v127 offset:928
	s_waitcnt vmcnt(58) lgkmcnt(1)
	v_mul_f64 v[140:141], v[87:88], v[146:147]
	s_waitcnt vmcnt(56)
	v_fma_f64 v[144:145], v[1:2], v[150:151], -v[143:144]
	v_mul_f64 v[134:135], v[85:86], v[146:147]
	v_add_f64 v[89:90], v[89:90], v[128:129]
	v_fma_f64 v[128:129], v[3:4], v[150:151], v[169:170]
	v_add_f64 v[91:92], v[91:92], v[111:112]
	s_clause 0x4
	buffer_load_dword v112, off, s[0:3], 0 offset:572
	buffer_load_dword v146, off, s[0:3], 0 offset:584
	;; [unrolled: 1-line block ×5, first 2 shown]
	s_waitcnt vmcnt(57) lgkmcnt(0)
	v_mul_f64 v[169:170], v[81:82], v[154:155]
	v_mul_f64 v[154:155], v[83:84], v[154:155]
	s_waitcnt vmcnt(56)
	v_fma_f64 v[140:141], v[85:86], v[148:149], -v[140:141]
	ds_read_b128 v[1:4], v127 offset:944
	v_fma_f64 v[134:135], v[87:88], v[148:149], v[134:135]
	v_add_f64 v[89:90], v[89:90], v[144:145]
	v_add_f64 v[91:92], v[91:92], v[128:129]
	s_clause 0x2
	buffer_load_dword v147, off, s[0:3], 0 offset:588
	buffer_load_dword v129, off, s[0:3], 0 offset:564
	;; [unrolled: 1-line block ×3, first 2 shown]
	ds_read_b128 v[85:88], v127 offset:960
	s_waitcnt vmcnt(58) lgkmcnt(1)
	v_mul_f64 v[148:149], v[3:4], v[156:157]
	s_waitcnt vmcnt(56)
	v_fma_f64 v[154:155], v[81:82], v[161:162], -v[154:155]
	v_mul_f64 v[144:145], v[1:2], v[156:157]
	v_add_f64 v[89:90], v[89:90], v[140:141]
	v_fma_f64 v[140:141], v[83:84], v[161:162], v[169:170]
	v_add_f64 v[91:92], v[91:92], v[134:135]
	s_clause 0x4
	buffer_load_dword v135, off, s[0:3], 0 offset:604
	buffer_load_dword v156, off, s[0:3], 0 offset:616
	;; [unrolled: 1-line block ×5, first 2 shown]
	ds_read_b128 v[81:84], v127 offset:976
	s_waitcnt vmcnt(57) lgkmcnt(1)
	v_mul_f64 v[161:162], v[85:86], v[152:153]
	v_mul_f64 v[152:153], v[87:88], v[152:153]
	s_waitcnt vmcnt(56)
	v_fma_f64 v[148:149], v[1:2], v[158:159], -v[148:149]
	v_fma_f64 v[144:145], v[3:4], v[158:159], v[144:145]
	v_add_f64 v[89:90], v[89:90], v[154:155]
	v_add_f64 v[91:92], v[91:92], v[140:141]
	s_clause 0x2
	buffer_load_dword v157, off, s[0:3], 0 offset:620
	buffer_load_dword v141, off, s[0:3], 0 offset:596
	;; [unrolled: 1-line block ×3, first 2 shown]
	ds_read_b128 v[1:4], v127 offset:992
	s_waitcnt vmcnt(58) lgkmcnt(1)
	v_mul_f64 v[158:159], v[83:84], v[165:166]
	v_mul_f64 v[154:155], v[81:82], v[165:166]
	s_waitcnt vmcnt(56)
	v_fma_f64 v[152:153], v[85:86], v[121:122], -v[152:153]
	v_fma_f64 v[121:122], v[87:88], v[121:122], v[161:162]
	buffer_load_dword v161, off, s[0:3], 0 offset:612
	ds_read_b128 v[85:88], v127 offset:1008
	v_add_f64 v[89:90], v[89:90], v[148:149]
	v_add_f64 v[91:92], v[91:92], v[144:145]
	s_waitcnt vmcnt(53) lgkmcnt(1)
	v_mul_f64 v[144:145], v[1:2], v[101:102]
	v_mul_f64 v[101:102], v[3:4], v[101:102]
	s_waitcnt vmcnt(52)
	v_fma_f64 v[148:149], v[81:82], v[167:168], -v[158:159]
	v_add_f64 v[89:90], v[89:90], v[152:153]
	v_fma_f64 v[152:153], v[83:84], v[167:168], v[154:155]
	v_add_f64 v[91:92], v[91:92], v[121:122]
	ds_read_b128 v[81:84], v127 offset:1024
	s_waitcnt vmcnt(51) lgkmcnt(1)
	v_mul_f64 v[121:122], v[85:86], v[123:124]
	v_mul_f64 v[123:124], v[87:88], v[123:124]
	s_waitcnt vmcnt(49)
	v_fma_f64 v[101:102], v[1:2], v[95:96], -v[101:102]
	v_fma_f64 v[95:96], v[3:4], v[95:96], v[144:145]
	v_add_f64 v[89:90], v[89:90], v[148:149]
	s_clause 0x3
	buffer_load_dword v144, off, s[0:3], 0 offset:80
	buffer_load_dword v145, off, s[0:3], 0 offset:84
	;; [unrolled: 1-line block ×4, first 2 shown]
	v_add_f64 v[91:92], v[91:92], v[152:153]
	ds_read_b128 v[1:4], v127 offset:1040
	s_waitcnt vmcnt(49) lgkmcnt(1)
	v_mul_f64 v[152:153], v[81:82], v[115:116]
	v_mul_f64 v[115:116], v[83:84], v[115:116]
	s_waitcnt vmcnt(48)
	v_fma_f64 v[123:124], v[85:86], v[163:164], -v[123:124]
	v_add_f64 v[89:90], v[89:90], v[101:102]
	v_fma_f64 v[101:102], v[87:88], v[163:164], v[121:122]
	v_add_f64 v[91:92], v[91:92], v[95:96]
	ds_read_b128 v[85:88], v127 offset:1056
	s_waitcnt vmcnt(47) lgkmcnt(1)
	v_mul_f64 v[95:96], v[1:2], v[117:118]
	v_mul_f64 v[117:118], v[3:4], v[117:118]
	s_waitcnt vmcnt(45)
	v_fma_f64 v[115:116], v[81:82], v[97:98], -v[115:116]
	v_fma_f64 v[97:98], v[83:84], v[97:98], v[152:153]
	ds_read_b128 v[81:84], v127 offset:1072
	v_add_f64 v[89:90], v[89:90], v[123:124]
	v_add_f64 v[91:92], v[91:92], v[101:102]
	s_waitcnt vmcnt(41) lgkmcnt(1)
	v_mul_f64 v[101:102], v[85:86], v[93:94]
	v_mul_f64 v[93:94], v[87:88], v[93:94]
	s_waitcnt vmcnt(40)
	v_fma_f64 v[117:118], v[1:2], v[125:126], -v[117:118]
	v_fma_f64 v[95:96], v[3:4], v[125:126], v[95:96]
	ds_read_b128 v[1:4], v127 offset:1088
	v_add_f64 v[89:90], v[89:90], v[115:116]
	v_add_f64 v[91:92], v[91:92], v[97:98]
	;; [unrolled: 9-line block ×3, first 2 shown]
	s_waitcnt vmcnt(33) lgkmcnt(1)
	v_mul_f64 v[95:96], v[1:2], v[99:100]
	v_mul_f64 v[99:100], v[3:4], v[99:100]
	s_waitcnt vmcnt(32)
	v_fma_f64 v[103:104], v[81:82], v[119:120], -v[113:114]
	v_add_f64 v[89:90], v[89:90], v[93:94]
	v_fma_f64 v[93:94], v[83:84], v[119:120], v[97:98]
	v_add_f64 v[91:92], v[91:92], v[101:102]
	ds_read_b128 v[81:84], v127 offset:1120
	s_waitcnt vmcnt(31) lgkmcnt(1)
	v_mul_f64 v[101:102], v[87:88], v[130:131]
	v_mul_f64 v[97:98], v[85:86], v[130:131]
	s_waitcnt vmcnt(29)
	v_fma_f64 v[95:96], v[3:4], v[109:110], v[95:96]
	v_fma_f64 v[99:100], v[1:2], v[109:110], -v[99:100]
	ds_read_b128 v[1:4], v127 offset:1136
	v_add_f64 v[89:90], v[89:90], v[103:104]
	v_add_f64 v[91:92], v[91:92], v[93:94]
	s_waitcnt vmcnt(25) lgkmcnt(1)
	v_mul_f64 v[103:104], v[83:84], v[105:106]
	s_waitcnt vmcnt(24)
	v_fma_f64 v[101:102], v[85:86], v[132:133], -v[101:102]
	v_mul_f64 v[93:94], v[81:82], v[105:106]
	v_fma_f64 v[97:98], v[87:88], v[132:133], v[97:98]
	ds_read_b128 v[85:88], v127 offset:1152
	v_add_f64 v[89:90], v[89:90], v[99:100]
	v_add_f64 v[91:92], v[91:92], v[95:96]
	s_waitcnt vmcnt(23) lgkmcnt(1)
	v_mul_f64 v[99:100], v[3:4], v[138:139]
	v_mul_f64 v[95:96], v[1:2], v[138:139]
	s_waitcnt vmcnt(21)
	v_fma_f64 v[103:104], v[81:82], v[107:108], -v[103:104]
	v_fma_f64 v[93:94], v[83:84], v[107:108], v[93:94]
	ds_read_b128 v[81:84], v127 offset:1168
	v_add_f64 v[89:90], v[89:90], v[101:102]
	v_add_f64 v[91:92], v[91:92], v[97:98]
	s_waitcnt vmcnt(17) lgkmcnt(1)
	v_mul_f64 v[101:102], v[87:88], v[111:112]
	s_waitcnt vmcnt(16)
	v_fma_f64 v[99:100], v[1:2], v[142:143], -v[99:100]
	v_mul_f64 v[97:98], v[85:86], v[111:112]
	v_fma_f64 v[95:96], v[3:4], v[142:143], v[95:96]
	ds_read_b128 v[1:4], v127 offset:1184
	v_add_f64 v[89:90], v[89:90], v[103:104]
	v_add_f64 v[91:92], v[91:92], v[93:94]
	s_waitcnt vmcnt(15) lgkmcnt(1)
	v_mul_f64 v[103:104], v[83:84], v[146:147]
	v_mul_f64 v[93:94], v[81:82], v[146:147]
	s_waitcnt vmcnt(13)
	v_fma_f64 v[101:102], v[85:86], v[128:129], -v[101:102]
	v_fma_f64 v[97:98], v[87:88], v[128:129], v[97:98]
	ds_read_b128 v[85:88], v127 offset:1200
	v_add_f64 v[89:90], v[89:90], v[99:100]
	v_add_f64 v[91:92], v[91:92], v[95:96]
	s_waitcnt vmcnt(9) lgkmcnt(1)
	v_mul_f64 v[99:100], v[3:4], v[134:135]
	s_waitcnt vmcnt(8)
	v_fma_f64 v[81:82], v[81:82], v[150:151], -v[103:104]
	v_mul_f64 v[95:96], v[1:2], v[134:135]
	v_fma_f64 v[83:84], v[83:84], v[150:151], v[93:94]
	v_add_f64 v[89:90], v[89:90], v[101:102]
	v_add_f64 v[91:92], v[91:92], v[97:98]
	s_waitcnt vmcnt(7) lgkmcnt(0)
	v_mul_f64 v[97:98], v[87:88], v[156:157]
	v_mul_f64 v[93:94], v[85:86], v[156:157]
	s_waitcnt vmcnt(5)
	v_fma_f64 v[1:2], v[1:2], v[140:141], -v[99:100]
	v_fma_f64 v[3:4], v[3:4], v[140:141], v[95:96]
	v_add_f64 v[81:82], v[89:90], v[81:82]
	v_add_f64 v[83:84], v[91:92], v[83:84]
	s_waitcnt vmcnt(4)
	v_fma_f64 v[85:86], v[85:86], v[160:161], -v[97:98]
	v_add_f64 v[1:2], v[81:82], v[1:2]
	v_fma_f64 v[81:82], v[87:88], v[160:161], v[93:94]
	v_add_f64 v[3:4], v[83:84], v[3:4]
	v_add_f64 v[1:2], v[1:2], v[85:86]
	;; [unrolled: 1-line block ×3, first 2 shown]
	s_waitcnt vmcnt(2)
	v_add_f64 v[1:2], v[144:145], -v[1:2]
	s_waitcnt vmcnt(0)
	v_add_f64 v[3:4], v[148:149], -v[3:4]
	buffer_store_dword v2, off, s[0:3], 0 offset:84
	buffer_store_dword v1, off, s[0:3], 0 offset:80
	;; [unrolled: 1-line block ×4, first 2 shown]
	v_cmpx_lt_u32_e32 3, v0
	s_cbranch_execz .LBB101_235
; %bb.234:
	v_mov_b32_e32 v4, s47
	s_clause 0x3
	buffer_load_dword v1, v4, s[0:3], 0 offen
	buffer_load_dword v2, v4, s[0:3], 0 offen offset:4
	buffer_load_dword v3, v4, s[0:3], 0 offen offset:8
	;; [unrolled: 1-line block ×3, first 2 shown]
	buffer_store_dword v127, off, s[0:3], 0 offset:64
	buffer_store_dword v127, off, s[0:3], 0 offset:68
	;; [unrolled: 1-line block ×4, first 2 shown]
	s_waitcnt vmcnt(0)
	ds_write_b128 v137, v[1:4]
.LBB101_235:
	s_or_b32 exec_lo, exec_lo, s4
	s_waitcnt lgkmcnt(0)
	s_waitcnt_vscnt null, 0x0
	s_barrier
	buffer_gl0_inv
	s_clause 0x37
	buffer_load_dword v85, off, s[0:3], 0 offset:88
	buffer_load_dword v86, off, s[0:3], 0 offset:92
	;; [unrolled: 1-line block ×56, first 2 shown]
	ds_read_b128 v[128:131], v127 offset:672
	s_clause 0x2
	buffer_load_dword v149, off, s[0:3], 0 offset:316
	buffer_load_dword v151, off, s[0:3], 0 offset:292
	;; [unrolled: 1-line block ×3, first 2 shown]
	ds_read_b128 v[132:135], v127 offset:688
	s_clause 0x4
	buffer_load_dword v155, off, s[0:3], 0 offset:332
	buffer_load_dword v156, off, s[0:3], 0 offset:344
	;; [unrolled: 1-line block ×5, first 2 shown]
	ds_read_b128 v[138:141], v127 offset:704
	s_clause 0x2
	buffer_load_dword v157, off, s[0:3], 0 offset:348
	buffer_load_dword v162, off, s[0:3], 0 offset:324
	;; [unrolled: 1-line block ×3, first 2 shown]
	s_mov_b32 s4, exec_lo
	s_waitcnt vmcnt(62) lgkmcnt(2)
	v_mul_f64 v[152:153], v[130:131], v[85:86]
	v_mul_f64 v[85:86], v[128:129], v[85:86]
	s_waitcnt lgkmcnt(1)
	v_mul_f64 v[159:160], v[134:135], v[81:82]
	s_waitcnt vmcnt(59) lgkmcnt(0)
	v_mul_f64 v[163:164], v[140:141], v[3:4]
	v_fma_f64 v[128:129], v[128:129], v[83:84], -v[152:153]
	v_mul_f64 v[152:153], v[132:133], v[81:82]
	v_fma_f64 v[85:86], v[130:131], v[83:84], v[85:86]
	s_waitcnt vmcnt(57)
	v_fma_f64 v[132:133], v[132:133], v[1:2], -v[159:160]
	ds_read_b128 v[81:84], v127 offset:720
	v_mul_f64 v[130:131], v[138:139], v[3:4]
	s_waitcnt vmcnt(51)
	v_fma_f64 v[138:139], v[138:139], v[101:102], -v[163:164]
	v_add_f64 v[128:129], v[128:129], 0
	v_fma_f64 v[134:135], v[134:135], v[1:2], v[152:153]
	v_add_f64 v[85:86], v[85:86], 0
	s_clause 0x4
	buffer_load_dword v153, off, s[0:3], 0 offset:364
	buffer_load_dword v165, off, s[0:3], 0 offset:376
	;; [unrolled: 1-line block ×5, first 2 shown]
	s_waitcnt lgkmcnt(0)
	v_mul_f64 v[168:169], v[81:82], v[89:90]
	v_mul_f64 v[89:90], v[83:84], v[89:90]
	ds_read_b128 v[1:4], v127 offset:736
	v_fma_f64 v[101:102], v[140:141], v[101:102], v[130:131]
	v_add_f64 v[132:133], v[128:129], v[132:133]
	v_add_f64 v[85:86], v[85:86], v[134:135]
	s_clause 0x2
	buffer_load_dword v166, off, s[0:3], 0 offset:380
	buffer_load_dword v135, off, s[0:3], 0 offset:356
	;; [unrolled: 1-line block ×3, first 2 shown]
	s_waitcnt vmcnt(58) lgkmcnt(0)
	v_mul_f64 v[140:141], v[1:2], v[93:94]
	v_mul_f64 v[93:94], v[3:4], v[93:94]
	s_waitcnt vmcnt(56)
	v_fma_f64 v[89:90], v[81:82], v[95:96], -v[89:90]
	ds_read_b128 v[128:131], v127 offset:752
	v_fma_f64 v[95:96], v[83:84], v[95:96], v[168:169]
	v_add_f64 v[132:133], v[132:133], v[138:139]
	v_add_f64 v[85:86], v[85:86], v[101:102]
	s_clause 0x4
	buffer_load_dword v102, off, s[0:3], 0 offset:396
	buffer_load_dword v138, off, s[0:3], 0 offset:408
	;; [unrolled: 1-line block ×5, first 2 shown]
	ds_read_b128 v[81:84], v127 offset:768
	s_waitcnt vmcnt(57) lgkmcnt(1)
	v_mul_f64 v[169:170], v[128:129], v[97:98]
	v_mul_f64 v[97:98], v[130:131], v[97:98]
	s_waitcnt vmcnt(56)
	v_fma_f64 v[93:94], v[1:2], v[87:88], -v[93:94]
	v_fma_f64 v[87:88], v[3:4], v[87:88], v[140:141]
	v_add_f64 v[89:90], v[132:133], v[89:90]
	v_add_f64 v[85:86], v[85:86], v[95:96]
	s_clause 0x2
	buffer_load_dword v139, off, s[0:3], 0 offset:412
	buffer_load_dword v96, off, s[0:3], 0 offset:388
	;; [unrolled: 1-line block ×3, first 2 shown]
	s_waitcnt vmcnt(58) lgkmcnt(0)
	v_mul_f64 v[132:133], v[81:82], v[103:104]
	v_mul_f64 v[103:104], v[83:84], v[103:104]
	s_waitcnt vmcnt(56)
	v_fma_f64 v[97:98], v[128:129], v[105:106], -v[97:98]
	ds_read_b128 v[1:4], v127 offset:784
	v_add_f64 v[89:90], v[89:90], v[93:94]
	v_fma_f64 v[93:94], v[130:131], v[105:106], v[169:170]
	v_add_f64 v[105:106], v[85:86], v[87:88]
	s_clause 0x4
	buffer_load_dword v129, off, s[0:3], 0 offset:428
	buffer_load_dword v130, off, s[0:3], 0 offset:440
	;; [unrolled: 1-line block ×5, first 2 shown]
	ds_read_b128 v[85:88], v127 offset:800
	s_waitcnt vmcnt(57) lgkmcnt(1)
	v_mul_f64 v[169:170], v[1:2], v[107:108]
	v_mul_f64 v[107:108], v[3:4], v[107:108]
	s_waitcnt vmcnt(56)
	v_fma_f64 v[103:104], v[81:82], v[91:92], -v[103:104]
	v_fma_f64 v[91:92], v[83:84], v[91:92], v[132:133]
	v_add_f64 v[89:90], v[89:90], v[97:98]
	s_clause 0x2
	buffer_load_dword v131, off, s[0:3], 0 offset:444
	buffer_load_dword v98, off, s[0:3], 0 offset:420
	;; [unrolled: 1-line block ×3, first 2 shown]
	v_add_f64 v[93:94], v[105:106], v[93:94]
	s_waitcnt vmcnt(58) lgkmcnt(0)
	v_mul_f64 v[105:106], v[85:86], v[111:112]
	v_mul_f64 v[111:112], v[87:88], v[111:112]
	ds_read_b128 v[81:84], v127 offset:816
	s_waitcnt vmcnt(56)
	v_fma_f64 v[107:108], v[1:2], v[113:114], -v[107:108]
	v_add_f64 v[89:90], v[89:90], v[103:104]
	v_fma_f64 v[103:104], v[3:4], v[113:114], v[169:170]
	v_add_f64 v[91:92], v[93:94], v[91:92]
	s_clause 0x4
	buffer_load_dword v94, off, s[0:3], 0 offset:460
	buffer_load_dword v113, off, s[0:3], 0 offset:472
	buffer_load_dword v132, off, s[0:3], 0 offset:464
	buffer_load_dword v93, off, s[0:3], 0 offset:456
	buffer_load_dword v141, off, s[0:3], 0 offset:436
	s_waitcnt vmcnt(57) lgkmcnt(0)
	v_mul_f64 v[169:170], v[81:82], v[115:116]
	v_mul_f64 v[115:116], v[83:84], v[115:116]
	s_waitcnt vmcnt(56)
	v_fma_f64 v[111:112], v[85:86], v[99:100], -v[111:112]
	ds_read_b128 v[1:4], v127 offset:832
	v_fma_f64 v[99:100], v[87:88], v[99:100], v[105:106]
	v_add_f64 v[89:90], v[89:90], v[107:108]
	v_add_f64 v[91:92], v[91:92], v[103:104]
	s_clause 0x2
	buffer_load_dword v114, off, s[0:3], 0 offset:476
	buffer_load_dword v104, off, s[0:3], 0 offset:452
	;; [unrolled: 1-line block ×3, first 2 shown]
	ds_read_b128 v[85:88], v127 offset:848
	s_waitcnt vmcnt(58) lgkmcnt(1)
	v_mul_f64 v[107:108], v[3:4], v[119:120]
	s_waitcnt vmcnt(56)
	v_fma_f64 v[115:116], v[81:82], v[121:122], -v[115:116]
	v_mul_f64 v[105:106], v[1:2], v[119:120]
	v_add_f64 v[89:90], v[89:90], v[111:112]
	v_fma_f64 v[111:112], v[83:84], v[121:122], v[169:170]
	v_add_f64 v[91:92], v[91:92], v[99:100]
	s_clause 0x4
	buffer_load_dword v100, off, s[0:3], 0 offset:492
	buffer_load_dword v119, off, s[0:3], 0 offset:504
	;; [unrolled: 1-line block ×5, first 2 shown]
	s_waitcnt vmcnt(57) lgkmcnt(0)
	v_mul_f64 v[169:170], v[85:86], v[123:124]
	v_mul_f64 v[122:123], v[87:88], v[123:124]
	s_waitcnt vmcnt(56)
	v_fma_f64 v[107:108], v[1:2], v[109:110], -v[107:108]
	ds_read_b128 v[81:84], v127 offset:864
	v_fma_f64 v[105:106], v[3:4], v[109:110], v[105:106]
	s_clause 0x2
	buffer_load_dword v120, off, s[0:3], 0 offset:508
	buffer_load_dword v110, off, s[0:3], 0 offset:484
	;; [unrolled: 1-line block ×3, first 2 shown]
	ds_read_b128 v[1:4], v127 offset:880
	v_add_f64 v[89:90], v[89:90], v[115:116]
	v_add_f64 v[91:92], v[91:92], v[111:112]
	s_waitcnt vmcnt(58) lgkmcnt(1)
	v_mul_f64 v[115:116], v[83:84], v[142:143]
	s_waitcnt vmcnt(56)
	v_fma_f64 v[123:124], v[85:86], v[144:145], -v[122:123]
	v_mul_f64 v[111:112], v[81:82], v[142:143]
	v_add_f64 v[89:90], v[89:90], v[107:108]
	v_fma_f64 v[107:108], v[87:88], v[144:145], v[169:170]
	v_add_f64 v[91:92], v[91:92], v[105:106]
	s_clause 0x4
	buffer_load_dword v106, off, s[0:3], 0 offset:524
	buffer_load_dword v142, off, s[0:3], 0 offset:536
	;; [unrolled: 1-line block ×5, first 2 shown]
	s_waitcnt vmcnt(57) lgkmcnt(0)
	v_mul_f64 v[169:170], v[1:2], v[146:147]
	v_mul_f64 v[145:146], v[3:4], v[146:147]
	s_waitcnt vmcnt(56)
	v_fma_f64 v[115:116], v[81:82], v[117:118], -v[115:116]
	ds_read_b128 v[85:88], v127 offset:896
	v_fma_f64 v[111:112], v[83:84], v[117:118], v[111:112]
	v_add_f64 v[89:90], v[89:90], v[123:124]
	v_add_f64 v[91:92], v[91:92], v[107:108]
	s_clause 0x2
	buffer_load_dword v143, off, s[0:3], 0 offset:540
	buffer_load_dword v108, off, s[0:3], 0 offset:516
	;; [unrolled: 1-line block ×3, first 2 shown]
	ds_read_b128 v[81:84], v127 offset:912
	s_waitcnt vmcnt(58) lgkmcnt(1)
	v_mul_f64 v[123:124], v[87:88], v[148:149]
	s_waitcnt vmcnt(56)
	v_fma_f64 v[146:147], v[1:2], v[150:151], -v[145:146]
	v_mul_f64 v[117:118], v[85:86], v[148:149]
	v_add_f64 v[89:90], v[89:90], v[115:116]
	v_fma_f64 v[115:116], v[3:4], v[150:151], v[169:170]
	v_add_f64 v[91:92], v[91:92], v[111:112]
	s_clause 0x4
	buffer_load_dword v112, off, s[0:3], 0 offset:556
	buffer_load_dword v148, off, s[0:3], 0 offset:568
	;; [unrolled: 1-line block ×5, first 2 shown]
	s_waitcnt vmcnt(57) lgkmcnt(0)
	v_mul_f64 v[169:170], v[81:82], v[154:155]
	v_mul_f64 v[154:155], v[83:84], v[154:155]
	s_waitcnt vmcnt(56)
	v_fma_f64 v[123:124], v[85:86], v[125:126], -v[123:124]
	ds_read_b128 v[1:4], v127 offset:928
	v_fma_f64 v[117:118], v[87:88], v[125:126], v[117:118]
	v_add_f64 v[89:90], v[89:90], v[146:147]
	v_add_f64 v[91:92], v[91:92], v[115:116]
	s_clause 0x2
	buffer_load_dword v149, off, s[0:3], 0 offset:572
	buffer_load_dword v116, off, s[0:3], 0 offset:548
	;; [unrolled: 1-line block ×3, first 2 shown]
	ds_read_b128 v[85:88], v127 offset:944
	s_waitcnt vmcnt(58) lgkmcnt(1)
	v_mul_f64 v[146:147], v[3:4], v[156:157]
	s_waitcnt vmcnt(56)
	v_fma_f64 v[154:155], v[81:82], v[161:162], -v[154:155]
	v_mul_f64 v[125:126], v[1:2], v[156:157]
	v_add_f64 v[89:90], v[89:90], v[123:124]
	v_fma_f64 v[123:124], v[83:84], v[161:162], v[169:170]
	v_add_f64 v[91:92], v[91:92], v[117:118]
	s_clause 0x4
	buffer_load_dword v118, off, s[0:3], 0 offset:588
	buffer_load_dword v156, off, s[0:3], 0 offset:600
	;; [unrolled: 1-line block ×5, first 2 shown]
	ds_read_b128 v[81:84], v127 offset:960
	s_waitcnt vmcnt(57) lgkmcnt(1)
	v_mul_f64 v[161:162], v[85:86], v[152:153]
	v_mul_f64 v[152:153], v[87:88], v[152:153]
	s_waitcnt vmcnt(56)
	v_fma_f64 v[146:147], v[1:2], v[158:159], -v[146:147]
	v_fma_f64 v[125:126], v[3:4], v[158:159], v[125:126]
	v_add_f64 v[89:90], v[89:90], v[154:155]
	v_add_f64 v[91:92], v[91:92], v[123:124]
	s_clause 0x2
	buffer_load_dword v157, off, s[0:3], 0 offset:604
	buffer_load_dword v124, off, s[0:3], 0 offset:580
	;; [unrolled: 1-line block ×3, first 2 shown]
	ds_read_b128 v[1:4], v127 offset:976
	s_waitcnt vmcnt(58) lgkmcnt(1)
	v_mul_f64 v[158:159], v[83:84], v[165:166]
	v_mul_f64 v[154:155], v[81:82], v[165:166]
	s_waitcnt vmcnt(56)
	v_fma_f64 v[152:153], v[85:86], v[134:135], -v[152:153]
	v_fma_f64 v[134:135], v[87:88], v[134:135], v[161:162]
	v_add_f64 v[89:90], v[89:90], v[146:147]
	v_add_f64 v[91:92], v[91:92], v[125:126]
	s_clause 0x2
	buffer_load_dword v126, off, s[0:3], 0 offset:620
	buffer_load_dword v125, off, s[0:3], 0 offset:616
	;; [unrolled: 1-line block ×3, first 2 shown]
	ds_read_b128 v[85:88], v127 offset:992
	s_waitcnt vmcnt(55) lgkmcnt(1)
	v_mul_f64 v[146:147], v[1:2], v[101:102]
	v_mul_f64 v[101:102], v[3:4], v[101:102]
	s_waitcnt vmcnt(54)
	v_fma_f64 v[158:159], v[81:82], v[167:168], -v[158:159]
	v_add_f64 v[89:90], v[89:90], v[152:153]
	v_fma_f64 v[152:153], v[83:84], v[167:168], v[154:155]
	v_add_f64 v[91:92], v[91:92], v[134:135]
	s_clause 0x1
	buffer_load_dword v135, off, s[0:3], 0 offset:612
	buffer_load_dword v134, off, s[0:3], 0 offset:608
	ds_read_b128 v[81:84], v127 offset:1008
	s_waitcnt vmcnt(55) lgkmcnt(1)
	v_mul_f64 v[154:155], v[85:86], v[138:139]
	v_mul_f64 v[138:139], v[87:88], v[138:139]
	s_waitcnt vmcnt(53)
	v_fma_f64 v[101:102], v[1:2], v[95:96], -v[101:102]
	v_fma_f64 v[95:96], v[3:4], v[95:96], v[146:147]
	ds_read_b128 v[1:4], v127 offset:1024
	v_add_f64 v[89:90], v[89:90], v[158:159]
	v_add_f64 v[91:92], v[91:92], v[152:153]
	s_waitcnt vmcnt(49) lgkmcnt(1)
	v_mul_f64 v[146:147], v[81:82], v[128:129]
	v_mul_f64 v[128:129], v[83:84], v[128:129]
	s_waitcnt vmcnt(48)
	v_fma_f64 v[138:139], v[85:86], v[163:164], -v[138:139]
	v_add_f64 v[89:90], v[89:90], v[101:102]
	v_fma_f64 v[101:102], v[87:88], v[163:164], v[154:155]
	v_add_f64 v[91:92], v[91:92], v[95:96]
	s_clause 0x3
	buffer_load_dword v95, off, s[0:3], 0 offset:64
	buffer_load_dword v96, off, s[0:3], 0 offset:68
	;; [unrolled: 1-line block ×4, first 2 shown]
	ds_read_b128 v[85:88], v127 offset:1040
	s_waitcnt vmcnt(51) lgkmcnt(1)
	v_mul_f64 v[154:155], v[1:2], v[130:131]
	v_mul_f64 v[130:131], v[3:4], v[130:131]
	s_waitcnt vmcnt(49)
	v_fma_f64 v[128:129], v[81:82], v[97:98], -v[128:129]
	v_fma_f64 v[97:98], v[83:84], v[97:98], v[146:147]
	ds_read_b128 v[81:84], v127 offset:1056
	v_add_f64 v[89:90], v[89:90], v[138:139]
	v_add_f64 v[91:92], v[91:92], v[101:102]
	s_waitcnt vmcnt(45) lgkmcnt(1)
	v_mul_f64 v[101:102], v[85:86], v[93:94]
	v_mul_f64 v[93:94], v[87:88], v[93:94]
	s_waitcnt vmcnt(44)
	v_fma_f64 v[130:131], v[1:2], v[140:141], -v[130:131]
	v_add_f64 v[89:90], v[89:90], v[128:129]
	v_fma_f64 v[128:129], v[3:4], v[140:141], v[154:155]
	v_add_f64 v[91:92], v[91:92], v[97:98]
	ds_read_b128 v[1:4], v127 offset:1072
	s_waitcnt vmcnt(43) lgkmcnt(1)
	v_mul_f64 v[97:98], v[81:82], v[113:114]
	v_mul_f64 v[113:114], v[83:84], v[113:114]
	s_waitcnt vmcnt(41)
	v_fma_f64 v[93:94], v[85:86], v[103:104], -v[93:94]
	v_fma_f64 v[101:102], v[87:88], v[103:104], v[101:102]
	ds_read_b128 v[85:88], v127 offset:1088
	v_add_f64 v[89:90], v[89:90], v[130:131]
	v_add_f64 v[91:92], v[91:92], v[128:129]
	s_waitcnt vmcnt(37) lgkmcnt(1)
	v_mul_f64 v[103:104], v[1:2], v[99:100]
	v_mul_f64 v[99:100], v[3:4], v[99:100]
	s_waitcnt vmcnt(36)
	v_fma_f64 v[113:114], v[81:82], v[132:133], -v[113:114]
	v_add_f64 v[89:90], v[89:90], v[93:94]
	v_fma_f64 v[93:94], v[83:84], v[132:133], v[97:98]
	v_add_f64 v[91:92], v[91:92], v[101:102]
	s_waitcnt vmcnt(35) lgkmcnt(0)
	v_mul_f64 v[101:102], v[87:88], v[119:120]
	ds_read_b128 v[81:84], v127 offset:1104
	v_mul_f64 v[97:98], v[85:86], v[119:120]
	s_waitcnt vmcnt(33)
	v_fma_f64 v[103:104], v[3:4], v[109:110], v[103:104]
	v_fma_f64 v[99:100], v[1:2], v[109:110], -v[99:100]
	ds_read_b128 v[1:4], v127 offset:1120
	v_add_f64 v[89:90], v[89:90], v[113:114]
	v_add_f64 v[91:92], v[91:92], v[93:94]
	s_waitcnt vmcnt(29) lgkmcnt(1)
	v_mul_f64 v[93:94], v[81:82], v[105:106]
	v_mul_f64 v[105:106], v[83:84], v[105:106]
	s_waitcnt vmcnt(28)
	v_fma_f64 v[101:102], v[85:86], v[121:122], -v[101:102]
	v_fma_f64 v[97:98], v[87:88], v[121:122], v[97:98]
	ds_read_b128 v[85:88], v127 offset:1136
	v_add_f64 v[89:90], v[89:90], v[99:100]
	v_add_f64 v[91:92], v[91:92], v[103:104]
	s_waitcnt vmcnt(27) lgkmcnt(1)
	v_mul_f64 v[103:104], v[3:4], v[142:143]
	v_mul_f64 v[99:100], v[1:2], v[142:143]
	s_waitcnt vmcnt(25)
	v_fma_f64 v[105:106], v[81:82], v[107:108], -v[105:106]
	v_fma_f64 v[93:94], v[83:84], v[107:108], v[93:94]
	ds_read_b128 v[81:84], v127 offset:1152
	v_add_f64 v[89:90], v[89:90], v[101:102]
	v_add_f64 v[91:92], v[91:92], v[97:98]
	s_waitcnt vmcnt(21) lgkmcnt(1)
	v_mul_f64 v[101:102], v[87:88], v[111:112]
	s_waitcnt vmcnt(20)
	v_fma_f64 v[103:104], v[1:2], v[144:145], -v[103:104]
	v_mul_f64 v[97:98], v[85:86], v[111:112]
	v_fma_f64 v[99:100], v[3:4], v[144:145], v[99:100]
	ds_read_b128 v[1:4], v127 offset:1168
	v_add_f64 v[89:90], v[89:90], v[105:106]
	v_add_f64 v[91:92], v[91:92], v[93:94]
	s_waitcnt vmcnt(19) lgkmcnt(1)
	v_mul_f64 v[105:106], v[83:84], v[148:149]
	v_mul_f64 v[93:94], v[81:82], v[148:149]
	s_waitcnt vmcnt(17)
	v_fma_f64 v[101:102], v[85:86], v[115:116], -v[101:102]
	v_fma_f64 v[97:98], v[87:88], v[115:116], v[97:98]
	ds_read_b128 v[85:88], v127 offset:1184
	v_add_f64 v[89:90], v[89:90], v[103:104]
	v_add_f64 v[91:92], v[91:92], v[99:100]
	s_waitcnt vmcnt(13) lgkmcnt(1)
	v_mul_f64 v[103:104], v[3:4], v[117:118]
	s_waitcnt vmcnt(12)
	v_fma_f64 v[105:106], v[81:82], v[150:151], -v[105:106]
	v_mul_f64 v[99:100], v[1:2], v[117:118]
	v_fma_f64 v[93:94], v[83:84], v[150:151], v[93:94]
	ds_read_b128 v[81:84], v127 offset:1200
	v_add_f64 v[89:90], v[89:90], v[101:102]
	v_add_f64 v[91:92], v[91:92], v[97:98]
	s_waitcnt vmcnt(11) lgkmcnt(1)
	v_mul_f64 v[101:102], v[87:88], v[156:157]
	v_mul_f64 v[97:98], v[85:86], v[156:157]
	s_waitcnt vmcnt(9)
	v_fma_f64 v[1:2], v[1:2], v[123:124], -v[103:104]
	v_fma_f64 v[3:4], v[3:4], v[123:124], v[99:100]
	v_add_f64 v[89:90], v[89:90], v[105:106]
	v_add_f64 v[91:92], v[91:92], v[93:94]
	s_waitcnt vmcnt(7) lgkmcnt(0)
	v_mul_f64 v[99:100], v[83:84], v[125:126]
	s_waitcnt vmcnt(6)
	v_fma_f64 v[85:86], v[85:86], v[160:161], -v[101:102]
	v_mul_f64 v[93:94], v[81:82], v[125:126]
	v_fma_f64 v[87:88], v[87:88], v[160:161], v[97:98]
	v_add_f64 v[1:2], v[89:90], v[1:2]
	v_add_f64 v[3:4], v[91:92], v[3:4]
	s_waitcnt vmcnt(4)
	v_fma_f64 v[81:82], v[81:82], v[134:135], -v[99:100]
	v_fma_f64 v[83:84], v[83:84], v[134:135], v[93:94]
	v_add_f64 v[1:2], v[1:2], v[85:86]
	v_add_f64 v[3:4], v[3:4], v[87:88]
	;; [unrolled: 1-line block ×4, first 2 shown]
	s_waitcnt vmcnt(2)
	v_add_f64 v[1:2], v[95:96], -v[1:2]
	s_waitcnt vmcnt(0)
	v_add_f64 v[3:4], v[152:153], -v[3:4]
	buffer_store_dword v2, off, s[0:3], 0 offset:68
	buffer_store_dword v1, off, s[0:3], 0 offset:64
	;; [unrolled: 1-line block ×4, first 2 shown]
	v_cmpx_lt_u32_e32 2, v0
	s_cbranch_execz .LBB101_237
; %bb.236:
	v_mov_b32_e32 v4, s48
	v_mov_b32_e32 v81, 0
	s_clause 0x3
	buffer_load_dword v1, v4, s[0:3], 0 offen
	buffer_load_dword v2, v4, s[0:3], 0 offen offset:4
	buffer_load_dword v3, v4, s[0:3], 0 offen offset:8
	;; [unrolled: 1-line block ×3, first 2 shown]
	buffer_store_dword v81, off, s[0:3], 0 offset:48
	buffer_store_dword v81, off, s[0:3], 0 offset:52
	;; [unrolled: 1-line block ×4, first 2 shown]
	s_waitcnt vmcnt(0)
	ds_write_b128 v137, v[1:4]
.LBB101_237:
	s_or_b32 exec_lo, exec_lo, s4
	s_waitcnt lgkmcnt(0)
	s_waitcnt_vscnt null, 0x0
	s_barrier
	buffer_gl0_inv
	s_clause 0x37
	buffer_load_dword v85, off, s[0:3], 0 offset:72
	buffer_load_dword v86, off, s[0:3], 0 offset:76
	;; [unrolled: 1-line block ×56, first 2 shown]
	v_mov_b32_e32 v138, 0
	s_mov_b32 s4, exec_lo
	ds_read_b128 v[139:142], v138 offset:656
	s_clause 0x2
	buffer_load_dword v134, off, s[0:3], 0 offset:300
	buffer_load_dword v136, off, s[0:3], 0 offset:276
	;; [unrolled: 1-line block ×3, first 2 shown]
	ds_read_b128 v[143:146], v138 offset:672
	s_clause 0x4
	buffer_load_dword v154, off, s[0:3], 0 offset:316
	buffer_load_dword v155, off, s[0:3], 0 offset:328
	;; [unrolled: 1-line block ×5, first 2 shown]
	ds_read_b128 v[147:150], v138 offset:688
	s_clause 0x2
	buffer_load_dword v156, off, s[0:3], 0 offset:332
	buffer_load_dword v161, off, s[0:3], 0 offset:308
	;; [unrolled: 1-line block ×3, first 2 shown]
	s_waitcnt vmcnt(62) lgkmcnt(2)
	v_mul_f64 v[151:152], v[141:142], v[85:86]
	v_mul_f64 v[85:86], v[139:140], v[85:86]
	s_waitcnt lgkmcnt(1)
	v_mul_f64 v[158:159], v[145:146], v[81:82]
	s_waitcnt vmcnt(59) lgkmcnt(0)
	v_mul_f64 v[162:163], v[149:150], v[3:4]
	v_fma_f64 v[139:140], v[139:140], v[83:84], -v[151:152]
	v_mul_f64 v[151:152], v[143:144], v[81:82]
	v_fma_f64 v[85:86], v[141:142], v[83:84], v[85:86]
	s_waitcnt vmcnt(57)
	v_fma_f64 v[143:144], v[143:144], v[1:2], -v[158:159]
	ds_read_b128 v[81:84], v138 offset:704
	v_mul_f64 v[141:142], v[147:148], v[3:4]
	s_waitcnt vmcnt(51)
	v_fma_f64 v[147:148], v[147:148], v[101:102], -v[162:163]
	v_add_f64 v[139:140], v[139:140], 0
	v_fma_f64 v[145:146], v[145:146], v[1:2], v[151:152]
	v_add_f64 v[85:86], v[85:86], 0
	s_clause 0x4
	buffer_load_dword v152, off, s[0:3], 0 offset:348
	buffer_load_dword v164, off, s[0:3], 0 offset:360
	;; [unrolled: 1-line block ×5, first 2 shown]
	s_waitcnt lgkmcnt(0)
	v_mul_f64 v[167:168], v[81:82], v[89:90]
	v_mul_f64 v[89:90], v[83:84], v[89:90]
	ds_read_b128 v[1:4], v138 offset:720
	v_fma_f64 v[101:102], v[149:150], v[101:102], v[141:142]
	v_add_f64 v[143:144], v[139:140], v[143:144]
	v_add_f64 v[85:86], v[85:86], v[145:146]
	s_clause 0x2
	buffer_load_dword v165, off, s[0:3], 0 offset:364
	buffer_load_dword v146, off, s[0:3], 0 offset:340
	;; [unrolled: 1-line block ×3, first 2 shown]
	s_waitcnt vmcnt(58) lgkmcnt(0)
	v_mul_f64 v[149:150], v[1:2], v[93:94]
	v_mul_f64 v[93:94], v[3:4], v[93:94]
	s_waitcnt vmcnt(56)
	v_fma_f64 v[89:90], v[81:82], v[95:96], -v[89:90]
	ds_read_b128 v[139:142], v138 offset:736
	v_fma_f64 v[95:96], v[83:84], v[95:96], v[167:168]
	v_add_f64 v[143:144], v[143:144], v[147:148]
	v_add_f64 v[85:86], v[85:86], v[101:102]
	s_clause 0x4
	buffer_load_dword v102, off, s[0:3], 0 offset:380
	buffer_load_dword v147, off, s[0:3], 0 offset:392
	;; [unrolled: 1-line block ×5, first 2 shown]
	ds_read_b128 v[81:84], v138 offset:752
	s_waitcnt vmcnt(57) lgkmcnt(1)
	v_mul_f64 v[168:169], v[139:140], v[97:98]
	v_mul_f64 v[97:98], v[141:142], v[97:98]
	s_waitcnt vmcnt(56)
	v_fma_f64 v[93:94], v[1:2], v[87:88], -v[93:94]
	v_fma_f64 v[87:88], v[3:4], v[87:88], v[149:150]
	v_add_f64 v[89:90], v[143:144], v[89:90]
	v_add_f64 v[85:86], v[85:86], v[95:96]
	s_clause 0x2
	buffer_load_dword v148, off, s[0:3], 0 offset:396
	buffer_load_dword v96, off, s[0:3], 0 offset:372
	;; [unrolled: 1-line block ×3, first 2 shown]
	s_waitcnt vmcnt(58) lgkmcnt(0)
	v_mul_f64 v[143:144], v[81:82], v[103:104]
	v_mul_f64 v[103:104], v[83:84], v[103:104]
	s_waitcnt vmcnt(56)
	v_fma_f64 v[97:98], v[139:140], v[105:106], -v[97:98]
	ds_read_b128 v[1:4], v138 offset:768
	v_add_f64 v[89:90], v[89:90], v[93:94]
	v_fma_f64 v[93:94], v[141:142], v[105:106], v[168:169]
	v_add_f64 v[105:106], v[85:86], v[87:88]
	s_clause 0x4
	buffer_load_dword v140, off, s[0:3], 0 offset:412
	buffer_load_dword v141, off, s[0:3], 0 offset:424
	;; [unrolled: 1-line block ×5, first 2 shown]
	ds_read_b128 v[85:88], v138 offset:784
	s_waitcnt vmcnt(57) lgkmcnt(1)
	v_mul_f64 v[168:169], v[1:2], v[107:108]
	v_mul_f64 v[107:108], v[3:4], v[107:108]
	s_waitcnt vmcnt(56)
	v_fma_f64 v[103:104], v[81:82], v[91:92], -v[103:104]
	v_fma_f64 v[91:92], v[83:84], v[91:92], v[143:144]
	v_add_f64 v[89:90], v[89:90], v[97:98]
	s_clause 0x2
	buffer_load_dword v142, off, s[0:3], 0 offset:428
	buffer_load_dword v98, off, s[0:3], 0 offset:404
	;; [unrolled: 1-line block ×3, first 2 shown]
	v_add_f64 v[93:94], v[105:106], v[93:94]
	s_waitcnt vmcnt(58) lgkmcnt(0)
	v_mul_f64 v[105:106], v[85:86], v[111:112]
	v_mul_f64 v[111:112], v[87:88], v[111:112]
	ds_read_b128 v[81:84], v138 offset:800
	s_waitcnt vmcnt(56)
	v_fma_f64 v[107:108], v[1:2], v[113:114], -v[107:108]
	v_add_f64 v[89:90], v[89:90], v[103:104]
	v_fma_f64 v[103:104], v[3:4], v[113:114], v[168:169]
	v_add_f64 v[91:92], v[93:94], v[91:92]
	s_clause 0x4
	buffer_load_dword v94, off, s[0:3], 0 offset:444
	buffer_load_dword v113, off, s[0:3], 0 offset:456
	;; [unrolled: 1-line block ×5, first 2 shown]
	s_waitcnt vmcnt(57) lgkmcnt(0)
	v_mul_f64 v[168:169], v[81:82], v[115:116]
	v_mul_f64 v[115:116], v[83:84], v[115:116]
	s_waitcnt vmcnt(56)
	v_fma_f64 v[111:112], v[85:86], v[99:100], -v[111:112]
	ds_read_b128 v[1:4], v138 offset:816
	v_fma_f64 v[99:100], v[87:88], v[99:100], v[105:106]
	v_add_f64 v[89:90], v[89:90], v[107:108]
	v_add_f64 v[91:92], v[91:92], v[103:104]
	s_clause 0x2
	buffer_load_dword v114, off, s[0:3], 0 offset:460
	buffer_load_dword v104, off, s[0:3], 0 offset:436
	;; [unrolled: 1-line block ×3, first 2 shown]
	ds_read_b128 v[85:88], v138 offset:832
	s_waitcnt vmcnt(58) lgkmcnt(1)
	v_mul_f64 v[107:108], v[3:4], v[119:120]
	s_waitcnt vmcnt(56)
	v_fma_f64 v[115:116], v[81:82], v[121:122], -v[115:116]
	v_mul_f64 v[105:106], v[1:2], v[119:120]
	v_add_f64 v[89:90], v[89:90], v[111:112]
	v_fma_f64 v[111:112], v[83:84], v[121:122], v[168:169]
	v_add_f64 v[91:92], v[91:92], v[99:100]
	s_clause 0x4
	buffer_load_dword v100, off, s[0:3], 0 offset:476
	buffer_load_dword v119, off, s[0:3], 0 offset:488
	;; [unrolled: 1-line block ×5, first 2 shown]
	s_waitcnt vmcnt(57) lgkmcnt(0)
	v_mul_f64 v[168:169], v[85:86], v[123:124]
	v_mul_f64 v[122:123], v[87:88], v[123:124]
	s_waitcnt vmcnt(56)
	v_fma_f64 v[107:108], v[1:2], v[109:110], -v[107:108]
	ds_read_b128 v[81:84], v138 offset:848
	v_fma_f64 v[105:106], v[3:4], v[109:110], v[105:106]
	s_clause 0x2
	buffer_load_dword v120, off, s[0:3], 0 offset:492
	buffer_load_dword v110, off, s[0:3], 0 offset:468
	;; [unrolled: 1-line block ×3, first 2 shown]
	ds_read_b128 v[1:4], v138 offset:864
	v_add_f64 v[89:90], v[89:90], v[115:116]
	v_add_f64 v[91:92], v[91:92], v[111:112]
	s_waitcnt vmcnt(58) lgkmcnt(1)
	v_mul_f64 v[115:116], v[83:84], v[127:128]
	s_waitcnt vmcnt(56)
	v_fma_f64 v[123:124], v[85:86], v[129:130], -v[122:123]
	v_mul_f64 v[111:112], v[81:82], v[127:128]
	v_add_f64 v[89:90], v[89:90], v[107:108]
	v_fma_f64 v[107:108], v[87:88], v[129:130], v[168:169]
	v_add_f64 v[91:92], v[91:92], v[105:106]
	s_clause 0x4
	buffer_load_dword v106, off, s[0:3], 0 offset:508
	buffer_load_dword v127, off, s[0:3], 0 offset:520
	;; [unrolled: 1-line block ×5, first 2 shown]
	s_waitcnt vmcnt(57) lgkmcnt(0)
	v_mul_f64 v[168:169], v[1:2], v[131:132]
	v_mul_f64 v[130:131], v[3:4], v[131:132]
	s_waitcnt vmcnt(56)
	v_fma_f64 v[115:116], v[81:82], v[117:118], -v[115:116]
	ds_read_b128 v[85:88], v138 offset:880
	v_fma_f64 v[111:112], v[83:84], v[117:118], v[111:112]
	v_add_f64 v[89:90], v[89:90], v[123:124]
	v_add_f64 v[91:92], v[91:92], v[107:108]
	s_clause 0x2
	buffer_load_dword v128, off, s[0:3], 0 offset:524
	buffer_load_dword v108, off, s[0:3], 0 offset:500
	;; [unrolled: 1-line block ×3, first 2 shown]
	ds_read_b128 v[81:84], v138 offset:896
	s_waitcnt vmcnt(58) lgkmcnt(1)
	v_mul_f64 v[123:124], v[87:88], v[133:134]
	s_waitcnt vmcnt(56)
	v_fma_f64 v[131:132], v[1:2], v[135:136], -v[130:131]
	v_mul_f64 v[117:118], v[85:86], v[133:134]
	v_add_f64 v[89:90], v[89:90], v[115:116]
	v_fma_f64 v[115:116], v[3:4], v[135:136], v[168:169]
	v_add_f64 v[91:92], v[91:92], v[111:112]
	s_clause 0x4
	buffer_load_dword v112, off, s[0:3], 0 offset:540
	buffer_load_dword v133, off, s[0:3], 0 offset:552
	;; [unrolled: 1-line block ×5, first 2 shown]
	s_waitcnt vmcnt(57) lgkmcnt(0)
	v_mul_f64 v[168:169], v[81:82], v[153:154]
	v_mul_f64 v[153:154], v[83:84], v[153:154]
	s_waitcnt vmcnt(56)
	v_fma_f64 v[123:124], v[85:86], v[125:126], -v[123:124]
	ds_read_b128 v[1:4], v138 offset:912
	v_fma_f64 v[117:118], v[87:88], v[125:126], v[117:118]
	v_add_f64 v[89:90], v[89:90], v[131:132]
	v_add_f64 v[91:92], v[91:92], v[115:116]
	s_clause 0x2
	buffer_load_dword v134, off, s[0:3], 0 offset:556
	buffer_load_dword v116, off, s[0:3], 0 offset:532
	;; [unrolled: 1-line block ×3, first 2 shown]
	ds_read_b128 v[85:88], v138 offset:928
	s_waitcnt vmcnt(58) lgkmcnt(1)
	v_mul_f64 v[131:132], v[3:4], v[155:156]
	s_waitcnt vmcnt(56)
	v_fma_f64 v[153:154], v[81:82], v[160:161], -v[153:154]
	v_mul_f64 v[125:126], v[1:2], v[155:156]
	v_add_f64 v[89:90], v[89:90], v[123:124]
	v_fma_f64 v[123:124], v[83:84], v[160:161], v[168:169]
	v_add_f64 v[91:92], v[91:92], v[117:118]
	s_clause 0x4
	buffer_load_dword v118, off, s[0:3], 0 offset:572
	buffer_load_dword v155, off, s[0:3], 0 offset:584
	;; [unrolled: 1-line block ×5, first 2 shown]
	ds_read_b128 v[81:84], v138 offset:944
	s_waitcnt vmcnt(57) lgkmcnt(1)
	v_mul_f64 v[160:161], v[85:86], v[151:152]
	v_mul_f64 v[151:152], v[87:88], v[151:152]
	s_waitcnt vmcnt(56)
	v_fma_f64 v[131:132], v[1:2], v[157:158], -v[131:132]
	v_fma_f64 v[125:126], v[3:4], v[157:158], v[125:126]
	v_add_f64 v[89:90], v[89:90], v[153:154]
	v_add_f64 v[91:92], v[91:92], v[123:124]
	s_clause 0x2
	buffer_load_dword v156, off, s[0:3], 0 offset:588
	buffer_load_dword v124, off, s[0:3], 0 offset:564
	;; [unrolled: 1-line block ×3, first 2 shown]
	ds_read_b128 v[1:4], v138 offset:960
	s_waitcnt vmcnt(58) lgkmcnt(1)
	v_mul_f64 v[157:158], v[83:84], v[164:165]
	v_mul_f64 v[153:154], v[81:82], v[164:165]
	s_waitcnt vmcnt(56)
	v_fma_f64 v[151:152], v[85:86], v[145:146], -v[151:152]
	v_add_f64 v[89:90], v[89:90], v[131:132]
	v_fma_f64 v[131:132], v[87:88], v[145:146], v[160:161]
	v_add_f64 v[91:92], v[91:92], v[125:126]
	s_clause 0x4
	buffer_load_dword v126, off, s[0:3], 0 offset:604
	buffer_load_dword v145, off, s[0:3], 0 offset:616
	;; [unrolled: 1-line block ×5, first 2 shown]
	ds_read_b128 v[85:88], v138 offset:976
	s_waitcnt vmcnt(57) lgkmcnt(1)
	v_mul_f64 v[168:169], v[1:2], v[101:102]
	v_mul_f64 v[101:102], v[3:4], v[101:102]
	s_waitcnt vmcnt(56)
	v_fma_f64 v[157:158], v[81:82], v[166:167], -v[157:158]
	v_add_f64 v[89:90], v[89:90], v[151:152]
	v_fma_f64 v[151:152], v[83:84], v[166:167], v[153:154]
	v_add_f64 v[91:92], v[91:92], v[131:132]
	s_clause 0x2
	buffer_load_dword v146, off, s[0:3], 0 offset:620
	buffer_load_dword v132, off, s[0:3], 0 offset:596
	;; [unrolled: 1-line block ×3, first 2 shown]
	ds_read_b128 v[81:84], v138 offset:992
	buffer_load_dword v165, off, s[0:3], 0 offset:612
	s_waitcnt vmcnt(59) lgkmcnt(1)
	v_mul_f64 v[153:154], v[85:86], v[147:148]
	v_mul_f64 v[147:148], v[87:88], v[147:148]
	s_waitcnt vmcnt(57)
	v_fma_f64 v[101:102], v[1:2], v[95:96], -v[101:102]
	v_fma_f64 v[95:96], v[3:4], v[95:96], v[168:169]
	ds_read_b128 v[1:4], v138 offset:1008
	v_add_f64 v[89:90], v[89:90], v[157:158]
	v_add_f64 v[91:92], v[91:92], v[151:152]
	s_waitcnt vmcnt(53) lgkmcnt(1)
	v_mul_f64 v[151:152], v[81:82], v[139:140]
	v_mul_f64 v[139:140], v[83:84], v[139:140]
	s_waitcnt vmcnt(52)
	v_fma_f64 v[147:148], v[85:86], v[162:163], -v[147:148]
	v_add_f64 v[89:90], v[89:90], v[101:102]
	v_fma_f64 v[101:102], v[87:88], v[162:163], v[153:154]
	v_add_f64 v[91:92], v[91:92], v[95:96]
	ds_read_b128 v[85:88], v138 offset:1024
	s_waitcnt vmcnt(51) lgkmcnt(1)
	v_mul_f64 v[95:96], v[1:2], v[141:142]
	v_mul_f64 v[141:142], v[3:4], v[141:142]
	s_waitcnt vmcnt(49)
	v_fma_f64 v[139:140], v[81:82], v[97:98], -v[139:140]
	v_fma_f64 v[97:98], v[83:84], v[97:98], v[151:152]
	v_add_f64 v[89:90], v[89:90], v[147:148]
	v_add_f64 v[91:92], v[91:92], v[101:102]
	s_clause 0x3
	buffer_load_dword v101, off, s[0:3], 0 offset:48
	buffer_load_dword v102, off, s[0:3], 0 offset:52
	;; [unrolled: 1-line block ×4, first 2 shown]
	ds_read_b128 v[81:84], v138 offset:1040
	s_waitcnt vmcnt(49) lgkmcnt(1)
	v_mul_f64 v[151:152], v[85:86], v[93:94]
	v_mul_f64 v[93:94], v[87:88], v[93:94]
	s_waitcnt vmcnt(48)
	v_fma_f64 v[141:142], v[1:2], v[149:150], -v[141:142]
	v_fma_f64 v[95:96], v[3:4], v[149:150], v[95:96]
	ds_read_b128 v[1:4], v138 offset:1056
	v_add_f64 v[89:90], v[89:90], v[139:140]
	v_add_f64 v[91:92], v[91:92], v[97:98]
	s_waitcnt vmcnt(47) lgkmcnt(1)
	v_mul_f64 v[97:98], v[81:82], v[113:114]
	v_mul_f64 v[113:114], v[83:84], v[113:114]
	s_waitcnt vmcnt(45)
	v_fma_f64 v[93:94], v[85:86], v[103:104], -v[93:94]
	v_fma_f64 v[103:104], v[87:88], v[103:104], v[151:152]
	ds_read_b128 v[85:88], v138 offset:1072
	v_add_f64 v[89:90], v[89:90], v[141:142]
	v_add_f64 v[91:92], v[91:92], v[95:96]
	s_waitcnt vmcnt(41) lgkmcnt(1)
	v_mul_f64 v[95:96], v[1:2], v[99:100]
	v_mul_f64 v[99:100], v[3:4], v[99:100]
	s_waitcnt vmcnt(40)
	v_fma_f64 v[113:114], v[81:82], v[143:144], -v[113:114]
	v_add_f64 v[89:90], v[89:90], v[93:94]
	v_fma_f64 v[93:94], v[83:84], v[143:144], v[97:98]
	v_add_f64 v[91:92], v[91:92], v[103:104]
	ds_read_b128 v[81:84], v138 offset:1088
	s_waitcnt vmcnt(39) lgkmcnt(1)
	v_mul_f64 v[103:104], v[87:88], v[119:120]
	v_mul_f64 v[97:98], v[85:86], v[119:120]
	s_waitcnt vmcnt(37)
	v_fma_f64 v[95:96], v[3:4], v[109:110], v[95:96]
	v_fma_f64 v[99:100], v[1:2], v[109:110], -v[99:100]
	ds_read_b128 v[1:4], v138 offset:1104
	v_add_f64 v[89:90], v[89:90], v[113:114]
	v_add_f64 v[91:92], v[91:92], v[93:94]
	s_waitcnt vmcnt(33) lgkmcnt(1)
	v_mul_f64 v[93:94], v[81:82], v[105:106]
	v_mul_f64 v[105:106], v[83:84], v[105:106]
	s_waitcnt vmcnt(32)
	v_fma_f64 v[103:104], v[85:86], v[121:122], -v[103:104]
	v_fma_f64 v[97:98], v[87:88], v[121:122], v[97:98]
	ds_read_b128 v[85:88], v138 offset:1120
	v_add_f64 v[89:90], v[89:90], v[99:100]
	v_add_f64 v[91:92], v[91:92], v[95:96]
	s_waitcnt vmcnt(31) lgkmcnt(1)
	v_mul_f64 v[99:100], v[3:4], v[127:128]
	v_mul_f64 v[95:96], v[1:2], v[127:128]
	s_waitcnt vmcnt(29)
	v_fma_f64 v[105:106], v[81:82], v[107:108], -v[105:106]
	v_fma_f64 v[93:94], v[83:84], v[107:108], v[93:94]
	ds_read_b128 v[81:84], v138 offset:1136
	v_add_f64 v[89:90], v[89:90], v[103:104]
	v_add_f64 v[91:92], v[91:92], v[97:98]
	s_waitcnt vmcnt(25) lgkmcnt(1)
	v_mul_f64 v[103:104], v[87:88], v[111:112]
	s_waitcnt vmcnt(24)
	v_fma_f64 v[99:100], v[1:2], v[129:130], -v[99:100]
	v_mul_f64 v[97:98], v[85:86], v[111:112]
	v_fma_f64 v[95:96], v[3:4], v[129:130], v[95:96]
	ds_read_b128 v[1:4], v138 offset:1152
	v_add_f64 v[89:90], v[89:90], v[105:106]
	v_add_f64 v[91:92], v[91:92], v[93:94]
	s_waitcnt vmcnt(23) lgkmcnt(1)
	v_mul_f64 v[105:106], v[83:84], v[133:134]
	v_mul_f64 v[93:94], v[81:82], v[133:134]
	s_waitcnt vmcnt(21)
	v_fma_f64 v[103:104], v[85:86], v[115:116], -v[103:104]
	v_fma_f64 v[97:98], v[87:88], v[115:116], v[97:98]
	ds_read_b128 v[85:88], v138 offset:1168
	v_add_f64 v[89:90], v[89:90], v[99:100]
	v_add_f64 v[91:92], v[91:92], v[95:96]
	s_waitcnt vmcnt(17) lgkmcnt(1)
	v_mul_f64 v[99:100], v[3:4], v[117:118]
	s_waitcnt vmcnt(16)
	v_fma_f64 v[105:106], v[81:82], v[135:136], -v[105:106]
	v_mul_f64 v[95:96], v[1:2], v[117:118]
	;; [unrolled: 18-line block ×3, first 2 shown]
	v_fma_f64 v[87:88], v[87:88], v[159:160], v[97:98]
	v_add_f64 v[89:90], v[89:90], v[99:100]
	v_add_f64 v[91:92], v[91:92], v[95:96]
	s_waitcnt vmcnt(7) lgkmcnt(0)
	v_mul_f64 v[97:98], v[3:4], v[145:146]
	v_mul_f64 v[95:96], v[1:2], v[145:146]
	s_waitcnt vmcnt(5)
	v_fma_f64 v[81:82], v[81:82], v[131:132], -v[105:106]
	v_fma_f64 v[83:84], v[83:84], v[131:132], v[93:94]
	v_add_f64 v[85:86], v[89:90], v[85:86]
	v_add_f64 v[87:88], v[91:92], v[87:88]
	s_waitcnt vmcnt(4)
	v_fma_f64 v[1:2], v[1:2], v[164:165], -v[97:98]
	v_fma_f64 v[3:4], v[3:4], v[164:165], v[95:96]
	v_add_f64 v[81:82], v[85:86], v[81:82]
	v_add_f64 v[83:84], v[87:88], v[83:84]
	;; [unrolled: 1-line block ×4, first 2 shown]
	s_waitcnt vmcnt(2)
	v_add_f64 v[1:2], v[101:102], -v[1:2]
	s_waitcnt vmcnt(0)
	v_add_f64 v[3:4], v[147:148], -v[3:4]
	buffer_store_dword v2, off, s[0:3], 0 offset:52
	buffer_store_dword v1, off, s[0:3], 0 offset:48
	;; [unrolled: 1-line block ×4, first 2 shown]
	v_cmpx_lt_u32_e32 1, v0
	s_cbranch_execz .LBB101_239
; %bb.238:
	v_mov_b32_e32 v4, s49
	s_clause 0x3
	buffer_load_dword v1, v4, s[0:3], 0 offen
	buffer_load_dword v2, v4, s[0:3], 0 offen offset:4
	buffer_load_dword v3, v4, s[0:3], 0 offen offset:8
	;; [unrolled: 1-line block ×3, first 2 shown]
	buffer_store_dword v138, off, s[0:3], 0 offset:32
	buffer_store_dword v138, off, s[0:3], 0 offset:36
	;; [unrolled: 1-line block ×4, first 2 shown]
	s_waitcnt vmcnt(0)
	ds_write_b128 v137, v[1:4]
.LBB101_239:
	s_or_b32 exec_lo, exec_lo, s4
	s_waitcnt lgkmcnt(0)
	s_waitcnt_vscnt null, 0x0
	s_barrier
	buffer_gl0_inv
	s_clause 0x37
	buffer_load_dword v85, off, s[0:3], 0 offset:56
	buffer_load_dword v86, off, s[0:3], 0 offset:60
	;; [unrolled: 1-line block ×56, first 2 shown]
	ds_read_b128 v[139:142], v138 offset:640
	s_clause 0x2
	buffer_load_dword v134, off, s[0:3], 0 offset:284
	buffer_load_dword v136, off, s[0:3], 0 offset:260
	;; [unrolled: 1-line block ×3, first 2 shown]
	ds_read_b128 v[143:146], v138 offset:656
	s_clause 0x4
	buffer_load_dword v154, off, s[0:3], 0 offset:300
	buffer_load_dword v155, off, s[0:3], 0 offset:312
	;; [unrolled: 1-line block ×5, first 2 shown]
	ds_read_b128 v[147:150], v138 offset:672
	s_clause 0x2
	buffer_load_dword v156, off, s[0:3], 0 offset:316
	buffer_load_dword v161, off, s[0:3], 0 offset:292
	;; [unrolled: 1-line block ×3, first 2 shown]
	s_mov_b32 s4, exec_lo
	s_waitcnt vmcnt(62) lgkmcnt(2)
	v_mul_f64 v[151:152], v[141:142], v[85:86]
	v_mul_f64 v[85:86], v[139:140], v[85:86]
	s_waitcnt lgkmcnt(1)
	v_mul_f64 v[158:159], v[145:146], v[81:82]
	s_waitcnt vmcnt(59) lgkmcnt(0)
	v_mul_f64 v[162:163], v[149:150], v[3:4]
	v_fma_f64 v[139:140], v[139:140], v[83:84], -v[151:152]
	v_mul_f64 v[151:152], v[143:144], v[81:82]
	v_fma_f64 v[85:86], v[141:142], v[83:84], v[85:86]
	s_waitcnt vmcnt(57)
	v_fma_f64 v[143:144], v[143:144], v[1:2], -v[158:159]
	ds_read_b128 v[81:84], v138 offset:688
	v_mul_f64 v[141:142], v[147:148], v[3:4]
	s_waitcnt vmcnt(51)
	v_fma_f64 v[147:148], v[147:148], v[101:102], -v[162:163]
	v_add_f64 v[139:140], v[139:140], 0
	v_fma_f64 v[145:146], v[145:146], v[1:2], v[151:152]
	v_add_f64 v[85:86], v[85:86], 0
	s_clause 0x4
	buffer_load_dword v152, off, s[0:3], 0 offset:332
	buffer_load_dword v164, off, s[0:3], 0 offset:344
	;; [unrolled: 1-line block ×5, first 2 shown]
	s_waitcnt lgkmcnt(0)
	v_mul_f64 v[167:168], v[81:82], v[89:90]
	v_mul_f64 v[89:90], v[83:84], v[89:90]
	ds_read_b128 v[1:4], v138 offset:704
	v_fma_f64 v[101:102], v[149:150], v[101:102], v[141:142]
	v_add_f64 v[143:144], v[139:140], v[143:144]
	v_add_f64 v[85:86], v[85:86], v[145:146]
	s_clause 0x2
	buffer_load_dword v165, off, s[0:3], 0 offset:348
	buffer_load_dword v146, off, s[0:3], 0 offset:324
	;; [unrolled: 1-line block ×3, first 2 shown]
	s_waitcnt vmcnt(58) lgkmcnt(0)
	v_mul_f64 v[149:150], v[1:2], v[93:94]
	v_mul_f64 v[93:94], v[3:4], v[93:94]
	s_waitcnt vmcnt(56)
	v_fma_f64 v[89:90], v[81:82], v[95:96], -v[89:90]
	ds_read_b128 v[139:142], v138 offset:720
	v_fma_f64 v[95:96], v[83:84], v[95:96], v[167:168]
	v_add_f64 v[143:144], v[143:144], v[147:148]
	v_add_f64 v[85:86], v[85:86], v[101:102]
	s_clause 0x4
	buffer_load_dword v102, off, s[0:3], 0 offset:364
	buffer_load_dword v147, off, s[0:3], 0 offset:376
	;; [unrolled: 1-line block ×5, first 2 shown]
	ds_read_b128 v[81:84], v138 offset:736
	s_waitcnt vmcnt(57) lgkmcnt(1)
	v_mul_f64 v[168:169], v[139:140], v[97:98]
	v_mul_f64 v[97:98], v[141:142], v[97:98]
	s_waitcnt vmcnt(56)
	v_fma_f64 v[93:94], v[1:2], v[87:88], -v[93:94]
	v_fma_f64 v[87:88], v[3:4], v[87:88], v[149:150]
	v_add_f64 v[89:90], v[143:144], v[89:90]
	v_add_f64 v[85:86], v[85:86], v[95:96]
	s_clause 0x2
	buffer_load_dword v148, off, s[0:3], 0 offset:380
	buffer_load_dword v96, off, s[0:3], 0 offset:356
	;; [unrolled: 1-line block ×3, first 2 shown]
	s_waitcnt vmcnt(58) lgkmcnt(0)
	v_mul_f64 v[143:144], v[81:82], v[103:104]
	v_mul_f64 v[103:104], v[83:84], v[103:104]
	s_waitcnt vmcnt(56)
	v_fma_f64 v[97:98], v[139:140], v[105:106], -v[97:98]
	ds_read_b128 v[1:4], v138 offset:752
	v_add_f64 v[89:90], v[89:90], v[93:94]
	v_fma_f64 v[93:94], v[141:142], v[105:106], v[168:169]
	v_add_f64 v[105:106], v[85:86], v[87:88]
	s_clause 0x4
	buffer_load_dword v140, off, s[0:3], 0 offset:396
	buffer_load_dword v141, off, s[0:3], 0 offset:408
	;; [unrolled: 1-line block ×5, first 2 shown]
	ds_read_b128 v[85:88], v138 offset:768
	s_waitcnt vmcnt(57) lgkmcnt(1)
	v_mul_f64 v[168:169], v[1:2], v[107:108]
	v_mul_f64 v[107:108], v[3:4], v[107:108]
	s_waitcnt vmcnt(56)
	v_fma_f64 v[103:104], v[81:82], v[91:92], -v[103:104]
	v_fma_f64 v[91:92], v[83:84], v[91:92], v[143:144]
	v_add_f64 v[89:90], v[89:90], v[97:98]
	s_clause 0x2
	buffer_load_dword v142, off, s[0:3], 0 offset:412
	buffer_load_dword v98, off, s[0:3], 0 offset:388
	buffer_load_dword v97, off, s[0:3], 0 offset:384
	v_add_f64 v[93:94], v[105:106], v[93:94]
	s_waitcnt vmcnt(58) lgkmcnt(0)
	v_mul_f64 v[105:106], v[85:86], v[111:112]
	v_mul_f64 v[111:112], v[87:88], v[111:112]
	ds_read_b128 v[81:84], v138 offset:784
	s_waitcnt vmcnt(56)
	v_fma_f64 v[107:108], v[1:2], v[113:114], -v[107:108]
	v_add_f64 v[89:90], v[89:90], v[103:104]
	v_fma_f64 v[103:104], v[3:4], v[113:114], v[168:169]
	v_add_f64 v[91:92], v[93:94], v[91:92]
	s_clause 0x4
	buffer_load_dword v94, off, s[0:3], 0 offset:428
	buffer_load_dword v113, off, s[0:3], 0 offset:440
	;; [unrolled: 1-line block ×5, first 2 shown]
	s_waitcnt vmcnt(57) lgkmcnt(0)
	v_mul_f64 v[168:169], v[81:82], v[115:116]
	v_mul_f64 v[115:116], v[83:84], v[115:116]
	s_waitcnt vmcnt(56)
	v_fma_f64 v[111:112], v[85:86], v[99:100], -v[111:112]
	ds_read_b128 v[1:4], v138 offset:800
	v_fma_f64 v[99:100], v[87:88], v[99:100], v[105:106]
	v_add_f64 v[89:90], v[89:90], v[107:108]
	v_add_f64 v[91:92], v[91:92], v[103:104]
	s_clause 0x2
	buffer_load_dword v114, off, s[0:3], 0 offset:444
	buffer_load_dword v104, off, s[0:3], 0 offset:420
	;; [unrolled: 1-line block ×3, first 2 shown]
	ds_read_b128 v[85:88], v138 offset:816
	s_waitcnt vmcnt(58) lgkmcnt(1)
	v_mul_f64 v[107:108], v[3:4], v[119:120]
	s_waitcnt vmcnt(56)
	v_fma_f64 v[115:116], v[81:82], v[121:122], -v[115:116]
	v_mul_f64 v[105:106], v[1:2], v[119:120]
	v_add_f64 v[89:90], v[89:90], v[111:112]
	v_fma_f64 v[111:112], v[83:84], v[121:122], v[168:169]
	v_add_f64 v[91:92], v[91:92], v[99:100]
	s_clause 0x4
	buffer_load_dword v100, off, s[0:3], 0 offset:460
	buffer_load_dword v119, off, s[0:3], 0 offset:472
	;; [unrolled: 1-line block ×5, first 2 shown]
	s_waitcnt vmcnt(57) lgkmcnt(0)
	v_mul_f64 v[168:169], v[85:86], v[123:124]
	v_mul_f64 v[122:123], v[87:88], v[123:124]
	s_waitcnt vmcnt(56)
	v_fma_f64 v[107:108], v[1:2], v[109:110], -v[107:108]
	ds_read_b128 v[81:84], v138 offset:832
	v_fma_f64 v[105:106], v[3:4], v[109:110], v[105:106]
	s_clause 0x2
	buffer_load_dword v120, off, s[0:3], 0 offset:476
	buffer_load_dword v110, off, s[0:3], 0 offset:452
	;; [unrolled: 1-line block ×3, first 2 shown]
	ds_read_b128 v[1:4], v138 offset:848
	v_add_f64 v[89:90], v[89:90], v[115:116]
	v_add_f64 v[91:92], v[91:92], v[111:112]
	s_waitcnt vmcnt(58) lgkmcnt(1)
	v_mul_f64 v[115:116], v[83:84], v[127:128]
	s_waitcnt vmcnt(56)
	v_fma_f64 v[123:124], v[85:86], v[129:130], -v[122:123]
	v_mul_f64 v[111:112], v[81:82], v[127:128]
	v_add_f64 v[89:90], v[89:90], v[107:108]
	v_fma_f64 v[107:108], v[87:88], v[129:130], v[168:169]
	v_add_f64 v[91:92], v[91:92], v[105:106]
	s_clause 0x4
	buffer_load_dword v106, off, s[0:3], 0 offset:492
	buffer_load_dword v127, off, s[0:3], 0 offset:504
	;; [unrolled: 1-line block ×5, first 2 shown]
	s_waitcnt vmcnt(57) lgkmcnt(0)
	v_mul_f64 v[168:169], v[1:2], v[131:132]
	v_mul_f64 v[130:131], v[3:4], v[131:132]
	s_waitcnt vmcnt(56)
	v_fma_f64 v[115:116], v[81:82], v[117:118], -v[115:116]
	ds_read_b128 v[85:88], v138 offset:864
	v_fma_f64 v[111:112], v[83:84], v[117:118], v[111:112]
	v_add_f64 v[89:90], v[89:90], v[123:124]
	v_add_f64 v[91:92], v[91:92], v[107:108]
	s_clause 0x2
	buffer_load_dword v128, off, s[0:3], 0 offset:508
	buffer_load_dword v108, off, s[0:3], 0 offset:484
	;; [unrolled: 1-line block ×3, first 2 shown]
	ds_read_b128 v[81:84], v138 offset:880
	s_waitcnt vmcnt(58) lgkmcnt(1)
	v_mul_f64 v[123:124], v[87:88], v[133:134]
	s_waitcnt vmcnt(56)
	v_fma_f64 v[131:132], v[1:2], v[135:136], -v[130:131]
	v_mul_f64 v[117:118], v[85:86], v[133:134]
	v_add_f64 v[89:90], v[89:90], v[115:116]
	v_fma_f64 v[115:116], v[3:4], v[135:136], v[168:169]
	v_add_f64 v[91:92], v[91:92], v[111:112]
	s_clause 0x4
	buffer_load_dword v112, off, s[0:3], 0 offset:524
	buffer_load_dword v133, off, s[0:3], 0 offset:536
	;; [unrolled: 1-line block ×5, first 2 shown]
	s_waitcnt vmcnt(57) lgkmcnt(0)
	v_mul_f64 v[168:169], v[81:82], v[153:154]
	v_mul_f64 v[153:154], v[83:84], v[153:154]
	s_waitcnt vmcnt(56)
	v_fma_f64 v[123:124], v[85:86], v[125:126], -v[123:124]
	ds_read_b128 v[1:4], v138 offset:896
	v_fma_f64 v[117:118], v[87:88], v[125:126], v[117:118]
	v_add_f64 v[89:90], v[89:90], v[131:132]
	v_add_f64 v[91:92], v[91:92], v[115:116]
	s_clause 0x2
	buffer_load_dword v134, off, s[0:3], 0 offset:540
	buffer_load_dword v116, off, s[0:3], 0 offset:516
	;; [unrolled: 1-line block ×3, first 2 shown]
	ds_read_b128 v[85:88], v138 offset:912
	s_waitcnt vmcnt(58) lgkmcnt(1)
	v_mul_f64 v[131:132], v[3:4], v[155:156]
	s_waitcnt vmcnt(56)
	v_fma_f64 v[153:154], v[81:82], v[160:161], -v[153:154]
	v_mul_f64 v[125:126], v[1:2], v[155:156]
	v_add_f64 v[89:90], v[89:90], v[123:124]
	v_fma_f64 v[123:124], v[83:84], v[160:161], v[168:169]
	v_add_f64 v[91:92], v[91:92], v[117:118]
	s_clause 0x4
	buffer_load_dword v118, off, s[0:3], 0 offset:556
	buffer_load_dword v155, off, s[0:3], 0 offset:568
	;; [unrolled: 1-line block ×5, first 2 shown]
	ds_read_b128 v[81:84], v138 offset:928
	s_waitcnt vmcnt(57) lgkmcnt(1)
	v_mul_f64 v[160:161], v[85:86], v[151:152]
	v_mul_f64 v[151:152], v[87:88], v[151:152]
	s_waitcnt vmcnt(56)
	v_fma_f64 v[131:132], v[1:2], v[157:158], -v[131:132]
	v_fma_f64 v[125:126], v[3:4], v[157:158], v[125:126]
	v_add_f64 v[89:90], v[89:90], v[153:154]
	v_add_f64 v[91:92], v[91:92], v[123:124]
	s_clause 0x2
	buffer_load_dword v156, off, s[0:3], 0 offset:572
	buffer_load_dword v124, off, s[0:3], 0 offset:548
	;; [unrolled: 1-line block ×3, first 2 shown]
	ds_read_b128 v[1:4], v138 offset:944
	s_waitcnt vmcnt(58) lgkmcnt(1)
	v_mul_f64 v[157:158], v[83:84], v[164:165]
	v_mul_f64 v[153:154], v[81:82], v[164:165]
	s_waitcnt vmcnt(56)
	v_fma_f64 v[151:152], v[85:86], v[145:146], -v[151:152]
	v_add_f64 v[89:90], v[89:90], v[131:132]
	v_fma_f64 v[131:132], v[87:88], v[145:146], v[160:161]
	v_add_f64 v[91:92], v[91:92], v[125:126]
	s_clause 0x4
	buffer_load_dword v126, off, s[0:3], 0 offset:588
	buffer_load_dword v145, off, s[0:3], 0 offset:600
	;; [unrolled: 1-line block ×5, first 2 shown]
	ds_read_b128 v[85:88], v138 offset:960
	s_waitcnt vmcnt(57) lgkmcnt(1)
	v_mul_f64 v[168:169], v[1:2], v[101:102]
	v_mul_f64 v[101:102], v[3:4], v[101:102]
	s_waitcnt vmcnt(56)
	v_fma_f64 v[157:158], v[81:82], v[166:167], -v[157:158]
	v_add_f64 v[89:90], v[89:90], v[151:152]
	v_fma_f64 v[151:152], v[83:84], v[166:167], v[153:154]
	v_add_f64 v[91:92], v[91:92], v[131:132]
	s_clause 0x2
	buffer_load_dword v146, off, s[0:3], 0 offset:604
	buffer_load_dword v132, off, s[0:3], 0 offset:580
	;; [unrolled: 1-line block ×3, first 2 shown]
	ds_read_b128 v[81:84], v138 offset:976
	s_waitcnt vmcnt(58) lgkmcnt(1)
	v_mul_f64 v[153:154], v[85:86], v[147:148]
	v_mul_f64 v[147:148], v[87:88], v[147:148]
	s_waitcnt vmcnt(56)
	v_fma_f64 v[101:102], v[1:2], v[95:96], -v[101:102]
	v_fma_f64 v[95:96], v[3:4], v[95:96], v[168:169]
	v_add_f64 v[89:90], v[89:90], v[157:158]
	v_add_f64 v[91:92], v[91:92], v[151:152]
	s_clause 0x2
	buffer_load_dword v152, off, s[0:3], 0 offset:620
	buffer_load_dword v151, off, s[0:3], 0 offset:616
	;; [unrolled: 1-line block ×3, first 2 shown]
	ds_read_b128 v[1:4], v138 offset:992
	s_waitcnt vmcnt(55) lgkmcnt(1)
	v_mul_f64 v[157:158], v[81:82], v[139:140]
	v_mul_f64 v[139:140], v[83:84], v[139:140]
	s_waitcnt vmcnt(54)
	v_fma_f64 v[147:148], v[85:86], v[162:163], -v[147:148]
	v_add_f64 v[89:90], v[89:90], v[101:102]
	v_fma_f64 v[101:102], v[87:88], v[162:163], v[153:154]
	v_add_f64 v[91:92], v[91:92], v[95:96]
	s_clause 0x1
	buffer_load_dword v96, off, s[0:3], 0 offset:612
	buffer_load_dword v95, off, s[0:3], 0 offset:608
	ds_read_b128 v[85:88], v138 offset:1008
	s_waitcnt vmcnt(55) lgkmcnt(1)
	v_mul_f64 v[153:154], v[1:2], v[141:142]
	v_mul_f64 v[141:142], v[3:4], v[141:142]
	s_waitcnt vmcnt(53)
	v_fma_f64 v[139:140], v[81:82], v[97:98], -v[139:140]
	v_fma_f64 v[97:98], v[83:84], v[97:98], v[157:158]
	ds_read_b128 v[81:84], v138 offset:1024
	v_add_f64 v[89:90], v[89:90], v[147:148]
	v_add_f64 v[91:92], v[91:92], v[101:102]
	s_waitcnt vmcnt(49) lgkmcnt(1)
	v_mul_f64 v[101:102], v[85:86], v[93:94]
	v_mul_f64 v[93:94], v[87:88], v[93:94]
	s_waitcnt vmcnt(48)
	v_fma_f64 v[141:142], v[1:2], v[149:150], -v[141:142]
	v_add_f64 v[89:90], v[89:90], v[139:140]
	v_fma_f64 v[139:140], v[3:4], v[149:150], v[153:154]
	v_add_f64 v[91:92], v[91:92], v[97:98]
	s_clause 0x3
	buffer_load_dword v97, off, s[0:3], 0 offset:32
	buffer_load_dword v98, off, s[0:3], 0 offset:36
	;; [unrolled: 1-line block ×4, first 2 shown]
	ds_read_b128 v[1:4], v138 offset:1040
	s_waitcnt vmcnt(51) lgkmcnt(1)
	v_mul_f64 v[149:150], v[81:82], v[113:114]
	v_mul_f64 v[113:114], v[83:84], v[113:114]
	s_waitcnt vmcnt(49)
	v_fma_f64 v[93:94], v[85:86], v[103:104], -v[93:94]
	v_fma_f64 v[101:102], v[87:88], v[103:104], v[101:102]
	ds_read_b128 v[85:88], v138 offset:1056
	v_add_f64 v[89:90], v[89:90], v[141:142]
	v_add_f64 v[91:92], v[91:92], v[139:140]
	s_waitcnt vmcnt(45) lgkmcnt(1)
	v_mul_f64 v[103:104], v[1:2], v[99:100]
	v_mul_f64 v[99:100], v[3:4], v[99:100]
	s_waitcnt vmcnt(44)
	v_fma_f64 v[113:114], v[81:82], v[143:144], -v[113:114]
	v_add_f64 v[89:90], v[89:90], v[93:94]
	v_fma_f64 v[93:94], v[83:84], v[143:144], v[149:150]
	v_add_f64 v[91:92], v[91:92], v[101:102]
	s_waitcnt vmcnt(43) lgkmcnt(0)
	v_mul_f64 v[101:102], v[85:86], v[119:120]
	v_mul_f64 v[119:120], v[87:88], v[119:120]
	ds_read_b128 v[81:84], v138 offset:1072
	s_waitcnt vmcnt(41)
	v_fma_f64 v[103:104], v[3:4], v[109:110], v[103:104]
	v_fma_f64 v[99:100], v[1:2], v[109:110], -v[99:100]
	ds_read_b128 v[1:4], v138 offset:1088
	v_add_f64 v[89:90], v[89:90], v[113:114]
	v_add_f64 v[91:92], v[91:92], v[93:94]
	s_waitcnt vmcnt(37) lgkmcnt(1)
	v_mul_f64 v[93:94], v[81:82], v[105:106]
	v_mul_f64 v[105:106], v[83:84], v[105:106]
	s_waitcnt vmcnt(36)
	v_fma_f64 v[109:110], v[85:86], v[121:122], -v[119:120]
	v_add_f64 v[89:90], v[89:90], v[99:100]
	v_fma_f64 v[99:100], v[87:88], v[121:122], v[101:102]
	v_add_f64 v[91:92], v[91:92], v[103:104]
	ds_read_b128 v[85:88], v138 offset:1104
	s_waitcnt vmcnt(35) lgkmcnt(1)
	v_mul_f64 v[103:104], v[3:4], v[127:128]
	v_mul_f64 v[101:102], v[1:2], v[127:128]
	s_waitcnt vmcnt(33)
	v_fma_f64 v[105:106], v[81:82], v[107:108], -v[105:106]
	v_fma_f64 v[93:94], v[83:84], v[107:108], v[93:94]
	ds_read_b128 v[81:84], v138 offset:1120
	v_add_f64 v[89:90], v[89:90], v[109:110]
	v_add_f64 v[91:92], v[91:92], v[99:100]
	s_waitcnt vmcnt(29) lgkmcnt(1)
	v_mul_f64 v[107:108], v[87:88], v[111:112]
	s_waitcnt vmcnt(28)
	v_fma_f64 v[103:104], v[1:2], v[129:130], -v[103:104]
	v_mul_f64 v[99:100], v[85:86], v[111:112]
	v_fma_f64 v[101:102], v[3:4], v[129:130], v[101:102]
	ds_read_b128 v[1:4], v138 offset:1136
	v_add_f64 v[89:90], v[89:90], v[105:106]
	v_add_f64 v[91:92], v[91:92], v[93:94]
	s_waitcnt vmcnt(27) lgkmcnt(1)
	v_mul_f64 v[105:106], v[83:84], v[133:134]
	v_mul_f64 v[93:94], v[81:82], v[133:134]
	s_waitcnt vmcnt(25)
	v_fma_f64 v[107:108], v[85:86], v[115:116], -v[107:108]
	v_fma_f64 v[99:100], v[87:88], v[115:116], v[99:100]
	ds_read_b128 v[85:88], v138 offset:1152
	v_add_f64 v[89:90], v[89:90], v[103:104]
	v_add_f64 v[91:92], v[91:92], v[101:102]
	s_waitcnt vmcnt(21) lgkmcnt(1)
	v_mul_f64 v[103:104], v[3:4], v[117:118]
	s_waitcnt vmcnt(20)
	v_fma_f64 v[105:106], v[81:82], v[135:136], -v[105:106]
	v_mul_f64 v[101:102], v[1:2], v[117:118]
	v_fma_f64 v[93:94], v[83:84], v[135:136], v[93:94]
	ds_read_b128 v[81:84], v138 offset:1168
	v_add_f64 v[89:90], v[89:90], v[107:108]
	v_add_f64 v[91:92], v[91:92], v[99:100]
	s_waitcnt vmcnt(19) lgkmcnt(1)
	v_mul_f64 v[107:108], v[87:88], v[155:156]
	v_mul_f64 v[99:100], v[85:86], v[155:156]
	s_waitcnt vmcnt(17)
	v_fma_f64 v[103:104], v[1:2], v[123:124], -v[103:104]
	v_fma_f64 v[101:102], v[3:4], v[123:124], v[101:102]
	ds_read_b128 v[1:4], v138 offset:1184
	v_add_f64 v[89:90], v[89:90], v[105:106]
	v_add_f64 v[91:92], v[91:92], v[93:94]
	s_waitcnt vmcnt(13) lgkmcnt(1)
	v_mul_f64 v[105:106], v[83:84], v[125:126]
	s_waitcnt vmcnt(12)
	v_fma_f64 v[107:108], v[85:86], v[159:160], -v[107:108]
	v_mul_f64 v[93:94], v[81:82], v[125:126]
	v_fma_f64 v[99:100], v[87:88], v[159:160], v[99:100]
	ds_read_b128 v[85:88], v138 offset:1200
	v_add_f64 v[89:90], v[89:90], v[103:104]
	v_add_f64 v[91:92], v[91:92], v[101:102]
	s_waitcnt vmcnt(11) lgkmcnt(1)
	v_mul_f64 v[103:104], v[3:4], v[145:146]
	v_mul_f64 v[101:102], v[1:2], v[145:146]
	s_waitcnt vmcnt(9)
	v_fma_f64 v[81:82], v[81:82], v[131:132], -v[105:106]
	v_fma_f64 v[83:84], v[83:84], v[131:132], v[93:94]
	v_add_f64 v[89:90], v[89:90], v[107:108]
	v_add_f64 v[91:92], v[91:92], v[99:100]
	s_waitcnt vmcnt(7) lgkmcnt(0)
	v_mul_f64 v[99:100], v[87:88], v[151:152]
	s_waitcnt vmcnt(6)
	v_fma_f64 v[1:2], v[1:2], v[164:165], -v[103:104]
	v_mul_f64 v[93:94], v[85:86], v[151:152]
	v_fma_f64 v[3:4], v[3:4], v[164:165], v[101:102]
	v_add_f64 v[81:82], v[89:90], v[81:82]
	v_add_f64 v[83:84], v[91:92], v[83:84]
	s_waitcnt vmcnt(4)
	v_fma_f64 v[85:86], v[85:86], v[95:96], -v[99:100]
	v_add_f64 v[1:2], v[81:82], v[1:2]
	v_fma_f64 v[81:82], v[87:88], v[95:96], v[93:94]
	v_add_f64 v[3:4], v[83:84], v[3:4]
	v_add_f64 v[1:2], v[1:2], v[85:86]
	;; [unrolled: 1-line block ×3, first 2 shown]
	s_waitcnt vmcnt(2)
	v_add_f64 v[1:2], v[97:98], -v[1:2]
	s_waitcnt vmcnt(0)
	v_add_f64 v[3:4], v[147:148], -v[3:4]
	buffer_store_dword v2, off, s[0:3], 0 offset:36
	buffer_store_dword v1, off, s[0:3], 0 offset:32
	;; [unrolled: 1-line block ×4, first 2 shown]
	v_cmpx_ne_u32_e32 0, v0
	s_cbranch_execz .LBB101_241
; %bb.240:
	s_clause 0x3
	buffer_load_dword v0, off, s[0:3], 0 offset:16
	buffer_load_dword v1, off, s[0:3], 0 offset:20
	buffer_load_dword v2, off, s[0:3], 0 offset:24
	buffer_load_dword v3, off, s[0:3], 0 offset:28
	v_mov_b32_e32 v4, 0
	buffer_store_dword v4, off, s[0:3], 0 offset:16
	buffer_store_dword v4, off, s[0:3], 0 offset:20
	;; [unrolled: 1-line block ×4, first 2 shown]
	s_waitcnt vmcnt(0)
	ds_write_b128 v137, v[0:3]
.LBB101_241:
	s_or_b32 exec_lo, exec_lo, s4
	s_waitcnt lgkmcnt(0)
	s_waitcnt_vscnt null, 0x0
	s_barrier
	buffer_gl0_inv
	s_clause 0x37
	buffer_load_dword v85, off, s[0:3], 0 offset:40
	buffer_load_dword v86, off, s[0:3], 0 offset:44
	;; [unrolled: 1-line block ×56, first 2 shown]
	v_mov_b32_e32 v4, 0
	s_and_b32 vcc_lo, exec_lo, s50
	ds_read_b128 v[137:140], v4 offset:624
	s_clause 0x2
	buffer_load_dword v134, off, s[0:3], 0 offset:268
	buffer_load_dword v136, off, s[0:3], 0 offset:244
	;; [unrolled: 1-line block ×3, first 2 shown]
	ds_read_b128 v[141:144], v4 offset:640
	s_clause 0x4
	buffer_load_dword v152, off, s[0:3], 0 offset:284
	buffer_load_dword v153, off, s[0:3], 0 offset:296
	;; [unrolled: 1-line block ×5, first 2 shown]
	ds_read_b128 v[145:148], v4 offset:656
	s_clause 0x2
	buffer_load_dword v154, off, s[0:3], 0 offset:300
	buffer_load_dword v159, off, s[0:3], 0 offset:276
	;; [unrolled: 1-line block ×3, first 2 shown]
	s_waitcnt vmcnt(62) lgkmcnt(2)
	v_mul_f64 v[149:150], v[139:140], v[85:86]
	v_mul_f64 v[85:86], v[137:138], v[85:86]
	s_waitcnt lgkmcnt(1)
	v_mul_f64 v[156:157], v[143:144], v[81:82]
	s_waitcnt vmcnt(59) lgkmcnt(0)
	v_mul_f64 v[160:161], v[147:148], v[2:3]
	v_fma_f64 v[137:138], v[137:138], v[83:84], -v[149:150]
	v_mul_f64 v[149:150], v[141:142], v[81:82]
	v_fma_f64 v[85:86], v[139:140], v[83:84], v[85:86]
	s_waitcnt vmcnt(57)
	v_fma_f64 v[141:142], v[141:142], v[0:1], -v[156:157]
	ds_read_b128 v[81:84], v4 offset:672
	v_mul_f64 v[139:140], v[145:146], v[2:3]
	s_waitcnt vmcnt(51)
	v_fma_f64 v[145:146], v[145:146], v[101:102], -v[160:161]
	v_add_f64 v[137:138], v[137:138], 0
	v_fma_f64 v[143:144], v[143:144], v[0:1], v[149:150]
	v_add_f64 v[85:86], v[85:86], 0
	s_clause 0x4
	buffer_load_dword v150, off, s[0:3], 0 offset:316
	buffer_load_dword v162, off, s[0:3], 0 offset:328
	;; [unrolled: 1-line block ×5, first 2 shown]
	s_waitcnt lgkmcnt(0)
	v_mul_f64 v[165:166], v[81:82], v[89:90]
	v_mul_f64 v[89:90], v[83:84], v[89:90]
	ds_read_b128 v[0:3], v4 offset:688
	v_fma_f64 v[101:102], v[147:148], v[101:102], v[139:140]
	v_add_f64 v[141:142], v[137:138], v[141:142]
	v_add_f64 v[85:86], v[85:86], v[143:144]
	s_clause 0x2
	buffer_load_dword v163, off, s[0:3], 0 offset:332
	buffer_load_dword v144, off, s[0:3], 0 offset:308
	;; [unrolled: 1-line block ×3, first 2 shown]
	s_waitcnt vmcnt(58) lgkmcnt(0)
	v_mul_f64 v[147:148], v[0:1], v[93:94]
	v_mul_f64 v[93:94], v[2:3], v[93:94]
	s_waitcnt vmcnt(56)
	v_fma_f64 v[89:90], v[81:82], v[95:96], -v[89:90]
	ds_read_b128 v[137:140], v4 offset:704
	v_fma_f64 v[95:96], v[83:84], v[95:96], v[165:166]
	v_add_f64 v[141:142], v[141:142], v[145:146]
	v_add_f64 v[85:86], v[85:86], v[101:102]
	s_clause 0x4
	buffer_load_dword v102, off, s[0:3], 0 offset:348
	buffer_load_dword v145, off, s[0:3], 0 offset:360
	;; [unrolled: 1-line block ×5, first 2 shown]
	ds_read_b128 v[81:84], v4 offset:720
	s_waitcnt vmcnt(57) lgkmcnt(1)
	v_mul_f64 v[166:167], v[137:138], v[97:98]
	v_mul_f64 v[97:98], v[139:140], v[97:98]
	s_waitcnt vmcnt(56)
	v_fma_f64 v[93:94], v[0:1], v[87:88], -v[93:94]
	v_fma_f64 v[87:88], v[2:3], v[87:88], v[147:148]
	v_add_f64 v[89:90], v[141:142], v[89:90]
	v_add_f64 v[85:86], v[85:86], v[95:96]
	s_clause 0x2
	buffer_load_dword v146, off, s[0:3], 0 offset:364
	buffer_load_dword v96, off, s[0:3], 0 offset:340
	;; [unrolled: 1-line block ×3, first 2 shown]
	s_waitcnt vmcnt(58) lgkmcnt(0)
	v_mul_f64 v[141:142], v[81:82], v[103:104]
	v_mul_f64 v[103:104], v[83:84], v[103:104]
	s_waitcnt vmcnt(56)
	v_fma_f64 v[97:98], v[137:138], v[105:106], -v[97:98]
	ds_read_b128 v[0:3], v4 offset:736
	v_add_f64 v[89:90], v[89:90], v[93:94]
	v_fma_f64 v[93:94], v[139:140], v[105:106], v[166:167]
	v_add_f64 v[105:106], v[85:86], v[87:88]
	s_clause 0x4
	buffer_load_dword v138, off, s[0:3], 0 offset:380
	buffer_load_dword v139, off, s[0:3], 0 offset:392
	;; [unrolled: 1-line block ×5, first 2 shown]
	ds_read_b128 v[85:88], v4 offset:752
	s_waitcnt vmcnt(57) lgkmcnt(1)
	v_mul_f64 v[166:167], v[0:1], v[107:108]
	v_mul_f64 v[107:108], v[2:3], v[107:108]
	s_waitcnt vmcnt(56)
	v_fma_f64 v[103:104], v[81:82], v[91:92], -v[103:104]
	v_fma_f64 v[91:92], v[83:84], v[91:92], v[141:142]
	v_add_f64 v[89:90], v[89:90], v[97:98]
	s_clause 0x2
	buffer_load_dword v140, off, s[0:3], 0 offset:396
	buffer_load_dword v98, off, s[0:3], 0 offset:372
	;; [unrolled: 1-line block ×3, first 2 shown]
	v_add_f64 v[93:94], v[105:106], v[93:94]
	s_waitcnt vmcnt(58) lgkmcnt(0)
	v_mul_f64 v[105:106], v[85:86], v[111:112]
	v_mul_f64 v[111:112], v[87:88], v[111:112]
	ds_read_b128 v[81:84], v4 offset:768
	s_waitcnt vmcnt(56)
	v_fma_f64 v[107:108], v[0:1], v[113:114], -v[107:108]
	v_add_f64 v[89:90], v[89:90], v[103:104]
	v_fma_f64 v[103:104], v[2:3], v[113:114], v[166:167]
	v_add_f64 v[91:92], v[93:94], v[91:92]
	s_clause 0x4
	buffer_load_dword v94, off, s[0:3], 0 offset:412
	buffer_load_dword v113, off, s[0:3], 0 offset:424
	;; [unrolled: 1-line block ×5, first 2 shown]
	s_waitcnt vmcnt(57) lgkmcnt(0)
	v_mul_f64 v[166:167], v[81:82], v[115:116]
	v_mul_f64 v[115:116], v[83:84], v[115:116]
	s_waitcnt vmcnt(56)
	v_fma_f64 v[111:112], v[85:86], v[99:100], -v[111:112]
	ds_read_b128 v[0:3], v4 offset:784
	v_fma_f64 v[99:100], v[87:88], v[99:100], v[105:106]
	v_add_f64 v[89:90], v[89:90], v[107:108]
	v_add_f64 v[91:92], v[91:92], v[103:104]
	s_clause 0x2
	buffer_load_dword v114, off, s[0:3], 0 offset:428
	buffer_load_dword v104, off, s[0:3], 0 offset:404
	;; [unrolled: 1-line block ×3, first 2 shown]
	ds_read_b128 v[85:88], v4 offset:800
	s_waitcnt vmcnt(58) lgkmcnt(1)
	v_mul_f64 v[107:108], v[2:3], v[119:120]
	s_waitcnt vmcnt(56)
	v_fma_f64 v[115:116], v[81:82], v[121:122], -v[115:116]
	v_mul_f64 v[105:106], v[0:1], v[119:120]
	v_add_f64 v[89:90], v[89:90], v[111:112]
	v_fma_f64 v[111:112], v[83:84], v[121:122], v[166:167]
	v_add_f64 v[91:92], v[91:92], v[99:100]
	s_clause 0x4
	buffer_load_dword v100, off, s[0:3], 0 offset:444
	buffer_load_dword v119, off, s[0:3], 0 offset:456
	;; [unrolled: 1-line block ×5, first 2 shown]
	s_waitcnt vmcnt(57) lgkmcnt(0)
	v_mul_f64 v[166:167], v[85:86], v[123:124]
	v_mul_f64 v[122:123], v[87:88], v[123:124]
	s_waitcnt vmcnt(56)
	v_fma_f64 v[107:108], v[0:1], v[109:110], -v[107:108]
	ds_read_b128 v[81:84], v4 offset:816
	v_fma_f64 v[105:106], v[2:3], v[109:110], v[105:106]
	s_clause 0x2
	buffer_load_dword v120, off, s[0:3], 0 offset:460
	buffer_load_dword v110, off, s[0:3], 0 offset:436
	;; [unrolled: 1-line block ×3, first 2 shown]
	ds_read_b128 v[0:3], v4 offset:832
	v_add_f64 v[89:90], v[89:90], v[115:116]
	v_add_f64 v[91:92], v[91:92], v[111:112]
	s_waitcnt vmcnt(58) lgkmcnt(1)
	v_mul_f64 v[115:116], v[83:84], v[127:128]
	s_waitcnt vmcnt(56)
	v_fma_f64 v[123:124], v[85:86], v[129:130], -v[122:123]
	v_mul_f64 v[111:112], v[81:82], v[127:128]
	v_add_f64 v[89:90], v[89:90], v[107:108]
	v_fma_f64 v[107:108], v[87:88], v[129:130], v[166:167]
	v_add_f64 v[91:92], v[91:92], v[105:106]
	s_clause 0x4
	buffer_load_dword v106, off, s[0:3], 0 offset:476
	buffer_load_dword v127, off, s[0:3], 0 offset:488
	;; [unrolled: 1-line block ×5, first 2 shown]
	s_waitcnt vmcnt(57) lgkmcnt(0)
	v_mul_f64 v[166:167], v[0:1], v[131:132]
	v_mul_f64 v[130:131], v[2:3], v[131:132]
	s_waitcnt vmcnt(56)
	v_fma_f64 v[115:116], v[81:82], v[117:118], -v[115:116]
	ds_read_b128 v[85:88], v4 offset:848
	v_fma_f64 v[111:112], v[83:84], v[117:118], v[111:112]
	v_add_f64 v[89:90], v[89:90], v[123:124]
	v_add_f64 v[91:92], v[91:92], v[107:108]
	s_clause 0x2
	buffer_load_dword v128, off, s[0:3], 0 offset:492
	buffer_load_dword v108, off, s[0:3], 0 offset:468
	;; [unrolled: 1-line block ×3, first 2 shown]
	ds_read_b128 v[81:84], v4 offset:864
	s_waitcnt vmcnt(58) lgkmcnt(1)
	v_mul_f64 v[123:124], v[87:88], v[133:134]
	s_waitcnt vmcnt(56)
	v_fma_f64 v[131:132], v[0:1], v[135:136], -v[130:131]
	v_mul_f64 v[117:118], v[85:86], v[133:134]
	v_add_f64 v[89:90], v[89:90], v[115:116]
	v_fma_f64 v[115:116], v[2:3], v[135:136], v[166:167]
	v_add_f64 v[91:92], v[91:92], v[111:112]
	s_clause 0x4
	buffer_load_dword v112, off, s[0:3], 0 offset:508
	buffer_load_dword v133, off, s[0:3], 0 offset:520
	;; [unrolled: 1-line block ×5, first 2 shown]
	s_waitcnt vmcnt(57) lgkmcnt(0)
	v_mul_f64 v[166:167], v[81:82], v[151:152]
	v_mul_f64 v[151:152], v[83:84], v[151:152]
	s_waitcnt vmcnt(56)
	v_fma_f64 v[123:124], v[85:86], v[125:126], -v[123:124]
	ds_read_b128 v[0:3], v4 offset:880
	v_fma_f64 v[117:118], v[87:88], v[125:126], v[117:118]
	v_add_f64 v[89:90], v[89:90], v[131:132]
	v_add_f64 v[91:92], v[91:92], v[115:116]
	s_clause 0x2
	buffer_load_dword v134, off, s[0:3], 0 offset:524
	buffer_load_dword v116, off, s[0:3], 0 offset:500
	;; [unrolled: 1-line block ×3, first 2 shown]
	ds_read_b128 v[85:88], v4 offset:896
	s_waitcnt vmcnt(58) lgkmcnt(1)
	v_mul_f64 v[131:132], v[2:3], v[153:154]
	s_waitcnt vmcnt(56)
	v_fma_f64 v[151:152], v[81:82], v[158:159], -v[151:152]
	v_mul_f64 v[125:126], v[0:1], v[153:154]
	v_add_f64 v[89:90], v[89:90], v[123:124]
	v_fma_f64 v[123:124], v[83:84], v[158:159], v[166:167]
	v_add_f64 v[91:92], v[91:92], v[117:118]
	s_clause 0x4
	buffer_load_dword v118, off, s[0:3], 0 offset:540
	buffer_load_dword v153, off, s[0:3], 0 offset:552
	;; [unrolled: 1-line block ×5, first 2 shown]
	ds_read_b128 v[81:84], v4 offset:912
	s_waitcnt vmcnt(57) lgkmcnt(1)
	v_mul_f64 v[158:159], v[85:86], v[149:150]
	v_mul_f64 v[149:150], v[87:88], v[149:150]
	s_waitcnt vmcnt(56)
	v_fma_f64 v[131:132], v[0:1], v[155:156], -v[131:132]
	v_fma_f64 v[125:126], v[2:3], v[155:156], v[125:126]
	v_add_f64 v[89:90], v[89:90], v[151:152]
	v_add_f64 v[91:92], v[91:92], v[123:124]
	s_clause 0x2
	buffer_load_dword v154, off, s[0:3], 0 offset:556
	buffer_load_dword v124, off, s[0:3], 0 offset:532
	;; [unrolled: 1-line block ×3, first 2 shown]
	ds_read_b128 v[0:3], v4 offset:928
	s_waitcnt vmcnt(58) lgkmcnt(1)
	v_mul_f64 v[155:156], v[83:84], v[162:163]
	v_mul_f64 v[151:152], v[81:82], v[162:163]
	s_waitcnt vmcnt(56)
	v_fma_f64 v[149:150], v[85:86], v[143:144], -v[149:150]
	v_add_f64 v[89:90], v[89:90], v[131:132]
	v_fma_f64 v[131:132], v[87:88], v[143:144], v[158:159]
	v_add_f64 v[91:92], v[91:92], v[125:126]
	s_clause 0x4
	buffer_load_dword v126, off, s[0:3], 0 offset:572
	buffer_load_dword v143, off, s[0:3], 0 offset:584
	;; [unrolled: 1-line block ×5, first 2 shown]
	ds_read_b128 v[85:88], v4 offset:944
	s_waitcnt vmcnt(57) lgkmcnt(1)
	v_mul_f64 v[166:167], v[0:1], v[101:102]
	v_mul_f64 v[101:102], v[2:3], v[101:102]
	s_waitcnt vmcnt(56)
	v_fma_f64 v[155:156], v[81:82], v[164:165], -v[155:156]
	v_add_f64 v[89:90], v[89:90], v[149:150]
	v_fma_f64 v[149:150], v[83:84], v[164:165], v[151:152]
	v_add_f64 v[91:92], v[91:92], v[131:132]
	s_clause 0x2
	buffer_load_dword v144, off, s[0:3], 0 offset:588
	buffer_load_dword v132, off, s[0:3], 0 offset:564
	;; [unrolled: 1-line block ×3, first 2 shown]
	ds_read_b128 v[81:84], v4 offset:960
	s_waitcnt vmcnt(58) lgkmcnt(1)
	v_mul_f64 v[151:152], v[85:86], v[145:146]
	v_mul_f64 v[145:146], v[87:88], v[145:146]
	s_waitcnt vmcnt(56)
	v_fma_f64 v[101:102], v[0:1], v[95:96], -v[101:102]
	v_fma_f64 v[95:96], v[2:3], v[95:96], v[166:167]
	v_add_f64 v[89:90], v[89:90], v[155:156]
	v_add_f64 v[91:92], v[91:92], v[149:150]
	s_clause 0x4
	buffer_load_dword v150, off, s[0:3], 0 offset:604
	buffer_load_dword v155, off, s[0:3], 0 offset:616
	;; [unrolled: 1-line block ×5, first 2 shown]
	ds_read_b128 v[0:3], v4 offset:976
	s_waitcnt vmcnt(57) lgkmcnt(1)
	v_mul_f64 v[164:165], v[81:82], v[137:138]
	v_mul_f64 v[137:138], v[83:84], v[137:138]
	s_waitcnt vmcnt(56)
	v_fma_f64 v[145:146], v[85:86], v[160:161], -v[145:146]
	v_add_f64 v[89:90], v[89:90], v[101:102]
	v_fma_f64 v[101:102], v[87:88], v[160:161], v[151:152]
	v_add_f64 v[91:92], v[91:92], v[95:96]
	s_clause 0x2
	buffer_load_dword v156, off, s[0:3], 0 offset:620
	buffer_load_dword v96, off, s[0:3], 0 offset:596
	buffer_load_dword v95, off, s[0:3], 0 offset:592
	ds_read_b128 v[85:88], v4 offset:992
	buffer_load_dword v160, off, s[0:3], 0 offset:612
	s_waitcnt vmcnt(59) lgkmcnt(1)
	v_mul_f64 v[151:152], v[0:1], v[139:140]
	v_mul_f64 v[139:140], v[2:3], v[139:140]
	s_waitcnt vmcnt(57)
	v_fma_f64 v[137:138], v[81:82], v[97:98], -v[137:138]
	v_fma_f64 v[97:98], v[83:84], v[97:98], v[164:165]
	ds_read_b128 v[81:84], v4 offset:1008
	v_add_f64 v[89:90], v[89:90], v[145:146]
	v_add_f64 v[91:92], v[91:92], v[101:102]
	s_waitcnt vmcnt(53) lgkmcnt(1)
	v_mul_f64 v[101:102], v[85:86], v[93:94]
	v_mul_f64 v[93:94], v[87:88], v[93:94]
	s_waitcnt vmcnt(52)
	v_fma_f64 v[139:140], v[0:1], v[147:148], -v[139:140]
	v_add_f64 v[89:90], v[89:90], v[137:138]
	v_fma_f64 v[137:138], v[2:3], v[147:148], v[151:152]
	v_add_f64 v[91:92], v[91:92], v[97:98]
	ds_read_b128 v[0:3], v4 offset:1024
	s_waitcnt vmcnt(51) lgkmcnt(1)
	v_mul_f64 v[97:98], v[81:82], v[113:114]
	v_mul_f64 v[113:114], v[83:84], v[113:114]
	s_waitcnt vmcnt(49)
	v_fma_f64 v[93:94], v[85:86], v[103:104], -v[93:94]
	v_fma_f64 v[101:102], v[87:88], v[103:104], v[101:102]
	v_add_f64 v[89:90], v[89:90], v[139:140]
	v_add_f64 v[91:92], v[91:92], v[137:138]
	s_clause 0x3
	buffer_load_dword v103, off, s[0:3], 0 offset:16
	buffer_load_dword v104, off, s[0:3], 0 offset:20
	;; [unrolled: 1-line block ×4, first 2 shown]
	ds_read_b128 v[85:88], v4 offset:1040
	s_waitcnt vmcnt(49) lgkmcnt(1)
	v_mul_f64 v[139:140], v[0:1], v[99:100]
	v_mul_f64 v[99:100], v[2:3], v[99:100]
	s_waitcnt vmcnt(48)
	v_fma_f64 v[113:114], v[81:82], v[141:142], -v[113:114]
	v_add_f64 v[89:90], v[89:90], v[93:94]
	v_fma_f64 v[93:94], v[83:84], v[141:142], v[97:98]
	v_add_f64 v[91:92], v[91:92], v[101:102]
	ds_read_b128 v[81:84], v4 offset:1056
	s_waitcnt vmcnt(47) lgkmcnt(1)
	v_mul_f64 v[101:102], v[87:88], v[119:120]
	v_mul_f64 v[97:98], v[85:86], v[119:120]
	s_waitcnt vmcnt(45)
	v_fma_f64 v[99:100], v[0:1], v[109:110], -v[99:100]
	v_fma_f64 v[109:110], v[2:3], v[109:110], v[139:140]
	ds_read_b128 v[0:3], v4 offset:1072
	v_add_f64 v[89:90], v[89:90], v[113:114]
	v_add_f64 v[91:92], v[91:92], v[93:94]
	s_waitcnt vmcnt(41) lgkmcnt(1)
	v_mul_f64 v[93:94], v[81:82], v[105:106]
	v_mul_f64 v[105:106], v[83:84], v[105:106]
	s_waitcnt vmcnt(40)
	v_fma_f64 v[101:102], v[85:86], v[121:122], -v[101:102]
	v_fma_f64 v[97:98], v[87:88], v[121:122], v[97:98]
	ds_read_b128 v[85:88], v4 offset:1088
	v_add_f64 v[89:90], v[89:90], v[99:100]
	v_add_f64 v[91:92], v[91:92], v[109:110]
	;; [unrolled: 9-line block ×3, first 2 shown]
	s_waitcnt vmcnt(33) lgkmcnt(1)
	v_mul_f64 v[101:102], v[87:88], v[111:112]
	s_waitcnt vmcnt(32)
	v_fma_f64 v[107:108], v[0:1], v[129:130], -v[109:110]
	v_mul_f64 v[97:98], v[85:86], v[111:112]
	v_fma_f64 v[99:100], v[2:3], v[129:130], v[99:100]
	ds_read_b128 v[0:3], v4 offset:1120
	v_add_f64 v[89:90], v[89:90], v[105:106]
	v_add_f64 v[91:92], v[91:92], v[93:94]
	s_waitcnt vmcnt(31) lgkmcnt(1)
	v_mul_f64 v[105:106], v[83:84], v[133:134]
	v_mul_f64 v[93:94], v[81:82], v[133:134]
	s_waitcnt vmcnt(29)
	v_fma_f64 v[101:102], v[85:86], v[115:116], -v[101:102]
	v_fma_f64 v[97:98], v[87:88], v[115:116], v[97:98]
	ds_read_b128 v[85:88], v4 offset:1136
	v_add_f64 v[89:90], v[89:90], v[107:108]
	v_add_f64 v[91:92], v[91:92], v[99:100]
	s_waitcnt vmcnt(25) lgkmcnt(1)
	v_mul_f64 v[107:108], v[2:3], v[117:118]
	s_waitcnt vmcnt(24)
	v_fma_f64 v[105:106], v[81:82], v[135:136], -v[105:106]
	v_mul_f64 v[99:100], v[0:1], v[117:118]
	v_fma_f64 v[93:94], v[83:84], v[135:136], v[93:94]
	ds_read_b128 v[81:84], v4 offset:1152
	v_add_f64 v[89:90], v[89:90], v[101:102]
	v_add_f64 v[91:92], v[91:92], v[97:98]
	s_waitcnt vmcnt(23) lgkmcnt(1)
	v_mul_f64 v[101:102], v[87:88], v[153:154]
	v_mul_f64 v[97:98], v[85:86], v[153:154]
	s_waitcnt vmcnt(21)
	v_fma_f64 v[107:108], v[0:1], v[123:124], -v[107:108]
	v_fma_f64 v[99:100], v[2:3], v[123:124], v[99:100]
	ds_read_b128 v[0:3], v4 offset:1168
	v_add_f64 v[89:90], v[89:90], v[105:106]
	v_add_f64 v[91:92], v[91:92], v[93:94]
	;; [unrolled: 18-line block ×3, first 2 shown]
	s_waitcnt vmcnt(9) lgkmcnt(1)
	v_mul_f64 v[101:102], v[87:88], v[149:150]
	s_waitcnt vmcnt(8)
	v_fma_f64 v[0:1], v[0:1], v[162:163], -v[107:108]
	v_mul_f64 v[97:98], v[85:86], v[149:150]
	v_fma_f64 v[2:3], v[2:3], v[162:163], v[99:100]
	v_add_f64 v[89:90], v[89:90], v[105:106]
	v_add_f64 v[91:92], v[91:92], v[93:94]
	s_waitcnt vmcnt(7) lgkmcnt(0)
	v_mul_f64 v[99:100], v[83:84], v[155:156]
	v_mul_f64 v[93:94], v[81:82], v[155:156]
	s_waitcnt vmcnt(5)
	v_fma_f64 v[85:86], v[85:86], v[95:96], -v[101:102]
	v_fma_f64 v[87:88], v[87:88], v[95:96], v[97:98]
	v_add_f64 v[0:1], v[89:90], v[0:1]
	v_add_f64 v[2:3], v[91:92], v[2:3]
	s_waitcnt vmcnt(4)
	v_fma_f64 v[81:82], v[81:82], v[159:160], -v[99:100]
	v_fma_f64 v[83:84], v[83:84], v[159:160], v[93:94]
	v_add_f64 v[0:1], v[0:1], v[85:86]
	v_add_f64 v[2:3], v[2:3], v[87:88]
	;; [unrolled: 1-line block ×4, first 2 shown]
	s_waitcnt vmcnt(2)
	v_add_f64 v[0:1], v[103:104], -v[0:1]
	s_waitcnt vmcnt(0)
	v_add_f64 v[2:3], v[137:138], -v[2:3]
	buffer_store_dword v1, off, s[0:3], 0 offset:20
	buffer_store_dword v0, off, s[0:3], 0 offset:16
	;; [unrolled: 1-line block ×4, first 2 shown]
	s_cbranch_vccz .LBB101_316
; %bb.242:
	global_load_dword v0, v4, s[12:13] offset:144
	s_waitcnt vmcnt(0)
	v_add_nc_u32_e32 v0, -1, v0
	v_cmp_ne_u32_e32 vcc_lo, 36, v0
	s_cbranch_vccz .LBB101_244
; %bb.243:
	v_lshlrev_b32_e32 v0, 4, v0
	v_mov_b32_e32 v1, s9
	v_add_nc_u32_e32 v0, 16, v0
	s_clause 0x7
	buffer_load_dword v2, v0, s[0:3], 0 offen
	buffer_load_dword v3, v0, s[0:3], 0 offen offset:4
	buffer_load_dword v4, v0, s[0:3], 0 offen offset:8
	buffer_load_dword v81, v0, s[0:3], 0 offen offset:12
	buffer_load_dword v82, v1, s[0:3], 0 offen offset:12
	buffer_load_dword v83, v1, s[0:3], 0 offen offset:8
	buffer_load_dword v84, v1, s[0:3], 0 offen offset:4
	buffer_load_dword v85, v1, s[0:3], 0 offen
	s_waitcnt vmcnt(7)
	buffer_store_dword v2, v1, s[0:3], 0 offen
	s_waitcnt vmcnt(6)
	buffer_store_dword v3, v1, s[0:3], 0 offen offset:4
	s_waitcnt vmcnt(5)
	buffer_store_dword v4, v1, s[0:3], 0 offen offset:8
	;; [unrolled: 2-line block ×6, first 2 shown]
	s_waitcnt vmcnt(0)
	buffer_store_dword v85, v0, s[0:3], 0 offen
.LBB101_244:
	v_mov_b32_e32 v0, 0
	global_load_dword v1, v0, s[12:13] offset:140
	s_waitcnt vmcnt(0)
	v_add_nc_u32_e32 v1, -1, v1
	v_cmp_eq_u32_e32 vcc_lo, 35, v1
	s_cbranch_vccnz .LBB101_246
; %bb.245:
	v_lshlrev_b32_e32 v1, 4, v1
	v_mov_b32_e32 v2, s14
	v_add_nc_u32_e32 v1, 16, v1
	s_clause 0x7
	buffer_load_dword v3, v1, s[0:3], 0 offen
	buffer_load_dword v4, v1, s[0:3], 0 offen offset:4
	buffer_load_dword v81, v1, s[0:3], 0 offen offset:8
	;; [unrolled: 1-line block ×6, first 2 shown]
	buffer_load_dword v86, v2, s[0:3], 0 offen
	s_waitcnt vmcnt(7)
	buffer_store_dword v3, v2, s[0:3], 0 offen
	s_waitcnt vmcnt(6)
	buffer_store_dword v4, v2, s[0:3], 0 offen offset:4
	s_waitcnt vmcnt(5)
	buffer_store_dword v81, v2, s[0:3], 0 offen offset:8
	;; [unrolled: 2-line block ×6, first 2 shown]
	s_waitcnt vmcnt(0)
	buffer_store_dword v86, v1, s[0:3], 0 offen
.LBB101_246:
	global_load_dword v0, v0, s[12:13] offset:136
	s_waitcnt vmcnt(0)
	v_add_nc_u32_e32 v0, -1, v0
	v_cmp_eq_u32_e32 vcc_lo, 34, v0
	s_cbranch_vccnz .LBB101_248
; %bb.247:
	v_lshlrev_b32_e32 v0, 4, v0
	v_mov_b32_e32 v1, s15
	v_add_nc_u32_e32 v0, 16, v0
	s_clause 0x7
	buffer_load_dword v2, v0, s[0:3], 0 offen
	buffer_load_dword v3, v0, s[0:3], 0 offen offset:4
	buffer_load_dword v4, v0, s[0:3], 0 offen offset:8
	;; [unrolled: 1-line block ×6, first 2 shown]
	buffer_load_dword v85, v1, s[0:3], 0 offen
	s_waitcnt vmcnt(7)
	buffer_store_dword v2, v1, s[0:3], 0 offen
	s_waitcnt vmcnt(6)
	buffer_store_dword v3, v1, s[0:3], 0 offen offset:4
	s_waitcnt vmcnt(5)
	buffer_store_dword v4, v1, s[0:3], 0 offen offset:8
	;; [unrolled: 2-line block ×6, first 2 shown]
	s_waitcnt vmcnt(0)
	buffer_store_dword v85, v0, s[0:3], 0 offen
.LBB101_248:
	v_mov_b32_e32 v0, 0
	global_load_dword v1, v0, s[12:13] offset:132
	s_waitcnt vmcnt(0)
	v_add_nc_u32_e32 v1, -1, v1
	v_cmp_eq_u32_e32 vcc_lo, 33, v1
	s_cbranch_vccnz .LBB101_250
; %bb.249:
	v_lshlrev_b32_e32 v1, 4, v1
	v_mov_b32_e32 v2, s16
	v_add_nc_u32_e32 v1, 16, v1
	s_clause 0x7
	buffer_load_dword v3, v1, s[0:3], 0 offen
	buffer_load_dword v4, v1, s[0:3], 0 offen offset:4
	buffer_load_dword v81, v1, s[0:3], 0 offen offset:8
	;; [unrolled: 1-line block ×6, first 2 shown]
	buffer_load_dword v86, v2, s[0:3], 0 offen
	s_waitcnt vmcnt(7)
	buffer_store_dword v3, v2, s[0:3], 0 offen
	s_waitcnt vmcnt(6)
	buffer_store_dword v4, v2, s[0:3], 0 offen offset:4
	s_waitcnt vmcnt(5)
	buffer_store_dword v81, v2, s[0:3], 0 offen offset:8
	;; [unrolled: 2-line block ×6, first 2 shown]
	s_waitcnt vmcnt(0)
	buffer_store_dword v86, v1, s[0:3], 0 offen
.LBB101_250:
	global_load_dword v0, v0, s[12:13] offset:128
	s_waitcnt vmcnt(0)
	v_add_nc_u32_e32 v0, -1, v0
	v_cmp_eq_u32_e32 vcc_lo, 32, v0
	s_cbranch_vccnz .LBB101_252
; %bb.251:
	v_lshlrev_b32_e32 v0, 4, v0
	v_mov_b32_e32 v1, s17
	v_add_nc_u32_e32 v0, 16, v0
	s_clause 0x7
	buffer_load_dword v2, v0, s[0:3], 0 offen
	buffer_load_dword v3, v0, s[0:3], 0 offen offset:4
	buffer_load_dword v4, v0, s[0:3], 0 offen offset:8
	;; [unrolled: 1-line block ×6, first 2 shown]
	buffer_load_dword v85, v1, s[0:3], 0 offen
	s_waitcnt vmcnt(7)
	buffer_store_dword v2, v1, s[0:3], 0 offen
	s_waitcnt vmcnt(6)
	buffer_store_dword v3, v1, s[0:3], 0 offen offset:4
	s_waitcnt vmcnt(5)
	buffer_store_dword v4, v1, s[0:3], 0 offen offset:8
	;; [unrolled: 2-line block ×6, first 2 shown]
	s_waitcnt vmcnt(0)
	buffer_store_dword v85, v0, s[0:3], 0 offen
.LBB101_252:
	v_mov_b32_e32 v0, 0
	global_load_dword v1, v0, s[12:13] offset:124
	s_waitcnt vmcnt(0)
	v_add_nc_u32_e32 v1, -1, v1
	v_cmp_eq_u32_e32 vcc_lo, 31, v1
	s_cbranch_vccnz .LBB101_254
; %bb.253:
	v_lshlrev_b32_e32 v1, 4, v1
	v_mov_b32_e32 v2, s18
	v_add_nc_u32_e32 v1, 16, v1
	s_clause 0x7
	buffer_load_dword v3, v1, s[0:3], 0 offen
	buffer_load_dword v4, v1, s[0:3], 0 offen offset:4
	buffer_load_dword v81, v1, s[0:3], 0 offen offset:8
	;; [unrolled: 1-line block ×6, first 2 shown]
	buffer_load_dword v86, v2, s[0:3], 0 offen
	s_waitcnt vmcnt(7)
	buffer_store_dword v3, v2, s[0:3], 0 offen
	s_waitcnt vmcnt(6)
	buffer_store_dword v4, v2, s[0:3], 0 offen offset:4
	s_waitcnt vmcnt(5)
	buffer_store_dword v81, v2, s[0:3], 0 offen offset:8
	;; [unrolled: 2-line block ×6, first 2 shown]
	s_waitcnt vmcnt(0)
	buffer_store_dword v86, v1, s[0:3], 0 offen
.LBB101_254:
	global_load_dword v0, v0, s[12:13] offset:120
	s_waitcnt vmcnt(0)
	v_add_nc_u32_e32 v0, -1, v0
	v_cmp_eq_u32_e32 vcc_lo, 30, v0
	s_cbranch_vccnz .LBB101_256
; %bb.255:
	v_lshlrev_b32_e32 v0, 4, v0
	v_mov_b32_e32 v1, s19
	v_add_nc_u32_e32 v0, 16, v0
	s_clause 0x7
	buffer_load_dword v2, v0, s[0:3], 0 offen
	buffer_load_dword v3, v0, s[0:3], 0 offen offset:4
	buffer_load_dword v4, v0, s[0:3], 0 offen offset:8
	;; [unrolled: 1-line block ×6, first 2 shown]
	buffer_load_dword v85, v1, s[0:3], 0 offen
	s_waitcnt vmcnt(7)
	buffer_store_dword v2, v1, s[0:3], 0 offen
	s_waitcnt vmcnt(6)
	buffer_store_dword v3, v1, s[0:3], 0 offen offset:4
	s_waitcnt vmcnt(5)
	buffer_store_dword v4, v1, s[0:3], 0 offen offset:8
	;; [unrolled: 2-line block ×6, first 2 shown]
	s_waitcnt vmcnt(0)
	buffer_store_dword v85, v0, s[0:3], 0 offen
.LBB101_256:
	v_mov_b32_e32 v0, 0
	global_load_dword v1, v0, s[12:13] offset:116
	s_waitcnt vmcnt(0)
	v_add_nc_u32_e32 v1, -1, v1
	v_cmp_eq_u32_e32 vcc_lo, 29, v1
	s_cbranch_vccnz .LBB101_258
; %bb.257:
	v_lshlrev_b32_e32 v1, 4, v1
	v_mov_b32_e32 v2, s20
	v_add_nc_u32_e32 v1, 16, v1
	s_clause 0x7
	buffer_load_dword v3, v1, s[0:3], 0 offen
	buffer_load_dword v4, v1, s[0:3], 0 offen offset:4
	buffer_load_dword v81, v1, s[0:3], 0 offen offset:8
	;; [unrolled: 1-line block ×6, first 2 shown]
	buffer_load_dword v86, v2, s[0:3], 0 offen
	s_waitcnt vmcnt(7)
	buffer_store_dword v3, v2, s[0:3], 0 offen
	s_waitcnt vmcnt(6)
	buffer_store_dword v4, v2, s[0:3], 0 offen offset:4
	s_waitcnt vmcnt(5)
	buffer_store_dword v81, v2, s[0:3], 0 offen offset:8
	;; [unrolled: 2-line block ×6, first 2 shown]
	s_waitcnt vmcnt(0)
	buffer_store_dword v86, v1, s[0:3], 0 offen
.LBB101_258:
	global_load_dword v0, v0, s[12:13] offset:112
	s_waitcnt vmcnt(0)
	v_add_nc_u32_e32 v0, -1, v0
	v_cmp_eq_u32_e32 vcc_lo, 28, v0
	s_cbranch_vccnz .LBB101_260
; %bb.259:
	v_lshlrev_b32_e32 v0, 4, v0
	v_mov_b32_e32 v1, s21
	v_add_nc_u32_e32 v0, 16, v0
	s_clause 0x7
	buffer_load_dword v2, v0, s[0:3], 0 offen
	buffer_load_dword v3, v0, s[0:3], 0 offen offset:4
	buffer_load_dword v4, v0, s[0:3], 0 offen offset:8
	;; [unrolled: 1-line block ×6, first 2 shown]
	buffer_load_dword v85, v1, s[0:3], 0 offen
	s_waitcnt vmcnt(7)
	buffer_store_dword v2, v1, s[0:3], 0 offen
	s_waitcnt vmcnt(6)
	buffer_store_dword v3, v1, s[0:3], 0 offen offset:4
	s_waitcnt vmcnt(5)
	buffer_store_dword v4, v1, s[0:3], 0 offen offset:8
	;; [unrolled: 2-line block ×6, first 2 shown]
	s_waitcnt vmcnt(0)
	buffer_store_dword v85, v0, s[0:3], 0 offen
.LBB101_260:
	v_mov_b32_e32 v0, 0
	global_load_dword v1, v0, s[12:13] offset:108
	s_waitcnt vmcnt(0)
	v_add_nc_u32_e32 v1, -1, v1
	v_cmp_eq_u32_e32 vcc_lo, 27, v1
	s_cbranch_vccnz .LBB101_262
; %bb.261:
	v_lshlrev_b32_e32 v1, 4, v1
	v_mov_b32_e32 v2, s22
	v_add_nc_u32_e32 v1, 16, v1
	s_clause 0x7
	buffer_load_dword v3, v1, s[0:3], 0 offen
	buffer_load_dword v4, v1, s[0:3], 0 offen offset:4
	buffer_load_dword v81, v1, s[0:3], 0 offen offset:8
	;; [unrolled: 1-line block ×6, first 2 shown]
	buffer_load_dword v86, v2, s[0:3], 0 offen
	s_waitcnt vmcnt(7)
	buffer_store_dword v3, v2, s[0:3], 0 offen
	s_waitcnt vmcnt(6)
	buffer_store_dword v4, v2, s[0:3], 0 offen offset:4
	s_waitcnt vmcnt(5)
	buffer_store_dword v81, v2, s[0:3], 0 offen offset:8
	;; [unrolled: 2-line block ×6, first 2 shown]
	s_waitcnt vmcnt(0)
	buffer_store_dword v86, v1, s[0:3], 0 offen
.LBB101_262:
	global_load_dword v0, v0, s[12:13] offset:104
	s_waitcnt vmcnt(0)
	v_add_nc_u32_e32 v0, -1, v0
	v_cmp_eq_u32_e32 vcc_lo, 26, v0
	s_cbranch_vccnz .LBB101_264
; %bb.263:
	v_lshlrev_b32_e32 v0, 4, v0
	v_mov_b32_e32 v1, s23
	v_add_nc_u32_e32 v0, 16, v0
	s_clause 0x7
	buffer_load_dword v2, v0, s[0:3], 0 offen
	buffer_load_dword v3, v0, s[0:3], 0 offen offset:4
	buffer_load_dword v4, v0, s[0:3], 0 offen offset:8
	;; [unrolled: 1-line block ×6, first 2 shown]
	buffer_load_dword v85, v1, s[0:3], 0 offen
	s_waitcnt vmcnt(7)
	buffer_store_dword v2, v1, s[0:3], 0 offen
	s_waitcnt vmcnt(6)
	buffer_store_dword v3, v1, s[0:3], 0 offen offset:4
	s_waitcnt vmcnt(5)
	buffer_store_dword v4, v1, s[0:3], 0 offen offset:8
	;; [unrolled: 2-line block ×6, first 2 shown]
	s_waitcnt vmcnt(0)
	buffer_store_dword v85, v0, s[0:3], 0 offen
.LBB101_264:
	v_mov_b32_e32 v0, 0
	global_load_dword v1, v0, s[12:13] offset:100
	s_waitcnt vmcnt(0)
	v_add_nc_u32_e32 v1, -1, v1
	v_cmp_eq_u32_e32 vcc_lo, 25, v1
	s_cbranch_vccnz .LBB101_266
; %bb.265:
	v_lshlrev_b32_e32 v1, 4, v1
	v_mov_b32_e32 v2, s24
	v_add_nc_u32_e32 v1, 16, v1
	s_clause 0x7
	buffer_load_dword v3, v1, s[0:3], 0 offen
	buffer_load_dword v4, v1, s[0:3], 0 offen offset:4
	buffer_load_dword v81, v1, s[0:3], 0 offen offset:8
	;; [unrolled: 1-line block ×6, first 2 shown]
	buffer_load_dword v86, v2, s[0:3], 0 offen
	s_waitcnt vmcnt(7)
	buffer_store_dword v3, v2, s[0:3], 0 offen
	s_waitcnt vmcnt(6)
	buffer_store_dword v4, v2, s[0:3], 0 offen offset:4
	s_waitcnt vmcnt(5)
	buffer_store_dword v81, v2, s[0:3], 0 offen offset:8
	;; [unrolled: 2-line block ×6, first 2 shown]
	s_waitcnt vmcnt(0)
	buffer_store_dword v86, v1, s[0:3], 0 offen
.LBB101_266:
	global_load_dword v0, v0, s[12:13] offset:96
	s_waitcnt vmcnt(0)
	v_add_nc_u32_e32 v0, -1, v0
	v_cmp_eq_u32_e32 vcc_lo, 24, v0
	s_cbranch_vccnz .LBB101_268
; %bb.267:
	v_lshlrev_b32_e32 v0, 4, v0
	v_mov_b32_e32 v1, s25
	v_add_nc_u32_e32 v0, 16, v0
	s_clause 0x7
	buffer_load_dword v2, v0, s[0:3], 0 offen
	buffer_load_dword v3, v0, s[0:3], 0 offen offset:4
	buffer_load_dword v4, v0, s[0:3], 0 offen offset:8
	;; [unrolled: 1-line block ×6, first 2 shown]
	buffer_load_dword v85, v1, s[0:3], 0 offen
	s_waitcnt vmcnt(7)
	buffer_store_dword v2, v1, s[0:3], 0 offen
	s_waitcnt vmcnt(6)
	buffer_store_dword v3, v1, s[0:3], 0 offen offset:4
	s_waitcnt vmcnt(5)
	buffer_store_dword v4, v1, s[0:3], 0 offen offset:8
	;; [unrolled: 2-line block ×6, first 2 shown]
	s_waitcnt vmcnt(0)
	buffer_store_dword v85, v0, s[0:3], 0 offen
.LBB101_268:
	v_mov_b32_e32 v0, 0
	global_load_dword v1, v0, s[12:13] offset:92
	s_waitcnt vmcnt(0)
	v_add_nc_u32_e32 v1, -1, v1
	v_cmp_eq_u32_e32 vcc_lo, 23, v1
	s_cbranch_vccnz .LBB101_270
; %bb.269:
	v_lshlrev_b32_e32 v1, 4, v1
	v_mov_b32_e32 v2, s26
	v_add_nc_u32_e32 v1, 16, v1
	s_clause 0x7
	buffer_load_dword v3, v1, s[0:3], 0 offen
	buffer_load_dword v4, v1, s[0:3], 0 offen offset:4
	buffer_load_dword v81, v1, s[0:3], 0 offen offset:8
	;; [unrolled: 1-line block ×6, first 2 shown]
	buffer_load_dword v86, v2, s[0:3], 0 offen
	s_waitcnt vmcnt(7)
	buffer_store_dword v3, v2, s[0:3], 0 offen
	s_waitcnt vmcnt(6)
	buffer_store_dword v4, v2, s[0:3], 0 offen offset:4
	s_waitcnt vmcnt(5)
	buffer_store_dword v81, v2, s[0:3], 0 offen offset:8
	;; [unrolled: 2-line block ×6, first 2 shown]
	s_waitcnt vmcnt(0)
	buffer_store_dword v86, v1, s[0:3], 0 offen
.LBB101_270:
	global_load_dword v0, v0, s[12:13] offset:88
	s_waitcnt vmcnt(0)
	v_add_nc_u32_e32 v0, -1, v0
	v_cmp_eq_u32_e32 vcc_lo, 22, v0
	s_cbranch_vccnz .LBB101_272
; %bb.271:
	v_lshlrev_b32_e32 v0, 4, v0
	v_mov_b32_e32 v1, s27
	v_add_nc_u32_e32 v0, 16, v0
	s_clause 0x7
	buffer_load_dword v2, v0, s[0:3], 0 offen
	buffer_load_dword v3, v0, s[0:3], 0 offen offset:4
	buffer_load_dword v4, v0, s[0:3], 0 offen offset:8
	;; [unrolled: 1-line block ×6, first 2 shown]
	buffer_load_dword v85, v1, s[0:3], 0 offen
	s_waitcnt vmcnt(7)
	buffer_store_dword v2, v1, s[0:3], 0 offen
	s_waitcnt vmcnt(6)
	buffer_store_dword v3, v1, s[0:3], 0 offen offset:4
	s_waitcnt vmcnt(5)
	buffer_store_dword v4, v1, s[0:3], 0 offen offset:8
	;; [unrolled: 2-line block ×6, first 2 shown]
	s_waitcnt vmcnt(0)
	buffer_store_dword v85, v0, s[0:3], 0 offen
.LBB101_272:
	v_mov_b32_e32 v0, 0
	global_load_dword v1, v0, s[12:13] offset:84
	s_waitcnt vmcnt(0)
	v_add_nc_u32_e32 v1, -1, v1
	v_cmp_eq_u32_e32 vcc_lo, 21, v1
	s_cbranch_vccnz .LBB101_274
; %bb.273:
	v_lshlrev_b32_e32 v1, 4, v1
	v_mov_b32_e32 v2, s28
	v_add_nc_u32_e32 v1, 16, v1
	s_clause 0x7
	buffer_load_dword v3, v1, s[0:3], 0 offen
	buffer_load_dword v4, v1, s[0:3], 0 offen offset:4
	buffer_load_dword v81, v1, s[0:3], 0 offen offset:8
	;; [unrolled: 1-line block ×6, first 2 shown]
	buffer_load_dword v86, v2, s[0:3], 0 offen
	s_waitcnt vmcnt(7)
	buffer_store_dword v3, v2, s[0:3], 0 offen
	s_waitcnt vmcnt(6)
	buffer_store_dword v4, v2, s[0:3], 0 offen offset:4
	s_waitcnt vmcnt(5)
	buffer_store_dword v81, v2, s[0:3], 0 offen offset:8
	;; [unrolled: 2-line block ×6, first 2 shown]
	s_waitcnt vmcnt(0)
	buffer_store_dword v86, v1, s[0:3], 0 offen
.LBB101_274:
	global_load_dword v0, v0, s[12:13] offset:80
	s_waitcnt vmcnt(0)
	v_add_nc_u32_e32 v0, -1, v0
	v_cmp_eq_u32_e32 vcc_lo, 20, v0
	s_cbranch_vccnz .LBB101_276
; %bb.275:
	v_lshlrev_b32_e32 v0, 4, v0
	v_mov_b32_e32 v1, s29
	v_add_nc_u32_e32 v0, 16, v0
	s_clause 0x7
	buffer_load_dword v2, v0, s[0:3], 0 offen
	buffer_load_dword v3, v0, s[0:3], 0 offen offset:4
	buffer_load_dword v4, v0, s[0:3], 0 offen offset:8
	buffer_load_dword v81, v0, s[0:3], 0 offen offset:12
	buffer_load_dword v82, v1, s[0:3], 0 offen offset:12
	buffer_load_dword v83, v1, s[0:3], 0 offen offset:8
	buffer_load_dword v84, v1, s[0:3], 0 offen offset:4
	buffer_load_dword v85, v1, s[0:3], 0 offen
	s_waitcnt vmcnt(7)
	buffer_store_dword v2, v1, s[0:3], 0 offen
	s_waitcnt vmcnt(6)
	buffer_store_dword v3, v1, s[0:3], 0 offen offset:4
	s_waitcnt vmcnt(5)
	buffer_store_dword v4, v1, s[0:3], 0 offen offset:8
	;; [unrolled: 2-line block ×6, first 2 shown]
	s_waitcnt vmcnt(0)
	buffer_store_dword v85, v0, s[0:3], 0 offen
.LBB101_276:
	v_mov_b32_e32 v0, 0
	global_load_dword v1, v0, s[12:13] offset:76
	s_waitcnt vmcnt(0)
	v_add_nc_u32_e32 v1, -1, v1
	v_cmp_eq_u32_e32 vcc_lo, 19, v1
	s_cbranch_vccnz .LBB101_278
; %bb.277:
	v_lshlrev_b32_e32 v1, 4, v1
	v_mov_b32_e32 v2, s30
	v_add_nc_u32_e32 v1, 16, v1
	s_clause 0x7
	buffer_load_dword v3, v1, s[0:3], 0 offen
	buffer_load_dword v4, v1, s[0:3], 0 offen offset:4
	buffer_load_dword v81, v1, s[0:3], 0 offen offset:8
	;; [unrolled: 1-line block ×6, first 2 shown]
	buffer_load_dword v86, v2, s[0:3], 0 offen
	s_waitcnt vmcnt(7)
	buffer_store_dword v3, v2, s[0:3], 0 offen
	s_waitcnt vmcnt(6)
	buffer_store_dword v4, v2, s[0:3], 0 offen offset:4
	s_waitcnt vmcnt(5)
	buffer_store_dword v81, v2, s[0:3], 0 offen offset:8
	;; [unrolled: 2-line block ×6, first 2 shown]
	s_waitcnt vmcnt(0)
	buffer_store_dword v86, v1, s[0:3], 0 offen
.LBB101_278:
	global_load_dword v0, v0, s[12:13] offset:72
	s_waitcnt vmcnt(0)
	v_add_nc_u32_e32 v0, -1, v0
	v_cmp_eq_u32_e32 vcc_lo, 18, v0
	s_cbranch_vccnz .LBB101_280
; %bb.279:
	v_lshlrev_b32_e32 v0, 4, v0
	v_mov_b32_e32 v1, s31
	v_add_nc_u32_e32 v0, 16, v0
	s_clause 0x7
	buffer_load_dword v2, v0, s[0:3], 0 offen
	buffer_load_dword v3, v0, s[0:3], 0 offen offset:4
	buffer_load_dword v4, v0, s[0:3], 0 offen offset:8
	;; [unrolled: 1-line block ×6, first 2 shown]
	buffer_load_dword v85, v1, s[0:3], 0 offen
	s_waitcnt vmcnt(7)
	buffer_store_dword v2, v1, s[0:3], 0 offen
	s_waitcnt vmcnt(6)
	buffer_store_dword v3, v1, s[0:3], 0 offen offset:4
	s_waitcnt vmcnt(5)
	buffer_store_dword v4, v1, s[0:3], 0 offen offset:8
	;; [unrolled: 2-line block ×6, first 2 shown]
	s_waitcnt vmcnt(0)
	buffer_store_dword v85, v0, s[0:3], 0 offen
.LBB101_280:
	v_mov_b32_e32 v0, 0
	global_load_dword v1, v0, s[12:13] offset:68
	s_waitcnt vmcnt(0)
	v_add_nc_u32_e32 v1, -1, v1
	v_cmp_eq_u32_e32 vcc_lo, 17, v1
	s_cbranch_vccnz .LBB101_282
; %bb.281:
	v_lshlrev_b32_e32 v1, 4, v1
	v_mov_b32_e32 v2, s33
	v_add_nc_u32_e32 v1, 16, v1
	s_clause 0x7
	buffer_load_dword v3, v1, s[0:3], 0 offen
	buffer_load_dword v4, v1, s[0:3], 0 offen offset:4
	buffer_load_dword v81, v1, s[0:3], 0 offen offset:8
	;; [unrolled: 1-line block ×6, first 2 shown]
	buffer_load_dword v86, v2, s[0:3], 0 offen
	s_waitcnt vmcnt(7)
	buffer_store_dword v3, v2, s[0:3], 0 offen
	s_waitcnt vmcnt(6)
	buffer_store_dword v4, v2, s[0:3], 0 offen offset:4
	s_waitcnt vmcnt(5)
	buffer_store_dword v81, v2, s[0:3], 0 offen offset:8
	;; [unrolled: 2-line block ×6, first 2 shown]
	s_waitcnt vmcnt(0)
	buffer_store_dword v86, v1, s[0:3], 0 offen
.LBB101_282:
	global_load_dword v0, v0, s[12:13] offset:64
	s_waitcnt vmcnt(0)
	v_add_nc_u32_e32 v0, -1, v0
	v_cmp_eq_u32_e32 vcc_lo, 16, v0
	s_cbranch_vccnz .LBB101_284
; %bb.283:
	v_lshlrev_b32_e32 v0, 4, v0
	v_mov_b32_e32 v1, s34
	v_add_nc_u32_e32 v0, 16, v0
	s_clause 0x7
	buffer_load_dword v2, v0, s[0:3], 0 offen
	buffer_load_dword v3, v0, s[0:3], 0 offen offset:4
	buffer_load_dword v4, v0, s[0:3], 0 offen offset:8
	;; [unrolled: 1-line block ×6, first 2 shown]
	buffer_load_dword v85, v1, s[0:3], 0 offen
	s_waitcnt vmcnt(7)
	buffer_store_dword v2, v1, s[0:3], 0 offen
	s_waitcnt vmcnt(6)
	buffer_store_dword v3, v1, s[0:3], 0 offen offset:4
	s_waitcnt vmcnt(5)
	buffer_store_dword v4, v1, s[0:3], 0 offen offset:8
	;; [unrolled: 2-line block ×6, first 2 shown]
	s_waitcnt vmcnt(0)
	buffer_store_dword v85, v0, s[0:3], 0 offen
.LBB101_284:
	v_mov_b32_e32 v0, 0
	global_load_dword v1, v0, s[12:13] offset:60
	s_waitcnt vmcnt(0)
	v_add_nc_u32_e32 v1, -1, v1
	v_cmp_eq_u32_e32 vcc_lo, 15, v1
	s_cbranch_vccnz .LBB101_286
; %bb.285:
	v_lshlrev_b32_e32 v1, 4, v1
	v_mov_b32_e32 v2, s35
	v_add_nc_u32_e32 v1, 16, v1
	s_clause 0x7
	buffer_load_dword v3, v1, s[0:3], 0 offen
	buffer_load_dword v4, v1, s[0:3], 0 offen offset:4
	buffer_load_dword v81, v1, s[0:3], 0 offen offset:8
	;; [unrolled: 1-line block ×6, first 2 shown]
	buffer_load_dword v86, v2, s[0:3], 0 offen
	s_waitcnt vmcnt(7)
	buffer_store_dword v3, v2, s[0:3], 0 offen
	s_waitcnt vmcnt(6)
	buffer_store_dword v4, v2, s[0:3], 0 offen offset:4
	s_waitcnt vmcnt(5)
	buffer_store_dword v81, v2, s[0:3], 0 offen offset:8
	s_waitcnt vmcnt(4)
	buffer_store_dword v82, v2, s[0:3], 0 offen offset:12
	s_waitcnt vmcnt(3)
	buffer_store_dword v83, v1, s[0:3], 0 offen offset:12
	s_waitcnt vmcnt(2)
	buffer_store_dword v84, v1, s[0:3], 0 offen offset:8
	s_waitcnt vmcnt(1)
	buffer_store_dword v85, v1, s[0:3], 0 offen offset:4
	s_waitcnt vmcnt(0)
	buffer_store_dword v86, v1, s[0:3], 0 offen
.LBB101_286:
	global_load_dword v0, v0, s[12:13] offset:56
	s_waitcnt vmcnt(0)
	v_add_nc_u32_e32 v0, -1, v0
	v_cmp_eq_u32_e32 vcc_lo, 14, v0
	s_cbranch_vccnz .LBB101_288
; %bb.287:
	v_lshlrev_b32_e32 v0, 4, v0
	v_mov_b32_e32 v1, s36
	v_add_nc_u32_e32 v0, 16, v0
	s_clause 0x7
	buffer_load_dword v2, v0, s[0:3], 0 offen
	buffer_load_dword v3, v0, s[0:3], 0 offen offset:4
	buffer_load_dword v4, v0, s[0:3], 0 offen offset:8
	;; [unrolled: 1-line block ×6, first 2 shown]
	buffer_load_dword v85, v1, s[0:3], 0 offen
	s_waitcnt vmcnt(7)
	buffer_store_dword v2, v1, s[0:3], 0 offen
	s_waitcnt vmcnt(6)
	buffer_store_dword v3, v1, s[0:3], 0 offen offset:4
	s_waitcnt vmcnt(5)
	buffer_store_dword v4, v1, s[0:3], 0 offen offset:8
	;; [unrolled: 2-line block ×6, first 2 shown]
	s_waitcnt vmcnt(0)
	buffer_store_dword v85, v0, s[0:3], 0 offen
.LBB101_288:
	v_mov_b32_e32 v0, 0
	global_load_dword v1, v0, s[12:13] offset:52
	s_waitcnt vmcnt(0)
	v_add_nc_u32_e32 v1, -1, v1
	v_cmp_eq_u32_e32 vcc_lo, 13, v1
	s_cbranch_vccnz .LBB101_290
; %bb.289:
	v_lshlrev_b32_e32 v1, 4, v1
	v_mov_b32_e32 v2, s37
	v_add_nc_u32_e32 v1, 16, v1
	s_clause 0x7
	buffer_load_dword v3, v1, s[0:3], 0 offen
	buffer_load_dword v4, v1, s[0:3], 0 offen offset:4
	buffer_load_dword v81, v1, s[0:3], 0 offen offset:8
	;; [unrolled: 1-line block ×6, first 2 shown]
	buffer_load_dword v86, v2, s[0:3], 0 offen
	s_waitcnt vmcnt(7)
	buffer_store_dword v3, v2, s[0:3], 0 offen
	s_waitcnt vmcnt(6)
	buffer_store_dword v4, v2, s[0:3], 0 offen offset:4
	s_waitcnt vmcnt(5)
	buffer_store_dword v81, v2, s[0:3], 0 offen offset:8
	;; [unrolled: 2-line block ×6, first 2 shown]
	s_waitcnt vmcnt(0)
	buffer_store_dword v86, v1, s[0:3], 0 offen
.LBB101_290:
	global_load_dword v0, v0, s[12:13] offset:48
	s_waitcnt vmcnt(0)
	v_add_nc_u32_e32 v0, -1, v0
	v_cmp_eq_u32_e32 vcc_lo, 12, v0
	s_cbranch_vccnz .LBB101_292
; %bb.291:
	v_lshlrev_b32_e32 v0, 4, v0
	v_mov_b32_e32 v1, s38
	v_add_nc_u32_e32 v0, 16, v0
	s_clause 0x7
	buffer_load_dword v2, v0, s[0:3], 0 offen
	buffer_load_dword v3, v0, s[0:3], 0 offen offset:4
	buffer_load_dword v4, v0, s[0:3], 0 offen offset:8
	;; [unrolled: 1-line block ×6, first 2 shown]
	buffer_load_dword v85, v1, s[0:3], 0 offen
	s_waitcnt vmcnt(7)
	buffer_store_dword v2, v1, s[0:3], 0 offen
	s_waitcnt vmcnt(6)
	buffer_store_dword v3, v1, s[0:3], 0 offen offset:4
	s_waitcnt vmcnt(5)
	buffer_store_dword v4, v1, s[0:3], 0 offen offset:8
	;; [unrolled: 2-line block ×6, first 2 shown]
	s_waitcnt vmcnt(0)
	buffer_store_dword v85, v0, s[0:3], 0 offen
.LBB101_292:
	v_mov_b32_e32 v0, 0
	global_load_dword v1, v0, s[12:13] offset:44
	s_waitcnt vmcnt(0)
	v_add_nc_u32_e32 v1, -1, v1
	v_cmp_eq_u32_e32 vcc_lo, 11, v1
	s_cbranch_vccnz .LBB101_294
; %bb.293:
	v_lshlrev_b32_e32 v1, 4, v1
	v_mov_b32_e32 v2, s39
	v_add_nc_u32_e32 v1, 16, v1
	s_clause 0x7
	buffer_load_dword v3, v1, s[0:3], 0 offen
	buffer_load_dword v4, v1, s[0:3], 0 offen offset:4
	buffer_load_dword v81, v1, s[0:3], 0 offen offset:8
	;; [unrolled: 1-line block ×6, first 2 shown]
	buffer_load_dword v86, v2, s[0:3], 0 offen
	s_waitcnt vmcnt(7)
	buffer_store_dword v3, v2, s[0:3], 0 offen
	s_waitcnt vmcnt(6)
	buffer_store_dword v4, v2, s[0:3], 0 offen offset:4
	s_waitcnt vmcnt(5)
	buffer_store_dword v81, v2, s[0:3], 0 offen offset:8
	;; [unrolled: 2-line block ×6, first 2 shown]
	s_waitcnt vmcnt(0)
	buffer_store_dword v86, v1, s[0:3], 0 offen
.LBB101_294:
	global_load_dword v0, v0, s[12:13] offset:40
	s_waitcnt vmcnt(0)
	v_add_nc_u32_e32 v0, -1, v0
	v_cmp_eq_u32_e32 vcc_lo, 10, v0
	s_cbranch_vccnz .LBB101_296
; %bb.295:
	v_lshlrev_b32_e32 v0, 4, v0
	v_mov_b32_e32 v1, s40
	v_add_nc_u32_e32 v0, 16, v0
	s_clause 0x7
	buffer_load_dword v2, v0, s[0:3], 0 offen
	buffer_load_dword v3, v0, s[0:3], 0 offen offset:4
	buffer_load_dword v4, v0, s[0:3], 0 offen offset:8
	;; [unrolled: 1-line block ×6, first 2 shown]
	buffer_load_dword v85, v1, s[0:3], 0 offen
	s_waitcnt vmcnt(7)
	buffer_store_dword v2, v1, s[0:3], 0 offen
	s_waitcnt vmcnt(6)
	buffer_store_dword v3, v1, s[0:3], 0 offen offset:4
	s_waitcnt vmcnt(5)
	buffer_store_dword v4, v1, s[0:3], 0 offen offset:8
	;; [unrolled: 2-line block ×6, first 2 shown]
	s_waitcnt vmcnt(0)
	buffer_store_dword v85, v0, s[0:3], 0 offen
.LBB101_296:
	v_mov_b32_e32 v0, 0
	global_load_dword v1, v0, s[12:13] offset:36
	s_waitcnt vmcnt(0)
	v_add_nc_u32_e32 v1, -1, v1
	v_cmp_eq_u32_e32 vcc_lo, 9, v1
	s_cbranch_vccnz .LBB101_298
; %bb.297:
	v_lshlrev_b32_e32 v1, 4, v1
	v_mov_b32_e32 v2, s41
	v_add_nc_u32_e32 v1, 16, v1
	s_clause 0x7
	buffer_load_dword v3, v1, s[0:3], 0 offen
	buffer_load_dword v4, v1, s[0:3], 0 offen offset:4
	buffer_load_dword v81, v1, s[0:3], 0 offen offset:8
	;; [unrolled: 1-line block ×6, first 2 shown]
	buffer_load_dword v86, v2, s[0:3], 0 offen
	s_waitcnt vmcnt(7)
	buffer_store_dword v3, v2, s[0:3], 0 offen
	s_waitcnt vmcnt(6)
	buffer_store_dword v4, v2, s[0:3], 0 offen offset:4
	s_waitcnt vmcnt(5)
	buffer_store_dword v81, v2, s[0:3], 0 offen offset:8
	;; [unrolled: 2-line block ×6, first 2 shown]
	s_waitcnt vmcnt(0)
	buffer_store_dword v86, v1, s[0:3], 0 offen
.LBB101_298:
	global_load_dword v0, v0, s[12:13] offset:32
	s_waitcnt vmcnt(0)
	v_add_nc_u32_e32 v0, -1, v0
	v_cmp_eq_u32_e32 vcc_lo, 8, v0
	s_cbranch_vccnz .LBB101_300
; %bb.299:
	v_lshlrev_b32_e32 v0, 4, v0
	v_mov_b32_e32 v1, s42
	v_add_nc_u32_e32 v0, 16, v0
	s_clause 0x7
	buffer_load_dword v2, v0, s[0:3], 0 offen
	buffer_load_dword v3, v0, s[0:3], 0 offen offset:4
	buffer_load_dword v4, v0, s[0:3], 0 offen offset:8
	;; [unrolled: 1-line block ×6, first 2 shown]
	buffer_load_dword v85, v1, s[0:3], 0 offen
	s_waitcnt vmcnt(7)
	buffer_store_dword v2, v1, s[0:3], 0 offen
	s_waitcnt vmcnt(6)
	buffer_store_dword v3, v1, s[0:3], 0 offen offset:4
	s_waitcnt vmcnt(5)
	buffer_store_dword v4, v1, s[0:3], 0 offen offset:8
	;; [unrolled: 2-line block ×6, first 2 shown]
	s_waitcnt vmcnt(0)
	buffer_store_dword v85, v0, s[0:3], 0 offen
.LBB101_300:
	v_mov_b32_e32 v0, 0
	global_load_dword v1, v0, s[12:13] offset:28
	s_waitcnt vmcnt(0)
	v_add_nc_u32_e32 v1, -1, v1
	v_cmp_eq_u32_e32 vcc_lo, 7, v1
	s_cbranch_vccnz .LBB101_302
; %bb.301:
	v_lshlrev_b32_e32 v1, 4, v1
	v_mov_b32_e32 v2, s43
	v_add_nc_u32_e32 v1, 16, v1
	s_clause 0x7
	buffer_load_dword v3, v1, s[0:3], 0 offen
	buffer_load_dword v4, v1, s[0:3], 0 offen offset:4
	buffer_load_dword v81, v1, s[0:3], 0 offen offset:8
	;; [unrolled: 1-line block ×6, first 2 shown]
	buffer_load_dword v86, v2, s[0:3], 0 offen
	s_waitcnt vmcnt(7)
	buffer_store_dword v3, v2, s[0:3], 0 offen
	s_waitcnt vmcnt(6)
	buffer_store_dword v4, v2, s[0:3], 0 offen offset:4
	s_waitcnt vmcnt(5)
	buffer_store_dword v81, v2, s[0:3], 0 offen offset:8
	;; [unrolled: 2-line block ×6, first 2 shown]
	s_waitcnt vmcnt(0)
	buffer_store_dword v86, v1, s[0:3], 0 offen
.LBB101_302:
	global_load_dword v0, v0, s[12:13] offset:24
	s_waitcnt vmcnt(0)
	v_add_nc_u32_e32 v0, -1, v0
	v_cmp_eq_u32_e32 vcc_lo, 6, v0
	s_cbranch_vccnz .LBB101_304
; %bb.303:
	v_lshlrev_b32_e32 v0, 4, v0
	v_mov_b32_e32 v1, s44
	v_add_nc_u32_e32 v0, 16, v0
	s_clause 0x7
	buffer_load_dword v2, v0, s[0:3], 0 offen
	buffer_load_dword v3, v0, s[0:3], 0 offen offset:4
	buffer_load_dword v4, v0, s[0:3], 0 offen offset:8
	;; [unrolled: 1-line block ×6, first 2 shown]
	buffer_load_dword v85, v1, s[0:3], 0 offen
	s_waitcnt vmcnt(7)
	buffer_store_dword v2, v1, s[0:3], 0 offen
	s_waitcnt vmcnt(6)
	buffer_store_dword v3, v1, s[0:3], 0 offen offset:4
	s_waitcnt vmcnt(5)
	buffer_store_dword v4, v1, s[0:3], 0 offen offset:8
	;; [unrolled: 2-line block ×6, first 2 shown]
	s_waitcnt vmcnt(0)
	buffer_store_dword v85, v0, s[0:3], 0 offen
.LBB101_304:
	v_mov_b32_e32 v0, 0
	global_load_dword v1, v0, s[12:13] offset:20
	s_waitcnt vmcnt(0)
	v_add_nc_u32_e32 v1, -1, v1
	v_cmp_eq_u32_e32 vcc_lo, 5, v1
	s_cbranch_vccnz .LBB101_306
; %bb.305:
	v_lshlrev_b32_e32 v1, 4, v1
	v_mov_b32_e32 v2, s45
	v_add_nc_u32_e32 v1, 16, v1
	s_clause 0x7
	buffer_load_dword v3, v1, s[0:3], 0 offen
	buffer_load_dword v4, v1, s[0:3], 0 offen offset:4
	buffer_load_dword v81, v1, s[0:3], 0 offen offset:8
	;; [unrolled: 1-line block ×6, first 2 shown]
	buffer_load_dword v86, v2, s[0:3], 0 offen
	s_waitcnt vmcnt(7)
	buffer_store_dword v3, v2, s[0:3], 0 offen
	s_waitcnt vmcnt(6)
	buffer_store_dword v4, v2, s[0:3], 0 offen offset:4
	s_waitcnt vmcnt(5)
	buffer_store_dword v81, v2, s[0:3], 0 offen offset:8
	;; [unrolled: 2-line block ×6, first 2 shown]
	s_waitcnt vmcnt(0)
	buffer_store_dword v86, v1, s[0:3], 0 offen
.LBB101_306:
	global_load_dword v0, v0, s[12:13] offset:16
	s_waitcnt vmcnt(0)
	v_add_nc_u32_e32 v0, -1, v0
	v_cmp_eq_u32_e32 vcc_lo, 4, v0
	s_cbranch_vccnz .LBB101_308
; %bb.307:
	v_lshlrev_b32_e32 v0, 4, v0
	v_mov_b32_e32 v1, s46
	v_add_nc_u32_e32 v0, 16, v0
	s_clause 0x7
	buffer_load_dword v2, v0, s[0:3], 0 offen
	buffer_load_dword v3, v0, s[0:3], 0 offen offset:4
	buffer_load_dword v4, v0, s[0:3], 0 offen offset:8
	;; [unrolled: 1-line block ×6, first 2 shown]
	buffer_load_dword v85, v1, s[0:3], 0 offen
	s_waitcnt vmcnt(7)
	buffer_store_dword v2, v1, s[0:3], 0 offen
	s_waitcnt vmcnt(6)
	buffer_store_dword v3, v1, s[0:3], 0 offen offset:4
	s_waitcnt vmcnt(5)
	buffer_store_dword v4, v1, s[0:3], 0 offen offset:8
	;; [unrolled: 2-line block ×6, first 2 shown]
	s_waitcnt vmcnt(0)
	buffer_store_dword v85, v0, s[0:3], 0 offen
.LBB101_308:
	v_mov_b32_e32 v0, 0
	global_load_dword v1, v0, s[12:13] offset:12
	s_waitcnt vmcnt(0)
	v_add_nc_u32_e32 v1, -1, v1
	v_cmp_eq_u32_e32 vcc_lo, 3, v1
	s_cbranch_vccnz .LBB101_310
; %bb.309:
	v_lshlrev_b32_e32 v1, 4, v1
	v_mov_b32_e32 v2, s47
	v_add_nc_u32_e32 v1, 16, v1
	s_clause 0x7
	buffer_load_dword v3, v1, s[0:3], 0 offen
	buffer_load_dword v4, v1, s[0:3], 0 offen offset:4
	buffer_load_dword v81, v1, s[0:3], 0 offen offset:8
	buffer_load_dword v82, v1, s[0:3], 0 offen offset:12
	buffer_load_dword v83, v2, s[0:3], 0 offen offset:12
	buffer_load_dword v84, v2, s[0:3], 0 offen offset:8
	buffer_load_dword v85, v2, s[0:3], 0 offen offset:4
	buffer_load_dword v86, v2, s[0:3], 0 offen
	s_waitcnt vmcnt(7)
	buffer_store_dword v3, v2, s[0:3], 0 offen
	s_waitcnt vmcnt(6)
	buffer_store_dword v4, v2, s[0:3], 0 offen offset:4
	s_waitcnt vmcnt(5)
	buffer_store_dword v81, v2, s[0:3], 0 offen offset:8
	;; [unrolled: 2-line block ×6, first 2 shown]
	s_waitcnt vmcnt(0)
	buffer_store_dword v86, v1, s[0:3], 0 offen
.LBB101_310:
	global_load_dword v0, v0, s[12:13] offset:8
	s_waitcnt vmcnt(0)
	v_add_nc_u32_e32 v0, -1, v0
	v_cmp_eq_u32_e32 vcc_lo, 2, v0
	s_cbranch_vccnz .LBB101_312
; %bb.311:
	v_lshlrev_b32_e32 v0, 4, v0
	v_mov_b32_e32 v1, s48
	v_add_nc_u32_e32 v0, 16, v0
	s_clause 0x7
	buffer_load_dword v2, v0, s[0:3], 0 offen
	buffer_load_dword v3, v0, s[0:3], 0 offen offset:4
	buffer_load_dword v4, v0, s[0:3], 0 offen offset:8
	;; [unrolled: 1-line block ×6, first 2 shown]
	buffer_load_dword v85, v1, s[0:3], 0 offen
	s_waitcnt vmcnt(7)
	buffer_store_dword v2, v1, s[0:3], 0 offen
	s_waitcnt vmcnt(6)
	buffer_store_dword v3, v1, s[0:3], 0 offen offset:4
	s_waitcnt vmcnt(5)
	buffer_store_dword v4, v1, s[0:3], 0 offen offset:8
	;; [unrolled: 2-line block ×6, first 2 shown]
	s_waitcnt vmcnt(0)
	buffer_store_dword v85, v0, s[0:3], 0 offen
.LBB101_312:
	v_mov_b32_e32 v0, 0
	global_load_dword v1, v0, s[12:13] offset:4
	s_waitcnt vmcnt(0)
	v_add_nc_u32_e32 v1, -1, v1
	v_cmp_eq_u32_e32 vcc_lo, 1, v1
	s_cbranch_vccnz .LBB101_314
; %bb.313:
	v_lshlrev_b32_e32 v1, 4, v1
	v_mov_b32_e32 v2, s49
	v_add_nc_u32_e32 v1, 16, v1
	s_clause 0x7
	buffer_load_dword v3, v1, s[0:3], 0 offen
	buffer_load_dword v4, v1, s[0:3], 0 offen offset:4
	buffer_load_dword v81, v1, s[0:3], 0 offen offset:8
	buffer_load_dword v82, v1, s[0:3], 0 offen offset:12
	buffer_load_dword v83, v2, s[0:3], 0 offen offset:12
	buffer_load_dword v84, v2, s[0:3], 0 offen offset:8
	buffer_load_dword v85, v2, s[0:3], 0 offen offset:4
	buffer_load_dword v86, v2, s[0:3], 0 offen
	s_waitcnt vmcnt(7)
	buffer_store_dword v3, v2, s[0:3], 0 offen
	s_waitcnt vmcnt(6)
	buffer_store_dword v4, v2, s[0:3], 0 offen offset:4
	s_waitcnt vmcnt(5)
	buffer_store_dword v81, v2, s[0:3], 0 offen offset:8
	;; [unrolled: 2-line block ×6, first 2 shown]
	s_waitcnt vmcnt(0)
	buffer_store_dword v86, v1, s[0:3], 0 offen
.LBB101_314:
	global_load_dword v0, v0, s[12:13]
	s_waitcnt vmcnt(0)
	v_add_nc_u32_e32 v0, -1, v0
	v_cmp_eq_u32_e32 vcc_lo, 0, v0
	s_cbranch_vccnz .LBB101_316
; %bb.315:
	v_lshlrev_b32_e32 v0, 4, v0
	v_add_nc_u32_e32 v0, 16, v0
	s_clause 0x7
	buffer_load_dword v1, v0, s[0:3], 0 offen
	buffer_load_dword v2, v0, s[0:3], 0 offen offset:4
	buffer_load_dword v3, v0, s[0:3], 0 offen offset:8
	;; [unrolled: 1-line block ×3, first 2 shown]
	buffer_load_dword v81, off, s[0:3], 0 offset:28
	buffer_load_dword v82, off, s[0:3], 0 offset:24
	;; [unrolled: 1-line block ×4, first 2 shown]
	s_waitcnt vmcnt(7)
	buffer_store_dword v1, off, s[0:3], 0 offset:16
	s_waitcnt vmcnt(6)
	buffer_store_dword v2, off, s[0:3], 0 offset:20
	;; [unrolled: 2-line block ×4, first 2 shown]
	s_waitcnt vmcnt(3)
	buffer_store_dword v81, v0, s[0:3], 0 offen offset:12
	s_waitcnt vmcnt(2)
	buffer_store_dword v82, v0, s[0:3], 0 offen offset:8
	s_waitcnt vmcnt(1)
	buffer_store_dword v83, v0, s[0:3], 0 offen offset:4
	s_waitcnt vmcnt(0)
	buffer_store_dword v84, v0, s[0:3], 0 offen
.LBB101_316:
	s_clause 0x3
	buffer_load_dword v0, off, s[0:3], 0 offset:16
	buffer_load_dword v1, off, s[0:3], 0 offset:20
	;; [unrolled: 1-line block ×4, first 2 shown]
	v_mov_b32_e32 v4, s49
	s_waitcnt vmcnt(0)
	flat_store_dwordx4 v[5:6], v[0:3]
	s_clause 0x3
	buffer_load_dword v0, v4, s[0:3], 0 offen
	buffer_load_dword v1, v4, s[0:3], 0 offen offset:4
	buffer_load_dword v2, v4, s[0:3], 0 offen offset:8
	buffer_load_dword v3, v4, s[0:3], 0 offen offset:12
	v_mov_b32_e32 v4, s48
	s_waitcnt vmcnt(0)
	flat_store_dwordx4 v[59:60], v[0:3]
	s_clause 0x3
	buffer_load_dword v0, v4, s[0:3], 0 offen
	buffer_load_dword v1, v4, s[0:3], 0 offen offset:4
	buffer_load_dword v2, v4, s[0:3], 0 offen offset:8
	buffer_load_dword v3, v4, s[0:3], 0 offen offset:12
	;; [unrolled: 8-line block ×37, first 2 shown]
	s_waitcnt vmcnt(0)
	flat_store_dwordx4 v[79:80], v[0:3]
	s_endpgm
	.section	.rodata,"a",@progbits
	.p2align	6, 0x0
	.amdhsa_kernel _ZN9rocsolver6v33100L18getri_kernel_smallILi38E19rocblas_complex_numIdEPKPS3_EEvT1_iilPiilS8_bb
		.amdhsa_group_segment_fixed_size 1224
		.amdhsa_private_segment_fixed_size 640
		.amdhsa_kernarg_size 60
		.amdhsa_user_sgpr_count 6
		.amdhsa_user_sgpr_private_segment_buffer 1
		.amdhsa_user_sgpr_dispatch_ptr 0
		.amdhsa_user_sgpr_queue_ptr 0
		.amdhsa_user_sgpr_kernarg_segment_ptr 1
		.amdhsa_user_sgpr_dispatch_id 0
		.amdhsa_user_sgpr_flat_scratch_init 0
		.amdhsa_user_sgpr_private_segment_size 0
		.amdhsa_wavefront_size32 1
		.amdhsa_uses_dynamic_stack 0
		.amdhsa_system_sgpr_private_segment_wavefront_offset 1
		.amdhsa_system_sgpr_workgroup_id_x 1
		.amdhsa_system_sgpr_workgroup_id_y 0
		.amdhsa_system_sgpr_workgroup_id_z 0
		.amdhsa_system_sgpr_workgroup_info 0
		.amdhsa_system_vgpr_workitem_id 0
		.amdhsa_next_free_vgpr 171
		.amdhsa_next_free_sgpr 68
		.amdhsa_reserve_vcc 1
		.amdhsa_reserve_flat_scratch 0
		.amdhsa_float_round_mode_32 0
		.amdhsa_float_round_mode_16_64 0
		.amdhsa_float_denorm_mode_32 3
		.amdhsa_float_denorm_mode_16_64 3
		.amdhsa_dx10_clamp 1
		.amdhsa_ieee_mode 1
		.amdhsa_fp16_overflow 0
		.amdhsa_workgroup_processor_mode 1
		.amdhsa_memory_ordered 1
		.amdhsa_forward_progress 1
		.amdhsa_shared_vgpr_count 0
		.amdhsa_exception_fp_ieee_invalid_op 0
		.amdhsa_exception_fp_denorm_src 0
		.amdhsa_exception_fp_ieee_div_zero 0
		.amdhsa_exception_fp_ieee_overflow 0
		.amdhsa_exception_fp_ieee_underflow 0
		.amdhsa_exception_fp_ieee_inexact 0
		.amdhsa_exception_int_div_zero 0
	.end_amdhsa_kernel
	.section	.text._ZN9rocsolver6v33100L18getri_kernel_smallILi38E19rocblas_complex_numIdEPKPS3_EEvT1_iilPiilS8_bb,"axG",@progbits,_ZN9rocsolver6v33100L18getri_kernel_smallILi38E19rocblas_complex_numIdEPKPS3_EEvT1_iilPiilS8_bb,comdat
.Lfunc_end101:
	.size	_ZN9rocsolver6v33100L18getri_kernel_smallILi38E19rocblas_complex_numIdEPKPS3_EEvT1_iilPiilS8_bb, .Lfunc_end101-_ZN9rocsolver6v33100L18getri_kernel_smallILi38E19rocblas_complex_numIdEPKPS3_EEvT1_iilPiilS8_bb
                                        ; -- End function
	.set _ZN9rocsolver6v33100L18getri_kernel_smallILi38E19rocblas_complex_numIdEPKPS3_EEvT1_iilPiilS8_bb.num_vgpr, 171
	.set _ZN9rocsolver6v33100L18getri_kernel_smallILi38E19rocblas_complex_numIdEPKPS3_EEvT1_iilPiilS8_bb.num_agpr, 0
	.set _ZN9rocsolver6v33100L18getri_kernel_smallILi38E19rocblas_complex_numIdEPKPS3_EEvT1_iilPiilS8_bb.numbered_sgpr, 68
	.set _ZN9rocsolver6v33100L18getri_kernel_smallILi38E19rocblas_complex_numIdEPKPS3_EEvT1_iilPiilS8_bb.num_named_barrier, 0
	.set _ZN9rocsolver6v33100L18getri_kernel_smallILi38E19rocblas_complex_numIdEPKPS3_EEvT1_iilPiilS8_bb.private_seg_size, 640
	.set _ZN9rocsolver6v33100L18getri_kernel_smallILi38E19rocblas_complex_numIdEPKPS3_EEvT1_iilPiilS8_bb.uses_vcc, 1
	.set _ZN9rocsolver6v33100L18getri_kernel_smallILi38E19rocblas_complex_numIdEPKPS3_EEvT1_iilPiilS8_bb.uses_flat_scratch, 0
	.set _ZN9rocsolver6v33100L18getri_kernel_smallILi38E19rocblas_complex_numIdEPKPS3_EEvT1_iilPiilS8_bb.has_dyn_sized_stack, 0
	.set _ZN9rocsolver6v33100L18getri_kernel_smallILi38E19rocblas_complex_numIdEPKPS3_EEvT1_iilPiilS8_bb.has_recursion, 0
	.set _ZN9rocsolver6v33100L18getri_kernel_smallILi38E19rocblas_complex_numIdEPKPS3_EEvT1_iilPiilS8_bb.has_indirect_call, 0
	.section	.AMDGPU.csdata,"",@progbits
; Kernel info:
; codeLenInByte = 104508
; TotalNumSgprs: 70
; NumVgprs: 171
; ScratchSize: 640
; MemoryBound: 0
; FloatMode: 240
; IeeeMode: 1
; LDSByteSize: 1224 bytes/workgroup (compile time only)
; SGPRBlocks: 0
; VGPRBlocks: 21
; NumSGPRsForWavesPerEU: 70
; NumVGPRsForWavesPerEU: 171
; Occupancy: 5
; WaveLimiterHint : 1
; COMPUTE_PGM_RSRC2:SCRATCH_EN: 1
; COMPUTE_PGM_RSRC2:USER_SGPR: 6
; COMPUTE_PGM_RSRC2:TRAP_HANDLER: 0
; COMPUTE_PGM_RSRC2:TGID_X_EN: 1
; COMPUTE_PGM_RSRC2:TGID_Y_EN: 0
; COMPUTE_PGM_RSRC2:TGID_Z_EN: 0
; COMPUTE_PGM_RSRC2:TIDIG_COMP_CNT: 0
	.section	.text._ZN9rocsolver6v33100L18getri_kernel_smallILi39E19rocblas_complex_numIdEPKPS3_EEvT1_iilPiilS8_bb,"axG",@progbits,_ZN9rocsolver6v33100L18getri_kernel_smallILi39E19rocblas_complex_numIdEPKPS3_EEvT1_iilPiilS8_bb,comdat
	.globl	_ZN9rocsolver6v33100L18getri_kernel_smallILi39E19rocblas_complex_numIdEPKPS3_EEvT1_iilPiilS8_bb ; -- Begin function _ZN9rocsolver6v33100L18getri_kernel_smallILi39E19rocblas_complex_numIdEPKPS3_EEvT1_iilPiilS8_bb
	.p2align	8
	.type	_ZN9rocsolver6v33100L18getri_kernel_smallILi39E19rocblas_complex_numIdEPKPS3_EEvT1_iilPiilS8_bb,@function
_ZN9rocsolver6v33100L18getri_kernel_smallILi39E19rocblas_complex_numIdEPKPS3_EEvT1_iilPiilS8_bb: ; @_ZN9rocsolver6v33100L18getri_kernel_smallILi39E19rocblas_complex_numIdEPKPS3_EEvT1_iilPiilS8_bb
; %bb.0:
	s_add_u32 s0, s0, s7
	s_addc_u32 s1, s1, 0
	s_mov_b32 s7, exec_lo
	v_cmpx_gt_u32_e32 39, v0
	s_cbranch_execz .LBB102_170
; %bb.1:
	s_clause 0x2
	s_load_dword s16, s[4:5], 0x38
	s_load_dwordx2 s[12:13], s[4:5], 0x0
	s_load_dwordx4 s[8:11], s[4:5], 0x28
	s_waitcnt lgkmcnt(0)
	s_bitcmp1_b32 s16, 8
	s_cselect_b32 s51, -1, 0
	s_ashr_i32 s7, s6, 31
	s_lshl_b64 s[14:15], s[6:7], 3
	s_add_u32 s12, s12, s14
	s_addc_u32 s13, s13, s15
	s_load_dwordx2 s[14:15], s[12:13], 0x0
	s_bfe_u32 s12, s16, 0x10008
	s_cmp_eq_u32 s12, 0
                                        ; implicit-def: $sgpr12_sgpr13
	s_cbranch_scc1 .LBB102_3
; %bb.2:
	s_clause 0x1
	s_load_dword s12, s[4:5], 0x20
	s_load_dwordx2 s[16:17], s[4:5], 0x18
	s_mul_i32 s13, s8, s7
	s_mul_hi_u32 s18, s8, s6
	s_mul_i32 s9, s9, s6
	s_add_i32 s13, s18, s13
	s_mul_i32 s8, s8, s6
	s_add_i32 s9, s13, s9
	s_lshl_b64 s[8:9], s[8:9], 2
	s_waitcnt lgkmcnt(0)
	s_ashr_i32 s13, s12, 31
	s_add_u32 s16, s16, s8
	s_addc_u32 s17, s17, s9
	s_lshl_b64 s[8:9], s[12:13], 2
	s_add_u32 s12, s16, s8
	s_addc_u32 s13, s17, s9
.LBB102_3:
	s_clause 0x1
	s_load_dwordx2 s[8:9], s[4:5], 0x8
	s_load_dword s52, s[4:5], 0x38
	v_lshlrev_b32_e32 v89, 4, v0
	s_movk_i32 s16, 0xa0
	s_movk_i32 s17, 0xb0
	;; [unrolled: 1-line block ×17, first 2 shown]
	s_waitcnt lgkmcnt(0)
	s_ashr_i32 s5, s8, 31
	s_mov_b32 s4, s8
	v_add3_u32 v7, s9, s9, v0
	s_lshl_b64 s[4:5], s[4:5], 4
	s_movk_i32 s57, 0x1b0
	s_add_u32 s8, s14, s4
	s_addc_u32 s14, s15, s5
	v_add_co_u32 v5, s4, s8, v89
	v_add_co_ci_u32_e64 v6, null, s14, 0, s4
	s_mov_b32 s4, s9
	s_ashr_i32 s5, s9, 31
	v_ashrrev_i32_e32 v8, 31, v7
	flat_load_dwordx4 v[1:4], v[5:6]
	s_lshl_b64 s[4:5], s[4:5], 4
	s_movk_i32 s15, 0x90
	v_add_co_u32 v59, vcc_lo, v5, s4
	v_add_co_ci_u32_e64 v60, null, s5, v6, vcc_lo
	v_lshlrev_b64 v[8:9], 4, v[7:8]
	v_add_nc_u32_e32 v7, s9, v7
	s_movk_i32 s4, 0x50
	s_movk_i32 s58, 0x1c0
	;; [unrolled: 1-line block ×4, first 2 shown]
	v_add_co_u32 v57, vcc_lo, s8, v8
	v_add_co_ci_u32_e64 v58, null, s14, v9, vcc_lo
	v_ashrrev_i32_e32 v8, 31, v7
	s_movk_i32 s61, 0x1f0
	s_movk_i32 s62, 0x200
	;; [unrolled: 1-line block ×4, first 2 shown]
	v_lshlrev_b64 v[8:9], 4, v[7:8]
	v_add_nc_u32_e32 v7, s9, v7
	s_movk_i32 s65, 0x230
	s_movk_i32 s66, 0x240
	;; [unrolled: 1-line block ×4, first 2 shown]
	v_add_co_u32 v53, vcc_lo, s8, v8
	v_add_co_ci_u32_e64 v54, null, s14, v9, vcc_lo
	v_ashrrev_i32_e32 v8, 31, v7
	s_add_i32 s46, s4, 16
	s_add_i32 s42, s15, 16
	s_add_i32 s41, s16, 16
	s_add_i32 s40, s17, 16
	v_lshlrev_b64 v[8:9], 4, v[7:8]
	v_add_nc_u32_e32 v7, s9, v7
	s_add_i32 s39, s18, 16
	s_add_i32 s38, s19, 16
	s_add_i32 s37, s20, 16
	s_add_i32 s36, s21, 16
	v_add_co_u32 v51, vcc_lo, s8, v8
	v_add_co_ci_u32_e64 v52, null, s14, v9, vcc_lo
	v_ashrrev_i32_e32 v8, 31, v7
	s_add_i32 s35, s22, 16
	s_add_i32 s34, s23, 16
	s_add_i32 s33, s24, 16
	s_add_i32 s31, s25, 16
	v_lshlrev_b64 v[8:9], 4, v[7:8]
	v_add_nc_u32_e32 v7, s9, v7
	s_add_i32 s30, s26, 16
	s_add_i32 s29, s27, 16
	s_add_i32 s28, s28, 16
	s_add_i32 s27, s53, 16
	;; [unrolled: 13-line block ×3, first 2 shown]
	v_add_co_u32 v47, vcc_lo, s8, v8
	v_add_co_ci_u32_e64 v48, null, s14, v9, vcc_lo
	v_ashrrev_i32_e32 v8, 31, v7
	s_add_i32 s18, s62, 16
	s_add_i32 s17, s63, 16
	;; [unrolled: 1-line block ×4, first 2 shown]
	v_lshlrev_b64 v[8:9], 4, v[7:8]
	v_add_nc_u32_e32 v7, s9, v7
	s_mov_b32 s5, -1
	s_mov_b32 s50, 32
	s_mov_b32 s49, 48
	;; [unrolled: 1-line block ×3, first 2 shown]
	v_add_co_u32 v45, vcc_lo, s8, v8
	v_add_co_ci_u32_e64 v46, null, s14, v9, vcc_lo
	v_ashrrev_i32_e32 v8, 31, v7
	s_movk_i32 s47, 0x50
	s_waitcnt vmcnt(0) lgkmcnt(0)
	buffer_store_dword v4, off, s[0:3], 0 offset:28
	buffer_store_dword v3, off, s[0:3], 0 offset:24
	buffer_store_dword v2, off, s[0:3], 0 offset:20
	buffer_store_dword v1, off, s[0:3], 0 offset:16
	flat_load_dwordx4 v[1:4], v[59:60]
	v_lshlrev_b64 v[8:9], 4, v[7:8]
	v_add_nc_u32_e32 v7, s9, v7
	s_waitcnt vmcnt(0) lgkmcnt(0)
	buffer_store_dword v4, off, s[0:3], 0 offset:44
	buffer_store_dword v3, off, s[0:3], 0 offset:40
	buffer_store_dword v2, off, s[0:3], 0 offset:36
	buffer_store_dword v1, off, s[0:3], 0 offset:32
	flat_load_dwordx4 v[1:4], v[57:58]
	v_add_co_u32 v43, vcc_lo, s8, v8
	v_add_co_ci_u32_e64 v44, null, s14, v9, vcc_lo
	v_ashrrev_i32_e32 v8, 31, v7
	s_waitcnt vmcnt(0) lgkmcnt(0)
	buffer_store_dword v4, off, s[0:3], 0 offset:60
	buffer_store_dword v3, off, s[0:3], 0 offset:56
	buffer_store_dword v2, off, s[0:3], 0 offset:52
	buffer_store_dword v1, off, s[0:3], 0 offset:48
	flat_load_dwordx4 v[1:4], v[53:54]
	v_lshlrev_b64 v[8:9], 4, v[7:8]
	v_add_nc_u32_e32 v7, s9, v7
	s_waitcnt vmcnt(0) lgkmcnt(0)
	buffer_store_dword v4, off, s[0:3], 0 offset:76
	buffer_store_dword v3, off, s[0:3], 0 offset:72
	buffer_store_dword v2, off, s[0:3], 0 offset:68
	buffer_store_dword v1, off, s[0:3], 0 offset:64
	flat_load_dwordx4 v[1:4], v[51:52]
	v_add_co_u32 v41, vcc_lo, s8, v8
	v_add_co_ci_u32_e64 v42, null, s14, v9, vcc_lo
	v_ashrrev_i32_e32 v8, 31, v7
	;; [unrolled: 17-line block ×6, first 2 shown]
	s_waitcnt vmcnt(0) lgkmcnt(0)
	buffer_store_dword v4, off, s[0:3], 0 offset:220
	buffer_store_dword v3, off, s[0:3], 0 offset:216
	;; [unrolled: 1-line block ×4, first 2 shown]
	flat_load_dwordx4 v[1:4], v[31:32]
	v_lshlrev_b64 v[8:9], 4, v[7:8]
	v_add_nc_u32_e32 v7, s9, v7
	s_waitcnt vmcnt(0) lgkmcnt(0)
	buffer_store_dword v4, off, s[0:3], 0 offset:236
	buffer_store_dword v3, off, s[0:3], 0 offset:232
	;; [unrolled: 1-line block ×4, first 2 shown]
	v_add_co_u32 v29, vcc_lo, s8, v8
	v_add_co_ci_u32_e64 v30, null, s14, v9, vcc_lo
	v_ashrrev_i32_e32 v8, 31, v7
	flat_load_dwordx4 v[1:4], v[29:30]
	s_waitcnt vmcnt(0) lgkmcnt(0)
	buffer_store_dword v4, off, s[0:3], 0 offset:252
	buffer_store_dword v3, off, s[0:3], 0 offset:248
	buffer_store_dword v2, off, s[0:3], 0 offset:244
	buffer_store_dword v1, off, s[0:3], 0 offset:240
	v_lshlrev_b64 v[8:9], 4, v[7:8]
	v_add_nc_u32_e32 v7, s9, v7
	v_add_co_u32 v27, vcc_lo, s8, v8
	v_add_co_ci_u32_e64 v28, null, s14, v9, vcc_lo
	v_ashrrev_i32_e32 v8, 31, v7
	flat_load_dwordx4 v[1:4], v[27:28]
	s_waitcnt vmcnt(0) lgkmcnt(0)
	buffer_store_dword v4, off, s[0:3], 0 offset:268
	buffer_store_dword v3, off, s[0:3], 0 offset:264
	buffer_store_dword v2, off, s[0:3], 0 offset:260
	buffer_store_dword v1, off, s[0:3], 0 offset:256
	v_lshlrev_b64 v[8:9], 4, v[7:8]
	v_add_nc_u32_e32 v7, s9, v7
	;; [unrolled: 11-line block ×9, first 2 shown]
	v_add_co_u32 v11, vcc_lo, s8, v8
	v_add_co_ci_u32_e64 v12, null, s14, v9, vcc_lo
	v_ashrrev_i32_e32 v8, 31, v7
	v_add_nc_u32_e32 v35, s9, v7
	flat_load_dwordx4 v[1:4], v[11:12]
	s_waitcnt vmcnt(0) lgkmcnt(0)
	buffer_store_dword v4, off, s[0:3], 0 offset:396
	buffer_store_dword v3, off, s[0:3], 0 offset:392
	buffer_store_dword v2, off, s[0:3], 0 offset:388
	buffer_store_dword v1, off, s[0:3], 0 offset:384
	v_lshlrev_b64 v[9:10], 4, v[7:8]
	v_ashrrev_i32_e32 v36, 31, v35
	v_add_nc_u32_e32 v55, s9, v35
	v_add_co_u32 v9, vcc_lo, s8, v9
	v_add_co_ci_u32_e64 v10, null, s14, v10, vcc_lo
	v_lshlrev_b64 v[7:8], 4, v[35:36]
	v_ashrrev_i32_e32 v56, 31, v55
	v_add_nc_u32_e32 v61, s9, v55
	flat_load_dwordx4 v[1:4], v[9:10]
	s_waitcnt vmcnt(0) lgkmcnt(0)
	buffer_store_dword v4, off, s[0:3], 0 offset:412
	buffer_store_dword v3, off, s[0:3], 0 offset:408
	buffer_store_dword v2, off, s[0:3], 0 offset:404
	buffer_store_dword v1, off, s[0:3], 0 offset:400
	v_add_co_u32 v7, vcc_lo, s8, v7
	v_add_co_ci_u32_e64 v8, null, s14, v8, vcc_lo
	v_lshlrev_b64 v[35:36], 4, v[55:56]
	v_ashrrev_i32_e32 v62, 31, v61
	v_add_nc_u32_e32 v63, s9, v61
	flat_load_dwordx4 v[1:4], v[7:8]
	s_waitcnt vmcnt(0) lgkmcnt(0)
	buffer_store_dword v4, off, s[0:3], 0 offset:428
	buffer_store_dword v3, off, s[0:3], 0 offset:424
	buffer_store_dword v2, off, s[0:3], 0 offset:420
	buffer_store_dword v1, off, s[0:3], 0 offset:416
	;; [unrolled: 11-line block ×11, first 2 shown]
	v_add_co_u32 v75, vcc_lo, s8, v75
	v_add_co_ci_u32_e64 v76, null, s14, v76, vcc_lo
	v_lshlrev_b64 v[77:78], 4, v[79:80]
	v_ashrrev_i32_e32 v82, 31, v81
	flat_load_dwordx4 v[1:4], v[75:76]
	s_waitcnt vmcnt(0) lgkmcnt(0)
	buffer_store_dword v4, off, s[0:3], 0 offset:588
	buffer_store_dword v3, off, s[0:3], 0 offset:584
	;; [unrolled: 1-line block ×4, first 2 shown]
	v_add_co_u32 v77, vcc_lo, s8, v77
	v_add_co_ci_u32_e64 v78, null, s14, v78, vcc_lo
	v_lshlrev_b64 v[79:80], 4, v[81:82]
	v_add_nc_u32_e32 v81, s9, v81
	s_movk_i32 s9, 0x70
	flat_load_dwordx4 v[1:4], v[77:78]
	s_add_i32 s44, s9, 16
	s_add_i32 s9, s67, 16
	v_add_co_u32 v79, vcc_lo, s8, v79
	v_add_co_ci_u32_e64 v80, null, s14, v80, vcc_lo
	v_ashrrev_i32_e32 v82, 31, v81
	s_waitcnt vmcnt(0) lgkmcnt(0)
	buffer_store_dword v4, off, s[0:3], 0 offset:604
	buffer_store_dword v3, off, s[0:3], 0 offset:600
	;; [unrolled: 1-line block ×4, first 2 shown]
	flat_load_dwordx4 v[1:4], v[79:80]
	v_lshlrev_b64 v[81:82], 4, v[81:82]
	s_waitcnt vmcnt(0) lgkmcnt(0)
	buffer_store_dword v4, off, s[0:3], 0 offset:620
	buffer_store_dword v3, off, s[0:3], 0 offset:616
	;; [unrolled: 1-line block ×4, first 2 shown]
	v_add_co_u32 v81, vcc_lo, s8, v81
	v_add_co_ci_u32_e64 v82, null, s14, v82, vcc_lo
	s_movk_i32 s8, 0x60
	s_movk_i32 s14, 0x80
	s_add_i32 s45, s8, 16
	flat_load_dwordx4 v[1:4], v[81:82]
	s_add_i32 s43, s14, 16
	s_add_i32 s14, s66, 16
	s_add_i32 s8, s68, 16
	s_bitcmp0_b32 s52, 0
	s_waitcnt vmcnt(0) lgkmcnt(0)
	buffer_store_dword v4, off, s[0:3], 0 offset:636
	buffer_store_dword v3, off, s[0:3], 0 offset:632
	;; [unrolled: 1-line block ×4, first 2 shown]
	s_cbranch_scc1 .LBB102_168
; %bb.4:
	v_cmp_eq_u32_e64 s4, 0, v0
	s_and_saveexec_b32 s5, s4
; %bb.5:
	v_mov_b32_e32 v1, 0
	ds_write_b32 v1, v1 offset:1248
; %bb.6:
	s_or_b32 exec_lo, exec_lo, s5
	v_lshl_add_u32 v90, v0, 4, 16
	s_waitcnt lgkmcnt(0)
	s_waitcnt_vscnt null, 0x0
	s_barrier
	buffer_gl0_inv
	s_clause 0x3
	buffer_load_dword v1, v90, s[0:3], 0 offen
	buffer_load_dword v2, v90, s[0:3], 0 offen offset:4
	buffer_load_dword v3, v90, s[0:3], 0 offen offset:8
	;; [unrolled: 1-line block ×3, first 2 shown]
	s_waitcnt vmcnt(2)
	v_cmp_eq_f64_e32 vcc_lo, 0, v[1:2]
	s_waitcnt vmcnt(0)
	v_cmp_eq_f64_e64 s5, 0, v[3:4]
	s_and_b32 s5, vcc_lo, s5
	s_and_saveexec_b32 s52, s5
	s_cbranch_execz .LBB102_10
; %bb.7:
	v_mov_b32_e32 v1, 0
	s_mov_b32 s53, 0
	ds_read_b32 v2, v1 offset:1248
	s_waitcnt lgkmcnt(0)
	v_readfirstlane_b32 s5, v2
	v_add_nc_u32_e32 v2, 1, v0
	s_cmp_eq_u32 s5, 0
	v_cmp_gt_i32_e32 vcc_lo, s5, v2
	s_cselect_b32 s54, -1, 0
	s_or_b32 s54, s54, vcc_lo
	s_and_b32 exec_lo, exec_lo, s54
	s_cbranch_execz .LBB102_10
; %bb.8:
	v_mov_b32_e32 v3, s5
.LBB102_9:                              ; =>This Inner Loop Header: Depth=1
	ds_cmpst_rtn_b32 v3, v1, v3, v2 offset:1248
	s_waitcnt lgkmcnt(0)
	v_cmp_ne_u32_e32 vcc_lo, 0, v3
	v_cmp_le_i32_e64 s5, v3, v2
	s_and_b32 s5, vcc_lo, s5
	s_and_b32 s5, exec_lo, s5
	s_or_b32 s53, s5, s53
	s_andn2_b32 exec_lo, exec_lo, s53
	s_cbranch_execnz .LBB102_9
.LBB102_10:
	s_or_b32 exec_lo, exec_lo, s52
	v_mov_b32_e32 v1, 0
	s_barrier
	buffer_gl0_inv
	ds_read_b32 v2, v1 offset:1248
	s_and_saveexec_b32 s5, s4
	s_cbranch_execz .LBB102_12
; %bb.11:
	s_lshl_b64 s[52:53], s[6:7], 2
	s_add_u32 s52, s10, s52
	s_addc_u32 s53, s11, s53
	s_waitcnt lgkmcnt(0)
	global_store_dword v1, v2, s[52:53]
.LBB102_12:
	s_or_b32 exec_lo, exec_lo, s5
	s_waitcnt lgkmcnt(0)
	v_cmp_ne_u32_e32 vcc_lo, 0, v2
	s_mov_b32 s5, 0
	s_cbranch_vccnz .LBB102_168
; %bb.13:
	s_clause 0x3
	buffer_load_dword v85, v90, s[0:3], 0 offen
	buffer_load_dword v86, v90, s[0:3], 0 offen offset:4
	buffer_load_dword v87, v90, s[0:3], 0 offen offset:8
	;; [unrolled: 1-line block ×3, first 2 shown]
                                        ; implicit-def: $vgpr83_vgpr84
                                        ; implicit-def: $vgpr3_vgpr4
	s_waitcnt vmcnt(0)
	v_cmp_ngt_f64_e64 s5, |v[85:86]|, |v[87:88]|
	s_and_saveexec_b32 s52, s5
	s_xor_b32 s5, exec_lo, s52
	s_cbranch_execz .LBB102_15
; %bb.14:
	v_div_scale_f64 v[1:2], null, v[87:88], v[87:88], v[85:86]
	v_div_scale_f64 v[91:92], vcc_lo, v[85:86], v[87:88], v[85:86]
	v_rcp_f64_e32 v[3:4], v[1:2]
	v_fma_f64 v[83:84], -v[1:2], v[3:4], 1.0
	v_fma_f64 v[3:4], v[3:4], v[83:84], v[3:4]
	v_fma_f64 v[83:84], -v[1:2], v[3:4], 1.0
	v_fma_f64 v[3:4], v[3:4], v[83:84], v[3:4]
	v_mul_f64 v[83:84], v[91:92], v[3:4]
	v_fma_f64 v[1:2], -v[1:2], v[83:84], v[91:92]
	v_div_fmas_f64 v[1:2], v[1:2], v[3:4], v[83:84]
	v_div_fixup_f64 v[1:2], v[1:2], v[87:88], v[85:86]
	v_fma_f64 v[3:4], v[85:86], v[1:2], v[87:88]
	v_div_scale_f64 v[83:84], null, v[3:4], v[3:4], 1.0
	v_div_scale_f64 v[91:92], vcc_lo, 1.0, v[3:4], 1.0
	v_rcp_f64_e32 v[85:86], v[83:84]
	v_fma_f64 v[87:88], -v[83:84], v[85:86], 1.0
	v_fma_f64 v[85:86], v[85:86], v[87:88], v[85:86]
	v_fma_f64 v[87:88], -v[83:84], v[85:86], 1.0
	v_fma_f64 v[85:86], v[85:86], v[87:88], v[85:86]
	v_mul_f64 v[87:88], v[91:92], v[85:86]
	v_fma_f64 v[83:84], -v[83:84], v[87:88], v[91:92]
	v_div_fmas_f64 v[83:84], v[83:84], v[85:86], v[87:88]
                                        ; implicit-def: $vgpr85_vgpr86
                                        ; implicit-def: $vgpr87_vgpr88
	v_div_fixup_f64 v[3:4], v[83:84], v[3:4], 1.0
	v_mul_f64 v[83:84], v[1:2], v[3:4]
	v_xor_b32_e32 v4, 0x80000000, v4
	v_xor_b32_e32 v2, 0x80000000, v84
	v_mov_b32_e32 v1, v83
.LBB102_15:
	s_andn2_saveexec_b32 s5, s5
	s_cbranch_execz .LBB102_17
; %bb.16:
	v_div_scale_f64 v[1:2], null, v[85:86], v[85:86], v[87:88]
	v_div_scale_f64 v[91:92], vcc_lo, v[87:88], v[85:86], v[87:88]
	v_rcp_f64_e32 v[3:4], v[1:2]
	v_fma_f64 v[83:84], -v[1:2], v[3:4], 1.0
	v_fma_f64 v[3:4], v[3:4], v[83:84], v[3:4]
	v_fma_f64 v[83:84], -v[1:2], v[3:4], 1.0
	v_fma_f64 v[3:4], v[3:4], v[83:84], v[3:4]
	v_mul_f64 v[83:84], v[91:92], v[3:4]
	v_fma_f64 v[1:2], -v[1:2], v[83:84], v[91:92]
	v_div_fmas_f64 v[1:2], v[1:2], v[3:4], v[83:84]
	v_div_fixup_f64 v[1:2], v[1:2], v[85:86], v[87:88]
	v_fma_f64 v[3:4], v[87:88], v[1:2], v[85:86]
	v_div_scale_f64 v[83:84], null, v[3:4], v[3:4], 1.0
	v_rcp_f64_e32 v[85:86], v[83:84]
	v_fma_f64 v[87:88], -v[83:84], v[85:86], 1.0
	v_fma_f64 v[85:86], v[85:86], v[87:88], v[85:86]
	v_fma_f64 v[87:88], -v[83:84], v[85:86], 1.0
	v_fma_f64 v[85:86], v[85:86], v[87:88], v[85:86]
	v_div_scale_f64 v[87:88], vcc_lo, 1.0, v[3:4], 1.0
	v_mul_f64 v[91:92], v[87:88], v[85:86]
	v_fma_f64 v[83:84], -v[83:84], v[91:92], v[87:88]
	v_div_fmas_f64 v[83:84], v[83:84], v[85:86], v[91:92]
	v_div_fixup_f64 v[83:84], v[83:84], v[3:4], 1.0
	v_mul_f64 v[3:4], v[1:2], -v[83:84]
	v_xor_b32_e32 v2, 0x80000000, v84
	v_mov_b32_e32 v1, v83
.LBB102_17:
	s_or_b32 exec_lo, exec_lo, s5
	v_mov_b32_e32 v88, s50
	buffer_store_dword v84, v90, s[0:3], 0 offen offset:4
	buffer_store_dword v83, v90, s[0:3], 0 offen
	buffer_store_dword v4, v90, s[0:3], 0 offen offset:12
	buffer_store_dword v3, v90, s[0:3], 0 offen offset:8
	v_xor_b32_e32 v4, 0x80000000, v4
	v_add_nc_u32_e32 v83, 0x270, v89
	s_clause 0x3
	buffer_load_dword v87, v88, s[0:3], 0 offen offset:12
	buffer_load_dword v86, v88, s[0:3], 0 offen offset:8
	;; [unrolled: 1-line block ×3, first 2 shown]
	buffer_load_dword v84, v88, s[0:3], 0 offen
	ds_write_b128 v89, v[1:4]
	s_waitcnt vmcnt(0)
	ds_write_b128 v89, v[84:87] offset:624
	s_waitcnt lgkmcnt(0)
	s_waitcnt_vscnt null, 0x0
	s_barrier
	buffer_gl0_inv
	s_and_saveexec_b32 s5, s4
	s_cbranch_execz .LBB102_19
; %bb.18:
	s_clause 0x3
	buffer_load_dword v91, v90, s[0:3], 0 offen offset:8
	buffer_load_dword v92, v90, s[0:3], 0 offen offset:12
	buffer_load_dword v93, v90, s[0:3], 0 offen
	buffer_load_dword v94, v90, s[0:3], 0 offen offset:4
	ds_read_b128 v[1:4], v83
	v_mov_b32_e32 v84, 0
	ds_read_b128 v[84:87], v84 offset:16
	s_waitcnt vmcnt(2) lgkmcnt(1)
	v_mul_f64 v[95:96], v[1:2], v[91:92]
	v_mul_f64 v[91:92], v[3:4], v[91:92]
	s_waitcnt vmcnt(0)
	v_fma_f64 v[3:4], v[3:4], v[93:94], v[95:96]
	v_fma_f64 v[1:2], v[1:2], v[93:94], -v[91:92]
	v_add_f64 v[3:4], v[3:4], 0
	v_add_f64 v[1:2], v[1:2], 0
	s_waitcnt lgkmcnt(0)
	v_mul_f64 v[91:92], v[3:4], v[86:87]
	v_mul_f64 v[86:87], v[1:2], v[86:87]
	v_fma_f64 v[1:2], v[1:2], v[84:85], -v[91:92]
	v_fma_f64 v[3:4], v[3:4], v[84:85], v[86:87]
	buffer_store_dword v1, off, s[0:3], 0 offset:32
	buffer_store_dword v2, off, s[0:3], 0 offset:36
	;; [unrolled: 1-line block ×4, first 2 shown]
.LBB102_19:
	s_or_b32 exec_lo, exec_lo, s5
	v_mov_b32_e32 v4, s49
	s_waitcnt_vscnt null, 0x0
	s_barrier
	buffer_gl0_inv
	s_mov_b32 s5, exec_lo
	s_clause 0x3
	buffer_load_dword v1, v4, s[0:3], 0 offen
	buffer_load_dword v2, v4, s[0:3], 0 offen offset:4
	buffer_load_dword v3, v4, s[0:3], 0 offen offset:8
	;; [unrolled: 1-line block ×3, first 2 shown]
	s_waitcnt vmcnt(0)
	ds_write_b128 v83, v[1:4]
	s_waitcnt lgkmcnt(0)
	s_barrier
	buffer_gl0_inv
	v_cmpx_gt_u32_e32 2, v0
	s_cbranch_execz .LBB102_23
; %bb.20:
	s_clause 0x3
	buffer_load_dword v84, v90, s[0:3], 0 offen offset:8
	buffer_load_dword v85, v90, s[0:3], 0 offen offset:12
	buffer_load_dword v86, v90, s[0:3], 0 offen
	buffer_load_dword v87, v90, s[0:3], 0 offen offset:4
	ds_read_b128 v[1:4], v83
	s_waitcnt vmcnt(2) lgkmcnt(0)
	v_mul_f64 v[90:91], v[3:4], v[84:85]
	v_mul_f64 v[84:85], v[1:2], v[84:85]
	s_waitcnt vmcnt(0)
	v_fma_f64 v[1:2], v[1:2], v[86:87], -v[90:91]
	v_fma_f64 v[3:4], v[3:4], v[86:87], v[84:85]
	v_add_f64 v[1:2], v[1:2], 0
	v_add_f64 v[3:4], v[3:4], 0
	s_and_saveexec_b32 s52, s4
	s_cbranch_execz .LBB102_22
; %bb.21:
	s_clause 0x3
	buffer_load_dword v90, off, s[0:3], 0 offset:40
	buffer_load_dword v91, off, s[0:3], 0 offset:44
	;; [unrolled: 1-line block ×4, first 2 shown]
	v_mov_b32_e32 v84, 0
	ds_read_b128 v[84:87], v84 offset:640
	s_waitcnt vmcnt(2) lgkmcnt(0)
	v_mul_f64 v[94:95], v[84:85], v[90:91]
	v_mul_f64 v[90:91], v[86:87], v[90:91]
	s_waitcnt vmcnt(0)
	v_fma_f64 v[86:87], v[86:87], v[92:93], v[94:95]
	v_fma_f64 v[84:85], v[84:85], v[92:93], -v[90:91]
	v_add_f64 v[3:4], v[3:4], v[86:87]
	v_add_f64 v[1:2], v[1:2], v[84:85]
.LBB102_22:
	s_or_b32 exec_lo, exec_lo, s52
	v_mov_b32_e32 v84, 0
	ds_read_b128 v[84:87], v84 offset:32
	s_waitcnt lgkmcnt(0)
	v_mul_f64 v[90:91], v[3:4], v[86:87]
	v_mul_f64 v[86:87], v[1:2], v[86:87]
	v_fma_f64 v[1:2], v[1:2], v[84:85], -v[90:91]
	v_fma_f64 v[3:4], v[3:4], v[84:85], v[86:87]
	buffer_store_dword v2, off, s[0:3], 0 offset:52
	buffer_store_dword v1, off, s[0:3], 0 offset:48
	buffer_store_dword v4, off, s[0:3], 0 offset:60
	buffer_store_dword v3, off, s[0:3], 0 offset:56
.LBB102_23:
	s_or_b32 exec_lo, exec_lo, s5
	v_mov_b32_e32 v4, s48
	s_waitcnt_vscnt null, 0x0
	s_barrier
	buffer_gl0_inv
	v_add_nc_u32_e32 v84, -1, v0
	s_clause 0x3
	buffer_load_dword v1, v4, s[0:3], 0 offen
	buffer_load_dword v2, v4, s[0:3], 0 offen offset:4
	buffer_load_dword v3, v4, s[0:3], 0 offen offset:8
	;; [unrolled: 1-line block ×3, first 2 shown]
	s_mov_b32 s4, exec_lo
	s_waitcnt vmcnt(0)
	ds_write_b128 v83, v[1:4]
	s_waitcnt lgkmcnt(0)
	s_barrier
	buffer_gl0_inv
	v_cmpx_gt_u32_e32 3, v0
	s_cbranch_execz .LBB102_27
; %bb.24:
	v_mov_b32_e32 v1, 0
	v_mov_b32_e32 v3, 0
	v_add_nc_u32_e32 v85, -1, v0
	v_add_nc_u32_e32 v86, 0x270, v89
	v_mov_b32_e32 v2, 0
	v_mov_b32_e32 v4, 0
	v_add_nc_u32_e32 v87, 16, v89
	s_mov_b32 s5, 0
	.p2align	6
.LBB102_25:                             ; =>This Inner Loop Header: Depth=1
	s_clause 0x3
	buffer_load_dword v94, v87, s[0:3], 0 offen offset:8
	buffer_load_dword v95, v87, s[0:3], 0 offen offset:12
	buffer_load_dword v96, v87, s[0:3], 0 offen
	buffer_load_dword v97, v87, s[0:3], 0 offen offset:4
	ds_read_b128 v[90:93], v86
	v_add_nc_u32_e32 v85, 1, v85
	v_add_nc_u32_e32 v86, 16, v86
	;; [unrolled: 1-line block ×3, first 2 shown]
	v_cmp_lt_u32_e32 vcc_lo, 1, v85
	s_or_b32 s5, vcc_lo, s5
	s_waitcnt vmcnt(2) lgkmcnt(0)
	v_mul_f64 v[98:99], v[92:93], v[94:95]
	v_mul_f64 v[94:95], v[90:91], v[94:95]
	s_waitcnt vmcnt(0)
	v_fma_f64 v[90:91], v[90:91], v[96:97], -v[98:99]
	v_fma_f64 v[92:93], v[92:93], v[96:97], v[94:95]
	v_add_f64 v[3:4], v[3:4], v[90:91]
	v_add_f64 v[1:2], v[1:2], v[92:93]
	s_andn2_b32 exec_lo, exec_lo, s5
	s_cbranch_execnz .LBB102_25
; %bb.26:
	s_or_b32 exec_lo, exec_lo, s5
	v_mov_b32_e32 v85, 0
	ds_read_b128 v[85:88], v85 offset:48
	s_waitcnt lgkmcnt(0)
	v_mul_f64 v[90:91], v[1:2], v[87:88]
	v_mul_f64 v[87:88], v[3:4], v[87:88]
	v_fma_f64 v[3:4], v[3:4], v[85:86], -v[90:91]
	v_fma_f64 v[1:2], v[1:2], v[85:86], v[87:88]
	buffer_store_dword v4, off, s[0:3], 0 offset:68
	buffer_store_dword v3, off, s[0:3], 0 offset:64
	;; [unrolled: 1-line block ×4, first 2 shown]
.LBB102_27:
	s_or_b32 exec_lo, exec_lo, s4
	v_mov_b32_e32 v4, s47
	s_waitcnt_vscnt null, 0x0
	s_barrier
	buffer_gl0_inv
	s_mov_b32 s4, exec_lo
	s_clause 0x3
	buffer_load_dword v1, v4, s[0:3], 0 offen
	buffer_load_dword v2, v4, s[0:3], 0 offen offset:4
	buffer_load_dword v3, v4, s[0:3], 0 offen offset:8
	buffer_load_dword v4, v4, s[0:3], 0 offen offset:12
	s_waitcnt vmcnt(0)
	ds_write_b128 v83, v[1:4]
	s_waitcnt lgkmcnt(0)
	s_barrier
	buffer_gl0_inv
	v_cmpx_gt_u32_e32 4, v0
	s_cbranch_execz .LBB102_31
; %bb.28:
	v_mov_b32_e32 v1, 0
	v_mov_b32_e32 v3, 0
	v_add_nc_u32_e32 v85, -1, v0
	v_add_nc_u32_e32 v86, 0x270, v89
	v_mov_b32_e32 v2, 0
	v_mov_b32_e32 v4, 0
	v_add_nc_u32_e32 v87, 16, v89
	s_mov_b32 s5, 0
	.p2align	6
.LBB102_29:                             ; =>This Inner Loop Header: Depth=1
	s_clause 0x3
	buffer_load_dword v94, v87, s[0:3], 0 offen offset:8
	buffer_load_dword v95, v87, s[0:3], 0 offen offset:12
	buffer_load_dword v96, v87, s[0:3], 0 offen
	buffer_load_dword v97, v87, s[0:3], 0 offen offset:4
	ds_read_b128 v[90:93], v86
	v_add_nc_u32_e32 v85, 1, v85
	v_add_nc_u32_e32 v86, 16, v86
	;; [unrolled: 1-line block ×3, first 2 shown]
	v_cmp_lt_u32_e32 vcc_lo, 2, v85
	s_or_b32 s5, vcc_lo, s5
	s_waitcnt vmcnt(2) lgkmcnt(0)
	v_mul_f64 v[98:99], v[92:93], v[94:95]
	v_mul_f64 v[94:95], v[90:91], v[94:95]
	s_waitcnt vmcnt(0)
	v_fma_f64 v[90:91], v[90:91], v[96:97], -v[98:99]
	v_fma_f64 v[92:93], v[92:93], v[96:97], v[94:95]
	v_add_f64 v[3:4], v[3:4], v[90:91]
	v_add_f64 v[1:2], v[1:2], v[92:93]
	s_andn2_b32 exec_lo, exec_lo, s5
	s_cbranch_execnz .LBB102_29
; %bb.30:
	s_or_b32 exec_lo, exec_lo, s5
	v_mov_b32_e32 v85, 0
	ds_read_b128 v[85:88], v85 offset:64
	s_waitcnt lgkmcnt(0)
	v_mul_f64 v[90:91], v[1:2], v[87:88]
	v_mul_f64 v[87:88], v[3:4], v[87:88]
	v_fma_f64 v[3:4], v[3:4], v[85:86], -v[90:91]
	v_fma_f64 v[1:2], v[1:2], v[85:86], v[87:88]
	buffer_store_dword v4, off, s[0:3], 0 offset:84
	buffer_store_dword v3, off, s[0:3], 0 offset:80
	;; [unrolled: 1-line block ×4, first 2 shown]
.LBB102_31:
	s_or_b32 exec_lo, exec_lo, s4
	v_mov_b32_e32 v4, s46
	s_waitcnt_vscnt null, 0x0
	s_barrier
	buffer_gl0_inv
	s_mov_b32 s4, exec_lo
	s_clause 0x3
	buffer_load_dword v1, v4, s[0:3], 0 offen
	buffer_load_dword v2, v4, s[0:3], 0 offen offset:4
	buffer_load_dword v3, v4, s[0:3], 0 offen offset:8
	;; [unrolled: 1-line block ×3, first 2 shown]
	s_waitcnt vmcnt(0)
	ds_write_b128 v83, v[1:4]
	s_waitcnt lgkmcnt(0)
	s_barrier
	buffer_gl0_inv
	v_cmpx_gt_u32_e32 5, v0
	s_cbranch_execz .LBB102_35
; %bb.32:
	v_mov_b32_e32 v1, 0
	v_mov_b32_e32 v3, 0
	v_add_nc_u32_e32 v85, -1, v0
	v_add_nc_u32_e32 v86, 0x270, v89
	v_mov_b32_e32 v2, 0
	v_mov_b32_e32 v4, 0
	v_add_nc_u32_e32 v87, 16, v89
	s_mov_b32 s5, 0
	.p2align	6
.LBB102_33:                             ; =>This Inner Loop Header: Depth=1
	s_clause 0x3
	buffer_load_dword v94, v87, s[0:3], 0 offen offset:8
	buffer_load_dword v95, v87, s[0:3], 0 offen offset:12
	buffer_load_dword v96, v87, s[0:3], 0 offen
	buffer_load_dword v97, v87, s[0:3], 0 offen offset:4
	ds_read_b128 v[90:93], v86
	v_add_nc_u32_e32 v85, 1, v85
	v_add_nc_u32_e32 v86, 16, v86
	;; [unrolled: 1-line block ×3, first 2 shown]
	v_cmp_lt_u32_e32 vcc_lo, 3, v85
	s_or_b32 s5, vcc_lo, s5
	s_waitcnt vmcnt(2) lgkmcnt(0)
	v_mul_f64 v[98:99], v[92:93], v[94:95]
	v_mul_f64 v[94:95], v[90:91], v[94:95]
	s_waitcnt vmcnt(0)
	v_fma_f64 v[90:91], v[90:91], v[96:97], -v[98:99]
	v_fma_f64 v[92:93], v[92:93], v[96:97], v[94:95]
	v_add_f64 v[3:4], v[3:4], v[90:91]
	v_add_f64 v[1:2], v[1:2], v[92:93]
	s_andn2_b32 exec_lo, exec_lo, s5
	s_cbranch_execnz .LBB102_33
; %bb.34:
	s_or_b32 exec_lo, exec_lo, s5
	v_mov_b32_e32 v85, 0
	ds_read_b128 v[85:88], v85 offset:80
	s_waitcnt lgkmcnt(0)
	v_mul_f64 v[90:91], v[1:2], v[87:88]
	v_mul_f64 v[87:88], v[3:4], v[87:88]
	v_fma_f64 v[3:4], v[3:4], v[85:86], -v[90:91]
	v_fma_f64 v[1:2], v[1:2], v[85:86], v[87:88]
	buffer_store_dword v4, off, s[0:3], 0 offset:100
	buffer_store_dword v3, off, s[0:3], 0 offset:96
	;; [unrolled: 1-line block ×4, first 2 shown]
.LBB102_35:
	s_or_b32 exec_lo, exec_lo, s4
	v_mov_b32_e32 v4, s45
	s_waitcnt_vscnt null, 0x0
	s_barrier
	buffer_gl0_inv
	s_mov_b32 s4, exec_lo
	s_clause 0x3
	buffer_load_dword v1, v4, s[0:3], 0 offen
	buffer_load_dword v2, v4, s[0:3], 0 offen offset:4
	buffer_load_dword v3, v4, s[0:3], 0 offen offset:8
	;; [unrolled: 1-line block ×3, first 2 shown]
	s_waitcnt vmcnt(0)
	ds_write_b128 v83, v[1:4]
	s_waitcnt lgkmcnt(0)
	s_barrier
	buffer_gl0_inv
	v_cmpx_gt_u32_e32 6, v0
	s_cbranch_execz .LBB102_39
; %bb.36:
	v_mov_b32_e32 v1, 0
	v_mov_b32_e32 v3, 0
	v_add_nc_u32_e32 v85, -1, v0
	v_add_nc_u32_e32 v86, 0x270, v89
	v_mov_b32_e32 v2, 0
	v_mov_b32_e32 v4, 0
	v_add_nc_u32_e32 v87, 16, v89
	s_mov_b32 s5, 0
	.p2align	6
.LBB102_37:                             ; =>This Inner Loop Header: Depth=1
	s_clause 0x3
	buffer_load_dword v94, v87, s[0:3], 0 offen offset:8
	buffer_load_dword v95, v87, s[0:3], 0 offen offset:12
	buffer_load_dword v96, v87, s[0:3], 0 offen
	buffer_load_dword v97, v87, s[0:3], 0 offen offset:4
	ds_read_b128 v[90:93], v86
	v_add_nc_u32_e32 v85, 1, v85
	v_add_nc_u32_e32 v86, 16, v86
	;; [unrolled: 1-line block ×3, first 2 shown]
	v_cmp_lt_u32_e32 vcc_lo, 4, v85
	s_or_b32 s5, vcc_lo, s5
	s_waitcnt vmcnt(2) lgkmcnt(0)
	v_mul_f64 v[98:99], v[92:93], v[94:95]
	v_mul_f64 v[94:95], v[90:91], v[94:95]
	s_waitcnt vmcnt(0)
	v_fma_f64 v[90:91], v[90:91], v[96:97], -v[98:99]
	v_fma_f64 v[92:93], v[92:93], v[96:97], v[94:95]
	v_add_f64 v[3:4], v[3:4], v[90:91]
	v_add_f64 v[1:2], v[1:2], v[92:93]
	s_andn2_b32 exec_lo, exec_lo, s5
	s_cbranch_execnz .LBB102_37
; %bb.38:
	s_or_b32 exec_lo, exec_lo, s5
	v_mov_b32_e32 v85, 0
	ds_read_b128 v[85:88], v85 offset:96
	s_waitcnt lgkmcnt(0)
	v_mul_f64 v[90:91], v[1:2], v[87:88]
	v_mul_f64 v[87:88], v[3:4], v[87:88]
	v_fma_f64 v[3:4], v[3:4], v[85:86], -v[90:91]
	v_fma_f64 v[1:2], v[1:2], v[85:86], v[87:88]
	buffer_store_dword v4, off, s[0:3], 0 offset:116
	buffer_store_dword v3, off, s[0:3], 0 offset:112
	;; [unrolled: 1-line block ×4, first 2 shown]
.LBB102_39:
	s_or_b32 exec_lo, exec_lo, s4
	v_mov_b32_e32 v4, s44
	s_waitcnt_vscnt null, 0x0
	s_barrier
	buffer_gl0_inv
	s_mov_b32 s4, exec_lo
	s_clause 0x3
	buffer_load_dword v1, v4, s[0:3], 0 offen
	buffer_load_dword v2, v4, s[0:3], 0 offen offset:4
	buffer_load_dword v3, v4, s[0:3], 0 offen offset:8
	;; [unrolled: 1-line block ×3, first 2 shown]
	s_waitcnt vmcnt(0)
	ds_write_b128 v83, v[1:4]
	s_waitcnt lgkmcnt(0)
	s_barrier
	buffer_gl0_inv
	v_cmpx_gt_u32_e32 7, v0
	s_cbranch_execz .LBB102_43
; %bb.40:
	v_mov_b32_e32 v1, 0
	v_mov_b32_e32 v3, 0
	v_add_nc_u32_e32 v85, -1, v0
	v_add_nc_u32_e32 v86, 0x270, v89
	v_mov_b32_e32 v2, 0
	v_mov_b32_e32 v4, 0
	v_add_nc_u32_e32 v87, 16, v89
	s_mov_b32 s5, 0
	.p2align	6
.LBB102_41:                             ; =>This Inner Loop Header: Depth=1
	s_clause 0x3
	buffer_load_dword v94, v87, s[0:3], 0 offen offset:8
	buffer_load_dword v95, v87, s[0:3], 0 offen offset:12
	buffer_load_dword v96, v87, s[0:3], 0 offen
	buffer_load_dword v97, v87, s[0:3], 0 offen offset:4
	ds_read_b128 v[90:93], v86
	v_add_nc_u32_e32 v85, 1, v85
	v_add_nc_u32_e32 v86, 16, v86
	;; [unrolled: 1-line block ×3, first 2 shown]
	v_cmp_lt_u32_e32 vcc_lo, 5, v85
	s_or_b32 s5, vcc_lo, s5
	s_waitcnt vmcnt(2) lgkmcnt(0)
	v_mul_f64 v[98:99], v[92:93], v[94:95]
	v_mul_f64 v[94:95], v[90:91], v[94:95]
	s_waitcnt vmcnt(0)
	v_fma_f64 v[90:91], v[90:91], v[96:97], -v[98:99]
	v_fma_f64 v[92:93], v[92:93], v[96:97], v[94:95]
	v_add_f64 v[3:4], v[3:4], v[90:91]
	v_add_f64 v[1:2], v[1:2], v[92:93]
	s_andn2_b32 exec_lo, exec_lo, s5
	s_cbranch_execnz .LBB102_41
; %bb.42:
	s_or_b32 exec_lo, exec_lo, s5
	v_mov_b32_e32 v85, 0
	ds_read_b128 v[85:88], v85 offset:112
	s_waitcnt lgkmcnt(0)
	v_mul_f64 v[90:91], v[1:2], v[87:88]
	v_mul_f64 v[87:88], v[3:4], v[87:88]
	v_fma_f64 v[3:4], v[3:4], v[85:86], -v[90:91]
	v_fma_f64 v[1:2], v[1:2], v[85:86], v[87:88]
	buffer_store_dword v4, off, s[0:3], 0 offset:132
	buffer_store_dword v3, off, s[0:3], 0 offset:128
	;; [unrolled: 1-line block ×4, first 2 shown]
.LBB102_43:
	s_or_b32 exec_lo, exec_lo, s4
	v_mov_b32_e32 v4, s43
	s_waitcnt_vscnt null, 0x0
	s_barrier
	buffer_gl0_inv
	s_mov_b32 s4, exec_lo
	s_clause 0x3
	buffer_load_dword v1, v4, s[0:3], 0 offen
	buffer_load_dword v2, v4, s[0:3], 0 offen offset:4
	buffer_load_dword v3, v4, s[0:3], 0 offen offset:8
	;; [unrolled: 1-line block ×3, first 2 shown]
	s_waitcnt vmcnt(0)
	ds_write_b128 v83, v[1:4]
	s_waitcnt lgkmcnt(0)
	s_barrier
	buffer_gl0_inv
	v_cmpx_gt_u32_e32 8, v0
	s_cbranch_execz .LBB102_47
; %bb.44:
	v_mov_b32_e32 v1, 0
	v_mov_b32_e32 v3, 0
	v_add_nc_u32_e32 v85, -1, v0
	v_add_nc_u32_e32 v86, 0x270, v89
	v_mov_b32_e32 v2, 0
	v_mov_b32_e32 v4, 0
	v_add_nc_u32_e32 v87, 16, v89
	s_mov_b32 s5, 0
	.p2align	6
.LBB102_45:                             ; =>This Inner Loop Header: Depth=1
	s_clause 0x3
	buffer_load_dword v94, v87, s[0:3], 0 offen offset:8
	buffer_load_dword v95, v87, s[0:3], 0 offen offset:12
	buffer_load_dword v96, v87, s[0:3], 0 offen
	buffer_load_dword v97, v87, s[0:3], 0 offen offset:4
	ds_read_b128 v[90:93], v86
	v_add_nc_u32_e32 v85, 1, v85
	v_add_nc_u32_e32 v86, 16, v86
	;; [unrolled: 1-line block ×3, first 2 shown]
	v_cmp_lt_u32_e32 vcc_lo, 6, v85
	s_or_b32 s5, vcc_lo, s5
	s_waitcnt vmcnt(2) lgkmcnt(0)
	v_mul_f64 v[98:99], v[92:93], v[94:95]
	v_mul_f64 v[94:95], v[90:91], v[94:95]
	s_waitcnt vmcnt(0)
	v_fma_f64 v[90:91], v[90:91], v[96:97], -v[98:99]
	v_fma_f64 v[92:93], v[92:93], v[96:97], v[94:95]
	v_add_f64 v[3:4], v[3:4], v[90:91]
	v_add_f64 v[1:2], v[1:2], v[92:93]
	s_andn2_b32 exec_lo, exec_lo, s5
	s_cbranch_execnz .LBB102_45
; %bb.46:
	s_or_b32 exec_lo, exec_lo, s5
	v_mov_b32_e32 v85, 0
	ds_read_b128 v[85:88], v85 offset:128
	s_waitcnt lgkmcnt(0)
	v_mul_f64 v[90:91], v[1:2], v[87:88]
	v_mul_f64 v[87:88], v[3:4], v[87:88]
	v_fma_f64 v[3:4], v[3:4], v[85:86], -v[90:91]
	v_fma_f64 v[1:2], v[1:2], v[85:86], v[87:88]
	buffer_store_dword v4, off, s[0:3], 0 offset:148
	buffer_store_dword v3, off, s[0:3], 0 offset:144
	;; [unrolled: 1-line block ×4, first 2 shown]
.LBB102_47:
	s_or_b32 exec_lo, exec_lo, s4
	v_mov_b32_e32 v4, s42
	s_waitcnt_vscnt null, 0x0
	s_barrier
	buffer_gl0_inv
	s_mov_b32 s4, exec_lo
	s_clause 0x3
	buffer_load_dword v1, v4, s[0:3], 0 offen
	buffer_load_dword v2, v4, s[0:3], 0 offen offset:4
	buffer_load_dword v3, v4, s[0:3], 0 offen offset:8
	;; [unrolled: 1-line block ×3, first 2 shown]
	s_waitcnt vmcnt(0)
	ds_write_b128 v83, v[1:4]
	s_waitcnt lgkmcnt(0)
	s_barrier
	buffer_gl0_inv
	v_cmpx_gt_u32_e32 9, v0
	s_cbranch_execz .LBB102_51
; %bb.48:
	v_mov_b32_e32 v1, 0
	v_mov_b32_e32 v3, 0
	v_add_nc_u32_e32 v85, -1, v0
	v_add_nc_u32_e32 v86, 0x270, v89
	v_mov_b32_e32 v2, 0
	v_mov_b32_e32 v4, 0
	v_add_nc_u32_e32 v87, 16, v89
	s_mov_b32 s5, 0
	.p2align	6
.LBB102_49:                             ; =>This Inner Loop Header: Depth=1
	s_clause 0x3
	buffer_load_dword v94, v87, s[0:3], 0 offen offset:8
	buffer_load_dword v95, v87, s[0:3], 0 offen offset:12
	buffer_load_dword v96, v87, s[0:3], 0 offen
	buffer_load_dword v97, v87, s[0:3], 0 offen offset:4
	ds_read_b128 v[90:93], v86
	v_add_nc_u32_e32 v85, 1, v85
	v_add_nc_u32_e32 v86, 16, v86
	;; [unrolled: 1-line block ×3, first 2 shown]
	v_cmp_lt_u32_e32 vcc_lo, 7, v85
	s_or_b32 s5, vcc_lo, s5
	s_waitcnt vmcnt(2) lgkmcnt(0)
	v_mul_f64 v[98:99], v[92:93], v[94:95]
	v_mul_f64 v[94:95], v[90:91], v[94:95]
	s_waitcnt vmcnt(0)
	v_fma_f64 v[90:91], v[90:91], v[96:97], -v[98:99]
	v_fma_f64 v[92:93], v[92:93], v[96:97], v[94:95]
	v_add_f64 v[3:4], v[3:4], v[90:91]
	v_add_f64 v[1:2], v[1:2], v[92:93]
	s_andn2_b32 exec_lo, exec_lo, s5
	s_cbranch_execnz .LBB102_49
; %bb.50:
	s_or_b32 exec_lo, exec_lo, s5
	v_mov_b32_e32 v85, 0
	ds_read_b128 v[85:88], v85 offset:144
	s_waitcnt lgkmcnt(0)
	v_mul_f64 v[90:91], v[1:2], v[87:88]
	v_mul_f64 v[87:88], v[3:4], v[87:88]
	v_fma_f64 v[3:4], v[3:4], v[85:86], -v[90:91]
	v_fma_f64 v[1:2], v[1:2], v[85:86], v[87:88]
	buffer_store_dword v4, off, s[0:3], 0 offset:164
	buffer_store_dword v3, off, s[0:3], 0 offset:160
	;; [unrolled: 1-line block ×4, first 2 shown]
.LBB102_51:
	s_or_b32 exec_lo, exec_lo, s4
	v_mov_b32_e32 v4, s41
	s_waitcnt_vscnt null, 0x0
	s_barrier
	buffer_gl0_inv
	s_mov_b32 s4, exec_lo
	s_clause 0x3
	buffer_load_dword v1, v4, s[0:3], 0 offen
	buffer_load_dword v2, v4, s[0:3], 0 offen offset:4
	buffer_load_dword v3, v4, s[0:3], 0 offen offset:8
	buffer_load_dword v4, v4, s[0:3], 0 offen offset:12
	s_waitcnt vmcnt(0)
	ds_write_b128 v83, v[1:4]
	s_waitcnt lgkmcnt(0)
	s_barrier
	buffer_gl0_inv
	v_cmpx_gt_u32_e32 10, v0
	s_cbranch_execz .LBB102_55
; %bb.52:
	v_mov_b32_e32 v1, 0
	v_mov_b32_e32 v3, 0
	v_add_nc_u32_e32 v85, -1, v0
	v_add_nc_u32_e32 v86, 0x270, v89
	v_mov_b32_e32 v2, 0
	v_mov_b32_e32 v4, 0
	v_add_nc_u32_e32 v87, 16, v89
	s_mov_b32 s5, 0
	.p2align	6
.LBB102_53:                             ; =>This Inner Loop Header: Depth=1
	s_clause 0x3
	buffer_load_dword v94, v87, s[0:3], 0 offen offset:8
	buffer_load_dword v95, v87, s[0:3], 0 offen offset:12
	buffer_load_dword v96, v87, s[0:3], 0 offen
	buffer_load_dword v97, v87, s[0:3], 0 offen offset:4
	ds_read_b128 v[90:93], v86
	v_add_nc_u32_e32 v85, 1, v85
	v_add_nc_u32_e32 v86, 16, v86
	;; [unrolled: 1-line block ×3, first 2 shown]
	v_cmp_lt_u32_e32 vcc_lo, 8, v85
	s_or_b32 s5, vcc_lo, s5
	s_waitcnt vmcnt(2) lgkmcnt(0)
	v_mul_f64 v[98:99], v[92:93], v[94:95]
	v_mul_f64 v[94:95], v[90:91], v[94:95]
	s_waitcnt vmcnt(0)
	v_fma_f64 v[90:91], v[90:91], v[96:97], -v[98:99]
	v_fma_f64 v[92:93], v[92:93], v[96:97], v[94:95]
	v_add_f64 v[3:4], v[3:4], v[90:91]
	v_add_f64 v[1:2], v[1:2], v[92:93]
	s_andn2_b32 exec_lo, exec_lo, s5
	s_cbranch_execnz .LBB102_53
; %bb.54:
	s_or_b32 exec_lo, exec_lo, s5
	v_mov_b32_e32 v85, 0
	ds_read_b128 v[85:88], v85 offset:160
	s_waitcnt lgkmcnt(0)
	v_mul_f64 v[90:91], v[1:2], v[87:88]
	v_mul_f64 v[87:88], v[3:4], v[87:88]
	v_fma_f64 v[3:4], v[3:4], v[85:86], -v[90:91]
	v_fma_f64 v[1:2], v[1:2], v[85:86], v[87:88]
	buffer_store_dword v4, off, s[0:3], 0 offset:180
	buffer_store_dword v3, off, s[0:3], 0 offset:176
	;; [unrolled: 1-line block ×4, first 2 shown]
.LBB102_55:
	s_or_b32 exec_lo, exec_lo, s4
	v_mov_b32_e32 v4, s40
	s_waitcnt_vscnt null, 0x0
	s_barrier
	buffer_gl0_inv
	s_mov_b32 s4, exec_lo
	s_clause 0x3
	buffer_load_dword v1, v4, s[0:3], 0 offen
	buffer_load_dword v2, v4, s[0:3], 0 offen offset:4
	buffer_load_dword v3, v4, s[0:3], 0 offen offset:8
	buffer_load_dword v4, v4, s[0:3], 0 offen offset:12
	s_waitcnt vmcnt(0)
	ds_write_b128 v83, v[1:4]
	s_waitcnt lgkmcnt(0)
	s_barrier
	buffer_gl0_inv
	v_cmpx_gt_u32_e32 11, v0
	s_cbranch_execz .LBB102_59
; %bb.56:
	v_mov_b32_e32 v1, 0
	v_mov_b32_e32 v3, 0
	v_add_nc_u32_e32 v85, -1, v0
	v_add_nc_u32_e32 v86, 0x270, v89
	v_mov_b32_e32 v2, 0
	v_mov_b32_e32 v4, 0
	v_add_nc_u32_e32 v87, 16, v89
	s_mov_b32 s5, 0
	.p2align	6
.LBB102_57:                             ; =>This Inner Loop Header: Depth=1
	s_clause 0x3
	buffer_load_dword v94, v87, s[0:3], 0 offen offset:8
	buffer_load_dword v95, v87, s[0:3], 0 offen offset:12
	buffer_load_dword v96, v87, s[0:3], 0 offen
	buffer_load_dword v97, v87, s[0:3], 0 offen offset:4
	ds_read_b128 v[90:93], v86
	v_add_nc_u32_e32 v85, 1, v85
	v_add_nc_u32_e32 v86, 16, v86
	;; [unrolled: 1-line block ×3, first 2 shown]
	v_cmp_lt_u32_e32 vcc_lo, 9, v85
	s_or_b32 s5, vcc_lo, s5
	s_waitcnt vmcnt(2) lgkmcnt(0)
	v_mul_f64 v[98:99], v[92:93], v[94:95]
	v_mul_f64 v[94:95], v[90:91], v[94:95]
	s_waitcnt vmcnt(0)
	v_fma_f64 v[90:91], v[90:91], v[96:97], -v[98:99]
	v_fma_f64 v[92:93], v[92:93], v[96:97], v[94:95]
	v_add_f64 v[3:4], v[3:4], v[90:91]
	v_add_f64 v[1:2], v[1:2], v[92:93]
	s_andn2_b32 exec_lo, exec_lo, s5
	s_cbranch_execnz .LBB102_57
; %bb.58:
	s_or_b32 exec_lo, exec_lo, s5
	v_mov_b32_e32 v85, 0
	ds_read_b128 v[85:88], v85 offset:176
	s_waitcnt lgkmcnt(0)
	v_mul_f64 v[90:91], v[1:2], v[87:88]
	v_mul_f64 v[87:88], v[3:4], v[87:88]
	v_fma_f64 v[3:4], v[3:4], v[85:86], -v[90:91]
	v_fma_f64 v[1:2], v[1:2], v[85:86], v[87:88]
	buffer_store_dword v4, off, s[0:3], 0 offset:196
	buffer_store_dword v3, off, s[0:3], 0 offset:192
	;; [unrolled: 1-line block ×4, first 2 shown]
.LBB102_59:
	s_or_b32 exec_lo, exec_lo, s4
	v_mov_b32_e32 v4, s39
	s_waitcnt_vscnt null, 0x0
	s_barrier
	buffer_gl0_inv
	s_mov_b32 s4, exec_lo
	s_clause 0x3
	buffer_load_dword v1, v4, s[0:3], 0 offen
	buffer_load_dword v2, v4, s[0:3], 0 offen offset:4
	buffer_load_dword v3, v4, s[0:3], 0 offen offset:8
	;; [unrolled: 1-line block ×3, first 2 shown]
	s_waitcnt vmcnt(0)
	ds_write_b128 v83, v[1:4]
	s_waitcnt lgkmcnt(0)
	s_barrier
	buffer_gl0_inv
	v_cmpx_gt_u32_e32 12, v0
	s_cbranch_execz .LBB102_63
; %bb.60:
	v_mov_b32_e32 v1, 0
	v_mov_b32_e32 v3, 0
	v_add_nc_u32_e32 v85, -1, v0
	v_add_nc_u32_e32 v86, 0x270, v89
	v_mov_b32_e32 v2, 0
	v_mov_b32_e32 v4, 0
	v_add_nc_u32_e32 v87, 16, v89
	s_mov_b32 s5, 0
	.p2align	6
.LBB102_61:                             ; =>This Inner Loop Header: Depth=1
	s_clause 0x3
	buffer_load_dword v94, v87, s[0:3], 0 offen offset:8
	buffer_load_dword v95, v87, s[0:3], 0 offen offset:12
	buffer_load_dword v96, v87, s[0:3], 0 offen
	buffer_load_dword v97, v87, s[0:3], 0 offen offset:4
	ds_read_b128 v[90:93], v86
	v_add_nc_u32_e32 v85, 1, v85
	v_add_nc_u32_e32 v86, 16, v86
	;; [unrolled: 1-line block ×3, first 2 shown]
	v_cmp_lt_u32_e32 vcc_lo, 10, v85
	s_or_b32 s5, vcc_lo, s5
	s_waitcnt vmcnt(2) lgkmcnt(0)
	v_mul_f64 v[98:99], v[92:93], v[94:95]
	v_mul_f64 v[94:95], v[90:91], v[94:95]
	s_waitcnt vmcnt(0)
	v_fma_f64 v[90:91], v[90:91], v[96:97], -v[98:99]
	v_fma_f64 v[92:93], v[92:93], v[96:97], v[94:95]
	v_add_f64 v[3:4], v[3:4], v[90:91]
	v_add_f64 v[1:2], v[1:2], v[92:93]
	s_andn2_b32 exec_lo, exec_lo, s5
	s_cbranch_execnz .LBB102_61
; %bb.62:
	s_or_b32 exec_lo, exec_lo, s5
	v_mov_b32_e32 v85, 0
	ds_read_b128 v[85:88], v85 offset:192
	s_waitcnt lgkmcnt(0)
	v_mul_f64 v[90:91], v[1:2], v[87:88]
	v_mul_f64 v[87:88], v[3:4], v[87:88]
	v_fma_f64 v[3:4], v[3:4], v[85:86], -v[90:91]
	v_fma_f64 v[1:2], v[1:2], v[85:86], v[87:88]
	buffer_store_dword v4, off, s[0:3], 0 offset:212
	buffer_store_dword v3, off, s[0:3], 0 offset:208
	;; [unrolled: 1-line block ×4, first 2 shown]
.LBB102_63:
	s_or_b32 exec_lo, exec_lo, s4
	v_mov_b32_e32 v4, s38
	s_waitcnt_vscnt null, 0x0
	s_barrier
	buffer_gl0_inv
	s_mov_b32 s4, exec_lo
	s_clause 0x3
	buffer_load_dword v1, v4, s[0:3], 0 offen
	buffer_load_dword v2, v4, s[0:3], 0 offen offset:4
	buffer_load_dword v3, v4, s[0:3], 0 offen offset:8
	;; [unrolled: 1-line block ×3, first 2 shown]
	s_waitcnt vmcnt(0)
	ds_write_b128 v83, v[1:4]
	s_waitcnt lgkmcnt(0)
	s_barrier
	buffer_gl0_inv
	v_cmpx_gt_u32_e32 13, v0
	s_cbranch_execz .LBB102_67
; %bb.64:
	v_mov_b32_e32 v1, 0
	v_mov_b32_e32 v3, 0
	v_add_nc_u32_e32 v85, -1, v0
	v_add_nc_u32_e32 v86, 0x270, v89
	v_mov_b32_e32 v2, 0
	v_mov_b32_e32 v4, 0
	v_add_nc_u32_e32 v87, 16, v89
	s_mov_b32 s5, 0
	.p2align	6
.LBB102_65:                             ; =>This Inner Loop Header: Depth=1
	s_clause 0x3
	buffer_load_dword v94, v87, s[0:3], 0 offen offset:8
	buffer_load_dword v95, v87, s[0:3], 0 offen offset:12
	buffer_load_dword v96, v87, s[0:3], 0 offen
	buffer_load_dword v97, v87, s[0:3], 0 offen offset:4
	ds_read_b128 v[90:93], v86
	v_add_nc_u32_e32 v85, 1, v85
	v_add_nc_u32_e32 v86, 16, v86
	;; [unrolled: 1-line block ×3, first 2 shown]
	v_cmp_lt_u32_e32 vcc_lo, 11, v85
	s_or_b32 s5, vcc_lo, s5
	s_waitcnt vmcnt(2) lgkmcnt(0)
	v_mul_f64 v[98:99], v[92:93], v[94:95]
	v_mul_f64 v[94:95], v[90:91], v[94:95]
	s_waitcnt vmcnt(0)
	v_fma_f64 v[90:91], v[90:91], v[96:97], -v[98:99]
	v_fma_f64 v[92:93], v[92:93], v[96:97], v[94:95]
	v_add_f64 v[3:4], v[3:4], v[90:91]
	v_add_f64 v[1:2], v[1:2], v[92:93]
	s_andn2_b32 exec_lo, exec_lo, s5
	s_cbranch_execnz .LBB102_65
; %bb.66:
	s_or_b32 exec_lo, exec_lo, s5
	v_mov_b32_e32 v85, 0
	ds_read_b128 v[85:88], v85 offset:208
	s_waitcnt lgkmcnt(0)
	v_mul_f64 v[90:91], v[1:2], v[87:88]
	v_mul_f64 v[87:88], v[3:4], v[87:88]
	v_fma_f64 v[3:4], v[3:4], v[85:86], -v[90:91]
	v_fma_f64 v[1:2], v[1:2], v[85:86], v[87:88]
	buffer_store_dword v4, off, s[0:3], 0 offset:228
	buffer_store_dword v3, off, s[0:3], 0 offset:224
	;; [unrolled: 1-line block ×4, first 2 shown]
.LBB102_67:
	s_or_b32 exec_lo, exec_lo, s4
	v_mov_b32_e32 v4, s37
	s_waitcnt_vscnt null, 0x0
	s_barrier
	buffer_gl0_inv
	s_mov_b32 s4, exec_lo
	s_clause 0x3
	buffer_load_dword v1, v4, s[0:3], 0 offen
	buffer_load_dword v2, v4, s[0:3], 0 offen offset:4
	buffer_load_dword v3, v4, s[0:3], 0 offen offset:8
	;; [unrolled: 1-line block ×3, first 2 shown]
	s_waitcnt vmcnt(0)
	ds_write_b128 v83, v[1:4]
	s_waitcnt lgkmcnt(0)
	s_barrier
	buffer_gl0_inv
	v_cmpx_gt_u32_e32 14, v0
	s_cbranch_execz .LBB102_71
; %bb.68:
	v_mov_b32_e32 v1, 0
	v_mov_b32_e32 v3, 0
	v_add_nc_u32_e32 v85, -1, v0
	v_add_nc_u32_e32 v86, 0x270, v89
	v_mov_b32_e32 v2, 0
	v_mov_b32_e32 v4, 0
	v_add_nc_u32_e32 v87, 16, v89
	s_mov_b32 s5, 0
	.p2align	6
.LBB102_69:                             ; =>This Inner Loop Header: Depth=1
	s_clause 0x3
	buffer_load_dword v94, v87, s[0:3], 0 offen offset:8
	buffer_load_dword v95, v87, s[0:3], 0 offen offset:12
	buffer_load_dword v96, v87, s[0:3], 0 offen
	buffer_load_dword v97, v87, s[0:3], 0 offen offset:4
	ds_read_b128 v[90:93], v86
	v_add_nc_u32_e32 v85, 1, v85
	v_add_nc_u32_e32 v86, 16, v86
	;; [unrolled: 1-line block ×3, first 2 shown]
	v_cmp_lt_u32_e32 vcc_lo, 12, v85
	s_or_b32 s5, vcc_lo, s5
	s_waitcnt vmcnt(2) lgkmcnt(0)
	v_mul_f64 v[98:99], v[92:93], v[94:95]
	v_mul_f64 v[94:95], v[90:91], v[94:95]
	s_waitcnt vmcnt(0)
	v_fma_f64 v[90:91], v[90:91], v[96:97], -v[98:99]
	v_fma_f64 v[92:93], v[92:93], v[96:97], v[94:95]
	v_add_f64 v[3:4], v[3:4], v[90:91]
	v_add_f64 v[1:2], v[1:2], v[92:93]
	s_andn2_b32 exec_lo, exec_lo, s5
	s_cbranch_execnz .LBB102_69
; %bb.70:
	s_or_b32 exec_lo, exec_lo, s5
	v_mov_b32_e32 v85, 0
	ds_read_b128 v[85:88], v85 offset:224
	s_waitcnt lgkmcnt(0)
	v_mul_f64 v[90:91], v[1:2], v[87:88]
	v_mul_f64 v[87:88], v[3:4], v[87:88]
	v_fma_f64 v[3:4], v[3:4], v[85:86], -v[90:91]
	v_fma_f64 v[1:2], v[1:2], v[85:86], v[87:88]
	buffer_store_dword v4, off, s[0:3], 0 offset:244
	buffer_store_dword v3, off, s[0:3], 0 offset:240
	;; [unrolled: 1-line block ×4, first 2 shown]
.LBB102_71:
	s_or_b32 exec_lo, exec_lo, s4
	v_mov_b32_e32 v4, s36
	s_waitcnt_vscnt null, 0x0
	s_barrier
	buffer_gl0_inv
	s_mov_b32 s4, exec_lo
	s_clause 0x3
	buffer_load_dword v1, v4, s[0:3], 0 offen
	buffer_load_dword v2, v4, s[0:3], 0 offen offset:4
	buffer_load_dword v3, v4, s[0:3], 0 offen offset:8
	buffer_load_dword v4, v4, s[0:3], 0 offen offset:12
	s_waitcnt vmcnt(0)
	ds_write_b128 v83, v[1:4]
	s_waitcnt lgkmcnt(0)
	s_barrier
	buffer_gl0_inv
	v_cmpx_gt_u32_e32 15, v0
	s_cbranch_execz .LBB102_75
; %bb.72:
	v_mov_b32_e32 v1, 0
	v_mov_b32_e32 v3, 0
	v_add_nc_u32_e32 v85, -1, v0
	v_add_nc_u32_e32 v86, 0x270, v89
	v_mov_b32_e32 v2, 0
	v_mov_b32_e32 v4, 0
	v_add_nc_u32_e32 v87, 16, v89
	s_mov_b32 s5, 0
	.p2align	6
.LBB102_73:                             ; =>This Inner Loop Header: Depth=1
	s_clause 0x3
	buffer_load_dword v94, v87, s[0:3], 0 offen offset:8
	buffer_load_dword v95, v87, s[0:3], 0 offen offset:12
	buffer_load_dword v96, v87, s[0:3], 0 offen
	buffer_load_dword v97, v87, s[0:3], 0 offen offset:4
	ds_read_b128 v[90:93], v86
	v_add_nc_u32_e32 v85, 1, v85
	v_add_nc_u32_e32 v86, 16, v86
	;; [unrolled: 1-line block ×3, first 2 shown]
	v_cmp_lt_u32_e32 vcc_lo, 13, v85
	s_or_b32 s5, vcc_lo, s5
	s_waitcnt vmcnt(2) lgkmcnt(0)
	v_mul_f64 v[98:99], v[92:93], v[94:95]
	v_mul_f64 v[94:95], v[90:91], v[94:95]
	s_waitcnt vmcnt(0)
	v_fma_f64 v[90:91], v[90:91], v[96:97], -v[98:99]
	v_fma_f64 v[92:93], v[92:93], v[96:97], v[94:95]
	v_add_f64 v[3:4], v[3:4], v[90:91]
	v_add_f64 v[1:2], v[1:2], v[92:93]
	s_andn2_b32 exec_lo, exec_lo, s5
	s_cbranch_execnz .LBB102_73
; %bb.74:
	s_or_b32 exec_lo, exec_lo, s5
	v_mov_b32_e32 v85, 0
	ds_read_b128 v[85:88], v85 offset:240
	s_waitcnt lgkmcnt(0)
	v_mul_f64 v[90:91], v[1:2], v[87:88]
	v_mul_f64 v[87:88], v[3:4], v[87:88]
	v_fma_f64 v[3:4], v[3:4], v[85:86], -v[90:91]
	v_fma_f64 v[1:2], v[1:2], v[85:86], v[87:88]
	buffer_store_dword v4, off, s[0:3], 0 offset:260
	buffer_store_dword v3, off, s[0:3], 0 offset:256
	buffer_store_dword v2, off, s[0:3], 0 offset:268
	buffer_store_dword v1, off, s[0:3], 0 offset:264
.LBB102_75:
	s_or_b32 exec_lo, exec_lo, s4
	v_mov_b32_e32 v4, s35
	s_waitcnt_vscnt null, 0x0
	s_barrier
	buffer_gl0_inv
	s_mov_b32 s4, exec_lo
	s_clause 0x3
	buffer_load_dword v1, v4, s[0:3], 0 offen
	buffer_load_dword v2, v4, s[0:3], 0 offen offset:4
	buffer_load_dword v3, v4, s[0:3], 0 offen offset:8
	;; [unrolled: 1-line block ×3, first 2 shown]
	s_waitcnt vmcnt(0)
	ds_write_b128 v83, v[1:4]
	s_waitcnt lgkmcnt(0)
	s_barrier
	buffer_gl0_inv
	v_cmpx_gt_u32_e32 16, v0
	s_cbranch_execz .LBB102_79
; %bb.76:
	v_mov_b32_e32 v1, 0
	v_mov_b32_e32 v3, 0
	v_add_nc_u32_e32 v85, -1, v0
	v_add_nc_u32_e32 v86, 0x270, v89
	v_mov_b32_e32 v2, 0
	v_mov_b32_e32 v4, 0
	v_add_nc_u32_e32 v87, 16, v89
	s_mov_b32 s5, 0
	.p2align	6
.LBB102_77:                             ; =>This Inner Loop Header: Depth=1
	s_clause 0x3
	buffer_load_dword v94, v87, s[0:3], 0 offen offset:8
	buffer_load_dword v95, v87, s[0:3], 0 offen offset:12
	buffer_load_dword v96, v87, s[0:3], 0 offen
	buffer_load_dword v97, v87, s[0:3], 0 offen offset:4
	ds_read_b128 v[90:93], v86
	v_add_nc_u32_e32 v85, 1, v85
	v_add_nc_u32_e32 v86, 16, v86
	;; [unrolled: 1-line block ×3, first 2 shown]
	v_cmp_lt_u32_e32 vcc_lo, 14, v85
	s_or_b32 s5, vcc_lo, s5
	s_waitcnt vmcnt(2) lgkmcnt(0)
	v_mul_f64 v[98:99], v[92:93], v[94:95]
	v_mul_f64 v[94:95], v[90:91], v[94:95]
	s_waitcnt vmcnt(0)
	v_fma_f64 v[90:91], v[90:91], v[96:97], -v[98:99]
	v_fma_f64 v[92:93], v[92:93], v[96:97], v[94:95]
	v_add_f64 v[3:4], v[3:4], v[90:91]
	v_add_f64 v[1:2], v[1:2], v[92:93]
	s_andn2_b32 exec_lo, exec_lo, s5
	s_cbranch_execnz .LBB102_77
; %bb.78:
	s_or_b32 exec_lo, exec_lo, s5
	v_mov_b32_e32 v85, 0
	ds_read_b128 v[85:88], v85 offset:256
	s_waitcnt lgkmcnt(0)
	v_mul_f64 v[90:91], v[1:2], v[87:88]
	v_mul_f64 v[87:88], v[3:4], v[87:88]
	v_fma_f64 v[3:4], v[3:4], v[85:86], -v[90:91]
	v_fma_f64 v[1:2], v[1:2], v[85:86], v[87:88]
	buffer_store_dword v4, off, s[0:3], 0 offset:276
	buffer_store_dword v3, off, s[0:3], 0 offset:272
	;; [unrolled: 1-line block ×4, first 2 shown]
.LBB102_79:
	s_or_b32 exec_lo, exec_lo, s4
	v_mov_b32_e32 v4, s34
	s_waitcnt_vscnt null, 0x0
	s_barrier
	buffer_gl0_inv
	s_mov_b32 s4, exec_lo
	s_clause 0x3
	buffer_load_dword v1, v4, s[0:3], 0 offen
	buffer_load_dword v2, v4, s[0:3], 0 offen offset:4
	buffer_load_dword v3, v4, s[0:3], 0 offen offset:8
	;; [unrolled: 1-line block ×3, first 2 shown]
	s_waitcnt vmcnt(0)
	ds_write_b128 v83, v[1:4]
	s_waitcnt lgkmcnt(0)
	s_barrier
	buffer_gl0_inv
	v_cmpx_gt_u32_e32 17, v0
	s_cbranch_execz .LBB102_83
; %bb.80:
	v_mov_b32_e32 v1, 0
	v_mov_b32_e32 v3, 0
	v_add_nc_u32_e32 v85, -1, v0
	v_add_nc_u32_e32 v86, 0x270, v89
	v_mov_b32_e32 v2, 0
	v_mov_b32_e32 v4, 0
	v_add_nc_u32_e32 v87, 16, v89
	s_mov_b32 s5, 0
	.p2align	6
.LBB102_81:                             ; =>This Inner Loop Header: Depth=1
	s_clause 0x3
	buffer_load_dword v94, v87, s[0:3], 0 offen offset:8
	buffer_load_dword v95, v87, s[0:3], 0 offen offset:12
	buffer_load_dword v96, v87, s[0:3], 0 offen
	buffer_load_dword v97, v87, s[0:3], 0 offen offset:4
	ds_read_b128 v[90:93], v86
	v_add_nc_u32_e32 v85, 1, v85
	v_add_nc_u32_e32 v86, 16, v86
	;; [unrolled: 1-line block ×3, first 2 shown]
	v_cmp_lt_u32_e32 vcc_lo, 15, v85
	s_or_b32 s5, vcc_lo, s5
	s_waitcnt vmcnt(2) lgkmcnt(0)
	v_mul_f64 v[98:99], v[92:93], v[94:95]
	v_mul_f64 v[94:95], v[90:91], v[94:95]
	s_waitcnt vmcnt(0)
	v_fma_f64 v[90:91], v[90:91], v[96:97], -v[98:99]
	v_fma_f64 v[92:93], v[92:93], v[96:97], v[94:95]
	v_add_f64 v[3:4], v[3:4], v[90:91]
	v_add_f64 v[1:2], v[1:2], v[92:93]
	s_andn2_b32 exec_lo, exec_lo, s5
	s_cbranch_execnz .LBB102_81
; %bb.82:
	s_or_b32 exec_lo, exec_lo, s5
	v_mov_b32_e32 v85, 0
	ds_read_b128 v[85:88], v85 offset:272
	s_waitcnt lgkmcnt(0)
	v_mul_f64 v[90:91], v[1:2], v[87:88]
	v_mul_f64 v[87:88], v[3:4], v[87:88]
	v_fma_f64 v[3:4], v[3:4], v[85:86], -v[90:91]
	v_fma_f64 v[1:2], v[1:2], v[85:86], v[87:88]
	buffer_store_dword v4, off, s[0:3], 0 offset:292
	buffer_store_dword v3, off, s[0:3], 0 offset:288
	;; [unrolled: 1-line block ×4, first 2 shown]
.LBB102_83:
	s_or_b32 exec_lo, exec_lo, s4
	v_mov_b32_e32 v4, s33
	s_waitcnt_vscnt null, 0x0
	s_barrier
	buffer_gl0_inv
	s_mov_b32 s4, exec_lo
	s_clause 0x3
	buffer_load_dword v1, v4, s[0:3], 0 offen
	buffer_load_dword v2, v4, s[0:3], 0 offen offset:4
	buffer_load_dword v3, v4, s[0:3], 0 offen offset:8
	;; [unrolled: 1-line block ×3, first 2 shown]
	s_waitcnt vmcnt(0)
	ds_write_b128 v83, v[1:4]
	s_waitcnt lgkmcnt(0)
	s_barrier
	buffer_gl0_inv
	v_cmpx_gt_u32_e32 18, v0
	s_cbranch_execz .LBB102_87
; %bb.84:
	v_mov_b32_e32 v1, 0
	v_mov_b32_e32 v3, 0
	v_add_nc_u32_e32 v85, -1, v0
	v_add_nc_u32_e32 v86, 0x270, v89
	v_mov_b32_e32 v2, 0
	v_mov_b32_e32 v4, 0
	v_add_nc_u32_e32 v87, 16, v89
	s_mov_b32 s5, 0
	.p2align	6
.LBB102_85:                             ; =>This Inner Loop Header: Depth=1
	s_clause 0x3
	buffer_load_dword v94, v87, s[0:3], 0 offen offset:8
	buffer_load_dword v95, v87, s[0:3], 0 offen offset:12
	buffer_load_dword v96, v87, s[0:3], 0 offen
	buffer_load_dword v97, v87, s[0:3], 0 offen offset:4
	ds_read_b128 v[90:93], v86
	v_add_nc_u32_e32 v85, 1, v85
	v_add_nc_u32_e32 v86, 16, v86
	;; [unrolled: 1-line block ×3, first 2 shown]
	v_cmp_lt_u32_e32 vcc_lo, 16, v85
	s_or_b32 s5, vcc_lo, s5
	s_waitcnt vmcnt(2) lgkmcnt(0)
	v_mul_f64 v[98:99], v[92:93], v[94:95]
	v_mul_f64 v[94:95], v[90:91], v[94:95]
	s_waitcnt vmcnt(0)
	v_fma_f64 v[90:91], v[90:91], v[96:97], -v[98:99]
	v_fma_f64 v[92:93], v[92:93], v[96:97], v[94:95]
	v_add_f64 v[3:4], v[3:4], v[90:91]
	v_add_f64 v[1:2], v[1:2], v[92:93]
	s_andn2_b32 exec_lo, exec_lo, s5
	s_cbranch_execnz .LBB102_85
; %bb.86:
	s_or_b32 exec_lo, exec_lo, s5
	v_mov_b32_e32 v85, 0
	ds_read_b128 v[85:88], v85 offset:288
	s_waitcnt lgkmcnt(0)
	v_mul_f64 v[90:91], v[1:2], v[87:88]
	v_mul_f64 v[87:88], v[3:4], v[87:88]
	v_fma_f64 v[3:4], v[3:4], v[85:86], -v[90:91]
	v_fma_f64 v[1:2], v[1:2], v[85:86], v[87:88]
	buffer_store_dword v4, off, s[0:3], 0 offset:308
	buffer_store_dword v3, off, s[0:3], 0 offset:304
	buffer_store_dword v2, off, s[0:3], 0 offset:316
	buffer_store_dword v1, off, s[0:3], 0 offset:312
.LBB102_87:
	s_or_b32 exec_lo, exec_lo, s4
	v_mov_b32_e32 v4, s31
	s_waitcnt_vscnt null, 0x0
	s_barrier
	buffer_gl0_inv
	s_mov_b32 s4, exec_lo
	s_clause 0x3
	buffer_load_dword v1, v4, s[0:3], 0 offen
	buffer_load_dword v2, v4, s[0:3], 0 offen offset:4
	buffer_load_dword v3, v4, s[0:3], 0 offen offset:8
	;; [unrolled: 1-line block ×3, first 2 shown]
	s_waitcnt vmcnt(0)
	ds_write_b128 v83, v[1:4]
	s_waitcnt lgkmcnt(0)
	s_barrier
	buffer_gl0_inv
	v_cmpx_gt_u32_e32 19, v0
	s_cbranch_execz .LBB102_91
; %bb.88:
	v_mov_b32_e32 v1, 0
	v_mov_b32_e32 v3, 0
	v_add_nc_u32_e32 v85, -1, v0
	v_add_nc_u32_e32 v86, 0x270, v89
	v_mov_b32_e32 v2, 0
	v_mov_b32_e32 v4, 0
	v_add_nc_u32_e32 v87, 16, v89
	s_mov_b32 s5, 0
	.p2align	6
.LBB102_89:                             ; =>This Inner Loop Header: Depth=1
	s_clause 0x3
	buffer_load_dword v94, v87, s[0:3], 0 offen offset:8
	buffer_load_dword v95, v87, s[0:3], 0 offen offset:12
	buffer_load_dword v96, v87, s[0:3], 0 offen
	buffer_load_dword v97, v87, s[0:3], 0 offen offset:4
	ds_read_b128 v[90:93], v86
	v_add_nc_u32_e32 v85, 1, v85
	v_add_nc_u32_e32 v86, 16, v86
	;; [unrolled: 1-line block ×3, first 2 shown]
	v_cmp_lt_u32_e32 vcc_lo, 17, v85
	s_or_b32 s5, vcc_lo, s5
	s_waitcnt vmcnt(2) lgkmcnt(0)
	v_mul_f64 v[98:99], v[92:93], v[94:95]
	v_mul_f64 v[94:95], v[90:91], v[94:95]
	s_waitcnt vmcnt(0)
	v_fma_f64 v[90:91], v[90:91], v[96:97], -v[98:99]
	v_fma_f64 v[92:93], v[92:93], v[96:97], v[94:95]
	v_add_f64 v[3:4], v[3:4], v[90:91]
	v_add_f64 v[1:2], v[1:2], v[92:93]
	s_andn2_b32 exec_lo, exec_lo, s5
	s_cbranch_execnz .LBB102_89
; %bb.90:
	s_or_b32 exec_lo, exec_lo, s5
	v_mov_b32_e32 v85, 0
	ds_read_b128 v[85:88], v85 offset:304
	s_waitcnt lgkmcnt(0)
	v_mul_f64 v[90:91], v[1:2], v[87:88]
	v_mul_f64 v[87:88], v[3:4], v[87:88]
	v_fma_f64 v[3:4], v[3:4], v[85:86], -v[90:91]
	v_fma_f64 v[1:2], v[1:2], v[85:86], v[87:88]
	buffer_store_dword v4, off, s[0:3], 0 offset:324
	buffer_store_dword v3, off, s[0:3], 0 offset:320
	;; [unrolled: 1-line block ×4, first 2 shown]
.LBB102_91:
	s_or_b32 exec_lo, exec_lo, s4
	v_mov_b32_e32 v4, s30
	s_waitcnt_vscnt null, 0x0
	s_barrier
	buffer_gl0_inv
	s_mov_b32 s4, exec_lo
	s_clause 0x3
	buffer_load_dword v1, v4, s[0:3], 0 offen
	buffer_load_dword v2, v4, s[0:3], 0 offen offset:4
	buffer_load_dword v3, v4, s[0:3], 0 offen offset:8
	;; [unrolled: 1-line block ×3, first 2 shown]
	s_waitcnt vmcnt(0)
	ds_write_b128 v83, v[1:4]
	s_waitcnt lgkmcnt(0)
	s_barrier
	buffer_gl0_inv
	v_cmpx_gt_u32_e32 20, v0
	s_cbranch_execz .LBB102_95
; %bb.92:
	v_mov_b32_e32 v1, 0
	v_mov_b32_e32 v3, 0
	v_add_nc_u32_e32 v85, -1, v0
	v_add_nc_u32_e32 v86, 0x270, v89
	v_mov_b32_e32 v2, 0
	v_mov_b32_e32 v4, 0
	v_add_nc_u32_e32 v87, 16, v89
	s_mov_b32 s5, 0
	.p2align	6
.LBB102_93:                             ; =>This Inner Loop Header: Depth=1
	s_clause 0x3
	buffer_load_dword v94, v87, s[0:3], 0 offen offset:8
	buffer_load_dword v95, v87, s[0:3], 0 offen offset:12
	buffer_load_dword v96, v87, s[0:3], 0 offen
	buffer_load_dword v97, v87, s[0:3], 0 offen offset:4
	ds_read_b128 v[90:93], v86
	v_add_nc_u32_e32 v85, 1, v85
	v_add_nc_u32_e32 v86, 16, v86
	;; [unrolled: 1-line block ×3, first 2 shown]
	v_cmp_lt_u32_e32 vcc_lo, 18, v85
	s_or_b32 s5, vcc_lo, s5
	s_waitcnt vmcnt(2) lgkmcnt(0)
	v_mul_f64 v[98:99], v[92:93], v[94:95]
	v_mul_f64 v[94:95], v[90:91], v[94:95]
	s_waitcnt vmcnt(0)
	v_fma_f64 v[90:91], v[90:91], v[96:97], -v[98:99]
	v_fma_f64 v[92:93], v[92:93], v[96:97], v[94:95]
	v_add_f64 v[3:4], v[3:4], v[90:91]
	v_add_f64 v[1:2], v[1:2], v[92:93]
	s_andn2_b32 exec_lo, exec_lo, s5
	s_cbranch_execnz .LBB102_93
; %bb.94:
	s_or_b32 exec_lo, exec_lo, s5
	v_mov_b32_e32 v85, 0
	ds_read_b128 v[85:88], v85 offset:320
	s_waitcnt lgkmcnt(0)
	v_mul_f64 v[90:91], v[1:2], v[87:88]
	v_mul_f64 v[87:88], v[3:4], v[87:88]
	v_fma_f64 v[3:4], v[3:4], v[85:86], -v[90:91]
	v_fma_f64 v[1:2], v[1:2], v[85:86], v[87:88]
	buffer_store_dword v4, off, s[0:3], 0 offset:340
	buffer_store_dword v3, off, s[0:3], 0 offset:336
	;; [unrolled: 1-line block ×4, first 2 shown]
.LBB102_95:
	s_or_b32 exec_lo, exec_lo, s4
	v_mov_b32_e32 v4, s29
	s_waitcnt_vscnt null, 0x0
	s_barrier
	buffer_gl0_inv
	s_mov_b32 s4, exec_lo
	s_clause 0x3
	buffer_load_dword v1, v4, s[0:3], 0 offen
	buffer_load_dword v2, v4, s[0:3], 0 offen offset:4
	buffer_load_dword v3, v4, s[0:3], 0 offen offset:8
	;; [unrolled: 1-line block ×3, first 2 shown]
	s_waitcnt vmcnt(0)
	ds_write_b128 v83, v[1:4]
	s_waitcnt lgkmcnt(0)
	s_barrier
	buffer_gl0_inv
	v_cmpx_gt_u32_e32 21, v0
	s_cbranch_execz .LBB102_99
; %bb.96:
	v_mov_b32_e32 v1, 0
	v_mov_b32_e32 v3, 0
	v_add_nc_u32_e32 v85, -1, v0
	v_add_nc_u32_e32 v86, 0x270, v89
	v_mov_b32_e32 v2, 0
	v_mov_b32_e32 v4, 0
	v_add_nc_u32_e32 v87, 16, v89
	s_mov_b32 s5, 0
	.p2align	6
.LBB102_97:                             ; =>This Inner Loop Header: Depth=1
	s_clause 0x3
	buffer_load_dword v94, v87, s[0:3], 0 offen offset:8
	buffer_load_dword v95, v87, s[0:3], 0 offen offset:12
	buffer_load_dword v96, v87, s[0:3], 0 offen
	buffer_load_dword v97, v87, s[0:3], 0 offen offset:4
	ds_read_b128 v[90:93], v86
	v_add_nc_u32_e32 v85, 1, v85
	v_add_nc_u32_e32 v86, 16, v86
	v_add_nc_u32_e32 v87, 16, v87
	v_cmp_lt_u32_e32 vcc_lo, 19, v85
	s_or_b32 s5, vcc_lo, s5
	s_waitcnt vmcnt(2) lgkmcnt(0)
	v_mul_f64 v[98:99], v[92:93], v[94:95]
	v_mul_f64 v[94:95], v[90:91], v[94:95]
	s_waitcnt vmcnt(0)
	v_fma_f64 v[90:91], v[90:91], v[96:97], -v[98:99]
	v_fma_f64 v[92:93], v[92:93], v[96:97], v[94:95]
	v_add_f64 v[3:4], v[3:4], v[90:91]
	v_add_f64 v[1:2], v[1:2], v[92:93]
	s_andn2_b32 exec_lo, exec_lo, s5
	s_cbranch_execnz .LBB102_97
; %bb.98:
	s_or_b32 exec_lo, exec_lo, s5
	v_mov_b32_e32 v85, 0
	ds_read_b128 v[85:88], v85 offset:336
	s_waitcnt lgkmcnt(0)
	v_mul_f64 v[90:91], v[1:2], v[87:88]
	v_mul_f64 v[87:88], v[3:4], v[87:88]
	v_fma_f64 v[3:4], v[3:4], v[85:86], -v[90:91]
	v_fma_f64 v[1:2], v[1:2], v[85:86], v[87:88]
	buffer_store_dword v4, off, s[0:3], 0 offset:356
	buffer_store_dword v3, off, s[0:3], 0 offset:352
	;; [unrolled: 1-line block ×4, first 2 shown]
.LBB102_99:
	s_or_b32 exec_lo, exec_lo, s4
	v_mov_b32_e32 v4, s28
	s_waitcnt_vscnt null, 0x0
	s_barrier
	buffer_gl0_inv
	s_mov_b32 s4, exec_lo
	s_clause 0x3
	buffer_load_dword v1, v4, s[0:3], 0 offen
	buffer_load_dword v2, v4, s[0:3], 0 offen offset:4
	buffer_load_dword v3, v4, s[0:3], 0 offen offset:8
	;; [unrolled: 1-line block ×3, first 2 shown]
	s_waitcnt vmcnt(0)
	ds_write_b128 v83, v[1:4]
	s_waitcnt lgkmcnt(0)
	s_barrier
	buffer_gl0_inv
	v_cmpx_gt_u32_e32 22, v0
	s_cbranch_execz .LBB102_103
; %bb.100:
	v_mov_b32_e32 v1, 0
	v_mov_b32_e32 v3, 0
	v_add_nc_u32_e32 v85, -1, v0
	v_add_nc_u32_e32 v86, 0x270, v89
	v_mov_b32_e32 v2, 0
	v_mov_b32_e32 v4, 0
	v_add_nc_u32_e32 v87, 16, v89
	s_mov_b32 s5, 0
	.p2align	6
.LBB102_101:                            ; =>This Inner Loop Header: Depth=1
	s_clause 0x3
	buffer_load_dword v94, v87, s[0:3], 0 offen offset:8
	buffer_load_dword v95, v87, s[0:3], 0 offen offset:12
	buffer_load_dword v96, v87, s[0:3], 0 offen
	buffer_load_dword v97, v87, s[0:3], 0 offen offset:4
	ds_read_b128 v[90:93], v86
	v_add_nc_u32_e32 v85, 1, v85
	v_add_nc_u32_e32 v86, 16, v86
	v_add_nc_u32_e32 v87, 16, v87
	v_cmp_lt_u32_e32 vcc_lo, 20, v85
	s_or_b32 s5, vcc_lo, s5
	s_waitcnt vmcnt(2) lgkmcnt(0)
	v_mul_f64 v[98:99], v[92:93], v[94:95]
	v_mul_f64 v[94:95], v[90:91], v[94:95]
	s_waitcnt vmcnt(0)
	v_fma_f64 v[90:91], v[90:91], v[96:97], -v[98:99]
	v_fma_f64 v[92:93], v[92:93], v[96:97], v[94:95]
	v_add_f64 v[3:4], v[3:4], v[90:91]
	v_add_f64 v[1:2], v[1:2], v[92:93]
	s_andn2_b32 exec_lo, exec_lo, s5
	s_cbranch_execnz .LBB102_101
; %bb.102:
	s_or_b32 exec_lo, exec_lo, s5
	v_mov_b32_e32 v85, 0
	ds_read_b128 v[85:88], v85 offset:352
	s_waitcnt lgkmcnt(0)
	v_mul_f64 v[90:91], v[1:2], v[87:88]
	v_mul_f64 v[87:88], v[3:4], v[87:88]
	v_fma_f64 v[3:4], v[3:4], v[85:86], -v[90:91]
	v_fma_f64 v[1:2], v[1:2], v[85:86], v[87:88]
	buffer_store_dword v4, off, s[0:3], 0 offset:372
	buffer_store_dword v3, off, s[0:3], 0 offset:368
	;; [unrolled: 1-line block ×4, first 2 shown]
.LBB102_103:
	s_or_b32 exec_lo, exec_lo, s4
	v_mov_b32_e32 v4, s27
	s_waitcnt_vscnt null, 0x0
	s_barrier
	buffer_gl0_inv
	s_mov_b32 s4, exec_lo
	s_clause 0x3
	buffer_load_dword v1, v4, s[0:3], 0 offen
	buffer_load_dword v2, v4, s[0:3], 0 offen offset:4
	buffer_load_dword v3, v4, s[0:3], 0 offen offset:8
	;; [unrolled: 1-line block ×3, first 2 shown]
	s_waitcnt vmcnt(0)
	ds_write_b128 v83, v[1:4]
	s_waitcnt lgkmcnt(0)
	s_barrier
	buffer_gl0_inv
	v_cmpx_gt_u32_e32 23, v0
	s_cbranch_execz .LBB102_107
; %bb.104:
	v_mov_b32_e32 v1, 0
	v_mov_b32_e32 v3, 0
	v_add_nc_u32_e32 v85, -1, v0
	v_add_nc_u32_e32 v86, 0x270, v89
	v_mov_b32_e32 v2, 0
	v_mov_b32_e32 v4, 0
	v_add_nc_u32_e32 v87, 16, v89
	s_mov_b32 s5, 0
	.p2align	6
.LBB102_105:                            ; =>This Inner Loop Header: Depth=1
	s_clause 0x3
	buffer_load_dword v94, v87, s[0:3], 0 offen offset:8
	buffer_load_dword v95, v87, s[0:3], 0 offen offset:12
	buffer_load_dword v96, v87, s[0:3], 0 offen
	buffer_load_dword v97, v87, s[0:3], 0 offen offset:4
	ds_read_b128 v[90:93], v86
	v_add_nc_u32_e32 v85, 1, v85
	v_add_nc_u32_e32 v86, 16, v86
	;; [unrolled: 1-line block ×3, first 2 shown]
	v_cmp_lt_u32_e32 vcc_lo, 21, v85
	s_or_b32 s5, vcc_lo, s5
	s_waitcnt vmcnt(2) lgkmcnt(0)
	v_mul_f64 v[98:99], v[92:93], v[94:95]
	v_mul_f64 v[94:95], v[90:91], v[94:95]
	s_waitcnt vmcnt(0)
	v_fma_f64 v[90:91], v[90:91], v[96:97], -v[98:99]
	v_fma_f64 v[92:93], v[92:93], v[96:97], v[94:95]
	v_add_f64 v[3:4], v[3:4], v[90:91]
	v_add_f64 v[1:2], v[1:2], v[92:93]
	s_andn2_b32 exec_lo, exec_lo, s5
	s_cbranch_execnz .LBB102_105
; %bb.106:
	s_or_b32 exec_lo, exec_lo, s5
	v_mov_b32_e32 v85, 0
	ds_read_b128 v[85:88], v85 offset:368
	s_waitcnt lgkmcnt(0)
	v_mul_f64 v[90:91], v[1:2], v[87:88]
	v_mul_f64 v[87:88], v[3:4], v[87:88]
	v_fma_f64 v[3:4], v[3:4], v[85:86], -v[90:91]
	v_fma_f64 v[1:2], v[1:2], v[85:86], v[87:88]
	buffer_store_dword v4, off, s[0:3], 0 offset:388
	buffer_store_dword v3, off, s[0:3], 0 offset:384
	;; [unrolled: 1-line block ×4, first 2 shown]
.LBB102_107:
	s_or_b32 exec_lo, exec_lo, s4
	v_mov_b32_e32 v4, s26
	s_waitcnt_vscnt null, 0x0
	s_barrier
	buffer_gl0_inv
	s_mov_b32 s4, exec_lo
	s_clause 0x3
	buffer_load_dword v1, v4, s[0:3], 0 offen
	buffer_load_dword v2, v4, s[0:3], 0 offen offset:4
	buffer_load_dword v3, v4, s[0:3], 0 offen offset:8
	buffer_load_dword v4, v4, s[0:3], 0 offen offset:12
	s_waitcnt vmcnt(0)
	ds_write_b128 v83, v[1:4]
	s_waitcnt lgkmcnt(0)
	s_barrier
	buffer_gl0_inv
	v_cmpx_gt_u32_e32 24, v0
	s_cbranch_execz .LBB102_111
; %bb.108:
	v_mov_b32_e32 v1, 0
	v_mov_b32_e32 v3, 0
	v_add_nc_u32_e32 v85, -1, v0
	v_add_nc_u32_e32 v86, 0x270, v89
	v_mov_b32_e32 v2, 0
	v_mov_b32_e32 v4, 0
	v_add_nc_u32_e32 v87, 16, v89
	s_mov_b32 s5, 0
	.p2align	6
.LBB102_109:                            ; =>This Inner Loop Header: Depth=1
	s_clause 0x3
	buffer_load_dword v94, v87, s[0:3], 0 offen offset:8
	buffer_load_dword v95, v87, s[0:3], 0 offen offset:12
	buffer_load_dword v96, v87, s[0:3], 0 offen
	buffer_load_dword v97, v87, s[0:3], 0 offen offset:4
	ds_read_b128 v[90:93], v86
	v_add_nc_u32_e32 v85, 1, v85
	v_add_nc_u32_e32 v86, 16, v86
	;; [unrolled: 1-line block ×3, first 2 shown]
	v_cmp_lt_u32_e32 vcc_lo, 22, v85
	s_or_b32 s5, vcc_lo, s5
	s_waitcnt vmcnt(2) lgkmcnt(0)
	v_mul_f64 v[98:99], v[92:93], v[94:95]
	v_mul_f64 v[94:95], v[90:91], v[94:95]
	s_waitcnt vmcnt(0)
	v_fma_f64 v[90:91], v[90:91], v[96:97], -v[98:99]
	v_fma_f64 v[92:93], v[92:93], v[96:97], v[94:95]
	v_add_f64 v[3:4], v[3:4], v[90:91]
	v_add_f64 v[1:2], v[1:2], v[92:93]
	s_andn2_b32 exec_lo, exec_lo, s5
	s_cbranch_execnz .LBB102_109
; %bb.110:
	s_or_b32 exec_lo, exec_lo, s5
	v_mov_b32_e32 v85, 0
	ds_read_b128 v[85:88], v85 offset:384
	s_waitcnt lgkmcnt(0)
	v_mul_f64 v[90:91], v[1:2], v[87:88]
	v_mul_f64 v[87:88], v[3:4], v[87:88]
	v_fma_f64 v[3:4], v[3:4], v[85:86], -v[90:91]
	v_fma_f64 v[1:2], v[1:2], v[85:86], v[87:88]
	buffer_store_dword v4, off, s[0:3], 0 offset:404
	buffer_store_dword v3, off, s[0:3], 0 offset:400
	;; [unrolled: 1-line block ×4, first 2 shown]
.LBB102_111:
	s_or_b32 exec_lo, exec_lo, s4
	v_mov_b32_e32 v4, s25
	s_waitcnt_vscnt null, 0x0
	s_barrier
	buffer_gl0_inv
	s_mov_b32 s4, exec_lo
	s_clause 0x3
	buffer_load_dword v1, v4, s[0:3], 0 offen
	buffer_load_dword v2, v4, s[0:3], 0 offen offset:4
	buffer_load_dword v3, v4, s[0:3], 0 offen offset:8
	;; [unrolled: 1-line block ×3, first 2 shown]
	s_waitcnt vmcnt(0)
	ds_write_b128 v83, v[1:4]
	s_waitcnt lgkmcnt(0)
	s_barrier
	buffer_gl0_inv
	v_cmpx_gt_u32_e32 25, v0
	s_cbranch_execz .LBB102_115
; %bb.112:
	v_mov_b32_e32 v1, 0
	v_mov_b32_e32 v3, 0
	v_add_nc_u32_e32 v85, -1, v0
	v_add_nc_u32_e32 v86, 0x270, v89
	v_mov_b32_e32 v2, 0
	v_mov_b32_e32 v4, 0
	v_add_nc_u32_e32 v87, 16, v89
	s_mov_b32 s5, 0
	.p2align	6
.LBB102_113:                            ; =>This Inner Loop Header: Depth=1
	s_clause 0x3
	buffer_load_dword v94, v87, s[0:3], 0 offen offset:8
	buffer_load_dword v95, v87, s[0:3], 0 offen offset:12
	buffer_load_dword v96, v87, s[0:3], 0 offen
	buffer_load_dword v97, v87, s[0:3], 0 offen offset:4
	ds_read_b128 v[90:93], v86
	v_add_nc_u32_e32 v85, 1, v85
	v_add_nc_u32_e32 v86, 16, v86
	;; [unrolled: 1-line block ×3, first 2 shown]
	v_cmp_lt_u32_e32 vcc_lo, 23, v85
	s_or_b32 s5, vcc_lo, s5
	s_waitcnt vmcnt(2) lgkmcnt(0)
	v_mul_f64 v[98:99], v[92:93], v[94:95]
	v_mul_f64 v[94:95], v[90:91], v[94:95]
	s_waitcnt vmcnt(0)
	v_fma_f64 v[90:91], v[90:91], v[96:97], -v[98:99]
	v_fma_f64 v[92:93], v[92:93], v[96:97], v[94:95]
	v_add_f64 v[3:4], v[3:4], v[90:91]
	v_add_f64 v[1:2], v[1:2], v[92:93]
	s_andn2_b32 exec_lo, exec_lo, s5
	s_cbranch_execnz .LBB102_113
; %bb.114:
	s_or_b32 exec_lo, exec_lo, s5
	v_mov_b32_e32 v85, 0
	ds_read_b128 v[85:88], v85 offset:400
	s_waitcnt lgkmcnt(0)
	v_mul_f64 v[90:91], v[1:2], v[87:88]
	v_mul_f64 v[87:88], v[3:4], v[87:88]
	v_fma_f64 v[3:4], v[3:4], v[85:86], -v[90:91]
	v_fma_f64 v[1:2], v[1:2], v[85:86], v[87:88]
	buffer_store_dword v4, off, s[0:3], 0 offset:420
	buffer_store_dword v3, off, s[0:3], 0 offset:416
	;; [unrolled: 1-line block ×4, first 2 shown]
.LBB102_115:
	s_or_b32 exec_lo, exec_lo, s4
	v_mov_b32_e32 v4, s24
	s_waitcnt_vscnt null, 0x0
	s_barrier
	buffer_gl0_inv
	s_mov_b32 s4, exec_lo
	s_clause 0x3
	buffer_load_dword v1, v4, s[0:3], 0 offen
	buffer_load_dword v2, v4, s[0:3], 0 offen offset:4
	buffer_load_dword v3, v4, s[0:3], 0 offen offset:8
	;; [unrolled: 1-line block ×3, first 2 shown]
	s_waitcnt vmcnt(0)
	ds_write_b128 v83, v[1:4]
	s_waitcnt lgkmcnt(0)
	s_barrier
	buffer_gl0_inv
	v_cmpx_gt_u32_e32 26, v0
	s_cbranch_execz .LBB102_119
; %bb.116:
	v_mov_b32_e32 v1, 0
	v_mov_b32_e32 v3, 0
	v_add_nc_u32_e32 v85, -1, v0
	v_add_nc_u32_e32 v86, 0x270, v89
	v_mov_b32_e32 v2, 0
	v_mov_b32_e32 v4, 0
	v_add_nc_u32_e32 v87, 16, v89
	s_mov_b32 s5, 0
	.p2align	6
.LBB102_117:                            ; =>This Inner Loop Header: Depth=1
	s_clause 0x3
	buffer_load_dword v94, v87, s[0:3], 0 offen offset:8
	buffer_load_dword v95, v87, s[0:3], 0 offen offset:12
	buffer_load_dword v96, v87, s[0:3], 0 offen
	buffer_load_dword v97, v87, s[0:3], 0 offen offset:4
	ds_read_b128 v[90:93], v86
	v_add_nc_u32_e32 v85, 1, v85
	v_add_nc_u32_e32 v86, 16, v86
	;; [unrolled: 1-line block ×3, first 2 shown]
	v_cmp_lt_u32_e32 vcc_lo, 24, v85
	s_or_b32 s5, vcc_lo, s5
	s_waitcnt vmcnt(2) lgkmcnt(0)
	v_mul_f64 v[98:99], v[92:93], v[94:95]
	v_mul_f64 v[94:95], v[90:91], v[94:95]
	s_waitcnt vmcnt(0)
	v_fma_f64 v[90:91], v[90:91], v[96:97], -v[98:99]
	v_fma_f64 v[92:93], v[92:93], v[96:97], v[94:95]
	v_add_f64 v[3:4], v[3:4], v[90:91]
	v_add_f64 v[1:2], v[1:2], v[92:93]
	s_andn2_b32 exec_lo, exec_lo, s5
	s_cbranch_execnz .LBB102_117
; %bb.118:
	s_or_b32 exec_lo, exec_lo, s5
	v_mov_b32_e32 v85, 0
	ds_read_b128 v[85:88], v85 offset:416
	s_waitcnt lgkmcnt(0)
	v_mul_f64 v[90:91], v[1:2], v[87:88]
	v_mul_f64 v[87:88], v[3:4], v[87:88]
	v_fma_f64 v[3:4], v[3:4], v[85:86], -v[90:91]
	v_fma_f64 v[1:2], v[1:2], v[85:86], v[87:88]
	buffer_store_dword v4, off, s[0:3], 0 offset:436
	buffer_store_dword v3, off, s[0:3], 0 offset:432
	;; [unrolled: 1-line block ×4, first 2 shown]
.LBB102_119:
	s_or_b32 exec_lo, exec_lo, s4
	v_mov_b32_e32 v4, s23
	s_waitcnt_vscnt null, 0x0
	s_barrier
	buffer_gl0_inv
	s_mov_b32 s4, exec_lo
	s_clause 0x3
	buffer_load_dword v1, v4, s[0:3], 0 offen
	buffer_load_dword v2, v4, s[0:3], 0 offen offset:4
	buffer_load_dword v3, v4, s[0:3], 0 offen offset:8
	;; [unrolled: 1-line block ×3, first 2 shown]
	s_waitcnt vmcnt(0)
	ds_write_b128 v83, v[1:4]
	s_waitcnt lgkmcnt(0)
	s_barrier
	buffer_gl0_inv
	v_cmpx_gt_u32_e32 27, v0
	s_cbranch_execz .LBB102_123
; %bb.120:
	v_mov_b32_e32 v1, 0
	v_mov_b32_e32 v3, 0
	v_add_nc_u32_e32 v85, -1, v0
	v_add_nc_u32_e32 v86, 0x270, v89
	v_mov_b32_e32 v2, 0
	v_mov_b32_e32 v4, 0
	v_add_nc_u32_e32 v87, 16, v89
	s_mov_b32 s5, 0
	.p2align	6
.LBB102_121:                            ; =>This Inner Loop Header: Depth=1
	s_clause 0x3
	buffer_load_dword v94, v87, s[0:3], 0 offen offset:8
	buffer_load_dword v95, v87, s[0:3], 0 offen offset:12
	buffer_load_dword v96, v87, s[0:3], 0 offen
	buffer_load_dword v97, v87, s[0:3], 0 offen offset:4
	ds_read_b128 v[90:93], v86
	v_add_nc_u32_e32 v85, 1, v85
	v_add_nc_u32_e32 v86, 16, v86
	;; [unrolled: 1-line block ×3, first 2 shown]
	v_cmp_lt_u32_e32 vcc_lo, 25, v85
	s_or_b32 s5, vcc_lo, s5
	s_waitcnt vmcnt(2) lgkmcnt(0)
	v_mul_f64 v[98:99], v[92:93], v[94:95]
	v_mul_f64 v[94:95], v[90:91], v[94:95]
	s_waitcnt vmcnt(0)
	v_fma_f64 v[90:91], v[90:91], v[96:97], -v[98:99]
	v_fma_f64 v[92:93], v[92:93], v[96:97], v[94:95]
	v_add_f64 v[3:4], v[3:4], v[90:91]
	v_add_f64 v[1:2], v[1:2], v[92:93]
	s_andn2_b32 exec_lo, exec_lo, s5
	s_cbranch_execnz .LBB102_121
; %bb.122:
	s_or_b32 exec_lo, exec_lo, s5
	v_mov_b32_e32 v85, 0
	ds_read_b128 v[85:88], v85 offset:432
	s_waitcnt lgkmcnt(0)
	v_mul_f64 v[90:91], v[1:2], v[87:88]
	v_mul_f64 v[87:88], v[3:4], v[87:88]
	v_fma_f64 v[3:4], v[3:4], v[85:86], -v[90:91]
	v_fma_f64 v[1:2], v[1:2], v[85:86], v[87:88]
	buffer_store_dword v4, off, s[0:3], 0 offset:452
	buffer_store_dword v3, off, s[0:3], 0 offset:448
	;; [unrolled: 1-line block ×4, first 2 shown]
.LBB102_123:
	s_or_b32 exec_lo, exec_lo, s4
	v_mov_b32_e32 v4, s22
	s_waitcnt_vscnt null, 0x0
	s_barrier
	buffer_gl0_inv
	s_mov_b32 s4, exec_lo
	s_clause 0x3
	buffer_load_dword v1, v4, s[0:3], 0 offen
	buffer_load_dword v2, v4, s[0:3], 0 offen offset:4
	buffer_load_dword v3, v4, s[0:3], 0 offen offset:8
	;; [unrolled: 1-line block ×3, first 2 shown]
	s_waitcnt vmcnt(0)
	ds_write_b128 v83, v[1:4]
	s_waitcnt lgkmcnt(0)
	s_barrier
	buffer_gl0_inv
	v_cmpx_gt_u32_e32 28, v0
	s_cbranch_execz .LBB102_127
; %bb.124:
	v_mov_b32_e32 v1, 0
	v_mov_b32_e32 v3, 0
	v_add_nc_u32_e32 v85, -1, v0
	v_add_nc_u32_e32 v86, 0x270, v89
	v_mov_b32_e32 v2, 0
	v_mov_b32_e32 v4, 0
	v_add_nc_u32_e32 v87, 16, v89
	s_mov_b32 s5, 0
	.p2align	6
.LBB102_125:                            ; =>This Inner Loop Header: Depth=1
	s_clause 0x3
	buffer_load_dword v94, v87, s[0:3], 0 offen offset:8
	buffer_load_dword v95, v87, s[0:3], 0 offen offset:12
	buffer_load_dword v96, v87, s[0:3], 0 offen
	buffer_load_dword v97, v87, s[0:3], 0 offen offset:4
	ds_read_b128 v[90:93], v86
	v_add_nc_u32_e32 v85, 1, v85
	v_add_nc_u32_e32 v86, 16, v86
	;; [unrolled: 1-line block ×3, first 2 shown]
	v_cmp_lt_u32_e32 vcc_lo, 26, v85
	s_or_b32 s5, vcc_lo, s5
	s_waitcnt vmcnt(2) lgkmcnt(0)
	v_mul_f64 v[98:99], v[92:93], v[94:95]
	v_mul_f64 v[94:95], v[90:91], v[94:95]
	s_waitcnt vmcnt(0)
	v_fma_f64 v[90:91], v[90:91], v[96:97], -v[98:99]
	v_fma_f64 v[92:93], v[92:93], v[96:97], v[94:95]
	v_add_f64 v[3:4], v[3:4], v[90:91]
	v_add_f64 v[1:2], v[1:2], v[92:93]
	s_andn2_b32 exec_lo, exec_lo, s5
	s_cbranch_execnz .LBB102_125
; %bb.126:
	s_or_b32 exec_lo, exec_lo, s5
	v_mov_b32_e32 v85, 0
	ds_read_b128 v[85:88], v85 offset:448
	s_waitcnt lgkmcnt(0)
	v_mul_f64 v[90:91], v[1:2], v[87:88]
	v_mul_f64 v[87:88], v[3:4], v[87:88]
	v_fma_f64 v[3:4], v[3:4], v[85:86], -v[90:91]
	v_fma_f64 v[1:2], v[1:2], v[85:86], v[87:88]
	buffer_store_dword v4, off, s[0:3], 0 offset:468
	buffer_store_dword v3, off, s[0:3], 0 offset:464
	;; [unrolled: 1-line block ×4, first 2 shown]
.LBB102_127:
	s_or_b32 exec_lo, exec_lo, s4
	v_mov_b32_e32 v4, s21
	s_waitcnt_vscnt null, 0x0
	s_barrier
	buffer_gl0_inv
	s_mov_b32 s4, exec_lo
	s_clause 0x3
	buffer_load_dword v1, v4, s[0:3], 0 offen
	buffer_load_dword v2, v4, s[0:3], 0 offen offset:4
	buffer_load_dword v3, v4, s[0:3], 0 offen offset:8
	;; [unrolled: 1-line block ×3, first 2 shown]
	s_waitcnt vmcnt(0)
	ds_write_b128 v83, v[1:4]
	s_waitcnt lgkmcnt(0)
	s_barrier
	buffer_gl0_inv
	v_cmpx_gt_u32_e32 29, v0
	s_cbranch_execz .LBB102_131
; %bb.128:
	v_mov_b32_e32 v1, 0
	v_mov_b32_e32 v3, 0
	v_add_nc_u32_e32 v85, -1, v0
	v_add_nc_u32_e32 v86, 0x270, v89
	v_mov_b32_e32 v2, 0
	v_mov_b32_e32 v4, 0
	v_add_nc_u32_e32 v87, 16, v89
	s_mov_b32 s5, 0
	.p2align	6
.LBB102_129:                            ; =>This Inner Loop Header: Depth=1
	s_clause 0x3
	buffer_load_dword v94, v87, s[0:3], 0 offen offset:8
	buffer_load_dword v95, v87, s[0:3], 0 offen offset:12
	buffer_load_dword v96, v87, s[0:3], 0 offen
	buffer_load_dword v97, v87, s[0:3], 0 offen offset:4
	ds_read_b128 v[90:93], v86
	v_add_nc_u32_e32 v85, 1, v85
	v_add_nc_u32_e32 v86, 16, v86
	;; [unrolled: 1-line block ×3, first 2 shown]
	v_cmp_lt_u32_e32 vcc_lo, 27, v85
	s_or_b32 s5, vcc_lo, s5
	s_waitcnt vmcnt(2) lgkmcnt(0)
	v_mul_f64 v[98:99], v[92:93], v[94:95]
	v_mul_f64 v[94:95], v[90:91], v[94:95]
	s_waitcnt vmcnt(0)
	v_fma_f64 v[90:91], v[90:91], v[96:97], -v[98:99]
	v_fma_f64 v[92:93], v[92:93], v[96:97], v[94:95]
	v_add_f64 v[3:4], v[3:4], v[90:91]
	v_add_f64 v[1:2], v[1:2], v[92:93]
	s_andn2_b32 exec_lo, exec_lo, s5
	s_cbranch_execnz .LBB102_129
; %bb.130:
	s_or_b32 exec_lo, exec_lo, s5
	v_mov_b32_e32 v85, 0
	ds_read_b128 v[85:88], v85 offset:464
	s_waitcnt lgkmcnt(0)
	v_mul_f64 v[90:91], v[1:2], v[87:88]
	v_mul_f64 v[87:88], v[3:4], v[87:88]
	v_fma_f64 v[3:4], v[3:4], v[85:86], -v[90:91]
	v_fma_f64 v[1:2], v[1:2], v[85:86], v[87:88]
	buffer_store_dword v4, off, s[0:3], 0 offset:484
	buffer_store_dword v3, off, s[0:3], 0 offset:480
	;; [unrolled: 1-line block ×4, first 2 shown]
.LBB102_131:
	s_or_b32 exec_lo, exec_lo, s4
	v_mov_b32_e32 v4, s20
	s_waitcnt_vscnt null, 0x0
	s_barrier
	buffer_gl0_inv
	s_mov_b32 s4, exec_lo
	s_clause 0x3
	buffer_load_dword v1, v4, s[0:3], 0 offen
	buffer_load_dword v2, v4, s[0:3], 0 offen offset:4
	buffer_load_dword v3, v4, s[0:3], 0 offen offset:8
	;; [unrolled: 1-line block ×3, first 2 shown]
	s_waitcnt vmcnt(0)
	ds_write_b128 v83, v[1:4]
	s_waitcnt lgkmcnt(0)
	s_barrier
	buffer_gl0_inv
	v_cmpx_gt_u32_e32 30, v0
	s_cbranch_execz .LBB102_135
; %bb.132:
	v_mov_b32_e32 v1, 0
	v_mov_b32_e32 v3, 0
	v_add_nc_u32_e32 v85, -1, v0
	v_add_nc_u32_e32 v86, 0x270, v89
	v_mov_b32_e32 v2, 0
	v_mov_b32_e32 v4, 0
	v_add_nc_u32_e32 v87, 16, v89
	s_mov_b32 s5, 0
	.p2align	6
.LBB102_133:                            ; =>This Inner Loop Header: Depth=1
	s_clause 0x3
	buffer_load_dword v94, v87, s[0:3], 0 offen offset:8
	buffer_load_dword v95, v87, s[0:3], 0 offen offset:12
	buffer_load_dword v96, v87, s[0:3], 0 offen
	buffer_load_dword v97, v87, s[0:3], 0 offen offset:4
	ds_read_b128 v[90:93], v86
	v_add_nc_u32_e32 v85, 1, v85
	v_add_nc_u32_e32 v86, 16, v86
	;; [unrolled: 1-line block ×3, first 2 shown]
	v_cmp_lt_u32_e32 vcc_lo, 28, v85
	s_or_b32 s5, vcc_lo, s5
	s_waitcnt vmcnt(2) lgkmcnt(0)
	v_mul_f64 v[98:99], v[92:93], v[94:95]
	v_mul_f64 v[94:95], v[90:91], v[94:95]
	s_waitcnt vmcnt(0)
	v_fma_f64 v[90:91], v[90:91], v[96:97], -v[98:99]
	v_fma_f64 v[92:93], v[92:93], v[96:97], v[94:95]
	v_add_f64 v[3:4], v[3:4], v[90:91]
	v_add_f64 v[1:2], v[1:2], v[92:93]
	s_andn2_b32 exec_lo, exec_lo, s5
	s_cbranch_execnz .LBB102_133
; %bb.134:
	s_or_b32 exec_lo, exec_lo, s5
	v_mov_b32_e32 v85, 0
	ds_read_b128 v[85:88], v85 offset:480
	s_waitcnt lgkmcnt(0)
	v_mul_f64 v[90:91], v[1:2], v[87:88]
	v_mul_f64 v[87:88], v[3:4], v[87:88]
	v_fma_f64 v[3:4], v[3:4], v[85:86], -v[90:91]
	v_fma_f64 v[1:2], v[1:2], v[85:86], v[87:88]
	buffer_store_dword v4, off, s[0:3], 0 offset:500
	buffer_store_dword v3, off, s[0:3], 0 offset:496
	;; [unrolled: 1-line block ×4, first 2 shown]
.LBB102_135:
	s_or_b32 exec_lo, exec_lo, s4
	v_mov_b32_e32 v4, s19
	s_waitcnt_vscnt null, 0x0
	s_barrier
	buffer_gl0_inv
	s_mov_b32 s4, exec_lo
	s_clause 0x3
	buffer_load_dword v1, v4, s[0:3], 0 offen
	buffer_load_dword v2, v4, s[0:3], 0 offen offset:4
	buffer_load_dword v3, v4, s[0:3], 0 offen offset:8
	;; [unrolled: 1-line block ×3, first 2 shown]
	s_waitcnt vmcnt(0)
	ds_write_b128 v83, v[1:4]
	s_waitcnt lgkmcnt(0)
	s_barrier
	buffer_gl0_inv
	v_cmpx_gt_u32_e32 31, v0
	s_cbranch_execz .LBB102_139
; %bb.136:
	v_mov_b32_e32 v1, 0
	v_mov_b32_e32 v3, 0
	v_add_nc_u32_e32 v85, -1, v0
	v_add_nc_u32_e32 v86, 0x270, v89
	v_mov_b32_e32 v2, 0
	v_mov_b32_e32 v4, 0
	v_add_nc_u32_e32 v87, 16, v89
	s_mov_b32 s5, 0
	.p2align	6
.LBB102_137:                            ; =>This Inner Loop Header: Depth=1
	s_clause 0x3
	buffer_load_dword v94, v87, s[0:3], 0 offen offset:8
	buffer_load_dword v95, v87, s[0:3], 0 offen offset:12
	buffer_load_dword v96, v87, s[0:3], 0 offen
	buffer_load_dword v97, v87, s[0:3], 0 offen offset:4
	ds_read_b128 v[90:93], v86
	v_add_nc_u32_e32 v85, 1, v85
	v_add_nc_u32_e32 v86, 16, v86
	;; [unrolled: 1-line block ×3, first 2 shown]
	v_cmp_lt_u32_e32 vcc_lo, 29, v85
	s_or_b32 s5, vcc_lo, s5
	s_waitcnt vmcnt(2) lgkmcnt(0)
	v_mul_f64 v[98:99], v[92:93], v[94:95]
	v_mul_f64 v[94:95], v[90:91], v[94:95]
	s_waitcnt vmcnt(0)
	v_fma_f64 v[90:91], v[90:91], v[96:97], -v[98:99]
	v_fma_f64 v[92:93], v[92:93], v[96:97], v[94:95]
	v_add_f64 v[3:4], v[3:4], v[90:91]
	v_add_f64 v[1:2], v[1:2], v[92:93]
	s_andn2_b32 exec_lo, exec_lo, s5
	s_cbranch_execnz .LBB102_137
; %bb.138:
	s_or_b32 exec_lo, exec_lo, s5
	v_mov_b32_e32 v85, 0
	ds_read_b128 v[85:88], v85 offset:496
	s_waitcnt lgkmcnt(0)
	v_mul_f64 v[90:91], v[1:2], v[87:88]
	v_mul_f64 v[87:88], v[3:4], v[87:88]
	v_fma_f64 v[3:4], v[3:4], v[85:86], -v[90:91]
	v_fma_f64 v[1:2], v[1:2], v[85:86], v[87:88]
	buffer_store_dword v4, off, s[0:3], 0 offset:516
	buffer_store_dword v3, off, s[0:3], 0 offset:512
	buffer_store_dword v2, off, s[0:3], 0 offset:524
	buffer_store_dword v1, off, s[0:3], 0 offset:520
.LBB102_139:
	s_or_b32 exec_lo, exec_lo, s4
	v_mov_b32_e32 v4, s18
	s_waitcnt_vscnt null, 0x0
	s_barrier
	buffer_gl0_inv
	s_mov_b32 s4, exec_lo
	s_clause 0x3
	buffer_load_dword v1, v4, s[0:3], 0 offen
	buffer_load_dword v2, v4, s[0:3], 0 offen offset:4
	buffer_load_dword v3, v4, s[0:3], 0 offen offset:8
	;; [unrolled: 1-line block ×3, first 2 shown]
	s_waitcnt vmcnt(0)
	ds_write_b128 v83, v[1:4]
	s_waitcnt lgkmcnt(0)
	s_barrier
	buffer_gl0_inv
	v_cmpx_gt_u32_e32 32, v0
	s_cbranch_execz .LBB102_143
; %bb.140:
	v_mov_b32_e32 v1, 0
	v_mov_b32_e32 v3, 0
	v_add_nc_u32_e32 v85, -1, v0
	v_add_nc_u32_e32 v86, 0x270, v89
	v_mov_b32_e32 v2, 0
	v_mov_b32_e32 v4, 0
	v_add_nc_u32_e32 v87, 16, v89
	s_mov_b32 s5, 0
	.p2align	6
.LBB102_141:                            ; =>This Inner Loop Header: Depth=1
	s_clause 0x3
	buffer_load_dword v94, v87, s[0:3], 0 offen offset:8
	buffer_load_dword v95, v87, s[0:3], 0 offen offset:12
	buffer_load_dword v96, v87, s[0:3], 0 offen
	buffer_load_dword v97, v87, s[0:3], 0 offen offset:4
	ds_read_b128 v[90:93], v86
	v_add_nc_u32_e32 v85, 1, v85
	v_add_nc_u32_e32 v86, 16, v86
	;; [unrolled: 1-line block ×3, first 2 shown]
	v_cmp_lt_u32_e32 vcc_lo, 30, v85
	s_or_b32 s5, vcc_lo, s5
	s_waitcnt vmcnt(2) lgkmcnt(0)
	v_mul_f64 v[98:99], v[92:93], v[94:95]
	v_mul_f64 v[94:95], v[90:91], v[94:95]
	s_waitcnt vmcnt(0)
	v_fma_f64 v[90:91], v[90:91], v[96:97], -v[98:99]
	v_fma_f64 v[92:93], v[92:93], v[96:97], v[94:95]
	v_add_f64 v[3:4], v[3:4], v[90:91]
	v_add_f64 v[1:2], v[1:2], v[92:93]
	s_andn2_b32 exec_lo, exec_lo, s5
	s_cbranch_execnz .LBB102_141
; %bb.142:
	s_or_b32 exec_lo, exec_lo, s5
	v_mov_b32_e32 v85, 0
	ds_read_b128 v[85:88], v85 offset:512
	s_waitcnt lgkmcnt(0)
	v_mul_f64 v[90:91], v[1:2], v[87:88]
	v_mul_f64 v[87:88], v[3:4], v[87:88]
	v_fma_f64 v[3:4], v[3:4], v[85:86], -v[90:91]
	v_fma_f64 v[1:2], v[1:2], v[85:86], v[87:88]
	buffer_store_dword v4, off, s[0:3], 0 offset:532
	buffer_store_dword v3, off, s[0:3], 0 offset:528
	;; [unrolled: 1-line block ×4, first 2 shown]
.LBB102_143:
	s_or_b32 exec_lo, exec_lo, s4
	v_mov_b32_e32 v4, s17
	s_waitcnt_vscnt null, 0x0
	s_barrier
	buffer_gl0_inv
	s_mov_b32 s4, exec_lo
	s_clause 0x3
	buffer_load_dword v1, v4, s[0:3], 0 offen
	buffer_load_dword v2, v4, s[0:3], 0 offen offset:4
	buffer_load_dword v3, v4, s[0:3], 0 offen offset:8
	;; [unrolled: 1-line block ×3, first 2 shown]
	s_waitcnt vmcnt(0)
	ds_write_b128 v83, v[1:4]
	s_waitcnt lgkmcnt(0)
	s_barrier
	buffer_gl0_inv
	v_cmpx_gt_u32_e32 33, v0
	s_cbranch_execz .LBB102_147
; %bb.144:
	v_mov_b32_e32 v1, 0
	v_mov_b32_e32 v3, 0
	v_add_nc_u32_e32 v85, -1, v0
	v_add_nc_u32_e32 v86, 0x270, v89
	v_mov_b32_e32 v2, 0
	v_mov_b32_e32 v4, 0
	v_add_nc_u32_e32 v87, 16, v89
	s_mov_b32 s5, 0
	.p2align	6
.LBB102_145:                            ; =>This Inner Loop Header: Depth=1
	s_clause 0x3
	buffer_load_dword v94, v87, s[0:3], 0 offen offset:8
	buffer_load_dword v95, v87, s[0:3], 0 offen offset:12
	buffer_load_dword v96, v87, s[0:3], 0 offen
	buffer_load_dword v97, v87, s[0:3], 0 offen offset:4
	ds_read_b128 v[90:93], v86
	v_add_nc_u32_e32 v85, 1, v85
	v_add_nc_u32_e32 v86, 16, v86
	;; [unrolled: 1-line block ×3, first 2 shown]
	v_cmp_lt_u32_e32 vcc_lo, 31, v85
	s_or_b32 s5, vcc_lo, s5
	s_waitcnt vmcnt(2) lgkmcnt(0)
	v_mul_f64 v[98:99], v[92:93], v[94:95]
	v_mul_f64 v[94:95], v[90:91], v[94:95]
	s_waitcnt vmcnt(0)
	v_fma_f64 v[90:91], v[90:91], v[96:97], -v[98:99]
	v_fma_f64 v[92:93], v[92:93], v[96:97], v[94:95]
	v_add_f64 v[3:4], v[3:4], v[90:91]
	v_add_f64 v[1:2], v[1:2], v[92:93]
	s_andn2_b32 exec_lo, exec_lo, s5
	s_cbranch_execnz .LBB102_145
; %bb.146:
	s_or_b32 exec_lo, exec_lo, s5
	v_mov_b32_e32 v85, 0
	ds_read_b128 v[85:88], v85 offset:528
	s_waitcnt lgkmcnt(0)
	v_mul_f64 v[90:91], v[1:2], v[87:88]
	v_mul_f64 v[87:88], v[3:4], v[87:88]
	v_fma_f64 v[3:4], v[3:4], v[85:86], -v[90:91]
	v_fma_f64 v[1:2], v[1:2], v[85:86], v[87:88]
	buffer_store_dword v4, off, s[0:3], 0 offset:548
	buffer_store_dword v3, off, s[0:3], 0 offset:544
	;; [unrolled: 1-line block ×4, first 2 shown]
.LBB102_147:
	s_or_b32 exec_lo, exec_lo, s4
	v_mov_b32_e32 v4, s16
	s_waitcnt_vscnt null, 0x0
	s_barrier
	buffer_gl0_inv
	s_mov_b32 s4, exec_lo
	s_clause 0x3
	buffer_load_dword v1, v4, s[0:3], 0 offen
	buffer_load_dword v2, v4, s[0:3], 0 offen offset:4
	buffer_load_dword v3, v4, s[0:3], 0 offen offset:8
	;; [unrolled: 1-line block ×3, first 2 shown]
	s_waitcnt vmcnt(0)
	ds_write_b128 v83, v[1:4]
	s_waitcnt lgkmcnt(0)
	s_barrier
	buffer_gl0_inv
	v_cmpx_gt_u32_e32 34, v0
	s_cbranch_execz .LBB102_151
; %bb.148:
	v_mov_b32_e32 v1, 0
	v_mov_b32_e32 v3, 0
	v_add_nc_u32_e32 v85, -1, v0
	v_add_nc_u32_e32 v86, 0x270, v89
	v_mov_b32_e32 v2, 0
	v_mov_b32_e32 v4, 0
	v_add_nc_u32_e32 v87, 16, v89
	s_mov_b32 s5, 0
	.p2align	6
.LBB102_149:                            ; =>This Inner Loop Header: Depth=1
	s_clause 0x3
	buffer_load_dword v94, v87, s[0:3], 0 offen offset:8
	buffer_load_dword v95, v87, s[0:3], 0 offen offset:12
	buffer_load_dword v96, v87, s[0:3], 0 offen
	buffer_load_dword v97, v87, s[0:3], 0 offen offset:4
	ds_read_b128 v[90:93], v86
	v_add_nc_u32_e32 v85, 1, v85
	v_add_nc_u32_e32 v86, 16, v86
	;; [unrolled: 1-line block ×3, first 2 shown]
	v_cmp_lt_u32_e32 vcc_lo, 32, v85
	s_or_b32 s5, vcc_lo, s5
	s_waitcnt vmcnt(2) lgkmcnt(0)
	v_mul_f64 v[98:99], v[92:93], v[94:95]
	v_mul_f64 v[94:95], v[90:91], v[94:95]
	s_waitcnt vmcnt(0)
	v_fma_f64 v[90:91], v[90:91], v[96:97], -v[98:99]
	v_fma_f64 v[92:93], v[92:93], v[96:97], v[94:95]
	v_add_f64 v[3:4], v[3:4], v[90:91]
	v_add_f64 v[1:2], v[1:2], v[92:93]
	s_andn2_b32 exec_lo, exec_lo, s5
	s_cbranch_execnz .LBB102_149
; %bb.150:
	s_or_b32 exec_lo, exec_lo, s5
	v_mov_b32_e32 v85, 0
	ds_read_b128 v[85:88], v85 offset:544
	s_waitcnt lgkmcnt(0)
	v_mul_f64 v[90:91], v[1:2], v[87:88]
	v_mul_f64 v[87:88], v[3:4], v[87:88]
	v_fma_f64 v[3:4], v[3:4], v[85:86], -v[90:91]
	v_fma_f64 v[1:2], v[1:2], v[85:86], v[87:88]
	buffer_store_dword v4, off, s[0:3], 0 offset:564
	buffer_store_dword v3, off, s[0:3], 0 offset:560
	;; [unrolled: 1-line block ×4, first 2 shown]
.LBB102_151:
	s_or_b32 exec_lo, exec_lo, s4
	v_mov_b32_e32 v4, s15
	s_waitcnt_vscnt null, 0x0
	s_barrier
	buffer_gl0_inv
	s_mov_b32 s4, exec_lo
	s_clause 0x3
	buffer_load_dword v1, v4, s[0:3], 0 offen
	buffer_load_dword v2, v4, s[0:3], 0 offen offset:4
	buffer_load_dword v3, v4, s[0:3], 0 offen offset:8
	;; [unrolled: 1-line block ×3, first 2 shown]
	s_waitcnt vmcnt(0)
	ds_write_b128 v83, v[1:4]
	s_waitcnt lgkmcnt(0)
	s_barrier
	buffer_gl0_inv
	v_cmpx_gt_u32_e32 35, v0
	s_cbranch_execz .LBB102_155
; %bb.152:
	v_mov_b32_e32 v1, 0
	v_mov_b32_e32 v3, 0
	v_add_nc_u32_e32 v85, -1, v0
	v_add_nc_u32_e32 v86, 0x270, v89
	v_mov_b32_e32 v2, 0
	v_mov_b32_e32 v4, 0
	v_add_nc_u32_e32 v87, 16, v89
	s_mov_b32 s5, 0
	.p2align	6
.LBB102_153:                            ; =>This Inner Loop Header: Depth=1
	s_clause 0x3
	buffer_load_dword v94, v87, s[0:3], 0 offen offset:8
	buffer_load_dword v95, v87, s[0:3], 0 offen offset:12
	buffer_load_dword v96, v87, s[0:3], 0 offen
	buffer_load_dword v97, v87, s[0:3], 0 offen offset:4
	ds_read_b128 v[90:93], v86
	v_add_nc_u32_e32 v85, 1, v85
	v_add_nc_u32_e32 v86, 16, v86
	;; [unrolled: 1-line block ×3, first 2 shown]
	v_cmp_lt_u32_e32 vcc_lo, 33, v85
	s_or_b32 s5, vcc_lo, s5
	s_waitcnt vmcnt(2) lgkmcnt(0)
	v_mul_f64 v[98:99], v[92:93], v[94:95]
	v_mul_f64 v[94:95], v[90:91], v[94:95]
	s_waitcnt vmcnt(0)
	v_fma_f64 v[90:91], v[90:91], v[96:97], -v[98:99]
	v_fma_f64 v[92:93], v[92:93], v[96:97], v[94:95]
	v_add_f64 v[3:4], v[3:4], v[90:91]
	v_add_f64 v[1:2], v[1:2], v[92:93]
	s_andn2_b32 exec_lo, exec_lo, s5
	s_cbranch_execnz .LBB102_153
; %bb.154:
	s_or_b32 exec_lo, exec_lo, s5
	v_mov_b32_e32 v85, 0
	ds_read_b128 v[85:88], v85 offset:560
	s_waitcnt lgkmcnt(0)
	v_mul_f64 v[90:91], v[1:2], v[87:88]
	v_mul_f64 v[87:88], v[3:4], v[87:88]
	v_fma_f64 v[3:4], v[3:4], v[85:86], -v[90:91]
	v_fma_f64 v[1:2], v[1:2], v[85:86], v[87:88]
	buffer_store_dword v4, off, s[0:3], 0 offset:580
	buffer_store_dword v3, off, s[0:3], 0 offset:576
	;; [unrolled: 1-line block ×4, first 2 shown]
.LBB102_155:
	s_or_b32 exec_lo, exec_lo, s4
	v_mov_b32_e32 v4, s14
	s_waitcnt_vscnt null, 0x0
	s_barrier
	buffer_gl0_inv
	s_mov_b32 s4, exec_lo
	s_clause 0x3
	buffer_load_dword v1, v4, s[0:3], 0 offen
	buffer_load_dword v2, v4, s[0:3], 0 offen offset:4
	buffer_load_dword v3, v4, s[0:3], 0 offen offset:8
	;; [unrolled: 1-line block ×3, first 2 shown]
	s_waitcnt vmcnt(0)
	ds_write_b128 v83, v[1:4]
	s_waitcnt lgkmcnt(0)
	s_barrier
	buffer_gl0_inv
	v_cmpx_gt_u32_e32 36, v0
	s_cbranch_execz .LBB102_159
; %bb.156:
	v_mov_b32_e32 v1, 0
	v_mov_b32_e32 v3, 0
	v_add_nc_u32_e32 v85, -1, v0
	v_add_nc_u32_e32 v86, 0x270, v89
	v_mov_b32_e32 v2, 0
	v_mov_b32_e32 v4, 0
	v_add_nc_u32_e32 v87, 16, v89
	s_mov_b32 s5, 0
	.p2align	6
.LBB102_157:                            ; =>This Inner Loop Header: Depth=1
	s_clause 0x3
	buffer_load_dword v94, v87, s[0:3], 0 offen offset:8
	buffer_load_dword v95, v87, s[0:3], 0 offen offset:12
	buffer_load_dword v96, v87, s[0:3], 0 offen
	buffer_load_dword v97, v87, s[0:3], 0 offen offset:4
	ds_read_b128 v[90:93], v86
	v_add_nc_u32_e32 v85, 1, v85
	v_add_nc_u32_e32 v86, 16, v86
	;; [unrolled: 1-line block ×3, first 2 shown]
	v_cmp_lt_u32_e32 vcc_lo, 34, v85
	s_or_b32 s5, vcc_lo, s5
	s_waitcnt vmcnt(2) lgkmcnt(0)
	v_mul_f64 v[98:99], v[92:93], v[94:95]
	v_mul_f64 v[94:95], v[90:91], v[94:95]
	s_waitcnt vmcnt(0)
	v_fma_f64 v[90:91], v[90:91], v[96:97], -v[98:99]
	v_fma_f64 v[92:93], v[92:93], v[96:97], v[94:95]
	v_add_f64 v[3:4], v[3:4], v[90:91]
	v_add_f64 v[1:2], v[1:2], v[92:93]
	s_andn2_b32 exec_lo, exec_lo, s5
	s_cbranch_execnz .LBB102_157
; %bb.158:
	s_or_b32 exec_lo, exec_lo, s5
	v_mov_b32_e32 v85, 0
	ds_read_b128 v[85:88], v85 offset:576
	s_waitcnt lgkmcnt(0)
	v_mul_f64 v[90:91], v[1:2], v[87:88]
	v_mul_f64 v[87:88], v[3:4], v[87:88]
	v_fma_f64 v[3:4], v[3:4], v[85:86], -v[90:91]
	v_fma_f64 v[1:2], v[1:2], v[85:86], v[87:88]
	buffer_store_dword v4, off, s[0:3], 0 offset:596
	buffer_store_dword v3, off, s[0:3], 0 offset:592
	;; [unrolled: 1-line block ×4, first 2 shown]
.LBB102_159:
	s_or_b32 exec_lo, exec_lo, s4
	v_mov_b32_e32 v4, s9
	s_waitcnt_vscnt null, 0x0
	s_barrier
	buffer_gl0_inv
	s_mov_b32 s4, exec_lo
	s_clause 0x3
	buffer_load_dword v1, v4, s[0:3], 0 offen
	buffer_load_dword v2, v4, s[0:3], 0 offen offset:4
	buffer_load_dword v3, v4, s[0:3], 0 offen offset:8
	;; [unrolled: 1-line block ×3, first 2 shown]
	s_waitcnt vmcnt(0)
	ds_write_b128 v83, v[1:4]
	s_waitcnt lgkmcnt(0)
	s_barrier
	buffer_gl0_inv
	v_cmpx_gt_u32_e32 37, v0
	s_cbranch_execz .LBB102_163
; %bb.160:
	v_mov_b32_e32 v1, 0
	v_mov_b32_e32 v3, 0
	v_add_nc_u32_e32 v85, -1, v0
	v_add_nc_u32_e32 v86, 0x270, v89
	v_mov_b32_e32 v2, 0
	v_mov_b32_e32 v4, 0
	v_add_nc_u32_e32 v87, 16, v89
	s_mov_b32 s5, 0
	.p2align	6
.LBB102_161:                            ; =>This Inner Loop Header: Depth=1
	s_clause 0x3
	buffer_load_dword v94, v87, s[0:3], 0 offen offset:8
	buffer_load_dword v95, v87, s[0:3], 0 offen offset:12
	buffer_load_dword v96, v87, s[0:3], 0 offen
	buffer_load_dword v97, v87, s[0:3], 0 offen offset:4
	ds_read_b128 v[90:93], v86
	v_add_nc_u32_e32 v85, 1, v85
	v_add_nc_u32_e32 v86, 16, v86
	;; [unrolled: 1-line block ×3, first 2 shown]
	v_cmp_lt_u32_e32 vcc_lo, 35, v85
	s_or_b32 s5, vcc_lo, s5
	s_waitcnt vmcnt(2) lgkmcnt(0)
	v_mul_f64 v[98:99], v[92:93], v[94:95]
	v_mul_f64 v[94:95], v[90:91], v[94:95]
	s_waitcnt vmcnt(0)
	v_fma_f64 v[90:91], v[90:91], v[96:97], -v[98:99]
	v_fma_f64 v[92:93], v[92:93], v[96:97], v[94:95]
	v_add_f64 v[3:4], v[3:4], v[90:91]
	v_add_f64 v[1:2], v[1:2], v[92:93]
	s_andn2_b32 exec_lo, exec_lo, s5
	s_cbranch_execnz .LBB102_161
; %bb.162:
	s_or_b32 exec_lo, exec_lo, s5
	v_mov_b32_e32 v85, 0
	ds_read_b128 v[85:88], v85 offset:592
	s_waitcnt lgkmcnt(0)
	v_mul_f64 v[90:91], v[1:2], v[87:88]
	v_mul_f64 v[87:88], v[3:4], v[87:88]
	v_fma_f64 v[3:4], v[3:4], v[85:86], -v[90:91]
	v_fma_f64 v[1:2], v[1:2], v[85:86], v[87:88]
	buffer_store_dword v4, off, s[0:3], 0 offset:612
	buffer_store_dword v3, off, s[0:3], 0 offset:608
	;; [unrolled: 1-line block ×4, first 2 shown]
.LBB102_163:
	s_or_b32 exec_lo, exec_lo, s4
	v_mov_b32_e32 v4, s8
	s_waitcnt_vscnt null, 0x0
	s_barrier
	buffer_gl0_inv
	s_mov_b32 s4, exec_lo
	s_clause 0x3
	buffer_load_dword v1, v4, s[0:3], 0 offen
	buffer_load_dword v2, v4, s[0:3], 0 offen offset:4
	buffer_load_dword v3, v4, s[0:3], 0 offen offset:8
	buffer_load_dword v4, v4, s[0:3], 0 offen offset:12
	s_waitcnt vmcnt(0)
	ds_write_b128 v83, v[1:4]
	s_waitcnt lgkmcnt(0)
	s_barrier
	buffer_gl0_inv
	v_cmpx_ne_u32_e32 38, v0
	s_cbranch_execz .LBB102_167
; %bb.164:
	v_mov_b32_e32 v1, 0
	v_mov_b32_e32 v3, 0
	;; [unrolled: 1-line block ×4, first 2 shown]
	v_add_nc_u32_e32 v85, 16, v89
	s_mov_b32 s5, 0
	.p2align	6
.LBB102_165:                            ; =>This Inner Loop Header: Depth=1
	s_clause 0x3
	buffer_load_dword v90, v85, s[0:3], 0 offen offset:8
	buffer_load_dword v91, v85, s[0:3], 0 offen offset:12
	buffer_load_dword v92, v85, s[0:3], 0 offen
	buffer_load_dword v93, v85, s[0:3], 0 offen offset:4
	ds_read_b128 v[86:89], v83
	v_add_nc_u32_e32 v84, 1, v84
	v_add_nc_u32_e32 v83, 16, v83
	;; [unrolled: 1-line block ×3, first 2 shown]
	v_cmp_lt_u32_e32 vcc_lo, 36, v84
	s_or_b32 s5, vcc_lo, s5
	s_waitcnt vmcnt(2) lgkmcnt(0)
	v_mul_f64 v[94:95], v[88:89], v[90:91]
	v_mul_f64 v[90:91], v[86:87], v[90:91]
	s_waitcnt vmcnt(0)
	v_fma_f64 v[86:87], v[86:87], v[92:93], -v[94:95]
	v_fma_f64 v[88:89], v[88:89], v[92:93], v[90:91]
	v_add_f64 v[3:4], v[3:4], v[86:87]
	v_add_f64 v[1:2], v[1:2], v[88:89]
	s_andn2_b32 exec_lo, exec_lo, s5
	s_cbranch_execnz .LBB102_165
; %bb.166:
	s_or_b32 exec_lo, exec_lo, s5
	v_mov_b32_e32 v83, 0
	ds_read_b128 v[83:86], v83 offset:608
	s_waitcnt lgkmcnt(0)
	v_mul_f64 v[87:88], v[1:2], v[85:86]
	v_mul_f64 v[85:86], v[3:4], v[85:86]
	v_fma_f64 v[3:4], v[3:4], v[83:84], -v[87:88]
	v_fma_f64 v[1:2], v[1:2], v[83:84], v[85:86]
	buffer_store_dword v4, off, s[0:3], 0 offset:628
	buffer_store_dword v3, off, s[0:3], 0 offset:624
	buffer_store_dword v2, off, s[0:3], 0 offset:636
	buffer_store_dword v1, off, s[0:3], 0 offset:632
.LBB102_167:
	s_or_b32 exec_lo, exec_lo, s4
	s_mov_b32 s5, -1
	s_waitcnt_vscnt null, 0x0
	s_barrier
	buffer_gl0_inv
.LBB102_168:
	s_and_b32 vcc_lo, exec_lo, s5
	s_cbranch_vccz .LBB102_170
; %bb.169:
	s_lshl_b64 s[4:5], s[6:7], 2
	v_mov_b32_e32 v1, 0
	s_add_u32 s4, s10, s4
	s_addc_u32 s5, s11, s5
	global_load_dword v1, v1, s[4:5]
	s_waitcnt vmcnt(0)
	v_cmp_ne_u32_e32 vcc_lo, 0, v1
	s_cbranch_vccz .LBB102_171
.LBB102_170:
	s_endpgm
.LBB102_171:
	v_lshl_add_u32 v139, v0, 4, 0x270
	s_mov_b32 s4, exec_lo
	v_cmpx_eq_u32_e32 38, v0
	s_cbranch_execz .LBB102_173
; %bb.172:
	v_mov_b32_e32 v4, s9
	v_mov_b32_e32 v83, 0
	s_clause 0x3
	buffer_load_dword v1, v4, s[0:3], 0 offen
	buffer_load_dword v2, v4, s[0:3], 0 offen offset:4
	buffer_load_dword v3, v4, s[0:3], 0 offen offset:8
	buffer_load_dword v4, v4, s[0:3], 0 offen offset:12
	buffer_store_dword v83, off, s[0:3], 0 offset:608
	buffer_store_dword v83, off, s[0:3], 0 offset:612
	;; [unrolled: 1-line block ×4, first 2 shown]
	s_waitcnt vmcnt(0)
	ds_write_b128 v139, v[1:4]
.LBB102_173:
	s_or_b32 exec_lo, exec_lo, s4
	s_waitcnt lgkmcnt(0)
	s_waitcnt_vscnt null, 0x0
	s_barrier
	buffer_gl0_inv
	s_clause 0x7
	buffer_load_dword v2, off, s[0:3], 0 offset:632
	buffer_load_dword v3, off, s[0:3], 0 offset:636
	;; [unrolled: 1-line block ×8, first 2 shown]
	v_mov_b32_e32 v1, 0
	s_mov_b32 s4, exec_lo
	ds_read_b128 v[83:86], v1 offset:1232
	s_waitcnt vmcnt(6) lgkmcnt(0)
	v_mul_f64 v[93:94], v[85:86], v[2:3]
	v_mul_f64 v[2:3], v[83:84], v[2:3]
	s_waitcnt vmcnt(4)
	v_fma_f64 v[83:84], v[83:84], v[87:88], -v[93:94]
	v_fma_f64 v[2:3], v[85:86], v[87:88], v[2:3]
	v_add_f64 v[83:84], v[83:84], 0
	v_add_f64 v[2:3], v[2:3], 0
	s_waitcnt vmcnt(2)
	v_add_f64 v[83:84], v[89:90], -v[83:84]
	s_waitcnt vmcnt(0)
	v_add_f64 v[2:3], v[91:92], -v[2:3]
	buffer_store_dword v83, off, s[0:3], 0 offset:608
	buffer_store_dword v84, off, s[0:3], 0 offset:612
	;; [unrolled: 1-line block ×4, first 2 shown]
	v_cmpx_lt_u32_e32 36, v0
	s_cbranch_execz .LBB102_175
; %bb.174:
	v_mov_b32_e32 v2, s14
	s_clause 0x3
	buffer_load_dword v83, v2, s[0:3], 0 offen
	buffer_load_dword v84, v2, s[0:3], 0 offen offset:4
	buffer_load_dword v85, v2, s[0:3], 0 offen offset:8
	;; [unrolled: 1-line block ×3, first 2 shown]
	buffer_store_dword v1, off, s[0:3], 0 offset:592
	buffer_store_dword v1, off, s[0:3], 0 offset:596
	;; [unrolled: 1-line block ×4, first 2 shown]
	s_waitcnt vmcnt(0)
	ds_write_b128 v139, v[83:86]
.LBB102_175:
	s_or_b32 exec_lo, exec_lo, s4
	s_waitcnt lgkmcnt(0)
	s_waitcnt_vscnt null, 0x0
	s_barrier
	buffer_gl0_inv
	s_clause 0xb
	buffer_load_dword v87, off, s[0:3], 0 offset:616
	buffer_load_dword v88, off, s[0:3], 0 offset:620
	buffer_load_dword v89, off, s[0:3], 0 offset:632
	buffer_load_dword v90, off, s[0:3], 0 offset:636
	buffer_load_dword v91, off, s[0:3], 0 offset:608
	buffer_load_dword v92, off, s[0:3], 0 offset:612
	buffer_load_dword v93, off, s[0:3], 0 offset:624
	buffer_load_dword v94, off, s[0:3], 0 offset:628
	buffer_load_dword v95, off, s[0:3], 0 offset:592
	buffer_load_dword v96, off, s[0:3], 0 offset:596
	buffer_load_dword v97, off, s[0:3], 0 offset:600
	buffer_load_dword v98, off, s[0:3], 0 offset:604
	ds_read_b128 v[83:86], v1 offset:1216
	ds_read_b128 v[1:4], v1 offset:1232
	s_mov_b32 s4, exec_lo
	s_waitcnt vmcnt(10) lgkmcnt(1)
	v_mul_f64 v[99:100], v[85:86], v[87:88]
	v_mul_f64 v[87:88], v[83:84], v[87:88]
	s_waitcnt vmcnt(8) lgkmcnt(0)
	v_mul_f64 v[101:102], v[3:4], v[89:90]
	v_mul_f64 v[89:90], v[1:2], v[89:90]
	s_waitcnt vmcnt(6)
	v_fma_f64 v[83:84], v[83:84], v[91:92], -v[99:100]
	v_fma_f64 v[85:86], v[85:86], v[91:92], v[87:88]
	s_waitcnt vmcnt(4)
	v_fma_f64 v[1:2], v[1:2], v[93:94], -v[101:102]
	v_fma_f64 v[3:4], v[3:4], v[93:94], v[89:90]
	v_add_f64 v[83:84], v[83:84], 0
	v_add_f64 v[85:86], v[85:86], 0
	;; [unrolled: 1-line block ×4, first 2 shown]
	s_waitcnt vmcnt(2)
	v_add_f64 v[1:2], v[95:96], -v[1:2]
	s_waitcnt vmcnt(0)
	v_add_f64 v[3:4], v[97:98], -v[3:4]
	buffer_store_dword v1, off, s[0:3], 0 offset:592
	buffer_store_dword v2, off, s[0:3], 0 offset:596
	;; [unrolled: 1-line block ×4, first 2 shown]
	v_cmpx_lt_u32_e32 35, v0
	s_cbranch_execz .LBB102_177
; %bb.176:
	v_mov_b32_e32 v4, s15
	v_mov_b32_e32 v83, 0
	s_clause 0x3
	buffer_load_dword v1, v4, s[0:3], 0 offen
	buffer_load_dword v2, v4, s[0:3], 0 offen offset:4
	buffer_load_dword v3, v4, s[0:3], 0 offen offset:8
	;; [unrolled: 1-line block ×3, first 2 shown]
	buffer_store_dword v83, off, s[0:3], 0 offset:576
	buffer_store_dword v83, off, s[0:3], 0 offset:580
	;; [unrolled: 1-line block ×4, first 2 shown]
	s_waitcnt vmcnt(0)
	ds_write_b128 v139, v[1:4]
.LBB102_177:
	s_or_b32 exec_lo, exec_lo, s4
	s_waitcnt lgkmcnt(0)
	s_waitcnt_vscnt null, 0x0
	s_barrier
	buffer_gl0_inv
	s_clause 0xf
	buffer_load_dword v2, off, s[0:3], 0 offset:600
	buffer_load_dword v3, off, s[0:3], 0 offset:604
	;; [unrolled: 1-line block ×16, first 2 shown]
	v_mov_b32_e32 v1, 0
	ds_read_b128 v[83:86], v1 offset:1200
	ds_read_b128 v[87:90], v1 offset:1216
	;; [unrolled: 1-line block ×3, first 2 shown]
	s_mov_b32 s4, exec_lo
	s_waitcnt vmcnt(14) lgkmcnt(2)
	v_mul_f64 v[109:110], v[85:86], v[2:3]
	v_mul_f64 v[2:3], v[83:84], v[2:3]
	s_waitcnt vmcnt(12) lgkmcnt(1)
	v_mul_f64 v[111:112], v[89:90], v[95:96]
	v_mul_f64 v[95:96], v[87:88], v[95:96]
	s_waitcnt vmcnt(10)
	v_fma_f64 v[83:84], v[83:84], v[97:98], -v[109:110]
	v_fma_f64 v[2:3], v[85:86], v[97:98], v[2:3]
	s_waitcnt vmcnt(8) lgkmcnt(0)
	v_mul_f64 v[97:98], v[93:94], v[99:100]
	s_waitcnt vmcnt(6)
	v_fma_f64 v[87:88], v[87:88], v[101:102], -v[111:112]
	v_mul_f64 v[85:86], v[91:92], v[99:100]
	v_fma_f64 v[89:90], v[89:90], v[101:102], v[95:96]
	v_add_f64 v[83:84], v[83:84], 0
	v_add_f64 v[2:3], v[2:3], 0
	s_waitcnt vmcnt(4)
	v_fma_f64 v[91:92], v[91:92], v[103:104], -v[97:98]
	v_fma_f64 v[85:86], v[93:94], v[103:104], v[85:86]
	v_add_f64 v[83:84], v[83:84], v[87:88]
	v_add_f64 v[2:3], v[2:3], v[89:90]
	;; [unrolled: 1-line block ×4, first 2 shown]
	s_waitcnt vmcnt(2)
	v_add_f64 v[83:84], v[105:106], -v[83:84]
	s_waitcnt vmcnt(0)
	v_add_f64 v[2:3], v[107:108], -v[2:3]
	buffer_store_dword v83, off, s[0:3], 0 offset:576
	buffer_store_dword v84, off, s[0:3], 0 offset:580
	;; [unrolled: 1-line block ×4, first 2 shown]
	v_cmpx_lt_u32_e32 34, v0
	s_cbranch_execz .LBB102_179
; %bb.178:
	v_mov_b32_e32 v2, s16
	s_clause 0x3
	buffer_load_dword v83, v2, s[0:3], 0 offen
	buffer_load_dword v84, v2, s[0:3], 0 offen offset:4
	buffer_load_dword v85, v2, s[0:3], 0 offen offset:8
	;; [unrolled: 1-line block ×3, first 2 shown]
	buffer_store_dword v1, off, s[0:3], 0 offset:560
	buffer_store_dword v1, off, s[0:3], 0 offset:564
	;; [unrolled: 1-line block ×4, first 2 shown]
	s_waitcnt vmcnt(0)
	ds_write_b128 v139, v[83:86]
.LBB102_179:
	s_or_b32 exec_lo, exec_lo, s4
	s_waitcnt lgkmcnt(0)
	s_waitcnt_vscnt null, 0x0
	s_barrier
	buffer_gl0_inv
	s_clause 0x13
	buffer_load_dword v2, off, s[0:3], 0 offset:584
	buffer_load_dword v3, off, s[0:3], 0 offset:588
	;; [unrolled: 1-line block ×20, first 2 shown]
	ds_read_b128 v[83:86], v1 offset:1184
	ds_read_b128 v[87:90], v1 offset:1200
	;; [unrolled: 1-line block ×3, first 2 shown]
	s_mov_b32 s4, exec_lo
	s_waitcnt vmcnt(18) lgkmcnt(2)
	v_mul_f64 v[113:114], v[85:86], v[2:3]
	v_mul_f64 v[2:3], v[83:84], v[2:3]
	s_waitcnt vmcnt(16) lgkmcnt(1)
	v_mul_f64 v[115:116], v[89:90], v[95:96]
	v_mul_f64 v[95:96], v[87:88], v[95:96]
	s_waitcnt vmcnt(14)
	v_fma_f64 v[83:84], v[83:84], v[97:98], -v[113:114]
	v_fma_f64 v[85:86], v[85:86], v[97:98], v[2:3]
	s_waitcnt vmcnt(12) lgkmcnt(0)
	v_mul_f64 v[97:98], v[91:92], v[99:100]
	v_mul_f64 v[99:100], v[93:94], v[99:100]
	s_waitcnt vmcnt(10)
	v_fma_f64 v[87:88], v[87:88], v[101:102], -v[115:116]
	ds_read_b128 v[1:4], v1 offset:1232
	v_fma_f64 v[89:90], v[89:90], v[101:102], v[95:96]
	v_add_f64 v[83:84], v[83:84], 0
	v_add_f64 v[85:86], v[85:86], 0
	s_waitcnt vmcnt(8) lgkmcnt(0)
	v_mul_f64 v[101:102], v[3:4], v[103:104]
	s_waitcnt vmcnt(6)
	v_fma_f64 v[91:92], v[91:92], v[105:106], -v[99:100]
	v_mul_f64 v[95:96], v[1:2], v[103:104]
	v_add_f64 v[83:84], v[83:84], v[87:88]
	v_fma_f64 v[87:88], v[93:94], v[105:106], v[97:98]
	v_add_f64 v[85:86], v[85:86], v[89:90]
	s_waitcnt vmcnt(4)
	v_fma_f64 v[1:2], v[1:2], v[107:108], -v[101:102]
	v_fma_f64 v[3:4], v[3:4], v[107:108], v[95:96]
	v_add_f64 v[83:84], v[83:84], v[91:92]
	v_add_f64 v[85:86], v[85:86], v[87:88]
	;; [unrolled: 1-line block ×4, first 2 shown]
	s_waitcnt vmcnt(2)
	v_add_f64 v[1:2], v[109:110], -v[1:2]
	s_waitcnt vmcnt(0)
	v_add_f64 v[3:4], v[111:112], -v[3:4]
	buffer_store_dword v1, off, s[0:3], 0 offset:560
	buffer_store_dword v2, off, s[0:3], 0 offset:564
	;; [unrolled: 1-line block ×4, first 2 shown]
	v_cmpx_lt_u32_e32 33, v0
	s_cbranch_execz .LBB102_181
; %bb.180:
	v_mov_b32_e32 v4, s17
	v_mov_b32_e32 v83, 0
	s_clause 0x3
	buffer_load_dword v1, v4, s[0:3], 0 offen
	buffer_load_dword v2, v4, s[0:3], 0 offen offset:4
	buffer_load_dword v3, v4, s[0:3], 0 offen offset:8
	;; [unrolled: 1-line block ×3, first 2 shown]
	buffer_store_dword v83, off, s[0:3], 0 offset:544
	buffer_store_dword v83, off, s[0:3], 0 offset:548
	;; [unrolled: 1-line block ×4, first 2 shown]
	s_waitcnt vmcnt(0)
	ds_write_b128 v139, v[1:4]
.LBB102_181:
	s_or_b32 exec_lo, exec_lo, s4
	s_waitcnt lgkmcnt(0)
	s_waitcnt_vscnt null, 0x0
	s_barrier
	buffer_gl0_inv
	s_clause 0x17
	buffer_load_dword v2, off, s[0:3], 0 offset:568
	buffer_load_dword v3, off, s[0:3], 0 offset:572
	;; [unrolled: 1-line block ×24, first 2 shown]
	v_mov_b32_e32 v1, 0
	ds_read_b128 v[83:86], v1 offset:1168
	ds_read_b128 v[87:90], v1 offset:1184
	;; [unrolled: 1-line block ×3, first 2 shown]
	s_mov_b32 s4, exec_lo
	s_waitcnt vmcnt(22) lgkmcnt(2)
	v_mul_f64 v[117:118], v[85:86], v[2:3]
	v_mul_f64 v[2:3], v[83:84], v[2:3]
	s_waitcnt vmcnt(20) lgkmcnt(1)
	v_mul_f64 v[119:120], v[89:90], v[95:96]
	v_mul_f64 v[95:96], v[87:88], v[95:96]
	s_waitcnt vmcnt(18)
	v_fma_f64 v[117:118], v[83:84], v[97:98], -v[117:118]
	v_fma_f64 v[2:3], v[85:86], v[97:98], v[2:3]
	ds_read_b128 v[83:86], v1 offset:1216
	s_waitcnt vmcnt(16) lgkmcnt(1)
	v_mul_f64 v[97:98], v[91:92], v[99:100]
	v_mul_f64 v[99:100], v[93:94], v[99:100]
	s_waitcnt vmcnt(14)
	v_fma_f64 v[119:120], v[87:88], v[101:102], -v[119:120]
	v_fma_f64 v[95:96], v[89:90], v[101:102], v[95:96]
	ds_read_b128 v[87:90], v1 offset:1232
	s_waitcnt vmcnt(10) lgkmcnt(1)
	v_mul_f64 v[101:102], v[83:84], v[103:104]
	v_add_f64 v[117:118], v[117:118], 0
	v_add_f64 v[2:3], v[2:3], 0
	v_mul_f64 v[103:104], v[85:86], v[103:104]
	s_waitcnt vmcnt(8)
	v_fma_f64 v[91:92], v[91:92], v[109:110], -v[99:100]
	v_fma_f64 v[93:94], v[93:94], v[109:110], v[97:98]
	s_waitcnt vmcnt(7) lgkmcnt(0)
	v_mul_f64 v[97:98], v[89:90], v[105:106]
	s_waitcnt vmcnt(5)
	v_fma_f64 v[85:86], v[85:86], v[111:112], v[101:102]
	v_add_f64 v[99:100], v[117:118], v[119:120]
	v_add_f64 v[2:3], v[2:3], v[95:96]
	v_fma_f64 v[83:84], v[83:84], v[111:112], -v[103:104]
	v_mul_f64 v[95:96], v[87:88], v[105:106]
	s_waitcnt vmcnt(4)
	v_fma_f64 v[87:88], v[87:88], v[107:108], -v[97:98]
	v_add_f64 v[91:92], v[99:100], v[91:92]
	v_add_f64 v[2:3], v[2:3], v[93:94]
	v_fma_f64 v[89:90], v[89:90], v[107:108], v[95:96]
	v_add_f64 v[83:84], v[91:92], v[83:84]
	v_add_f64 v[2:3], v[2:3], v[85:86]
	;; [unrolled: 1-line block ×4, first 2 shown]
	s_waitcnt vmcnt(2)
	v_add_f64 v[83:84], v[113:114], -v[83:84]
	s_waitcnt vmcnt(0)
	v_add_f64 v[2:3], v[115:116], -v[2:3]
	buffer_store_dword v84, off, s[0:3], 0 offset:548
	buffer_store_dword v83, off, s[0:3], 0 offset:544
	buffer_store_dword v3, off, s[0:3], 0 offset:556
	buffer_store_dword v2, off, s[0:3], 0 offset:552
	v_cmpx_lt_u32_e32 32, v0
	s_cbranch_execz .LBB102_183
; %bb.182:
	v_mov_b32_e32 v2, s18
	s_clause 0x3
	buffer_load_dword v83, v2, s[0:3], 0 offen
	buffer_load_dword v84, v2, s[0:3], 0 offen offset:4
	buffer_load_dword v85, v2, s[0:3], 0 offen offset:8
	;; [unrolled: 1-line block ×3, first 2 shown]
	buffer_store_dword v1, off, s[0:3], 0 offset:528
	buffer_store_dword v1, off, s[0:3], 0 offset:532
	;; [unrolled: 1-line block ×4, first 2 shown]
	s_waitcnt vmcnt(0)
	ds_write_b128 v139, v[83:86]
.LBB102_183:
	s_or_b32 exec_lo, exec_lo, s4
	s_waitcnt lgkmcnt(0)
	s_waitcnt_vscnt null, 0x0
	s_barrier
	buffer_gl0_inv
	s_clause 0x1b
	buffer_load_dword v2, off, s[0:3], 0 offset:552
	buffer_load_dword v3, off, s[0:3], 0 offset:556
	;; [unrolled: 1-line block ×28, first 2 shown]
	ds_read_b128 v[83:86], v1 offset:1152
	ds_read_b128 v[87:90], v1 offset:1168
	ds_read_b128 v[91:94], v1 offset:1184
	s_mov_b32 s4, exec_lo
	s_waitcnt vmcnt(26) lgkmcnt(2)
	v_mul_f64 v[121:122], v[85:86], v[2:3]
	v_mul_f64 v[2:3], v[83:84], v[2:3]
	s_waitcnt vmcnt(24) lgkmcnt(1)
	v_mul_f64 v[123:124], v[89:90], v[95:96]
	v_mul_f64 v[95:96], v[87:88], v[95:96]
	s_waitcnt vmcnt(22)
	v_fma_f64 v[121:122], v[83:84], v[97:98], -v[121:122]
	v_fma_f64 v[2:3], v[85:86], v[97:98], v[2:3]
	ds_read_b128 v[83:86], v1 offset:1200
	s_waitcnt vmcnt(20) lgkmcnt(1)
	v_mul_f64 v[97:98], v[91:92], v[99:100]
	v_mul_f64 v[99:100], v[93:94], v[99:100]
	s_waitcnt vmcnt(18)
	v_fma_f64 v[123:124], v[87:88], v[101:102], -v[123:124]
	v_fma_f64 v[95:96], v[89:90], v[101:102], v[95:96]
	ds_read_b128 v[87:90], v1 offset:1216
	s_waitcnt vmcnt(14) lgkmcnt(1)
	v_mul_f64 v[101:102], v[83:84], v[103:104]
	v_add_f64 v[121:122], v[121:122], 0
	v_add_f64 v[2:3], v[2:3], 0
	v_mul_f64 v[103:104], v[85:86], v[103:104]
	s_waitcnt vmcnt(12)
	v_fma_f64 v[91:92], v[91:92], v[109:110], -v[99:100]
	v_fma_f64 v[93:94], v[93:94], v[109:110], v[97:98]
	s_waitcnt vmcnt(11) lgkmcnt(0)
	v_mul_f64 v[97:98], v[87:88], v[105:106]
	v_mul_f64 v[105:106], v[89:90], v[105:106]
	s_waitcnt vmcnt(9)
	v_fma_f64 v[85:86], v[85:86], v[111:112], v[101:102]
	v_add_f64 v[99:100], v[121:122], v[123:124]
	v_add_f64 v[95:96], v[2:3], v[95:96]
	v_fma_f64 v[83:84], v[83:84], v[111:112], -v[103:104]
	ds_read_b128 v[1:4], v1 offset:1232
	s_waitcnt vmcnt(6)
	v_fma_f64 v[89:90], v[89:90], v[107:108], v[97:98]
	v_fma_f64 v[87:88], v[87:88], v[107:108], -v[105:106]
	v_add_f64 v[91:92], v[99:100], v[91:92]
	v_add_f64 v[93:94], v[95:96], v[93:94]
	s_waitcnt lgkmcnt(0)
	v_mul_f64 v[99:100], v[3:4], v[113:114]
	v_mul_f64 v[95:96], v[1:2], v[113:114]
	v_add_f64 v[83:84], v[91:92], v[83:84]
	v_add_f64 v[85:86], v[93:94], v[85:86]
	s_waitcnt vmcnt(4)
	v_fma_f64 v[1:2], v[1:2], v[115:116], -v[99:100]
	v_fma_f64 v[3:4], v[3:4], v[115:116], v[95:96]
	v_add_f64 v[83:84], v[83:84], v[87:88]
	v_add_f64 v[85:86], v[85:86], v[89:90]
	v_add_f64 v[1:2], v[83:84], v[1:2]
	v_add_f64 v[3:4], v[85:86], v[3:4]
	s_waitcnt vmcnt(2)
	v_add_f64 v[1:2], v[117:118], -v[1:2]
	s_waitcnt vmcnt(0)
	v_add_f64 v[3:4], v[119:120], -v[3:4]
	buffer_store_dword v2, off, s[0:3], 0 offset:532
	buffer_store_dword v1, off, s[0:3], 0 offset:528
	;; [unrolled: 1-line block ×4, first 2 shown]
	v_cmpx_lt_u32_e32 31, v0
	s_cbranch_execz .LBB102_185
; %bb.184:
	v_mov_b32_e32 v4, s19
	v_mov_b32_e32 v83, 0
	s_clause 0x3
	buffer_load_dword v1, v4, s[0:3], 0 offen
	buffer_load_dword v2, v4, s[0:3], 0 offen offset:4
	buffer_load_dword v3, v4, s[0:3], 0 offen offset:8
	buffer_load_dword v4, v4, s[0:3], 0 offen offset:12
	buffer_store_dword v83, off, s[0:3], 0 offset:512
	buffer_store_dword v83, off, s[0:3], 0 offset:516
	;; [unrolled: 1-line block ×4, first 2 shown]
	s_waitcnt vmcnt(0)
	ds_write_b128 v139, v[1:4]
.LBB102_185:
	s_or_b32 exec_lo, exec_lo, s4
	s_waitcnt lgkmcnt(0)
	s_waitcnt_vscnt null, 0x0
	s_barrier
	buffer_gl0_inv
	s_clause 0x1f
	buffer_load_dword v2, off, s[0:3], 0 offset:536
	buffer_load_dword v3, off, s[0:3], 0 offset:540
	;; [unrolled: 1-line block ×32, first 2 shown]
	v_mov_b32_e32 v1, 0
	ds_read_b128 v[83:86], v1 offset:1136
	ds_read_b128 v[87:90], v1 offset:1152
	;; [unrolled: 1-line block ×3, first 2 shown]
	s_mov_b32 s4, exec_lo
	s_waitcnt vmcnt(30) lgkmcnt(2)
	v_mul_f64 v[125:126], v[85:86], v[2:3]
	v_mul_f64 v[2:3], v[83:84], v[2:3]
	s_waitcnt vmcnt(28) lgkmcnt(1)
	v_mul_f64 v[127:128], v[89:90], v[95:96]
	v_mul_f64 v[95:96], v[87:88], v[95:96]
	s_waitcnt vmcnt(26)
	v_fma_f64 v[125:126], v[83:84], v[97:98], -v[125:126]
	v_fma_f64 v[2:3], v[85:86], v[97:98], v[2:3]
	ds_read_b128 v[83:86], v1 offset:1184
	s_waitcnt vmcnt(24) lgkmcnt(1)
	v_mul_f64 v[97:98], v[91:92], v[99:100]
	v_mul_f64 v[99:100], v[93:94], v[99:100]
	s_waitcnt vmcnt(22)
	v_fma_f64 v[127:128], v[87:88], v[101:102], -v[127:128]
	v_fma_f64 v[95:96], v[89:90], v[101:102], v[95:96]
	ds_read_b128 v[87:90], v1 offset:1200
	s_waitcnt vmcnt(18) lgkmcnt(1)
	v_mul_f64 v[101:102], v[83:84], v[103:104]
	v_add_f64 v[125:126], v[125:126], 0
	v_add_f64 v[2:3], v[2:3], 0
	v_mul_f64 v[103:104], v[85:86], v[103:104]
	s_waitcnt vmcnt(16)
	v_fma_f64 v[99:100], v[91:92], v[109:110], -v[99:100]
	v_fma_f64 v[97:98], v[93:94], v[109:110], v[97:98]
	ds_read_b128 v[91:94], v1 offset:1216
	s_waitcnt vmcnt(13)
	v_fma_f64 v[101:102], v[85:86], v[111:112], v[101:102]
	v_add_f64 v[125:126], v[125:126], v[127:128]
	v_add_f64 v[2:3], v[2:3], v[95:96]
	s_waitcnt lgkmcnt(1)
	v_mul_f64 v[95:96], v[87:88], v[105:106]
	v_mul_f64 v[105:106], v[89:90], v[105:106]
	v_fma_f64 v[103:104], v[83:84], v[111:112], -v[103:104]
	s_waitcnt vmcnt(9) lgkmcnt(0)
	v_mul_f64 v[109:110], v[93:94], v[113:114]
	ds_read_b128 v[83:86], v1 offset:1232
	v_add_f64 v[99:100], v[125:126], v[99:100]
	v_add_f64 v[2:3], v[2:3], v[97:98]
	v_mul_f64 v[97:98], v[91:92], v[113:114]
	s_waitcnt vmcnt(8)
	v_fma_f64 v[87:88], v[87:88], v[107:108], -v[105:106]
	v_fma_f64 v[89:90], v[89:90], v[107:108], v[95:96]
	s_waitcnt vmcnt(5)
	v_fma_f64 v[91:92], v[91:92], v[119:120], -v[109:110]
	s_waitcnt lgkmcnt(0)
	v_mul_f64 v[95:96], v[83:84], v[115:116]
	v_add_f64 v[99:100], v[99:100], v[103:104]
	v_add_f64 v[2:3], v[2:3], v[101:102]
	v_mul_f64 v[101:102], v[85:86], v[115:116]
	v_fma_f64 v[93:94], v[93:94], v[119:120], v[97:98]
	s_waitcnt vmcnt(4)
	v_fma_f64 v[85:86], v[85:86], v[117:118], v[95:96]
	v_add_f64 v[87:88], v[99:100], v[87:88]
	v_add_f64 v[2:3], v[2:3], v[89:90]
	v_fma_f64 v[83:84], v[83:84], v[117:118], -v[101:102]
	v_add_f64 v[87:88], v[87:88], v[91:92]
	v_add_f64 v[2:3], v[2:3], v[93:94]
	;; [unrolled: 1-line block ×4, first 2 shown]
	s_waitcnt vmcnt(2)
	v_add_f64 v[83:84], v[121:122], -v[83:84]
	s_waitcnt vmcnt(0)
	v_add_f64 v[2:3], v[123:124], -v[2:3]
	buffer_store_dword v84, off, s[0:3], 0 offset:516
	buffer_store_dword v83, off, s[0:3], 0 offset:512
	;; [unrolled: 1-line block ×4, first 2 shown]
	v_cmpx_lt_u32_e32 30, v0
	s_cbranch_execz .LBB102_187
; %bb.186:
	v_mov_b32_e32 v2, s20
	s_clause 0x3
	buffer_load_dword v83, v2, s[0:3], 0 offen
	buffer_load_dword v84, v2, s[0:3], 0 offen offset:4
	buffer_load_dword v85, v2, s[0:3], 0 offen offset:8
	;; [unrolled: 1-line block ×3, first 2 shown]
	buffer_store_dword v1, off, s[0:3], 0 offset:496
	buffer_store_dword v1, off, s[0:3], 0 offset:500
	;; [unrolled: 1-line block ×4, first 2 shown]
	s_waitcnt vmcnt(0)
	ds_write_b128 v139, v[83:86]
.LBB102_187:
	s_or_b32 exec_lo, exec_lo, s4
	s_waitcnt lgkmcnt(0)
	s_waitcnt_vscnt null, 0x0
	s_barrier
	buffer_gl0_inv
	s_clause 0x23
	buffer_load_dword v2, off, s[0:3], 0 offset:520
	buffer_load_dword v3, off, s[0:3], 0 offset:524
	buffer_load_dword v95, off, s[0:3], 0 offset:536
	buffer_load_dword v96, off, s[0:3], 0 offset:540
	buffer_load_dword v97, off, s[0:3], 0 offset:512
	buffer_load_dword v98, off, s[0:3], 0 offset:516
	buffer_load_dword v99, off, s[0:3], 0 offset:552
	buffer_load_dword v100, off, s[0:3], 0 offset:556
	buffer_load_dword v101, off, s[0:3], 0 offset:528
	buffer_load_dword v102, off, s[0:3], 0 offset:532
	buffer_load_dword v104, off, s[0:3], 0 offset:572
	buffer_load_dword v105, off, s[0:3], 0 offset:584
	buffer_load_dword v107, off, s[0:3], 0 offset:576
	buffer_load_dword v103, off, s[0:3], 0 offset:568
	buffer_load_dword v109, off, s[0:3], 0 offset:544
	buffer_load_dword v110, off, s[0:3], 0 offset:548
	buffer_load_dword v106, off, s[0:3], 0 offset:588
	buffer_load_dword v112, off, s[0:3], 0 offset:564
	buffer_load_dword v111, off, s[0:3], 0 offset:560
	buffer_load_dword v114, off, s[0:3], 0 offset:604
	buffer_load_dword v115, off, s[0:3], 0 offset:616
	buffer_load_dword v117, off, s[0:3], 0 offset:608
	buffer_load_dword v113, off, s[0:3], 0 offset:600
	buffer_load_dword v108, off, s[0:3], 0 offset:580
	buffer_load_dword v116, off, s[0:3], 0 offset:620
	buffer_load_dword v120, off, s[0:3], 0 offset:596
	buffer_load_dword v119, off, s[0:3], 0 offset:592
	buffer_load_dword v122, off, s[0:3], 0 offset:636
	buffer_load_dword v121, off, s[0:3], 0 offset:632
	buffer_load_dword v118, off, s[0:3], 0 offset:612
	buffer_load_dword v124, off, s[0:3], 0 offset:628
	buffer_load_dword v123, off, s[0:3], 0 offset:624
	buffer_load_dword v125, off, s[0:3], 0 offset:496
	buffer_load_dword v126, off, s[0:3], 0 offset:500
	buffer_load_dword v127, off, s[0:3], 0 offset:504
	buffer_load_dword v128, off, s[0:3], 0 offset:508
	ds_read_b128 v[83:86], v1 offset:1120
	ds_read_b128 v[87:90], v1 offset:1136
	;; [unrolled: 1-line block ×3, first 2 shown]
	s_mov_b32 s4, exec_lo
	s_waitcnt vmcnt(34) lgkmcnt(2)
	v_mul_f64 v[129:130], v[85:86], v[2:3]
	v_mul_f64 v[2:3], v[83:84], v[2:3]
	s_waitcnt vmcnt(32) lgkmcnt(1)
	v_mul_f64 v[131:132], v[89:90], v[95:96]
	v_mul_f64 v[95:96], v[87:88], v[95:96]
	s_waitcnt vmcnt(30)
	v_fma_f64 v[129:130], v[83:84], v[97:98], -v[129:130]
	v_fma_f64 v[2:3], v[85:86], v[97:98], v[2:3]
	ds_read_b128 v[83:86], v1 offset:1168
	s_waitcnt vmcnt(28) lgkmcnt(1)
	v_mul_f64 v[97:98], v[91:92], v[99:100]
	v_mul_f64 v[99:100], v[93:94], v[99:100]
	s_waitcnt vmcnt(26)
	v_fma_f64 v[131:132], v[87:88], v[101:102], -v[131:132]
	v_fma_f64 v[95:96], v[89:90], v[101:102], v[95:96]
	ds_read_b128 v[87:90], v1 offset:1184
	s_waitcnt vmcnt(22) lgkmcnt(1)
	v_mul_f64 v[101:102], v[83:84], v[103:104]
	v_add_f64 v[129:130], v[129:130], 0
	v_add_f64 v[2:3], v[2:3], 0
	v_mul_f64 v[103:104], v[85:86], v[103:104]
	s_waitcnt vmcnt(20)
	v_fma_f64 v[99:100], v[91:92], v[109:110], -v[99:100]
	v_fma_f64 v[97:98], v[93:94], v[109:110], v[97:98]
	ds_read_b128 v[91:94], v1 offset:1200
	s_waitcnt vmcnt(17)
	v_fma_f64 v[101:102], v[85:86], v[111:112], v[101:102]
	v_add_f64 v[129:130], v[129:130], v[131:132]
	v_add_f64 v[2:3], v[2:3], v[95:96]
	s_waitcnt lgkmcnt(1)
	v_mul_f64 v[95:96], v[87:88], v[105:106]
	v_mul_f64 v[105:106], v[89:90], v[105:106]
	v_fma_f64 v[103:104], v[83:84], v[111:112], -v[103:104]
	s_waitcnt vmcnt(13) lgkmcnt(0)
	v_mul_f64 v[109:110], v[93:94], v[113:114]
	ds_read_b128 v[83:86], v1 offset:1216
	v_add_f64 v[99:100], v[129:130], v[99:100]
	v_add_f64 v[2:3], v[2:3], v[97:98]
	v_mul_f64 v[97:98], v[91:92], v[113:114]
	s_waitcnt vmcnt(12)
	v_fma_f64 v[87:88], v[87:88], v[107:108], -v[105:106]
	v_fma_f64 v[89:90], v[89:90], v[107:108], v[95:96]
	s_waitcnt vmcnt(9)
	v_fma_f64 v[91:92], v[91:92], v[119:120], -v[109:110]
	v_add_f64 v[99:100], v[99:100], v[103:104]
	v_add_f64 v[95:96], v[2:3], v[101:102]
	s_waitcnt lgkmcnt(0)
	v_mul_f64 v[103:104], v[85:86], v[115:116]
	ds_read_b128 v[1:4], v1 offset:1232
	v_mul_f64 v[101:102], v[83:84], v[115:116]
	v_fma_f64 v[93:94], v[93:94], v[119:120], v[97:98]
	v_add_f64 v[87:88], v[99:100], v[87:88]
	v_add_f64 v[89:90], v[95:96], v[89:90]
	s_waitcnt vmcnt(7) lgkmcnt(0)
	v_mul_f64 v[97:98], v[3:4], v[121:122]
	s_waitcnt vmcnt(6)
	v_fma_f64 v[83:84], v[83:84], v[117:118], -v[103:104]
	v_mul_f64 v[95:96], v[1:2], v[121:122]
	v_fma_f64 v[85:86], v[85:86], v[117:118], v[101:102]
	v_add_f64 v[87:88], v[87:88], v[91:92]
	v_add_f64 v[89:90], v[89:90], v[93:94]
	s_waitcnt vmcnt(4)
	v_fma_f64 v[1:2], v[1:2], v[123:124], -v[97:98]
	v_fma_f64 v[3:4], v[3:4], v[123:124], v[95:96]
	v_add_f64 v[83:84], v[87:88], v[83:84]
	v_add_f64 v[85:86], v[89:90], v[85:86]
	;; [unrolled: 1-line block ×4, first 2 shown]
	s_waitcnt vmcnt(2)
	v_add_f64 v[1:2], v[125:126], -v[1:2]
	s_waitcnt vmcnt(0)
	v_add_f64 v[3:4], v[127:128], -v[3:4]
	buffer_store_dword v2, off, s[0:3], 0 offset:500
	buffer_store_dword v1, off, s[0:3], 0 offset:496
	;; [unrolled: 1-line block ×4, first 2 shown]
	v_cmpx_lt_u32_e32 29, v0
	s_cbranch_execz .LBB102_189
; %bb.188:
	v_mov_b32_e32 v4, s21
	v_mov_b32_e32 v83, 0
	s_clause 0x3
	buffer_load_dword v1, v4, s[0:3], 0 offen
	buffer_load_dword v2, v4, s[0:3], 0 offen offset:4
	buffer_load_dword v3, v4, s[0:3], 0 offen offset:8
	;; [unrolled: 1-line block ×3, first 2 shown]
	buffer_store_dword v83, off, s[0:3], 0 offset:480
	buffer_store_dword v83, off, s[0:3], 0 offset:484
	;; [unrolled: 1-line block ×4, first 2 shown]
	s_waitcnt vmcnt(0)
	ds_write_b128 v139, v[1:4]
.LBB102_189:
	s_or_b32 exec_lo, exec_lo, s4
	s_waitcnt lgkmcnt(0)
	s_waitcnt_vscnt null, 0x0
	s_barrier
	buffer_gl0_inv
	s_clause 0x27
	buffer_load_dword v2, off, s[0:3], 0 offset:504
	buffer_load_dword v3, off, s[0:3], 0 offset:508
	;; [unrolled: 1-line block ×40, first 2 shown]
	v_mov_b32_e32 v1, 0
	ds_read_b128 v[83:86], v1 offset:1104
	ds_read_b128 v[87:90], v1 offset:1120
	;; [unrolled: 1-line block ×3, first 2 shown]
	s_mov_b32 s4, exec_lo
	s_waitcnt vmcnt(38) lgkmcnt(2)
	v_mul_f64 v[133:134], v[85:86], v[2:3]
	v_mul_f64 v[2:3], v[83:84], v[2:3]
	s_waitcnt vmcnt(36) lgkmcnt(1)
	v_mul_f64 v[135:136], v[89:90], v[95:96]
	v_mul_f64 v[95:96], v[87:88], v[95:96]
	s_waitcnt vmcnt(34)
	v_fma_f64 v[133:134], v[83:84], v[97:98], -v[133:134]
	v_fma_f64 v[2:3], v[85:86], v[97:98], v[2:3]
	ds_read_b128 v[83:86], v1 offset:1152
	s_waitcnt vmcnt(32) lgkmcnt(1)
	v_mul_f64 v[97:98], v[91:92], v[99:100]
	v_mul_f64 v[99:100], v[93:94], v[99:100]
	s_waitcnt vmcnt(30)
	v_fma_f64 v[135:136], v[87:88], v[101:102], -v[135:136]
	v_fma_f64 v[95:96], v[89:90], v[101:102], v[95:96]
	ds_read_b128 v[87:90], v1 offset:1168
	s_waitcnt vmcnt(26) lgkmcnt(1)
	v_mul_f64 v[101:102], v[83:84], v[103:104]
	v_add_f64 v[133:134], v[133:134], 0
	v_add_f64 v[2:3], v[2:3], 0
	v_mul_f64 v[103:104], v[85:86], v[103:104]
	s_waitcnt vmcnt(24)
	v_fma_f64 v[99:100], v[91:92], v[109:110], -v[99:100]
	v_fma_f64 v[97:98], v[93:94], v[109:110], v[97:98]
	ds_read_b128 v[91:94], v1 offset:1184
	s_waitcnt vmcnt(21)
	v_fma_f64 v[101:102], v[85:86], v[111:112], v[101:102]
	v_add_f64 v[133:134], v[133:134], v[135:136]
	v_add_f64 v[2:3], v[2:3], v[95:96]
	s_waitcnt lgkmcnt(1)
	v_mul_f64 v[95:96], v[87:88], v[105:106]
	v_mul_f64 v[105:106], v[89:90], v[105:106]
	v_fma_f64 v[103:104], v[83:84], v[111:112], -v[103:104]
	s_waitcnt vmcnt(17) lgkmcnt(0)
	v_mul_f64 v[109:110], v[93:94], v[113:114]
	ds_read_b128 v[83:86], v1 offset:1200
	v_add_f64 v[99:100], v[133:134], v[99:100]
	v_add_f64 v[2:3], v[2:3], v[97:98]
	v_mul_f64 v[97:98], v[91:92], v[113:114]
	s_waitcnt vmcnt(16)
	v_fma_f64 v[105:106], v[87:88], v[107:108], -v[105:106]
	v_fma_f64 v[95:96], v[89:90], v[107:108], v[95:96]
	ds_read_b128 v[87:90], v1 offset:1216
	s_waitcnt vmcnt(13)
	v_fma_f64 v[107:108], v[91:92], v[119:120], -v[109:110]
	v_add_f64 v[99:100], v[99:100], v[103:104]
	v_add_f64 v[2:3], v[2:3], v[101:102]
	s_waitcnt lgkmcnt(1)
	v_mul_f64 v[103:104], v[85:86], v[115:116]
	v_mul_f64 v[101:102], v[83:84], v[115:116]
	v_fma_f64 v[97:98], v[93:94], v[119:120], v[97:98]
	ds_read_b128 v[91:94], v1 offset:1232
	v_add_f64 v[99:100], v[99:100], v[105:106]
	v_add_f64 v[2:3], v[2:3], v[95:96]
	s_waitcnt vmcnt(9) lgkmcnt(1)
	v_mul_f64 v[105:106], v[89:90], v[121:122]
	s_waitcnt vmcnt(8)
	v_fma_f64 v[83:84], v[83:84], v[117:118], -v[103:104]
	v_mul_f64 v[95:96], v[87:88], v[121:122]
	v_fma_f64 v[85:86], v[85:86], v[117:118], v[101:102]
	s_waitcnt vmcnt(7) lgkmcnt(0)
	v_mul_f64 v[101:102], v[93:94], v[123:124]
	v_add_f64 v[99:100], v[99:100], v[107:108]
	v_add_f64 v[2:3], v[2:3], v[97:98]
	s_waitcnt vmcnt(5)
	v_fma_f64 v[87:88], v[87:88], v[127:128], -v[105:106]
	v_mul_f64 v[97:98], v[91:92], v[123:124]
	v_fma_f64 v[89:90], v[89:90], v[127:128], v[95:96]
	v_add_f64 v[83:84], v[99:100], v[83:84]
	v_add_f64 v[2:3], v[2:3], v[85:86]
	s_waitcnt vmcnt(4)
	v_fma_f64 v[85:86], v[91:92], v[125:126], -v[101:102]
	v_add_f64 v[83:84], v[83:84], v[87:88]
	v_fma_f64 v[87:88], v[93:94], v[125:126], v[97:98]
	v_add_f64 v[2:3], v[2:3], v[89:90]
	v_add_f64 v[83:84], v[83:84], v[85:86]
	;; [unrolled: 1-line block ×3, first 2 shown]
	s_waitcnt vmcnt(2)
	v_add_f64 v[83:84], v[129:130], -v[83:84]
	s_waitcnt vmcnt(0)
	v_add_f64 v[2:3], v[131:132], -v[2:3]
	buffer_store_dword v84, off, s[0:3], 0 offset:484
	buffer_store_dword v83, off, s[0:3], 0 offset:480
	;; [unrolled: 1-line block ×4, first 2 shown]
	v_cmpx_lt_u32_e32 28, v0
	s_cbranch_execz .LBB102_191
; %bb.190:
	v_mov_b32_e32 v2, s22
	s_clause 0x3
	buffer_load_dword v83, v2, s[0:3], 0 offen
	buffer_load_dword v84, v2, s[0:3], 0 offen offset:4
	buffer_load_dword v85, v2, s[0:3], 0 offen offset:8
	;; [unrolled: 1-line block ×3, first 2 shown]
	buffer_store_dword v1, off, s[0:3], 0 offset:464
	buffer_store_dword v1, off, s[0:3], 0 offset:468
	;; [unrolled: 1-line block ×4, first 2 shown]
	s_waitcnt vmcnt(0)
	ds_write_b128 v139, v[83:86]
.LBB102_191:
	s_or_b32 exec_lo, exec_lo, s4
	s_waitcnt lgkmcnt(0)
	s_waitcnt_vscnt null, 0x0
	s_barrier
	buffer_gl0_inv
	s_clause 0x2b
	buffer_load_dword v2, off, s[0:3], 0 offset:488
	buffer_load_dword v3, off, s[0:3], 0 offset:492
	;; [unrolled: 1-line block ×44, first 2 shown]
	ds_read_b128 v[83:86], v1 offset:1088
	ds_read_b128 v[87:90], v1 offset:1104
	;; [unrolled: 1-line block ×3, first 2 shown]
	s_mov_b32 s4, exec_lo
	s_waitcnt vmcnt(42) lgkmcnt(2)
	v_mul_f64 v[137:138], v[85:86], v[2:3]
	v_mul_f64 v[2:3], v[83:84], v[2:3]
	s_waitcnt vmcnt(40) lgkmcnt(1)
	v_mul_f64 v[140:141], v[89:90], v[95:96]
	v_mul_f64 v[95:96], v[87:88], v[95:96]
	s_waitcnt vmcnt(38)
	v_fma_f64 v[137:138], v[83:84], v[97:98], -v[137:138]
	v_fma_f64 v[2:3], v[85:86], v[97:98], v[2:3]
	ds_read_b128 v[83:86], v1 offset:1136
	s_waitcnt vmcnt(36) lgkmcnt(1)
	v_mul_f64 v[97:98], v[91:92], v[99:100]
	v_mul_f64 v[99:100], v[93:94], v[99:100]
	s_waitcnt vmcnt(34)
	v_fma_f64 v[140:141], v[87:88], v[101:102], -v[140:141]
	v_fma_f64 v[95:96], v[89:90], v[101:102], v[95:96]
	ds_read_b128 v[87:90], v1 offset:1152
	s_waitcnt vmcnt(30) lgkmcnt(1)
	v_mul_f64 v[101:102], v[83:84], v[103:104]
	v_add_f64 v[137:138], v[137:138], 0
	v_add_f64 v[2:3], v[2:3], 0
	v_mul_f64 v[103:104], v[85:86], v[103:104]
	s_waitcnt vmcnt(28)
	v_fma_f64 v[99:100], v[91:92], v[109:110], -v[99:100]
	v_fma_f64 v[97:98], v[93:94], v[109:110], v[97:98]
	ds_read_b128 v[91:94], v1 offset:1168
	s_waitcnt vmcnt(25)
	v_fma_f64 v[101:102], v[85:86], v[111:112], v[101:102]
	v_add_f64 v[137:138], v[137:138], v[140:141]
	v_add_f64 v[2:3], v[2:3], v[95:96]
	s_waitcnt lgkmcnt(1)
	v_mul_f64 v[95:96], v[87:88], v[105:106]
	v_mul_f64 v[105:106], v[89:90], v[105:106]
	v_fma_f64 v[103:104], v[83:84], v[111:112], -v[103:104]
	s_waitcnt vmcnt(21) lgkmcnt(0)
	v_mul_f64 v[109:110], v[93:94], v[113:114]
	ds_read_b128 v[83:86], v1 offset:1184
	v_add_f64 v[99:100], v[137:138], v[99:100]
	v_add_f64 v[2:3], v[2:3], v[97:98]
	v_mul_f64 v[97:98], v[91:92], v[113:114]
	s_waitcnt vmcnt(20)
	v_fma_f64 v[105:106], v[87:88], v[107:108], -v[105:106]
	v_fma_f64 v[95:96], v[89:90], v[107:108], v[95:96]
	ds_read_b128 v[87:90], v1 offset:1200
	s_waitcnt vmcnt(17)
	v_fma_f64 v[107:108], v[91:92], v[119:120], -v[109:110]
	v_add_f64 v[99:100], v[99:100], v[103:104]
	v_add_f64 v[2:3], v[2:3], v[101:102]
	s_waitcnt lgkmcnt(1)
	v_mul_f64 v[103:104], v[85:86], v[115:116]
	v_mul_f64 v[101:102], v[83:84], v[115:116]
	v_fma_f64 v[97:98], v[93:94], v[119:120], v[97:98]
	ds_read_b128 v[91:94], v1 offset:1216
	v_add_f64 v[99:100], v[99:100], v[105:106]
	v_add_f64 v[2:3], v[2:3], v[95:96]
	s_waitcnt vmcnt(13) lgkmcnt(1)
	v_mul_f64 v[105:106], v[89:90], v[121:122]
	s_waitcnt vmcnt(12)
	v_fma_f64 v[83:84], v[83:84], v[117:118], -v[103:104]
	v_mul_f64 v[95:96], v[87:88], v[121:122]
	v_fma_f64 v[85:86], v[85:86], v[117:118], v[101:102]
	s_waitcnt vmcnt(11) lgkmcnt(0)
	v_mul_f64 v[103:104], v[93:94], v[123:124]
	v_mul_f64 v[101:102], v[91:92], v[123:124]
	v_add_f64 v[99:100], v[99:100], v[107:108]
	v_add_f64 v[97:98], v[2:3], v[97:98]
	s_waitcnt vmcnt(9)
	v_fma_f64 v[87:88], v[87:88], v[127:128], -v[105:106]
	ds_read_b128 v[1:4], v1 offset:1232
	v_fma_f64 v[89:90], v[89:90], v[127:128], v[95:96]
	s_waitcnt vmcnt(6)
	v_fma_f64 v[91:92], v[91:92], v[125:126], -v[103:104]
	v_add_f64 v[83:84], v[99:100], v[83:84]
	v_add_f64 v[85:86], v[97:98], v[85:86]
	s_waitcnt lgkmcnt(0)
	v_mul_f64 v[97:98], v[3:4], v[129:130]
	v_mul_f64 v[95:96], v[1:2], v[129:130]
	v_add_f64 v[83:84], v[83:84], v[87:88]
	v_fma_f64 v[87:88], v[93:94], v[125:126], v[101:102]
	v_add_f64 v[85:86], v[85:86], v[89:90]
	s_waitcnt vmcnt(4)
	v_fma_f64 v[1:2], v[1:2], v[131:132], -v[97:98]
	v_fma_f64 v[3:4], v[3:4], v[131:132], v[95:96]
	v_add_f64 v[83:84], v[83:84], v[91:92]
	v_add_f64 v[85:86], v[85:86], v[87:88]
	;; [unrolled: 1-line block ×4, first 2 shown]
	s_waitcnt vmcnt(2)
	v_add_f64 v[1:2], v[133:134], -v[1:2]
	s_waitcnt vmcnt(0)
	v_add_f64 v[3:4], v[135:136], -v[3:4]
	buffer_store_dword v2, off, s[0:3], 0 offset:468
	buffer_store_dword v1, off, s[0:3], 0 offset:464
	;; [unrolled: 1-line block ×4, first 2 shown]
	v_cmpx_lt_u32_e32 27, v0
	s_cbranch_execz .LBB102_193
; %bb.192:
	v_mov_b32_e32 v4, s23
	v_mov_b32_e32 v83, 0
	s_clause 0x3
	buffer_load_dword v1, v4, s[0:3], 0 offen
	buffer_load_dword v2, v4, s[0:3], 0 offen offset:4
	buffer_load_dword v3, v4, s[0:3], 0 offen offset:8
	;; [unrolled: 1-line block ×3, first 2 shown]
	buffer_store_dword v83, off, s[0:3], 0 offset:448
	buffer_store_dword v83, off, s[0:3], 0 offset:452
	;; [unrolled: 1-line block ×4, first 2 shown]
	s_waitcnt vmcnt(0)
	ds_write_b128 v139, v[1:4]
.LBB102_193:
	s_or_b32 exec_lo, exec_lo, s4
	s_waitcnt lgkmcnt(0)
	s_waitcnt_vscnt null, 0x0
	s_barrier
	buffer_gl0_inv
	s_clause 0x2f
	buffer_load_dword v2, off, s[0:3], 0 offset:472
	buffer_load_dword v3, off, s[0:3], 0 offset:476
	;; [unrolled: 1-line block ×48, first 2 shown]
	v_mov_b32_e32 v1, 0
	ds_read_b128 v[83:86], v1 offset:1072
	ds_read_b128 v[87:90], v1 offset:1088
	ds_read_b128 v[91:94], v1 offset:1104
	s_mov_b32 s4, exec_lo
	s_waitcnt vmcnt(46) lgkmcnt(2)
	v_mul_f64 v[142:143], v[85:86], v[2:3]
	v_mul_f64 v[2:3], v[83:84], v[2:3]
	s_waitcnt vmcnt(44) lgkmcnt(1)
	v_mul_f64 v[144:145], v[89:90], v[95:96]
	v_mul_f64 v[95:96], v[87:88], v[95:96]
	s_waitcnt vmcnt(42)
	v_fma_f64 v[142:143], v[83:84], v[97:98], -v[142:143]
	v_fma_f64 v[2:3], v[85:86], v[97:98], v[2:3]
	ds_read_b128 v[83:86], v1 offset:1120
	s_waitcnt vmcnt(40) lgkmcnt(1)
	v_mul_f64 v[97:98], v[91:92], v[99:100]
	v_mul_f64 v[99:100], v[93:94], v[99:100]
	s_waitcnt vmcnt(38)
	v_fma_f64 v[144:145], v[87:88], v[101:102], -v[144:145]
	v_fma_f64 v[95:96], v[89:90], v[101:102], v[95:96]
	ds_read_b128 v[87:90], v1 offset:1136
	s_waitcnt vmcnt(34) lgkmcnt(1)
	v_mul_f64 v[101:102], v[83:84], v[103:104]
	v_add_f64 v[142:143], v[142:143], 0
	v_add_f64 v[2:3], v[2:3], 0
	v_mul_f64 v[103:104], v[85:86], v[103:104]
	s_waitcnt vmcnt(32)
	v_fma_f64 v[99:100], v[91:92], v[109:110], -v[99:100]
	v_fma_f64 v[97:98], v[93:94], v[109:110], v[97:98]
	ds_read_b128 v[91:94], v1 offset:1152
	s_waitcnt vmcnt(29)
	v_fma_f64 v[101:102], v[85:86], v[111:112], v[101:102]
	v_add_f64 v[142:143], v[142:143], v[144:145]
	v_add_f64 v[2:3], v[2:3], v[95:96]
	s_waitcnt lgkmcnt(1)
	v_mul_f64 v[95:96], v[87:88], v[105:106]
	v_mul_f64 v[105:106], v[89:90], v[105:106]
	v_fma_f64 v[103:104], v[83:84], v[111:112], -v[103:104]
	s_waitcnt vmcnt(25) lgkmcnt(0)
	v_mul_f64 v[109:110], v[93:94], v[113:114]
	ds_read_b128 v[83:86], v1 offset:1168
	v_add_f64 v[99:100], v[142:143], v[99:100]
	v_add_f64 v[2:3], v[2:3], v[97:98]
	v_mul_f64 v[97:98], v[91:92], v[113:114]
	s_waitcnt vmcnt(24)
	v_fma_f64 v[105:106], v[87:88], v[107:108], -v[105:106]
	v_fma_f64 v[95:96], v[89:90], v[107:108], v[95:96]
	ds_read_b128 v[87:90], v1 offset:1184
	s_waitcnt vmcnt(21)
	v_fma_f64 v[107:108], v[91:92], v[119:120], -v[109:110]
	v_add_f64 v[99:100], v[99:100], v[103:104]
	v_add_f64 v[2:3], v[2:3], v[101:102]
	s_waitcnt lgkmcnt(1)
	v_mul_f64 v[103:104], v[85:86], v[115:116]
	v_mul_f64 v[101:102], v[83:84], v[115:116]
	v_fma_f64 v[97:98], v[93:94], v[119:120], v[97:98]
	ds_read_b128 v[91:94], v1 offset:1200
	v_add_f64 v[99:100], v[99:100], v[105:106]
	v_add_f64 v[2:3], v[2:3], v[95:96]
	s_waitcnt vmcnt(17) lgkmcnt(1)
	v_mul_f64 v[105:106], v[89:90], v[121:122]
	s_waitcnt vmcnt(16)
	v_fma_f64 v[103:104], v[83:84], v[117:118], -v[103:104]
	v_mul_f64 v[95:96], v[87:88], v[121:122]
	v_fma_f64 v[101:102], v[85:86], v[117:118], v[101:102]
	ds_read_b128 v[83:86], v1 offset:1216
	v_add_f64 v[99:100], v[99:100], v[107:108]
	v_add_f64 v[2:3], v[2:3], v[97:98]
	s_waitcnt vmcnt(15) lgkmcnt(1)
	v_mul_f64 v[107:108], v[93:94], v[123:124]
	s_waitcnt vmcnt(13)
	v_fma_f64 v[105:106], v[87:88], v[127:128], -v[105:106]
	;; [unrolled: 9-line block ×3, first 2 shown]
	v_mul_f64 v[101:102], v[83:84], v[129:130]
	v_fma_f64 v[93:94], v[93:94], v[125:126], v[97:98]
	s_waitcnt vmcnt(7) lgkmcnt(0)
	v_mul_f64 v[97:98], v[89:90], v[131:132]
	v_add_f64 v[99:100], v[99:100], v[105:106]
	v_add_f64 v[2:3], v[2:3], v[95:96]
	s_waitcnt vmcnt(5)
	v_fma_f64 v[83:84], v[83:84], v[135:136], -v[103:104]
	v_mul_f64 v[95:96], v[87:88], v[131:132]
	v_fma_f64 v[85:86], v[85:86], v[135:136], v[101:102]
	s_waitcnt vmcnt(4)
	v_fma_f64 v[87:88], v[87:88], v[133:134], -v[97:98]
	v_add_f64 v[91:92], v[99:100], v[91:92]
	v_add_f64 v[2:3], v[2:3], v[93:94]
	v_fma_f64 v[89:90], v[89:90], v[133:134], v[95:96]
	v_add_f64 v[83:84], v[91:92], v[83:84]
	v_add_f64 v[2:3], v[2:3], v[85:86]
	;; [unrolled: 1-line block ×4, first 2 shown]
	s_waitcnt vmcnt(2)
	v_add_f64 v[83:84], v[137:138], -v[83:84]
	s_waitcnt vmcnt(0)
	v_add_f64 v[2:3], v[140:141], -v[2:3]
	buffer_store_dword v84, off, s[0:3], 0 offset:452
	buffer_store_dword v83, off, s[0:3], 0 offset:448
	;; [unrolled: 1-line block ×4, first 2 shown]
	v_cmpx_lt_u32_e32 26, v0
	s_cbranch_execz .LBB102_195
; %bb.194:
	v_mov_b32_e32 v2, s24
	s_clause 0x3
	buffer_load_dword v83, v2, s[0:3], 0 offen
	buffer_load_dword v84, v2, s[0:3], 0 offen offset:4
	buffer_load_dword v85, v2, s[0:3], 0 offen offset:8
	;; [unrolled: 1-line block ×3, first 2 shown]
	buffer_store_dword v1, off, s[0:3], 0 offset:432
	buffer_store_dword v1, off, s[0:3], 0 offset:436
	;; [unrolled: 1-line block ×4, first 2 shown]
	s_waitcnt vmcnt(0)
	ds_write_b128 v139, v[83:86]
.LBB102_195:
	s_or_b32 exec_lo, exec_lo, s4
	s_waitcnt lgkmcnt(0)
	s_waitcnt_vscnt null, 0x0
	s_barrier
	buffer_gl0_inv
	s_clause 0x2f
	buffer_load_dword v2, off, s[0:3], 0 offset:456
	buffer_load_dword v3, off, s[0:3], 0 offset:460
	;; [unrolled: 1-line block ×48, first 2 shown]
	ds_read_b128 v[83:86], v1 offset:1056
	s_clause 0x3
	buffer_load_dword v142, off, s[0:3], 0 offset:432
	buffer_load_dword v143, off, s[0:3], 0 offset:436
	;; [unrolled: 1-line block ×4, first 2 shown]
	ds_read_b128 v[87:90], v1 offset:1072
	ds_read_b128 v[91:94], v1 offset:1088
	s_mov_b32 s4, exec_lo
	s_waitcnt vmcnt(50) lgkmcnt(2)
	v_mul_f64 v[146:147], v[85:86], v[2:3]
	v_mul_f64 v[2:3], v[83:84], v[2:3]
	s_waitcnt vmcnt(48) lgkmcnt(1)
	v_mul_f64 v[148:149], v[89:90], v[95:96]
	v_mul_f64 v[95:96], v[87:88], v[95:96]
	s_waitcnt vmcnt(46)
	v_fma_f64 v[146:147], v[83:84], v[97:98], -v[146:147]
	v_fma_f64 v[2:3], v[85:86], v[97:98], v[2:3]
	s_waitcnt vmcnt(44) lgkmcnt(0)
	v_mul_f64 v[97:98], v[91:92], v[99:100]
	v_mul_f64 v[99:100], v[93:94], v[99:100]
	s_waitcnt vmcnt(42)
	v_fma_f64 v[148:149], v[87:88], v[101:102], -v[148:149]
	ds_read_b128 v[83:86], v1 offset:1104
	v_fma_f64 v[95:96], v[89:90], v[101:102], v[95:96]
	ds_read_b128 v[87:90], v1 offset:1120
	v_add_f64 v[146:147], v[146:147], 0
	v_add_f64 v[2:3], v[2:3], 0
	s_waitcnt vmcnt(36)
	v_fma_f64 v[97:98], v[93:94], v[109:110], v[97:98]
	s_waitcnt lgkmcnt(1)
	v_mul_f64 v[101:102], v[83:84], v[103:104]
	v_mul_f64 v[103:104], v[85:86], v[103:104]
	v_fma_f64 v[99:100], v[91:92], v[109:110], -v[99:100]
	ds_read_b128 v[91:94], v1 offset:1136
	v_add_f64 v[146:147], v[146:147], v[148:149]
	v_add_f64 v[2:3], v[2:3], v[95:96]
	s_waitcnt vmcnt(35) lgkmcnt(1)
	v_mul_f64 v[95:96], v[87:88], v[105:106]
	v_mul_f64 v[105:106], v[89:90], v[105:106]
	s_waitcnt vmcnt(33)
	v_fma_f64 v[103:104], v[83:84], v[111:112], -v[103:104]
	v_fma_f64 v[101:102], v[85:86], v[111:112], v[101:102]
	ds_read_b128 v[83:86], v1 offset:1152
	s_waitcnt vmcnt(29) lgkmcnt(1)
	v_mul_f64 v[109:110], v[93:94], v[113:114]
	v_add_f64 v[99:100], v[146:147], v[99:100]
	v_add_f64 v[2:3], v[2:3], v[97:98]
	v_mul_f64 v[97:98], v[91:92], v[113:114]
	s_waitcnt vmcnt(28)
	v_fma_f64 v[105:106], v[87:88], v[107:108], -v[105:106]
	v_fma_f64 v[95:96], v[89:90], v[107:108], v[95:96]
	ds_read_b128 v[87:90], v1 offset:1168
	s_waitcnt vmcnt(25)
	v_fma_f64 v[107:108], v[91:92], v[119:120], -v[109:110]
	v_add_f64 v[99:100], v[99:100], v[103:104]
	v_add_f64 v[2:3], v[2:3], v[101:102]
	s_waitcnt lgkmcnt(1)
	v_mul_f64 v[103:104], v[85:86], v[115:116]
	v_mul_f64 v[101:102], v[83:84], v[115:116]
	v_fma_f64 v[97:98], v[93:94], v[119:120], v[97:98]
	ds_read_b128 v[91:94], v1 offset:1184
	v_add_f64 v[99:100], v[99:100], v[105:106]
	v_add_f64 v[2:3], v[2:3], v[95:96]
	s_waitcnt vmcnt(21) lgkmcnt(1)
	v_mul_f64 v[105:106], v[89:90], v[121:122]
	s_waitcnt vmcnt(20)
	v_fma_f64 v[103:104], v[83:84], v[117:118], -v[103:104]
	v_mul_f64 v[95:96], v[87:88], v[121:122]
	v_fma_f64 v[101:102], v[85:86], v[117:118], v[101:102]
	ds_read_b128 v[83:86], v1 offset:1200
	v_add_f64 v[99:100], v[99:100], v[107:108]
	v_add_f64 v[2:3], v[2:3], v[97:98]
	s_waitcnt vmcnt(19) lgkmcnt(1)
	v_mul_f64 v[107:108], v[93:94], v[123:124]
	s_waitcnt vmcnt(17)
	v_fma_f64 v[105:106], v[87:88], v[127:128], -v[105:106]
	;; [unrolled: 9-line block ×3, first 2 shown]
	v_mul_f64 v[101:102], v[83:84], v[129:130]
	v_fma_f64 v[93:94], v[93:94], v[125:126], v[97:98]
	s_waitcnt vmcnt(11) lgkmcnt(0)
	v_mul_f64 v[97:98], v[87:88], v[131:132]
	v_add_f64 v[99:100], v[99:100], v[105:106]
	v_add_f64 v[95:96], v[2:3], v[95:96]
	v_mul_f64 v[105:106], v[89:90], v[131:132]
	s_waitcnt vmcnt(9)
	v_fma_f64 v[83:84], v[83:84], v[135:136], -v[103:104]
	ds_read_b128 v[1:4], v1 offset:1232
	v_fma_f64 v[85:86], v[85:86], v[135:136], v[101:102]
	s_waitcnt vmcnt(6)
	v_fma_f64 v[89:90], v[89:90], v[133:134], v[97:98]
	v_add_f64 v[91:92], v[99:100], v[91:92]
	v_add_f64 v[93:94], v[95:96], v[93:94]
	s_waitcnt lgkmcnt(0)
	v_mul_f64 v[99:100], v[3:4], v[137:138]
	v_fma_f64 v[87:88], v[87:88], v[133:134], -v[105:106]
	v_mul_f64 v[95:96], v[1:2], v[137:138]
	v_add_f64 v[83:84], v[91:92], v[83:84]
	v_add_f64 v[85:86], v[93:94], v[85:86]
	s_waitcnt vmcnt(4)
	v_fma_f64 v[1:2], v[1:2], v[140:141], -v[99:100]
	v_fma_f64 v[3:4], v[3:4], v[140:141], v[95:96]
	v_add_f64 v[83:84], v[83:84], v[87:88]
	v_add_f64 v[85:86], v[85:86], v[89:90]
	;; [unrolled: 1-line block ×4, first 2 shown]
	s_waitcnt vmcnt(2)
	v_add_f64 v[1:2], v[142:143], -v[1:2]
	s_waitcnt vmcnt(0)
	v_add_f64 v[3:4], v[144:145], -v[3:4]
	buffer_store_dword v2, off, s[0:3], 0 offset:436
	buffer_store_dword v1, off, s[0:3], 0 offset:432
	;; [unrolled: 1-line block ×4, first 2 shown]
	v_cmpx_lt_u32_e32 25, v0
	s_cbranch_execz .LBB102_197
; %bb.196:
	v_mov_b32_e32 v4, s25
	v_mov_b32_e32 v83, 0
	s_clause 0x3
	buffer_load_dword v1, v4, s[0:3], 0 offen
	buffer_load_dword v2, v4, s[0:3], 0 offen offset:4
	buffer_load_dword v3, v4, s[0:3], 0 offen offset:8
	;; [unrolled: 1-line block ×3, first 2 shown]
	buffer_store_dword v83, off, s[0:3], 0 offset:416
	buffer_store_dword v83, off, s[0:3], 0 offset:420
	;; [unrolled: 1-line block ×4, first 2 shown]
	s_waitcnt vmcnt(0)
	ds_write_b128 v139, v[1:4]
.LBB102_197:
	s_or_b32 exec_lo, exec_lo, s4
	s_waitcnt lgkmcnt(0)
	s_waitcnt_vscnt null, 0x0
	s_barrier
	buffer_gl0_inv
	s_clause 0x33
	buffer_load_dword v2, off, s[0:3], 0 offset:440
	buffer_load_dword v3, off, s[0:3], 0 offset:444
	buffer_load_dword v95, off, s[0:3], 0 offset:456
	buffer_load_dword v96, off, s[0:3], 0 offset:460
	buffer_load_dword v97, off, s[0:3], 0 offset:432
	buffer_load_dword v98, off, s[0:3], 0 offset:436
	buffer_load_dword v99, off, s[0:3], 0 offset:472
	buffer_load_dword v100, off, s[0:3], 0 offset:476
	buffer_load_dword v101, off, s[0:3], 0 offset:448
	buffer_load_dword v102, off, s[0:3], 0 offset:452
	buffer_load_dword v104, off, s[0:3], 0 offset:492
	buffer_load_dword v105, off, s[0:3], 0 offset:504
	buffer_load_dword v107, off, s[0:3], 0 offset:496
	buffer_load_dword v103, off, s[0:3], 0 offset:488
	buffer_load_dword v109, off, s[0:3], 0 offset:464
	buffer_load_dword v110, off, s[0:3], 0 offset:468
	buffer_load_dword v106, off, s[0:3], 0 offset:508
	buffer_load_dword v112, off, s[0:3], 0 offset:484
	buffer_load_dword v111, off, s[0:3], 0 offset:480
	buffer_load_dword v114, off, s[0:3], 0 offset:524
	buffer_load_dword v115, off, s[0:3], 0 offset:536
	buffer_load_dword v117, off, s[0:3], 0 offset:528
	buffer_load_dword v113, off, s[0:3], 0 offset:520
	buffer_load_dword v108, off, s[0:3], 0 offset:500
	buffer_load_dword v116, off, s[0:3], 0 offset:540
	buffer_load_dword v120, off, s[0:3], 0 offset:516
	buffer_load_dword v119, off, s[0:3], 0 offset:512
	buffer_load_dword v122, off, s[0:3], 0 offset:556
	buffer_load_dword v123, off, s[0:3], 0 offset:568
	buffer_load_dword v125, off, s[0:3], 0 offset:560
	buffer_load_dword v121, off, s[0:3], 0 offset:552
	buffer_load_dword v118, off, s[0:3], 0 offset:532
	buffer_load_dword v124, off, s[0:3], 0 offset:572
	buffer_load_dword v128, off, s[0:3], 0 offset:548
	buffer_load_dword v127, off, s[0:3], 0 offset:544
	buffer_load_dword v130, off, s[0:3], 0 offset:588
	buffer_load_dword v131, off, s[0:3], 0 offset:600
	buffer_load_dword v133, off, s[0:3], 0 offset:592
	buffer_load_dword v129, off, s[0:3], 0 offset:584
	buffer_load_dword v126, off, s[0:3], 0 offset:564
	buffer_load_dword v132, off, s[0:3], 0 offset:604
	buffer_load_dword v136, off, s[0:3], 0 offset:580
	buffer_load_dword v135, off, s[0:3], 0 offset:576
	buffer_load_dword v138, off, s[0:3], 0 offset:620
	buffer_load_dword v140, off, s[0:3], 0 offset:632
	buffer_load_dword v142, off, s[0:3], 0 offset:624
	buffer_load_dword v137, off, s[0:3], 0 offset:616
	buffer_load_dword v134, off, s[0:3], 0 offset:596
	buffer_load_dword v141, off, s[0:3], 0 offset:636
	buffer_load_dword v145, off, s[0:3], 0 offset:612
	buffer_load_dword v144, off, s[0:3], 0 offset:608
	buffer_load_dword v143, off, s[0:3], 0 offset:628
	v_mov_b32_e32 v1, 0
	ds_read_b128 v[83:86], v1 offset:1040
	ds_read_b128 v[87:90], v1 offset:1056
	s_clause 0x3
	buffer_load_dword v148, off, s[0:3], 0 offset:416
	buffer_load_dword v149, off, s[0:3], 0 offset:420
	;; [unrolled: 1-line block ×4, first 2 shown]
	ds_read_b128 v[91:94], v1 offset:1072
	s_mov_b32 s4, exec_lo
	s_waitcnt vmcnt(54) lgkmcnt(2)
	v_mul_f64 v[146:147], v[85:86], v[2:3]
	v_mul_f64 v[2:3], v[83:84], v[2:3]
	s_waitcnt vmcnt(52) lgkmcnt(1)
	v_mul_f64 v[152:153], v[89:90], v[95:96]
	v_mul_f64 v[95:96], v[87:88], v[95:96]
	s_waitcnt vmcnt(50)
	v_fma_f64 v[146:147], v[83:84], v[97:98], -v[146:147]
	v_fma_f64 v[2:3], v[85:86], v[97:98], v[2:3]
	ds_read_b128 v[83:86], v1 offset:1088
	s_waitcnt vmcnt(48) lgkmcnt(1)
	v_mul_f64 v[97:98], v[91:92], v[99:100]
	v_mul_f64 v[99:100], v[93:94], v[99:100]
	s_waitcnt vmcnt(46)
	v_fma_f64 v[152:153], v[87:88], v[101:102], -v[152:153]
	v_fma_f64 v[95:96], v[89:90], v[101:102], v[95:96]
	ds_read_b128 v[87:90], v1 offset:1104
	s_waitcnt vmcnt(42) lgkmcnt(1)
	v_mul_f64 v[101:102], v[83:84], v[103:104]
	v_add_f64 v[146:147], v[146:147], 0
	v_add_f64 v[2:3], v[2:3], 0
	v_mul_f64 v[103:104], v[85:86], v[103:104]
	s_waitcnt vmcnt(40)
	v_fma_f64 v[99:100], v[91:92], v[109:110], -v[99:100]
	v_fma_f64 v[97:98], v[93:94], v[109:110], v[97:98]
	ds_read_b128 v[91:94], v1 offset:1120
	s_waitcnt vmcnt(37)
	v_fma_f64 v[101:102], v[85:86], v[111:112], v[101:102]
	v_add_f64 v[146:147], v[146:147], v[152:153]
	v_add_f64 v[2:3], v[2:3], v[95:96]
	s_waitcnt lgkmcnt(1)
	v_mul_f64 v[95:96], v[87:88], v[105:106]
	v_mul_f64 v[105:106], v[89:90], v[105:106]
	v_fma_f64 v[103:104], v[83:84], v[111:112], -v[103:104]
	s_waitcnt vmcnt(33) lgkmcnt(0)
	v_mul_f64 v[109:110], v[93:94], v[113:114]
	ds_read_b128 v[83:86], v1 offset:1136
	v_add_f64 v[99:100], v[146:147], v[99:100]
	v_add_f64 v[2:3], v[2:3], v[97:98]
	v_mul_f64 v[97:98], v[91:92], v[113:114]
	s_waitcnt vmcnt(32)
	v_fma_f64 v[105:106], v[87:88], v[107:108], -v[105:106]
	v_fma_f64 v[95:96], v[89:90], v[107:108], v[95:96]
	ds_read_b128 v[87:90], v1 offset:1152
	s_waitcnt vmcnt(29)
	v_fma_f64 v[107:108], v[91:92], v[119:120], -v[109:110]
	v_add_f64 v[99:100], v[99:100], v[103:104]
	v_add_f64 v[2:3], v[2:3], v[101:102]
	s_waitcnt lgkmcnt(1)
	v_mul_f64 v[103:104], v[85:86], v[115:116]
	v_mul_f64 v[101:102], v[83:84], v[115:116]
	v_fma_f64 v[97:98], v[93:94], v[119:120], v[97:98]
	ds_read_b128 v[91:94], v1 offset:1168
	v_add_f64 v[99:100], v[99:100], v[105:106]
	v_add_f64 v[2:3], v[2:3], v[95:96]
	s_waitcnt vmcnt(25) lgkmcnt(1)
	v_mul_f64 v[105:106], v[89:90], v[121:122]
	s_waitcnt vmcnt(24)
	v_fma_f64 v[103:104], v[83:84], v[117:118], -v[103:104]
	v_mul_f64 v[95:96], v[87:88], v[121:122]
	v_fma_f64 v[101:102], v[85:86], v[117:118], v[101:102]
	ds_read_b128 v[83:86], v1 offset:1184
	v_add_f64 v[99:100], v[99:100], v[107:108]
	v_add_f64 v[2:3], v[2:3], v[97:98]
	s_waitcnt vmcnt(23) lgkmcnt(1)
	v_mul_f64 v[107:108], v[93:94], v[123:124]
	s_waitcnt vmcnt(21)
	v_fma_f64 v[105:106], v[87:88], v[127:128], -v[105:106]
	;; [unrolled: 9-line block ×5, first 2 shown]
	v_mul_f64 v[97:98], v[91:92], v[137:138]
	v_fma_f64 v[89:90], v[89:90], v[133:134], v[95:96]
	s_waitcnt vmcnt(7) lgkmcnt(0)
	v_mul_f64 v[95:96], v[83:84], v[140:141]
	v_add_f64 v[99:100], v[99:100], v[103:104]
	v_add_f64 v[2:3], v[2:3], v[101:102]
	v_mul_f64 v[101:102], v[85:86], v[140:141]
	s_waitcnt vmcnt(5)
	v_fma_f64 v[91:92], v[91:92], v[144:145], -v[107:108]
	v_fma_f64 v[93:94], v[93:94], v[144:145], v[97:98]
	s_waitcnt vmcnt(4)
	v_fma_f64 v[85:86], v[85:86], v[142:143], v[95:96]
	v_add_f64 v[87:88], v[99:100], v[87:88]
	v_add_f64 v[2:3], v[2:3], v[89:90]
	v_fma_f64 v[83:84], v[83:84], v[142:143], -v[101:102]
	v_add_f64 v[87:88], v[87:88], v[91:92]
	v_add_f64 v[2:3], v[2:3], v[93:94]
	;; [unrolled: 1-line block ×4, first 2 shown]
	s_waitcnt vmcnt(2)
	v_add_f64 v[83:84], v[148:149], -v[83:84]
	s_waitcnt vmcnt(0)
	v_add_f64 v[2:3], v[150:151], -v[2:3]
	buffer_store_dword v84, off, s[0:3], 0 offset:420
	buffer_store_dword v83, off, s[0:3], 0 offset:416
	;; [unrolled: 1-line block ×4, first 2 shown]
	v_cmpx_lt_u32_e32 24, v0
	s_cbranch_execz .LBB102_199
; %bb.198:
	v_mov_b32_e32 v2, s26
	s_clause 0x3
	buffer_load_dword v83, v2, s[0:3], 0 offen
	buffer_load_dword v84, v2, s[0:3], 0 offen offset:4
	buffer_load_dword v85, v2, s[0:3], 0 offen offset:8
	buffer_load_dword v86, v2, s[0:3], 0 offen offset:12
	buffer_store_dword v1, off, s[0:3], 0 offset:400
	buffer_store_dword v1, off, s[0:3], 0 offset:404
	;; [unrolled: 1-line block ×4, first 2 shown]
	s_waitcnt vmcnt(0)
	ds_write_b128 v139, v[83:86]
.LBB102_199:
	s_or_b32 exec_lo, exec_lo, s4
	s_waitcnt lgkmcnt(0)
	s_waitcnt_vscnt null, 0x0
	s_barrier
	buffer_gl0_inv
	s_clause 0x35
	buffer_load_dword v2, off, s[0:3], 0 offset:424
	buffer_load_dword v3, off, s[0:3], 0 offset:428
	;; [unrolled: 1-line block ×54, first 2 shown]
	ds_read_b128 v[83:86], v1 offset:1024
	s_clause 0x1
	buffer_load_dword v149, off, s[0:3], 0 offset:628
	buffer_load_dword v148, off, s[0:3], 0 offset:624
	ds_read_b128 v[87:90], v1 offset:1040
	ds_read_b128 v[91:94], v1 offset:1056
	s_mov_b32 s4, exec_lo
	s_waitcnt vmcnt(54) lgkmcnt(2)
	v_mul_f64 v[150:151], v[85:86], v[2:3]
	v_mul_f64 v[2:3], v[83:84], v[2:3]
	s_waitcnt vmcnt(52) lgkmcnt(1)
	v_mul_f64 v[152:153], v[89:90], v[95:96]
	v_mul_f64 v[95:96], v[87:88], v[95:96]
	;; [unrolled: 3-line block ×3, first 2 shown]
	v_fma_f64 v[150:151], v[83:84], v[97:98], -v[150:151]
	v_fma_f64 v[2:3], v[85:86], v[97:98], v[2:3]
	s_clause 0x3
	buffer_load_dword v97, off, s[0:3], 0 offset:400
	buffer_load_dword v98, off, s[0:3], 0 offset:404
	;; [unrolled: 1-line block ×4, first 2 shown]
	s_waitcnt vmcnt(50)
	v_fma_f64 v[152:153], v[87:88], v[101:102], -v[152:153]
	ds_read_b128 v[83:86], v1 offset:1072
	v_fma_f64 v[95:96], v[89:90], v[101:102], v[95:96]
	ds_read_b128 v[87:90], v1 offset:1088
	s_waitcnt vmcnt(44)
	v_fma_f64 v[99:100], v[91:92], v[109:110], -v[99:100]
	v_fma_f64 v[109:110], v[93:94], v[109:110], v[156:157]
	ds_read_b128 v[91:94], v1 offset:1104
	v_add_f64 v[150:151], v[150:151], 0
	v_add_f64 v[2:3], v[2:3], 0
	s_waitcnt lgkmcnt(2)
	v_mul_f64 v[101:102], v[83:84], v[103:104]
	v_mul_f64 v[103:104], v[85:86], v[103:104]
	v_add_f64 v[150:151], v[150:151], v[152:153]
	v_add_f64 v[2:3], v[2:3], v[95:96]
	s_waitcnt vmcnt(43) lgkmcnt(1)
	v_mul_f64 v[95:96], v[87:88], v[105:106]
	v_mul_f64 v[105:106], v[89:90], v[105:106]
	s_waitcnt vmcnt(41)
	v_fma_f64 v[103:104], v[83:84], v[111:112], -v[103:104]
	v_fma_f64 v[101:102], v[85:86], v[111:112], v[101:102]
	ds_read_b128 v[83:86], v1 offset:1120
	s_waitcnt vmcnt(37) lgkmcnt(1)
	v_mul_f64 v[111:112], v[93:94], v[113:114]
	v_add_f64 v[99:100], v[150:151], v[99:100]
	v_add_f64 v[2:3], v[2:3], v[109:110]
	v_mul_f64 v[109:110], v[91:92], v[113:114]
	s_waitcnt vmcnt(36)
	v_fma_f64 v[105:106], v[87:88], v[107:108], -v[105:106]
	v_fma_f64 v[95:96], v[89:90], v[107:108], v[95:96]
	ds_read_b128 v[87:90], v1 offset:1136
	s_waitcnt vmcnt(33)
	v_fma_f64 v[107:108], v[91:92], v[119:120], -v[111:112]
	v_add_f64 v[99:100], v[99:100], v[103:104]
	v_add_f64 v[2:3], v[2:3], v[101:102]
	s_waitcnt lgkmcnt(1)
	v_mul_f64 v[103:104], v[85:86], v[115:116]
	v_mul_f64 v[101:102], v[83:84], v[115:116]
	v_add_f64 v[99:100], v[99:100], v[105:106]
	v_fma_f64 v[105:106], v[93:94], v[119:120], v[109:110]
	v_add_f64 v[2:3], v[2:3], v[95:96]
	ds_read_b128 v[91:94], v1 offset:1152
	s_waitcnt vmcnt(29) lgkmcnt(1)
	v_mul_f64 v[109:110], v[89:90], v[121:122]
	s_waitcnt vmcnt(28)
	v_fma_f64 v[103:104], v[83:84], v[117:118], -v[103:104]
	v_mul_f64 v[95:96], v[87:88], v[121:122]
	v_fma_f64 v[101:102], v[85:86], v[117:118], v[101:102]
	ds_read_b128 v[83:86], v1 offset:1168
	v_add_f64 v[99:100], v[99:100], v[107:108]
	s_waitcnt vmcnt(27) lgkmcnt(1)
	v_mul_f64 v[107:108], v[93:94], v[123:124]
	v_add_f64 v[2:3], v[2:3], v[105:106]
	v_mul_f64 v[105:106], v[91:92], v[123:124]
	s_waitcnt vmcnt(25)
	v_fma_f64 v[109:110], v[87:88], v[127:128], -v[109:110]
	v_fma_f64 v[95:96], v[89:90], v[127:128], v[95:96]
	ds_read_b128 v[87:90], v1 offset:1184
	v_add_f64 v[99:100], v[99:100], v[103:104]
	s_waitcnt vmcnt(21) lgkmcnt(1)
	v_mul_f64 v[103:104], v[85:86], v[129:130]
	v_add_f64 v[2:3], v[2:3], v[101:102]
	s_waitcnt vmcnt(20)
	v_fma_f64 v[107:108], v[91:92], v[125:126], -v[107:108]
	v_mul_f64 v[101:102], v[83:84], v[129:130]
	v_fma_f64 v[105:106], v[93:94], v[125:126], v[105:106]
	ds_read_b128 v[91:94], v1 offset:1200
	v_add_f64 v[99:100], v[99:100], v[109:110]
	s_waitcnt vmcnt(19) lgkmcnt(1)
	v_mul_f64 v[109:110], v[89:90], v[131:132]
	v_add_f64 v[2:3], v[2:3], v[95:96]
	s_waitcnt vmcnt(17)
	v_fma_f64 v[103:104], v[83:84], v[135:136], -v[103:104]
	v_mul_f64 v[95:96], v[87:88], v[131:132]
	v_fma_f64 v[101:102], v[85:86], v[135:136], v[101:102]
	ds_read_b128 v[83:86], v1 offset:1216
	v_add_f64 v[99:100], v[99:100], v[107:108]
	s_waitcnt vmcnt(13) lgkmcnt(1)
	v_mul_f64 v[107:108], v[93:94], v[137:138]
	v_add_f64 v[2:3], v[2:3], v[105:106]
	s_waitcnt vmcnt(12)
	v_fma_f64 v[87:88], v[87:88], v[133:134], -v[109:110]
	v_mul_f64 v[105:106], v[91:92], v[137:138]
	v_fma_f64 v[89:90], v[89:90], v[133:134], v[95:96]
	v_add_f64 v[99:100], v[99:100], v[103:104]
	s_waitcnt vmcnt(11) lgkmcnt(0)
	v_mul_f64 v[103:104], v[85:86], v[140:141]
	v_add_f64 v[95:96], v[2:3], v[101:102]
	s_waitcnt vmcnt(9)
	v_fma_f64 v[91:92], v[91:92], v[144:145], -v[107:108]
	ds_read_b128 v[1:4], v1 offset:1232
	v_mul_f64 v[101:102], v[83:84], v[140:141]
	v_fma_f64 v[93:94], v[93:94], v[144:145], v[105:106]
	v_add_f64 v[87:88], v[99:100], v[87:88]
	s_waitcnt vmcnt(6)
	v_fma_f64 v[83:84], v[83:84], v[142:143], -v[103:104]
	v_add_f64 v[89:90], v[95:96], v[89:90]
	s_waitcnt lgkmcnt(0)
	v_mul_f64 v[99:100], v[3:4], v[146:147]
	v_mul_f64 v[95:96], v[1:2], v[146:147]
	v_fma_f64 v[85:86], v[85:86], v[142:143], v[101:102]
	v_add_f64 v[87:88], v[87:88], v[91:92]
	v_add_f64 v[89:90], v[89:90], v[93:94]
	s_waitcnt vmcnt(4)
	v_fma_f64 v[1:2], v[1:2], v[148:149], -v[99:100]
	v_fma_f64 v[3:4], v[3:4], v[148:149], v[95:96]
	v_add_f64 v[83:84], v[87:88], v[83:84]
	v_add_f64 v[85:86], v[89:90], v[85:86]
	v_add_f64 v[1:2], v[83:84], v[1:2]
	v_add_f64 v[3:4], v[85:86], v[3:4]
	s_waitcnt vmcnt(2)
	v_add_f64 v[1:2], v[97:98], -v[1:2]
	s_waitcnt vmcnt(0)
	v_add_f64 v[3:4], v[154:155], -v[3:4]
	buffer_store_dword v2, off, s[0:3], 0 offset:404
	buffer_store_dword v1, off, s[0:3], 0 offset:400
	;; [unrolled: 1-line block ×4, first 2 shown]
	v_cmpx_lt_u32_e32 23, v0
	s_cbranch_execz .LBB102_201
; %bb.200:
	v_mov_b32_e32 v4, s27
	v_mov_b32_e32 v83, 0
	s_clause 0x3
	buffer_load_dword v1, v4, s[0:3], 0 offen
	buffer_load_dword v2, v4, s[0:3], 0 offen offset:4
	buffer_load_dword v3, v4, s[0:3], 0 offen offset:8
	;; [unrolled: 1-line block ×3, first 2 shown]
	buffer_store_dword v83, off, s[0:3], 0 offset:384
	buffer_store_dword v83, off, s[0:3], 0 offset:388
	;; [unrolled: 1-line block ×4, first 2 shown]
	s_waitcnt vmcnt(0)
	ds_write_b128 v139, v[1:4]
.LBB102_201:
	s_or_b32 exec_lo, exec_lo, s4
	s_waitcnt lgkmcnt(0)
	s_waitcnt_vscnt null, 0x0
	s_barrier
	buffer_gl0_inv
	s_clause 0x35
	buffer_load_dword v2, off, s[0:3], 0 offset:408
	buffer_load_dword v3, off, s[0:3], 0 offset:412
	;; [unrolled: 1-line block ×54, first 2 shown]
	v_mov_b32_e32 v1, 0
	s_mov_b32 s4, exec_lo
	ds_read_b128 v[83:86], v1 offset:1008
	s_clause 0x3
	buffer_load_dword v148, off, s[0:3], 0 offset:632
	buffer_load_dword v149, off, s[0:3], 0 offset:636
	;; [unrolled: 1-line block ×4, first 2 shown]
	ds_read_b128 v[87:90], v1 offset:1024
	s_clause 0x1
	buffer_load_dword v154, off, s[0:3], 0 offset:624
	buffer_load_dword v155, off, s[0:3], 0 offset:628
	ds_read_b128 v[91:94], v1 offset:1040
	s_waitcnt vmcnt(58) lgkmcnt(2)
	v_mul_f64 v[152:153], v[85:86], v[2:3]
	v_mul_f64 v[2:3], v[83:84], v[2:3]
	s_waitcnt vmcnt(56) lgkmcnt(1)
	v_mul_f64 v[156:157], v[89:90], v[95:96]
	v_mul_f64 v[95:96], v[87:88], v[95:96]
	s_waitcnt vmcnt(54)
	v_fma_f64 v[152:153], v[83:84], v[97:98], -v[152:153]
	v_fma_f64 v[2:3], v[85:86], v[97:98], v[2:3]
	ds_read_b128 v[83:86], v1 offset:1056
	s_waitcnt vmcnt(52) lgkmcnt(1)
	v_mul_f64 v[97:98], v[91:92], v[99:100]
	v_mul_f64 v[99:100], v[93:94], v[99:100]
	s_waitcnt vmcnt(50)
	v_fma_f64 v[156:157], v[87:88], v[101:102], -v[156:157]
	v_fma_f64 v[95:96], v[89:90], v[101:102], v[95:96]
	s_clause 0x3
	buffer_load_dword v101, off, s[0:3], 0 offset:384
	buffer_load_dword v102, off, s[0:3], 0 offset:388
	;; [unrolled: 1-line block ×4, first 2 shown]
	ds_read_b128 v[87:90], v1 offset:1072
	s_waitcnt vmcnt(52) lgkmcnt(1)
	v_mul_f64 v[160:161], v[83:84], v[103:104]
	v_add_f64 v[152:153], v[152:153], 0
	v_add_f64 v[2:3], v[2:3], 0
	v_mul_f64 v[103:104], v[85:86], v[103:104]
	s_waitcnt vmcnt(50)
	v_fma_f64 v[99:100], v[91:92], v[105:106], -v[99:100]
	v_fma_f64 v[97:98], v[93:94], v[105:106], v[97:98]
	ds_read_b128 v[91:94], v1 offset:1088
	s_waitcnt vmcnt(48) lgkmcnt(1)
	v_mul_f64 v[105:106], v[89:90], v[107:108]
	v_add_f64 v[152:153], v[152:153], v[156:157]
	v_add_f64 v[2:3], v[2:3], v[95:96]
	s_waitcnt vmcnt(46)
	v_fma_f64 v[103:104], v[83:84], v[109:110], -v[103:104]
	v_mul_f64 v[95:96], v[87:88], v[107:108]
	v_fma_f64 v[107:108], v[85:86], v[109:110], v[160:161]
	s_waitcnt vmcnt(44) lgkmcnt(0)
	v_mul_f64 v[109:110], v[93:94], v[111:112]
	s_waitcnt vmcnt(42)
	v_fma_f64 v[105:106], v[87:88], v[113:114], -v[105:106]
	ds_read_b128 v[83:86], v1 offset:1104
	v_add_f64 v[99:100], v[152:153], v[99:100]
	v_add_f64 v[2:3], v[2:3], v[97:98]
	v_mul_f64 v[97:98], v[91:92], v[111:112]
	v_fma_f64 v[95:96], v[89:90], v[113:114], v[95:96]
	ds_read_b128 v[87:90], v1 offset:1120
	s_waitcnt vmcnt(38)
	v_fma_f64 v[109:110], v[91:92], v[117:118], -v[109:110]
	v_add_f64 v[99:100], v[99:100], v[103:104]
	v_add_f64 v[2:3], v[2:3], v[107:108]
	s_waitcnt lgkmcnt(1)
	v_mul_f64 v[107:108], v[85:86], v[115:116]
	v_mul_f64 v[103:104], v[83:84], v[115:116]
	v_fma_f64 v[97:98], v[93:94], v[117:118], v[97:98]
	ds_read_b128 v[91:94], v1 offset:1136
	v_add_f64 v[99:100], v[99:100], v[105:106]
	v_add_f64 v[2:3], v[2:3], v[95:96]
	s_waitcnt vmcnt(36) lgkmcnt(1)
	v_mul_f64 v[105:106], v[89:90], v[119:120]
	s_waitcnt vmcnt(34)
	v_fma_f64 v[107:108], v[83:84], v[121:122], -v[107:108]
	v_mul_f64 v[95:96], v[87:88], v[119:120]
	v_fma_f64 v[103:104], v[85:86], v[121:122], v[103:104]
	ds_read_b128 v[83:86], v1 offset:1152
	v_add_f64 v[99:100], v[99:100], v[109:110]
	v_add_f64 v[2:3], v[2:3], v[97:98]
	s_waitcnt vmcnt(32) lgkmcnt(1)
	v_mul_f64 v[109:110], v[93:94], v[123:124]
	s_waitcnt vmcnt(30)
	v_fma_f64 v[105:106], v[87:88], v[125:126], -v[105:106]
	;; [unrolled: 9-line block ×7, first 2 shown]
	v_mul_f64 v[95:96], v[87:88], v[144:145]
	v_fma_f64 v[85:86], v[85:86], v[146:147], v[103:104]
	s_waitcnt vmcnt(8) lgkmcnt(0)
	v_mul_f64 v[103:104], v[93:94], v[148:149]
	v_add_f64 v[99:100], v[99:100], v[109:110]
	v_add_f64 v[2:3], v[2:3], v[97:98]
	s_waitcnt vmcnt(6)
	v_fma_f64 v[87:88], v[87:88], v[150:151], -v[105:106]
	v_mul_f64 v[97:98], v[91:92], v[148:149]
	v_fma_f64 v[89:90], v[89:90], v[150:151], v[95:96]
	v_add_f64 v[83:84], v[99:100], v[83:84]
	v_add_f64 v[2:3], v[2:3], v[85:86]
	s_waitcnt vmcnt(4)
	v_fma_f64 v[85:86], v[91:92], v[154:155], -v[103:104]
	v_add_f64 v[83:84], v[83:84], v[87:88]
	v_fma_f64 v[87:88], v[93:94], v[154:155], v[97:98]
	v_add_f64 v[2:3], v[2:3], v[89:90]
	v_add_f64 v[83:84], v[83:84], v[85:86]
	;; [unrolled: 1-line block ×3, first 2 shown]
	s_waitcnt vmcnt(2)
	v_add_f64 v[83:84], v[101:102], -v[83:84]
	s_waitcnt vmcnt(0)
	v_add_f64 v[2:3], v[158:159], -v[2:3]
	buffer_store_dword v84, off, s[0:3], 0 offset:388
	buffer_store_dword v83, off, s[0:3], 0 offset:384
	;; [unrolled: 1-line block ×4, first 2 shown]
	v_cmpx_lt_u32_e32 22, v0
	s_cbranch_execz .LBB102_203
; %bb.202:
	v_mov_b32_e32 v2, s28
	s_clause 0x3
	buffer_load_dword v83, v2, s[0:3], 0 offen
	buffer_load_dword v84, v2, s[0:3], 0 offen offset:4
	buffer_load_dword v85, v2, s[0:3], 0 offen offset:8
	;; [unrolled: 1-line block ×3, first 2 shown]
	buffer_store_dword v1, off, s[0:3], 0 offset:368
	buffer_store_dword v1, off, s[0:3], 0 offset:372
	;; [unrolled: 1-line block ×4, first 2 shown]
	s_waitcnt vmcnt(0)
	ds_write_b128 v139, v[83:86]
.LBB102_203:
	s_or_b32 exec_lo, exec_lo, s4
	s_waitcnt lgkmcnt(0)
	s_waitcnt_vscnt null, 0x0
	s_barrier
	buffer_gl0_inv
	s_clause 0x37
	buffer_load_dword v2, off, s[0:3], 0 offset:392
	buffer_load_dword v3, off, s[0:3], 0 offset:396
	;; [unrolled: 1-line block ×56, first 2 shown]
	ds_read_b128 v[83:86], v1 offset:992
	s_clause 0x2
	buffer_load_dword v149, off, s[0:3], 0 offset:620
	buffer_load_dword v153, off, s[0:3], 0 offset:596
	buffer_load_dword v152, off, s[0:3], 0 offset:592
	ds_read_b128 v[87:90], v1 offset:1008
	s_clause 0x2
	buffer_load_dword v157, off, s[0:3], 0 offset:636
	buffer_load_dword v156, off, s[0:3], 0 offset:632
	;; [unrolled: 1-line block ×3, first 2 shown]
	ds_read_b128 v[91:94], v1 offset:1024
	s_mov_b32 s4, exec_lo
	s_waitcnt vmcnt(60) lgkmcnt(2)
	v_mul_f64 v[154:155], v[85:86], v[2:3]
	v_mul_f64 v[2:3], v[83:84], v[2:3]
	s_waitcnt vmcnt(58) lgkmcnt(1)
	v_mul_f64 v[158:159], v[89:90], v[95:96]
	v_mul_f64 v[95:96], v[87:88], v[95:96]
	;; [unrolled: 3-line block ×3, first 2 shown]
	v_fma_f64 v[154:155], v[83:84], v[97:98], -v[154:155]
	v_fma_f64 v[2:3], v[85:86], v[97:98], v[2:3]
	s_clause 0x1
	buffer_load_dword v98, off, s[0:3], 0 offset:628
	buffer_load_dword v97, off, s[0:3], 0 offset:624
	s_waitcnt vmcnt(54)
	v_fma_f64 v[158:159], v[87:88], v[101:102], -v[158:159]
	ds_read_b128 v[83:86], v1 offset:1040
	v_fma_f64 v[95:96], v[89:90], v[101:102], v[95:96]
	ds_read_b128 v[87:90], v1 offset:1056
	s_waitcnt vmcnt(48)
	v_fma_f64 v[99:100], v[91:92], v[109:110], -v[99:100]
	v_fma_f64 v[109:110], v[93:94], v[109:110], v[160:161]
	v_add_f64 v[154:155], v[154:155], 0
	v_add_f64 v[2:3], v[2:3], 0
	s_waitcnt lgkmcnt(1)
	v_mul_f64 v[101:102], v[83:84], v[103:104]
	v_mul_f64 v[103:104], v[85:86], v[103:104]
	s_waitcnt vmcnt(47) lgkmcnt(0)
	v_mul_f64 v[160:161], v[87:88], v[105:106]
	v_mul_f64 v[105:106], v[89:90], v[105:106]
	v_add_f64 v[154:155], v[154:155], v[158:159]
	v_add_f64 v[2:3], v[2:3], v[95:96]
	s_clause 0x3
	buffer_load_dword v95, off, s[0:3], 0 offset:368
	buffer_load_dword v96, off, s[0:3], 0 offset:372
	;; [unrolled: 1-line block ×4, first 2 shown]
	s_waitcnt vmcnt(49)
	v_fma_f64 v[103:104], v[83:84], v[111:112], -v[103:104]
	ds_read_b128 v[91:94], v1 offset:1072
	v_fma_f64 v[101:102], v[85:86], v[111:112], v[101:102]
	ds_read_b128 v[83:86], v1 offset:1088
	s_waitcnt vmcnt(44)
	v_fma_f64 v[105:106], v[87:88], v[107:108], -v[105:106]
	v_add_f64 v[99:100], v[154:155], v[99:100]
	v_add_f64 v[2:3], v[2:3], v[109:110]
	s_waitcnt lgkmcnt(1)
	v_mul_f64 v[111:112], v[93:94], v[113:114]
	v_mul_f64 v[109:110], v[91:92], v[113:114]
	v_add_f64 v[99:100], v[99:100], v[103:104]
	v_fma_f64 v[103:104], v[89:90], v[107:108], v[160:161]
	v_add_f64 v[2:3], v[2:3], v[101:102]
	s_waitcnt vmcnt(43) lgkmcnt(0)
	v_mul_f64 v[107:108], v[85:86], v[115:116]
	s_waitcnt vmcnt(41)
	v_fma_f64 v[111:112], v[91:92], v[119:120], -v[111:112]
	ds_read_b128 v[87:90], v1 offset:1104
	v_mul_f64 v[101:102], v[83:84], v[115:116]
	v_add_f64 v[99:100], v[99:100], v[105:106]
	v_fma_f64 v[105:106], v[93:94], v[119:120], v[109:110]
	v_add_f64 v[2:3], v[2:3], v[103:104]
	ds_read_b128 v[91:94], v1 offset:1120
	s_waitcnt vmcnt(37) lgkmcnt(1)
	v_mul_f64 v[109:110], v[89:90], v[121:122]
	s_waitcnt vmcnt(36)
	v_fma_f64 v[107:108], v[83:84], v[117:118], -v[107:108]
	v_mul_f64 v[103:104], v[87:88], v[121:122]
	v_fma_f64 v[101:102], v[85:86], v[117:118], v[101:102]
	ds_read_b128 v[83:86], v1 offset:1136
	v_add_f64 v[99:100], v[99:100], v[111:112]
	s_waitcnt vmcnt(35) lgkmcnt(1)
	v_mul_f64 v[111:112], v[93:94], v[123:124]
	v_add_f64 v[2:3], v[2:3], v[105:106]
	v_mul_f64 v[105:106], v[91:92], v[123:124]
	s_waitcnt vmcnt(33)
	v_fma_f64 v[109:110], v[87:88], v[127:128], -v[109:110]
	v_fma_f64 v[103:104], v[89:90], v[127:128], v[103:104]
	ds_read_b128 v[87:90], v1 offset:1152
	v_add_f64 v[99:100], v[99:100], v[107:108]
	s_waitcnt vmcnt(29) lgkmcnt(1)
	v_mul_f64 v[107:108], v[85:86], v[129:130]
	v_add_f64 v[2:3], v[2:3], v[101:102]
	s_waitcnt vmcnt(28)
	v_fma_f64 v[111:112], v[91:92], v[125:126], -v[111:112]
	v_mul_f64 v[101:102], v[83:84], v[129:130]
	v_fma_f64 v[105:106], v[93:94], v[125:126], v[105:106]
	ds_read_b128 v[91:94], v1 offset:1168
	v_add_f64 v[99:100], v[99:100], v[109:110]
	s_waitcnt vmcnt(27) lgkmcnt(1)
	v_mul_f64 v[109:110], v[89:90], v[131:132]
	v_add_f64 v[2:3], v[2:3], v[103:104]
	s_waitcnt vmcnt(25)
	v_fma_f64 v[107:108], v[83:84], v[135:136], -v[107:108]
	v_mul_f64 v[103:104], v[87:88], v[131:132]
	;; [unrolled: 9-line block ×5, first 2 shown]
	v_fma_f64 v[85:86], v[85:86], v[142:143], v[101:102]
	s_waitcnt vmcnt(11) lgkmcnt(0)
	v_mul_f64 v[107:108], v[93:94], v[148:149]
	v_add_f64 v[99:100], v[99:100], v[111:112]
	s_waitcnt vmcnt(9)
	v_fma_f64 v[87:88], v[87:88], v[152:153], -v[109:110]
	v_add_f64 v[101:102], v[2:3], v[105:106]
	ds_read_b128 v[1:4], v1 offset:1232
	v_mul_f64 v[105:106], v[91:92], v[148:149]
	v_fma_f64 v[89:90], v[89:90], v[152:153], v[103:104]
	s_waitcnt vmcnt(6)
	v_fma_f64 v[91:92], v[91:92], v[150:151], -v[107:108]
	v_add_f64 v[83:84], v[99:100], v[83:84]
	s_waitcnt lgkmcnt(0)
	v_mul_f64 v[99:100], v[1:2], v[156:157]
	v_add_f64 v[85:86], v[101:102], v[85:86]
	v_mul_f64 v[101:102], v[3:4], v[156:157]
	v_add_f64 v[83:84], v[83:84], v[87:88]
	v_fma_f64 v[87:88], v[93:94], v[150:151], v[105:106]
	v_add_f64 v[85:86], v[85:86], v[89:90]
	s_waitcnt vmcnt(4)
	v_fma_f64 v[1:2], v[1:2], v[97:98], -v[101:102]
	v_fma_f64 v[3:4], v[3:4], v[97:98], v[99:100]
	v_add_f64 v[83:84], v[83:84], v[91:92]
	v_add_f64 v[85:86], v[85:86], v[87:88]
	;; [unrolled: 1-line block ×4, first 2 shown]
	s_waitcnt vmcnt(2)
	v_add_f64 v[1:2], v[95:96], -v[1:2]
	s_waitcnt vmcnt(0)
	v_add_f64 v[3:4], v[158:159], -v[3:4]
	buffer_store_dword v2, off, s[0:3], 0 offset:372
	buffer_store_dword v1, off, s[0:3], 0 offset:368
	;; [unrolled: 1-line block ×4, first 2 shown]
	v_cmpx_lt_u32_e32 21, v0
	s_cbranch_execz .LBB102_205
; %bb.204:
	v_mov_b32_e32 v4, s29
	v_mov_b32_e32 v83, 0
	s_clause 0x3
	buffer_load_dword v1, v4, s[0:3], 0 offen
	buffer_load_dword v2, v4, s[0:3], 0 offen offset:4
	buffer_load_dword v3, v4, s[0:3], 0 offen offset:8
	;; [unrolled: 1-line block ×3, first 2 shown]
	buffer_store_dword v83, off, s[0:3], 0 offset:352
	buffer_store_dword v83, off, s[0:3], 0 offset:356
	;; [unrolled: 1-line block ×4, first 2 shown]
	s_waitcnt vmcnt(0)
	ds_write_b128 v139, v[1:4]
.LBB102_205:
	s_or_b32 exec_lo, exec_lo, s4
	s_waitcnt lgkmcnt(0)
	s_waitcnt_vscnt null, 0x0
	s_barrier
	buffer_gl0_inv
	s_clause 0x37
	buffer_load_dword v2, off, s[0:3], 0 offset:376
	buffer_load_dword v3, off, s[0:3], 0 offset:380
	;; [unrolled: 1-line block ×56, first 2 shown]
	v_mov_b32_e32 v1, 0
	s_mov_b32 s4, exec_lo
	ds_read_b128 v[83:86], v1 offset:976
	s_clause 0x2
	buffer_load_dword v149, off, s[0:3], 0 offset:604
	buffer_load_dword v153, off, s[0:3], 0 offset:580
	;; [unrolled: 1-line block ×3, first 2 shown]
	ds_read_b128 v[87:90], v1 offset:992
	s_clause 0x4
	buffer_load_dword v157, off, s[0:3], 0 offset:620
	buffer_load_dword v158, off, s[0:3], 0 offset:632
	;; [unrolled: 1-line block ×5, first 2 shown]
	ds_read_b128 v[91:94], v1 offset:1008
	s_waitcnt vmcnt(62) lgkmcnt(2)
	v_mul_f64 v[154:155], v[85:86], v[2:3]
	v_mul_f64 v[2:3], v[83:84], v[2:3]
	s_waitcnt vmcnt(60) lgkmcnt(1)
	v_mul_f64 v[161:162], v[89:90], v[95:96]
	v_mul_f64 v[95:96], v[87:88], v[95:96]
	;; [unrolled: 3-line block ×3, first 2 shown]
	v_fma_f64 v[154:155], v[83:84], v[97:98], -v[154:155]
	v_fma_f64 v[2:3], v[85:86], v[97:98], v[2:3]
	s_clause 0x2
	buffer_load_dword v159, off, s[0:3], 0 offset:636
	buffer_load_dword v98, off, s[0:3], 0 offset:612
	;; [unrolled: 1-line block ×3, first 2 shown]
	s_waitcnt vmcnt(57)
	v_fma_f64 v[165:166], v[87:88], v[101:102], -v[161:162]
	ds_read_b128 v[83:86], v1 offset:1024
	v_fma_f64 v[95:96], v[89:90], v[101:102], v[95:96]
	buffer_load_dword v161, off, s[0:3], 0 offset:628
	ds_read_b128 v[87:90], v1 offset:1040
	s_waitcnt vmcnt(52)
	v_fma_f64 v[99:100], v[91:92], v[109:110], -v[99:100]
	v_fma_f64 v[109:110], v[93:94], v[109:110], v[163:164]
	ds_read_b128 v[91:94], v1 offset:1056
	v_add_f64 v[154:155], v[154:155], 0
	v_add_f64 v[2:3], v[2:3], 0
	s_waitcnt lgkmcnt(2)
	v_mul_f64 v[101:102], v[83:84], v[103:104]
	v_mul_f64 v[103:104], v[85:86], v[103:104]
	v_add_f64 v[154:155], v[154:155], v[165:166]
	v_add_f64 v[2:3], v[2:3], v[95:96]
	s_waitcnt vmcnt(51) lgkmcnt(1)
	v_mul_f64 v[95:96], v[87:88], v[105:106]
	v_mul_f64 v[105:106], v[89:90], v[105:106]
	s_waitcnt vmcnt(49)
	v_fma_f64 v[103:104], v[83:84], v[111:112], -v[103:104]
	v_fma_f64 v[101:102], v[85:86], v[111:112], v[101:102]
	v_add_f64 v[99:100], v[154:155], v[99:100]
	v_add_f64 v[2:3], v[2:3], v[109:110]
	s_clause 0x3
	buffer_load_dword v109, off, s[0:3], 0 offset:352
	buffer_load_dword v110, off, s[0:3], 0 offset:356
	;; [unrolled: 1-line block ×4, first 2 shown]
	s_waitcnt vmcnt(49) lgkmcnt(0)
	v_mul_f64 v[154:155], v[91:92], v[113:114]
	v_mul_f64 v[113:114], v[93:94], v[113:114]
	s_waitcnt vmcnt(48)
	v_fma_f64 v[105:106], v[87:88], v[107:108], -v[105:106]
	ds_read_b128 v[83:86], v1 offset:1072
	v_fma_f64 v[95:96], v[89:90], v[107:108], v[95:96]
	ds_read_b128 v[87:90], v1 offset:1088
	v_add_f64 v[99:100], v[99:100], v[103:104]
	v_add_f64 v[2:3], v[2:3], v[101:102]
	s_waitcnt vmcnt(47) lgkmcnt(1)
	v_mul_f64 v[103:104], v[85:86], v[115:116]
	s_waitcnt vmcnt(45)
	v_fma_f64 v[107:108], v[91:92], v[119:120], -v[113:114]
	v_mul_f64 v[101:102], v[83:84], v[115:116]
	s_waitcnt vmcnt(41) lgkmcnt(0)
	v_mul_f64 v[113:114], v[89:90], v[121:122]
	v_add_f64 v[99:100], v[99:100], v[105:106]
	v_fma_f64 v[105:106], v[93:94], v[119:120], v[154:155]
	v_add_f64 v[2:3], v[2:3], v[95:96]
	ds_read_b128 v[91:94], v1 offset:1104
	s_waitcnt vmcnt(40)
	v_fma_f64 v[103:104], v[83:84], v[117:118], -v[103:104]
	v_mul_f64 v[95:96], v[87:88], v[121:122]
	v_fma_f64 v[101:102], v[85:86], v[117:118], v[101:102]
	ds_read_b128 v[83:86], v1 offset:1120
	s_waitcnt vmcnt(37)
	v_fma_f64 v[113:114], v[87:88], v[127:128], -v[113:114]
	v_add_f64 v[99:100], v[99:100], v[107:108]
	s_waitcnt lgkmcnt(1)
	v_mul_f64 v[107:108], v[93:94], v[123:124]
	v_add_f64 v[2:3], v[2:3], v[105:106]
	v_mul_f64 v[105:106], v[91:92], v[123:124]
	v_fma_f64 v[95:96], v[89:90], v[127:128], v[95:96]
	ds_read_b128 v[87:90], v1 offset:1136
	v_add_f64 v[99:100], v[99:100], v[103:104]
	s_waitcnt vmcnt(33) lgkmcnt(1)
	v_mul_f64 v[103:104], v[85:86], v[129:130]
	v_add_f64 v[2:3], v[2:3], v[101:102]
	s_waitcnt vmcnt(32)
	v_fma_f64 v[107:108], v[91:92], v[125:126], -v[107:108]
	v_mul_f64 v[101:102], v[83:84], v[129:130]
	v_fma_f64 v[105:106], v[93:94], v[125:126], v[105:106]
	ds_read_b128 v[91:94], v1 offset:1152
	v_add_f64 v[99:100], v[99:100], v[113:114]
	s_waitcnt vmcnt(31) lgkmcnt(1)
	v_mul_f64 v[113:114], v[89:90], v[131:132]
	v_add_f64 v[2:3], v[2:3], v[95:96]
	s_waitcnt vmcnt(29)
	v_fma_f64 v[103:104], v[83:84], v[135:136], -v[103:104]
	;; [unrolled: 9-line block ×7, first 2 shown]
	v_mul_f64 v[101:102], v[83:84], v[156:157]
	v_fma_f64 v[93:94], v[93:94], v[150:151], v[105:106]
	v_add_f64 v[99:100], v[99:100], v[113:114]
	v_add_f64 v[2:3], v[2:3], v[95:96]
	s_waitcnt vmcnt(7) lgkmcnt(0)
	v_mul_f64 v[105:106], v[89:90], v[158:159]
	v_mul_f64 v[95:96], v[87:88], v[158:159]
	s_waitcnt vmcnt(5)
	v_fma_f64 v[83:84], v[83:84], v[97:98], -v[103:104]
	v_fma_f64 v[85:86], v[85:86], v[97:98], v[101:102]
	v_add_f64 v[91:92], v[99:100], v[91:92]
	v_add_f64 v[2:3], v[2:3], v[93:94]
	s_waitcnt vmcnt(4)
	v_fma_f64 v[87:88], v[87:88], v[160:161], -v[105:106]
	v_fma_f64 v[89:90], v[89:90], v[160:161], v[95:96]
	v_add_f64 v[83:84], v[91:92], v[83:84]
	v_add_f64 v[2:3], v[2:3], v[85:86]
	;; [unrolled: 1-line block ×4, first 2 shown]
	s_waitcnt vmcnt(2)
	v_add_f64 v[83:84], v[109:110], -v[83:84]
	s_waitcnt vmcnt(0)
	v_add_f64 v[2:3], v[111:112], -v[2:3]
	buffer_store_dword v84, off, s[0:3], 0 offset:356
	buffer_store_dword v83, off, s[0:3], 0 offset:352
	;; [unrolled: 1-line block ×4, first 2 shown]
	v_cmpx_lt_u32_e32 20, v0
	s_cbranch_execz .LBB102_207
; %bb.206:
	v_mov_b32_e32 v2, s30
	s_clause 0x3
	buffer_load_dword v83, v2, s[0:3], 0 offen
	buffer_load_dword v84, v2, s[0:3], 0 offen offset:4
	buffer_load_dword v85, v2, s[0:3], 0 offen offset:8
	buffer_load_dword v86, v2, s[0:3], 0 offen offset:12
	buffer_store_dword v1, off, s[0:3], 0 offset:336
	buffer_store_dword v1, off, s[0:3], 0 offset:340
	;; [unrolled: 1-line block ×4, first 2 shown]
	s_waitcnt vmcnt(0)
	ds_write_b128 v139, v[83:86]
.LBB102_207:
	s_or_b32 exec_lo, exec_lo, s4
	s_waitcnt lgkmcnt(0)
	s_waitcnt_vscnt null, 0x0
	s_barrier
	buffer_gl0_inv
	s_clause 0x37
	buffer_load_dword v2, off, s[0:3], 0 offset:360
	buffer_load_dword v3, off, s[0:3], 0 offset:364
	;; [unrolled: 1-line block ×56, first 2 shown]
	ds_read_b128 v[83:86], v1 offset:960
	s_clause 0x2
	buffer_load_dword v149, off, s[0:3], 0 offset:588
	buffer_load_dword v153, off, s[0:3], 0 offset:564
	;; [unrolled: 1-line block ×3, first 2 shown]
	ds_read_b128 v[87:90], v1 offset:976
	s_clause 0x4
	buffer_load_dword v157, off, s[0:3], 0 offset:604
	buffer_load_dword v158, off, s[0:3], 0 offset:616
	;; [unrolled: 1-line block ×5, first 2 shown]
	ds_read_b128 v[91:94], v1 offset:992
	s_mov_b32 s4, exec_lo
	s_waitcnt vmcnt(62) lgkmcnt(2)
	v_mul_f64 v[154:155], v[85:86], v[2:3]
	v_mul_f64 v[2:3], v[83:84], v[2:3]
	s_waitcnt vmcnt(60) lgkmcnt(1)
	v_mul_f64 v[161:162], v[89:90], v[95:96]
	v_mul_f64 v[95:96], v[87:88], v[95:96]
	;; [unrolled: 3-line block ×3, first 2 shown]
	v_fma_f64 v[154:155], v[83:84], v[97:98], -v[154:155]
	v_fma_f64 v[2:3], v[85:86], v[97:98], v[2:3]
	s_clause 0x2
	buffer_load_dword v159, off, s[0:3], 0 offset:620
	buffer_load_dword v98, off, s[0:3], 0 offset:596
	;; [unrolled: 1-line block ×3, first 2 shown]
	s_waitcnt vmcnt(57)
	v_fma_f64 v[165:166], v[87:88], v[101:102], -v[161:162]
	ds_read_b128 v[83:86], v1 offset:1008
	v_fma_f64 v[95:96], v[89:90], v[101:102], v[95:96]
	s_clause 0x2
	buffer_load_dword v102, off, s[0:3], 0 offset:636
	buffer_load_dword v101, off, s[0:3], 0 offset:632
	;; [unrolled: 1-line block ×3, first 2 shown]
	s_waitcnt vmcnt(54)
	v_fma_f64 v[99:100], v[91:92], v[109:110], -v[99:100]
	ds_read_b128 v[87:90], v1 offset:1024
	v_fma_f64 v[109:110], v[93:94], v[109:110], v[163:164]
	v_add_f64 v[154:155], v[154:155], 0
	v_add_f64 v[2:3], v[2:3], 0
	s_waitcnt lgkmcnt(1)
	v_mul_f64 v[167:168], v[83:84], v[103:104]
	v_mul_f64 v[103:104], v[85:86], v[103:104]
	s_waitcnt vmcnt(53) lgkmcnt(0)
	v_mul_f64 v[162:163], v[87:88], v[105:106]
	v_mul_f64 v[105:106], v[89:90], v[105:106]
	v_add_f64 v[154:155], v[154:155], v[165:166]
	v_add_f64 v[2:3], v[2:3], v[95:96]
	s_clause 0x1
	buffer_load_dword v96, off, s[0:3], 0 offset:628
	buffer_load_dword v95, off, s[0:3], 0 offset:624
	s_waitcnt vmcnt(53)
	v_fma_f64 v[103:104], v[83:84], v[111:112], -v[103:104]
	ds_read_b128 v[91:94], v1 offset:1040
	v_fma_f64 v[111:112], v[85:86], v[111:112], v[167:168]
	ds_read_b128 v[83:86], v1 offset:1056
	s_waitcnt vmcnt(48)
	v_fma_f64 v[105:106], v[87:88], v[107:108], -v[105:106]
	v_add_f64 v[99:100], v[154:155], v[99:100]
	v_add_f64 v[2:3], v[2:3], v[109:110]
	s_waitcnt lgkmcnt(1)
	v_mul_f64 v[109:110], v[91:92], v[113:114]
	v_mul_f64 v[113:114], v[93:94], v[113:114]
	s_waitcnt vmcnt(47) lgkmcnt(0)
	v_mul_f64 v[154:155], v[83:84], v[115:116]
	v_mul_f64 v[115:116], v[85:86], v[115:116]
	v_add_f64 v[99:100], v[99:100], v[103:104]
	v_fma_f64 v[103:104], v[89:90], v[107:108], v[162:163]
	v_add_f64 v[2:3], v[2:3], v[111:112]
	s_clause 0x3
	buffer_load_dword v107, off, s[0:3], 0 offset:336
	buffer_load_dword v108, off, s[0:3], 0 offset:340
	;; [unrolled: 1-line block ×4, first 2 shown]
	s_waitcnt vmcnt(49)
	v_fma_f64 v[113:114], v[91:92], v[119:120], -v[113:114]
	ds_read_b128 v[87:90], v1 offset:1072
	s_waitcnt vmcnt(44)
	v_fma_f64 v[115:116], v[83:84], v[117:118], -v[115:116]
	v_add_f64 v[99:100], v[99:100], v[105:106]
	v_fma_f64 v[105:106], v[93:94], v[119:120], v[109:110]
	v_add_f64 v[2:3], v[2:3], v[103:104]
	ds_read_b128 v[91:94], v1 offset:1088
	s_waitcnt lgkmcnt(1)
	v_mul_f64 v[109:110], v[89:90], v[121:122]
	v_mul_f64 v[103:104], v[87:88], v[121:122]
	v_add_f64 v[99:100], v[99:100], v[113:114]
	v_fma_f64 v[113:114], v[85:86], v[117:118], v[154:155]
	v_add_f64 v[2:3], v[2:3], v[105:106]
	s_waitcnt vmcnt(43) lgkmcnt(0)
	v_mul_f64 v[117:118], v[93:94], v[123:124]
	s_waitcnt vmcnt(41)
	v_fma_f64 v[109:110], v[87:88], v[127:128], -v[109:110]
	ds_read_b128 v[83:86], v1 offset:1104
	v_mul_f64 v[105:106], v[91:92], v[123:124]
	v_fma_f64 v[103:104], v[89:90], v[127:128], v[103:104]
	ds_read_b128 v[87:90], v1 offset:1120
	v_add_f64 v[99:100], v[99:100], v[115:116]
	v_add_f64 v[2:3], v[2:3], v[113:114]
	s_waitcnt vmcnt(37) lgkmcnt(1)
	v_mul_f64 v[115:116], v[85:86], v[129:130]
	s_waitcnt vmcnt(36)
	v_fma_f64 v[117:118], v[91:92], v[125:126], -v[117:118]
	v_mul_f64 v[113:114], v[83:84], v[129:130]
	v_fma_f64 v[105:106], v[93:94], v[125:126], v[105:106]
	ds_read_b128 v[91:94], v1 offset:1136
	v_add_f64 v[99:100], v[99:100], v[109:110]
	s_waitcnt vmcnt(35) lgkmcnt(1)
	v_mul_f64 v[109:110], v[89:90], v[131:132]
	v_add_f64 v[2:3], v[2:3], v[103:104]
	s_waitcnt vmcnt(33)
	v_fma_f64 v[115:116], v[83:84], v[135:136], -v[115:116]
	v_mul_f64 v[103:104], v[87:88], v[131:132]
	v_fma_f64 v[113:114], v[85:86], v[135:136], v[113:114]
	ds_read_b128 v[83:86], v1 offset:1152
	v_add_f64 v[99:100], v[99:100], v[117:118]
	s_waitcnt vmcnt(29) lgkmcnt(1)
	v_mul_f64 v[117:118], v[93:94], v[137:138]
	v_add_f64 v[2:3], v[2:3], v[105:106]
	;; [unrolled: 9-line block ×6, first 2 shown]
	s_waitcnt vmcnt(12)
	v_fma_f64 v[91:92], v[91:92], v[150:151], -v[117:118]
	v_mul_f64 v[113:114], v[83:84], v[156:157]
	v_fma_f64 v[93:94], v[93:94], v[150:151], v[105:106]
	v_add_f64 v[99:100], v[99:100], v[109:110]
	v_add_f64 v[103:104], v[2:3], v[103:104]
	ds_read_b128 v[1:4], v1 offset:1232
	s_waitcnt vmcnt(11) lgkmcnt(1)
	v_mul_f64 v[109:110], v[89:90], v[158:159]
	v_mul_f64 v[105:106], v[87:88], v[158:159]
	s_waitcnt vmcnt(9)
	v_fma_f64 v[83:84], v[83:84], v[97:98], -v[115:116]
	v_fma_f64 v[85:86], v[85:86], v[97:98], v[113:114]
	v_add_f64 v[91:92], v[99:100], v[91:92]
	s_waitcnt vmcnt(7) lgkmcnt(0)
	v_mul_f64 v[99:100], v[3:4], v[101:102]
	v_add_f64 v[93:94], v[103:104], v[93:94]
	v_mul_f64 v[97:98], v[1:2], v[101:102]
	s_waitcnt vmcnt(6)
	v_fma_f64 v[87:88], v[87:88], v[160:161], -v[109:110]
	v_fma_f64 v[89:90], v[89:90], v[160:161], v[105:106]
	v_add_f64 v[83:84], v[91:92], v[83:84]
	v_add_f64 v[85:86], v[93:94], v[85:86]
	s_waitcnt vmcnt(4)
	v_fma_f64 v[1:2], v[1:2], v[95:96], -v[99:100]
	v_fma_f64 v[3:4], v[3:4], v[95:96], v[97:98]
	v_add_f64 v[83:84], v[83:84], v[87:88]
	v_add_f64 v[85:86], v[85:86], v[89:90]
	;; [unrolled: 1-line block ×4, first 2 shown]
	s_waitcnt vmcnt(2)
	v_add_f64 v[1:2], v[107:108], -v[1:2]
	s_waitcnt vmcnt(0)
	v_add_f64 v[3:4], v[111:112], -v[3:4]
	buffer_store_dword v2, off, s[0:3], 0 offset:340
	buffer_store_dword v1, off, s[0:3], 0 offset:336
	;; [unrolled: 1-line block ×4, first 2 shown]
	v_cmpx_lt_u32_e32 19, v0
	s_cbranch_execz .LBB102_209
; %bb.208:
	v_mov_b32_e32 v4, s31
	v_mov_b32_e32 v83, 0
	s_clause 0x3
	buffer_load_dword v1, v4, s[0:3], 0 offen
	buffer_load_dword v2, v4, s[0:3], 0 offen offset:4
	buffer_load_dword v3, v4, s[0:3], 0 offen offset:8
	;; [unrolled: 1-line block ×3, first 2 shown]
	buffer_store_dword v83, off, s[0:3], 0 offset:320
	buffer_store_dword v83, off, s[0:3], 0 offset:324
	;; [unrolled: 1-line block ×4, first 2 shown]
	s_waitcnt vmcnt(0)
	ds_write_b128 v139, v[1:4]
.LBB102_209:
	s_or_b32 exec_lo, exec_lo, s4
	s_waitcnt lgkmcnt(0)
	s_waitcnt_vscnt null, 0x0
	s_barrier
	buffer_gl0_inv
	s_clause 0x37
	buffer_load_dword v2, off, s[0:3], 0 offset:344
	buffer_load_dword v3, off, s[0:3], 0 offset:348
	;; [unrolled: 1-line block ×56, first 2 shown]
	v_mov_b32_e32 v1, 0
	s_mov_b32 s4, exec_lo
	ds_read_b128 v[83:86], v1 offset:944
	s_clause 0x2
	buffer_load_dword v149, off, s[0:3], 0 offset:572
	buffer_load_dword v153, off, s[0:3], 0 offset:548
	;; [unrolled: 1-line block ×3, first 2 shown]
	ds_read_b128 v[87:90], v1 offset:960
	s_clause 0x4
	buffer_load_dword v157, off, s[0:3], 0 offset:588
	buffer_load_dword v158, off, s[0:3], 0 offset:600
	;; [unrolled: 1-line block ×5, first 2 shown]
	ds_read_b128 v[91:94], v1 offset:976
	s_waitcnt vmcnt(62) lgkmcnt(2)
	v_mul_f64 v[154:155], v[85:86], v[2:3]
	v_mul_f64 v[2:3], v[83:84], v[2:3]
	s_waitcnt vmcnt(60) lgkmcnt(1)
	v_mul_f64 v[161:162], v[89:90], v[95:96]
	v_mul_f64 v[95:96], v[87:88], v[95:96]
	;; [unrolled: 3-line block ×3, first 2 shown]
	v_fma_f64 v[154:155], v[83:84], v[97:98], -v[154:155]
	v_fma_f64 v[2:3], v[85:86], v[97:98], v[2:3]
	s_clause 0x2
	buffer_load_dword v159, off, s[0:3], 0 offset:604
	buffer_load_dword v98, off, s[0:3], 0 offset:580
	;; [unrolled: 1-line block ×3, first 2 shown]
	s_waitcnt vmcnt(57)
	v_fma_f64 v[165:166], v[87:88], v[101:102], -v[161:162]
	ds_read_b128 v[83:86], v1 offset:992
	v_fma_f64 v[95:96], v[89:90], v[101:102], v[95:96]
	s_clause 0x4
	buffer_load_dword v102, off, s[0:3], 0 offset:620
	buffer_load_dword v162, off, s[0:3], 0 offset:632
	;; [unrolled: 1-line block ×5, first 2 shown]
	s_waitcnt vmcnt(56)
	v_fma_f64 v[99:100], v[91:92], v[109:110], -v[99:100]
	ds_read_b128 v[87:90], v1 offset:1008
	v_fma_f64 v[109:110], v[93:94], v[109:110], v[163:164]
	v_add_f64 v[154:155], v[154:155], 0
	v_add_f64 v[2:3], v[2:3], 0
	s_waitcnt lgkmcnt(1)
	v_mul_f64 v[168:169], v[83:84], v[103:104]
	v_mul_f64 v[103:104], v[85:86], v[103:104]
	v_add_f64 v[154:155], v[154:155], v[165:166]
	v_add_f64 v[2:3], v[2:3], v[95:96]
	s_clause 0x2
	buffer_load_dword v163, off, s[0:3], 0 offset:636
	buffer_load_dword v96, off, s[0:3], 0 offset:612
	;; [unrolled: 1-line block ×3, first 2 shown]
	s_waitcnt vmcnt(58) lgkmcnt(0)
	v_mul_f64 v[164:165], v[87:88], v[105:106]
	v_mul_f64 v[105:106], v[89:90], v[105:106]
	s_waitcnt vmcnt(56)
	v_fma_f64 v[103:104], v[83:84], v[111:112], -v[103:104]
	ds_read_b128 v[91:94], v1 offset:1024
	v_fma_f64 v[111:112], v[85:86], v[111:112], v[168:169]
	buffer_load_dword v168, off, s[0:3], 0 offset:628
	ds_read_b128 v[83:86], v1 offset:1040
	v_add_f64 v[99:100], v[154:155], v[99:100]
	v_add_f64 v[2:3], v[2:3], v[109:110]
	s_waitcnt vmcnt(53) lgkmcnt(1)
	v_mul_f64 v[109:110], v[91:92], v[113:114]
	v_mul_f64 v[113:114], v[93:94], v[113:114]
	s_waitcnt vmcnt(52)
	v_fma_f64 v[105:106], v[87:88], v[107:108], -v[105:106]
	v_add_f64 v[99:100], v[99:100], v[103:104]
	v_fma_f64 v[103:104], v[89:90], v[107:108], v[164:165]
	v_add_f64 v[2:3], v[2:3], v[111:112]
	s_waitcnt vmcnt(51) lgkmcnt(0)
	v_mul_f64 v[111:112], v[85:86], v[115:116]
	ds_read_b128 v[87:90], v1 offset:1056
	s_waitcnt vmcnt(49)
	v_fma_f64 v[113:114], v[91:92], v[119:120], -v[113:114]
	v_mul_f64 v[107:108], v[83:84], v[115:116]
	v_add_f64 v[99:100], v[99:100], v[105:106]
	v_fma_f64 v[105:106], v[93:94], v[119:120], v[109:110]
	v_add_f64 v[2:3], v[2:3], v[103:104]
	s_clause 0x3
	buffer_load_dword v103, off, s[0:3], 0 offset:320
	buffer_load_dword v104, off, s[0:3], 0 offset:324
	;; [unrolled: 1-line block ×4, first 2 shown]
	s_waitcnt vmcnt(49) lgkmcnt(0)
	v_mul_f64 v[119:120], v[89:90], v[121:122]
	s_waitcnt vmcnt(48)
	v_fma_f64 v[111:112], v[83:84], v[117:118], -v[111:112]
	ds_read_b128 v[91:94], v1 offset:1072
	v_mul_f64 v[115:116], v[87:88], v[121:122]
	v_fma_f64 v[107:108], v[85:86], v[117:118], v[107:108]
	ds_read_b128 v[83:86], v1 offset:1088
	v_add_f64 v[99:100], v[99:100], v[113:114]
	v_add_f64 v[2:3], v[2:3], v[105:106]
	s_waitcnt vmcnt(47) lgkmcnt(1)
	v_mul_f64 v[113:114], v[93:94], v[123:124]
	s_waitcnt vmcnt(45)
	v_fma_f64 v[117:118], v[87:88], v[127:128], -v[119:120]
	v_mul_f64 v[105:106], v[91:92], v[123:124]
	v_add_f64 v[99:100], v[99:100], v[111:112]
	v_fma_f64 v[111:112], v[89:90], v[127:128], v[115:116]
	v_add_f64 v[2:3], v[2:3], v[107:108]
	s_waitcnt vmcnt(41) lgkmcnt(0)
	v_mul_f64 v[115:116], v[85:86], v[129:130]
	s_waitcnt vmcnt(40)
	v_fma_f64 v[113:114], v[91:92], v[125:126], -v[113:114]
	ds_read_b128 v[87:90], v1 offset:1104
	v_mul_f64 v[107:108], v[83:84], v[129:130]
	v_fma_f64 v[105:106], v[93:94], v[125:126], v[105:106]
	ds_read_b128 v[91:94], v1 offset:1120
	v_add_f64 v[99:100], v[99:100], v[117:118]
	v_add_f64 v[2:3], v[2:3], v[111:112]
	s_waitcnt vmcnt(39) lgkmcnt(1)
	v_mul_f64 v[117:118], v[89:90], v[131:132]
	s_waitcnt vmcnt(37)
	v_fma_f64 v[115:116], v[83:84], v[135:136], -v[115:116]
	v_mul_f64 v[111:112], v[87:88], v[131:132]
	v_fma_f64 v[107:108], v[85:86], v[135:136], v[107:108]
	ds_read_b128 v[83:86], v1 offset:1136
	v_add_f64 v[99:100], v[99:100], v[113:114]
	s_waitcnt vmcnt(33) lgkmcnt(1)
	v_mul_f64 v[113:114], v[93:94], v[137:138]
	v_add_f64 v[2:3], v[2:3], v[105:106]
	s_waitcnt vmcnt(32)
	v_fma_f64 v[117:118], v[87:88], v[133:134], -v[117:118]
	v_mul_f64 v[105:106], v[91:92], v[137:138]
	v_fma_f64 v[111:112], v[89:90], v[133:134], v[111:112]
	ds_read_b128 v[87:90], v1 offset:1152
	v_add_f64 v[99:100], v[99:100], v[115:116]
	s_waitcnt vmcnt(31) lgkmcnt(1)
	v_mul_f64 v[115:116], v[85:86], v[140:141]
	v_add_f64 v[2:3], v[2:3], v[107:108]
	;; [unrolled: 9-line block ×5, first 2 shown]
	s_waitcnt vmcnt(16)
	v_fma_f64 v[113:114], v[91:92], v[150:151], -v[113:114]
	v_mul_f64 v[107:108], v[83:84], v[156:157]
	v_fma_f64 v[105:106], v[93:94], v[150:151], v[105:106]
	ds_read_b128 v[91:94], v1 offset:1216
	v_add_f64 v[99:100], v[99:100], v[117:118]
	v_add_f64 v[2:3], v[2:3], v[111:112]
	s_waitcnt vmcnt(15) lgkmcnt(1)
	v_mul_f64 v[117:118], v[89:90], v[158:159]
	v_mul_f64 v[111:112], v[87:88], v[158:159]
	s_waitcnt vmcnt(13)
	v_fma_f64 v[115:116], v[83:84], v[97:98], -v[115:116]
	v_fma_f64 v[97:98], v[85:86], v[97:98], v[107:108]
	ds_read_b128 v[83:86], v1 offset:1232
	v_add_f64 v[99:100], v[99:100], v[113:114]
	v_add_f64 v[2:3], v[2:3], v[105:106]
	s_waitcnt vmcnt(9) lgkmcnt(1)
	v_mul_f64 v[105:106], v[91:92], v[101:102]
	v_mul_f64 v[101:102], v[93:94], v[101:102]
	s_waitcnt vmcnt(8)
	v_fma_f64 v[87:88], v[87:88], v[160:161], -v[117:118]
	v_fma_f64 v[89:90], v[89:90], v[160:161], v[111:112]
	v_add_f64 v[99:100], v[99:100], v[115:116]
	v_add_f64 v[2:3], v[2:3], v[97:98]
	s_waitcnt vmcnt(7) lgkmcnt(0)
	v_mul_f64 v[107:108], v[85:86], v[162:163]
	v_mul_f64 v[97:98], v[83:84], v[162:163]
	s_waitcnt vmcnt(5)
	v_fma_f64 v[91:92], v[91:92], v[95:96], -v[101:102]
	v_fma_f64 v[93:94], v[93:94], v[95:96], v[105:106]
	v_add_f64 v[87:88], v[99:100], v[87:88]
	v_add_f64 v[2:3], v[2:3], v[89:90]
	s_waitcnt vmcnt(4)
	v_fma_f64 v[83:84], v[83:84], v[167:168], -v[107:108]
	v_fma_f64 v[85:86], v[85:86], v[167:168], v[97:98]
	v_add_f64 v[87:88], v[87:88], v[91:92]
	v_add_f64 v[2:3], v[2:3], v[93:94]
	v_add_f64 v[83:84], v[87:88], v[83:84]
	v_add_f64 v[2:3], v[2:3], v[85:86]
	s_waitcnt vmcnt(2)
	v_add_f64 v[83:84], v[103:104], -v[83:84]
	s_waitcnt vmcnt(0)
	v_add_f64 v[2:3], v[109:110], -v[2:3]
	buffer_store_dword v84, off, s[0:3], 0 offset:324
	buffer_store_dword v83, off, s[0:3], 0 offset:320
	;; [unrolled: 1-line block ×4, first 2 shown]
	v_cmpx_lt_u32_e32 18, v0
	s_cbranch_execz .LBB102_211
; %bb.210:
	v_mov_b32_e32 v2, s33
	s_clause 0x3
	buffer_load_dword v83, v2, s[0:3], 0 offen
	buffer_load_dword v84, v2, s[0:3], 0 offen offset:4
	buffer_load_dword v85, v2, s[0:3], 0 offen offset:8
	;; [unrolled: 1-line block ×3, first 2 shown]
	buffer_store_dword v1, off, s[0:3], 0 offset:304
	buffer_store_dword v1, off, s[0:3], 0 offset:308
	buffer_store_dword v1, off, s[0:3], 0 offset:312
	buffer_store_dword v1, off, s[0:3], 0 offset:316
	s_waitcnt vmcnt(0)
	ds_write_b128 v139, v[83:86]
.LBB102_211:
	s_or_b32 exec_lo, exec_lo, s4
	s_waitcnt lgkmcnt(0)
	s_waitcnt_vscnt null, 0x0
	s_barrier
	buffer_gl0_inv
	s_clause 0x37
	buffer_load_dword v2, off, s[0:3], 0 offset:328
	buffer_load_dword v3, off, s[0:3], 0 offset:332
	;; [unrolled: 1-line block ×56, first 2 shown]
	ds_read_b128 v[83:86], v1 offset:928
	s_clause 0x2
	buffer_load_dword v149, off, s[0:3], 0 offset:556
	buffer_load_dword v153, off, s[0:3], 0 offset:532
	;; [unrolled: 1-line block ×3, first 2 shown]
	ds_read_b128 v[87:90], v1 offset:944
	s_clause 0x4
	buffer_load_dword v157, off, s[0:3], 0 offset:572
	buffer_load_dword v158, off, s[0:3], 0 offset:584
	;; [unrolled: 1-line block ×5, first 2 shown]
	ds_read_b128 v[91:94], v1 offset:960
	s_mov_b32 s4, exec_lo
	s_waitcnt vmcnt(62) lgkmcnt(2)
	v_mul_f64 v[154:155], v[85:86], v[2:3]
	v_mul_f64 v[2:3], v[83:84], v[2:3]
	s_waitcnt vmcnt(60) lgkmcnt(1)
	v_mul_f64 v[161:162], v[89:90], v[95:96]
	v_mul_f64 v[95:96], v[87:88], v[95:96]
	;; [unrolled: 3-line block ×3, first 2 shown]
	v_fma_f64 v[154:155], v[83:84], v[97:98], -v[154:155]
	v_fma_f64 v[2:3], v[85:86], v[97:98], v[2:3]
	s_clause 0x2
	buffer_load_dword v159, off, s[0:3], 0 offset:588
	buffer_load_dword v98, off, s[0:3], 0 offset:564
	;; [unrolled: 1-line block ×3, first 2 shown]
	s_waitcnt vmcnt(57)
	v_fma_f64 v[165:166], v[87:88], v[101:102], -v[161:162]
	ds_read_b128 v[83:86], v1 offset:976
	v_fma_f64 v[95:96], v[89:90], v[101:102], v[95:96]
	s_clause 0x4
	buffer_load_dword v102, off, s[0:3], 0 offset:604
	buffer_load_dword v162, off, s[0:3], 0 offset:616
	;; [unrolled: 1-line block ×5, first 2 shown]
	s_waitcnt vmcnt(56)
	v_fma_f64 v[99:100], v[91:92], v[109:110], -v[99:100]
	ds_read_b128 v[87:90], v1 offset:992
	v_fma_f64 v[109:110], v[93:94], v[109:110], v[163:164]
	v_add_f64 v[154:155], v[154:155], 0
	v_add_f64 v[2:3], v[2:3], 0
	s_waitcnt lgkmcnt(1)
	v_mul_f64 v[168:169], v[83:84], v[103:104]
	v_mul_f64 v[103:104], v[85:86], v[103:104]
	v_add_f64 v[154:155], v[154:155], v[165:166]
	v_add_f64 v[2:3], v[2:3], v[95:96]
	s_clause 0x2
	buffer_load_dword v163, off, s[0:3], 0 offset:620
	buffer_load_dword v96, off, s[0:3], 0 offset:596
	;; [unrolled: 1-line block ×3, first 2 shown]
	s_waitcnt vmcnt(58) lgkmcnt(0)
	v_mul_f64 v[164:165], v[87:88], v[105:106]
	v_mul_f64 v[105:106], v[89:90], v[105:106]
	s_waitcnt vmcnt(56)
	v_fma_f64 v[103:104], v[83:84], v[111:112], -v[103:104]
	ds_read_b128 v[91:94], v1 offset:1008
	v_fma_f64 v[111:112], v[85:86], v[111:112], v[168:169]
	v_add_f64 v[99:100], v[154:155], v[99:100]
	v_add_f64 v[2:3], v[2:3], v[109:110]
	s_clause 0x2
	buffer_load_dword v110, off, s[0:3], 0 offset:636
	buffer_load_dword v109, off, s[0:3], 0 offset:632
	;; [unrolled: 1-line block ×3, first 2 shown]
	ds_read_b128 v[83:86], v1 offset:1024
	s_waitcnt vmcnt(55) lgkmcnt(1)
	v_mul_f64 v[154:155], v[91:92], v[113:114]
	v_mul_f64 v[113:114], v[93:94], v[113:114]
	s_waitcnt vmcnt(54)
	v_fma_f64 v[105:106], v[87:88], v[107:108], -v[105:106]
	v_add_f64 v[99:100], v[99:100], v[103:104]
	v_fma_f64 v[103:104], v[89:90], v[107:108], v[164:165]
	v_add_f64 v[2:3], v[2:3], v[111:112]
	s_clause 0x1
	buffer_load_dword v108, off, s[0:3], 0 offset:628
	buffer_load_dword v107, off, s[0:3], 0 offset:624
	s_waitcnt vmcnt(55) lgkmcnt(0)
	v_mul_f64 v[111:112], v[83:84], v[115:116]
	v_mul_f64 v[115:116], v[85:86], v[115:116]
	s_waitcnt vmcnt(53)
	v_fma_f64 v[113:114], v[91:92], v[119:120], -v[113:114]
	ds_read_b128 v[87:90], v1 offset:1040
	v_add_f64 v[99:100], v[99:100], v[105:106]
	v_fma_f64 v[105:106], v[93:94], v[119:120], v[154:155]
	v_add_f64 v[2:3], v[2:3], v[103:104]
	ds_read_b128 v[91:94], v1 offset:1056
	s_waitcnt vmcnt(48)
	v_fma_f64 v[111:112], v[85:86], v[117:118], v[111:112]
	s_waitcnt lgkmcnt(1)
	v_mul_f64 v[119:120], v[89:90], v[121:122]
	v_fma_f64 v[115:116], v[83:84], v[117:118], -v[115:116]
	v_mul_f64 v[103:104], v[87:88], v[121:122]
	v_add_f64 v[99:100], v[99:100], v[113:114]
	s_waitcnt vmcnt(47) lgkmcnt(0)
	v_mul_f64 v[121:122], v[93:94], v[123:124]
	v_add_f64 v[2:3], v[2:3], v[105:106]
	s_clause 0x3
	buffer_load_dword v105, off, s[0:3], 0 offset:304
	buffer_load_dword v106, off, s[0:3], 0 offset:308
	;; [unrolled: 1-line block ×4, first 2 shown]
	ds_read_b128 v[83:86], v1 offset:1072
	s_waitcnt vmcnt(49)
	v_fma_f64 v[119:120], v[87:88], v[127:128], -v[119:120]
	v_mul_f64 v[117:118], v[91:92], v[123:124]
	v_fma_f64 v[103:104], v[89:90], v[127:128], v[103:104]
	ds_read_b128 v[87:90], v1 offset:1088
	v_add_f64 v[99:100], v[99:100], v[115:116]
	s_waitcnt vmcnt(44)
	v_fma_f64 v[121:122], v[91:92], v[125:126], -v[121:122]
	v_add_f64 v[2:3], v[2:3], v[111:112]
	s_waitcnt lgkmcnt(1)
	v_mul_f64 v[115:116], v[85:86], v[129:130]
	v_mul_f64 v[111:112], v[83:84], v[129:130]
	v_fma_f64 v[117:118], v[93:94], v[125:126], v[117:118]
	ds_read_b128 v[91:94], v1 offset:1104
	v_add_f64 v[99:100], v[99:100], v[119:120]
	s_waitcnt vmcnt(43) lgkmcnt(1)
	v_mul_f64 v[119:120], v[89:90], v[131:132]
	v_add_f64 v[2:3], v[2:3], v[103:104]
	s_waitcnt vmcnt(41)
	v_fma_f64 v[115:116], v[83:84], v[135:136], -v[115:116]
	v_mul_f64 v[103:104], v[87:88], v[131:132]
	v_fma_f64 v[111:112], v[85:86], v[135:136], v[111:112]
	ds_read_b128 v[83:86], v1 offset:1120
	v_add_f64 v[99:100], v[99:100], v[121:122]
	s_waitcnt vmcnt(37) lgkmcnt(1)
	v_mul_f64 v[121:122], v[93:94], v[137:138]
	v_add_f64 v[2:3], v[2:3], v[117:118]
	s_waitcnt vmcnt(36)
	v_fma_f64 v[119:120], v[87:88], v[133:134], -v[119:120]
	;; [unrolled: 9-line block ×6, first 2 shown]
	v_mul_f64 v[111:112], v[83:84], v[156:157]
	v_fma_f64 v[117:118], v[93:94], v[150:151], v[117:118]
	ds_read_b128 v[91:94], v1 offset:1200
	v_add_f64 v[99:100], v[99:100], v[119:120]
	v_add_f64 v[2:3], v[2:3], v[103:104]
	s_waitcnt vmcnt(19) lgkmcnt(1)
	v_mul_f64 v[119:120], v[89:90], v[158:159]
	v_mul_f64 v[103:104], v[87:88], v[158:159]
	s_waitcnt vmcnt(17)
	v_fma_f64 v[115:116], v[83:84], v[97:98], -v[115:116]
	v_fma_f64 v[97:98], v[85:86], v[97:98], v[111:112]
	ds_read_b128 v[83:86], v1 offset:1216
	s_waitcnt vmcnt(13) lgkmcnt(1)
	v_mul_f64 v[111:112], v[91:92], v[101:102]
	v_mul_f64 v[101:102], v[93:94], v[101:102]
	v_add_f64 v[99:100], v[99:100], v[121:122]
	v_add_f64 v[2:3], v[2:3], v[117:118]
	s_waitcnt vmcnt(12)
	v_fma_f64 v[87:88], v[87:88], v[160:161], -v[119:120]
	v_fma_f64 v[89:90], v[89:90], v[160:161], v[103:104]
	v_add_f64 v[99:100], v[99:100], v[115:116]
	v_add_f64 v[97:98], v[2:3], v[97:98]
	ds_read_b128 v[1:4], v1 offset:1232
	s_waitcnt vmcnt(11) lgkmcnt(1)
	v_mul_f64 v[115:116], v[85:86], v[162:163]
	v_mul_f64 v[103:104], v[83:84], v[162:163]
	s_waitcnt vmcnt(9)
	v_fma_f64 v[91:92], v[91:92], v[95:96], -v[101:102]
	v_fma_f64 v[93:94], v[93:94], v[95:96], v[111:112]
	v_add_f64 v[87:88], v[99:100], v[87:88]
	v_add_f64 v[89:90], v[97:98], v[89:90]
	s_waitcnt vmcnt(7) lgkmcnt(0)
	v_mul_f64 v[97:98], v[3:4], v[109:110]
	s_waitcnt vmcnt(6)
	v_fma_f64 v[83:84], v[83:84], v[167:168], -v[115:116]
	v_mul_f64 v[95:96], v[1:2], v[109:110]
	v_fma_f64 v[85:86], v[85:86], v[167:168], v[103:104]
	v_add_f64 v[87:88], v[87:88], v[91:92]
	v_add_f64 v[89:90], v[89:90], v[93:94]
	s_waitcnt vmcnt(4)
	v_fma_f64 v[1:2], v[1:2], v[107:108], -v[97:98]
	v_fma_f64 v[3:4], v[3:4], v[107:108], v[95:96]
	v_add_f64 v[83:84], v[87:88], v[83:84]
	v_add_f64 v[85:86], v[89:90], v[85:86]
	;; [unrolled: 1-line block ×4, first 2 shown]
	s_waitcnt vmcnt(2)
	v_add_f64 v[1:2], v[105:106], -v[1:2]
	s_waitcnt vmcnt(0)
	v_add_f64 v[3:4], v[113:114], -v[3:4]
	buffer_store_dword v2, off, s[0:3], 0 offset:308
	buffer_store_dword v1, off, s[0:3], 0 offset:304
	;; [unrolled: 1-line block ×4, first 2 shown]
	v_cmpx_lt_u32_e32 17, v0
	s_cbranch_execz .LBB102_213
; %bb.212:
	v_mov_b32_e32 v4, s34
	v_mov_b32_e32 v83, 0
	s_clause 0x3
	buffer_load_dword v1, v4, s[0:3], 0 offen
	buffer_load_dword v2, v4, s[0:3], 0 offen offset:4
	buffer_load_dword v3, v4, s[0:3], 0 offen offset:8
	;; [unrolled: 1-line block ×3, first 2 shown]
	buffer_store_dword v83, off, s[0:3], 0 offset:288
	buffer_store_dword v83, off, s[0:3], 0 offset:292
	;; [unrolled: 1-line block ×4, first 2 shown]
	s_waitcnt vmcnt(0)
	ds_write_b128 v139, v[1:4]
.LBB102_213:
	s_or_b32 exec_lo, exec_lo, s4
	s_waitcnt lgkmcnt(0)
	s_waitcnt_vscnt null, 0x0
	s_barrier
	buffer_gl0_inv
	s_clause 0x37
	buffer_load_dword v2, off, s[0:3], 0 offset:312
	buffer_load_dword v3, off, s[0:3], 0 offset:316
	;; [unrolled: 1-line block ×56, first 2 shown]
	v_mov_b32_e32 v1, 0
	s_mov_b32 s4, exec_lo
	ds_read_b128 v[83:86], v1 offset:912
	s_clause 0x2
	buffer_load_dword v149, off, s[0:3], 0 offset:540
	buffer_load_dword v153, off, s[0:3], 0 offset:516
	;; [unrolled: 1-line block ×3, first 2 shown]
	ds_read_b128 v[87:90], v1 offset:928
	s_clause 0x4
	buffer_load_dword v157, off, s[0:3], 0 offset:556
	buffer_load_dword v158, off, s[0:3], 0 offset:568
	;; [unrolled: 1-line block ×5, first 2 shown]
	ds_read_b128 v[91:94], v1 offset:944
	s_waitcnt vmcnt(62) lgkmcnt(2)
	v_mul_f64 v[154:155], v[85:86], v[2:3]
	v_mul_f64 v[2:3], v[83:84], v[2:3]
	s_waitcnt vmcnt(60) lgkmcnt(1)
	v_mul_f64 v[161:162], v[89:90], v[95:96]
	v_mul_f64 v[95:96], v[87:88], v[95:96]
	;; [unrolled: 3-line block ×3, first 2 shown]
	v_fma_f64 v[154:155], v[83:84], v[97:98], -v[154:155]
	v_fma_f64 v[2:3], v[85:86], v[97:98], v[2:3]
	s_clause 0x2
	buffer_load_dword v159, off, s[0:3], 0 offset:572
	buffer_load_dword v98, off, s[0:3], 0 offset:548
	buffer_load_dword v97, off, s[0:3], 0 offset:544
	s_waitcnt vmcnt(57)
	v_fma_f64 v[165:166], v[87:88], v[101:102], -v[161:162]
	ds_read_b128 v[83:86], v1 offset:960
	v_fma_f64 v[95:96], v[89:90], v[101:102], v[95:96]
	s_clause 0x4
	buffer_load_dword v102, off, s[0:3], 0 offset:588
	buffer_load_dword v162, off, s[0:3], 0 offset:600
	buffer_load_dword v167, off, s[0:3], 0 offset:592
	buffer_load_dword v101, off, s[0:3], 0 offset:584
	buffer_load_dword v161, off, s[0:3], 0 offset:564
	s_waitcnt vmcnt(56)
	v_fma_f64 v[99:100], v[91:92], v[109:110], -v[99:100]
	ds_read_b128 v[87:90], v1 offset:976
	v_fma_f64 v[109:110], v[93:94], v[109:110], v[163:164]
	v_add_f64 v[154:155], v[154:155], 0
	v_add_f64 v[2:3], v[2:3], 0
	s_waitcnt lgkmcnt(1)
	v_mul_f64 v[168:169], v[83:84], v[103:104]
	v_mul_f64 v[103:104], v[85:86], v[103:104]
	v_add_f64 v[154:155], v[154:155], v[165:166]
	v_add_f64 v[2:3], v[2:3], v[95:96]
	s_clause 0x2
	buffer_load_dword v163, off, s[0:3], 0 offset:604
	buffer_load_dword v96, off, s[0:3], 0 offset:580
	;; [unrolled: 1-line block ×3, first 2 shown]
	s_waitcnt vmcnt(58) lgkmcnt(0)
	v_mul_f64 v[164:165], v[87:88], v[105:106]
	v_mul_f64 v[105:106], v[89:90], v[105:106]
	s_waitcnt vmcnt(56)
	v_fma_f64 v[103:104], v[83:84], v[111:112], -v[103:104]
	ds_read_b128 v[91:94], v1 offset:992
	v_fma_f64 v[111:112], v[85:86], v[111:112], v[168:169]
	v_add_f64 v[99:100], v[154:155], v[99:100]
	v_add_f64 v[2:3], v[2:3], v[109:110]
	s_clause 0x4
	buffer_load_dword v110, off, s[0:3], 0 offset:620
	buffer_load_dword v154, off, s[0:3], 0 offset:632
	;; [unrolled: 1-line block ×5, first 2 shown]
	ds_read_b128 v[83:86], v1 offset:1008
	s_waitcnt vmcnt(57) lgkmcnt(1)
	v_mul_f64 v[170:171], v[91:92], v[113:114]
	v_mul_f64 v[113:114], v[93:94], v[113:114]
	s_waitcnt vmcnt(56)
	v_fma_f64 v[105:106], v[87:88], v[107:108], -v[105:106]
	v_add_f64 v[99:100], v[99:100], v[103:104]
	v_fma_f64 v[103:104], v[89:90], v[107:108], v[164:165]
	v_add_f64 v[2:3], v[2:3], v[111:112]
	s_clause 0x2
	buffer_load_dword v155, off, s[0:3], 0 offset:636
	buffer_load_dword v108, off, s[0:3], 0 offset:612
	;; [unrolled: 1-line block ×3, first 2 shown]
	s_waitcnt vmcnt(58) lgkmcnt(0)
	v_mul_f64 v[111:112], v[83:84], v[115:116]
	v_mul_f64 v[115:116], v[85:86], v[115:116]
	s_waitcnt vmcnt(56)
	v_fma_f64 v[113:114], v[91:92], v[119:120], -v[113:114]
	ds_read_b128 v[87:90], v1 offset:1024
	v_add_f64 v[99:100], v[99:100], v[105:106]
	v_fma_f64 v[105:106], v[93:94], v[119:120], v[170:171]
	v_add_f64 v[2:3], v[2:3], v[103:104]
	buffer_load_dword v170, off, s[0:3], 0 offset:628
	ds_read_b128 v[91:94], v1 offset:1040
	s_waitcnt vmcnt(53) lgkmcnt(1)
	v_mul_f64 v[119:120], v[89:90], v[121:122]
	s_waitcnt vmcnt(52)
	v_fma_f64 v[115:116], v[83:84], v[117:118], -v[115:116]
	v_mul_f64 v[103:104], v[87:88], v[121:122]
	v_fma_f64 v[111:112], v[85:86], v[117:118], v[111:112]
	ds_read_b128 v[83:86], v1 offset:1056
	v_add_f64 v[99:100], v[99:100], v[113:114]
	v_add_f64 v[2:3], v[2:3], v[105:106]
	s_waitcnt vmcnt(51) lgkmcnt(1)
	v_mul_f64 v[113:114], v[93:94], v[123:124]
	v_mul_f64 v[105:106], v[91:92], v[123:124]
	s_waitcnt vmcnt(49)
	v_fma_f64 v[117:118], v[87:88], v[127:128], -v[119:120]
	v_fma_f64 v[103:104], v[89:90], v[127:128], v[103:104]
	s_waitcnt vmcnt(45) lgkmcnt(0)
	v_mul_f64 v[121:122], v[85:86], v[129:130]
	v_mul_f64 v[119:120], v[83:84], v[129:130]
	v_add_f64 v[99:100], v[99:100], v[115:116]
	v_add_f64 v[2:3], v[2:3], v[111:112]
	s_clause 0x3
	buffer_load_dword v111, off, s[0:3], 0 offset:288
	buffer_load_dword v112, off, s[0:3], 0 offset:292
	;; [unrolled: 1-line block ×4, first 2 shown]
	s_waitcnt vmcnt(48)
	v_fma_f64 v[113:114], v[91:92], v[125:126], -v[113:114]
	ds_read_b128 v[87:90], v1 offset:1072
	v_fma_f64 v[105:106], v[93:94], v[125:126], v[105:106]
	ds_read_b128 v[91:94], v1 offset:1088
	s_waitcnt vmcnt(45)
	v_fma_f64 v[121:122], v[83:84], v[135:136], -v[121:122]
	v_add_f64 v[99:100], v[99:100], v[117:118]
	v_add_f64 v[2:3], v[2:3], v[103:104]
	s_waitcnt lgkmcnt(1)
	v_mul_f64 v[117:118], v[89:90], v[131:132]
	v_mul_f64 v[103:104], v[87:88], v[131:132]
	v_add_f64 v[99:100], v[99:100], v[113:114]
	v_fma_f64 v[113:114], v[85:86], v[135:136], v[119:120]
	v_add_f64 v[2:3], v[2:3], v[105:106]
	s_waitcnt vmcnt(41) lgkmcnt(0)
	v_mul_f64 v[119:120], v[93:94], v[137:138]
	s_waitcnt vmcnt(40)
	v_fma_f64 v[117:118], v[87:88], v[133:134], -v[117:118]
	ds_read_b128 v[83:86], v1 offset:1104
	v_mul_f64 v[105:106], v[91:92], v[137:138]
	v_fma_f64 v[103:104], v[89:90], v[133:134], v[103:104]
	ds_read_b128 v[87:90], v1 offset:1120
	v_add_f64 v[99:100], v[99:100], v[121:122]
	v_add_f64 v[2:3], v[2:3], v[113:114]
	s_waitcnt vmcnt(39) lgkmcnt(1)
	v_mul_f64 v[121:122], v[85:86], v[140:141]
	s_waitcnt vmcnt(37)
	v_fma_f64 v[119:120], v[91:92], v[144:145], -v[119:120]
	v_mul_f64 v[113:114], v[83:84], v[140:141]
	v_fma_f64 v[105:106], v[93:94], v[144:145], v[105:106]
	ds_read_b128 v[91:94], v1 offset:1136
	v_add_f64 v[99:100], v[99:100], v[117:118]
	s_waitcnt vmcnt(33) lgkmcnt(1)
	v_mul_f64 v[117:118], v[89:90], v[146:147]
	v_add_f64 v[2:3], v[2:3], v[103:104]
	s_waitcnt vmcnt(32)
	v_fma_f64 v[121:122], v[83:84], v[142:143], -v[121:122]
	v_mul_f64 v[103:104], v[87:88], v[146:147]
	v_fma_f64 v[113:114], v[85:86], v[142:143], v[113:114]
	ds_read_b128 v[83:86], v1 offset:1152
	v_add_f64 v[99:100], v[99:100], v[119:120]
	s_waitcnt vmcnt(31) lgkmcnt(1)
	v_mul_f64 v[119:120], v[93:94], v[148:149]
	v_add_f64 v[2:3], v[2:3], v[105:106]
	;; [unrolled: 9-line block ×3, first 2 shown]
	s_waitcnt vmcnt(24)
	v_fma_f64 v[119:120], v[91:92], v[150:151], -v[119:120]
	v_mul_f64 v[113:114], v[83:84], v[156:157]
	v_fma_f64 v[105:106], v[93:94], v[150:151], v[105:106]
	ds_read_b128 v[91:94], v1 offset:1184
	v_add_f64 v[99:100], v[99:100], v[117:118]
	v_add_f64 v[2:3], v[2:3], v[103:104]
	s_waitcnt vmcnt(23) lgkmcnt(1)
	v_mul_f64 v[117:118], v[89:90], v[158:159]
	v_mul_f64 v[103:104], v[87:88], v[158:159]
	s_waitcnt vmcnt(21)
	v_fma_f64 v[121:122], v[83:84], v[97:98], -v[121:122]
	v_fma_f64 v[97:98], v[85:86], v[97:98], v[113:114]
	ds_read_b128 v[83:86], v1 offset:1200
	v_add_f64 v[99:100], v[99:100], v[119:120]
	v_add_f64 v[2:3], v[2:3], v[105:106]
	s_waitcnt vmcnt(17) lgkmcnt(1)
	v_mul_f64 v[105:106], v[91:92], v[101:102]
	v_mul_f64 v[101:102], v[93:94], v[101:102]
	s_waitcnt vmcnt(16)
	v_fma_f64 v[113:114], v[87:88], v[160:161], -v[117:118]
	;; [unrolled: 9-line block ×3, first 2 shown]
	v_fma_f64 v[95:96], v[93:94], v[95:96], v[105:106]
	ds_read_b128 v[91:94], v1 offset:1232
	v_add_f64 v[99:100], v[99:100], v[113:114]
	v_add_f64 v[2:3], v[2:3], v[103:104]
	s_waitcnt vmcnt(9) lgkmcnt(1)
	v_mul_f64 v[105:106], v[89:90], v[109:110]
	s_waitcnt vmcnt(8)
	v_fma_f64 v[83:84], v[83:84], v[167:168], -v[117:118]
	v_mul_f64 v[103:104], v[87:88], v[109:110]
	v_fma_f64 v[85:86], v[85:86], v[167:168], v[97:98]
	v_add_f64 v[99:100], v[99:100], v[101:102]
	v_add_f64 v[2:3], v[2:3], v[95:96]
	s_waitcnt vmcnt(7) lgkmcnt(0)
	v_mul_f64 v[97:98], v[93:94], v[154:155]
	v_mul_f64 v[95:96], v[91:92], v[154:155]
	s_waitcnt vmcnt(5)
	v_fma_f64 v[87:88], v[87:88], v[107:108], -v[105:106]
	v_fma_f64 v[89:90], v[89:90], v[107:108], v[103:104]
	v_add_f64 v[83:84], v[99:100], v[83:84]
	v_add_f64 v[2:3], v[2:3], v[85:86]
	s_waitcnt vmcnt(4)
	v_fma_f64 v[85:86], v[91:92], v[169:170], -v[97:98]
	v_add_f64 v[83:84], v[83:84], v[87:88]
	v_fma_f64 v[87:88], v[93:94], v[169:170], v[95:96]
	v_add_f64 v[2:3], v[2:3], v[89:90]
	v_add_f64 v[83:84], v[83:84], v[85:86]
	;; [unrolled: 1-line block ×3, first 2 shown]
	s_waitcnt vmcnt(2)
	v_add_f64 v[83:84], v[111:112], -v[83:84]
	s_waitcnt vmcnt(0)
	v_add_f64 v[2:3], v[115:116], -v[2:3]
	buffer_store_dword v84, off, s[0:3], 0 offset:292
	buffer_store_dword v83, off, s[0:3], 0 offset:288
	;; [unrolled: 1-line block ×4, first 2 shown]
	v_cmpx_lt_u32_e32 16, v0
	s_cbranch_execz .LBB102_215
; %bb.214:
	v_mov_b32_e32 v2, s35
	s_clause 0x3
	buffer_load_dword v83, v2, s[0:3], 0 offen
	buffer_load_dword v84, v2, s[0:3], 0 offen offset:4
	buffer_load_dword v85, v2, s[0:3], 0 offen offset:8
	;; [unrolled: 1-line block ×3, first 2 shown]
	buffer_store_dword v1, off, s[0:3], 0 offset:272
	buffer_store_dword v1, off, s[0:3], 0 offset:276
	;; [unrolled: 1-line block ×4, first 2 shown]
	s_waitcnt vmcnt(0)
	ds_write_b128 v139, v[83:86]
.LBB102_215:
	s_or_b32 exec_lo, exec_lo, s4
	s_waitcnt lgkmcnt(0)
	s_waitcnt_vscnt null, 0x0
	s_barrier
	buffer_gl0_inv
	s_clause 0x37
	buffer_load_dword v2, off, s[0:3], 0 offset:296
	buffer_load_dword v3, off, s[0:3], 0 offset:300
	;; [unrolled: 1-line block ×56, first 2 shown]
	ds_read_b128 v[83:86], v1 offset:896
	s_clause 0x2
	buffer_load_dword v149, off, s[0:3], 0 offset:524
	buffer_load_dword v153, off, s[0:3], 0 offset:500
	buffer_load_dword v152, off, s[0:3], 0 offset:496
	ds_read_b128 v[87:90], v1 offset:912
	s_clause 0x4
	buffer_load_dword v157, off, s[0:3], 0 offset:540
	buffer_load_dword v158, off, s[0:3], 0 offset:552
	;; [unrolled: 1-line block ×5, first 2 shown]
	ds_read_b128 v[91:94], v1 offset:928
	s_mov_b32 s4, exec_lo
	s_waitcnt vmcnt(62) lgkmcnt(2)
	v_mul_f64 v[154:155], v[85:86], v[2:3]
	v_mul_f64 v[2:3], v[83:84], v[2:3]
	s_waitcnt vmcnt(60) lgkmcnt(1)
	v_mul_f64 v[161:162], v[89:90], v[95:96]
	v_mul_f64 v[95:96], v[87:88], v[95:96]
	s_waitcnt vmcnt(56) lgkmcnt(0)
	v_mul_f64 v[163:164], v[91:92], v[99:100]
	v_mul_f64 v[99:100], v[93:94], v[99:100]
	v_fma_f64 v[154:155], v[83:84], v[97:98], -v[154:155]
	v_fma_f64 v[2:3], v[85:86], v[97:98], v[2:3]
	s_clause 0x2
	buffer_load_dword v159, off, s[0:3], 0 offset:556
	buffer_load_dword v98, off, s[0:3], 0 offset:532
	;; [unrolled: 1-line block ×3, first 2 shown]
	s_waitcnt vmcnt(57)
	v_fma_f64 v[165:166], v[87:88], v[101:102], -v[161:162]
	ds_read_b128 v[83:86], v1 offset:944
	v_fma_f64 v[95:96], v[89:90], v[101:102], v[95:96]
	s_clause 0x4
	buffer_load_dword v102, off, s[0:3], 0 offset:572
	buffer_load_dword v162, off, s[0:3], 0 offset:584
	;; [unrolled: 1-line block ×5, first 2 shown]
	s_waitcnt vmcnt(56)
	v_fma_f64 v[99:100], v[91:92], v[109:110], -v[99:100]
	ds_read_b128 v[87:90], v1 offset:960
	v_fma_f64 v[109:110], v[93:94], v[109:110], v[163:164]
	v_add_f64 v[154:155], v[154:155], 0
	v_add_f64 v[2:3], v[2:3], 0
	s_waitcnt lgkmcnt(1)
	v_mul_f64 v[168:169], v[83:84], v[103:104]
	v_mul_f64 v[103:104], v[85:86], v[103:104]
	v_add_f64 v[154:155], v[154:155], v[165:166]
	v_add_f64 v[2:3], v[2:3], v[95:96]
	s_clause 0x2
	buffer_load_dword v163, off, s[0:3], 0 offset:588
	buffer_load_dword v96, off, s[0:3], 0 offset:564
	;; [unrolled: 1-line block ×3, first 2 shown]
	s_waitcnt vmcnt(58) lgkmcnt(0)
	v_mul_f64 v[164:165], v[87:88], v[105:106]
	v_mul_f64 v[105:106], v[89:90], v[105:106]
	s_waitcnt vmcnt(56)
	v_fma_f64 v[103:104], v[83:84], v[111:112], -v[103:104]
	ds_read_b128 v[91:94], v1 offset:976
	v_fma_f64 v[111:112], v[85:86], v[111:112], v[168:169]
	v_add_f64 v[99:100], v[154:155], v[99:100]
	v_add_f64 v[2:3], v[2:3], v[109:110]
	s_clause 0x4
	buffer_load_dword v110, off, s[0:3], 0 offset:604
	buffer_load_dword v154, off, s[0:3], 0 offset:616
	;; [unrolled: 1-line block ×5, first 2 shown]
	ds_read_b128 v[83:86], v1 offset:992
	s_waitcnt vmcnt(57) lgkmcnt(1)
	v_mul_f64 v[170:171], v[91:92], v[113:114]
	v_mul_f64 v[113:114], v[93:94], v[113:114]
	s_waitcnt vmcnt(56)
	v_fma_f64 v[105:106], v[87:88], v[107:108], -v[105:106]
	v_add_f64 v[99:100], v[99:100], v[103:104]
	v_fma_f64 v[103:104], v[89:90], v[107:108], v[164:165]
	v_add_f64 v[2:3], v[2:3], v[111:112]
	s_clause 0x2
	buffer_load_dword v155, off, s[0:3], 0 offset:620
	buffer_load_dword v108, off, s[0:3], 0 offset:596
	;; [unrolled: 1-line block ×3, first 2 shown]
	s_waitcnt vmcnt(58) lgkmcnt(0)
	v_mul_f64 v[111:112], v[83:84], v[115:116]
	v_mul_f64 v[115:116], v[85:86], v[115:116]
	s_waitcnt vmcnt(56)
	v_fma_f64 v[113:114], v[91:92], v[119:120], -v[113:114]
	ds_read_b128 v[87:90], v1 offset:1008
	v_add_f64 v[99:100], v[99:100], v[105:106]
	v_fma_f64 v[105:106], v[93:94], v[119:120], v[170:171]
	v_add_f64 v[2:3], v[2:3], v[103:104]
	s_clause 0x2
	buffer_load_dword v104, off, s[0:3], 0 offset:636
	buffer_load_dword v103, off, s[0:3], 0 offset:632
	;; [unrolled: 1-line block ×3, first 2 shown]
	ds_read_b128 v[91:94], v1 offset:1024
	s_waitcnt vmcnt(55) lgkmcnt(1)
	v_mul_f64 v[119:120], v[87:88], v[121:122]
	v_mul_f64 v[121:122], v[89:90], v[121:122]
	s_waitcnt vmcnt(54)
	v_fma_f64 v[115:116], v[83:84], v[117:118], -v[115:116]
	v_fma_f64 v[111:112], v[85:86], v[117:118], v[111:112]
	v_add_f64 v[99:100], v[99:100], v[113:114]
	v_add_f64 v[2:3], v[2:3], v[105:106]
	s_clause 0x1
	buffer_load_dword v106, off, s[0:3], 0 offset:628
	buffer_load_dword v105, off, s[0:3], 0 offset:624
	s_waitcnt vmcnt(55) lgkmcnt(0)
	v_mul_f64 v[117:118], v[93:94], v[123:124]
	ds_read_b128 v[83:86], v1 offset:1040
	s_waitcnt vmcnt(53)
	v_fma_f64 v[121:122], v[87:88], v[127:128], -v[121:122]
	v_mul_f64 v[113:114], v[91:92], v[123:124]
	v_add_f64 v[99:100], v[99:100], v[115:116]
	v_fma_f64 v[115:116], v[89:90], v[127:128], v[119:120]
	v_add_f64 v[2:3], v[2:3], v[111:112]
	ds_read_b128 v[87:90], v1 offset:1056
	s_waitcnt vmcnt(49) lgkmcnt(1)
	v_mul_f64 v[119:120], v[85:86], v[129:130]
	s_waitcnt vmcnt(48)
	v_fma_f64 v[117:118], v[91:92], v[125:126], -v[117:118]
	v_mul_f64 v[111:112], v[83:84], v[129:130]
	v_fma_f64 v[113:114], v[93:94], v[125:126], v[113:114]
	v_add_f64 v[99:100], v[99:100], v[121:122]
	s_waitcnt vmcnt(47) lgkmcnt(0)
	v_mul_f64 v[125:126], v[89:90], v[131:132]
	v_add_f64 v[2:3], v[2:3], v[115:116]
	s_clause 0x3
	buffer_load_dword v115, off, s[0:3], 0 offset:272
	buffer_load_dword v116, off, s[0:3], 0 offset:276
	;; [unrolled: 1-line block ×4, first 2 shown]
	s_waitcnt vmcnt(49)
	v_fma_f64 v[119:120], v[83:84], v[135:136], -v[119:120]
	ds_read_b128 v[91:94], v1 offset:1072
	v_mul_f64 v[123:124], v[87:88], v[131:132]
	v_fma_f64 v[111:112], v[85:86], v[135:136], v[111:112]
	ds_read_b128 v[83:86], v1 offset:1088
	v_add_f64 v[99:100], v[99:100], v[117:118]
	s_waitcnt vmcnt(44)
	v_fma_f64 v[125:126], v[87:88], v[133:134], -v[125:126]
	v_add_f64 v[2:3], v[2:3], v[113:114]
	s_waitcnt lgkmcnt(1)
	v_mul_f64 v[117:118], v[93:94], v[137:138]
	v_mul_f64 v[113:114], v[91:92], v[137:138]
	v_add_f64 v[99:100], v[99:100], v[119:120]
	v_fma_f64 v[119:120], v[89:90], v[133:134], v[123:124]
	v_add_f64 v[2:3], v[2:3], v[111:112]
	s_waitcnt vmcnt(43) lgkmcnt(0)
	v_mul_f64 v[123:124], v[85:86], v[140:141]
	s_waitcnt vmcnt(41)
	v_fma_f64 v[117:118], v[91:92], v[144:145], -v[117:118]
	ds_read_b128 v[87:90], v1 offset:1104
	v_mul_f64 v[111:112], v[83:84], v[140:141]
	v_fma_f64 v[113:114], v[93:94], v[144:145], v[113:114]
	ds_read_b128 v[91:94], v1 offset:1120
	v_add_f64 v[99:100], v[99:100], v[125:126]
	v_add_f64 v[2:3], v[2:3], v[119:120]
	s_waitcnt vmcnt(37) lgkmcnt(1)
	v_mul_f64 v[125:126], v[89:90], v[146:147]
	s_waitcnt vmcnt(36)
	v_fma_f64 v[123:124], v[83:84], v[142:143], -v[123:124]
	v_mul_f64 v[119:120], v[87:88], v[146:147]
	v_fma_f64 v[111:112], v[85:86], v[142:143], v[111:112]
	ds_read_b128 v[83:86], v1 offset:1136
	v_add_f64 v[99:100], v[99:100], v[117:118]
	s_waitcnt vmcnt(35) lgkmcnt(1)
	v_mul_f64 v[117:118], v[93:94], v[148:149]
	v_add_f64 v[2:3], v[2:3], v[113:114]
	s_waitcnt vmcnt(33)
	v_fma_f64 v[125:126], v[87:88], v[152:153], -v[125:126]
	v_mul_f64 v[113:114], v[91:92], v[148:149]
	v_fma_f64 v[119:120], v[89:90], v[152:153], v[119:120]
	ds_read_b128 v[87:90], v1 offset:1152
	v_add_f64 v[99:100], v[99:100], v[123:124]
	s_waitcnt vmcnt(29) lgkmcnt(1)
	v_mul_f64 v[123:124], v[85:86], v[156:157]
	v_add_f64 v[2:3], v[2:3], v[111:112]
	s_waitcnt vmcnt(28)
	v_fma_f64 v[117:118], v[91:92], v[150:151], -v[117:118]
	v_mul_f64 v[111:112], v[83:84], v[156:157]
	v_fma_f64 v[113:114], v[93:94], v[150:151], v[113:114]
	ds_read_b128 v[91:94], v1 offset:1168
	v_add_f64 v[99:100], v[99:100], v[125:126]
	v_add_f64 v[2:3], v[2:3], v[119:120]
	s_waitcnt vmcnt(27) lgkmcnt(1)
	v_mul_f64 v[125:126], v[89:90], v[158:159]
	v_mul_f64 v[119:120], v[87:88], v[158:159]
	s_waitcnt vmcnt(25)
	v_fma_f64 v[123:124], v[83:84], v[97:98], -v[123:124]
	v_fma_f64 v[97:98], v[85:86], v[97:98], v[111:112]
	ds_read_b128 v[83:86], v1 offset:1184
	s_waitcnt vmcnt(21) lgkmcnt(1)
	v_mul_f64 v[111:112], v[91:92], v[101:102]
	v_mul_f64 v[101:102], v[93:94], v[101:102]
	v_add_f64 v[99:100], v[99:100], v[117:118]
	v_add_f64 v[2:3], v[2:3], v[113:114]
	s_waitcnt vmcnt(20)
	v_fma_f64 v[113:114], v[87:88], v[160:161], -v[125:126]
	v_fma_f64 v[117:118], v[89:90], v[160:161], v[119:120]
	ds_read_b128 v[87:90], v1 offset:1200
	v_add_f64 v[99:100], v[99:100], v[123:124]
	v_add_f64 v[2:3], v[2:3], v[97:98]
	s_waitcnt vmcnt(19) lgkmcnt(1)
	v_mul_f64 v[119:120], v[85:86], v[162:163]
	v_mul_f64 v[97:98], v[83:84], v[162:163]
	s_waitcnt vmcnt(17)
	v_fma_f64 v[101:102], v[91:92], v[95:96], -v[101:102]
	v_fma_f64 v[95:96], v[93:94], v[95:96], v[111:112]
	ds_read_b128 v[91:94], v1 offset:1216
	v_add_f64 v[99:100], v[99:100], v[113:114]
	v_add_f64 v[2:3], v[2:3], v[117:118]
	s_waitcnt vmcnt(13) lgkmcnt(1)
	v_mul_f64 v[111:112], v[87:88], v[109:110]
	v_mul_f64 v[109:110], v[89:90], v[109:110]
	s_waitcnt vmcnt(12)
	v_fma_f64 v[83:84], v[83:84], v[167:168], -v[119:120]
	v_fma_f64 v[85:86], v[85:86], v[167:168], v[97:98]
	v_add_f64 v[99:100], v[99:100], v[101:102]
	v_add_f64 v[95:96], v[2:3], v[95:96]
	ds_read_b128 v[1:4], v1 offset:1232
	s_waitcnt vmcnt(11) lgkmcnt(1)
	v_mul_f64 v[101:102], v[93:94], v[154:155]
	v_mul_f64 v[97:98], v[91:92], v[154:155]
	s_waitcnt vmcnt(9)
	v_fma_f64 v[87:88], v[87:88], v[107:108], -v[109:110]
	v_fma_f64 v[89:90], v[89:90], v[107:108], v[111:112]
	v_add_f64 v[83:84], v[99:100], v[83:84]
	v_add_f64 v[85:86], v[95:96], v[85:86]
	s_waitcnt vmcnt(7) lgkmcnt(0)
	v_mul_f64 v[99:100], v[3:4], v[103:104]
	s_waitcnt vmcnt(6)
	v_fma_f64 v[91:92], v[91:92], v[169:170], -v[101:102]
	v_mul_f64 v[95:96], v[1:2], v[103:104]
	v_add_f64 v[83:84], v[83:84], v[87:88]
	v_fma_f64 v[87:88], v[93:94], v[169:170], v[97:98]
	v_add_f64 v[85:86], v[85:86], v[89:90]
	s_waitcnt vmcnt(4)
	v_fma_f64 v[1:2], v[1:2], v[105:106], -v[99:100]
	v_fma_f64 v[3:4], v[3:4], v[105:106], v[95:96]
	v_add_f64 v[83:84], v[83:84], v[91:92]
	v_add_f64 v[85:86], v[85:86], v[87:88]
	;; [unrolled: 1-line block ×4, first 2 shown]
	s_waitcnt vmcnt(2)
	v_add_f64 v[1:2], v[115:116], -v[1:2]
	s_waitcnt vmcnt(0)
	v_add_f64 v[3:4], v[121:122], -v[3:4]
	buffer_store_dword v2, off, s[0:3], 0 offset:276
	buffer_store_dword v1, off, s[0:3], 0 offset:272
	;; [unrolled: 1-line block ×4, first 2 shown]
	v_cmpx_lt_u32_e32 15, v0
	s_cbranch_execz .LBB102_217
; %bb.216:
	v_mov_b32_e32 v4, s36
	v_mov_b32_e32 v83, 0
	s_clause 0x3
	buffer_load_dword v1, v4, s[0:3], 0 offen
	buffer_load_dword v2, v4, s[0:3], 0 offen offset:4
	buffer_load_dword v3, v4, s[0:3], 0 offen offset:8
	buffer_load_dword v4, v4, s[0:3], 0 offen offset:12
	buffer_store_dword v83, off, s[0:3], 0 offset:256
	buffer_store_dword v83, off, s[0:3], 0 offset:260
	;; [unrolled: 1-line block ×4, first 2 shown]
	s_waitcnt vmcnt(0)
	ds_write_b128 v139, v[1:4]
.LBB102_217:
	s_or_b32 exec_lo, exec_lo, s4
	s_waitcnt lgkmcnt(0)
	s_waitcnt_vscnt null, 0x0
	s_barrier
	buffer_gl0_inv
	s_clause 0x37
	buffer_load_dword v2, off, s[0:3], 0 offset:280
	buffer_load_dword v3, off, s[0:3], 0 offset:284
	;; [unrolled: 1-line block ×56, first 2 shown]
	v_mov_b32_e32 v1, 0
	s_mov_b32 s4, exec_lo
	ds_read_b128 v[83:86], v1 offset:880
	s_clause 0x2
	buffer_load_dword v149, off, s[0:3], 0 offset:508
	buffer_load_dword v153, off, s[0:3], 0 offset:484
	;; [unrolled: 1-line block ×3, first 2 shown]
	ds_read_b128 v[87:90], v1 offset:896
	s_clause 0x4
	buffer_load_dword v157, off, s[0:3], 0 offset:524
	buffer_load_dword v158, off, s[0:3], 0 offset:536
	;; [unrolled: 1-line block ×5, first 2 shown]
	ds_read_b128 v[91:94], v1 offset:912
	s_waitcnt vmcnt(62) lgkmcnt(2)
	v_mul_f64 v[154:155], v[85:86], v[2:3]
	v_mul_f64 v[2:3], v[83:84], v[2:3]
	s_waitcnt vmcnt(60) lgkmcnt(1)
	v_mul_f64 v[161:162], v[89:90], v[95:96]
	v_mul_f64 v[95:96], v[87:88], v[95:96]
	;; [unrolled: 3-line block ×3, first 2 shown]
	v_fma_f64 v[154:155], v[83:84], v[97:98], -v[154:155]
	v_fma_f64 v[2:3], v[85:86], v[97:98], v[2:3]
	s_clause 0x2
	buffer_load_dword v159, off, s[0:3], 0 offset:540
	buffer_load_dword v98, off, s[0:3], 0 offset:516
	;; [unrolled: 1-line block ×3, first 2 shown]
	s_waitcnt vmcnt(57)
	v_fma_f64 v[165:166], v[87:88], v[101:102], -v[161:162]
	ds_read_b128 v[83:86], v1 offset:928
	v_fma_f64 v[95:96], v[89:90], v[101:102], v[95:96]
	s_clause 0x4
	buffer_load_dword v102, off, s[0:3], 0 offset:556
	buffer_load_dword v162, off, s[0:3], 0 offset:568
	;; [unrolled: 1-line block ×5, first 2 shown]
	s_waitcnt vmcnt(56)
	v_fma_f64 v[99:100], v[91:92], v[109:110], -v[99:100]
	ds_read_b128 v[87:90], v1 offset:944
	v_fma_f64 v[109:110], v[93:94], v[109:110], v[163:164]
	v_add_f64 v[154:155], v[154:155], 0
	v_add_f64 v[2:3], v[2:3], 0
	s_waitcnt lgkmcnt(1)
	v_mul_f64 v[168:169], v[83:84], v[103:104]
	v_mul_f64 v[103:104], v[85:86], v[103:104]
	v_add_f64 v[154:155], v[154:155], v[165:166]
	v_add_f64 v[2:3], v[2:3], v[95:96]
	s_clause 0x2
	buffer_load_dword v163, off, s[0:3], 0 offset:572
	buffer_load_dword v96, off, s[0:3], 0 offset:548
	;; [unrolled: 1-line block ×3, first 2 shown]
	s_waitcnt vmcnt(58) lgkmcnt(0)
	v_mul_f64 v[164:165], v[87:88], v[105:106]
	v_mul_f64 v[105:106], v[89:90], v[105:106]
	s_waitcnt vmcnt(56)
	v_fma_f64 v[103:104], v[83:84], v[111:112], -v[103:104]
	ds_read_b128 v[91:94], v1 offset:960
	v_fma_f64 v[111:112], v[85:86], v[111:112], v[168:169]
	v_add_f64 v[99:100], v[154:155], v[99:100]
	v_add_f64 v[2:3], v[2:3], v[109:110]
	s_clause 0x4
	buffer_load_dword v110, off, s[0:3], 0 offset:588
	buffer_load_dword v154, off, s[0:3], 0 offset:600
	;; [unrolled: 1-line block ×5, first 2 shown]
	ds_read_b128 v[83:86], v1 offset:976
	s_waitcnt vmcnt(57) lgkmcnt(1)
	v_mul_f64 v[170:171], v[91:92], v[113:114]
	v_mul_f64 v[113:114], v[93:94], v[113:114]
	s_waitcnt vmcnt(56)
	v_fma_f64 v[105:106], v[87:88], v[107:108], -v[105:106]
	v_add_f64 v[99:100], v[99:100], v[103:104]
	v_fma_f64 v[103:104], v[89:90], v[107:108], v[164:165]
	v_add_f64 v[2:3], v[2:3], v[111:112]
	s_clause 0x2
	buffer_load_dword v155, off, s[0:3], 0 offset:604
	buffer_load_dword v108, off, s[0:3], 0 offset:580
	;; [unrolled: 1-line block ×3, first 2 shown]
	s_waitcnt vmcnt(58) lgkmcnt(0)
	v_mul_f64 v[111:112], v[83:84], v[115:116]
	v_mul_f64 v[115:116], v[85:86], v[115:116]
	s_waitcnt vmcnt(56)
	v_fma_f64 v[113:114], v[91:92], v[119:120], -v[113:114]
	ds_read_b128 v[87:90], v1 offset:992
	v_add_f64 v[99:100], v[99:100], v[105:106]
	v_fma_f64 v[105:106], v[93:94], v[119:120], v[170:171]
	v_add_f64 v[2:3], v[2:3], v[103:104]
	s_clause 0x4
	buffer_load_dword v104, off, s[0:3], 0 offset:620
	buffer_load_dword v119, off, s[0:3], 0 offset:632
	;; [unrolled: 1-line block ×5, first 2 shown]
	ds_read_b128 v[91:94], v1 offset:1008
	s_waitcnt vmcnt(57) lgkmcnt(1)
	v_mul_f64 v[165:166], v[87:88], v[121:122]
	v_mul_f64 v[121:122], v[89:90], v[121:122]
	s_waitcnt vmcnt(56)
	v_fma_f64 v[115:116], v[83:84], v[117:118], -v[115:116]
	v_fma_f64 v[111:112], v[85:86], v[117:118], v[111:112]
	v_add_f64 v[99:100], v[99:100], v[113:114]
	v_add_f64 v[2:3], v[2:3], v[105:106]
	s_clause 0x2
	buffer_load_dword v120, off, s[0:3], 0 offset:636
	buffer_load_dword v106, off, s[0:3], 0 offset:612
	;; [unrolled: 1-line block ×3, first 2 shown]
	s_waitcnt vmcnt(58) lgkmcnt(0)
	v_mul_f64 v[117:118], v[93:94], v[123:124]
	ds_read_b128 v[83:86], v1 offset:1024
	s_waitcnt vmcnt(56)
	v_fma_f64 v[121:122], v[87:88], v[127:128], -v[121:122]
	v_mul_f64 v[113:114], v[91:92], v[123:124]
	v_add_f64 v[99:100], v[99:100], v[115:116]
	v_fma_f64 v[115:116], v[89:90], v[127:128], v[165:166]
	v_add_f64 v[2:3], v[2:3], v[111:112]
	buffer_load_dword v165, off, s[0:3], 0 offset:628
	ds_read_b128 v[87:90], v1 offset:1040
	s_waitcnt vmcnt(53) lgkmcnt(1)
	v_mul_f64 v[123:124], v[85:86], v[129:130]
	s_waitcnt vmcnt(52)
	v_fma_f64 v[117:118], v[91:92], v[125:126], -v[117:118]
	v_mul_f64 v[111:112], v[83:84], v[129:130]
	v_fma_f64 v[113:114], v[93:94], v[125:126], v[113:114]
	ds_read_b128 v[91:94], v1 offset:1056
	v_add_f64 v[99:100], v[99:100], v[121:122]
	v_add_f64 v[2:3], v[2:3], v[115:116]
	s_waitcnt vmcnt(51) lgkmcnt(1)
	v_mul_f64 v[121:122], v[89:90], v[131:132]
	v_mul_f64 v[115:116], v[87:88], v[131:132]
	s_waitcnt vmcnt(49)
	v_fma_f64 v[123:124], v[83:84], v[135:136], -v[123:124]
	v_fma_f64 v[111:112], v[85:86], v[135:136], v[111:112]
	s_waitcnt vmcnt(45) lgkmcnt(0)
	v_mul_f64 v[127:128], v[93:94], v[137:138]
	v_mul_f64 v[125:126], v[91:92], v[137:138]
	v_add_f64 v[99:100], v[99:100], v[117:118]
	v_add_f64 v[2:3], v[2:3], v[113:114]
	s_clause 0x3
	buffer_load_dword v113, off, s[0:3], 0 offset:256
	buffer_load_dword v114, off, s[0:3], 0 offset:260
	;; [unrolled: 1-line block ×4, first 2 shown]
	s_waitcnt vmcnt(48)
	v_fma_f64 v[121:122], v[87:88], v[133:134], -v[121:122]
	ds_read_b128 v[83:86], v1 offset:1072
	v_fma_f64 v[115:116], v[89:90], v[133:134], v[115:116]
	ds_read_b128 v[87:90], v1 offset:1088
	s_waitcnt vmcnt(45)
	v_fma_f64 v[127:128], v[91:92], v[144:145], -v[127:128]
	v_add_f64 v[99:100], v[99:100], v[123:124]
	v_add_f64 v[2:3], v[2:3], v[111:112]
	s_waitcnt lgkmcnt(1)
	v_mul_f64 v[123:124], v[85:86], v[140:141]
	v_mul_f64 v[111:112], v[83:84], v[140:141]
	v_add_f64 v[99:100], v[99:100], v[121:122]
	v_fma_f64 v[121:122], v[93:94], v[144:145], v[125:126]
	v_add_f64 v[2:3], v[2:3], v[115:116]
	s_waitcnt vmcnt(41) lgkmcnt(0)
	v_mul_f64 v[125:126], v[89:90], v[146:147]
	s_waitcnt vmcnt(40)
	v_fma_f64 v[123:124], v[83:84], v[142:143], -v[123:124]
	ds_read_b128 v[91:94], v1 offset:1104
	v_mul_f64 v[115:116], v[87:88], v[146:147]
	v_fma_f64 v[111:112], v[85:86], v[142:143], v[111:112]
	ds_read_b128 v[83:86], v1 offset:1120
	v_add_f64 v[99:100], v[99:100], v[127:128]
	v_add_f64 v[2:3], v[2:3], v[121:122]
	s_waitcnt vmcnt(39) lgkmcnt(1)
	v_mul_f64 v[127:128], v[93:94], v[148:149]
	s_waitcnt vmcnt(37)
	v_fma_f64 v[125:126], v[87:88], v[152:153], -v[125:126]
	v_mul_f64 v[121:122], v[91:92], v[148:149]
	v_fma_f64 v[115:116], v[89:90], v[152:153], v[115:116]
	ds_read_b128 v[87:90], v1 offset:1136
	v_add_f64 v[99:100], v[99:100], v[123:124]
	s_waitcnt vmcnt(33) lgkmcnt(1)
	v_mul_f64 v[123:124], v[85:86], v[156:157]
	v_add_f64 v[2:3], v[2:3], v[111:112]
	s_waitcnt vmcnt(32)
	v_fma_f64 v[127:128], v[91:92], v[150:151], -v[127:128]
	v_mul_f64 v[111:112], v[83:84], v[156:157]
	v_fma_f64 v[121:122], v[93:94], v[150:151], v[121:122]
	ds_read_b128 v[91:94], v1 offset:1152
	v_add_f64 v[99:100], v[99:100], v[125:126]
	v_add_f64 v[2:3], v[2:3], v[115:116]
	s_waitcnt vmcnt(31) lgkmcnt(1)
	v_mul_f64 v[125:126], v[89:90], v[158:159]
	v_mul_f64 v[115:116], v[87:88], v[158:159]
	s_waitcnt vmcnt(29)
	v_fma_f64 v[123:124], v[83:84], v[97:98], -v[123:124]
	v_fma_f64 v[97:98], v[85:86], v[97:98], v[111:112]
	ds_read_b128 v[83:86], v1 offset:1168
	s_waitcnt vmcnt(25) lgkmcnt(1)
	v_mul_f64 v[111:112], v[91:92], v[101:102]
	v_mul_f64 v[101:102], v[93:94], v[101:102]
	v_add_f64 v[99:100], v[99:100], v[127:128]
	v_add_f64 v[2:3], v[2:3], v[121:122]
	s_waitcnt vmcnt(24)
	v_fma_f64 v[121:122], v[87:88], v[160:161], -v[125:126]
	v_fma_f64 v[115:116], v[89:90], v[160:161], v[115:116]
	ds_read_b128 v[87:90], v1 offset:1184
	v_add_f64 v[99:100], v[99:100], v[123:124]
	v_add_f64 v[2:3], v[2:3], v[97:98]
	s_waitcnt vmcnt(23) lgkmcnt(1)
	v_mul_f64 v[123:124], v[85:86], v[162:163]
	v_mul_f64 v[97:98], v[83:84], v[162:163]
	s_waitcnt vmcnt(21)
	v_fma_f64 v[101:102], v[91:92], v[95:96], -v[101:102]
	v_fma_f64 v[95:96], v[93:94], v[95:96], v[111:112]
	ds_read_b128 v[91:94], v1 offset:1200
	v_add_f64 v[99:100], v[99:100], v[121:122]
	v_add_f64 v[2:3], v[2:3], v[115:116]
	s_waitcnt vmcnt(17) lgkmcnt(1)
	v_mul_f64 v[111:112], v[87:88], v[109:110]
	v_mul_f64 v[109:110], v[89:90], v[109:110]
	;; [unrolled: 9-line block ×4, first 2 shown]
	s_waitcnt vmcnt(8)
	v_fma_f64 v[91:92], v[91:92], v[169:170], -v[101:102]
	v_fma_f64 v[93:94], v[93:94], v[169:170], v[95:96]
	v_add_f64 v[99:100], v[99:100], v[109:110]
	v_add_f64 v[2:3], v[2:3], v[107:108]
	s_waitcnt vmcnt(7) lgkmcnt(0)
	v_mul_f64 v[101:102], v[89:90], v[119:120]
	v_mul_f64 v[95:96], v[87:88], v[119:120]
	s_waitcnt vmcnt(5)
	v_fma_f64 v[83:84], v[83:84], v[105:106], -v[103:104]
	v_fma_f64 v[85:86], v[85:86], v[105:106], v[97:98]
	v_add_f64 v[91:92], v[99:100], v[91:92]
	v_add_f64 v[2:3], v[2:3], v[93:94]
	s_waitcnt vmcnt(4)
	v_fma_f64 v[87:88], v[87:88], v[164:165], -v[101:102]
	v_fma_f64 v[89:90], v[89:90], v[164:165], v[95:96]
	v_add_f64 v[83:84], v[91:92], v[83:84]
	v_add_f64 v[2:3], v[2:3], v[85:86]
	;; [unrolled: 1-line block ×4, first 2 shown]
	s_waitcnt vmcnt(2)
	v_add_f64 v[83:84], v[113:114], -v[83:84]
	s_waitcnt vmcnt(0)
	v_add_f64 v[2:3], v[117:118], -v[2:3]
	buffer_store_dword v84, off, s[0:3], 0 offset:260
	buffer_store_dword v83, off, s[0:3], 0 offset:256
	;; [unrolled: 1-line block ×4, first 2 shown]
	v_cmpx_lt_u32_e32 14, v0
	s_cbranch_execz .LBB102_219
; %bb.218:
	v_mov_b32_e32 v2, s37
	s_clause 0x3
	buffer_load_dword v83, v2, s[0:3], 0 offen
	buffer_load_dword v84, v2, s[0:3], 0 offen offset:4
	buffer_load_dword v85, v2, s[0:3], 0 offen offset:8
	;; [unrolled: 1-line block ×3, first 2 shown]
	buffer_store_dword v1, off, s[0:3], 0 offset:240
	buffer_store_dword v1, off, s[0:3], 0 offset:244
	;; [unrolled: 1-line block ×4, first 2 shown]
	s_waitcnt vmcnt(0)
	ds_write_b128 v139, v[83:86]
.LBB102_219:
	s_or_b32 exec_lo, exec_lo, s4
	s_waitcnt lgkmcnt(0)
	s_waitcnt_vscnt null, 0x0
	s_barrier
	buffer_gl0_inv
	s_clause 0x37
	buffer_load_dword v2, off, s[0:3], 0 offset:264
	buffer_load_dword v3, off, s[0:3], 0 offset:268
	;; [unrolled: 1-line block ×56, first 2 shown]
	ds_read_b128 v[83:86], v1 offset:864
	s_clause 0x2
	buffer_load_dword v149, off, s[0:3], 0 offset:492
	buffer_load_dword v153, off, s[0:3], 0 offset:468
	;; [unrolled: 1-line block ×3, first 2 shown]
	ds_read_b128 v[87:90], v1 offset:880
	s_clause 0x4
	buffer_load_dword v157, off, s[0:3], 0 offset:508
	buffer_load_dword v158, off, s[0:3], 0 offset:520
	;; [unrolled: 1-line block ×5, first 2 shown]
	ds_read_b128 v[91:94], v1 offset:896
	s_mov_b32 s4, exec_lo
	s_waitcnt vmcnt(62) lgkmcnt(2)
	v_mul_f64 v[154:155], v[85:86], v[2:3]
	v_mul_f64 v[2:3], v[83:84], v[2:3]
	s_waitcnt vmcnt(60) lgkmcnt(1)
	v_mul_f64 v[161:162], v[89:90], v[95:96]
	v_mul_f64 v[95:96], v[87:88], v[95:96]
	;; [unrolled: 3-line block ×3, first 2 shown]
	v_fma_f64 v[154:155], v[83:84], v[97:98], -v[154:155]
	v_fma_f64 v[2:3], v[85:86], v[97:98], v[2:3]
	s_clause 0x2
	buffer_load_dword v159, off, s[0:3], 0 offset:524
	buffer_load_dword v98, off, s[0:3], 0 offset:500
	;; [unrolled: 1-line block ×3, first 2 shown]
	s_waitcnt vmcnt(57)
	v_fma_f64 v[165:166], v[87:88], v[101:102], -v[161:162]
	ds_read_b128 v[83:86], v1 offset:912
	v_fma_f64 v[95:96], v[89:90], v[101:102], v[95:96]
	s_clause 0x4
	buffer_load_dword v102, off, s[0:3], 0 offset:540
	buffer_load_dword v162, off, s[0:3], 0 offset:552
	;; [unrolled: 1-line block ×5, first 2 shown]
	s_waitcnt vmcnt(56)
	v_fma_f64 v[99:100], v[91:92], v[109:110], -v[99:100]
	ds_read_b128 v[87:90], v1 offset:928
	v_fma_f64 v[109:110], v[93:94], v[109:110], v[163:164]
	v_add_f64 v[154:155], v[154:155], 0
	v_add_f64 v[2:3], v[2:3], 0
	s_waitcnt lgkmcnt(1)
	v_mul_f64 v[168:169], v[83:84], v[103:104]
	v_mul_f64 v[103:104], v[85:86], v[103:104]
	v_add_f64 v[154:155], v[154:155], v[165:166]
	v_add_f64 v[2:3], v[2:3], v[95:96]
	s_clause 0x2
	buffer_load_dword v163, off, s[0:3], 0 offset:556
	buffer_load_dword v96, off, s[0:3], 0 offset:532
	;; [unrolled: 1-line block ×3, first 2 shown]
	s_waitcnt vmcnt(58) lgkmcnt(0)
	v_mul_f64 v[164:165], v[87:88], v[105:106]
	v_mul_f64 v[105:106], v[89:90], v[105:106]
	s_waitcnt vmcnt(56)
	v_fma_f64 v[103:104], v[83:84], v[111:112], -v[103:104]
	ds_read_b128 v[91:94], v1 offset:944
	v_fma_f64 v[111:112], v[85:86], v[111:112], v[168:169]
	v_add_f64 v[99:100], v[154:155], v[99:100]
	v_add_f64 v[2:3], v[2:3], v[109:110]
	s_clause 0x4
	buffer_load_dword v110, off, s[0:3], 0 offset:572
	buffer_load_dword v154, off, s[0:3], 0 offset:584
	;; [unrolled: 1-line block ×5, first 2 shown]
	ds_read_b128 v[83:86], v1 offset:960
	s_waitcnt vmcnt(57) lgkmcnt(1)
	v_mul_f64 v[170:171], v[91:92], v[113:114]
	v_mul_f64 v[113:114], v[93:94], v[113:114]
	s_waitcnt vmcnt(56)
	v_fma_f64 v[105:106], v[87:88], v[107:108], -v[105:106]
	v_add_f64 v[99:100], v[99:100], v[103:104]
	v_fma_f64 v[103:104], v[89:90], v[107:108], v[164:165]
	v_add_f64 v[2:3], v[2:3], v[111:112]
	s_clause 0x2
	buffer_load_dword v155, off, s[0:3], 0 offset:588
	buffer_load_dword v108, off, s[0:3], 0 offset:564
	buffer_load_dword v107, off, s[0:3], 0 offset:560
	s_waitcnt vmcnt(58) lgkmcnt(0)
	v_mul_f64 v[111:112], v[83:84], v[115:116]
	v_mul_f64 v[115:116], v[85:86], v[115:116]
	s_waitcnt vmcnt(56)
	v_fma_f64 v[113:114], v[91:92], v[119:120], -v[113:114]
	ds_read_b128 v[87:90], v1 offset:976
	v_add_f64 v[99:100], v[99:100], v[105:106]
	v_fma_f64 v[105:106], v[93:94], v[119:120], v[170:171]
	v_add_f64 v[2:3], v[2:3], v[103:104]
	s_clause 0x4
	buffer_load_dword v104, off, s[0:3], 0 offset:604
	buffer_load_dword v119, off, s[0:3], 0 offset:616
	;; [unrolled: 1-line block ×5, first 2 shown]
	ds_read_b128 v[91:94], v1 offset:992
	s_waitcnt vmcnt(57) lgkmcnt(1)
	v_mul_f64 v[165:166], v[87:88], v[121:122]
	v_mul_f64 v[121:122], v[89:90], v[121:122]
	s_waitcnt vmcnt(56)
	v_fma_f64 v[115:116], v[83:84], v[117:118], -v[115:116]
	v_fma_f64 v[111:112], v[85:86], v[117:118], v[111:112]
	v_add_f64 v[99:100], v[99:100], v[113:114]
	v_add_f64 v[2:3], v[2:3], v[105:106]
	s_clause 0x2
	buffer_load_dword v120, off, s[0:3], 0 offset:620
	buffer_load_dword v106, off, s[0:3], 0 offset:596
	;; [unrolled: 1-line block ×3, first 2 shown]
	s_waitcnt vmcnt(58) lgkmcnt(0)
	v_mul_f64 v[117:118], v[93:94], v[123:124]
	ds_read_b128 v[83:86], v1 offset:1008
	s_waitcnt vmcnt(56)
	v_fma_f64 v[121:122], v[87:88], v[127:128], -v[121:122]
	v_mul_f64 v[113:114], v[91:92], v[123:124]
	v_add_f64 v[99:100], v[99:100], v[115:116]
	v_fma_f64 v[115:116], v[89:90], v[127:128], v[165:166]
	v_add_f64 v[2:3], v[2:3], v[111:112]
	s_clause 0x2
	buffer_load_dword v112, off, s[0:3], 0 offset:636
	buffer_load_dword v111, off, s[0:3], 0 offset:632
	;; [unrolled: 1-line block ×3, first 2 shown]
	s_waitcnt vmcnt(55) lgkmcnt(0)
	v_mul_f64 v[127:128], v[85:86], v[129:130]
	s_waitcnt vmcnt(54)
	v_fma_f64 v[117:118], v[91:92], v[125:126], -v[117:118]
	ds_read_b128 v[87:90], v1 offset:1024
	v_mul_f64 v[123:124], v[83:84], v[129:130]
	v_fma_f64 v[113:114], v[93:94], v[125:126], v[113:114]
	v_add_f64 v[99:100], v[99:100], v[121:122]
	v_add_f64 v[2:3], v[2:3], v[115:116]
	s_clause 0x1
	buffer_load_dword v116, off, s[0:3], 0 offset:628
	buffer_load_dword v115, off, s[0:3], 0 offset:624
	s_waitcnt vmcnt(55) lgkmcnt(0)
	v_mul_f64 v[125:126], v[89:90], v[131:132]
	s_waitcnt vmcnt(53)
	v_fma_f64 v[127:128], v[83:84], v[135:136], -v[127:128]
	ds_read_b128 v[91:94], v1 offset:1040
	v_mul_f64 v[121:122], v[87:88], v[131:132]
	v_add_f64 v[99:100], v[99:100], v[117:118]
	v_fma_f64 v[117:118], v[85:86], v[135:136], v[123:124]
	v_add_f64 v[2:3], v[2:3], v[113:114]
	ds_read_b128 v[83:86], v1 offset:1056
	s_waitcnt vmcnt(49) lgkmcnt(1)
	v_mul_f64 v[123:124], v[93:94], v[137:138]
	s_waitcnt vmcnt(48)
	v_fma_f64 v[125:126], v[87:88], v[133:134], -v[125:126]
	v_mul_f64 v[113:114], v[91:92], v[137:138]
	v_fma_f64 v[121:122], v[89:90], v[133:134], v[121:122]
	v_add_f64 v[99:100], v[99:100], v[127:128]
	s_waitcnt vmcnt(47) lgkmcnt(0)
	v_mul_f64 v[131:132], v[85:86], v[140:141]
	v_add_f64 v[2:3], v[2:3], v[117:118]
	s_clause 0x3
	buffer_load_dword v117, off, s[0:3], 0 offset:240
	buffer_load_dword v118, off, s[0:3], 0 offset:244
	;; [unrolled: 1-line block ×4, first 2 shown]
	s_waitcnt vmcnt(49)
	v_fma_f64 v[123:124], v[91:92], v[144:145], -v[123:124]
	ds_read_b128 v[87:90], v1 offset:1072
	v_mul_f64 v[129:130], v[83:84], v[140:141]
	v_fma_f64 v[113:114], v[93:94], v[144:145], v[113:114]
	ds_read_b128 v[91:94], v1 offset:1088
	v_add_f64 v[99:100], v[99:100], v[125:126]
	s_waitcnt vmcnt(44)
	v_fma_f64 v[131:132], v[83:84], v[142:143], -v[131:132]
	v_add_f64 v[2:3], v[2:3], v[121:122]
	s_waitcnt lgkmcnt(1)
	v_mul_f64 v[125:126], v[89:90], v[146:147]
	v_mul_f64 v[121:122], v[87:88], v[146:147]
	v_add_f64 v[99:100], v[99:100], v[123:124]
	v_fma_f64 v[123:124], v[85:86], v[142:143], v[129:130]
	v_add_f64 v[2:3], v[2:3], v[113:114]
	s_waitcnt vmcnt(43) lgkmcnt(0)
	v_mul_f64 v[129:130], v[93:94], v[148:149]
	s_waitcnt vmcnt(41)
	v_fma_f64 v[125:126], v[87:88], v[152:153], -v[125:126]
	ds_read_b128 v[83:86], v1 offset:1104
	v_mul_f64 v[113:114], v[91:92], v[148:149]
	v_fma_f64 v[121:122], v[89:90], v[152:153], v[121:122]
	ds_read_b128 v[87:90], v1 offset:1120
	v_add_f64 v[99:100], v[99:100], v[131:132]
	v_add_f64 v[2:3], v[2:3], v[123:124]
	s_waitcnt vmcnt(37) lgkmcnt(1)
	v_mul_f64 v[131:132], v[85:86], v[156:157]
	s_waitcnt vmcnt(36)
	v_fma_f64 v[129:130], v[91:92], v[150:151], -v[129:130]
	v_mul_f64 v[123:124], v[83:84], v[156:157]
	v_fma_f64 v[113:114], v[93:94], v[150:151], v[113:114]
	ds_read_b128 v[91:94], v1 offset:1136
	v_add_f64 v[99:100], v[99:100], v[125:126]
	v_add_f64 v[2:3], v[2:3], v[121:122]
	s_waitcnt vmcnt(35) lgkmcnt(1)
	v_mul_f64 v[125:126], v[89:90], v[158:159]
	v_mul_f64 v[121:122], v[87:88], v[158:159]
	s_waitcnt vmcnt(33)
	v_fma_f64 v[131:132], v[83:84], v[97:98], -v[131:132]
	v_fma_f64 v[97:98], v[85:86], v[97:98], v[123:124]
	ds_read_b128 v[83:86], v1 offset:1152
	v_add_f64 v[99:100], v[99:100], v[129:130]
	v_add_f64 v[2:3], v[2:3], v[113:114]
	s_waitcnt vmcnt(29) lgkmcnt(1)
	v_mul_f64 v[113:114], v[91:92], v[101:102]
	v_mul_f64 v[101:102], v[93:94], v[101:102]
	s_waitcnt vmcnt(28)
	v_fma_f64 v[123:124], v[87:88], v[160:161], -v[125:126]
	v_fma_f64 v[121:122], v[89:90], v[160:161], v[121:122]
	ds_read_b128 v[87:90], v1 offset:1168
	v_add_f64 v[99:100], v[99:100], v[131:132]
	v_add_f64 v[2:3], v[2:3], v[97:98]
	s_waitcnt vmcnt(27) lgkmcnt(1)
	v_mul_f64 v[125:126], v[85:86], v[162:163]
	v_mul_f64 v[97:98], v[83:84], v[162:163]
	s_waitcnt vmcnt(25)
	v_fma_f64 v[101:102], v[91:92], v[95:96], -v[101:102]
	v_fma_f64 v[95:96], v[93:94], v[95:96], v[113:114]
	ds_read_b128 v[91:94], v1 offset:1184
	v_add_f64 v[99:100], v[99:100], v[123:124]
	v_add_f64 v[2:3], v[2:3], v[121:122]
	s_waitcnt vmcnt(21) lgkmcnt(1)
	v_mul_f64 v[113:114], v[87:88], v[109:110]
	v_mul_f64 v[109:110], v[89:90], v[109:110]
	s_waitcnt vmcnt(20)
	v_fma_f64 v[121:122], v[83:84], v[167:168], -v[125:126]
	v_fma_f64 v[97:98], v[85:86], v[167:168], v[97:98]
	ds_read_b128 v[83:86], v1 offset:1200
	v_add_f64 v[99:100], v[99:100], v[101:102]
	v_add_f64 v[2:3], v[2:3], v[95:96]
	s_waitcnt vmcnt(19) lgkmcnt(1)
	v_mul_f64 v[101:102], v[93:94], v[154:155]
	v_mul_f64 v[95:96], v[91:92], v[154:155]
	s_waitcnt vmcnt(17)
	v_fma_f64 v[109:110], v[87:88], v[107:108], -v[109:110]
	v_fma_f64 v[107:108], v[89:90], v[107:108], v[113:114]
	ds_read_b128 v[87:90], v1 offset:1216
	v_add_f64 v[99:100], v[99:100], v[121:122]
	v_add_f64 v[2:3], v[2:3], v[97:98]
	s_waitcnt vmcnt(13) lgkmcnt(1)
	v_mul_f64 v[97:98], v[83:84], v[103:104]
	v_mul_f64 v[103:104], v[85:86], v[103:104]
	s_waitcnt vmcnt(12)
	v_fma_f64 v[91:92], v[91:92], v[169:170], -v[101:102]
	v_fma_f64 v[93:94], v[93:94], v[169:170], v[95:96]
	v_add_f64 v[99:100], v[99:100], v[109:110]
	v_add_f64 v[95:96], v[2:3], v[107:108]
	ds_read_b128 v[1:4], v1 offset:1232
	s_waitcnt vmcnt(11) lgkmcnt(1)
	v_mul_f64 v[107:108], v[89:90], v[119:120]
	v_mul_f64 v[101:102], v[87:88], v[119:120]
	s_waitcnt vmcnt(9)
	v_fma_f64 v[83:84], v[83:84], v[105:106], -v[103:104]
	v_fma_f64 v[85:86], v[85:86], v[105:106], v[97:98]
	v_add_f64 v[91:92], v[99:100], v[91:92]
	v_add_f64 v[93:94], v[95:96], v[93:94]
	s_waitcnt vmcnt(7) lgkmcnt(0)
	v_mul_f64 v[97:98], v[3:4], v[111:112]
	s_waitcnt vmcnt(6)
	v_fma_f64 v[87:88], v[87:88], v[164:165], -v[107:108]
	v_mul_f64 v[95:96], v[1:2], v[111:112]
	v_fma_f64 v[89:90], v[89:90], v[164:165], v[101:102]
	v_add_f64 v[83:84], v[91:92], v[83:84]
	v_add_f64 v[85:86], v[93:94], v[85:86]
	s_waitcnt vmcnt(4)
	v_fma_f64 v[1:2], v[1:2], v[115:116], -v[97:98]
	v_fma_f64 v[3:4], v[3:4], v[115:116], v[95:96]
	v_add_f64 v[83:84], v[83:84], v[87:88]
	v_add_f64 v[85:86], v[85:86], v[89:90]
	;; [unrolled: 1-line block ×4, first 2 shown]
	s_waitcnt vmcnt(2)
	v_add_f64 v[1:2], v[117:118], -v[1:2]
	s_waitcnt vmcnt(0)
	v_add_f64 v[3:4], v[127:128], -v[3:4]
	buffer_store_dword v2, off, s[0:3], 0 offset:244
	buffer_store_dword v1, off, s[0:3], 0 offset:240
	buffer_store_dword v4, off, s[0:3], 0 offset:252
	buffer_store_dword v3, off, s[0:3], 0 offset:248
	v_cmpx_lt_u32_e32 13, v0
	s_cbranch_execz .LBB102_221
; %bb.220:
	v_mov_b32_e32 v4, s38
	v_mov_b32_e32 v83, 0
	s_clause 0x3
	buffer_load_dword v1, v4, s[0:3], 0 offen
	buffer_load_dword v2, v4, s[0:3], 0 offen offset:4
	buffer_load_dword v3, v4, s[0:3], 0 offen offset:8
	;; [unrolled: 1-line block ×3, first 2 shown]
	buffer_store_dword v83, off, s[0:3], 0 offset:224
	buffer_store_dword v83, off, s[0:3], 0 offset:228
	;; [unrolled: 1-line block ×4, first 2 shown]
	s_waitcnt vmcnt(0)
	ds_write_b128 v139, v[1:4]
.LBB102_221:
	s_or_b32 exec_lo, exec_lo, s4
	s_waitcnt lgkmcnt(0)
	s_waitcnt_vscnt null, 0x0
	s_barrier
	buffer_gl0_inv
	s_clause 0x37
	buffer_load_dword v2, off, s[0:3], 0 offset:248
	buffer_load_dword v3, off, s[0:3], 0 offset:252
	;; [unrolled: 1-line block ×56, first 2 shown]
	v_mov_b32_e32 v1, 0
	s_mov_b32 s4, exec_lo
	ds_read_b128 v[83:86], v1 offset:848
	s_clause 0x2
	buffer_load_dword v149, off, s[0:3], 0 offset:476
	buffer_load_dword v153, off, s[0:3], 0 offset:452
	;; [unrolled: 1-line block ×3, first 2 shown]
	ds_read_b128 v[87:90], v1 offset:864
	s_clause 0x4
	buffer_load_dword v157, off, s[0:3], 0 offset:492
	buffer_load_dword v158, off, s[0:3], 0 offset:504
	;; [unrolled: 1-line block ×5, first 2 shown]
	ds_read_b128 v[91:94], v1 offset:880
	s_waitcnt vmcnt(62) lgkmcnt(2)
	v_mul_f64 v[154:155], v[85:86], v[2:3]
	v_mul_f64 v[2:3], v[83:84], v[2:3]
	s_waitcnt vmcnt(60) lgkmcnt(1)
	v_mul_f64 v[161:162], v[89:90], v[95:96]
	v_mul_f64 v[95:96], v[87:88], v[95:96]
	;; [unrolled: 3-line block ×3, first 2 shown]
	v_fma_f64 v[154:155], v[83:84], v[97:98], -v[154:155]
	v_fma_f64 v[2:3], v[85:86], v[97:98], v[2:3]
	s_clause 0x2
	buffer_load_dword v159, off, s[0:3], 0 offset:508
	buffer_load_dword v98, off, s[0:3], 0 offset:484
	;; [unrolled: 1-line block ×3, first 2 shown]
	s_waitcnt vmcnt(57)
	v_fma_f64 v[165:166], v[87:88], v[101:102], -v[161:162]
	ds_read_b128 v[83:86], v1 offset:896
	v_fma_f64 v[95:96], v[89:90], v[101:102], v[95:96]
	s_clause 0x4
	buffer_load_dword v102, off, s[0:3], 0 offset:524
	buffer_load_dword v162, off, s[0:3], 0 offset:536
	;; [unrolled: 1-line block ×5, first 2 shown]
	s_waitcnt vmcnt(56)
	v_fma_f64 v[99:100], v[91:92], v[109:110], -v[99:100]
	ds_read_b128 v[87:90], v1 offset:912
	v_fma_f64 v[109:110], v[93:94], v[109:110], v[163:164]
	v_add_f64 v[154:155], v[154:155], 0
	v_add_f64 v[2:3], v[2:3], 0
	s_waitcnt lgkmcnt(1)
	v_mul_f64 v[168:169], v[83:84], v[103:104]
	v_mul_f64 v[103:104], v[85:86], v[103:104]
	v_add_f64 v[154:155], v[154:155], v[165:166]
	v_add_f64 v[2:3], v[2:3], v[95:96]
	s_clause 0x2
	buffer_load_dword v163, off, s[0:3], 0 offset:540
	buffer_load_dword v96, off, s[0:3], 0 offset:516
	;; [unrolled: 1-line block ×3, first 2 shown]
	s_waitcnt vmcnt(58) lgkmcnt(0)
	v_mul_f64 v[164:165], v[87:88], v[105:106]
	v_mul_f64 v[105:106], v[89:90], v[105:106]
	s_waitcnt vmcnt(56)
	v_fma_f64 v[103:104], v[83:84], v[111:112], -v[103:104]
	ds_read_b128 v[91:94], v1 offset:928
	v_fma_f64 v[111:112], v[85:86], v[111:112], v[168:169]
	v_add_f64 v[99:100], v[154:155], v[99:100]
	v_add_f64 v[2:3], v[2:3], v[109:110]
	s_clause 0x4
	buffer_load_dword v110, off, s[0:3], 0 offset:556
	buffer_load_dword v154, off, s[0:3], 0 offset:568
	;; [unrolled: 1-line block ×5, first 2 shown]
	ds_read_b128 v[83:86], v1 offset:944
	s_waitcnt vmcnt(57) lgkmcnt(1)
	v_mul_f64 v[170:171], v[91:92], v[113:114]
	v_mul_f64 v[113:114], v[93:94], v[113:114]
	s_waitcnt vmcnt(56)
	v_fma_f64 v[105:106], v[87:88], v[107:108], -v[105:106]
	v_add_f64 v[99:100], v[99:100], v[103:104]
	v_fma_f64 v[103:104], v[89:90], v[107:108], v[164:165]
	v_add_f64 v[2:3], v[2:3], v[111:112]
	s_clause 0x2
	buffer_load_dword v155, off, s[0:3], 0 offset:572
	buffer_load_dword v108, off, s[0:3], 0 offset:548
	buffer_load_dword v107, off, s[0:3], 0 offset:544
	s_waitcnt vmcnt(58) lgkmcnt(0)
	v_mul_f64 v[111:112], v[83:84], v[115:116]
	v_mul_f64 v[115:116], v[85:86], v[115:116]
	s_waitcnt vmcnt(56)
	v_fma_f64 v[113:114], v[91:92], v[119:120], -v[113:114]
	ds_read_b128 v[87:90], v1 offset:960
	v_add_f64 v[99:100], v[99:100], v[105:106]
	v_fma_f64 v[105:106], v[93:94], v[119:120], v[170:171]
	v_add_f64 v[2:3], v[2:3], v[103:104]
	s_clause 0x4
	buffer_load_dword v104, off, s[0:3], 0 offset:588
	buffer_load_dword v119, off, s[0:3], 0 offset:600
	buffer_load_dword v164, off, s[0:3], 0 offset:592
	buffer_load_dword v103, off, s[0:3], 0 offset:584
	buffer_load_dword v170, off, s[0:3], 0 offset:564
	ds_read_b128 v[91:94], v1 offset:976
	s_waitcnt vmcnt(57) lgkmcnt(1)
	v_mul_f64 v[165:166], v[87:88], v[121:122]
	v_mul_f64 v[121:122], v[89:90], v[121:122]
	s_waitcnt vmcnt(56)
	v_fma_f64 v[115:116], v[83:84], v[117:118], -v[115:116]
	v_fma_f64 v[111:112], v[85:86], v[117:118], v[111:112]
	v_add_f64 v[99:100], v[99:100], v[113:114]
	v_add_f64 v[2:3], v[2:3], v[105:106]
	s_clause 0x2
	buffer_load_dword v120, off, s[0:3], 0 offset:604
	buffer_load_dword v106, off, s[0:3], 0 offset:580
	;; [unrolled: 1-line block ×3, first 2 shown]
	s_waitcnt vmcnt(58) lgkmcnt(0)
	v_mul_f64 v[117:118], v[93:94], v[123:124]
	ds_read_b128 v[83:86], v1 offset:992
	s_waitcnt vmcnt(56)
	v_fma_f64 v[121:122], v[87:88], v[127:128], -v[121:122]
	v_mul_f64 v[113:114], v[91:92], v[123:124]
	v_add_f64 v[99:100], v[99:100], v[115:116]
	v_fma_f64 v[115:116], v[89:90], v[127:128], v[165:166]
	v_add_f64 v[2:3], v[2:3], v[111:112]
	s_clause 0x4
	buffer_load_dword v112, off, s[0:3], 0 offset:620
	buffer_load_dword v123, off, s[0:3], 0 offset:632
	;; [unrolled: 1-line block ×5, first 2 shown]
	s_waitcnt vmcnt(57) lgkmcnt(0)
	v_mul_f64 v[171:172], v[83:84], v[129:130]
	v_mul_f64 v[128:129], v[85:86], v[129:130]
	s_waitcnt vmcnt(56)
	v_fma_f64 v[117:118], v[91:92], v[125:126], -v[117:118]
	ds_read_b128 v[87:90], v1 offset:1008
	v_fma_f64 v[113:114], v[93:94], v[125:126], v[113:114]
	v_add_f64 v[99:100], v[99:100], v[121:122]
	v_add_f64 v[2:3], v[2:3], v[115:116]
	s_clause 0x2
	buffer_load_dword v124, off, s[0:3], 0 offset:636
	buffer_load_dword v116, off, s[0:3], 0 offset:612
	;; [unrolled: 1-line block ×3, first 2 shown]
	ds_read_b128 v[91:94], v1 offset:1024
	s_waitcnt vmcnt(58) lgkmcnt(1)
	v_mul_f64 v[125:126], v[89:90], v[131:132]
	s_waitcnt vmcnt(56)
	v_fma_f64 v[129:130], v[83:84], v[135:136], -v[128:129]
	v_mul_f64 v[121:122], v[87:88], v[131:132]
	buffer_load_dword v128, off, s[0:3], 0 offset:628
	v_add_f64 v[99:100], v[99:100], v[117:118]
	v_fma_f64 v[117:118], v[85:86], v[135:136], v[171:172]
	v_add_f64 v[2:3], v[2:3], v[113:114]
	ds_read_b128 v[83:86], v1 offset:1040
	s_waitcnt vmcnt(53) lgkmcnt(1)
	v_mul_f64 v[131:132], v[93:94], v[137:138]
	s_waitcnt vmcnt(52)
	v_fma_f64 v[125:126], v[87:88], v[133:134], -v[125:126]
	v_mul_f64 v[113:114], v[91:92], v[137:138]
	v_fma_f64 v[121:122], v[89:90], v[133:134], v[121:122]
	ds_read_b128 v[87:90], v1 offset:1056
	v_add_f64 v[99:100], v[99:100], v[129:130]
	s_waitcnt vmcnt(51) lgkmcnt(1)
	v_mul_f64 v[129:130], v[85:86], v[140:141]
	v_add_f64 v[2:3], v[2:3], v[117:118]
	v_mul_f64 v[117:118], v[83:84], v[140:141]
	s_waitcnt vmcnt(49)
	v_fma_f64 v[131:132], v[91:92], v[144:145], -v[131:132]
	v_fma_f64 v[113:114], v[93:94], v[144:145], v[113:114]
	s_waitcnt vmcnt(45) lgkmcnt(0)
	v_mul_f64 v[135:136], v[89:90], v[146:147]
	v_mul_f64 v[133:134], v[87:88], v[146:147]
	v_add_f64 v[99:100], v[99:100], v[125:126]
	s_waitcnt vmcnt(44)
	v_fma_f64 v[129:130], v[83:84], v[142:143], -v[129:130]
	v_add_f64 v[2:3], v[2:3], v[121:122]
	s_clause 0x3
	buffer_load_dword v121, off, s[0:3], 0 offset:224
	buffer_load_dword v122, off, s[0:3], 0 offset:228
	;; [unrolled: 1-line block ×4, first 2 shown]
	ds_read_b128 v[91:94], v1 offset:1072
	v_fma_f64 v[117:118], v[85:86], v[142:143], v[117:118]
	ds_read_b128 v[83:86], v1 offset:1088
	s_waitcnt vmcnt(45)
	v_fma_f64 v[135:136], v[87:88], v[152:153], -v[135:136]
	v_add_f64 v[99:100], v[99:100], v[131:132]
	v_add_f64 v[2:3], v[2:3], v[113:114]
	s_waitcnt lgkmcnt(1)
	v_mul_f64 v[131:132], v[93:94], v[148:149]
	v_mul_f64 v[113:114], v[91:92], v[148:149]
	v_add_f64 v[99:100], v[99:100], v[129:130]
	v_fma_f64 v[129:130], v[89:90], v[152:153], v[133:134]
	v_add_f64 v[2:3], v[2:3], v[117:118]
	s_waitcnt vmcnt(41) lgkmcnt(0)
	v_mul_f64 v[133:134], v[85:86], v[156:157]
	s_waitcnt vmcnt(40)
	v_fma_f64 v[131:132], v[91:92], v[150:151], -v[131:132]
	ds_read_b128 v[87:90], v1 offset:1104
	v_mul_f64 v[117:118], v[83:84], v[156:157]
	v_fma_f64 v[113:114], v[93:94], v[150:151], v[113:114]
	ds_read_b128 v[91:94], v1 offset:1120
	v_add_f64 v[99:100], v[99:100], v[135:136]
	v_add_f64 v[2:3], v[2:3], v[129:130]
	s_waitcnt vmcnt(39) lgkmcnt(1)
	v_mul_f64 v[135:136], v[89:90], v[158:159]
	v_mul_f64 v[129:130], v[87:88], v[158:159]
	s_waitcnt vmcnt(37)
	v_fma_f64 v[133:134], v[83:84], v[97:98], -v[133:134]
	v_fma_f64 v[97:98], v[85:86], v[97:98], v[117:118]
	ds_read_b128 v[83:86], v1 offset:1136
	v_add_f64 v[99:100], v[99:100], v[131:132]
	v_add_f64 v[2:3], v[2:3], v[113:114]
	s_waitcnt vmcnt(33) lgkmcnt(1)
	v_mul_f64 v[113:114], v[91:92], v[101:102]
	v_mul_f64 v[101:102], v[93:94], v[101:102]
	s_waitcnt vmcnt(32)
	v_fma_f64 v[117:118], v[87:88], v[160:161], -v[135:136]
	;; [unrolled: 9-line block ×7, first 2 shown]
	v_fma_f64 v[97:98], v[85:86], v[105:106], v[97:98]
	ds_read_b128 v[83:86], v1 offset:1232
	v_add_f64 v[99:100], v[99:100], v[101:102]
	v_add_f64 v[2:3], v[2:3], v[95:96]
	s_waitcnt vmcnt(9) lgkmcnt(1)
	v_mul_f64 v[101:102], v[93:94], v[111:112]
	s_waitcnt vmcnt(8)
	v_fma_f64 v[87:88], v[87:88], v[164:165], -v[109:110]
	v_mul_f64 v[95:96], v[91:92], v[111:112]
	v_fma_f64 v[89:90], v[89:90], v[164:165], v[107:108]
	v_add_f64 v[99:100], v[99:100], v[103:104]
	v_add_f64 v[2:3], v[2:3], v[97:98]
	s_waitcnt vmcnt(7) lgkmcnt(0)
	v_mul_f64 v[103:104], v[85:86], v[123:124]
	v_mul_f64 v[97:98], v[83:84], v[123:124]
	s_waitcnt vmcnt(5)
	v_fma_f64 v[91:92], v[91:92], v[115:116], -v[101:102]
	v_fma_f64 v[93:94], v[93:94], v[115:116], v[95:96]
	v_add_f64 v[87:88], v[99:100], v[87:88]
	v_add_f64 v[2:3], v[2:3], v[89:90]
	s_waitcnt vmcnt(4)
	v_fma_f64 v[83:84], v[83:84], v[127:128], -v[103:104]
	v_fma_f64 v[85:86], v[85:86], v[127:128], v[97:98]
	v_add_f64 v[87:88], v[87:88], v[91:92]
	v_add_f64 v[2:3], v[2:3], v[93:94]
	;; [unrolled: 1-line block ×4, first 2 shown]
	s_waitcnt vmcnt(2)
	v_add_f64 v[83:84], v[121:122], -v[83:84]
	s_waitcnt vmcnt(0)
	v_add_f64 v[2:3], v[125:126], -v[2:3]
	buffer_store_dword v84, off, s[0:3], 0 offset:228
	buffer_store_dword v83, off, s[0:3], 0 offset:224
	;; [unrolled: 1-line block ×4, first 2 shown]
	v_cmpx_lt_u32_e32 12, v0
	s_cbranch_execz .LBB102_223
; %bb.222:
	v_mov_b32_e32 v2, s39
	s_clause 0x3
	buffer_load_dword v83, v2, s[0:3], 0 offen
	buffer_load_dword v84, v2, s[0:3], 0 offen offset:4
	buffer_load_dword v85, v2, s[0:3], 0 offen offset:8
	;; [unrolled: 1-line block ×3, first 2 shown]
	buffer_store_dword v1, off, s[0:3], 0 offset:208
	buffer_store_dword v1, off, s[0:3], 0 offset:212
	;; [unrolled: 1-line block ×4, first 2 shown]
	s_waitcnt vmcnt(0)
	ds_write_b128 v139, v[83:86]
.LBB102_223:
	s_or_b32 exec_lo, exec_lo, s4
	s_waitcnt lgkmcnt(0)
	s_waitcnt_vscnt null, 0x0
	s_barrier
	buffer_gl0_inv
	s_clause 0x37
	buffer_load_dword v2, off, s[0:3], 0 offset:232
	buffer_load_dword v3, off, s[0:3], 0 offset:236
	;; [unrolled: 1-line block ×56, first 2 shown]
	ds_read_b128 v[83:86], v1 offset:832
	s_clause 0x2
	buffer_load_dword v149, off, s[0:3], 0 offset:460
	buffer_load_dword v153, off, s[0:3], 0 offset:436
	;; [unrolled: 1-line block ×3, first 2 shown]
	ds_read_b128 v[87:90], v1 offset:848
	s_clause 0x4
	buffer_load_dword v157, off, s[0:3], 0 offset:476
	buffer_load_dword v158, off, s[0:3], 0 offset:488
	;; [unrolled: 1-line block ×5, first 2 shown]
	ds_read_b128 v[91:94], v1 offset:864
	s_mov_b32 s4, exec_lo
	s_waitcnt vmcnt(62) lgkmcnt(2)
	v_mul_f64 v[154:155], v[85:86], v[2:3]
	v_mul_f64 v[2:3], v[83:84], v[2:3]
	s_waitcnt vmcnt(60) lgkmcnt(1)
	v_mul_f64 v[161:162], v[89:90], v[95:96]
	v_mul_f64 v[95:96], v[87:88], v[95:96]
	;; [unrolled: 3-line block ×3, first 2 shown]
	v_fma_f64 v[154:155], v[83:84], v[97:98], -v[154:155]
	v_fma_f64 v[2:3], v[85:86], v[97:98], v[2:3]
	s_clause 0x2
	buffer_load_dword v159, off, s[0:3], 0 offset:492
	buffer_load_dword v98, off, s[0:3], 0 offset:468
	;; [unrolled: 1-line block ×3, first 2 shown]
	s_waitcnt vmcnt(57)
	v_fma_f64 v[165:166], v[87:88], v[101:102], -v[161:162]
	ds_read_b128 v[83:86], v1 offset:880
	v_fma_f64 v[95:96], v[89:90], v[101:102], v[95:96]
	s_clause 0x4
	buffer_load_dword v102, off, s[0:3], 0 offset:508
	buffer_load_dword v162, off, s[0:3], 0 offset:520
	;; [unrolled: 1-line block ×5, first 2 shown]
	s_waitcnt vmcnt(56)
	v_fma_f64 v[99:100], v[91:92], v[109:110], -v[99:100]
	ds_read_b128 v[87:90], v1 offset:896
	v_fma_f64 v[109:110], v[93:94], v[109:110], v[163:164]
	v_add_f64 v[154:155], v[154:155], 0
	v_add_f64 v[2:3], v[2:3], 0
	s_waitcnt lgkmcnt(1)
	v_mul_f64 v[168:169], v[83:84], v[103:104]
	v_mul_f64 v[103:104], v[85:86], v[103:104]
	v_add_f64 v[154:155], v[154:155], v[165:166]
	v_add_f64 v[2:3], v[2:3], v[95:96]
	s_clause 0x2
	buffer_load_dword v163, off, s[0:3], 0 offset:524
	buffer_load_dword v96, off, s[0:3], 0 offset:500
	;; [unrolled: 1-line block ×3, first 2 shown]
	s_waitcnt vmcnt(58) lgkmcnt(0)
	v_mul_f64 v[164:165], v[87:88], v[105:106]
	v_mul_f64 v[105:106], v[89:90], v[105:106]
	s_waitcnt vmcnt(56)
	v_fma_f64 v[103:104], v[83:84], v[111:112], -v[103:104]
	ds_read_b128 v[91:94], v1 offset:912
	v_fma_f64 v[111:112], v[85:86], v[111:112], v[168:169]
	v_add_f64 v[99:100], v[154:155], v[99:100]
	v_add_f64 v[2:3], v[2:3], v[109:110]
	s_clause 0x4
	buffer_load_dword v110, off, s[0:3], 0 offset:540
	buffer_load_dword v154, off, s[0:3], 0 offset:552
	;; [unrolled: 1-line block ×5, first 2 shown]
	ds_read_b128 v[83:86], v1 offset:928
	s_waitcnt vmcnt(57) lgkmcnt(1)
	v_mul_f64 v[170:171], v[91:92], v[113:114]
	v_mul_f64 v[113:114], v[93:94], v[113:114]
	s_waitcnt vmcnt(56)
	v_fma_f64 v[105:106], v[87:88], v[107:108], -v[105:106]
	v_add_f64 v[99:100], v[99:100], v[103:104]
	v_fma_f64 v[103:104], v[89:90], v[107:108], v[164:165]
	v_add_f64 v[2:3], v[2:3], v[111:112]
	s_clause 0x2
	buffer_load_dword v155, off, s[0:3], 0 offset:556
	buffer_load_dword v108, off, s[0:3], 0 offset:532
	;; [unrolled: 1-line block ×3, first 2 shown]
	s_waitcnt vmcnt(58) lgkmcnt(0)
	v_mul_f64 v[111:112], v[83:84], v[115:116]
	v_mul_f64 v[115:116], v[85:86], v[115:116]
	s_waitcnt vmcnt(56)
	v_fma_f64 v[113:114], v[91:92], v[119:120], -v[113:114]
	ds_read_b128 v[87:90], v1 offset:944
	v_add_f64 v[99:100], v[99:100], v[105:106]
	v_fma_f64 v[105:106], v[93:94], v[119:120], v[170:171]
	v_add_f64 v[2:3], v[2:3], v[103:104]
	s_clause 0x4
	buffer_load_dword v104, off, s[0:3], 0 offset:572
	buffer_load_dword v119, off, s[0:3], 0 offset:584
	;; [unrolled: 1-line block ×5, first 2 shown]
	ds_read_b128 v[91:94], v1 offset:960
	s_waitcnt vmcnt(57) lgkmcnt(1)
	v_mul_f64 v[165:166], v[87:88], v[121:122]
	v_mul_f64 v[121:122], v[89:90], v[121:122]
	s_waitcnt vmcnt(56)
	v_fma_f64 v[115:116], v[83:84], v[117:118], -v[115:116]
	v_fma_f64 v[111:112], v[85:86], v[117:118], v[111:112]
	v_add_f64 v[99:100], v[99:100], v[113:114]
	v_add_f64 v[2:3], v[2:3], v[105:106]
	s_clause 0x2
	buffer_load_dword v120, off, s[0:3], 0 offset:588
	buffer_load_dword v106, off, s[0:3], 0 offset:564
	;; [unrolled: 1-line block ×3, first 2 shown]
	s_waitcnt vmcnt(58) lgkmcnt(0)
	v_mul_f64 v[117:118], v[93:94], v[123:124]
	ds_read_b128 v[83:86], v1 offset:976
	s_waitcnt vmcnt(56)
	v_fma_f64 v[121:122], v[87:88], v[127:128], -v[121:122]
	v_mul_f64 v[113:114], v[91:92], v[123:124]
	v_add_f64 v[99:100], v[99:100], v[115:116]
	v_fma_f64 v[115:116], v[89:90], v[127:128], v[165:166]
	v_add_f64 v[2:3], v[2:3], v[111:112]
	s_clause 0x4
	buffer_load_dword v112, off, s[0:3], 0 offset:604
	buffer_load_dword v123, off, s[0:3], 0 offset:616
	;; [unrolled: 1-line block ×5, first 2 shown]
	s_waitcnt vmcnt(57) lgkmcnt(0)
	v_mul_f64 v[171:172], v[83:84], v[129:130]
	v_mul_f64 v[128:129], v[85:86], v[129:130]
	s_waitcnt vmcnt(56)
	v_fma_f64 v[117:118], v[91:92], v[125:126], -v[117:118]
	ds_read_b128 v[87:90], v1 offset:992
	v_fma_f64 v[113:114], v[93:94], v[125:126], v[113:114]
	v_add_f64 v[99:100], v[99:100], v[121:122]
	v_add_f64 v[2:3], v[2:3], v[115:116]
	s_clause 0x2
	buffer_load_dword v124, off, s[0:3], 0 offset:620
	buffer_load_dword v116, off, s[0:3], 0 offset:596
	buffer_load_dword v115, off, s[0:3], 0 offset:592
	ds_read_b128 v[91:94], v1 offset:1008
	s_waitcnt vmcnt(58) lgkmcnt(1)
	v_mul_f64 v[125:126], v[89:90], v[131:132]
	s_waitcnt vmcnt(56)
	v_fma_f64 v[129:130], v[83:84], v[135:136], -v[128:129]
	v_mul_f64 v[121:122], v[87:88], v[131:132]
	v_add_f64 v[99:100], v[99:100], v[117:118]
	v_fma_f64 v[117:118], v[85:86], v[135:136], v[171:172]
	v_add_f64 v[2:3], v[2:3], v[113:114]
	s_clause 0x2
	buffer_load_dword v114, off, s[0:3], 0 offset:636
	buffer_load_dword v113, off, s[0:3], 0 offset:632
	buffer_load_dword v128, off, s[0:3], 0 offset:612
	s_waitcnt vmcnt(55) lgkmcnt(0)
	v_mul_f64 v[135:136], v[93:94], v[137:138]
	s_waitcnt vmcnt(54)
	v_fma_f64 v[125:126], v[87:88], v[133:134], -v[125:126]
	ds_read_b128 v[83:86], v1 offset:1024
	v_mul_f64 v[131:132], v[91:92], v[137:138]
	v_fma_f64 v[121:122], v[89:90], v[133:134], v[121:122]
	v_add_f64 v[99:100], v[99:100], v[129:130]
	v_add_f64 v[2:3], v[2:3], v[117:118]
	s_clause 0x1
	buffer_load_dword v118, off, s[0:3], 0 offset:628
	buffer_load_dword v117, off, s[0:3], 0 offset:624
	s_waitcnt vmcnt(55) lgkmcnt(0)
	v_mul_f64 v[133:134], v[85:86], v[140:141]
	s_waitcnt vmcnt(53)
	v_fma_f64 v[135:136], v[91:92], v[144:145], -v[135:136]
	ds_read_b128 v[87:90], v1 offset:1040
	v_mul_f64 v[129:130], v[83:84], v[140:141]
	v_add_f64 v[99:100], v[99:100], v[125:126]
	v_fma_f64 v[125:126], v[93:94], v[144:145], v[131:132]
	v_add_f64 v[2:3], v[2:3], v[121:122]
	ds_read_b128 v[91:94], v1 offset:1056
	s_waitcnt vmcnt(49) lgkmcnt(1)
	v_mul_f64 v[131:132], v[89:90], v[146:147]
	s_waitcnt vmcnt(48)
	v_fma_f64 v[133:134], v[83:84], v[142:143], -v[133:134]
	v_mul_f64 v[121:122], v[87:88], v[146:147]
	v_fma_f64 v[129:130], v[85:86], v[142:143], v[129:130]
	v_add_f64 v[99:100], v[99:100], v[135:136]
	s_waitcnt vmcnt(47) lgkmcnt(0)
	v_mul_f64 v[140:141], v[93:94], v[148:149]
	v_add_f64 v[2:3], v[2:3], v[125:126]
	s_clause 0x3
	buffer_load_dword v125, off, s[0:3], 0 offset:208
	buffer_load_dword v126, off, s[0:3], 0 offset:212
	;; [unrolled: 1-line block ×4, first 2 shown]
	s_waitcnt vmcnt(49)
	v_fma_f64 v[131:132], v[87:88], v[152:153], -v[131:132]
	ds_read_b128 v[83:86], v1 offset:1072
	v_mul_f64 v[137:138], v[91:92], v[148:149]
	v_fma_f64 v[121:122], v[89:90], v[152:153], v[121:122]
	ds_read_b128 v[87:90], v1 offset:1088
	v_add_f64 v[99:100], v[99:100], v[133:134]
	s_waitcnt vmcnt(44)
	v_fma_f64 v[140:141], v[91:92], v[150:151], -v[140:141]
	v_add_f64 v[2:3], v[2:3], v[129:130]
	s_waitcnt lgkmcnt(1)
	v_mul_f64 v[133:134], v[85:86], v[156:157]
	v_mul_f64 v[129:130], v[83:84], v[156:157]
	v_add_f64 v[99:100], v[99:100], v[131:132]
	v_fma_f64 v[131:132], v[93:94], v[150:151], v[137:138]
	v_add_f64 v[2:3], v[2:3], v[121:122]
	ds_read_b128 v[91:94], v1 offset:1104
	s_waitcnt vmcnt(43) lgkmcnt(1)
	v_mul_f64 v[137:138], v[89:90], v[158:159]
	v_mul_f64 v[121:122], v[87:88], v[158:159]
	s_waitcnt vmcnt(41)
	v_fma_f64 v[133:134], v[83:84], v[97:98], -v[133:134]
	v_fma_f64 v[97:98], v[85:86], v[97:98], v[129:130]
	ds_read_b128 v[83:86], v1 offset:1120
	v_add_f64 v[99:100], v[99:100], v[140:141]
	s_waitcnt vmcnt(37) lgkmcnt(1)
	v_mul_f64 v[129:130], v[91:92], v[101:102]
	v_add_f64 v[2:3], v[2:3], v[131:132]
	v_mul_f64 v[101:102], v[93:94], v[101:102]
	s_waitcnt vmcnt(36)
	v_fma_f64 v[131:132], v[87:88], v[160:161], -v[137:138]
	v_fma_f64 v[121:122], v[89:90], v[160:161], v[121:122]
	ds_read_b128 v[87:90], v1 offset:1136
	v_add_f64 v[99:100], v[99:100], v[133:134]
	v_add_f64 v[2:3], v[2:3], v[97:98]
	s_waitcnt vmcnt(35) lgkmcnt(1)
	v_mul_f64 v[133:134], v[85:86], v[162:163]
	v_mul_f64 v[97:98], v[83:84], v[162:163]
	s_waitcnt vmcnt(33)
	v_fma_f64 v[101:102], v[91:92], v[95:96], -v[101:102]
	v_fma_f64 v[95:96], v[93:94], v[95:96], v[129:130]
	ds_read_b128 v[91:94], v1 offset:1152
	v_add_f64 v[99:100], v[99:100], v[131:132]
	v_add_f64 v[2:3], v[2:3], v[121:122]
	s_waitcnt vmcnt(29) lgkmcnt(1)
	v_mul_f64 v[121:122], v[87:88], v[109:110]
	;; [unrolled: 9-line block ×6, first 2 shown]
	s_waitcnt vmcnt(12)
	v_fma_f64 v[87:88], v[87:88], v[164:165], -v[109:110]
	v_mul_f64 v[95:96], v[91:92], v[111:112]
	v_fma_f64 v[89:90], v[89:90], v[164:165], v[107:108]
	v_add_f64 v[99:100], v[99:100], v[103:104]
	v_add_f64 v[97:98], v[2:3], v[97:98]
	ds_read_b128 v[1:4], v1 offset:1232
	s_waitcnt vmcnt(11) lgkmcnt(1)
	v_mul_f64 v[105:106], v[85:86], v[123:124]
	v_mul_f64 v[103:104], v[83:84], v[123:124]
	s_waitcnt vmcnt(9)
	v_fma_f64 v[91:92], v[91:92], v[115:116], -v[101:102]
	v_fma_f64 v[93:94], v[93:94], v[115:116], v[95:96]
	v_add_f64 v[87:88], v[99:100], v[87:88]
	v_add_f64 v[89:90], v[97:98], v[89:90]
	s_waitcnt vmcnt(7) lgkmcnt(0)
	v_mul_f64 v[97:98], v[3:4], v[113:114]
	s_waitcnt vmcnt(6)
	v_fma_f64 v[83:84], v[83:84], v[127:128], -v[105:106]
	v_mul_f64 v[95:96], v[1:2], v[113:114]
	v_fma_f64 v[85:86], v[85:86], v[127:128], v[103:104]
	v_add_f64 v[87:88], v[87:88], v[91:92]
	v_add_f64 v[89:90], v[89:90], v[93:94]
	s_waitcnt vmcnt(4)
	v_fma_f64 v[1:2], v[1:2], v[117:118], -v[97:98]
	v_fma_f64 v[3:4], v[3:4], v[117:118], v[95:96]
	v_add_f64 v[83:84], v[87:88], v[83:84]
	v_add_f64 v[85:86], v[89:90], v[85:86]
	;; [unrolled: 1-line block ×4, first 2 shown]
	s_waitcnt vmcnt(2)
	v_add_f64 v[1:2], v[125:126], -v[1:2]
	s_waitcnt vmcnt(0)
	v_add_f64 v[3:4], v[135:136], -v[3:4]
	buffer_store_dword v2, off, s[0:3], 0 offset:212
	buffer_store_dword v1, off, s[0:3], 0 offset:208
	;; [unrolled: 1-line block ×4, first 2 shown]
	v_cmpx_lt_u32_e32 11, v0
	s_cbranch_execz .LBB102_225
; %bb.224:
	v_mov_b32_e32 v4, s40
	v_mov_b32_e32 v83, 0
	s_clause 0x3
	buffer_load_dword v1, v4, s[0:3], 0 offen
	buffer_load_dword v2, v4, s[0:3], 0 offen offset:4
	buffer_load_dword v3, v4, s[0:3], 0 offen offset:8
	;; [unrolled: 1-line block ×3, first 2 shown]
	buffer_store_dword v83, off, s[0:3], 0 offset:192
	buffer_store_dword v83, off, s[0:3], 0 offset:196
	;; [unrolled: 1-line block ×4, first 2 shown]
	s_waitcnt vmcnt(0)
	ds_write_b128 v139, v[1:4]
.LBB102_225:
	s_or_b32 exec_lo, exec_lo, s4
	s_waitcnt lgkmcnt(0)
	s_waitcnt_vscnt null, 0x0
	s_barrier
	buffer_gl0_inv
	s_clause 0x37
	buffer_load_dword v2, off, s[0:3], 0 offset:216
	buffer_load_dword v3, off, s[0:3], 0 offset:220
	;; [unrolled: 1-line block ×56, first 2 shown]
	v_mov_b32_e32 v1, 0
	s_mov_b32 s4, exec_lo
	ds_read_b128 v[83:86], v1 offset:816
	s_clause 0x2
	buffer_load_dword v149, off, s[0:3], 0 offset:444
	buffer_load_dword v153, off, s[0:3], 0 offset:420
	;; [unrolled: 1-line block ×3, first 2 shown]
	ds_read_b128 v[87:90], v1 offset:832
	s_clause 0x4
	buffer_load_dword v157, off, s[0:3], 0 offset:460
	buffer_load_dword v158, off, s[0:3], 0 offset:472
	;; [unrolled: 1-line block ×5, first 2 shown]
	ds_read_b128 v[91:94], v1 offset:848
	s_waitcnt vmcnt(62) lgkmcnt(2)
	v_mul_f64 v[154:155], v[85:86], v[2:3]
	v_mul_f64 v[2:3], v[83:84], v[2:3]
	s_waitcnt vmcnt(60) lgkmcnt(1)
	v_mul_f64 v[161:162], v[89:90], v[95:96]
	v_mul_f64 v[95:96], v[87:88], v[95:96]
	;; [unrolled: 3-line block ×3, first 2 shown]
	v_fma_f64 v[154:155], v[83:84], v[97:98], -v[154:155]
	v_fma_f64 v[2:3], v[85:86], v[97:98], v[2:3]
	s_clause 0x2
	buffer_load_dword v159, off, s[0:3], 0 offset:476
	buffer_load_dword v98, off, s[0:3], 0 offset:452
	;; [unrolled: 1-line block ×3, first 2 shown]
	s_waitcnt vmcnt(57)
	v_fma_f64 v[165:166], v[87:88], v[101:102], -v[161:162]
	ds_read_b128 v[83:86], v1 offset:864
	v_fma_f64 v[95:96], v[89:90], v[101:102], v[95:96]
	s_clause 0x4
	buffer_load_dword v102, off, s[0:3], 0 offset:492
	buffer_load_dword v162, off, s[0:3], 0 offset:504
	;; [unrolled: 1-line block ×5, first 2 shown]
	s_waitcnt vmcnt(56)
	v_fma_f64 v[99:100], v[91:92], v[109:110], -v[99:100]
	ds_read_b128 v[87:90], v1 offset:880
	v_fma_f64 v[109:110], v[93:94], v[109:110], v[163:164]
	v_add_f64 v[154:155], v[154:155], 0
	v_add_f64 v[2:3], v[2:3], 0
	s_waitcnt lgkmcnt(1)
	v_mul_f64 v[168:169], v[83:84], v[103:104]
	v_mul_f64 v[103:104], v[85:86], v[103:104]
	v_add_f64 v[154:155], v[154:155], v[165:166]
	v_add_f64 v[2:3], v[2:3], v[95:96]
	s_clause 0x2
	buffer_load_dword v163, off, s[0:3], 0 offset:508
	buffer_load_dword v96, off, s[0:3], 0 offset:484
	;; [unrolled: 1-line block ×3, first 2 shown]
	s_waitcnt vmcnt(58) lgkmcnt(0)
	v_mul_f64 v[164:165], v[87:88], v[105:106]
	v_mul_f64 v[105:106], v[89:90], v[105:106]
	s_waitcnt vmcnt(56)
	v_fma_f64 v[103:104], v[83:84], v[111:112], -v[103:104]
	ds_read_b128 v[91:94], v1 offset:896
	v_fma_f64 v[111:112], v[85:86], v[111:112], v[168:169]
	v_add_f64 v[99:100], v[154:155], v[99:100]
	v_add_f64 v[2:3], v[2:3], v[109:110]
	s_clause 0x4
	buffer_load_dword v110, off, s[0:3], 0 offset:524
	buffer_load_dword v154, off, s[0:3], 0 offset:536
	;; [unrolled: 1-line block ×5, first 2 shown]
	ds_read_b128 v[83:86], v1 offset:912
	s_waitcnt vmcnt(57) lgkmcnt(1)
	v_mul_f64 v[170:171], v[91:92], v[113:114]
	v_mul_f64 v[113:114], v[93:94], v[113:114]
	s_waitcnt vmcnt(56)
	v_fma_f64 v[105:106], v[87:88], v[107:108], -v[105:106]
	v_add_f64 v[99:100], v[99:100], v[103:104]
	v_fma_f64 v[103:104], v[89:90], v[107:108], v[164:165]
	v_add_f64 v[2:3], v[2:3], v[111:112]
	s_clause 0x2
	buffer_load_dword v155, off, s[0:3], 0 offset:540
	buffer_load_dword v108, off, s[0:3], 0 offset:516
	;; [unrolled: 1-line block ×3, first 2 shown]
	s_waitcnt vmcnt(58) lgkmcnt(0)
	v_mul_f64 v[111:112], v[83:84], v[115:116]
	v_mul_f64 v[115:116], v[85:86], v[115:116]
	s_waitcnt vmcnt(56)
	v_fma_f64 v[113:114], v[91:92], v[119:120], -v[113:114]
	ds_read_b128 v[87:90], v1 offset:928
	v_add_f64 v[99:100], v[99:100], v[105:106]
	v_fma_f64 v[105:106], v[93:94], v[119:120], v[170:171]
	v_add_f64 v[2:3], v[2:3], v[103:104]
	s_clause 0x4
	buffer_load_dword v104, off, s[0:3], 0 offset:556
	buffer_load_dword v119, off, s[0:3], 0 offset:568
	;; [unrolled: 1-line block ×5, first 2 shown]
	ds_read_b128 v[91:94], v1 offset:944
	s_waitcnt vmcnt(57) lgkmcnt(1)
	v_mul_f64 v[165:166], v[87:88], v[121:122]
	v_mul_f64 v[121:122], v[89:90], v[121:122]
	s_waitcnt vmcnt(56)
	v_fma_f64 v[115:116], v[83:84], v[117:118], -v[115:116]
	v_fma_f64 v[111:112], v[85:86], v[117:118], v[111:112]
	v_add_f64 v[99:100], v[99:100], v[113:114]
	v_add_f64 v[2:3], v[2:3], v[105:106]
	s_clause 0x2
	buffer_load_dword v120, off, s[0:3], 0 offset:572
	buffer_load_dword v106, off, s[0:3], 0 offset:548
	;; [unrolled: 1-line block ×3, first 2 shown]
	s_waitcnt vmcnt(58) lgkmcnt(0)
	v_mul_f64 v[117:118], v[93:94], v[123:124]
	ds_read_b128 v[83:86], v1 offset:960
	s_waitcnt vmcnt(56)
	v_fma_f64 v[121:122], v[87:88], v[127:128], -v[121:122]
	v_mul_f64 v[113:114], v[91:92], v[123:124]
	v_add_f64 v[99:100], v[99:100], v[115:116]
	v_fma_f64 v[115:116], v[89:90], v[127:128], v[165:166]
	v_add_f64 v[2:3], v[2:3], v[111:112]
	s_clause 0x4
	buffer_load_dword v112, off, s[0:3], 0 offset:588
	buffer_load_dword v123, off, s[0:3], 0 offset:600
	;; [unrolled: 1-line block ×5, first 2 shown]
	s_waitcnt vmcnt(57) lgkmcnt(0)
	v_mul_f64 v[171:172], v[83:84], v[129:130]
	v_mul_f64 v[128:129], v[85:86], v[129:130]
	s_waitcnt vmcnt(56)
	v_fma_f64 v[117:118], v[91:92], v[125:126], -v[117:118]
	ds_read_b128 v[87:90], v1 offset:976
	v_fma_f64 v[113:114], v[93:94], v[125:126], v[113:114]
	v_add_f64 v[99:100], v[99:100], v[121:122]
	v_add_f64 v[2:3], v[2:3], v[115:116]
	s_clause 0x2
	buffer_load_dword v124, off, s[0:3], 0 offset:604
	buffer_load_dword v116, off, s[0:3], 0 offset:580
	buffer_load_dword v115, off, s[0:3], 0 offset:576
	ds_read_b128 v[91:94], v1 offset:992
	s_waitcnt vmcnt(58) lgkmcnt(1)
	v_mul_f64 v[125:126], v[89:90], v[131:132]
	s_waitcnt vmcnt(56)
	v_fma_f64 v[129:130], v[83:84], v[135:136], -v[128:129]
	v_mul_f64 v[121:122], v[87:88], v[131:132]
	v_add_f64 v[99:100], v[99:100], v[117:118]
	v_fma_f64 v[117:118], v[85:86], v[135:136], v[171:172]
	v_add_f64 v[2:3], v[2:3], v[113:114]
	s_clause 0x4
	buffer_load_dword v114, off, s[0:3], 0 offset:620
	buffer_load_dword v131, off, s[0:3], 0 offset:632
	;; [unrolled: 1-line block ×5, first 2 shown]
	s_waitcnt vmcnt(57) lgkmcnt(0)
	v_mul_f64 v[171:172], v[91:92], v[137:138]
	v_mul_f64 v[136:137], v[93:94], v[137:138]
	s_waitcnt vmcnt(56)
	v_fma_f64 v[125:126], v[87:88], v[133:134], -v[125:126]
	ds_read_b128 v[83:86], v1 offset:1008
	v_fma_f64 v[121:122], v[89:90], v[133:134], v[121:122]
	v_add_f64 v[99:100], v[99:100], v[129:130]
	v_add_f64 v[2:3], v[2:3], v[117:118]
	s_clause 0x2
	buffer_load_dword v132, off, s[0:3], 0 offset:636
	buffer_load_dword v118, off, s[0:3], 0 offset:612
	;; [unrolled: 1-line block ×3, first 2 shown]
	ds_read_b128 v[87:90], v1 offset:1024
	s_waitcnt vmcnt(58) lgkmcnt(1)
	v_mul_f64 v[133:134], v[85:86], v[140:141]
	s_waitcnt vmcnt(56)
	v_fma_f64 v[137:138], v[91:92], v[144:145], -v[136:137]
	v_mul_f64 v[129:130], v[83:84], v[140:141]
	buffer_load_dword v136, off, s[0:3], 0 offset:628
	v_add_f64 v[99:100], v[99:100], v[125:126]
	v_fma_f64 v[125:126], v[93:94], v[144:145], v[171:172]
	v_add_f64 v[2:3], v[2:3], v[121:122]
	ds_read_b128 v[91:94], v1 offset:1040
	s_waitcnt vmcnt(53) lgkmcnt(1)
	v_mul_f64 v[140:141], v[89:90], v[146:147]
	s_waitcnt vmcnt(52)
	v_fma_f64 v[133:134], v[83:84], v[142:143], -v[133:134]
	v_mul_f64 v[121:122], v[87:88], v[146:147]
	v_fma_f64 v[129:130], v[85:86], v[142:143], v[129:130]
	ds_read_b128 v[83:86], v1 offset:1056
	v_add_f64 v[99:100], v[99:100], v[137:138]
	s_waitcnt vmcnt(51) lgkmcnt(1)
	v_mul_f64 v[137:138], v[93:94], v[148:149]
	v_add_f64 v[2:3], v[2:3], v[125:126]
	v_mul_f64 v[125:126], v[91:92], v[148:149]
	s_waitcnt vmcnt(49)
	v_fma_f64 v[140:141], v[87:88], v[152:153], -v[140:141]
	v_fma_f64 v[121:122], v[89:90], v[152:153], v[121:122]
	s_waitcnt vmcnt(45) lgkmcnt(0)
	v_mul_f64 v[144:145], v[85:86], v[156:157]
	v_mul_f64 v[142:143], v[83:84], v[156:157]
	v_add_f64 v[99:100], v[99:100], v[133:134]
	s_waitcnt vmcnt(44)
	v_fma_f64 v[137:138], v[91:92], v[150:151], -v[137:138]
	v_add_f64 v[2:3], v[2:3], v[129:130]
	s_clause 0x3
	buffer_load_dword v129, off, s[0:3], 0 offset:192
	buffer_load_dword v130, off, s[0:3], 0 offset:196
	buffer_load_dword v133, off, s[0:3], 0 offset:200
	buffer_load_dword v134, off, s[0:3], 0 offset:204
	ds_read_b128 v[87:90], v1 offset:1072
	v_fma_f64 v[125:126], v[93:94], v[150:151], v[125:126]
	ds_read_b128 v[91:94], v1 offset:1088
	v_add_f64 v[99:100], v[99:100], v[140:141]
	v_add_f64 v[2:3], v[2:3], v[121:122]
	s_waitcnt vmcnt(47) lgkmcnt(1)
	v_mul_f64 v[140:141], v[89:90], v[158:159]
	v_mul_f64 v[121:122], v[87:88], v[158:159]
	s_waitcnt vmcnt(45)
	v_fma_f64 v[144:145], v[83:84], v[97:98], -v[144:145]
	v_fma_f64 v[97:98], v[85:86], v[97:98], v[142:143]
	ds_read_b128 v[83:86], v1 offset:1104
	v_add_f64 v[99:100], v[99:100], v[137:138]
	v_add_f64 v[2:3], v[2:3], v[125:126]
	s_waitcnt vmcnt(41) lgkmcnt(1)
	v_mul_f64 v[125:126], v[91:92], v[101:102]
	v_mul_f64 v[101:102], v[93:94], v[101:102]
	s_waitcnt vmcnt(40)
	v_fma_f64 v[137:138], v[87:88], v[160:161], -v[140:141]
	v_fma_f64 v[121:122], v[89:90], v[160:161], v[121:122]
	ds_read_b128 v[87:90], v1 offset:1120
	v_add_f64 v[99:100], v[99:100], v[144:145]
	v_add_f64 v[2:3], v[2:3], v[97:98]
	s_waitcnt vmcnt(39) lgkmcnt(1)
	v_mul_f64 v[140:141], v[85:86], v[162:163]
	v_mul_f64 v[97:98], v[83:84], v[162:163]
	s_waitcnt vmcnt(37)
	v_fma_f64 v[101:102], v[91:92], v[95:96], -v[101:102]
	v_fma_f64 v[95:96], v[93:94], v[95:96], v[125:126]
	ds_read_b128 v[91:94], v1 offset:1136
	v_add_f64 v[99:100], v[99:100], v[137:138]
	v_add_f64 v[2:3], v[2:3], v[121:122]
	s_waitcnt vmcnt(33) lgkmcnt(1)
	v_mul_f64 v[121:122], v[87:88], v[109:110]
	v_mul_f64 v[109:110], v[89:90], v[109:110]
	s_waitcnt vmcnt(32)
	v_fma_f64 v[125:126], v[83:84], v[167:168], -v[140:141]
	v_fma_f64 v[97:98], v[85:86], v[167:168], v[97:98]
	ds_read_b128 v[83:86], v1 offset:1152
	v_add_f64 v[99:100], v[99:100], v[101:102]
	v_add_f64 v[2:3], v[2:3], v[95:96]
	s_waitcnt vmcnt(31) lgkmcnt(1)
	v_mul_f64 v[101:102], v[93:94], v[154:155]
	v_mul_f64 v[95:96], v[91:92], v[154:155]
	s_waitcnt vmcnt(29)
	v_fma_f64 v[109:110], v[87:88], v[107:108], -v[109:110]
	v_fma_f64 v[107:108], v[89:90], v[107:108], v[121:122]
	ds_read_b128 v[87:90], v1 offset:1168
	v_add_f64 v[99:100], v[99:100], v[125:126]
	v_add_f64 v[2:3], v[2:3], v[97:98]
	s_waitcnt vmcnt(25) lgkmcnt(1)
	v_mul_f64 v[97:98], v[83:84], v[103:104]
	v_mul_f64 v[103:104], v[85:86], v[103:104]
	s_waitcnt vmcnt(24)
	v_fma_f64 v[101:102], v[91:92], v[169:170], -v[101:102]
	v_fma_f64 v[95:96], v[93:94], v[169:170], v[95:96]
	ds_read_b128 v[91:94], v1 offset:1184
	v_add_f64 v[99:100], v[99:100], v[109:110]
	v_add_f64 v[2:3], v[2:3], v[107:108]
	s_waitcnt vmcnt(23) lgkmcnt(1)
	v_mul_f64 v[109:110], v[89:90], v[119:120]
	v_mul_f64 v[107:108], v[87:88], v[119:120]
	s_waitcnt vmcnt(21)
	v_fma_f64 v[103:104], v[83:84], v[105:106], -v[103:104]
	v_fma_f64 v[97:98], v[85:86], v[105:106], v[97:98]
	ds_read_b128 v[83:86], v1 offset:1200
	v_add_f64 v[99:100], v[99:100], v[101:102]
	v_add_f64 v[2:3], v[2:3], v[95:96]
	s_waitcnt vmcnt(17) lgkmcnt(1)
	v_mul_f64 v[101:102], v[93:94], v[111:112]
	s_waitcnt vmcnt(16)
	v_fma_f64 v[105:106], v[87:88], v[164:165], -v[109:110]
	v_mul_f64 v[95:96], v[91:92], v[111:112]
	v_add_f64 v[99:100], v[99:100], v[103:104]
	v_fma_f64 v[103:104], v[89:90], v[164:165], v[107:108]
	v_add_f64 v[2:3], v[2:3], v[97:98]
	ds_read_b128 v[87:90], v1 offset:1216
	s_waitcnt vmcnt(15) lgkmcnt(1)
	v_mul_f64 v[107:108], v[85:86], v[123:124]
	v_mul_f64 v[97:98], v[83:84], v[123:124]
	s_waitcnt vmcnt(13)
	v_fma_f64 v[101:102], v[91:92], v[115:116], -v[101:102]
	v_fma_f64 v[95:96], v[93:94], v[115:116], v[95:96]
	ds_read_b128 v[91:94], v1 offset:1232
	v_add_f64 v[99:100], v[99:100], v[105:106]
	v_add_f64 v[2:3], v[2:3], v[103:104]
	s_waitcnt vmcnt(9) lgkmcnt(1)
	v_mul_f64 v[105:106], v[89:90], v[113:114]
	s_waitcnt vmcnt(8)
	v_fma_f64 v[83:84], v[83:84], v[127:128], -v[107:108]
	v_mul_f64 v[103:104], v[87:88], v[113:114]
	v_fma_f64 v[85:86], v[85:86], v[127:128], v[97:98]
	v_add_f64 v[99:100], v[99:100], v[101:102]
	v_add_f64 v[2:3], v[2:3], v[95:96]
	s_waitcnt vmcnt(7) lgkmcnt(0)
	v_mul_f64 v[97:98], v[93:94], v[131:132]
	v_mul_f64 v[95:96], v[91:92], v[131:132]
	s_waitcnt vmcnt(5)
	v_fma_f64 v[87:88], v[87:88], v[117:118], -v[105:106]
	v_fma_f64 v[89:90], v[89:90], v[117:118], v[103:104]
	v_add_f64 v[83:84], v[99:100], v[83:84]
	v_add_f64 v[2:3], v[2:3], v[85:86]
	s_waitcnt vmcnt(4)
	v_fma_f64 v[85:86], v[91:92], v[135:136], -v[97:98]
	v_add_f64 v[83:84], v[83:84], v[87:88]
	v_fma_f64 v[87:88], v[93:94], v[135:136], v[95:96]
	v_add_f64 v[2:3], v[2:3], v[89:90]
	v_add_f64 v[83:84], v[83:84], v[85:86]
	;; [unrolled: 1-line block ×3, first 2 shown]
	s_waitcnt vmcnt(2)
	v_add_f64 v[83:84], v[129:130], -v[83:84]
	s_waitcnt vmcnt(0)
	v_add_f64 v[2:3], v[133:134], -v[2:3]
	buffer_store_dword v84, off, s[0:3], 0 offset:196
	buffer_store_dword v83, off, s[0:3], 0 offset:192
	;; [unrolled: 1-line block ×4, first 2 shown]
	v_cmpx_lt_u32_e32 10, v0
	s_cbranch_execz .LBB102_227
; %bb.226:
	v_mov_b32_e32 v2, s41
	s_clause 0x3
	buffer_load_dword v83, v2, s[0:3], 0 offen
	buffer_load_dword v84, v2, s[0:3], 0 offen offset:4
	buffer_load_dword v85, v2, s[0:3], 0 offen offset:8
	;; [unrolled: 1-line block ×3, first 2 shown]
	buffer_store_dword v1, off, s[0:3], 0 offset:176
	buffer_store_dword v1, off, s[0:3], 0 offset:180
	;; [unrolled: 1-line block ×4, first 2 shown]
	s_waitcnt vmcnt(0)
	ds_write_b128 v139, v[83:86]
.LBB102_227:
	s_or_b32 exec_lo, exec_lo, s4
	s_waitcnt lgkmcnt(0)
	s_waitcnt_vscnt null, 0x0
	s_barrier
	buffer_gl0_inv
	s_clause 0x37
	buffer_load_dword v2, off, s[0:3], 0 offset:200
	buffer_load_dword v3, off, s[0:3], 0 offset:204
	;; [unrolled: 1-line block ×56, first 2 shown]
	ds_read_b128 v[83:86], v1 offset:800
	s_clause 0x2
	buffer_load_dword v149, off, s[0:3], 0 offset:428
	buffer_load_dword v153, off, s[0:3], 0 offset:404
	;; [unrolled: 1-line block ×3, first 2 shown]
	ds_read_b128 v[87:90], v1 offset:816
	s_clause 0x4
	buffer_load_dword v157, off, s[0:3], 0 offset:444
	buffer_load_dword v158, off, s[0:3], 0 offset:456
	;; [unrolled: 1-line block ×5, first 2 shown]
	ds_read_b128 v[91:94], v1 offset:832
	s_mov_b32 s4, exec_lo
	s_waitcnt vmcnt(62) lgkmcnt(2)
	v_mul_f64 v[154:155], v[85:86], v[2:3]
	v_mul_f64 v[2:3], v[83:84], v[2:3]
	s_waitcnt vmcnt(60) lgkmcnt(1)
	v_mul_f64 v[161:162], v[89:90], v[95:96]
	v_mul_f64 v[95:96], v[87:88], v[95:96]
	;; [unrolled: 3-line block ×3, first 2 shown]
	v_fma_f64 v[154:155], v[83:84], v[97:98], -v[154:155]
	v_fma_f64 v[2:3], v[85:86], v[97:98], v[2:3]
	s_clause 0x2
	buffer_load_dword v159, off, s[0:3], 0 offset:460
	buffer_load_dword v98, off, s[0:3], 0 offset:436
	;; [unrolled: 1-line block ×3, first 2 shown]
	s_waitcnt vmcnt(57)
	v_fma_f64 v[165:166], v[87:88], v[101:102], -v[161:162]
	ds_read_b128 v[83:86], v1 offset:848
	v_fma_f64 v[95:96], v[89:90], v[101:102], v[95:96]
	s_clause 0x4
	buffer_load_dword v102, off, s[0:3], 0 offset:476
	buffer_load_dword v162, off, s[0:3], 0 offset:488
	;; [unrolled: 1-line block ×5, first 2 shown]
	s_waitcnt vmcnt(56)
	v_fma_f64 v[99:100], v[91:92], v[109:110], -v[99:100]
	ds_read_b128 v[87:90], v1 offset:864
	v_fma_f64 v[109:110], v[93:94], v[109:110], v[163:164]
	v_add_f64 v[154:155], v[154:155], 0
	v_add_f64 v[2:3], v[2:3], 0
	s_waitcnt lgkmcnt(1)
	v_mul_f64 v[168:169], v[83:84], v[103:104]
	v_mul_f64 v[103:104], v[85:86], v[103:104]
	v_add_f64 v[154:155], v[154:155], v[165:166]
	v_add_f64 v[2:3], v[2:3], v[95:96]
	s_clause 0x2
	buffer_load_dword v163, off, s[0:3], 0 offset:492
	buffer_load_dword v96, off, s[0:3], 0 offset:468
	;; [unrolled: 1-line block ×3, first 2 shown]
	s_waitcnt vmcnt(58) lgkmcnt(0)
	v_mul_f64 v[164:165], v[87:88], v[105:106]
	v_mul_f64 v[105:106], v[89:90], v[105:106]
	s_waitcnt vmcnt(56)
	v_fma_f64 v[103:104], v[83:84], v[111:112], -v[103:104]
	ds_read_b128 v[91:94], v1 offset:880
	v_fma_f64 v[111:112], v[85:86], v[111:112], v[168:169]
	v_add_f64 v[99:100], v[154:155], v[99:100]
	v_add_f64 v[2:3], v[2:3], v[109:110]
	s_clause 0x4
	buffer_load_dword v110, off, s[0:3], 0 offset:508
	buffer_load_dword v154, off, s[0:3], 0 offset:520
	;; [unrolled: 1-line block ×5, first 2 shown]
	ds_read_b128 v[83:86], v1 offset:896
	s_waitcnt vmcnt(57) lgkmcnt(1)
	v_mul_f64 v[170:171], v[91:92], v[113:114]
	v_mul_f64 v[113:114], v[93:94], v[113:114]
	s_waitcnt vmcnt(56)
	v_fma_f64 v[105:106], v[87:88], v[107:108], -v[105:106]
	v_add_f64 v[99:100], v[99:100], v[103:104]
	v_fma_f64 v[103:104], v[89:90], v[107:108], v[164:165]
	v_add_f64 v[2:3], v[2:3], v[111:112]
	s_clause 0x2
	buffer_load_dword v155, off, s[0:3], 0 offset:524
	buffer_load_dword v108, off, s[0:3], 0 offset:500
	;; [unrolled: 1-line block ×3, first 2 shown]
	s_waitcnt vmcnt(58) lgkmcnt(0)
	v_mul_f64 v[111:112], v[83:84], v[115:116]
	v_mul_f64 v[115:116], v[85:86], v[115:116]
	s_waitcnt vmcnt(56)
	v_fma_f64 v[113:114], v[91:92], v[119:120], -v[113:114]
	ds_read_b128 v[87:90], v1 offset:912
	v_add_f64 v[99:100], v[99:100], v[105:106]
	v_fma_f64 v[105:106], v[93:94], v[119:120], v[170:171]
	v_add_f64 v[2:3], v[2:3], v[103:104]
	s_clause 0x4
	buffer_load_dword v104, off, s[0:3], 0 offset:540
	buffer_load_dword v119, off, s[0:3], 0 offset:552
	;; [unrolled: 1-line block ×5, first 2 shown]
	ds_read_b128 v[91:94], v1 offset:928
	s_waitcnt vmcnt(57) lgkmcnt(1)
	v_mul_f64 v[165:166], v[87:88], v[121:122]
	v_mul_f64 v[121:122], v[89:90], v[121:122]
	s_waitcnt vmcnt(56)
	v_fma_f64 v[115:116], v[83:84], v[117:118], -v[115:116]
	v_fma_f64 v[111:112], v[85:86], v[117:118], v[111:112]
	v_add_f64 v[99:100], v[99:100], v[113:114]
	v_add_f64 v[2:3], v[2:3], v[105:106]
	s_clause 0x2
	buffer_load_dword v120, off, s[0:3], 0 offset:556
	buffer_load_dword v106, off, s[0:3], 0 offset:532
	;; [unrolled: 1-line block ×3, first 2 shown]
	s_waitcnt vmcnt(58) lgkmcnt(0)
	v_mul_f64 v[117:118], v[93:94], v[123:124]
	ds_read_b128 v[83:86], v1 offset:944
	s_waitcnt vmcnt(56)
	v_fma_f64 v[121:122], v[87:88], v[127:128], -v[121:122]
	v_mul_f64 v[113:114], v[91:92], v[123:124]
	v_add_f64 v[99:100], v[99:100], v[115:116]
	v_fma_f64 v[115:116], v[89:90], v[127:128], v[165:166]
	v_add_f64 v[2:3], v[2:3], v[111:112]
	s_clause 0x4
	buffer_load_dword v112, off, s[0:3], 0 offset:572
	buffer_load_dword v123, off, s[0:3], 0 offset:584
	;; [unrolled: 1-line block ×5, first 2 shown]
	s_waitcnt vmcnt(57) lgkmcnt(0)
	v_mul_f64 v[171:172], v[83:84], v[129:130]
	v_mul_f64 v[128:129], v[85:86], v[129:130]
	s_waitcnt vmcnt(56)
	v_fma_f64 v[117:118], v[91:92], v[125:126], -v[117:118]
	ds_read_b128 v[87:90], v1 offset:960
	v_fma_f64 v[113:114], v[93:94], v[125:126], v[113:114]
	v_add_f64 v[99:100], v[99:100], v[121:122]
	v_add_f64 v[2:3], v[2:3], v[115:116]
	s_clause 0x2
	buffer_load_dword v124, off, s[0:3], 0 offset:588
	buffer_load_dword v116, off, s[0:3], 0 offset:564
	;; [unrolled: 1-line block ×3, first 2 shown]
	ds_read_b128 v[91:94], v1 offset:976
	s_waitcnt vmcnt(58) lgkmcnt(1)
	v_mul_f64 v[125:126], v[89:90], v[131:132]
	s_waitcnt vmcnt(56)
	v_fma_f64 v[129:130], v[83:84], v[135:136], -v[128:129]
	v_mul_f64 v[121:122], v[87:88], v[131:132]
	v_add_f64 v[99:100], v[99:100], v[117:118]
	v_fma_f64 v[117:118], v[85:86], v[135:136], v[171:172]
	v_add_f64 v[2:3], v[2:3], v[113:114]
	s_clause 0x4
	buffer_load_dword v114, off, s[0:3], 0 offset:604
	buffer_load_dword v131, off, s[0:3], 0 offset:616
	;; [unrolled: 1-line block ×5, first 2 shown]
	s_waitcnt vmcnt(57) lgkmcnt(0)
	v_mul_f64 v[171:172], v[91:92], v[137:138]
	v_mul_f64 v[136:137], v[93:94], v[137:138]
	s_waitcnt vmcnt(56)
	v_fma_f64 v[125:126], v[87:88], v[133:134], -v[125:126]
	ds_read_b128 v[83:86], v1 offset:992
	v_fma_f64 v[121:122], v[89:90], v[133:134], v[121:122]
	v_add_f64 v[99:100], v[99:100], v[129:130]
	v_add_f64 v[2:3], v[2:3], v[117:118]
	s_clause 0x2
	buffer_load_dword v132, off, s[0:3], 0 offset:620
	buffer_load_dword v118, off, s[0:3], 0 offset:596
	;; [unrolled: 1-line block ×3, first 2 shown]
	ds_read_b128 v[87:90], v1 offset:1008
	s_waitcnt vmcnt(58) lgkmcnt(1)
	v_mul_f64 v[133:134], v[85:86], v[140:141]
	s_waitcnt vmcnt(56)
	v_fma_f64 v[137:138], v[91:92], v[144:145], -v[136:137]
	v_mul_f64 v[129:130], v[83:84], v[140:141]
	v_add_f64 v[99:100], v[99:100], v[125:126]
	v_fma_f64 v[125:126], v[93:94], v[144:145], v[171:172]
	v_add_f64 v[2:3], v[2:3], v[121:122]
	s_clause 0x2
	buffer_load_dword v122, off, s[0:3], 0 offset:636
	buffer_load_dword v121, off, s[0:3], 0 offset:632
	;; [unrolled: 1-line block ×3, first 2 shown]
	s_waitcnt vmcnt(55) lgkmcnt(0)
	v_mul_f64 v[144:145], v[89:90], v[146:147]
	s_waitcnt vmcnt(54)
	v_fma_f64 v[133:134], v[83:84], v[142:143], -v[133:134]
	ds_read_b128 v[91:94], v1 offset:1024
	v_mul_f64 v[140:141], v[87:88], v[146:147]
	v_fma_f64 v[129:130], v[85:86], v[142:143], v[129:130]
	v_add_f64 v[99:100], v[99:100], v[137:138]
	v_add_f64 v[2:3], v[2:3], v[125:126]
	s_clause 0x1
	buffer_load_dword v126, off, s[0:3], 0 offset:628
	buffer_load_dword v125, off, s[0:3], 0 offset:624
	s_waitcnt vmcnt(55) lgkmcnt(0)
	v_mul_f64 v[142:143], v[93:94], v[148:149]
	s_waitcnt vmcnt(53)
	v_fma_f64 v[144:145], v[87:88], v[152:153], -v[144:145]
	ds_read_b128 v[83:86], v1 offset:1040
	v_mul_f64 v[137:138], v[91:92], v[148:149]
	v_add_f64 v[99:100], v[99:100], v[133:134]
	v_fma_f64 v[133:134], v[89:90], v[152:153], v[140:141]
	v_add_f64 v[2:3], v[2:3], v[129:130]
	ds_read_b128 v[87:90], v1 offset:1056
	s_waitcnt vmcnt(49) lgkmcnt(1)
	v_mul_f64 v[140:141], v[85:86], v[156:157]
	s_waitcnt vmcnt(48)
	v_fma_f64 v[142:143], v[91:92], v[150:151], -v[142:143]
	v_mul_f64 v[129:130], v[83:84], v[156:157]
	v_fma_f64 v[137:138], v[93:94], v[150:151], v[137:138]
	v_add_f64 v[99:100], v[99:100], v[144:145]
	v_add_f64 v[2:3], v[2:3], v[133:134]
	s_clause 0x3
	buffer_load_dword v133, off, s[0:3], 0 offset:176
	buffer_load_dword v134, off, s[0:3], 0 offset:180
	;; [unrolled: 1-line block ×4, first 2 shown]
	ds_read_b128 v[91:94], v1 offset:1072
	s_waitcnt vmcnt(51) lgkmcnt(1)
	v_mul_f64 v[148:149], v[89:90], v[158:159]
	v_mul_f64 v[146:147], v[87:88], v[158:159]
	s_waitcnt vmcnt(49)
	v_fma_f64 v[140:141], v[83:84], v[97:98], -v[140:141]
	v_fma_f64 v[97:98], v[85:86], v[97:98], v[129:130]
	ds_read_b128 v[83:86], v1 offset:1088
	v_add_f64 v[99:100], v[99:100], v[142:143]
	v_add_f64 v[2:3], v[2:3], v[137:138]
	s_waitcnt vmcnt(45) lgkmcnt(1)
	v_mul_f64 v[129:130], v[91:92], v[101:102]
	v_mul_f64 v[101:102], v[93:94], v[101:102]
	s_waitcnt vmcnt(44)
	v_fma_f64 v[137:138], v[87:88], v[160:161], -v[148:149]
	v_add_f64 v[99:100], v[99:100], v[140:141]
	v_fma_f64 v[140:141], v[89:90], v[160:161], v[146:147]
	v_add_f64 v[2:3], v[2:3], v[97:98]
	ds_read_b128 v[87:90], v1 offset:1104
	s_waitcnt vmcnt(43) lgkmcnt(1)
	v_mul_f64 v[142:143], v[85:86], v[162:163]
	v_mul_f64 v[97:98], v[83:84], v[162:163]
	s_waitcnt vmcnt(41)
	v_fma_f64 v[101:102], v[91:92], v[95:96], -v[101:102]
	v_fma_f64 v[95:96], v[93:94], v[95:96], v[129:130]
	ds_read_b128 v[91:94], v1 offset:1120
	v_add_f64 v[99:100], v[99:100], v[137:138]
	v_add_f64 v[2:3], v[2:3], v[140:141]
	s_waitcnt vmcnt(37) lgkmcnt(1)
	v_mul_f64 v[129:130], v[87:88], v[109:110]
	v_mul_f64 v[109:110], v[89:90], v[109:110]
	s_waitcnt vmcnt(36)
	v_fma_f64 v[137:138], v[83:84], v[167:168], -v[142:143]
	v_fma_f64 v[97:98], v[85:86], v[167:168], v[97:98]
	ds_read_b128 v[83:86], v1 offset:1136
	v_add_f64 v[99:100], v[99:100], v[101:102]
	v_add_f64 v[2:3], v[2:3], v[95:96]
	s_waitcnt vmcnt(35) lgkmcnt(1)
	v_mul_f64 v[101:102], v[93:94], v[154:155]
	v_mul_f64 v[95:96], v[91:92], v[154:155]
	s_waitcnt vmcnt(33)
	v_fma_f64 v[109:110], v[87:88], v[107:108], -v[109:110]
	v_fma_f64 v[107:108], v[89:90], v[107:108], v[129:130]
	ds_read_b128 v[87:90], v1 offset:1152
	v_add_f64 v[99:100], v[99:100], v[137:138]
	v_add_f64 v[2:3], v[2:3], v[97:98]
	s_waitcnt vmcnt(29) lgkmcnt(1)
	v_mul_f64 v[97:98], v[83:84], v[103:104]
	v_mul_f64 v[103:104], v[85:86], v[103:104]
	s_waitcnt vmcnt(28)
	v_fma_f64 v[101:102], v[91:92], v[169:170], -v[101:102]
	v_fma_f64 v[95:96], v[93:94], v[169:170], v[95:96]
	ds_read_b128 v[91:94], v1 offset:1168
	v_add_f64 v[99:100], v[99:100], v[109:110]
	v_add_f64 v[2:3], v[2:3], v[107:108]
	s_waitcnt vmcnt(27) lgkmcnt(1)
	v_mul_f64 v[109:110], v[89:90], v[119:120]
	v_mul_f64 v[107:108], v[87:88], v[119:120]
	s_waitcnt vmcnt(25)
	v_fma_f64 v[103:104], v[83:84], v[105:106], -v[103:104]
	v_fma_f64 v[97:98], v[85:86], v[105:106], v[97:98]
	ds_read_b128 v[83:86], v1 offset:1184
	v_add_f64 v[99:100], v[99:100], v[101:102]
	v_add_f64 v[2:3], v[2:3], v[95:96]
	s_waitcnt vmcnt(21) lgkmcnt(1)
	v_mul_f64 v[101:102], v[93:94], v[111:112]
	s_waitcnt vmcnt(20)
	v_fma_f64 v[105:106], v[87:88], v[164:165], -v[109:110]
	v_mul_f64 v[95:96], v[91:92], v[111:112]
	v_add_f64 v[99:100], v[99:100], v[103:104]
	v_fma_f64 v[103:104], v[89:90], v[164:165], v[107:108]
	v_add_f64 v[2:3], v[2:3], v[97:98]
	ds_read_b128 v[87:90], v1 offset:1200
	s_waitcnt vmcnt(19) lgkmcnt(1)
	v_mul_f64 v[107:108], v[85:86], v[123:124]
	v_mul_f64 v[97:98], v[83:84], v[123:124]
	s_waitcnt vmcnt(17)
	v_fma_f64 v[101:102], v[91:92], v[115:116], -v[101:102]
	v_fma_f64 v[95:96], v[93:94], v[115:116], v[95:96]
	ds_read_b128 v[91:94], v1 offset:1216
	v_add_f64 v[99:100], v[99:100], v[105:106]
	v_add_f64 v[2:3], v[2:3], v[103:104]
	s_waitcnt vmcnt(13) lgkmcnt(1)
	v_mul_f64 v[105:106], v[89:90], v[113:114]
	s_waitcnt vmcnt(12)
	v_fma_f64 v[83:84], v[83:84], v[127:128], -v[107:108]
	v_mul_f64 v[103:104], v[87:88], v[113:114]
	v_fma_f64 v[85:86], v[85:86], v[127:128], v[97:98]
	v_add_f64 v[99:100], v[99:100], v[101:102]
	v_add_f64 v[95:96], v[2:3], v[95:96]
	ds_read_b128 v[1:4], v1 offset:1232
	s_waitcnt vmcnt(11) lgkmcnt(1)
	v_mul_f64 v[101:102], v[93:94], v[131:132]
	v_mul_f64 v[97:98], v[91:92], v[131:132]
	s_waitcnt vmcnt(9)
	v_fma_f64 v[87:88], v[87:88], v[117:118], -v[105:106]
	v_fma_f64 v[89:90], v[89:90], v[117:118], v[103:104]
	v_add_f64 v[83:84], v[99:100], v[83:84]
	v_add_f64 v[85:86], v[95:96], v[85:86]
	s_waitcnt vmcnt(7) lgkmcnt(0)
	v_mul_f64 v[99:100], v[3:4], v[121:122]
	s_waitcnt vmcnt(6)
	v_fma_f64 v[91:92], v[91:92], v[135:136], -v[101:102]
	v_mul_f64 v[95:96], v[1:2], v[121:122]
	v_add_f64 v[83:84], v[83:84], v[87:88]
	v_fma_f64 v[87:88], v[93:94], v[135:136], v[97:98]
	v_add_f64 v[85:86], v[85:86], v[89:90]
	s_waitcnt vmcnt(4)
	v_fma_f64 v[1:2], v[1:2], v[125:126], -v[99:100]
	v_fma_f64 v[3:4], v[3:4], v[125:126], v[95:96]
	v_add_f64 v[83:84], v[83:84], v[91:92]
	v_add_f64 v[85:86], v[85:86], v[87:88]
	;; [unrolled: 1-line block ×4, first 2 shown]
	s_waitcnt vmcnt(2)
	v_add_f64 v[1:2], v[133:134], -v[1:2]
	s_waitcnt vmcnt(0)
	v_add_f64 v[3:4], v[144:145], -v[3:4]
	buffer_store_dword v2, off, s[0:3], 0 offset:180
	buffer_store_dword v1, off, s[0:3], 0 offset:176
	;; [unrolled: 1-line block ×4, first 2 shown]
	v_cmpx_lt_u32_e32 9, v0
	s_cbranch_execz .LBB102_229
; %bb.228:
	v_mov_b32_e32 v4, s42
	v_mov_b32_e32 v83, 0
	s_clause 0x3
	buffer_load_dword v1, v4, s[0:3], 0 offen
	buffer_load_dword v2, v4, s[0:3], 0 offen offset:4
	buffer_load_dword v3, v4, s[0:3], 0 offen offset:8
	;; [unrolled: 1-line block ×3, first 2 shown]
	buffer_store_dword v83, off, s[0:3], 0 offset:160
	buffer_store_dword v83, off, s[0:3], 0 offset:164
	;; [unrolled: 1-line block ×4, first 2 shown]
	s_waitcnt vmcnt(0)
	ds_write_b128 v139, v[1:4]
.LBB102_229:
	s_or_b32 exec_lo, exec_lo, s4
	s_waitcnt lgkmcnt(0)
	s_waitcnt_vscnt null, 0x0
	s_barrier
	buffer_gl0_inv
	s_clause 0x37
	buffer_load_dword v87, off, s[0:3], 0 offset:184
	buffer_load_dword v88, off, s[0:3], 0 offset:188
	;; [unrolled: 1-line block ×56, first 2 shown]
	v_mov_b32_e32 v89, 0
	s_mov_b32 s4, exec_lo
	ds_read_b128 v[83:86], v89 offset:784
	s_clause 0x2
	buffer_load_dword v149, off, s[0:3], 0 offset:412
	buffer_load_dword v153, off, s[0:3], 0 offset:388
	;; [unrolled: 1-line block ×3, first 2 shown]
	ds_read_b128 v[90:93], v89 offset:800
	s_clause 0x4
	buffer_load_dword v157, off, s[0:3], 0 offset:428
	buffer_load_dword v158, off, s[0:3], 0 offset:440
	;; [unrolled: 1-line block ×5, first 2 shown]
	ds_read_b128 v[94:97], v89 offset:816
	s_waitcnt vmcnt(62) lgkmcnt(2)
	v_mul_f64 v[154:155], v[85:86], v[87:88]
	v_mul_f64 v[87:88], v[83:84], v[87:88]
	s_waitcnt vmcnt(60) lgkmcnt(1)
	v_mul_f64 v[161:162], v[92:93], v[98:99]
	v_mul_f64 v[98:99], v[90:91], v[98:99]
	;; [unrolled: 3-line block ×3, first 2 shown]
	v_fma_f64 v[154:155], v[83:84], v[100:101], -v[154:155]
	v_fma_f64 v[87:88], v[85:86], v[100:101], v[87:88]
	s_clause 0x2
	buffer_load_dword v159, off, s[0:3], 0 offset:444
	buffer_load_dword v101, off, s[0:3], 0 offset:420
	;; [unrolled: 1-line block ×3, first 2 shown]
	s_waitcnt vmcnt(57)
	v_fma_f64 v[90:91], v[90:91], v[1:2], -v[161:162]
	ds_read_b128 v[83:86], v89 offset:832
	v_fma_f64 v[92:93], v[92:93], v[1:2], v[98:99]
	s_clause 0x4
	buffer_load_dword v99, off, s[0:3], 0 offset:460
	buffer_load_dword v162, off, s[0:3], 0 offset:472
	;; [unrolled: 1-line block ×5, first 2 shown]
	s_waitcnt vmcnt(56)
	v_fma_f64 v[94:95], v[94:95], v[108:109], -v[165:166]
	ds_read_b128 v[1:4], v89 offset:848
	v_fma_f64 v[96:97], v[96:97], v[108:109], v[163:164]
	s_clause 0x2
	buffer_load_dword v163, off, s[0:3], 0 offset:476
	buffer_load_dword v109, off, s[0:3], 0 offset:452
	;; [unrolled: 1-line block ×3, first 2 shown]
	v_add_f64 v[154:155], v[154:155], 0
	v_add_f64 v[87:88], v[87:88], 0
	s_waitcnt lgkmcnt(1)
	v_mul_f64 v[168:169], v[83:84], v[102:103]
	v_mul_f64 v[102:103], v[85:86], v[102:103]
	s_waitcnt vmcnt(58) lgkmcnt(0)
	v_mul_f64 v[164:165], v[1:2], v[104:105]
	v_mul_f64 v[104:105], v[3:4], v[104:105]
	v_add_f64 v[154:155], v[154:155], v[90:91]
	v_add_f64 v[87:88], v[87:88], v[92:93]
	ds_read_b128 v[90:93], v89 offset:864
	s_waitcnt vmcnt(56)
	v_fma_f64 v[102:103], v[83:84], v[110:111], -v[102:103]
	v_fma_f64 v[110:111], v[85:86], v[110:111], v[168:169]
	s_waitcnt vmcnt(51)
	v_fma_f64 v[104:105], v[1:2], v[106:107], -v[104:105]
	s_waitcnt lgkmcnt(0)
	v_mul_f64 v[170:171], v[90:91], v[112:113]
	v_add_f64 v[94:95], v[154:155], v[94:95]
	v_add_f64 v[87:88], v[87:88], v[96:97]
	s_clause 0x4
	buffer_load_dword v97, off, s[0:3], 0 offset:492
	buffer_load_dword v154, off, s[0:3], 0 offset:504
	buffer_load_dword v169, off, s[0:3], 0 offset:496
	buffer_load_dword v96, off, s[0:3], 0 offset:488
	buffer_load_dword v168, off, s[0:3], 0 offset:468
	v_mul_f64 v[112:113], v[92:93], v[112:113]
	ds_read_b128 v[83:86], v89 offset:880
	v_add_f64 v[94:95], v[94:95], v[102:103]
	v_fma_f64 v[102:103], v[3:4], v[106:107], v[164:165]
	v_add_f64 v[87:88], v[87:88], v[110:111]
	s_clause 0x2
	buffer_load_dword v155, off, s[0:3], 0 offset:508
	buffer_load_dword v107, off, s[0:3], 0 offset:484
	;; [unrolled: 1-line block ×3, first 2 shown]
	s_waitcnt vmcnt(58) lgkmcnt(0)
	v_mul_f64 v[110:111], v[83:84], v[114:115]
	v_mul_f64 v[114:115], v[85:86], v[114:115]
	s_waitcnt vmcnt(56)
	v_fma_f64 v[112:113], v[90:91], v[118:119], -v[112:113]
	ds_read_b128 v[1:4], v89 offset:896
	v_add_f64 v[94:95], v[94:95], v[104:105]
	v_fma_f64 v[104:105], v[92:93], v[118:119], v[170:171]
	v_add_f64 v[87:88], v[87:88], v[102:103]
	s_clause 0x4
	buffer_load_dword v103, off, s[0:3], 0 offset:524
	buffer_load_dword v118, off, s[0:3], 0 offset:536
	;; [unrolled: 1-line block ×5, first 2 shown]
	ds_read_b128 v[90:93], v89 offset:912
	s_waitcnt vmcnt(57) lgkmcnt(1)
	v_mul_f64 v[165:166], v[1:2], v[120:121]
	v_mul_f64 v[120:121], v[3:4], v[120:121]
	s_waitcnt vmcnt(56)
	v_fma_f64 v[114:115], v[83:84], v[116:117], -v[114:115]
	v_fma_f64 v[110:111], v[85:86], v[116:117], v[110:111]
	v_add_f64 v[94:95], v[94:95], v[112:113]
	v_add_f64 v[87:88], v[87:88], v[104:105]
	s_clause 0x2
	buffer_load_dword v119, off, s[0:3], 0 offset:540
	buffer_load_dword v105, off, s[0:3], 0 offset:516
	;; [unrolled: 1-line block ×3, first 2 shown]
	s_waitcnt vmcnt(58) lgkmcnt(0)
	v_mul_f64 v[116:117], v[92:93], v[122:123]
	ds_read_b128 v[83:86], v89 offset:928
	s_waitcnt vmcnt(56)
	v_fma_f64 v[120:121], v[1:2], v[126:127], -v[120:121]
	v_mul_f64 v[112:113], v[90:91], v[122:123]
	v_add_f64 v[94:95], v[94:95], v[114:115]
	v_fma_f64 v[114:115], v[3:4], v[126:127], v[165:166]
	v_add_f64 v[87:88], v[87:88], v[110:111]
	s_clause 0x4
	buffer_load_dword v111, off, s[0:3], 0 offset:556
	buffer_load_dword v122, off, s[0:3], 0 offset:568
	buffer_load_dword v126, off, s[0:3], 0 offset:560
	buffer_load_dword v110, off, s[0:3], 0 offset:552
	buffer_load_dword v165, off, s[0:3], 0 offset:532
	s_waitcnt vmcnt(57) lgkmcnt(0)
	v_mul_f64 v[171:172], v[83:84], v[128:129]
	v_mul_f64 v[127:128], v[85:86], v[128:129]
	s_waitcnt vmcnt(56)
	v_fma_f64 v[116:117], v[90:91], v[124:125], -v[116:117]
	ds_read_b128 v[1:4], v89 offset:944
	v_fma_f64 v[112:113], v[92:93], v[124:125], v[112:113]
	v_add_f64 v[94:95], v[94:95], v[120:121]
	v_add_f64 v[87:88], v[87:88], v[114:115]
	s_clause 0x2
	buffer_load_dword v123, off, s[0:3], 0 offset:572
	buffer_load_dword v115, off, s[0:3], 0 offset:548
	buffer_load_dword v114, off, s[0:3], 0 offset:544
	ds_read_b128 v[90:93], v89 offset:960
	s_waitcnt vmcnt(58) lgkmcnt(1)
	v_mul_f64 v[124:125], v[3:4], v[130:131]
	s_waitcnt vmcnt(56)
	v_fma_f64 v[128:129], v[83:84], v[134:135], -v[127:128]
	v_mul_f64 v[120:121], v[1:2], v[130:131]
	v_add_f64 v[94:95], v[94:95], v[116:117]
	v_fma_f64 v[116:117], v[85:86], v[134:135], v[171:172]
	v_add_f64 v[87:88], v[87:88], v[112:113]
	s_clause 0x4
	buffer_load_dword v113, off, s[0:3], 0 offset:588
	buffer_load_dword v130, off, s[0:3], 0 offset:600
	buffer_load_dword v134, off, s[0:3], 0 offset:592
	buffer_load_dword v112, off, s[0:3], 0 offset:584
	buffer_load_dword v127, off, s[0:3], 0 offset:564
	s_waitcnt vmcnt(57) lgkmcnt(0)
	v_mul_f64 v[171:172], v[90:91], v[136:137]
	v_mul_f64 v[135:136], v[92:93], v[136:137]
	s_waitcnt vmcnt(56)
	v_fma_f64 v[124:125], v[1:2], v[132:133], -v[124:125]
	ds_read_b128 v[83:86], v89 offset:976
	v_fma_f64 v[120:121], v[3:4], v[132:133], v[120:121]
	v_add_f64 v[94:95], v[94:95], v[128:129]
	v_add_f64 v[87:88], v[87:88], v[116:117]
	s_clause 0x2
	buffer_load_dword v131, off, s[0:3], 0 offset:604
	buffer_load_dword v117, off, s[0:3], 0 offset:580
	buffer_load_dword v116, off, s[0:3], 0 offset:576
	ds_read_b128 v[1:4], v89 offset:992
	s_waitcnt vmcnt(58) lgkmcnt(1)
	v_mul_f64 v[132:133], v[85:86], v[140:141]
	;; [unrolled: 28-line block ×3, first 2 shown]
	s_waitcnt vmcnt(56)
	v_fma_f64 v[146:147], v[1:2], v[152:153], -v[145:146]
	v_mul_f64 v[136:137], v[90:91], v[148:149]
	buffer_load_dword v145, off, s[0:3], 0 offset:628
	v_add_f64 v[94:95], v[94:95], v[132:133]
	v_fma_f64 v[132:133], v[3:4], v[152:153], v[171:172]
	v_add_f64 v[87:88], v[87:88], v[128:129]
	ds_read_b128 v[1:4], v89 offset:1040
	s_waitcnt vmcnt(53) lgkmcnt(1)
	v_mul_f64 v[148:149], v[85:86], v[156:157]
	s_waitcnt vmcnt(52)
	v_fma_f64 v[142:143], v[90:91], v[150:151], -v[142:143]
	v_mul_f64 v[128:129], v[83:84], v[156:157]
	v_fma_f64 v[136:137], v[92:93], v[150:151], v[136:137]
	ds_read_b128 v[90:93], v89 offset:1056
	v_add_f64 v[94:95], v[94:95], v[146:147]
	v_add_f64 v[87:88], v[87:88], v[132:133]
	s_waitcnt vmcnt(51) lgkmcnt(1)
	v_mul_f64 v[146:147], v[3:4], v[158:159]
	v_mul_f64 v[132:133], v[1:2], v[158:159]
	s_waitcnt vmcnt(49)
	v_fma_f64 v[148:149], v[83:84], v[100:101], -v[148:149]
	v_fma_f64 v[100:101], v[85:86], v[100:101], v[128:129]
	v_add_f64 v[94:95], v[94:95], v[142:143]
	s_waitcnt vmcnt(45) lgkmcnt(0)
	v_mul_f64 v[142:143], v[90:91], v[98:99]
	v_add_f64 v[87:88], v[87:88], v[136:137]
	s_clause 0x3
	buffer_load_dword v128, off, s[0:3], 0 offset:160
	buffer_load_dword v129, off, s[0:3], 0 offset:164
	;; [unrolled: 1-line block ×4, first 2 shown]
	v_mul_f64 v[98:99], v[92:93], v[98:99]
	ds_read_b128 v[83:86], v89 offset:1072
	s_waitcnt vmcnt(48)
	v_fma_f64 v[146:147], v[1:2], v[160:161], -v[146:147]
	v_fma_f64 v[132:133], v[3:4], v[160:161], v[132:133]
	ds_read_b128 v[1:4], v89 offset:1088
	v_add_f64 v[94:95], v[94:95], v[148:149]
	v_add_f64 v[87:88], v[87:88], v[100:101]
	s_waitcnt vmcnt(47) lgkmcnt(1)
	v_mul_f64 v[148:149], v[85:86], v[162:163]
	s_waitcnt vmcnt(45)
	v_fma_f64 v[98:99], v[90:91], v[108:109], -v[98:99]
	v_mul_f64 v[100:101], v[83:84], v[162:163]
	v_fma_f64 v[108:109], v[92:93], v[108:109], v[142:143]
	ds_read_b128 v[90:93], v89 offset:1104
	v_add_f64 v[94:95], v[94:95], v[146:147]
	v_add_f64 v[87:88], v[87:88], v[132:133]
	s_waitcnt vmcnt(41) lgkmcnt(1)
	v_mul_f64 v[132:133], v[1:2], v[96:97]
	v_mul_f64 v[96:97], v[3:4], v[96:97]
	s_waitcnt vmcnt(40)
	v_fma_f64 v[142:143], v[83:84], v[167:168], -v[148:149]
	v_add_f64 v[94:95], v[94:95], v[98:99]
	v_fma_f64 v[98:99], v[85:86], v[167:168], v[100:101]
	v_add_f64 v[87:88], v[87:88], v[108:109]
	ds_read_b128 v[83:86], v89 offset:1120
	s_waitcnt vmcnt(39) lgkmcnt(1)
	v_mul_f64 v[108:109], v[92:93], v[154:155]
	v_mul_f64 v[100:101], v[90:91], v[154:155]
	s_waitcnt vmcnt(37)
	v_fma_f64 v[96:97], v[1:2], v[106:107], -v[96:97]
	v_fma_f64 v[106:107], v[3:4], v[106:107], v[132:133]
	ds_read_b128 v[1:4], v89 offset:1136
	v_add_f64 v[94:95], v[94:95], v[142:143]
	v_add_f64 v[87:88], v[87:88], v[98:99]
	s_waitcnt vmcnt(33) lgkmcnt(1)
	v_mul_f64 v[98:99], v[83:84], v[102:103]
	v_mul_f64 v[102:103], v[85:86], v[102:103]
	s_waitcnt vmcnt(32)
	v_fma_f64 v[108:109], v[90:91], v[169:170], -v[108:109]
	v_add_f64 v[94:95], v[94:95], v[96:97]
	v_fma_f64 v[96:97], v[92:93], v[169:170], v[100:101]
	v_add_f64 v[87:88], v[87:88], v[106:107]
	ds_read_b128 v[90:93], v89 offset:1152
	s_waitcnt vmcnt(31) lgkmcnt(1)
	v_mul_f64 v[106:107], v[3:4], v[118:119]
	v_mul_f64 v[100:101], v[1:2], v[118:119]
	s_waitcnt vmcnt(29)
	v_fma_f64 v[102:103], v[83:84], v[104:105], -v[102:103]
	v_fma_f64 v[98:99], v[85:86], v[104:105], v[98:99]
	ds_read_b128 v[83:86], v89 offset:1168
	v_add_f64 v[94:95], v[94:95], v[108:109]
	v_add_f64 v[87:88], v[87:88], v[96:97]
	s_waitcnt vmcnt(25) lgkmcnt(1)
	v_mul_f64 v[104:105], v[92:93], v[110:111]
	s_waitcnt vmcnt(24)
	v_fma_f64 v[106:107], v[1:2], v[164:165], -v[106:107]
	v_mul_f64 v[96:97], v[90:91], v[110:111]
	v_fma_f64 v[100:101], v[3:4], v[164:165], v[100:101]
	ds_read_b128 v[1:4], v89 offset:1184
	v_add_f64 v[94:95], v[94:95], v[102:103]
	v_add_f64 v[87:88], v[87:88], v[98:99]
	s_waitcnt vmcnt(23) lgkmcnt(1)
	v_mul_f64 v[102:103], v[85:86], v[122:123]
	v_mul_f64 v[98:99], v[83:84], v[122:123]
	s_waitcnt vmcnt(21)
	v_fma_f64 v[104:105], v[90:91], v[114:115], -v[104:105]
	v_fma_f64 v[96:97], v[92:93], v[114:115], v[96:97]
	ds_read_b128 v[90:93], v89 offset:1200
	v_add_f64 v[94:95], v[94:95], v[106:107]
	v_add_f64 v[87:88], v[87:88], v[100:101]
	s_waitcnt vmcnt(17) lgkmcnt(1)
	v_mul_f64 v[106:107], v[3:4], v[112:113]
	s_waitcnt vmcnt(16)
	v_fma_f64 v[102:103], v[83:84], v[126:127], -v[102:103]
	v_mul_f64 v[100:101], v[1:2], v[112:113]
	v_fma_f64 v[98:99], v[85:86], v[126:127], v[98:99]
	ds_read_b128 v[83:86], v89 offset:1216
	v_add_f64 v[94:95], v[94:95], v[104:105]
	v_add_f64 v[87:88], v[87:88], v[96:97]
	s_waitcnt vmcnt(15) lgkmcnt(1)
	v_mul_f64 v[104:105], v[92:93], v[130:131]
	v_mul_f64 v[96:97], v[90:91], v[130:131]
	s_waitcnt vmcnt(13)
	v_fma_f64 v[106:107], v[1:2], v[116:117], -v[106:107]
	v_fma_f64 v[100:101], v[3:4], v[116:117], v[100:101]
	ds_read_b128 v[1:4], v89 offset:1232
	v_add_f64 v[94:95], v[94:95], v[102:103]
	v_add_f64 v[87:88], v[87:88], v[98:99]
	s_waitcnt vmcnt(9) lgkmcnt(1)
	v_mul_f64 v[102:103], v[85:86], v[120:121]
	s_waitcnt vmcnt(8)
	v_fma_f64 v[90:91], v[90:91], v[134:135], -v[104:105]
	v_mul_f64 v[98:99], v[83:84], v[120:121]
	v_fma_f64 v[92:93], v[92:93], v[134:135], v[96:97]
	v_add_f64 v[94:95], v[94:95], v[106:107]
	v_add_f64 v[87:88], v[87:88], v[100:101]
	s_waitcnt vmcnt(7) lgkmcnt(0)
	v_mul_f64 v[100:101], v[3:4], v[140:141]
	v_mul_f64 v[96:97], v[1:2], v[140:141]
	s_waitcnt vmcnt(5)
	v_fma_f64 v[83:84], v[83:84], v[124:125], -v[102:103]
	v_fma_f64 v[85:86], v[85:86], v[124:125], v[98:99]
	v_add_f64 v[90:91], v[94:95], v[90:91]
	v_add_f64 v[87:88], v[87:88], v[92:93]
	s_waitcnt vmcnt(4)
	v_fma_f64 v[1:2], v[1:2], v[144:145], -v[100:101]
	v_fma_f64 v[3:4], v[3:4], v[144:145], v[96:97]
	v_add_f64 v[83:84], v[90:91], v[83:84]
	v_add_f64 v[85:86], v[87:88], v[85:86]
	;; [unrolled: 1-line block ×4, first 2 shown]
	s_waitcnt vmcnt(2)
	v_add_f64 v[1:2], v[128:129], -v[1:2]
	s_waitcnt vmcnt(0)
	v_add_f64 v[3:4], v[136:137], -v[3:4]
	buffer_store_dword v2, off, s[0:3], 0 offset:164
	buffer_store_dword v1, off, s[0:3], 0 offset:160
	;; [unrolled: 1-line block ×4, first 2 shown]
	v_cmpx_lt_u32_e32 8, v0
	s_cbranch_execz .LBB102_231
; %bb.230:
	v_mov_b32_e32 v4, s43
	s_clause 0x3
	buffer_load_dword v1, v4, s[0:3], 0 offen
	buffer_load_dword v2, v4, s[0:3], 0 offen offset:4
	buffer_load_dword v3, v4, s[0:3], 0 offen offset:8
	;; [unrolled: 1-line block ×3, first 2 shown]
	buffer_store_dword v89, off, s[0:3], 0 offset:144
	buffer_store_dword v89, off, s[0:3], 0 offset:148
	;; [unrolled: 1-line block ×4, first 2 shown]
	s_waitcnt vmcnt(0)
	ds_write_b128 v139, v[1:4]
.LBB102_231:
	s_or_b32 exec_lo, exec_lo, s4
	s_waitcnt lgkmcnt(0)
	s_waitcnt_vscnt null, 0x0
	s_barrier
	buffer_gl0_inv
	s_clause 0x37
	buffer_load_dword v87, off, s[0:3], 0 offset:168
	buffer_load_dword v88, off, s[0:3], 0 offset:172
	buffer_load_dword v83, off, s[0:3], 0 offset:184
	buffer_load_dword v84, off, s[0:3], 0 offset:188
	buffer_load_dword v85, off, s[0:3], 0 offset:160
	buffer_load_dword v86, off, s[0:3], 0 offset:164
	buffer_load_dword v3, off, s[0:3], 0 offset:200
	buffer_load_dword v4, off, s[0:3], 0 offset:204
	buffer_load_dword v1, off, s[0:3], 0 offset:176
	buffer_load_dword v2, off, s[0:3], 0 offset:180
	buffer_load_dword v103, off, s[0:3], 0 offset:220
	buffer_load_dword v104, off, s[0:3], 0 offset:232
	buffer_load_dword v106, off, s[0:3], 0 offset:224
	buffer_load_dword v102, off, s[0:3], 0 offset:216
	buffer_load_dword v108, off, s[0:3], 0 offset:192
	buffer_load_dword v109, off, s[0:3], 0 offset:196
	buffer_load_dword v105, off, s[0:3], 0 offset:236
	buffer_load_dword v111, off, s[0:3], 0 offset:212
	buffer_load_dword v110, off, s[0:3], 0 offset:208
	buffer_load_dword v113, off, s[0:3], 0 offset:252
	buffer_load_dword v114, off, s[0:3], 0 offset:264
	buffer_load_dword v116, off, s[0:3], 0 offset:256
	buffer_load_dword v112, off, s[0:3], 0 offset:248
	buffer_load_dword v107, off, s[0:3], 0 offset:228
	buffer_load_dword v115, off, s[0:3], 0 offset:268
	buffer_load_dword v119, off, s[0:3], 0 offset:244
	buffer_load_dword v118, off, s[0:3], 0 offset:240
	buffer_load_dword v121, off, s[0:3], 0 offset:284
	buffer_load_dword v122, off, s[0:3], 0 offset:296
	buffer_load_dword v124, off, s[0:3], 0 offset:288
	buffer_load_dword v120, off, s[0:3], 0 offset:280
	buffer_load_dword v117, off, s[0:3], 0 offset:260
	buffer_load_dword v123, off, s[0:3], 0 offset:300
	buffer_load_dword v127, off, s[0:3], 0 offset:276
	buffer_load_dword v126, off, s[0:3], 0 offset:272
	buffer_load_dword v129, off, s[0:3], 0 offset:316
	buffer_load_dword v130, off, s[0:3], 0 offset:328
	buffer_load_dword v132, off, s[0:3], 0 offset:320
	buffer_load_dword v128, off, s[0:3], 0 offset:312
	buffer_load_dword v125, off, s[0:3], 0 offset:292
	buffer_load_dword v131, off, s[0:3], 0 offset:332
	buffer_load_dword v135, off, s[0:3], 0 offset:308
	buffer_load_dword v134, off, s[0:3], 0 offset:304
	buffer_load_dword v137, off, s[0:3], 0 offset:348
	buffer_load_dword v140, off, s[0:3], 0 offset:360
	buffer_load_dword v142, off, s[0:3], 0 offset:352
	buffer_load_dword v136, off, s[0:3], 0 offset:344
	buffer_load_dword v133, off, s[0:3], 0 offset:324
	buffer_load_dword v141, off, s[0:3], 0 offset:364
	buffer_load_dword v145, off, s[0:3], 0 offset:340
	buffer_load_dword v144, off, s[0:3], 0 offset:336
	buffer_load_dword v147, off, s[0:3], 0 offset:380
	buffer_load_dword v148, off, s[0:3], 0 offset:392
	buffer_load_dword v150, off, s[0:3], 0 offset:384
	buffer_load_dword v146, off, s[0:3], 0 offset:376
	buffer_load_dword v143, off, s[0:3], 0 offset:356
	ds_read_b128 v[90:93], v89 offset:768
	s_clause 0x2
	buffer_load_dword v149, off, s[0:3], 0 offset:396
	buffer_load_dword v153, off, s[0:3], 0 offset:372
	;; [unrolled: 1-line block ×3, first 2 shown]
	ds_read_b128 v[94:97], v89 offset:784
	s_clause 0x4
	buffer_load_dword v157, off, s[0:3], 0 offset:412
	buffer_load_dword v158, off, s[0:3], 0 offset:424
	;; [unrolled: 1-line block ×5, first 2 shown]
	ds_read_b128 v[98:101], v89 offset:800
	s_clause 0x2
	buffer_load_dword v159, off, s[0:3], 0 offset:428
	buffer_load_dword v164, off, s[0:3], 0 offset:404
	;; [unrolled: 1-line block ×3, first 2 shown]
	s_mov_b32 s4, exec_lo
	s_waitcnt vmcnt(62) lgkmcnt(2)
	v_mul_f64 v[154:155], v[92:93], v[87:88]
	v_mul_f64 v[87:88], v[90:91], v[87:88]
	s_waitcnt lgkmcnt(1)
	v_mul_f64 v[161:162], v[96:97], v[83:84]
	s_waitcnt vmcnt(59) lgkmcnt(0)
	v_mul_f64 v[165:166], v[100:101], v[3:4]
	v_fma_f64 v[90:91], v[90:91], v[85:86], -v[154:155]
	v_mul_f64 v[154:155], v[94:95], v[83:84]
	v_fma_f64 v[87:88], v[92:93], v[85:86], v[87:88]
	s_waitcnt vmcnt(57)
	v_fma_f64 v[94:95], v[94:95], v[1:2], -v[161:162]
	ds_read_b128 v[83:86], v89 offset:816
	v_mul_f64 v[92:93], v[98:99], v[3:4]
	s_waitcnt vmcnt(51)
	v_fma_f64 v[98:99], v[98:99], v[108:109], -v[165:166]
	v_add_f64 v[90:91], v[90:91], 0
	v_fma_f64 v[96:97], v[96:97], v[1:2], v[154:155]
	v_add_f64 v[87:88], v[87:88], 0
	s_clause 0x4
	buffer_load_dword v155, off, s[0:3], 0 offset:444
	buffer_load_dword v167, off, s[0:3], 0 offset:456
	buffer_load_dword v169, off, s[0:3], 0 offset:448
	buffer_load_dword v154, off, s[0:3], 0 offset:440
	buffer_load_dword v161, off, s[0:3], 0 offset:420
	s_waitcnt lgkmcnt(0)
	v_mul_f64 v[170:171], v[83:84], v[102:103]
	v_mul_f64 v[102:103], v[85:86], v[102:103]
	ds_read_b128 v[1:4], v89 offset:832
	v_fma_f64 v[100:101], v[100:101], v[108:109], v[92:93]
	v_add_f64 v[94:95], v[90:91], v[94:95]
	v_add_f64 v[87:88], v[87:88], v[96:97]
	s_clause 0x2
	buffer_load_dword v168, off, s[0:3], 0 offset:460
	buffer_load_dword v97, off, s[0:3], 0 offset:436
	buffer_load_dword v96, off, s[0:3], 0 offset:432
	s_waitcnt vmcnt(58) lgkmcnt(0)
	v_mul_f64 v[108:109], v[1:2], v[104:105]
	v_mul_f64 v[104:105], v[3:4], v[104:105]
	s_waitcnt vmcnt(56)
	v_fma_f64 v[102:103], v[83:84], v[110:111], -v[102:103]
	ds_read_b128 v[90:93], v89 offset:848
	v_add_f64 v[94:95], v[94:95], v[98:99]
	v_fma_f64 v[98:99], v[85:86], v[110:111], v[170:171]
	v_add_f64 v[87:88], v[87:88], v[100:101]
	s_clause 0x4
	buffer_load_dword v101, off, s[0:3], 0 offset:476
	buffer_load_dword v110, off, s[0:3], 0 offset:488
	;; [unrolled: 1-line block ×5, first 2 shown]
	ds_read_b128 v[83:86], v89 offset:864
	s_waitcnt vmcnt(57) lgkmcnt(1)
	v_mul_f64 v[171:172], v[90:91], v[112:113]
	v_mul_f64 v[112:113], v[92:93], v[112:113]
	s_waitcnt vmcnt(56)
	v_fma_f64 v[104:105], v[1:2], v[106:107], -v[104:105]
	v_add_f64 v[94:95], v[94:95], v[102:103]
	v_fma_f64 v[102:103], v[3:4], v[106:107], v[108:109]
	v_add_f64 v[87:88], v[87:88], v[98:99]
	s_clause 0x2
	buffer_load_dword v111, off, s[0:3], 0 offset:492
	buffer_load_dword v99, off, s[0:3], 0 offset:468
	;; [unrolled: 1-line block ×3, first 2 shown]
	s_waitcnt vmcnt(58) lgkmcnt(0)
	v_mul_f64 v[108:109], v[85:86], v[114:115]
	ds_read_b128 v[1:4], v89 offset:880
	s_waitcnt vmcnt(56)
	v_fma_f64 v[112:113], v[90:91], v[118:119], -v[112:113]
	v_mul_f64 v[106:107], v[83:84], v[114:115]
	v_add_f64 v[94:95], v[94:95], v[104:105]
	v_fma_f64 v[104:105], v[92:93], v[118:119], v[171:172]
	v_add_f64 v[87:88], v[87:88], v[102:103]
	s_clause 0x4
	buffer_load_dword v103, off, s[0:3], 0 offset:508
	buffer_load_dword v114, off, s[0:3], 0 offset:520
	buffer_load_dword v118, off, s[0:3], 0 offset:512
	buffer_load_dword v102, off, s[0:3], 0 offset:504
	buffer_load_dword v166, off, s[0:3], 0 offset:484
	s_waitcnt vmcnt(57) lgkmcnt(0)
	v_mul_f64 v[171:172], v[1:2], v[120:121]
	v_mul_f64 v[119:120], v[3:4], v[120:121]
	s_waitcnt vmcnt(56)
	v_fma_f64 v[108:109], v[83:84], v[116:117], -v[108:109]
	ds_read_b128 v[90:93], v89 offset:896
	v_fma_f64 v[106:107], v[85:86], v[116:117], v[106:107]
	v_add_f64 v[94:95], v[94:95], v[112:113]
	v_add_f64 v[87:88], v[87:88], v[104:105]
	s_clause 0x2
	buffer_load_dword v115, off, s[0:3], 0 offset:524
	buffer_load_dword v105, off, s[0:3], 0 offset:500
	buffer_load_dword v104, off, s[0:3], 0 offset:496
	ds_read_b128 v[83:86], v89 offset:912
	s_waitcnt vmcnt(58) lgkmcnt(1)
	v_mul_f64 v[116:117], v[92:93], v[122:123]
	s_waitcnt vmcnt(56)
	v_fma_f64 v[120:121], v[1:2], v[126:127], -v[119:120]
	v_mul_f64 v[112:113], v[90:91], v[122:123]
	v_add_f64 v[94:95], v[94:95], v[108:109]
	v_fma_f64 v[108:109], v[3:4], v[126:127], v[171:172]
	v_add_f64 v[87:88], v[87:88], v[106:107]
	s_clause 0x4
	buffer_load_dword v107, off, s[0:3], 0 offset:540
	buffer_load_dword v122, off, s[0:3], 0 offset:552
	buffer_load_dword v126, off, s[0:3], 0 offset:544
	buffer_load_dword v106, off, s[0:3], 0 offset:536
	buffer_load_dword v119, off, s[0:3], 0 offset:516
	s_waitcnt vmcnt(57) lgkmcnt(0)
	v_mul_f64 v[171:172], v[83:84], v[128:129]
	v_mul_f64 v[127:128], v[85:86], v[128:129]
	s_waitcnt vmcnt(56)
	v_fma_f64 v[116:117], v[90:91], v[124:125], -v[116:117]
	ds_read_b128 v[1:4], v89 offset:928
	v_fma_f64 v[112:113], v[92:93], v[124:125], v[112:113]
	v_add_f64 v[94:95], v[94:95], v[120:121]
	v_add_f64 v[87:88], v[87:88], v[108:109]
	s_clause 0x2
	buffer_load_dword v123, off, s[0:3], 0 offset:556
	buffer_load_dword v109, off, s[0:3], 0 offset:532
	buffer_load_dword v108, off, s[0:3], 0 offset:528
	ds_read_b128 v[90:93], v89 offset:944
	s_waitcnt vmcnt(58) lgkmcnt(1)
	v_mul_f64 v[124:125], v[3:4], v[130:131]
	;; [unrolled: 28-line block ×4, first 2 shown]
	s_waitcnt vmcnt(56)
	v_fma_f64 v[146:147], v[1:2], v[152:153], -v[145:146]
	v_mul_f64 v[136:137], v[90:91], v[148:149]
	v_add_f64 v[94:95], v[94:95], v[132:133]
	v_fma_f64 v[132:133], v[3:4], v[152:153], v[171:172]
	v_add_f64 v[87:88], v[87:88], v[128:129]
	s_clause 0x2
	buffer_load_dword v129, off, s[0:3], 0 offset:636
	buffer_load_dword v128, off, s[0:3], 0 offset:632
	;; [unrolled: 1-line block ×3, first 2 shown]
	s_waitcnt vmcnt(55) lgkmcnt(0)
	v_mul_f64 v[152:153], v[85:86], v[156:157]
	s_waitcnt vmcnt(54)
	v_fma_f64 v[142:143], v[90:91], v[150:151], -v[142:143]
	ds_read_b128 v[1:4], v89 offset:1024
	v_mul_f64 v[148:149], v[83:84], v[156:157]
	v_fma_f64 v[136:137], v[92:93], v[150:151], v[136:137]
	v_add_f64 v[94:95], v[94:95], v[146:147]
	v_add_f64 v[87:88], v[87:88], v[132:133]
	s_clause 0x1
	buffer_load_dword v133, off, s[0:3], 0 offset:628
	buffer_load_dword v132, off, s[0:3], 0 offset:624
	s_waitcnt vmcnt(55) lgkmcnt(0)
	v_mul_f64 v[150:151], v[3:4], v[158:159]
	s_waitcnt vmcnt(53)
	v_fma_f64 v[152:153], v[83:84], v[163:164], -v[152:153]
	ds_read_b128 v[90:93], v89 offset:1040
	v_mul_f64 v[146:147], v[1:2], v[158:159]
	v_add_f64 v[94:95], v[94:95], v[142:143]
	v_fma_f64 v[142:143], v[85:86], v[163:164], v[148:149]
	v_add_f64 v[87:88], v[87:88], v[136:137]
	ds_read_b128 v[83:86], v89 offset:1056
	s_waitcnt vmcnt(49) lgkmcnt(1)
	v_mul_f64 v[148:149], v[92:93], v[154:155]
	s_waitcnt vmcnt(48)
	v_fma_f64 v[150:151], v[1:2], v[160:161], -v[150:151]
	v_mul_f64 v[136:137], v[90:91], v[154:155]
	v_fma_f64 v[146:147], v[3:4], v[160:161], v[146:147]
	v_add_f64 v[94:95], v[94:95], v[152:153]
	v_add_f64 v[87:88], v[87:88], v[142:143]
	s_clause 0x3
	buffer_load_dword v142, off, s[0:3], 0 offset:144
	buffer_load_dword v143, off, s[0:3], 0 offset:148
	;; [unrolled: 1-line block ×4, first 2 shown]
	ds_read_b128 v[1:4], v89 offset:1072
	s_waitcnt vmcnt(51) lgkmcnt(1)
	v_mul_f64 v[156:157], v[85:86], v[167:168]
	v_mul_f64 v[154:155], v[83:84], v[167:168]
	s_waitcnt vmcnt(49)
	v_fma_f64 v[148:149], v[90:91], v[96:97], -v[148:149]
	v_fma_f64 v[96:97], v[92:93], v[96:97], v[136:137]
	ds_read_b128 v[90:93], v89 offset:1088
	v_add_f64 v[94:95], v[94:95], v[150:151]
	v_add_f64 v[87:88], v[87:88], v[146:147]
	s_waitcnt vmcnt(45) lgkmcnt(1)
	v_mul_f64 v[136:137], v[1:2], v[100:101]
	v_mul_f64 v[100:101], v[3:4], v[100:101]
	s_waitcnt vmcnt(44)
	v_fma_f64 v[146:147], v[83:84], v[169:170], -v[156:157]
	v_add_f64 v[94:95], v[94:95], v[148:149]
	v_fma_f64 v[148:149], v[85:86], v[169:170], v[154:155]
	v_add_f64 v[87:88], v[87:88], v[96:97]
	ds_read_b128 v[83:86], v89 offset:1104
	s_waitcnt vmcnt(43) lgkmcnt(1)
	v_mul_f64 v[96:97], v[90:91], v[110:111]
	v_mul_f64 v[110:111], v[92:93], v[110:111]
	s_waitcnt vmcnt(41)
	v_fma_f64 v[100:101], v[1:2], v[98:99], -v[100:101]
	v_fma_f64 v[98:99], v[3:4], v[98:99], v[136:137]
	ds_read_b128 v[1:4], v89 offset:1120
	v_add_f64 v[94:95], v[94:95], v[146:147]
	v_add_f64 v[87:88], v[87:88], v[148:149]
	s_waitcnt vmcnt(37) lgkmcnt(1)
	v_mul_f64 v[136:137], v[83:84], v[102:103]
	v_mul_f64 v[102:103], v[85:86], v[102:103]
	s_waitcnt vmcnt(36)
	v_fma_f64 v[110:111], v[90:91], v[165:166], -v[110:111]
	v_fma_f64 v[96:97], v[92:93], v[165:166], v[96:97]
	ds_read_b128 v[90:93], v89 offset:1136
	v_add_f64 v[94:95], v[94:95], v[100:101]
	v_add_f64 v[87:88], v[87:88], v[98:99]
	;; [unrolled: 9-line block ×5, first 2 shown]
	s_waitcnt vmcnt(21) lgkmcnt(1)
	v_mul_f64 v[100:101], v[3:4], v[112:113]
	s_waitcnt vmcnt(20)
	v_fma_f64 v[104:105], v[83:84], v[126:127], -v[104:105]
	v_mul_f64 v[98:99], v[1:2], v[112:113]
	v_fma_f64 v[102:103], v[85:86], v[126:127], v[102:103]
	ds_read_b128 v[83:86], v89 offset:1200
	v_add_f64 v[94:95], v[94:95], v[106:107]
	v_add_f64 v[87:88], v[87:88], v[96:97]
	s_waitcnt vmcnt(19) lgkmcnt(1)
	v_mul_f64 v[106:107], v[92:93], v[130:131]
	v_mul_f64 v[96:97], v[90:91], v[130:131]
	s_waitcnt vmcnt(17)
	v_fma_f64 v[100:101], v[1:2], v[116:117], -v[100:101]
	v_fma_f64 v[98:99], v[3:4], v[116:117], v[98:99]
	ds_read_b128 v[1:4], v89 offset:1216
	v_add_f64 v[94:95], v[94:95], v[104:105]
	v_add_f64 v[87:88], v[87:88], v[102:103]
	s_waitcnt vmcnt(13) lgkmcnt(1)
	v_mul_f64 v[104:105], v[85:86], v[120:121]
	s_waitcnt vmcnt(12)
	v_fma_f64 v[106:107], v[90:91], v[134:135], -v[106:107]
	v_mul_f64 v[102:103], v[83:84], v[120:121]
	v_fma_f64 v[91:92], v[92:93], v[134:135], v[96:97]
	v_add_f64 v[94:95], v[94:95], v[100:101]
	v_add_f64 v[96:97], v[87:88], v[98:99]
	ds_read_b128 v[87:90], v89 offset:1232
	s_waitcnt vmcnt(11) lgkmcnt(1)
	v_mul_f64 v[100:101], v[3:4], v[140:141]
	v_mul_f64 v[98:99], v[1:2], v[140:141]
	s_waitcnt vmcnt(9)
	v_fma_f64 v[83:84], v[83:84], v[124:125], -v[104:105]
	v_fma_f64 v[85:86], v[85:86], v[124:125], v[102:103]
	v_add_f64 v[93:94], v[94:95], v[106:107]
	v_add_f64 v[91:92], v[96:97], v[91:92]
	s_waitcnt vmcnt(7) lgkmcnt(0)
	v_mul_f64 v[102:103], v[89:90], v[128:129]
	s_waitcnt vmcnt(6)
	v_fma_f64 v[1:2], v[1:2], v[144:145], -v[100:101]
	v_mul_f64 v[95:96], v[87:88], v[128:129]
	v_fma_f64 v[3:4], v[3:4], v[144:145], v[98:99]
	v_add_f64 v[83:84], v[93:94], v[83:84]
	v_add_f64 v[85:86], v[91:92], v[85:86]
	s_waitcnt vmcnt(4)
	v_fma_f64 v[87:88], v[87:88], v[132:133], -v[102:103]
	v_add_f64 v[1:2], v[83:84], v[1:2]
	v_fma_f64 v[83:84], v[89:90], v[132:133], v[95:96]
	v_add_f64 v[3:4], v[85:86], v[3:4]
	v_add_f64 v[1:2], v[1:2], v[87:88]
	;; [unrolled: 1-line block ×3, first 2 shown]
	s_waitcnt vmcnt(2)
	v_add_f64 v[1:2], v[142:143], -v[1:2]
	s_waitcnt vmcnt(0)
	v_add_f64 v[3:4], v[152:153], -v[3:4]
	buffer_store_dword v2, off, s[0:3], 0 offset:148
	buffer_store_dword v1, off, s[0:3], 0 offset:144
	;; [unrolled: 1-line block ×4, first 2 shown]
	v_cmpx_lt_u32_e32 7, v0
	s_cbranch_execz .LBB102_233
; %bb.232:
	v_mov_b32_e32 v4, s44
	v_mov_b32_e32 v83, 0
	s_clause 0x3
	buffer_load_dword v1, v4, s[0:3], 0 offen
	buffer_load_dword v2, v4, s[0:3], 0 offen offset:4
	buffer_load_dword v3, v4, s[0:3], 0 offen offset:8
	;; [unrolled: 1-line block ×3, first 2 shown]
	buffer_store_dword v83, off, s[0:3], 0 offset:128
	buffer_store_dword v83, off, s[0:3], 0 offset:132
	;; [unrolled: 1-line block ×4, first 2 shown]
	s_waitcnt vmcnt(0)
	ds_write_b128 v139, v[1:4]
.LBB102_233:
	s_or_b32 exec_lo, exec_lo, s4
	s_waitcnt lgkmcnt(0)
	s_waitcnt_vscnt null, 0x0
	s_barrier
	buffer_gl0_inv
	s_clause 0x37
	buffer_load_dword v87, off, s[0:3], 0 offset:152
	buffer_load_dword v88, off, s[0:3], 0 offset:156
	;; [unrolled: 1-line block ×56, first 2 shown]
	v_mov_b32_e32 v107, 0
	s_mov_b32 s4, exec_lo
	ds_read_b128 v[95:98], v107 offset:752
	s_clause 0x2
	buffer_load_dword v149, off, s[0:3], 0 offset:380
	buffer_load_dword v153, off, s[0:3], 0 offset:356
	;; [unrolled: 1-line block ×3, first 2 shown]
	ds_read_b128 v[99:102], v107 offset:768
	s_clause 0x4
	buffer_load_dword v157, off, s[0:3], 0 offset:396
	buffer_load_dword v158, off, s[0:3], 0 offset:408
	;; [unrolled: 1-line block ×5, first 2 shown]
	ds_read_b128 v[103:106], v107 offset:784
	s_clause 0x2
	buffer_load_dword v159, off, s[0:3], 0 offset:412
	buffer_load_dword v164, off, s[0:3], 0 offset:388
	;; [unrolled: 1-line block ×3, first 2 shown]
	s_waitcnt vmcnt(62) lgkmcnt(2)
	v_mul_f64 v[154:155], v[97:98], v[87:88]
	v_mul_f64 v[87:88], v[95:96], v[87:88]
	s_waitcnt lgkmcnt(1)
	v_mul_f64 v[161:162], v[101:102], v[83:84]
	s_waitcnt vmcnt(59) lgkmcnt(0)
	v_mul_f64 v[165:166], v[105:106], v[3:4]
	v_fma_f64 v[95:96], v[95:96], v[85:86], -v[154:155]
	v_mul_f64 v[154:155], v[99:100], v[83:84]
	v_fma_f64 v[87:88], v[97:98], v[85:86], v[87:88]
	s_waitcnt vmcnt(57)
	v_fma_f64 v[99:100], v[99:100], v[1:2], -v[161:162]
	ds_read_b128 v[83:86], v107 offset:800
	v_mul_f64 v[97:98], v[103:104], v[3:4]
	s_waitcnt vmcnt(51)
	v_fma_f64 v[103:104], v[103:104], v[110:111], -v[165:166]
	v_add_f64 v[95:96], v[95:96], 0
	v_fma_f64 v[101:102], v[101:102], v[1:2], v[154:155]
	v_add_f64 v[87:88], v[87:88], 0
	s_clause 0x4
	buffer_load_dword v155, off, s[0:3], 0 offset:428
	buffer_load_dword v167, off, s[0:3], 0 offset:440
	;; [unrolled: 1-line block ×5, first 2 shown]
	s_waitcnt lgkmcnt(0)
	v_mul_f64 v[170:171], v[83:84], v[91:92]
	v_mul_f64 v[91:92], v[85:86], v[91:92]
	ds_read_b128 v[1:4], v107 offset:816
	v_fma_f64 v[105:106], v[105:106], v[110:111], v[97:98]
	v_add_f64 v[99:100], v[95:96], v[99:100]
	v_add_f64 v[87:88], v[87:88], v[101:102]
	s_clause 0x2
	buffer_load_dword v168, off, s[0:3], 0 offset:444
	buffer_load_dword v102, off, s[0:3], 0 offset:420
	;; [unrolled: 1-line block ×3, first 2 shown]
	s_waitcnt vmcnt(58) lgkmcnt(0)
	v_mul_f64 v[110:111], v[1:2], v[108:109]
	v_mul_f64 v[108:109], v[3:4], v[108:109]
	s_waitcnt vmcnt(56)
	v_fma_f64 v[91:92], v[83:84], v[112:113], -v[91:92]
	ds_read_b128 v[95:98], v107 offset:832
	v_add_f64 v[99:100], v[99:100], v[103:104]
	v_fma_f64 v[103:104], v[85:86], v[112:113], v[170:171]
	v_add_f64 v[87:88], v[87:88], v[105:106]
	s_clause 0x4
	buffer_load_dword v106, off, s[0:3], 0 offset:460
	buffer_load_dword v112, off, s[0:3], 0 offset:472
	;; [unrolled: 1-line block ×5, first 2 shown]
	ds_read_b128 v[83:86], v107 offset:848
	s_waitcnt vmcnt(57) lgkmcnt(1)
	v_mul_f64 v[171:172], v[95:96], v[114:115]
	v_mul_f64 v[114:115], v[97:98], v[114:115]
	s_waitcnt vmcnt(56)
	v_fma_f64 v[108:109], v[1:2], v[89:90], -v[108:109]
	v_fma_f64 v[89:90], v[3:4], v[89:90], v[110:111]
	v_add_f64 v[91:92], v[99:100], v[91:92]
	s_clause 0x2
	buffer_load_dword v113, off, s[0:3], 0 offset:476
	buffer_load_dword v100, off, s[0:3], 0 offset:452
	;; [unrolled: 1-line block ×3, first 2 shown]
	v_add_f64 v[87:88], v[87:88], v[103:104]
	s_waitcnt vmcnt(58) lgkmcnt(0)
	v_mul_f64 v[110:111], v[85:86], v[116:117]
	ds_read_b128 v[1:4], v107 offset:864
	v_mul_f64 v[103:104], v[83:84], v[116:117]
	s_waitcnt vmcnt(56)
	v_fma_f64 v[95:96], v[95:96], v[118:119], -v[114:115]
	v_fma_f64 v[97:98], v[97:98], v[118:119], v[171:172]
	s_clause 0x4
	buffer_load_dword v115, off, s[0:3], 0 offset:492
	buffer_load_dword v116, off, s[0:3], 0 offset:504
	;; [unrolled: 1-line block ×5, first 2 shown]
	v_add_f64 v[91:92], v[91:92], v[108:109]
	v_add_f64 v[108:109], v[87:88], v[89:90]
	s_waitcnt vmcnt(57) lgkmcnt(0)
	v_mul_f64 v[171:172], v[1:2], v[120:121]
	v_mul_f64 v[119:120], v[3:4], v[120:121]
	s_waitcnt vmcnt(56)
	v_fma_f64 v[110:111], v[83:84], v[93:94], -v[110:111]
	ds_read_b128 v[87:90], v107 offset:880
	v_fma_f64 v[93:94], v[85:86], v[93:94], v[103:104]
	v_add_f64 v[91:92], v[91:92], v[95:96]
	v_add_f64 v[95:96], v[108:109], v[97:98]
	s_clause 0x2
	buffer_load_dword v117, off, s[0:3], 0 offset:508
	buffer_load_dword v98, off, s[0:3], 0 offset:484
	;; [unrolled: 1-line block ×3, first 2 shown]
	s_waitcnt vmcnt(58) lgkmcnt(0)
	v_mul_f64 v[108:109], v[89:90], v[122:123]
	s_waitcnt vmcnt(56)
	v_fma_f64 v[120:121], v[1:2], v[126:127], -v[119:120]
	ds_read_b128 v[83:86], v107 offset:896
	v_mul_f64 v[103:104], v[87:88], v[122:123]
	v_add_f64 v[91:92], v[91:92], v[110:111]
	v_fma_f64 v[110:111], v[3:4], v[126:127], v[171:172]
	v_add_f64 v[93:94], v[95:96], v[93:94]
	s_clause 0x4
	buffer_load_dword v96, off, s[0:3], 0 offset:524
	buffer_load_dword v122, off, s[0:3], 0 offset:536
	buffer_load_dword v126, off, s[0:3], 0 offset:528
	buffer_load_dword v95, off, s[0:3], 0 offset:520
	buffer_load_dword v119, off, s[0:3], 0 offset:500
	s_waitcnt vmcnt(57) lgkmcnt(0)
	v_mul_f64 v[171:172], v[83:84], v[128:129]
	v_mul_f64 v[127:128], v[85:86], v[128:129]
	s_waitcnt vmcnt(56)
	v_fma_f64 v[108:109], v[87:88], v[124:125], -v[108:109]
	ds_read_b128 v[1:4], v107 offset:912
	v_fma_f64 v[103:104], v[89:90], v[124:125], v[103:104]
	v_add_f64 v[91:92], v[91:92], v[120:121]
	v_add_f64 v[93:94], v[93:94], v[110:111]
	s_clause 0x2
	buffer_load_dword v123, off, s[0:3], 0 offset:540
	buffer_load_dword v111, off, s[0:3], 0 offset:516
	buffer_load_dword v110, off, s[0:3], 0 offset:512
	ds_read_b128 v[87:90], v107 offset:928
	s_waitcnt vmcnt(58) lgkmcnt(1)
	v_mul_f64 v[124:125], v[3:4], v[130:131]
	s_waitcnt vmcnt(56)
	v_fma_f64 v[128:129], v[83:84], v[134:135], -v[127:128]
	v_mul_f64 v[120:121], v[1:2], v[130:131]
	v_add_f64 v[91:92], v[91:92], v[108:109]
	v_fma_f64 v[108:109], v[85:86], v[134:135], v[171:172]
	v_add_f64 v[93:94], v[93:94], v[103:104]
	s_clause 0x4
	buffer_load_dword v104, off, s[0:3], 0 offset:556
	buffer_load_dword v130, off, s[0:3], 0 offset:568
	buffer_load_dword v134, off, s[0:3], 0 offset:560
	buffer_load_dword v103, off, s[0:3], 0 offset:552
	buffer_load_dword v127, off, s[0:3], 0 offset:532
	s_waitcnt vmcnt(57) lgkmcnt(0)
	v_mul_f64 v[171:172], v[87:88], v[136:137]
	v_mul_f64 v[135:136], v[89:90], v[136:137]
	s_waitcnt vmcnt(56)
	v_fma_f64 v[124:125], v[1:2], v[132:133], -v[124:125]
	ds_read_b128 v[83:86], v107 offset:944
	v_fma_f64 v[120:121], v[3:4], v[132:133], v[120:121]
	v_add_f64 v[91:92], v[91:92], v[128:129]
	v_add_f64 v[93:94], v[93:94], v[108:109]
	s_clause 0x2
	buffer_load_dword v131, off, s[0:3], 0 offset:572
	buffer_load_dword v109, off, s[0:3], 0 offset:548
	buffer_load_dword v108, off, s[0:3], 0 offset:544
	ds_read_b128 v[1:4], v107 offset:960
	s_waitcnt vmcnt(58) lgkmcnt(1)
	v_mul_f64 v[132:133], v[85:86], v[140:141]
	s_waitcnt vmcnt(56)
	v_fma_f64 v[136:137], v[87:88], v[144:145], -v[135:136]
	;; [unrolled: 28-line block ×4, first 2 shown]
	v_mul_f64 v[146:147], v[1:2], v[158:159]
	buffer_load_dword v153, off, s[0:3], 0 offset:628
	v_add_f64 v[91:92], v[91:92], v[142:143]
	v_fma_f64 v[142:143], v[85:86], v[163:164], v[171:172]
	v_add_f64 v[93:94], v[93:94], v[136:137]
	ds_read_b128 v[83:86], v107 offset:1040
	s_waitcnt vmcnt(53) lgkmcnt(1)
	v_mul_f64 v[136:137], v[87:88], v[154:155]
	v_mul_f64 v[154:155], v[89:90], v[154:155]
	s_waitcnt vmcnt(52)
	v_fma_f64 v[150:151], v[1:2], v[160:161], -v[150:151]
	v_fma_f64 v[146:147], v[3:4], v[160:161], v[146:147]
	ds_read_b128 v[1:4], v107 offset:1056
	v_add_f64 v[91:92], v[91:92], v[156:157]
	v_add_f64 v[93:94], v[93:94], v[142:143]
	s_waitcnt vmcnt(51) lgkmcnt(1)
	v_mul_f64 v[156:157], v[85:86], v[167:168]
	v_mul_f64 v[142:143], v[83:84], v[167:168]
	s_waitcnt vmcnt(49)
	v_fma_f64 v[154:155], v[87:88], v[101:102], -v[154:155]
	v_fma_f64 v[101:102], v[89:90], v[101:102], v[136:137]
	v_add_f64 v[91:92], v[91:92], v[150:151]
	v_add_f64 v[93:94], v[93:94], v[146:147]
	s_clause 0x3
	buffer_load_dword v136, off, s[0:3], 0 offset:128
	buffer_load_dword v137, off, s[0:3], 0 offset:132
	;; [unrolled: 1-line block ×4, first 2 shown]
	ds_read_b128 v[87:90], v107 offset:1072
	s_waitcnt vmcnt(49) lgkmcnt(1)
	v_mul_f64 v[150:151], v[1:2], v[105:106]
	v_mul_f64 v[105:106], v[3:4], v[105:106]
	s_waitcnt vmcnt(48)
	v_fma_f64 v[156:157], v[83:84], v[169:170], -v[156:157]
	v_fma_f64 v[142:143], v[85:86], v[169:170], v[142:143]
	ds_read_b128 v[83:86], v107 offset:1088
	v_add_f64 v[91:92], v[91:92], v[154:155]
	v_add_f64 v[93:94], v[93:94], v[101:102]
	s_waitcnt vmcnt(47) lgkmcnt(1)
	v_mul_f64 v[101:102], v[87:88], v[112:113]
	v_mul_f64 v[112:113], v[89:90], v[112:113]
	s_waitcnt vmcnt(45)
	v_fma_f64 v[105:106], v[1:2], v[99:100], -v[105:106]
	v_fma_f64 v[99:100], v[3:4], v[99:100], v[150:151]
	ds_read_b128 v[1:4], v107 offset:1104
	v_add_f64 v[91:92], v[91:92], v[156:157]
	v_add_f64 v[93:94], v[93:94], v[142:143]
	s_waitcnt vmcnt(41) lgkmcnt(1)
	v_mul_f64 v[142:143], v[83:84], v[114:115]
	v_mul_f64 v[114:115], v[85:86], v[114:115]
	s_waitcnt vmcnt(40)
	v_fma_f64 v[101:102], v[89:90], v[165:166], v[101:102]
	v_fma_f64 v[112:113], v[87:88], v[165:166], -v[112:113]
	ds_read_b128 v[87:90], v107 offset:1120
	v_add_f64 v[91:92], v[91:92], v[105:106]
	v_add_f64 v[93:94], v[93:94], v[99:100]
	s_waitcnt vmcnt(39) lgkmcnt(1)
	v_mul_f64 v[105:106], v[3:4], v[116:117]
	v_mul_f64 v[99:100], v[1:2], v[116:117]
	s_waitcnt vmcnt(37)
	v_fma_f64 v[114:115], v[83:84], v[97:98], -v[114:115]
	v_fma_f64 v[97:98], v[85:86], v[97:98], v[142:143]
	ds_read_b128 v[83:86], v107 offset:1136
	v_add_f64 v[91:92], v[91:92], v[112:113]
	v_add_f64 v[93:94], v[93:94], v[101:102]
	s_waitcnt vmcnt(33) lgkmcnt(1)
	v_mul_f64 v[101:102], v[87:88], v[95:96]
	v_mul_f64 v[95:96], v[89:90], v[95:96]
	s_waitcnt vmcnt(32)
	v_fma_f64 v[105:106], v[1:2], v[118:119], -v[105:106]
	v_fma_f64 v[99:100], v[3:4], v[118:119], v[99:100]
	ds_read_b128 v[1:4], v107 offset:1152
	v_add_f64 v[91:92], v[91:92], v[114:115]
	v_add_f64 v[93:94], v[93:94], v[97:98]
	s_waitcnt vmcnt(31) lgkmcnt(1)
	v_mul_f64 v[112:113], v[85:86], v[122:123]
	v_mul_f64 v[97:98], v[83:84], v[122:123]
	s_waitcnt vmcnt(29)
	v_fma_f64 v[95:96], v[87:88], v[110:111], -v[95:96]
	v_fma_f64 v[101:102], v[89:90], v[110:111], v[101:102]
	ds_read_b128 v[87:90], v107 offset:1168
	v_add_f64 v[91:92], v[91:92], v[105:106]
	v_add_f64 v[93:94], v[93:94], v[99:100]
	s_waitcnt vmcnt(25) lgkmcnt(1)
	v_mul_f64 v[99:100], v[1:2], v[103:104]
	v_mul_f64 v[103:104], v[3:4], v[103:104]
	s_waitcnt vmcnt(24)
	v_fma_f64 v[105:106], v[83:84], v[126:127], -v[112:113]
	v_add_f64 v[91:92], v[91:92], v[95:96]
	v_fma_f64 v[95:96], v[85:86], v[126:127], v[97:98]
	v_add_f64 v[93:94], v[93:94], v[101:102]
	ds_read_b128 v[83:86], v107 offset:1184
	s_waitcnt vmcnt(23) lgkmcnt(1)
	v_mul_f64 v[101:102], v[89:90], v[130:131]
	v_mul_f64 v[97:98], v[87:88], v[130:131]
	s_waitcnt vmcnt(21)
	v_fma_f64 v[103:104], v[1:2], v[108:109], -v[103:104]
	v_fma_f64 v[99:100], v[3:4], v[108:109], v[99:100]
	ds_read_b128 v[1:4], v107 offset:1200
	v_add_f64 v[91:92], v[91:92], v[105:106]
	v_add_f64 v[93:94], v[93:94], v[95:96]
	s_waitcnt vmcnt(17) lgkmcnt(1)
	v_mul_f64 v[105:106], v[85:86], v[120:121]
	s_waitcnt vmcnt(16)
	v_fma_f64 v[101:102], v[87:88], v[134:135], -v[101:102]
	v_mul_f64 v[95:96], v[83:84], v[120:121]
	v_fma_f64 v[97:98], v[89:90], v[134:135], v[97:98]
	ds_read_b128 v[87:90], v107 offset:1216
	v_add_f64 v[91:92], v[91:92], v[103:104]
	v_add_f64 v[93:94], v[93:94], v[99:100]
	s_waitcnt vmcnt(15) lgkmcnt(1)
	v_mul_f64 v[103:104], v[3:4], v[140:141]
	v_mul_f64 v[99:100], v[1:2], v[140:141]
	s_waitcnt vmcnt(13)
	v_fma_f64 v[105:106], v[83:84], v[124:125], -v[105:106]
	v_fma_f64 v[95:96], v[85:86], v[124:125], v[95:96]
	ds_read_b128 v[83:86], v107 offset:1232
	v_add_f64 v[91:92], v[91:92], v[101:102]
	v_add_f64 v[93:94], v[93:94], v[97:98]
	s_waitcnt vmcnt(9) lgkmcnt(1)
	v_mul_f64 v[101:102], v[89:90], v[128:129]
	s_waitcnt vmcnt(8)
	v_fma_f64 v[1:2], v[1:2], v[144:145], -v[103:104]
	v_mul_f64 v[97:98], v[87:88], v[128:129]
	v_fma_f64 v[3:4], v[3:4], v[144:145], v[99:100]
	v_add_f64 v[91:92], v[91:92], v[105:106]
	v_add_f64 v[93:94], v[93:94], v[95:96]
	s_waitcnt vmcnt(7) lgkmcnt(0)
	v_mul_f64 v[99:100], v[85:86], v[148:149]
	v_mul_f64 v[95:96], v[83:84], v[148:149]
	s_waitcnt vmcnt(5)
	v_fma_f64 v[87:88], v[87:88], v[132:133], -v[101:102]
	v_fma_f64 v[89:90], v[89:90], v[132:133], v[97:98]
	v_add_f64 v[1:2], v[91:92], v[1:2]
	v_add_f64 v[3:4], v[93:94], v[3:4]
	s_waitcnt vmcnt(4)
	v_fma_f64 v[83:84], v[83:84], v[152:153], -v[99:100]
	v_fma_f64 v[85:86], v[85:86], v[152:153], v[95:96]
	v_add_f64 v[1:2], v[1:2], v[87:88]
	v_add_f64 v[3:4], v[3:4], v[89:90]
	;; [unrolled: 1-line block ×4, first 2 shown]
	s_waitcnt vmcnt(2)
	v_add_f64 v[1:2], v[136:137], -v[1:2]
	s_waitcnt vmcnt(0)
	v_add_f64 v[3:4], v[146:147], -v[3:4]
	buffer_store_dword v2, off, s[0:3], 0 offset:132
	buffer_store_dword v1, off, s[0:3], 0 offset:128
	;; [unrolled: 1-line block ×4, first 2 shown]
	v_cmpx_lt_u32_e32 6, v0
	s_cbranch_execz .LBB102_235
; %bb.234:
	v_mov_b32_e32 v4, s45
	s_clause 0x3
	buffer_load_dword v1, v4, s[0:3], 0 offen
	buffer_load_dword v2, v4, s[0:3], 0 offen offset:4
	buffer_load_dword v3, v4, s[0:3], 0 offen offset:8
	;; [unrolled: 1-line block ×3, first 2 shown]
	buffer_store_dword v107, off, s[0:3], 0 offset:112
	buffer_store_dword v107, off, s[0:3], 0 offset:116
	;; [unrolled: 1-line block ×4, first 2 shown]
	s_waitcnt vmcnt(0)
	ds_write_b128 v139, v[1:4]
.LBB102_235:
	s_or_b32 exec_lo, exec_lo, s4
	s_waitcnt lgkmcnt(0)
	s_waitcnt_vscnt null, 0x0
	s_barrier
	buffer_gl0_inv
	s_clause 0x37
	buffer_load_dword v87, off, s[0:3], 0 offset:136
	buffer_load_dword v88, off, s[0:3], 0 offset:140
	;; [unrolled: 1-line block ×56, first 2 shown]
	ds_read_b128 v[108:111], v107 offset:736
	s_clause 0x2
	buffer_load_dword v149, off, s[0:3], 0 offset:364
	buffer_load_dword v153, off, s[0:3], 0 offset:340
	;; [unrolled: 1-line block ×3, first 2 shown]
	ds_read_b128 v[112:115], v107 offset:752
	s_clause 0x4
	buffer_load_dword v157, off, s[0:3], 0 offset:380
	buffer_load_dword v158, off, s[0:3], 0 offset:392
	;; [unrolled: 1-line block ×5, first 2 shown]
	ds_read_b128 v[116:119], v107 offset:768
	s_clause 0x2
	buffer_load_dword v159, off, s[0:3], 0 offset:396
	buffer_load_dword v164, off, s[0:3], 0 offset:372
	;; [unrolled: 1-line block ×3, first 2 shown]
	s_mov_b32 s4, exec_lo
	s_waitcnt vmcnt(62) lgkmcnt(2)
	v_mul_f64 v[154:155], v[110:111], v[87:88]
	v_mul_f64 v[87:88], v[108:109], v[87:88]
	s_waitcnt lgkmcnt(1)
	v_mul_f64 v[161:162], v[114:115], v[83:84]
	s_waitcnt vmcnt(59) lgkmcnt(0)
	v_mul_f64 v[165:166], v[118:119], v[3:4]
	v_fma_f64 v[108:109], v[108:109], v[85:86], -v[154:155]
	v_mul_f64 v[154:155], v[112:113], v[83:84]
	v_fma_f64 v[87:88], v[110:111], v[85:86], v[87:88]
	s_waitcnt vmcnt(57)
	v_fma_f64 v[112:113], v[112:113], v[1:2], -v[161:162]
	ds_read_b128 v[83:86], v107 offset:784
	v_mul_f64 v[110:111], v[116:117], v[3:4]
	s_waitcnt vmcnt(51)
	v_fma_f64 v[116:117], v[116:117], v[103:104], -v[165:166]
	v_add_f64 v[108:109], v[108:109], 0
	v_fma_f64 v[114:115], v[114:115], v[1:2], v[154:155]
	v_add_f64 v[87:88], v[87:88], 0
	s_clause 0x4
	buffer_load_dword v155, off, s[0:3], 0 offset:412
	buffer_load_dword v167, off, s[0:3], 0 offset:424
	buffer_load_dword v169, off, s[0:3], 0 offset:416
	buffer_load_dword v154, off, s[0:3], 0 offset:408
	buffer_load_dword v161, off, s[0:3], 0 offset:388
	s_waitcnt lgkmcnt(0)
	v_mul_f64 v[170:171], v[83:84], v[91:92]
	v_mul_f64 v[91:92], v[85:86], v[91:92]
	ds_read_b128 v[1:4], v107 offset:800
	v_fma_f64 v[103:104], v[118:119], v[103:104], v[110:111]
	v_add_f64 v[112:113], v[108:109], v[112:113]
	v_add_f64 v[87:88], v[87:88], v[114:115]
	s_clause 0x2
	buffer_load_dword v168, off, s[0:3], 0 offset:428
	buffer_load_dword v115, off, s[0:3], 0 offset:404
	;; [unrolled: 1-line block ×3, first 2 shown]
	s_waitcnt vmcnt(58) lgkmcnt(0)
	v_mul_f64 v[118:119], v[1:2], v[95:96]
	v_mul_f64 v[95:96], v[3:4], v[95:96]
	s_waitcnt vmcnt(56)
	v_fma_f64 v[91:92], v[83:84], v[97:98], -v[91:92]
	ds_read_b128 v[108:111], v107 offset:816
	v_fma_f64 v[97:98], v[85:86], v[97:98], v[170:171]
	v_add_f64 v[112:113], v[112:113], v[116:117]
	v_add_f64 v[87:88], v[87:88], v[103:104]
	s_clause 0x4
	buffer_load_dword v104, off, s[0:3], 0 offset:444
	buffer_load_dword v116, off, s[0:3], 0 offset:456
	buffer_load_dword v165, off, s[0:3], 0 offset:448
	buffer_load_dword v103, off, s[0:3], 0 offset:440
	buffer_load_dword v170, off, s[0:3], 0 offset:420
	ds_read_b128 v[83:86], v107 offset:832
	s_waitcnt vmcnt(57) lgkmcnt(1)
	v_mul_f64 v[171:172], v[108:109], v[99:100]
	v_mul_f64 v[99:100], v[110:111], v[99:100]
	s_waitcnt vmcnt(56)
	v_fma_f64 v[95:96], v[1:2], v[89:90], -v[95:96]
	v_fma_f64 v[89:90], v[3:4], v[89:90], v[118:119]
	v_add_f64 v[91:92], v[112:113], v[91:92]
	v_add_f64 v[87:88], v[87:88], v[97:98]
	s_clause 0x2
	buffer_load_dword v117, off, s[0:3], 0 offset:460
	buffer_load_dword v98, off, s[0:3], 0 offset:436
	;; [unrolled: 1-line block ×3, first 2 shown]
	s_waitcnt vmcnt(58) lgkmcnt(0)
	v_mul_f64 v[112:113], v[83:84], v[105:106]
	v_mul_f64 v[105:106], v[85:86], v[105:106]
	s_waitcnt vmcnt(56)
	v_fma_f64 v[99:100], v[108:109], v[120:121], -v[99:100]
	ds_read_b128 v[1:4], v107 offset:848
	v_add_f64 v[91:92], v[91:92], v[95:96]
	v_fma_f64 v[95:96], v[110:111], v[120:121], v[171:172]
	v_add_f64 v[108:109], v[87:88], v[89:90]
	s_clause 0x4
	buffer_load_dword v111, off, s[0:3], 0 offset:476
	buffer_load_dword v118, off, s[0:3], 0 offset:488
	;; [unrolled: 1-line block ×5, first 2 shown]
	ds_read_b128 v[87:90], v107 offset:864
	s_waitcnt vmcnt(57) lgkmcnt(1)
	v_mul_f64 v[171:172], v[1:2], v[122:123]
	v_mul_f64 v[121:122], v[3:4], v[122:123]
	s_waitcnt vmcnt(56)
	v_fma_f64 v[105:106], v[83:84], v[93:94], -v[105:106]
	v_fma_f64 v[93:94], v[85:86], v[93:94], v[112:113]
	v_add_f64 v[91:92], v[91:92], v[99:100]
	s_clause 0x2
	buffer_load_dword v119, off, s[0:3], 0 offset:492
	buffer_load_dword v100, off, s[0:3], 0 offset:468
	;; [unrolled: 1-line block ×3, first 2 shown]
	v_add_f64 v[95:96], v[108:109], v[95:96]
	s_waitcnt vmcnt(58) lgkmcnt(0)
	v_mul_f64 v[112:113], v[89:90], v[124:125]
	ds_read_b128 v[83:86], v107 offset:880
	v_mul_f64 v[108:109], v[87:88], v[124:125]
	s_waitcnt vmcnt(56)
	v_fma_f64 v[122:123], v[1:2], v[126:127], -v[121:122]
	v_add_f64 v[91:92], v[91:92], v[105:106]
	v_fma_f64 v[105:106], v[3:4], v[126:127], v[171:172]
	v_add_f64 v[93:94], v[95:96], v[93:94]
	s_clause 0x4
	buffer_load_dword v96, off, s[0:3], 0 offset:508
	buffer_load_dword v124, off, s[0:3], 0 offset:520
	buffer_load_dword v126, off, s[0:3], 0 offset:512
	buffer_load_dword v95, off, s[0:3], 0 offset:504
	buffer_load_dword v121, off, s[0:3], 0 offset:484
	s_waitcnt vmcnt(57) lgkmcnt(0)
	v_mul_f64 v[171:172], v[83:84], v[128:129]
	v_mul_f64 v[127:128], v[85:86], v[128:129]
	s_waitcnt vmcnt(56)
	v_fma_f64 v[112:113], v[87:88], v[101:102], -v[112:113]
	ds_read_b128 v[1:4], v107 offset:896
	v_fma_f64 v[101:102], v[89:90], v[101:102], v[108:109]
	v_add_f64 v[91:92], v[91:92], v[122:123]
	v_add_f64 v[93:94], v[93:94], v[105:106]
	s_clause 0x2
	buffer_load_dword v125, off, s[0:3], 0 offset:524
	buffer_load_dword v106, off, s[0:3], 0 offset:500
	buffer_load_dword v105, off, s[0:3], 0 offset:496
	ds_read_b128 v[87:90], v107 offset:912
	s_waitcnt vmcnt(58) lgkmcnt(1)
	v_mul_f64 v[122:123], v[3:4], v[130:131]
	s_waitcnt vmcnt(56)
	v_fma_f64 v[128:129], v[83:84], v[134:135], -v[127:128]
	v_mul_f64 v[108:109], v[1:2], v[130:131]
	v_add_f64 v[91:92], v[91:92], v[112:113]
	v_fma_f64 v[112:113], v[85:86], v[134:135], v[171:172]
	v_add_f64 v[93:94], v[93:94], v[101:102]
	s_clause 0x4
	buffer_load_dword v102, off, s[0:3], 0 offset:540
	buffer_load_dword v130, off, s[0:3], 0 offset:552
	buffer_load_dword v134, off, s[0:3], 0 offset:544
	buffer_load_dword v101, off, s[0:3], 0 offset:536
	buffer_load_dword v127, off, s[0:3], 0 offset:516
	s_waitcnt vmcnt(57) lgkmcnt(0)
	v_mul_f64 v[171:172], v[87:88], v[136:137]
	v_mul_f64 v[135:136], v[89:90], v[136:137]
	s_waitcnt vmcnt(56)
	v_fma_f64 v[122:123], v[1:2], v[132:133], -v[122:123]
	ds_read_b128 v[83:86], v107 offset:928
	v_fma_f64 v[108:109], v[3:4], v[132:133], v[108:109]
	v_add_f64 v[91:92], v[91:92], v[128:129]
	v_add_f64 v[93:94], v[93:94], v[112:113]
	s_clause 0x2
	buffer_load_dword v131, off, s[0:3], 0 offset:556
	buffer_load_dword v113, off, s[0:3], 0 offset:532
	buffer_load_dword v112, off, s[0:3], 0 offset:528
	ds_read_b128 v[1:4], v107 offset:944
	s_waitcnt vmcnt(58) lgkmcnt(1)
	v_mul_f64 v[132:133], v[85:86], v[140:141]
	s_waitcnt vmcnt(56)
	v_fma_f64 v[136:137], v[87:88], v[144:145], -v[135:136]
	v_mul_f64 v[128:129], v[83:84], v[140:141]
	;; [unrolled: 28-line block ×4, first 2 shown]
	v_add_f64 v[91:92], v[91:92], v[142:143]
	v_fma_f64 v[142:143], v[85:86], v[163:164], v[171:172]
	v_add_f64 v[93:94], v[93:94], v[136:137]
	s_clause 0x2
	buffer_load_dword v137, off, s[0:3], 0 offset:636
	buffer_load_dword v136, off, s[0:3], 0 offset:632
	buffer_load_dword v153, off, s[0:3], 0 offset:612
	ds_read_b128 v[83:86], v107 offset:1024
	s_waitcnt vmcnt(55) lgkmcnt(1)
	v_mul_f64 v[158:159], v[87:88], v[154:155]
	v_mul_f64 v[154:155], v[89:90], v[154:155]
	s_waitcnt vmcnt(54)
	v_fma_f64 v[150:151], v[1:2], v[160:161], -v[150:151]
	v_fma_f64 v[146:147], v[3:4], v[160:161], v[146:147]
	v_add_f64 v[91:92], v[91:92], v[156:157]
	v_add_f64 v[93:94], v[93:94], v[142:143]
	s_clause 0x1
	buffer_load_dword v143, off, s[0:3], 0 offset:628
	buffer_load_dword v142, off, s[0:3], 0 offset:624
	ds_read_b128 v[1:4], v107 offset:1040
	s_waitcnt vmcnt(55) lgkmcnt(1)
	v_mul_f64 v[160:161], v[85:86], v[167:168]
	v_mul_f64 v[156:157], v[83:84], v[167:168]
	s_waitcnt vmcnt(53)
	v_fma_f64 v[154:155], v[87:88], v[114:115], -v[154:155]
	v_fma_f64 v[114:115], v[89:90], v[114:115], v[158:159]
	ds_read_b128 v[87:90], v107 offset:1056
	v_add_f64 v[91:92], v[91:92], v[150:151]
	v_add_f64 v[93:94], v[93:94], v[146:147]
	s_waitcnt vmcnt(49) lgkmcnt(1)
	v_mul_f64 v[146:147], v[1:2], v[103:104]
	v_mul_f64 v[103:104], v[3:4], v[103:104]
	s_waitcnt vmcnt(48)
	v_fma_f64 v[150:151], v[83:84], v[169:170], -v[160:161]
	v_add_f64 v[91:92], v[91:92], v[154:155]
	v_fma_f64 v[154:155], v[85:86], v[169:170], v[156:157]
	v_add_f64 v[93:94], v[93:94], v[114:115]
	s_clause 0x3
	buffer_load_dword v114, off, s[0:3], 0 offset:112
	buffer_load_dword v115, off, s[0:3], 0 offset:116
	;; [unrolled: 1-line block ×4, first 2 shown]
	ds_read_b128 v[83:86], v107 offset:1072
	s_waitcnt vmcnt(51) lgkmcnt(1)
	v_mul_f64 v[158:159], v[87:88], v[116:117]
	v_mul_f64 v[116:117], v[89:90], v[116:117]
	s_waitcnt vmcnt(49)
	v_fma_f64 v[103:104], v[1:2], v[97:98], -v[103:104]
	v_fma_f64 v[97:98], v[3:4], v[97:98], v[146:147]
	ds_read_b128 v[1:4], v107 offset:1088
	v_add_f64 v[91:92], v[91:92], v[150:151]
	v_add_f64 v[93:94], v[93:94], v[154:155]
	s_waitcnt vmcnt(45) lgkmcnt(1)
	v_mul_f64 v[146:147], v[83:84], v[110:111]
	v_mul_f64 v[110:111], v[85:86], v[110:111]
	s_waitcnt vmcnt(44)
	v_fma_f64 v[116:117], v[87:88], v[165:166], -v[116:117]
	v_add_f64 v[91:92], v[91:92], v[103:104]
	v_fma_f64 v[103:104], v[89:90], v[165:166], v[158:159]
	v_add_f64 v[93:94], v[93:94], v[97:98]
	ds_read_b128 v[87:90], v107 offset:1104
	s_waitcnt vmcnt(43) lgkmcnt(1)
	v_mul_f64 v[97:98], v[1:2], v[118:119]
	v_mul_f64 v[118:119], v[3:4], v[118:119]
	s_waitcnt vmcnt(41)
	v_fma_f64 v[110:111], v[83:84], v[99:100], -v[110:111]
	v_fma_f64 v[99:100], v[85:86], v[99:100], v[146:147]
	ds_read_b128 v[83:86], v107 offset:1120
	v_add_f64 v[91:92], v[91:92], v[116:117]
	v_add_f64 v[93:94], v[93:94], v[103:104]
	s_waitcnt vmcnt(37) lgkmcnt(1)
	v_mul_f64 v[103:104], v[87:88], v[95:96]
	v_mul_f64 v[95:96], v[89:90], v[95:96]
	s_waitcnt vmcnt(36)
	v_fma_f64 v[116:117], v[1:2], v[120:121], -v[118:119]
	v_fma_f64 v[97:98], v[3:4], v[120:121], v[97:98]
	ds_read_b128 v[1:4], v107 offset:1136
	v_add_f64 v[91:92], v[91:92], v[110:111]
	v_add_f64 v[93:94], v[93:94], v[99:100]
	;; [unrolled: 9-line block ×3, first 2 shown]
	s_waitcnt vmcnt(29) lgkmcnt(1)
	v_mul_f64 v[97:98], v[1:2], v[101:102]
	v_mul_f64 v[101:102], v[3:4], v[101:102]
	s_waitcnt vmcnt(28)
	v_fma_f64 v[105:106], v[83:84], v[126:127], -v[110:111]
	v_add_f64 v[91:92], v[91:92], v[95:96]
	v_fma_f64 v[95:96], v[85:86], v[126:127], v[99:100]
	v_add_f64 v[93:94], v[93:94], v[103:104]
	ds_read_b128 v[83:86], v107 offset:1168
	s_waitcnt vmcnt(27) lgkmcnt(1)
	v_mul_f64 v[103:104], v[89:90], v[130:131]
	v_mul_f64 v[99:100], v[87:88], v[130:131]
	s_waitcnt vmcnt(25)
	v_fma_f64 v[101:102], v[1:2], v[112:113], -v[101:102]
	v_fma_f64 v[97:98], v[3:4], v[112:113], v[97:98]
	ds_read_b128 v[1:4], v107 offset:1184
	v_add_f64 v[91:92], v[91:92], v[105:106]
	v_add_f64 v[93:94], v[93:94], v[95:96]
	s_waitcnt vmcnt(21) lgkmcnt(1)
	v_mul_f64 v[105:106], v[85:86], v[108:109]
	s_waitcnt vmcnt(20)
	v_fma_f64 v[103:104], v[87:88], v[134:135], -v[103:104]
	v_mul_f64 v[95:96], v[83:84], v[108:109]
	v_fma_f64 v[99:100], v[89:90], v[134:135], v[99:100]
	ds_read_b128 v[87:90], v107 offset:1200
	v_add_f64 v[91:92], v[91:92], v[101:102]
	v_add_f64 v[93:94], v[93:94], v[97:98]
	s_waitcnt vmcnt(19) lgkmcnt(1)
	v_mul_f64 v[101:102], v[3:4], v[140:141]
	v_mul_f64 v[97:98], v[1:2], v[140:141]
	s_waitcnt vmcnt(17)
	v_fma_f64 v[105:106], v[83:84], v[122:123], -v[105:106]
	v_fma_f64 v[95:96], v[85:86], v[122:123], v[95:96]
	ds_read_b128 v[83:86], v107 offset:1216
	v_add_f64 v[91:92], v[91:92], v[103:104]
	v_add_f64 v[93:94], v[93:94], v[99:100]
	s_waitcnt vmcnt(13) lgkmcnt(1)
	v_mul_f64 v[103:104], v[89:90], v[128:129]
	s_waitcnt vmcnt(12)
	v_fma_f64 v[101:102], v[1:2], v[144:145], -v[101:102]
	v_mul_f64 v[99:100], v[87:88], v[128:129]
	v_fma_f64 v[97:98], v[3:4], v[144:145], v[97:98]
	ds_read_b128 v[1:4], v107 offset:1232
	v_add_f64 v[91:92], v[91:92], v[105:106]
	v_add_f64 v[93:94], v[93:94], v[95:96]
	s_waitcnt vmcnt(11) lgkmcnt(1)
	v_mul_f64 v[105:106], v[85:86], v[148:149]
	v_mul_f64 v[95:96], v[83:84], v[148:149]
	s_waitcnt vmcnt(9)
	v_fma_f64 v[87:88], v[87:88], v[132:133], -v[103:104]
	v_fma_f64 v[89:90], v[89:90], v[132:133], v[99:100]
	v_add_f64 v[91:92], v[91:92], v[101:102]
	v_add_f64 v[93:94], v[93:94], v[97:98]
	s_waitcnt vmcnt(7) lgkmcnt(0)
	v_mul_f64 v[99:100], v[3:4], v[136:137]
	s_waitcnt vmcnt(6)
	v_fma_f64 v[83:84], v[83:84], v[152:153], -v[105:106]
	v_mul_f64 v[97:98], v[1:2], v[136:137]
	v_fma_f64 v[85:86], v[85:86], v[152:153], v[95:96]
	v_add_f64 v[87:88], v[91:92], v[87:88]
	v_add_f64 v[89:90], v[93:94], v[89:90]
	s_waitcnt vmcnt(4)
	v_fma_f64 v[1:2], v[1:2], v[142:143], -v[99:100]
	v_fma_f64 v[3:4], v[3:4], v[142:143], v[97:98]
	v_add_f64 v[83:84], v[87:88], v[83:84]
	v_add_f64 v[85:86], v[89:90], v[85:86]
	;; [unrolled: 1-line block ×4, first 2 shown]
	s_waitcnt vmcnt(2)
	v_add_f64 v[1:2], v[114:115], -v[1:2]
	s_waitcnt vmcnt(0)
	v_add_f64 v[3:4], v[156:157], -v[3:4]
	buffer_store_dword v2, off, s[0:3], 0 offset:116
	buffer_store_dword v1, off, s[0:3], 0 offset:112
	;; [unrolled: 1-line block ×4, first 2 shown]
	v_cmpx_lt_u32_e32 5, v0
	s_cbranch_execz .LBB102_237
; %bb.236:
	v_mov_b32_e32 v4, s46
	v_mov_b32_e32 v83, 0
	s_clause 0x3
	buffer_load_dword v1, v4, s[0:3], 0 offen
	buffer_load_dword v2, v4, s[0:3], 0 offen offset:4
	buffer_load_dword v3, v4, s[0:3], 0 offen offset:8
	;; [unrolled: 1-line block ×3, first 2 shown]
	buffer_store_dword v83, off, s[0:3], 0 offset:96
	buffer_store_dword v83, off, s[0:3], 0 offset:100
	;; [unrolled: 1-line block ×4, first 2 shown]
	s_waitcnt vmcnt(0)
	ds_write_b128 v139, v[1:4]
.LBB102_237:
	s_or_b32 exec_lo, exec_lo, s4
	s_waitcnt lgkmcnt(0)
	s_waitcnt_vscnt null, 0x0
	s_barrier
	buffer_gl0_inv
	s_clause 0x37
	buffer_load_dword v87, off, s[0:3], 0 offset:120
	buffer_load_dword v88, off, s[0:3], 0 offset:124
	;; [unrolled: 1-line block ×56, first 2 shown]
	v_mov_b32_e32 v129, 0
	s_mov_b32 s4, exec_lo
	ds_read_b128 v[117:120], v129 offset:720
	s_clause 0x2
	buffer_load_dword v149, off, s[0:3], 0 offset:348
	buffer_load_dword v153, off, s[0:3], 0 offset:324
	;; [unrolled: 1-line block ×3, first 2 shown]
	ds_read_b128 v[121:124], v129 offset:736
	s_clause 0x4
	buffer_load_dword v157, off, s[0:3], 0 offset:364
	buffer_load_dword v158, off, s[0:3], 0 offset:376
	;; [unrolled: 1-line block ×5, first 2 shown]
	ds_read_b128 v[125:128], v129 offset:752
	s_clause 0x2
	buffer_load_dword v159, off, s[0:3], 0 offset:380
	buffer_load_dword v164, off, s[0:3], 0 offset:356
	;; [unrolled: 1-line block ×3, first 2 shown]
	s_waitcnt vmcnt(62) lgkmcnt(2)
	v_mul_f64 v[154:155], v[119:120], v[87:88]
	v_mul_f64 v[87:88], v[117:118], v[87:88]
	s_waitcnt lgkmcnt(1)
	v_mul_f64 v[161:162], v[123:124], v[83:84]
	s_waitcnt vmcnt(59) lgkmcnt(0)
	v_mul_f64 v[165:166], v[127:128], v[3:4]
	v_fma_f64 v[117:118], v[117:118], v[85:86], -v[154:155]
	v_mul_f64 v[154:155], v[121:122], v[83:84]
	v_fma_f64 v[87:88], v[119:120], v[85:86], v[87:88]
	s_waitcnt vmcnt(57)
	v_fma_f64 v[121:122], v[121:122], v[1:2], -v[161:162]
	ds_read_b128 v[83:86], v129 offset:768
	v_mul_f64 v[119:120], v[125:126], v[3:4]
	s_waitcnt vmcnt(51)
	v_fma_f64 v[125:126], v[125:126], v[103:104], -v[165:166]
	v_add_f64 v[117:118], v[117:118], 0
	v_fma_f64 v[123:124], v[123:124], v[1:2], v[154:155]
	v_add_f64 v[87:88], v[87:88], 0
	s_clause 0x4
	buffer_load_dword v155, off, s[0:3], 0 offset:396
	buffer_load_dword v167, off, s[0:3], 0 offset:408
	;; [unrolled: 1-line block ×5, first 2 shown]
	s_waitcnt lgkmcnt(0)
	v_mul_f64 v[170:171], v[83:84], v[91:92]
	v_mul_f64 v[91:92], v[85:86], v[91:92]
	ds_read_b128 v[1:4], v129 offset:784
	v_fma_f64 v[103:104], v[127:128], v[103:104], v[119:120]
	v_add_f64 v[121:122], v[117:118], v[121:122]
	v_add_f64 v[87:88], v[87:88], v[123:124]
	s_clause 0x2
	buffer_load_dword v168, off, s[0:3], 0 offset:412
	buffer_load_dword v124, off, s[0:3], 0 offset:388
	;; [unrolled: 1-line block ×3, first 2 shown]
	s_waitcnt vmcnt(58) lgkmcnt(0)
	v_mul_f64 v[127:128], v[1:2], v[95:96]
	v_mul_f64 v[95:96], v[3:4], v[95:96]
	s_waitcnt vmcnt(56)
	v_fma_f64 v[91:92], v[83:84], v[97:98], -v[91:92]
	ds_read_b128 v[117:120], v129 offset:800
	v_fma_f64 v[97:98], v[85:86], v[97:98], v[170:171]
	v_add_f64 v[121:122], v[121:122], v[125:126]
	v_add_f64 v[87:88], v[87:88], v[103:104]
	s_clause 0x4
	buffer_load_dword v104, off, s[0:3], 0 offset:428
	buffer_load_dword v125, off, s[0:3], 0 offset:440
	;; [unrolled: 1-line block ×5, first 2 shown]
	ds_read_b128 v[83:86], v129 offset:816
	s_waitcnt vmcnt(57) lgkmcnt(1)
	v_mul_f64 v[171:172], v[117:118], v[99:100]
	v_mul_f64 v[99:100], v[119:120], v[99:100]
	s_waitcnt vmcnt(56)
	v_fma_f64 v[95:96], v[1:2], v[89:90], -v[95:96]
	v_fma_f64 v[89:90], v[3:4], v[89:90], v[127:128]
	v_add_f64 v[91:92], v[121:122], v[91:92]
	v_add_f64 v[87:88], v[87:88], v[97:98]
	s_clause 0x2
	buffer_load_dword v126, off, s[0:3], 0 offset:444
	buffer_load_dword v98, off, s[0:3], 0 offset:420
	;; [unrolled: 1-line block ×3, first 2 shown]
	s_waitcnt vmcnt(58) lgkmcnt(0)
	v_mul_f64 v[121:122], v[83:84], v[105:106]
	v_mul_f64 v[105:106], v[85:86], v[105:106]
	s_waitcnt vmcnt(56)
	v_fma_f64 v[99:100], v[117:118], v[107:108], -v[99:100]
	ds_read_b128 v[1:4], v129 offset:832
	v_add_f64 v[91:92], v[91:92], v[95:96]
	v_fma_f64 v[95:96], v[119:120], v[107:108], v[171:172]
	v_add_f64 v[107:108], v[87:88], v[89:90]
	s_clause 0x4
	buffer_load_dword v118, off, s[0:3], 0 offset:460
	buffer_load_dword v119, off, s[0:3], 0 offset:472
	;; [unrolled: 1-line block ×5, first 2 shown]
	ds_read_b128 v[87:90], v129 offset:848
	s_waitcnt vmcnt(57) lgkmcnt(1)
	v_mul_f64 v[171:172], v[1:2], v[109:110]
	v_mul_f64 v[109:110], v[3:4], v[109:110]
	s_waitcnt vmcnt(56)
	v_fma_f64 v[105:106], v[83:84], v[93:94], -v[105:106]
	v_fma_f64 v[93:94], v[85:86], v[93:94], v[121:122]
	v_add_f64 v[91:92], v[91:92], v[99:100]
	s_clause 0x2
	buffer_load_dword v120, off, s[0:3], 0 offset:476
	buffer_load_dword v100, off, s[0:3], 0 offset:452
	;; [unrolled: 1-line block ×3, first 2 shown]
	v_add_f64 v[95:96], v[107:108], v[95:96]
	s_waitcnt vmcnt(58) lgkmcnt(0)
	v_mul_f64 v[107:108], v[87:88], v[113:114]
	v_mul_f64 v[113:114], v[89:90], v[113:114]
	ds_read_b128 v[83:86], v129 offset:864
	s_waitcnt vmcnt(56)
	v_fma_f64 v[109:110], v[1:2], v[115:116], -v[109:110]
	v_add_f64 v[91:92], v[91:92], v[105:106]
	v_fma_f64 v[105:106], v[3:4], v[115:116], v[171:172]
	v_add_f64 v[93:94], v[95:96], v[93:94]
	s_clause 0x4
	buffer_load_dword v96, off, s[0:3], 0 offset:492
	buffer_load_dword v115, off, s[0:3], 0 offset:504
	;; [unrolled: 1-line block ×5, first 2 shown]
	s_waitcnt vmcnt(57) lgkmcnt(0)
	v_mul_f64 v[171:172], v[83:84], v[130:131]
	v_mul_f64 v[130:131], v[85:86], v[130:131]
	s_waitcnt vmcnt(56)
	v_fma_f64 v[113:114], v[87:88], v[101:102], -v[113:114]
	ds_read_b128 v[1:4], v129 offset:880
	v_fma_f64 v[101:102], v[89:90], v[101:102], v[107:108]
	v_add_f64 v[91:92], v[91:92], v[109:110]
	v_add_f64 v[93:94], v[93:94], v[105:106]
	s_clause 0x2
	buffer_load_dword v116, off, s[0:3], 0 offset:508
	buffer_load_dword v106, off, s[0:3], 0 offset:484
	;; [unrolled: 1-line block ×3, first 2 shown]
	ds_read_b128 v[87:90], v129 offset:896
	s_waitcnt vmcnt(58) lgkmcnt(1)
	v_mul_f64 v[109:110], v[3:4], v[132:133]
	s_waitcnt vmcnt(56)
	v_fma_f64 v[130:131], v[83:84], v[134:135], -v[130:131]
	v_mul_f64 v[107:108], v[1:2], v[132:133]
	v_add_f64 v[91:92], v[91:92], v[113:114]
	v_fma_f64 v[113:114], v[85:86], v[134:135], v[171:172]
	v_add_f64 v[93:94], v[93:94], v[101:102]
	s_clause 0x4
	buffer_load_dword v102, off, s[0:3], 0 offset:524
	buffer_load_dword v132, off, s[0:3], 0 offset:536
	;; [unrolled: 1-line block ×5, first 2 shown]
	s_waitcnt vmcnt(57) lgkmcnt(0)
	v_mul_f64 v[171:172], v[87:88], v[136:137]
	v_mul_f64 v[135:136], v[89:90], v[136:137]
	s_waitcnt vmcnt(56)
	v_fma_f64 v[109:110], v[1:2], v[111:112], -v[109:110]
	ds_read_b128 v[83:86], v129 offset:912
	v_fma_f64 v[107:108], v[3:4], v[111:112], v[107:108]
	s_clause 0x2
	buffer_load_dword v133, off, s[0:3], 0 offset:540
	buffer_load_dword v112, off, s[0:3], 0 offset:516
	;; [unrolled: 1-line block ×3, first 2 shown]
	ds_read_b128 v[1:4], v129 offset:928
	v_add_f64 v[91:92], v[91:92], v[130:131]
	v_add_f64 v[93:94], v[93:94], v[113:114]
	s_waitcnt vmcnt(58) lgkmcnt(1)
	v_mul_f64 v[130:131], v[85:86], v[140:141]
	s_waitcnt vmcnt(56)
	v_fma_f64 v[136:137], v[87:88], v[144:145], -v[135:136]
	v_mul_f64 v[113:114], v[83:84], v[140:141]
	v_add_f64 v[91:92], v[91:92], v[109:110]
	v_fma_f64 v[109:110], v[89:90], v[144:145], v[171:172]
	v_add_f64 v[93:94], v[93:94], v[107:108]
	s_clause 0x4
	buffer_load_dword v108, off, s[0:3], 0 offset:556
	buffer_load_dword v140, off, s[0:3], 0 offset:568
	;; [unrolled: 1-line block ×5, first 2 shown]
	s_waitcnt vmcnt(57) lgkmcnt(0)
	v_mul_f64 v[171:172], v[1:2], v[146:147]
	v_mul_f64 v[145:146], v[3:4], v[146:147]
	s_waitcnt vmcnt(56)
	v_fma_f64 v[130:131], v[83:84], v[142:143], -v[130:131]
	ds_read_b128 v[87:90], v129 offset:944
	v_fma_f64 v[113:114], v[85:86], v[142:143], v[113:114]
	v_add_f64 v[91:92], v[91:92], v[136:137]
	v_add_f64 v[93:94], v[93:94], v[109:110]
	s_clause 0x2
	buffer_load_dword v141, off, s[0:3], 0 offset:572
	buffer_load_dword v110, off, s[0:3], 0 offset:548
	;; [unrolled: 1-line block ×3, first 2 shown]
	ds_read_b128 v[83:86], v129 offset:960
	s_waitcnt vmcnt(58) lgkmcnt(1)
	v_mul_f64 v[142:143], v[89:90], v[148:149]
	s_waitcnt vmcnt(56)
	v_fma_f64 v[146:147], v[1:2], v[152:153], -v[145:146]
	v_mul_f64 v[136:137], v[87:88], v[148:149]
	v_add_f64 v[91:92], v[91:92], v[130:131]
	v_fma_f64 v[130:131], v[3:4], v[152:153], v[171:172]
	v_add_f64 v[93:94], v[93:94], v[113:114]
	s_clause 0x4
	buffer_load_dword v114, off, s[0:3], 0 offset:588
	buffer_load_dword v148, off, s[0:3], 0 offset:600
	;; [unrolled: 1-line block ×5, first 2 shown]
	s_waitcnt vmcnt(57) lgkmcnt(0)
	v_mul_f64 v[171:172], v[83:84], v[156:157]
	v_mul_f64 v[156:157], v[85:86], v[156:157]
	s_waitcnt vmcnt(56)
	v_fma_f64 v[142:143], v[87:88], v[150:151], -v[142:143]
	ds_read_b128 v[1:4], v129 offset:976
	v_fma_f64 v[136:137], v[89:90], v[150:151], v[136:137]
	v_add_f64 v[91:92], v[91:92], v[146:147]
	v_add_f64 v[93:94], v[93:94], v[130:131]
	s_clause 0x2
	buffer_load_dword v149, off, s[0:3], 0 offset:604
	buffer_load_dword v131, off, s[0:3], 0 offset:580
	;; [unrolled: 1-line block ×3, first 2 shown]
	ds_read_b128 v[87:90], v129 offset:992
	s_waitcnt vmcnt(58) lgkmcnt(1)
	v_mul_f64 v[150:151], v[3:4], v[158:159]
	s_waitcnt vmcnt(56)
	v_fma_f64 v[156:157], v[83:84], v[163:164], -v[156:157]
	v_mul_f64 v[146:147], v[1:2], v[158:159]
	v_add_f64 v[91:92], v[91:92], v[142:143]
	v_fma_f64 v[142:143], v[85:86], v[163:164], v[171:172]
	v_add_f64 v[93:94], v[93:94], v[136:137]
	s_clause 0x4
	buffer_load_dword v137, off, s[0:3], 0 offset:620
	buffer_load_dword v158, off, s[0:3], 0 offset:632
	;; [unrolled: 1-line block ×5, first 2 shown]
	ds_read_b128 v[83:86], v129 offset:1008
	s_waitcnt vmcnt(57) lgkmcnt(1)
	v_mul_f64 v[163:164], v[87:88], v[154:155]
	v_mul_f64 v[154:155], v[89:90], v[154:155]
	s_waitcnt vmcnt(56)
	v_fma_f64 v[150:151], v[1:2], v[160:161], -v[150:151]
	v_fma_f64 v[146:147], v[3:4], v[160:161], v[146:147]
	v_add_f64 v[91:92], v[91:92], v[156:157]
	v_add_f64 v[93:94], v[93:94], v[142:143]
	s_clause 0x2
	buffer_load_dword v159, off, s[0:3], 0 offset:636
	buffer_load_dword v143, off, s[0:3], 0 offset:612
	;; [unrolled: 1-line block ×3, first 2 shown]
	ds_read_b128 v[1:4], v129 offset:1024
	s_waitcnt vmcnt(58) lgkmcnt(1)
	v_mul_f64 v[160:161], v[85:86], v[167:168]
	v_mul_f64 v[156:157], v[83:84], v[167:168]
	s_waitcnt vmcnt(56)
	v_fma_f64 v[154:155], v[87:88], v[123:124], -v[154:155]
	v_fma_f64 v[123:124], v[89:90], v[123:124], v[163:164]
	buffer_load_dword v163, off, s[0:3], 0 offset:628
	ds_read_b128 v[87:90], v129 offset:1040
	v_add_f64 v[91:92], v[91:92], v[150:151]
	v_add_f64 v[93:94], v[93:94], v[146:147]
	s_waitcnt vmcnt(53) lgkmcnt(1)
	v_mul_f64 v[146:147], v[1:2], v[103:104]
	v_mul_f64 v[103:104], v[3:4], v[103:104]
	s_waitcnt vmcnt(52)
	v_fma_f64 v[150:151], v[83:84], v[169:170], -v[160:161]
	v_add_f64 v[91:92], v[91:92], v[154:155]
	v_fma_f64 v[154:155], v[85:86], v[169:170], v[156:157]
	v_add_f64 v[93:94], v[93:94], v[123:124]
	ds_read_b128 v[83:86], v129 offset:1056
	s_waitcnt vmcnt(51) lgkmcnt(1)
	v_mul_f64 v[123:124], v[87:88], v[125:126]
	v_mul_f64 v[125:126], v[89:90], v[125:126]
	s_waitcnt vmcnt(49)
	v_fma_f64 v[103:104], v[1:2], v[97:98], -v[103:104]
	v_fma_f64 v[97:98], v[3:4], v[97:98], v[146:147]
	v_add_f64 v[91:92], v[91:92], v[150:151]
	s_clause 0x3
	buffer_load_dword v146, off, s[0:3], 0 offset:96
	buffer_load_dword v147, off, s[0:3], 0 offset:100
	;; [unrolled: 1-line block ×4, first 2 shown]
	v_add_f64 v[93:94], v[93:94], v[154:155]
	ds_read_b128 v[1:4], v129 offset:1072
	s_waitcnt vmcnt(49) lgkmcnt(1)
	v_mul_f64 v[154:155], v[83:84], v[117:118]
	v_mul_f64 v[117:118], v[85:86], v[117:118]
	s_waitcnt vmcnt(48)
	v_fma_f64 v[125:126], v[87:88], v[165:166], -v[125:126]
	v_add_f64 v[91:92], v[91:92], v[103:104]
	v_fma_f64 v[103:104], v[89:90], v[165:166], v[123:124]
	v_add_f64 v[93:94], v[93:94], v[97:98]
	ds_read_b128 v[87:90], v129 offset:1088
	s_waitcnt vmcnt(47) lgkmcnt(1)
	v_mul_f64 v[97:98], v[1:2], v[119:120]
	v_mul_f64 v[119:120], v[3:4], v[119:120]
	s_waitcnt vmcnt(45)
	v_fma_f64 v[117:118], v[83:84], v[99:100], -v[117:118]
	v_fma_f64 v[99:100], v[85:86], v[99:100], v[154:155]
	ds_read_b128 v[83:86], v129 offset:1104
	v_add_f64 v[91:92], v[91:92], v[125:126]
	v_add_f64 v[93:94], v[93:94], v[103:104]
	s_waitcnt vmcnt(41) lgkmcnt(1)
	v_mul_f64 v[103:104], v[87:88], v[95:96]
	v_mul_f64 v[95:96], v[89:90], v[95:96]
	s_waitcnt vmcnt(40)
	v_fma_f64 v[119:120], v[1:2], v[127:128], -v[119:120]
	v_fma_f64 v[97:98], v[3:4], v[127:128], v[97:98]
	ds_read_b128 v[1:4], v129 offset:1120
	v_add_f64 v[91:92], v[91:92], v[117:118]
	v_add_f64 v[93:94], v[93:94], v[99:100]
	;; [unrolled: 9-line block ×3, first 2 shown]
	s_waitcnt vmcnt(33) lgkmcnt(1)
	v_mul_f64 v[97:98], v[1:2], v[101:102]
	v_mul_f64 v[101:102], v[3:4], v[101:102]
	s_waitcnt vmcnt(32)
	v_fma_f64 v[105:106], v[83:84], v[121:122], -v[115:116]
	v_add_f64 v[91:92], v[91:92], v[95:96]
	v_fma_f64 v[95:96], v[85:86], v[121:122], v[99:100]
	v_add_f64 v[93:94], v[93:94], v[103:104]
	ds_read_b128 v[83:86], v129 offset:1152
	s_waitcnt vmcnt(31) lgkmcnt(1)
	v_mul_f64 v[103:104], v[89:90], v[132:133]
	v_mul_f64 v[99:100], v[87:88], v[132:133]
	s_waitcnt vmcnt(29)
	v_fma_f64 v[97:98], v[3:4], v[111:112], v[97:98]
	v_fma_f64 v[101:102], v[1:2], v[111:112], -v[101:102]
	ds_read_b128 v[1:4], v129 offset:1168
	v_add_f64 v[91:92], v[91:92], v[105:106]
	v_add_f64 v[93:94], v[93:94], v[95:96]
	s_waitcnt vmcnt(25) lgkmcnt(1)
	v_mul_f64 v[105:106], v[85:86], v[107:108]
	s_waitcnt vmcnt(24)
	v_fma_f64 v[103:104], v[87:88], v[134:135], -v[103:104]
	v_mul_f64 v[95:96], v[83:84], v[107:108]
	v_fma_f64 v[99:100], v[89:90], v[134:135], v[99:100]
	ds_read_b128 v[87:90], v129 offset:1184
	v_add_f64 v[91:92], v[91:92], v[101:102]
	v_add_f64 v[93:94], v[93:94], v[97:98]
	s_waitcnt vmcnt(23) lgkmcnt(1)
	v_mul_f64 v[101:102], v[3:4], v[140:141]
	v_mul_f64 v[97:98], v[1:2], v[140:141]
	s_waitcnt vmcnt(21)
	v_fma_f64 v[105:106], v[83:84], v[109:110], -v[105:106]
	v_fma_f64 v[95:96], v[85:86], v[109:110], v[95:96]
	ds_read_b128 v[83:86], v129 offset:1200
	v_add_f64 v[91:92], v[91:92], v[103:104]
	v_add_f64 v[93:94], v[93:94], v[99:100]
	s_waitcnt vmcnt(17) lgkmcnt(1)
	v_mul_f64 v[103:104], v[89:90], v[113:114]
	s_waitcnt vmcnt(16)
	v_fma_f64 v[101:102], v[1:2], v[144:145], -v[101:102]
	v_mul_f64 v[99:100], v[87:88], v[113:114]
	v_fma_f64 v[97:98], v[3:4], v[144:145], v[97:98]
	ds_read_b128 v[1:4], v129 offset:1216
	v_add_f64 v[91:92], v[91:92], v[105:106]
	v_add_f64 v[93:94], v[93:94], v[95:96]
	s_waitcnt vmcnt(15) lgkmcnt(1)
	v_mul_f64 v[105:106], v[85:86], v[148:149]
	v_mul_f64 v[95:96], v[83:84], v[148:149]
	s_waitcnt vmcnt(13)
	v_fma_f64 v[103:104], v[87:88], v[130:131], -v[103:104]
	v_fma_f64 v[99:100], v[89:90], v[130:131], v[99:100]
	ds_read_b128 v[87:90], v129 offset:1232
	v_add_f64 v[91:92], v[91:92], v[101:102]
	v_add_f64 v[93:94], v[93:94], v[97:98]
	s_waitcnt vmcnt(9) lgkmcnt(1)
	v_mul_f64 v[101:102], v[3:4], v[136:137]
	s_waitcnt vmcnt(8)
	v_fma_f64 v[83:84], v[83:84], v[152:153], -v[105:106]
	v_mul_f64 v[97:98], v[1:2], v[136:137]
	v_fma_f64 v[85:86], v[85:86], v[152:153], v[95:96]
	v_add_f64 v[91:92], v[91:92], v[103:104]
	v_add_f64 v[93:94], v[93:94], v[99:100]
	s_waitcnt vmcnt(7) lgkmcnt(0)
	v_mul_f64 v[99:100], v[89:90], v[158:159]
	v_mul_f64 v[95:96], v[87:88], v[158:159]
	s_waitcnt vmcnt(5)
	v_fma_f64 v[1:2], v[1:2], v[142:143], -v[101:102]
	v_fma_f64 v[3:4], v[3:4], v[142:143], v[97:98]
	v_add_f64 v[83:84], v[91:92], v[83:84]
	v_add_f64 v[85:86], v[93:94], v[85:86]
	s_waitcnt vmcnt(4)
	v_fma_f64 v[87:88], v[87:88], v[162:163], -v[99:100]
	v_add_f64 v[1:2], v[83:84], v[1:2]
	v_fma_f64 v[83:84], v[89:90], v[162:163], v[95:96]
	v_add_f64 v[3:4], v[85:86], v[3:4]
	v_add_f64 v[1:2], v[1:2], v[87:88]
	;; [unrolled: 1-line block ×3, first 2 shown]
	s_waitcnt vmcnt(2)
	v_add_f64 v[1:2], v[146:147], -v[1:2]
	s_waitcnt vmcnt(0)
	v_add_f64 v[3:4], v[150:151], -v[3:4]
	buffer_store_dword v2, off, s[0:3], 0 offset:100
	buffer_store_dword v1, off, s[0:3], 0 offset:96
	;; [unrolled: 1-line block ×4, first 2 shown]
	v_cmpx_lt_u32_e32 4, v0
	s_cbranch_execz .LBB102_239
; %bb.238:
	v_mov_b32_e32 v4, s47
	s_clause 0x3
	buffer_load_dword v1, v4, s[0:3], 0 offen
	buffer_load_dword v2, v4, s[0:3], 0 offen offset:4
	buffer_load_dword v3, v4, s[0:3], 0 offen offset:8
	;; [unrolled: 1-line block ×3, first 2 shown]
	buffer_store_dword v129, off, s[0:3], 0 offset:80
	buffer_store_dword v129, off, s[0:3], 0 offset:84
	;; [unrolled: 1-line block ×4, first 2 shown]
	s_waitcnt vmcnt(0)
	ds_write_b128 v139, v[1:4]
.LBB102_239:
	s_or_b32 exec_lo, exec_lo, s4
	s_waitcnt lgkmcnt(0)
	s_waitcnt_vscnt null, 0x0
	s_barrier
	buffer_gl0_inv
	s_clause 0x37
	buffer_load_dword v87, off, s[0:3], 0 offset:104
	buffer_load_dword v88, off, s[0:3], 0 offset:108
	;; [unrolled: 1-line block ×56, first 2 shown]
	ds_read_b128 v[130:133], v129 offset:704
	s_clause 0x2
	buffer_load_dword v151, off, s[0:3], 0 offset:332
	buffer_load_dword v153, off, s[0:3], 0 offset:308
	;; [unrolled: 1-line block ×3, first 2 shown]
	ds_read_b128 v[134:137], v129 offset:720
	s_clause 0x4
	buffer_load_dword v157, off, s[0:3], 0 offset:348
	buffer_load_dword v158, off, s[0:3], 0 offset:360
	;; [unrolled: 1-line block ×5, first 2 shown]
	ds_read_b128 v[140:143], v129 offset:736
	s_clause 0x2
	buffer_load_dword v159, off, s[0:3], 0 offset:364
	buffer_load_dword v164, off, s[0:3], 0 offset:340
	;; [unrolled: 1-line block ×3, first 2 shown]
	s_mov_b32 s4, exec_lo
	s_waitcnt vmcnt(62) lgkmcnt(2)
	v_mul_f64 v[154:155], v[132:133], v[87:88]
	v_mul_f64 v[87:88], v[130:131], v[87:88]
	s_waitcnt lgkmcnt(1)
	v_mul_f64 v[161:162], v[136:137], v[83:84]
	s_waitcnt vmcnt(59) lgkmcnt(0)
	v_mul_f64 v[165:166], v[142:143], v[3:4]
	v_fma_f64 v[130:131], v[130:131], v[85:86], -v[154:155]
	v_mul_f64 v[154:155], v[134:135], v[83:84]
	v_fma_f64 v[87:88], v[132:133], v[85:86], v[87:88]
	s_waitcnt vmcnt(57)
	v_fma_f64 v[134:135], v[134:135], v[1:2], -v[161:162]
	ds_read_b128 v[83:86], v129 offset:752
	v_mul_f64 v[132:133], v[140:141], v[3:4]
	s_waitcnt vmcnt(51)
	v_fma_f64 v[140:141], v[140:141], v[103:104], -v[165:166]
	v_add_f64 v[130:131], v[130:131], 0
	v_fma_f64 v[136:137], v[136:137], v[1:2], v[154:155]
	v_add_f64 v[87:88], v[87:88], 0
	s_clause 0x4
	buffer_load_dword v155, off, s[0:3], 0 offset:380
	buffer_load_dword v167, off, s[0:3], 0 offset:392
	;; [unrolled: 1-line block ×5, first 2 shown]
	s_waitcnt lgkmcnt(0)
	v_mul_f64 v[170:171], v[83:84], v[91:92]
	v_mul_f64 v[91:92], v[85:86], v[91:92]
	ds_read_b128 v[1:4], v129 offset:768
	v_fma_f64 v[103:104], v[142:143], v[103:104], v[132:133]
	v_add_f64 v[134:135], v[130:131], v[134:135]
	v_add_f64 v[87:88], v[87:88], v[136:137]
	s_clause 0x2
	buffer_load_dword v168, off, s[0:3], 0 offset:396
	buffer_load_dword v137, off, s[0:3], 0 offset:372
	;; [unrolled: 1-line block ×3, first 2 shown]
	s_waitcnt vmcnt(58) lgkmcnt(0)
	v_mul_f64 v[142:143], v[1:2], v[95:96]
	v_mul_f64 v[95:96], v[3:4], v[95:96]
	s_waitcnt vmcnt(56)
	v_fma_f64 v[91:92], v[83:84], v[97:98], -v[91:92]
	ds_read_b128 v[130:133], v129 offset:784
	v_fma_f64 v[97:98], v[85:86], v[97:98], v[170:171]
	v_add_f64 v[134:135], v[134:135], v[140:141]
	v_add_f64 v[87:88], v[87:88], v[103:104]
	s_clause 0x4
	buffer_load_dword v104, off, s[0:3], 0 offset:412
	buffer_load_dword v140, off, s[0:3], 0 offset:424
	;; [unrolled: 1-line block ×5, first 2 shown]
	ds_read_b128 v[83:86], v129 offset:800
	s_waitcnt vmcnt(57) lgkmcnt(1)
	v_mul_f64 v[171:172], v[130:131], v[99:100]
	v_mul_f64 v[99:100], v[132:133], v[99:100]
	s_waitcnt vmcnt(56)
	v_fma_f64 v[95:96], v[1:2], v[89:90], -v[95:96]
	v_fma_f64 v[89:90], v[3:4], v[89:90], v[142:143]
	v_add_f64 v[91:92], v[134:135], v[91:92]
	v_add_f64 v[87:88], v[87:88], v[97:98]
	s_clause 0x2
	buffer_load_dword v141, off, s[0:3], 0 offset:428
	buffer_load_dword v98, off, s[0:3], 0 offset:404
	;; [unrolled: 1-line block ×3, first 2 shown]
	s_waitcnt vmcnt(58) lgkmcnt(0)
	v_mul_f64 v[134:135], v[83:84], v[105:106]
	v_mul_f64 v[105:106], v[85:86], v[105:106]
	s_waitcnt vmcnt(56)
	v_fma_f64 v[99:100], v[130:131], v[107:108], -v[99:100]
	ds_read_b128 v[1:4], v129 offset:816
	v_add_f64 v[91:92], v[91:92], v[95:96]
	v_fma_f64 v[95:96], v[132:133], v[107:108], v[171:172]
	v_add_f64 v[107:108], v[87:88], v[89:90]
	s_clause 0x4
	buffer_load_dword v131, off, s[0:3], 0 offset:444
	buffer_load_dword v132, off, s[0:3], 0 offset:456
	;; [unrolled: 1-line block ×5, first 2 shown]
	ds_read_b128 v[87:90], v129 offset:832
	s_waitcnt vmcnt(57) lgkmcnt(1)
	v_mul_f64 v[171:172], v[1:2], v[109:110]
	v_mul_f64 v[109:110], v[3:4], v[109:110]
	s_waitcnt vmcnt(56)
	v_fma_f64 v[105:106], v[83:84], v[93:94], -v[105:106]
	v_fma_f64 v[93:94], v[85:86], v[93:94], v[134:135]
	v_add_f64 v[91:92], v[91:92], v[99:100]
	s_clause 0x2
	buffer_load_dword v133, off, s[0:3], 0 offset:460
	buffer_load_dword v100, off, s[0:3], 0 offset:436
	;; [unrolled: 1-line block ×3, first 2 shown]
	v_add_f64 v[95:96], v[107:108], v[95:96]
	s_waitcnt vmcnt(58) lgkmcnt(0)
	v_mul_f64 v[107:108], v[87:88], v[113:114]
	v_mul_f64 v[113:114], v[89:90], v[113:114]
	ds_read_b128 v[83:86], v129 offset:848
	s_waitcnt vmcnt(56)
	v_fma_f64 v[109:110], v[1:2], v[115:116], -v[109:110]
	v_add_f64 v[91:92], v[91:92], v[105:106]
	v_fma_f64 v[105:106], v[3:4], v[115:116], v[171:172]
	v_add_f64 v[93:94], v[95:96], v[93:94]
	s_clause 0x4
	buffer_load_dword v96, off, s[0:3], 0 offset:476
	buffer_load_dword v115, off, s[0:3], 0 offset:488
	;; [unrolled: 1-line block ×5, first 2 shown]
	s_waitcnt vmcnt(57) lgkmcnt(0)
	v_mul_f64 v[171:172], v[83:84], v[117:118]
	v_mul_f64 v[117:118], v[85:86], v[117:118]
	s_waitcnt vmcnt(56)
	v_fma_f64 v[113:114], v[87:88], v[101:102], -v[113:114]
	ds_read_b128 v[1:4], v129 offset:864
	v_fma_f64 v[101:102], v[89:90], v[101:102], v[107:108]
	v_add_f64 v[91:92], v[91:92], v[109:110]
	v_add_f64 v[93:94], v[93:94], v[105:106]
	s_clause 0x2
	buffer_load_dword v116, off, s[0:3], 0 offset:492
	buffer_load_dword v106, off, s[0:3], 0 offset:468
	;; [unrolled: 1-line block ×3, first 2 shown]
	ds_read_b128 v[87:90], v129 offset:880
	s_waitcnt vmcnt(58) lgkmcnt(1)
	v_mul_f64 v[109:110], v[3:4], v[121:122]
	s_waitcnt vmcnt(56)
	v_fma_f64 v[117:118], v[83:84], v[123:124], -v[117:118]
	v_mul_f64 v[107:108], v[1:2], v[121:122]
	v_add_f64 v[91:92], v[91:92], v[113:114]
	v_fma_f64 v[113:114], v[85:86], v[123:124], v[171:172]
	v_add_f64 v[93:94], v[93:94], v[101:102]
	s_clause 0x4
	buffer_load_dword v102, off, s[0:3], 0 offset:508
	buffer_load_dword v121, off, s[0:3], 0 offset:520
	;; [unrolled: 1-line block ×5, first 2 shown]
	s_waitcnt vmcnt(57) lgkmcnt(0)
	v_mul_f64 v[171:172], v[87:88], v[125:126]
	v_mul_f64 v[124:125], v[89:90], v[125:126]
	s_waitcnt vmcnt(56)
	v_fma_f64 v[109:110], v[1:2], v[111:112], -v[109:110]
	ds_read_b128 v[83:86], v129 offset:896
	v_fma_f64 v[107:108], v[3:4], v[111:112], v[107:108]
	s_clause 0x2
	buffer_load_dword v122, off, s[0:3], 0 offset:524
	buffer_load_dword v112, off, s[0:3], 0 offset:500
	;; [unrolled: 1-line block ×3, first 2 shown]
	ds_read_b128 v[1:4], v129 offset:912
	v_add_f64 v[91:92], v[91:92], v[117:118]
	v_add_f64 v[93:94], v[93:94], v[113:114]
	s_waitcnt vmcnt(58) lgkmcnt(1)
	v_mul_f64 v[117:118], v[85:86], v[144:145]
	s_waitcnt vmcnt(56)
	v_fma_f64 v[125:126], v[87:88], v[146:147], -v[124:125]
	v_mul_f64 v[113:114], v[83:84], v[144:145]
	v_add_f64 v[91:92], v[91:92], v[109:110]
	v_fma_f64 v[109:110], v[89:90], v[146:147], v[171:172]
	v_add_f64 v[93:94], v[93:94], v[107:108]
	s_clause 0x4
	buffer_load_dword v108, off, s[0:3], 0 offset:540
	buffer_load_dword v144, off, s[0:3], 0 offset:552
	;; [unrolled: 1-line block ×5, first 2 shown]
	s_waitcnt vmcnt(57) lgkmcnt(0)
	v_mul_f64 v[171:172], v[1:2], v[148:149]
	v_mul_f64 v[147:148], v[3:4], v[148:149]
	s_waitcnt vmcnt(56)
	v_fma_f64 v[117:118], v[83:84], v[119:120], -v[117:118]
	ds_read_b128 v[87:90], v129 offset:928
	v_fma_f64 v[113:114], v[85:86], v[119:120], v[113:114]
	v_add_f64 v[91:92], v[91:92], v[125:126]
	v_add_f64 v[93:94], v[93:94], v[109:110]
	s_clause 0x2
	buffer_load_dword v145, off, s[0:3], 0 offset:556
	buffer_load_dword v110, off, s[0:3], 0 offset:532
	buffer_load_dword v109, off, s[0:3], 0 offset:528
	ds_read_b128 v[83:86], v129 offset:944
	s_waitcnt vmcnt(58) lgkmcnt(1)
	v_mul_f64 v[125:126], v[89:90], v[150:151]
	s_waitcnt vmcnt(56)
	v_fma_f64 v[148:149], v[1:2], v[152:153], -v[147:148]
	v_mul_f64 v[119:120], v[87:88], v[150:151]
	v_add_f64 v[91:92], v[91:92], v[117:118]
	v_fma_f64 v[117:118], v[3:4], v[152:153], v[171:172]
	v_add_f64 v[93:94], v[93:94], v[113:114]
	s_clause 0x4
	buffer_load_dword v114, off, s[0:3], 0 offset:572
	buffer_load_dword v150, off, s[0:3], 0 offset:584
	;; [unrolled: 1-line block ×5, first 2 shown]
	s_waitcnt vmcnt(57) lgkmcnt(0)
	v_mul_f64 v[171:172], v[83:84], v[156:157]
	v_mul_f64 v[156:157], v[85:86], v[156:157]
	s_waitcnt vmcnt(56)
	v_fma_f64 v[125:126], v[87:88], v[127:128], -v[125:126]
	ds_read_b128 v[1:4], v129 offset:960
	v_fma_f64 v[119:120], v[89:90], v[127:128], v[119:120]
	v_add_f64 v[91:92], v[91:92], v[148:149]
	v_add_f64 v[93:94], v[93:94], v[117:118]
	s_clause 0x2
	buffer_load_dword v151, off, s[0:3], 0 offset:588
	buffer_load_dword v118, off, s[0:3], 0 offset:564
	buffer_load_dword v117, off, s[0:3], 0 offset:560
	ds_read_b128 v[87:90], v129 offset:976
	s_waitcnt vmcnt(58) lgkmcnt(1)
	v_mul_f64 v[148:149], v[3:4], v[158:159]
	s_waitcnt vmcnt(56)
	v_fma_f64 v[156:157], v[83:84], v[163:164], -v[156:157]
	v_mul_f64 v[127:128], v[1:2], v[158:159]
	v_add_f64 v[91:92], v[91:92], v[125:126]
	v_fma_f64 v[125:126], v[85:86], v[163:164], v[171:172]
	v_add_f64 v[93:94], v[93:94], v[119:120]
	s_clause 0x4
	buffer_load_dword v120, off, s[0:3], 0 offset:604
	buffer_load_dword v158, off, s[0:3], 0 offset:616
	;; [unrolled: 1-line block ×5, first 2 shown]
	ds_read_b128 v[83:86], v129 offset:992
	s_waitcnt vmcnt(57) lgkmcnt(1)
	v_mul_f64 v[163:164], v[87:88], v[154:155]
	v_mul_f64 v[154:155], v[89:90], v[154:155]
	s_waitcnt vmcnt(56)
	v_fma_f64 v[148:149], v[1:2], v[160:161], -v[148:149]
	v_fma_f64 v[127:128], v[3:4], v[160:161], v[127:128]
	v_add_f64 v[91:92], v[91:92], v[156:157]
	v_add_f64 v[93:94], v[93:94], v[125:126]
	s_clause 0x2
	buffer_load_dword v159, off, s[0:3], 0 offset:620
	buffer_load_dword v126, off, s[0:3], 0 offset:596
	;; [unrolled: 1-line block ×3, first 2 shown]
	ds_read_b128 v[1:4], v129 offset:1008
	s_waitcnt vmcnt(58) lgkmcnt(1)
	v_mul_f64 v[160:161], v[85:86], v[167:168]
	v_mul_f64 v[156:157], v[83:84], v[167:168]
	s_waitcnt vmcnt(56)
	v_fma_f64 v[154:155], v[87:88], v[136:137], -v[154:155]
	v_fma_f64 v[136:137], v[89:90], v[136:137], v[163:164]
	v_add_f64 v[91:92], v[91:92], v[148:149]
	v_add_f64 v[93:94], v[93:94], v[127:128]
	s_clause 0x2
	buffer_load_dword v128, off, s[0:3], 0 offset:636
	buffer_load_dword v127, off, s[0:3], 0 offset:632
	;; [unrolled: 1-line block ×3, first 2 shown]
	ds_read_b128 v[87:90], v129 offset:1024
	s_waitcnt vmcnt(55) lgkmcnt(1)
	v_mul_f64 v[148:149], v[1:2], v[103:104]
	v_mul_f64 v[103:104], v[3:4], v[103:104]
	s_waitcnt vmcnt(54)
	v_fma_f64 v[160:161], v[83:84], v[169:170], -v[160:161]
	v_add_f64 v[91:92], v[91:92], v[154:155]
	v_fma_f64 v[154:155], v[85:86], v[169:170], v[156:157]
	v_add_f64 v[93:94], v[93:94], v[136:137]
	s_clause 0x1
	buffer_load_dword v137, off, s[0:3], 0 offset:628
	buffer_load_dword v136, off, s[0:3], 0 offset:624
	ds_read_b128 v[83:86], v129 offset:1040
	s_waitcnt vmcnt(55) lgkmcnt(1)
	v_mul_f64 v[156:157], v[87:88], v[140:141]
	v_mul_f64 v[140:141], v[89:90], v[140:141]
	s_waitcnt vmcnt(53)
	v_fma_f64 v[103:104], v[1:2], v[97:98], -v[103:104]
	v_fma_f64 v[97:98], v[3:4], v[97:98], v[148:149]
	ds_read_b128 v[1:4], v129 offset:1056
	v_add_f64 v[91:92], v[91:92], v[160:161]
	v_add_f64 v[93:94], v[93:94], v[154:155]
	s_waitcnt vmcnt(49) lgkmcnt(1)
	v_mul_f64 v[148:149], v[83:84], v[130:131]
	v_mul_f64 v[130:131], v[85:86], v[130:131]
	s_waitcnt vmcnt(48)
	v_fma_f64 v[140:141], v[87:88], v[165:166], -v[140:141]
	v_add_f64 v[91:92], v[91:92], v[103:104]
	v_fma_f64 v[103:104], v[89:90], v[165:166], v[156:157]
	v_add_f64 v[93:94], v[93:94], v[97:98]
	s_clause 0x3
	buffer_load_dword v97, off, s[0:3], 0 offset:80
	buffer_load_dword v98, off, s[0:3], 0 offset:84
	;; [unrolled: 1-line block ×4, first 2 shown]
	ds_read_b128 v[87:90], v129 offset:1072
	s_waitcnt vmcnt(51) lgkmcnt(1)
	v_mul_f64 v[156:157], v[1:2], v[132:133]
	v_mul_f64 v[132:133], v[3:4], v[132:133]
	s_waitcnt vmcnt(49)
	v_fma_f64 v[130:131], v[83:84], v[99:100], -v[130:131]
	v_fma_f64 v[99:100], v[85:86], v[99:100], v[148:149]
	ds_read_b128 v[83:86], v129 offset:1088
	v_add_f64 v[91:92], v[91:92], v[140:141]
	v_add_f64 v[93:94], v[93:94], v[103:104]
	s_waitcnt vmcnt(45) lgkmcnt(1)
	v_mul_f64 v[103:104], v[87:88], v[95:96]
	v_mul_f64 v[95:96], v[89:90], v[95:96]
	s_waitcnt vmcnt(44)
	v_fma_f64 v[132:133], v[1:2], v[142:143], -v[132:133]
	v_add_f64 v[91:92], v[91:92], v[130:131]
	v_fma_f64 v[130:131], v[3:4], v[142:143], v[156:157]
	v_add_f64 v[93:94], v[93:94], v[99:100]
	ds_read_b128 v[1:4], v129 offset:1104
	s_waitcnt vmcnt(43) lgkmcnt(1)
	v_mul_f64 v[99:100], v[83:84], v[115:116]
	v_mul_f64 v[115:116], v[85:86], v[115:116]
	s_waitcnt vmcnt(41)
	v_fma_f64 v[95:96], v[87:88], v[105:106], -v[95:96]
	v_fma_f64 v[103:104], v[89:90], v[105:106], v[103:104]
	ds_read_b128 v[87:90], v129 offset:1120
	v_add_f64 v[91:92], v[91:92], v[132:133]
	v_add_f64 v[93:94], v[93:94], v[130:131]
	s_waitcnt vmcnt(37) lgkmcnt(1)
	v_mul_f64 v[105:106], v[1:2], v[101:102]
	v_mul_f64 v[101:102], v[3:4], v[101:102]
	s_waitcnt vmcnt(36)
	v_fma_f64 v[115:116], v[83:84], v[134:135], -v[115:116]
	v_add_f64 v[91:92], v[91:92], v[95:96]
	v_fma_f64 v[95:96], v[85:86], v[134:135], v[99:100]
	v_add_f64 v[93:94], v[93:94], v[103:104]
	s_waitcnt vmcnt(35) lgkmcnt(0)
	v_mul_f64 v[103:104], v[89:90], v[121:122]
	ds_read_b128 v[83:86], v129 offset:1136
	v_mul_f64 v[99:100], v[87:88], v[121:122]
	s_waitcnt vmcnt(33)
	v_fma_f64 v[105:106], v[3:4], v[111:112], v[105:106]
	v_fma_f64 v[101:102], v[1:2], v[111:112], -v[101:102]
	ds_read_b128 v[1:4], v129 offset:1152
	v_add_f64 v[91:92], v[91:92], v[115:116]
	v_add_f64 v[93:94], v[93:94], v[95:96]
	s_waitcnt vmcnt(29) lgkmcnt(1)
	v_mul_f64 v[95:96], v[83:84], v[107:108]
	v_mul_f64 v[107:108], v[85:86], v[107:108]
	s_waitcnt vmcnt(28)
	v_fma_f64 v[103:104], v[87:88], v[123:124], -v[103:104]
	v_fma_f64 v[99:100], v[89:90], v[123:124], v[99:100]
	ds_read_b128 v[87:90], v129 offset:1168
	v_add_f64 v[91:92], v[91:92], v[101:102]
	v_add_f64 v[93:94], v[93:94], v[105:106]
	s_waitcnt vmcnt(27) lgkmcnt(1)
	v_mul_f64 v[105:106], v[3:4], v[144:145]
	v_mul_f64 v[101:102], v[1:2], v[144:145]
	s_waitcnt vmcnt(25)
	v_fma_f64 v[107:108], v[83:84], v[109:110], -v[107:108]
	v_fma_f64 v[95:96], v[85:86], v[109:110], v[95:96]
	ds_read_b128 v[83:86], v129 offset:1184
	v_add_f64 v[91:92], v[91:92], v[103:104]
	v_add_f64 v[93:94], v[93:94], v[99:100]
	s_waitcnt vmcnt(21) lgkmcnt(1)
	v_mul_f64 v[103:104], v[89:90], v[113:114]
	s_waitcnt vmcnt(20)
	v_fma_f64 v[105:106], v[1:2], v[146:147], -v[105:106]
	v_mul_f64 v[99:100], v[87:88], v[113:114]
	v_fma_f64 v[101:102], v[3:4], v[146:147], v[101:102]
	ds_read_b128 v[1:4], v129 offset:1200
	v_add_f64 v[91:92], v[91:92], v[107:108]
	v_add_f64 v[93:94], v[93:94], v[95:96]
	s_waitcnt vmcnt(19) lgkmcnt(1)
	v_mul_f64 v[107:108], v[85:86], v[150:151]
	v_mul_f64 v[95:96], v[83:84], v[150:151]
	s_waitcnt vmcnt(17)
	v_fma_f64 v[103:104], v[87:88], v[117:118], -v[103:104]
	v_fma_f64 v[99:100], v[89:90], v[117:118], v[99:100]
	ds_read_b128 v[87:90], v129 offset:1216
	v_add_f64 v[91:92], v[91:92], v[105:106]
	v_add_f64 v[93:94], v[93:94], v[101:102]
	s_waitcnt vmcnt(13) lgkmcnt(1)
	v_mul_f64 v[105:106], v[3:4], v[119:120]
	s_waitcnt vmcnt(12)
	v_fma_f64 v[107:108], v[83:84], v[152:153], -v[107:108]
	v_mul_f64 v[101:102], v[1:2], v[119:120]
	v_fma_f64 v[95:96], v[85:86], v[152:153], v[95:96]
	ds_read_b128 v[83:86], v129 offset:1232
	v_add_f64 v[91:92], v[91:92], v[103:104]
	v_add_f64 v[93:94], v[93:94], v[99:100]
	s_waitcnt vmcnt(11) lgkmcnt(1)
	v_mul_f64 v[103:104], v[89:90], v[158:159]
	v_mul_f64 v[99:100], v[87:88], v[158:159]
	s_waitcnt vmcnt(9)
	v_fma_f64 v[1:2], v[1:2], v[125:126], -v[105:106]
	v_fma_f64 v[3:4], v[3:4], v[125:126], v[101:102]
	v_add_f64 v[91:92], v[91:92], v[107:108]
	v_add_f64 v[93:94], v[93:94], v[95:96]
	s_waitcnt vmcnt(7) lgkmcnt(0)
	v_mul_f64 v[101:102], v[85:86], v[127:128]
	s_waitcnt vmcnt(6)
	v_fma_f64 v[87:88], v[87:88], v[162:163], -v[103:104]
	v_mul_f64 v[95:96], v[83:84], v[127:128]
	v_fma_f64 v[89:90], v[89:90], v[162:163], v[99:100]
	v_add_f64 v[1:2], v[91:92], v[1:2]
	v_add_f64 v[3:4], v[93:94], v[3:4]
	s_waitcnt vmcnt(4)
	v_fma_f64 v[83:84], v[83:84], v[136:137], -v[101:102]
	v_fma_f64 v[85:86], v[85:86], v[136:137], v[95:96]
	v_add_f64 v[1:2], v[1:2], v[87:88]
	v_add_f64 v[3:4], v[3:4], v[89:90]
	;; [unrolled: 1-line block ×4, first 2 shown]
	s_waitcnt vmcnt(2)
	v_add_f64 v[1:2], v[97:98], -v[1:2]
	s_waitcnt vmcnt(0)
	v_add_f64 v[3:4], v[154:155], -v[3:4]
	buffer_store_dword v2, off, s[0:3], 0 offset:84
	buffer_store_dword v1, off, s[0:3], 0 offset:80
	;; [unrolled: 1-line block ×4, first 2 shown]
	v_cmpx_lt_u32_e32 3, v0
	s_cbranch_execz .LBB102_241
; %bb.240:
	v_mov_b32_e32 v4, s48
	v_mov_b32_e32 v83, 0
	s_clause 0x3
	buffer_load_dword v1, v4, s[0:3], 0 offen
	buffer_load_dword v2, v4, s[0:3], 0 offen offset:4
	buffer_load_dword v3, v4, s[0:3], 0 offen offset:8
	;; [unrolled: 1-line block ×3, first 2 shown]
	buffer_store_dword v83, off, s[0:3], 0 offset:64
	buffer_store_dword v83, off, s[0:3], 0 offset:68
	;; [unrolled: 1-line block ×4, first 2 shown]
	s_waitcnt vmcnt(0)
	ds_write_b128 v139, v[1:4]
.LBB102_241:
	s_or_b32 exec_lo, exec_lo, s4
	s_waitcnt lgkmcnt(0)
	s_waitcnt_vscnt null, 0x0
	s_barrier
	buffer_gl0_inv
	s_clause 0x37
	buffer_load_dword v87, off, s[0:3], 0 offset:88
	buffer_load_dword v88, off, s[0:3], 0 offset:92
	;; [unrolled: 1-line block ×56, first 2 shown]
	v_mov_b32_e32 v140, 0
	s_mov_b32 s4, exec_lo
	ds_read_b128 v[141:144], v140 offset:688
	s_clause 0x2
	buffer_load_dword v136, off, s[0:3], 0 offset:316
	buffer_load_dword v138, off, s[0:3], 0 offset:292
	buffer_load_dword v137, off, s[0:3], 0 offset:288
	ds_read_b128 v[145:148], v140 offset:704
	s_clause 0x4
	buffer_load_dword v156, off, s[0:3], 0 offset:332
	buffer_load_dword v157, off, s[0:3], 0 offset:344
	;; [unrolled: 1-line block ×5, first 2 shown]
	ds_read_b128 v[149:152], v140 offset:720
	s_clause 0x2
	buffer_load_dword v158, off, s[0:3], 0 offset:348
	buffer_load_dword v163, off, s[0:3], 0 offset:324
	;; [unrolled: 1-line block ×3, first 2 shown]
	s_waitcnt vmcnt(62) lgkmcnt(2)
	v_mul_f64 v[153:154], v[143:144], v[87:88]
	v_mul_f64 v[87:88], v[141:142], v[87:88]
	s_waitcnt lgkmcnt(1)
	v_mul_f64 v[160:161], v[147:148], v[83:84]
	s_waitcnt vmcnt(59) lgkmcnt(0)
	v_mul_f64 v[164:165], v[151:152], v[3:4]
	v_fma_f64 v[141:142], v[141:142], v[85:86], -v[153:154]
	v_mul_f64 v[153:154], v[145:146], v[83:84]
	v_fma_f64 v[87:88], v[143:144], v[85:86], v[87:88]
	s_waitcnt vmcnt(57)
	v_fma_f64 v[145:146], v[145:146], v[1:2], -v[160:161]
	ds_read_b128 v[83:86], v140 offset:736
	v_mul_f64 v[143:144], v[149:150], v[3:4]
	s_waitcnt vmcnt(51)
	v_fma_f64 v[149:150], v[149:150], v[103:104], -v[164:165]
	v_add_f64 v[141:142], v[141:142], 0
	v_fma_f64 v[147:148], v[147:148], v[1:2], v[153:154]
	v_add_f64 v[87:88], v[87:88], 0
	s_clause 0x4
	buffer_load_dword v154, off, s[0:3], 0 offset:364
	buffer_load_dword v166, off, s[0:3], 0 offset:376
	;; [unrolled: 1-line block ×5, first 2 shown]
	s_waitcnt lgkmcnt(0)
	v_mul_f64 v[169:170], v[83:84], v[91:92]
	v_mul_f64 v[91:92], v[85:86], v[91:92]
	ds_read_b128 v[1:4], v140 offset:752
	v_fma_f64 v[103:104], v[151:152], v[103:104], v[143:144]
	v_add_f64 v[145:146], v[141:142], v[145:146]
	v_add_f64 v[87:88], v[87:88], v[147:148]
	s_clause 0x2
	buffer_load_dword v167, off, s[0:3], 0 offset:380
	buffer_load_dword v148, off, s[0:3], 0 offset:356
	;; [unrolled: 1-line block ×3, first 2 shown]
	s_waitcnt vmcnt(58) lgkmcnt(0)
	v_mul_f64 v[151:152], v[1:2], v[95:96]
	v_mul_f64 v[95:96], v[3:4], v[95:96]
	s_waitcnt vmcnt(56)
	v_fma_f64 v[91:92], v[83:84], v[97:98], -v[91:92]
	ds_read_b128 v[141:144], v140 offset:768
	v_fma_f64 v[97:98], v[85:86], v[97:98], v[169:170]
	v_add_f64 v[145:146], v[145:146], v[149:150]
	v_add_f64 v[87:88], v[87:88], v[103:104]
	s_clause 0x4
	buffer_load_dword v104, off, s[0:3], 0 offset:396
	buffer_load_dword v149, off, s[0:3], 0 offset:408
	;; [unrolled: 1-line block ×5, first 2 shown]
	ds_read_b128 v[83:86], v140 offset:784
	s_waitcnt vmcnt(57) lgkmcnt(1)
	v_mul_f64 v[170:171], v[141:142], v[99:100]
	v_mul_f64 v[99:100], v[143:144], v[99:100]
	s_waitcnt vmcnt(56)
	v_fma_f64 v[95:96], v[1:2], v[89:90], -v[95:96]
	v_fma_f64 v[89:90], v[3:4], v[89:90], v[151:152]
	v_add_f64 v[91:92], v[145:146], v[91:92]
	v_add_f64 v[87:88], v[87:88], v[97:98]
	s_clause 0x2
	buffer_load_dword v150, off, s[0:3], 0 offset:412
	buffer_load_dword v98, off, s[0:3], 0 offset:388
	;; [unrolled: 1-line block ×3, first 2 shown]
	s_waitcnt vmcnt(58) lgkmcnt(0)
	v_mul_f64 v[145:146], v[83:84], v[105:106]
	v_mul_f64 v[105:106], v[85:86], v[105:106]
	s_waitcnt vmcnt(56)
	v_fma_f64 v[99:100], v[141:142], v[107:108], -v[99:100]
	ds_read_b128 v[1:4], v140 offset:800
	v_add_f64 v[91:92], v[91:92], v[95:96]
	v_fma_f64 v[95:96], v[143:144], v[107:108], v[170:171]
	v_add_f64 v[107:108], v[87:88], v[89:90]
	s_clause 0x4
	buffer_load_dword v142, off, s[0:3], 0 offset:428
	buffer_load_dword v143, off, s[0:3], 0 offset:440
	;; [unrolled: 1-line block ×5, first 2 shown]
	ds_read_b128 v[87:90], v140 offset:816
	s_waitcnt vmcnt(57) lgkmcnt(1)
	v_mul_f64 v[170:171], v[1:2], v[109:110]
	v_mul_f64 v[109:110], v[3:4], v[109:110]
	s_waitcnt vmcnt(56)
	v_fma_f64 v[105:106], v[83:84], v[93:94], -v[105:106]
	v_fma_f64 v[93:94], v[85:86], v[93:94], v[145:146]
	v_add_f64 v[91:92], v[91:92], v[99:100]
	s_clause 0x2
	buffer_load_dword v144, off, s[0:3], 0 offset:444
	buffer_load_dword v100, off, s[0:3], 0 offset:420
	;; [unrolled: 1-line block ×3, first 2 shown]
	v_add_f64 v[95:96], v[107:108], v[95:96]
	s_waitcnt vmcnt(58) lgkmcnt(0)
	v_mul_f64 v[107:108], v[87:88], v[113:114]
	v_mul_f64 v[113:114], v[89:90], v[113:114]
	ds_read_b128 v[83:86], v140 offset:832
	s_waitcnt vmcnt(56)
	v_fma_f64 v[109:110], v[1:2], v[115:116], -v[109:110]
	v_add_f64 v[91:92], v[91:92], v[105:106]
	v_fma_f64 v[105:106], v[3:4], v[115:116], v[170:171]
	v_add_f64 v[93:94], v[95:96], v[93:94]
	s_clause 0x4
	buffer_load_dword v96, off, s[0:3], 0 offset:460
	buffer_load_dword v115, off, s[0:3], 0 offset:472
	;; [unrolled: 1-line block ×5, first 2 shown]
	s_waitcnt vmcnt(57) lgkmcnt(0)
	v_mul_f64 v[170:171], v[83:84], v[117:118]
	v_mul_f64 v[117:118], v[85:86], v[117:118]
	s_waitcnt vmcnt(56)
	v_fma_f64 v[113:114], v[87:88], v[101:102], -v[113:114]
	ds_read_b128 v[1:4], v140 offset:848
	v_fma_f64 v[101:102], v[89:90], v[101:102], v[107:108]
	v_add_f64 v[91:92], v[91:92], v[109:110]
	v_add_f64 v[93:94], v[93:94], v[105:106]
	s_clause 0x2
	buffer_load_dword v116, off, s[0:3], 0 offset:476
	buffer_load_dword v106, off, s[0:3], 0 offset:452
	;; [unrolled: 1-line block ×3, first 2 shown]
	ds_read_b128 v[87:90], v140 offset:864
	s_waitcnt vmcnt(58) lgkmcnt(1)
	v_mul_f64 v[109:110], v[3:4], v[121:122]
	s_waitcnt vmcnt(56)
	v_fma_f64 v[117:118], v[83:84], v[123:124], -v[117:118]
	v_mul_f64 v[107:108], v[1:2], v[121:122]
	v_add_f64 v[91:92], v[91:92], v[113:114]
	v_fma_f64 v[113:114], v[85:86], v[123:124], v[170:171]
	v_add_f64 v[93:94], v[93:94], v[101:102]
	s_clause 0x4
	buffer_load_dword v102, off, s[0:3], 0 offset:492
	buffer_load_dword v121, off, s[0:3], 0 offset:504
	buffer_load_dword v123, off, s[0:3], 0 offset:496
	buffer_load_dword v101, off, s[0:3], 0 offset:488
	buffer_load_dword v146, off, s[0:3], 0 offset:468
	s_waitcnt vmcnt(57) lgkmcnt(0)
	v_mul_f64 v[170:171], v[87:88], v[125:126]
	v_mul_f64 v[124:125], v[89:90], v[125:126]
	s_waitcnt vmcnt(56)
	v_fma_f64 v[109:110], v[1:2], v[111:112], -v[109:110]
	ds_read_b128 v[83:86], v140 offset:880
	v_fma_f64 v[107:108], v[3:4], v[111:112], v[107:108]
	s_clause 0x2
	buffer_load_dword v122, off, s[0:3], 0 offset:508
	buffer_load_dword v112, off, s[0:3], 0 offset:484
	;; [unrolled: 1-line block ×3, first 2 shown]
	ds_read_b128 v[1:4], v140 offset:896
	v_add_f64 v[91:92], v[91:92], v[117:118]
	v_add_f64 v[93:94], v[93:94], v[113:114]
	s_waitcnt vmcnt(58) lgkmcnt(1)
	v_mul_f64 v[117:118], v[85:86], v[129:130]
	s_waitcnt vmcnt(56)
	v_fma_f64 v[125:126], v[87:88], v[131:132], -v[124:125]
	v_mul_f64 v[113:114], v[83:84], v[129:130]
	v_add_f64 v[91:92], v[91:92], v[109:110]
	v_fma_f64 v[109:110], v[89:90], v[131:132], v[170:171]
	v_add_f64 v[93:94], v[93:94], v[107:108]
	s_clause 0x4
	buffer_load_dword v108, off, s[0:3], 0 offset:524
	buffer_load_dword v129, off, s[0:3], 0 offset:536
	;; [unrolled: 1-line block ×5, first 2 shown]
	s_waitcnt vmcnt(57) lgkmcnt(0)
	v_mul_f64 v[170:171], v[1:2], v[133:134]
	v_mul_f64 v[132:133], v[3:4], v[133:134]
	s_waitcnt vmcnt(56)
	v_fma_f64 v[117:118], v[83:84], v[119:120], -v[117:118]
	ds_read_b128 v[87:90], v140 offset:912
	v_fma_f64 v[113:114], v[85:86], v[119:120], v[113:114]
	v_add_f64 v[91:92], v[91:92], v[125:126]
	v_add_f64 v[93:94], v[93:94], v[109:110]
	s_clause 0x2
	buffer_load_dword v130, off, s[0:3], 0 offset:540
	buffer_load_dword v110, off, s[0:3], 0 offset:516
	;; [unrolled: 1-line block ×3, first 2 shown]
	ds_read_b128 v[83:86], v140 offset:928
	s_waitcnt vmcnt(58) lgkmcnt(1)
	v_mul_f64 v[125:126], v[89:90], v[135:136]
	s_waitcnt vmcnt(56)
	v_fma_f64 v[133:134], v[1:2], v[137:138], -v[132:133]
	v_mul_f64 v[119:120], v[87:88], v[135:136]
	v_add_f64 v[91:92], v[91:92], v[117:118]
	v_fma_f64 v[117:118], v[3:4], v[137:138], v[170:171]
	v_add_f64 v[93:94], v[93:94], v[113:114]
	s_clause 0x4
	buffer_load_dword v114, off, s[0:3], 0 offset:556
	buffer_load_dword v135, off, s[0:3], 0 offset:568
	;; [unrolled: 1-line block ×5, first 2 shown]
	s_waitcnt vmcnt(57) lgkmcnt(0)
	v_mul_f64 v[170:171], v[83:84], v[155:156]
	v_mul_f64 v[155:156], v[85:86], v[155:156]
	s_waitcnt vmcnt(56)
	v_fma_f64 v[125:126], v[87:88], v[127:128], -v[125:126]
	ds_read_b128 v[1:4], v140 offset:944
	v_fma_f64 v[119:120], v[89:90], v[127:128], v[119:120]
	v_add_f64 v[91:92], v[91:92], v[133:134]
	v_add_f64 v[93:94], v[93:94], v[117:118]
	s_clause 0x2
	buffer_load_dword v136, off, s[0:3], 0 offset:572
	buffer_load_dword v118, off, s[0:3], 0 offset:548
	buffer_load_dword v117, off, s[0:3], 0 offset:544
	ds_read_b128 v[87:90], v140 offset:960
	s_waitcnt vmcnt(58) lgkmcnt(1)
	v_mul_f64 v[133:134], v[3:4], v[157:158]
	s_waitcnt vmcnt(56)
	v_fma_f64 v[155:156], v[83:84], v[162:163], -v[155:156]
	v_mul_f64 v[127:128], v[1:2], v[157:158]
	v_add_f64 v[91:92], v[91:92], v[125:126]
	v_fma_f64 v[125:126], v[85:86], v[162:163], v[170:171]
	v_add_f64 v[93:94], v[93:94], v[119:120]
	s_clause 0x4
	buffer_load_dword v120, off, s[0:3], 0 offset:588
	buffer_load_dword v157, off, s[0:3], 0 offset:600
	;; [unrolled: 1-line block ×5, first 2 shown]
	ds_read_b128 v[83:86], v140 offset:976
	s_waitcnt vmcnt(57) lgkmcnt(1)
	v_mul_f64 v[162:163], v[87:88], v[153:154]
	v_mul_f64 v[153:154], v[89:90], v[153:154]
	s_waitcnt vmcnt(56)
	v_fma_f64 v[133:134], v[1:2], v[159:160], -v[133:134]
	v_fma_f64 v[127:128], v[3:4], v[159:160], v[127:128]
	v_add_f64 v[91:92], v[91:92], v[155:156]
	v_add_f64 v[93:94], v[93:94], v[125:126]
	s_clause 0x2
	buffer_load_dword v158, off, s[0:3], 0 offset:604
	buffer_load_dword v126, off, s[0:3], 0 offset:580
	;; [unrolled: 1-line block ×3, first 2 shown]
	ds_read_b128 v[1:4], v140 offset:992
	s_waitcnt vmcnt(58) lgkmcnt(1)
	v_mul_f64 v[159:160], v[85:86], v[166:167]
	v_mul_f64 v[155:156], v[83:84], v[166:167]
	s_waitcnt vmcnt(56)
	v_fma_f64 v[153:154], v[87:88], v[147:148], -v[153:154]
	v_add_f64 v[91:92], v[91:92], v[133:134]
	v_fma_f64 v[133:134], v[89:90], v[147:148], v[162:163]
	v_add_f64 v[93:94], v[93:94], v[127:128]
	s_clause 0x4
	buffer_load_dword v128, off, s[0:3], 0 offset:620
	buffer_load_dword v147, off, s[0:3], 0 offset:632
	;; [unrolled: 1-line block ×5, first 2 shown]
	ds_read_b128 v[87:90], v140 offset:1008
	s_waitcnt vmcnt(57) lgkmcnt(1)
	v_mul_f64 v[170:171], v[1:2], v[103:104]
	v_mul_f64 v[103:104], v[3:4], v[103:104]
	s_waitcnt vmcnt(56)
	v_fma_f64 v[159:160], v[83:84], v[168:169], -v[159:160]
	v_add_f64 v[91:92], v[91:92], v[153:154]
	v_fma_f64 v[153:154], v[85:86], v[168:169], v[155:156]
	v_add_f64 v[93:94], v[93:94], v[133:134]
	s_clause 0x2
	buffer_load_dword v148, off, s[0:3], 0 offset:636
	buffer_load_dword v134, off, s[0:3], 0 offset:612
	buffer_load_dword v133, off, s[0:3], 0 offset:608
	ds_read_b128 v[83:86], v140 offset:1024
	buffer_load_dword v167, off, s[0:3], 0 offset:628
	s_waitcnt vmcnt(59) lgkmcnt(1)
	v_mul_f64 v[155:156], v[87:88], v[149:150]
	v_mul_f64 v[149:150], v[89:90], v[149:150]
	s_waitcnt vmcnt(57)
	v_fma_f64 v[103:104], v[1:2], v[97:98], -v[103:104]
	v_fma_f64 v[97:98], v[3:4], v[97:98], v[170:171]
	ds_read_b128 v[1:4], v140 offset:1040
	v_add_f64 v[91:92], v[91:92], v[159:160]
	v_add_f64 v[93:94], v[93:94], v[153:154]
	s_waitcnt vmcnt(53) lgkmcnt(1)
	v_mul_f64 v[153:154], v[83:84], v[141:142]
	v_mul_f64 v[141:142], v[85:86], v[141:142]
	s_waitcnt vmcnt(52)
	v_fma_f64 v[149:150], v[87:88], v[164:165], -v[149:150]
	v_add_f64 v[91:92], v[91:92], v[103:104]
	v_fma_f64 v[103:104], v[89:90], v[164:165], v[155:156]
	v_add_f64 v[93:94], v[93:94], v[97:98]
	ds_read_b128 v[87:90], v140 offset:1056
	s_waitcnt vmcnt(51) lgkmcnt(1)
	v_mul_f64 v[97:98], v[1:2], v[143:144]
	v_mul_f64 v[143:144], v[3:4], v[143:144]
	s_waitcnt vmcnt(49)
	v_fma_f64 v[141:142], v[83:84], v[99:100], -v[141:142]
	v_fma_f64 v[99:100], v[85:86], v[99:100], v[153:154]
	v_add_f64 v[91:92], v[91:92], v[149:150]
	v_add_f64 v[93:94], v[93:94], v[103:104]
	s_clause 0x3
	buffer_load_dword v103, off, s[0:3], 0 offset:64
	buffer_load_dword v104, off, s[0:3], 0 offset:68
	;; [unrolled: 1-line block ×4, first 2 shown]
	ds_read_b128 v[83:86], v140 offset:1072
	s_waitcnt vmcnt(49) lgkmcnt(1)
	v_mul_f64 v[153:154], v[87:88], v[95:96]
	v_mul_f64 v[95:96], v[89:90], v[95:96]
	s_waitcnt vmcnt(48)
	v_fma_f64 v[143:144], v[1:2], v[151:152], -v[143:144]
	v_fma_f64 v[97:98], v[3:4], v[151:152], v[97:98]
	ds_read_b128 v[1:4], v140 offset:1088
	v_add_f64 v[91:92], v[91:92], v[141:142]
	v_add_f64 v[93:94], v[93:94], v[99:100]
	s_waitcnt vmcnt(47) lgkmcnt(1)
	v_mul_f64 v[99:100], v[83:84], v[115:116]
	v_mul_f64 v[115:116], v[85:86], v[115:116]
	s_waitcnt vmcnt(45)
	v_fma_f64 v[95:96], v[87:88], v[105:106], -v[95:96]
	v_fma_f64 v[105:106], v[89:90], v[105:106], v[153:154]
	ds_read_b128 v[87:90], v140 offset:1104
	v_add_f64 v[91:92], v[91:92], v[143:144]
	v_add_f64 v[93:94], v[93:94], v[97:98]
	s_waitcnt vmcnt(41) lgkmcnt(1)
	v_mul_f64 v[97:98], v[1:2], v[101:102]
	v_mul_f64 v[101:102], v[3:4], v[101:102]
	s_waitcnt vmcnt(40)
	v_fma_f64 v[115:116], v[83:84], v[145:146], -v[115:116]
	v_add_f64 v[91:92], v[91:92], v[95:96]
	v_fma_f64 v[95:96], v[85:86], v[145:146], v[99:100]
	v_add_f64 v[93:94], v[93:94], v[105:106]
	ds_read_b128 v[83:86], v140 offset:1120
	s_waitcnt vmcnt(39) lgkmcnt(1)
	v_mul_f64 v[105:106], v[89:90], v[121:122]
	v_mul_f64 v[99:100], v[87:88], v[121:122]
	s_waitcnt vmcnt(37)
	v_fma_f64 v[97:98], v[3:4], v[111:112], v[97:98]
	v_fma_f64 v[101:102], v[1:2], v[111:112], -v[101:102]
	ds_read_b128 v[1:4], v140 offset:1136
	v_add_f64 v[91:92], v[91:92], v[115:116]
	v_add_f64 v[93:94], v[93:94], v[95:96]
	s_waitcnt vmcnt(33) lgkmcnt(1)
	v_mul_f64 v[95:96], v[83:84], v[107:108]
	v_mul_f64 v[107:108], v[85:86], v[107:108]
	s_waitcnt vmcnt(32)
	v_fma_f64 v[105:106], v[87:88], v[123:124], -v[105:106]
	v_fma_f64 v[99:100], v[89:90], v[123:124], v[99:100]
	ds_read_b128 v[87:90], v140 offset:1152
	v_add_f64 v[91:92], v[91:92], v[101:102]
	v_add_f64 v[93:94], v[93:94], v[97:98]
	s_waitcnt vmcnt(31) lgkmcnt(1)
	v_mul_f64 v[101:102], v[3:4], v[129:130]
	v_mul_f64 v[97:98], v[1:2], v[129:130]
	s_waitcnt vmcnt(29)
	v_fma_f64 v[107:108], v[83:84], v[109:110], -v[107:108]
	v_fma_f64 v[95:96], v[85:86], v[109:110], v[95:96]
	ds_read_b128 v[83:86], v140 offset:1168
	v_add_f64 v[91:92], v[91:92], v[105:106]
	v_add_f64 v[93:94], v[93:94], v[99:100]
	s_waitcnt vmcnt(25) lgkmcnt(1)
	v_mul_f64 v[105:106], v[89:90], v[113:114]
	s_waitcnt vmcnt(24)
	v_fma_f64 v[101:102], v[1:2], v[131:132], -v[101:102]
	v_mul_f64 v[99:100], v[87:88], v[113:114]
	v_fma_f64 v[97:98], v[3:4], v[131:132], v[97:98]
	ds_read_b128 v[1:4], v140 offset:1184
	v_add_f64 v[91:92], v[91:92], v[107:108]
	v_add_f64 v[93:94], v[93:94], v[95:96]
	s_waitcnt vmcnt(23) lgkmcnt(1)
	v_mul_f64 v[107:108], v[85:86], v[135:136]
	v_mul_f64 v[95:96], v[83:84], v[135:136]
	s_waitcnt vmcnt(21)
	v_fma_f64 v[105:106], v[87:88], v[117:118], -v[105:106]
	v_fma_f64 v[99:100], v[89:90], v[117:118], v[99:100]
	ds_read_b128 v[87:90], v140 offset:1200
	v_add_f64 v[91:92], v[91:92], v[101:102]
	v_add_f64 v[93:94], v[93:94], v[97:98]
	s_waitcnt vmcnt(17) lgkmcnt(1)
	v_mul_f64 v[101:102], v[3:4], v[119:120]
	s_waitcnt vmcnt(16)
	v_fma_f64 v[107:108], v[83:84], v[137:138], -v[107:108]
	v_mul_f64 v[97:98], v[1:2], v[119:120]
	;; [unrolled: 18-line block ×3, first 2 shown]
	v_fma_f64 v[89:90], v[89:90], v[161:162], v[99:100]
	v_add_f64 v[91:92], v[91:92], v[101:102]
	v_add_f64 v[93:94], v[93:94], v[97:98]
	s_waitcnt vmcnt(7) lgkmcnt(0)
	v_mul_f64 v[99:100], v[3:4], v[147:148]
	v_mul_f64 v[97:98], v[1:2], v[147:148]
	s_waitcnt vmcnt(5)
	v_fma_f64 v[83:84], v[83:84], v[133:134], -v[107:108]
	v_fma_f64 v[85:86], v[85:86], v[133:134], v[95:96]
	v_add_f64 v[87:88], v[91:92], v[87:88]
	v_add_f64 v[89:90], v[93:94], v[89:90]
	s_waitcnt vmcnt(4)
	v_fma_f64 v[1:2], v[1:2], v[166:167], -v[99:100]
	v_fma_f64 v[3:4], v[3:4], v[166:167], v[97:98]
	v_add_f64 v[83:84], v[87:88], v[83:84]
	v_add_f64 v[85:86], v[89:90], v[85:86]
	;; [unrolled: 1-line block ×4, first 2 shown]
	s_waitcnt vmcnt(2)
	v_add_f64 v[1:2], v[103:104], -v[1:2]
	s_waitcnt vmcnt(0)
	v_add_f64 v[3:4], v[149:150], -v[3:4]
	buffer_store_dword v2, off, s[0:3], 0 offset:68
	buffer_store_dword v1, off, s[0:3], 0 offset:64
	;; [unrolled: 1-line block ×4, first 2 shown]
	v_cmpx_lt_u32_e32 2, v0
	s_cbranch_execz .LBB102_243
; %bb.242:
	v_mov_b32_e32 v4, s49
	s_clause 0x3
	buffer_load_dword v1, v4, s[0:3], 0 offen
	buffer_load_dword v2, v4, s[0:3], 0 offen offset:4
	buffer_load_dword v3, v4, s[0:3], 0 offen offset:8
	;; [unrolled: 1-line block ×3, first 2 shown]
	buffer_store_dword v140, off, s[0:3], 0 offset:48
	buffer_store_dword v140, off, s[0:3], 0 offset:52
	;; [unrolled: 1-line block ×4, first 2 shown]
	s_waitcnt vmcnt(0)
	ds_write_b128 v139, v[1:4]
.LBB102_243:
	s_or_b32 exec_lo, exec_lo, s4
	s_waitcnt lgkmcnt(0)
	s_waitcnt_vscnt null, 0x0
	s_barrier
	buffer_gl0_inv
	s_clause 0x37
	buffer_load_dword v87, off, s[0:3], 0 offset:72
	buffer_load_dword v88, off, s[0:3], 0 offset:76
	;; [unrolled: 1-line block ×56, first 2 shown]
	ds_read_b128 v[141:144], v140 offset:672
	s_clause 0x2
	buffer_load_dword v136, off, s[0:3], 0 offset:300
	buffer_load_dword v138, off, s[0:3], 0 offset:276
	;; [unrolled: 1-line block ×3, first 2 shown]
	ds_read_b128 v[145:148], v140 offset:688
	s_clause 0x4
	buffer_load_dword v156, off, s[0:3], 0 offset:316
	buffer_load_dword v157, off, s[0:3], 0 offset:328
	;; [unrolled: 1-line block ×5, first 2 shown]
	ds_read_b128 v[149:152], v140 offset:704
	s_clause 0x2
	buffer_load_dword v158, off, s[0:3], 0 offset:332
	buffer_load_dword v163, off, s[0:3], 0 offset:308
	;; [unrolled: 1-line block ×3, first 2 shown]
	s_mov_b32 s4, exec_lo
	s_waitcnt vmcnt(62) lgkmcnt(2)
	v_mul_f64 v[153:154], v[143:144], v[87:88]
	v_mul_f64 v[87:88], v[141:142], v[87:88]
	s_waitcnt lgkmcnt(1)
	v_mul_f64 v[160:161], v[147:148], v[83:84]
	s_waitcnt vmcnt(59) lgkmcnt(0)
	v_mul_f64 v[164:165], v[151:152], v[3:4]
	v_fma_f64 v[141:142], v[141:142], v[85:86], -v[153:154]
	v_mul_f64 v[153:154], v[145:146], v[83:84]
	v_fma_f64 v[87:88], v[143:144], v[85:86], v[87:88]
	s_waitcnt vmcnt(57)
	v_fma_f64 v[145:146], v[145:146], v[1:2], -v[160:161]
	ds_read_b128 v[83:86], v140 offset:720
	v_mul_f64 v[143:144], v[149:150], v[3:4]
	s_waitcnt vmcnt(51)
	v_fma_f64 v[149:150], v[149:150], v[103:104], -v[164:165]
	v_add_f64 v[141:142], v[141:142], 0
	v_fma_f64 v[147:148], v[147:148], v[1:2], v[153:154]
	v_add_f64 v[87:88], v[87:88], 0
	s_clause 0x4
	buffer_load_dword v154, off, s[0:3], 0 offset:348
	buffer_load_dword v166, off, s[0:3], 0 offset:360
	;; [unrolled: 1-line block ×5, first 2 shown]
	s_waitcnt lgkmcnt(0)
	v_mul_f64 v[169:170], v[83:84], v[91:92]
	v_mul_f64 v[91:92], v[85:86], v[91:92]
	ds_read_b128 v[1:4], v140 offset:736
	v_fma_f64 v[103:104], v[151:152], v[103:104], v[143:144]
	v_add_f64 v[145:146], v[141:142], v[145:146]
	v_add_f64 v[87:88], v[87:88], v[147:148]
	s_clause 0x2
	buffer_load_dword v167, off, s[0:3], 0 offset:364
	buffer_load_dword v148, off, s[0:3], 0 offset:340
	;; [unrolled: 1-line block ×3, first 2 shown]
	s_waitcnt vmcnt(58) lgkmcnt(0)
	v_mul_f64 v[151:152], v[1:2], v[95:96]
	v_mul_f64 v[95:96], v[3:4], v[95:96]
	s_waitcnt vmcnt(56)
	v_fma_f64 v[91:92], v[83:84], v[97:98], -v[91:92]
	ds_read_b128 v[141:144], v140 offset:752
	v_fma_f64 v[97:98], v[85:86], v[97:98], v[169:170]
	v_add_f64 v[145:146], v[145:146], v[149:150]
	v_add_f64 v[87:88], v[87:88], v[103:104]
	s_clause 0x4
	buffer_load_dword v104, off, s[0:3], 0 offset:380
	buffer_load_dword v149, off, s[0:3], 0 offset:392
	;; [unrolled: 1-line block ×5, first 2 shown]
	ds_read_b128 v[83:86], v140 offset:768
	s_waitcnt vmcnt(57) lgkmcnt(1)
	v_mul_f64 v[170:171], v[141:142], v[99:100]
	v_mul_f64 v[99:100], v[143:144], v[99:100]
	s_waitcnt vmcnt(56)
	v_fma_f64 v[95:96], v[1:2], v[89:90], -v[95:96]
	v_fma_f64 v[89:90], v[3:4], v[89:90], v[151:152]
	v_add_f64 v[91:92], v[145:146], v[91:92]
	v_add_f64 v[87:88], v[87:88], v[97:98]
	s_clause 0x2
	buffer_load_dword v150, off, s[0:3], 0 offset:396
	buffer_load_dword v98, off, s[0:3], 0 offset:372
	;; [unrolled: 1-line block ×3, first 2 shown]
	s_waitcnt vmcnt(58) lgkmcnt(0)
	v_mul_f64 v[145:146], v[83:84], v[105:106]
	v_mul_f64 v[105:106], v[85:86], v[105:106]
	s_waitcnt vmcnt(56)
	v_fma_f64 v[99:100], v[141:142], v[107:108], -v[99:100]
	ds_read_b128 v[1:4], v140 offset:784
	v_add_f64 v[91:92], v[91:92], v[95:96]
	v_fma_f64 v[95:96], v[143:144], v[107:108], v[170:171]
	v_add_f64 v[107:108], v[87:88], v[89:90]
	s_clause 0x4
	buffer_load_dword v142, off, s[0:3], 0 offset:412
	buffer_load_dword v143, off, s[0:3], 0 offset:424
	;; [unrolled: 1-line block ×5, first 2 shown]
	ds_read_b128 v[87:90], v140 offset:800
	s_waitcnt vmcnt(57) lgkmcnt(1)
	v_mul_f64 v[170:171], v[1:2], v[109:110]
	v_mul_f64 v[109:110], v[3:4], v[109:110]
	s_waitcnt vmcnt(56)
	v_fma_f64 v[105:106], v[83:84], v[93:94], -v[105:106]
	v_fma_f64 v[93:94], v[85:86], v[93:94], v[145:146]
	v_add_f64 v[91:92], v[91:92], v[99:100]
	s_clause 0x2
	buffer_load_dword v144, off, s[0:3], 0 offset:428
	buffer_load_dword v100, off, s[0:3], 0 offset:404
	;; [unrolled: 1-line block ×3, first 2 shown]
	v_add_f64 v[95:96], v[107:108], v[95:96]
	s_waitcnt vmcnt(58) lgkmcnt(0)
	v_mul_f64 v[107:108], v[87:88], v[113:114]
	v_mul_f64 v[113:114], v[89:90], v[113:114]
	ds_read_b128 v[83:86], v140 offset:816
	s_waitcnt vmcnt(56)
	v_fma_f64 v[109:110], v[1:2], v[115:116], -v[109:110]
	v_add_f64 v[91:92], v[91:92], v[105:106]
	v_fma_f64 v[105:106], v[3:4], v[115:116], v[170:171]
	v_add_f64 v[93:94], v[95:96], v[93:94]
	s_clause 0x4
	buffer_load_dword v96, off, s[0:3], 0 offset:444
	buffer_load_dword v115, off, s[0:3], 0 offset:456
	;; [unrolled: 1-line block ×5, first 2 shown]
	s_waitcnt vmcnt(57) lgkmcnt(0)
	v_mul_f64 v[170:171], v[83:84], v[117:118]
	v_mul_f64 v[117:118], v[85:86], v[117:118]
	s_waitcnt vmcnt(56)
	v_fma_f64 v[113:114], v[87:88], v[101:102], -v[113:114]
	ds_read_b128 v[1:4], v140 offset:832
	v_fma_f64 v[101:102], v[89:90], v[101:102], v[107:108]
	v_add_f64 v[91:92], v[91:92], v[109:110]
	v_add_f64 v[93:94], v[93:94], v[105:106]
	s_clause 0x2
	buffer_load_dword v116, off, s[0:3], 0 offset:460
	buffer_load_dword v106, off, s[0:3], 0 offset:436
	;; [unrolled: 1-line block ×3, first 2 shown]
	ds_read_b128 v[87:90], v140 offset:848
	s_waitcnt vmcnt(58) lgkmcnt(1)
	v_mul_f64 v[109:110], v[3:4], v[121:122]
	s_waitcnt vmcnt(56)
	v_fma_f64 v[117:118], v[83:84], v[123:124], -v[117:118]
	v_mul_f64 v[107:108], v[1:2], v[121:122]
	v_add_f64 v[91:92], v[91:92], v[113:114]
	v_fma_f64 v[113:114], v[85:86], v[123:124], v[170:171]
	v_add_f64 v[93:94], v[93:94], v[101:102]
	s_clause 0x4
	buffer_load_dword v102, off, s[0:3], 0 offset:476
	buffer_load_dword v121, off, s[0:3], 0 offset:488
	;; [unrolled: 1-line block ×5, first 2 shown]
	s_waitcnt vmcnt(57) lgkmcnt(0)
	v_mul_f64 v[170:171], v[87:88], v[125:126]
	v_mul_f64 v[124:125], v[89:90], v[125:126]
	s_waitcnt vmcnt(56)
	v_fma_f64 v[109:110], v[1:2], v[111:112], -v[109:110]
	ds_read_b128 v[83:86], v140 offset:864
	v_fma_f64 v[107:108], v[3:4], v[111:112], v[107:108]
	s_clause 0x2
	buffer_load_dword v122, off, s[0:3], 0 offset:492
	buffer_load_dword v112, off, s[0:3], 0 offset:468
	;; [unrolled: 1-line block ×3, first 2 shown]
	ds_read_b128 v[1:4], v140 offset:880
	v_add_f64 v[91:92], v[91:92], v[117:118]
	v_add_f64 v[93:94], v[93:94], v[113:114]
	s_waitcnt vmcnt(58) lgkmcnt(1)
	v_mul_f64 v[117:118], v[85:86], v[129:130]
	s_waitcnt vmcnt(56)
	v_fma_f64 v[125:126], v[87:88], v[131:132], -v[124:125]
	v_mul_f64 v[113:114], v[83:84], v[129:130]
	v_add_f64 v[91:92], v[91:92], v[109:110]
	v_fma_f64 v[109:110], v[89:90], v[131:132], v[170:171]
	v_add_f64 v[93:94], v[93:94], v[107:108]
	s_clause 0x4
	buffer_load_dword v108, off, s[0:3], 0 offset:508
	buffer_load_dword v129, off, s[0:3], 0 offset:520
	;; [unrolled: 1-line block ×5, first 2 shown]
	s_waitcnt vmcnt(57) lgkmcnt(0)
	v_mul_f64 v[170:171], v[1:2], v[133:134]
	v_mul_f64 v[132:133], v[3:4], v[133:134]
	s_waitcnt vmcnt(56)
	v_fma_f64 v[117:118], v[83:84], v[119:120], -v[117:118]
	ds_read_b128 v[87:90], v140 offset:896
	v_fma_f64 v[113:114], v[85:86], v[119:120], v[113:114]
	v_add_f64 v[91:92], v[91:92], v[125:126]
	v_add_f64 v[93:94], v[93:94], v[109:110]
	s_clause 0x2
	buffer_load_dword v130, off, s[0:3], 0 offset:524
	buffer_load_dword v110, off, s[0:3], 0 offset:500
	;; [unrolled: 1-line block ×3, first 2 shown]
	ds_read_b128 v[83:86], v140 offset:912
	s_waitcnt vmcnt(58) lgkmcnt(1)
	v_mul_f64 v[125:126], v[89:90], v[135:136]
	s_waitcnt vmcnt(56)
	v_fma_f64 v[133:134], v[1:2], v[137:138], -v[132:133]
	v_mul_f64 v[119:120], v[87:88], v[135:136]
	v_add_f64 v[91:92], v[91:92], v[117:118]
	v_fma_f64 v[117:118], v[3:4], v[137:138], v[170:171]
	v_add_f64 v[93:94], v[93:94], v[113:114]
	s_clause 0x4
	buffer_load_dword v114, off, s[0:3], 0 offset:540
	buffer_load_dword v135, off, s[0:3], 0 offset:552
	;; [unrolled: 1-line block ×5, first 2 shown]
	s_waitcnt vmcnt(57) lgkmcnt(0)
	v_mul_f64 v[170:171], v[83:84], v[155:156]
	v_mul_f64 v[155:156], v[85:86], v[155:156]
	s_waitcnt vmcnt(56)
	v_fma_f64 v[125:126], v[87:88], v[127:128], -v[125:126]
	ds_read_b128 v[1:4], v140 offset:928
	v_fma_f64 v[119:120], v[89:90], v[127:128], v[119:120]
	v_add_f64 v[91:92], v[91:92], v[133:134]
	v_add_f64 v[93:94], v[93:94], v[117:118]
	s_clause 0x2
	buffer_load_dword v136, off, s[0:3], 0 offset:556
	buffer_load_dword v118, off, s[0:3], 0 offset:532
	;; [unrolled: 1-line block ×3, first 2 shown]
	ds_read_b128 v[87:90], v140 offset:944
	s_waitcnt vmcnt(58) lgkmcnt(1)
	v_mul_f64 v[133:134], v[3:4], v[157:158]
	s_waitcnt vmcnt(56)
	v_fma_f64 v[155:156], v[83:84], v[162:163], -v[155:156]
	v_mul_f64 v[127:128], v[1:2], v[157:158]
	v_add_f64 v[91:92], v[91:92], v[125:126]
	v_fma_f64 v[125:126], v[85:86], v[162:163], v[170:171]
	v_add_f64 v[93:94], v[93:94], v[119:120]
	s_clause 0x4
	buffer_load_dword v120, off, s[0:3], 0 offset:572
	buffer_load_dword v157, off, s[0:3], 0 offset:584
	;; [unrolled: 1-line block ×5, first 2 shown]
	ds_read_b128 v[83:86], v140 offset:960
	s_waitcnt vmcnt(57) lgkmcnt(1)
	v_mul_f64 v[162:163], v[87:88], v[153:154]
	v_mul_f64 v[153:154], v[89:90], v[153:154]
	s_waitcnt vmcnt(56)
	v_fma_f64 v[133:134], v[1:2], v[159:160], -v[133:134]
	v_fma_f64 v[127:128], v[3:4], v[159:160], v[127:128]
	v_add_f64 v[91:92], v[91:92], v[155:156]
	v_add_f64 v[93:94], v[93:94], v[125:126]
	s_clause 0x2
	buffer_load_dword v158, off, s[0:3], 0 offset:588
	buffer_load_dword v126, off, s[0:3], 0 offset:564
	;; [unrolled: 1-line block ×3, first 2 shown]
	ds_read_b128 v[1:4], v140 offset:976
	s_waitcnt vmcnt(58) lgkmcnt(1)
	v_mul_f64 v[159:160], v[85:86], v[166:167]
	v_mul_f64 v[155:156], v[83:84], v[166:167]
	s_waitcnt vmcnt(56)
	v_fma_f64 v[153:154], v[87:88], v[147:148], -v[153:154]
	v_add_f64 v[91:92], v[91:92], v[133:134]
	v_fma_f64 v[133:134], v[89:90], v[147:148], v[162:163]
	v_add_f64 v[93:94], v[93:94], v[127:128]
	s_clause 0x4
	buffer_load_dword v128, off, s[0:3], 0 offset:604
	buffer_load_dword v147, off, s[0:3], 0 offset:616
	;; [unrolled: 1-line block ×5, first 2 shown]
	ds_read_b128 v[87:90], v140 offset:992
	s_waitcnt vmcnt(57) lgkmcnt(1)
	v_mul_f64 v[170:171], v[1:2], v[103:104]
	v_mul_f64 v[103:104], v[3:4], v[103:104]
	s_waitcnt vmcnt(56)
	v_fma_f64 v[159:160], v[83:84], v[168:169], -v[159:160]
	v_add_f64 v[91:92], v[91:92], v[153:154]
	v_fma_f64 v[153:154], v[85:86], v[168:169], v[155:156]
	v_add_f64 v[93:94], v[93:94], v[133:134]
	s_clause 0x2
	buffer_load_dword v148, off, s[0:3], 0 offset:620
	buffer_load_dword v134, off, s[0:3], 0 offset:596
	;; [unrolled: 1-line block ×3, first 2 shown]
	ds_read_b128 v[83:86], v140 offset:1008
	s_waitcnt vmcnt(58) lgkmcnt(1)
	v_mul_f64 v[155:156], v[87:88], v[149:150]
	v_mul_f64 v[149:150], v[89:90], v[149:150]
	s_waitcnt vmcnt(56)
	v_fma_f64 v[103:104], v[1:2], v[97:98], -v[103:104]
	v_fma_f64 v[97:98], v[3:4], v[97:98], v[170:171]
	v_add_f64 v[91:92], v[91:92], v[159:160]
	v_add_f64 v[93:94], v[93:94], v[153:154]
	s_clause 0x2
	buffer_load_dword v154, off, s[0:3], 0 offset:636
	buffer_load_dword v153, off, s[0:3], 0 offset:632
	;; [unrolled: 1-line block ×3, first 2 shown]
	ds_read_b128 v[1:4], v140 offset:1024
	s_waitcnt vmcnt(55) lgkmcnt(1)
	v_mul_f64 v[159:160], v[83:84], v[141:142]
	v_mul_f64 v[141:142], v[85:86], v[141:142]
	s_waitcnt vmcnt(54)
	v_fma_f64 v[149:150], v[87:88], v[164:165], -v[149:150]
	v_add_f64 v[91:92], v[91:92], v[103:104]
	v_fma_f64 v[103:104], v[89:90], v[164:165], v[155:156]
	v_add_f64 v[93:94], v[93:94], v[97:98]
	s_clause 0x1
	buffer_load_dword v98, off, s[0:3], 0 offset:628
	buffer_load_dword v97, off, s[0:3], 0 offset:624
	ds_read_b128 v[87:90], v140 offset:1040
	s_waitcnt vmcnt(55) lgkmcnt(1)
	v_mul_f64 v[155:156], v[1:2], v[143:144]
	v_mul_f64 v[143:144], v[3:4], v[143:144]
	s_waitcnt vmcnt(53)
	v_fma_f64 v[141:142], v[83:84], v[99:100], -v[141:142]
	v_fma_f64 v[99:100], v[85:86], v[99:100], v[159:160]
	ds_read_b128 v[83:86], v140 offset:1056
	v_add_f64 v[91:92], v[91:92], v[149:150]
	v_add_f64 v[93:94], v[93:94], v[103:104]
	s_waitcnt vmcnt(49) lgkmcnt(1)
	v_mul_f64 v[103:104], v[87:88], v[95:96]
	v_mul_f64 v[95:96], v[89:90], v[95:96]
	s_waitcnt vmcnt(48)
	v_fma_f64 v[143:144], v[1:2], v[151:152], -v[143:144]
	v_add_f64 v[91:92], v[91:92], v[141:142]
	v_fma_f64 v[141:142], v[3:4], v[151:152], v[155:156]
	v_add_f64 v[93:94], v[93:94], v[99:100]
	s_clause 0x3
	buffer_load_dword v99, off, s[0:3], 0 offset:48
	buffer_load_dword v100, off, s[0:3], 0 offset:52
	;; [unrolled: 1-line block ×4, first 2 shown]
	ds_read_b128 v[1:4], v140 offset:1072
	s_waitcnt vmcnt(51) lgkmcnt(1)
	v_mul_f64 v[151:152], v[83:84], v[115:116]
	v_mul_f64 v[115:116], v[85:86], v[115:116]
	s_waitcnt vmcnt(49)
	v_fma_f64 v[95:96], v[87:88], v[105:106], -v[95:96]
	v_fma_f64 v[103:104], v[89:90], v[105:106], v[103:104]
	ds_read_b128 v[87:90], v140 offset:1088
	v_add_f64 v[91:92], v[91:92], v[143:144]
	v_add_f64 v[93:94], v[93:94], v[141:142]
	s_waitcnt vmcnt(45) lgkmcnt(1)
	v_mul_f64 v[105:106], v[1:2], v[101:102]
	v_mul_f64 v[101:102], v[3:4], v[101:102]
	s_waitcnt vmcnt(44)
	v_fma_f64 v[115:116], v[83:84], v[145:146], -v[115:116]
	v_add_f64 v[91:92], v[91:92], v[95:96]
	v_fma_f64 v[95:96], v[85:86], v[145:146], v[151:152]
	v_add_f64 v[93:94], v[93:94], v[103:104]
	s_waitcnt vmcnt(43) lgkmcnt(0)
	v_mul_f64 v[103:104], v[87:88], v[121:122]
	v_mul_f64 v[121:122], v[89:90], v[121:122]
	ds_read_b128 v[83:86], v140 offset:1104
	s_waitcnt vmcnt(41)
	v_fma_f64 v[105:106], v[3:4], v[111:112], v[105:106]
	v_fma_f64 v[101:102], v[1:2], v[111:112], -v[101:102]
	ds_read_b128 v[1:4], v140 offset:1120
	v_add_f64 v[91:92], v[91:92], v[115:116]
	v_add_f64 v[93:94], v[93:94], v[95:96]
	s_waitcnt vmcnt(37) lgkmcnt(1)
	v_mul_f64 v[95:96], v[83:84], v[107:108]
	v_mul_f64 v[107:108], v[85:86], v[107:108]
	s_waitcnt vmcnt(36)
	v_fma_f64 v[111:112], v[87:88], v[123:124], -v[121:122]
	v_add_f64 v[91:92], v[91:92], v[101:102]
	v_fma_f64 v[101:102], v[89:90], v[123:124], v[103:104]
	v_add_f64 v[93:94], v[93:94], v[105:106]
	ds_read_b128 v[87:90], v140 offset:1136
	s_waitcnt vmcnt(35) lgkmcnt(1)
	v_mul_f64 v[105:106], v[3:4], v[129:130]
	v_mul_f64 v[103:104], v[1:2], v[129:130]
	s_waitcnt vmcnt(33)
	v_fma_f64 v[107:108], v[83:84], v[109:110], -v[107:108]
	v_fma_f64 v[95:96], v[85:86], v[109:110], v[95:96]
	ds_read_b128 v[83:86], v140 offset:1152
	v_add_f64 v[91:92], v[91:92], v[111:112]
	v_add_f64 v[93:94], v[93:94], v[101:102]
	s_waitcnt vmcnt(29) lgkmcnt(1)
	v_mul_f64 v[109:110], v[89:90], v[113:114]
	s_waitcnt vmcnt(28)
	v_fma_f64 v[105:106], v[1:2], v[131:132], -v[105:106]
	v_mul_f64 v[101:102], v[87:88], v[113:114]
	v_fma_f64 v[103:104], v[3:4], v[131:132], v[103:104]
	ds_read_b128 v[1:4], v140 offset:1168
	v_add_f64 v[91:92], v[91:92], v[107:108]
	v_add_f64 v[93:94], v[93:94], v[95:96]
	s_waitcnt vmcnt(27) lgkmcnt(1)
	v_mul_f64 v[107:108], v[85:86], v[135:136]
	v_mul_f64 v[95:96], v[83:84], v[135:136]
	s_waitcnt vmcnt(25)
	v_fma_f64 v[109:110], v[87:88], v[117:118], -v[109:110]
	v_fma_f64 v[101:102], v[89:90], v[117:118], v[101:102]
	ds_read_b128 v[87:90], v140 offset:1184
	v_add_f64 v[91:92], v[91:92], v[105:106]
	v_add_f64 v[93:94], v[93:94], v[103:104]
	s_waitcnt vmcnt(21) lgkmcnt(1)
	v_mul_f64 v[105:106], v[3:4], v[119:120]
	s_waitcnt vmcnt(20)
	v_fma_f64 v[107:108], v[83:84], v[137:138], -v[107:108]
	v_mul_f64 v[103:104], v[1:2], v[119:120]
	v_fma_f64 v[95:96], v[85:86], v[137:138], v[95:96]
	ds_read_b128 v[83:86], v140 offset:1200
	v_add_f64 v[91:92], v[91:92], v[109:110]
	v_add_f64 v[93:94], v[93:94], v[101:102]
	;; [unrolled: 18-line block ×3, first 2 shown]
	s_waitcnt vmcnt(11) lgkmcnt(1)
	v_mul_f64 v[105:106], v[3:4], v[147:148]
	v_mul_f64 v[103:104], v[1:2], v[147:148]
	s_waitcnt vmcnt(9)
	v_fma_f64 v[83:84], v[83:84], v[133:134], -v[107:108]
	v_fma_f64 v[85:86], v[85:86], v[133:134], v[95:96]
	v_add_f64 v[91:92], v[91:92], v[109:110]
	v_add_f64 v[93:94], v[93:94], v[101:102]
	s_waitcnt vmcnt(7) lgkmcnt(0)
	v_mul_f64 v[101:102], v[89:90], v[153:154]
	s_waitcnt vmcnt(6)
	v_fma_f64 v[1:2], v[1:2], v[166:167], -v[105:106]
	v_mul_f64 v[95:96], v[87:88], v[153:154]
	v_fma_f64 v[3:4], v[3:4], v[166:167], v[103:104]
	v_add_f64 v[83:84], v[91:92], v[83:84]
	v_add_f64 v[85:86], v[93:94], v[85:86]
	s_waitcnt vmcnt(4)
	v_fma_f64 v[87:88], v[87:88], v[97:98], -v[101:102]
	v_add_f64 v[1:2], v[83:84], v[1:2]
	v_fma_f64 v[83:84], v[89:90], v[97:98], v[95:96]
	v_add_f64 v[3:4], v[85:86], v[3:4]
	v_add_f64 v[1:2], v[1:2], v[87:88]
	v_add_f64 v[3:4], v[3:4], v[83:84]
	s_waitcnt vmcnt(2)
	v_add_f64 v[1:2], v[99:100], -v[1:2]
	s_waitcnt vmcnt(0)
	v_add_f64 v[3:4], v[149:150], -v[3:4]
	buffer_store_dword v2, off, s[0:3], 0 offset:52
	buffer_store_dword v1, off, s[0:3], 0 offset:48
	;; [unrolled: 1-line block ×4, first 2 shown]
	v_cmpx_lt_u32_e32 1, v0
	s_cbranch_execz .LBB102_245
; %bb.244:
	v_mov_b32_e32 v4, s50
	v_mov_b32_e32 v83, 0
	s_clause 0x3
	buffer_load_dword v1, v4, s[0:3], 0 offen
	buffer_load_dword v2, v4, s[0:3], 0 offen offset:4
	buffer_load_dword v3, v4, s[0:3], 0 offen offset:8
	;; [unrolled: 1-line block ×3, first 2 shown]
	buffer_store_dword v83, off, s[0:3], 0 offset:32
	buffer_store_dword v83, off, s[0:3], 0 offset:36
	;; [unrolled: 1-line block ×4, first 2 shown]
	s_waitcnt vmcnt(0)
	ds_write_b128 v139, v[1:4]
.LBB102_245:
	s_or_b32 exec_lo, exec_lo, s4
	s_waitcnt lgkmcnt(0)
	s_waitcnt_vscnt null, 0x0
	s_barrier
	buffer_gl0_inv
	s_clause 0x37
	buffer_load_dword v87, off, s[0:3], 0 offset:56
	buffer_load_dword v88, off, s[0:3], 0 offset:60
	;; [unrolled: 1-line block ×56, first 2 shown]
	v_mov_b32_e32 v140, 0
	s_mov_b32 s4, exec_lo
	ds_read_b128 v[141:144], v140 offset:656
	s_clause 0x2
	buffer_load_dword v136, off, s[0:3], 0 offset:284
	buffer_load_dword v138, off, s[0:3], 0 offset:260
	;; [unrolled: 1-line block ×3, first 2 shown]
	ds_read_b128 v[145:148], v140 offset:672
	s_clause 0x4
	buffer_load_dword v156, off, s[0:3], 0 offset:300
	buffer_load_dword v157, off, s[0:3], 0 offset:312
	;; [unrolled: 1-line block ×5, first 2 shown]
	ds_read_b128 v[149:152], v140 offset:688
	s_clause 0x2
	buffer_load_dword v158, off, s[0:3], 0 offset:316
	buffer_load_dword v163, off, s[0:3], 0 offset:292
	;; [unrolled: 1-line block ×3, first 2 shown]
	s_waitcnt vmcnt(62) lgkmcnt(2)
	v_mul_f64 v[153:154], v[143:144], v[87:88]
	v_mul_f64 v[87:88], v[141:142], v[87:88]
	s_waitcnt lgkmcnt(1)
	v_mul_f64 v[160:161], v[147:148], v[83:84]
	s_waitcnt vmcnt(59) lgkmcnt(0)
	v_mul_f64 v[164:165], v[151:152], v[3:4]
	v_fma_f64 v[141:142], v[141:142], v[85:86], -v[153:154]
	v_mul_f64 v[153:154], v[145:146], v[83:84]
	v_fma_f64 v[87:88], v[143:144], v[85:86], v[87:88]
	s_waitcnt vmcnt(57)
	v_fma_f64 v[145:146], v[145:146], v[1:2], -v[160:161]
	ds_read_b128 v[83:86], v140 offset:704
	v_mul_f64 v[143:144], v[149:150], v[3:4]
	s_waitcnt vmcnt(51)
	v_fma_f64 v[149:150], v[149:150], v[103:104], -v[164:165]
	v_add_f64 v[141:142], v[141:142], 0
	v_fma_f64 v[147:148], v[147:148], v[1:2], v[153:154]
	v_add_f64 v[87:88], v[87:88], 0
	s_clause 0x4
	buffer_load_dword v154, off, s[0:3], 0 offset:332
	buffer_load_dword v166, off, s[0:3], 0 offset:344
	;; [unrolled: 1-line block ×5, first 2 shown]
	s_waitcnt lgkmcnt(0)
	v_mul_f64 v[169:170], v[83:84], v[91:92]
	v_mul_f64 v[91:92], v[85:86], v[91:92]
	ds_read_b128 v[1:4], v140 offset:720
	v_fma_f64 v[103:104], v[151:152], v[103:104], v[143:144]
	v_add_f64 v[145:146], v[141:142], v[145:146]
	v_add_f64 v[87:88], v[87:88], v[147:148]
	s_clause 0x2
	buffer_load_dword v167, off, s[0:3], 0 offset:348
	buffer_load_dword v148, off, s[0:3], 0 offset:324
	;; [unrolled: 1-line block ×3, first 2 shown]
	s_waitcnt vmcnt(58) lgkmcnt(0)
	v_mul_f64 v[151:152], v[1:2], v[95:96]
	v_mul_f64 v[95:96], v[3:4], v[95:96]
	s_waitcnt vmcnt(56)
	v_fma_f64 v[91:92], v[83:84], v[97:98], -v[91:92]
	ds_read_b128 v[141:144], v140 offset:736
	v_fma_f64 v[97:98], v[85:86], v[97:98], v[169:170]
	v_add_f64 v[145:146], v[145:146], v[149:150]
	v_add_f64 v[87:88], v[87:88], v[103:104]
	s_clause 0x4
	buffer_load_dword v104, off, s[0:3], 0 offset:364
	buffer_load_dword v149, off, s[0:3], 0 offset:376
	;; [unrolled: 1-line block ×5, first 2 shown]
	ds_read_b128 v[83:86], v140 offset:752
	s_waitcnt vmcnt(57) lgkmcnt(1)
	v_mul_f64 v[170:171], v[141:142], v[99:100]
	v_mul_f64 v[99:100], v[143:144], v[99:100]
	s_waitcnt vmcnt(56)
	v_fma_f64 v[95:96], v[1:2], v[89:90], -v[95:96]
	v_fma_f64 v[89:90], v[3:4], v[89:90], v[151:152]
	v_add_f64 v[91:92], v[145:146], v[91:92]
	v_add_f64 v[87:88], v[87:88], v[97:98]
	s_clause 0x2
	buffer_load_dword v150, off, s[0:3], 0 offset:380
	buffer_load_dword v98, off, s[0:3], 0 offset:356
	;; [unrolled: 1-line block ×3, first 2 shown]
	s_waitcnt vmcnt(58) lgkmcnt(0)
	v_mul_f64 v[145:146], v[83:84], v[105:106]
	v_mul_f64 v[105:106], v[85:86], v[105:106]
	s_waitcnt vmcnt(56)
	v_fma_f64 v[99:100], v[141:142], v[107:108], -v[99:100]
	ds_read_b128 v[1:4], v140 offset:768
	v_add_f64 v[91:92], v[91:92], v[95:96]
	v_fma_f64 v[95:96], v[143:144], v[107:108], v[170:171]
	v_add_f64 v[107:108], v[87:88], v[89:90]
	s_clause 0x4
	buffer_load_dword v142, off, s[0:3], 0 offset:396
	buffer_load_dword v143, off, s[0:3], 0 offset:408
	;; [unrolled: 1-line block ×5, first 2 shown]
	ds_read_b128 v[87:90], v140 offset:784
	s_waitcnt vmcnt(57) lgkmcnt(1)
	v_mul_f64 v[170:171], v[1:2], v[109:110]
	v_mul_f64 v[109:110], v[3:4], v[109:110]
	s_waitcnt vmcnt(56)
	v_fma_f64 v[105:106], v[83:84], v[93:94], -v[105:106]
	v_fma_f64 v[93:94], v[85:86], v[93:94], v[145:146]
	v_add_f64 v[91:92], v[91:92], v[99:100]
	s_clause 0x2
	buffer_load_dword v144, off, s[0:3], 0 offset:412
	buffer_load_dword v100, off, s[0:3], 0 offset:388
	;; [unrolled: 1-line block ×3, first 2 shown]
	v_add_f64 v[95:96], v[107:108], v[95:96]
	s_waitcnt vmcnt(58) lgkmcnt(0)
	v_mul_f64 v[107:108], v[87:88], v[113:114]
	v_mul_f64 v[113:114], v[89:90], v[113:114]
	ds_read_b128 v[83:86], v140 offset:800
	s_waitcnt vmcnt(56)
	v_fma_f64 v[109:110], v[1:2], v[115:116], -v[109:110]
	v_add_f64 v[91:92], v[91:92], v[105:106]
	v_fma_f64 v[105:106], v[3:4], v[115:116], v[170:171]
	v_add_f64 v[93:94], v[95:96], v[93:94]
	s_clause 0x4
	buffer_load_dword v96, off, s[0:3], 0 offset:428
	buffer_load_dword v115, off, s[0:3], 0 offset:440
	buffer_load_dword v145, off, s[0:3], 0 offset:432
	buffer_load_dword v95, off, s[0:3], 0 offset:424
	buffer_load_dword v152, off, s[0:3], 0 offset:404
	s_waitcnt vmcnt(57) lgkmcnt(0)
	v_mul_f64 v[170:171], v[83:84], v[117:118]
	v_mul_f64 v[117:118], v[85:86], v[117:118]
	s_waitcnt vmcnt(56)
	v_fma_f64 v[113:114], v[87:88], v[101:102], -v[113:114]
	ds_read_b128 v[1:4], v140 offset:816
	v_fma_f64 v[101:102], v[89:90], v[101:102], v[107:108]
	v_add_f64 v[91:92], v[91:92], v[109:110]
	v_add_f64 v[93:94], v[93:94], v[105:106]
	s_clause 0x2
	buffer_load_dword v116, off, s[0:3], 0 offset:444
	buffer_load_dword v106, off, s[0:3], 0 offset:420
	buffer_load_dword v105, off, s[0:3], 0 offset:416
	ds_read_b128 v[87:90], v140 offset:832
	s_waitcnt vmcnt(58) lgkmcnt(1)
	v_mul_f64 v[109:110], v[3:4], v[121:122]
	s_waitcnt vmcnt(56)
	v_fma_f64 v[117:118], v[83:84], v[123:124], -v[117:118]
	v_mul_f64 v[107:108], v[1:2], v[121:122]
	v_add_f64 v[91:92], v[91:92], v[113:114]
	v_fma_f64 v[113:114], v[85:86], v[123:124], v[170:171]
	v_add_f64 v[93:94], v[93:94], v[101:102]
	s_clause 0x4
	buffer_load_dword v102, off, s[0:3], 0 offset:460
	buffer_load_dword v121, off, s[0:3], 0 offset:472
	;; [unrolled: 1-line block ×5, first 2 shown]
	s_waitcnt vmcnt(57) lgkmcnt(0)
	v_mul_f64 v[170:171], v[87:88], v[125:126]
	v_mul_f64 v[124:125], v[89:90], v[125:126]
	s_waitcnt vmcnt(56)
	v_fma_f64 v[109:110], v[1:2], v[111:112], -v[109:110]
	ds_read_b128 v[83:86], v140 offset:848
	v_fma_f64 v[107:108], v[3:4], v[111:112], v[107:108]
	s_clause 0x2
	buffer_load_dword v122, off, s[0:3], 0 offset:476
	buffer_load_dword v112, off, s[0:3], 0 offset:452
	;; [unrolled: 1-line block ×3, first 2 shown]
	ds_read_b128 v[1:4], v140 offset:864
	v_add_f64 v[91:92], v[91:92], v[117:118]
	v_add_f64 v[93:94], v[93:94], v[113:114]
	s_waitcnt vmcnt(58) lgkmcnt(1)
	v_mul_f64 v[117:118], v[85:86], v[129:130]
	s_waitcnt vmcnt(56)
	v_fma_f64 v[125:126], v[87:88], v[131:132], -v[124:125]
	v_mul_f64 v[113:114], v[83:84], v[129:130]
	v_add_f64 v[91:92], v[91:92], v[109:110]
	v_fma_f64 v[109:110], v[89:90], v[131:132], v[170:171]
	v_add_f64 v[93:94], v[93:94], v[107:108]
	s_clause 0x4
	buffer_load_dword v108, off, s[0:3], 0 offset:492
	buffer_load_dword v129, off, s[0:3], 0 offset:504
	;; [unrolled: 1-line block ×5, first 2 shown]
	s_waitcnt vmcnt(57) lgkmcnt(0)
	v_mul_f64 v[170:171], v[1:2], v[133:134]
	v_mul_f64 v[132:133], v[3:4], v[133:134]
	s_waitcnt vmcnt(56)
	v_fma_f64 v[117:118], v[83:84], v[119:120], -v[117:118]
	ds_read_b128 v[87:90], v140 offset:880
	v_fma_f64 v[113:114], v[85:86], v[119:120], v[113:114]
	v_add_f64 v[91:92], v[91:92], v[125:126]
	v_add_f64 v[93:94], v[93:94], v[109:110]
	s_clause 0x2
	buffer_load_dword v130, off, s[0:3], 0 offset:508
	buffer_load_dword v110, off, s[0:3], 0 offset:484
	;; [unrolled: 1-line block ×3, first 2 shown]
	ds_read_b128 v[83:86], v140 offset:896
	s_waitcnt vmcnt(58) lgkmcnt(1)
	v_mul_f64 v[125:126], v[89:90], v[135:136]
	s_waitcnt vmcnt(56)
	v_fma_f64 v[133:134], v[1:2], v[137:138], -v[132:133]
	v_mul_f64 v[119:120], v[87:88], v[135:136]
	v_add_f64 v[91:92], v[91:92], v[117:118]
	v_fma_f64 v[117:118], v[3:4], v[137:138], v[170:171]
	v_add_f64 v[93:94], v[93:94], v[113:114]
	s_clause 0x4
	buffer_load_dword v114, off, s[0:3], 0 offset:524
	buffer_load_dword v135, off, s[0:3], 0 offset:536
	;; [unrolled: 1-line block ×5, first 2 shown]
	s_waitcnt vmcnt(57) lgkmcnt(0)
	v_mul_f64 v[170:171], v[83:84], v[155:156]
	v_mul_f64 v[155:156], v[85:86], v[155:156]
	s_waitcnt vmcnt(56)
	v_fma_f64 v[125:126], v[87:88], v[127:128], -v[125:126]
	ds_read_b128 v[1:4], v140 offset:912
	v_fma_f64 v[119:120], v[89:90], v[127:128], v[119:120]
	v_add_f64 v[91:92], v[91:92], v[133:134]
	v_add_f64 v[93:94], v[93:94], v[117:118]
	s_clause 0x2
	buffer_load_dword v136, off, s[0:3], 0 offset:540
	buffer_load_dword v118, off, s[0:3], 0 offset:516
	;; [unrolled: 1-line block ×3, first 2 shown]
	ds_read_b128 v[87:90], v140 offset:928
	s_waitcnt vmcnt(58) lgkmcnt(1)
	v_mul_f64 v[133:134], v[3:4], v[157:158]
	s_waitcnt vmcnt(56)
	v_fma_f64 v[155:156], v[83:84], v[162:163], -v[155:156]
	v_mul_f64 v[127:128], v[1:2], v[157:158]
	v_add_f64 v[91:92], v[91:92], v[125:126]
	v_fma_f64 v[125:126], v[85:86], v[162:163], v[170:171]
	v_add_f64 v[93:94], v[93:94], v[119:120]
	s_clause 0x4
	buffer_load_dword v120, off, s[0:3], 0 offset:556
	buffer_load_dword v157, off, s[0:3], 0 offset:568
	;; [unrolled: 1-line block ×5, first 2 shown]
	ds_read_b128 v[83:86], v140 offset:944
	s_waitcnt vmcnt(57) lgkmcnt(1)
	v_mul_f64 v[162:163], v[87:88], v[153:154]
	v_mul_f64 v[153:154], v[89:90], v[153:154]
	s_waitcnt vmcnt(56)
	v_fma_f64 v[133:134], v[1:2], v[159:160], -v[133:134]
	v_fma_f64 v[127:128], v[3:4], v[159:160], v[127:128]
	v_add_f64 v[91:92], v[91:92], v[155:156]
	v_add_f64 v[93:94], v[93:94], v[125:126]
	s_clause 0x2
	buffer_load_dword v158, off, s[0:3], 0 offset:572
	buffer_load_dword v126, off, s[0:3], 0 offset:548
	;; [unrolled: 1-line block ×3, first 2 shown]
	ds_read_b128 v[1:4], v140 offset:960
	s_waitcnt vmcnt(58) lgkmcnt(1)
	v_mul_f64 v[159:160], v[85:86], v[166:167]
	v_mul_f64 v[155:156], v[83:84], v[166:167]
	s_waitcnt vmcnt(56)
	v_fma_f64 v[153:154], v[87:88], v[147:148], -v[153:154]
	v_add_f64 v[91:92], v[91:92], v[133:134]
	v_fma_f64 v[133:134], v[89:90], v[147:148], v[162:163]
	v_add_f64 v[93:94], v[93:94], v[127:128]
	s_clause 0x4
	buffer_load_dword v128, off, s[0:3], 0 offset:588
	buffer_load_dword v147, off, s[0:3], 0 offset:600
	;; [unrolled: 1-line block ×5, first 2 shown]
	ds_read_b128 v[87:90], v140 offset:976
	s_waitcnt vmcnt(57) lgkmcnt(1)
	v_mul_f64 v[170:171], v[1:2], v[103:104]
	v_mul_f64 v[103:104], v[3:4], v[103:104]
	s_waitcnt vmcnt(56)
	v_fma_f64 v[159:160], v[83:84], v[168:169], -v[159:160]
	v_add_f64 v[91:92], v[91:92], v[153:154]
	v_fma_f64 v[153:154], v[85:86], v[168:169], v[155:156]
	v_add_f64 v[93:94], v[93:94], v[133:134]
	s_clause 0x2
	buffer_load_dword v148, off, s[0:3], 0 offset:604
	buffer_load_dword v134, off, s[0:3], 0 offset:580
	;; [unrolled: 1-line block ×3, first 2 shown]
	ds_read_b128 v[83:86], v140 offset:992
	s_waitcnt vmcnt(58) lgkmcnt(1)
	v_mul_f64 v[155:156], v[87:88], v[149:150]
	v_mul_f64 v[149:150], v[89:90], v[149:150]
	s_waitcnt vmcnt(56)
	v_fma_f64 v[103:104], v[1:2], v[97:98], -v[103:104]
	v_fma_f64 v[97:98], v[3:4], v[97:98], v[170:171]
	v_add_f64 v[91:92], v[91:92], v[159:160]
	v_add_f64 v[93:94], v[93:94], v[153:154]
	s_clause 0x4
	buffer_load_dword v154, off, s[0:3], 0 offset:620
	buffer_load_dword v159, off, s[0:3], 0 offset:632
	;; [unrolled: 1-line block ×5, first 2 shown]
	ds_read_b128 v[1:4], v140 offset:1008
	s_waitcnt vmcnt(57) lgkmcnt(1)
	v_mul_f64 v[168:169], v[83:84], v[141:142]
	v_mul_f64 v[141:142], v[85:86], v[141:142]
	s_waitcnt vmcnt(56)
	v_fma_f64 v[149:150], v[87:88], v[164:165], -v[149:150]
	v_add_f64 v[91:92], v[91:92], v[103:104]
	v_fma_f64 v[103:104], v[89:90], v[164:165], v[155:156]
	v_add_f64 v[93:94], v[93:94], v[97:98]
	s_clause 0x2
	buffer_load_dword v160, off, s[0:3], 0 offset:636
	buffer_load_dword v98, off, s[0:3], 0 offset:612
	;; [unrolled: 1-line block ×3, first 2 shown]
	ds_read_b128 v[87:90], v140 offset:1024
	buffer_load_dword v164, off, s[0:3], 0 offset:628
	s_waitcnt vmcnt(59) lgkmcnt(1)
	v_mul_f64 v[155:156], v[1:2], v[143:144]
	v_mul_f64 v[143:144], v[3:4], v[143:144]
	s_waitcnt vmcnt(57)
	v_fma_f64 v[141:142], v[83:84], v[99:100], -v[141:142]
	v_fma_f64 v[99:100], v[85:86], v[99:100], v[168:169]
	ds_read_b128 v[83:86], v140 offset:1040
	v_add_f64 v[91:92], v[91:92], v[149:150]
	v_add_f64 v[93:94], v[93:94], v[103:104]
	s_waitcnt vmcnt(53) lgkmcnt(1)
	v_mul_f64 v[103:104], v[87:88], v[95:96]
	v_mul_f64 v[95:96], v[89:90], v[95:96]
	s_waitcnt vmcnt(52)
	v_fma_f64 v[143:144], v[1:2], v[151:152], -v[143:144]
	v_add_f64 v[91:92], v[91:92], v[141:142]
	v_fma_f64 v[141:142], v[3:4], v[151:152], v[155:156]
	v_add_f64 v[93:94], v[93:94], v[99:100]
	ds_read_b128 v[1:4], v140 offset:1056
	s_waitcnt vmcnt(51) lgkmcnt(1)
	v_mul_f64 v[99:100], v[83:84], v[115:116]
	v_mul_f64 v[115:116], v[85:86], v[115:116]
	s_waitcnt vmcnt(49)
	v_fma_f64 v[95:96], v[87:88], v[105:106], -v[95:96]
	v_fma_f64 v[103:104], v[89:90], v[105:106], v[103:104]
	v_add_f64 v[91:92], v[91:92], v[143:144]
	v_add_f64 v[93:94], v[93:94], v[141:142]
	s_clause 0x3
	buffer_load_dword v105, off, s[0:3], 0 offset:32
	buffer_load_dword v106, off, s[0:3], 0 offset:36
	buffer_load_dword v141, off, s[0:3], 0 offset:40
	buffer_load_dword v142, off, s[0:3], 0 offset:44
	ds_read_b128 v[87:90], v140 offset:1072
	s_waitcnt vmcnt(49) lgkmcnt(1)
	v_mul_f64 v[143:144], v[1:2], v[101:102]
	v_mul_f64 v[101:102], v[3:4], v[101:102]
	s_waitcnt vmcnt(48)
	v_fma_f64 v[115:116], v[83:84], v[145:146], -v[115:116]
	v_add_f64 v[91:92], v[91:92], v[95:96]
	v_fma_f64 v[95:96], v[85:86], v[145:146], v[99:100]
	v_add_f64 v[93:94], v[93:94], v[103:104]
	ds_read_b128 v[83:86], v140 offset:1088
	s_waitcnt vmcnt(47) lgkmcnt(1)
	v_mul_f64 v[103:104], v[89:90], v[121:122]
	v_mul_f64 v[99:100], v[87:88], v[121:122]
	s_waitcnt vmcnt(45)
	v_fma_f64 v[101:102], v[1:2], v[111:112], -v[101:102]
	v_fma_f64 v[111:112], v[3:4], v[111:112], v[143:144]
	ds_read_b128 v[1:4], v140 offset:1104
	v_add_f64 v[91:92], v[91:92], v[115:116]
	v_add_f64 v[93:94], v[93:94], v[95:96]
	s_waitcnt vmcnt(41) lgkmcnt(1)
	v_mul_f64 v[95:96], v[83:84], v[107:108]
	v_mul_f64 v[107:108], v[85:86], v[107:108]
	s_waitcnt vmcnt(40)
	v_fma_f64 v[103:104], v[87:88], v[123:124], -v[103:104]
	v_fma_f64 v[99:100], v[89:90], v[123:124], v[99:100]
	ds_read_b128 v[87:90], v140 offset:1120
	v_add_f64 v[91:92], v[91:92], v[101:102]
	v_add_f64 v[93:94], v[93:94], v[111:112]
	;; [unrolled: 9-line block ×3, first 2 shown]
	s_waitcnt vmcnt(33) lgkmcnt(1)
	v_mul_f64 v[103:104], v[89:90], v[113:114]
	s_waitcnt vmcnt(32)
	v_fma_f64 v[109:110], v[1:2], v[131:132], -v[111:112]
	v_mul_f64 v[99:100], v[87:88], v[113:114]
	v_fma_f64 v[101:102], v[3:4], v[131:132], v[101:102]
	ds_read_b128 v[1:4], v140 offset:1152
	v_add_f64 v[91:92], v[91:92], v[107:108]
	v_add_f64 v[93:94], v[93:94], v[95:96]
	s_waitcnt vmcnt(31) lgkmcnt(1)
	v_mul_f64 v[107:108], v[85:86], v[135:136]
	v_mul_f64 v[95:96], v[83:84], v[135:136]
	s_waitcnt vmcnt(29)
	v_fma_f64 v[103:104], v[87:88], v[117:118], -v[103:104]
	v_fma_f64 v[99:100], v[89:90], v[117:118], v[99:100]
	ds_read_b128 v[87:90], v140 offset:1168
	v_add_f64 v[91:92], v[91:92], v[109:110]
	v_add_f64 v[93:94], v[93:94], v[101:102]
	s_waitcnt vmcnt(25) lgkmcnt(1)
	v_mul_f64 v[109:110], v[3:4], v[119:120]
	s_waitcnt vmcnt(24)
	v_fma_f64 v[107:108], v[83:84], v[137:138], -v[107:108]
	v_mul_f64 v[101:102], v[1:2], v[119:120]
	v_fma_f64 v[95:96], v[85:86], v[137:138], v[95:96]
	ds_read_b128 v[83:86], v140 offset:1184
	v_add_f64 v[91:92], v[91:92], v[103:104]
	v_add_f64 v[93:94], v[93:94], v[99:100]
	s_waitcnt vmcnt(23) lgkmcnt(1)
	v_mul_f64 v[103:104], v[89:90], v[157:158]
	v_mul_f64 v[99:100], v[87:88], v[157:158]
	s_waitcnt vmcnt(21)
	v_fma_f64 v[109:110], v[1:2], v[125:126], -v[109:110]
	v_fma_f64 v[101:102], v[3:4], v[125:126], v[101:102]
	ds_read_b128 v[1:4], v140 offset:1200
	v_add_f64 v[91:92], v[91:92], v[107:108]
	v_add_f64 v[93:94], v[93:94], v[95:96]
	;; [unrolled: 18-line block ×3, first 2 shown]
	s_waitcnt vmcnt(9) lgkmcnt(1)
	v_mul_f64 v[103:104], v[89:90], v[153:154]
	s_waitcnt vmcnt(8)
	v_fma_f64 v[1:2], v[1:2], v[166:167], -v[109:110]
	v_mul_f64 v[99:100], v[87:88], v[153:154]
	v_fma_f64 v[3:4], v[3:4], v[166:167], v[101:102]
	v_add_f64 v[91:92], v[91:92], v[107:108]
	v_add_f64 v[93:94], v[93:94], v[95:96]
	s_waitcnt vmcnt(7) lgkmcnt(0)
	v_mul_f64 v[101:102], v[85:86], v[159:160]
	v_mul_f64 v[95:96], v[83:84], v[159:160]
	s_waitcnt vmcnt(5)
	v_fma_f64 v[87:88], v[87:88], v[97:98], -v[103:104]
	v_fma_f64 v[89:90], v[89:90], v[97:98], v[99:100]
	v_add_f64 v[1:2], v[91:92], v[1:2]
	v_add_f64 v[3:4], v[93:94], v[3:4]
	s_waitcnt vmcnt(4)
	v_fma_f64 v[83:84], v[83:84], v[163:164], -v[101:102]
	v_fma_f64 v[85:86], v[85:86], v[163:164], v[95:96]
	v_add_f64 v[1:2], v[1:2], v[87:88]
	v_add_f64 v[3:4], v[3:4], v[89:90]
	;; [unrolled: 1-line block ×4, first 2 shown]
	s_waitcnt vmcnt(2)
	v_add_f64 v[1:2], v[105:106], -v[1:2]
	s_waitcnt vmcnt(0)
	v_add_f64 v[3:4], v[141:142], -v[3:4]
	buffer_store_dword v2, off, s[0:3], 0 offset:36
	buffer_store_dword v1, off, s[0:3], 0 offset:32
	;; [unrolled: 1-line block ×4, first 2 shown]
	v_cmpx_ne_u32_e32 0, v0
	s_cbranch_execz .LBB102_247
; %bb.246:
	s_clause 0x3
	buffer_load_dword v0, off, s[0:3], 0 offset:16
	buffer_load_dword v1, off, s[0:3], 0 offset:20
	;; [unrolled: 1-line block ×4, first 2 shown]
	buffer_store_dword v140, off, s[0:3], 0 offset:16
	buffer_store_dword v140, off, s[0:3], 0 offset:20
	;; [unrolled: 1-line block ×4, first 2 shown]
	s_waitcnt vmcnt(0)
	ds_write_b128 v139, v[0:3]
.LBB102_247:
	s_or_b32 exec_lo, exec_lo, s4
	s_waitcnt lgkmcnt(0)
	s_waitcnt_vscnt null, 0x0
	s_barrier
	buffer_gl0_inv
	s_clause 0x37
	buffer_load_dword v87, off, s[0:3], 0 offset:40
	buffer_load_dword v88, off, s[0:3], 0 offset:44
	;; [unrolled: 1-line block ×56, first 2 shown]
	ds_read_b128 v[141:144], v140 offset:640
	s_clause 0x2
	buffer_load_dword v136, off, s[0:3], 0 offset:268
	buffer_load_dword v138, off, s[0:3], 0 offset:244
	;; [unrolled: 1-line block ×3, first 2 shown]
	ds_read_b128 v[145:148], v140 offset:656
	s_clause 0x4
	buffer_load_dword v156, off, s[0:3], 0 offset:284
	buffer_load_dword v157, off, s[0:3], 0 offset:296
	buffer_load_dword v159, off, s[0:3], 0 offset:288
	buffer_load_dword v155, off, s[0:3], 0 offset:280
	buffer_load_dword v128, off, s[0:3], 0 offset:260
	ds_read_b128 v[149:152], v140 offset:672
	s_clause 0x2
	buffer_load_dword v158, off, s[0:3], 0 offset:300
	buffer_load_dword v163, off, s[0:3], 0 offset:276
	;; [unrolled: 1-line block ×3, first 2 shown]
	s_and_b32 vcc_lo, exec_lo, s51
	s_waitcnt vmcnt(62) lgkmcnt(2)
	v_mul_f64 v[153:154], v[143:144], v[87:88]
	v_mul_f64 v[87:88], v[141:142], v[87:88]
	s_waitcnt lgkmcnt(1)
	v_mul_f64 v[160:161], v[147:148], v[83:84]
	s_waitcnt vmcnt(59) lgkmcnt(0)
	v_mul_f64 v[164:165], v[151:152], v[2:3]
	v_fma_f64 v[141:142], v[141:142], v[85:86], -v[153:154]
	v_mul_f64 v[153:154], v[145:146], v[83:84]
	v_fma_f64 v[87:88], v[143:144], v[85:86], v[87:88]
	s_waitcnt vmcnt(57)
	v_fma_f64 v[145:146], v[145:146], v[0:1], -v[160:161]
	ds_read_b128 v[83:86], v140 offset:688
	v_mul_f64 v[143:144], v[149:150], v[2:3]
	s_waitcnt vmcnt(51)
	v_fma_f64 v[149:150], v[149:150], v[103:104], -v[164:165]
	v_add_f64 v[141:142], v[141:142], 0
	v_fma_f64 v[147:148], v[147:148], v[0:1], v[153:154]
	v_add_f64 v[87:88], v[87:88], 0
	s_clause 0x4
	buffer_load_dword v154, off, s[0:3], 0 offset:316
	buffer_load_dword v166, off, s[0:3], 0 offset:328
	;; [unrolled: 1-line block ×5, first 2 shown]
	s_waitcnt lgkmcnt(0)
	v_mul_f64 v[169:170], v[83:84], v[91:92]
	v_mul_f64 v[91:92], v[85:86], v[91:92]
	ds_read_b128 v[0:3], v140 offset:704
	v_fma_f64 v[103:104], v[151:152], v[103:104], v[143:144]
	v_add_f64 v[145:146], v[141:142], v[145:146]
	v_add_f64 v[87:88], v[87:88], v[147:148]
	s_clause 0x2
	buffer_load_dword v167, off, s[0:3], 0 offset:332
	buffer_load_dword v148, off, s[0:3], 0 offset:308
	;; [unrolled: 1-line block ×3, first 2 shown]
	s_waitcnt vmcnt(58) lgkmcnt(0)
	v_mul_f64 v[151:152], v[0:1], v[95:96]
	v_mul_f64 v[95:96], v[2:3], v[95:96]
	s_waitcnt vmcnt(56)
	v_fma_f64 v[91:92], v[83:84], v[97:98], -v[91:92]
	ds_read_b128 v[141:144], v140 offset:720
	v_fma_f64 v[97:98], v[85:86], v[97:98], v[169:170]
	v_add_f64 v[145:146], v[145:146], v[149:150]
	v_add_f64 v[87:88], v[87:88], v[103:104]
	s_clause 0x4
	buffer_load_dword v104, off, s[0:3], 0 offset:348
	buffer_load_dword v149, off, s[0:3], 0 offset:360
	buffer_load_dword v164, off, s[0:3], 0 offset:352
	buffer_load_dword v103, off, s[0:3], 0 offset:344
	buffer_load_dword v169, off, s[0:3], 0 offset:324
	ds_read_b128 v[83:86], v140 offset:736
	s_waitcnt vmcnt(57) lgkmcnt(1)
	v_mul_f64 v[170:171], v[141:142], v[99:100]
	v_mul_f64 v[99:100], v[143:144], v[99:100]
	s_waitcnt vmcnt(56)
	v_fma_f64 v[95:96], v[0:1], v[89:90], -v[95:96]
	v_fma_f64 v[89:90], v[2:3], v[89:90], v[151:152]
	v_add_f64 v[91:92], v[145:146], v[91:92]
	v_add_f64 v[87:88], v[87:88], v[97:98]
	s_clause 0x2
	buffer_load_dword v150, off, s[0:3], 0 offset:364
	buffer_load_dword v98, off, s[0:3], 0 offset:340
	buffer_load_dword v97, off, s[0:3], 0 offset:336
	s_waitcnt vmcnt(58) lgkmcnt(0)
	v_mul_f64 v[145:146], v[83:84], v[105:106]
	v_mul_f64 v[105:106], v[85:86], v[105:106]
	s_waitcnt vmcnt(56)
	v_fma_f64 v[99:100], v[141:142], v[107:108], -v[99:100]
	ds_read_b128 v[0:3], v140 offset:752
	v_add_f64 v[91:92], v[91:92], v[95:96]
	v_fma_f64 v[95:96], v[143:144], v[107:108], v[170:171]
	v_add_f64 v[107:108], v[87:88], v[89:90]
	s_clause 0x4
	buffer_load_dword v142, off, s[0:3], 0 offset:380
	buffer_load_dword v143, off, s[0:3], 0 offset:392
	;; [unrolled: 1-line block ×5, first 2 shown]
	ds_read_b128 v[87:90], v140 offset:768
	s_waitcnt vmcnt(57) lgkmcnt(1)
	v_mul_f64 v[170:171], v[0:1], v[109:110]
	v_mul_f64 v[109:110], v[2:3], v[109:110]
	s_waitcnt vmcnt(56)
	v_fma_f64 v[105:106], v[83:84], v[93:94], -v[105:106]
	v_fma_f64 v[93:94], v[85:86], v[93:94], v[145:146]
	v_add_f64 v[91:92], v[91:92], v[99:100]
	s_clause 0x2
	buffer_load_dword v144, off, s[0:3], 0 offset:396
	buffer_load_dword v100, off, s[0:3], 0 offset:372
	;; [unrolled: 1-line block ×3, first 2 shown]
	v_add_f64 v[95:96], v[107:108], v[95:96]
	s_waitcnt vmcnt(58) lgkmcnt(0)
	v_mul_f64 v[107:108], v[87:88], v[113:114]
	v_mul_f64 v[113:114], v[89:90], v[113:114]
	ds_read_b128 v[83:86], v140 offset:784
	s_waitcnt vmcnt(56)
	v_fma_f64 v[109:110], v[0:1], v[115:116], -v[109:110]
	v_add_f64 v[91:92], v[91:92], v[105:106]
	v_fma_f64 v[105:106], v[2:3], v[115:116], v[170:171]
	v_add_f64 v[93:94], v[95:96], v[93:94]
	s_clause 0x4
	buffer_load_dword v96, off, s[0:3], 0 offset:412
	buffer_load_dword v115, off, s[0:3], 0 offset:424
	;; [unrolled: 1-line block ×5, first 2 shown]
	s_waitcnt vmcnt(57) lgkmcnt(0)
	v_mul_f64 v[170:171], v[83:84], v[117:118]
	v_mul_f64 v[117:118], v[85:86], v[117:118]
	s_waitcnt vmcnt(56)
	v_fma_f64 v[113:114], v[87:88], v[101:102], -v[113:114]
	ds_read_b128 v[0:3], v140 offset:800
	v_fma_f64 v[101:102], v[89:90], v[101:102], v[107:108]
	v_add_f64 v[91:92], v[91:92], v[109:110]
	v_add_f64 v[93:94], v[93:94], v[105:106]
	s_clause 0x2
	buffer_load_dword v116, off, s[0:3], 0 offset:428
	buffer_load_dword v106, off, s[0:3], 0 offset:404
	buffer_load_dword v105, off, s[0:3], 0 offset:400
	ds_read_b128 v[87:90], v140 offset:816
	s_waitcnt vmcnt(58) lgkmcnt(1)
	v_mul_f64 v[109:110], v[2:3], v[121:122]
	s_waitcnt vmcnt(56)
	v_fma_f64 v[117:118], v[83:84], v[123:124], -v[117:118]
	v_mul_f64 v[107:108], v[0:1], v[121:122]
	v_add_f64 v[91:92], v[91:92], v[113:114]
	v_fma_f64 v[113:114], v[85:86], v[123:124], v[170:171]
	v_add_f64 v[93:94], v[93:94], v[101:102]
	s_clause 0x4
	buffer_load_dword v102, off, s[0:3], 0 offset:444
	buffer_load_dword v121, off, s[0:3], 0 offset:456
	;; [unrolled: 1-line block ×5, first 2 shown]
	s_waitcnt vmcnt(57) lgkmcnt(0)
	v_mul_f64 v[170:171], v[87:88], v[125:126]
	v_mul_f64 v[124:125], v[89:90], v[125:126]
	s_waitcnt vmcnt(56)
	v_fma_f64 v[109:110], v[0:1], v[111:112], -v[109:110]
	ds_read_b128 v[83:86], v140 offset:832
	v_fma_f64 v[107:108], v[2:3], v[111:112], v[107:108]
	s_clause 0x2
	buffer_load_dword v122, off, s[0:3], 0 offset:460
	buffer_load_dword v112, off, s[0:3], 0 offset:436
	;; [unrolled: 1-line block ×3, first 2 shown]
	ds_read_b128 v[0:3], v140 offset:848
	v_add_f64 v[91:92], v[91:92], v[117:118]
	v_add_f64 v[93:94], v[93:94], v[113:114]
	s_waitcnt vmcnt(58) lgkmcnt(1)
	v_mul_f64 v[117:118], v[85:86], v[129:130]
	s_waitcnt vmcnt(56)
	v_fma_f64 v[125:126], v[87:88], v[131:132], -v[124:125]
	v_mul_f64 v[113:114], v[83:84], v[129:130]
	v_add_f64 v[91:92], v[91:92], v[109:110]
	v_fma_f64 v[109:110], v[89:90], v[131:132], v[170:171]
	v_add_f64 v[93:94], v[93:94], v[107:108]
	s_clause 0x4
	buffer_load_dword v108, off, s[0:3], 0 offset:476
	buffer_load_dword v129, off, s[0:3], 0 offset:488
	;; [unrolled: 1-line block ×5, first 2 shown]
	s_waitcnt vmcnt(57) lgkmcnt(0)
	v_mul_f64 v[170:171], v[0:1], v[133:134]
	v_mul_f64 v[132:133], v[2:3], v[133:134]
	s_waitcnt vmcnt(56)
	v_fma_f64 v[117:118], v[83:84], v[119:120], -v[117:118]
	ds_read_b128 v[87:90], v140 offset:864
	v_fma_f64 v[113:114], v[85:86], v[119:120], v[113:114]
	v_add_f64 v[91:92], v[91:92], v[125:126]
	v_add_f64 v[93:94], v[93:94], v[109:110]
	s_clause 0x2
	buffer_load_dword v130, off, s[0:3], 0 offset:492
	buffer_load_dword v110, off, s[0:3], 0 offset:468
	;; [unrolled: 1-line block ×3, first 2 shown]
	ds_read_b128 v[83:86], v140 offset:880
	s_waitcnt vmcnt(58) lgkmcnt(1)
	v_mul_f64 v[125:126], v[89:90], v[135:136]
	s_waitcnt vmcnt(56)
	v_fma_f64 v[133:134], v[0:1], v[137:138], -v[132:133]
	v_mul_f64 v[119:120], v[87:88], v[135:136]
	v_add_f64 v[91:92], v[91:92], v[117:118]
	v_fma_f64 v[117:118], v[2:3], v[137:138], v[170:171]
	v_add_f64 v[93:94], v[93:94], v[113:114]
	s_clause 0x4
	buffer_load_dword v114, off, s[0:3], 0 offset:508
	buffer_load_dword v135, off, s[0:3], 0 offset:520
	;; [unrolled: 1-line block ×5, first 2 shown]
	s_waitcnt vmcnt(57) lgkmcnt(0)
	v_mul_f64 v[138:139], v[83:84], v[155:156]
	v_mul_f64 v[155:156], v[85:86], v[155:156]
	s_waitcnt vmcnt(56)
	v_fma_f64 v[125:126], v[87:88], v[127:128], -v[125:126]
	ds_read_b128 v[0:3], v140 offset:896
	v_fma_f64 v[119:120], v[89:90], v[127:128], v[119:120]
	v_add_f64 v[91:92], v[91:92], v[133:134]
	v_add_f64 v[93:94], v[93:94], v[117:118]
	s_clause 0x2
	buffer_load_dword v136, off, s[0:3], 0 offset:524
	buffer_load_dword v118, off, s[0:3], 0 offset:500
	;; [unrolled: 1-line block ×3, first 2 shown]
	ds_read_b128 v[87:90], v140 offset:912
	s_waitcnt vmcnt(58) lgkmcnt(1)
	v_mul_f64 v[133:134], v[2:3], v[157:158]
	s_waitcnt vmcnt(56)
	v_fma_f64 v[155:156], v[83:84], v[162:163], -v[155:156]
	v_mul_f64 v[127:128], v[0:1], v[157:158]
	v_add_f64 v[91:92], v[91:92], v[125:126]
	v_fma_f64 v[125:126], v[85:86], v[162:163], v[138:139]
	v_add_f64 v[93:94], v[93:94], v[119:120]
	s_clause 0x4
	buffer_load_dword v120, off, s[0:3], 0 offset:540
	buffer_load_dword v157, off, s[0:3], 0 offset:552
	;; [unrolled: 1-line block ×5, first 2 shown]
	ds_read_b128 v[83:86], v140 offset:928
	s_waitcnt vmcnt(57) lgkmcnt(1)
	v_mul_f64 v[162:163], v[87:88], v[153:154]
	v_mul_f64 v[153:154], v[89:90], v[153:154]
	s_waitcnt vmcnt(56)
	v_fma_f64 v[133:134], v[0:1], v[159:160], -v[133:134]
	v_fma_f64 v[127:128], v[2:3], v[159:160], v[127:128]
	v_add_f64 v[91:92], v[91:92], v[155:156]
	v_add_f64 v[93:94], v[93:94], v[125:126]
	s_clause 0x2
	buffer_load_dword v158, off, s[0:3], 0 offset:556
	buffer_load_dword v126, off, s[0:3], 0 offset:532
	;; [unrolled: 1-line block ×3, first 2 shown]
	ds_read_b128 v[0:3], v140 offset:944
	s_waitcnt vmcnt(58) lgkmcnt(1)
	v_mul_f64 v[159:160], v[85:86], v[166:167]
	v_mul_f64 v[155:156], v[83:84], v[166:167]
	s_waitcnt vmcnt(56)
	v_fma_f64 v[153:154], v[87:88], v[147:148], -v[153:154]
	v_add_f64 v[91:92], v[91:92], v[133:134]
	v_fma_f64 v[133:134], v[89:90], v[147:148], v[162:163]
	v_add_f64 v[93:94], v[93:94], v[127:128]
	s_clause 0x4
	buffer_load_dword v128, off, s[0:3], 0 offset:572
	buffer_load_dword v147, off, s[0:3], 0 offset:584
	;; [unrolled: 1-line block ×5, first 2 shown]
	ds_read_b128 v[87:90], v140 offset:960
	s_waitcnt vmcnt(57) lgkmcnt(1)
	v_mul_f64 v[170:171], v[0:1], v[103:104]
	v_mul_f64 v[103:104], v[2:3], v[103:104]
	s_waitcnt vmcnt(56)
	v_fma_f64 v[159:160], v[83:84], v[168:169], -v[159:160]
	v_add_f64 v[91:92], v[91:92], v[153:154]
	v_fma_f64 v[153:154], v[85:86], v[168:169], v[155:156]
	v_add_f64 v[93:94], v[93:94], v[133:134]
	s_clause 0x2
	buffer_load_dword v148, off, s[0:3], 0 offset:588
	buffer_load_dword v134, off, s[0:3], 0 offset:564
	;; [unrolled: 1-line block ×3, first 2 shown]
	ds_read_b128 v[83:86], v140 offset:976
	s_waitcnt vmcnt(58) lgkmcnt(1)
	v_mul_f64 v[155:156], v[87:88], v[149:150]
	v_mul_f64 v[149:150], v[89:90], v[149:150]
	s_waitcnt vmcnt(56)
	v_fma_f64 v[103:104], v[0:1], v[97:98], -v[103:104]
	v_fma_f64 v[97:98], v[2:3], v[97:98], v[170:171]
	v_add_f64 v[91:92], v[91:92], v[159:160]
	v_add_f64 v[93:94], v[93:94], v[153:154]
	s_clause 0x4
	buffer_load_dword v154, off, s[0:3], 0 offset:604
	buffer_load_dword v159, off, s[0:3], 0 offset:616
	buffer_load_dword v163, off, s[0:3], 0 offset:608
	buffer_load_dword v153, off, s[0:3], 0 offset:600
	buffer_load_dword v167, off, s[0:3], 0 offset:580
	ds_read_b128 v[0:3], v140 offset:992
	s_waitcnt vmcnt(57) lgkmcnt(1)
	v_mul_f64 v[168:169], v[83:84], v[141:142]
	v_mul_f64 v[141:142], v[85:86], v[141:142]
	s_waitcnt vmcnt(56)
	v_fma_f64 v[149:150], v[87:88], v[164:165], -v[149:150]
	v_add_f64 v[91:92], v[91:92], v[103:104]
	v_fma_f64 v[103:104], v[89:90], v[164:165], v[155:156]
	v_add_f64 v[93:94], v[93:94], v[97:98]
	s_clause 0x2
	buffer_load_dword v160, off, s[0:3], 0 offset:620
	buffer_load_dword v98, off, s[0:3], 0 offset:596
	;; [unrolled: 1-line block ×3, first 2 shown]
	ds_read_b128 v[87:90], v140 offset:1008
	s_waitcnt vmcnt(58) lgkmcnt(1)
	v_mul_f64 v[155:156], v[0:1], v[143:144]
	v_mul_f64 v[143:144], v[2:3], v[143:144]
	s_waitcnt vmcnt(56)
	v_fma_f64 v[141:142], v[83:84], v[99:100], -v[141:142]
	v_fma_f64 v[99:100], v[85:86], v[99:100], v[168:169]
	v_add_f64 v[91:92], v[91:92], v[149:150]
	v_add_f64 v[93:94], v[93:94], v[103:104]
	s_clause 0x2
	buffer_load_dword v104, off, s[0:3], 0 offset:636
	buffer_load_dword v103, off, s[0:3], 0 offset:632
	;; [unrolled: 1-line block ×3, first 2 shown]
	ds_read_b128 v[83:86], v140 offset:1024
	s_waitcnt vmcnt(55) lgkmcnt(1)
	v_mul_f64 v[149:150], v[87:88], v[95:96]
	v_mul_f64 v[95:96], v[89:90], v[95:96]
	s_waitcnt vmcnt(54)
	v_fma_f64 v[143:144], v[0:1], v[151:152], -v[143:144]
	v_add_f64 v[91:92], v[91:92], v[141:142]
	v_fma_f64 v[141:142], v[2:3], v[151:152], v[155:156]
	v_add_f64 v[93:94], v[93:94], v[99:100]
	s_clause 0x1
	buffer_load_dword v100, off, s[0:3], 0 offset:628
	buffer_load_dword v99, off, s[0:3], 0 offset:624
	ds_read_b128 v[0:3], v140 offset:1040
	s_waitcnt vmcnt(55) lgkmcnt(1)
	v_mul_f64 v[151:152], v[83:84], v[115:116]
	v_mul_f64 v[115:116], v[85:86], v[115:116]
	s_waitcnt vmcnt(53)
	v_fma_f64 v[95:96], v[87:88], v[105:106], -v[95:96]
	v_fma_f64 v[105:106], v[89:90], v[105:106], v[149:150]
	ds_read_b128 v[87:90], v140 offset:1056
	v_add_f64 v[91:92], v[91:92], v[143:144]
	v_add_f64 v[93:94], v[93:94], v[141:142]
	s_waitcnt vmcnt(49) lgkmcnt(1)
	v_mul_f64 v[141:142], v[0:1], v[101:102]
	v_mul_f64 v[101:102], v[2:3], v[101:102]
	s_waitcnt vmcnt(48)
	v_fma_f64 v[115:116], v[83:84], v[145:146], -v[115:116]
	v_add_f64 v[91:92], v[91:92], v[95:96]
	v_fma_f64 v[95:96], v[85:86], v[145:146], v[151:152]
	v_add_f64 v[93:94], v[93:94], v[105:106]
	s_clause 0x3
	buffer_load_dword v105, off, s[0:3], 0 offset:16
	buffer_load_dword v106, off, s[0:3], 0 offset:20
	;; [unrolled: 1-line block ×4, first 2 shown]
	s_waitcnt vmcnt(51) lgkmcnt(0)
	v_mul_f64 v[145:146], v[87:88], v[121:122]
	v_mul_f64 v[121:122], v[89:90], v[121:122]
	ds_read_b128 v[83:86], v140 offset:1072
	s_waitcnt vmcnt(49)
	v_fma_f64 v[101:102], v[0:1], v[111:112], -v[101:102]
	v_fma_f64 v[111:112], v[2:3], v[111:112], v[141:142]
	ds_read_b128 v[0:3], v140 offset:1088
	v_add_f64 v[91:92], v[91:92], v[115:116]
	v_add_f64 v[93:94], v[93:94], v[95:96]
	s_waitcnt vmcnt(45) lgkmcnt(1)
	v_mul_f64 v[95:96], v[83:84], v[107:108]
	v_mul_f64 v[107:108], v[85:86], v[107:108]
	s_waitcnt vmcnt(44)
	v_fma_f64 v[115:116], v[87:88], v[123:124], -v[121:122]
	v_add_f64 v[91:92], v[91:92], v[101:102]
	v_fma_f64 v[101:102], v[89:90], v[123:124], v[145:146]
	v_add_f64 v[93:94], v[93:94], v[111:112]
	ds_read_b128 v[87:90], v140 offset:1104
	s_waitcnt vmcnt(43) lgkmcnt(1)
	v_mul_f64 v[121:122], v[2:3], v[129:130]
	v_mul_f64 v[111:112], v[0:1], v[129:130]
	s_waitcnt vmcnt(41)
	v_fma_f64 v[107:108], v[83:84], v[109:110], -v[107:108]
	v_fma_f64 v[95:96], v[85:86], v[109:110], v[95:96]
	ds_read_b128 v[83:86], v140 offset:1120
	v_add_f64 v[91:92], v[91:92], v[115:116]
	v_add_f64 v[93:94], v[93:94], v[101:102]
	s_waitcnt vmcnt(37) lgkmcnt(1)
	v_mul_f64 v[101:102], v[87:88], v[113:114]
	v_mul_f64 v[109:110], v[89:90], v[113:114]
	s_waitcnt vmcnt(36)
	v_fma_f64 v[113:114], v[0:1], v[131:132], -v[121:122]
	v_add_f64 v[91:92], v[91:92], v[107:108]
	v_fma_f64 v[107:108], v[2:3], v[131:132], v[111:112]
	v_add_f64 v[93:94], v[93:94], v[95:96]
	ds_read_b128 v[0:3], v140 offset:1136
	s_waitcnt vmcnt(35) lgkmcnt(1)
	v_mul_f64 v[111:112], v[85:86], v[135:136]
	v_mul_f64 v[95:96], v[83:84], v[135:136]
	s_waitcnt vmcnt(33)
	v_fma_f64 v[109:110], v[87:88], v[117:118], -v[109:110]
	v_fma_f64 v[101:102], v[89:90], v[117:118], v[101:102]
	ds_read_b128 v[87:90], v140 offset:1152
	v_add_f64 v[91:92], v[91:92], v[113:114]
	v_add_f64 v[93:94], v[93:94], v[107:108]
	s_waitcnt vmcnt(29) lgkmcnt(1)
	v_mul_f64 v[113:114], v[2:3], v[119:120]
	s_waitcnt vmcnt(28)
	v_fma_f64 v[111:112], v[83:84], v[137:138], -v[111:112]
	v_mul_f64 v[107:108], v[0:1], v[119:120]
	v_fma_f64 v[95:96], v[85:86], v[137:138], v[95:96]
	ds_read_b128 v[83:86], v140 offset:1168
	v_add_f64 v[91:92], v[91:92], v[109:110]
	v_add_f64 v[93:94], v[93:94], v[101:102]
	s_waitcnt vmcnt(27) lgkmcnt(1)
	v_mul_f64 v[109:110], v[89:90], v[157:158]
	v_mul_f64 v[101:102], v[87:88], v[157:158]
	s_waitcnt vmcnt(25)
	v_fma_f64 v[113:114], v[0:1], v[125:126], -v[113:114]
	v_fma_f64 v[107:108], v[2:3], v[125:126], v[107:108]
	ds_read_b128 v[0:3], v140 offset:1184
	v_add_f64 v[91:92], v[91:92], v[111:112]
	v_add_f64 v[93:94], v[93:94], v[95:96]
	s_waitcnt vmcnt(21) lgkmcnt(1)
	v_mul_f64 v[111:112], v[85:86], v[127:128]
	s_waitcnt vmcnt(20)
	v_fma_f64 v[109:110], v[87:88], v[161:162], -v[109:110]
	v_mul_f64 v[95:96], v[83:84], v[127:128]
	v_fma_f64 v[101:102], v[89:90], v[161:162], v[101:102]
	ds_read_b128 v[87:90], v140 offset:1200
	v_add_f64 v[91:92], v[91:92], v[113:114]
	v_add_f64 v[93:94], v[93:94], v[107:108]
	;; [unrolled: 18-line block ×3, first 2 shown]
	s_waitcnt vmcnt(11) lgkmcnt(1)
	v_mul_f64 v[111:112], v[85:86], v[159:160]
	v_mul_f64 v[95:96], v[83:84], v[159:160]
	s_waitcnt vmcnt(9)
	v_fma_f64 v[87:88], v[87:88], v[97:98], -v[109:110]
	v_fma_f64 v[89:90], v[89:90], v[97:98], v[101:102]
	v_add_f64 v[91:92], v[91:92], v[113:114]
	v_add_f64 v[93:94], v[93:94], v[107:108]
	s_waitcnt vmcnt(7) lgkmcnt(0)
	v_mul_f64 v[101:102], v[2:3], v[103:104]
	s_waitcnt vmcnt(6)
	v_fma_f64 v[83:84], v[83:84], v[163:164], -v[111:112]
	v_mul_f64 v[97:98], v[0:1], v[103:104]
	v_fma_f64 v[85:86], v[85:86], v[163:164], v[95:96]
	v_add_f64 v[87:88], v[91:92], v[87:88]
	v_add_f64 v[89:90], v[93:94], v[89:90]
	s_waitcnt vmcnt(4)
	v_fma_f64 v[0:1], v[0:1], v[99:100], -v[101:102]
	v_fma_f64 v[2:3], v[2:3], v[99:100], v[97:98]
	v_add_f64 v[83:84], v[87:88], v[83:84]
	v_add_f64 v[85:86], v[89:90], v[85:86]
	;; [unrolled: 1-line block ×4, first 2 shown]
	s_waitcnt vmcnt(2)
	v_add_f64 v[0:1], v[105:106], -v[0:1]
	s_waitcnt vmcnt(0)
	v_add_f64 v[2:3], v[143:144], -v[2:3]
	buffer_store_dword v1, off, s[0:3], 0 offset:20
	buffer_store_dword v0, off, s[0:3], 0 offset:16
	;; [unrolled: 1-line block ×4, first 2 shown]
	s_cbranch_vccz .LBB102_324
; %bb.248:
	v_mov_b32_e32 v0, 0
	global_load_dword v1, v0, s[12:13] offset:148
	s_waitcnt vmcnt(0)
	v_add_nc_u32_e32 v1, -1, v1
	v_cmp_ne_u32_e32 vcc_lo, 37, v1
	s_cbranch_vccz .LBB102_250
; %bb.249:
	v_lshlrev_b32_e32 v1, 4, v1
	v_mov_b32_e32 v2, s9
	v_add_nc_u32_e32 v1, 16, v1
	s_clause 0x7
	buffer_load_dword v3, v1, s[0:3], 0 offen
	buffer_load_dword v4, v1, s[0:3], 0 offen offset:4
	buffer_load_dword v83, v1, s[0:3], 0 offen offset:8
	;; [unrolled: 1-line block ×6, first 2 shown]
	buffer_load_dword v88, v2, s[0:3], 0 offen
	s_waitcnt vmcnt(7)
	buffer_store_dword v3, v2, s[0:3], 0 offen
	s_waitcnt vmcnt(6)
	buffer_store_dword v4, v2, s[0:3], 0 offen offset:4
	s_waitcnt vmcnt(5)
	buffer_store_dword v83, v2, s[0:3], 0 offen offset:8
	;; [unrolled: 2-line block ×6, first 2 shown]
	s_waitcnt vmcnt(0)
	buffer_store_dword v88, v1, s[0:3], 0 offen
.LBB102_250:
	global_load_dword v0, v0, s[12:13] offset:144
	s_waitcnt vmcnt(0)
	v_add_nc_u32_e32 v0, -1, v0
	v_cmp_eq_u32_e32 vcc_lo, 36, v0
	s_cbranch_vccnz .LBB102_252
; %bb.251:
	v_lshlrev_b32_e32 v0, 4, v0
	v_mov_b32_e32 v1, s14
	v_add_nc_u32_e32 v0, 16, v0
	s_clause 0x7
	buffer_load_dword v2, v0, s[0:3], 0 offen
	buffer_load_dword v3, v0, s[0:3], 0 offen offset:4
	buffer_load_dword v4, v0, s[0:3], 0 offen offset:8
	;; [unrolled: 1-line block ×6, first 2 shown]
	buffer_load_dword v87, v1, s[0:3], 0 offen
	s_waitcnt vmcnt(7)
	buffer_store_dword v2, v1, s[0:3], 0 offen
	s_waitcnt vmcnt(6)
	buffer_store_dword v3, v1, s[0:3], 0 offen offset:4
	s_waitcnt vmcnt(5)
	buffer_store_dword v4, v1, s[0:3], 0 offen offset:8
	;; [unrolled: 2-line block ×6, first 2 shown]
	s_waitcnt vmcnt(0)
	buffer_store_dword v87, v0, s[0:3], 0 offen
.LBB102_252:
	v_mov_b32_e32 v0, 0
	global_load_dword v1, v0, s[12:13] offset:140
	s_waitcnt vmcnt(0)
	v_add_nc_u32_e32 v1, -1, v1
	v_cmp_eq_u32_e32 vcc_lo, 35, v1
	s_cbranch_vccnz .LBB102_254
; %bb.253:
	v_lshlrev_b32_e32 v1, 4, v1
	v_mov_b32_e32 v2, s15
	v_add_nc_u32_e32 v1, 16, v1
	s_clause 0x7
	buffer_load_dword v3, v1, s[0:3], 0 offen
	buffer_load_dword v4, v1, s[0:3], 0 offen offset:4
	buffer_load_dword v83, v1, s[0:3], 0 offen offset:8
	;; [unrolled: 1-line block ×6, first 2 shown]
	buffer_load_dword v88, v2, s[0:3], 0 offen
	s_waitcnt vmcnt(7)
	buffer_store_dword v3, v2, s[0:3], 0 offen
	s_waitcnt vmcnt(6)
	buffer_store_dword v4, v2, s[0:3], 0 offen offset:4
	s_waitcnt vmcnt(5)
	buffer_store_dword v83, v2, s[0:3], 0 offen offset:8
	;; [unrolled: 2-line block ×6, first 2 shown]
	s_waitcnt vmcnt(0)
	buffer_store_dword v88, v1, s[0:3], 0 offen
.LBB102_254:
	global_load_dword v0, v0, s[12:13] offset:136
	s_waitcnt vmcnt(0)
	v_add_nc_u32_e32 v0, -1, v0
	v_cmp_eq_u32_e32 vcc_lo, 34, v0
	s_cbranch_vccnz .LBB102_256
; %bb.255:
	v_lshlrev_b32_e32 v0, 4, v0
	v_mov_b32_e32 v1, s16
	v_add_nc_u32_e32 v0, 16, v0
	s_clause 0x7
	buffer_load_dword v2, v0, s[0:3], 0 offen
	buffer_load_dword v3, v0, s[0:3], 0 offen offset:4
	buffer_load_dword v4, v0, s[0:3], 0 offen offset:8
	;; [unrolled: 1-line block ×6, first 2 shown]
	buffer_load_dword v87, v1, s[0:3], 0 offen
	s_waitcnt vmcnt(7)
	buffer_store_dword v2, v1, s[0:3], 0 offen
	s_waitcnt vmcnt(6)
	buffer_store_dword v3, v1, s[0:3], 0 offen offset:4
	s_waitcnt vmcnt(5)
	buffer_store_dword v4, v1, s[0:3], 0 offen offset:8
	;; [unrolled: 2-line block ×6, first 2 shown]
	s_waitcnt vmcnt(0)
	buffer_store_dword v87, v0, s[0:3], 0 offen
.LBB102_256:
	v_mov_b32_e32 v0, 0
	global_load_dword v1, v0, s[12:13] offset:132
	s_waitcnt vmcnt(0)
	v_add_nc_u32_e32 v1, -1, v1
	v_cmp_eq_u32_e32 vcc_lo, 33, v1
	s_cbranch_vccnz .LBB102_258
; %bb.257:
	v_lshlrev_b32_e32 v1, 4, v1
	v_mov_b32_e32 v2, s17
	v_add_nc_u32_e32 v1, 16, v1
	s_clause 0x7
	buffer_load_dword v3, v1, s[0:3], 0 offen
	buffer_load_dword v4, v1, s[0:3], 0 offen offset:4
	buffer_load_dword v83, v1, s[0:3], 0 offen offset:8
	;; [unrolled: 1-line block ×6, first 2 shown]
	buffer_load_dword v88, v2, s[0:3], 0 offen
	s_waitcnt vmcnt(7)
	buffer_store_dword v3, v2, s[0:3], 0 offen
	s_waitcnt vmcnt(6)
	buffer_store_dword v4, v2, s[0:3], 0 offen offset:4
	s_waitcnt vmcnt(5)
	buffer_store_dword v83, v2, s[0:3], 0 offen offset:8
	;; [unrolled: 2-line block ×6, first 2 shown]
	s_waitcnt vmcnt(0)
	buffer_store_dword v88, v1, s[0:3], 0 offen
.LBB102_258:
	global_load_dword v0, v0, s[12:13] offset:128
	s_waitcnt vmcnt(0)
	v_add_nc_u32_e32 v0, -1, v0
	v_cmp_eq_u32_e32 vcc_lo, 32, v0
	s_cbranch_vccnz .LBB102_260
; %bb.259:
	v_lshlrev_b32_e32 v0, 4, v0
	v_mov_b32_e32 v1, s18
	v_add_nc_u32_e32 v0, 16, v0
	s_clause 0x7
	buffer_load_dword v2, v0, s[0:3], 0 offen
	buffer_load_dword v3, v0, s[0:3], 0 offen offset:4
	buffer_load_dword v4, v0, s[0:3], 0 offen offset:8
	;; [unrolled: 1-line block ×6, first 2 shown]
	buffer_load_dword v87, v1, s[0:3], 0 offen
	s_waitcnt vmcnt(7)
	buffer_store_dword v2, v1, s[0:3], 0 offen
	s_waitcnt vmcnt(6)
	buffer_store_dword v3, v1, s[0:3], 0 offen offset:4
	s_waitcnt vmcnt(5)
	buffer_store_dword v4, v1, s[0:3], 0 offen offset:8
	;; [unrolled: 2-line block ×6, first 2 shown]
	s_waitcnt vmcnt(0)
	buffer_store_dword v87, v0, s[0:3], 0 offen
.LBB102_260:
	v_mov_b32_e32 v0, 0
	global_load_dword v1, v0, s[12:13] offset:124
	s_waitcnt vmcnt(0)
	v_add_nc_u32_e32 v1, -1, v1
	v_cmp_eq_u32_e32 vcc_lo, 31, v1
	s_cbranch_vccnz .LBB102_262
; %bb.261:
	v_lshlrev_b32_e32 v1, 4, v1
	v_mov_b32_e32 v2, s19
	v_add_nc_u32_e32 v1, 16, v1
	s_clause 0x7
	buffer_load_dword v3, v1, s[0:3], 0 offen
	buffer_load_dword v4, v1, s[0:3], 0 offen offset:4
	buffer_load_dword v83, v1, s[0:3], 0 offen offset:8
	;; [unrolled: 1-line block ×6, first 2 shown]
	buffer_load_dword v88, v2, s[0:3], 0 offen
	s_waitcnt vmcnt(7)
	buffer_store_dword v3, v2, s[0:3], 0 offen
	s_waitcnt vmcnt(6)
	buffer_store_dword v4, v2, s[0:3], 0 offen offset:4
	s_waitcnt vmcnt(5)
	buffer_store_dword v83, v2, s[0:3], 0 offen offset:8
	;; [unrolled: 2-line block ×6, first 2 shown]
	s_waitcnt vmcnt(0)
	buffer_store_dword v88, v1, s[0:3], 0 offen
.LBB102_262:
	global_load_dword v0, v0, s[12:13] offset:120
	s_waitcnt vmcnt(0)
	v_add_nc_u32_e32 v0, -1, v0
	v_cmp_eq_u32_e32 vcc_lo, 30, v0
	s_cbranch_vccnz .LBB102_264
; %bb.263:
	v_lshlrev_b32_e32 v0, 4, v0
	v_mov_b32_e32 v1, s20
	v_add_nc_u32_e32 v0, 16, v0
	s_clause 0x7
	buffer_load_dword v2, v0, s[0:3], 0 offen
	buffer_load_dword v3, v0, s[0:3], 0 offen offset:4
	buffer_load_dword v4, v0, s[0:3], 0 offen offset:8
	;; [unrolled: 1-line block ×6, first 2 shown]
	buffer_load_dword v87, v1, s[0:3], 0 offen
	s_waitcnt vmcnt(7)
	buffer_store_dword v2, v1, s[0:3], 0 offen
	s_waitcnt vmcnt(6)
	buffer_store_dword v3, v1, s[0:3], 0 offen offset:4
	s_waitcnt vmcnt(5)
	buffer_store_dword v4, v1, s[0:3], 0 offen offset:8
	;; [unrolled: 2-line block ×6, first 2 shown]
	s_waitcnt vmcnt(0)
	buffer_store_dword v87, v0, s[0:3], 0 offen
.LBB102_264:
	v_mov_b32_e32 v0, 0
	global_load_dword v1, v0, s[12:13] offset:116
	s_waitcnt vmcnt(0)
	v_add_nc_u32_e32 v1, -1, v1
	v_cmp_eq_u32_e32 vcc_lo, 29, v1
	s_cbranch_vccnz .LBB102_266
; %bb.265:
	v_lshlrev_b32_e32 v1, 4, v1
	v_mov_b32_e32 v2, s21
	v_add_nc_u32_e32 v1, 16, v1
	s_clause 0x7
	buffer_load_dword v3, v1, s[0:3], 0 offen
	buffer_load_dword v4, v1, s[0:3], 0 offen offset:4
	buffer_load_dword v83, v1, s[0:3], 0 offen offset:8
	;; [unrolled: 1-line block ×6, first 2 shown]
	buffer_load_dword v88, v2, s[0:3], 0 offen
	s_waitcnt vmcnt(7)
	buffer_store_dword v3, v2, s[0:3], 0 offen
	s_waitcnt vmcnt(6)
	buffer_store_dword v4, v2, s[0:3], 0 offen offset:4
	s_waitcnt vmcnt(5)
	buffer_store_dword v83, v2, s[0:3], 0 offen offset:8
	;; [unrolled: 2-line block ×6, first 2 shown]
	s_waitcnt vmcnt(0)
	buffer_store_dword v88, v1, s[0:3], 0 offen
.LBB102_266:
	global_load_dword v0, v0, s[12:13] offset:112
	s_waitcnt vmcnt(0)
	v_add_nc_u32_e32 v0, -1, v0
	v_cmp_eq_u32_e32 vcc_lo, 28, v0
	s_cbranch_vccnz .LBB102_268
; %bb.267:
	v_lshlrev_b32_e32 v0, 4, v0
	v_mov_b32_e32 v1, s22
	v_add_nc_u32_e32 v0, 16, v0
	s_clause 0x7
	buffer_load_dword v2, v0, s[0:3], 0 offen
	buffer_load_dword v3, v0, s[0:3], 0 offen offset:4
	buffer_load_dword v4, v0, s[0:3], 0 offen offset:8
	;; [unrolled: 1-line block ×6, first 2 shown]
	buffer_load_dword v87, v1, s[0:3], 0 offen
	s_waitcnt vmcnt(7)
	buffer_store_dword v2, v1, s[0:3], 0 offen
	s_waitcnt vmcnt(6)
	buffer_store_dword v3, v1, s[0:3], 0 offen offset:4
	s_waitcnt vmcnt(5)
	buffer_store_dword v4, v1, s[0:3], 0 offen offset:8
	;; [unrolled: 2-line block ×6, first 2 shown]
	s_waitcnt vmcnt(0)
	buffer_store_dword v87, v0, s[0:3], 0 offen
.LBB102_268:
	v_mov_b32_e32 v0, 0
	global_load_dword v1, v0, s[12:13] offset:108
	s_waitcnt vmcnt(0)
	v_add_nc_u32_e32 v1, -1, v1
	v_cmp_eq_u32_e32 vcc_lo, 27, v1
	s_cbranch_vccnz .LBB102_270
; %bb.269:
	v_lshlrev_b32_e32 v1, 4, v1
	v_mov_b32_e32 v2, s23
	v_add_nc_u32_e32 v1, 16, v1
	s_clause 0x7
	buffer_load_dword v3, v1, s[0:3], 0 offen
	buffer_load_dword v4, v1, s[0:3], 0 offen offset:4
	buffer_load_dword v83, v1, s[0:3], 0 offen offset:8
	;; [unrolled: 1-line block ×6, first 2 shown]
	buffer_load_dword v88, v2, s[0:3], 0 offen
	s_waitcnt vmcnt(7)
	buffer_store_dword v3, v2, s[0:3], 0 offen
	s_waitcnt vmcnt(6)
	buffer_store_dword v4, v2, s[0:3], 0 offen offset:4
	s_waitcnt vmcnt(5)
	buffer_store_dword v83, v2, s[0:3], 0 offen offset:8
	;; [unrolled: 2-line block ×6, first 2 shown]
	s_waitcnt vmcnt(0)
	buffer_store_dword v88, v1, s[0:3], 0 offen
.LBB102_270:
	global_load_dword v0, v0, s[12:13] offset:104
	s_waitcnt vmcnt(0)
	v_add_nc_u32_e32 v0, -1, v0
	v_cmp_eq_u32_e32 vcc_lo, 26, v0
	s_cbranch_vccnz .LBB102_272
; %bb.271:
	v_lshlrev_b32_e32 v0, 4, v0
	v_mov_b32_e32 v1, s24
	v_add_nc_u32_e32 v0, 16, v0
	s_clause 0x7
	buffer_load_dword v2, v0, s[0:3], 0 offen
	buffer_load_dword v3, v0, s[0:3], 0 offen offset:4
	buffer_load_dword v4, v0, s[0:3], 0 offen offset:8
	;; [unrolled: 1-line block ×6, first 2 shown]
	buffer_load_dword v87, v1, s[0:3], 0 offen
	s_waitcnt vmcnt(7)
	buffer_store_dword v2, v1, s[0:3], 0 offen
	s_waitcnt vmcnt(6)
	buffer_store_dword v3, v1, s[0:3], 0 offen offset:4
	s_waitcnt vmcnt(5)
	buffer_store_dword v4, v1, s[0:3], 0 offen offset:8
	;; [unrolled: 2-line block ×6, first 2 shown]
	s_waitcnt vmcnt(0)
	buffer_store_dword v87, v0, s[0:3], 0 offen
.LBB102_272:
	v_mov_b32_e32 v0, 0
	global_load_dword v1, v0, s[12:13] offset:100
	s_waitcnt vmcnt(0)
	v_add_nc_u32_e32 v1, -1, v1
	v_cmp_eq_u32_e32 vcc_lo, 25, v1
	s_cbranch_vccnz .LBB102_274
; %bb.273:
	v_lshlrev_b32_e32 v1, 4, v1
	v_mov_b32_e32 v2, s25
	v_add_nc_u32_e32 v1, 16, v1
	s_clause 0x7
	buffer_load_dword v3, v1, s[0:3], 0 offen
	buffer_load_dword v4, v1, s[0:3], 0 offen offset:4
	buffer_load_dword v83, v1, s[0:3], 0 offen offset:8
	;; [unrolled: 1-line block ×6, first 2 shown]
	buffer_load_dword v88, v2, s[0:3], 0 offen
	s_waitcnt vmcnt(7)
	buffer_store_dword v3, v2, s[0:3], 0 offen
	s_waitcnt vmcnt(6)
	buffer_store_dword v4, v2, s[0:3], 0 offen offset:4
	s_waitcnt vmcnt(5)
	buffer_store_dword v83, v2, s[0:3], 0 offen offset:8
	;; [unrolled: 2-line block ×6, first 2 shown]
	s_waitcnt vmcnt(0)
	buffer_store_dword v88, v1, s[0:3], 0 offen
.LBB102_274:
	global_load_dword v0, v0, s[12:13] offset:96
	s_waitcnt vmcnt(0)
	v_add_nc_u32_e32 v0, -1, v0
	v_cmp_eq_u32_e32 vcc_lo, 24, v0
	s_cbranch_vccnz .LBB102_276
; %bb.275:
	v_lshlrev_b32_e32 v0, 4, v0
	v_mov_b32_e32 v1, s26
	v_add_nc_u32_e32 v0, 16, v0
	s_clause 0x7
	buffer_load_dword v2, v0, s[0:3], 0 offen
	buffer_load_dword v3, v0, s[0:3], 0 offen offset:4
	buffer_load_dword v4, v0, s[0:3], 0 offen offset:8
	;; [unrolled: 1-line block ×6, first 2 shown]
	buffer_load_dword v87, v1, s[0:3], 0 offen
	s_waitcnt vmcnt(7)
	buffer_store_dword v2, v1, s[0:3], 0 offen
	s_waitcnt vmcnt(6)
	buffer_store_dword v3, v1, s[0:3], 0 offen offset:4
	s_waitcnt vmcnt(5)
	buffer_store_dword v4, v1, s[0:3], 0 offen offset:8
	;; [unrolled: 2-line block ×6, first 2 shown]
	s_waitcnt vmcnt(0)
	buffer_store_dword v87, v0, s[0:3], 0 offen
.LBB102_276:
	v_mov_b32_e32 v0, 0
	global_load_dword v1, v0, s[12:13] offset:92
	s_waitcnt vmcnt(0)
	v_add_nc_u32_e32 v1, -1, v1
	v_cmp_eq_u32_e32 vcc_lo, 23, v1
	s_cbranch_vccnz .LBB102_278
; %bb.277:
	v_lshlrev_b32_e32 v1, 4, v1
	v_mov_b32_e32 v2, s27
	v_add_nc_u32_e32 v1, 16, v1
	s_clause 0x7
	buffer_load_dword v3, v1, s[0:3], 0 offen
	buffer_load_dword v4, v1, s[0:3], 0 offen offset:4
	buffer_load_dword v83, v1, s[0:3], 0 offen offset:8
	;; [unrolled: 1-line block ×6, first 2 shown]
	buffer_load_dword v88, v2, s[0:3], 0 offen
	s_waitcnt vmcnt(7)
	buffer_store_dword v3, v2, s[0:3], 0 offen
	s_waitcnt vmcnt(6)
	buffer_store_dword v4, v2, s[0:3], 0 offen offset:4
	s_waitcnt vmcnt(5)
	buffer_store_dword v83, v2, s[0:3], 0 offen offset:8
	;; [unrolled: 2-line block ×6, first 2 shown]
	s_waitcnt vmcnt(0)
	buffer_store_dword v88, v1, s[0:3], 0 offen
.LBB102_278:
	global_load_dword v0, v0, s[12:13] offset:88
	s_waitcnt vmcnt(0)
	v_add_nc_u32_e32 v0, -1, v0
	v_cmp_eq_u32_e32 vcc_lo, 22, v0
	s_cbranch_vccnz .LBB102_280
; %bb.279:
	v_lshlrev_b32_e32 v0, 4, v0
	v_mov_b32_e32 v1, s28
	v_add_nc_u32_e32 v0, 16, v0
	s_clause 0x7
	buffer_load_dword v2, v0, s[0:3], 0 offen
	buffer_load_dword v3, v0, s[0:3], 0 offen offset:4
	buffer_load_dword v4, v0, s[0:3], 0 offen offset:8
	;; [unrolled: 1-line block ×6, first 2 shown]
	buffer_load_dword v87, v1, s[0:3], 0 offen
	s_waitcnt vmcnt(7)
	buffer_store_dword v2, v1, s[0:3], 0 offen
	s_waitcnt vmcnt(6)
	buffer_store_dword v3, v1, s[0:3], 0 offen offset:4
	s_waitcnt vmcnt(5)
	buffer_store_dword v4, v1, s[0:3], 0 offen offset:8
	;; [unrolled: 2-line block ×6, first 2 shown]
	s_waitcnt vmcnt(0)
	buffer_store_dword v87, v0, s[0:3], 0 offen
.LBB102_280:
	v_mov_b32_e32 v0, 0
	global_load_dword v1, v0, s[12:13] offset:84
	s_waitcnt vmcnt(0)
	v_add_nc_u32_e32 v1, -1, v1
	v_cmp_eq_u32_e32 vcc_lo, 21, v1
	s_cbranch_vccnz .LBB102_282
; %bb.281:
	v_lshlrev_b32_e32 v1, 4, v1
	v_mov_b32_e32 v2, s29
	v_add_nc_u32_e32 v1, 16, v1
	s_clause 0x7
	buffer_load_dword v3, v1, s[0:3], 0 offen
	buffer_load_dword v4, v1, s[0:3], 0 offen offset:4
	buffer_load_dword v83, v1, s[0:3], 0 offen offset:8
	;; [unrolled: 1-line block ×6, first 2 shown]
	buffer_load_dword v88, v2, s[0:3], 0 offen
	s_waitcnt vmcnt(7)
	buffer_store_dword v3, v2, s[0:3], 0 offen
	s_waitcnt vmcnt(6)
	buffer_store_dword v4, v2, s[0:3], 0 offen offset:4
	s_waitcnt vmcnt(5)
	buffer_store_dword v83, v2, s[0:3], 0 offen offset:8
	s_waitcnt vmcnt(4)
	buffer_store_dword v84, v2, s[0:3], 0 offen offset:12
	s_waitcnt vmcnt(3)
	buffer_store_dword v85, v1, s[0:3], 0 offen offset:12
	s_waitcnt vmcnt(2)
	buffer_store_dword v86, v1, s[0:3], 0 offen offset:8
	s_waitcnt vmcnt(1)
	buffer_store_dword v87, v1, s[0:3], 0 offen offset:4
	s_waitcnt vmcnt(0)
	buffer_store_dword v88, v1, s[0:3], 0 offen
.LBB102_282:
	global_load_dword v0, v0, s[12:13] offset:80
	s_waitcnt vmcnt(0)
	v_add_nc_u32_e32 v0, -1, v0
	v_cmp_eq_u32_e32 vcc_lo, 20, v0
	s_cbranch_vccnz .LBB102_284
; %bb.283:
	v_lshlrev_b32_e32 v0, 4, v0
	v_mov_b32_e32 v1, s30
	v_add_nc_u32_e32 v0, 16, v0
	s_clause 0x7
	buffer_load_dword v2, v0, s[0:3], 0 offen
	buffer_load_dword v3, v0, s[0:3], 0 offen offset:4
	buffer_load_dword v4, v0, s[0:3], 0 offen offset:8
	;; [unrolled: 1-line block ×6, first 2 shown]
	buffer_load_dword v87, v1, s[0:3], 0 offen
	s_waitcnt vmcnt(7)
	buffer_store_dword v2, v1, s[0:3], 0 offen
	s_waitcnt vmcnt(6)
	buffer_store_dword v3, v1, s[0:3], 0 offen offset:4
	s_waitcnt vmcnt(5)
	buffer_store_dword v4, v1, s[0:3], 0 offen offset:8
	;; [unrolled: 2-line block ×6, first 2 shown]
	s_waitcnt vmcnt(0)
	buffer_store_dword v87, v0, s[0:3], 0 offen
.LBB102_284:
	v_mov_b32_e32 v0, 0
	global_load_dword v1, v0, s[12:13] offset:76
	s_waitcnt vmcnt(0)
	v_add_nc_u32_e32 v1, -1, v1
	v_cmp_eq_u32_e32 vcc_lo, 19, v1
	s_cbranch_vccnz .LBB102_286
; %bb.285:
	v_lshlrev_b32_e32 v1, 4, v1
	v_mov_b32_e32 v2, s31
	v_add_nc_u32_e32 v1, 16, v1
	s_clause 0x7
	buffer_load_dword v3, v1, s[0:3], 0 offen
	buffer_load_dword v4, v1, s[0:3], 0 offen offset:4
	buffer_load_dword v83, v1, s[0:3], 0 offen offset:8
	;; [unrolled: 1-line block ×6, first 2 shown]
	buffer_load_dword v88, v2, s[0:3], 0 offen
	s_waitcnt vmcnt(7)
	buffer_store_dword v3, v2, s[0:3], 0 offen
	s_waitcnt vmcnt(6)
	buffer_store_dword v4, v2, s[0:3], 0 offen offset:4
	s_waitcnt vmcnt(5)
	buffer_store_dword v83, v2, s[0:3], 0 offen offset:8
	;; [unrolled: 2-line block ×6, first 2 shown]
	s_waitcnt vmcnt(0)
	buffer_store_dword v88, v1, s[0:3], 0 offen
.LBB102_286:
	global_load_dword v0, v0, s[12:13] offset:72
	s_waitcnt vmcnt(0)
	v_add_nc_u32_e32 v0, -1, v0
	v_cmp_eq_u32_e32 vcc_lo, 18, v0
	s_cbranch_vccnz .LBB102_288
; %bb.287:
	v_lshlrev_b32_e32 v0, 4, v0
	v_mov_b32_e32 v1, s33
	v_add_nc_u32_e32 v0, 16, v0
	s_clause 0x7
	buffer_load_dword v2, v0, s[0:3], 0 offen
	buffer_load_dword v3, v0, s[0:3], 0 offen offset:4
	buffer_load_dword v4, v0, s[0:3], 0 offen offset:8
	;; [unrolled: 1-line block ×6, first 2 shown]
	buffer_load_dword v87, v1, s[0:3], 0 offen
	s_waitcnt vmcnt(7)
	buffer_store_dword v2, v1, s[0:3], 0 offen
	s_waitcnt vmcnt(6)
	buffer_store_dword v3, v1, s[0:3], 0 offen offset:4
	s_waitcnt vmcnt(5)
	buffer_store_dword v4, v1, s[0:3], 0 offen offset:8
	;; [unrolled: 2-line block ×6, first 2 shown]
	s_waitcnt vmcnt(0)
	buffer_store_dword v87, v0, s[0:3], 0 offen
.LBB102_288:
	v_mov_b32_e32 v0, 0
	global_load_dword v1, v0, s[12:13] offset:68
	s_waitcnt vmcnt(0)
	v_add_nc_u32_e32 v1, -1, v1
	v_cmp_eq_u32_e32 vcc_lo, 17, v1
	s_cbranch_vccnz .LBB102_290
; %bb.289:
	v_lshlrev_b32_e32 v1, 4, v1
	v_mov_b32_e32 v2, s34
	v_add_nc_u32_e32 v1, 16, v1
	s_clause 0x7
	buffer_load_dword v3, v1, s[0:3], 0 offen
	buffer_load_dword v4, v1, s[0:3], 0 offen offset:4
	buffer_load_dword v83, v1, s[0:3], 0 offen offset:8
	;; [unrolled: 1-line block ×6, first 2 shown]
	buffer_load_dword v88, v2, s[0:3], 0 offen
	s_waitcnt vmcnt(7)
	buffer_store_dword v3, v2, s[0:3], 0 offen
	s_waitcnt vmcnt(6)
	buffer_store_dword v4, v2, s[0:3], 0 offen offset:4
	s_waitcnt vmcnt(5)
	buffer_store_dword v83, v2, s[0:3], 0 offen offset:8
	;; [unrolled: 2-line block ×6, first 2 shown]
	s_waitcnt vmcnt(0)
	buffer_store_dword v88, v1, s[0:3], 0 offen
.LBB102_290:
	global_load_dword v0, v0, s[12:13] offset:64
	s_waitcnt vmcnt(0)
	v_add_nc_u32_e32 v0, -1, v0
	v_cmp_eq_u32_e32 vcc_lo, 16, v0
	s_cbranch_vccnz .LBB102_292
; %bb.291:
	v_lshlrev_b32_e32 v0, 4, v0
	v_mov_b32_e32 v1, s35
	v_add_nc_u32_e32 v0, 16, v0
	s_clause 0x7
	buffer_load_dword v2, v0, s[0:3], 0 offen
	buffer_load_dword v3, v0, s[0:3], 0 offen offset:4
	buffer_load_dword v4, v0, s[0:3], 0 offen offset:8
	;; [unrolled: 1-line block ×6, first 2 shown]
	buffer_load_dword v87, v1, s[0:3], 0 offen
	s_waitcnt vmcnt(7)
	buffer_store_dword v2, v1, s[0:3], 0 offen
	s_waitcnt vmcnt(6)
	buffer_store_dword v3, v1, s[0:3], 0 offen offset:4
	s_waitcnt vmcnt(5)
	buffer_store_dword v4, v1, s[0:3], 0 offen offset:8
	;; [unrolled: 2-line block ×6, first 2 shown]
	s_waitcnt vmcnt(0)
	buffer_store_dword v87, v0, s[0:3], 0 offen
.LBB102_292:
	v_mov_b32_e32 v0, 0
	global_load_dword v1, v0, s[12:13] offset:60
	s_waitcnt vmcnt(0)
	v_add_nc_u32_e32 v1, -1, v1
	v_cmp_eq_u32_e32 vcc_lo, 15, v1
	s_cbranch_vccnz .LBB102_294
; %bb.293:
	v_lshlrev_b32_e32 v1, 4, v1
	v_mov_b32_e32 v2, s36
	v_add_nc_u32_e32 v1, 16, v1
	s_clause 0x7
	buffer_load_dword v3, v1, s[0:3], 0 offen
	buffer_load_dword v4, v1, s[0:3], 0 offen offset:4
	buffer_load_dword v83, v1, s[0:3], 0 offen offset:8
	;; [unrolled: 1-line block ×6, first 2 shown]
	buffer_load_dword v88, v2, s[0:3], 0 offen
	s_waitcnt vmcnt(7)
	buffer_store_dword v3, v2, s[0:3], 0 offen
	s_waitcnt vmcnt(6)
	buffer_store_dword v4, v2, s[0:3], 0 offen offset:4
	s_waitcnt vmcnt(5)
	buffer_store_dword v83, v2, s[0:3], 0 offen offset:8
	;; [unrolled: 2-line block ×6, first 2 shown]
	s_waitcnt vmcnt(0)
	buffer_store_dword v88, v1, s[0:3], 0 offen
.LBB102_294:
	global_load_dword v0, v0, s[12:13] offset:56
	s_waitcnt vmcnt(0)
	v_add_nc_u32_e32 v0, -1, v0
	v_cmp_eq_u32_e32 vcc_lo, 14, v0
	s_cbranch_vccnz .LBB102_296
; %bb.295:
	v_lshlrev_b32_e32 v0, 4, v0
	v_mov_b32_e32 v1, s37
	v_add_nc_u32_e32 v0, 16, v0
	s_clause 0x7
	buffer_load_dword v2, v0, s[0:3], 0 offen
	buffer_load_dword v3, v0, s[0:3], 0 offen offset:4
	buffer_load_dword v4, v0, s[0:3], 0 offen offset:8
	;; [unrolled: 1-line block ×6, first 2 shown]
	buffer_load_dword v87, v1, s[0:3], 0 offen
	s_waitcnt vmcnt(7)
	buffer_store_dword v2, v1, s[0:3], 0 offen
	s_waitcnt vmcnt(6)
	buffer_store_dword v3, v1, s[0:3], 0 offen offset:4
	s_waitcnt vmcnt(5)
	buffer_store_dword v4, v1, s[0:3], 0 offen offset:8
	;; [unrolled: 2-line block ×6, first 2 shown]
	s_waitcnt vmcnt(0)
	buffer_store_dword v87, v0, s[0:3], 0 offen
.LBB102_296:
	v_mov_b32_e32 v0, 0
	global_load_dword v1, v0, s[12:13] offset:52
	s_waitcnt vmcnt(0)
	v_add_nc_u32_e32 v1, -1, v1
	v_cmp_eq_u32_e32 vcc_lo, 13, v1
	s_cbranch_vccnz .LBB102_298
; %bb.297:
	v_lshlrev_b32_e32 v1, 4, v1
	v_mov_b32_e32 v2, s38
	v_add_nc_u32_e32 v1, 16, v1
	s_clause 0x7
	buffer_load_dword v3, v1, s[0:3], 0 offen
	buffer_load_dword v4, v1, s[0:3], 0 offen offset:4
	buffer_load_dword v83, v1, s[0:3], 0 offen offset:8
	;; [unrolled: 1-line block ×6, first 2 shown]
	buffer_load_dword v88, v2, s[0:3], 0 offen
	s_waitcnt vmcnt(7)
	buffer_store_dword v3, v2, s[0:3], 0 offen
	s_waitcnt vmcnt(6)
	buffer_store_dword v4, v2, s[0:3], 0 offen offset:4
	s_waitcnt vmcnt(5)
	buffer_store_dword v83, v2, s[0:3], 0 offen offset:8
	;; [unrolled: 2-line block ×6, first 2 shown]
	s_waitcnt vmcnt(0)
	buffer_store_dword v88, v1, s[0:3], 0 offen
.LBB102_298:
	global_load_dword v0, v0, s[12:13] offset:48
	s_waitcnt vmcnt(0)
	v_add_nc_u32_e32 v0, -1, v0
	v_cmp_eq_u32_e32 vcc_lo, 12, v0
	s_cbranch_vccnz .LBB102_300
; %bb.299:
	v_lshlrev_b32_e32 v0, 4, v0
	v_mov_b32_e32 v1, s39
	v_add_nc_u32_e32 v0, 16, v0
	s_clause 0x7
	buffer_load_dword v2, v0, s[0:3], 0 offen
	buffer_load_dword v3, v0, s[0:3], 0 offen offset:4
	buffer_load_dword v4, v0, s[0:3], 0 offen offset:8
	;; [unrolled: 1-line block ×6, first 2 shown]
	buffer_load_dword v87, v1, s[0:3], 0 offen
	s_waitcnt vmcnt(7)
	buffer_store_dword v2, v1, s[0:3], 0 offen
	s_waitcnt vmcnt(6)
	buffer_store_dword v3, v1, s[0:3], 0 offen offset:4
	s_waitcnt vmcnt(5)
	buffer_store_dword v4, v1, s[0:3], 0 offen offset:8
	;; [unrolled: 2-line block ×6, first 2 shown]
	s_waitcnt vmcnt(0)
	buffer_store_dword v87, v0, s[0:3], 0 offen
.LBB102_300:
	v_mov_b32_e32 v0, 0
	global_load_dword v1, v0, s[12:13] offset:44
	s_waitcnt vmcnt(0)
	v_add_nc_u32_e32 v1, -1, v1
	v_cmp_eq_u32_e32 vcc_lo, 11, v1
	s_cbranch_vccnz .LBB102_302
; %bb.301:
	v_lshlrev_b32_e32 v1, 4, v1
	v_mov_b32_e32 v2, s40
	v_add_nc_u32_e32 v1, 16, v1
	s_clause 0x7
	buffer_load_dword v3, v1, s[0:3], 0 offen
	buffer_load_dword v4, v1, s[0:3], 0 offen offset:4
	buffer_load_dword v83, v1, s[0:3], 0 offen offset:8
	;; [unrolled: 1-line block ×6, first 2 shown]
	buffer_load_dword v88, v2, s[0:3], 0 offen
	s_waitcnt vmcnt(7)
	buffer_store_dword v3, v2, s[0:3], 0 offen
	s_waitcnt vmcnt(6)
	buffer_store_dword v4, v2, s[0:3], 0 offen offset:4
	s_waitcnt vmcnt(5)
	buffer_store_dword v83, v2, s[0:3], 0 offen offset:8
	;; [unrolled: 2-line block ×6, first 2 shown]
	s_waitcnt vmcnt(0)
	buffer_store_dword v88, v1, s[0:3], 0 offen
.LBB102_302:
	global_load_dword v0, v0, s[12:13] offset:40
	s_waitcnt vmcnt(0)
	v_add_nc_u32_e32 v0, -1, v0
	v_cmp_eq_u32_e32 vcc_lo, 10, v0
	s_cbranch_vccnz .LBB102_304
; %bb.303:
	v_lshlrev_b32_e32 v0, 4, v0
	v_mov_b32_e32 v1, s41
	v_add_nc_u32_e32 v0, 16, v0
	s_clause 0x7
	buffer_load_dword v2, v0, s[0:3], 0 offen
	buffer_load_dword v3, v0, s[0:3], 0 offen offset:4
	buffer_load_dword v4, v0, s[0:3], 0 offen offset:8
	;; [unrolled: 1-line block ×6, first 2 shown]
	buffer_load_dword v87, v1, s[0:3], 0 offen
	s_waitcnt vmcnt(7)
	buffer_store_dword v2, v1, s[0:3], 0 offen
	s_waitcnt vmcnt(6)
	buffer_store_dword v3, v1, s[0:3], 0 offen offset:4
	s_waitcnt vmcnt(5)
	buffer_store_dword v4, v1, s[0:3], 0 offen offset:8
	;; [unrolled: 2-line block ×6, first 2 shown]
	s_waitcnt vmcnt(0)
	buffer_store_dword v87, v0, s[0:3], 0 offen
.LBB102_304:
	v_mov_b32_e32 v0, 0
	global_load_dword v1, v0, s[12:13] offset:36
	s_waitcnt vmcnt(0)
	v_add_nc_u32_e32 v1, -1, v1
	v_cmp_eq_u32_e32 vcc_lo, 9, v1
	s_cbranch_vccnz .LBB102_306
; %bb.305:
	v_lshlrev_b32_e32 v1, 4, v1
	v_mov_b32_e32 v2, s42
	v_add_nc_u32_e32 v1, 16, v1
	s_clause 0x7
	buffer_load_dword v3, v1, s[0:3], 0 offen
	buffer_load_dword v4, v1, s[0:3], 0 offen offset:4
	buffer_load_dword v83, v1, s[0:3], 0 offen offset:8
	;; [unrolled: 1-line block ×6, first 2 shown]
	buffer_load_dword v88, v2, s[0:3], 0 offen
	s_waitcnt vmcnt(7)
	buffer_store_dword v3, v2, s[0:3], 0 offen
	s_waitcnt vmcnt(6)
	buffer_store_dword v4, v2, s[0:3], 0 offen offset:4
	s_waitcnt vmcnt(5)
	buffer_store_dword v83, v2, s[0:3], 0 offen offset:8
	;; [unrolled: 2-line block ×6, first 2 shown]
	s_waitcnt vmcnt(0)
	buffer_store_dword v88, v1, s[0:3], 0 offen
.LBB102_306:
	global_load_dword v0, v0, s[12:13] offset:32
	s_waitcnt vmcnt(0)
	v_add_nc_u32_e32 v0, -1, v0
	v_cmp_eq_u32_e32 vcc_lo, 8, v0
	s_cbranch_vccnz .LBB102_308
; %bb.307:
	v_lshlrev_b32_e32 v0, 4, v0
	v_mov_b32_e32 v1, s43
	v_add_nc_u32_e32 v0, 16, v0
	s_clause 0x7
	buffer_load_dword v2, v0, s[0:3], 0 offen
	buffer_load_dword v3, v0, s[0:3], 0 offen offset:4
	buffer_load_dword v4, v0, s[0:3], 0 offen offset:8
	;; [unrolled: 1-line block ×6, first 2 shown]
	buffer_load_dword v87, v1, s[0:3], 0 offen
	s_waitcnt vmcnt(7)
	buffer_store_dword v2, v1, s[0:3], 0 offen
	s_waitcnt vmcnt(6)
	buffer_store_dword v3, v1, s[0:3], 0 offen offset:4
	s_waitcnt vmcnt(5)
	buffer_store_dword v4, v1, s[0:3], 0 offen offset:8
	;; [unrolled: 2-line block ×6, first 2 shown]
	s_waitcnt vmcnt(0)
	buffer_store_dword v87, v0, s[0:3], 0 offen
.LBB102_308:
	v_mov_b32_e32 v0, 0
	global_load_dword v1, v0, s[12:13] offset:28
	s_waitcnt vmcnt(0)
	v_add_nc_u32_e32 v1, -1, v1
	v_cmp_eq_u32_e32 vcc_lo, 7, v1
	s_cbranch_vccnz .LBB102_310
; %bb.309:
	v_lshlrev_b32_e32 v1, 4, v1
	v_mov_b32_e32 v2, s44
	v_add_nc_u32_e32 v1, 16, v1
	s_clause 0x7
	buffer_load_dword v3, v1, s[0:3], 0 offen
	buffer_load_dword v4, v1, s[0:3], 0 offen offset:4
	buffer_load_dword v83, v1, s[0:3], 0 offen offset:8
	;; [unrolled: 1-line block ×6, first 2 shown]
	buffer_load_dword v88, v2, s[0:3], 0 offen
	s_waitcnt vmcnt(7)
	buffer_store_dword v3, v2, s[0:3], 0 offen
	s_waitcnt vmcnt(6)
	buffer_store_dword v4, v2, s[0:3], 0 offen offset:4
	s_waitcnt vmcnt(5)
	buffer_store_dword v83, v2, s[0:3], 0 offen offset:8
	;; [unrolled: 2-line block ×6, first 2 shown]
	s_waitcnt vmcnt(0)
	buffer_store_dword v88, v1, s[0:3], 0 offen
.LBB102_310:
	global_load_dword v0, v0, s[12:13] offset:24
	s_waitcnt vmcnt(0)
	v_add_nc_u32_e32 v0, -1, v0
	v_cmp_eq_u32_e32 vcc_lo, 6, v0
	s_cbranch_vccnz .LBB102_312
; %bb.311:
	v_lshlrev_b32_e32 v0, 4, v0
	v_mov_b32_e32 v1, s45
	v_add_nc_u32_e32 v0, 16, v0
	s_clause 0x7
	buffer_load_dword v2, v0, s[0:3], 0 offen
	buffer_load_dword v3, v0, s[0:3], 0 offen offset:4
	buffer_load_dword v4, v0, s[0:3], 0 offen offset:8
	;; [unrolled: 1-line block ×6, first 2 shown]
	buffer_load_dword v87, v1, s[0:3], 0 offen
	s_waitcnt vmcnt(7)
	buffer_store_dword v2, v1, s[0:3], 0 offen
	s_waitcnt vmcnt(6)
	buffer_store_dword v3, v1, s[0:3], 0 offen offset:4
	s_waitcnt vmcnt(5)
	buffer_store_dword v4, v1, s[0:3], 0 offen offset:8
	;; [unrolled: 2-line block ×6, first 2 shown]
	s_waitcnt vmcnt(0)
	buffer_store_dword v87, v0, s[0:3], 0 offen
.LBB102_312:
	v_mov_b32_e32 v0, 0
	global_load_dword v1, v0, s[12:13] offset:20
	s_waitcnt vmcnt(0)
	v_add_nc_u32_e32 v1, -1, v1
	v_cmp_eq_u32_e32 vcc_lo, 5, v1
	s_cbranch_vccnz .LBB102_314
; %bb.313:
	v_lshlrev_b32_e32 v1, 4, v1
	v_mov_b32_e32 v2, s46
	v_add_nc_u32_e32 v1, 16, v1
	s_clause 0x7
	buffer_load_dword v3, v1, s[0:3], 0 offen
	buffer_load_dword v4, v1, s[0:3], 0 offen offset:4
	buffer_load_dword v83, v1, s[0:3], 0 offen offset:8
	buffer_load_dword v84, v1, s[0:3], 0 offen offset:12
	buffer_load_dword v85, v2, s[0:3], 0 offen offset:12
	buffer_load_dword v86, v2, s[0:3], 0 offen offset:8
	buffer_load_dword v87, v2, s[0:3], 0 offen offset:4
	buffer_load_dword v88, v2, s[0:3], 0 offen
	s_waitcnt vmcnt(7)
	buffer_store_dword v3, v2, s[0:3], 0 offen
	s_waitcnt vmcnt(6)
	buffer_store_dword v4, v2, s[0:3], 0 offen offset:4
	s_waitcnt vmcnt(5)
	buffer_store_dword v83, v2, s[0:3], 0 offen offset:8
	;; [unrolled: 2-line block ×6, first 2 shown]
	s_waitcnt vmcnt(0)
	buffer_store_dword v88, v1, s[0:3], 0 offen
.LBB102_314:
	global_load_dword v0, v0, s[12:13] offset:16
	s_waitcnt vmcnt(0)
	v_add_nc_u32_e32 v0, -1, v0
	v_cmp_eq_u32_e32 vcc_lo, 4, v0
	s_cbranch_vccnz .LBB102_316
; %bb.315:
	v_lshlrev_b32_e32 v0, 4, v0
	v_mov_b32_e32 v1, s47
	v_add_nc_u32_e32 v0, 16, v0
	s_clause 0x7
	buffer_load_dword v2, v0, s[0:3], 0 offen
	buffer_load_dword v3, v0, s[0:3], 0 offen offset:4
	buffer_load_dword v4, v0, s[0:3], 0 offen offset:8
	;; [unrolled: 1-line block ×6, first 2 shown]
	buffer_load_dword v87, v1, s[0:3], 0 offen
	s_waitcnt vmcnt(7)
	buffer_store_dword v2, v1, s[0:3], 0 offen
	s_waitcnt vmcnt(6)
	buffer_store_dword v3, v1, s[0:3], 0 offen offset:4
	s_waitcnt vmcnt(5)
	buffer_store_dword v4, v1, s[0:3], 0 offen offset:8
	;; [unrolled: 2-line block ×6, first 2 shown]
	s_waitcnt vmcnt(0)
	buffer_store_dword v87, v0, s[0:3], 0 offen
.LBB102_316:
	v_mov_b32_e32 v0, 0
	global_load_dword v1, v0, s[12:13] offset:12
	s_waitcnt vmcnt(0)
	v_add_nc_u32_e32 v1, -1, v1
	v_cmp_eq_u32_e32 vcc_lo, 3, v1
	s_cbranch_vccnz .LBB102_318
; %bb.317:
	v_lshlrev_b32_e32 v1, 4, v1
	v_mov_b32_e32 v2, s48
	v_add_nc_u32_e32 v1, 16, v1
	s_clause 0x7
	buffer_load_dword v3, v1, s[0:3], 0 offen
	buffer_load_dword v4, v1, s[0:3], 0 offen offset:4
	buffer_load_dword v83, v1, s[0:3], 0 offen offset:8
	;; [unrolled: 1-line block ×6, first 2 shown]
	buffer_load_dword v88, v2, s[0:3], 0 offen
	s_waitcnt vmcnt(7)
	buffer_store_dword v3, v2, s[0:3], 0 offen
	s_waitcnt vmcnt(6)
	buffer_store_dword v4, v2, s[0:3], 0 offen offset:4
	s_waitcnt vmcnt(5)
	buffer_store_dword v83, v2, s[0:3], 0 offen offset:8
	;; [unrolled: 2-line block ×6, first 2 shown]
	s_waitcnt vmcnt(0)
	buffer_store_dword v88, v1, s[0:3], 0 offen
.LBB102_318:
	global_load_dword v0, v0, s[12:13] offset:8
	s_waitcnt vmcnt(0)
	v_add_nc_u32_e32 v0, -1, v0
	v_cmp_eq_u32_e32 vcc_lo, 2, v0
	s_cbranch_vccnz .LBB102_320
; %bb.319:
	v_lshlrev_b32_e32 v0, 4, v0
	v_mov_b32_e32 v1, s49
	v_add_nc_u32_e32 v0, 16, v0
	s_clause 0x7
	buffer_load_dword v2, v0, s[0:3], 0 offen
	buffer_load_dword v3, v0, s[0:3], 0 offen offset:4
	buffer_load_dword v4, v0, s[0:3], 0 offen offset:8
	;; [unrolled: 1-line block ×6, first 2 shown]
	buffer_load_dword v87, v1, s[0:3], 0 offen
	s_waitcnt vmcnt(7)
	buffer_store_dword v2, v1, s[0:3], 0 offen
	s_waitcnt vmcnt(6)
	buffer_store_dword v3, v1, s[0:3], 0 offen offset:4
	s_waitcnt vmcnt(5)
	buffer_store_dword v4, v1, s[0:3], 0 offen offset:8
	;; [unrolled: 2-line block ×6, first 2 shown]
	s_waitcnt vmcnt(0)
	buffer_store_dword v87, v0, s[0:3], 0 offen
.LBB102_320:
	v_mov_b32_e32 v0, 0
	global_load_dword v1, v0, s[12:13] offset:4
	s_waitcnt vmcnt(0)
	v_add_nc_u32_e32 v1, -1, v1
	v_cmp_eq_u32_e32 vcc_lo, 1, v1
	s_cbranch_vccnz .LBB102_322
; %bb.321:
	v_lshlrev_b32_e32 v1, 4, v1
	v_mov_b32_e32 v2, s50
	v_add_nc_u32_e32 v1, 16, v1
	s_clause 0x7
	buffer_load_dword v3, v1, s[0:3], 0 offen
	buffer_load_dword v4, v1, s[0:3], 0 offen offset:4
	buffer_load_dword v83, v1, s[0:3], 0 offen offset:8
	;; [unrolled: 1-line block ×6, first 2 shown]
	buffer_load_dword v88, v2, s[0:3], 0 offen
	s_waitcnt vmcnt(7)
	buffer_store_dword v3, v2, s[0:3], 0 offen
	s_waitcnt vmcnt(6)
	buffer_store_dword v4, v2, s[0:3], 0 offen offset:4
	s_waitcnt vmcnt(5)
	buffer_store_dword v83, v2, s[0:3], 0 offen offset:8
	;; [unrolled: 2-line block ×6, first 2 shown]
	s_waitcnt vmcnt(0)
	buffer_store_dword v88, v1, s[0:3], 0 offen
.LBB102_322:
	global_load_dword v0, v0, s[12:13]
	s_waitcnt vmcnt(0)
	v_add_nc_u32_e32 v0, -1, v0
	v_cmp_eq_u32_e32 vcc_lo, 0, v0
	s_cbranch_vccnz .LBB102_324
; %bb.323:
	v_lshlrev_b32_e32 v0, 4, v0
	v_add_nc_u32_e32 v0, 16, v0
	s_clause 0x7
	buffer_load_dword v1, v0, s[0:3], 0 offen
	buffer_load_dword v2, v0, s[0:3], 0 offen offset:4
	buffer_load_dword v3, v0, s[0:3], 0 offen offset:8
	;; [unrolled: 1-line block ×3, first 2 shown]
	buffer_load_dword v83, off, s[0:3], 0 offset:28
	buffer_load_dword v84, off, s[0:3], 0 offset:24
	;; [unrolled: 1-line block ×4, first 2 shown]
	s_waitcnt vmcnt(7)
	buffer_store_dword v1, off, s[0:3], 0 offset:16
	s_waitcnt vmcnt(6)
	buffer_store_dword v2, off, s[0:3], 0 offset:20
	;; [unrolled: 2-line block ×4, first 2 shown]
	s_waitcnt vmcnt(3)
	buffer_store_dword v83, v0, s[0:3], 0 offen offset:12
	s_waitcnt vmcnt(2)
	buffer_store_dword v84, v0, s[0:3], 0 offen offset:8
	;; [unrolled: 2-line block ×3, first 2 shown]
	s_waitcnt vmcnt(0)
	buffer_store_dword v86, v0, s[0:3], 0 offen
.LBB102_324:
	s_clause 0x3
	buffer_load_dword v0, off, s[0:3], 0 offset:16
	buffer_load_dword v1, off, s[0:3], 0 offset:20
	;; [unrolled: 1-line block ×4, first 2 shown]
	v_mov_b32_e32 v4, s50
	s_waitcnt vmcnt(0)
	flat_store_dwordx4 v[5:6], v[0:3]
	s_clause 0x3
	buffer_load_dword v0, v4, s[0:3], 0 offen
	buffer_load_dword v1, v4, s[0:3], 0 offen offset:4
	buffer_load_dword v2, v4, s[0:3], 0 offen offset:8
	buffer_load_dword v3, v4, s[0:3], 0 offen offset:12
	v_mov_b32_e32 v4, s49
	s_waitcnt vmcnt(0)
	flat_store_dwordx4 v[59:60], v[0:3]
	s_clause 0x3
	buffer_load_dword v0, v4, s[0:3], 0 offen
	buffer_load_dword v1, v4, s[0:3], 0 offen offset:4
	buffer_load_dword v2, v4, s[0:3], 0 offen offset:8
	buffer_load_dword v3, v4, s[0:3], 0 offen offset:12
	;; [unrolled: 8-line block ×38, first 2 shown]
	s_waitcnt vmcnt(0)
	flat_store_dwordx4 v[81:82], v[0:3]
	s_endpgm
	.section	.rodata,"a",@progbits
	.p2align	6, 0x0
	.amdhsa_kernel _ZN9rocsolver6v33100L18getri_kernel_smallILi39E19rocblas_complex_numIdEPKPS3_EEvT1_iilPiilS8_bb
		.amdhsa_group_segment_fixed_size 1256
		.amdhsa_private_segment_fixed_size 656
		.amdhsa_kernarg_size 60
		.amdhsa_user_sgpr_count 6
		.amdhsa_user_sgpr_private_segment_buffer 1
		.amdhsa_user_sgpr_dispatch_ptr 0
		.amdhsa_user_sgpr_queue_ptr 0
		.amdhsa_user_sgpr_kernarg_segment_ptr 1
		.amdhsa_user_sgpr_dispatch_id 0
		.amdhsa_user_sgpr_flat_scratch_init 0
		.amdhsa_user_sgpr_private_segment_size 0
		.amdhsa_wavefront_size32 1
		.amdhsa_uses_dynamic_stack 0
		.amdhsa_system_sgpr_private_segment_wavefront_offset 1
		.amdhsa_system_sgpr_workgroup_id_x 1
		.amdhsa_system_sgpr_workgroup_id_y 0
		.amdhsa_system_sgpr_workgroup_id_z 0
		.amdhsa_system_sgpr_workgroup_info 0
		.amdhsa_system_vgpr_workitem_id 0
		.amdhsa_next_free_vgpr 173
		.amdhsa_next_free_sgpr 69
		.amdhsa_reserve_vcc 1
		.amdhsa_reserve_flat_scratch 0
		.amdhsa_float_round_mode_32 0
		.amdhsa_float_round_mode_16_64 0
		.amdhsa_float_denorm_mode_32 3
		.amdhsa_float_denorm_mode_16_64 3
		.amdhsa_dx10_clamp 1
		.amdhsa_ieee_mode 1
		.amdhsa_fp16_overflow 0
		.amdhsa_workgroup_processor_mode 1
		.amdhsa_memory_ordered 1
		.amdhsa_forward_progress 1
		.amdhsa_shared_vgpr_count 0
		.amdhsa_exception_fp_ieee_invalid_op 0
		.amdhsa_exception_fp_denorm_src 0
		.amdhsa_exception_fp_ieee_div_zero 0
		.amdhsa_exception_fp_ieee_overflow 0
		.amdhsa_exception_fp_ieee_underflow 0
		.amdhsa_exception_fp_ieee_inexact 0
		.amdhsa_exception_int_div_zero 0
	.end_amdhsa_kernel
	.section	.text._ZN9rocsolver6v33100L18getri_kernel_smallILi39E19rocblas_complex_numIdEPKPS3_EEvT1_iilPiilS8_bb,"axG",@progbits,_ZN9rocsolver6v33100L18getri_kernel_smallILi39E19rocblas_complex_numIdEPKPS3_EEvT1_iilPiilS8_bb,comdat
.Lfunc_end102:
	.size	_ZN9rocsolver6v33100L18getri_kernel_smallILi39E19rocblas_complex_numIdEPKPS3_EEvT1_iilPiilS8_bb, .Lfunc_end102-_ZN9rocsolver6v33100L18getri_kernel_smallILi39E19rocblas_complex_numIdEPKPS3_EEvT1_iilPiilS8_bb
                                        ; -- End function
	.set _ZN9rocsolver6v33100L18getri_kernel_smallILi39E19rocblas_complex_numIdEPKPS3_EEvT1_iilPiilS8_bb.num_vgpr, 173
	.set _ZN9rocsolver6v33100L18getri_kernel_smallILi39E19rocblas_complex_numIdEPKPS3_EEvT1_iilPiilS8_bb.num_agpr, 0
	.set _ZN9rocsolver6v33100L18getri_kernel_smallILi39E19rocblas_complex_numIdEPKPS3_EEvT1_iilPiilS8_bb.numbered_sgpr, 69
	.set _ZN9rocsolver6v33100L18getri_kernel_smallILi39E19rocblas_complex_numIdEPKPS3_EEvT1_iilPiilS8_bb.num_named_barrier, 0
	.set _ZN9rocsolver6v33100L18getri_kernel_smallILi39E19rocblas_complex_numIdEPKPS3_EEvT1_iilPiilS8_bb.private_seg_size, 656
	.set _ZN9rocsolver6v33100L18getri_kernel_smallILi39E19rocblas_complex_numIdEPKPS3_EEvT1_iilPiilS8_bb.uses_vcc, 1
	.set _ZN9rocsolver6v33100L18getri_kernel_smallILi39E19rocblas_complex_numIdEPKPS3_EEvT1_iilPiilS8_bb.uses_flat_scratch, 0
	.set _ZN9rocsolver6v33100L18getri_kernel_smallILi39E19rocblas_complex_numIdEPKPS3_EEvT1_iilPiilS8_bb.has_dyn_sized_stack, 0
	.set _ZN9rocsolver6v33100L18getri_kernel_smallILi39E19rocblas_complex_numIdEPKPS3_EEvT1_iilPiilS8_bb.has_recursion, 0
	.set _ZN9rocsolver6v33100L18getri_kernel_smallILi39E19rocblas_complex_numIdEPKPS3_EEvT1_iilPiilS8_bb.has_indirect_call, 0
	.section	.AMDGPU.csdata,"",@progbits
; Kernel info:
; codeLenInByte = 109172
; TotalNumSgprs: 71
; NumVgprs: 173
; ScratchSize: 656
; MemoryBound: 0
; FloatMode: 240
; IeeeMode: 1
; LDSByteSize: 1256 bytes/workgroup (compile time only)
; SGPRBlocks: 0
; VGPRBlocks: 21
; NumSGPRsForWavesPerEU: 71
; NumVGPRsForWavesPerEU: 173
; Occupancy: 5
; WaveLimiterHint : 1
; COMPUTE_PGM_RSRC2:SCRATCH_EN: 1
; COMPUTE_PGM_RSRC2:USER_SGPR: 6
; COMPUTE_PGM_RSRC2:TRAP_HANDLER: 0
; COMPUTE_PGM_RSRC2:TGID_X_EN: 1
; COMPUTE_PGM_RSRC2:TGID_Y_EN: 0
; COMPUTE_PGM_RSRC2:TGID_Z_EN: 0
; COMPUTE_PGM_RSRC2:TIDIG_COMP_CNT: 0
	.section	.text._ZN9rocsolver6v33100L18getri_kernel_smallILi40E19rocblas_complex_numIdEPKPS3_EEvT1_iilPiilS8_bb,"axG",@progbits,_ZN9rocsolver6v33100L18getri_kernel_smallILi40E19rocblas_complex_numIdEPKPS3_EEvT1_iilPiilS8_bb,comdat
	.globl	_ZN9rocsolver6v33100L18getri_kernel_smallILi40E19rocblas_complex_numIdEPKPS3_EEvT1_iilPiilS8_bb ; -- Begin function _ZN9rocsolver6v33100L18getri_kernel_smallILi40E19rocblas_complex_numIdEPKPS3_EEvT1_iilPiilS8_bb
	.p2align	8
	.type	_ZN9rocsolver6v33100L18getri_kernel_smallILi40E19rocblas_complex_numIdEPKPS3_EEvT1_iilPiilS8_bb,@function
_ZN9rocsolver6v33100L18getri_kernel_smallILi40E19rocblas_complex_numIdEPKPS3_EEvT1_iilPiilS8_bb: ; @_ZN9rocsolver6v33100L18getri_kernel_smallILi40E19rocblas_complex_numIdEPKPS3_EEvT1_iilPiilS8_bb
; %bb.0:
	s_add_u32 s0, s0, s7
	s_addc_u32 s1, s1, 0
	s_mov_b32 s7, exec_lo
	v_cmpx_gt_u32_e32 40, v0
	s_cbranch_execz .LBB103_174
; %bb.1:
	s_clause 0x2
	s_load_dword s16, s[4:5], 0x38
	s_load_dwordx2 s[12:13], s[4:5], 0x0
	s_load_dwordx4 s[8:11], s[4:5], 0x28
	s_waitcnt lgkmcnt(0)
	s_bitcmp1_b32 s16, 8
	s_cselect_b32 s52, -1, 0
	s_ashr_i32 s7, s6, 31
	s_lshl_b64 s[14:15], s[6:7], 3
	s_add_u32 s12, s12, s14
	s_addc_u32 s13, s13, s15
	s_load_dwordx2 s[14:15], s[12:13], 0x0
	s_bfe_u32 s12, s16, 0x10008
	s_cmp_eq_u32 s12, 0
                                        ; implicit-def: $sgpr12_sgpr13
	s_cbranch_scc1 .LBB103_3
; %bb.2:
	s_clause 0x1
	s_load_dword s12, s[4:5], 0x20
	s_load_dwordx2 s[16:17], s[4:5], 0x18
	s_mul_i32 s13, s8, s7
	s_mul_hi_u32 s18, s8, s6
	s_mul_i32 s9, s9, s6
	s_add_i32 s13, s18, s13
	s_mul_i32 s8, s8, s6
	s_add_i32 s9, s13, s9
	s_lshl_b64 s[8:9], s[8:9], 2
	s_waitcnt lgkmcnt(0)
	s_ashr_i32 s13, s12, 31
	s_add_u32 s16, s16, s8
	s_addc_u32 s17, s17, s9
	s_lshl_b64 s[8:9], s[12:13], 2
	s_add_u32 s12, s16, s8
	s_addc_u32 s13, s17, s9
.LBB103_3:
	s_clause 0x1
	s_load_dwordx2 s[8:9], s[4:5], 0x8
	s_load_dword s53, s[4:5], 0x38
	v_lshlrev_b32_e32 v91, 4, v0
	s_movk_i32 s16, 0xa0
	s_movk_i32 s17, 0xb0
	;; [unrolled: 1-line block ×17, first 2 shown]
	s_waitcnt lgkmcnt(0)
	s_ashr_i32 s5, s8, 31
	s_mov_b32 s4, s8
	v_add3_u32 v7, s9, s9, v0
	s_lshl_b64 s[4:5], s[4:5], 4
	s_movk_i32 s58, 0x1b0
	s_add_u32 s8, s14, s4
	s_addc_u32 s14, s15, s5
	v_add_co_u32 v5, s4, s8, v91
	v_add_co_ci_u32_e64 v6, null, s14, 0, s4
	s_mov_b32 s4, s9
	s_ashr_i32 s5, s9, 31
	v_ashrrev_i32_e32 v8, 31, v7
	flat_load_dwordx4 v[1:4], v[5:6]
	s_lshl_b64 s[4:5], s[4:5], 4
	s_movk_i32 s15, 0x90
	v_add_co_u32 v59, vcc_lo, v5, s4
	v_add_co_ci_u32_e64 v60, null, s5, v6, vcc_lo
	v_lshlrev_b64 v[8:9], 4, v[7:8]
	v_add_nc_u32_e32 v7, s9, v7
	s_movk_i32 s4, 0x50
	s_movk_i32 s59, 0x1c0
	;; [unrolled: 1-line block ×4, first 2 shown]
	v_add_co_u32 v57, vcc_lo, s8, v8
	v_add_co_ci_u32_e64 v58, null, s14, v9, vcc_lo
	v_ashrrev_i32_e32 v8, 31, v7
	s_movk_i32 s62, 0x1f0
	s_movk_i32 s63, 0x200
	;; [unrolled: 1-line block ×4, first 2 shown]
	v_lshlrev_b64 v[8:9], 4, v[7:8]
	v_add_nc_u32_e32 v7, s9, v7
	s_movk_i32 s66, 0x230
	s_movk_i32 s67, 0x240
	;; [unrolled: 1-line block ×4, first 2 shown]
	v_add_co_u32 v53, vcc_lo, s8, v8
	v_add_co_ci_u32_e64 v54, null, s14, v9, vcc_lo
	v_ashrrev_i32_e32 v8, 31, v7
	s_movk_i32 s70, 0x270
	s_add_i32 s47, s4, 16
	s_add_i32 s43, s15, 16
	s_add_i32 s42, s16, 16
	v_lshlrev_b64 v[8:9], 4, v[7:8]
	v_add_nc_u32_e32 v7, s9, v7
	s_add_i32 s41, s17, 16
	s_add_i32 s40, s18, 16
	s_add_i32 s39, s19, 16
	s_add_i32 s38, s20, 16
	v_add_co_u32 v51, vcc_lo, s8, v8
	v_add_co_ci_u32_e64 v52, null, s14, v9, vcc_lo
	v_ashrrev_i32_e32 v8, 31, v7
	s_add_i32 s37, s21, 16
	s_add_i32 s36, s22, 16
	s_add_i32 s35, s23, 16
	s_add_i32 s34, s24, 16
	v_lshlrev_b64 v[8:9], 4, v[7:8]
	v_add_nc_u32_e32 v7, s9, v7
	s_add_i32 s33, s25, 16
	s_add_i32 s31, s26, 16
	s_add_i32 s30, s27, 16
	s_add_i32 s29, s28, 16
	v_add_co_u32 v49, vcc_lo, s8, v8
	v_add_co_ci_u32_e64 v50, null, s14, v9, vcc_lo
	v_ashrrev_i32_e32 v8, 31, v7
	s_add_i32 s28, s54, 16
	;; [unrolled: 13-line block ×3, first 2 shown]
	s_add_i32 s19, s63, 16
	s_add_i32 s18, s64, 16
	;; [unrolled: 1-line block ×3, first 2 shown]
	v_lshlrev_b64 v[8:9], 4, v[7:8]
	v_add_nc_u32_e32 v7, s9, v7
	s_add_i32 s16, s66, 16
	s_add_i32 s15, s67, 16
	s_mov_b32 s5, -1
	s_mov_b32 s51, 32
	v_add_co_u32 v45, vcc_lo, s8, v8
	v_add_co_ci_u32_e64 v46, null, s14, v9, vcc_lo
	v_ashrrev_i32_e32 v8, 31, v7
	s_mov_b32 s50, 48
	s_mov_b32 s49, 64
	s_movk_i32 s48, 0x50
	s_waitcnt vmcnt(0) lgkmcnt(0)
	buffer_store_dword v4, off, s[0:3], 0 offset:28
	buffer_store_dword v3, off, s[0:3], 0 offset:24
	buffer_store_dword v2, off, s[0:3], 0 offset:20
	buffer_store_dword v1, off, s[0:3], 0 offset:16
	flat_load_dwordx4 v[1:4], v[59:60]
	v_lshlrev_b64 v[8:9], 4, v[7:8]
	v_add_nc_u32_e32 v7, s9, v7
	s_waitcnt vmcnt(0) lgkmcnt(0)
	buffer_store_dword v4, off, s[0:3], 0 offset:44
	buffer_store_dword v3, off, s[0:3], 0 offset:40
	buffer_store_dword v2, off, s[0:3], 0 offset:36
	buffer_store_dword v1, off, s[0:3], 0 offset:32
	flat_load_dwordx4 v[1:4], v[57:58]
	v_add_co_u32 v43, vcc_lo, s8, v8
	v_add_co_ci_u32_e64 v44, null, s14, v9, vcc_lo
	v_ashrrev_i32_e32 v8, 31, v7
	s_waitcnt vmcnt(0) lgkmcnt(0)
	buffer_store_dword v4, off, s[0:3], 0 offset:60
	buffer_store_dword v3, off, s[0:3], 0 offset:56
	buffer_store_dword v2, off, s[0:3], 0 offset:52
	buffer_store_dword v1, off, s[0:3], 0 offset:48
	flat_load_dwordx4 v[1:4], v[53:54]
	v_lshlrev_b64 v[8:9], 4, v[7:8]
	v_add_nc_u32_e32 v7, s9, v7
	s_waitcnt vmcnt(0) lgkmcnt(0)
	buffer_store_dword v4, off, s[0:3], 0 offset:76
	buffer_store_dword v3, off, s[0:3], 0 offset:72
	buffer_store_dword v2, off, s[0:3], 0 offset:68
	buffer_store_dword v1, off, s[0:3], 0 offset:64
	flat_load_dwordx4 v[1:4], v[51:52]
	v_add_co_u32 v41, vcc_lo, s8, v8
	v_add_co_ci_u32_e64 v42, null, s14, v9, vcc_lo
	v_ashrrev_i32_e32 v8, 31, v7
	;; [unrolled: 17-line block ×6, first 2 shown]
	s_waitcnt vmcnt(0) lgkmcnt(0)
	buffer_store_dword v4, off, s[0:3], 0 offset:220
	buffer_store_dword v3, off, s[0:3], 0 offset:216
	buffer_store_dword v2, off, s[0:3], 0 offset:212
	buffer_store_dword v1, off, s[0:3], 0 offset:208
	flat_load_dwordx4 v[1:4], v[31:32]
	v_lshlrev_b64 v[8:9], 4, v[7:8]
	v_add_nc_u32_e32 v7, s9, v7
	s_waitcnt vmcnt(0) lgkmcnt(0)
	buffer_store_dword v4, off, s[0:3], 0 offset:236
	buffer_store_dword v3, off, s[0:3], 0 offset:232
	;; [unrolled: 1-line block ×4, first 2 shown]
	v_add_co_u32 v29, vcc_lo, s8, v8
	v_add_co_ci_u32_e64 v30, null, s14, v9, vcc_lo
	v_ashrrev_i32_e32 v8, 31, v7
	flat_load_dwordx4 v[1:4], v[29:30]
	s_waitcnt vmcnt(0) lgkmcnt(0)
	buffer_store_dword v4, off, s[0:3], 0 offset:252
	buffer_store_dword v3, off, s[0:3], 0 offset:248
	buffer_store_dword v2, off, s[0:3], 0 offset:244
	buffer_store_dword v1, off, s[0:3], 0 offset:240
	v_lshlrev_b64 v[8:9], 4, v[7:8]
	v_add_nc_u32_e32 v7, s9, v7
	v_add_co_u32 v27, vcc_lo, s8, v8
	v_add_co_ci_u32_e64 v28, null, s14, v9, vcc_lo
	v_ashrrev_i32_e32 v8, 31, v7
	flat_load_dwordx4 v[1:4], v[27:28]
	s_waitcnt vmcnt(0) lgkmcnt(0)
	buffer_store_dword v4, off, s[0:3], 0 offset:268
	buffer_store_dword v3, off, s[0:3], 0 offset:264
	buffer_store_dword v2, off, s[0:3], 0 offset:260
	buffer_store_dword v1, off, s[0:3], 0 offset:256
	v_lshlrev_b64 v[8:9], 4, v[7:8]
	v_add_nc_u32_e32 v7, s9, v7
	;; [unrolled: 11-line block ×9, first 2 shown]
	v_add_co_u32 v11, vcc_lo, s8, v8
	v_add_co_ci_u32_e64 v12, null, s14, v9, vcc_lo
	v_ashrrev_i32_e32 v8, 31, v7
	v_add_nc_u32_e32 v35, s9, v7
	flat_load_dwordx4 v[1:4], v[11:12]
	s_waitcnt vmcnt(0) lgkmcnt(0)
	buffer_store_dword v4, off, s[0:3], 0 offset:396
	buffer_store_dword v3, off, s[0:3], 0 offset:392
	;; [unrolled: 1-line block ×4, first 2 shown]
	v_lshlrev_b64 v[9:10], 4, v[7:8]
	v_ashrrev_i32_e32 v36, 31, v35
	v_add_nc_u32_e32 v55, s9, v35
	v_add_co_u32 v9, vcc_lo, s8, v9
	v_add_co_ci_u32_e64 v10, null, s14, v10, vcc_lo
	v_lshlrev_b64 v[7:8], 4, v[35:36]
	v_ashrrev_i32_e32 v56, 31, v55
	v_add_nc_u32_e32 v61, s9, v55
	flat_load_dwordx4 v[1:4], v[9:10]
	s_waitcnt vmcnt(0) lgkmcnt(0)
	buffer_store_dword v4, off, s[0:3], 0 offset:412
	buffer_store_dword v3, off, s[0:3], 0 offset:408
	buffer_store_dword v2, off, s[0:3], 0 offset:404
	buffer_store_dword v1, off, s[0:3], 0 offset:400
	v_add_co_u32 v7, vcc_lo, s8, v7
	v_add_co_ci_u32_e64 v8, null, s14, v8, vcc_lo
	v_lshlrev_b64 v[35:36], 4, v[55:56]
	v_ashrrev_i32_e32 v62, 31, v61
	v_add_nc_u32_e32 v63, s9, v61
	flat_load_dwordx4 v[1:4], v[7:8]
	s_waitcnt vmcnt(0) lgkmcnt(0)
	buffer_store_dword v4, off, s[0:3], 0 offset:428
	buffer_store_dword v3, off, s[0:3], 0 offset:424
	buffer_store_dword v2, off, s[0:3], 0 offset:420
	buffer_store_dword v1, off, s[0:3], 0 offset:416
	;; [unrolled: 11-line block ×12, first 2 shown]
	v_add_co_u32 v77, vcc_lo, s8, v77
	v_add_co_ci_u32_e64 v78, null, s14, v78, vcc_lo
	v_lshlrev_b64 v[79:80], 4, v[81:82]
	v_ashrrev_i32_e32 v84, 31, v83
	flat_load_dwordx4 v[1:4], v[77:78]
	s_waitcnt vmcnt(0) lgkmcnt(0)
	buffer_store_dword v4, off, s[0:3], 0 offset:604
	buffer_store_dword v3, off, s[0:3], 0 offset:600
	buffer_store_dword v2, off, s[0:3], 0 offset:596
	buffer_store_dword v1, off, s[0:3], 0 offset:592
	v_add_co_u32 v79, vcc_lo, s8, v79
	v_add_co_ci_u32_e64 v80, null, s14, v80, vcc_lo
	v_lshlrev_b64 v[81:82], 4, v[83:84]
	v_add_nc_u32_e32 v83, s9, v83
	s_movk_i32 s9, 0x70
	flat_load_dwordx4 v[1:4], v[79:80]
	s_add_i32 s45, s9, 16
	s_add_i32 s9, s69, 16
	v_add_co_u32 v81, vcc_lo, s8, v81
	v_add_co_ci_u32_e64 v82, null, s14, v82, vcc_lo
	v_ashrrev_i32_e32 v84, 31, v83
	s_waitcnt vmcnt(0) lgkmcnt(0)
	buffer_store_dword v4, off, s[0:3], 0 offset:620
	buffer_store_dword v3, off, s[0:3], 0 offset:616
	;; [unrolled: 1-line block ×4, first 2 shown]
	flat_load_dwordx4 v[1:4], v[81:82]
	v_lshlrev_b64 v[83:84], 4, v[83:84]
	s_waitcnt vmcnt(0) lgkmcnt(0)
	buffer_store_dword v4, off, s[0:3], 0 offset:636
	buffer_store_dword v3, off, s[0:3], 0 offset:632
	;; [unrolled: 1-line block ×4, first 2 shown]
	v_add_co_u32 v83, vcc_lo, s8, v83
	v_add_co_ci_u32_e64 v84, null, s14, v84, vcc_lo
	s_movk_i32 s8, 0x60
	s_movk_i32 s14, 0x80
	s_add_i32 s46, s8, 16
	flat_load_dwordx4 v[1:4], v[83:84]
	s_add_i32 s44, s14, 16
	s_add_i32 s14, s68, 16
	s_add_i32 s8, s70, 16
	s_bitcmp0_b32 s53, 0
	s_waitcnt vmcnt(0) lgkmcnt(0)
	buffer_store_dword v4, off, s[0:3], 0 offset:652
	buffer_store_dword v3, off, s[0:3], 0 offset:648
	;; [unrolled: 1-line block ×4, first 2 shown]
	s_cbranch_scc1 .LBB103_172
; %bb.4:
	v_cmp_eq_u32_e64 s4, 0, v0
	s_and_saveexec_b32 s5, s4
; %bb.5:
	v_mov_b32_e32 v1, 0
	ds_write_b32 v1, v1 offset:1280
; %bb.6:
	s_or_b32 exec_lo, exec_lo, s5
	v_lshl_add_u32 v92, v0, 4, 16
	s_waitcnt lgkmcnt(0)
	s_waitcnt_vscnt null, 0x0
	s_barrier
	buffer_gl0_inv
	s_clause 0x3
	buffer_load_dword v1, v92, s[0:3], 0 offen
	buffer_load_dword v2, v92, s[0:3], 0 offen offset:4
	buffer_load_dword v3, v92, s[0:3], 0 offen offset:8
	;; [unrolled: 1-line block ×3, first 2 shown]
	s_waitcnt vmcnt(2)
	v_cmp_eq_f64_e32 vcc_lo, 0, v[1:2]
	s_waitcnt vmcnt(0)
	v_cmp_eq_f64_e64 s5, 0, v[3:4]
	s_and_b32 s5, vcc_lo, s5
	s_and_saveexec_b32 s53, s5
	s_cbranch_execz .LBB103_10
; %bb.7:
	v_mov_b32_e32 v1, 0
	s_mov_b32 s54, 0
	ds_read_b32 v2, v1 offset:1280
	s_waitcnt lgkmcnt(0)
	v_readfirstlane_b32 s5, v2
	v_add_nc_u32_e32 v2, 1, v0
	s_cmp_eq_u32 s5, 0
	v_cmp_gt_i32_e32 vcc_lo, s5, v2
	s_cselect_b32 s55, -1, 0
	s_or_b32 s55, s55, vcc_lo
	s_and_b32 exec_lo, exec_lo, s55
	s_cbranch_execz .LBB103_10
; %bb.8:
	v_mov_b32_e32 v3, s5
.LBB103_9:                              ; =>This Inner Loop Header: Depth=1
	ds_cmpst_rtn_b32 v3, v1, v3, v2 offset:1280
	s_waitcnt lgkmcnt(0)
	v_cmp_ne_u32_e32 vcc_lo, 0, v3
	v_cmp_le_i32_e64 s5, v3, v2
	s_and_b32 s5, vcc_lo, s5
	s_and_b32 s5, exec_lo, s5
	s_or_b32 s54, s5, s54
	s_andn2_b32 exec_lo, exec_lo, s54
	s_cbranch_execnz .LBB103_9
.LBB103_10:
	s_or_b32 exec_lo, exec_lo, s53
	v_mov_b32_e32 v1, 0
	s_barrier
	buffer_gl0_inv
	ds_read_b32 v2, v1 offset:1280
	s_and_saveexec_b32 s5, s4
	s_cbranch_execz .LBB103_12
; %bb.11:
	s_lshl_b64 s[54:55], s[6:7], 2
	s_add_u32 s54, s10, s54
	s_addc_u32 s55, s11, s55
	s_waitcnt lgkmcnt(0)
	global_store_dword v1, v2, s[54:55]
.LBB103_12:
	s_or_b32 exec_lo, exec_lo, s5
	s_waitcnt lgkmcnt(0)
	v_cmp_ne_u32_e32 vcc_lo, 0, v2
	s_mov_b32 s5, 0
	s_cbranch_vccnz .LBB103_172
; %bb.13:
	s_clause 0x3
	buffer_load_dword v87, v92, s[0:3], 0 offen
	buffer_load_dword v88, v92, s[0:3], 0 offen offset:4
	buffer_load_dword v89, v92, s[0:3], 0 offen offset:8
	;; [unrolled: 1-line block ×3, first 2 shown]
                                        ; implicit-def: $vgpr85_vgpr86
                                        ; implicit-def: $vgpr3_vgpr4
	s_waitcnt vmcnt(0)
	v_cmp_ngt_f64_e64 s5, |v[87:88]|, |v[89:90]|
	s_and_saveexec_b32 s53, s5
	s_xor_b32 s5, exec_lo, s53
	s_cbranch_execz .LBB103_15
; %bb.14:
	v_div_scale_f64 v[1:2], null, v[89:90], v[89:90], v[87:88]
	v_div_scale_f64 v[93:94], vcc_lo, v[87:88], v[89:90], v[87:88]
	v_rcp_f64_e32 v[3:4], v[1:2]
	v_fma_f64 v[85:86], -v[1:2], v[3:4], 1.0
	v_fma_f64 v[3:4], v[3:4], v[85:86], v[3:4]
	v_fma_f64 v[85:86], -v[1:2], v[3:4], 1.0
	v_fma_f64 v[3:4], v[3:4], v[85:86], v[3:4]
	v_mul_f64 v[85:86], v[93:94], v[3:4]
	v_fma_f64 v[1:2], -v[1:2], v[85:86], v[93:94]
	v_div_fmas_f64 v[1:2], v[1:2], v[3:4], v[85:86]
	v_div_fixup_f64 v[1:2], v[1:2], v[89:90], v[87:88]
	v_fma_f64 v[3:4], v[87:88], v[1:2], v[89:90]
	v_div_scale_f64 v[85:86], null, v[3:4], v[3:4], 1.0
	v_div_scale_f64 v[93:94], vcc_lo, 1.0, v[3:4], 1.0
	v_rcp_f64_e32 v[87:88], v[85:86]
	v_fma_f64 v[89:90], -v[85:86], v[87:88], 1.0
	v_fma_f64 v[87:88], v[87:88], v[89:90], v[87:88]
	v_fma_f64 v[89:90], -v[85:86], v[87:88], 1.0
	v_fma_f64 v[87:88], v[87:88], v[89:90], v[87:88]
	v_mul_f64 v[89:90], v[93:94], v[87:88]
	v_fma_f64 v[85:86], -v[85:86], v[89:90], v[93:94]
	v_div_fmas_f64 v[85:86], v[85:86], v[87:88], v[89:90]
                                        ; implicit-def: $vgpr87_vgpr88
                                        ; implicit-def: $vgpr89_vgpr90
	v_div_fixup_f64 v[3:4], v[85:86], v[3:4], 1.0
	v_mul_f64 v[85:86], v[1:2], v[3:4]
	v_xor_b32_e32 v4, 0x80000000, v4
	v_xor_b32_e32 v2, 0x80000000, v86
	v_mov_b32_e32 v1, v85
.LBB103_15:
	s_andn2_saveexec_b32 s5, s5
	s_cbranch_execz .LBB103_17
; %bb.16:
	v_div_scale_f64 v[1:2], null, v[87:88], v[87:88], v[89:90]
	v_div_scale_f64 v[93:94], vcc_lo, v[89:90], v[87:88], v[89:90]
	v_rcp_f64_e32 v[3:4], v[1:2]
	v_fma_f64 v[85:86], -v[1:2], v[3:4], 1.0
	v_fma_f64 v[3:4], v[3:4], v[85:86], v[3:4]
	v_fma_f64 v[85:86], -v[1:2], v[3:4], 1.0
	v_fma_f64 v[3:4], v[3:4], v[85:86], v[3:4]
	v_mul_f64 v[85:86], v[93:94], v[3:4]
	v_fma_f64 v[1:2], -v[1:2], v[85:86], v[93:94]
	v_div_fmas_f64 v[1:2], v[1:2], v[3:4], v[85:86]
	v_div_fixup_f64 v[1:2], v[1:2], v[87:88], v[89:90]
	v_fma_f64 v[3:4], v[89:90], v[1:2], v[87:88]
	v_div_scale_f64 v[85:86], null, v[3:4], v[3:4], 1.0
	v_rcp_f64_e32 v[87:88], v[85:86]
	v_fma_f64 v[89:90], -v[85:86], v[87:88], 1.0
	v_fma_f64 v[87:88], v[87:88], v[89:90], v[87:88]
	v_fma_f64 v[89:90], -v[85:86], v[87:88], 1.0
	v_fma_f64 v[87:88], v[87:88], v[89:90], v[87:88]
	v_div_scale_f64 v[89:90], vcc_lo, 1.0, v[3:4], 1.0
	v_mul_f64 v[93:94], v[89:90], v[87:88]
	v_fma_f64 v[85:86], -v[85:86], v[93:94], v[89:90]
	v_div_fmas_f64 v[85:86], v[85:86], v[87:88], v[93:94]
	v_div_fixup_f64 v[85:86], v[85:86], v[3:4], 1.0
	v_mul_f64 v[3:4], v[1:2], -v[85:86]
	v_xor_b32_e32 v2, 0x80000000, v86
	v_mov_b32_e32 v1, v85
.LBB103_17:
	s_or_b32 exec_lo, exec_lo, s5
	v_mov_b32_e32 v90, s51
	buffer_store_dword v86, v92, s[0:3], 0 offen offset:4
	buffer_store_dword v85, v92, s[0:3], 0 offen
	buffer_store_dword v4, v92, s[0:3], 0 offen offset:12
	buffer_store_dword v3, v92, s[0:3], 0 offen offset:8
	v_xor_b32_e32 v4, 0x80000000, v4
	v_add_nc_u32_e32 v85, 0x280, v91
	s_clause 0x3
	buffer_load_dword v89, v90, s[0:3], 0 offen offset:12
	buffer_load_dword v88, v90, s[0:3], 0 offen offset:8
	;; [unrolled: 1-line block ×3, first 2 shown]
	buffer_load_dword v86, v90, s[0:3], 0 offen
	ds_write_b128 v91, v[1:4]
	s_waitcnt vmcnt(0)
	ds_write_b128 v91, v[86:89] offset:640
	s_waitcnt lgkmcnt(0)
	s_waitcnt_vscnt null, 0x0
	s_barrier
	buffer_gl0_inv
	s_and_saveexec_b32 s5, s4
	s_cbranch_execz .LBB103_19
; %bb.18:
	s_clause 0x3
	buffer_load_dword v93, v92, s[0:3], 0 offen offset:8
	buffer_load_dword v94, v92, s[0:3], 0 offen offset:12
	buffer_load_dword v95, v92, s[0:3], 0 offen
	buffer_load_dword v96, v92, s[0:3], 0 offen offset:4
	ds_read_b128 v[1:4], v85
	v_mov_b32_e32 v86, 0
	ds_read_b128 v[86:89], v86 offset:16
	s_waitcnt vmcnt(2) lgkmcnt(1)
	v_mul_f64 v[97:98], v[1:2], v[93:94]
	v_mul_f64 v[93:94], v[3:4], v[93:94]
	s_waitcnt vmcnt(0)
	v_fma_f64 v[3:4], v[3:4], v[95:96], v[97:98]
	v_fma_f64 v[1:2], v[1:2], v[95:96], -v[93:94]
	v_add_f64 v[3:4], v[3:4], 0
	v_add_f64 v[1:2], v[1:2], 0
	s_waitcnt lgkmcnt(0)
	v_mul_f64 v[93:94], v[3:4], v[88:89]
	v_mul_f64 v[88:89], v[1:2], v[88:89]
	v_fma_f64 v[1:2], v[1:2], v[86:87], -v[93:94]
	v_fma_f64 v[3:4], v[3:4], v[86:87], v[88:89]
	buffer_store_dword v1, off, s[0:3], 0 offset:32
	buffer_store_dword v2, off, s[0:3], 0 offset:36
	buffer_store_dword v3, off, s[0:3], 0 offset:40
	buffer_store_dword v4, off, s[0:3], 0 offset:44
.LBB103_19:
	s_or_b32 exec_lo, exec_lo, s5
	v_mov_b32_e32 v4, s50
	s_waitcnt_vscnt null, 0x0
	s_barrier
	buffer_gl0_inv
	s_mov_b32 s5, exec_lo
	s_clause 0x3
	buffer_load_dword v1, v4, s[0:3], 0 offen
	buffer_load_dword v2, v4, s[0:3], 0 offen offset:4
	buffer_load_dword v3, v4, s[0:3], 0 offen offset:8
	;; [unrolled: 1-line block ×3, first 2 shown]
	s_waitcnt vmcnt(0)
	ds_write_b128 v85, v[1:4]
	s_waitcnt lgkmcnt(0)
	s_barrier
	buffer_gl0_inv
	v_cmpx_gt_u32_e32 2, v0
	s_cbranch_execz .LBB103_23
; %bb.20:
	s_clause 0x3
	buffer_load_dword v86, v92, s[0:3], 0 offen offset:8
	buffer_load_dword v87, v92, s[0:3], 0 offen offset:12
	buffer_load_dword v88, v92, s[0:3], 0 offen
	buffer_load_dword v89, v92, s[0:3], 0 offen offset:4
	ds_read_b128 v[1:4], v85
	s_waitcnt vmcnt(2) lgkmcnt(0)
	v_mul_f64 v[92:93], v[3:4], v[86:87]
	v_mul_f64 v[86:87], v[1:2], v[86:87]
	s_waitcnt vmcnt(0)
	v_fma_f64 v[1:2], v[1:2], v[88:89], -v[92:93]
	v_fma_f64 v[3:4], v[3:4], v[88:89], v[86:87]
	v_add_f64 v[1:2], v[1:2], 0
	v_add_f64 v[3:4], v[3:4], 0
	s_and_saveexec_b32 s53, s4
	s_cbranch_execz .LBB103_22
; %bb.21:
	s_clause 0x3
	buffer_load_dword v92, off, s[0:3], 0 offset:40
	buffer_load_dword v93, off, s[0:3], 0 offset:44
	;; [unrolled: 1-line block ×4, first 2 shown]
	v_mov_b32_e32 v86, 0
	ds_read_b128 v[86:89], v86 offset:656
	s_waitcnt vmcnt(2) lgkmcnt(0)
	v_mul_f64 v[96:97], v[86:87], v[92:93]
	v_mul_f64 v[92:93], v[88:89], v[92:93]
	s_waitcnt vmcnt(0)
	v_fma_f64 v[88:89], v[88:89], v[94:95], v[96:97]
	v_fma_f64 v[86:87], v[86:87], v[94:95], -v[92:93]
	v_add_f64 v[3:4], v[3:4], v[88:89]
	v_add_f64 v[1:2], v[1:2], v[86:87]
.LBB103_22:
	s_or_b32 exec_lo, exec_lo, s53
	v_mov_b32_e32 v86, 0
	ds_read_b128 v[86:89], v86 offset:32
	s_waitcnt lgkmcnt(0)
	v_mul_f64 v[92:93], v[3:4], v[88:89]
	v_mul_f64 v[88:89], v[1:2], v[88:89]
	v_fma_f64 v[1:2], v[1:2], v[86:87], -v[92:93]
	v_fma_f64 v[3:4], v[3:4], v[86:87], v[88:89]
	buffer_store_dword v2, off, s[0:3], 0 offset:52
	buffer_store_dword v1, off, s[0:3], 0 offset:48
	;; [unrolled: 1-line block ×4, first 2 shown]
.LBB103_23:
	s_or_b32 exec_lo, exec_lo, s5
	v_mov_b32_e32 v4, s49
	s_waitcnt_vscnt null, 0x0
	s_barrier
	buffer_gl0_inv
	v_add_nc_u32_e32 v86, -1, v0
	s_clause 0x3
	buffer_load_dword v1, v4, s[0:3], 0 offen
	buffer_load_dword v2, v4, s[0:3], 0 offen offset:4
	buffer_load_dword v3, v4, s[0:3], 0 offen offset:8
	buffer_load_dword v4, v4, s[0:3], 0 offen offset:12
	s_mov_b32 s4, exec_lo
	s_waitcnt vmcnt(0)
	ds_write_b128 v85, v[1:4]
	s_waitcnt lgkmcnt(0)
	s_barrier
	buffer_gl0_inv
	v_cmpx_gt_u32_e32 3, v0
	s_cbranch_execz .LBB103_27
; %bb.24:
	v_mov_b32_e32 v1, 0
	v_mov_b32_e32 v3, 0
	v_add_nc_u32_e32 v87, -1, v0
	v_add_nc_u32_e32 v88, 0x280, v91
	v_mov_b32_e32 v2, 0
	v_mov_b32_e32 v4, 0
	v_add_nc_u32_e32 v89, 16, v91
	s_mov_b32 s5, 0
	.p2align	6
.LBB103_25:                             ; =>This Inner Loop Header: Depth=1
	s_clause 0x3
	buffer_load_dword v96, v89, s[0:3], 0 offen offset:8
	buffer_load_dword v97, v89, s[0:3], 0 offen offset:12
	buffer_load_dword v98, v89, s[0:3], 0 offen
	buffer_load_dword v99, v89, s[0:3], 0 offen offset:4
	ds_read_b128 v[92:95], v88
	v_add_nc_u32_e32 v87, 1, v87
	v_add_nc_u32_e32 v88, 16, v88
	;; [unrolled: 1-line block ×3, first 2 shown]
	v_cmp_lt_u32_e32 vcc_lo, 1, v87
	s_or_b32 s5, vcc_lo, s5
	s_waitcnt vmcnt(2) lgkmcnt(0)
	v_mul_f64 v[100:101], v[94:95], v[96:97]
	v_mul_f64 v[96:97], v[92:93], v[96:97]
	s_waitcnt vmcnt(0)
	v_fma_f64 v[92:93], v[92:93], v[98:99], -v[100:101]
	v_fma_f64 v[94:95], v[94:95], v[98:99], v[96:97]
	v_add_f64 v[3:4], v[3:4], v[92:93]
	v_add_f64 v[1:2], v[1:2], v[94:95]
	s_andn2_b32 exec_lo, exec_lo, s5
	s_cbranch_execnz .LBB103_25
; %bb.26:
	s_or_b32 exec_lo, exec_lo, s5
	v_mov_b32_e32 v87, 0
	ds_read_b128 v[87:90], v87 offset:48
	s_waitcnt lgkmcnt(0)
	v_mul_f64 v[92:93], v[1:2], v[89:90]
	v_mul_f64 v[89:90], v[3:4], v[89:90]
	v_fma_f64 v[3:4], v[3:4], v[87:88], -v[92:93]
	v_fma_f64 v[1:2], v[1:2], v[87:88], v[89:90]
	buffer_store_dword v4, off, s[0:3], 0 offset:68
	buffer_store_dword v3, off, s[0:3], 0 offset:64
	;; [unrolled: 1-line block ×4, first 2 shown]
.LBB103_27:
	s_or_b32 exec_lo, exec_lo, s4
	v_mov_b32_e32 v4, s48
	s_waitcnt_vscnt null, 0x0
	s_barrier
	buffer_gl0_inv
	s_mov_b32 s4, exec_lo
	s_clause 0x3
	buffer_load_dword v1, v4, s[0:3], 0 offen
	buffer_load_dword v2, v4, s[0:3], 0 offen offset:4
	buffer_load_dword v3, v4, s[0:3], 0 offen offset:8
	;; [unrolled: 1-line block ×3, first 2 shown]
	s_waitcnt vmcnt(0)
	ds_write_b128 v85, v[1:4]
	s_waitcnt lgkmcnt(0)
	s_barrier
	buffer_gl0_inv
	v_cmpx_gt_u32_e32 4, v0
	s_cbranch_execz .LBB103_31
; %bb.28:
	v_mov_b32_e32 v1, 0
	v_mov_b32_e32 v3, 0
	v_add_nc_u32_e32 v87, -1, v0
	v_add_nc_u32_e32 v88, 0x280, v91
	v_mov_b32_e32 v2, 0
	v_mov_b32_e32 v4, 0
	v_add_nc_u32_e32 v89, 16, v91
	s_mov_b32 s5, 0
	.p2align	6
.LBB103_29:                             ; =>This Inner Loop Header: Depth=1
	s_clause 0x3
	buffer_load_dword v96, v89, s[0:3], 0 offen offset:8
	buffer_load_dword v97, v89, s[0:3], 0 offen offset:12
	buffer_load_dword v98, v89, s[0:3], 0 offen
	buffer_load_dword v99, v89, s[0:3], 0 offen offset:4
	ds_read_b128 v[92:95], v88
	v_add_nc_u32_e32 v87, 1, v87
	v_add_nc_u32_e32 v88, 16, v88
	;; [unrolled: 1-line block ×3, first 2 shown]
	v_cmp_lt_u32_e32 vcc_lo, 2, v87
	s_or_b32 s5, vcc_lo, s5
	s_waitcnt vmcnt(2) lgkmcnt(0)
	v_mul_f64 v[100:101], v[94:95], v[96:97]
	v_mul_f64 v[96:97], v[92:93], v[96:97]
	s_waitcnt vmcnt(0)
	v_fma_f64 v[92:93], v[92:93], v[98:99], -v[100:101]
	v_fma_f64 v[94:95], v[94:95], v[98:99], v[96:97]
	v_add_f64 v[3:4], v[3:4], v[92:93]
	v_add_f64 v[1:2], v[1:2], v[94:95]
	s_andn2_b32 exec_lo, exec_lo, s5
	s_cbranch_execnz .LBB103_29
; %bb.30:
	s_or_b32 exec_lo, exec_lo, s5
	v_mov_b32_e32 v87, 0
	ds_read_b128 v[87:90], v87 offset:64
	s_waitcnt lgkmcnt(0)
	v_mul_f64 v[92:93], v[1:2], v[89:90]
	v_mul_f64 v[89:90], v[3:4], v[89:90]
	v_fma_f64 v[3:4], v[3:4], v[87:88], -v[92:93]
	v_fma_f64 v[1:2], v[1:2], v[87:88], v[89:90]
	buffer_store_dword v4, off, s[0:3], 0 offset:84
	buffer_store_dword v3, off, s[0:3], 0 offset:80
	;; [unrolled: 1-line block ×4, first 2 shown]
.LBB103_31:
	s_or_b32 exec_lo, exec_lo, s4
	v_mov_b32_e32 v4, s47
	s_waitcnt_vscnt null, 0x0
	s_barrier
	buffer_gl0_inv
	s_mov_b32 s4, exec_lo
	s_clause 0x3
	buffer_load_dword v1, v4, s[0:3], 0 offen
	buffer_load_dword v2, v4, s[0:3], 0 offen offset:4
	buffer_load_dword v3, v4, s[0:3], 0 offen offset:8
	;; [unrolled: 1-line block ×3, first 2 shown]
	s_waitcnt vmcnt(0)
	ds_write_b128 v85, v[1:4]
	s_waitcnt lgkmcnt(0)
	s_barrier
	buffer_gl0_inv
	v_cmpx_gt_u32_e32 5, v0
	s_cbranch_execz .LBB103_35
; %bb.32:
	v_mov_b32_e32 v1, 0
	v_mov_b32_e32 v3, 0
	v_add_nc_u32_e32 v87, -1, v0
	v_add_nc_u32_e32 v88, 0x280, v91
	v_mov_b32_e32 v2, 0
	v_mov_b32_e32 v4, 0
	v_add_nc_u32_e32 v89, 16, v91
	s_mov_b32 s5, 0
	.p2align	6
.LBB103_33:                             ; =>This Inner Loop Header: Depth=1
	s_clause 0x3
	buffer_load_dword v96, v89, s[0:3], 0 offen offset:8
	buffer_load_dword v97, v89, s[0:3], 0 offen offset:12
	buffer_load_dword v98, v89, s[0:3], 0 offen
	buffer_load_dword v99, v89, s[0:3], 0 offen offset:4
	ds_read_b128 v[92:95], v88
	v_add_nc_u32_e32 v87, 1, v87
	v_add_nc_u32_e32 v88, 16, v88
	;; [unrolled: 1-line block ×3, first 2 shown]
	v_cmp_lt_u32_e32 vcc_lo, 3, v87
	s_or_b32 s5, vcc_lo, s5
	s_waitcnt vmcnt(2) lgkmcnt(0)
	v_mul_f64 v[100:101], v[94:95], v[96:97]
	v_mul_f64 v[96:97], v[92:93], v[96:97]
	s_waitcnt vmcnt(0)
	v_fma_f64 v[92:93], v[92:93], v[98:99], -v[100:101]
	v_fma_f64 v[94:95], v[94:95], v[98:99], v[96:97]
	v_add_f64 v[3:4], v[3:4], v[92:93]
	v_add_f64 v[1:2], v[1:2], v[94:95]
	s_andn2_b32 exec_lo, exec_lo, s5
	s_cbranch_execnz .LBB103_33
; %bb.34:
	s_or_b32 exec_lo, exec_lo, s5
	v_mov_b32_e32 v87, 0
	ds_read_b128 v[87:90], v87 offset:80
	s_waitcnt lgkmcnt(0)
	v_mul_f64 v[92:93], v[1:2], v[89:90]
	v_mul_f64 v[89:90], v[3:4], v[89:90]
	v_fma_f64 v[3:4], v[3:4], v[87:88], -v[92:93]
	v_fma_f64 v[1:2], v[1:2], v[87:88], v[89:90]
	buffer_store_dword v4, off, s[0:3], 0 offset:100
	buffer_store_dword v3, off, s[0:3], 0 offset:96
	buffer_store_dword v2, off, s[0:3], 0 offset:108
	buffer_store_dword v1, off, s[0:3], 0 offset:104
.LBB103_35:
	s_or_b32 exec_lo, exec_lo, s4
	v_mov_b32_e32 v4, s46
	s_waitcnt_vscnt null, 0x0
	s_barrier
	buffer_gl0_inv
	s_mov_b32 s4, exec_lo
	s_clause 0x3
	buffer_load_dword v1, v4, s[0:3], 0 offen
	buffer_load_dword v2, v4, s[0:3], 0 offen offset:4
	buffer_load_dword v3, v4, s[0:3], 0 offen offset:8
	;; [unrolled: 1-line block ×3, first 2 shown]
	s_waitcnt vmcnt(0)
	ds_write_b128 v85, v[1:4]
	s_waitcnt lgkmcnt(0)
	s_barrier
	buffer_gl0_inv
	v_cmpx_gt_u32_e32 6, v0
	s_cbranch_execz .LBB103_39
; %bb.36:
	v_mov_b32_e32 v1, 0
	v_mov_b32_e32 v3, 0
	v_add_nc_u32_e32 v87, -1, v0
	v_add_nc_u32_e32 v88, 0x280, v91
	v_mov_b32_e32 v2, 0
	v_mov_b32_e32 v4, 0
	v_add_nc_u32_e32 v89, 16, v91
	s_mov_b32 s5, 0
	.p2align	6
.LBB103_37:                             ; =>This Inner Loop Header: Depth=1
	s_clause 0x3
	buffer_load_dword v96, v89, s[0:3], 0 offen offset:8
	buffer_load_dword v97, v89, s[0:3], 0 offen offset:12
	buffer_load_dword v98, v89, s[0:3], 0 offen
	buffer_load_dword v99, v89, s[0:3], 0 offen offset:4
	ds_read_b128 v[92:95], v88
	v_add_nc_u32_e32 v87, 1, v87
	v_add_nc_u32_e32 v88, 16, v88
	;; [unrolled: 1-line block ×3, first 2 shown]
	v_cmp_lt_u32_e32 vcc_lo, 4, v87
	s_or_b32 s5, vcc_lo, s5
	s_waitcnt vmcnt(2) lgkmcnt(0)
	v_mul_f64 v[100:101], v[94:95], v[96:97]
	v_mul_f64 v[96:97], v[92:93], v[96:97]
	s_waitcnt vmcnt(0)
	v_fma_f64 v[92:93], v[92:93], v[98:99], -v[100:101]
	v_fma_f64 v[94:95], v[94:95], v[98:99], v[96:97]
	v_add_f64 v[3:4], v[3:4], v[92:93]
	v_add_f64 v[1:2], v[1:2], v[94:95]
	s_andn2_b32 exec_lo, exec_lo, s5
	s_cbranch_execnz .LBB103_37
; %bb.38:
	s_or_b32 exec_lo, exec_lo, s5
	v_mov_b32_e32 v87, 0
	ds_read_b128 v[87:90], v87 offset:96
	s_waitcnt lgkmcnt(0)
	v_mul_f64 v[92:93], v[1:2], v[89:90]
	v_mul_f64 v[89:90], v[3:4], v[89:90]
	v_fma_f64 v[3:4], v[3:4], v[87:88], -v[92:93]
	v_fma_f64 v[1:2], v[1:2], v[87:88], v[89:90]
	buffer_store_dword v4, off, s[0:3], 0 offset:116
	buffer_store_dword v3, off, s[0:3], 0 offset:112
	;; [unrolled: 1-line block ×4, first 2 shown]
.LBB103_39:
	s_or_b32 exec_lo, exec_lo, s4
	v_mov_b32_e32 v4, s45
	s_waitcnt_vscnt null, 0x0
	s_barrier
	buffer_gl0_inv
	s_mov_b32 s4, exec_lo
	s_clause 0x3
	buffer_load_dword v1, v4, s[0:3], 0 offen
	buffer_load_dword v2, v4, s[0:3], 0 offen offset:4
	buffer_load_dword v3, v4, s[0:3], 0 offen offset:8
	;; [unrolled: 1-line block ×3, first 2 shown]
	s_waitcnt vmcnt(0)
	ds_write_b128 v85, v[1:4]
	s_waitcnt lgkmcnt(0)
	s_barrier
	buffer_gl0_inv
	v_cmpx_gt_u32_e32 7, v0
	s_cbranch_execz .LBB103_43
; %bb.40:
	v_mov_b32_e32 v1, 0
	v_mov_b32_e32 v3, 0
	v_add_nc_u32_e32 v87, -1, v0
	v_add_nc_u32_e32 v88, 0x280, v91
	v_mov_b32_e32 v2, 0
	v_mov_b32_e32 v4, 0
	v_add_nc_u32_e32 v89, 16, v91
	s_mov_b32 s5, 0
	.p2align	6
.LBB103_41:                             ; =>This Inner Loop Header: Depth=1
	s_clause 0x3
	buffer_load_dword v96, v89, s[0:3], 0 offen offset:8
	buffer_load_dword v97, v89, s[0:3], 0 offen offset:12
	buffer_load_dword v98, v89, s[0:3], 0 offen
	buffer_load_dword v99, v89, s[0:3], 0 offen offset:4
	ds_read_b128 v[92:95], v88
	v_add_nc_u32_e32 v87, 1, v87
	v_add_nc_u32_e32 v88, 16, v88
	;; [unrolled: 1-line block ×3, first 2 shown]
	v_cmp_lt_u32_e32 vcc_lo, 5, v87
	s_or_b32 s5, vcc_lo, s5
	s_waitcnt vmcnt(2) lgkmcnt(0)
	v_mul_f64 v[100:101], v[94:95], v[96:97]
	v_mul_f64 v[96:97], v[92:93], v[96:97]
	s_waitcnt vmcnt(0)
	v_fma_f64 v[92:93], v[92:93], v[98:99], -v[100:101]
	v_fma_f64 v[94:95], v[94:95], v[98:99], v[96:97]
	v_add_f64 v[3:4], v[3:4], v[92:93]
	v_add_f64 v[1:2], v[1:2], v[94:95]
	s_andn2_b32 exec_lo, exec_lo, s5
	s_cbranch_execnz .LBB103_41
; %bb.42:
	s_or_b32 exec_lo, exec_lo, s5
	v_mov_b32_e32 v87, 0
	ds_read_b128 v[87:90], v87 offset:112
	s_waitcnt lgkmcnt(0)
	v_mul_f64 v[92:93], v[1:2], v[89:90]
	v_mul_f64 v[89:90], v[3:4], v[89:90]
	v_fma_f64 v[3:4], v[3:4], v[87:88], -v[92:93]
	v_fma_f64 v[1:2], v[1:2], v[87:88], v[89:90]
	buffer_store_dword v4, off, s[0:3], 0 offset:132
	buffer_store_dword v3, off, s[0:3], 0 offset:128
	;; [unrolled: 1-line block ×4, first 2 shown]
.LBB103_43:
	s_or_b32 exec_lo, exec_lo, s4
	v_mov_b32_e32 v4, s44
	s_waitcnt_vscnt null, 0x0
	s_barrier
	buffer_gl0_inv
	s_mov_b32 s4, exec_lo
	s_clause 0x3
	buffer_load_dword v1, v4, s[0:3], 0 offen
	buffer_load_dword v2, v4, s[0:3], 0 offen offset:4
	buffer_load_dword v3, v4, s[0:3], 0 offen offset:8
	;; [unrolled: 1-line block ×3, first 2 shown]
	s_waitcnt vmcnt(0)
	ds_write_b128 v85, v[1:4]
	s_waitcnt lgkmcnt(0)
	s_barrier
	buffer_gl0_inv
	v_cmpx_gt_u32_e32 8, v0
	s_cbranch_execz .LBB103_47
; %bb.44:
	v_mov_b32_e32 v1, 0
	v_mov_b32_e32 v3, 0
	v_add_nc_u32_e32 v87, -1, v0
	v_add_nc_u32_e32 v88, 0x280, v91
	v_mov_b32_e32 v2, 0
	v_mov_b32_e32 v4, 0
	v_add_nc_u32_e32 v89, 16, v91
	s_mov_b32 s5, 0
	.p2align	6
.LBB103_45:                             ; =>This Inner Loop Header: Depth=1
	s_clause 0x3
	buffer_load_dword v96, v89, s[0:3], 0 offen offset:8
	buffer_load_dword v97, v89, s[0:3], 0 offen offset:12
	buffer_load_dword v98, v89, s[0:3], 0 offen
	buffer_load_dword v99, v89, s[0:3], 0 offen offset:4
	ds_read_b128 v[92:95], v88
	v_add_nc_u32_e32 v87, 1, v87
	v_add_nc_u32_e32 v88, 16, v88
	;; [unrolled: 1-line block ×3, first 2 shown]
	v_cmp_lt_u32_e32 vcc_lo, 6, v87
	s_or_b32 s5, vcc_lo, s5
	s_waitcnt vmcnt(2) lgkmcnt(0)
	v_mul_f64 v[100:101], v[94:95], v[96:97]
	v_mul_f64 v[96:97], v[92:93], v[96:97]
	s_waitcnt vmcnt(0)
	v_fma_f64 v[92:93], v[92:93], v[98:99], -v[100:101]
	v_fma_f64 v[94:95], v[94:95], v[98:99], v[96:97]
	v_add_f64 v[3:4], v[3:4], v[92:93]
	v_add_f64 v[1:2], v[1:2], v[94:95]
	s_andn2_b32 exec_lo, exec_lo, s5
	s_cbranch_execnz .LBB103_45
; %bb.46:
	s_or_b32 exec_lo, exec_lo, s5
	v_mov_b32_e32 v87, 0
	ds_read_b128 v[87:90], v87 offset:128
	s_waitcnt lgkmcnt(0)
	v_mul_f64 v[92:93], v[1:2], v[89:90]
	v_mul_f64 v[89:90], v[3:4], v[89:90]
	v_fma_f64 v[3:4], v[3:4], v[87:88], -v[92:93]
	v_fma_f64 v[1:2], v[1:2], v[87:88], v[89:90]
	buffer_store_dword v4, off, s[0:3], 0 offset:148
	buffer_store_dword v3, off, s[0:3], 0 offset:144
	;; [unrolled: 1-line block ×4, first 2 shown]
.LBB103_47:
	s_or_b32 exec_lo, exec_lo, s4
	v_mov_b32_e32 v4, s43
	s_waitcnt_vscnt null, 0x0
	s_barrier
	buffer_gl0_inv
	s_mov_b32 s4, exec_lo
	s_clause 0x3
	buffer_load_dword v1, v4, s[0:3], 0 offen
	buffer_load_dword v2, v4, s[0:3], 0 offen offset:4
	buffer_load_dword v3, v4, s[0:3], 0 offen offset:8
	;; [unrolled: 1-line block ×3, first 2 shown]
	s_waitcnt vmcnt(0)
	ds_write_b128 v85, v[1:4]
	s_waitcnt lgkmcnt(0)
	s_barrier
	buffer_gl0_inv
	v_cmpx_gt_u32_e32 9, v0
	s_cbranch_execz .LBB103_51
; %bb.48:
	v_mov_b32_e32 v1, 0
	v_mov_b32_e32 v3, 0
	v_add_nc_u32_e32 v87, -1, v0
	v_add_nc_u32_e32 v88, 0x280, v91
	v_mov_b32_e32 v2, 0
	v_mov_b32_e32 v4, 0
	v_add_nc_u32_e32 v89, 16, v91
	s_mov_b32 s5, 0
	.p2align	6
.LBB103_49:                             ; =>This Inner Loop Header: Depth=1
	s_clause 0x3
	buffer_load_dword v96, v89, s[0:3], 0 offen offset:8
	buffer_load_dword v97, v89, s[0:3], 0 offen offset:12
	buffer_load_dword v98, v89, s[0:3], 0 offen
	buffer_load_dword v99, v89, s[0:3], 0 offen offset:4
	ds_read_b128 v[92:95], v88
	v_add_nc_u32_e32 v87, 1, v87
	v_add_nc_u32_e32 v88, 16, v88
	;; [unrolled: 1-line block ×3, first 2 shown]
	v_cmp_lt_u32_e32 vcc_lo, 7, v87
	s_or_b32 s5, vcc_lo, s5
	s_waitcnt vmcnt(2) lgkmcnt(0)
	v_mul_f64 v[100:101], v[94:95], v[96:97]
	v_mul_f64 v[96:97], v[92:93], v[96:97]
	s_waitcnt vmcnt(0)
	v_fma_f64 v[92:93], v[92:93], v[98:99], -v[100:101]
	v_fma_f64 v[94:95], v[94:95], v[98:99], v[96:97]
	v_add_f64 v[3:4], v[3:4], v[92:93]
	v_add_f64 v[1:2], v[1:2], v[94:95]
	s_andn2_b32 exec_lo, exec_lo, s5
	s_cbranch_execnz .LBB103_49
; %bb.50:
	s_or_b32 exec_lo, exec_lo, s5
	v_mov_b32_e32 v87, 0
	ds_read_b128 v[87:90], v87 offset:144
	s_waitcnt lgkmcnt(0)
	v_mul_f64 v[92:93], v[1:2], v[89:90]
	v_mul_f64 v[89:90], v[3:4], v[89:90]
	v_fma_f64 v[3:4], v[3:4], v[87:88], -v[92:93]
	v_fma_f64 v[1:2], v[1:2], v[87:88], v[89:90]
	buffer_store_dword v4, off, s[0:3], 0 offset:164
	buffer_store_dword v3, off, s[0:3], 0 offset:160
	;; [unrolled: 1-line block ×4, first 2 shown]
.LBB103_51:
	s_or_b32 exec_lo, exec_lo, s4
	v_mov_b32_e32 v4, s42
	s_waitcnt_vscnt null, 0x0
	s_barrier
	buffer_gl0_inv
	s_mov_b32 s4, exec_lo
	s_clause 0x3
	buffer_load_dword v1, v4, s[0:3], 0 offen
	buffer_load_dword v2, v4, s[0:3], 0 offen offset:4
	buffer_load_dword v3, v4, s[0:3], 0 offen offset:8
	;; [unrolled: 1-line block ×3, first 2 shown]
	s_waitcnt vmcnt(0)
	ds_write_b128 v85, v[1:4]
	s_waitcnt lgkmcnt(0)
	s_barrier
	buffer_gl0_inv
	v_cmpx_gt_u32_e32 10, v0
	s_cbranch_execz .LBB103_55
; %bb.52:
	v_mov_b32_e32 v1, 0
	v_mov_b32_e32 v3, 0
	v_add_nc_u32_e32 v87, -1, v0
	v_add_nc_u32_e32 v88, 0x280, v91
	v_mov_b32_e32 v2, 0
	v_mov_b32_e32 v4, 0
	v_add_nc_u32_e32 v89, 16, v91
	s_mov_b32 s5, 0
	.p2align	6
.LBB103_53:                             ; =>This Inner Loop Header: Depth=1
	s_clause 0x3
	buffer_load_dword v96, v89, s[0:3], 0 offen offset:8
	buffer_load_dword v97, v89, s[0:3], 0 offen offset:12
	buffer_load_dword v98, v89, s[0:3], 0 offen
	buffer_load_dword v99, v89, s[0:3], 0 offen offset:4
	ds_read_b128 v[92:95], v88
	v_add_nc_u32_e32 v87, 1, v87
	v_add_nc_u32_e32 v88, 16, v88
	;; [unrolled: 1-line block ×3, first 2 shown]
	v_cmp_lt_u32_e32 vcc_lo, 8, v87
	s_or_b32 s5, vcc_lo, s5
	s_waitcnt vmcnt(2) lgkmcnt(0)
	v_mul_f64 v[100:101], v[94:95], v[96:97]
	v_mul_f64 v[96:97], v[92:93], v[96:97]
	s_waitcnt vmcnt(0)
	v_fma_f64 v[92:93], v[92:93], v[98:99], -v[100:101]
	v_fma_f64 v[94:95], v[94:95], v[98:99], v[96:97]
	v_add_f64 v[3:4], v[3:4], v[92:93]
	v_add_f64 v[1:2], v[1:2], v[94:95]
	s_andn2_b32 exec_lo, exec_lo, s5
	s_cbranch_execnz .LBB103_53
; %bb.54:
	s_or_b32 exec_lo, exec_lo, s5
	v_mov_b32_e32 v87, 0
	ds_read_b128 v[87:90], v87 offset:160
	s_waitcnt lgkmcnt(0)
	v_mul_f64 v[92:93], v[1:2], v[89:90]
	v_mul_f64 v[89:90], v[3:4], v[89:90]
	v_fma_f64 v[3:4], v[3:4], v[87:88], -v[92:93]
	v_fma_f64 v[1:2], v[1:2], v[87:88], v[89:90]
	buffer_store_dword v4, off, s[0:3], 0 offset:180
	buffer_store_dword v3, off, s[0:3], 0 offset:176
	;; [unrolled: 1-line block ×4, first 2 shown]
.LBB103_55:
	s_or_b32 exec_lo, exec_lo, s4
	v_mov_b32_e32 v4, s41
	s_waitcnt_vscnt null, 0x0
	s_barrier
	buffer_gl0_inv
	s_mov_b32 s4, exec_lo
	s_clause 0x3
	buffer_load_dword v1, v4, s[0:3], 0 offen
	buffer_load_dword v2, v4, s[0:3], 0 offen offset:4
	buffer_load_dword v3, v4, s[0:3], 0 offen offset:8
	;; [unrolled: 1-line block ×3, first 2 shown]
	s_waitcnt vmcnt(0)
	ds_write_b128 v85, v[1:4]
	s_waitcnt lgkmcnt(0)
	s_barrier
	buffer_gl0_inv
	v_cmpx_gt_u32_e32 11, v0
	s_cbranch_execz .LBB103_59
; %bb.56:
	v_mov_b32_e32 v1, 0
	v_mov_b32_e32 v3, 0
	v_add_nc_u32_e32 v87, -1, v0
	v_add_nc_u32_e32 v88, 0x280, v91
	v_mov_b32_e32 v2, 0
	v_mov_b32_e32 v4, 0
	v_add_nc_u32_e32 v89, 16, v91
	s_mov_b32 s5, 0
	.p2align	6
.LBB103_57:                             ; =>This Inner Loop Header: Depth=1
	s_clause 0x3
	buffer_load_dword v96, v89, s[0:3], 0 offen offset:8
	buffer_load_dword v97, v89, s[0:3], 0 offen offset:12
	buffer_load_dword v98, v89, s[0:3], 0 offen
	buffer_load_dword v99, v89, s[0:3], 0 offen offset:4
	ds_read_b128 v[92:95], v88
	v_add_nc_u32_e32 v87, 1, v87
	v_add_nc_u32_e32 v88, 16, v88
	;; [unrolled: 1-line block ×3, first 2 shown]
	v_cmp_lt_u32_e32 vcc_lo, 9, v87
	s_or_b32 s5, vcc_lo, s5
	s_waitcnt vmcnt(2) lgkmcnt(0)
	v_mul_f64 v[100:101], v[94:95], v[96:97]
	v_mul_f64 v[96:97], v[92:93], v[96:97]
	s_waitcnt vmcnt(0)
	v_fma_f64 v[92:93], v[92:93], v[98:99], -v[100:101]
	v_fma_f64 v[94:95], v[94:95], v[98:99], v[96:97]
	v_add_f64 v[3:4], v[3:4], v[92:93]
	v_add_f64 v[1:2], v[1:2], v[94:95]
	s_andn2_b32 exec_lo, exec_lo, s5
	s_cbranch_execnz .LBB103_57
; %bb.58:
	s_or_b32 exec_lo, exec_lo, s5
	v_mov_b32_e32 v87, 0
	ds_read_b128 v[87:90], v87 offset:176
	s_waitcnt lgkmcnt(0)
	v_mul_f64 v[92:93], v[1:2], v[89:90]
	v_mul_f64 v[89:90], v[3:4], v[89:90]
	v_fma_f64 v[3:4], v[3:4], v[87:88], -v[92:93]
	v_fma_f64 v[1:2], v[1:2], v[87:88], v[89:90]
	buffer_store_dword v4, off, s[0:3], 0 offset:196
	buffer_store_dword v3, off, s[0:3], 0 offset:192
	;; [unrolled: 1-line block ×4, first 2 shown]
.LBB103_59:
	s_or_b32 exec_lo, exec_lo, s4
	v_mov_b32_e32 v4, s40
	s_waitcnt_vscnt null, 0x0
	s_barrier
	buffer_gl0_inv
	s_mov_b32 s4, exec_lo
	s_clause 0x3
	buffer_load_dword v1, v4, s[0:3], 0 offen
	buffer_load_dword v2, v4, s[0:3], 0 offen offset:4
	buffer_load_dword v3, v4, s[0:3], 0 offen offset:8
	;; [unrolled: 1-line block ×3, first 2 shown]
	s_waitcnt vmcnt(0)
	ds_write_b128 v85, v[1:4]
	s_waitcnt lgkmcnt(0)
	s_barrier
	buffer_gl0_inv
	v_cmpx_gt_u32_e32 12, v0
	s_cbranch_execz .LBB103_63
; %bb.60:
	v_mov_b32_e32 v1, 0
	v_mov_b32_e32 v3, 0
	v_add_nc_u32_e32 v87, -1, v0
	v_add_nc_u32_e32 v88, 0x280, v91
	v_mov_b32_e32 v2, 0
	v_mov_b32_e32 v4, 0
	v_add_nc_u32_e32 v89, 16, v91
	s_mov_b32 s5, 0
	.p2align	6
.LBB103_61:                             ; =>This Inner Loop Header: Depth=1
	s_clause 0x3
	buffer_load_dword v96, v89, s[0:3], 0 offen offset:8
	buffer_load_dword v97, v89, s[0:3], 0 offen offset:12
	buffer_load_dword v98, v89, s[0:3], 0 offen
	buffer_load_dword v99, v89, s[0:3], 0 offen offset:4
	ds_read_b128 v[92:95], v88
	v_add_nc_u32_e32 v87, 1, v87
	v_add_nc_u32_e32 v88, 16, v88
	;; [unrolled: 1-line block ×3, first 2 shown]
	v_cmp_lt_u32_e32 vcc_lo, 10, v87
	s_or_b32 s5, vcc_lo, s5
	s_waitcnt vmcnt(2) lgkmcnt(0)
	v_mul_f64 v[100:101], v[94:95], v[96:97]
	v_mul_f64 v[96:97], v[92:93], v[96:97]
	s_waitcnt vmcnt(0)
	v_fma_f64 v[92:93], v[92:93], v[98:99], -v[100:101]
	v_fma_f64 v[94:95], v[94:95], v[98:99], v[96:97]
	v_add_f64 v[3:4], v[3:4], v[92:93]
	v_add_f64 v[1:2], v[1:2], v[94:95]
	s_andn2_b32 exec_lo, exec_lo, s5
	s_cbranch_execnz .LBB103_61
; %bb.62:
	s_or_b32 exec_lo, exec_lo, s5
	v_mov_b32_e32 v87, 0
	ds_read_b128 v[87:90], v87 offset:192
	s_waitcnt lgkmcnt(0)
	v_mul_f64 v[92:93], v[1:2], v[89:90]
	v_mul_f64 v[89:90], v[3:4], v[89:90]
	v_fma_f64 v[3:4], v[3:4], v[87:88], -v[92:93]
	v_fma_f64 v[1:2], v[1:2], v[87:88], v[89:90]
	buffer_store_dword v4, off, s[0:3], 0 offset:212
	buffer_store_dword v3, off, s[0:3], 0 offset:208
	;; [unrolled: 1-line block ×4, first 2 shown]
.LBB103_63:
	s_or_b32 exec_lo, exec_lo, s4
	v_mov_b32_e32 v4, s39
	s_waitcnt_vscnt null, 0x0
	s_barrier
	buffer_gl0_inv
	s_mov_b32 s4, exec_lo
	s_clause 0x3
	buffer_load_dword v1, v4, s[0:3], 0 offen
	buffer_load_dword v2, v4, s[0:3], 0 offen offset:4
	buffer_load_dword v3, v4, s[0:3], 0 offen offset:8
	;; [unrolled: 1-line block ×3, first 2 shown]
	s_waitcnt vmcnt(0)
	ds_write_b128 v85, v[1:4]
	s_waitcnt lgkmcnt(0)
	s_barrier
	buffer_gl0_inv
	v_cmpx_gt_u32_e32 13, v0
	s_cbranch_execz .LBB103_67
; %bb.64:
	v_mov_b32_e32 v1, 0
	v_mov_b32_e32 v3, 0
	v_add_nc_u32_e32 v87, -1, v0
	v_add_nc_u32_e32 v88, 0x280, v91
	v_mov_b32_e32 v2, 0
	v_mov_b32_e32 v4, 0
	v_add_nc_u32_e32 v89, 16, v91
	s_mov_b32 s5, 0
	.p2align	6
.LBB103_65:                             ; =>This Inner Loop Header: Depth=1
	s_clause 0x3
	buffer_load_dword v96, v89, s[0:3], 0 offen offset:8
	buffer_load_dword v97, v89, s[0:3], 0 offen offset:12
	buffer_load_dword v98, v89, s[0:3], 0 offen
	buffer_load_dword v99, v89, s[0:3], 0 offen offset:4
	ds_read_b128 v[92:95], v88
	v_add_nc_u32_e32 v87, 1, v87
	v_add_nc_u32_e32 v88, 16, v88
	;; [unrolled: 1-line block ×3, first 2 shown]
	v_cmp_lt_u32_e32 vcc_lo, 11, v87
	s_or_b32 s5, vcc_lo, s5
	s_waitcnt vmcnt(2) lgkmcnt(0)
	v_mul_f64 v[100:101], v[94:95], v[96:97]
	v_mul_f64 v[96:97], v[92:93], v[96:97]
	s_waitcnt vmcnt(0)
	v_fma_f64 v[92:93], v[92:93], v[98:99], -v[100:101]
	v_fma_f64 v[94:95], v[94:95], v[98:99], v[96:97]
	v_add_f64 v[3:4], v[3:4], v[92:93]
	v_add_f64 v[1:2], v[1:2], v[94:95]
	s_andn2_b32 exec_lo, exec_lo, s5
	s_cbranch_execnz .LBB103_65
; %bb.66:
	s_or_b32 exec_lo, exec_lo, s5
	v_mov_b32_e32 v87, 0
	ds_read_b128 v[87:90], v87 offset:208
	s_waitcnt lgkmcnt(0)
	v_mul_f64 v[92:93], v[1:2], v[89:90]
	v_mul_f64 v[89:90], v[3:4], v[89:90]
	v_fma_f64 v[3:4], v[3:4], v[87:88], -v[92:93]
	v_fma_f64 v[1:2], v[1:2], v[87:88], v[89:90]
	buffer_store_dword v4, off, s[0:3], 0 offset:228
	buffer_store_dword v3, off, s[0:3], 0 offset:224
	;; [unrolled: 1-line block ×4, first 2 shown]
.LBB103_67:
	s_or_b32 exec_lo, exec_lo, s4
	v_mov_b32_e32 v4, s38
	s_waitcnt_vscnt null, 0x0
	s_barrier
	buffer_gl0_inv
	s_mov_b32 s4, exec_lo
	s_clause 0x3
	buffer_load_dword v1, v4, s[0:3], 0 offen
	buffer_load_dword v2, v4, s[0:3], 0 offen offset:4
	buffer_load_dword v3, v4, s[0:3], 0 offen offset:8
	;; [unrolled: 1-line block ×3, first 2 shown]
	s_waitcnt vmcnt(0)
	ds_write_b128 v85, v[1:4]
	s_waitcnt lgkmcnt(0)
	s_barrier
	buffer_gl0_inv
	v_cmpx_gt_u32_e32 14, v0
	s_cbranch_execz .LBB103_71
; %bb.68:
	v_mov_b32_e32 v1, 0
	v_mov_b32_e32 v3, 0
	v_add_nc_u32_e32 v87, -1, v0
	v_add_nc_u32_e32 v88, 0x280, v91
	v_mov_b32_e32 v2, 0
	v_mov_b32_e32 v4, 0
	v_add_nc_u32_e32 v89, 16, v91
	s_mov_b32 s5, 0
	.p2align	6
.LBB103_69:                             ; =>This Inner Loop Header: Depth=1
	s_clause 0x3
	buffer_load_dword v96, v89, s[0:3], 0 offen offset:8
	buffer_load_dword v97, v89, s[0:3], 0 offen offset:12
	buffer_load_dword v98, v89, s[0:3], 0 offen
	buffer_load_dword v99, v89, s[0:3], 0 offen offset:4
	ds_read_b128 v[92:95], v88
	v_add_nc_u32_e32 v87, 1, v87
	v_add_nc_u32_e32 v88, 16, v88
	;; [unrolled: 1-line block ×3, first 2 shown]
	v_cmp_lt_u32_e32 vcc_lo, 12, v87
	s_or_b32 s5, vcc_lo, s5
	s_waitcnt vmcnt(2) lgkmcnt(0)
	v_mul_f64 v[100:101], v[94:95], v[96:97]
	v_mul_f64 v[96:97], v[92:93], v[96:97]
	s_waitcnt vmcnt(0)
	v_fma_f64 v[92:93], v[92:93], v[98:99], -v[100:101]
	v_fma_f64 v[94:95], v[94:95], v[98:99], v[96:97]
	v_add_f64 v[3:4], v[3:4], v[92:93]
	v_add_f64 v[1:2], v[1:2], v[94:95]
	s_andn2_b32 exec_lo, exec_lo, s5
	s_cbranch_execnz .LBB103_69
; %bb.70:
	s_or_b32 exec_lo, exec_lo, s5
	v_mov_b32_e32 v87, 0
	ds_read_b128 v[87:90], v87 offset:224
	s_waitcnt lgkmcnt(0)
	v_mul_f64 v[92:93], v[1:2], v[89:90]
	v_mul_f64 v[89:90], v[3:4], v[89:90]
	v_fma_f64 v[3:4], v[3:4], v[87:88], -v[92:93]
	v_fma_f64 v[1:2], v[1:2], v[87:88], v[89:90]
	buffer_store_dword v4, off, s[0:3], 0 offset:244
	buffer_store_dword v3, off, s[0:3], 0 offset:240
	;; [unrolled: 1-line block ×4, first 2 shown]
.LBB103_71:
	s_or_b32 exec_lo, exec_lo, s4
	v_mov_b32_e32 v4, s37
	s_waitcnt_vscnt null, 0x0
	s_barrier
	buffer_gl0_inv
	s_mov_b32 s4, exec_lo
	s_clause 0x3
	buffer_load_dword v1, v4, s[0:3], 0 offen
	buffer_load_dword v2, v4, s[0:3], 0 offen offset:4
	buffer_load_dword v3, v4, s[0:3], 0 offen offset:8
	;; [unrolled: 1-line block ×3, first 2 shown]
	s_waitcnt vmcnt(0)
	ds_write_b128 v85, v[1:4]
	s_waitcnt lgkmcnt(0)
	s_barrier
	buffer_gl0_inv
	v_cmpx_gt_u32_e32 15, v0
	s_cbranch_execz .LBB103_75
; %bb.72:
	v_mov_b32_e32 v1, 0
	v_mov_b32_e32 v3, 0
	v_add_nc_u32_e32 v87, -1, v0
	v_add_nc_u32_e32 v88, 0x280, v91
	v_mov_b32_e32 v2, 0
	v_mov_b32_e32 v4, 0
	v_add_nc_u32_e32 v89, 16, v91
	s_mov_b32 s5, 0
	.p2align	6
.LBB103_73:                             ; =>This Inner Loop Header: Depth=1
	s_clause 0x3
	buffer_load_dword v96, v89, s[0:3], 0 offen offset:8
	buffer_load_dword v97, v89, s[0:3], 0 offen offset:12
	buffer_load_dword v98, v89, s[0:3], 0 offen
	buffer_load_dword v99, v89, s[0:3], 0 offen offset:4
	ds_read_b128 v[92:95], v88
	v_add_nc_u32_e32 v87, 1, v87
	v_add_nc_u32_e32 v88, 16, v88
	;; [unrolled: 1-line block ×3, first 2 shown]
	v_cmp_lt_u32_e32 vcc_lo, 13, v87
	s_or_b32 s5, vcc_lo, s5
	s_waitcnt vmcnt(2) lgkmcnt(0)
	v_mul_f64 v[100:101], v[94:95], v[96:97]
	v_mul_f64 v[96:97], v[92:93], v[96:97]
	s_waitcnt vmcnt(0)
	v_fma_f64 v[92:93], v[92:93], v[98:99], -v[100:101]
	v_fma_f64 v[94:95], v[94:95], v[98:99], v[96:97]
	v_add_f64 v[3:4], v[3:4], v[92:93]
	v_add_f64 v[1:2], v[1:2], v[94:95]
	s_andn2_b32 exec_lo, exec_lo, s5
	s_cbranch_execnz .LBB103_73
; %bb.74:
	s_or_b32 exec_lo, exec_lo, s5
	v_mov_b32_e32 v87, 0
	ds_read_b128 v[87:90], v87 offset:240
	s_waitcnt lgkmcnt(0)
	v_mul_f64 v[92:93], v[1:2], v[89:90]
	v_mul_f64 v[89:90], v[3:4], v[89:90]
	v_fma_f64 v[3:4], v[3:4], v[87:88], -v[92:93]
	v_fma_f64 v[1:2], v[1:2], v[87:88], v[89:90]
	buffer_store_dword v4, off, s[0:3], 0 offset:260
	buffer_store_dword v3, off, s[0:3], 0 offset:256
	;; [unrolled: 1-line block ×4, first 2 shown]
.LBB103_75:
	s_or_b32 exec_lo, exec_lo, s4
	v_mov_b32_e32 v4, s36
	s_waitcnt_vscnt null, 0x0
	s_barrier
	buffer_gl0_inv
	s_mov_b32 s4, exec_lo
	s_clause 0x3
	buffer_load_dword v1, v4, s[0:3], 0 offen
	buffer_load_dword v2, v4, s[0:3], 0 offen offset:4
	buffer_load_dword v3, v4, s[0:3], 0 offen offset:8
	;; [unrolled: 1-line block ×3, first 2 shown]
	s_waitcnt vmcnt(0)
	ds_write_b128 v85, v[1:4]
	s_waitcnt lgkmcnt(0)
	s_barrier
	buffer_gl0_inv
	v_cmpx_gt_u32_e32 16, v0
	s_cbranch_execz .LBB103_79
; %bb.76:
	v_mov_b32_e32 v1, 0
	v_mov_b32_e32 v3, 0
	v_add_nc_u32_e32 v87, -1, v0
	v_add_nc_u32_e32 v88, 0x280, v91
	v_mov_b32_e32 v2, 0
	v_mov_b32_e32 v4, 0
	v_add_nc_u32_e32 v89, 16, v91
	s_mov_b32 s5, 0
	.p2align	6
.LBB103_77:                             ; =>This Inner Loop Header: Depth=1
	s_clause 0x3
	buffer_load_dword v96, v89, s[0:3], 0 offen offset:8
	buffer_load_dword v97, v89, s[0:3], 0 offen offset:12
	buffer_load_dword v98, v89, s[0:3], 0 offen
	buffer_load_dword v99, v89, s[0:3], 0 offen offset:4
	ds_read_b128 v[92:95], v88
	v_add_nc_u32_e32 v87, 1, v87
	v_add_nc_u32_e32 v88, 16, v88
	;; [unrolled: 1-line block ×3, first 2 shown]
	v_cmp_lt_u32_e32 vcc_lo, 14, v87
	s_or_b32 s5, vcc_lo, s5
	s_waitcnt vmcnt(2) lgkmcnt(0)
	v_mul_f64 v[100:101], v[94:95], v[96:97]
	v_mul_f64 v[96:97], v[92:93], v[96:97]
	s_waitcnt vmcnt(0)
	v_fma_f64 v[92:93], v[92:93], v[98:99], -v[100:101]
	v_fma_f64 v[94:95], v[94:95], v[98:99], v[96:97]
	v_add_f64 v[3:4], v[3:4], v[92:93]
	v_add_f64 v[1:2], v[1:2], v[94:95]
	s_andn2_b32 exec_lo, exec_lo, s5
	s_cbranch_execnz .LBB103_77
; %bb.78:
	s_or_b32 exec_lo, exec_lo, s5
	v_mov_b32_e32 v87, 0
	ds_read_b128 v[87:90], v87 offset:256
	s_waitcnt lgkmcnt(0)
	v_mul_f64 v[92:93], v[1:2], v[89:90]
	v_mul_f64 v[89:90], v[3:4], v[89:90]
	v_fma_f64 v[3:4], v[3:4], v[87:88], -v[92:93]
	v_fma_f64 v[1:2], v[1:2], v[87:88], v[89:90]
	buffer_store_dword v4, off, s[0:3], 0 offset:276
	buffer_store_dword v3, off, s[0:3], 0 offset:272
	;; [unrolled: 1-line block ×4, first 2 shown]
.LBB103_79:
	s_or_b32 exec_lo, exec_lo, s4
	v_mov_b32_e32 v4, s35
	s_waitcnt_vscnt null, 0x0
	s_barrier
	buffer_gl0_inv
	s_mov_b32 s4, exec_lo
	s_clause 0x3
	buffer_load_dword v1, v4, s[0:3], 0 offen
	buffer_load_dword v2, v4, s[0:3], 0 offen offset:4
	buffer_load_dword v3, v4, s[0:3], 0 offen offset:8
	;; [unrolled: 1-line block ×3, first 2 shown]
	s_waitcnt vmcnt(0)
	ds_write_b128 v85, v[1:4]
	s_waitcnt lgkmcnt(0)
	s_barrier
	buffer_gl0_inv
	v_cmpx_gt_u32_e32 17, v0
	s_cbranch_execz .LBB103_83
; %bb.80:
	v_mov_b32_e32 v1, 0
	v_mov_b32_e32 v3, 0
	v_add_nc_u32_e32 v87, -1, v0
	v_add_nc_u32_e32 v88, 0x280, v91
	v_mov_b32_e32 v2, 0
	v_mov_b32_e32 v4, 0
	v_add_nc_u32_e32 v89, 16, v91
	s_mov_b32 s5, 0
	.p2align	6
.LBB103_81:                             ; =>This Inner Loop Header: Depth=1
	s_clause 0x3
	buffer_load_dword v96, v89, s[0:3], 0 offen offset:8
	buffer_load_dword v97, v89, s[0:3], 0 offen offset:12
	buffer_load_dword v98, v89, s[0:3], 0 offen
	buffer_load_dword v99, v89, s[0:3], 0 offen offset:4
	ds_read_b128 v[92:95], v88
	v_add_nc_u32_e32 v87, 1, v87
	v_add_nc_u32_e32 v88, 16, v88
	;; [unrolled: 1-line block ×3, first 2 shown]
	v_cmp_lt_u32_e32 vcc_lo, 15, v87
	s_or_b32 s5, vcc_lo, s5
	s_waitcnt vmcnt(2) lgkmcnt(0)
	v_mul_f64 v[100:101], v[94:95], v[96:97]
	v_mul_f64 v[96:97], v[92:93], v[96:97]
	s_waitcnt vmcnt(0)
	v_fma_f64 v[92:93], v[92:93], v[98:99], -v[100:101]
	v_fma_f64 v[94:95], v[94:95], v[98:99], v[96:97]
	v_add_f64 v[3:4], v[3:4], v[92:93]
	v_add_f64 v[1:2], v[1:2], v[94:95]
	s_andn2_b32 exec_lo, exec_lo, s5
	s_cbranch_execnz .LBB103_81
; %bb.82:
	s_or_b32 exec_lo, exec_lo, s5
	v_mov_b32_e32 v87, 0
	ds_read_b128 v[87:90], v87 offset:272
	s_waitcnt lgkmcnt(0)
	v_mul_f64 v[92:93], v[1:2], v[89:90]
	v_mul_f64 v[89:90], v[3:4], v[89:90]
	v_fma_f64 v[3:4], v[3:4], v[87:88], -v[92:93]
	v_fma_f64 v[1:2], v[1:2], v[87:88], v[89:90]
	buffer_store_dword v4, off, s[0:3], 0 offset:292
	buffer_store_dword v3, off, s[0:3], 0 offset:288
	;; [unrolled: 1-line block ×4, first 2 shown]
.LBB103_83:
	s_or_b32 exec_lo, exec_lo, s4
	v_mov_b32_e32 v4, s34
	s_waitcnt_vscnt null, 0x0
	s_barrier
	buffer_gl0_inv
	s_mov_b32 s4, exec_lo
	s_clause 0x3
	buffer_load_dword v1, v4, s[0:3], 0 offen
	buffer_load_dword v2, v4, s[0:3], 0 offen offset:4
	buffer_load_dword v3, v4, s[0:3], 0 offen offset:8
	;; [unrolled: 1-line block ×3, first 2 shown]
	s_waitcnt vmcnt(0)
	ds_write_b128 v85, v[1:4]
	s_waitcnt lgkmcnt(0)
	s_barrier
	buffer_gl0_inv
	v_cmpx_gt_u32_e32 18, v0
	s_cbranch_execz .LBB103_87
; %bb.84:
	v_mov_b32_e32 v1, 0
	v_mov_b32_e32 v3, 0
	v_add_nc_u32_e32 v87, -1, v0
	v_add_nc_u32_e32 v88, 0x280, v91
	v_mov_b32_e32 v2, 0
	v_mov_b32_e32 v4, 0
	v_add_nc_u32_e32 v89, 16, v91
	s_mov_b32 s5, 0
	.p2align	6
.LBB103_85:                             ; =>This Inner Loop Header: Depth=1
	s_clause 0x3
	buffer_load_dword v96, v89, s[0:3], 0 offen offset:8
	buffer_load_dword v97, v89, s[0:3], 0 offen offset:12
	buffer_load_dword v98, v89, s[0:3], 0 offen
	buffer_load_dword v99, v89, s[0:3], 0 offen offset:4
	ds_read_b128 v[92:95], v88
	v_add_nc_u32_e32 v87, 1, v87
	v_add_nc_u32_e32 v88, 16, v88
	;; [unrolled: 1-line block ×3, first 2 shown]
	v_cmp_lt_u32_e32 vcc_lo, 16, v87
	s_or_b32 s5, vcc_lo, s5
	s_waitcnt vmcnt(2) lgkmcnt(0)
	v_mul_f64 v[100:101], v[94:95], v[96:97]
	v_mul_f64 v[96:97], v[92:93], v[96:97]
	s_waitcnt vmcnt(0)
	v_fma_f64 v[92:93], v[92:93], v[98:99], -v[100:101]
	v_fma_f64 v[94:95], v[94:95], v[98:99], v[96:97]
	v_add_f64 v[3:4], v[3:4], v[92:93]
	v_add_f64 v[1:2], v[1:2], v[94:95]
	s_andn2_b32 exec_lo, exec_lo, s5
	s_cbranch_execnz .LBB103_85
; %bb.86:
	s_or_b32 exec_lo, exec_lo, s5
	v_mov_b32_e32 v87, 0
	ds_read_b128 v[87:90], v87 offset:288
	s_waitcnt lgkmcnt(0)
	v_mul_f64 v[92:93], v[1:2], v[89:90]
	v_mul_f64 v[89:90], v[3:4], v[89:90]
	v_fma_f64 v[3:4], v[3:4], v[87:88], -v[92:93]
	v_fma_f64 v[1:2], v[1:2], v[87:88], v[89:90]
	buffer_store_dword v4, off, s[0:3], 0 offset:308
	buffer_store_dword v3, off, s[0:3], 0 offset:304
	;; [unrolled: 1-line block ×4, first 2 shown]
.LBB103_87:
	s_or_b32 exec_lo, exec_lo, s4
	v_mov_b32_e32 v4, s33
	s_waitcnt_vscnt null, 0x0
	s_barrier
	buffer_gl0_inv
	s_mov_b32 s4, exec_lo
	s_clause 0x3
	buffer_load_dword v1, v4, s[0:3], 0 offen
	buffer_load_dword v2, v4, s[0:3], 0 offen offset:4
	buffer_load_dword v3, v4, s[0:3], 0 offen offset:8
	;; [unrolled: 1-line block ×3, first 2 shown]
	s_waitcnt vmcnt(0)
	ds_write_b128 v85, v[1:4]
	s_waitcnt lgkmcnt(0)
	s_barrier
	buffer_gl0_inv
	v_cmpx_gt_u32_e32 19, v0
	s_cbranch_execz .LBB103_91
; %bb.88:
	v_mov_b32_e32 v1, 0
	v_mov_b32_e32 v3, 0
	v_add_nc_u32_e32 v87, -1, v0
	v_add_nc_u32_e32 v88, 0x280, v91
	v_mov_b32_e32 v2, 0
	v_mov_b32_e32 v4, 0
	v_add_nc_u32_e32 v89, 16, v91
	s_mov_b32 s5, 0
	.p2align	6
.LBB103_89:                             ; =>This Inner Loop Header: Depth=1
	s_clause 0x3
	buffer_load_dword v96, v89, s[0:3], 0 offen offset:8
	buffer_load_dword v97, v89, s[0:3], 0 offen offset:12
	buffer_load_dword v98, v89, s[0:3], 0 offen
	buffer_load_dword v99, v89, s[0:3], 0 offen offset:4
	ds_read_b128 v[92:95], v88
	v_add_nc_u32_e32 v87, 1, v87
	v_add_nc_u32_e32 v88, 16, v88
	;; [unrolled: 1-line block ×3, first 2 shown]
	v_cmp_lt_u32_e32 vcc_lo, 17, v87
	s_or_b32 s5, vcc_lo, s5
	s_waitcnt vmcnt(2) lgkmcnt(0)
	v_mul_f64 v[100:101], v[94:95], v[96:97]
	v_mul_f64 v[96:97], v[92:93], v[96:97]
	s_waitcnt vmcnt(0)
	v_fma_f64 v[92:93], v[92:93], v[98:99], -v[100:101]
	v_fma_f64 v[94:95], v[94:95], v[98:99], v[96:97]
	v_add_f64 v[3:4], v[3:4], v[92:93]
	v_add_f64 v[1:2], v[1:2], v[94:95]
	s_andn2_b32 exec_lo, exec_lo, s5
	s_cbranch_execnz .LBB103_89
; %bb.90:
	s_or_b32 exec_lo, exec_lo, s5
	v_mov_b32_e32 v87, 0
	ds_read_b128 v[87:90], v87 offset:304
	s_waitcnt lgkmcnt(0)
	v_mul_f64 v[92:93], v[1:2], v[89:90]
	v_mul_f64 v[89:90], v[3:4], v[89:90]
	v_fma_f64 v[3:4], v[3:4], v[87:88], -v[92:93]
	v_fma_f64 v[1:2], v[1:2], v[87:88], v[89:90]
	buffer_store_dword v4, off, s[0:3], 0 offset:324
	buffer_store_dword v3, off, s[0:3], 0 offset:320
	buffer_store_dword v2, off, s[0:3], 0 offset:332
	buffer_store_dword v1, off, s[0:3], 0 offset:328
.LBB103_91:
	s_or_b32 exec_lo, exec_lo, s4
	v_mov_b32_e32 v4, s31
	s_waitcnt_vscnt null, 0x0
	s_barrier
	buffer_gl0_inv
	s_mov_b32 s4, exec_lo
	s_clause 0x3
	buffer_load_dword v1, v4, s[0:3], 0 offen
	buffer_load_dword v2, v4, s[0:3], 0 offen offset:4
	buffer_load_dword v3, v4, s[0:3], 0 offen offset:8
	;; [unrolled: 1-line block ×3, first 2 shown]
	s_waitcnt vmcnt(0)
	ds_write_b128 v85, v[1:4]
	s_waitcnt lgkmcnt(0)
	s_barrier
	buffer_gl0_inv
	v_cmpx_gt_u32_e32 20, v0
	s_cbranch_execz .LBB103_95
; %bb.92:
	v_mov_b32_e32 v1, 0
	v_mov_b32_e32 v3, 0
	v_add_nc_u32_e32 v87, -1, v0
	v_add_nc_u32_e32 v88, 0x280, v91
	v_mov_b32_e32 v2, 0
	v_mov_b32_e32 v4, 0
	v_add_nc_u32_e32 v89, 16, v91
	s_mov_b32 s5, 0
	.p2align	6
.LBB103_93:                             ; =>This Inner Loop Header: Depth=1
	s_clause 0x3
	buffer_load_dword v96, v89, s[0:3], 0 offen offset:8
	buffer_load_dword v97, v89, s[0:3], 0 offen offset:12
	buffer_load_dword v98, v89, s[0:3], 0 offen
	buffer_load_dword v99, v89, s[0:3], 0 offen offset:4
	ds_read_b128 v[92:95], v88
	v_add_nc_u32_e32 v87, 1, v87
	v_add_nc_u32_e32 v88, 16, v88
	;; [unrolled: 1-line block ×3, first 2 shown]
	v_cmp_lt_u32_e32 vcc_lo, 18, v87
	s_or_b32 s5, vcc_lo, s5
	s_waitcnt vmcnt(2) lgkmcnt(0)
	v_mul_f64 v[100:101], v[94:95], v[96:97]
	v_mul_f64 v[96:97], v[92:93], v[96:97]
	s_waitcnt vmcnt(0)
	v_fma_f64 v[92:93], v[92:93], v[98:99], -v[100:101]
	v_fma_f64 v[94:95], v[94:95], v[98:99], v[96:97]
	v_add_f64 v[3:4], v[3:4], v[92:93]
	v_add_f64 v[1:2], v[1:2], v[94:95]
	s_andn2_b32 exec_lo, exec_lo, s5
	s_cbranch_execnz .LBB103_93
; %bb.94:
	s_or_b32 exec_lo, exec_lo, s5
	v_mov_b32_e32 v87, 0
	ds_read_b128 v[87:90], v87 offset:320
	s_waitcnt lgkmcnt(0)
	v_mul_f64 v[92:93], v[1:2], v[89:90]
	v_mul_f64 v[89:90], v[3:4], v[89:90]
	v_fma_f64 v[3:4], v[3:4], v[87:88], -v[92:93]
	v_fma_f64 v[1:2], v[1:2], v[87:88], v[89:90]
	buffer_store_dword v4, off, s[0:3], 0 offset:340
	buffer_store_dword v3, off, s[0:3], 0 offset:336
	;; [unrolled: 1-line block ×4, first 2 shown]
.LBB103_95:
	s_or_b32 exec_lo, exec_lo, s4
	v_mov_b32_e32 v4, s30
	s_waitcnt_vscnt null, 0x0
	s_barrier
	buffer_gl0_inv
	s_mov_b32 s4, exec_lo
	s_clause 0x3
	buffer_load_dword v1, v4, s[0:3], 0 offen
	buffer_load_dword v2, v4, s[0:3], 0 offen offset:4
	buffer_load_dword v3, v4, s[0:3], 0 offen offset:8
	;; [unrolled: 1-line block ×3, first 2 shown]
	s_waitcnt vmcnt(0)
	ds_write_b128 v85, v[1:4]
	s_waitcnt lgkmcnt(0)
	s_barrier
	buffer_gl0_inv
	v_cmpx_gt_u32_e32 21, v0
	s_cbranch_execz .LBB103_99
; %bb.96:
	v_mov_b32_e32 v1, 0
	v_mov_b32_e32 v3, 0
	v_add_nc_u32_e32 v87, -1, v0
	v_add_nc_u32_e32 v88, 0x280, v91
	v_mov_b32_e32 v2, 0
	v_mov_b32_e32 v4, 0
	v_add_nc_u32_e32 v89, 16, v91
	s_mov_b32 s5, 0
	.p2align	6
.LBB103_97:                             ; =>This Inner Loop Header: Depth=1
	s_clause 0x3
	buffer_load_dword v96, v89, s[0:3], 0 offen offset:8
	buffer_load_dword v97, v89, s[0:3], 0 offen offset:12
	buffer_load_dword v98, v89, s[0:3], 0 offen
	buffer_load_dword v99, v89, s[0:3], 0 offen offset:4
	ds_read_b128 v[92:95], v88
	v_add_nc_u32_e32 v87, 1, v87
	v_add_nc_u32_e32 v88, 16, v88
	;; [unrolled: 1-line block ×3, first 2 shown]
	v_cmp_lt_u32_e32 vcc_lo, 19, v87
	s_or_b32 s5, vcc_lo, s5
	s_waitcnt vmcnt(2) lgkmcnt(0)
	v_mul_f64 v[100:101], v[94:95], v[96:97]
	v_mul_f64 v[96:97], v[92:93], v[96:97]
	s_waitcnt vmcnt(0)
	v_fma_f64 v[92:93], v[92:93], v[98:99], -v[100:101]
	v_fma_f64 v[94:95], v[94:95], v[98:99], v[96:97]
	v_add_f64 v[3:4], v[3:4], v[92:93]
	v_add_f64 v[1:2], v[1:2], v[94:95]
	s_andn2_b32 exec_lo, exec_lo, s5
	s_cbranch_execnz .LBB103_97
; %bb.98:
	s_or_b32 exec_lo, exec_lo, s5
	v_mov_b32_e32 v87, 0
	ds_read_b128 v[87:90], v87 offset:336
	s_waitcnt lgkmcnt(0)
	v_mul_f64 v[92:93], v[1:2], v[89:90]
	v_mul_f64 v[89:90], v[3:4], v[89:90]
	v_fma_f64 v[3:4], v[3:4], v[87:88], -v[92:93]
	v_fma_f64 v[1:2], v[1:2], v[87:88], v[89:90]
	buffer_store_dword v4, off, s[0:3], 0 offset:356
	buffer_store_dword v3, off, s[0:3], 0 offset:352
	;; [unrolled: 1-line block ×4, first 2 shown]
.LBB103_99:
	s_or_b32 exec_lo, exec_lo, s4
	v_mov_b32_e32 v4, s29
	s_waitcnt_vscnt null, 0x0
	s_barrier
	buffer_gl0_inv
	s_mov_b32 s4, exec_lo
	s_clause 0x3
	buffer_load_dword v1, v4, s[0:3], 0 offen
	buffer_load_dword v2, v4, s[0:3], 0 offen offset:4
	buffer_load_dword v3, v4, s[0:3], 0 offen offset:8
	;; [unrolled: 1-line block ×3, first 2 shown]
	s_waitcnt vmcnt(0)
	ds_write_b128 v85, v[1:4]
	s_waitcnt lgkmcnt(0)
	s_barrier
	buffer_gl0_inv
	v_cmpx_gt_u32_e32 22, v0
	s_cbranch_execz .LBB103_103
; %bb.100:
	v_mov_b32_e32 v1, 0
	v_mov_b32_e32 v3, 0
	v_add_nc_u32_e32 v87, -1, v0
	v_add_nc_u32_e32 v88, 0x280, v91
	v_mov_b32_e32 v2, 0
	v_mov_b32_e32 v4, 0
	v_add_nc_u32_e32 v89, 16, v91
	s_mov_b32 s5, 0
	.p2align	6
.LBB103_101:                            ; =>This Inner Loop Header: Depth=1
	s_clause 0x3
	buffer_load_dword v96, v89, s[0:3], 0 offen offset:8
	buffer_load_dword v97, v89, s[0:3], 0 offen offset:12
	buffer_load_dword v98, v89, s[0:3], 0 offen
	buffer_load_dword v99, v89, s[0:3], 0 offen offset:4
	ds_read_b128 v[92:95], v88
	v_add_nc_u32_e32 v87, 1, v87
	v_add_nc_u32_e32 v88, 16, v88
	v_add_nc_u32_e32 v89, 16, v89
	v_cmp_lt_u32_e32 vcc_lo, 20, v87
	s_or_b32 s5, vcc_lo, s5
	s_waitcnt vmcnt(2) lgkmcnt(0)
	v_mul_f64 v[100:101], v[94:95], v[96:97]
	v_mul_f64 v[96:97], v[92:93], v[96:97]
	s_waitcnt vmcnt(0)
	v_fma_f64 v[92:93], v[92:93], v[98:99], -v[100:101]
	v_fma_f64 v[94:95], v[94:95], v[98:99], v[96:97]
	v_add_f64 v[3:4], v[3:4], v[92:93]
	v_add_f64 v[1:2], v[1:2], v[94:95]
	s_andn2_b32 exec_lo, exec_lo, s5
	s_cbranch_execnz .LBB103_101
; %bb.102:
	s_or_b32 exec_lo, exec_lo, s5
	v_mov_b32_e32 v87, 0
	ds_read_b128 v[87:90], v87 offset:352
	s_waitcnt lgkmcnt(0)
	v_mul_f64 v[92:93], v[1:2], v[89:90]
	v_mul_f64 v[89:90], v[3:4], v[89:90]
	v_fma_f64 v[3:4], v[3:4], v[87:88], -v[92:93]
	v_fma_f64 v[1:2], v[1:2], v[87:88], v[89:90]
	buffer_store_dword v4, off, s[0:3], 0 offset:372
	buffer_store_dword v3, off, s[0:3], 0 offset:368
	;; [unrolled: 1-line block ×4, first 2 shown]
.LBB103_103:
	s_or_b32 exec_lo, exec_lo, s4
	v_mov_b32_e32 v4, s28
	s_waitcnt_vscnt null, 0x0
	s_barrier
	buffer_gl0_inv
	s_mov_b32 s4, exec_lo
	s_clause 0x3
	buffer_load_dword v1, v4, s[0:3], 0 offen
	buffer_load_dword v2, v4, s[0:3], 0 offen offset:4
	buffer_load_dword v3, v4, s[0:3], 0 offen offset:8
	;; [unrolled: 1-line block ×3, first 2 shown]
	s_waitcnt vmcnt(0)
	ds_write_b128 v85, v[1:4]
	s_waitcnt lgkmcnt(0)
	s_barrier
	buffer_gl0_inv
	v_cmpx_gt_u32_e32 23, v0
	s_cbranch_execz .LBB103_107
; %bb.104:
	v_mov_b32_e32 v1, 0
	v_mov_b32_e32 v3, 0
	v_add_nc_u32_e32 v87, -1, v0
	v_add_nc_u32_e32 v88, 0x280, v91
	v_mov_b32_e32 v2, 0
	v_mov_b32_e32 v4, 0
	v_add_nc_u32_e32 v89, 16, v91
	s_mov_b32 s5, 0
	.p2align	6
.LBB103_105:                            ; =>This Inner Loop Header: Depth=1
	s_clause 0x3
	buffer_load_dword v96, v89, s[0:3], 0 offen offset:8
	buffer_load_dword v97, v89, s[0:3], 0 offen offset:12
	buffer_load_dword v98, v89, s[0:3], 0 offen
	buffer_load_dword v99, v89, s[0:3], 0 offen offset:4
	ds_read_b128 v[92:95], v88
	v_add_nc_u32_e32 v87, 1, v87
	v_add_nc_u32_e32 v88, 16, v88
	;; [unrolled: 1-line block ×3, first 2 shown]
	v_cmp_lt_u32_e32 vcc_lo, 21, v87
	s_or_b32 s5, vcc_lo, s5
	s_waitcnt vmcnt(2) lgkmcnt(0)
	v_mul_f64 v[100:101], v[94:95], v[96:97]
	v_mul_f64 v[96:97], v[92:93], v[96:97]
	s_waitcnt vmcnt(0)
	v_fma_f64 v[92:93], v[92:93], v[98:99], -v[100:101]
	v_fma_f64 v[94:95], v[94:95], v[98:99], v[96:97]
	v_add_f64 v[3:4], v[3:4], v[92:93]
	v_add_f64 v[1:2], v[1:2], v[94:95]
	s_andn2_b32 exec_lo, exec_lo, s5
	s_cbranch_execnz .LBB103_105
; %bb.106:
	s_or_b32 exec_lo, exec_lo, s5
	v_mov_b32_e32 v87, 0
	ds_read_b128 v[87:90], v87 offset:368
	s_waitcnt lgkmcnt(0)
	v_mul_f64 v[92:93], v[1:2], v[89:90]
	v_mul_f64 v[89:90], v[3:4], v[89:90]
	v_fma_f64 v[3:4], v[3:4], v[87:88], -v[92:93]
	v_fma_f64 v[1:2], v[1:2], v[87:88], v[89:90]
	buffer_store_dword v4, off, s[0:3], 0 offset:388
	buffer_store_dword v3, off, s[0:3], 0 offset:384
	;; [unrolled: 1-line block ×4, first 2 shown]
.LBB103_107:
	s_or_b32 exec_lo, exec_lo, s4
	v_mov_b32_e32 v4, s27
	s_waitcnt_vscnt null, 0x0
	s_barrier
	buffer_gl0_inv
	s_mov_b32 s4, exec_lo
	s_clause 0x3
	buffer_load_dword v1, v4, s[0:3], 0 offen
	buffer_load_dword v2, v4, s[0:3], 0 offen offset:4
	buffer_load_dword v3, v4, s[0:3], 0 offen offset:8
	;; [unrolled: 1-line block ×3, first 2 shown]
	s_waitcnt vmcnt(0)
	ds_write_b128 v85, v[1:4]
	s_waitcnt lgkmcnt(0)
	s_barrier
	buffer_gl0_inv
	v_cmpx_gt_u32_e32 24, v0
	s_cbranch_execz .LBB103_111
; %bb.108:
	v_mov_b32_e32 v1, 0
	v_mov_b32_e32 v3, 0
	v_add_nc_u32_e32 v87, -1, v0
	v_add_nc_u32_e32 v88, 0x280, v91
	v_mov_b32_e32 v2, 0
	v_mov_b32_e32 v4, 0
	v_add_nc_u32_e32 v89, 16, v91
	s_mov_b32 s5, 0
	.p2align	6
.LBB103_109:                            ; =>This Inner Loop Header: Depth=1
	s_clause 0x3
	buffer_load_dword v96, v89, s[0:3], 0 offen offset:8
	buffer_load_dword v97, v89, s[0:3], 0 offen offset:12
	buffer_load_dword v98, v89, s[0:3], 0 offen
	buffer_load_dword v99, v89, s[0:3], 0 offen offset:4
	ds_read_b128 v[92:95], v88
	v_add_nc_u32_e32 v87, 1, v87
	v_add_nc_u32_e32 v88, 16, v88
	;; [unrolled: 1-line block ×3, first 2 shown]
	v_cmp_lt_u32_e32 vcc_lo, 22, v87
	s_or_b32 s5, vcc_lo, s5
	s_waitcnt vmcnt(2) lgkmcnt(0)
	v_mul_f64 v[100:101], v[94:95], v[96:97]
	v_mul_f64 v[96:97], v[92:93], v[96:97]
	s_waitcnt vmcnt(0)
	v_fma_f64 v[92:93], v[92:93], v[98:99], -v[100:101]
	v_fma_f64 v[94:95], v[94:95], v[98:99], v[96:97]
	v_add_f64 v[3:4], v[3:4], v[92:93]
	v_add_f64 v[1:2], v[1:2], v[94:95]
	s_andn2_b32 exec_lo, exec_lo, s5
	s_cbranch_execnz .LBB103_109
; %bb.110:
	s_or_b32 exec_lo, exec_lo, s5
	v_mov_b32_e32 v87, 0
	ds_read_b128 v[87:90], v87 offset:384
	s_waitcnt lgkmcnt(0)
	v_mul_f64 v[92:93], v[1:2], v[89:90]
	v_mul_f64 v[89:90], v[3:4], v[89:90]
	v_fma_f64 v[3:4], v[3:4], v[87:88], -v[92:93]
	v_fma_f64 v[1:2], v[1:2], v[87:88], v[89:90]
	buffer_store_dword v4, off, s[0:3], 0 offset:404
	buffer_store_dword v3, off, s[0:3], 0 offset:400
	;; [unrolled: 1-line block ×4, first 2 shown]
.LBB103_111:
	s_or_b32 exec_lo, exec_lo, s4
	v_mov_b32_e32 v4, s26
	s_waitcnt_vscnt null, 0x0
	s_barrier
	buffer_gl0_inv
	s_mov_b32 s4, exec_lo
	s_clause 0x3
	buffer_load_dword v1, v4, s[0:3], 0 offen
	buffer_load_dword v2, v4, s[0:3], 0 offen offset:4
	buffer_load_dword v3, v4, s[0:3], 0 offen offset:8
	;; [unrolled: 1-line block ×3, first 2 shown]
	s_waitcnt vmcnt(0)
	ds_write_b128 v85, v[1:4]
	s_waitcnt lgkmcnt(0)
	s_barrier
	buffer_gl0_inv
	v_cmpx_gt_u32_e32 25, v0
	s_cbranch_execz .LBB103_115
; %bb.112:
	v_mov_b32_e32 v1, 0
	v_mov_b32_e32 v3, 0
	v_add_nc_u32_e32 v87, -1, v0
	v_add_nc_u32_e32 v88, 0x280, v91
	v_mov_b32_e32 v2, 0
	v_mov_b32_e32 v4, 0
	v_add_nc_u32_e32 v89, 16, v91
	s_mov_b32 s5, 0
	.p2align	6
.LBB103_113:                            ; =>This Inner Loop Header: Depth=1
	s_clause 0x3
	buffer_load_dword v96, v89, s[0:3], 0 offen offset:8
	buffer_load_dword v97, v89, s[0:3], 0 offen offset:12
	buffer_load_dword v98, v89, s[0:3], 0 offen
	buffer_load_dword v99, v89, s[0:3], 0 offen offset:4
	ds_read_b128 v[92:95], v88
	v_add_nc_u32_e32 v87, 1, v87
	v_add_nc_u32_e32 v88, 16, v88
	;; [unrolled: 1-line block ×3, first 2 shown]
	v_cmp_lt_u32_e32 vcc_lo, 23, v87
	s_or_b32 s5, vcc_lo, s5
	s_waitcnt vmcnt(2) lgkmcnt(0)
	v_mul_f64 v[100:101], v[94:95], v[96:97]
	v_mul_f64 v[96:97], v[92:93], v[96:97]
	s_waitcnt vmcnt(0)
	v_fma_f64 v[92:93], v[92:93], v[98:99], -v[100:101]
	v_fma_f64 v[94:95], v[94:95], v[98:99], v[96:97]
	v_add_f64 v[3:4], v[3:4], v[92:93]
	v_add_f64 v[1:2], v[1:2], v[94:95]
	s_andn2_b32 exec_lo, exec_lo, s5
	s_cbranch_execnz .LBB103_113
; %bb.114:
	s_or_b32 exec_lo, exec_lo, s5
	v_mov_b32_e32 v87, 0
	ds_read_b128 v[87:90], v87 offset:400
	s_waitcnt lgkmcnt(0)
	v_mul_f64 v[92:93], v[1:2], v[89:90]
	v_mul_f64 v[89:90], v[3:4], v[89:90]
	v_fma_f64 v[3:4], v[3:4], v[87:88], -v[92:93]
	v_fma_f64 v[1:2], v[1:2], v[87:88], v[89:90]
	buffer_store_dword v4, off, s[0:3], 0 offset:420
	buffer_store_dword v3, off, s[0:3], 0 offset:416
	buffer_store_dword v2, off, s[0:3], 0 offset:428
	buffer_store_dword v1, off, s[0:3], 0 offset:424
.LBB103_115:
	s_or_b32 exec_lo, exec_lo, s4
	v_mov_b32_e32 v4, s25
	s_waitcnt_vscnt null, 0x0
	s_barrier
	buffer_gl0_inv
	s_mov_b32 s4, exec_lo
	s_clause 0x3
	buffer_load_dword v1, v4, s[0:3], 0 offen
	buffer_load_dword v2, v4, s[0:3], 0 offen offset:4
	buffer_load_dword v3, v4, s[0:3], 0 offen offset:8
	;; [unrolled: 1-line block ×3, first 2 shown]
	s_waitcnt vmcnt(0)
	ds_write_b128 v85, v[1:4]
	s_waitcnt lgkmcnt(0)
	s_barrier
	buffer_gl0_inv
	v_cmpx_gt_u32_e32 26, v0
	s_cbranch_execz .LBB103_119
; %bb.116:
	v_mov_b32_e32 v1, 0
	v_mov_b32_e32 v3, 0
	v_add_nc_u32_e32 v87, -1, v0
	v_add_nc_u32_e32 v88, 0x280, v91
	v_mov_b32_e32 v2, 0
	v_mov_b32_e32 v4, 0
	v_add_nc_u32_e32 v89, 16, v91
	s_mov_b32 s5, 0
	.p2align	6
.LBB103_117:                            ; =>This Inner Loop Header: Depth=1
	s_clause 0x3
	buffer_load_dword v96, v89, s[0:3], 0 offen offset:8
	buffer_load_dword v97, v89, s[0:3], 0 offen offset:12
	buffer_load_dword v98, v89, s[0:3], 0 offen
	buffer_load_dword v99, v89, s[0:3], 0 offen offset:4
	ds_read_b128 v[92:95], v88
	v_add_nc_u32_e32 v87, 1, v87
	v_add_nc_u32_e32 v88, 16, v88
	;; [unrolled: 1-line block ×3, first 2 shown]
	v_cmp_lt_u32_e32 vcc_lo, 24, v87
	s_or_b32 s5, vcc_lo, s5
	s_waitcnt vmcnt(2) lgkmcnt(0)
	v_mul_f64 v[100:101], v[94:95], v[96:97]
	v_mul_f64 v[96:97], v[92:93], v[96:97]
	s_waitcnt vmcnt(0)
	v_fma_f64 v[92:93], v[92:93], v[98:99], -v[100:101]
	v_fma_f64 v[94:95], v[94:95], v[98:99], v[96:97]
	v_add_f64 v[3:4], v[3:4], v[92:93]
	v_add_f64 v[1:2], v[1:2], v[94:95]
	s_andn2_b32 exec_lo, exec_lo, s5
	s_cbranch_execnz .LBB103_117
; %bb.118:
	s_or_b32 exec_lo, exec_lo, s5
	v_mov_b32_e32 v87, 0
	ds_read_b128 v[87:90], v87 offset:416
	s_waitcnt lgkmcnt(0)
	v_mul_f64 v[92:93], v[1:2], v[89:90]
	v_mul_f64 v[89:90], v[3:4], v[89:90]
	v_fma_f64 v[3:4], v[3:4], v[87:88], -v[92:93]
	v_fma_f64 v[1:2], v[1:2], v[87:88], v[89:90]
	buffer_store_dword v4, off, s[0:3], 0 offset:436
	buffer_store_dword v3, off, s[0:3], 0 offset:432
	;; [unrolled: 1-line block ×4, first 2 shown]
.LBB103_119:
	s_or_b32 exec_lo, exec_lo, s4
	v_mov_b32_e32 v4, s24
	s_waitcnt_vscnt null, 0x0
	s_barrier
	buffer_gl0_inv
	s_mov_b32 s4, exec_lo
	s_clause 0x3
	buffer_load_dword v1, v4, s[0:3], 0 offen
	buffer_load_dword v2, v4, s[0:3], 0 offen offset:4
	buffer_load_dword v3, v4, s[0:3], 0 offen offset:8
	;; [unrolled: 1-line block ×3, first 2 shown]
	s_waitcnt vmcnt(0)
	ds_write_b128 v85, v[1:4]
	s_waitcnt lgkmcnt(0)
	s_barrier
	buffer_gl0_inv
	v_cmpx_gt_u32_e32 27, v0
	s_cbranch_execz .LBB103_123
; %bb.120:
	v_mov_b32_e32 v1, 0
	v_mov_b32_e32 v3, 0
	v_add_nc_u32_e32 v87, -1, v0
	v_add_nc_u32_e32 v88, 0x280, v91
	v_mov_b32_e32 v2, 0
	v_mov_b32_e32 v4, 0
	v_add_nc_u32_e32 v89, 16, v91
	s_mov_b32 s5, 0
	.p2align	6
.LBB103_121:                            ; =>This Inner Loop Header: Depth=1
	s_clause 0x3
	buffer_load_dword v96, v89, s[0:3], 0 offen offset:8
	buffer_load_dword v97, v89, s[0:3], 0 offen offset:12
	buffer_load_dword v98, v89, s[0:3], 0 offen
	buffer_load_dword v99, v89, s[0:3], 0 offen offset:4
	ds_read_b128 v[92:95], v88
	v_add_nc_u32_e32 v87, 1, v87
	v_add_nc_u32_e32 v88, 16, v88
	;; [unrolled: 1-line block ×3, first 2 shown]
	v_cmp_lt_u32_e32 vcc_lo, 25, v87
	s_or_b32 s5, vcc_lo, s5
	s_waitcnt vmcnt(2) lgkmcnt(0)
	v_mul_f64 v[100:101], v[94:95], v[96:97]
	v_mul_f64 v[96:97], v[92:93], v[96:97]
	s_waitcnt vmcnt(0)
	v_fma_f64 v[92:93], v[92:93], v[98:99], -v[100:101]
	v_fma_f64 v[94:95], v[94:95], v[98:99], v[96:97]
	v_add_f64 v[3:4], v[3:4], v[92:93]
	v_add_f64 v[1:2], v[1:2], v[94:95]
	s_andn2_b32 exec_lo, exec_lo, s5
	s_cbranch_execnz .LBB103_121
; %bb.122:
	s_or_b32 exec_lo, exec_lo, s5
	v_mov_b32_e32 v87, 0
	ds_read_b128 v[87:90], v87 offset:432
	s_waitcnt lgkmcnt(0)
	v_mul_f64 v[92:93], v[1:2], v[89:90]
	v_mul_f64 v[89:90], v[3:4], v[89:90]
	v_fma_f64 v[3:4], v[3:4], v[87:88], -v[92:93]
	v_fma_f64 v[1:2], v[1:2], v[87:88], v[89:90]
	buffer_store_dword v4, off, s[0:3], 0 offset:452
	buffer_store_dword v3, off, s[0:3], 0 offset:448
	;; [unrolled: 1-line block ×4, first 2 shown]
.LBB103_123:
	s_or_b32 exec_lo, exec_lo, s4
	v_mov_b32_e32 v4, s23
	s_waitcnt_vscnt null, 0x0
	s_barrier
	buffer_gl0_inv
	s_mov_b32 s4, exec_lo
	s_clause 0x3
	buffer_load_dword v1, v4, s[0:3], 0 offen
	buffer_load_dword v2, v4, s[0:3], 0 offen offset:4
	buffer_load_dword v3, v4, s[0:3], 0 offen offset:8
	;; [unrolled: 1-line block ×3, first 2 shown]
	s_waitcnt vmcnt(0)
	ds_write_b128 v85, v[1:4]
	s_waitcnt lgkmcnt(0)
	s_barrier
	buffer_gl0_inv
	v_cmpx_gt_u32_e32 28, v0
	s_cbranch_execz .LBB103_127
; %bb.124:
	v_mov_b32_e32 v1, 0
	v_mov_b32_e32 v3, 0
	v_add_nc_u32_e32 v87, -1, v0
	v_add_nc_u32_e32 v88, 0x280, v91
	v_mov_b32_e32 v2, 0
	v_mov_b32_e32 v4, 0
	v_add_nc_u32_e32 v89, 16, v91
	s_mov_b32 s5, 0
	.p2align	6
.LBB103_125:                            ; =>This Inner Loop Header: Depth=1
	s_clause 0x3
	buffer_load_dword v96, v89, s[0:3], 0 offen offset:8
	buffer_load_dword v97, v89, s[0:3], 0 offen offset:12
	buffer_load_dword v98, v89, s[0:3], 0 offen
	buffer_load_dword v99, v89, s[0:3], 0 offen offset:4
	ds_read_b128 v[92:95], v88
	v_add_nc_u32_e32 v87, 1, v87
	v_add_nc_u32_e32 v88, 16, v88
	;; [unrolled: 1-line block ×3, first 2 shown]
	v_cmp_lt_u32_e32 vcc_lo, 26, v87
	s_or_b32 s5, vcc_lo, s5
	s_waitcnt vmcnt(2) lgkmcnt(0)
	v_mul_f64 v[100:101], v[94:95], v[96:97]
	v_mul_f64 v[96:97], v[92:93], v[96:97]
	s_waitcnt vmcnt(0)
	v_fma_f64 v[92:93], v[92:93], v[98:99], -v[100:101]
	v_fma_f64 v[94:95], v[94:95], v[98:99], v[96:97]
	v_add_f64 v[3:4], v[3:4], v[92:93]
	v_add_f64 v[1:2], v[1:2], v[94:95]
	s_andn2_b32 exec_lo, exec_lo, s5
	s_cbranch_execnz .LBB103_125
; %bb.126:
	s_or_b32 exec_lo, exec_lo, s5
	v_mov_b32_e32 v87, 0
	ds_read_b128 v[87:90], v87 offset:448
	s_waitcnt lgkmcnt(0)
	v_mul_f64 v[92:93], v[1:2], v[89:90]
	v_mul_f64 v[89:90], v[3:4], v[89:90]
	v_fma_f64 v[3:4], v[3:4], v[87:88], -v[92:93]
	v_fma_f64 v[1:2], v[1:2], v[87:88], v[89:90]
	buffer_store_dword v4, off, s[0:3], 0 offset:468
	buffer_store_dword v3, off, s[0:3], 0 offset:464
	;; [unrolled: 1-line block ×4, first 2 shown]
.LBB103_127:
	s_or_b32 exec_lo, exec_lo, s4
	v_mov_b32_e32 v4, s22
	s_waitcnt_vscnt null, 0x0
	s_barrier
	buffer_gl0_inv
	s_mov_b32 s4, exec_lo
	s_clause 0x3
	buffer_load_dword v1, v4, s[0:3], 0 offen
	buffer_load_dword v2, v4, s[0:3], 0 offen offset:4
	buffer_load_dword v3, v4, s[0:3], 0 offen offset:8
	;; [unrolled: 1-line block ×3, first 2 shown]
	s_waitcnt vmcnt(0)
	ds_write_b128 v85, v[1:4]
	s_waitcnt lgkmcnt(0)
	s_barrier
	buffer_gl0_inv
	v_cmpx_gt_u32_e32 29, v0
	s_cbranch_execz .LBB103_131
; %bb.128:
	v_mov_b32_e32 v1, 0
	v_mov_b32_e32 v3, 0
	v_add_nc_u32_e32 v87, -1, v0
	v_add_nc_u32_e32 v88, 0x280, v91
	v_mov_b32_e32 v2, 0
	v_mov_b32_e32 v4, 0
	v_add_nc_u32_e32 v89, 16, v91
	s_mov_b32 s5, 0
	.p2align	6
.LBB103_129:                            ; =>This Inner Loop Header: Depth=1
	s_clause 0x3
	buffer_load_dword v96, v89, s[0:3], 0 offen offset:8
	buffer_load_dword v97, v89, s[0:3], 0 offen offset:12
	buffer_load_dword v98, v89, s[0:3], 0 offen
	buffer_load_dword v99, v89, s[0:3], 0 offen offset:4
	ds_read_b128 v[92:95], v88
	v_add_nc_u32_e32 v87, 1, v87
	v_add_nc_u32_e32 v88, 16, v88
	;; [unrolled: 1-line block ×3, first 2 shown]
	v_cmp_lt_u32_e32 vcc_lo, 27, v87
	s_or_b32 s5, vcc_lo, s5
	s_waitcnt vmcnt(2) lgkmcnt(0)
	v_mul_f64 v[100:101], v[94:95], v[96:97]
	v_mul_f64 v[96:97], v[92:93], v[96:97]
	s_waitcnt vmcnt(0)
	v_fma_f64 v[92:93], v[92:93], v[98:99], -v[100:101]
	v_fma_f64 v[94:95], v[94:95], v[98:99], v[96:97]
	v_add_f64 v[3:4], v[3:4], v[92:93]
	v_add_f64 v[1:2], v[1:2], v[94:95]
	s_andn2_b32 exec_lo, exec_lo, s5
	s_cbranch_execnz .LBB103_129
; %bb.130:
	s_or_b32 exec_lo, exec_lo, s5
	v_mov_b32_e32 v87, 0
	ds_read_b128 v[87:90], v87 offset:464
	s_waitcnt lgkmcnt(0)
	v_mul_f64 v[92:93], v[1:2], v[89:90]
	v_mul_f64 v[89:90], v[3:4], v[89:90]
	v_fma_f64 v[3:4], v[3:4], v[87:88], -v[92:93]
	v_fma_f64 v[1:2], v[1:2], v[87:88], v[89:90]
	buffer_store_dword v4, off, s[0:3], 0 offset:484
	buffer_store_dword v3, off, s[0:3], 0 offset:480
	;; [unrolled: 1-line block ×4, first 2 shown]
.LBB103_131:
	s_or_b32 exec_lo, exec_lo, s4
	v_mov_b32_e32 v4, s21
	s_waitcnt_vscnt null, 0x0
	s_barrier
	buffer_gl0_inv
	s_mov_b32 s4, exec_lo
	s_clause 0x3
	buffer_load_dword v1, v4, s[0:3], 0 offen
	buffer_load_dword v2, v4, s[0:3], 0 offen offset:4
	buffer_load_dword v3, v4, s[0:3], 0 offen offset:8
	buffer_load_dword v4, v4, s[0:3], 0 offen offset:12
	s_waitcnt vmcnt(0)
	ds_write_b128 v85, v[1:4]
	s_waitcnt lgkmcnt(0)
	s_barrier
	buffer_gl0_inv
	v_cmpx_gt_u32_e32 30, v0
	s_cbranch_execz .LBB103_135
; %bb.132:
	v_mov_b32_e32 v1, 0
	v_mov_b32_e32 v3, 0
	v_add_nc_u32_e32 v87, -1, v0
	v_add_nc_u32_e32 v88, 0x280, v91
	v_mov_b32_e32 v2, 0
	v_mov_b32_e32 v4, 0
	v_add_nc_u32_e32 v89, 16, v91
	s_mov_b32 s5, 0
	.p2align	6
.LBB103_133:                            ; =>This Inner Loop Header: Depth=1
	s_clause 0x3
	buffer_load_dword v96, v89, s[0:3], 0 offen offset:8
	buffer_load_dword v97, v89, s[0:3], 0 offen offset:12
	buffer_load_dword v98, v89, s[0:3], 0 offen
	buffer_load_dword v99, v89, s[0:3], 0 offen offset:4
	ds_read_b128 v[92:95], v88
	v_add_nc_u32_e32 v87, 1, v87
	v_add_nc_u32_e32 v88, 16, v88
	;; [unrolled: 1-line block ×3, first 2 shown]
	v_cmp_lt_u32_e32 vcc_lo, 28, v87
	s_or_b32 s5, vcc_lo, s5
	s_waitcnt vmcnt(2) lgkmcnt(0)
	v_mul_f64 v[100:101], v[94:95], v[96:97]
	v_mul_f64 v[96:97], v[92:93], v[96:97]
	s_waitcnt vmcnt(0)
	v_fma_f64 v[92:93], v[92:93], v[98:99], -v[100:101]
	v_fma_f64 v[94:95], v[94:95], v[98:99], v[96:97]
	v_add_f64 v[3:4], v[3:4], v[92:93]
	v_add_f64 v[1:2], v[1:2], v[94:95]
	s_andn2_b32 exec_lo, exec_lo, s5
	s_cbranch_execnz .LBB103_133
; %bb.134:
	s_or_b32 exec_lo, exec_lo, s5
	v_mov_b32_e32 v87, 0
	ds_read_b128 v[87:90], v87 offset:480
	s_waitcnt lgkmcnt(0)
	v_mul_f64 v[92:93], v[1:2], v[89:90]
	v_mul_f64 v[89:90], v[3:4], v[89:90]
	v_fma_f64 v[3:4], v[3:4], v[87:88], -v[92:93]
	v_fma_f64 v[1:2], v[1:2], v[87:88], v[89:90]
	buffer_store_dword v4, off, s[0:3], 0 offset:500
	buffer_store_dword v3, off, s[0:3], 0 offset:496
	;; [unrolled: 1-line block ×4, first 2 shown]
.LBB103_135:
	s_or_b32 exec_lo, exec_lo, s4
	v_mov_b32_e32 v4, s20
	s_waitcnt_vscnt null, 0x0
	s_barrier
	buffer_gl0_inv
	s_mov_b32 s4, exec_lo
	s_clause 0x3
	buffer_load_dword v1, v4, s[0:3], 0 offen
	buffer_load_dword v2, v4, s[0:3], 0 offen offset:4
	buffer_load_dword v3, v4, s[0:3], 0 offen offset:8
	;; [unrolled: 1-line block ×3, first 2 shown]
	s_waitcnt vmcnt(0)
	ds_write_b128 v85, v[1:4]
	s_waitcnt lgkmcnt(0)
	s_barrier
	buffer_gl0_inv
	v_cmpx_gt_u32_e32 31, v0
	s_cbranch_execz .LBB103_139
; %bb.136:
	v_mov_b32_e32 v1, 0
	v_mov_b32_e32 v3, 0
	v_add_nc_u32_e32 v87, -1, v0
	v_add_nc_u32_e32 v88, 0x280, v91
	v_mov_b32_e32 v2, 0
	v_mov_b32_e32 v4, 0
	v_add_nc_u32_e32 v89, 16, v91
	s_mov_b32 s5, 0
	.p2align	6
.LBB103_137:                            ; =>This Inner Loop Header: Depth=1
	s_clause 0x3
	buffer_load_dword v96, v89, s[0:3], 0 offen offset:8
	buffer_load_dword v97, v89, s[0:3], 0 offen offset:12
	buffer_load_dword v98, v89, s[0:3], 0 offen
	buffer_load_dword v99, v89, s[0:3], 0 offen offset:4
	ds_read_b128 v[92:95], v88
	v_add_nc_u32_e32 v87, 1, v87
	v_add_nc_u32_e32 v88, 16, v88
	;; [unrolled: 1-line block ×3, first 2 shown]
	v_cmp_lt_u32_e32 vcc_lo, 29, v87
	s_or_b32 s5, vcc_lo, s5
	s_waitcnt vmcnt(2) lgkmcnt(0)
	v_mul_f64 v[100:101], v[94:95], v[96:97]
	v_mul_f64 v[96:97], v[92:93], v[96:97]
	s_waitcnt vmcnt(0)
	v_fma_f64 v[92:93], v[92:93], v[98:99], -v[100:101]
	v_fma_f64 v[94:95], v[94:95], v[98:99], v[96:97]
	v_add_f64 v[3:4], v[3:4], v[92:93]
	v_add_f64 v[1:2], v[1:2], v[94:95]
	s_andn2_b32 exec_lo, exec_lo, s5
	s_cbranch_execnz .LBB103_137
; %bb.138:
	s_or_b32 exec_lo, exec_lo, s5
	v_mov_b32_e32 v87, 0
	ds_read_b128 v[87:90], v87 offset:496
	s_waitcnt lgkmcnt(0)
	v_mul_f64 v[92:93], v[1:2], v[89:90]
	v_mul_f64 v[89:90], v[3:4], v[89:90]
	v_fma_f64 v[3:4], v[3:4], v[87:88], -v[92:93]
	v_fma_f64 v[1:2], v[1:2], v[87:88], v[89:90]
	buffer_store_dword v4, off, s[0:3], 0 offset:516
	buffer_store_dword v3, off, s[0:3], 0 offset:512
	;; [unrolled: 1-line block ×4, first 2 shown]
.LBB103_139:
	s_or_b32 exec_lo, exec_lo, s4
	v_mov_b32_e32 v4, s19
	s_waitcnt_vscnt null, 0x0
	s_barrier
	buffer_gl0_inv
	s_mov_b32 s4, exec_lo
	s_clause 0x3
	buffer_load_dword v1, v4, s[0:3], 0 offen
	buffer_load_dword v2, v4, s[0:3], 0 offen offset:4
	buffer_load_dword v3, v4, s[0:3], 0 offen offset:8
	;; [unrolled: 1-line block ×3, first 2 shown]
	s_waitcnt vmcnt(0)
	ds_write_b128 v85, v[1:4]
	s_waitcnt lgkmcnt(0)
	s_barrier
	buffer_gl0_inv
	v_cmpx_gt_u32_e32 32, v0
	s_cbranch_execz .LBB103_143
; %bb.140:
	v_mov_b32_e32 v1, 0
	v_mov_b32_e32 v3, 0
	v_add_nc_u32_e32 v87, -1, v0
	v_add_nc_u32_e32 v88, 0x280, v91
	v_mov_b32_e32 v2, 0
	v_mov_b32_e32 v4, 0
	v_add_nc_u32_e32 v89, 16, v91
	s_mov_b32 s5, 0
	.p2align	6
.LBB103_141:                            ; =>This Inner Loop Header: Depth=1
	s_clause 0x3
	buffer_load_dword v96, v89, s[0:3], 0 offen offset:8
	buffer_load_dword v97, v89, s[0:3], 0 offen offset:12
	buffer_load_dword v98, v89, s[0:3], 0 offen
	buffer_load_dword v99, v89, s[0:3], 0 offen offset:4
	ds_read_b128 v[92:95], v88
	v_add_nc_u32_e32 v87, 1, v87
	v_add_nc_u32_e32 v88, 16, v88
	;; [unrolled: 1-line block ×3, first 2 shown]
	v_cmp_lt_u32_e32 vcc_lo, 30, v87
	s_or_b32 s5, vcc_lo, s5
	s_waitcnt vmcnt(2) lgkmcnt(0)
	v_mul_f64 v[100:101], v[94:95], v[96:97]
	v_mul_f64 v[96:97], v[92:93], v[96:97]
	s_waitcnt vmcnt(0)
	v_fma_f64 v[92:93], v[92:93], v[98:99], -v[100:101]
	v_fma_f64 v[94:95], v[94:95], v[98:99], v[96:97]
	v_add_f64 v[3:4], v[3:4], v[92:93]
	v_add_f64 v[1:2], v[1:2], v[94:95]
	s_andn2_b32 exec_lo, exec_lo, s5
	s_cbranch_execnz .LBB103_141
; %bb.142:
	s_or_b32 exec_lo, exec_lo, s5
	v_mov_b32_e32 v87, 0
	ds_read_b128 v[87:90], v87 offset:512
	s_waitcnt lgkmcnt(0)
	v_mul_f64 v[92:93], v[1:2], v[89:90]
	v_mul_f64 v[89:90], v[3:4], v[89:90]
	v_fma_f64 v[3:4], v[3:4], v[87:88], -v[92:93]
	v_fma_f64 v[1:2], v[1:2], v[87:88], v[89:90]
	buffer_store_dword v4, off, s[0:3], 0 offset:532
	buffer_store_dword v3, off, s[0:3], 0 offset:528
	;; [unrolled: 1-line block ×4, first 2 shown]
.LBB103_143:
	s_or_b32 exec_lo, exec_lo, s4
	v_mov_b32_e32 v4, s18
	s_waitcnt_vscnt null, 0x0
	s_barrier
	buffer_gl0_inv
	s_mov_b32 s4, exec_lo
	s_clause 0x3
	buffer_load_dword v1, v4, s[0:3], 0 offen
	buffer_load_dword v2, v4, s[0:3], 0 offen offset:4
	buffer_load_dword v3, v4, s[0:3], 0 offen offset:8
	;; [unrolled: 1-line block ×3, first 2 shown]
	s_waitcnt vmcnt(0)
	ds_write_b128 v85, v[1:4]
	s_waitcnt lgkmcnt(0)
	s_barrier
	buffer_gl0_inv
	v_cmpx_gt_u32_e32 33, v0
	s_cbranch_execz .LBB103_147
; %bb.144:
	v_mov_b32_e32 v1, 0
	v_mov_b32_e32 v3, 0
	v_add_nc_u32_e32 v87, -1, v0
	v_add_nc_u32_e32 v88, 0x280, v91
	v_mov_b32_e32 v2, 0
	v_mov_b32_e32 v4, 0
	v_add_nc_u32_e32 v89, 16, v91
	s_mov_b32 s5, 0
	.p2align	6
.LBB103_145:                            ; =>This Inner Loop Header: Depth=1
	s_clause 0x3
	buffer_load_dword v96, v89, s[0:3], 0 offen offset:8
	buffer_load_dword v97, v89, s[0:3], 0 offen offset:12
	buffer_load_dword v98, v89, s[0:3], 0 offen
	buffer_load_dword v99, v89, s[0:3], 0 offen offset:4
	ds_read_b128 v[92:95], v88
	v_add_nc_u32_e32 v87, 1, v87
	v_add_nc_u32_e32 v88, 16, v88
	;; [unrolled: 1-line block ×3, first 2 shown]
	v_cmp_lt_u32_e32 vcc_lo, 31, v87
	s_or_b32 s5, vcc_lo, s5
	s_waitcnt vmcnt(2) lgkmcnt(0)
	v_mul_f64 v[100:101], v[94:95], v[96:97]
	v_mul_f64 v[96:97], v[92:93], v[96:97]
	s_waitcnt vmcnt(0)
	v_fma_f64 v[92:93], v[92:93], v[98:99], -v[100:101]
	v_fma_f64 v[94:95], v[94:95], v[98:99], v[96:97]
	v_add_f64 v[3:4], v[3:4], v[92:93]
	v_add_f64 v[1:2], v[1:2], v[94:95]
	s_andn2_b32 exec_lo, exec_lo, s5
	s_cbranch_execnz .LBB103_145
; %bb.146:
	s_or_b32 exec_lo, exec_lo, s5
	v_mov_b32_e32 v87, 0
	ds_read_b128 v[87:90], v87 offset:528
	s_waitcnt lgkmcnt(0)
	v_mul_f64 v[92:93], v[1:2], v[89:90]
	v_mul_f64 v[89:90], v[3:4], v[89:90]
	v_fma_f64 v[3:4], v[3:4], v[87:88], -v[92:93]
	v_fma_f64 v[1:2], v[1:2], v[87:88], v[89:90]
	buffer_store_dword v4, off, s[0:3], 0 offset:548
	buffer_store_dword v3, off, s[0:3], 0 offset:544
	;; [unrolled: 1-line block ×4, first 2 shown]
.LBB103_147:
	s_or_b32 exec_lo, exec_lo, s4
	v_mov_b32_e32 v4, s17
	s_waitcnt_vscnt null, 0x0
	s_barrier
	buffer_gl0_inv
	s_mov_b32 s4, exec_lo
	s_clause 0x3
	buffer_load_dword v1, v4, s[0:3], 0 offen
	buffer_load_dword v2, v4, s[0:3], 0 offen offset:4
	buffer_load_dword v3, v4, s[0:3], 0 offen offset:8
	buffer_load_dword v4, v4, s[0:3], 0 offen offset:12
	s_waitcnt vmcnt(0)
	ds_write_b128 v85, v[1:4]
	s_waitcnt lgkmcnt(0)
	s_barrier
	buffer_gl0_inv
	v_cmpx_gt_u32_e32 34, v0
	s_cbranch_execz .LBB103_151
; %bb.148:
	v_mov_b32_e32 v1, 0
	v_mov_b32_e32 v3, 0
	v_add_nc_u32_e32 v87, -1, v0
	v_add_nc_u32_e32 v88, 0x280, v91
	v_mov_b32_e32 v2, 0
	v_mov_b32_e32 v4, 0
	v_add_nc_u32_e32 v89, 16, v91
	s_mov_b32 s5, 0
	.p2align	6
.LBB103_149:                            ; =>This Inner Loop Header: Depth=1
	s_clause 0x3
	buffer_load_dword v96, v89, s[0:3], 0 offen offset:8
	buffer_load_dword v97, v89, s[0:3], 0 offen offset:12
	buffer_load_dword v98, v89, s[0:3], 0 offen
	buffer_load_dword v99, v89, s[0:3], 0 offen offset:4
	ds_read_b128 v[92:95], v88
	v_add_nc_u32_e32 v87, 1, v87
	v_add_nc_u32_e32 v88, 16, v88
	;; [unrolled: 1-line block ×3, first 2 shown]
	v_cmp_lt_u32_e32 vcc_lo, 32, v87
	s_or_b32 s5, vcc_lo, s5
	s_waitcnt vmcnt(2) lgkmcnt(0)
	v_mul_f64 v[100:101], v[94:95], v[96:97]
	v_mul_f64 v[96:97], v[92:93], v[96:97]
	s_waitcnt vmcnt(0)
	v_fma_f64 v[92:93], v[92:93], v[98:99], -v[100:101]
	v_fma_f64 v[94:95], v[94:95], v[98:99], v[96:97]
	v_add_f64 v[3:4], v[3:4], v[92:93]
	v_add_f64 v[1:2], v[1:2], v[94:95]
	s_andn2_b32 exec_lo, exec_lo, s5
	s_cbranch_execnz .LBB103_149
; %bb.150:
	s_or_b32 exec_lo, exec_lo, s5
	v_mov_b32_e32 v87, 0
	ds_read_b128 v[87:90], v87 offset:544
	s_waitcnt lgkmcnt(0)
	v_mul_f64 v[92:93], v[1:2], v[89:90]
	v_mul_f64 v[89:90], v[3:4], v[89:90]
	v_fma_f64 v[3:4], v[3:4], v[87:88], -v[92:93]
	v_fma_f64 v[1:2], v[1:2], v[87:88], v[89:90]
	buffer_store_dword v4, off, s[0:3], 0 offset:564
	buffer_store_dword v3, off, s[0:3], 0 offset:560
	;; [unrolled: 1-line block ×4, first 2 shown]
.LBB103_151:
	s_or_b32 exec_lo, exec_lo, s4
	v_mov_b32_e32 v4, s16
	s_waitcnt_vscnt null, 0x0
	s_barrier
	buffer_gl0_inv
	s_mov_b32 s4, exec_lo
	s_clause 0x3
	buffer_load_dword v1, v4, s[0:3], 0 offen
	buffer_load_dword v2, v4, s[0:3], 0 offen offset:4
	buffer_load_dword v3, v4, s[0:3], 0 offen offset:8
	buffer_load_dword v4, v4, s[0:3], 0 offen offset:12
	s_waitcnt vmcnt(0)
	ds_write_b128 v85, v[1:4]
	s_waitcnt lgkmcnt(0)
	s_barrier
	buffer_gl0_inv
	v_cmpx_gt_u32_e32 35, v0
	s_cbranch_execz .LBB103_155
; %bb.152:
	v_mov_b32_e32 v1, 0
	v_mov_b32_e32 v3, 0
	v_add_nc_u32_e32 v87, -1, v0
	v_add_nc_u32_e32 v88, 0x280, v91
	v_mov_b32_e32 v2, 0
	v_mov_b32_e32 v4, 0
	v_add_nc_u32_e32 v89, 16, v91
	s_mov_b32 s5, 0
	.p2align	6
.LBB103_153:                            ; =>This Inner Loop Header: Depth=1
	s_clause 0x3
	buffer_load_dword v96, v89, s[0:3], 0 offen offset:8
	buffer_load_dword v97, v89, s[0:3], 0 offen offset:12
	buffer_load_dword v98, v89, s[0:3], 0 offen
	buffer_load_dword v99, v89, s[0:3], 0 offen offset:4
	ds_read_b128 v[92:95], v88
	v_add_nc_u32_e32 v87, 1, v87
	v_add_nc_u32_e32 v88, 16, v88
	;; [unrolled: 1-line block ×3, first 2 shown]
	v_cmp_lt_u32_e32 vcc_lo, 33, v87
	s_or_b32 s5, vcc_lo, s5
	s_waitcnt vmcnt(2) lgkmcnt(0)
	v_mul_f64 v[100:101], v[94:95], v[96:97]
	v_mul_f64 v[96:97], v[92:93], v[96:97]
	s_waitcnt vmcnt(0)
	v_fma_f64 v[92:93], v[92:93], v[98:99], -v[100:101]
	v_fma_f64 v[94:95], v[94:95], v[98:99], v[96:97]
	v_add_f64 v[3:4], v[3:4], v[92:93]
	v_add_f64 v[1:2], v[1:2], v[94:95]
	s_andn2_b32 exec_lo, exec_lo, s5
	s_cbranch_execnz .LBB103_153
; %bb.154:
	s_or_b32 exec_lo, exec_lo, s5
	v_mov_b32_e32 v87, 0
	ds_read_b128 v[87:90], v87 offset:560
	s_waitcnt lgkmcnt(0)
	v_mul_f64 v[92:93], v[1:2], v[89:90]
	v_mul_f64 v[89:90], v[3:4], v[89:90]
	v_fma_f64 v[3:4], v[3:4], v[87:88], -v[92:93]
	v_fma_f64 v[1:2], v[1:2], v[87:88], v[89:90]
	buffer_store_dword v4, off, s[0:3], 0 offset:580
	buffer_store_dword v3, off, s[0:3], 0 offset:576
	;; [unrolled: 1-line block ×4, first 2 shown]
.LBB103_155:
	s_or_b32 exec_lo, exec_lo, s4
	v_mov_b32_e32 v4, s15
	s_waitcnt_vscnt null, 0x0
	s_barrier
	buffer_gl0_inv
	s_mov_b32 s4, exec_lo
	s_clause 0x3
	buffer_load_dword v1, v4, s[0:3], 0 offen
	buffer_load_dword v2, v4, s[0:3], 0 offen offset:4
	buffer_load_dword v3, v4, s[0:3], 0 offen offset:8
	;; [unrolled: 1-line block ×3, first 2 shown]
	s_waitcnt vmcnt(0)
	ds_write_b128 v85, v[1:4]
	s_waitcnt lgkmcnt(0)
	s_barrier
	buffer_gl0_inv
	v_cmpx_gt_u32_e32 36, v0
	s_cbranch_execz .LBB103_159
; %bb.156:
	v_mov_b32_e32 v1, 0
	v_mov_b32_e32 v3, 0
	v_add_nc_u32_e32 v87, -1, v0
	v_add_nc_u32_e32 v88, 0x280, v91
	v_mov_b32_e32 v2, 0
	v_mov_b32_e32 v4, 0
	v_add_nc_u32_e32 v89, 16, v91
	s_mov_b32 s5, 0
	.p2align	6
.LBB103_157:                            ; =>This Inner Loop Header: Depth=1
	s_clause 0x3
	buffer_load_dword v96, v89, s[0:3], 0 offen offset:8
	buffer_load_dword v97, v89, s[0:3], 0 offen offset:12
	buffer_load_dword v98, v89, s[0:3], 0 offen
	buffer_load_dword v99, v89, s[0:3], 0 offen offset:4
	ds_read_b128 v[92:95], v88
	v_add_nc_u32_e32 v87, 1, v87
	v_add_nc_u32_e32 v88, 16, v88
	;; [unrolled: 1-line block ×3, first 2 shown]
	v_cmp_lt_u32_e32 vcc_lo, 34, v87
	s_or_b32 s5, vcc_lo, s5
	s_waitcnt vmcnt(2) lgkmcnt(0)
	v_mul_f64 v[100:101], v[94:95], v[96:97]
	v_mul_f64 v[96:97], v[92:93], v[96:97]
	s_waitcnt vmcnt(0)
	v_fma_f64 v[92:93], v[92:93], v[98:99], -v[100:101]
	v_fma_f64 v[94:95], v[94:95], v[98:99], v[96:97]
	v_add_f64 v[3:4], v[3:4], v[92:93]
	v_add_f64 v[1:2], v[1:2], v[94:95]
	s_andn2_b32 exec_lo, exec_lo, s5
	s_cbranch_execnz .LBB103_157
; %bb.158:
	s_or_b32 exec_lo, exec_lo, s5
	v_mov_b32_e32 v87, 0
	ds_read_b128 v[87:90], v87 offset:576
	s_waitcnt lgkmcnt(0)
	v_mul_f64 v[92:93], v[1:2], v[89:90]
	v_mul_f64 v[89:90], v[3:4], v[89:90]
	v_fma_f64 v[3:4], v[3:4], v[87:88], -v[92:93]
	v_fma_f64 v[1:2], v[1:2], v[87:88], v[89:90]
	buffer_store_dword v4, off, s[0:3], 0 offset:596
	buffer_store_dword v3, off, s[0:3], 0 offset:592
	buffer_store_dword v2, off, s[0:3], 0 offset:604
	buffer_store_dword v1, off, s[0:3], 0 offset:600
.LBB103_159:
	s_or_b32 exec_lo, exec_lo, s4
	v_mov_b32_e32 v4, s14
	s_waitcnt_vscnt null, 0x0
	s_barrier
	buffer_gl0_inv
	s_mov_b32 s4, exec_lo
	s_clause 0x3
	buffer_load_dword v1, v4, s[0:3], 0 offen
	buffer_load_dword v2, v4, s[0:3], 0 offen offset:4
	buffer_load_dword v3, v4, s[0:3], 0 offen offset:8
	;; [unrolled: 1-line block ×3, first 2 shown]
	s_waitcnt vmcnt(0)
	ds_write_b128 v85, v[1:4]
	s_waitcnt lgkmcnt(0)
	s_barrier
	buffer_gl0_inv
	v_cmpx_gt_u32_e32 37, v0
	s_cbranch_execz .LBB103_163
; %bb.160:
	v_mov_b32_e32 v1, 0
	v_mov_b32_e32 v3, 0
	v_add_nc_u32_e32 v87, -1, v0
	v_add_nc_u32_e32 v88, 0x280, v91
	v_mov_b32_e32 v2, 0
	v_mov_b32_e32 v4, 0
	v_add_nc_u32_e32 v89, 16, v91
	s_mov_b32 s5, 0
	.p2align	6
.LBB103_161:                            ; =>This Inner Loop Header: Depth=1
	s_clause 0x3
	buffer_load_dword v96, v89, s[0:3], 0 offen offset:8
	buffer_load_dword v97, v89, s[0:3], 0 offen offset:12
	buffer_load_dword v98, v89, s[0:3], 0 offen
	buffer_load_dword v99, v89, s[0:3], 0 offen offset:4
	ds_read_b128 v[92:95], v88
	v_add_nc_u32_e32 v87, 1, v87
	v_add_nc_u32_e32 v88, 16, v88
	;; [unrolled: 1-line block ×3, first 2 shown]
	v_cmp_lt_u32_e32 vcc_lo, 35, v87
	s_or_b32 s5, vcc_lo, s5
	s_waitcnt vmcnt(2) lgkmcnt(0)
	v_mul_f64 v[100:101], v[94:95], v[96:97]
	v_mul_f64 v[96:97], v[92:93], v[96:97]
	s_waitcnt vmcnt(0)
	v_fma_f64 v[92:93], v[92:93], v[98:99], -v[100:101]
	v_fma_f64 v[94:95], v[94:95], v[98:99], v[96:97]
	v_add_f64 v[3:4], v[3:4], v[92:93]
	v_add_f64 v[1:2], v[1:2], v[94:95]
	s_andn2_b32 exec_lo, exec_lo, s5
	s_cbranch_execnz .LBB103_161
; %bb.162:
	s_or_b32 exec_lo, exec_lo, s5
	v_mov_b32_e32 v87, 0
	ds_read_b128 v[87:90], v87 offset:592
	s_waitcnt lgkmcnt(0)
	v_mul_f64 v[92:93], v[1:2], v[89:90]
	v_mul_f64 v[89:90], v[3:4], v[89:90]
	v_fma_f64 v[3:4], v[3:4], v[87:88], -v[92:93]
	v_fma_f64 v[1:2], v[1:2], v[87:88], v[89:90]
	buffer_store_dword v4, off, s[0:3], 0 offset:612
	buffer_store_dword v3, off, s[0:3], 0 offset:608
	;; [unrolled: 1-line block ×4, first 2 shown]
.LBB103_163:
	s_or_b32 exec_lo, exec_lo, s4
	v_mov_b32_e32 v4, s9
	s_waitcnt_vscnt null, 0x0
	s_barrier
	buffer_gl0_inv
	s_mov_b32 s4, exec_lo
	s_clause 0x3
	buffer_load_dword v1, v4, s[0:3], 0 offen
	buffer_load_dword v2, v4, s[0:3], 0 offen offset:4
	buffer_load_dword v3, v4, s[0:3], 0 offen offset:8
	;; [unrolled: 1-line block ×3, first 2 shown]
	s_waitcnt vmcnt(0)
	ds_write_b128 v85, v[1:4]
	s_waitcnt lgkmcnt(0)
	s_barrier
	buffer_gl0_inv
	v_cmpx_gt_u32_e32 38, v0
	s_cbranch_execz .LBB103_167
; %bb.164:
	v_mov_b32_e32 v1, 0
	v_mov_b32_e32 v3, 0
	v_add_nc_u32_e32 v87, -1, v0
	v_add_nc_u32_e32 v88, 0x280, v91
	v_mov_b32_e32 v2, 0
	v_mov_b32_e32 v4, 0
	v_add_nc_u32_e32 v89, 16, v91
	s_mov_b32 s5, 0
	.p2align	6
.LBB103_165:                            ; =>This Inner Loop Header: Depth=1
	s_clause 0x3
	buffer_load_dword v96, v89, s[0:3], 0 offen offset:8
	buffer_load_dword v97, v89, s[0:3], 0 offen offset:12
	buffer_load_dword v98, v89, s[0:3], 0 offen
	buffer_load_dword v99, v89, s[0:3], 0 offen offset:4
	ds_read_b128 v[92:95], v88
	v_add_nc_u32_e32 v87, 1, v87
	v_add_nc_u32_e32 v88, 16, v88
	;; [unrolled: 1-line block ×3, first 2 shown]
	v_cmp_lt_u32_e32 vcc_lo, 36, v87
	s_or_b32 s5, vcc_lo, s5
	s_waitcnt vmcnt(2) lgkmcnt(0)
	v_mul_f64 v[100:101], v[94:95], v[96:97]
	v_mul_f64 v[96:97], v[92:93], v[96:97]
	s_waitcnt vmcnt(0)
	v_fma_f64 v[92:93], v[92:93], v[98:99], -v[100:101]
	v_fma_f64 v[94:95], v[94:95], v[98:99], v[96:97]
	v_add_f64 v[3:4], v[3:4], v[92:93]
	v_add_f64 v[1:2], v[1:2], v[94:95]
	s_andn2_b32 exec_lo, exec_lo, s5
	s_cbranch_execnz .LBB103_165
; %bb.166:
	s_or_b32 exec_lo, exec_lo, s5
	v_mov_b32_e32 v87, 0
	ds_read_b128 v[87:90], v87 offset:608
	s_waitcnt lgkmcnt(0)
	v_mul_f64 v[92:93], v[1:2], v[89:90]
	v_mul_f64 v[89:90], v[3:4], v[89:90]
	v_fma_f64 v[3:4], v[3:4], v[87:88], -v[92:93]
	v_fma_f64 v[1:2], v[1:2], v[87:88], v[89:90]
	buffer_store_dword v4, off, s[0:3], 0 offset:628
	buffer_store_dword v3, off, s[0:3], 0 offset:624
	;; [unrolled: 1-line block ×4, first 2 shown]
.LBB103_167:
	s_or_b32 exec_lo, exec_lo, s4
	v_mov_b32_e32 v4, s8
	s_waitcnt_vscnt null, 0x0
	s_barrier
	buffer_gl0_inv
	s_mov_b32 s4, exec_lo
	s_clause 0x3
	buffer_load_dword v1, v4, s[0:3], 0 offen
	buffer_load_dword v2, v4, s[0:3], 0 offen offset:4
	buffer_load_dword v3, v4, s[0:3], 0 offen offset:8
	;; [unrolled: 1-line block ×3, first 2 shown]
	s_waitcnt vmcnt(0)
	ds_write_b128 v85, v[1:4]
	s_waitcnt lgkmcnt(0)
	s_barrier
	buffer_gl0_inv
	v_cmpx_ne_u32_e32 39, v0
	s_cbranch_execz .LBB103_171
; %bb.168:
	v_mov_b32_e32 v1, 0
	v_mov_b32_e32 v3, 0
	;; [unrolled: 1-line block ×4, first 2 shown]
	v_add_nc_u32_e32 v87, 16, v91
	s_mov_b32 s5, 0
	.p2align	6
.LBB103_169:                            ; =>This Inner Loop Header: Depth=1
	s_clause 0x3
	buffer_load_dword v92, v87, s[0:3], 0 offen offset:8
	buffer_load_dword v93, v87, s[0:3], 0 offen offset:12
	buffer_load_dword v94, v87, s[0:3], 0 offen
	buffer_load_dword v95, v87, s[0:3], 0 offen offset:4
	ds_read_b128 v[88:91], v85
	v_add_nc_u32_e32 v86, 1, v86
	v_add_nc_u32_e32 v85, 16, v85
	;; [unrolled: 1-line block ×3, first 2 shown]
	v_cmp_lt_u32_e32 vcc_lo, 37, v86
	s_or_b32 s5, vcc_lo, s5
	s_waitcnt vmcnt(2) lgkmcnt(0)
	v_mul_f64 v[96:97], v[90:91], v[92:93]
	v_mul_f64 v[92:93], v[88:89], v[92:93]
	s_waitcnt vmcnt(0)
	v_fma_f64 v[88:89], v[88:89], v[94:95], -v[96:97]
	v_fma_f64 v[90:91], v[90:91], v[94:95], v[92:93]
	v_add_f64 v[3:4], v[3:4], v[88:89]
	v_add_f64 v[1:2], v[1:2], v[90:91]
	s_andn2_b32 exec_lo, exec_lo, s5
	s_cbranch_execnz .LBB103_169
; %bb.170:
	s_or_b32 exec_lo, exec_lo, s5
	v_mov_b32_e32 v85, 0
	ds_read_b128 v[85:88], v85 offset:624
	s_waitcnt lgkmcnt(0)
	v_mul_f64 v[89:90], v[1:2], v[87:88]
	v_mul_f64 v[87:88], v[3:4], v[87:88]
	v_fma_f64 v[3:4], v[3:4], v[85:86], -v[89:90]
	v_fma_f64 v[1:2], v[1:2], v[85:86], v[87:88]
	buffer_store_dword v4, off, s[0:3], 0 offset:644
	buffer_store_dword v3, off, s[0:3], 0 offset:640
	;; [unrolled: 1-line block ×4, first 2 shown]
.LBB103_171:
	s_or_b32 exec_lo, exec_lo, s4
	s_mov_b32 s5, -1
	s_waitcnt_vscnt null, 0x0
	s_barrier
	buffer_gl0_inv
.LBB103_172:
	s_and_b32 vcc_lo, exec_lo, s5
	s_cbranch_vccz .LBB103_174
; %bb.173:
	s_lshl_b64 s[4:5], s[6:7], 2
	v_mov_b32_e32 v1, 0
	s_add_u32 s4, s10, s4
	s_addc_u32 s5, s11, s5
	global_load_dword v1, v1, s[4:5]
	s_waitcnt vmcnt(0)
	v_cmp_ne_u32_e32 vcc_lo, 0, v1
	s_cbranch_vccz .LBB103_175
.LBB103_174:
	s_endpgm
.LBB103_175:
	v_lshl_add_u32 v141, v0, 4, 0x280
	s_mov_b32 s4, exec_lo
	v_cmpx_eq_u32_e32 39, v0
	s_cbranch_execz .LBB103_177
; %bb.176:
	v_mov_b32_e32 v4, s9
	v_mov_b32_e32 v85, 0
	s_clause 0x3
	buffer_load_dword v1, v4, s[0:3], 0 offen
	buffer_load_dword v2, v4, s[0:3], 0 offen offset:4
	buffer_load_dword v3, v4, s[0:3], 0 offen offset:8
	;; [unrolled: 1-line block ×3, first 2 shown]
	buffer_store_dword v85, off, s[0:3], 0 offset:624
	buffer_store_dword v85, off, s[0:3], 0 offset:628
	;; [unrolled: 1-line block ×4, first 2 shown]
	s_waitcnt vmcnt(0)
	ds_write_b128 v141, v[1:4]
.LBB103_177:
	s_or_b32 exec_lo, exec_lo, s4
	s_waitcnt lgkmcnt(0)
	s_waitcnt_vscnt null, 0x0
	s_barrier
	buffer_gl0_inv
	s_clause 0x7
	buffer_load_dword v2, off, s[0:3], 0 offset:648
	buffer_load_dword v3, off, s[0:3], 0 offset:652
	;; [unrolled: 1-line block ×8, first 2 shown]
	v_mov_b32_e32 v1, 0
	s_mov_b32 s4, exec_lo
	ds_read_b128 v[85:88], v1 offset:1264
	s_waitcnt vmcnt(6) lgkmcnt(0)
	v_mul_f64 v[95:96], v[87:88], v[2:3]
	v_mul_f64 v[2:3], v[85:86], v[2:3]
	s_waitcnt vmcnt(4)
	v_fma_f64 v[85:86], v[85:86], v[89:90], -v[95:96]
	v_fma_f64 v[2:3], v[87:88], v[89:90], v[2:3]
	v_add_f64 v[85:86], v[85:86], 0
	v_add_f64 v[2:3], v[2:3], 0
	s_waitcnt vmcnt(2)
	v_add_f64 v[85:86], v[91:92], -v[85:86]
	s_waitcnt vmcnt(0)
	v_add_f64 v[2:3], v[93:94], -v[2:3]
	buffer_store_dword v85, off, s[0:3], 0 offset:624
	buffer_store_dword v86, off, s[0:3], 0 offset:628
	;; [unrolled: 1-line block ×4, first 2 shown]
	v_cmpx_lt_u32_e32 37, v0
	s_cbranch_execz .LBB103_179
; %bb.178:
	v_mov_b32_e32 v2, s14
	s_clause 0x3
	buffer_load_dword v85, v2, s[0:3], 0 offen
	buffer_load_dword v86, v2, s[0:3], 0 offen offset:4
	buffer_load_dword v87, v2, s[0:3], 0 offen offset:8
	;; [unrolled: 1-line block ×3, first 2 shown]
	buffer_store_dword v1, off, s[0:3], 0 offset:608
	buffer_store_dword v1, off, s[0:3], 0 offset:612
	;; [unrolled: 1-line block ×4, first 2 shown]
	s_waitcnt vmcnt(0)
	ds_write_b128 v141, v[85:88]
.LBB103_179:
	s_or_b32 exec_lo, exec_lo, s4
	s_waitcnt lgkmcnt(0)
	s_waitcnt_vscnt null, 0x0
	s_barrier
	buffer_gl0_inv
	s_clause 0xb
	buffer_load_dword v89, off, s[0:3], 0 offset:632
	buffer_load_dword v90, off, s[0:3], 0 offset:636
	;; [unrolled: 1-line block ×12, first 2 shown]
	ds_read_b128 v[85:88], v1 offset:1248
	ds_read_b128 v[1:4], v1 offset:1264
	s_mov_b32 s4, exec_lo
	s_waitcnt vmcnt(10) lgkmcnt(1)
	v_mul_f64 v[101:102], v[87:88], v[89:90]
	v_mul_f64 v[89:90], v[85:86], v[89:90]
	s_waitcnt vmcnt(8) lgkmcnt(0)
	v_mul_f64 v[103:104], v[3:4], v[91:92]
	v_mul_f64 v[91:92], v[1:2], v[91:92]
	s_waitcnt vmcnt(6)
	v_fma_f64 v[85:86], v[85:86], v[93:94], -v[101:102]
	v_fma_f64 v[87:88], v[87:88], v[93:94], v[89:90]
	s_waitcnt vmcnt(4)
	v_fma_f64 v[1:2], v[1:2], v[95:96], -v[103:104]
	v_fma_f64 v[3:4], v[3:4], v[95:96], v[91:92]
	v_add_f64 v[85:86], v[85:86], 0
	v_add_f64 v[87:88], v[87:88], 0
	v_add_f64 v[1:2], v[85:86], v[1:2]
	v_add_f64 v[3:4], v[87:88], v[3:4]
	s_waitcnt vmcnt(2)
	v_add_f64 v[1:2], v[97:98], -v[1:2]
	s_waitcnt vmcnt(0)
	v_add_f64 v[3:4], v[99:100], -v[3:4]
	buffer_store_dword v1, off, s[0:3], 0 offset:608
	buffer_store_dword v2, off, s[0:3], 0 offset:612
	;; [unrolled: 1-line block ×4, first 2 shown]
	v_cmpx_lt_u32_e32 36, v0
	s_cbranch_execz .LBB103_181
; %bb.180:
	v_mov_b32_e32 v4, s15
	v_mov_b32_e32 v85, 0
	s_clause 0x3
	buffer_load_dword v1, v4, s[0:3], 0 offen
	buffer_load_dword v2, v4, s[0:3], 0 offen offset:4
	buffer_load_dword v3, v4, s[0:3], 0 offen offset:8
	;; [unrolled: 1-line block ×3, first 2 shown]
	buffer_store_dword v85, off, s[0:3], 0 offset:592
	buffer_store_dword v85, off, s[0:3], 0 offset:596
	;; [unrolled: 1-line block ×4, first 2 shown]
	s_waitcnt vmcnt(0)
	ds_write_b128 v141, v[1:4]
.LBB103_181:
	s_or_b32 exec_lo, exec_lo, s4
	s_waitcnt lgkmcnt(0)
	s_waitcnt_vscnt null, 0x0
	s_barrier
	buffer_gl0_inv
	s_clause 0xf
	buffer_load_dword v2, off, s[0:3], 0 offset:616
	buffer_load_dword v3, off, s[0:3], 0 offset:620
	;; [unrolled: 1-line block ×16, first 2 shown]
	v_mov_b32_e32 v1, 0
	ds_read_b128 v[85:88], v1 offset:1232
	ds_read_b128 v[89:92], v1 offset:1248
	;; [unrolled: 1-line block ×3, first 2 shown]
	s_mov_b32 s4, exec_lo
	s_waitcnt vmcnt(14) lgkmcnt(2)
	v_mul_f64 v[111:112], v[87:88], v[2:3]
	v_mul_f64 v[2:3], v[85:86], v[2:3]
	s_waitcnt vmcnt(12) lgkmcnt(1)
	v_mul_f64 v[113:114], v[91:92], v[97:98]
	v_mul_f64 v[97:98], v[89:90], v[97:98]
	s_waitcnt vmcnt(10)
	v_fma_f64 v[85:86], v[85:86], v[99:100], -v[111:112]
	v_fma_f64 v[2:3], v[87:88], v[99:100], v[2:3]
	s_waitcnt vmcnt(8) lgkmcnt(0)
	v_mul_f64 v[99:100], v[95:96], v[101:102]
	s_waitcnt vmcnt(6)
	v_fma_f64 v[89:90], v[89:90], v[103:104], -v[113:114]
	v_mul_f64 v[87:88], v[93:94], v[101:102]
	v_fma_f64 v[91:92], v[91:92], v[103:104], v[97:98]
	v_add_f64 v[85:86], v[85:86], 0
	v_add_f64 v[2:3], v[2:3], 0
	s_waitcnt vmcnt(4)
	v_fma_f64 v[93:94], v[93:94], v[105:106], -v[99:100]
	v_fma_f64 v[87:88], v[95:96], v[105:106], v[87:88]
	v_add_f64 v[85:86], v[85:86], v[89:90]
	v_add_f64 v[2:3], v[2:3], v[91:92]
	;; [unrolled: 1-line block ×4, first 2 shown]
	s_waitcnt vmcnt(2)
	v_add_f64 v[85:86], v[107:108], -v[85:86]
	s_waitcnt vmcnt(0)
	v_add_f64 v[2:3], v[109:110], -v[2:3]
	buffer_store_dword v85, off, s[0:3], 0 offset:592
	buffer_store_dword v86, off, s[0:3], 0 offset:596
	buffer_store_dword v2, off, s[0:3], 0 offset:600
	buffer_store_dword v3, off, s[0:3], 0 offset:604
	v_cmpx_lt_u32_e32 35, v0
	s_cbranch_execz .LBB103_183
; %bb.182:
	v_mov_b32_e32 v2, s16
	s_clause 0x3
	buffer_load_dword v85, v2, s[0:3], 0 offen
	buffer_load_dword v86, v2, s[0:3], 0 offen offset:4
	buffer_load_dword v87, v2, s[0:3], 0 offen offset:8
	;; [unrolled: 1-line block ×3, first 2 shown]
	buffer_store_dword v1, off, s[0:3], 0 offset:576
	buffer_store_dword v1, off, s[0:3], 0 offset:580
	;; [unrolled: 1-line block ×4, first 2 shown]
	s_waitcnt vmcnt(0)
	ds_write_b128 v141, v[85:88]
.LBB103_183:
	s_or_b32 exec_lo, exec_lo, s4
	s_waitcnt lgkmcnt(0)
	s_waitcnt_vscnt null, 0x0
	s_barrier
	buffer_gl0_inv
	s_clause 0x13
	buffer_load_dword v2, off, s[0:3], 0 offset:600
	buffer_load_dword v3, off, s[0:3], 0 offset:604
	;; [unrolled: 1-line block ×20, first 2 shown]
	ds_read_b128 v[85:88], v1 offset:1216
	ds_read_b128 v[89:92], v1 offset:1232
	;; [unrolled: 1-line block ×3, first 2 shown]
	s_mov_b32 s4, exec_lo
	s_waitcnt vmcnt(18) lgkmcnt(2)
	v_mul_f64 v[115:116], v[87:88], v[2:3]
	v_mul_f64 v[2:3], v[85:86], v[2:3]
	s_waitcnt vmcnt(16) lgkmcnt(1)
	v_mul_f64 v[117:118], v[91:92], v[97:98]
	v_mul_f64 v[97:98], v[89:90], v[97:98]
	s_waitcnt vmcnt(14)
	v_fma_f64 v[85:86], v[85:86], v[99:100], -v[115:116]
	v_fma_f64 v[87:88], v[87:88], v[99:100], v[2:3]
	s_waitcnt vmcnt(12) lgkmcnt(0)
	v_mul_f64 v[99:100], v[93:94], v[101:102]
	v_mul_f64 v[101:102], v[95:96], v[101:102]
	s_waitcnt vmcnt(10)
	v_fma_f64 v[89:90], v[89:90], v[103:104], -v[117:118]
	ds_read_b128 v[1:4], v1 offset:1264
	v_fma_f64 v[91:92], v[91:92], v[103:104], v[97:98]
	v_add_f64 v[85:86], v[85:86], 0
	v_add_f64 v[87:88], v[87:88], 0
	s_waitcnt vmcnt(8) lgkmcnt(0)
	v_mul_f64 v[103:104], v[3:4], v[105:106]
	s_waitcnt vmcnt(6)
	v_fma_f64 v[93:94], v[93:94], v[107:108], -v[101:102]
	v_mul_f64 v[97:98], v[1:2], v[105:106]
	v_add_f64 v[85:86], v[85:86], v[89:90]
	v_fma_f64 v[89:90], v[95:96], v[107:108], v[99:100]
	v_add_f64 v[87:88], v[87:88], v[91:92]
	s_waitcnt vmcnt(4)
	v_fma_f64 v[1:2], v[1:2], v[109:110], -v[103:104]
	v_fma_f64 v[3:4], v[3:4], v[109:110], v[97:98]
	v_add_f64 v[85:86], v[85:86], v[93:94]
	v_add_f64 v[87:88], v[87:88], v[89:90]
	;; [unrolled: 1-line block ×4, first 2 shown]
	s_waitcnt vmcnt(2)
	v_add_f64 v[1:2], v[111:112], -v[1:2]
	s_waitcnt vmcnt(0)
	v_add_f64 v[3:4], v[113:114], -v[3:4]
	buffer_store_dword v1, off, s[0:3], 0 offset:576
	buffer_store_dword v2, off, s[0:3], 0 offset:580
	;; [unrolled: 1-line block ×4, first 2 shown]
	v_cmpx_lt_u32_e32 34, v0
	s_cbranch_execz .LBB103_185
; %bb.184:
	v_mov_b32_e32 v4, s17
	v_mov_b32_e32 v85, 0
	s_clause 0x3
	buffer_load_dword v1, v4, s[0:3], 0 offen
	buffer_load_dword v2, v4, s[0:3], 0 offen offset:4
	buffer_load_dword v3, v4, s[0:3], 0 offen offset:8
	;; [unrolled: 1-line block ×3, first 2 shown]
	buffer_store_dword v85, off, s[0:3], 0 offset:560
	buffer_store_dword v85, off, s[0:3], 0 offset:564
	buffer_store_dword v85, off, s[0:3], 0 offset:568
	buffer_store_dword v85, off, s[0:3], 0 offset:572
	s_waitcnt vmcnt(0)
	ds_write_b128 v141, v[1:4]
.LBB103_185:
	s_or_b32 exec_lo, exec_lo, s4
	s_waitcnt lgkmcnt(0)
	s_waitcnt_vscnt null, 0x0
	s_barrier
	buffer_gl0_inv
	s_clause 0x17
	buffer_load_dword v2, off, s[0:3], 0 offset:584
	buffer_load_dword v3, off, s[0:3], 0 offset:588
	;; [unrolled: 1-line block ×24, first 2 shown]
	v_mov_b32_e32 v1, 0
	ds_read_b128 v[85:88], v1 offset:1200
	ds_read_b128 v[89:92], v1 offset:1216
	;; [unrolled: 1-line block ×3, first 2 shown]
	s_mov_b32 s4, exec_lo
	s_waitcnt vmcnt(22) lgkmcnt(2)
	v_mul_f64 v[119:120], v[87:88], v[2:3]
	v_mul_f64 v[2:3], v[85:86], v[2:3]
	s_waitcnt vmcnt(20) lgkmcnt(1)
	v_mul_f64 v[121:122], v[91:92], v[97:98]
	v_mul_f64 v[97:98], v[89:90], v[97:98]
	s_waitcnt vmcnt(18)
	v_fma_f64 v[119:120], v[85:86], v[99:100], -v[119:120]
	v_fma_f64 v[2:3], v[87:88], v[99:100], v[2:3]
	ds_read_b128 v[85:88], v1 offset:1248
	s_waitcnt vmcnt(16) lgkmcnt(1)
	v_mul_f64 v[99:100], v[93:94], v[101:102]
	v_mul_f64 v[101:102], v[95:96], v[101:102]
	s_waitcnt vmcnt(14)
	v_fma_f64 v[121:122], v[89:90], v[103:104], -v[121:122]
	v_fma_f64 v[97:98], v[91:92], v[103:104], v[97:98]
	ds_read_b128 v[89:92], v1 offset:1264
	s_waitcnt vmcnt(10) lgkmcnt(1)
	v_mul_f64 v[103:104], v[85:86], v[105:106]
	v_add_f64 v[119:120], v[119:120], 0
	v_add_f64 v[2:3], v[2:3], 0
	v_mul_f64 v[105:106], v[87:88], v[105:106]
	s_waitcnt vmcnt(8)
	v_fma_f64 v[93:94], v[93:94], v[111:112], -v[101:102]
	v_fma_f64 v[95:96], v[95:96], v[111:112], v[99:100]
	s_waitcnt vmcnt(7) lgkmcnt(0)
	v_mul_f64 v[99:100], v[91:92], v[107:108]
	s_waitcnt vmcnt(5)
	v_fma_f64 v[87:88], v[87:88], v[113:114], v[103:104]
	v_add_f64 v[101:102], v[119:120], v[121:122]
	v_add_f64 v[2:3], v[2:3], v[97:98]
	v_fma_f64 v[85:86], v[85:86], v[113:114], -v[105:106]
	v_mul_f64 v[97:98], v[89:90], v[107:108]
	s_waitcnt vmcnt(4)
	v_fma_f64 v[89:90], v[89:90], v[109:110], -v[99:100]
	v_add_f64 v[93:94], v[101:102], v[93:94]
	v_add_f64 v[2:3], v[2:3], v[95:96]
	v_fma_f64 v[91:92], v[91:92], v[109:110], v[97:98]
	v_add_f64 v[85:86], v[93:94], v[85:86]
	v_add_f64 v[2:3], v[2:3], v[87:88]
	;; [unrolled: 1-line block ×4, first 2 shown]
	s_waitcnt vmcnt(2)
	v_add_f64 v[85:86], v[115:116], -v[85:86]
	s_waitcnt vmcnt(0)
	v_add_f64 v[2:3], v[117:118], -v[2:3]
	buffer_store_dword v86, off, s[0:3], 0 offset:564
	buffer_store_dword v85, off, s[0:3], 0 offset:560
	;; [unrolled: 1-line block ×4, first 2 shown]
	v_cmpx_lt_u32_e32 33, v0
	s_cbranch_execz .LBB103_187
; %bb.186:
	v_mov_b32_e32 v2, s18
	s_clause 0x3
	buffer_load_dword v85, v2, s[0:3], 0 offen
	buffer_load_dword v86, v2, s[0:3], 0 offen offset:4
	buffer_load_dword v87, v2, s[0:3], 0 offen offset:8
	;; [unrolled: 1-line block ×3, first 2 shown]
	buffer_store_dword v1, off, s[0:3], 0 offset:544
	buffer_store_dword v1, off, s[0:3], 0 offset:548
	;; [unrolled: 1-line block ×4, first 2 shown]
	s_waitcnt vmcnt(0)
	ds_write_b128 v141, v[85:88]
.LBB103_187:
	s_or_b32 exec_lo, exec_lo, s4
	s_waitcnt lgkmcnt(0)
	s_waitcnt_vscnt null, 0x0
	s_barrier
	buffer_gl0_inv
	s_clause 0x1b
	buffer_load_dword v2, off, s[0:3], 0 offset:568
	buffer_load_dword v3, off, s[0:3], 0 offset:572
	;; [unrolled: 1-line block ×28, first 2 shown]
	ds_read_b128 v[85:88], v1 offset:1184
	ds_read_b128 v[89:92], v1 offset:1200
	;; [unrolled: 1-line block ×3, first 2 shown]
	s_mov_b32 s4, exec_lo
	s_waitcnt vmcnt(26) lgkmcnt(2)
	v_mul_f64 v[123:124], v[87:88], v[2:3]
	v_mul_f64 v[2:3], v[85:86], v[2:3]
	s_waitcnt vmcnt(24) lgkmcnt(1)
	v_mul_f64 v[125:126], v[91:92], v[97:98]
	v_mul_f64 v[97:98], v[89:90], v[97:98]
	s_waitcnt vmcnt(22)
	v_fma_f64 v[123:124], v[85:86], v[99:100], -v[123:124]
	v_fma_f64 v[2:3], v[87:88], v[99:100], v[2:3]
	ds_read_b128 v[85:88], v1 offset:1232
	s_waitcnt vmcnt(20) lgkmcnt(1)
	v_mul_f64 v[99:100], v[93:94], v[101:102]
	v_mul_f64 v[101:102], v[95:96], v[101:102]
	s_waitcnt vmcnt(18)
	v_fma_f64 v[125:126], v[89:90], v[103:104], -v[125:126]
	v_fma_f64 v[97:98], v[91:92], v[103:104], v[97:98]
	ds_read_b128 v[89:92], v1 offset:1248
	s_waitcnt vmcnt(14) lgkmcnt(1)
	v_mul_f64 v[103:104], v[85:86], v[105:106]
	v_add_f64 v[123:124], v[123:124], 0
	v_add_f64 v[2:3], v[2:3], 0
	v_mul_f64 v[105:106], v[87:88], v[105:106]
	s_waitcnt vmcnt(12)
	v_fma_f64 v[93:94], v[93:94], v[111:112], -v[101:102]
	v_fma_f64 v[95:96], v[95:96], v[111:112], v[99:100]
	s_waitcnt vmcnt(11) lgkmcnt(0)
	v_mul_f64 v[99:100], v[89:90], v[107:108]
	v_mul_f64 v[107:108], v[91:92], v[107:108]
	s_waitcnt vmcnt(9)
	v_fma_f64 v[87:88], v[87:88], v[113:114], v[103:104]
	v_add_f64 v[101:102], v[123:124], v[125:126]
	v_add_f64 v[97:98], v[2:3], v[97:98]
	v_fma_f64 v[85:86], v[85:86], v[113:114], -v[105:106]
	ds_read_b128 v[1:4], v1 offset:1264
	s_waitcnt vmcnt(6)
	v_fma_f64 v[91:92], v[91:92], v[109:110], v[99:100]
	v_fma_f64 v[89:90], v[89:90], v[109:110], -v[107:108]
	v_add_f64 v[93:94], v[101:102], v[93:94]
	v_add_f64 v[95:96], v[97:98], v[95:96]
	s_waitcnt lgkmcnt(0)
	v_mul_f64 v[101:102], v[3:4], v[115:116]
	v_mul_f64 v[97:98], v[1:2], v[115:116]
	v_add_f64 v[85:86], v[93:94], v[85:86]
	v_add_f64 v[87:88], v[95:96], v[87:88]
	s_waitcnt vmcnt(4)
	v_fma_f64 v[1:2], v[1:2], v[117:118], -v[101:102]
	v_fma_f64 v[3:4], v[3:4], v[117:118], v[97:98]
	v_add_f64 v[85:86], v[85:86], v[89:90]
	v_add_f64 v[87:88], v[87:88], v[91:92]
	;; [unrolled: 1-line block ×4, first 2 shown]
	s_waitcnt vmcnt(2)
	v_add_f64 v[1:2], v[119:120], -v[1:2]
	s_waitcnt vmcnt(0)
	v_add_f64 v[3:4], v[121:122], -v[3:4]
	buffer_store_dword v2, off, s[0:3], 0 offset:548
	buffer_store_dword v1, off, s[0:3], 0 offset:544
	buffer_store_dword v4, off, s[0:3], 0 offset:556
	buffer_store_dword v3, off, s[0:3], 0 offset:552
	v_cmpx_lt_u32_e32 32, v0
	s_cbranch_execz .LBB103_189
; %bb.188:
	v_mov_b32_e32 v4, s19
	v_mov_b32_e32 v85, 0
	s_clause 0x3
	buffer_load_dword v1, v4, s[0:3], 0 offen
	buffer_load_dword v2, v4, s[0:3], 0 offen offset:4
	buffer_load_dword v3, v4, s[0:3], 0 offen offset:8
	;; [unrolled: 1-line block ×3, first 2 shown]
	buffer_store_dword v85, off, s[0:3], 0 offset:528
	buffer_store_dword v85, off, s[0:3], 0 offset:532
	buffer_store_dword v85, off, s[0:3], 0 offset:536
	buffer_store_dword v85, off, s[0:3], 0 offset:540
	s_waitcnt vmcnt(0)
	ds_write_b128 v141, v[1:4]
.LBB103_189:
	s_or_b32 exec_lo, exec_lo, s4
	s_waitcnt lgkmcnt(0)
	s_waitcnt_vscnt null, 0x0
	s_barrier
	buffer_gl0_inv
	s_clause 0x1f
	buffer_load_dword v2, off, s[0:3], 0 offset:552
	buffer_load_dword v3, off, s[0:3], 0 offset:556
	;; [unrolled: 1-line block ×32, first 2 shown]
	v_mov_b32_e32 v1, 0
	ds_read_b128 v[85:88], v1 offset:1168
	ds_read_b128 v[89:92], v1 offset:1184
	;; [unrolled: 1-line block ×3, first 2 shown]
	s_mov_b32 s4, exec_lo
	s_waitcnt vmcnt(30) lgkmcnt(2)
	v_mul_f64 v[127:128], v[87:88], v[2:3]
	v_mul_f64 v[2:3], v[85:86], v[2:3]
	s_waitcnt vmcnt(28) lgkmcnt(1)
	v_mul_f64 v[129:130], v[91:92], v[97:98]
	v_mul_f64 v[97:98], v[89:90], v[97:98]
	s_waitcnt vmcnt(26)
	v_fma_f64 v[127:128], v[85:86], v[99:100], -v[127:128]
	v_fma_f64 v[2:3], v[87:88], v[99:100], v[2:3]
	ds_read_b128 v[85:88], v1 offset:1216
	s_waitcnt vmcnt(24) lgkmcnt(1)
	v_mul_f64 v[99:100], v[93:94], v[101:102]
	v_mul_f64 v[101:102], v[95:96], v[101:102]
	s_waitcnt vmcnt(22)
	v_fma_f64 v[129:130], v[89:90], v[103:104], -v[129:130]
	v_fma_f64 v[97:98], v[91:92], v[103:104], v[97:98]
	ds_read_b128 v[89:92], v1 offset:1232
	s_waitcnt vmcnt(18) lgkmcnt(1)
	v_mul_f64 v[103:104], v[85:86], v[105:106]
	v_add_f64 v[127:128], v[127:128], 0
	v_add_f64 v[2:3], v[2:3], 0
	v_mul_f64 v[105:106], v[87:88], v[105:106]
	s_waitcnt vmcnt(16)
	v_fma_f64 v[101:102], v[93:94], v[111:112], -v[101:102]
	v_fma_f64 v[99:100], v[95:96], v[111:112], v[99:100]
	ds_read_b128 v[93:96], v1 offset:1248
	s_waitcnt vmcnt(13)
	v_fma_f64 v[103:104], v[87:88], v[113:114], v[103:104]
	v_add_f64 v[127:128], v[127:128], v[129:130]
	v_add_f64 v[2:3], v[2:3], v[97:98]
	s_waitcnt lgkmcnt(1)
	v_mul_f64 v[97:98], v[89:90], v[107:108]
	v_mul_f64 v[107:108], v[91:92], v[107:108]
	v_fma_f64 v[105:106], v[85:86], v[113:114], -v[105:106]
	s_waitcnt vmcnt(9) lgkmcnt(0)
	v_mul_f64 v[111:112], v[95:96], v[115:116]
	ds_read_b128 v[85:88], v1 offset:1264
	v_add_f64 v[101:102], v[127:128], v[101:102]
	v_add_f64 v[2:3], v[2:3], v[99:100]
	v_mul_f64 v[99:100], v[93:94], v[115:116]
	s_waitcnt vmcnt(8)
	v_fma_f64 v[89:90], v[89:90], v[109:110], -v[107:108]
	v_fma_f64 v[91:92], v[91:92], v[109:110], v[97:98]
	s_waitcnt vmcnt(5)
	v_fma_f64 v[93:94], v[93:94], v[121:122], -v[111:112]
	s_waitcnt lgkmcnt(0)
	v_mul_f64 v[97:98], v[85:86], v[117:118]
	v_add_f64 v[101:102], v[101:102], v[105:106]
	v_add_f64 v[2:3], v[2:3], v[103:104]
	v_mul_f64 v[103:104], v[87:88], v[117:118]
	v_fma_f64 v[95:96], v[95:96], v[121:122], v[99:100]
	s_waitcnt vmcnt(4)
	v_fma_f64 v[87:88], v[87:88], v[119:120], v[97:98]
	v_add_f64 v[89:90], v[101:102], v[89:90]
	v_add_f64 v[2:3], v[2:3], v[91:92]
	v_fma_f64 v[85:86], v[85:86], v[119:120], -v[103:104]
	v_add_f64 v[89:90], v[89:90], v[93:94]
	v_add_f64 v[2:3], v[2:3], v[95:96]
	v_add_f64 v[85:86], v[89:90], v[85:86]
	v_add_f64 v[2:3], v[2:3], v[87:88]
	s_waitcnt vmcnt(2)
	v_add_f64 v[85:86], v[123:124], -v[85:86]
	s_waitcnt vmcnt(0)
	v_add_f64 v[2:3], v[125:126], -v[2:3]
	buffer_store_dword v86, off, s[0:3], 0 offset:532
	buffer_store_dword v85, off, s[0:3], 0 offset:528
	;; [unrolled: 1-line block ×4, first 2 shown]
	v_cmpx_lt_u32_e32 31, v0
	s_cbranch_execz .LBB103_191
; %bb.190:
	v_mov_b32_e32 v2, s20
	s_clause 0x3
	buffer_load_dword v85, v2, s[0:3], 0 offen
	buffer_load_dword v86, v2, s[0:3], 0 offen offset:4
	buffer_load_dword v87, v2, s[0:3], 0 offen offset:8
	;; [unrolled: 1-line block ×3, first 2 shown]
	buffer_store_dword v1, off, s[0:3], 0 offset:512
	buffer_store_dword v1, off, s[0:3], 0 offset:516
	;; [unrolled: 1-line block ×4, first 2 shown]
	s_waitcnt vmcnt(0)
	ds_write_b128 v141, v[85:88]
.LBB103_191:
	s_or_b32 exec_lo, exec_lo, s4
	s_waitcnt lgkmcnt(0)
	s_waitcnt_vscnt null, 0x0
	s_barrier
	buffer_gl0_inv
	s_clause 0x23
	buffer_load_dword v2, off, s[0:3], 0 offset:536
	buffer_load_dword v3, off, s[0:3], 0 offset:540
	;; [unrolled: 1-line block ×36, first 2 shown]
	ds_read_b128 v[85:88], v1 offset:1152
	ds_read_b128 v[89:92], v1 offset:1168
	;; [unrolled: 1-line block ×3, first 2 shown]
	s_mov_b32 s4, exec_lo
	s_waitcnt vmcnt(34) lgkmcnt(2)
	v_mul_f64 v[131:132], v[87:88], v[2:3]
	v_mul_f64 v[2:3], v[85:86], v[2:3]
	s_waitcnt vmcnt(32) lgkmcnt(1)
	v_mul_f64 v[133:134], v[91:92], v[97:98]
	v_mul_f64 v[97:98], v[89:90], v[97:98]
	s_waitcnt vmcnt(30)
	v_fma_f64 v[131:132], v[85:86], v[99:100], -v[131:132]
	v_fma_f64 v[2:3], v[87:88], v[99:100], v[2:3]
	ds_read_b128 v[85:88], v1 offset:1200
	s_waitcnt vmcnt(28) lgkmcnt(1)
	v_mul_f64 v[99:100], v[93:94], v[101:102]
	v_mul_f64 v[101:102], v[95:96], v[101:102]
	s_waitcnt vmcnt(26)
	v_fma_f64 v[133:134], v[89:90], v[103:104], -v[133:134]
	v_fma_f64 v[97:98], v[91:92], v[103:104], v[97:98]
	ds_read_b128 v[89:92], v1 offset:1216
	s_waitcnt vmcnt(22) lgkmcnt(1)
	v_mul_f64 v[103:104], v[85:86], v[105:106]
	v_add_f64 v[131:132], v[131:132], 0
	v_add_f64 v[2:3], v[2:3], 0
	v_mul_f64 v[105:106], v[87:88], v[105:106]
	s_waitcnt vmcnt(20)
	v_fma_f64 v[101:102], v[93:94], v[111:112], -v[101:102]
	v_fma_f64 v[99:100], v[95:96], v[111:112], v[99:100]
	ds_read_b128 v[93:96], v1 offset:1232
	s_waitcnt vmcnt(17)
	v_fma_f64 v[103:104], v[87:88], v[113:114], v[103:104]
	v_add_f64 v[131:132], v[131:132], v[133:134]
	v_add_f64 v[2:3], v[2:3], v[97:98]
	s_waitcnt lgkmcnt(1)
	v_mul_f64 v[97:98], v[89:90], v[107:108]
	v_mul_f64 v[107:108], v[91:92], v[107:108]
	v_fma_f64 v[105:106], v[85:86], v[113:114], -v[105:106]
	s_waitcnt vmcnt(13) lgkmcnt(0)
	v_mul_f64 v[111:112], v[95:96], v[115:116]
	ds_read_b128 v[85:88], v1 offset:1248
	v_add_f64 v[101:102], v[131:132], v[101:102]
	v_add_f64 v[2:3], v[2:3], v[99:100]
	v_mul_f64 v[99:100], v[93:94], v[115:116]
	s_waitcnt vmcnt(12)
	v_fma_f64 v[89:90], v[89:90], v[109:110], -v[107:108]
	v_fma_f64 v[91:92], v[91:92], v[109:110], v[97:98]
	s_waitcnt vmcnt(9)
	v_fma_f64 v[93:94], v[93:94], v[121:122], -v[111:112]
	v_add_f64 v[101:102], v[101:102], v[105:106]
	v_add_f64 v[97:98], v[2:3], v[103:104]
	s_waitcnt lgkmcnt(0)
	v_mul_f64 v[105:106], v[87:88], v[117:118]
	ds_read_b128 v[1:4], v1 offset:1264
	v_mul_f64 v[103:104], v[85:86], v[117:118]
	v_fma_f64 v[95:96], v[95:96], v[121:122], v[99:100]
	v_add_f64 v[89:90], v[101:102], v[89:90]
	v_add_f64 v[91:92], v[97:98], v[91:92]
	s_waitcnt vmcnt(7) lgkmcnt(0)
	v_mul_f64 v[99:100], v[3:4], v[123:124]
	s_waitcnt vmcnt(6)
	v_fma_f64 v[85:86], v[85:86], v[119:120], -v[105:106]
	v_mul_f64 v[97:98], v[1:2], v[123:124]
	v_fma_f64 v[87:88], v[87:88], v[119:120], v[103:104]
	v_add_f64 v[89:90], v[89:90], v[93:94]
	v_add_f64 v[91:92], v[91:92], v[95:96]
	s_waitcnt vmcnt(4)
	v_fma_f64 v[1:2], v[1:2], v[125:126], -v[99:100]
	v_fma_f64 v[3:4], v[3:4], v[125:126], v[97:98]
	v_add_f64 v[85:86], v[89:90], v[85:86]
	v_add_f64 v[87:88], v[91:92], v[87:88]
	;; [unrolled: 1-line block ×4, first 2 shown]
	s_waitcnt vmcnt(2)
	v_add_f64 v[1:2], v[127:128], -v[1:2]
	s_waitcnt vmcnt(0)
	v_add_f64 v[3:4], v[129:130], -v[3:4]
	buffer_store_dword v2, off, s[0:3], 0 offset:516
	buffer_store_dword v1, off, s[0:3], 0 offset:512
	;; [unrolled: 1-line block ×4, first 2 shown]
	v_cmpx_lt_u32_e32 30, v0
	s_cbranch_execz .LBB103_193
; %bb.192:
	v_mov_b32_e32 v4, s21
	v_mov_b32_e32 v85, 0
	s_clause 0x3
	buffer_load_dword v1, v4, s[0:3], 0 offen
	buffer_load_dword v2, v4, s[0:3], 0 offen offset:4
	buffer_load_dword v3, v4, s[0:3], 0 offen offset:8
	;; [unrolled: 1-line block ×3, first 2 shown]
	buffer_store_dword v85, off, s[0:3], 0 offset:496
	buffer_store_dword v85, off, s[0:3], 0 offset:500
	;; [unrolled: 1-line block ×4, first 2 shown]
	s_waitcnt vmcnt(0)
	ds_write_b128 v141, v[1:4]
.LBB103_193:
	s_or_b32 exec_lo, exec_lo, s4
	s_waitcnt lgkmcnt(0)
	s_waitcnt_vscnt null, 0x0
	s_barrier
	buffer_gl0_inv
	s_clause 0x27
	buffer_load_dword v2, off, s[0:3], 0 offset:520
	buffer_load_dword v3, off, s[0:3], 0 offset:524
	;; [unrolled: 1-line block ×40, first 2 shown]
	v_mov_b32_e32 v1, 0
	ds_read_b128 v[85:88], v1 offset:1136
	ds_read_b128 v[89:92], v1 offset:1152
	;; [unrolled: 1-line block ×3, first 2 shown]
	s_mov_b32 s4, exec_lo
	s_waitcnt vmcnt(38) lgkmcnt(2)
	v_mul_f64 v[135:136], v[87:88], v[2:3]
	v_mul_f64 v[2:3], v[85:86], v[2:3]
	s_waitcnt vmcnt(36) lgkmcnt(1)
	v_mul_f64 v[137:138], v[91:92], v[97:98]
	v_mul_f64 v[97:98], v[89:90], v[97:98]
	s_waitcnt vmcnt(34)
	v_fma_f64 v[135:136], v[85:86], v[99:100], -v[135:136]
	v_fma_f64 v[2:3], v[87:88], v[99:100], v[2:3]
	ds_read_b128 v[85:88], v1 offset:1184
	s_waitcnt vmcnt(32) lgkmcnt(1)
	v_mul_f64 v[99:100], v[93:94], v[101:102]
	v_mul_f64 v[101:102], v[95:96], v[101:102]
	s_waitcnt vmcnt(30)
	v_fma_f64 v[137:138], v[89:90], v[103:104], -v[137:138]
	v_fma_f64 v[97:98], v[91:92], v[103:104], v[97:98]
	ds_read_b128 v[89:92], v1 offset:1200
	s_waitcnt vmcnt(26) lgkmcnt(1)
	v_mul_f64 v[103:104], v[85:86], v[105:106]
	v_add_f64 v[135:136], v[135:136], 0
	v_add_f64 v[2:3], v[2:3], 0
	v_mul_f64 v[105:106], v[87:88], v[105:106]
	s_waitcnt vmcnt(24)
	v_fma_f64 v[101:102], v[93:94], v[111:112], -v[101:102]
	v_fma_f64 v[99:100], v[95:96], v[111:112], v[99:100]
	ds_read_b128 v[93:96], v1 offset:1216
	s_waitcnt vmcnt(21)
	v_fma_f64 v[103:104], v[87:88], v[113:114], v[103:104]
	v_add_f64 v[135:136], v[135:136], v[137:138]
	v_add_f64 v[2:3], v[2:3], v[97:98]
	s_waitcnt lgkmcnt(1)
	v_mul_f64 v[97:98], v[89:90], v[107:108]
	v_mul_f64 v[107:108], v[91:92], v[107:108]
	v_fma_f64 v[105:106], v[85:86], v[113:114], -v[105:106]
	s_waitcnt vmcnt(17) lgkmcnt(0)
	v_mul_f64 v[111:112], v[95:96], v[115:116]
	ds_read_b128 v[85:88], v1 offset:1232
	v_add_f64 v[101:102], v[135:136], v[101:102]
	v_add_f64 v[2:3], v[2:3], v[99:100]
	v_mul_f64 v[99:100], v[93:94], v[115:116]
	s_waitcnt vmcnt(16)
	v_fma_f64 v[107:108], v[89:90], v[109:110], -v[107:108]
	v_fma_f64 v[97:98], v[91:92], v[109:110], v[97:98]
	ds_read_b128 v[89:92], v1 offset:1248
	s_waitcnt vmcnt(13)
	v_fma_f64 v[109:110], v[93:94], v[121:122], -v[111:112]
	v_add_f64 v[101:102], v[101:102], v[105:106]
	v_add_f64 v[2:3], v[2:3], v[103:104]
	s_waitcnt lgkmcnt(1)
	v_mul_f64 v[105:106], v[87:88], v[117:118]
	v_mul_f64 v[103:104], v[85:86], v[117:118]
	v_fma_f64 v[99:100], v[95:96], v[121:122], v[99:100]
	ds_read_b128 v[93:96], v1 offset:1264
	v_add_f64 v[101:102], v[101:102], v[107:108]
	v_add_f64 v[2:3], v[2:3], v[97:98]
	s_waitcnt vmcnt(9) lgkmcnt(1)
	v_mul_f64 v[107:108], v[91:92], v[123:124]
	s_waitcnt vmcnt(8)
	v_fma_f64 v[85:86], v[85:86], v[119:120], -v[105:106]
	v_mul_f64 v[97:98], v[89:90], v[123:124]
	v_fma_f64 v[87:88], v[87:88], v[119:120], v[103:104]
	s_waitcnt vmcnt(7) lgkmcnt(0)
	v_mul_f64 v[103:104], v[95:96], v[125:126]
	v_add_f64 v[101:102], v[101:102], v[109:110]
	v_add_f64 v[2:3], v[2:3], v[99:100]
	s_waitcnt vmcnt(5)
	v_fma_f64 v[89:90], v[89:90], v[129:130], -v[107:108]
	v_mul_f64 v[99:100], v[93:94], v[125:126]
	v_fma_f64 v[91:92], v[91:92], v[129:130], v[97:98]
	v_add_f64 v[85:86], v[101:102], v[85:86]
	v_add_f64 v[2:3], v[2:3], v[87:88]
	s_waitcnt vmcnt(4)
	v_fma_f64 v[87:88], v[93:94], v[127:128], -v[103:104]
	v_add_f64 v[85:86], v[85:86], v[89:90]
	v_fma_f64 v[89:90], v[95:96], v[127:128], v[99:100]
	v_add_f64 v[2:3], v[2:3], v[91:92]
	v_add_f64 v[85:86], v[85:86], v[87:88]
	;; [unrolled: 1-line block ×3, first 2 shown]
	s_waitcnt vmcnt(2)
	v_add_f64 v[85:86], v[131:132], -v[85:86]
	s_waitcnt vmcnt(0)
	v_add_f64 v[2:3], v[133:134], -v[2:3]
	buffer_store_dword v86, off, s[0:3], 0 offset:500
	buffer_store_dword v85, off, s[0:3], 0 offset:496
	;; [unrolled: 1-line block ×4, first 2 shown]
	v_cmpx_lt_u32_e32 29, v0
	s_cbranch_execz .LBB103_195
; %bb.194:
	v_mov_b32_e32 v2, s22
	s_clause 0x3
	buffer_load_dword v85, v2, s[0:3], 0 offen
	buffer_load_dword v86, v2, s[0:3], 0 offen offset:4
	buffer_load_dword v87, v2, s[0:3], 0 offen offset:8
	;; [unrolled: 1-line block ×3, first 2 shown]
	buffer_store_dword v1, off, s[0:3], 0 offset:480
	buffer_store_dword v1, off, s[0:3], 0 offset:484
	buffer_store_dword v1, off, s[0:3], 0 offset:488
	buffer_store_dword v1, off, s[0:3], 0 offset:492
	s_waitcnt vmcnt(0)
	ds_write_b128 v141, v[85:88]
.LBB103_195:
	s_or_b32 exec_lo, exec_lo, s4
	s_waitcnt lgkmcnt(0)
	s_waitcnt_vscnt null, 0x0
	s_barrier
	buffer_gl0_inv
	s_clause 0x2b
	buffer_load_dword v2, off, s[0:3], 0 offset:504
	buffer_load_dword v3, off, s[0:3], 0 offset:508
	;; [unrolled: 1-line block ×44, first 2 shown]
	ds_read_b128 v[85:88], v1 offset:1120
	ds_read_b128 v[89:92], v1 offset:1136
	;; [unrolled: 1-line block ×3, first 2 shown]
	s_mov_b32 s4, exec_lo
	s_waitcnt vmcnt(42) lgkmcnt(2)
	v_mul_f64 v[139:140], v[87:88], v[2:3]
	v_mul_f64 v[2:3], v[85:86], v[2:3]
	s_waitcnt vmcnt(40) lgkmcnt(1)
	v_mul_f64 v[142:143], v[91:92], v[97:98]
	v_mul_f64 v[97:98], v[89:90], v[97:98]
	s_waitcnt vmcnt(38)
	v_fma_f64 v[139:140], v[85:86], v[99:100], -v[139:140]
	v_fma_f64 v[2:3], v[87:88], v[99:100], v[2:3]
	ds_read_b128 v[85:88], v1 offset:1168
	s_waitcnt vmcnt(36) lgkmcnt(1)
	v_mul_f64 v[99:100], v[93:94], v[101:102]
	v_mul_f64 v[101:102], v[95:96], v[101:102]
	s_waitcnt vmcnt(34)
	v_fma_f64 v[142:143], v[89:90], v[103:104], -v[142:143]
	v_fma_f64 v[97:98], v[91:92], v[103:104], v[97:98]
	ds_read_b128 v[89:92], v1 offset:1184
	s_waitcnt vmcnt(30) lgkmcnt(1)
	v_mul_f64 v[103:104], v[85:86], v[105:106]
	v_add_f64 v[139:140], v[139:140], 0
	v_add_f64 v[2:3], v[2:3], 0
	v_mul_f64 v[105:106], v[87:88], v[105:106]
	s_waitcnt vmcnt(28)
	v_fma_f64 v[101:102], v[93:94], v[111:112], -v[101:102]
	v_fma_f64 v[99:100], v[95:96], v[111:112], v[99:100]
	ds_read_b128 v[93:96], v1 offset:1200
	s_waitcnt vmcnt(25)
	v_fma_f64 v[103:104], v[87:88], v[113:114], v[103:104]
	v_add_f64 v[139:140], v[139:140], v[142:143]
	v_add_f64 v[2:3], v[2:3], v[97:98]
	s_waitcnt lgkmcnt(1)
	v_mul_f64 v[97:98], v[89:90], v[107:108]
	v_mul_f64 v[107:108], v[91:92], v[107:108]
	v_fma_f64 v[105:106], v[85:86], v[113:114], -v[105:106]
	s_waitcnt vmcnt(21) lgkmcnt(0)
	v_mul_f64 v[111:112], v[95:96], v[115:116]
	ds_read_b128 v[85:88], v1 offset:1216
	v_add_f64 v[101:102], v[139:140], v[101:102]
	v_add_f64 v[2:3], v[2:3], v[99:100]
	v_mul_f64 v[99:100], v[93:94], v[115:116]
	s_waitcnt vmcnt(20)
	v_fma_f64 v[107:108], v[89:90], v[109:110], -v[107:108]
	v_fma_f64 v[97:98], v[91:92], v[109:110], v[97:98]
	ds_read_b128 v[89:92], v1 offset:1232
	s_waitcnt vmcnt(17)
	v_fma_f64 v[109:110], v[93:94], v[121:122], -v[111:112]
	v_add_f64 v[101:102], v[101:102], v[105:106]
	v_add_f64 v[2:3], v[2:3], v[103:104]
	s_waitcnt lgkmcnt(1)
	v_mul_f64 v[105:106], v[87:88], v[117:118]
	v_mul_f64 v[103:104], v[85:86], v[117:118]
	v_fma_f64 v[99:100], v[95:96], v[121:122], v[99:100]
	ds_read_b128 v[93:96], v1 offset:1248
	v_add_f64 v[101:102], v[101:102], v[107:108]
	v_add_f64 v[2:3], v[2:3], v[97:98]
	s_waitcnt vmcnt(13) lgkmcnt(1)
	v_mul_f64 v[107:108], v[91:92], v[123:124]
	s_waitcnt vmcnt(12)
	v_fma_f64 v[85:86], v[85:86], v[119:120], -v[105:106]
	v_mul_f64 v[97:98], v[89:90], v[123:124]
	v_fma_f64 v[87:88], v[87:88], v[119:120], v[103:104]
	s_waitcnt vmcnt(11) lgkmcnt(0)
	v_mul_f64 v[105:106], v[95:96], v[125:126]
	v_mul_f64 v[103:104], v[93:94], v[125:126]
	v_add_f64 v[101:102], v[101:102], v[109:110]
	v_add_f64 v[99:100], v[2:3], v[99:100]
	s_waitcnt vmcnt(9)
	v_fma_f64 v[89:90], v[89:90], v[129:130], -v[107:108]
	ds_read_b128 v[1:4], v1 offset:1264
	v_fma_f64 v[91:92], v[91:92], v[129:130], v[97:98]
	s_waitcnt vmcnt(6)
	v_fma_f64 v[93:94], v[93:94], v[127:128], -v[105:106]
	v_add_f64 v[85:86], v[101:102], v[85:86]
	v_add_f64 v[87:88], v[99:100], v[87:88]
	s_waitcnt lgkmcnt(0)
	v_mul_f64 v[99:100], v[3:4], v[131:132]
	v_mul_f64 v[97:98], v[1:2], v[131:132]
	v_add_f64 v[85:86], v[85:86], v[89:90]
	v_fma_f64 v[89:90], v[95:96], v[127:128], v[103:104]
	v_add_f64 v[87:88], v[87:88], v[91:92]
	s_waitcnt vmcnt(4)
	v_fma_f64 v[1:2], v[1:2], v[133:134], -v[99:100]
	v_fma_f64 v[3:4], v[3:4], v[133:134], v[97:98]
	v_add_f64 v[85:86], v[85:86], v[93:94]
	v_add_f64 v[87:88], v[87:88], v[89:90]
	;; [unrolled: 1-line block ×4, first 2 shown]
	s_waitcnt vmcnt(2)
	v_add_f64 v[1:2], v[135:136], -v[1:2]
	s_waitcnt vmcnt(0)
	v_add_f64 v[3:4], v[137:138], -v[3:4]
	buffer_store_dword v2, off, s[0:3], 0 offset:484
	buffer_store_dword v1, off, s[0:3], 0 offset:480
	;; [unrolled: 1-line block ×4, first 2 shown]
	v_cmpx_lt_u32_e32 28, v0
	s_cbranch_execz .LBB103_197
; %bb.196:
	v_mov_b32_e32 v4, s23
	v_mov_b32_e32 v85, 0
	s_clause 0x3
	buffer_load_dword v1, v4, s[0:3], 0 offen
	buffer_load_dword v2, v4, s[0:3], 0 offen offset:4
	buffer_load_dword v3, v4, s[0:3], 0 offen offset:8
	;; [unrolled: 1-line block ×3, first 2 shown]
	buffer_store_dword v85, off, s[0:3], 0 offset:464
	buffer_store_dword v85, off, s[0:3], 0 offset:468
	;; [unrolled: 1-line block ×4, first 2 shown]
	s_waitcnt vmcnt(0)
	ds_write_b128 v141, v[1:4]
.LBB103_197:
	s_or_b32 exec_lo, exec_lo, s4
	s_waitcnt lgkmcnt(0)
	s_waitcnt_vscnt null, 0x0
	s_barrier
	buffer_gl0_inv
	s_clause 0x2f
	buffer_load_dword v2, off, s[0:3], 0 offset:488
	buffer_load_dword v3, off, s[0:3], 0 offset:492
	;; [unrolled: 1-line block ×48, first 2 shown]
	v_mov_b32_e32 v1, 0
	ds_read_b128 v[85:88], v1 offset:1104
	ds_read_b128 v[89:92], v1 offset:1120
	;; [unrolled: 1-line block ×3, first 2 shown]
	s_mov_b32 s4, exec_lo
	s_waitcnt vmcnt(46) lgkmcnt(2)
	v_mul_f64 v[144:145], v[87:88], v[2:3]
	v_mul_f64 v[2:3], v[85:86], v[2:3]
	s_waitcnt vmcnt(44) lgkmcnt(1)
	v_mul_f64 v[146:147], v[91:92], v[97:98]
	v_mul_f64 v[97:98], v[89:90], v[97:98]
	s_waitcnt vmcnt(42)
	v_fma_f64 v[144:145], v[85:86], v[99:100], -v[144:145]
	v_fma_f64 v[2:3], v[87:88], v[99:100], v[2:3]
	ds_read_b128 v[85:88], v1 offset:1152
	s_waitcnt vmcnt(40) lgkmcnt(1)
	v_mul_f64 v[99:100], v[93:94], v[101:102]
	v_mul_f64 v[101:102], v[95:96], v[101:102]
	s_waitcnt vmcnt(38)
	v_fma_f64 v[146:147], v[89:90], v[103:104], -v[146:147]
	v_fma_f64 v[97:98], v[91:92], v[103:104], v[97:98]
	ds_read_b128 v[89:92], v1 offset:1168
	s_waitcnt vmcnt(34) lgkmcnt(1)
	v_mul_f64 v[103:104], v[85:86], v[105:106]
	v_add_f64 v[144:145], v[144:145], 0
	v_add_f64 v[2:3], v[2:3], 0
	v_mul_f64 v[105:106], v[87:88], v[105:106]
	s_waitcnt vmcnt(32)
	v_fma_f64 v[101:102], v[93:94], v[111:112], -v[101:102]
	v_fma_f64 v[99:100], v[95:96], v[111:112], v[99:100]
	ds_read_b128 v[93:96], v1 offset:1184
	s_waitcnt vmcnt(29)
	v_fma_f64 v[103:104], v[87:88], v[113:114], v[103:104]
	v_add_f64 v[144:145], v[144:145], v[146:147]
	v_add_f64 v[2:3], v[2:3], v[97:98]
	s_waitcnt lgkmcnt(1)
	v_mul_f64 v[97:98], v[89:90], v[107:108]
	v_mul_f64 v[107:108], v[91:92], v[107:108]
	v_fma_f64 v[105:106], v[85:86], v[113:114], -v[105:106]
	s_waitcnt vmcnt(25) lgkmcnt(0)
	v_mul_f64 v[111:112], v[95:96], v[115:116]
	ds_read_b128 v[85:88], v1 offset:1200
	v_add_f64 v[101:102], v[144:145], v[101:102]
	v_add_f64 v[2:3], v[2:3], v[99:100]
	v_mul_f64 v[99:100], v[93:94], v[115:116]
	s_waitcnt vmcnt(24)
	v_fma_f64 v[107:108], v[89:90], v[109:110], -v[107:108]
	v_fma_f64 v[97:98], v[91:92], v[109:110], v[97:98]
	ds_read_b128 v[89:92], v1 offset:1216
	s_waitcnt vmcnt(21)
	v_fma_f64 v[109:110], v[93:94], v[121:122], -v[111:112]
	v_add_f64 v[101:102], v[101:102], v[105:106]
	v_add_f64 v[2:3], v[2:3], v[103:104]
	s_waitcnt lgkmcnt(1)
	v_mul_f64 v[105:106], v[87:88], v[117:118]
	v_mul_f64 v[103:104], v[85:86], v[117:118]
	v_fma_f64 v[99:100], v[95:96], v[121:122], v[99:100]
	ds_read_b128 v[93:96], v1 offset:1232
	v_add_f64 v[101:102], v[101:102], v[107:108]
	v_add_f64 v[2:3], v[2:3], v[97:98]
	s_waitcnt vmcnt(17) lgkmcnt(1)
	v_mul_f64 v[107:108], v[91:92], v[123:124]
	s_waitcnt vmcnt(16)
	v_fma_f64 v[105:106], v[85:86], v[119:120], -v[105:106]
	v_mul_f64 v[97:98], v[89:90], v[123:124]
	v_fma_f64 v[103:104], v[87:88], v[119:120], v[103:104]
	ds_read_b128 v[85:88], v1 offset:1248
	v_add_f64 v[101:102], v[101:102], v[109:110]
	v_add_f64 v[2:3], v[2:3], v[99:100]
	s_waitcnt vmcnt(15) lgkmcnt(1)
	v_mul_f64 v[109:110], v[95:96], v[125:126]
	s_waitcnt vmcnt(13)
	v_fma_f64 v[107:108], v[89:90], v[129:130], -v[107:108]
	;; [unrolled: 9-line block ×3, first 2 shown]
	v_mul_f64 v[103:104], v[85:86], v[131:132]
	v_fma_f64 v[95:96], v[95:96], v[127:128], v[99:100]
	s_waitcnt vmcnt(7) lgkmcnt(0)
	v_mul_f64 v[99:100], v[91:92], v[133:134]
	v_add_f64 v[101:102], v[101:102], v[107:108]
	v_add_f64 v[2:3], v[2:3], v[97:98]
	s_waitcnt vmcnt(5)
	v_fma_f64 v[85:86], v[85:86], v[137:138], -v[105:106]
	v_mul_f64 v[97:98], v[89:90], v[133:134]
	v_fma_f64 v[87:88], v[87:88], v[137:138], v[103:104]
	s_waitcnt vmcnt(4)
	v_fma_f64 v[89:90], v[89:90], v[135:136], -v[99:100]
	v_add_f64 v[93:94], v[101:102], v[93:94]
	v_add_f64 v[2:3], v[2:3], v[95:96]
	v_fma_f64 v[91:92], v[91:92], v[135:136], v[97:98]
	v_add_f64 v[85:86], v[93:94], v[85:86]
	v_add_f64 v[2:3], v[2:3], v[87:88]
	;; [unrolled: 1-line block ×4, first 2 shown]
	s_waitcnt vmcnt(2)
	v_add_f64 v[85:86], v[139:140], -v[85:86]
	s_waitcnt vmcnt(0)
	v_add_f64 v[2:3], v[142:143], -v[2:3]
	buffer_store_dword v86, off, s[0:3], 0 offset:468
	buffer_store_dword v85, off, s[0:3], 0 offset:464
	;; [unrolled: 1-line block ×4, first 2 shown]
	v_cmpx_lt_u32_e32 27, v0
	s_cbranch_execz .LBB103_199
; %bb.198:
	v_mov_b32_e32 v2, s24
	s_clause 0x3
	buffer_load_dword v85, v2, s[0:3], 0 offen
	buffer_load_dword v86, v2, s[0:3], 0 offen offset:4
	buffer_load_dword v87, v2, s[0:3], 0 offen offset:8
	;; [unrolled: 1-line block ×3, first 2 shown]
	buffer_store_dword v1, off, s[0:3], 0 offset:448
	buffer_store_dword v1, off, s[0:3], 0 offset:452
	buffer_store_dword v1, off, s[0:3], 0 offset:456
	buffer_store_dword v1, off, s[0:3], 0 offset:460
	s_waitcnt vmcnt(0)
	ds_write_b128 v141, v[85:88]
.LBB103_199:
	s_or_b32 exec_lo, exec_lo, s4
	s_waitcnt lgkmcnt(0)
	s_waitcnt_vscnt null, 0x0
	s_barrier
	buffer_gl0_inv
	s_clause 0x2f
	buffer_load_dword v2, off, s[0:3], 0 offset:472
	buffer_load_dword v3, off, s[0:3], 0 offset:476
	;; [unrolled: 1-line block ×48, first 2 shown]
	ds_read_b128 v[85:88], v1 offset:1088
	s_clause 0x3
	buffer_load_dword v144, off, s[0:3], 0 offset:448
	buffer_load_dword v145, off, s[0:3], 0 offset:452
	;; [unrolled: 1-line block ×4, first 2 shown]
	ds_read_b128 v[89:92], v1 offset:1104
	ds_read_b128 v[93:96], v1 offset:1120
	s_mov_b32 s4, exec_lo
	s_waitcnt vmcnt(50) lgkmcnt(2)
	v_mul_f64 v[148:149], v[87:88], v[2:3]
	v_mul_f64 v[2:3], v[85:86], v[2:3]
	s_waitcnt vmcnt(48) lgkmcnt(1)
	v_mul_f64 v[150:151], v[91:92], v[97:98]
	v_mul_f64 v[97:98], v[89:90], v[97:98]
	s_waitcnt vmcnt(46)
	v_fma_f64 v[148:149], v[85:86], v[99:100], -v[148:149]
	v_fma_f64 v[2:3], v[87:88], v[99:100], v[2:3]
	s_waitcnt vmcnt(44) lgkmcnt(0)
	v_mul_f64 v[99:100], v[93:94], v[101:102]
	v_mul_f64 v[101:102], v[95:96], v[101:102]
	s_waitcnt vmcnt(42)
	v_fma_f64 v[150:151], v[89:90], v[103:104], -v[150:151]
	ds_read_b128 v[85:88], v1 offset:1136
	v_fma_f64 v[97:98], v[91:92], v[103:104], v[97:98]
	ds_read_b128 v[89:92], v1 offset:1152
	v_add_f64 v[148:149], v[148:149], 0
	v_add_f64 v[2:3], v[2:3], 0
	s_waitcnt vmcnt(36)
	v_fma_f64 v[99:100], v[95:96], v[111:112], v[99:100]
	s_waitcnt lgkmcnt(1)
	v_mul_f64 v[103:104], v[85:86], v[105:106]
	v_mul_f64 v[105:106], v[87:88], v[105:106]
	v_fma_f64 v[101:102], v[93:94], v[111:112], -v[101:102]
	ds_read_b128 v[93:96], v1 offset:1168
	v_add_f64 v[148:149], v[148:149], v[150:151]
	v_add_f64 v[2:3], v[2:3], v[97:98]
	s_waitcnt vmcnt(35) lgkmcnt(1)
	v_mul_f64 v[97:98], v[89:90], v[107:108]
	v_mul_f64 v[107:108], v[91:92], v[107:108]
	s_waitcnt vmcnt(33)
	v_fma_f64 v[105:106], v[85:86], v[113:114], -v[105:106]
	v_fma_f64 v[103:104], v[87:88], v[113:114], v[103:104]
	ds_read_b128 v[85:88], v1 offset:1184
	s_waitcnt vmcnt(29) lgkmcnt(1)
	v_mul_f64 v[111:112], v[95:96], v[115:116]
	v_add_f64 v[101:102], v[148:149], v[101:102]
	v_add_f64 v[2:3], v[2:3], v[99:100]
	v_mul_f64 v[99:100], v[93:94], v[115:116]
	s_waitcnt vmcnt(28)
	v_fma_f64 v[107:108], v[89:90], v[109:110], -v[107:108]
	v_fma_f64 v[97:98], v[91:92], v[109:110], v[97:98]
	ds_read_b128 v[89:92], v1 offset:1200
	s_waitcnt vmcnt(25)
	v_fma_f64 v[109:110], v[93:94], v[121:122], -v[111:112]
	v_add_f64 v[101:102], v[101:102], v[105:106]
	v_add_f64 v[2:3], v[2:3], v[103:104]
	s_waitcnt lgkmcnt(1)
	v_mul_f64 v[105:106], v[87:88], v[117:118]
	v_mul_f64 v[103:104], v[85:86], v[117:118]
	v_fma_f64 v[99:100], v[95:96], v[121:122], v[99:100]
	ds_read_b128 v[93:96], v1 offset:1216
	v_add_f64 v[101:102], v[101:102], v[107:108]
	v_add_f64 v[2:3], v[2:3], v[97:98]
	s_waitcnt vmcnt(21) lgkmcnt(1)
	v_mul_f64 v[107:108], v[91:92], v[123:124]
	s_waitcnt vmcnt(20)
	v_fma_f64 v[105:106], v[85:86], v[119:120], -v[105:106]
	v_mul_f64 v[97:98], v[89:90], v[123:124]
	v_fma_f64 v[103:104], v[87:88], v[119:120], v[103:104]
	ds_read_b128 v[85:88], v1 offset:1232
	v_add_f64 v[101:102], v[101:102], v[109:110]
	v_add_f64 v[2:3], v[2:3], v[99:100]
	s_waitcnt vmcnt(19) lgkmcnt(1)
	v_mul_f64 v[109:110], v[95:96], v[125:126]
	s_waitcnt vmcnt(17)
	v_fma_f64 v[107:108], v[89:90], v[129:130], -v[107:108]
	v_mul_f64 v[99:100], v[93:94], v[125:126]
	v_fma_f64 v[97:98], v[91:92], v[129:130], v[97:98]
	ds_read_b128 v[89:92], v1 offset:1248
	v_add_f64 v[101:102], v[101:102], v[105:106]
	v_add_f64 v[2:3], v[2:3], v[103:104]
	s_waitcnt vmcnt(13) lgkmcnt(1)
	v_mul_f64 v[105:106], v[87:88], v[131:132]
	s_waitcnt vmcnt(12)
	v_fma_f64 v[93:94], v[93:94], v[127:128], -v[109:110]
	v_mul_f64 v[103:104], v[85:86], v[131:132]
	v_fma_f64 v[95:96], v[95:96], v[127:128], v[99:100]
	s_waitcnt vmcnt(11) lgkmcnt(0)
	v_mul_f64 v[99:100], v[89:90], v[133:134]
	v_add_f64 v[101:102], v[101:102], v[107:108]
	v_add_f64 v[97:98], v[2:3], v[97:98]
	v_mul_f64 v[107:108], v[91:92], v[133:134]
	s_waitcnt vmcnt(9)
	v_fma_f64 v[85:86], v[85:86], v[137:138], -v[105:106]
	ds_read_b128 v[1:4], v1 offset:1264
	v_fma_f64 v[87:88], v[87:88], v[137:138], v[103:104]
	s_waitcnt vmcnt(6)
	v_fma_f64 v[91:92], v[91:92], v[135:136], v[99:100]
	v_add_f64 v[93:94], v[101:102], v[93:94]
	v_add_f64 v[95:96], v[97:98], v[95:96]
	s_waitcnt lgkmcnt(0)
	v_mul_f64 v[101:102], v[3:4], v[139:140]
	v_fma_f64 v[89:90], v[89:90], v[135:136], -v[107:108]
	v_mul_f64 v[97:98], v[1:2], v[139:140]
	v_add_f64 v[85:86], v[93:94], v[85:86]
	v_add_f64 v[87:88], v[95:96], v[87:88]
	s_waitcnt vmcnt(4)
	v_fma_f64 v[1:2], v[1:2], v[142:143], -v[101:102]
	v_fma_f64 v[3:4], v[3:4], v[142:143], v[97:98]
	v_add_f64 v[85:86], v[85:86], v[89:90]
	v_add_f64 v[87:88], v[87:88], v[91:92]
	;; [unrolled: 1-line block ×4, first 2 shown]
	s_waitcnt vmcnt(2)
	v_add_f64 v[1:2], v[144:145], -v[1:2]
	s_waitcnt vmcnt(0)
	v_add_f64 v[3:4], v[146:147], -v[3:4]
	buffer_store_dword v2, off, s[0:3], 0 offset:452
	buffer_store_dword v1, off, s[0:3], 0 offset:448
	;; [unrolled: 1-line block ×4, first 2 shown]
	v_cmpx_lt_u32_e32 26, v0
	s_cbranch_execz .LBB103_201
; %bb.200:
	v_mov_b32_e32 v4, s25
	v_mov_b32_e32 v85, 0
	s_clause 0x3
	buffer_load_dword v1, v4, s[0:3], 0 offen
	buffer_load_dword v2, v4, s[0:3], 0 offen offset:4
	buffer_load_dword v3, v4, s[0:3], 0 offen offset:8
	;; [unrolled: 1-line block ×3, first 2 shown]
	buffer_store_dword v85, off, s[0:3], 0 offset:432
	buffer_store_dword v85, off, s[0:3], 0 offset:436
	;; [unrolled: 1-line block ×4, first 2 shown]
	s_waitcnt vmcnt(0)
	ds_write_b128 v141, v[1:4]
.LBB103_201:
	s_or_b32 exec_lo, exec_lo, s4
	s_waitcnt lgkmcnt(0)
	s_waitcnt_vscnt null, 0x0
	s_barrier
	buffer_gl0_inv
	s_clause 0x33
	buffer_load_dword v2, off, s[0:3], 0 offset:456
	buffer_load_dword v3, off, s[0:3], 0 offset:460
	;; [unrolled: 1-line block ×52, first 2 shown]
	v_mov_b32_e32 v1, 0
	ds_read_b128 v[85:88], v1 offset:1072
	ds_read_b128 v[89:92], v1 offset:1088
	s_clause 0x3
	buffer_load_dword v150, off, s[0:3], 0 offset:432
	buffer_load_dword v151, off, s[0:3], 0 offset:436
	;; [unrolled: 1-line block ×4, first 2 shown]
	ds_read_b128 v[93:96], v1 offset:1104
	s_mov_b32 s4, exec_lo
	s_waitcnt vmcnt(54) lgkmcnt(2)
	v_mul_f64 v[148:149], v[87:88], v[2:3]
	v_mul_f64 v[2:3], v[85:86], v[2:3]
	s_waitcnt vmcnt(52) lgkmcnt(1)
	v_mul_f64 v[154:155], v[91:92], v[97:98]
	v_mul_f64 v[97:98], v[89:90], v[97:98]
	s_waitcnt vmcnt(50)
	v_fma_f64 v[148:149], v[85:86], v[99:100], -v[148:149]
	v_fma_f64 v[2:3], v[87:88], v[99:100], v[2:3]
	ds_read_b128 v[85:88], v1 offset:1120
	s_waitcnt vmcnt(48) lgkmcnt(1)
	v_mul_f64 v[99:100], v[93:94], v[101:102]
	v_mul_f64 v[101:102], v[95:96], v[101:102]
	s_waitcnt vmcnt(46)
	v_fma_f64 v[154:155], v[89:90], v[103:104], -v[154:155]
	v_fma_f64 v[97:98], v[91:92], v[103:104], v[97:98]
	ds_read_b128 v[89:92], v1 offset:1136
	s_waitcnt vmcnt(42) lgkmcnt(1)
	v_mul_f64 v[103:104], v[85:86], v[105:106]
	v_add_f64 v[148:149], v[148:149], 0
	v_add_f64 v[2:3], v[2:3], 0
	v_mul_f64 v[105:106], v[87:88], v[105:106]
	s_waitcnt vmcnt(40)
	v_fma_f64 v[101:102], v[93:94], v[111:112], -v[101:102]
	v_fma_f64 v[99:100], v[95:96], v[111:112], v[99:100]
	ds_read_b128 v[93:96], v1 offset:1152
	s_waitcnt vmcnt(37)
	v_fma_f64 v[103:104], v[87:88], v[113:114], v[103:104]
	v_add_f64 v[148:149], v[148:149], v[154:155]
	v_add_f64 v[2:3], v[2:3], v[97:98]
	s_waitcnt lgkmcnt(1)
	v_mul_f64 v[97:98], v[89:90], v[107:108]
	v_mul_f64 v[107:108], v[91:92], v[107:108]
	v_fma_f64 v[105:106], v[85:86], v[113:114], -v[105:106]
	s_waitcnt vmcnt(33) lgkmcnt(0)
	v_mul_f64 v[111:112], v[95:96], v[115:116]
	ds_read_b128 v[85:88], v1 offset:1168
	v_add_f64 v[101:102], v[148:149], v[101:102]
	v_add_f64 v[2:3], v[2:3], v[99:100]
	v_mul_f64 v[99:100], v[93:94], v[115:116]
	s_waitcnt vmcnt(32)
	v_fma_f64 v[107:108], v[89:90], v[109:110], -v[107:108]
	v_fma_f64 v[97:98], v[91:92], v[109:110], v[97:98]
	ds_read_b128 v[89:92], v1 offset:1184
	s_waitcnt vmcnt(29)
	v_fma_f64 v[109:110], v[93:94], v[121:122], -v[111:112]
	v_add_f64 v[101:102], v[101:102], v[105:106]
	v_add_f64 v[2:3], v[2:3], v[103:104]
	s_waitcnt lgkmcnt(1)
	v_mul_f64 v[105:106], v[87:88], v[117:118]
	v_mul_f64 v[103:104], v[85:86], v[117:118]
	v_fma_f64 v[99:100], v[95:96], v[121:122], v[99:100]
	ds_read_b128 v[93:96], v1 offset:1200
	v_add_f64 v[101:102], v[101:102], v[107:108]
	v_add_f64 v[2:3], v[2:3], v[97:98]
	s_waitcnt vmcnt(25) lgkmcnt(1)
	v_mul_f64 v[107:108], v[91:92], v[123:124]
	s_waitcnt vmcnt(24)
	v_fma_f64 v[105:106], v[85:86], v[119:120], -v[105:106]
	v_mul_f64 v[97:98], v[89:90], v[123:124]
	v_fma_f64 v[103:104], v[87:88], v[119:120], v[103:104]
	ds_read_b128 v[85:88], v1 offset:1216
	v_add_f64 v[101:102], v[101:102], v[109:110]
	v_add_f64 v[2:3], v[2:3], v[99:100]
	s_waitcnt vmcnt(23) lgkmcnt(1)
	v_mul_f64 v[109:110], v[95:96], v[125:126]
	s_waitcnt vmcnt(21)
	v_fma_f64 v[107:108], v[89:90], v[129:130], -v[107:108]
	;; [unrolled: 9-line block ×5, first 2 shown]
	v_mul_f64 v[99:100], v[93:94], v[139:140]
	v_fma_f64 v[91:92], v[91:92], v[135:136], v[97:98]
	s_waitcnt vmcnt(7) lgkmcnt(0)
	v_mul_f64 v[97:98], v[85:86], v[142:143]
	v_add_f64 v[101:102], v[101:102], v[105:106]
	v_add_f64 v[2:3], v[2:3], v[103:104]
	v_mul_f64 v[103:104], v[87:88], v[142:143]
	s_waitcnt vmcnt(5)
	v_fma_f64 v[93:94], v[93:94], v[146:147], -v[109:110]
	v_fma_f64 v[95:96], v[95:96], v[146:147], v[99:100]
	s_waitcnt vmcnt(4)
	v_fma_f64 v[87:88], v[87:88], v[144:145], v[97:98]
	v_add_f64 v[89:90], v[101:102], v[89:90]
	v_add_f64 v[2:3], v[2:3], v[91:92]
	v_fma_f64 v[85:86], v[85:86], v[144:145], -v[103:104]
	v_add_f64 v[89:90], v[89:90], v[93:94]
	v_add_f64 v[2:3], v[2:3], v[95:96]
	;; [unrolled: 1-line block ×4, first 2 shown]
	s_waitcnt vmcnt(2)
	v_add_f64 v[85:86], v[150:151], -v[85:86]
	s_waitcnt vmcnt(0)
	v_add_f64 v[2:3], v[152:153], -v[2:3]
	buffer_store_dword v86, off, s[0:3], 0 offset:436
	buffer_store_dword v85, off, s[0:3], 0 offset:432
	;; [unrolled: 1-line block ×4, first 2 shown]
	v_cmpx_lt_u32_e32 25, v0
	s_cbranch_execz .LBB103_203
; %bb.202:
	v_mov_b32_e32 v2, s26
	s_clause 0x3
	buffer_load_dword v85, v2, s[0:3], 0 offen
	buffer_load_dword v86, v2, s[0:3], 0 offen offset:4
	buffer_load_dword v87, v2, s[0:3], 0 offen offset:8
	buffer_load_dword v88, v2, s[0:3], 0 offen offset:12
	buffer_store_dword v1, off, s[0:3], 0 offset:416
	buffer_store_dword v1, off, s[0:3], 0 offset:420
	;; [unrolled: 1-line block ×4, first 2 shown]
	s_waitcnt vmcnt(0)
	ds_write_b128 v141, v[85:88]
.LBB103_203:
	s_or_b32 exec_lo, exec_lo, s4
	s_waitcnt lgkmcnt(0)
	s_waitcnt_vscnt null, 0x0
	s_barrier
	buffer_gl0_inv
	s_clause 0x35
	buffer_load_dword v2, off, s[0:3], 0 offset:440
	buffer_load_dword v3, off, s[0:3], 0 offset:444
	;; [unrolled: 1-line block ×54, first 2 shown]
	ds_read_b128 v[85:88], v1 offset:1056
	s_clause 0x1
	buffer_load_dword v151, off, s[0:3], 0 offset:644
	buffer_load_dword v150, off, s[0:3], 0 offset:640
	ds_read_b128 v[89:92], v1 offset:1072
	ds_read_b128 v[93:96], v1 offset:1088
	s_mov_b32 s4, exec_lo
	s_waitcnt vmcnt(54) lgkmcnt(2)
	v_mul_f64 v[152:153], v[87:88], v[2:3]
	v_mul_f64 v[2:3], v[85:86], v[2:3]
	s_waitcnt vmcnt(52) lgkmcnt(1)
	v_mul_f64 v[154:155], v[91:92], v[97:98]
	v_mul_f64 v[97:98], v[89:90], v[97:98]
	;; [unrolled: 3-line block ×3, first 2 shown]
	v_fma_f64 v[152:153], v[85:86], v[99:100], -v[152:153]
	v_fma_f64 v[2:3], v[87:88], v[99:100], v[2:3]
	s_clause 0x3
	buffer_load_dword v99, off, s[0:3], 0 offset:416
	buffer_load_dword v100, off, s[0:3], 0 offset:420
	;; [unrolled: 1-line block ×4, first 2 shown]
	s_waitcnt vmcnt(50)
	v_fma_f64 v[154:155], v[89:90], v[103:104], -v[154:155]
	ds_read_b128 v[85:88], v1 offset:1104
	v_fma_f64 v[97:98], v[91:92], v[103:104], v[97:98]
	ds_read_b128 v[89:92], v1 offset:1120
	s_waitcnt vmcnt(46)
	v_fma_f64 v[101:102], v[93:94], v[107:108], -v[101:102]
	v_fma_f64 v[107:108], v[95:96], v[107:108], v[158:159]
	ds_read_b128 v[93:96], v1 offset:1136
	v_add_f64 v[152:153], v[152:153], 0
	v_add_f64 v[2:3], v[2:3], 0
	s_waitcnt lgkmcnt(2)
	v_mul_f64 v[103:104], v[85:86], v[105:106]
	v_mul_f64 v[105:106], v[87:88], v[105:106]
	v_add_f64 v[152:153], v[152:153], v[154:155]
	v_add_f64 v[2:3], v[2:3], v[97:98]
	s_waitcnt vmcnt(44) lgkmcnt(1)
	v_mul_f64 v[97:98], v[89:90], v[109:110]
	v_mul_f64 v[109:110], v[91:92], v[109:110]
	s_waitcnt vmcnt(42)
	v_fma_f64 v[105:106], v[85:86], v[111:112], -v[105:106]
	v_fma_f64 v[103:104], v[87:88], v[111:112], v[103:104]
	ds_read_b128 v[85:88], v1 offset:1152
	s_waitcnt vmcnt(40) lgkmcnt(1)
	v_mul_f64 v[111:112], v[95:96], v[113:114]
	v_add_f64 v[101:102], v[152:153], v[101:102]
	v_add_f64 v[2:3], v[2:3], v[107:108]
	v_mul_f64 v[107:108], v[93:94], v[113:114]
	s_waitcnt vmcnt(38)
	v_fma_f64 v[109:110], v[89:90], v[115:116], -v[109:110]
	v_fma_f64 v[97:98], v[91:92], v[115:116], v[97:98]
	ds_read_b128 v[89:92], v1 offset:1168
	s_waitcnt vmcnt(34)
	v_fma_f64 v[111:112], v[93:94], v[119:120], -v[111:112]
	v_add_f64 v[101:102], v[101:102], v[105:106]
	v_add_f64 v[2:3], v[2:3], v[103:104]
	s_waitcnt lgkmcnt(1)
	v_mul_f64 v[105:106], v[87:88], v[117:118]
	v_mul_f64 v[103:104], v[85:86], v[117:118]
	v_fma_f64 v[107:108], v[95:96], v[119:120], v[107:108]
	ds_read_b128 v[93:96], v1 offset:1184
	v_add_f64 v[101:102], v[101:102], v[109:110]
	v_add_f64 v[2:3], v[2:3], v[97:98]
	s_waitcnt vmcnt(32) lgkmcnt(1)
	v_mul_f64 v[109:110], v[91:92], v[121:122]
	s_waitcnt vmcnt(30)
	v_fma_f64 v[105:106], v[85:86], v[123:124], -v[105:106]
	v_mul_f64 v[97:98], v[89:90], v[121:122]
	v_fma_f64 v[103:104], v[87:88], v[123:124], v[103:104]
	ds_read_b128 v[85:88], v1 offset:1200
	v_add_f64 v[101:102], v[101:102], v[111:112]
	v_add_f64 v[2:3], v[2:3], v[107:108]
	s_waitcnt vmcnt(28) lgkmcnt(1)
	v_mul_f64 v[111:112], v[95:96], v[125:126]
	s_waitcnt vmcnt(26)
	v_fma_f64 v[109:110], v[89:90], v[127:128], -v[109:110]
	;; [unrolled: 9-line block ×5, first 2 shown]
	v_mul_f64 v[107:108], v[93:94], v[137:138]
	v_fma_f64 v[91:92], v[91:92], v[139:140], v[97:98]
	v_add_f64 v[101:102], v[101:102], v[105:106]
	v_add_f64 v[97:98], v[2:3], v[103:104]
	s_waitcnt vmcnt(12) lgkmcnt(0)
	v_mul_f64 v[105:106], v[87:88], v[142:143]
	s_waitcnt vmcnt(10)
	v_fma_f64 v[93:94], v[93:94], v[144:145], -v[111:112]
	ds_read_b128 v[1:4], v1 offset:1264
	v_mul_f64 v[103:104], v[85:86], v[142:143]
	v_fma_f64 v[95:96], v[95:96], v[144:145], v[107:108]
	v_add_f64 v[89:90], v[101:102], v[89:90]
	v_add_f64 v[91:92], v[97:98], v[91:92]
	s_waitcnt vmcnt(8) lgkmcnt(0)
	v_mul_f64 v[101:102], v[3:4], v[146:147]
	s_waitcnt vmcnt(6)
	v_fma_f64 v[85:86], v[85:86], v[148:149], -v[105:106]
	v_mul_f64 v[97:98], v[1:2], v[146:147]
	v_fma_f64 v[87:88], v[87:88], v[148:149], v[103:104]
	v_add_f64 v[89:90], v[89:90], v[93:94]
	v_add_f64 v[91:92], v[91:92], v[95:96]
	s_waitcnt vmcnt(4)
	v_fma_f64 v[1:2], v[1:2], v[150:151], -v[101:102]
	v_fma_f64 v[3:4], v[3:4], v[150:151], v[97:98]
	v_add_f64 v[85:86], v[89:90], v[85:86]
	v_add_f64 v[87:88], v[91:92], v[87:88]
	;; [unrolled: 1-line block ×4, first 2 shown]
	s_waitcnt vmcnt(2)
	v_add_f64 v[1:2], v[99:100], -v[1:2]
	s_waitcnt vmcnt(0)
	v_add_f64 v[3:4], v[156:157], -v[3:4]
	buffer_store_dword v2, off, s[0:3], 0 offset:420
	buffer_store_dword v1, off, s[0:3], 0 offset:416
	;; [unrolled: 1-line block ×4, first 2 shown]
	v_cmpx_lt_u32_e32 24, v0
	s_cbranch_execz .LBB103_205
; %bb.204:
	v_mov_b32_e32 v4, s27
	v_mov_b32_e32 v85, 0
	s_clause 0x3
	buffer_load_dword v1, v4, s[0:3], 0 offen
	buffer_load_dword v2, v4, s[0:3], 0 offen offset:4
	buffer_load_dword v3, v4, s[0:3], 0 offen offset:8
	;; [unrolled: 1-line block ×3, first 2 shown]
	buffer_store_dword v85, off, s[0:3], 0 offset:400
	buffer_store_dword v85, off, s[0:3], 0 offset:404
	;; [unrolled: 1-line block ×4, first 2 shown]
	s_waitcnt vmcnt(0)
	ds_write_b128 v141, v[1:4]
.LBB103_205:
	s_or_b32 exec_lo, exec_lo, s4
	s_waitcnt lgkmcnt(0)
	s_waitcnt_vscnt null, 0x0
	s_barrier
	buffer_gl0_inv
	s_clause 0x37
	buffer_load_dword v2, off, s[0:3], 0 offset:424
	buffer_load_dword v3, off, s[0:3], 0 offset:428
	buffer_load_dword v97, off, s[0:3], 0 offset:440
	buffer_load_dword v98, off, s[0:3], 0 offset:444
	buffer_load_dword v99, off, s[0:3], 0 offset:416
	buffer_load_dword v100, off, s[0:3], 0 offset:420
	buffer_load_dword v101, off, s[0:3], 0 offset:456
	buffer_load_dword v102, off, s[0:3], 0 offset:460
	buffer_load_dword v103, off, s[0:3], 0 offset:432
	buffer_load_dword v104, off, s[0:3], 0 offset:436
	buffer_load_dword v106, off, s[0:3], 0 offset:476
	buffer_load_dword v107, off, s[0:3], 0 offset:488
	buffer_load_dword v109, off, s[0:3], 0 offset:480
	buffer_load_dword v105, off, s[0:3], 0 offset:472
	buffer_load_dword v111, off, s[0:3], 0 offset:448
	buffer_load_dword v112, off, s[0:3], 0 offset:452
	buffer_load_dword v108, off, s[0:3], 0 offset:492
	buffer_load_dword v114, off, s[0:3], 0 offset:468
	buffer_load_dword v113, off, s[0:3], 0 offset:464
	buffer_load_dword v116, off, s[0:3], 0 offset:508
	buffer_load_dword v117, off, s[0:3], 0 offset:520
	buffer_load_dword v119, off, s[0:3], 0 offset:512
	buffer_load_dword v115, off, s[0:3], 0 offset:504
	buffer_load_dword v110, off, s[0:3], 0 offset:484
	buffer_load_dword v118, off, s[0:3], 0 offset:524
	buffer_load_dword v122, off, s[0:3], 0 offset:500
	buffer_load_dword v121, off, s[0:3], 0 offset:496
	buffer_load_dword v124, off, s[0:3], 0 offset:540
	buffer_load_dword v125, off, s[0:3], 0 offset:552
	buffer_load_dword v127, off, s[0:3], 0 offset:544
	buffer_load_dword v123, off, s[0:3], 0 offset:536
	buffer_load_dword v120, off, s[0:3], 0 offset:516
	buffer_load_dword v126, off, s[0:3], 0 offset:556
	buffer_load_dword v130, off, s[0:3], 0 offset:532
	buffer_load_dword v129, off, s[0:3], 0 offset:528
	buffer_load_dword v132, off, s[0:3], 0 offset:572
	buffer_load_dword v133, off, s[0:3], 0 offset:584
	buffer_load_dword v135, off, s[0:3], 0 offset:576
	buffer_load_dword v131, off, s[0:3], 0 offset:568
	buffer_load_dword v128, off, s[0:3], 0 offset:548
	buffer_load_dword v134, off, s[0:3], 0 offset:588
	buffer_load_dword v138, off, s[0:3], 0 offset:564
	buffer_load_dword v137, off, s[0:3], 0 offset:560
	buffer_load_dword v140, off, s[0:3], 0 offset:604
	buffer_load_dword v142, off, s[0:3], 0 offset:616
	buffer_load_dword v144, off, s[0:3], 0 offset:608
	buffer_load_dword v139, off, s[0:3], 0 offset:600
	buffer_load_dword v136, off, s[0:3], 0 offset:580
	buffer_load_dword v143, off, s[0:3], 0 offset:620
	buffer_load_dword v147, off, s[0:3], 0 offset:596
	buffer_load_dword v146, off, s[0:3], 0 offset:592
	buffer_load_dword v149, off, s[0:3], 0 offset:636
	buffer_load_dword v150, off, s[0:3], 0 offset:648
	buffer_load_dword v152, off, s[0:3], 0 offset:640
	buffer_load_dword v148, off, s[0:3], 0 offset:632
	buffer_load_dword v145, off, s[0:3], 0 offset:612
	v_mov_b32_e32 v1, 0
	s_mov_b32 s4, exec_lo
	ds_read_b128 v[85:88], v1 offset:1040
	s_clause 0x2
	buffer_load_dword v151, off, s[0:3], 0 offset:652
	buffer_load_dword v155, off, s[0:3], 0 offset:628
	buffer_load_dword v154, off, s[0:3], 0 offset:624
	ds_read_b128 v[89:92], v1 offset:1056
	ds_read_b128 v[93:96], v1 offset:1072
	buffer_load_dword v153, off, s[0:3], 0 offset:644
	s_waitcnt vmcnt(58) lgkmcnt(2)
	v_mul_f64 v[156:157], v[87:88], v[2:3]
	v_mul_f64 v[2:3], v[85:86], v[2:3]
	s_waitcnt vmcnt(56) lgkmcnt(1)
	v_mul_f64 v[158:159], v[91:92], v[97:98]
	v_mul_f64 v[97:98], v[89:90], v[97:98]
	s_waitcnt vmcnt(54)
	v_fma_f64 v[156:157], v[85:86], v[99:100], -v[156:157]
	v_fma_f64 v[2:3], v[87:88], v[99:100], v[2:3]
	s_waitcnt vmcnt(52) lgkmcnt(0)
	v_mul_f64 v[99:100], v[93:94], v[101:102]
	v_mul_f64 v[101:102], v[95:96], v[101:102]
	s_waitcnt vmcnt(50)
	v_fma_f64 v[158:159], v[89:90], v[103:104], -v[158:159]
	ds_read_b128 v[85:88], v1 offset:1088
	v_fma_f64 v[97:98], v[91:92], v[103:104], v[97:98]
	s_clause 0x3
	buffer_load_dword v103, off, s[0:3], 0 offset:400
	buffer_load_dword v104, off, s[0:3], 0 offset:404
	;; [unrolled: 1-line block ×4, first 2 shown]
	ds_read_b128 v[89:92], v1 offset:1104
	v_add_f64 v[156:157], v[156:157], 0
	v_add_f64 v[2:3], v[2:3], 0
	s_waitcnt vmcnt(48)
	v_fma_f64 v[99:100], v[95:96], v[111:112], v[99:100]
	s_waitcnt lgkmcnt(1)
	v_mul_f64 v[162:163], v[85:86], v[105:106]
	v_mul_f64 v[105:106], v[87:88], v[105:106]
	v_fma_f64 v[101:102], v[93:94], v[111:112], -v[101:102]
	ds_read_b128 v[93:96], v1 offset:1120
	v_add_f64 v[156:157], v[156:157], v[158:159]
	v_add_f64 v[2:3], v[2:3], v[97:98]
	s_waitcnt vmcnt(47) lgkmcnt(1)
	v_mul_f64 v[97:98], v[89:90], v[107:108]
	v_mul_f64 v[107:108], v[91:92], v[107:108]
	s_waitcnt vmcnt(45)
	v_fma_f64 v[105:106], v[85:86], v[113:114], -v[105:106]
	v_fma_f64 v[111:112], v[87:88], v[113:114], v[162:163]
	s_waitcnt vmcnt(41) lgkmcnt(0)
	v_mul_f64 v[113:114], v[95:96], v[115:116]
	ds_read_b128 v[85:88], v1 offset:1136
	v_add_f64 v[101:102], v[156:157], v[101:102]
	v_add_f64 v[2:3], v[2:3], v[99:100]
	v_mul_f64 v[99:100], v[93:94], v[115:116]
	s_waitcnt vmcnt(40)
	v_fma_f64 v[107:108], v[89:90], v[109:110], -v[107:108]
	v_fma_f64 v[97:98], v[91:92], v[109:110], v[97:98]
	ds_read_b128 v[89:92], v1 offset:1152
	s_waitcnt vmcnt(39) lgkmcnt(1)
	v_mul_f64 v[109:110], v[87:88], v[117:118]
	v_add_f64 v[101:102], v[101:102], v[105:106]
	v_add_f64 v[2:3], v[2:3], v[111:112]
	s_waitcnt vmcnt(37)
	v_fma_f64 v[111:112], v[93:94], v[121:122], -v[113:114]
	v_mul_f64 v[105:106], v[85:86], v[117:118]
	v_fma_f64 v[99:100], v[95:96], v[121:122], v[99:100]
	ds_read_b128 v[93:96], v1 offset:1168
	s_waitcnt vmcnt(32)
	v_fma_f64 v[109:110], v[85:86], v[119:120], -v[109:110]
	v_add_f64 v[101:102], v[101:102], v[107:108]
	v_add_f64 v[2:3], v[2:3], v[97:98]
	s_waitcnt lgkmcnt(1)
	v_mul_f64 v[107:108], v[91:92], v[123:124]
	v_mul_f64 v[97:98], v[89:90], v[123:124]
	v_fma_f64 v[105:106], v[87:88], v[119:120], v[105:106]
	ds_read_b128 v[85:88], v1 offset:1184
	v_add_f64 v[101:102], v[101:102], v[111:112]
	v_add_f64 v[2:3], v[2:3], v[99:100]
	s_waitcnt vmcnt(31) lgkmcnt(1)
	v_mul_f64 v[111:112], v[95:96], v[125:126]
	s_waitcnt vmcnt(29)
	v_fma_f64 v[107:108], v[89:90], v[129:130], -v[107:108]
	v_mul_f64 v[99:100], v[93:94], v[125:126]
	v_fma_f64 v[97:98], v[91:92], v[129:130], v[97:98]
	ds_read_b128 v[89:92], v1 offset:1200
	v_add_f64 v[101:102], v[101:102], v[109:110]
	v_add_f64 v[2:3], v[2:3], v[105:106]
	s_waitcnt vmcnt(25) lgkmcnt(1)
	v_mul_f64 v[109:110], v[87:88], v[131:132]
	s_waitcnt vmcnt(24)
	v_fma_f64 v[111:112], v[93:94], v[127:128], -v[111:112]
	;; [unrolled: 9-line block ×6, first 2 shown]
	v_mul_f64 v[97:98], v[89:90], v[148:149]
	v_fma_f64 v[87:88], v[87:88], v[144:145], v[105:106]
	s_waitcnt vmcnt(7) lgkmcnt(0)
	v_mul_f64 v[105:106], v[95:96], v[150:151]
	v_add_f64 v[101:102], v[101:102], v[111:112]
	v_add_f64 v[2:3], v[2:3], v[99:100]
	s_waitcnt vmcnt(5)
	v_fma_f64 v[89:90], v[89:90], v[154:155], -v[107:108]
	v_mul_f64 v[99:100], v[93:94], v[150:151]
	v_fma_f64 v[91:92], v[91:92], v[154:155], v[97:98]
	v_add_f64 v[85:86], v[101:102], v[85:86]
	v_add_f64 v[2:3], v[2:3], v[87:88]
	s_waitcnt vmcnt(4)
	v_fma_f64 v[87:88], v[93:94], v[152:153], -v[105:106]
	v_add_f64 v[85:86], v[85:86], v[89:90]
	v_fma_f64 v[89:90], v[95:96], v[152:153], v[99:100]
	v_add_f64 v[2:3], v[2:3], v[91:92]
	v_add_f64 v[85:86], v[85:86], v[87:88]
	;; [unrolled: 1-line block ×3, first 2 shown]
	s_waitcnt vmcnt(2)
	v_add_f64 v[85:86], v[103:104], -v[85:86]
	s_waitcnt vmcnt(0)
	v_add_f64 v[2:3], v[160:161], -v[2:3]
	buffer_store_dword v86, off, s[0:3], 0 offset:404
	buffer_store_dword v85, off, s[0:3], 0 offset:400
	;; [unrolled: 1-line block ×4, first 2 shown]
	v_cmpx_lt_u32_e32 23, v0
	s_cbranch_execz .LBB103_207
; %bb.206:
	v_mov_b32_e32 v2, s28
	s_clause 0x3
	buffer_load_dword v85, v2, s[0:3], 0 offen
	buffer_load_dword v86, v2, s[0:3], 0 offen offset:4
	buffer_load_dword v87, v2, s[0:3], 0 offen offset:8
	buffer_load_dword v88, v2, s[0:3], 0 offen offset:12
	buffer_store_dword v1, off, s[0:3], 0 offset:384
	buffer_store_dword v1, off, s[0:3], 0 offset:388
	;; [unrolled: 1-line block ×4, first 2 shown]
	s_waitcnt vmcnt(0)
	ds_write_b128 v141, v[85:88]
.LBB103_207:
	s_or_b32 exec_lo, exec_lo, s4
	s_waitcnt lgkmcnt(0)
	s_waitcnt_vscnt null, 0x0
	s_barrier
	buffer_gl0_inv
	s_clause 0x37
	buffer_load_dword v2, off, s[0:3], 0 offset:408
	buffer_load_dword v3, off, s[0:3], 0 offset:412
	;; [unrolled: 1-line block ×56, first 2 shown]
	ds_read_b128 v[85:88], v1 offset:1024
	s_clause 0x2
	buffer_load_dword v151, off, s[0:3], 0 offset:636
	buffer_load_dword v155, off, s[0:3], 0 offset:612
	;; [unrolled: 1-line block ×3, first 2 shown]
	ds_read_b128 v[89:92], v1 offset:1040
	s_clause 0x2
	buffer_load_dword v159, off, s[0:3], 0 offset:652
	buffer_load_dword v158, off, s[0:3], 0 offset:648
	;; [unrolled: 1-line block ×3, first 2 shown]
	ds_read_b128 v[93:96], v1 offset:1056
	s_mov_b32 s4, exec_lo
	s_waitcnt vmcnt(60) lgkmcnt(2)
	v_mul_f64 v[156:157], v[87:88], v[2:3]
	v_mul_f64 v[2:3], v[85:86], v[2:3]
	s_waitcnt vmcnt(58) lgkmcnt(1)
	v_mul_f64 v[160:161], v[91:92], v[97:98]
	v_mul_f64 v[97:98], v[89:90], v[97:98]
	;; [unrolled: 3-line block ×3, first 2 shown]
	v_fma_f64 v[156:157], v[85:86], v[99:100], -v[156:157]
	v_fma_f64 v[2:3], v[87:88], v[99:100], v[2:3]
	s_clause 0x1
	buffer_load_dword v100, off, s[0:3], 0 offset:644
	buffer_load_dword v99, off, s[0:3], 0 offset:640
	s_waitcnt vmcnt(54)
	v_fma_f64 v[160:161], v[89:90], v[103:104], -v[160:161]
	ds_read_b128 v[85:88], v1 offset:1072
	v_fma_f64 v[97:98], v[91:92], v[103:104], v[97:98]
	ds_read_b128 v[89:92], v1 offset:1088
	s_waitcnt vmcnt(48)
	v_fma_f64 v[101:102], v[93:94], v[111:112], -v[101:102]
	v_fma_f64 v[111:112], v[95:96], v[111:112], v[162:163]
	v_add_f64 v[156:157], v[156:157], 0
	v_add_f64 v[2:3], v[2:3], 0
	s_waitcnt lgkmcnt(1)
	v_mul_f64 v[103:104], v[85:86], v[105:106]
	v_mul_f64 v[105:106], v[87:88], v[105:106]
	s_waitcnt vmcnt(47) lgkmcnt(0)
	v_mul_f64 v[162:163], v[89:90], v[107:108]
	v_mul_f64 v[107:108], v[91:92], v[107:108]
	v_add_f64 v[156:157], v[156:157], v[160:161]
	v_add_f64 v[2:3], v[2:3], v[97:98]
	s_clause 0x3
	buffer_load_dword v97, off, s[0:3], 0 offset:384
	buffer_load_dword v98, off, s[0:3], 0 offset:388
	;; [unrolled: 1-line block ×4, first 2 shown]
	s_waitcnt vmcnt(49)
	v_fma_f64 v[105:106], v[85:86], v[113:114], -v[105:106]
	ds_read_b128 v[93:96], v1 offset:1104
	v_fma_f64 v[103:104], v[87:88], v[113:114], v[103:104]
	ds_read_b128 v[85:88], v1 offset:1120
	s_waitcnt vmcnt(44)
	v_fma_f64 v[107:108], v[89:90], v[109:110], -v[107:108]
	v_add_f64 v[101:102], v[156:157], v[101:102]
	v_add_f64 v[2:3], v[2:3], v[111:112]
	s_waitcnt lgkmcnt(1)
	v_mul_f64 v[113:114], v[95:96], v[115:116]
	v_mul_f64 v[111:112], v[93:94], v[115:116]
	v_add_f64 v[101:102], v[101:102], v[105:106]
	v_fma_f64 v[105:106], v[91:92], v[109:110], v[162:163]
	v_add_f64 v[2:3], v[2:3], v[103:104]
	s_waitcnt vmcnt(43) lgkmcnt(0)
	v_mul_f64 v[109:110], v[87:88], v[117:118]
	s_waitcnt vmcnt(41)
	v_fma_f64 v[113:114], v[93:94], v[121:122], -v[113:114]
	ds_read_b128 v[89:92], v1 offset:1136
	v_mul_f64 v[103:104], v[85:86], v[117:118]
	v_add_f64 v[101:102], v[101:102], v[107:108]
	v_fma_f64 v[107:108], v[95:96], v[121:122], v[111:112]
	v_add_f64 v[2:3], v[2:3], v[105:106]
	ds_read_b128 v[93:96], v1 offset:1152
	s_waitcnt vmcnt(37) lgkmcnt(1)
	v_mul_f64 v[111:112], v[91:92], v[123:124]
	s_waitcnt vmcnt(36)
	v_fma_f64 v[109:110], v[85:86], v[119:120], -v[109:110]
	v_mul_f64 v[105:106], v[89:90], v[123:124]
	v_fma_f64 v[103:104], v[87:88], v[119:120], v[103:104]
	ds_read_b128 v[85:88], v1 offset:1168
	v_add_f64 v[101:102], v[101:102], v[113:114]
	s_waitcnt vmcnt(35) lgkmcnt(1)
	v_mul_f64 v[113:114], v[95:96], v[125:126]
	v_add_f64 v[2:3], v[2:3], v[107:108]
	v_mul_f64 v[107:108], v[93:94], v[125:126]
	s_waitcnt vmcnt(33)
	v_fma_f64 v[111:112], v[89:90], v[129:130], -v[111:112]
	v_fma_f64 v[105:106], v[91:92], v[129:130], v[105:106]
	ds_read_b128 v[89:92], v1 offset:1184
	v_add_f64 v[101:102], v[101:102], v[109:110]
	s_waitcnt vmcnt(29) lgkmcnt(1)
	v_mul_f64 v[109:110], v[87:88], v[131:132]
	v_add_f64 v[2:3], v[2:3], v[103:104]
	s_waitcnt vmcnt(28)
	v_fma_f64 v[113:114], v[93:94], v[127:128], -v[113:114]
	v_mul_f64 v[103:104], v[85:86], v[131:132]
	v_fma_f64 v[107:108], v[95:96], v[127:128], v[107:108]
	ds_read_b128 v[93:96], v1 offset:1200
	v_add_f64 v[101:102], v[101:102], v[111:112]
	s_waitcnt vmcnt(27) lgkmcnt(1)
	v_mul_f64 v[111:112], v[91:92], v[133:134]
	v_add_f64 v[2:3], v[2:3], v[105:106]
	s_waitcnt vmcnt(25)
	v_fma_f64 v[109:110], v[85:86], v[137:138], -v[109:110]
	v_mul_f64 v[105:106], v[89:90], v[133:134]
	;; [unrolled: 9-line block ×5, first 2 shown]
	v_fma_f64 v[87:88], v[87:88], v[144:145], v[103:104]
	s_waitcnt vmcnt(11) lgkmcnt(0)
	v_mul_f64 v[109:110], v[95:96], v[150:151]
	v_add_f64 v[101:102], v[101:102], v[113:114]
	s_waitcnt vmcnt(9)
	v_fma_f64 v[89:90], v[89:90], v[154:155], -v[111:112]
	v_add_f64 v[103:104], v[2:3], v[107:108]
	ds_read_b128 v[1:4], v1 offset:1264
	v_mul_f64 v[107:108], v[93:94], v[150:151]
	v_fma_f64 v[91:92], v[91:92], v[154:155], v[105:106]
	s_waitcnt vmcnt(6)
	v_fma_f64 v[93:94], v[93:94], v[152:153], -v[109:110]
	v_add_f64 v[85:86], v[101:102], v[85:86]
	s_waitcnt lgkmcnt(0)
	v_mul_f64 v[101:102], v[1:2], v[158:159]
	v_add_f64 v[87:88], v[103:104], v[87:88]
	v_mul_f64 v[103:104], v[3:4], v[158:159]
	v_add_f64 v[85:86], v[85:86], v[89:90]
	v_fma_f64 v[89:90], v[95:96], v[152:153], v[107:108]
	v_add_f64 v[87:88], v[87:88], v[91:92]
	s_waitcnt vmcnt(4)
	v_fma_f64 v[1:2], v[1:2], v[99:100], -v[103:104]
	v_fma_f64 v[3:4], v[3:4], v[99:100], v[101:102]
	v_add_f64 v[85:86], v[85:86], v[93:94]
	v_add_f64 v[87:88], v[87:88], v[89:90]
	;; [unrolled: 1-line block ×4, first 2 shown]
	s_waitcnt vmcnt(2)
	v_add_f64 v[1:2], v[97:98], -v[1:2]
	s_waitcnt vmcnt(0)
	v_add_f64 v[3:4], v[160:161], -v[3:4]
	buffer_store_dword v2, off, s[0:3], 0 offset:388
	buffer_store_dword v1, off, s[0:3], 0 offset:384
	;; [unrolled: 1-line block ×4, first 2 shown]
	v_cmpx_lt_u32_e32 22, v0
	s_cbranch_execz .LBB103_209
; %bb.208:
	v_mov_b32_e32 v4, s29
	v_mov_b32_e32 v85, 0
	s_clause 0x3
	buffer_load_dword v1, v4, s[0:3], 0 offen
	buffer_load_dword v2, v4, s[0:3], 0 offen offset:4
	buffer_load_dword v3, v4, s[0:3], 0 offen offset:8
	;; [unrolled: 1-line block ×3, first 2 shown]
	buffer_store_dword v85, off, s[0:3], 0 offset:368
	buffer_store_dword v85, off, s[0:3], 0 offset:372
	;; [unrolled: 1-line block ×4, first 2 shown]
	s_waitcnt vmcnt(0)
	ds_write_b128 v141, v[1:4]
.LBB103_209:
	s_or_b32 exec_lo, exec_lo, s4
	s_waitcnt lgkmcnt(0)
	s_waitcnt_vscnt null, 0x0
	s_barrier
	buffer_gl0_inv
	s_clause 0x37
	buffer_load_dword v2, off, s[0:3], 0 offset:392
	buffer_load_dword v3, off, s[0:3], 0 offset:396
	;; [unrolled: 1-line block ×56, first 2 shown]
	v_mov_b32_e32 v1, 0
	s_mov_b32 s4, exec_lo
	ds_read_b128 v[85:88], v1 offset:1008
	s_clause 0x2
	buffer_load_dword v151, off, s[0:3], 0 offset:620
	buffer_load_dword v155, off, s[0:3], 0 offset:596
	;; [unrolled: 1-line block ×3, first 2 shown]
	ds_read_b128 v[89:92], v1 offset:1024
	s_clause 0x4
	buffer_load_dword v159, off, s[0:3], 0 offset:636
	buffer_load_dword v160, off, s[0:3], 0 offset:648
	;; [unrolled: 1-line block ×5, first 2 shown]
	ds_read_b128 v[93:96], v1 offset:1040
	s_waitcnt vmcnt(62) lgkmcnt(2)
	v_mul_f64 v[156:157], v[87:88], v[2:3]
	v_mul_f64 v[2:3], v[85:86], v[2:3]
	s_waitcnt vmcnt(60) lgkmcnt(1)
	v_mul_f64 v[163:164], v[91:92], v[97:98]
	v_mul_f64 v[97:98], v[89:90], v[97:98]
	;; [unrolled: 3-line block ×3, first 2 shown]
	v_fma_f64 v[156:157], v[85:86], v[99:100], -v[156:157]
	v_fma_f64 v[2:3], v[87:88], v[99:100], v[2:3]
	s_clause 0x2
	buffer_load_dword v161, off, s[0:3], 0 offset:652
	buffer_load_dword v100, off, s[0:3], 0 offset:628
	buffer_load_dword v99, off, s[0:3], 0 offset:624
	s_waitcnt vmcnt(57)
	v_fma_f64 v[167:168], v[89:90], v[103:104], -v[163:164]
	ds_read_b128 v[85:88], v1 offset:1056
	v_fma_f64 v[97:98], v[91:92], v[103:104], v[97:98]
	buffer_load_dword v163, off, s[0:3], 0 offset:644
	ds_read_b128 v[89:92], v1 offset:1072
	s_waitcnt vmcnt(52)
	v_fma_f64 v[101:102], v[93:94], v[111:112], -v[101:102]
	v_fma_f64 v[111:112], v[95:96], v[111:112], v[165:166]
	ds_read_b128 v[93:96], v1 offset:1088
	v_add_f64 v[156:157], v[156:157], 0
	v_add_f64 v[2:3], v[2:3], 0
	s_waitcnt lgkmcnt(2)
	v_mul_f64 v[103:104], v[85:86], v[105:106]
	v_mul_f64 v[105:106], v[87:88], v[105:106]
	v_add_f64 v[156:157], v[156:157], v[167:168]
	v_add_f64 v[2:3], v[2:3], v[97:98]
	s_waitcnt vmcnt(51) lgkmcnt(1)
	v_mul_f64 v[97:98], v[89:90], v[107:108]
	v_mul_f64 v[107:108], v[91:92], v[107:108]
	s_waitcnt vmcnt(49)
	v_fma_f64 v[105:106], v[85:86], v[113:114], -v[105:106]
	v_fma_f64 v[103:104], v[87:88], v[113:114], v[103:104]
	v_add_f64 v[101:102], v[156:157], v[101:102]
	v_add_f64 v[2:3], v[2:3], v[111:112]
	s_clause 0x3
	buffer_load_dword v111, off, s[0:3], 0 offset:368
	buffer_load_dword v112, off, s[0:3], 0 offset:372
	;; [unrolled: 1-line block ×4, first 2 shown]
	s_waitcnt vmcnt(49) lgkmcnt(0)
	v_mul_f64 v[156:157], v[93:94], v[115:116]
	v_mul_f64 v[115:116], v[95:96], v[115:116]
	s_waitcnt vmcnt(48)
	v_fma_f64 v[107:108], v[89:90], v[109:110], -v[107:108]
	ds_read_b128 v[85:88], v1 offset:1104
	v_fma_f64 v[97:98], v[91:92], v[109:110], v[97:98]
	ds_read_b128 v[89:92], v1 offset:1120
	v_add_f64 v[101:102], v[101:102], v[105:106]
	v_add_f64 v[2:3], v[2:3], v[103:104]
	s_waitcnt vmcnt(47) lgkmcnt(1)
	v_mul_f64 v[105:106], v[87:88], v[117:118]
	s_waitcnt vmcnt(45)
	v_fma_f64 v[109:110], v[93:94], v[121:122], -v[115:116]
	v_mul_f64 v[103:104], v[85:86], v[117:118]
	s_waitcnt vmcnt(41) lgkmcnt(0)
	v_mul_f64 v[115:116], v[91:92], v[123:124]
	v_add_f64 v[101:102], v[101:102], v[107:108]
	v_fma_f64 v[107:108], v[95:96], v[121:122], v[156:157]
	v_add_f64 v[2:3], v[2:3], v[97:98]
	ds_read_b128 v[93:96], v1 offset:1136
	s_waitcnt vmcnt(40)
	v_fma_f64 v[105:106], v[85:86], v[119:120], -v[105:106]
	v_mul_f64 v[97:98], v[89:90], v[123:124]
	v_fma_f64 v[103:104], v[87:88], v[119:120], v[103:104]
	ds_read_b128 v[85:88], v1 offset:1152
	s_waitcnt vmcnt(37)
	v_fma_f64 v[115:116], v[89:90], v[129:130], -v[115:116]
	v_add_f64 v[101:102], v[101:102], v[109:110]
	s_waitcnt lgkmcnt(1)
	v_mul_f64 v[109:110], v[95:96], v[125:126]
	v_add_f64 v[2:3], v[2:3], v[107:108]
	v_mul_f64 v[107:108], v[93:94], v[125:126]
	v_fma_f64 v[97:98], v[91:92], v[129:130], v[97:98]
	ds_read_b128 v[89:92], v1 offset:1168
	v_add_f64 v[101:102], v[101:102], v[105:106]
	s_waitcnt vmcnt(33) lgkmcnt(1)
	v_mul_f64 v[105:106], v[87:88], v[131:132]
	v_add_f64 v[2:3], v[2:3], v[103:104]
	s_waitcnt vmcnt(32)
	v_fma_f64 v[109:110], v[93:94], v[127:128], -v[109:110]
	v_mul_f64 v[103:104], v[85:86], v[131:132]
	v_fma_f64 v[107:108], v[95:96], v[127:128], v[107:108]
	ds_read_b128 v[93:96], v1 offset:1184
	v_add_f64 v[101:102], v[101:102], v[115:116]
	s_waitcnt vmcnt(31) lgkmcnt(1)
	v_mul_f64 v[115:116], v[91:92], v[133:134]
	v_add_f64 v[2:3], v[2:3], v[97:98]
	s_waitcnt vmcnt(29)
	v_fma_f64 v[105:106], v[85:86], v[137:138], -v[105:106]
	;; [unrolled: 9-line block ×7, first 2 shown]
	v_mul_f64 v[103:104], v[85:86], v[158:159]
	v_fma_f64 v[95:96], v[95:96], v[152:153], v[107:108]
	v_add_f64 v[101:102], v[101:102], v[115:116]
	v_add_f64 v[2:3], v[2:3], v[97:98]
	s_waitcnt vmcnt(7) lgkmcnt(0)
	v_mul_f64 v[107:108], v[91:92], v[160:161]
	v_mul_f64 v[97:98], v[89:90], v[160:161]
	s_waitcnt vmcnt(5)
	v_fma_f64 v[85:86], v[85:86], v[99:100], -v[105:106]
	v_fma_f64 v[87:88], v[87:88], v[99:100], v[103:104]
	v_add_f64 v[93:94], v[101:102], v[93:94]
	v_add_f64 v[2:3], v[2:3], v[95:96]
	s_waitcnt vmcnt(4)
	v_fma_f64 v[89:90], v[89:90], v[162:163], -v[107:108]
	v_fma_f64 v[91:92], v[91:92], v[162:163], v[97:98]
	v_add_f64 v[85:86], v[93:94], v[85:86]
	v_add_f64 v[2:3], v[2:3], v[87:88]
	;; [unrolled: 1-line block ×4, first 2 shown]
	s_waitcnt vmcnt(2)
	v_add_f64 v[85:86], v[111:112], -v[85:86]
	s_waitcnt vmcnt(0)
	v_add_f64 v[2:3], v[113:114], -v[2:3]
	buffer_store_dword v86, off, s[0:3], 0 offset:372
	buffer_store_dword v85, off, s[0:3], 0 offset:368
	;; [unrolled: 1-line block ×4, first 2 shown]
	v_cmpx_lt_u32_e32 21, v0
	s_cbranch_execz .LBB103_211
; %bb.210:
	v_mov_b32_e32 v2, s30
	s_clause 0x3
	buffer_load_dword v85, v2, s[0:3], 0 offen
	buffer_load_dword v86, v2, s[0:3], 0 offen offset:4
	buffer_load_dword v87, v2, s[0:3], 0 offen offset:8
	;; [unrolled: 1-line block ×3, first 2 shown]
	buffer_store_dword v1, off, s[0:3], 0 offset:352
	buffer_store_dword v1, off, s[0:3], 0 offset:356
	;; [unrolled: 1-line block ×4, first 2 shown]
	s_waitcnt vmcnt(0)
	ds_write_b128 v141, v[85:88]
.LBB103_211:
	s_or_b32 exec_lo, exec_lo, s4
	s_waitcnt lgkmcnt(0)
	s_waitcnt_vscnt null, 0x0
	s_barrier
	buffer_gl0_inv
	s_clause 0x37
	buffer_load_dword v2, off, s[0:3], 0 offset:376
	buffer_load_dword v3, off, s[0:3], 0 offset:380
	;; [unrolled: 1-line block ×56, first 2 shown]
	ds_read_b128 v[85:88], v1 offset:992
	s_clause 0x2
	buffer_load_dword v151, off, s[0:3], 0 offset:604
	buffer_load_dword v155, off, s[0:3], 0 offset:580
	;; [unrolled: 1-line block ×3, first 2 shown]
	ds_read_b128 v[89:92], v1 offset:1008
	s_clause 0x4
	buffer_load_dword v159, off, s[0:3], 0 offset:620
	buffer_load_dword v160, off, s[0:3], 0 offset:632
	;; [unrolled: 1-line block ×5, first 2 shown]
	ds_read_b128 v[93:96], v1 offset:1024
	s_mov_b32 s4, exec_lo
	s_waitcnt vmcnt(62) lgkmcnt(2)
	v_mul_f64 v[156:157], v[87:88], v[2:3]
	v_mul_f64 v[2:3], v[85:86], v[2:3]
	s_waitcnt vmcnt(60) lgkmcnt(1)
	v_mul_f64 v[163:164], v[91:92], v[97:98]
	v_mul_f64 v[97:98], v[89:90], v[97:98]
	s_waitcnt vmcnt(56) lgkmcnt(0)
	v_mul_f64 v[165:166], v[93:94], v[101:102]
	v_mul_f64 v[101:102], v[95:96], v[101:102]
	v_fma_f64 v[156:157], v[85:86], v[99:100], -v[156:157]
	v_fma_f64 v[2:3], v[87:88], v[99:100], v[2:3]
	s_clause 0x2
	buffer_load_dword v161, off, s[0:3], 0 offset:636
	buffer_load_dword v100, off, s[0:3], 0 offset:612
	buffer_load_dword v99, off, s[0:3], 0 offset:608
	s_waitcnt vmcnt(57)
	v_fma_f64 v[167:168], v[89:90], v[103:104], -v[163:164]
	ds_read_b128 v[85:88], v1 offset:1040
	v_fma_f64 v[97:98], v[91:92], v[103:104], v[97:98]
	s_clause 0x2
	buffer_load_dword v104, off, s[0:3], 0 offset:652
	buffer_load_dword v103, off, s[0:3], 0 offset:648
	;; [unrolled: 1-line block ×3, first 2 shown]
	s_waitcnt vmcnt(54)
	v_fma_f64 v[101:102], v[93:94], v[111:112], -v[101:102]
	ds_read_b128 v[89:92], v1 offset:1056
	v_fma_f64 v[111:112], v[95:96], v[111:112], v[165:166]
	v_add_f64 v[156:157], v[156:157], 0
	v_add_f64 v[2:3], v[2:3], 0
	s_waitcnt lgkmcnt(1)
	v_mul_f64 v[169:170], v[85:86], v[105:106]
	v_mul_f64 v[105:106], v[87:88], v[105:106]
	s_waitcnt vmcnt(53) lgkmcnt(0)
	v_mul_f64 v[164:165], v[89:90], v[107:108]
	v_mul_f64 v[107:108], v[91:92], v[107:108]
	v_add_f64 v[156:157], v[156:157], v[167:168]
	v_add_f64 v[2:3], v[2:3], v[97:98]
	s_clause 0x1
	buffer_load_dword v98, off, s[0:3], 0 offset:644
	buffer_load_dword v97, off, s[0:3], 0 offset:640
	s_waitcnt vmcnt(53)
	v_fma_f64 v[105:106], v[85:86], v[113:114], -v[105:106]
	ds_read_b128 v[93:96], v1 offset:1072
	v_fma_f64 v[113:114], v[87:88], v[113:114], v[169:170]
	ds_read_b128 v[85:88], v1 offset:1088
	s_waitcnt vmcnt(48)
	v_fma_f64 v[107:108], v[89:90], v[109:110], -v[107:108]
	v_add_f64 v[101:102], v[156:157], v[101:102]
	v_add_f64 v[2:3], v[2:3], v[111:112]
	s_waitcnt lgkmcnt(1)
	v_mul_f64 v[111:112], v[93:94], v[115:116]
	v_mul_f64 v[115:116], v[95:96], v[115:116]
	s_waitcnt vmcnt(47) lgkmcnt(0)
	v_mul_f64 v[156:157], v[85:86], v[117:118]
	v_mul_f64 v[117:118], v[87:88], v[117:118]
	v_add_f64 v[101:102], v[101:102], v[105:106]
	v_fma_f64 v[105:106], v[91:92], v[109:110], v[164:165]
	v_add_f64 v[2:3], v[2:3], v[113:114]
	s_clause 0x3
	buffer_load_dword v109, off, s[0:3], 0 offset:352
	buffer_load_dword v110, off, s[0:3], 0 offset:356
	;; [unrolled: 1-line block ×4, first 2 shown]
	s_waitcnt vmcnt(49)
	v_fma_f64 v[115:116], v[93:94], v[121:122], -v[115:116]
	ds_read_b128 v[89:92], v1 offset:1104
	s_waitcnt vmcnt(44)
	v_fma_f64 v[117:118], v[85:86], v[119:120], -v[117:118]
	v_add_f64 v[101:102], v[101:102], v[107:108]
	v_fma_f64 v[107:108], v[95:96], v[121:122], v[111:112]
	v_add_f64 v[2:3], v[2:3], v[105:106]
	ds_read_b128 v[93:96], v1 offset:1120
	s_waitcnt lgkmcnt(1)
	v_mul_f64 v[111:112], v[91:92], v[123:124]
	v_mul_f64 v[105:106], v[89:90], v[123:124]
	v_add_f64 v[101:102], v[101:102], v[115:116]
	v_fma_f64 v[115:116], v[87:88], v[119:120], v[156:157]
	v_add_f64 v[2:3], v[2:3], v[107:108]
	s_waitcnt vmcnt(43) lgkmcnt(0)
	v_mul_f64 v[119:120], v[95:96], v[125:126]
	s_waitcnt vmcnt(41)
	v_fma_f64 v[111:112], v[89:90], v[129:130], -v[111:112]
	ds_read_b128 v[85:88], v1 offset:1136
	v_mul_f64 v[107:108], v[93:94], v[125:126]
	v_fma_f64 v[105:106], v[91:92], v[129:130], v[105:106]
	ds_read_b128 v[89:92], v1 offset:1152
	v_add_f64 v[101:102], v[101:102], v[117:118]
	v_add_f64 v[2:3], v[2:3], v[115:116]
	s_waitcnt vmcnt(37) lgkmcnt(1)
	v_mul_f64 v[117:118], v[87:88], v[131:132]
	s_waitcnt vmcnt(36)
	v_fma_f64 v[119:120], v[93:94], v[127:128], -v[119:120]
	v_mul_f64 v[115:116], v[85:86], v[131:132]
	v_fma_f64 v[107:108], v[95:96], v[127:128], v[107:108]
	ds_read_b128 v[93:96], v1 offset:1168
	v_add_f64 v[101:102], v[101:102], v[111:112]
	s_waitcnt vmcnt(35) lgkmcnt(1)
	v_mul_f64 v[111:112], v[91:92], v[133:134]
	v_add_f64 v[2:3], v[2:3], v[105:106]
	s_waitcnt vmcnt(33)
	v_fma_f64 v[117:118], v[85:86], v[137:138], -v[117:118]
	v_mul_f64 v[105:106], v[89:90], v[133:134]
	v_fma_f64 v[115:116], v[87:88], v[137:138], v[115:116]
	ds_read_b128 v[85:88], v1 offset:1184
	v_add_f64 v[101:102], v[101:102], v[119:120]
	s_waitcnt vmcnt(29) lgkmcnt(1)
	v_mul_f64 v[119:120], v[95:96], v[139:140]
	v_add_f64 v[2:3], v[2:3], v[107:108]
	;; [unrolled: 9-line block ×6, first 2 shown]
	s_waitcnt vmcnt(12)
	v_fma_f64 v[93:94], v[93:94], v[152:153], -v[119:120]
	v_mul_f64 v[115:116], v[85:86], v[158:159]
	v_fma_f64 v[95:96], v[95:96], v[152:153], v[107:108]
	v_add_f64 v[101:102], v[101:102], v[111:112]
	v_add_f64 v[105:106], v[2:3], v[105:106]
	ds_read_b128 v[1:4], v1 offset:1264
	s_waitcnt vmcnt(11) lgkmcnt(1)
	v_mul_f64 v[111:112], v[91:92], v[160:161]
	v_mul_f64 v[107:108], v[89:90], v[160:161]
	s_waitcnt vmcnt(9)
	v_fma_f64 v[85:86], v[85:86], v[99:100], -v[117:118]
	v_fma_f64 v[87:88], v[87:88], v[99:100], v[115:116]
	v_add_f64 v[93:94], v[101:102], v[93:94]
	s_waitcnt vmcnt(7) lgkmcnt(0)
	v_mul_f64 v[101:102], v[3:4], v[103:104]
	v_add_f64 v[95:96], v[105:106], v[95:96]
	v_mul_f64 v[99:100], v[1:2], v[103:104]
	s_waitcnt vmcnt(6)
	v_fma_f64 v[89:90], v[89:90], v[162:163], -v[111:112]
	v_fma_f64 v[91:92], v[91:92], v[162:163], v[107:108]
	v_add_f64 v[85:86], v[93:94], v[85:86]
	v_add_f64 v[87:88], v[95:96], v[87:88]
	s_waitcnt vmcnt(4)
	v_fma_f64 v[1:2], v[1:2], v[97:98], -v[101:102]
	v_fma_f64 v[3:4], v[3:4], v[97:98], v[99:100]
	v_add_f64 v[85:86], v[85:86], v[89:90]
	v_add_f64 v[87:88], v[87:88], v[91:92]
	;; [unrolled: 1-line block ×4, first 2 shown]
	s_waitcnt vmcnt(2)
	v_add_f64 v[1:2], v[109:110], -v[1:2]
	s_waitcnt vmcnt(0)
	v_add_f64 v[3:4], v[113:114], -v[3:4]
	buffer_store_dword v2, off, s[0:3], 0 offset:356
	buffer_store_dword v1, off, s[0:3], 0 offset:352
	;; [unrolled: 1-line block ×4, first 2 shown]
	v_cmpx_lt_u32_e32 20, v0
	s_cbranch_execz .LBB103_213
; %bb.212:
	v_mov_b32_e32 v4, s31
	v_mov_b32_e32 v85, 0
	s_clause 0x3
	buffer_load_dword v1, v4, s[0:3], 0 offen
	buffer_load_dword v2, v4, s[0:3], 0 offen offset:4
	buffer_load_dword v3, v4, s[0:3], 0 offen offset:8
	;; [unrolled: 1-line block ×3, first 2 shown]
	buffer_store_dword v85, off, s[0:3], 0 offset:336
	buffer_store_dword v85, off, s[0:3], 0 offset:340
	;; [unrolled: 1-line block ×4, first 2 shown]
	s_waitcnt vmcnt(0)
	ds_write_b128 v141, v[1:4]
.LBB103_213:
	s_or_b32 exec_lo, exec_lo, s4
	s_waitcnt lgkmcnt(0)
	s_waitcnt_vscnt null, 0x0
	s_barrier
	buffer_gl0_inv
	s_clause 0x37
	buffer_load_dword v2, off, s[0:3], 0 offset:360
	buffer_load_dword v3, off, s[0:3], 0 offset:364
	;; [unrolled: 1-line block ×56, first 2 shown]
	v_mov_b32_e32 v1, 0
	s_mov_b32 s4, exec_lo
	ds_read_b128 v[85:88], v1 offset:976
	s_clause 0x2
	buffer_load_dword v151, off, s[0:3], 0 offset:588
	buffer_load_dword v155, off, s[0:3], 0 offset:564
	;; [unrolled: 1-line block ×3, first 2 shown]
	ds_read_b128 v[89:92], v1 offset:992
	s_clause 0x4
	buffer_load_dword v159, off, s[0:3], 0 offset:604
	buffer_load_dword v160, off, s[0:3], 0 offset:616
	;; [unrolled: 1-line block ×5, first 2 shown]
	ds_read_b128 v[93:96], v1 offset:1008
	s_waitcnt vmcnt(62) lgkmcnt(2)
	v_mul_f64 v[156:157], v[87:88], v[2:3]
	v_mul_f64 v[2:3], v[85:86], v[2:3]
	s_waitcnt vmcnt(60) lgkmcnt(1)
	v_mul_f64 v[163:164], v[91:92], v[97:98]
	v_mul_f64 v[97:98], v[89:90], v[97:98]
	;; [unrolled: 3-line block ×3, first 2 shown]
	v_fma_f64 v[156:157], v[85:86], v[99:100], -v[156:157]
	v_fma_f64 v[2:3], v[87:88], v[99:100], v[2:3]
	s_clause 0x2
	buffer_load_dword v161, off, s[0:3], 0 offset:620
	buffer_load_dword v100, off, s[0:3], 0 offset:596
	;; [unrolled: 1-line block ×3, first 2 shown]
	s_waitcnt vmcnt(57)
	v_fma_f64 v[167:168], v[89:90], v[103:104], -v[163:164]
	ds_read_b128 v[85:88], v1 offset:1024
	v_fma_f64 v[97:98], v[91:92], v[103:104], v[97:98]
	s_clause 0x4
	buffer_load_dword v104, off, s[0:3], 0 offset:636
	buffer_load_dword v164, off, s[0:3], 0 offset:648
	;; [unrolled: 1-line block ×5, first 2 shown]
	s_waitcnt vmcnt(56)
	v_fma_f64 v[101:102], v[93:94], v[111:112], -v[101:102]
	ds_read_b128 v[89:92], v1 offset:1040
	v_fma_f64 v[111:112], v[95:96], v[111:112], v[165:166]
	v_add_f64 v[156:157], v[156:157], 0
	v_add_f64 v[2:3], v[2:3], 0
	s_waitcnt lgkmcnt(1)
	v_mul_f64 v[170:171], v[85:86], v[105:106]
	v_mul_f64 v[105:106], v[87:88], v[105:106]
	v_add_f64 v[156:157], v[156:157], v[167:168]
	v_add_f64 v[2:3], v[2:3], v[97:98]
	s_clause 0x2
	buffer_load_dword v165, off, s[0:3], 0 offset:652
	buffer_load_dword v98, off, s[0:3], 0 offset:628
	;; [unrolled: 1-line block ×3, first 2 shown]
	s_waitcnt vmcnt(58) lgkmcnt(0)
	v_mul_f64 v[166:167], v[89:90], v[107:108]
	v_mul_f64 v[107:108], v[91:92], v[107:108]
	s_waitcnt vmcnt(56)
	v_fma_f64 v[105:106], v[85:86], v[113:114], -v[105:106]
	ds_read_b128 v[93:96], v1 offset:1056
	v_fma_f64 v[113:114], v[87:88], v[113:114], v[170:171]
	buffer_load_dword v170, off, s[0:3], 0 offset:644
	ds_read_b128 v[85:88], v1 offset:1072
	v_add_f64 v[101:102], v[156:157], v[101:102]
	v_add_f64 v[2:3], v[2:3], v[111:112]
	s_waitcnt vmcnt(53) lgkmcnt(1)
	v_mul_f64 v[111:112], v[93:94], v[115:116]
	v_mul_f64 v[115:116], v[95:96], v[115:116]
	s_waitcnt vmcnt(52)
	v_fma_f64 v[107:108], v[89:90], v[109:110], -v[107:108]
	v_add_f64 v[101:102], v[101:102], v[105:106]
	v_fma_f64 v[105:106], v[91:92], v[109:110], v[166:167]
	v_add_f64 v[2:3], v[2:3], v[113:114]
	s_waitcnt vmcnt(51) lgkmcnt(0)
	v_mul_f64 v[113:114], v[87:88], v[117:118]
	ds_read_b128 v[89:92], v1 offset:1088
	s_waitcnt vmcnt(49)
	v_fma_f64 v[115:116], v[93:94], v[121:122], -v[115:116]
	v_mul_f64 v[109:110], v[85:86], v[117:118]
	v_add_f64 v[101:102], v[101:102], v[107:108]
	v_fma_f64 v[107:108], v[95:96], v[121:122], v[111:112]
	v_add_f64 v[2:3], v[2:3], v[105:106]
	s_clause 0x3
	buffer_load_dword v105, off, s[0:3], 0 offset:336
	buffer_load_dword v106, off, s[0:3], 0 offset:340
	;; [unrolled: 1-line block ×4, first 2 shown]
	s_waitcnt vmcnt(49) lgkmcnt(0)
	v_mul_f64 v[121:122], v[91:92], v[123:124]
	s_waitcnt vmcnt(48)
	v_fma_f64 v[113:114], v[85:86], v[119:120], -v[113:114]
	ds_read_b128 v[93:96], v1 offset:1104
	v_mul_f64 v[117:118], v[89:90], v[123:124]
	v_fma_f64 v[109:110], v[87:88], v[119:120], v[109:110]
	ds_read_b128 v[85:88], v1 offset:1120
	v_add_f64 v[101:102], v[101:102], v[115:116]
	v_add_f64 v[2:3], v[2:3], v[107:108]
	s_waitcnt vmcnt(47) lgkmcnt(1)
	v_mul_f64 v[115:116], v[95:96], v[125:126]
	s_waitcnt vmcnt(45)
	v_fma_f64 v[119:120], v[89:90], v[129:130], -v[121:122]
	v_mul_f64 v[107:108], v[93:94], v[125:126]
	v_add_f64 v[101:102], v[101:102], v[113:114]
	v_fma_f64 v[113:114], v[91:92], v[129:130], v[117:118]
	v_add_f64 v[2:3], v[2:3], v[109:110]
	s_waitcnt vmcnt(41) lgkmcnt(0)
	v_mul_f64 v[117:118], v[87:88], v[131:132]
	s_waitcnt vmcnt(40)
	v_fma_f64 v[115:116], v[93:94], v[127:128], -v[115:116]
	ds_read_b128 v[89:92], v1 offset:1136
	v_mul_f64 v[109:110], v[85:86], v[131:132]
	v_fma_f64 v[107:108], v[95:96], v[127:128], v[107:108]
	ds_read_b128 v[93:96], v1 offset:1152
	v_add_f64 v[101:102], v[101:102], v[119:120]
	v_add_f64 v[2:3], v[2:3], v[113:114]
	s_waitcnt vmcnt(39) lgkmcnt(1)
	v_mul_f64 v[119:120], v[91:92], v[133:134]
	s_waitcnt vmcnt(37)
	v_fma_f64 v[117:118], v[85:86], v[137:138], -v[117:118]
	v_mul_f64 v[113:114], v[89:90], v[133:134]
	v_fma_f64 v[109:110], v[87:88], v[137:138], v[109:110]
	ds_read_b128 v[85:88], v1 offset:1168
	v_add_f64 v[101:102], v[101:102], v[115:116]
	s_waitcnt vmcnt(33) lgkmcnt(1)
	v_mul_f64 v[115:116], v[95:96], v[139:140]
	v_add_f64 v[2:3], v[2:3], v[107:108]
	s_waitcnt vmcnt(32)
	v_fma_f64 v[119:120], v[89:90], v[135:136], -v[119:120]
	v_mul_f64 v[107:108], v[93:94], v[139:140]
	v_fma_f64 v[113:114], v[91:92], v[135:136], v[113:114]
	ds_read_b128 v[89:92], v1 offset:1184
	v_add_f64 v[101:102], v[101:102], v[117:118]
	s_waitcnt vmcnt(31) lgkmcnt(1)
	v_mul_f64 v[117:118], v[87:88], v[142:143]
	v_add_f64 v[2:3], v[2:3], v[109:110]
	;; [unrolled: 9-line block ×5, first 2 shown]
	s_waitcnt vmcnt(16)
	v_fma_f64 v[115:116], v[93:94], v[152:153], -v[115:116]
	v_mul_f64 v[109:110], v[85:86], v[158:159]
	v_fma_f64 v[107:108], v[95:96], v[152:153], v[107:108]
	ds_read_b128 v[93:96], v1 offset:1248
	v_add_f64 v[101:102], v[101:102], v[119:120]
	v_add_f64 v[2:3], v[2:3], v[113:114]
	s_waitcnt vmcnt(15) lgkmcnt(1)
	v_mul_f64 v[119:120], v[91:92], v[160:161]
	v_mul_f64 v[113:114], v[89:90], v[160:161]
	s_waitcnt vmcnt(13)
	v_fma_f64 v[117:118], v[85:86], v[99:100], -v[117:118]
	v_fma_f64 v[99:100], v[87:88], v[99:100], v[109:110]
	ds_read_b128 v[85:88], v1 offset:1264
	v_add_f64 v[101:102], v[101:102], v[115:116]
	v_add_f64 v[2:3], v[2:3], v[107:108]
	s_waitcnt vmcnt(9) lgkmcnt(1)
	v_mul_f64 v[107:108], v[93:94], v[103:104]
	v_mul_f64 v[103:104], v[95:96], v[103:104]
	s_waitcnt vmcnt(8)
	v_fma_f64 v[89:90], v[89:90], v[162:163], -v[119:120]
	v_fma_f64 v[91:92], v[91:92], v[162:163], v[113:114]
	v_add_f64 v[101:102], v[101:102], v[117:118]
	v_add_f64 v[2:3], v[2:3], v[99:100]
	s_waitcnt vmcnt(7) lgkmcnt(0)
	v_mul_f64 v[109:110], v[87:88], v[164:165]
	v_mul_f64 v[99:100], v[85:86], v[164:165]
	s_waitcnt vmcnt(5)
	v_fma_f64 v[93:94], v[93:94], v[97:98], -v[103:104]
	v_fma_f64 v[95:96], v[95:96], v[97:98], v[107:108]
	v_add_f64 v[89:90], v[101:102], v[89:90]
	v_add_f64 v[2:3], v[2:3], v[91:92]
	s_waitcnt vmcnt(4)
	v_fma_f64 v[85:86], v[85:86], v[169:170], -v[109:110]
	v_fma_f64 v[87:88], v[87:88], v[169:170], v[99:100]
	v_add_f64 v[89:90], v[89:90], v[93:94]
	v_add_f64 v[2:3], v[2:3], v[95:96]
	;; [unrolled: 1-line block ×4, first 2 shown]
	s_waitcnt vmcnt(2)
	v_add_f64 v[85:86], v[105:106], -v[85:86]
	s_waitcnt vmcnt(0)
	v_add_f64 v[2:3], v[111:112], -v[2:3]
	buffer_store_dword v86, off, s[0:3], 0 offset:340
	buffer_store_dword v85, off, s[0:3], 0 offset:336
	;; [unrolled: 1-line block ×4, first 2 shown]
	v_cmpx_lt_u32_e32 19, v0
	s_cbranch_execz .LBB103_215
; %bb.214:
	v_mov_b32_e32 v2, s33
	s_clause 0x3
	buffer_load_dword v85, v2, s[0:3], 0 offen
	buffer_load_dword v86, v2, s[0:3], 0 offen offset:4
	buffer_load_dword v87, v2, s[0:3], 0 offen offset:8
	;; [unrolled: 1-line block ×3, first 2 shown]
	buffer_store_dword v1, off, s[0:3], 0 offset:320
	buffer_store_dword v1, off, s[0:3], 0 offset:324
	;; [unrolled: 1-line block ×4, first 2 shown]
	s_waitcnt vmcnt(0)
	ds_write_b128 v141, v[85:88]
.LBB103_215:
	s_or_b32 exec_lo, exec_lo, s4
	s_waitcnt lgkmcnt(0)
	s_waitcnt_vscnt null, 0x0
	s_barrier
	buffer_gl0_inv
	s_clause 0x37
	buffer_load_dword v2, off, s[0:3], 0 offset:344
	buffer_load_dword v3, off, s[0:3], 0 offset:348
	;; [unrolled: 1-line block ×56, first 2 shown]
	ds_read_b128 v[85:88], v1 offset:960
	s_clause 0x2
	buffer_load_dword v151, off, s[0:3], 0 offset:572
	buffer_load_dword v155, off, s[0:3], 0 offset:548
	;; [unrolled: 1-line block ×3, first 2 shown]
	ds_read_b128 v[89:92], v1 offset:976
	s_clause 0x4
	buffer_load_dword v159, off, s[0:3], 0 offset:588
	buffer_load_dword v160, off, s[0:3], 0 offset:600
	;; [unrolled: 1-line block ×5, first 2 shown]
	ds_read_b128 v[93:96], v1 offset:992
	s_mov_b32 s4, exec_lo
	s_waitcnt vmcnt(62) lgkmcnt(2)
	v_mul_f64 v[156:157], v[87:88], v[2:3]
	v_mul_f64 v[2:3], v[85:86], v[2:3]
	s_waitcnt vmcnt(60) lgkmcnt(1)
	v_mul_f64 v[163:164], v[91:92], v[97:98]
	v_mul_f64 v[97:98], v[89:90], v[97:98]
	s_waitcnt vmcnt(56) lgkmcnt(0)
	v_mul_f64 v[165:166], v[93:94], v[101:102]
	v_mul_f64 v[101:102], v[95:96], v[101:102]
	v_fma_f64 v[156:157], v[85:86], v[99:100], -v[156:157]
	v_fma_f64 v[2:3], v[87:88], v[99:100], v[2:3]
	s_clause 0x2
	buffer_load_dword v161, off, s[0:3], 0 offset:604
	buffer_load_dword v100, off, s[0:3], 0 offset:580
	;; [unrolled: 1-line block ×3, first 2 shown]
	s_waitcnt vmcnt(57)
	v_fma_f64 v[167:168], v[89:90], v[103:104], -v[163:164]
	ds_read_b128 v[85:88], v1 offset:1008
	v_fma_f64 v[97:98], v[91:92], v[103:104], v[97:98]
	s_clause 0x4
	buffer_load_dword v104, off, s[0:3], 0 offset:620
	buffer_load_dword v164, off, s[0:3], 0 offset:632
	;; [unrolled: 1-line block ×5, first 2 shown]
	s_waitcnt vmcnt(56)
	v_fma_f64 v[101:102], v[93:94], v[111:112], -v[101:102]
	ds_read_b128 v[89:92], v1 offset:1024
	v_fma_f64 v[111:112], v[95:96], v[111:112], v[165:166]
	v_add_f64 v[156:157], v[156:157], 0
	v_add_f64 v[2:3], v[2:3], 0
	s_waitcnt lgkmcnt(1)
	v_mul_f64 v[170:171], v[85:86], v[105:106]
	v_mul_f64 v[105:106], v[87:88], v[105:106]
	v_add_f64 v[156:157], v[156:157], v[167:168]
	v_add_f64 v[2:3], v[2:3], v[97:98]
	s_clause 0x2
	buffer_load_dword v165, off, s[0:3], 0 offset:636
	buffer_load_dword v98, off, s[0:3], 0 offset:612
	;; [unrolled: 1-line block ×3, first 2 shown]
	s_waitcnt vmcnt(58) lgkmcnt(0)
	v_mul_f64 v[166:167], v[89:90], v[107:108]
	v_mul_f64 v[107:108], v[91:92], v[107:108]
	s_waitcnt vmcnt(56)
	v_fma_f64 v[105:106], v[85:86], v[113:114], -v[105:106]
	ds_read_b128 v[93:96], v1 offset:1040
	v_fma_f64 v[113:114], v[87:88], v[113:114], v[170:171]
	v_add_f64 v[101:102], v[156:157], v[101:102]
	v_add_f64 v[2:3], v[2:3], v[111:112]
	s_clause 0x2
	buffer_load_dword v112, off, s[0:3], 0 offset:652
	buffer_load_dword v111, off, s[0:3], 0 offset:648
	;; [unrolled: 1-line block ×3, first 2 shown]
	ds_read_b128 v[85:88], v1 offset:1056
	s_waitcnt vmcnt(55) lgkmcnt(1)
	v_mul_f64 v[156:157], v[93:94], v[115:116]
	v_mul_f64 v[115:116], v[95:96], v[115:116]
	s_waitcnt vmcnt(54)
	v_fma_f64 v[107:108], v[89:90], v[109:110], -v[107:108]
	v_add_f64 v[101:102], v[101:102], v[105:106]
	v_fma_f64 v[105:106], v[91:92], v[109:110], v[166:167]
	v_add_f64 v[2:3], v[2:3], v[113:114]
	s_clause 0x1
	buffer_load_dword v110, off, s[0:3], 0 offset:644
	buffer_load_dword v109, off, s[0:3], 0 offset:640
	s_waitcnt vmcnt(55) lgkmcnt(0)
	v_mul_f64 v[113:114], v[85:86], v[117:118]
	v_mul_f64 v[117:118], v[87:88], v[117:118]
	s_waitcnt vmcnt(53)
	v_fma_f64 v[115:116], v[93:94], v[121:122], -v[115:116]
	ds_read_b128 v[89:92], v1 offset:1072
	v_add_f64 v[101:102], v[101:102], v[107:108]
	v_fma_f64 v[107:108], v[95:96], v[121:122], v[156:157]
	v_add_f64 v[2:3], v[2:3], v[105:106]
	ds_read_b128 v[93:96], v1 offset:1088
	s_waitcnt vmcnt(48)
	v_fma_f64 v[113:114], v[87:88], v[119:120], v[113:114]
	s_waitcnt lgkmcnt(1)
	v_mul_f64 v[121:122], v[91:92], v[123:124]
	v_fma_f64 v[117:118], v[85:86], v[119:120], -v[117:118]
	v_mul_f64 v[105:106], v[89:90], v[123:124]
	v_add_f64 v[101:102], v[101:102], v[115:116]
	s_waitcnt vmcnt(47) lgkmcnt(0)
	v_mul_f64 v[123:124], v[95:96], v[125:126]
	v_add_f64 v[2:3], v[2:3], v[107:108]
	s_clause 0x3
	buffer_load_dword v107, off, s[0:3], 0 offset:320
	buffer_load_dword v108, off, s[0:3], 0 offset:324
	buffer_load_dword v115, off, s[0:3], 0 offset:328
	buffer_load_dword v116, off, s[0:3], 0 offset:332
	ds_read_b128 v[85:88], v1 offset:1104
	s_waitcnt vmcnt(49)
	v_fma_f64 v[121:122], v[89:90], v[129:130], -v[121:122]
	v_mul_f64 v[119:120], v[93:94], v[125:126]
	v_fma_f64 v[105:106], v[91:92], v[129:130], v[105:106]
	ds_read_b128 v[89:92], v1 offset:1120
	v_add_f64 v[101:102], v[101:102], v[117:118]
	s_waitcnt vmcnt(44)
	v_fma_f64 v[123:124], v[93:94], v[127:128], -v[123:124]
	v_add_f64 v[2:3], v[2:3], v[113:114]
	s_waitcnt lgkmcnt(1)
	v_mul_f64 v[117:118], v[87:88], v[131:132]
	v_mul_f64 v[113:114], v[85:86], v[131:132]
	v_fma_f64 v[119:120], v[95:96], v[127:128], v[119:120]
	ds_read_b128 v[93:96], v1 offset:1136
	v_add_f64 v[101:102], v[101:102], v[121:122]
	s_waitcnt vmcnt(43) lgkmcnt(1)
	v_mul_f64 v[121:122], v[91:92], v[133:134]
	v_add_f64 v[2:3], v[2:3], v[105:106]
	s_waitcnt vmcnt(41)
	v_fma_f64 v[117:118], v[85:86], v[137:138], -v[117:118]
	v_mul_f64 v[105:106], v[89:90], v[133:134]
	v_fma_f64 v[113:114], v[87:88], v[137:138], v[113:114]
	ds_read_b128 v[85:88], v1 offset:1152
	v_add_f64 v[101:102], v[101:102], v[123:124]
	s_waitcnt vmcnt(37) lgkmcnt(1)
	v_mul_f64 v[123:124], v[95:96], v[139:140]
	v_add_f64 v[2:3], v[2:3], v[119:120]
	s_waitcnt vmcnt(36)
	v_fma_f64 v[121:122], v[89:90], v[135:136], -v[121:122]
	;; [unrolled: 9-line block ×6, first 2 shown]
	v_mul_f64 v[113:114], v[85:86], v[158:159]
	v_fma_f64 v[119:120], v[95:96], v[152:153], v[119:120]
	ds_read_b128 v[93:96], v1 offset:1232
	v_add_f64 v[101:102], v[101:102], v[121:122]
	v_add_f64 v[2:3], v[2:3], v[105:106]
	s_waitcnt vmcnt(19) lgkmcnt(1)
	v_mul_f64 v[121:122], v[91:92], v[160:161]
	v_mul_f64 v[105:106], v[89:90], v[160:161]
	s_waitcnt vmcnt(17)
	v_fma_f64 v[117:118], v[85:86], v[99:100], -v[117:118]
	v_fma_f64 v[99:100], v[87:88], v[99:100], v[113:114]
	ds_read_b128 v[85:88], v1 offset:1248
	s_waitcnt vmcnt(13) lgkmcnt(1)
	v_mul_f64 v[113:114], v[93:94], v[103:104]
	v_mul_f64 v[103:104], v[95:96], v[103:104]
	v_add_f64 v[101:102], v[101:102], v[123:124]
	v_add_f64 v[2:3], v[2:3], v[119:120]
	s_waitcnt vmcnt(12)
	v_fma_f64 v[89:90], v[89:90], v[162:163], -v[121:122]
	v_fma_f64 v[91:92], v[91:92], v[162:163], v[105:106]
	v_add_f64 v[101:102], v[101:102], v[117:118]
	v_add_f64 v[99:100], v[2:3], v[99:100]
	ds_read_b128 v[1:4], v1 offset:1264
	s_waitcnt vmcnt(11) lgkmcnt(1)
	v_mul_f64 v[117:118], v[87:88], v[164:165]
	v_mul_f64 v[105:106], v[85:86], v[164:165]
	s_waitcnt vmcnt(9)
	v_fma_f64 v[93:94], v[93:94], v[97:98], -v[103:104]
	v_fma_f64 v[95:96], v[95:96], v[97:98], v[113:114]
	v_add_f64 v[89:90], v[101:102], v[89:90]
	v_add_f64 v[91:92], v[99:100], v[91:92]
	s_waitcnt vmcnt(7) lgkmcnt(0)
	v_mul_f64 v[99:100], v[3:4], v[111:112]
	s_waitcnt vmcnt(6)
	v_fma_f64 v[85:86], v[85:86], v[169:170], -v[117:118]
	v_mul_f64 v[97:98], v[1:2], v[111:112]
	v_fma_f64 v[87:88], v[87:88], v[169:170], v[105:106]
	v_add_f64 v[89:90], v[89:90], v[93:94]
	v_add_f64 v[91:92], v[91:92], v[95:96]
	s_waitcnt vmcnt(4)
	v_fma_f64 v[1:2], v[1:2], v[109:110], -v[99:100]
	v_fma_f64 v[3:4], v[3:4], v[109:110], v[97:98]
	v_add_f64 v[85:86], v[89:90], v[85:86]
	v_add_f64 v[87:88], v[91:92], v[87:88]
	;; [unrolled: 1-line block ×4, first 2 shown]
	s_waitcnt vmcnt(2)
	v_add_f64 v[1:2], v[107:108], -v[1:2]
	s_waitcnt vmcnt(0)
	v_add_f64 v[3:4], v[115:116], -v[3:4]
	buffer_store_dword v2, off, s[0:3], 0 offset:324
	buffer_store_dword v1, off, s[0:3], 0 offset:320
	;; [unrolled: 1-line block ×4, first 2 shown]
	v_cmpx_lt_u32_e32 18, v0
	s_cbranch_execz .LBB103_217
; %bb.216:
	v_mov_b32_e32 v4, s34
	v_mov_b32_e32 v85, 0
	s_clause 0x3
	buffer_load_dword v1, v4, s[0:3], 0 offen
	buffer_load_dword v2, v4, s[0:3], 0 offen offset:4
	buffer_load_dword v3, v4, s[0:3], 0 offen offset:8
	;; [unrolled: 1-line block ×3, first 2 shown]
	buffer_store_dword v85, off, s[0:3], 0 offset:304
	buffer_store_dword v85, off, s[0:3], 0 offset:308
	;; [unrolled: 1-line block ×4, first 2 shown]
	s_waitcnt vmcnt(0)
	ds_write_b128 v141, v[1:4]
.LBB103_217:
	s_or_b32 exec_lo, exec_lo, s4
	s_waitcnt lgkmcnt(0)
	s_waitcnt_vscnt null, 0x0
	s_barrier
	buffer_gl0_inv
	s_clause 0x37
	buffer_load_dword v2, off, s[0:3], 0 offset:328
	buffer_load_dword v3, off, s[0:3], 0 offset:332
	;; [unrolled: 1-line block ×56, first 2 shown]
	v_mov_b32_e32 v1, 0
	s_mov_b32 s4, exec_lo
	ds_read_b128 v[85:88], v1 offset:944
	s_clause 0x2
	buffer_load_dword v151, off, s[0:3], 0 offset:556
	buffer_load_dword v155, off, s[0:3], 0 offset:532
	;; [unrolled: 1-line block ×3, first 2 shown]
	ds_read_b128 v[89:92], v1 offset:960
	s_clause 0x4
	buffer_load_dword v159, off, s[0:3], 0 offset:572
	buffer_load_dword v160, off, s[0:3], 0 offset:584
	;; [unrolled: 1-line block ×5, first 2 shown]
	ds_read_b128 v[93:96], v1 offset:976
	s_waitcnt vmcnt(62) lgkmcnt(2)
	v_mul_f64 v[156:157], v[87:88], v[2:3]
	v_mul_f64 v[2:3], v[85:86], v[2:3]
	s_waitcnt vmcnt(60) lgkmcnt(1)
	v_mul_f64 v[163:164], v[91:92], v[97:98]
	v_mul_f64 v[97:98], v[89:90], v[97:98]
	;; [unrolled: 3-line block ×3, first 2 shown]
	v_fma_f64 v[156:157], v[85:86], v[99:100], -v[156:157]
	v_fma_f64 v[2:3], v[87:88], v[99:100], v[2:3]
	s_clause 0x2
	buffer_load_dword v161, off, s[0:3], 0 offset:588
	buffer_load_dword v100, off, s[0:3], 0 offset:564
	;; [unrolled: 1-line block ×3, first 2 shown]
	s_waitcnt vmcnt(57)
	v_fma_f64 v[167:168], v[89:90], v[103:104], -v[163:164]
	ds_read_b128 v[85:88], v1 offset:992
	v_fma_f64 v[97:98], v[91:92], v[103:104], v[97:98]
	s_clause 0x4
	buffer_load_dword v104, off, s[0:3], 0 offset:604
	buffer_load_dword v164, off, s[0:3], 0 offset:616
	buffer_load_dword v169, off, s[0:3], 0 offset:608
	buffer_load_dword v103, off, s[0:3], 0 offset:600
	buffer_load_dword v163, off, s[0:3], 0 offset:580
	s_waitcnt vmcnt(56)
	v_fma_f64 v[101:102], v[93:94], v[111:112], -v[101:102]
	ds_read_b128 v[89:92], v1 offset:1008
	v_fma_f64 v[111:112], v[95:96], v[111:112], v[165:166]
	v_add_f64 v[156:157], v[156:157], 0
	v_add_f64 v[2:3], v[2:3], 0
	s_waitcnt lgkmcnt(1)
	v_mul_f64 v[170:171], v[85:86], v[105:106]
	v_mul_f64 v[105:106], v[87:88], v[105:106]
	v_add_f64 v[156:157], v[156:157], v[167:168]
	v_add_f64 v[2:3], v[2:3], v[97:98]
	s_clause 0x2
	buffer_load_dword v165, off, s[0:3], 0 offset:620
	buffer_load_dword v98, off, s[0:3], 0 offset:596
	;; [unrolled: 1-line block ×3, first 2 shown]
	s_waitcnt vmcnt(58) lgkmcnt(0)
	v_mul_f64 v[166:167], v[89:90], v[107:108]
	v_mul_f64 v[107:108], v[91:92], v[107:108]
	s_waitcnt vmcnt(56)
	v_fma_f64 v[105:106], v[85:86], v[113:114], -v[105:106]
	ds_read_b128 v[93:96], v1 offset:1024
	v_fma_f64 v[113:114], v[87:88], v[113:114], v[170:171]
	v_add_f64 v[101:102], v[156:157], v[101:102]
	v_add_f64 v[2:3], v[2:3], v[111:112]
	s_clause 0x4
	buffer_load_dword v112, off, s[0:3], 0 offset:636
	buffer_load_dword v156, off, s[0:3], 0 offset:648
	;; [unrolled: 1-line block ×5, first 2 shown]
	ds_read_b128 v[85:88], v1 offset:1040
	s_waitcnt vmcnt(57) lgkmcnt(1)
	v_mul_f64 v[172:173], v[93:94], v[115:116]
	v_mul_f64 v[115:116], v[95:96], v[115:116]
	s_waitcnt vmcnt(56)
	v_fma_f64 v[107:108], v[89:90], v[109:110], -v[107:108]
	v_add_f64 v[101:102], v[101:102], v[105:106]
	v_fma_f64 v[105:106], v[91:92], v[109:110], v[166:167]
	v_add_f64 v[2:3], v[2:3], v[113:114]
	s_clause 0x2
	buffer_load_dword v157, off, s[0:3], 0 offset:652
	buffer_load_dword v110, off, s[0:3], 0 offset:628
	;; [unrolled: 1-line block ×3, first 2 shown]
	s_waitcnt vmcnt(58) lgkmcnt(0)
	v_mul_f64 v[113:114], v[85:86], v[117:118]
	v_mul_f64 v[117:118], v[87:88], v[117:118]
	s_waitcnt vmcnt(56)
	v_fma_f64 v[115:116], v[93:94], v[121:122], -v[115:116]
	ds_read_b128 v[89:92], v1 offset:1056
	v_add_f64 v[101:102], v[101:102], v[107:108]
	v_fma_f64 v[107:108], v[95:96], v[121:122], v[172:173]
	v_add_f64 v[2:3], v[2:3], v[105:106]
	buffer_load_dword v172, off, s[0:3], 0 offset:644
	ds_read_b128 v[93:96], v1 offset:1072
	s_waitcnt vmcnt(53) lgkmcnt(1)
	v_mul_f64 v[121:122], v[91:92], v[123:124]
	s_waitcnt vmcnt(52)
	v_fma_f64 v[117:118], v[85:86], v[119:120], -v[117:118]
	v_mul_f64 v[105:106], v[89:90], v[123:124]
	v_fma_f64 v[113:114], v[87:88], v[119:120], v[113:114]
	ds_read_b128 v[85:88], v1 offset:1088
	v_add_f64 v[101:102], v[101:102], v[115:116]
	v_add_f64 v[2:3], v[2:3], v[107:108]
	s_waitcnt vmcnt(51) lgkmcnt(1)
	v_mul_f64 v[115:116], v[95:96], v[125:126]
	v_mul_f64 v[107:108], v[93:94], v[125:126]
	s_waitcnt vmcnt(49)
	v_fma_f64 v[119:120], v[89:90], v[129:130], -v[121:122]
	v_fma_f64 v[105:106], v[91:92], v[129:130], v[105:106]
	s_waitcnt vmcnt(45) lgkmcnt(0)
	v_mul_f64 v[123:124], v[87:88], v[131:132]
	v_mul_f64 v[121:122], v[85:86], v[131:132]
	v_add_f64 v[101:102], v[101:102], v[117:118]
	v_add_f64 v[2:3], v[2:3], v[113:114]
	s_clause 0x3
	buffer_load_dword v113, off, s[0:3], 0 offset:304
	buffer_load_dword v114, off, s[0:3], 0 offset:308
	;; [unrolled: 1-line block ×4, first 2 shown]
	s_waitcnt vmcnt(48)
	v_fma_f64 v[115:116], v[93:94], v[127:128], -v[115:116]
	ds_read_b128 v[89:92], v1 offset:1104
	v_fma_f64 v[107:108], v[95:96], v[127:128], v[107:108]
	ds_read_b128 v[93:96], v1 offset:1120
	s_waitcnt vmcnt(45)
	v_fma_f64 v[123:124], v[85:86], v[137:138], -v[123:124]
	v_add_f64 v[101:102], v[101:102], v[119:120]
	v_add_f64 v[2:3], v[2:3], v[105:106]
	s_waitcnt lgkmcnt(1)
	v_mul_f64 v[119:120], v[91:92], v[133:134]
	v_mul_f64 v[105:106], v[89:90], v[133:134]
	v_add_f64 v[101:102], v[101:102], v[115:116]
	v_fma_f64 v[115:116], v[87:88], v[137:138], v[121:122]
	v_add_f64 v[2:3], v[2:3], v[107:108]
	s_waitcnt vmcnt(41) lgkmcnt(0)
	v_mul_f64 v[121:122], v[95:96], v[139:140]
	s_waitcnt vmcnt(40)
	v_fma_f64 v[119:120], v[89:90], v[135:136], -v[119:120]
	ds_read_b128 v[85:88], v1 offset:1136
	v_mul_f64 v[107:108], v[93:94], v[139:140]
	v_fma_f64 v[105:106], v[91:92], v[135:136], v[105:106]
	ds_read_b128 v[89:92], v1 offset:1152
	v_add_f64 v[101:102], v[101:102], v[123:124]
	v_add_f64 v[2:3], v[2:3], v[115:116]
	s_waitcnt vmcnt(39) lgkmcnt(1)
	v_mul_f64 v[123:124], v[87:88], v[142:143]
	s_waitcnt vmcnt(37)
	v_fma_f64 v[121:122], v[93:94], v[146:147], -v[121:122]
	v_mul_f64 v[115:116], v[85:86], v[142:143]
	v_fma_f64 v[107:108], v[95:96], v[146:147], v[107:108]
	ds_read_b128 v[93:96], v1 offset:1168
	v_add_f64 v[101:102], v[101:102], v[119:120]
	s_waitcnt vmcnt(33) lgkmcnt(1)
	v_mul_f64 v[119:120], v[91:92], v[148:149]
	v_add_f64 v[2:3], v[2:3], v[105:106]
	s_waitcnt vmcnt(32)
	v_fma_f64 v[123:124], v[85:86], v[144:145], -v[123:124]
	v_mul_f64 v[105:106], v[89:90], v[148:149]
	v_fma_f64 v[115:116], v[87:88], v[144:145], v[115:116]
	ds_read_b128 v[85:88], v1 offset:1184
	v_add_f64 v[101:102], v[101:102], v[121:122]
	s_waitcnt vmcnt(31) lgkmcnt(1)
	v_mul_f64 v[121:122], v[95:96], v[150:151]
	v_add_f64 v[2:3], v[2:3], v[107:108]
	;; [unrolled: 9-line block ×3, first 2 shown]
	s_waitcnt vmcnt(24)
	v_fma_f64 v[121:122], v[93:94], v[152:153], -v[121:122]
	v_mul_f64 v[115:116], v[85:86], v[158:159]
	v_fma_f64 v[107:108], v[95:96], v[152:153], v[107:108]
	ds_read_b128 v[93:96], v1 offset:1216
	v_add_f64 v[101:102], v[101:102], v[119:120]
	v_add_f64 v[2:3], v[2:3], v[105:106]
	s_waitcnt vmcnt(23) lgkmcnt(1)
	v_mul_f64 v[119:120], v[91:92], v[160:161]
	v_mul_f64 v[105:106], v[89:90], v[160:161]
	s_waitcnt vmcnt(21)
	v_fma_f64 v[123:124], v[85:86], v[99:100], -v[123:124]
	v_fma_f64 v[99:100], v[87:88], v[99:100], v[115:116]
	ds_read_b128 v[85:88], v1 offset:1232
	v_add_f64 v[101:102], v[101:102], v[121:122]
	v_add_f64 v[2:3], v[2:3], v[107:108]
	s_waitcnt vmcnt(17) lgkmcnt(1)
	v_mul_f64 v[107:108], v[93:94], v[103:104]
	v_mul_f64 v[103:104], v[95:96], v[103:104]
	s_waitcnt vmcnt(16)
	v_fma_f64 v[115:116], v[89:90], v[162:163], -v[119:120]
	;; [unrolled: 9-line block ×3, first 2 shown]
	v_fma_f64 v[97:98], v[95:96], v[97:98], v[107:108]
	ds_read_b128 v[93:96], v1 offset:1264
	v_add_f64 v[101:102], v[101:102], v[115:116]
	v_add_f64 v[2:3], v[2:3], v[105:106]
	s_waitcnt vmcnt(9) lgkmcnt(1)
	v_mul_f64 v[107:108], v[91:92], v[111:112]
	s_waitcnt vmcnt(8)
	v_fma_f64 v[85:86], v[85:86], v[169:170], -v[119:120]
	v_mul_f64 v[105:106], v[89:90], v[111:112]
	v_fma_f64 v[87:88], v[87:88], v[169:170], v[99:100]
	v_add_f64 v[101:102], v[101:102], v[103:104]
	v_add_f64 v[2:3], v[2:3], v[97:98]
	s_waitcnt vmcnt(7) lgkmcnt(0)
	v_mul_f64 v[99:100], v[95:96], v[156:157]
	v_mul_f64 v[97:98], v[93:94], v[156:157]
	s_waitcnt vmcnt(5)
	v_fma_f64 v[89:90], v[89:90], v[109:110], -v[107:108]
	v_fma_f64 v[91:92], v[91:92], v[109:110], v[105:106]
	v_add_f64 v[85:86], v[101:102], v[85:86]
	v_add_f64 v[2:3], v[2:3], v[87:88]
	s_waitcnt vmcnt(4)
	v_fma_f64 v[87:88], v[93:94], v[171:172], -v[99:100]
	v_add_f64 v[85:86], v[85:86], v[89:90]
	v_fma_f64 v[89:90], v[95:96], v[171:172], v[97:98]
	v_add_f64 v[2:3], v[2:3], v[91:92]
	v_add_f64 v[85:86], v[85:86], v[87:88]
	;; [unrolled: 1-line block ×3, first 2 shown]
	s_waitcnt vmcnt(2)
	v_add_f64 v[85:86], v[113:114], -v[85:86]
	s_waitcnt vmcnt(0)
	v_add_f64 v[2:3], v[117:118], -v[2:3]
	buffer_store_dword v86, off, s[0:3], 0 offset:308
	buffer_store_dword v85, off, s[0:3], 0 offset:304
	;; [unrolled: 1-line block ×4, first 2 shown]
	v_cmpx_lt_u32_e32 17, v0
	s_cbranch_execz .LBB103_219
; %bb.218:
	v_mov_b32_e32 v2, s35
	s_clause 0x3
	buffer_load_dword v85, v2, s[0:3], 0 offen
	buffer_load_dword v86, v2, s[0:3], 0 offen offset:4
	buffer_load_dword v87, v2, s[0:3], 0 offen offset:8
	;; [unrolled: 1-line block ×3, first 2 shown]
	buffer_store_dword v1, off, s[0:3], 0 offset:288
	buffer_store_dword v1, off, s[0:3], 0 offset:292
	buffer_store_dword v1, off, s[0:3], 0 offset:296
	buffer_store_dword v1, off, s[0:3], 0 offset:300
	s_waitcnt vmcnt(0)
	ds_write_b128 v141, v[85:88]
.LBB103_219:
	s_or_b32 exec_lo, exec_lo, s4
	s_waitcnt lgkmcnt(0)
	s_waitcnt_vscnt null, 0x0
	s_barrier
	buffer_gl0_inv
	s_clause 0x37
	buffer_load_dword v2, off, s[0:3], 0 offset:312
	buffer_load_dword v3, off, s[0:3], 0 offset:316
	;; [unrolled: 1-line block ×56, first 2 shown]
	ds_read_b128 v[85:88], v1 offset:928
	s_clause 0x2
	buffer_load_dword v151, off, s[0:3], 0 offset:540
	buffer_load_dword v155, off, s[0:3], 0 offset:516
	;; [unrolled: 1-line block ×3, first 2 shown]
	ds_read_b128 v[89:92], v1 offset:944
	s_clause 0x4
	buffer_load_dword v159, off, s[0:3], 0 offset:556
	buffer_load_dword v160, off, s[0:3], 0 offset:568
	;; [unrolled: 1-line block ×5, first 2 shown]
	ds_read_b128 v[93:96], v1 offset:960
	s_mov_b32 s4, exec_lo
	s_waitcnt vmcnt(62) lgkmcnt(2)
	v_mul_f64 v[156:157], v[87:88], v[2:3]
	v_mul_f64 v[2:3], v[85:86], v[2:3]
	s_waitcnt vmcnt(60) lgkmcnt(1)
	v_mul_f64 v[163:164], v[91:92], v[97:98]
	v_mul_f64 v[97:98], v[89:90], v[97:98]
	;; [unrolled: 3-line block ×3, first 2 shown]
	v_fma_f64 v[156:157], v[85:86], v[99:100], -v[156:157]
	v_fma_f64 v[2:3], v[87:88], v[99:100], v[2:3]
	s_clause 0x2
	buffer_load_dword v161, off, s[0:3], 0 offset:572
	buffer_load_dword v100, off, s[0:3], 0 offset:548
	;; [unrolled: 1-line block ×3, first 2 shown]
	s_waitcnt vmcnt(57)
	v_fma_f64 v[167:168], v[89:90], v[103:104], -v[163:164]
	ds_read_b128 v[85:88], v1 offset:976
	v_fma_f64 v[97:98], v[91:92], v[103:104], v[97:98]
	s_clause 0x4
	buffer_load_dword v104, off, s[0:3], 0 offset:588
	buffer_load_dword v164, off, s[0:3], 0 offset:600
	;; [unrolled: 1-line block ×5, first 2 shown]
	s_waitcnt vmcnt(56)
	v_fma_f64 v[101:102], v[93:94], v[111:112], -v[101:102]
	ds_read_b128 v[89:92], v1 offset:992
	v_fma_f64 v[111:112], v[95:96], v[111:112], v[165:166]
	v_add_f64 v[156:157], v[156:157], 0
	v_add_f64 v[2:3], v[2:3], 0
	s_waitcnt lgkmcnt(1)
	v_mul_f64 v[170:171], v[85:86], v[105:106]
	v_mul_f64 v[105:106], v[87:88], v[105:106]
	v_add_f64 v[156:157], v[156:157], v[167:168]
	v_add_f64 v[2:3], v[2:3], v[97:98]
	s_clause 0x2
	buffer_load_dword v165, off, s[0:3], 0 offset:604
	buffer_load_dword v98, off, s[0:3], 0 offset:580
	;; [unrolled: 1-line block ×3, first 2 shown]
	s_waitcnt vmcnt(58) lgkmcnt(0)
	v_mul_f64 v[166:167], v[89:90], v[107:108]
	v_mul_f64 v[107:108], v[91:92], v[107:108]
	s_waitcnt vmcnt(56)
	v_fma_f64 v[105:106], v[85:86], v[113:114], -v[105:106]
	ds_read_b128 v[93:96], v1 offset:1008
	v_fma_f64 v[113:114], v[87:88], v[113:114], v[170:171]
	v_add_f64 v[101:102], v[156:157], v[101:102]
	v_add_f64 v[2:3], v[2:3], v[111:112]
	s_clause 0x4
	buffer_load_dword v112, off, s[0:3], 0 offset:620
	buffer_load_dword v156, off, s[0:3], 0 offset:632
	;; [unrolled: 1-line block ×5, first 2 shown]
	ds_read_b128 v[85:88], v1 offset:1024
	s_waitcnt vmcnt(57) lgkmcnt(1)
	v_mul_f64 v[172:173], v[93:94], v[115:116]
	v_mul_f64 v[115:116], v[95:96], v[115:116]
	s_waitcnt vmcnt(56)
	v_fma_f64 v[107:108], v[89:90], v[109:110], -v[107:108]
	v_add_f64 v[101:102], v[101:102], v[105:106]
	v_fma_f64 v[105:106], v[91:92], v[109:110], v[166:167]
	v_add_f64 v[2:3], v[2:3], v[113:114]
	s_clause 0x2
	buffer_load_dword v157, off, s[0:3], 0 offset:636
	buffer_load_dword v110, off, s[0:3], 0 offset:612
	;; [unrolled: 1-line block ×3, first 2 shown]
	s_waitcnt vmcnt(58) lgkmcnt(0)
	v_mul_f64 v[113:114], v[85:86], v[117:118]
	v_mul_f64 v[117:118], v[87:88], v[117:118]
	s_waitcnt vmcnt(56)
	v_fma_f64 v[115:116], v[93:94], v[121:122], -v[115:116]
	ds_read_b128 v[89:92], v1 offset:1040
	v_add_f64 v[101:102], v[101:102], v[107:108]
	v_fma_f64 v[107:108], v[95:96], v[121:122], v[172:173]
	v_add_f64 v[2:3], v[2:3], v[105:106]
	s_clause 0x2
	buffer_load_dword v106, off, s[0:3], 0 offset:652
	buffer_load_dword v105, off, s[0:3], 0 offset:648
	;; [unrolled: 1-line block ×3, first 2 shown]
	ds_read_b128 v[93:96], v1 offset:1056
	s_waitcnt vmcnt(55) lgkmcnt(1)
	v_mul_f64 v[121:122], v[89:90], v[123:124]
	v_mul_f64 v[123:124], v[91:92], v[123:124]
	s_waitcnt vmcnt(54)
	v_fma_f64 v[117:118], v[85:86], v[119:120], -v[117:118]
	v_fma_f64 v[113:114], v[87:88], v[119:120], v[113:114]
	v_add_f64 v[101:102], v[101:102], v[115:116]
	v_add_f64 v[2:3], v[2:3], v[107:108]
	s_clause 0x1
	buffer_load_dword v108, off, s[0:3], 0 offset:644
	buffer_load_dword v107, off, s[0:3], 0 offset:640
	s_waitcnt vmcnt(55) lgkmcnt(0)
	v_mul_f64 v[119:120], v[95:96], v[125:126]
	ds_read_b128 v[85:88], v1 offset:1072
	s_waitcnt vmcnt(53)
	v_fma_f64 v[123:124], v[89:90], v[129:130], -v[123:124]
	v_mul_f64 v[115:116], v[93:94], v[125:126]
	v_add_f64 v[101:102], v[101:102], v[117:118]
	v_fma_f64 v[117:118], v[91:92], v[129:130], v[121:122]
	v_add_f64 v[2:3], v[2:3], v[113:114]
	ds_read_b128 v[89:92], v1 offset:1088
	s_waitcnt vmcnt(49) lgkmcnt(1)
	v_mul_f64 v[121:122], v[87:88], v[131:132]
	s_waitcnt vmcnt(48)
	v_fma_f64 v[119:120], v[93:94], v[127:128], -v[119:120]
	v_mul_f64 v[113:114], v[85:86], v[131:132]
	v_fma_f64 v[115:116], v[95:96], v[127:128], v[115:116]
	v_add_f64 v[101:102], v[101:102], v[123:124]
	s_waitcnt vmcnt(47) lgkmcnt(0)
	v_mul_f64 v[127:128], v[91:92], v[133:134]
	v_add_f64 v[2:3], v[2:3], v[117:118]
	s_clause 0x3
	buffer_load_dword v117, off, s[0:3], 0 offset:288
	buffer_load_dword v118, off, s[0:3], 0 offset:292
	;; [unrolled: 1-line block ×4, first 2 shown]
	s_waitcnt vmcnt(49)
	v_fma_f64 v[121:122], v[85:86], v[137:138], -v[121:122]
	ds_read_b128 v[93:96], v1 offset:1104
	v_mul_f64 v[125:126], v[89:90], v[133:134]
	v_fma_f64 v[113:114], v[87:88], v[137:138], v[113:114]
	ds_read_b128 v[85:88], v1 offset:1120
	v_add_f64 v[101:102], v[101:102], v[119:120]
	s_waitcnt vmcnt(44)
	v_fma_f64 v[127:128], v[89:90], v[135:136], -v[127:128]
	v_add_f64 v[2:3], v[2:3], v[115:116]
	s_waitcnt lgkmcnt(1)
	v_mul_f64 v[119:120], v[95:96], v[139:140]
	v_mul_f64 v[115:116], v[93:94], v[139:140]
	v_add_f64 v[101:102], v[101:102], v[121:122]
	v_fma_f64 v[121:122], v[91:92], v[135:136], v[125:126]
	v_add_f64 v[2:3], v[2:3], v[113:114]
	s_waitcnt vmcnt(43) lgkmcnt(0)
	v_mul_f64 v[125:126], v[87:88], v[142:143]
	s_waitcnt vmcnt(41)
	v_fma_f64 v[119:120], v[93:94], v[146:147], -v[119:120]
	ds_read_b128 v[89:92], v1 offset:1136
	v_mul_f64 v[113:114], v[85:86], v[142:143]
	v_fma_f64 v[115:116], v[95:96], v[146:147], v[115:116]
	ds_read_b128 v[93:96], v1 offset:1152
	v_add_f64 v[101:102], v[101:102], v[127:128]
	v_add_f64 v[2:3], v[2:3], v[121:122]
	s_waitcnt vmcnt(37) lgkmcnt(1)
	v_mul_f64 v[127:128], v[91:92], v[148:149]
	s_waitcnt vmcnt(36)
	v_fma_f64 v[125:126], v[85:86], v[144:145], -v[125:126]
	v_mul_f64 v[121:122], v[89:90], v[148:149]
	v_fma_f64 v[113:114], v[87:88], v[144:145], v[113:114]
	ds_read_b128 v[85:88], v1 offset:1168
	v_add_f64 v[101:102], v[101:102], v[119:120]
	s_waitcnt vmcnt(35) lgkmcnt(1)
	v_mul_f64 v[119:120], v[95:96], v[150:151]
	v_add_f64 v[2:3], v[2:3], v[115:116]
	s_waitcnt vmcnt(33)
	v_fma_f64 v[127:128], v[89:90], v[154:155], -v[127:128]
	v_mul_f64 v[115:116], v[93:94], v[150:151]
	v_fma_f64 v[121:122], v[91:92], v[154:155], v[121:122]
	ds_read_b128 v[89:92], v1 offset:1184
	v_add_f64 v[101:102], v[101:102], v[125:126]
	s_waitcnt vmcnt(29) lgkmcnt(1)
	v_mul_f64 v[125:126], v[87:88], v[158:159]
	v_add_f64 v[2:3], v[2:3], v[113:114]
	s_waitcnt vmcnt(28)
	v_fma_f64 v[119:120], v[93:94], v[152:153], -v[119:120]
	v_mul_f64 v[113:114], v[85:86], v[158:159]
	v_fma_f64 v[115:116], v[95:96], v[152:153], v[115:116]
	ds_read_b128 v[93:96], v1 offset:1200
	v_add_f64 v[101:102], v[101:102], v[127:128]
	v_add_f64 v[2:3], v[2:3], v[121:122]
	s_waitcnt vmcnt(27) lgkmcnt(1)
	v_mul_f64 v[127:128], v[91:92], v[160:161]
	v_mul_f64 v[121:122], v[89:90], v[160:161]
	s_waitcnt vmcnt(25)
	v_fma_f64 v[125:126], v[85:86], v[99:100], -v[125:126]
	v_fma_f64 v[99:100], v[87:88], v[99:100], v[113:114]
	ds_read_b128 v[85:88], v1 offset:1216
	s_waitcnt vmcnt(21) lgkmcnt(1)
	v_mul_f64 v[113:114], v[93:94], v[103:104]
	v_mul_f64 v[103:104], v[95:96], v[103:104]
	v_add_f64 v[101:102], v[101:102], v[119:120]
	v_add_f64 v[2:3], v[2:3], v[115:116]
	s_waitcnt vmcnt(20)
	v_fma_f64 v[115:116], v[89:90], v[162:163], -v[127:128]
	v_fma_f64 v[119:120], v[91:92], v[162:163], v[121:122]
	ds_read_b128 v[89:92], v1 offset:1232
	v_add_f64 v[101:102], v[101:102], v[125:126]
	v_add_f64 v[2:3], v[2:3], v[99:100]
	s_waitcnt vmcnt(19) lgkmcnt(1)
	v_mul_f64 v[121:122], v[87:88], v[164:165]
	v_mul_f64 v[99:100], v[85:86], v[164:165]
	s_waitcnt vmcnt(17)
	v_fma_f64 v[103:104], v[93:94], v[97:98], -v[103:104]
	v_fma_f64 v[97:98], v[95:96], v[97:98], v[113:114]
	ds_read_b128 v[93:96], v1 offset:1248
	v_add_f64 v[101:102], v[101:102], v[115:116]
	v_add_f64 v[2:3], v[2:3], v[119:120]
	s_waitcnt vmcnt(13) lgkmcnt(1)
	v_mul_f64 v[113:114], v[89:90], v[111:112]
	v_mul_f64 v[111:112], v[91:92], v[111:112]
	s_waitcnt vmcnt(12)
	v_fma_f64 v[85:86], v[85:86], v[169:170], -v[121:122]
	v_fma_f64 v[87:88], v[87:88], v[169:170], v[99:100]
	v_add_f64 v[101:102], v[101:102], v[103:104]
	v_add_f64 v[97:98], v[2:3], v[97:98]
	ds_read_b128 v[1:4], v1 offset:1264
	s_waitcnt vmcnt(11) lgkmcnt(1)
	v_mul_f64 v[103:104], v[95:96], v[156:157]
	v_mul_f64 v[99:100], v[93:94], v[156:157]
	s_waitcnt vmcnt(9)
	v_fma_f64 v[89:90], v[89:90], v[109:110], -v[111:112]
	v_fma_f64 v[91:92], v[91:92], v[109:110], v[113:114]
	v_add_f64 v[85:86], v[101:102], v[85:86]
	v_add_f64 v[87:88], v[97:98], v[87:88]
	s_waitcnt vmcnt(7) lgkmcnt(0)
	v_mul_f64 v[101:102], v[3:4], v[105:106]
	s_waitcnt vmcnt(6)
	v_fma_f64 v[93:94], v[93:94], v[171:172], -v[103:104]
	v_mul_f64 v[97:98], v[1:2], v[105:106]
	v_add_f64 v[85:86], v[85:86], v[89:90]
	v_fma_f64 v[89:90], v[95:96], v[171:172], v[99:100]
	v_add_f64 v[87:88], v[87:88], v[91:92]
	s_waitcnt vmcnt(4)
	v_fma_f64 v[1:2], v[1:2], v[107:108], -v[101:102]
	v_fma_f64 v[3:4], v[3:4], v[107:108], v[97:98]
	v_add_f64 v[85:86], v[85:86], v[93:94]
	v_add_f64 v[87:88], v[87:88], v[89:90]
	;; [unrolled: 1-line block ×4, first 2 shown]
	s_waitcnt vmcnt(2)
	v_add_f64 v[1:2], v[117:118], -v[1:2]
	s_waitcnt vmcnt(0)
	v_add_f64 v[3:4], v[123:124], -v[3:4]
	buffer_store_dword v2, off, s[0:3], 0 offset:292
	buffer_store_dword v1, off, s[0:3], 0 offset:288
	;; [unrolled: 1-line block ×4, first 2 shown]
	v_cmpx_lt_u32_e32 16, v0
	s_cbranch_execz .LBB103_221
; %bb.220:
	v_mov_b32_e32 v4, s36
	v_mov_b32_e32 v85, 0
	s_clause 0x3
	buffer_load_dword v1, v4, s[0:3], 0 offen
	buffer_load_dword v2, v4, s[0:3], 0 offen offset:4
	buffer_load_dword v3, v4, s[0:3], 0 offen offset:8
	;; [unrolled: 1-line block ×3, first 2 shown]
	buffer_store_dword v85, off, s[0:3], 0 offset:272
	buffer_store_dword v85, off, s[0:3], 0 offset:276
	;; [unrolled: 1-line block ×4, first 2 shown]
	s_waitcnt vmcnt(0)
	ds_write_b128 v141, v[1:4]
.LBB103_221:
	s_or_b32 exec_lo, exec_lo, s4
	s_waitcnt lgkmcnt(0)
	s_waitcnt_vscnt null, 0x0
	s_barrier
	buffer_gl0_inv
	s_clause 0x37
	buffer_load_dword v2, off, s[0:3], 0 offset:296
	buffer_load_dword v3, off, s[0:3], 0 offset:300
	;; [unrolled: 1-line block ×56, first 2 shown]
	v_mov_b32_e32 v1, 0
	s_mov_b32 s4, exec_lo
	ds_read_b128 v[85:88], v1 offset:912
	s_clause 0x2
	buffer_load_dword v151, off, s[0:3], 0 offset:524
	buffer_load_dword v155, off, s[0:3], 0 offset:500
	;; [unrolled: 1-line block ×3, first 2 shown]
	ds_read_b128 v[89:92], v1 offset:928
	s_clause 0x4
	buffer_load_dword v159, off, s[0:3], 0 offset:540
	buffer_load_dword v160, off, s[0:3], 0 offset:552
	buffer_load_dword v162, off, s[0:3], 0 offset:544
	buffer_load_dword v158, off, s[0:3], 0 offset:536
	buffer_load_dword v153, off, s[0:3], 0 offset:516
	ds_read_b128 v[93:96], v1 offset:944
	s_waitcnt vmcnt(62) lgkmcnt(2)
	v_mul_f64 v[156:157], v[87:88], v[2:3]
	v_mul_f64 v[2:3], v[85:86], v[2:3]
	s_waitcnt vmcnt(60) lgkmcnt(1)
	v_mul_f64 v[163:164], v[91:92], v[97:98]
	v_mul_f64 v[97:98], v[89:90], v[97:98]
	;; [unrolled: 3-line block ×3, first 2 shown]
	v_fma_f64 v[156:157], v[85:86], v[99:100], -v[156:157]
	v_fma_f64 v[2:3], v[87:88], v[99:100], v[2:3]
	s_clause 0x2
	buffer_load_dword v161, off, s[0:3], 0 offset:556
	buffer_load_dword v100, off, s[0:3], 0 offset:532
	buffer_load_dword v99, off, s[0:3], 0 offset:528
	s_waitcnt vmcnt(57)
	v_fma_f64 v[167:168], v[89:90], v[103:104], -v[163:164]
	ds_read_b128 v[85:88], v1 offset:960
	v_fma_f64 v[97:98], v[91:92], v[103:104], v[97:98]
	s_clause 0x4
	buffer_load_dword v104, off, s[0:3], 0 offset:572
	buffer_load_dword v164, off, s[0:3], 0 offset:584
	;; [unrolled: 1-line block ×5, first 2 shown]
	s_waitcnt vmcnt(56)
	v_fma_f64 v[101:102], v[93:94], v[111:112], -v[101:102]
	ds_read_b128 v[89:92], v1 offset:976
	v_fma_f64 v[111:112], v[95:96], v[111:112], v[165:166]
	v_add_f64 v[156:157], v[156:157], 0
	v_add_f64 v[2:3], v[2:3], 0
	s_waitcnt lgkmcnt(1)
	v_mul_f64 v[170:171], v[85:86], v[105:106]
	v_mul_f64 v[105:106], v[87:88], v[105:106]
	v_add_f64 v[156:157], v[156:157], v[167:168]
	v_add_f64 v[2:3], v[2:3], v[97:98]
	s_clause 0x2
	buffer_load_dword v165, off, s[0:3], 0 offset:588
	buffer_load_dword v98, off, s[0:3], 0 offset:564
	buffer_load_dword v97, off, s[0:3], 0 offset:560
	s_waitcnt vmcnt(58) lgkmcnt(0)
	v_mul_f64 v[166:167], v[89:90], v[107:108]
	v_mul_f64 v[107:108], v[91:92], v[107:108]
	s_waitcnt vmcnt(56)
	v_fma_f64 v[105:106], v[85:86], v[113:114], -v[105:106]
	ds_read_b128 v[93:96], v1 offset:992
	v_fma_f64 v[113:114], v[87:88], v[113:114], v[170:171]
	v_add_f64 v[101:102], v[156:157], v[101:102]
	v_add_f64 v[2:3], v[2:3], v[111:112]
	s_clause 0x4
	buffer_load_dword v112, off, s[0:3], 0 offset:604
	buffer_load_dword v156, off, s[0:3], 0 offset:616
	;; [unrolled: 1-line block ×5, first 2 shown]
	ds_read_b128 v[85:88], v1 offset:1008
	s_waitcnt vmcnt(57) lgkmcnt(1)
	v_mul_f64 v[172:173], v[93:94], v[115:116]
	v_mul_f64 v[115:116], v[95:96], v[115:116]
	s_waitcnt vmcnt(56)
	v_fma_f64 v[107:108], v[89:90], v[109:110], -v[107:108]
	v_add_f64 v[101:102], v[101:102], v[105:106]
	v_fma_f64 v[105:106], v[91:92], v[109:110], v[166:167]
	v_add_f64 v[2:3], v[2:3], v[113:114]
	s_clause 0x2
	buffer_load_dword v157, off, s[0:3], 0 offset:620
	buffer_load_dword v110, off, s[0:3], 0 offset:596
	;; [unrolled: 1-line block ×3, first 2 shown]
	s_waitcnt vmcnt(58) lgkmcnt(0)
	v_mul_f64 v[113:114], v[85:86], v[117:118]
	v_mul_f64 v[117:118], v[87:88], v[117:118]
	s_waitcnt vmcnt(56)
	v_fma_f64 v[115:116], v[93:94], v[121:122], -v[115:116]
	ds_read_b128 v[89:92], v1 offset:1024
	v_add_f64 v[101:102], v[101:102], v[107:108]
	v_fma_f64 v[107:108], v[95:96], v[121:122], v[172:173]
	v_add_f64 v[2:3], v[2:3], v[105:106]
	s_clause 0x4
	buffer_load_dword v106, off, s[0:3], 0 offset:636
	buffer_load_dword v121, off, s[0:3], 0 offset:648
	;; [unrolled: 1-line block ×5, first 2 shown]
	ds_read_b128 v[93:96], v1 offset:1040
	s_waitcnt vmcnt(57) lgkmcnt(1)
	v_mul_f64 v[167:168], v[89:90], v[123:124]
	v_mul_f64 v[123:124], v[91:92], v[123:124]
	s_waitcnt vmcnt(56)
	v_fma_f64 v[117:118], v[85:86], v[119:120], -v[117:118]
	v_fma_f64 v[113:114], v[87:88], v[119:120], v[113:114]
	v_add_f64 v[101:102], v[101:102], v[115:116]
	v_add_f64 v[2:3], v[2:3], v[107:108]
	s_clause 0x2
	buffer_load_dword v122, off, s[0:3], 0 offset:652
	buffer_load_dword v108, off, s[0:3], 0 offset:628
	;; [unrolled: 1-line block ×3, first 2 shown]
	s_waitcnt vmcnt(58) lgkmcnt(0)
	v_mul_f64 v[119:120], v[95:96], v[125:126]
	ds_read_b128 v[85:88], v1 offset:1056
	s_waitcnt vmcnt(56)
	v_fma_f64 v[123:124], v[89:90], v[129:130], -v[123:124]
	v_mul_f64 v[115:116], v[93:94], v[125:126]
	v_add_f64 v[101:102], v[101:102], v[117:118]
	v_fma_f64 v[117:118], v[91:92], v[129:130], v[167:168]
	v_add_f64 v[2:3], v[2:3], v[113:114]
	buffer_load_dword v167, off, s[0:3], 0 offset:644
	ds_read_b128 v[89:92], v1 offset:1072
	s_waitcnt vmcnt(53) lgkmcnt(1)
	v_mul_f64 v[125:126], v[87:88], v[131:132]
	s_waitcnt vmcnt(52)
	v_fma_f64 v[119:120], v[93:94], v[127:128], -v[119:120]
	v_mul_f64 v[113:114], v[85:86], v[131:132]
	v_fma_f64 v[115:116], v[95:96], v[127:128], v[115:116]
	ds_read_b128 v[93:96], v1 offset:1088
	v_add_f64 v[101:102], v[101:102], v[123:124]
	v_add_f64 v[2:3], v[2:3], v[117:118]
	s_waitcnt vmcnt(51) lgkmcnt(1)
	v_mul_f64 v[123:124], v[91:92], v[133:134]
	v_mul_f64 v[117:118], v[89:90], v[133:134]
	s_waitcnt vmcnt(49)
	v_fma_f64 v[125:126], v[85:86], v[137:138], -v[125:126]
	v_fma_f64 v[113:114], v[87:88], v[137:138], v[113:114]
	s_waitcnt vmcnt(45) lgkmcnt(0)
	v_mul_f64 v[129:130], v[95:96], v[139:140]
	v_mul_f64 v[127:128], v[93:94], v[139:140]
	v_add_f64 v[101:102], v[101:102], v[119:120]
	v_add_f64 v[2:3], v[2:3], v[115:116]
	s_clause 0x3
	buffer_load_dword v115, off, s[0:3], 0 offset:272
	buffer_load_dword v116, off, s[0:3], 0 offset:276
	;; [unrolled: 1-line block ×4, first 2 shown]
	s_waitcnt vmcnt(48)
	v_fma_f64 v[123:124], v[89:90], v[135:136], -v[123:124]
	ds_read_b128 v[85:88], v1 offset:1104
	v_fma_f64 v[117:118], v[91:92], v[135:136], v[117:118]
	ds_read_b128 v[89:92], v1 offset:1120
	s_waitcnt vmcnt(45)
	v_fma_f64 v[129:130], v[93:94], v[146:147], -v[129:130]
	v_add_f64 v[101:102], v[101:102], v[125:126]
	v_add_f64 v[2:3], v[2:3], v[113:114]
	s_waitcnt lgkmcnt(1)
	v_mul_f64 v[125:126], v[87:88], v[142:143]
	v_mul_f64 v[113:114], v[85:86], v[142:143]
	v_add_f64 v[101:102], v[101:102], v[123:124]
	v_fma_f64 v[123:124], v[95:96], v[146:147], v[127:128]
	v_add_f64 v[2:3], v[2:3], v[117:118]
	s_waitcnt vmcnt(41) lgkmcnt(0)
	v_mul_f64 v[127:128], v[91:92], v[148:149]
	s_waitcnt vmcnt(40)
	v_fma_f64 v[125:126], v[85:86], v[144:145], -v[125:126]
	ds_read_b128 v[93:96], v1 offset:1136
	v_mul_f64 v[117:118], v[89:90], v[148:149]
	v_fma_f64 v[113:114], v[87:88], v[144:145], v[113:114]
	ds_read_b128 v[85:88], v1 offset:1152
	v_add_f64 v[101:102], v[101:102], v[129:130]
	v_add_f64 v[2:3], v[2:3], v[123:124]
	s_waitcnt vmcnt(39) lgkmcnt(1)
	v_mul_f64 v[129:130], v[95:96], v[150:151]
	s_waitcnt vmcnt(37)
	v_fma_f64 v[127:128], v[89:90], v[154:155], -v[127:128]
	v_mul_f64 v[123:124], v[93:94], v[150:151]
	v_fma_f64 v[117:118], v[91:92], v[154:155], v[117:118]
	ds_read_b128 v[89:92], v1 offset:1168
	v_add_f64 v[101:102], v[101:102], v[125:126]
	s_waitcnt vmcnt(33) lgkmcnt(1)
	v_mul_f64 v[125:126], v[87:88], v[158:159]
	v_add_f64 v[2:3], v[2:3], v[113:114]
	s_waitcnt vmcnt(32)
	v_fma_f64 v[129:130], v[93:94], v[152:153], -v[129:130]
	v_mul_f64 v[113:114], v[85:86], v[158:159]
	v_fma_f64 v[123:124], v[95:96], v[152:153], v[123:124]
	ds_read_b128 v[93:96], v1 offset:1184
	v_add_f64 v[101:102], v[101:102], v[127:128]
	v_add_f64 v[2:3], v[2:3], v[117:118]
	s_waitcnt vmcnt(31) lgkmcnt(1)
	v_mul_f64 v[127:128], v[91:92], v[160:161]
	v_mul_f64 v[117:118], v[89:90], v[160:161]
	s_waitcnt vmcnt(29)
	v_fma_f64 v[125:126], v[85:86], v[99:100], -v[125:126]
	v_fma_f64 v[99:100], v[87:88], v[99:100], v[113:114]
	ds_read_b128 v[85:88], v1 offset:1200
	s_waitcnt vmcnt(25) lgkmcnt(1)
	v_mul_f64 v[113:114], v[93:94], v[103:104]
	v_mul_f64 v[103:104], v[95:96], v[103:104]
	v_add_f64 v[101:102], v[101:102], v[129:130]
	v_add_f64 v[2:3], v[2:3], v[123:124]
	s_waitcnt vmcnt(24)
	v_fma_f64 v[123:124], v[89:90], v[162:163], -v[127:128]
	v_fma_f64 v[117:118], v[91:92], v[162:163], v[117:118]
	ds_read_b128 v[89:92], v1 offset:1216
	v_add_f64 v[101:102], v[101:102], v[125:126]
	v_add_f64 v[2:3], v[2:3], v[99:100]
	s_waitcnt vmcnt(23) lgkmcnt(1)
	v_mul_f64 v[125:126], v[87:88], v[164:165]
	v_mul_f64 v[99:100], v[85:86], v[164:165]
	s_waitcnt vmcnt(21)
	v_fma_f64 v[103:104], v[93:94], v[97:98], -v[103:104]
	v_fma_f64 v[97:98], v[95:96], v[97:98], v[113:114]
	ds_read_b128 v[93:96], v1 offset:1232
	v_add_f64 v[101:102], v[101:102], v[123:124]
	v_add_f64 v[2:3], v[2:3], v[117:118]
	s_waitcnt vmcnt(17) lgkmcnt(1)
	v_mul_f64 v[113:114], v[89:90], v[111:112]
	v_mul_f64 v[111:112], v[91:92], v[111:112]
	;; [unrolled: 9-line block ×4, first 2 shown]
	s_waitcnt vmcnt(8)
	v_fma_f64 v[93:94], v[93:94], v[171:172], -v[103:104]
	v_fma_f64 v[95:96], v[95:96], v[171:172], v[97:98]
	v_add_f64 v[101:102], v[101:102], v[111:112]
	v_add_f64 v[2:3], v[2:3], v[109:110]
	s_waitcnt vmcnt(7) lgkmcnt(0)
	v_mul_f64 v[103:104], v[91:92], v[121:122]
	v_mul_f64 v[97:98], v[89:90], v[121:122]
	s_waitcnt vmcnt(5)
	v_fma_f64 v[85:86], v[85:86], v[107:108], -v[105:106]
	v_fma_f64 v[87:88], v[87:88], v[107:108], v[99:100]
	v_add_f64 v[93:94], v[101:102], v[93:94]
	v_add_f64 v[2:3], v[2:3], v[95:96]
	s_waitcnt vmcnt(4)
	v_fma_f64 v[89:90], v[89:90], v[166:167], -v[103:104]
	v_fma_f64 v[91:92], v[91:92], v[166:167], v[97:98]
	v_add_f64 v[85:86], v[93:94], v[85:86]
	v_add_f64 v[2:3], v[2:3], v[87:88]
	;; [unrolled: 1-line block ×4, first 2 shown]
	s_waitcnt vmcnt(2)
	v_add_f64 v[85:86], v[115:116], -v[85:86]
	s_waitcnt vmcnt(0)
	v_add_f64 v[2:3], v[119:120], -v[2:3]
	buffer_store_dword v86, off, s[0:3], 0 offset:276
	buffer_store_dword v85, off, s[0:3], 0 offset:272
	;; [unrolled: 1-line block ×4, first 2 shown]
	v_cmpx_lt_u32_e32 15, v0
	s_cbranch_execz .LBB103_223
; %bb.222:
	v_mov_b32_e32 v2, s37
	s_clause 0x3
	buffer_load_dword v85, v2, s[0:3], 0 offen
	buffer_load_dword v86, v2, s[0:3], 0 offen offset:4
	buffer_load_dword v87, v2, s[0:3], 0 offen offset:8
	;; [unrolled: 1-line block ×3, first 2 shown]
	buffer_store_dword v1, off, s[0:3], 0 offset:256
	buffer_store_dword v1, off, s[0:3], 0 offset:260
	;; [unrolled: 1-line block ×4, first 2 shown]
	s_waitcnt vmcnt(0)
	ds_write_b128 v141, v[85:88]
.LBB103_223:
	s_or_b32 exec_lo, exec_lo, s4
	s_waitcnt lgkmcnt(0)
	s_waitcnt_vscnt null, 0x0
	s_barrier
	buffer_gl0_inv
	s_clause 0x37
	buffer_load_dword v2, off, s[0:3], 0 offset:280
	buffer_load_dword v3, off, s[0:3], 0 offset:284
	;; [unrolled: 1-line block ×56, first 2 shown]
	ds_read_b128 v[85:88], v1 offset:896
	s_clause 0x2
	buffer_load_dword v151, off, s[0:3], 0 offset:508
	buffer_load_dword v155, off, s[0:3], 0 offset:484
	;; [unrolled: 1-line block ×3, first 2 shown]
	ds_read_b128 v[89:92], v1 offset:912
	s_clause 0x4
	buffer_load_dword v159, off, s[0:3], 0 offset:524
	buffer_load_dword v160, off, s[0:3], 0 offset:536
	;; [unrolled: 1-line block ×5, first 2 shown]
	ds_read_b128 v[93:96], v1 offset:928
	s_mov_b32 s4, exec_lo
	s_waitcnt vmcnt(62) lgkmcnt(2)
	v_mul_f64 v[156:157], v[87:88], v[2:3]
	v_mul_f64 v[2:3], v[85:86], v[2:3]
	s_waitcnt vmcnt(60) lgkmcnt(1)
	v_mul_f64 v[163:164], v[91:92], v[97:98]
	v_mul_f64 v[97:98], v[89:90], v[97:98]
	;; [unrolled: 3-line block ×3, first 2 shown]
	v_fma_f64 v[156:157], v[85:86], v[99:100], -v[156:157]
	v_fma_f64 v[2:3], v[87:88], v[99:100], v[2:3]
	s_clause 0x2
	buffer_load_dword v161, off, s[0:3], 0 offset:540
	buffer_load_dword v100, off, s[0:3], 0 offset:516
	;; [unrolled: 1-line block ×3, first 2 shown]
	s_waitcnt vmcnt(57)
	v_fma_f64 v[167:168], v[89:90], v[103:104], -v[163:164]
	ds_read_b128 v[85:88], v1 offset:944
	v_fma_f64 v[97:98], v[91:92], v[103:104], v[97:98]
	s_clause 0x4
	buffer_load_dword v104, off, s[0:3], 0 offset:556
	buffer_load_dword v164, off, s[0:3], 0 offset:568
	;; [unrolled: 1-line block ×5, first 2 shown]
	s_waitcnt vmcnt(56)
	v_fma_f64 v[101:102], v[93:94], v[111:112], -v[101:102]
	ds_read_b128 v[89:92], v1 offset:960
	v_fma_f64 v[111:112], v[95:96], v[111:112], v[165:166]
	v_add_f64 v[156:157], v[156:157], 0
	v_add_f64 v[2:3], v[2:3], 0
	s_waitcnt lgkmcnt(1)
	v_mul_f64 v[170:171], v[85:86], v[105:106]
	v_mul_f64 v[105:106], v[87:88], v[105:106]
	v_add_f64 v[156:157], v[156:157], v[167:168]
	v_add_f64 v[2:3], v[2:3], v[97:98]
	s_clause 0x2
	buffer_load_dword v165, off, s[0:3], 0 offset:572
	buffer_load_dword v98, off, s[0:3], 0 offset:548
	;; [unrolled: 1-line block ×3, first 2 shown]
	s_waitcnt vmcnt(58) lgkmcnt(0)
	v_mul_f64 v[166:167], v[89:90], v[107:108]
	v_mul_f64 v[107:108], v[91:92], v[107:108]
	s_waitcnt vmcnt(56)
	v_fma_f64 v[105:106], v[85:86], v[113:114], -v[105:106]
	ds_read_b128 v[93:96], v1 offset:976
	v_fma_f64 v[113:114], v[87:88], v[113:114], v[170:171]
	v_add_f64 v[101:102], v[156:157], v[101:102]
	v_add_f64 v[2:3], v[2:3], v[111:112]
	s_clause 0x4
	buffer_load_dword v112, off, s[0:3], 0 offset:588
	buffer_load_dword v156, off, s[0:3], 0 offset:600
	;; [unrolled: 1-line block ×5, first 2 shown]
	ds_read_b128 v[85:88], v1 offset:992
	s_waitcnt vmcnt(57) lgkmcnt(1)
	v_mul_f64 v[172:173], v[93:94], v[115:116]
	v_mul_f64 v[115:116], v[95:96], v[115:116]
	s_waitcnt vmcnt(56)
	v_fma_f64 v[107:108], v[89:90], v[109:110], -v[107:108]
	v_add_f64 v[101:102], v[101:102], v[105:106]
	v_fma_f64 v[105:106], v[91:92], v[109:110], v[166:167]
	v_add_f64 v[2:3], v[2:3], v[113:114]
	s_clause 0x2
	buffer_load_dword v157, off, s[0:3], 0 offset:604
	buffer_load_dword v110, off, s[0:3], 0 offset:580
	;; [unrolled: 1-line block ×3, first 2 shown]
	s_waitcnt vmcnt(58) lgkmcnt(0)
	v_mul_f64 v[113:114], v[85:86], v[117:118]
	v_mul_f64 v[117:118], v[87:88], v[117:118]
	s_waitcnt vmcnt(56)
	v_fma_f64 v[115:116], v[93:94], v[121:122], -v[115:116]
	ds_read_b128 v[89:92], v1 offset:1008
	v_add_f64 v[101:102], v[101:102], v[107:108]
	v_fma_f64 v[107:108], v[95:96], v[121:122], v[172:173]
	v_add_f64 v[2:3], v[2:3], v[105:106]
	s_clause 0x4
	buffer_load_dword v106, off, s[0:3], 0 offset:620
	buffer_load_dword v121, off, s[0:3], 0 offset:632
	;; [unrolled: 1-line block ×5, first 2 shown]
	ds_read_b128 v[93:96], v1 offset:1024
	s_waitcnt vmcnt(57) lgkmcnt(1)
	v_mul_f64 v[167:168], v[89:90], v[123:124]
	v_mul_f64 v[123:124], v[91:92], v[123:124]
	s_waitcnt vmcnt(56)
	v_fma_f64 v[117:118], v[85:86], v[119:120], -v[117:118]
	v_fma_f64 v[113:114], v[87:88], v[119:120], v[113:114]
	v_add_f64 v[101:102], v[101:102], v[115:116]
	v_add_f64 v[2:3], v[2:3], v[107:108]
	s_clause 0x2
	buffer_load_dword v122, off, s[0:3], 0 offset:636
	buffer_load_dword v108, off, s[0:3], 0 offset:612
	buffer_load_dword v107, off, s[0:3], 0 offset:608
	s_waitcnt vmcnt(58) lgkmcnt(0)
	v_mul_f64 v[119:120], v[95:96], v[125:126]
	ds_read_b128 v[85:88], v1 offset:1040
	s_waitcnt vmcnt(56)
	v_fma_f64 v[123:124], v[89:90], v[129:130], -v[123:124]
	v_mul_f64 v[115:116], v[93:94], v[125:126]
	v_add_f64 v[101:102], v[101:102], v[117:118]
	v_fma_f64 v[117:118], v[91:92], v[129:130], v[167:168]
	v_add_f64 v[2:3], v[2:3], v[113:114]
	s_clause 0x2
	buffer_load_dword v114, off, s[0:3], 0 offset:652
	buffer_load_dword v113, off, s[0:3], 0 offset:648
	;; [unrolled: 1-line block ×3, first 2 shown]
	s_waitcnt vmcnt(55) lgkmcnt(0)
	v_mul_f64 v[129:130], v[87:88], v[131:132]
	s_waitcnt vmcnt(54)
	v_fma_f64 v[119:120], v[93:94], v[127:128], -v[119:120]
	ds_read_b128 v[89:92], v1 offset:1056
	v_mul_f64 v[125:126], v[85:86], v[131:132]
	v_fma_f64 v[115:116], v[95:96], v[127:128], v[115:116]
	v_add_f64 v[101:102], v[101:102], v[123:124]
	v_add_f64 v[2:3], v[2:3], v[117:118]
	s_clause 0x1
	buffer_load_dword v118, off, s[0:3], 0 offset:644
	buffer_load_dword v117, off, s[0:3], 0 offset:640
	s_waitcnt vmcnt(55) lgkmcnt(0)
	v_mul_f64 v[127:128], v[91:92], v[133:134]
	s_waitcnt vmcnt(53)
	v_fma_f64 v[129:130], v[85:86], v[137:138], -v[129:130]
	ds_read_b128 v[93:96], v1 offset:1072
	v_mul_f64 v[123:124], v[89:90], v[133:134]
	v_add_f64 v[101:102], v[101:102], v[119:120]
	v_fma_f64 v[119:120], v[87:88], v[137:138], v[125:126]
	v_add_f64 v[2:3], v[2:3], v[115:116]
	ds_read_b128 v[85:88], v1 offset:1088
	s_waitcnt vmcnt(49) lgkmcnt(1)
	v_mul_f64 v[125:126], v[95:96], v[139:140]
	s_waitcnt vmcnt(48)
	v_fma_f64 v[127:128], v[89:90], v[135:136], -v[127:128]
	v_mul_f64 v[115:116], v[93:94], v[139:140]
	v_fma_f64 v[123:124], v[91:92], v[135:136], v[123:124]
	v_add_f64 v[101:102], v[101:102], v[129:130]
	s_waitcnt vmcnt(47) lgkmcnt(0)
	v_mul_f64 v[133:134], v[87:88], v[142:143]
	v_add_f64 v[2:3], v[2:3], v[119:120]
	s_clause 0x3
	buffer_load_dword v119, off, s[0:3], 0 offset:256
	buffer_load_dword v120, off, s[0:3], 0 offset:260
	;; [unrolled: 1-line block ×4, first 2 shown]
	s_waitcnt vmcnt(49)
	v_fma_f64 v[125:126], v[93:94], v[146:147], -v[125:126]
	ds_read_b128 v[89:92], v1 offset:1104
	v_mul_f64 v[131:132], v[85:86], v[142:143]
	v_fma_f64 v[115:116], v[95:96], v[146:147], v[115:116]
	ds_read_b128 v[93:96], v1 offset:1120
	v_add_f64 v[101:102], v[101:102], v[127:128]
	s_waitcnt vmcnt(44)
	v_fma_f64 v[133:134], v[85:86], v[144:145], -v[133:134]
	v_add_f64 v[2:3], v[2:3], v[123:124]
	s_waitcnt lgkmcnt(1)
	v_mul_f64 v[127:128], v[91:92], v[148:149]
	v_mul_f64 v[123:124], v[89:90], v[148:149]
	v_add_f64 v[101:102], v[101:102], v[125:126]
	v_fma_f64 v[125:126], v[87:88], v[144:145], v[131:132]
	v_add_f64 v[2:3], v[2:3], v[115:116]
	s_waitcnt vmcnt(43) lgkmcnt(0)
	v_mul_f64 v[131:132], v[95:96], v[150:151]
	s_waitcnt vmcnt(41)
	v_fma_f64 v[127:128], v[89:90], v[154:155], -v[127:128]
	ds_read_b128 v[85:88], v1 offset:1136
	v_mul_f64 v[115:116], v[93:94], v[150:151]
	v_fma_f64 v[123:124], v[91:92], v[154:155], v[123:124]
	ds_read_b128 v[89:92], v1 offset:1152
	v_add_f64 v[101:102], v[101:102], v[133:134]
	v_add_f64 v[2:3], v[2:3], v[125:126]
	s_waitcnt vmcnt(37) lgkmcnt(1)
	v_mul_f64 v[133:134], v[87:88], v[158:159]
	s_waitcnt vmcnt(36)
	v_fma_f64 v[131:132], v[93:94], v[152:153], -v[131:132]
	v_mul_f64 v[125:126], v[85:86], v[158:159]
	v_fma_f64 v[115:116], v[95:96], v[152:153], v[115:116]
	ds_read_b128 v[93:96], v1 offset:1168
	v_add_f64 v[101:102], v[101:102], v[127:128]
	v_add_f64 v[2:3], v[2:3], v[123:124]
	s_waitcnt vmcnt(35) lgkmcnt(1)
	v_mul_f64 v[127:128], v[91:92], v[160:161]
	v_mul_f64 v[123:124], v[89:90], v[160:161]
	s_waitcnt vmcnt(33)
	v_fma_f64 v[133:134], v[85:86], v[99:100], -v[133:134]
	v_fma_f64 v[99:100], v[87:88], v[99:100], v[125:126]
	ds_read_b128 v[85:88], v1 offset:1184
	v_add_f64 v[101:102], v[101:102], v[131:132]
	v_add_f64 v[2:3], v[2:3], v[115:116]
	s_waitcnt vmcnt(29) lgkmcnt(1)
	v_mul_f64 v[115:116], v[93:94], v[103:104]
	v_mul_f64 v[103:104], v[95:96], v[103:104]
	s_waitcnt vmcnt(28)
	v_fma_f64 v[125:126], v[89:90], v[162:163], -v[127:128]
	;; [unrolled: 9-line block ×6, first 2 shown]
	v_fma_f64 v[95:96], v[95:96], v[171:172], v[97:98]
	v_add_f64 v[101:102], v[101:102], v[111:112]
	v_add_f64 v[97:98], v[2:3], v[109:110]
	ds_read_b128 v[1:4], v1 offset:1264
	s_waitcnt vmcnt(11) lgkmcnt(1)
	v_mul_f64 v[109:110], v[91:92], v[121:122]
	v_mul_f64 v[103:104], v[89:90], v[121:122]
	s_waitcnt vmcnt(9)
	v_fma_f64 v[85:86], v[85:86], v[107:108], -v[105:106]
	v_fma_f64 v[87:88], v[87:88], v[107:108], v[99:100]
	v_add_f64 v[93:94], v[101:102], v[93:94]
	v_add_f64 v[95:96], v[97:98], v[95:96]
	s_waitcnt vmcnt(7) lgkmcnt(0)
	v_mul_f64 v[99:100], v[3:4], v[113:114]
	s_waitcnt vmcnt(6)
	v_fma_f64 v[89:90], v[89:90], v[166:167], -v[109:110]
	v_mul_f64 v[97:98], v[1:2], v[113:114]
	v_fma_f64 v[91:92], v[91:92], v[166:167], v[103:104]
	v_add_f64 v[85:86], v[93:94], v[85:86]
	v_add_f64 v[87:88], v[95:96], v[87:88]
	s_waitcnt vmcnt(4)
	v_fma_f64 v[1:2], v[1:2], v[117:118], -v[99:100]
	v_fma_f64 v[3:4], v[3:4], v[117:118], v[97:98]
	v_add_f64 v[85:86], v[85:86], v[89:90]
	v_add_f64 v[87:88], v[87:88], v[91:92]
	;; [unrolled: 1-line block ×4, first 2 shown]
	s_waitcnt vmcnt(2)
	v_add_f64 v[1:2], v[119:120], -v[1:2]
	s_waitcnt vmcnt(0)
	v_add_f64 v[3:4], v[129:130], -v[3:4]
	buffer_store_dword v2, off, s[0:3], 0 offset:260
	buffer_store_dword v1, off, s[0:3], 0 offset:256
	;; [unrolled: 1-line block ×4, first 2 shown]
	v_cmpx_lt_u32_e32 14, v0
	s_cbranch_execz .LBB103_225
; %bb.224:
	v_mov_b32_e32 v4, s38
	v_mov_b32_e32 v85, 0
	s_clause 0x3
	buffer_load_dword v1, v4, s[0:3], 0 offen
	buffer_load_dword v2, v4, s[0:3], 0 offen offset:4
	buffer_load_dword v3, v4, s[0:3], 0 offen offset:8
	;; [unrolled: 1-line block ×3, first 2 shown]
	buffer_store_dword v85, off, s[0:3], 0 offset:240
	buffer_store_dword v85, off, s[0:3], 0 offset:244
	;; [unrolled: 1-line block ×4, first 2 shown]
	s_waitcnt vmcnt(0)
	ds_write_b128 v141, v[1:4]
.LBB103_225:
	s_or_b32 exec_lo, exec_lo, s4
	s_waitcnt lgkmcnt(0)
	s_waitcnt_vscnt null, 0x0
	s_barrier
	buffer_gl0_inv
	s_clause 0x37
	buffer_load_dword v2, off, s[0:3], 0 offset:264
	buffer_load_dword v3, off, s[0:3], 0 offset:268
	;; [unrolled: 1-line block ×56, first 2 shown]
	v_mov_b32_e32 v1, 0
	s_mov_b32 s4, exec_lo
	ds_read_b128 v[85:88], v1 offset:880
	s_clause 0x2
	buffer_load_dword v151, off, s[0:3], 0 offset:492
	buffer_load_dword v155, off, s[0:3], 0 offset:468
	;; [unrolled: 1-line block ×3, first 2 shown]
	ds_read_b128 v[89:92], v1 offset:896
	s_clause 0x4
	buffer_load_dword v159, off, s[0:3], 0 offset:508
	buffer_load_dword v160, off, s[0:3], 0 offset:520
	;; [unrolled: 1-line block ×5, first 2 shown]
	ds_read_b128 v[93:96], v1 offset:912
	s_waitcnt vmcnt(62) lgkmcnt(2)
	v_mul_f64 v[156:157], v[87:88], v[2:3]
	v_mul_f64 v[2:3], v[85:86], v[2:3]
	s_waitcnt vmcnt(60) lgkmcnt(1)
	v_mul_f64 v[163:164], v[91:92], v[97:98]
	v_mul_f64 v[97:98], v[89:90], v[97:98]
	;; [unrolled: 3-line block ×3, first 2 shown]
	v_fma_f64 v[156:157], v[85:86], v[99:100], -v[156:157]
	v_fma_f64 v[2:3], v[87:88], v[99:100], v[2:3]
	s_clause 0x2
	buffer_load_dword v161, off, s[0:3], 0 offset:524
	buffer_load_dword v100, off, s[0:3], 0 offset:500
	;; [unrolled: 1-line block ×3, first 2 shown]
	s_waitcnt vmcnt(57)
	v_fma_f64 v[167:168], v[89:90], v[103:104], -v[163:164]
	ds_read_b128 v[85:88], v1 offset:928
	v_fma_f64 v[97:98], v[91:92], v[103:104], v[97:98]
	s_clause 0x4
	buffer_load_dword v104, off, s[0:3], 0 offset:540
	buffer_load_dword v164, off, s[0:3], 0 offset:552
	;; [unrolled: 1-line block ×5, first 2 shown]
	s_waitcnt vmcnt(56)
	v_fma_f64 v[101:102], v[93:94], v[111:112], -v[101:102]
	ds_read_b128 v[89:92], v1 offset:944
	v_fma_f64 v[111:112], v[95:96], v[111:112], v[165:166]
	v_add_f64 v[156:157], v[156:157], 0
	v_add_f64 v[2:3], v[2:3], 0
	s_waitcnt lgkmcnt(1)
	v_mul_f64 v[170:171], v[85:86], v[105:106]
	v_mul_f64 v[105:106], v[87:88], v[105:106]
	v_add_f64 v[156:157], v[156:157], v[167:168]
	v_add_f64 v[2:3], v[2:3], v[97:98]
	s_clause 0x2
	buffer_load_dword v165, off, s[0:3], 0 offset:556
	buffer_load_dword v98, off, s[0:3], 0 offset:532
	;; [unrolled: 1-line block ×3, first 2 shown]
	s_waitcnt vmcnt(58) lgkmcnt(0)
	v_mul_f64 v[166:167], v[89:90], v[107:108]
	v_mul_f64 v[107:108], v[91:92], v[107:108]
	s_waitcnt vmcnt(56)
	v_fma_f64 v[105:106], v[85:86], v[113:114], -v[105:106]
	ds_read_b128 v[93:96], v1 offset:960
	v_fma_f64 v[113:114], v[87:88], v[113:114], v[170:171]
	v_add_f64 v[101:102], v[156:157], v[101:102]
	v_add_f64 v[2:3], v[2:3], v[111:112]
	s_clause 0x4
	buffer_load_dword v112, off, s[0:3], 0 offset:572
	buffer_load_dword v156, off, s[0:3], 0 offset:584
	;; [unrolled: 1-line block ×5, first 2 shown]
	ds_read_b128 v[85:88], v1 offset:976
	s_waitcnt vmcnt(57) lgkmcnt(1)
	v_mul_f64 v[172:173], v[93:94], v[115:116]
	v_mul_f64 v[115:116], v[95:96], v[115:116]
	s_waitcnt vmcnt(56)
	v_fma_f64 v[107:108], v[89:90], v[109:110], -v[107:108]
	v_add_f64 v[101:102], v[101:102], v[105:106]
	v_fma_f64 v[105:106], v[91:92], v[109:110], v[166:167]
	v_add_f64 v[2:3], v[2:3], v[113:114]
	s_clause 0x2
	buffer_load_dword v157, off, s[0:3], 0 offset:588
	buffer_load_dword v110, off, s[0:3], 0 offset:564
	;; [unrolled: 1-line block ×3, first 2 shown]
	s_waitcnt vmcnt(58) lgkmcnt(0)
	v_mul_f64 v[113:114], v[85:86], v[117:118]
	v_mul_f64 v[117:118], v[87:88], v[117:118]
	s_waitcnt vmcnt(56)
	v_fma_f64 v[115:116], v[93:94], v[121:122], -v[115:116]
	ds_read_b128 v[89:92], v1 offset:992
	v_add_f64 v[101:102], v[101:102], v[107:108]
	v_fma_f64 v[107:108], v[95:96], v[121:122], v[172:173]
	v_add_f64 v[2:3], v[2:3], v[105:106]
	s_clause 0x4
	buffer_load_dword v106, off, s[0:3], 0 offset:604
	buffer_load_dword v121, off, s[0:3], 0 offset:616
	;; [unrolled: 1-line block ×5, first 2 shown]
	ds_read_b128 v[93:96], v1 offset:1008
	s_waitcnt vmcnt(57) lgkmcnt(1)
	v_mul_f64 v[167:168], v[89:90], v[123:124]
	v_mul_f64 v[123:124], v[91:92], v[123:124]
	s_waitcnt vmcnt(56)
	v_fma_f64 v[117:118], v[85:86], v[119:120], -v[117:118]
	v_fma_f64 v[113:114], v[87:88], v[119:120], v[113:114]
	v_add_f64 v[101:102], v[101:102], v[115:116]
	v_add_f64 v[2:3], v[2:3], v[107:108]
	s_clause 0x2
	buffer_load_dword v122, off, s[0:3], 0 offset:620
	buffer_load_dword v108, off, s[0:3], 0 offset:596
	;; [unrolled: 1-line block ×3, first 2 shown]
	s_waitcnt vmcnt(58) lgkmcnt(0)
	v_mul_f64 v[119:120], v[95:96], v[125:126]
	ds_read_b128 v[85:88], v1 offset:1024
	s_waitcnt vmcnt(56)
	v_fma_f64 v[123:124], v[89:90], v[129:130], -v[123:124]
	v_mul_f64 v[115:116], v[93:94], v[125:126]
	v_add_f64 v[101:102], v[101:102], v[117:118]
	v_fma_f64 v[117:118], v[91:92], v[129:130], v[167:168]
	v_add_f64 v[2:3], v[2:3], v[113:114]
	s_clause 0x4
	buffer_load_dword v114, off, s[0:3], 0 offset:636
	buffer_load_dword v125, off, s[0:3], 0 offset:648
	;; [unrolled: 1-line block ×5, first 2 shown]
	s_waitcnt vmcnt(57) lgkmcnt(0)
	v_mul_f64 v[173:174], v[85:86], v[131:132]
	v_mul_f64 v[130:131], v[87:88], v[131:132]
	s_waitcnt vmcnt(56)
	v_fma_f64 v[119:120], v[93:94], v[127:128], -v[119:120]
	ds_read_b128 v[89:92], v1 offset:1040
	v_fma_f64 v[115:116], v[95:96], v[127:128], v[115:116]
	v_add_f64 v[101:102], v[101:102], v[123:124]
	v_add_f64 v[2:3], v[2:3], v[117:118]
	s_clause 0x2
	buffer_load_dword v126, off, s[0:3], 0 offset:652
	buffer_load_dword v118, off, s[0:3], 0 offset:628
	;; [unrolled: 1-line block ×3, first 2 shown]
	ds_read_b128 v[93:96], v1 offset:1056
	s_waitcnt vmcnt(58) lgkmcnt(1)
	v_mul_f64 v[127:128], v[91:92], v[133:134]
	s_waitcnt vmcnt(56)
	v_fma_f64 v[131:132], v[85:86], v[137:138], -v[130:131]
	v_mul_f64 v[123:124], v[89:90], v[133:134]
	buffer_load_dword v130, off, s[0:3], 0 offset:644
	v_add_f64 v[101:102], v[101:102], v[119:120]
	v_fma_f64 v[119:120], v[87:88], v[137:138], v[173:174]
	v_add_f64 v[2:3], v[2:3], v[115:116]
	ds_read_b128 v[85:88], v1 offset:1072
	s_waitcnt vmcnt(53) lgkmcnt(1)
	v_mul_f64 v[133:134], v[95:96], v[139:140]
	s_waitcnt vmcnt(52)
	v_fma_f64 v[127:128], v[89:90], v[135:136], -v[127:128]
	v_mul_f64 v[115:116], v[93:94], v[139:140]
	v_fma_f64 v[123:124], v[91:92], v[135:136], v[123:124]
	ds_read_b128 v[89:92], v1 offset:1088
	v_add_f64 v[101:102], v[101:102], v[131:132]
	s_waitcnt vmcnt(51) lgkmcnt(1)
	v_mul_f64 v[131:132], v[87:88], v[142:143]
	v_add_f64 v[2:3], v[2:3], v[119:120]
	v_mul_f64 v[119:120], v[85:86], v[142:143]
	s_waitcnt vmcnt(49)
	v_fma_f64 v[133:134], v[93:94], v[146:147], -v[133:134]
	v_fma_f64 v[115:116], v[95:96], v[146:147], v[115:116]
	s_waitcnt vmcnt(45) lgkmcnt(0)
	v_mul_f64 v[137:138], v[91:92], v[148:149]
	v_mul_f64 v[135:136], v[89:90], v[148:149]
	v_add_f64 v[101:102], v[101:102], v[127:128]
	s_waitcnt vmcnt(44)
	v_fma_f64 v[131:132], v[85:86], v[144:145], -v[131:132]
	v_add_f64 v[2:3], v[2:3], v[123:124]
	s_clause 0x3
	buffer_load_dword v123, off, s[0:3], 0 offset:240
	buffer_load_dword v124, off, s[0:3], 0 offset:244
	;; [unrolled: 1-line block ×4, first 2 shown]
	ds_read_b128 v[93:96], v1 offset:1104
	v_fma_f64 v[119:120], v[87:88], v[144:145], v[119:120]
	ds_read_b128 v[85:88], v1 offset:1120
	s_waitcnt vmcnt(45)
	v_fma_f64 v[137:138], v[89:90], v[154:155], -v[137:138]
	v_add_f64 v[101:102], v[101:102], v[133:134]
	v_add_f64 v[2:3], v[2:3], v[115:116]
	s_waitcnt lgkmcnt(1)
	v_mul_f64 v[133:134], v[95:96], v[150:151]
	v_mul_f64 v[115:116], v[93:94], v[150:151]
	v_add_f64 v[101:102], v[101:102], v[131:132]
	v_fma_f64 v[131:132], v[91:92], v[154:155], v[135:136]
	v_add_f64 v[2:3], v[2:3], v[119:120]
	s_waitcnt vmcnt(41) lgkmcnt(0)
	v_mul_f64 v[135:136], v[87:88], v[158:159]
	s_waitcnt vmcnt(40)
	v_fma_f64 v[133:134], v[93:94], v[152:153], -v[133:134]
	ds_read_b128 v[89:92], v1 offset:1136
	v_mul_f64 v[119:120], v[85:86], v[158:159]
	v_fma_f64 v[115:116], v[95:96], v[152:153], v[115:116]
	ds_read_b128 v[93:96], v1 offset:1152
	v_add_f64 v[101:102], v[101:102], v[137:138]
	v_add_f64 v[2:3], v[2:3], v[131:132]
	s_waitcnt vmcnt(39) lgkmcnt(1)
	v_mul_f64 v[137:138], v[91:92], v[160:161]
	v_mul_f64 v[131:132], v[89:90], v[160:161]
	s_waitcnt vmcnt(37)
	v_fma_f64 v[135:136], v[85:86], v[99:100], -v[135:136]
	v_fma_f64 v[99:100], v[87:88], v[99:100], v[119:120]
	ds_read_b128 v[85:88], v1 offset:1168
	v_add_f64 v[101:102], v[101:102], v[133:134]
	v_add_f64 v[2:3], v[2:3], v[115:116]
	s_waitcnt vmcnt(33) lgkmcnt(1)
	v_mul_f64 v[115:116], v[93:94], v[103:104]
	v_mul_f64 v[103:104], v[95:96], v[103:104]
	s_waitcnt vmcnt(32)
	v_fma_f64 v[119:120], v[89:90], v[162:163], -v[137:138]
	;; [unrolled: 9-line block ×7, first 2 shown]
	v_fma_f64 v[99:100], v[87:88], v[107:108], v[99:100]
	ds_read_b128 v[85:88], v1 offset:1264
	v_add_f64 v[101:102], v[101:102], v[103:104]
	v_add_f64 v[2:3], v[2:3], v[97:98]
	s_waitcnt vmcnt(9) lgkmcnt(1)
	v_mul_f64 v[103:104], v[95:96], v[113:114]
	s_waitcnt vmcnt(8)
	v_fma_f64 v[89:90], v[89:90], v[166:167], -v[111:112]
	v_mul_f64 v[97:98], v[93:94], v[113:114]
	v_fma_f64 v[91:92], v[91:92], v[166:167], v[109:110]
	v_add_f64 v[101:102], v[101:102], v[105:106]
	v_add_f64 v[2:3], v[2:3], v[99:100]
	s_waitcnt vmcnt(7) lgkmcnt(0)
	v_mul_f64 v[105:106], v[87:88], v[125:126]
	v_mul_f64 v[99:100], v[85:86], v[125:126]
	s_waitcnt vmcnt(5)
	v_fma_f64 v[93:94], v[93:94], v[117:118], -v[103:104]
	v_fma_f64 v[95:96], v[95:96], v[117:118], v[97:98]
	v_add_f64 v[89:90], v[101:102], v[89:90]
	v_add_f64 v[2:3], v[2:3], v[91:92]
	s_waitcnt vmcnt(4)
	v_fma_f64 v[85:86], v[85:86], v[129:130], -v[105:106]
	v_fma_f64 v[87:88], v[87:88], v[129:130], v[99:100]
	v_add_f64 v[89:90], v[89:90], v[93:94]
	v_add_f64 v[2:3], v[2:3], v[95:96]
	;; [unrolled: 1-line block ×4, first 2 shown]
	s_waitcnt vmcnt(2)
	v_add_f64 v[85:86], v[123:124], -v[85:86]
	s_waitcnt vmcnt(0)
	v_add_f64 v[2:3], v[127:128], -v[2:3]
	buffer_store_dword v86, off, s[0:3], 0 offset:244
	buffer_store_dword v85, off, s[0:3], 0 offset:240
	buffer_store_dword v3, off, s[0:3], 0 offset:252
	buffer_store_dword v2, off, s[0:3], 0 offset:248
	v_cmpx_lt_u32_e32 13, v0
	s_cbranch_execz .LBB103_227
; %bb.226:
	v_mov_b32_e32 v2, s39
	s_clause 0x3
	buffer_load_dword v85, v2, s[0:3], 0 offen
	buffer_load_dword v86, v2, s[0:3], 0 offen offset:4
	buffer_load_dword v87, v2, s[0:3], 0 offen offset:8
	;; [unrolled: 1-line block ×3, first 2 shown]
	buffer_store_dword v1, off, s[0:3], 0 offset:224
	buffer_store_dword v1, off, s[0:3], 0 offset:228
	;; [unrolled: 1-line block ×4, first 2 shown]
	s_waitcnt vmcnt(0)
	ds_write_b128 v141, v[85:88]
.LBB103_227:
	s_or_b32 exec_lo, exec_lo, s4
	s_waitcnt lgkmcnt(0)
	s_waitcnt_vscnt null, 0x0
	s_barrier
	buffer_gl0_inv
	s_clause 0x37
	buffer_load_dword v2, off, s[0:3], 0 offset:248
	buffer_load_dword v3, off, s[0:3], 0 offset:252
	;; [unrolled: 1-line block ×56, first 2 shown]
	ds_read_b128 v[85:88], v1 offset:864
	s_clause 0x2
	buffer_load_dword v151, off, s[0:3], 0 offset:476
	buffer_load_dword v155, off, s[0:3], 0 offset:452
	;; [unrolled: 1-line block ×3, first 2 shown]
	ds_read_b128 v[89:92], v1 offset:880
	s_clause 0x4
	buffer_load_dword v159, off, s[0:3], 0 offset:492
	buffer_load_dword v160, off, s[0:3], 0 offset:504
	;; [unrolled: 1-line block ×5, first 2 shown]
	ds_read_b128 v[93:96], v1 offset:896
	s_mov_b32 s4, exec_lo
	s_waitcnt vmcnt(62) lgkmcnt(2)
	v_mul_f64 v[156:157], v[87:88], v[2:3]
	v_mul_f64 v[2:3], v[85:86], v[2:3]
	s_waitcnt vmcnt(60) lgkmcnt(1)
	v_mul_f64 v[163:164], v[91:92], v[97:98]
	v_mul_f64 v[97:98], v[89:90], v[97:98]
	;; [unrolled: 3-line block ×3, first 2 shown]
	v_fma_f64 v[156:157], v[85:86], v[99:100], -v[156:157]
	v_fma_f64 v[2:3], v[87:88], v[99:100], v[2:3]
	s_clause 0x2
	buffer_load_dword v161, off, s[0:3], 0 offset:508
	buffer_load_dword v100, off, s[0:3], 0 offset:484
	buffer_load_dword v99, off, s[0:3], 0 offset:480
	s_waitcnt vmcnt(57)
	v_fma_f64 v[167:168], v[89:90], v[103:104], -v[163:164]
	ds_read_b128 v[85:88], v1 offset:912
	v_fma_f64 v[97:98], v[91:92], v[103:104], v[97:98]
	s_clause 0x4
	buffer_load_dword v104, off, s[0:3], 0 offset:524
	buffer_load_dword v164, off, s[0:3], 0 offset:536
	;; [unrolled: 1-line block ×5, first 2 shown]
	s_waitcnt vmcnt(56)
	v_fma_f64 v[101:102], v[93:94], v[111:112], -v[101:102]
	ds_read_b128 v[89:92], v1 offset:928
	v_fma_f64 v[111:112], v[95:96], v[111:112], v[165:166]
	v_add_f64 v[156:157], v[156:157], 0
	v_add_f64 v[2:3], v[2:3], 0
	s_waitcnt lgkmcnt(1)
	v_mul_f64 v[170:171], v[85:86], v[105:106]
	v_mul_f64 v[105:106], v[87:88], v[105:106]
	v_add_f64 v[156:157], v[156:157], v[167:168]
	v_add_f64 v[2:3], v[2:3], v[97:98]
	s_clause 0x2
	buffer_load_dword v165, off, s[0:3], 0 offset:540
	buffer_load_dword v98, off, s[0:3], 0 offset:516
	;; [unrolled: 1-line block ×3, first 2 shown]
	s_waitcnt vmcnt(58) lgkmcnt(0)
	v_mul_f64 v[166:167], v[89:90], v[107:108]
	v_mul_f64 v[107:108], v[91:92], v[107:108]
	s_waitcnt vmcnt(56)
	v_fma_f64 v[105:106], v[85:86], v[113:114], -v[105:106]
	ds_read_b128 v[93:96], v1 offset:944
	v_fma_f64 v[113:114], v[87:88], v[113:114], v[170:171]
	v_add_f64 v[101:102], v[156:157], v[101:102]
	v_add_f64 v[2:3], v[2:3], v[111:112]
	s_clause 0x4
	buffer_load_dword v112, off, s[0:3], 0 offset:556
	buffer_load_dword v156, off, s[0:3], 0 offset:568
	buffer_load_dword v171, off, s[0:3], 0 offset:560
	buffer_load_dword v111, off, s[0:3], 0 offset:552
	buffer_load_dword v170, off, s[0:3], 0 offset:532
	ds_read_b128 v[85:88], v1 offset:960
	s_waitcnt vmcnt(57) lgkmcnt(1)
	v_mul_f64 v[172:173], v[93:94], v[115:116]
	v_mul_f64 v[115:116], v[95:96], v[115:116]
	s_waitcnt vmcnt(56)
	v_fma_f64 v[107:108], v[89:90], v[109:110], -v[107:108]
	v_add_f64 v[101:102], v[101:102], v[105:106]
	v_fma_f64 v[105:106], v[91:92], v[109:110], v[166:167]
	v_add_f64 v[2:3], v[2:3], v[113:114]
	s_clause 0x2
	buffer_load_dword v157, off, s[0:3], 0 offset:572
	buffer_load_dword v110, off, s[0:3], 0 offset:548
	;; [unrolled: 1-line block ×3, first 2 shown]
	s_waitcnt vmcnt(58) lgkmcnt(0)
	v_mul_f64 v[113:114], v[85:86], v[117:118]
	v_mul_f64 v[117:118], v[87:88], v[117:118]
	s_waitcnt vmcnt(56)
	v_fma_f64 v[115:116], v[93:94], v[121:122], -v[115:116]
	ds_read_b128 v[89:92], v1 offset:976
	v_add_f64 v[101:102], v[101:102], v[107:108]
	v_fma_f64 v[107:108], v[95:96], v[121:122], v[172:173]
	v_add_f64 v[2:3], v[2:3], v[105:106]
	s_clause 0x4
	buffer_load_dword v106, off, s[0:3], 0 offset:588
	buffer_load_dword v121, off, s[0:3], 0 offset:600
	;; [unrolled: 1-line block ×5, first 2 shown]
	ds_read_b128 v[93:96], v1 offset:992
	s_waitcnt vmcnt(57) lgkmcnt(1)
	v_mul_f64 v[167:168], v[89:90], v[123:124]
	v_mul_f64 v[123:124], v[91:92], v[123:124]
	s_waitcnt vmcnt(56)
	v_fma_f64 v[117:118], v[85:86], v[119:120], -v[117:118]
	v_fma_f64 v[113:114], v[87:88], v[119:120], v[113:114]
	v_add_f64 v[101:102], v[101:102], v[115:116]
	v_add_f64 v[2:3], v[2:3], v[107:108]
	s_clause 0x2
	buffer_load_dword v122, off, s[0:3], 0 offset:604
	buffer_load_dword v108, off, s[0:3], 0 offset:580
	;; [unrolled: 1-line block ×3, first 2 shown]
	s_waitcnt vmcnt(58) lgkmcnt(0)
	v_mul_f64 v[119:120], v[95:96], v[125:126]
	ds_read_b128 v[85:88], v1 offset:1008
	s_waitcnt vmcnt(56)
	v_fma_f64 v[123:124], v[89:90], v[129:130], -v[123:124]
	v_mul_f64 v[115:116], v[93:94], v[125:126]
	v_add_f64 v[101:102], v[101:102], v[117:118]
	v_fma_f64 v[117:118], v[91:92], v[129:130], v[167:168]
	v_add_f64 v[2:3], v[2:3], v[113:114]
	s_clause 0x4
	buffer_load_dword v114, off, s[0:3], 0 offset:620
	buffer_load_dword v125, off, s[0:3], 0 offset:632
	;; [unrolled: 1-line block ×5, first 2 shown]
	s_waitcnt vmcnt(57) lgkmcnt(0)
	v_mul_f64 v[173:174], v[85:86], v[131:132]
	v_mul_f64 v[130:131], v[87:88], v[131:132]
	s_waitcnt vmcnt(56)
	v_fma_f64 v[119:120], v[93:94], v[127:128], -v[119:120]
	ds_read_b128 v[89:92], v1 offset:1024
	v_fma_f64 v[115:116], v[95:96], v[127:128], v[115:116]
	v_add_f64 v[101:102], v[101:102], v[123:124]
	v_add_f64 v[2:3], v[2:3], v[117:118]
	s_clause 0x2
	buffer_load_dword v126, off, s[0:3], 0 offset:636
	buffer_load_dword v118, off, s[0:3], 0 offset:612
	buffer_load_dword v117, off, s[0:3], 0 offset:608
	ds_read_b128 v[93:96], v1 offset:1040
	s_waitcnt vmcnt(58) lgkmcnt(1)
	v_mul_f64 v[127:128], v[91:92], v[133:134]
	s_waitcnt vmcnt(56)
	v_fma_f64 v[131:132], v[85:86], v[137:138], -v[130:131]
	v_mul_f64 v[123:124], v[89:90], v[133:134]
	v_add_f64 v[101:102], v[101:102], v[119:120]
	v_fma_f64 v[119:120], v[87:88], v[137:138], v[173:174]
	v_add_f64 v[2:3], v[2:3], v[115:116]
	s_clause 0x2
	buffer_load_dword v116, off, s[0:3], 0 offset:652
	buffer_load_dword v115, off, s[0:3], 0 offset:648
	;; [unrolled: 1-line block ×3, first 2 shown]
	s_waitcnt vmcnt(55) lgkmcnt(0)
	v_mul_f64 v[137:138], v[95:96], v[139:140]
	s_waitcnt vmcnt(54)
	v_fma_f64 v[127:128], v[89:90], v[135:136], -v[127:128]
	ds_read_b128 v[85:88], v1 offset:1056
	v_mul_f64 v[133:134], v[93:94], v[139:140]
	v_fma_f64 v[123:124], v[91:92], v[135:136], v[123:124]
	v_add_f64 v[101:102], v[101:102], v[131:132]
	v_add_f64 v[2:3], v[2:3], v[119:120]
	s_clause 0x1
	buffer_load_dword v120, off, s[0:3], 0 offset:644
	buffer_load_dword v119, off, s[0:3], 0 offset:640
	s_waitcnt vmcnt(55) lgkmcnt(0)
	v_mul_f64 v[135:136], v[87:88], v[142:143]
	s_waitcnt vmcnt(53)
	v_fma_f64 v[137:138], v[93:94], v[146:147], -v[137:138]
	ds_read_b128 v[89:92], v1 offset:1072
	v_mul_f64 v[131:132], v[85:86], v[142:143]
	v_add_f64 v[101:102], v[101:102], v[127:128]
	v_fma_f64 v[127:128], v[95:96], v[146:147], v[133:134]
	v_add_f64 v[2:3], v[2:3], v[123:124]
	ds_read_b128 v[93:96], v1 offset:1088
	s_waitcnt vmcnt(49) lgkmcnt(1)
	v_mul_f64 v[133:134], v[91:92], v[148:149]
	s_waitcnt vmcnt(48)
	v_fma_f64 v[135:136], v[85:86], v[144:145], -v[135:136]
	v_mul_f64 v[123:124], v[89:90], v[148:149]
	v_fma_f64 v[131:132], v[87:88], v[144:145], v[131:132]
	v_add_f64 v[101:102], v[101:102], v[137:138]
	s_waitcnt vmcnt(47) lgkmcnt(0)
	v_mul_f64 v[142:143], v[95:96], v[150:151]
	v_add_f64 v[2:3], v[2:3], v[127:128]
	s_clause 0x3
	buffer_load_dword v127, off, s[0:3], 0 offset:224
	buffer_load_dword v128, off, s[0:3], 0 offset:228
	buffer_load_dword v137, off, s[0:3], 0 offset:232
	buffer_load_dword v138, off, s[0:3], 0 offset:236
	s_waitcnt vmcnt(49)
	v_fma_f64 v[133:134], v[89:90], v[154:155], -v[133:134]
	ds_read_b128 v[85:88], v1 offset:1104
	v_mul_f64 v[139:140], v[93:94], v[150:151]
	v_fma_f64 v[123:124], v[91:92], v[154:155], v[123:124]
	ds_read_b128 v[89:92], v1 offset:1120
	v_add_f64 v[101:102], v[101:102], v[135:136]
	s_waitcnt vmcnt(44)
	v_fma_f64 v[142:143], v[93:94], v[152:153], -v[142:143]
	v_add_f64 v[2:3], v[2:3], v[131:132]
	s_waitcnt lgkmcnt(1)
	v_mul_f64 v[135:136], v[87:88], v[158:159]
	v_mul_f64 v[131:132], v[85:86], v[158:159]
	v_add_f64 v[101:102], v[101:102], v[133:134]
	v_fma_f64 v[133:134], v[95:96], v[152:153], v[139:140]
	v_add_f64 v[2:3], v[2:3], v[123:124]
	ds_read_b128 v[93:96], v1 offset:1136
	s_waitcnt vmcnt(43) lgkmcnt(1)
	v_mul_f64 v[139:140], v[91:92], v[160:161]
	v_mul_f64 v[123:124], v[89:90], v[160:161]
	s_waitcnt vmcnt(41)
	v_fma_f64 v[135:136], v[85:86], v[99:100], -v[135:136]
	v_fma_f64 v[99:100], v[87:88], v[99:100], v[131:132]
	ds_read_b128 v[85:88], v1 offset:1152
	v_add_f64 v[101:102], v[101:102], v[142:143]
	s_waitcnt vmcnt(37) lgkmcnt(1)
	v_mul_f64 v[131:132], v[93:94], v[103:104]
	v_add_f64 v[2:3], v[2:3], v[133:134]
	v_mul_f64 v[103:104], v[95:96], v[103:104]
	s_waitcnt vmcnt(36)
	v_fma_f64 v[133:134], v[89:90], v[162:163], -v[139:140]
	v_fma_f64 v[123:124], v[91:92], v[162:163], v[123:124]
	ds_read_b128 v[89:92], v1 offset:1168
	v_add_f64 v[101:102], v[101:102], v[135:136]
	v_add_f64 v[2:3], v[2:3], v[99:100]
	s_waitcnt vmcnt(35) lgkmcnt(1)
	v_mul_f64 v[135:136], v[87:88], v[164:165]
	v_mul_f64 v[99:100], v[85:86], v[164:165]
	s_waitcnt vmcnt(33)
	v_fma_f64 v[103:104], v[93:94], v[97:98], -v[103:104]
	v_fma_f64 v[97:98], v[95:96], v[97:98], v[131:132]
	ds_read_b128 v[93:96], v1 offset:1184
	v_add_f64 v[101:102], v[101:102], v[133:134]
	v_add_f64 v[2:3], v[2:3], v[123:124]
	s_waitcnt vmcnt(29) lgkmcnt(1)
	v_mul_f64 v[123:124], v[89:90], v[111:112]
	;; [unrolled: 9-line block ×6, first 2 shown]
	s_waitcnt vmcnt(12)
	v_fma_f64 v[89:90], v[89:90], v[166:167], -v[111:112]
	v_mul_f64 v[97:98], v[93:94], v[113:114]
	v_fma_f64 v[91:92], v[91:92], v[166:167], v[109:110]
	v_add_f64 v[101:102], v[101:102], v[105:106]
	v_add_f64 v[99:100], v[2:3], v[99:100]
	ds_read_b128 v[1:4], v1 offset:1264
	s_waitcnt vmcnt(11) lgkmcnt(1)
	v_mul_f64 v[107:108], v[87:88], v[125:126]
	v_mul_f64 v[105:106], v[85:86], v[125:126]
	s_waitcnt vmcnt(9)
	v_fma_f64 v[93:94], v[93:94], v[117:118], -v[103:104]
	v_fma_f64 v[95:96], v[95:96], v[117:118], v[97:98]
	v_add_f64 v[89:90], v[101:102], v[89:90]
	v_add_f64 v[91:92], v[99:100], v[91:92]
	s_waitcnt vmcnt(7) lgkmcnt(0)
	v_mul_f64 v[99:100], v[3:4], v[115:116]
	s_waitcnt vmcnt(6)
	v_fma_f64 v[85:86], v[85:86], v[129:130], -v[107:108]
	v_mul_f64 v[97:98], v[1:2], v[115:116]
	v_fma_f64 v[87:88], v[87:88], v[129:130], v[105:106]
	v_add_f64 v[89:90], v[89:90], v[93:94]
	v_add_f64 v[91:92], v[91:92], v[95:96]
	s_waitcnt vmcnt(4)
	v_fma_f64 v[1:2], v[1:2], v[119:120], -v[99:100]
	v_fma_f64 v[3:4], v[3:4], v[119:120], v[97:98]
	v_add_f64 v[85:86], v[89:90], v[85:86]
	v_add_f64 v[87:88], v[91:92], v[87:88]
	;; [unrolled: 1-line block ×4, first 2 shown]
	s_waitcnt vmcnt(2)
	v_add_f64 v[1:2], v[127:128], -v[1:2]
	s_waitcnt vmcnt(0)
	v_add_f64 v[3:4], v[137:138], -v[3:4]
	buffer_store_dword v2, off, s[0:3], 0 offset:228
	buffer_store_dword v1, off, s[0:3], 0 offset:224
	;; [unrolled: 1-line block ×4, first 2 shown]
	v_cmpx_lt_u32_e32 12, v0
	s_cbranch_execz .LBB103_229
; %bb.228:
	v_mov_b32_e32 v4, s40
	v_mov_b32_e32 v85, 0
	s_clause 0x3
	buffer_load_dword v1, v4, s[0:3], 0 offen
	buffer_load_dword v2, v4, s[0:3], 0 offen offset:4
	buffer_load_dword v3, v4, s[0:3], 0 offen offset:8
	;; [unrolled: 1-line block ×3, first 2 shown]
	buffer_store_dword v85, off, s[0:3], 0 offset:208
	buffer_store_dword v85, off, s[0:3], 0 offset:212
	;; [unrolled: 1-line block ×4, first 2 shown]
	s_waitcnt vmcnt(0)
	ds_write_b128 v141, v[1:4]
.LBB103_229:
	s_or_b32 exec_lo, exec_lo, s4
	s_waitcnt lgkmcnt(0)
	s_waitcnt_vscnt null, 0x0
	s_barrier
	buffer_gl0_inv
	s_clause 0x37
	buffer_load_dword v2, off, s[0:3], 0 offset:232
	buffer_load_dword v3, off, s[0:3], 0 offset:236
	;; [unrolled: 1-line block ×56, first 2 shown]
	v_mov_b32_e32 v1, 0
	s_mov_b32 s4, exec_lo
	ds_read_b128 v[85:88], v1 offset:848
	s_clause 0x2
	buffer_load_dword v151, off, s[0:3], 0 offset:460
	buffer_load_dword v155, off, s[0:3], 0 offset:436
	;; [unrolled: 1-line block ×3, first 2 shown]
	ds_read_b128 v[89:92], v1 offset:864
	s_clause 0x4
	buffer_load_dword v159, off, s[0:3], 0 offset:476
	buffer_load_dword v160, off, s[0:3], 0 offset:488
	;; [unrolled: 1-line block ×5, first 2 shown]
	ds_read_b128 v[93:96], v1 offset:880
	s_waitcnt vmcnt(62) lgkmcnt(2)
	v_mul_f64 v[156:157], v[87:88], v[2:3]
	v_mul_f64 v[2:3], v[85:86], v[2:3]
	s_waitcnt vmcnt(60) lgkmcnt(1)
	v_mul_f64 v[163:164], v[91:92], v[97:98]
	v_mul_f64 v[97:98], v[89:90], v[97:98]
	;; [unrolled: 3-line block ×3, first 2 shown]
	v_fma_f64 v[156:157], v[85:86], v[99:100], -v[156:157]
	v_fma_f64 v[2:3], v[87:88], v[99:100], v[2:3]
	s_clause 0x2
	buffer_load_dword v161, off, s[0:3], 0 offset:492
	buffer_load_dword v100, off, s[0:3], 0 offset:468
	;; [unrolled: 1-line block ×3, first 2 shown]
	s_waitcnt vmcnt(57)
	v_fma_f64 v[167:168], v[89:90], v[103:104], -v[163:164]
	ds_read_b128 v[85:88], v1 offset:896
	v_fma_f64 v[97:98], v[91:92], v[103:104], v[97:98]
	s_clause 0x4
	buffer_load_dword v104, off, s[0:3], 0 offset:508
	buffer_load_dword v164, off, s[0:3], 0 offset:520
	;; [unrolled: 1-line block ×5, first 2 shown]
	s_waitcnt vmcnt(56)
	v_fma_f64 v[101:102], v[93:94], v[111:112], -v[101:102]
	ds_read_b128 v[89:92], v1 offset:912
	v_fma_f64 v[111:112], v[95:96], v[111:112], v[165:166]
	v_add_f64 v[156:157], v[156:157], 0
	v_add_f64 v[2:3], v[2:3], 0
	s_waitcnt lgkmcnt(1)
	v_mul_f64 v[170:171], v[85:86], v[105:106]
	v_mul_f64 v[105:106], v[87:88], v[105:106]
	v_add_f64 v[156:157], v[156:157], v[167:168]
	v_add_f64 v[2:3], v[2:3], v[97:98]
	s_clause 0x2
	buffer_load_dword v165, off, s[0:3], 0 offset:524
	buffer_load_dword v98, off, s[0:3], 0 offset:500
	;; [unrolled: 1-line block ×3, first 2 shown]
	s_waitcnt vmcnt(58) lgkmcnt(0)
	v_mul_f64 v[166:167], v[89:90], v[107:108]
	v_mul_f64 v[107:108], v[91:92], v[107:108]
	s_waitcnt vmcnt(56)
	v_fma_f64 v[105:106], v[85:86], v[113:114], -v[105:106]
	ds_read_b128 v[93:96], v1 offset:928
	v_fma_f64 v[113:114], v[87:88], v[113:114], v[170:171]
	v_add_f64 v[101:102], v[156:157], v[101:102]
	v_add_f64 v[2:3], v[2:3], v[111:112]
	s_clause 0x4
	buffer_load_dword v112, off, s[0:3], 0 offset:540
	buffer_load_dword v156, off, s[0:3], 0 offset:552
	;; [unrolled: 1-line block ×5, first 2 shown]
	ds_read_b128 v[85:88], v1 offset:944
	s_waitcnt vmcnt(57) lgkmcnt(1)
	v_mul_f64 v[172:173], v[93:94], v[115:116]
	v_mul_f64 v[115:116], v[95:96], v[115:116]
	s_waitcnt vmcnt(56)
	v_fma_f64 v[107:108], v[89:90], v[109:110], -v[107:108]
	v_add_f64 v[101:102], v[101:102], v[105:106]
	v_fma_f64 v[105:106], v[91:92], v[109:110], v[166:167]
	v_add_f64 v[2:3], v[2:3], v[113:114]
	s_clause 0x2
	buffer_load_dword v157, off, s[0:3], 0 offset:556
	buffer_load_dword v110, off, s[0:3], 0 offset:532
	buffer_load_dword v109, off, s[0:3], 0 offset:528
	s_waitcnt vmcnt(58) lgkmcnt(0)
	v_mul_f64 v[113:114], v[85:86], v[117:118]
	v_mul_f64 v[117:118], v[87:88], v[117:118]
	s_waitcnt vmcnt(56)
	v_fma_f64 v[115:116], v[93:94], v[121:122], -v[115:116]
	ds_read_b128 v[89:92], v1 offset:960
	v_add_f64 v[101:102], v[101:102], v[107:108]
	v_fma_f64 v[107:108], v[95:96], v[121:122], v[172:173]
	v_add_f64 v[2:3], v[2:3], v[105:106]
	s_clause 0x4
	buffer_load_dword v106, off, s[0:3], 0 offset:572
	buffer_load_dword v121, off, s[0:3], 0 offset:584
	;; [unrolled: 1-line block ×5, first 2 shown]
	ds_read_b128 v[93:96], v1 offset:976
	s_waitcnt vmcnt(57) lgkmcnt(1)
	v_mul_f64 v[167:168], v[89:90], v[123:124]
	v_mul_f64 v[123:124], v[91:92], v[123:124]
	s_waitcnt vmcnt(56)
	v_fma_f64 v[117:118], v[85:86], v[119:120], -v[117:118]
	v_fma_f64 v[113:114], v[87:88], v[119:120], v[113:114]
	v_add_f64 v[101:102], v[101:102], v[115:116]
	v_add_f64 v[2:3], v[2:3], v[107:108]
	s_clause 0x2
	buffer_load_dword v122, off, s[0:3], 0 offset:588
	buffer_load_dword v108, off, s[0:3], 0 offset:564
	;; [unrolled: 1-line block ×3, first 2 shown]
	s_waitcnt vmcnt(58) lgkmcnt(0)
	v_mul_f64 v[119:120], v[95:96], v[125:126]
	ds_read_b128 v[85:88], v1 offset:992
	s_waitcnt vmcnt(56)
	v_fma_f64 v[123:124], v[89:90], v[129:130], -v[123:124]
	v_mul_f64 v[115:116], v[93:94], v[125:126]
	v_add_f64 v[101:102], v[101:102], v[117:118]
	v_fma_f64 v[117:118], v[91:92], v[129:130], v[167:168]
	v_add_f64 v[2:3], v[2:3], v[113:114]
	s_clause 0x4
	buffer_load_dword v114, off, s[0:3], 0 offset:604
	buffer_load_dword v125, off, s[0:3], 0 offset:616
	;; [unrolled: 1-line block ×5, first 2 shown]
	s_waitcnt vmcnt(57) lgkmcnt(0)
	v_mul_f64 v[173:174], v[85:86], v[131:132]
	v_mul_f64 v[130:131], v[87:88], v[131:132]
	s_waitcnt vmcnt(56)
	v_fma_f64 v[119:120], v[93:94], v[127:128], -v[119:120]
	ds_read_b128 v[89:92], v1 offset:1008
	v_fma_f64 v[115:116], v[95:96], v[127:128], v[115:116]
	v_add_f64 v[101:102], v[101:102], v[123:124]
	v_add_f64 v[2:3], v[2:3], v[117:118]
	s_clause 0x2
	buffer_load_dword v126, off, s[0:3], 0 offset:620
	buffer_load_dword v118, off, s[0:3], 0 offset:596
	;; [unrolled: 1-line block ×3, first 2 shown]
	ds_read_b128 v[93:96], v1 offset:1024
	s_waitcnt vmcnt(58) lgkmcnt(1)
	v_mul_f64 v[127:128], v[91:92], v[133:134]
	s_waitcnt vmcnt(56)
	v_fma_f64 v[131:132], v[85:86], v[137:138], -v[130:131]
	v_mul_f64 v[123:124], v[89:90], v[133:134]
	v_add_f64 v[101:102], v[101:102], v[119:120]
	v_fma_f64 v[119:120], v[87:88], v[137:138], v[173:174]
	v_add_f64 v[2:3], v[2:3], v[115:116]
	s_clause 0x4
	buffer_load_dword v116, off, s[0:3], 0 offset:636
	buffer_load_dword v133, off, s[0:3], 0 offset:648
	buffer_load_dword v137, off, s[0:3], 0 offset:640
	buffer_load_dword v115, off, s[0:3], 0 offset:632
	buffer_load_dword v130, off, s[0:3], 0 offset:612
	s_waitcnt vmcnt(57) lgkmcnt(0)
	v_mul_f64 v[173:174], v[93:94], v[139:140]
	v_mul_f64 v[138:139], v[95:96], v[139:140]
	s_waitcnt vmcnt(56)
	v_fma_f64 v[127:128], v[89:90], v[135:136], -v[127:128]
	ds_read_b128 v[85:88], v1 offset:1040
	v_fma_f64 v[123:124], v[91:92], v[135:136], v[123:124]
	v_add_f64 v[101:102], v[101:102], v[131:132]
	v_add_f64 v[2:3], v[2:3], v[119:120]
	s_clause 0x2
	buffer_load_dword v134, off, s[0:3], 0 offset:652
	buffer_load_dword v120, off, s[0:3], 0 offset:628
	;; [unrolled: 1-line block ×3, first 2 shown]
	ds_read_b128 v[89:92], v1 offset:1056
	s_waitcnt vmcnt(58) lgkmcnt(1)
	v_mul_f64 v[135:136], v[87:88], v[142:143]
	s_waitcnt vmcnt(56)
	v_fma_f64 v[139:140], v[93:94], v[146:147], -v[138:139]
	v_mul_f64 v[131:132], v[85:86], v[142:143]
	buffer_load_dword v138, off, s[0:3], 0 offset:644
	v_add_f64 v[101:102], v[101:102], v[127:128]
	v_fma_f64 v[127:128], v[95:96], v[146:147], v[173:174]
	v_add_f64 v[2:3], v[2:3], v[123:124]
	ds_read_b128 v[93:96], v1 offset:1072
	s_waitcnt vmcnt(53) lgkmcnt(1)
	v_mul_f64 v[142:143], v[91:92], v[148:149]
	s_waitcnt vmcnt(52)
	v_fma_f64 v[135:136], v[85:86], v[144:145], -v[135:136]
	v_mul_f64 v[123:124], v[89:90], v[148:149]
	v_fma_f64 v[131:132], v[87:88], v[144:145], v[131:132]
	ds_read_b128 v[85:88], v1 offset:1088
	v_add_f64 v[101:102], v[101:102], v[139:140]
	s_waitcnt vmcnt(51) lgkmcnt(1)
	v_mul_f64 v[139:140], v[95:96], v[150:151]
	v_add_f64 v[2:3], v[2:3], v[127:128]
	v_mul_f64 v[127:128], v[93:94], v[150:151]
	s_waitcnt vmcnt(49)
	v_fma_f64 v[142:143], v[89:90], v[154:155], -v[142:143]
	v_fma_f64 v[123:124], v[91:92], v[154:155], v[123:124]
	s_waitcnt vmcnt(45) lgkmcnt(0)
	v_mul_f64 v[146:147], v[87:88], v[158:159]
	v_mul_f64 v[144:145], v[85:86], v[158:159]
	v_add_f64 v[101:102], v[101:102], v[135:136]
	s_waitcnt vmcnt(44)
	v_fma_f64 v[139:140], v[93:94], v[152:153], -v[139:140]
	v_add_f64 v[2:3], v[2:3], v[131:132]
	s_clause 0x3
	buffer_load_dword v131, off, s[0:3], 0 offset:208
	buffer_load_dword v132, off, s[0:3], 0 offset:212
	;; [unrolled: 1-line block ×4, first 2 shown]
	ds_read_b128 v[89:92], v1 offset:1104
	v_fma_f64 v[127:128], v[95:96], v[152:153], v[127:128]
	ds_read_b128 v[93:96], v1 offset:1120
	v_add_f64 v[101:102], v[101:102], v[142:143]
	v_add_f64 v[2:3], v[2:3], v[123:124]
	s_waitcnt vmcnt(47) lgkmcnt(1)
	v_mul_f64 v[142:143], v[91:92], v[160:161]
	v_mul_f64 v[123:124], v[89:90], v[160:161]
	s_waitcnt vmcnt(45)
	v_fma_f64 v[146:147], v[85:86], v[99:100], -v[146:147]
	v_fma_f64 v[99:100], v[87:88], v[99:100], v[144:145]
	ds_read_b128 v[85:88], v1 offset:1136
	v_add_f64 v[101:102], v[101:102], v[139:140]
	v_add_f64 v[2:3], v[2:3], v[127:128]
	s_waitcnt vmcnt(41) lgkmcnt(1)
	v_mul_f64 v[127:128], v[93:94], v[103:104]
	v_mul_f64 v[103:104], v[95:96], v[103:104]
	s_waitcnt vmcnt(40)
	v_fma_f64 v[139:140], v[89:90], v[162:163], -v[142:143]
	;; [unrolled: 9-line block ×7, first 2 shown]
	v_fma_f64 v[99:100], v[87:88], v[107:108], v[99:100]
	ds_read_b128 v[85:88], v1 offset:1232
	v_add_f64 v[101:102], v[101:102], v[103:104]
	v_add_f64 v[2:3], v[2:3], v[97:98]
	s_waitcnt vmcnt(17) lgkmcnt(1)
	v_mul_f64 v[103:104], v[95:96], v[113:114]
	s_waitcnt vmcnt(16)
	v_fma_f64 v[107:108], v[89:90], v[166:167], -v[111:112]
	v_mul_f64 v[97:98], v[93:94], v[113:114]
	v_add_f64 v[101:102], v[101:102], v[105:106]
	v_fma_f64 v[105:106], v[91:92], v[166:167], v[109:110]
	v_add_f64 v[2:3], v[2:3], v[99:100]
	ds_read_b128 v[89:92], v1 offset:1248
	s_waitcnt vmcnt(15) lgkmcnt(1)
	v_mul_f64 v[109:110], v[87:88], v[125:126]
	v_mul_f64 v[99:100], v[85:86], v[125:126]
	s_waitcnt vmcnt(13)
	v_fma_f64 v[103:104], v[93:94], v[117:118], -v[103:104]
	v_fma_f64 v[97:98], v[95:96], v[117:118], v[97:98]
	ds_read_b128 v[93:96], v1 offset:1264
	v_add_f64 v[101:102], v[101:102], v[107:108]
	v_add_f64 v[2:3], v[2:3], v[105:106]
	s_waitcnt vmcnt(9) lgkmcnt(1)
	v_mul_f64 v[107:108], v[91:92], v[115:116]
	s_waitcnt vmcnt(8)
	v_fma_f64 v[85:86], v[85:86], v[129:130], -v[109:110]
	v_mul_f64 v[105:106], v[89:90], v[115:116]
	v_fma_f64 v[87:88], v[87:88], v[129:130], v[99:100]
	v_add_f64 v[101:102], v[101:102], v[103:104]
	v_add_f64 v[2:3], v[2:3], v[97:98]
	s_waitcnt vmcnt(7) lgkmcnt(0)
	v_mul_f64 v[99:100], v[95:96], v[133:134]
	v_mul_f64 v[97:98], v[93:94], v[133:134]
	s_waitcnt vmcnt(5)
	v_fma_f64 v[89:90], v[89:90], v[119:120], -v[107:108]
	v_fma_f64 v[91:92], v[91:92], v[119:120], v[105:106]
	v_add_f64 v[85:86], v[101:102], v[85:86]
	v_add_f64 v[2:3], v[2:3], v[87:88]
	s_waitcnt vmcnt(4)
	v_fma_f64 v[87:88], v[93:94], v[137:138], -v[99:100]
	v_add_f64 v[85:86], v[85:86], v[89:90]
	v_fma_f64 v[89:90], v[95:96], v[137:138], v[97:98]
	v_add_f64 v[2:3], v[2:3], v[91:92]
	v_add_f64 v[85:86], v[85:86], v[87:88]
	;; [unrolled: 1-line block ×3, first 2 shown]
	s_waitcnt vmcnt(2)
	v_add_f64 v[85:86], v[131:132], -v[85:86]
	s_waitcnt vmcnt(0)
	v_add_f64 v[2:3], v[135:136], -v[2:3]
	buffer_store_dword v86, off, s[0:3], 0 offset:212
	buffer_store_dword v85, off, s[0:3], 0 offset:208
	buffer_store_dword v3, off, s[0:3], 0 offset:220
	buffer_store_dword v2, off, s[0:3], 0 offset:216
	v_cmpx_lt_u32_e32 11, v0
	s_cbranch_execz .LBB103_231
; %bb.230:
	v_mov_b32_e32 v2, s41
	s_clause 0x3
	buffer_load_dword v85, v2, s[0:3], 0 offen
	buffer_load_dword v86, v2, s[0:3], 0 offen offset:4
	buffer_load_dword v87, v2, s[0:3], 0 offen offset:8
	;; [unrolled: 1-line block ×3, first 2 shown]
	buffer_store_dword v1, off, s[0:3], 0 offset:192
	buffer_store_dword v1, off, s[0:3], 0 offset:196
	;; [unrolled: 1-line block ×4, first 2 shown]
	s_waitcnt vmcnt(0)
	ds_write_b128 v141, v[85:88]
.LBB103_231:
	s_or_b32 exec_lo, exec_lo, s4
	s_waitcnt lgkmcnt(0)
	s_waitcnt_vscnt null, 0x0
	s_barrier
	buffer_gl0_inv
	s_clause 0x37
	buffer_load_dword v2, off, s[0:3], 0 offset:216
	buffer_load_dword v3, off, s[0:3], 0 offset:220
	;; [unrolled: 1-line block ×56, first 2 shown]
	ds_read_b128 v[85:88], v1 offset:832
	s_clause 0x2
	buffer_load_dword v151, off, s[0:3], 0 offset:444
	buffer_load_dword v155, off, s[0:3], 0 offset:420
	;; [unrolled: 1-line block ×3, first 2 shown]
	ds_read_b128 v[89:92], v1 offset:848
	s_clause 0x4
	buffer_load_dword v159, off, s[0:3], 0 offset:460
	buffer_load_dword v160, off, s[0:3], 0 offset:472
	;; [unrolled: 1-line block ×5, first 2 shown]
	ds_read_b128 v[93:96], v1 offset:864
	s_mov_b32 s4, exec_lo
	s_waitcnt vmcnt(62) lgkmcnt(2)
	v_mul_f64 v[156:157], v[87:88], v[2:3]
	v_mul_f64 v[2:3], v[85:86], v[2:3]
	s_waitcnt vmcnt(60) lgkmcnt(1)
	v_mul_f64 v[163:164], v[91:92], v[97:98]
	v_mul_f64 v[97:98], v[89:90], v[97:98]
	;; [unrolled: 3-line block ×3, first 2 shown]
	v_fma_f64 v[156:157], v[85:86], v[99:100], -v[156:157]
	v_fma_f64 v[2:3], v[87:88], v[99:100], v[2:3]
	s_clause 0x2
	buffer_load_dword v161, off, s[0:3], 0 offset:476
	buffer_load_dword v100, off, s[0:3], 0 offset:452
	;; [unrolled: 1-line block ×3, first 2 shown]
	s_waitcnt vmcnt(57)
	v_fma_f64 v[167:168], v[89:90], v[103:104], -v[163:164]
	ds_read_b128 v[85:88], v1 offset:880
	v_fma_f64 v[97:98], v[91:92], v[103:104], v[97:98]
	s_clause 0x4
	buffer_load_dword v104, off, s[0:3], 0 offset:492
	buffer_load_dword v164, off, s[0:3], 0 offset:504
	;; [unrolled: 1-line block ×5, first 2 shown]
	s_waitcnt vmcnt(56)
	v_fma_f64 v[101:102], v[93:94], v[111:112], -v[101:102]
	ds_read_b128 v[89:92], v1 offset:896
	v_fma_f64 v[111:112], v[95:96], v[111:112], v[165:166]
	v_add_f64 v[156:157], v[156:157], 0
	v_add_f64 v[2:3], v[2:3], 0
	s_waitcnt lgkmcnt(1)
	v_mul_f64 v[170:171], v[85:86], v[105:106]
	v_mul_f64 v[105:106], v[87:88], v[105:106]
	v_add_f64 v[156:157], v[156:157], v[167:168]
	v_add_f64 v[2:3], v[2:3], v[97:98]
	s_clause 0x2
	buffer_load_dword v165, off, s[0:3], 0 offset:508
	buffer_load_dword v98, off, s[0:3], 0 offset:484
	;; [unrolled: 1-line block ×3, first 2 shown]
	s_waitcnt vmcnt(58) lgkmcnt(0)
	v_mul_f64 v[166:167], v[89:90], v[107:108]
	v_mul_f64 v[107:108], v[91:92], v[107:108]
	s_waitcnt vmcnt(56)
	v_fma_f64 v[105:106], v[85:86], v[113:114], -v[105:106]
	ds_read_b128 v[93:96], v1 offset:912
	v_fma_f64 v[113:114], v[87:88], v[113:114], v[170:171]
	v_add_f64 v[101:102], v[156:157], v[101:102]
	v_add_f64 v[2:3], v[2:3], v[111:112]
	s_clause 0x4
	buffer_load_dword v112, off, s[0:3], 0 offset:524
	buffer_load_dword v156, off, s[0:3], 0 offset:536
	;; [unrolled: 1-line block ×5, first 2 shown]
	ds_read_b128 v[85:88], v1 offset:928
	s_waitcnt vmcnt(57) lgkmcnt(1)
	v_mul_f64 v[172:173], v[93:94], v[115:116]
	v_mul_f64 v[115:116], v[95:96], v[115:116]
	s_waitcnt vmcnt(56)
	v_fma_f64 v[107:108], v[89:90], v[109:110], -v[107:108]
	v_add_f64 v[101:102], v[101:102], v[105:106]
	v_fma_f64 v[105:106], v[91:92], v[109:110], v[166:167]
	v_add_f64 v[2:3], v[2:3], v[113:114]
	s_clause 0x2
	buffer_load_dword v157, off, s[0:3], 0 offset:540
	buffer_load_dword v110, off, s[0:3], 0 offset:516
	buffer_load_dword v109, off, s[0:3], 0 offset:512
	s_waitcnt vmcnt(58) lgkmcnt(0)
	v_mul_f64 v[113:114], v[85:86], v[117:118]
	v_mul_f64 v[117:118], v[87:88], v[117:118]
	s_waitcnt vmcnt(56)
	v_fma_f64 v[115:116], v[93:94], v[121:122], -v[115:116]
	ds_read_b128 v[89:92], v1 offset:944
	v_add_f64 v[101:102], v[101:102], v[107:108]
	v_fma_f64 v[107:108], v[95:96], v[121:122], v[172:173]
	v_add_f64 v[2:3], v[2:3], v[105:106]
	s_clause 0x4
	buffer_load_dword v106, off, s[0:3], 0 offset:556
	buffer_load_dword v121, off, s[0:3], 0 offset:568
	;; [unrolled: 1-line block ×5, first 2 shown]
	ds_read_b128 v[93:96], v1 offset:960
	s_waitcnt vmcnt(57) lgkmcnt(1)
	v_mul_f64 v[167:168], v[89:90], v[123:124]
	v_mul_f64 v[123:124], v[91:92], v[123:124]
	s_waitcnt vmcnt(56)
	v_fma_f64 v[117:118], v[85:86], v[119:120], -v[117:118]
	v_fma_f64 v[113:114], v[87:88], v[119:120], v[113:114]
	v_add_f64 v[101:102], v[101:102], v[115:116]
	v_add_f64 v[2:3], v[2:3], v[107:108]
	s_clause 0x2
	buffer_load_dword v122, off, s[0:3], 0 offset:572
	buffer_load_dword v108, off, s[0:3], 0 offset:548
	;; [unrolled: 1-line block ×3, first 2 shown]
	s_waitcnt vmcnt(58) lgkmcnt(0)
	v_mul_f64 v[119:120], v[95:96], v[125:126]
	ds_read_b128 v[85:88], v1 offset:976
	s_waitcnt vmcnt(56)
	v_fma_f64 v[123:124], v[89:90], v[129:130], -v[123:124]
	v_mul_f64 v[115:116], v[93:94], v[125:126]
	v_add_f64 v[101:102], v[101:102], v[117:118]
	v_fma_f64 v[117:118], v[91:92], v[129:130], v[167:168]
	v_add_f64 v[2:3], v[2:3], v[113:114]
	s_clause 0x4
	buffer_load_dword v114, off, s[0:3], 0 offset:588
	buffer_load_dword v125, off, s[0:3], 0 offset:600
	;; [unrolled: 1-line block ×5, first 2 shown]
	s_waitcnt vmcnt(57) lgkmcnt(0)
	v_mul_f64 v[173:174], v[85:86], v[131:132]
	v_mul_f64 v[130:131], v[87:88], v[131:132]
	s_waitcnt vmcnt(56)
	v_fma_f64 v[119:120], v[93:94], v[127:128], -v[119:120]
	ds_read_b128 v[89:92], v1 offset:992
	v_fma_f64 v[115:116], v[95:96], v[127:128], v[115:116]
	v_add_f64 v[101:102], v[101:102], v[123:124]
	v_add_f64 v[2:3], v[2:3], v[117:118]
	s_clause 0x2
	buffer_load_dword v126, off, s[0:3], 0 offset:604
	buffer_load_dword v118, off, s[0:3], 0 offset:580
	buffer_load_dword v117, off, s[0:3], 0 offset:576
	ds_read_b128 v[93:96], v1 offset:1008
	s_waitcnt vmcnt(58) lgkmcnt(1)
	v_mul_f64 v[127:128], v[91:92], v[133:134]
	s_waitcnt vmcnt(56)
	v_fma_f64 v[131:132], v[85:86], v[137:138], -v[130:131]
	v_mul_f64 v[123:124], v[89:90], v[133:134]
	v_add_f64 v[101:102], v[101:102], v[119:120]
	v_fma_f64 v[119:120], v[87:88], v[137:138], v[173:174]
	v_add_f64 v[2:3], v[2:3], v[115:116]
	s_clause 0x4
	buffer_load_dword v116, off, s[0:3], 0 offset:620
	buffer_load_dword v133, off, s[0:3], 0 offset:632
	;; [unrolled: 1-line block ×5, first 2 shown]
	s_waitcnt vmcnt(57) lgkmcnt(0)
	v_mul_f64 v[173:174], v[93:94], v[139:140]
	v_mul_f64 v[138:139], v[95:96], v[139:140]
	s_waitcnt vmcnt(56)
	v_fma_f64 v[127:128], v[89:90], v[135:136], -v[127:128]
	ds_read_b128 v[85:88], v1 offset:1024
	v_fma_f64 v[123:124], v[91:92], v[135:136], v[123:124]
	v_add_f64 v[101:102], v[101:102], v[131:132]
	v_add_f64 v[2:3], v[2:3], v[119:120]
	s_clause 0x2
	buffer_load_dword v134, off, s[0:3], 0 offset:636
	buffer_load_dword v120, off, s[0:3], 0 offset:612
	;; [unrolled: 1-line block ×3, first 2 shown]
	ds_read_b128 v[89:92], v1 offset:1040
	s_waitcnt vmcnt(58) lgkmcnt(1)
	v_mul_f64 v[135:136], v[87:88], v[142:143]
	s_waitcnt vmcnt(56)
	v_fma_f64 v[139:140], v[93:94], v[146:147], -v[138:139]
	v_mul_f64 v[131:132], v[85:86], v[142:143]
	v_add_f64 v[101:102], v[101:102], v[127:128]
	v_fma_f64 v[127:128], v[95:96], v[146:147], v[173:174]
	v_add_f64 v[2:3], v[2:3], v[123:124]
	s_clause 0x2
	buffer_load_dword v124, off, s[0:3], 0 offset:652
	buffer_load_dword v123, off, s[0:3], 0 offset:648
	;; [unrolled: 1-line block ×3, first 2 shown]
	s_waitcnt vmcnt(55) lgkmcnt(0)
	v_mul_f64 v[146:147], v[91:92], v[148:149]
	s_waitcnt vmcnt(54)
	v_fma_f64 v[135:136], v[85:86], v[144:145], -v[135:136]
	ds_read_b128 v[93:96], v1 offset:1056
	v_mul_f64 v[142:143], v[89:90], v[148:149]
	v_fma_f64 v[131:132], v[87:88], v[144:145], v[131:132]
	v_add_f64 v[101:102], v[101:102], v[139:140]
	v_add_f64 v[2:3], v[2:3], v[127:128]
	s_clause 0x1
	buffer_load_dword v128, off, s[0:3], 0 offset:644
	buffer_load_dword v127, off, s[0:3], 0 offset:640
	s_waitcnt vmcnt(55) lgkmcnt(0)
	v_mul_f64 v[144:145], v[95:96], v[150:151]
	s_waitcnt vmcnt(53)
	v_fma_f64 v[146:147], v[89:90], v[154:155], -v[146:147]
	ds_read_b128 v[85:88], v1 offset:1072
	v_mul_f64 v[139:140], v[93:94], v[150:151]
	v_add_f64 v[101:102], v[101:102], v[135:136]
	v_fma_f64 v[135:136], v[91:92], v[154:155], v[142:143]
	v_add_f64 v[2:3], v[2:3], v[131:132]
	ds_read_b128 v[89:92], v1 offset:1088
	s_waitcnt vmcnt(49) lgkmcnt(1)
	v_mul_f64 v[142:143], v[87:88], v[158:159]
	s_waitcnt vmcnt(48)
	v_fma_f64 v[144:145], v[93:94], v[152:153], -v[144:145]
	v_mul_f64 v[131:132], v[85:86], v[158:159]
	v_fma_f64 v[139:140], v[95:96], v[152:153], v[139:140]
	v_add_f64 v[101:102], v[101:102], v[146:147]
	v_add_f64 v[2:3], v[2:3], v[135:136]
	s_clause 0x3
	buffer_load_dword v135, off, s[0:3], 0 offset:192
	buffer_load_dword v136, off, s[0:3], 0 offset:196
	;; [unrolled: 1-line block ×4, first 2 shown]
	ds_read_b128 v[93:96], v1 offset:1104
	s_waitcnt vmcnt(51) lgkmcnt(1)
	v_mul_f64 v[150:151], v[91:92], v[160:161]
	v_mul_f64 v[148:149], v[89:90], v[160:161]
	s_waitcnt vmcnt(49)
	v_fma_f64 v[142:143], v[85:86], v[99:100], -v[142:143]
	v_fma_f64 v[99:100], v[87:88], v[99:100], v[131:132]
	ds_read_b128 v[85:88], v1 offset:1120
	v_add_f64 v[101:102], v[101:102], v[144:145]
	v_add_f64 v[2:3], v[2:3], v[139:140]
	s_waitcnt vmcnt(45) lgkmcnt(1)
	v_mul_f64 v[131:132], v[93:94], v[103:104]
	v_mul_f64 v[103:104], v[95:96], v[103:104]
	s_waitcnt vmcnt(44)
	v_fma_f64 v[139:140], v[89:90], v[162:163], -v[150:151]
	v_add_f64 v[101:102], v[101:102], v[142:143]
	v_fma_f64 v[142:143], v[91:92], v[162:163], v[148:149]
	v_add_f64 v[2:3], v[2:3], v[99:100]
	ds_read_b128 v[89:92], v1 offset:1136
	s_waitcnt vmcnt(43) lgkmcnt(1)
	v_mul_f64 v[144:145], v[87:88], v[164:165]
	v_mul_f64 v[99:100], v[85:86], v[164:165]
	s_waitcnt vmcnt(41)
	v_fma_f64 v[103:104], v[93:94], v[97:98], -v[103:104]
	v_fma_f64 v[97:98], v[95:96], v[97:98], v[131:132]
	ds_read_b128 v[93:96], v1 offset:1152
	v_add_f64 v[101:102], v[101:102], v[139:140]
	v_add_f64 v[2:3], v[2:3], v[142:143]
	s_waitcnt vmcnt(37) lgkmcnt(1)
	v_mul_f64 v[131:132], v[89:90], v[111:112]
	v_mul_f64 v[111:112], v[91:92], v[111:112]
	s_waitcnt vmcnt(36)
	v_fma_f64 v[139:140], v[85:86], v[169:170], -v[144:145]
	v_fma_f64 v[99:100], v[87:88], v[169:170], v[99:100]
	ds_read_b128 v[85:88], v1 offset:1168
	v_add_f64 v[101:102], v[101:102], v[103:104]
	v_add_f64 v[2:3], v[2:3], v[97:98]
	;; [unrolled: 9-line block ×5, first 2 shown]
	s_waitcnt vmcnt(21) lgkmcnt(1)
	v_mul_f64 v[103:104], v[95:96], v[113:114]
	s_waitcnt vmcnt(20)
	v_fma_f64 v[107:108], v[89:90], v[166:167], -v[111:112]
	v_mul_f64 v[97:98], v[93:94], v[113:114]
	v_add_f64 v[101:102], v[101:102], v[105:106]
	v_fma_f64 v[105:106], v[91:92], v[166:167], v[109:110]
	v_add_f64 v[2:3], v[2:3], v[99:100]
	ds_read_b128 v[89:92], v1 offset:1232
	s_waitcnt vmcnt(19) lgkmcnt(1)
	v_mul_f64 v[109:110], v[87:88], v[125:126]
	v_mul_f64 v[99:100], v[85:86], v[125:126]
	s_waitcnt vmcnt(17)
	v_fma_f64 v[103:104], v[93:94], v[117:118], -v[103:104]
	v_fma_f64 v[97:98], v[95:96], v[117:118], v[97:98]
	ds_read_b128 v[93:96], v1 offset:1248
	v_add_f64 v[101:102], v[101:102], v[107:108]
	v_add_f64 v[2:3], v[2:3], v[105:106]
	s_waitcnt vmcnt(13) lgkmcnt(1)
	v_mul_f64 v[107:108], v[91:92], v[115:116]
	s_waitcnt vmcnt(12)
	v_fma_f64 v[85:86], v[85:86], v[129:130], -v[109:110]
	v_mul_f64 v[105:106], v[89:90], v[115:116]
	v_fma_f64 v[87:88], v[87:88], v[129:130], v[99:100]
	v_add_f64 v[101:102], v[101:102], v[103:104]
	v_add_f64 v[97:98], v[2:3], v[97:98]
	ds_read_b128 v[1:4], v1 offset:1264
	s_waitcnt vmcnt(11) lgkmcnt(1)
	v_mul_f64 v[103:104], v[95:96], v[133:134]
	v_mul_f64 v[99:100], v[93:94], v[133:134]
	s_waitcnt vmcnt(9)
	v_fma_f64 v[89:90], v[89:90], v[119:120], -v[107:108]
	v_fma_f64 v[91:92], v[91:92], v[119:120], v[105:106]
	v_add_f64 v[85:86], v[101:102], v[85:86]
	v_add_f64 v[87:88], v[97:98], v[87:88]
	s_waitcnt vmcnt(7) lgkmcnt(0)
	v_mul_f64 v[101:102], v[3:4], v[123:124]
	s_waitcnt vmcnt(6)
	v_fma_f64 v[93:94], v[93:94], v[137:138], -v[103:104]
	v_mul_f64 v[97:98], v[1:2], v[123:124]
	v_add_f64 v[85:86], v[85:86], v[89:90]
	v_fma_f64 v[89:90], v[95:96], v[137:138], v[99:100]
	v_add_f64 v[87:88], v[87:88], v[91:92]
	s_waitcnt vmcnt(4)
	v_fma_f64 v[1:2], v[1:2], v[127:128], -v[101:102]
	v_fma_f64 v[3:4], v[3:4], v[127:128], v[97:98]
	v_add_f64 v[85:86], v[85:86], v[93:94]
	v_add_f64 v[87:88], v[87:88], v[89:90]
	;; [unrolled: 1-line block ×4, first 2 shown]
	s_waitcnt vmcnt(2)
	v_add_f64 v[1:2], v[135:136], -v[1:2]
	s_waitcnt vmcnt(0)
	v_add_f64 v[3:4], v[146:147], -v[3:4]
	buffer_store_dword v2, off, s[0:3], 0 offset:196
	buffer_store_dword v1, off, s[0:3], 0 offset:192
	;; [unrolled: 1-line block ×4, first 2 shown]
	v_cmpx_lt_u32_e32 10, v0
	s_cbranch_execz .LBB103_233
; %bb.232:
	v_mov_b32_e32 v4, s42
	v_mov_b32_e32 v85, 0
	s_clause 0x3
	buffer_load_dword v1, v4, s[0:3], 0 offen
	buffer_load_dword v2, v4, s[0:3], 0 offen offset:4
	buffer_load_dword v3, v4, s[0:3], 0 offen offset:8
	;; [unrolled: 1-line block ×3, first 2 shown]
	buffer_store_dword v85, off, s[0:3], 0 offset:176
	buffer_store_dword v85, off, s[0:3], 0 offset:180
	;; [unrolled: 1-line block ×4, first 2 shown]
	s_waitcnt vmcnt(0)
	ds_write_b128 v141, v[1:4]
.LBB103_233:
	s_or_b32 exec_lo, exec_lo, s4
	s_waitcnt lgkmcnt(0)
	s_waitcnt_vscnt null, 0x0
	s_barrier
	buffer_gl0_inv
	s_clause 0x37
	buffer_load_dword v89, off, s[0:3], 0 offset:200
	buffer_load_dword v90, off, s[0:3], 0 offset:204
	;; [unrolled: 1-line block ×56, first 2 shown]
	v_mov_b32_e32 v91, 0
	s_mov_b32 s4, exec_lo
	ds_read_b128 v[85:88], v91 offset:816
	s_clause 0x2
	buffer_load_dword v151, off, s[0:3], 0 offset:428
	buffer_load_dword v155, off, s[0:3], 0 offset:404
	;; [unrolled: 1-line block ×3, first 2 shown]
	ds_read_b128 v[92:95], v91 offset:832
	s_clause 0x4
	buffer_load_dword v159, off, s[0:3], 0 offset:444
	buffer_load_dword v160, off, s[0:3], 0 offset:456
	;; [unrolled: 1-line block ×5, first 2 shown]
	ds_read_b128 v[96:99], v91 offset:848
	s_waitcnt vmcnt(62) lgkmcnt(2)
	v_mul_f64 v[156:157], v[87:88], v[89:90]
	v_mul_f64 v[89:90], v[85:86], v[89:90]
	s_waitcnt vmcnt(60) lgkmcnt(1)
	v_mul_f64 v[163:164], v[94:95], v[100:101]
	v_mul_f64 v[100:101], v[92:93], v[100:101]
	;; [unrolled: 3-line block ×3, first 2 shown]
	v_fma_f64 v[156:157], v[85:86], v[102:103], -v[156:157]
	v_fma_f64 v[89:90], v[87:88], v[102:103], v[89:90]
	s_clause 0x2
	buffer_load_dword v161, off, s[0:3], 0 offset:460
	buffer_load_dword v103, off, s[0:3], 0 offset:436
	;; [unrolled: 1-line block ×3, first 2 shown]
	s_waitcnt vmcnt(57)
	v_fma_f64 v[92:93], v[92:93], v[1:2], -v[163:164]
	ds_read_b128 v[85:88], v91 offset:864
	v_fma_f64 v[94:95], v[94:95], v[1:2], v[100:101]
	s_clause 0x4
	buffer_load_dword v101, off, s[0:3], 0 offset:476
	buffer_load_dword v164, off, s[0:3], 0 offset:488
	;; [unrolled: 1-line block ×5, first 2 shown]
	s_waitcnt vmcnt(56)
	v_fma_f64 v[96:97], v[96:97], v[110:111], -v[167:168]
	ds_read_b128 v[1:4], v91 offset:880
	v_fma_f64 v[98:99], v[98:99], v[110:111], v[165:166]
	s_clause 0x2
	buffer_load_dword v165, off, s[0:3], 0 offset:492
	buffer_load_dword v111, off, s[0:3], 0 offset:468
	buffer_load_dword v110, off, s[0:3], 0 offset:464
	v_add_f64 v[156:157], v[156:157], 0
	v_add_f64 v[89:90], v[89:90], 0
	s_waitcnt lgkmcnt(1)
	v_mul_f64 v[170:171], v[85:86], v[104:105]
	v_mul_f64 v[104:105], v[87:88], v[104:105]
	s_waitcnt vmcnt(58) lgkmcnt(0)
	v_mul_f64 v[166:167], v[1:2], v[106:107]
	v_mul_f64 v[106:107], v[3:4], v[106:107]
	v_add_f64 v[156:157], v[156:157], v[92:93]
	v_add_f64 v[89:90], v[89:90], v[94:95]
	ds_read_b128 v[92:95], v91 offset:896
	s_waitcnt vmcnt(56)
	v_fma_f64 v[104:105], v[85:86], v[112:113], -v[104:105]
	v_fma_f64 v[112:113], v[87:88], v[112:113], v[170:171]
	s_waitcnt vmcnt(51)
	v_fma_f64 v[106:107], v[1:2], v[108:109], -v[106:107]
	s_waitcnt lgkmcnt(0)
	v_mul_f64 v[172:173], v[92:93], v[114:115]
	v_add_f64 v[96:97], v[156:157], v[96:97]
	v_add_f64 v[89:90], v[89:90], v[98:99]
	s_clause 0x4
	buffer_load_dword v99, off, s[0:3], 0 offset:508
	buffer_load_dword v156, off, s[0:3], 0 offset:520
	;; [unrolled: 1-line block ×5, first 2 shown]
	v_mul_f64 v[114:115], v[94:95], v[114:115]
	ds_read_b128 v[85:88], v91 offset:912
	v_add_f64 v[96:97], v[96:97], v[104:105]
	v_fma_f64 v[104:105], v[3:4], v[108:109], v[166:167]
	v_add_f64 v[89:90], v[89:90], v[112:113]
	s_clause 0x2
	buffer_load_dword v157, off, s[0:3], 0 offset:524
	buffer_load_dword v109, off, s[0:3], 0 offset:500
	;; [unrolled: 1-line block ×3, first 2 shown]
	s_waitcnt vmcnt(58) lgkmcnt(0)
	v_mul_f64 v[112:113], v[85:86], v[116:117]
	v_mul_f64 v[116:117], v[87:88], v[116:117]
	s_waitcnt vmcnt(56)
	v_fma_f64 v[114:115], v[92:93], v[120:121], -v[114:115]
	ds_read_b128 v[1:4], v91 offset:928
	v_add_f64 v[96:97], v[96:97], v[106:107]
	v_fma_f64 v[106:107], v[94:95], v[120:121], v[172:173]
	v_add_f64 v[89:90], v[89:90], v[104:105]
	s_clause 0x4
	buffer_load_dword v105, off, s[0:3], 0 offset:540
	buffer_load_dword v120, off, s[0:3], 0 offset:552
	;; [unrolled: 1-line block ×5, first 2 shown]
	ds_read_b128 v[92:95], v91 offset:944
	s_waitcnt vmcnt(57) lgkmcnt(1)
	v_mul_f64 v[167:168], v[1:2], v[122:123]
	v_mul_f64 v[122:123], v[3:4], v[122:123]
	s_waitcnt vmcnt(56)
	v_fma_f64 v[116:117], v[85:86], v[118:119], -v[116:117]
	v_fma_f64 v[112:113], v[87:88], v[118:119], v[112:113]
	v_add_f64 v[96:97], v[96:97], v[114:115]
	v_add_f64 v[89:90], v[89:90], v[106:107]
	s_clause 0x2
	buffer_load_dword v121, off, s[0:3], 0 offset:556
	buffer_load_dword v107, off, s[0:3], 0 offset:532
	;; [unrolled: 1-line block ×3, first 2 shown]
	s_waitcnt vmcnt(58) lgkmcnt(0)
	v_mul_f64 v[118:119], v[94:95], v[124:125]
	ds_read_b128 v[85:88], v91 offset:960
	s_waitcnt vmcnt(56)
	v_fma_f64 v[122:123], v[1:2], v[128:129], -v[122:123]
	v_mul_f64 v[114:115], v[92:93], v[124:125]
	v_add_f64 v[96:97], v[96:97], v[116:117]
	v_fma_f64 v[116:117], v[3:4], v[128:129], v[167:168]
	v_add_f64 v[89:90], v[89:90], v[112:113]
	s_clause 0x4
	buffer_load_dword v113, off, s[0:3], 0 offset:572
	buffer_load_dword v124, off, s[0:3], 0 offset:584
	buffer_load_dword v128, off, s[0:3], 0 offset:576
	buffer_load_dword v112, off, s[0:3], 0 offset:568
	buffer_load_dword v167, off, s[0:3], 0 offset:548
	s_waitcnt vmcnt(57) lgkmcnt(0)
	v_mul_f64 v[173:174], v[85:86], v[130:131]
	v_mul_f64 v[129:130], v[87:88], v[130:131]
	s_waitcnt vmcnt(56)
	v_fma_f64 v[118:119], v[92:93], v[126:127], -v[118:119]
	ds_read_b128 v[1:4], v91 offset:976
	v_fma_f64 v[114:115], v[94:95], v[126:127], v[114:115]
	v_add_f64 v[96:97], v[96:97], v[122:123]
	v_add_f64 v[89:90], v[89:90], v[116:117]
	s_clause 0x2
	buffer_load_dword v125, off, s[0:3], 0 offset:588
	buffer_load_dword v117, off, s[0:3], 0 offset:564
	buffer_load_dword v116, off, s[0:3], 0 offset:560
	ds_read_b128 v[92:95], v91 offset:992
	s_waitcnt vmcnt(58) lgkmcnt(1)
	v_mul_f64 v[126:127], v[3:4], v[132:133]
	s_waitcnt vmcnt(56)
	v_fma_f64 v[130:131], v[85:86], v[136:137], -v[129:130]
	v_mul_f64 v[122:123], v[1:2], v[132:133]
	v_add_f64 v[96:97], v[96:97], v[118:119]
	v_fma_f64 v[118:119], v[87:88], v[136:137], v[173:174]
	v_add_f64 v[89:90], v[89:90], v[114:115]
	s_clause 0x4
	buffer_load_dword v115, off, s[0:3], 0 offset:604
	buffer_load_dword v132, off, s[0:3], 0 offset:616
	buffer_load_dword v136, off, s[0:3], 0 offset:608
	buffer_load_dword v114, off, s[0:3], 0 offset:600
	buffer_load_dword v129, off, s[0:3], 0 offset:580
	s_waitcnt vmcnt(57) lgkmcnt(0)
	v_mul_f64 v[173:174], v[92:93], v[138:139]
	v_mul_f64 v[137:138], v[94:95], v[138:139]
	s_waitcnt vmcnt(56)
	v_fma_f64 v[126:127], v[1:2], v[134:135], -v[126:127]
	ds_read_b128 v[85:88], v91 offset:1008
	v_fma_f64 v[122:123], v[3:4], v[134:135], v[122:123]
	v_add_f64 v[96:97], v[96:97], v[130:131]
	v_add_f64 v[89:90], v[89:90], v[118:119]
	s_clause 0x2
	buffer_load_dword v133, off, s[0:3], 0 offset:620
	buffer_load_dword v119, off, s[0:3], 0 offset:596
	buffer_load_dword v118, off, s[0:3], 0 offset:592
	ds_read_b128 v[1:4], v91 offset:1024
	s_waitcnt vmcnt(58) lgkmcnt(1)
	v_mul_f64 v[134:135], v[87:88], v[142:143]
	;; [unrolled: 28-line block ×3, first 2 shown]
	s_waitcnt vmcnt(56)
	v_fma_f64 v[148:149], v[1:2], v[154:155], -v[147:148]
	v_mul_f64 v[138:139], v[92:93], v[150:151]
	buffer_load_dword v147, off, s[0:3], 0 offset:644
	v_add_f64 v[96:97], v[96:97], v[134:135]
	v_fma_f64 v[134:135], v[3:4], v[154:155], v[173:174]
	v_add_f64 v[89:90], v[89:90], v[130:131]
	ds_read_b128 v[1:4], v91 offset:1072
	s_waitcnt vmcnt(53) lgkmcnt(1)
	v_mul_f64 v[150:151], v[87:88], v[158:159]
	s_waitcnt vmcnt(52)
	v_fma_f64 v[144:145], v[92:93], v[152:153], -v[144:145]
	v_mul_f64 v[130:131], v[85:86], v[158:159]
	v_fma_f64 v[138:139], v[94:95], v[152:153], v[138:139]
	ds_read_b128 v[92:95], v91 offset:1088
	v_add_f64 v[96:97], v[96:97], v[148:149]
	v_add_f64 v[89:90], v[89:90], v[134:135]
	s_waitcnt vmcnt(51) lgkmcnt(1)
	v_mul_f64 v[148:149], v[3:4], v[160:161]
	v_mul_f64 v[134:135], v[1:2], v[160:161]
	s_waitcnt vmcnt(49)
	v_fma_f64 v[150:151], v[85:86], v[102:103], -v[150:151]
	v_fma_f64 v[102:103], v[87:88], v[102:103], v[130:131]
	v_add_f64 v[96:97], v[96:97], v[144:145]
	s_waitcnt vmcnt(45) lgkmcnt(0)
	v_mul_f64 v[144:145], v[92:93], v[100:101]
	v_add_f64 v[89:90], v[89:90], v[138:139]
	s_clause 0x3
	buffer_load_dword v130, off, s[0:3], 0 offset:176
	buffer_load_dword v131, off, s[0:3], 0 offset:180
	buffer_load_dword v138, off, s[0:3], 0 offset:184
	buffer_load_dword v139, off, s[0:3], 0 offset:188
	v_mul_f64 v[100:101], v[94:95], v[100:101]
	ds_read_b128 v[85:88], v91 offset:1104
	s_waitcnt vmcnt(48)
	v_fma_f64 v[148:149], v[1:2], v[162:163], -v[148:149]
	v_fma_f64 v[134:135], v[3:4], v[162:163], v[134:135]
	ds_read_b128 v[1:4], v91 offset:1120
	v_add_f64 v[96:97], v[96:97], v[150:151]
	v_add_f64 v[89:90], v[89:90], v[102:103]
	s_waitcnt vmcnt(47) lgkmcnt(1)
	v_mul_f64 v[150:151], v[87:88], v[164:165]
	s_waitcnt vmcnt(45)
	v_fma_f64 v[100:101], v[92:93], v[110:111], -v[100:101]
	v_mul_f64 v[102:103], v[85:86], v[164:165]
	v_fma_f64 v[110:111], v[94:95], v[110:111], v[144:145]
	ds_read_b128 v[92:95], v91 offset:1136
	v_add_f64 v[96:97], v[96:97], v[148:149]
	v_add_f64 v[89:90], v[89:90], v[134:135]
	s_waitcnt vmcnt(41) lgkmcnt(1)
	v_mul_f64 v[134:135], v[1:2], v[98:99]
	v_mul_f64 v[98:99], v[3:4], v[98:99]
	s_waitcnt vmcnt(40)
	v_fma_f64 v[144:145], v[85:86], v[169:170], -v[150:151]
	v_add_f64 v[96:97], v[96:97], v[100:101]
	v_fma_f64 v[100:101], v[87:88], v[169:170], v[102:103]
	v_add_f64 v[89:90], v[89:90], v[110:111]
	ds_read_b128 v[85:88], v91 offset:1152
	s_waitcnt vmcnt(39) lgkmcnt(1)
	v_mul_f64 v[110:111], v[94:95], v[156:157]
	v_mul_f64 v[102:103], v[92:93], v[156:157]
	s_waitcnt vmcnt(37)
	v_fma_f64 v[98:99], v[1:2], v[108:109], -v[98:99]
	v_fma_f64 v[108:109], v[3:4], v[108:109], v[134:135]
	ds_read_b128 v[1:4], v91 offset:1168
	v_add_f64 v[96:97], v[96:97], v[144:145]
	v_add_f64 v[89:90], v[89:90], v[100:101]
	s_waitcnt vmcnt(33) lgkmcnt(1)
	v_mul_f64 v[100:101], v[85:86], v[104:105]
	v_mul_f64 v[104:105], v[87:88], v[104:105]
	s_waitcnt vmcnt(32)
	v_fma_f64 v[110:111], v[92:93], v[171:172], -v[110:111]
	v_add_f64 v[96:97], v[96:97], v[98:99]
	v_fma_f64 v[98:99], v[94:95], v[171:172], v[102:103]
	v_add_f64 v[89:90], v[89:90], v[108:109]
	ds_read_b128 v[92:95], v91 offset:1184
	s_waitcnt vmcnt(31) lgkmcnt(1)
	v_mul_f64 v[108:109], v[3:4], v[120:121]
	v_mul_f64 v[102:103], v[1:2], v[120:121]
	s_waitcnt vmcnt(29)
	v_fma_f64 v[104:105], v[85:86], v[106:107], -v[104:105]
	v_fma_f64 v[100:101], v[87:88], v[106:107], v[100:101]
	ds_read_b128 v[85:88], v91 offset:1200
	v_add_f64 v[96:97], v[96:97], v[110:111]
	v_add_f64 v[89:90], v[89:90], v[98:99]
	s_waitcnt vmcnt(25) lgkmcnt(1)
	v_mul_f64 v[106:107], v[94:95], v[112:113]
	s_waitcnt vmcnt(24)
	v_fma_f64 v[108:109], v[1:2], v[166:167], -v[108:109]
	v_mul_f64 v[98:99], v[92:93], v[112:113]
	v_fma_f64 v[102:103], v[3:4], v[166:167], v[102:103]
	ds_read_b128 v[1:4], v91 offset:1216
	v_add_f64 v[96:97], v[96:97], v[104:105]
	v_add_f64 v[89:90], v[89:90], v[100:101]
	s_waitcnt vmcnt(23) lgkmcnt(1)
	v_mul_f64 v[104:105], v[87:88], v[124:125]
	v_mul_f64 v[100:101], v[85:86], v[124:125]
	s_waitcnt vmcnt(21)
	v_fma_f64 v[106:107], v[92:93], v[116:117], -v[106:107]
	v_fma_f64 v[98:99], v[94:95], v[116:117], v[98:99]
	ds_read_b128 v[92:95], v91 offset:1232
	v_add_f64 v[96:97], v[96:97], v[108:109]
	v_add_f64 v[89:90], v[89:90], v[102:103]
	s_waitcnt vmcnt(17) lgkmcnt(1)
	v_mul_f64 v[108:109], v[3:4], v[114:115]
	s_waitcnt vmcnt(16)
	v_fma_f64 v[104:105], v[85:86], v[128:129], -v[104:105]
	v_mul_f64 v[102:103], v[1:2], v[114:115]
	v_fma_f64 v[100:101], v[87:88], v[128:129], v[100:101]
	ds_read_b128 v[85:88], v91 offset:1248
	v_add_f64 v[96:97], v[96:97], v[106:107]
	v_add_f64 v[89:90], v[89:90], v[98:99]
	s_waitcnt vmcnt(15) lgkmcnt(1)
	v_mul_f64 v[106:107], v[94:95], v[132:133]
	v_mul_f64 v[98:99], v[92:93], v[132:133]
	s_waitcnt vmcnt(13)
	v_fma_f64 v[108:109], v[1:2], v[118:119], -v[108:109]
	v_fma_f64 v[102:103], v[3:4], v[118:119], v[102:103]
	ds_read_b128 v[1:4], v91 offset:1264
	v_add_f64 v[96:97], v[96:97], v[104:105]
	v_add_f64 v[89:90], v[89:90], v[100:101]
	s_waitcnt vmcnt(9) lgkmcnt(1)
	v_mul_f64 v[104:105], v[87:88], v[122:123]
	s_waitcnt vmcnt(8)
	v_fma_f64 v[92:93], v[92:93], v[136:137], -v[106:107]
	v_mul_f64 v[100:101], v[85:86], v[122:123]
	v_fma_f64 v[94:95], v[94:95], v[136:137], v[98:99]
	v_add_f64 v[96:97], v[96:97], v[108:109]
	v_add_f64 v[89:90], v[89:90], v[102:103]
	s_waitcnt vmcnt(7) lgkmcnt(0)
	v_mul_f64 v[102:103], v[3:4], v[142:143]
	v_mul_f64 v[98:99], v[1:2], v[142:143]
	s_waitcnt vmcnt(5)
	v_fma_f64 v[85:86], v[85:86], v[126:127], -v[104:105]
	v_fma_f64 v[87:88], v[87:88], v[126:127], v[100:101]
	v_add_f64 v[92:93], v[96:97], v[92:93]
	v_add_f64 v[89:90], v[89:90], v[94:95]
	s_waitcnt vmcnt(4)
	v_fma_f64 v[1:2], v[1:2], v[146:147], -v[102:103]
	v_fma_f64 v[3:4], v[3:4], v[146:147], v[98:99]
	v_add_f64 v[85:86], v[92:93], v[85:86]
	v_add_f64 v[87:88], v[89:90], v[87:88]
	;; [unrolled: 1-line block ×4, first 2 shown]
	s_waitcnt vmcnt(2)
	v_add_f64 v[1:2], v[130:131], -v[1:2]
	s_waitcnt vmcnt(0)
	v_add_f64 v[3:4], v[138:139], -v[3:4]
	buffer_store_dword v2, off, s[0:3], 0 offset:180
	buffer_store_dword v1, off, s[0:3], 0 offset:176
	buffer_store_dword v4, off, s[0:3], 0 offset:188
	buffer_store_dword v3, off, s[0:3], 0 offset:184
	v_cmpx_lt_u32_e32 9, v0
	s_cbranch_execz .LBB103_235
; %bb.234:
	v_mov_b32_e32 v4, s43
	s_clause 0x3
	buffer_load_dword v1, v4, s[0:3], 0 offen
	buffer_load_dword v2, v4, s[0:3], 0 offen offset:4
	buffer_load_dword v3, v4, s[0:3], 0 offen offset:8
	;; [unrolled: 1-line block ×3, first 2 shown]
	buffer_store_dword v91, off, s[0:3], 0 offset:160
	buffer_store_dword v91, off, s[0:3], 0 offset:164
	;; [unrolled: 1-line block ×4, first 2 shown]
	s_waitcnt vmcnt(0)
	ds_write_b128 v141, v[1:4]
.LBB103_235:
	s_or_b32 exec_lo, exec_lo, s4
	s_waitcnt lgkmcnt(0)
	s_waitcnt_vscnt null, 0x0
	s_barrier
	buffer_gl0_inv
	s_clause 0x37
	buffer_load_dword v89, off, s[0:3], 0 offset:184
	buffer_load_dword v90, off, s[0:3], 0 offset:188
	;; [unrolled: 1-line block ×56, first 2 shown]
	ds_read_b128 v[92:95], v91 offset:800
	s_clause 0x2
	buffer_load_dword v151, off, s[0:3], 0 offset:412
	buffer_load_dword v155, off, s[0:3], 0 offset:388
	;; [unrolled: 1-line block ×3, first 2 shown]
	ds_read_b128 v[96:99], v91 offset:816
	s_clause 0x4
	buffer_load_dword v159, off, s[0:3], 0 offset:428
	buffer_load_dword v160, off, s[0:3], 0 offset:440
	;; [unrolled: 1-line block ×5, first 2 shown]
	ds_read_b128 v[100:103], v91 offset:832
	s_clause 0x2
	buffer_load_dword v161, off, s[0:3], 0 offset:444
	buffer_load_dword v166, off, s[0:3], 0 offset:420
	;; [unrolled: 1-line block ×3, first 2 shown]
	s_mov_b32 s4, exec_lo
	s_waitcnt vmcnt(62) lgkmcnt(2)
	v_mul_f64 v[156:157], v[94:95], v[89:90]
	v_mul_f64 v[89:90], v[92:93], v[89:90]
	s_waitcnt lgkmcnt(1)
	v_mul_f64 v[163:164], v[98:99], v[85:86]
	s_waitcnt vmcnt(59) lgkmcnt(0)
	v_mul_f64 v[167:168], v[102:103], v[3:4]
	v_fma_f64 v[92:93], v[92:93], v[87:88], -v[156:157]
	v_mul_f64 v[156:157], v[96:97], v[85:86]
	v_fma_f64 v[89:90], v[94:95], v[87:88], v[89:90]
	s_waitcnt vmcnt(57)
	v_fma_f64 v[96:97], v[96:97], v[1:2], -v[163:164]
	ds_read_b128 v[85:88], v91 offset:848
	v_mul_f64 v[94:95], v[100:101], v[3:4]
	s_waitcnt vmcnt(51)
	v_fma_f64 v[100:101], v[100:101], v[110:111], -v[167:168]
	v_add_f64 v[92:93], v[92:93], 0
	v_fma_f64 v[98:99], v[98:99], v[1:2], v[156:157]
	v_add_f64 v[89:90], v[89:90], 0
	s_clause 0x4
	buffer_load_dword v157, off, s[0:3], 0 offset:460
	buffer_load_dword v169, off, s[0:3], 0 offset:472
	;; [unrolled: 1-line block ×5, first 2 shown]
	s_waitcnt lgkmcnt(0)
	v_mul_f64 v[172:173], v[85:86], v[104:105]
	v_mul_f64 v[104:105], v[87:88], v[104:105]
	ds_read_b128 v[1:4], v91 offset:864
	v_fma_f64 v[102:103], v[102:103], v[110:111], v[94:95]
	v_add_f64 v[96:97], v[92:93], v[96:97]
	v_add_f64 v[89:90], v[89:90], v[98:99]
	s_clause 0x2
	buffer_load_dword v170, off, s[0:3], 0 offset:476
	buffer_load_dword v99, off, s[0:3], 0 offset:452
	;; [unrolled: 1-line block ×3, first 2 shown]
	s_waitcnt vmcnt(58) lgkmcnt(0)
	v_mul_f64 v[110:111], v[1:2], v[106:107]
	v_mul_f64 v[106:107], v[3:4], v[106:107]
	s_waitcnt vmcnt(56)
	v_fma_f64 v[104:105], v[85:86], v[112:113], -v[104:105]
	ds_read_b128 v[92:95], v91 offset:880
	v_add_f64 v[96:97], v[96:97], v[100:101]
	v_fma_f64 v[100:101], v[87:88], v[112:113], v[172:173]
	v_add_f64 v[89:90], v[89:90], v[102:103]
	s_clause 0x4
	buffer_load_dword v103, off, s[0:3], 0 offset:492
	buffer_load_dword v112, off, s[0:3], 0 offset:504
	;; [unrolled: 1-line block ×5, first 2 shown]
	ds_read_b128 v[85:88], v91 offset:896
	s_waitcnt vmcnt(57) lgkmcnt(1)
	v_mul_f64 v[173:174], v[92:93], v[114:115]
	v_mul_f64 v[114:115], v[94:95], v[114:115]
	s_waitcnt vmcnt(56)
	v_fma_f64 v[106:107], v[1:2], v[108:109], -v[106:107]
	v_add_f64 v[96:97], v[96:97], v[104:105]
	v_fma_f64 v[104:105], v[3:4], v[108:109], v[110:111]
	v_add_f64 v[89:90], v[89:90], v[100:101]
	s_clause 0x2
	buffer_load_dword v113, off, s[0:3], 0 offset:508
	buffer_load_dword v101, off, s[0:3], 0 offset:484
	;; [unrolled: 1-line block ×3, first 2 shown]
	s_waitcnt vmcnt(58) lgkmcnt(0)
	v_mul_f64 v[110:111], v[87:88], v[116:117]
	ds_read_b128 v[1:4], v91 offset:912
	s_waitcnt vmcnt(56)
	v_fma_f64 v[114:115], v[92:93], v[120:121], -v[114:115]
	v_mul_f64 v[108:109], v[85:86], v[116:117]
	v_add_f64 v[96:97], v[96:97], v[106:107]
	v_fma_f64 v[106:107], v[94:95], v[120:121], v[173:174]
	v_add_f64 v[89:90], v[89:90], v[104:105]
	s_clause 0x4
	buffer_load_dword v105, off, s[0:3], 0 offset:524
	buffer_load_dword v116, off, s[0:3], 0 offset:536
	buffer_load_dword v120, off, s[0:3], 0 offset:528
	buffer_load_dword v104, off, s[0:3], 0 offset:520
	buffer_load_dword v168, off, s[0:3], 0 offset:500
	s_waitcnt vmcnt(57) lgkmcnt(0)
	v_mul_f64 v[173:174], v[1:2], v[122:123]
	v_mul_f64 v[121:122], v[3:4], v[122:123]
	s_waitcnt vmcnt(56)
	v_fma_f64 v[110:111], v[85:86], v[118:119], -v[110:111]
	ds_read_b128 v[92:95], v91 offset:928
	v_fma_f64 v[108:109], v[87:88], v[118:119], v[108:109]
	v_add_f64 v[96:97], v[96:97], v[114:115]
	v_add_f64 v[89:90], v[89:90], v[106:107]
	s_clause 0x2
	buffer_load_dword v117, off, s[0:3], 0 offset:540
	buffer_load_dword v107, off, s[0:3], 0 offset:516
	buffer_load_dword v106, off, s[0:3], 0 offset:512
	ds_read_b128 v[85:88], v91 offset:944
	s_waitcnt vmcnt(58) lgkmcnt(1)
	v_mul_f64 v[118:119], v[94:95], v[124:125]
	s_waitcnt vmcnt(56)
	v_fma_f64 v[122:123], v[1:2], v[128:129], -v[121:122]
	v_mul_f64 v[114:115], v[92:93], v[124:125]
	v_add_f64 v[96:97], v[96:97], v[110:111]
	v_fma_f64 v[110:111], v[3:4], v[128:129], v[173:174]
	v_add_f64 v[89:90], v[89:90], v[108:109]
	s_clause 0x4
	buffer_load_dword v109, off, s[0:3], 0 offset:556
	buffer_load_dword v124, off, s[0:3], 0 offset:568
	buffer_load_dword v128, off, s[0:3], 0 offset:560
	buffer_load_dword v108, off, s[0:3], 0 offset:552
	buffer_load_dword v121, off, s[0:3], 0 offset:532
	s_waitcnt vmcnt(57) lgkmcnt(0)
	v_mul_f64 v[173:174], v[85:86], v[130:131]
	v_mul_f64 v[129:130], v[87:88], v[130:131]
	s_waitcnt vmcnt(56)
	v_fma_f64 v[118:119], v[92:93], v[126:127], -v[118:119]
	ds_read_b128 v[1:4], v91 offset:960
	v_fma_f64 v[114:115], v[94:95], v[126:127], v[114:115]
	v_add_f64 v[96:97], v[96:97], v[122:123]
	v_add_f64 v[89:90], v[89:90], v[110:111]
	s_clause 0x2
	buffer_load_dword v125, off, s[0:3], 0 offset:572
	buffer_load_dword v111, off, s[0:3], 0 offset:548
	buffer_load_dword v110, off, s[0:3], 0 offset:544
	ds_read_b128 v[92:95], v91 offset:976
	s_waitcnt vmcnt(58) lgkmcnt(1)
	v_mul_f64 v[126:127], v[3:4], v[132:133]
	;; [unrolled: 28-line block ×4, first 2 shown]
	s_waitcnt vmcnt(56)
	v_fma_f64 v[148:149], v[1:2], v[154:155], -v[147:148]
	v_mul_f64 v[138:139], v[92:93], v[150:151]
	v_add_f64 v[96:97], v[96:97], v[134:135]
	v_fma_f64 v[134:135], v[3:4], v[154:155], v[173:174]
	v_add_f64 v[89:90], v[89:90], v[130:131]
	s_clause 0x2
	buffer_load_dword v131, off, s[0:3], 0 offset:652
	buffer_load_dword v130, off, s[0:3], 0 offset:648
	;; [unrolled: 1-line block ×3, first 2 shown]
	s_waitcnt vmcnt(55) lgkmcnt(0)
	v_mul_f64 v[154:155], v[87:88], v[158:159]
	s_waitcnt vmcnt(54)
	v_fma_f64 v[144:145], v[92:93], v[152:153], -v[144:145]
	ds_read_b128 v[1:4], v91 offset:1056
	v_mul_f64 v[150:151], v[85:86], v[158:159]
	v_fma_f64 v[138:139], v[94:95], v[152:153], v[138:139]
	v_add_f64 v[96:97], v[96:97], v[148:149]
	v_add_f64 v[89:90], v[89:90], v[134:135]
	s_clause 0x1
	buffer_load_dword v135, off, s[0:3], 0 offset:644
	buffer_load_dword v134, off, s[0:3], 0 offset:640
	s_waitcnt vmcnt(55) lgkmcnt(0)
	v_mul_f64 v[152:153], v[3:4], v[160:161]
	s_waitcnt vmcnt(53)
	v_fma_f64 v[154:155], v[85:86], v[165:166], -v[154:155]
	ds_read_b128 v[92:95], v91 offset:1072
	v_mul_f64 v[148:149], v[1:2], v[160:161]
	v_add_f64 v[96:97], v[96:97], v[144:145]
	v_fma_f64 v[144:145], v[87:88], v[165:166], v[150:151]
	v_add_f64 v[89:90], v[89:90], v[138:139]
	ds_read_b128 v[85:88], v91 offset:1088
	s_waitcnt vmcnt(49) lgkmcnt(1)
	v_mul_f64 v[150:151], v[94:95], v[156:157]
	s_waitcnt vmcnt(48)
	v_fma_f64 v[152:153], v[1:2], v[162:163], -v[152:153]
	v_mul_f64 v[138:139], v[92:93], v[156:157]
	v_fma_f64 v[148:149], v[3:4], v[162:163], v[148:149]
	v_add_f64 v[96:97], v[96:97], v[154:155]
	v_add_f64 v[89:90], v[89:90], v[144:145]
	s_clause 0x3
	buffer_load_dword v144, off, s[0:3], 0 offset:160
	buffer_load_dword v145, off, s[0:3], 0 offset:164
	buffer_load_dword v154, off, s[0:3], 0 offset:168
	buffer_load_dword v155, off, s[0:3], 0 offset:172
	ds_read_b128 v[1:4], v91 offset:1104
	s_waitcnt vmcnt(51) lgkmcnt(1)
	v_mul_f64 v[158:159], v[87:88], v[169:170]
	v_mul_f64 v[156:157], v[85:86], v[169:170]
	s_waitcnt vmcnt(49)
	v_fma_f64 v[150:151], v[92:93], v[98:99], -v[150:151]
	v_fma_f64 v[98:99], v[94:95], v[98:99], v[138:139]
	ds_read_b128 v[92:95], v91 offset:1120
	v_add_f64 v[96:97], v[96:97], v[152:153]
	v_add_f64 v[89:90], v[89:90], v[148:149]
	s_waitcnt vmcnt(45) lgkmcnt(1)
	v_mul_f64 v[138:139], v[1:2], v[102:103]
	v_mul_f64 v[102:103], v[3:4], v[102:103]
	s_waitcnt vmcnt(44)
	v_fma_f64 v[148:149], v[85:86], v[171:172], -v[158:159]
	v_add_f64 v[96:97], v[96:97], v[150:151]
	v_fma_f64 v[150:151], v[87:88], v[171:172], v[156:157]
	v_add_f64 v[89:90], v[89:90], v[98:99]
	ds_read_b128 v[85:88], v91 offset:1136
	s_waitcnt vmcnt(43) lgkmcnt(1)
	v_mul_f64 v[98:99], v[92:93], v[112:113]
	v_mul_f64 v[112:113], v[94:95], v[112:113]
	s_waitcnt vmcnt(41)
	v_fma_f64 v[102:103], v[1:2], v[100:101], -v[102:103]
	v_fma_f64 v[100:101], v[3:4], v[100:101], v[138:139]
	ds_read_b128 v[1:4], v91 offset:1152
	v_add_f64 v[96:97], v[96:97], v[148:149]
	v_add_f64 v[89:90], v[89:90], v[150:151]
	s_waitcnt vmcnt(37) lgkmcnt(1)
	v_mul_f64 v[138:139], v[85:86], v[104:105]
	v_mul_f64 v[104:105], v[87:88], v[104:105]
	s_waitcnt vmcnt(36)
	v_fma_f64 v[112:113], v[92:93], v[167:168], -v[112:113]
	v_fma_f64 v[98:99], v[94:95], v[167:168], v[98:99]
	ds_read_b128 v[92:95], v91 offset:1168
	v_add_f64 v[96:97], v[96:97], v[102:103]
	v_add_f64 v[89:90], v[89:90], v[100:101]
	;; [unrolled: 9-line block ×5, first 2 shown]
	s_waitcnt vmcnt(21) lgkmcnt(1)
	v_mul_f64 v[102:103], v[3:4], v[114:115]
	s_waitcnt vmcnt(20)
	v_fma_f64 v[106:107], v[85:86], v[128:129], -v[106:107]
	v_mul_f64 v[100:101], v[1:2], v[114:115]
	v_fma_f64 v[104:105], v[87:88], v[128:129], v[104:105]
	ds_read_b128 v[85:88], v91 offset:1232
	v_add_f64 v[96:97], v[96:97], v[108:109]
	v_add_f64 v[89:90], v[89:90], v[98:99]
	s_waitcnt vmcnt(19) lgkmcnt(1)
	v_mul_f64 v[108:109], v[94:95], v[132:133]
	v_mul_f64 v[98:99], v[92:93], v[132:133]
	s_waitcnt vmcnt(17)
	v_fma_f64 v[102:103], v[1:2], v[118:119], -v[102:103]
	v_fma_f64 v[100:101], v[3:4], v[118:119], v[100:101]
	ds_read_b128 v[1:4], v91 offset:1248
	v_add_f64 v[96:97], v[96:97], v[106:107]
	v_add_f64 v[89:90], v[89:90], v[104:105]
	s_waitcnt vmcnt(13) lgkmcnt(1)
	v_mul_f64 v[106:107], v[87:88], v[122:123]
	s_waitcnt vmcnt(12)
	v_fma_f64 v[108:109], v[92:93], v[136:137], -v[108:109]
	v_mul_f64 v[104:105], v[85:86], v[122:123]
	v_fma_f64 v[93:94], v[94:95], v[136:137], v[98:99]
	v_add_f64 v[96:97], v[96:97], v[102:103]
	v_add_f64 v[98:99], v[89:90], v[100:101]
	ds_read_b128 v[89:92], v91 offset:1264
	s_waitcnt vmcnt(11) lgkmcnt(1)
	v_mul_f64 v[102:103], v[3:4], v[142:143]
	v_mul_f64 v[100:101], v[1:2], v[142:143]
	s_waitcnt vmcnt(9)
	v_fma_f64 v[85:86], v[85:86], v[126:127], -v[106:107]
	v_fma_f64 v[87:88], v[87:88], v[126:127], v[104:105]
	v_add_f64 v[95:96], v[96:97], v[108:109]
	v_add_f64 v[93:94], v[98:99], v[93:94]
	s_waitcnt vmcnt(7) lgkmcnt(0)
	v_mul_f64 v[104:105], v[91:92], v[130:131]
	s_waitcnt vmcnt(6)
	v_fma_f64 v[1:2], v[1:2], v[146:147], -v[102:103]
	v_mul_f64 v[97:98], v[89:90], v[130:131]
	v_fma_f64 v[3:4], v[3:4], v[146:147], v[100:101]
	v_add_f64 v[85:86], v[95:96], v[85:86]
	v_add_f64 v[87:88], v[93:94], v[87:88]
	s_waitcnt vmcnt(4)
	v_fma_f64 v[89:90], v[89:90], v[134:135], -v[104:105]
	v_add_f64 v[1:2], v[85:86], v[1:2]
	v_fma_f64 v[85:86], v[91:92], v[134:135], v[97:98]
	v_add_f64 v[3:4], v[87:88], v[3:4]
	v_add_f64 v[1:2], v[1:2], v[89:90]
	;; [unrolled: 1-line block ×3, first 2 shown]
	s_waitcnt vmcnt(2)
	v_add_f64 v[1:2], v[144:145], -v[1:2]
	s_waitcnt vmcnt(0)
	v_add_f64 v[3:4], v[154:155], -v[3:4]
	buffer_store_dword v2, off, s[0:3], 0 offset:164
	buffer_store_dword v1, off, s[0:3], 0 offset:160
	;; [unrolled: 1-line block ×4, first 2 shown]
	v_cmpx_lt_u32_e32 8, v0
	s_cbranch_execz .LBB103_237
; %bb.236:
	v_mov_b32_e32 v4, s44
	v_mov_b32_e32 v85, 0
	s_clause 0x3
	buffer_load_dword v1, v4, s[0:3], 0 offen
	buffer_load_dword v2, v4, s[0:3], 0 offen offset:4
	buffer_load_dword v3, v4, s[0:3], 0 offen offset:8
	;; [unrolled: 1-line block ×3, first 2 shown]
	buffer_store_dword v85, off, s[0:3], 0 offset:144
	buffer_store_dword v85, off, s[0:3], 0 offset:148
	;; [unrolled: 1-line block ×4, first 2 shown]
	s_waitcnt vmcnt(0)
	ds_write_b128 v141, v[1:4]
.LBB103_237:
	s_or_b32 exec_lo, exec_lo, s4
	s_waitcnt lgkmcnt(0)
	s_waitcnt_vscnt null, 0x0
	s_barrier
	buffer_gl0_inv
	s_clause 0x37
	buffer_load_dword v89, off, s[0:3], 0 offset:168
	buffer_load_dword v90, off, s[0:3], 0 offset:172
	;; [unrolled: 1-line block ×56, first 2 shown]
	v_mov_b32_e32 v109, 0
	s_mov_b32 s4, exec_lo
	ds_read_b128 v[97:100], v109 offset:784
	s_clause 0x2
	buffer_load_dword v151, off, s[0:3], 0 offset:396
	buffer_load_dword v155, off, s[0:3], 0 offset:372
	;; [unrolled: 1-line block ×3, first 2 shown]
	ds_read_b128 v[101:104], v109 offset:800
	s_clause 0x4
	buffer_load_dword v159, off, s[0:3], 0 offset:412
	buffer_load_dword v160, off, s[0:3], 0 offset:424
	;; [unrolled: 1-line block ×5, first 2 shown]
	ds_read_b128 v[105:108], v109 offset:816
	s_clause 0x2
	buffer_load_dword v161, off, s[0:3], 0 offset:428
	buffer_load_dword v166, off, s[0:3], 0 offset:404
	buffer_load_dword v165, off, s[0:3], 0 offset:400
	s_waitcnt vmcnt(62) lgkmcnt(2)
	v_mul_f64 v[156:157], v[99:100], v[89:90]
	v_mul_f64 v[89:90], v[97:98], v[89:90]
	s_waitcnt lgkmcnt(1)
	v_mul_f64 v[163:164], v[103:104], v[85:86]
	s_waitcnt vmcnt(59) lgkmcnt(0)
	v_mul_f64 v[167:168], v[107:108], v[3:4]
	v_fma_f64 v[97:98], v[97:98], v[87:88], -v[156:157]
	v_mul_f64 v[156:157], v[101:102], v[85:86]
	v_fma_f64 v[89:90], v[99:100], v[87:88], v[89:90]
	s_waitcnt vmcnt(57)
	v_fma_f64 v[101:102], v[101:102], v[1:2], -v[163:164]
	ds_read_b128 v[85:88], v109 offset:832
	v_mul_f64 v[99:100], v[105:106], v[3:4]
	s_waitcnt vmcnt(51)
	v_fma_f64 v[105:106], v[105:106], v[112:113], -v[167:168]
	v_add_f64 v[97:98], v[97:98], 0
	v_fma_f64 v[103:104], v[103:104], v[1:2], v[156:157]
	v_add_f64 v[89:90], v[89:90], 0
	s_clause 0x4
	buffer_load_dword v157, off, s[0:3], 0 offset:444
	buffer_load_dword v169, off, s[0:3], 0 offset:456
	;; [unrolled: 1-line block ×5, first 2 shown]
	s_waitcnt lgkmcnt(0)
	v_mul_f64 v[172:173], v[85:86], v[93:94]
	v_mul_f64 v[93:94], v[87:88], v[93:94]
	ds_read_b128 v[1:4], v109 offset:848
	v_fma_f64 v[107:108], v[107:108], v[112:113], v[99:100]
	v_add_f64 v[101:102], v[97:98], v[101:102]
	v_add_f64 v[89:90], v[89:90], v[103:104]
	s_clause 0x2
	buffer_load_dword v170, off, s[0:3], 0 offset:460
	buffer_load_dword v104, off, s[0:3], 0 offset:436
	;; [unrolled: 1-line block ×3, first 2 shown]
	s_waitcnt vmcnt(58) lgkmcnt(0)
	v_mul_f64 v[112:113], v[1:2], v[110:111]
	v_mul_f64 v[110:111], v[3:4], v[110:111]
	s_waitcnt vmcnt(56)
	v_fma_f64 v[93:94], v[85:86], v[114:115], -v[93:94]
	ds_read_b128 v[97:100], v109 offset:864
	v_add_f64 v[101:102], v[101:102], v[105:106]
	v_fma_f64 v[105:106], v[87:88], v[114:115], v[172:173]
	v_add_f64 v[89:90], v[89:90], v[107:108]
	s_clause 0x4
	buffer_load_dword v108, off, s[0:3], 0 offset:476
	buffer_load_dword v114, off, s[0:3], 0 offset:488
	;; [unrolled: 1-line block ×5, first 2 shown]
	ds_read_b128 v[85:88], v109 offset:880
	s_waitcnt vmcnt(57) lgkmcnt(1)
	v_mul_f64 v[173:174], v[97:98], v[116:117]
	v_mul_f64 v[116:117], v[99:100], v[116:117]
	s_waitcnt vmcnt(56)
	v_fma_f64 v[110:111], v[1:2], v[91:92], -v[110:111]
	v_fma_f64 v[91:92], v[3:4], v[91:92], v[112:113]
	v_add_f64 v[93:94], v[101:102], v[93:94]
	s_clause 0x2
	buffer_load_dword v115, off, s[0:3], 0 offset:492
	buffer_load_dword v102, off, s[0:3], 0 offset:468
	;; [unrolled: 1-line block ×3, first 2 shown]
	v_add_f64 v[89:90], v[89:90], v[105:106]
	s_waitcnt vmcnt(58) lgkmcnt(0)
	v_mul_f64 v[112:113], v[87:88], v[118:119]
	ds_read_b128 v[1:4], v109 offset:896
	v_mul_f64 v[105:106], v[85:86], v[118:119]
	s_waitcnt vmcnt(56)
	v_fma_f64 v[97:98], v[97:98], v[120:121], -v[116:117]
	v_fma_f64 v[99:100], v[99:100], v[120:121], v[173:174]
	s_clause 0x4
	buffer_load_dword v117, off, s[0:3], 0 offset:508
	buffer_load_dword v118, off, s[0:3], 0 offset:520
	;; [unrolled: 1-line block ×5, first 2 shown]
	v_add_f64 v[93:94], v[93:94], v[110:111]
	v_add_f64 v[110:111], v[89:90], v[91:92]
	s_waitcnt vmcnt(57) lgkmcnt(0)
	v_mul_f64 v[173:174], v[1:2], v[122:123]
	v_mul_f64 v[121:122], v[3:4], v[122:123]
	s_waitcnt vmcnt(56)
	v_fma_f64 v[112:113], v[85:86], v[95:96], -v[112:113]
	ds_read_b128 v[89:92], v109 offset:912
	v_fma_f64 v[95:96], v[87:88], v[95:96], v[105:106]
	v_add_f64 v[93:94], v[93:94], v[97:98]
	v_add_f64 v[97:98], v[110:111], v[99:100]
	s_clause 0x2
	buffer_load_dword v119, off, s[0:3], 0 offset:524
	buffer_load_dword v100, off, s[0:3], 0 offset:500
	;; [unrolled: 1-line block ×3, first 2 shown]
	s_waitcnt vmcnt(58) lgkmcnt(0)
	v_mul_f64 v[110:111], v[91:92], v[124:125]
	s_waitcnt vmcnt(56)
	v_fma_f64 v[122:123], v[1:2], v[128:129], -v[121:122]
	ds_read_b128 v[85:88], v109 offset:928
	v_mul_f64 v[105:106], v[89:90], v[124:125]
	v_add_f64 v[93:94], v[93:94], v[112:113]
	v_fma_f64 v[112:113], v[3:4], v[128:129], v[173:174]
	v_add_f64 v[95:96], v[97:98], v[95:96]
	s_clause 0x4
	buffer_load_dword v98, off, s[0:3], 0 offset:540
	buffer_load_dword v124, off, s[0:3], 0 offset:552
	buffer_load_dword v128, off, s[0:3], 0 offset:544
	buffer_load_dword v97, off, s[0:3], 0 offset:536
	buffer_load_dword v121, off, s[0:3], 0 offset:516
	s_waitcnt vmcnt(57) lgkmcnt(0)
	v_mul_f64 v[173:174], v[85:86], v[130:131]
	v_mul_f64 v[129:130], v[87:88], v[130:131]
	s_waitcnt vmcnt(56)
	v_fma_f64 v[110:111], v[89:90], v[126:127], -v[110:111]
	ds_read_b128 v[1:4], v109 offset:944
	v_fma_f64 v[105:106], v[91:92], v[126:127], v[105:106]
	v_add_f64 v[93:94], v[93:94], v[122:123]
	v_add_f64 v[95:96], v[95:96], v[112:113]
	s_clause 0x2
	buffer_load_dword v125, off, s[0:3], 0 offset:556
	buffer_load_dword v113, off, s[0:3], 0 offset:532
	buffer_load_dword v112, off, s[0:3], 0 offset:528
	ds_read_b128 v[89:92], v109 offset:960
	s_waitcnt vmcnt(58) lgkmcnt(1)
	v_mul_f64 v[126:127], v[3:4], v[132:133]
	s_waitcnt vmcnt(56)
	v_fma_f64 v[130:131], v[85:86], v[136:137], -v[129:130]
	v_mul_f64 v[122:123], v[1:2], v[132:133]
	v_add_f64 v[93:94], v[93:94], v[110:111]
	v_fma_f64 v[110:111], v[87:88], v[136:137], v[173:174]
	v_add_f64 v[95:96], v[95:96], v[105:106]
	s_clause 0x4
	buffer_load_dword v106, off, s[0:3], 0 offset:572
	buffer_load_dword v132, off, s[0:3], 0 offset:584
	buffer_load_dword v136, off, s[0:3], 0 offset:576
	buffer_load_dword v105, off, s[0:3], 0 offset:568
	buffer_load_dword v129, off, s[0:3], 0 offset:548
	s_waitcnt vmcnt(57) lgkmcnt(0)
	v_mul_f64 v[173:174], v[89:90], v[138:139]
	v_mul_f64 v[137:138], v[91:92], v[138:139]
	s_waitcnt vmcnt(56)
	v_fma_f64 v[126:127], v[1:2], v[134:135], -v[126:127]
	ds_read_b128 v[85:88], v109 offset:976
	v_fma_f64 v[122:123], v[3:4], v[134:135], v[122:123]
	v_add_f64 v[93:94], v[93:94], v[130:131]
	v_add_f64 v[95:96], v[95:96], v[110:111]
	s_clause 0x2
	buffer_load_dword v133, off, s[0:3], 0 offset:588
	buffer_load_dword v111, off, s[0:3], 0 offset:564
	buffer_load_dword v110, off, s[0:3], 0 offset:560
	ds_read_b128 v[1:4], v109 offset:992
	s_waitcnt vmcnt(58) lgkmcnt(1)
	v_mul_f64 v[134:135], v[87:88], v[142:143]
	s_waitcnt vmcnt(56)
	v_fma_f64 v[138:139], v[89:90], v[146:147], -v[137:138]
	;; [unrolled: 28-line block ×4, first 2 shown]
	v_mul_f64 v[148:149], v[1:2], v[160:161]
	buffer_load_dword v155, off, s[0:3], 0 offset:644
	v_add_f64 v[93:94], v[93:94], v[144:145]
	v_fma_f64 v[144:145], v[87:88], v[165:166], v[173:174]
	v_add_f64 v[95:96], v[95:96], v[138:139]
	ds_read_b128 v[85:88], v109 offset:1072
	s_waitcnt vmcnt(53) lgkmcnt(1)
	v_mul_f64 v[138:139], v[89:90], v[156:157]
	v_mul_f64 v[156:157], v[91:92], v[156:157]
	s_waitcnt vmcnt(52)
	v_fma_f64 v[152:153], v[1:2], v[162:163], -v[152:153]
	v_fma_f64 v[148:149], v[3:4], v[162:163], v[148:149]
	ds_read_b128 v[1:4], v109 offset:1088
	v_add_f64 v[93:94], v[93:94], v[158:159]
	v_add_f64 v[95:96], v[95:96], v[144:145]
	s_waitcnt vmcnt(51) lgkmcnt(1)
	v_mul_f64 v[158:159], v[87:88], v[169:170]
	v_mul_f64 v[144:145], v[85:86], v[169:170]
	s_waitcnt vmcnt(49)
	v_fma_f64 v[156:157], v[89:90], v[103:104], -v[156:157]
	v_fma_f64 v[103:104], v[91:92], v[103:104], v[138:139]
	v_add_f64 v[93:94], v[93:94], v[152:153]
	v_add_f64 v[95:96], v[95:96], v[148:149]
	s_clause 0x3
	buffer_load_dword v138, off, s[0:3], 0 offset:144
	buffer_load_dword v139, off, s[0:3], 0 offset:148
	;; [unrolled: 1-line block ×4, first 2 shown]
	ds_read_b128 v[89:92], v109 offset:1104
	s_waitcnt vmcnt(49) lgkmcnt(1)
	v_mul_f64 v[152:153], v[1:2], v[107:108]
	v_mul_f64 v[107:108], v[3:4], v[107:108]
	s_waitcnt vmcnt(48)
	v_fma_f64 v[158:159], v[85:86], v[171:172], -v[158:159]
	v_fma_f64 v[144:145], v[87:88], v[171:172], v[144:145]
	ds_read_b128 v[85:88], v109 offset:1120
	v_add_f64 v[93:94], v[93:94], v[156:157]
	v_add_f64 v[95:96], v[95:96], v[103:104]
	s_waitcnt vmcnt(47) lgkmcnt(1)
	v_mul_f64 v[103:104], v[89:90], v[114:115]
	v_mul_f64 v[114:115], v[91:92], v[114:115]
	s_waitcnt vmcnt(45)
	v_fma_f64 v[107:108], v[1:2], v[101:102], -v[107:108]
	v_fma_f64 v[101:102], v[3:4], v[101:102], v[152:153]
	ds_read_b128 v[1:4], v109 offset:1136
	v_add_f64 v[93:94], v[93:94], v[158:159]
	v_add_f64 v[95:96], v[95:96], v[144:145]
	s_waitcnt vmcnt(41) lgkmcnt(1)
	v_mul_f64 v[144:145], v[85:86], v[116:117]
	v_mul_f64 v[116:117], v[87:88], v[116:117]
	s_waitcnt vmcnt(40)
	v_fma_f64 v[103:104], v[91:92], v[167:168], v[103:104]
	v_fma_f64 v[114:115], v[89:90], v[167:168], -v[114:115]
	ds_read_b128 v[89:92], v109 offset:1152
	v_add_f64 v[93:94], v[93:94], v[107:108]
	v_add_f64 v[95:96], v[95:96], v[101:102]
	s_waitcnt vmcnt(39) lgkmcnt(1)
	v_mul_f64 v[107:108], v[3:4], v[118:119]
	v_mul_f64 v[101:102], v[1:2], v[118:119]
	s_waitcnt vmcnt(37)
	v_fma_f64 v[116:117], v[85:86], v[99:100], -v[116:117]
	v_fma_f64 v[99:100], v[87:88], v[99:100], v[144:145]
	ds_read_b128 v[85:88], v109 offset:1168
	v_add_f64 v[93:94], v[93:94], v[114:115]
	v_add_f64 v[95:96], v[95:96], v[103:104]
	s_waitcnt vmcnt(33) lgkmcnt(1)
	v_mul_f64 v[103:104], v[89:90], v[97:98]
	v_mul_f64 v[97:98], v[91:92], v[97:98]
	s_waitcnt vmcnt(32)
	v_fma_f64 v[107:108], v[1:2], v[120:121], -v[107:108]
	v_fma_f64 v[101:102], v[3:4], v[120:121], v[101:102]
	;; [unrolled: 9-line block ×3, first 2 shown]
	ds_read_b128 v[89:92], v109 offset:1200
	v_add_f64 v[93:94], v[93:94], v[107:108]
	v_add_f64 v[95:96], v[95:96], v[101:102]
	s_waitcnt vmcnt(25) lgkmcnt(1)
	v_mul_f64 v[101:102], v[1:2], v[105:106]
	v_mul_f64 v[105:106], v[3:4], v[105:106]
	s_waitcnt vmcnt(24)
	v_fma_f64 v[107:108], v[85:86], v[128:129], -v[114:115]
	v_add_f64 v[93:94], v[93:94], v[97:98]
	v_fma_f64 v[97:98], v[87:88], v[128:129], v[99:100]
	v_add_f64 v[95:96], v[95:96], v[103:104]
	ds_read_b128 v[85:88], v109 offset:1216
	s_waitcnt vmcnt(23) lgkmcnt(1)
	v_mul_f64 v[103:104], v[91:92], v[132:133]
	v_mul_f64 v[99:100], v[89:90], v[132:133]
	s_waitcnt vmcnt(21)
	v_fma_f64 v[105:106], v[1:2], v[110:111], -v[105:106]
	v_fma_f64 v[101:102], v[3:4], v[110:111], v[101:102]
	ds_read_b128 v[1:4], v109 offset:1232
	v_add_f64 v[93:94], v[93:94], v[107:108]
	v_add_f64 v[95:96], v[95:96], v[97:98]
	s_waitcnt vmcnt(17) lgkmcnt(1)
	v_mul_f64 v[107:108], v[87:88], v[122:123]
	s_waitcnt vmcnt(16)
	v_fma_f64 v[103:104], v[89:90], v[136:137], -v[103:104]
	v_mul_f64 v[97:98], v[85:86], v[122:123]
	v_fma_f64 v[99:100], v[91:92], v[136:137], v[99:100]
	ds_read_b128 v[89:92], v109 offset:1248
	v_add_f64 v[93:94], v[93:94], v[105:106]
	v_add_f64 v[95:96], v[95:96], v[101:102]
	s_waitcnt vmcnt(15) lgkmcnt(1)
	v_mul_f64 v[105:106], v[3:4], v[142:143]
	v_mul_f64 v[101:102], v[1:2], v[142:143]
	s_waitcnt vmcnt(13)
	v_fma_f64 v[107:108], v[85:86], v[126:127], -v[107:108]
	v_fma_f64 v[97:98], v[87:88], v[126:127], v[97:98]
	ds_read_b128 v[85:88], v109 offset:1264
	v_add_f64 v[93:94], v[93:94], v[103:104]
	v_add_f64 v[95:96], v[95:96], v[99:100]
	s_waitcnt vmcnt(9) lgkmcnt(1)
	v_mul_f64 v[103:104], v[91:92], v[130:131]
	s_waitcnt vmcnt(8)
	v_fma_f64 v[1:2], v[1:2], v[146:147], -v[105:106]
	v_mul_f64 v[99:100], v[89:90], v[130:131]
	v_fma_f64 v[3:4], v[3:4], v[146:147], v[101:102]
	v_add_f64 v[93:94], v[93:94], v[107:108]
	v_add_f64 v[95:96], v[95:96], v[97:98]
	s_waitcnt vmcnt(7) lgkmcnt(0)
	v_mul_f64 v[101:102], v[87:88], v[150:151]
	v_mul_f64 v[97:98], v[85:86], v[150:151]
	s_waitcnt vmcnt(5)
	v_fma_f64 v[89:90], v[89:90], v[134:135], -v[103:104]
	v_fma_f64 v[91:92], v[91:92], v[134:135], v[99:100]
	v_add_f64 v[1:2], v[93:94], v[1:2]
	v_add_f64 v[3:4], v[95:96], v[3:4]
	s_waitcnt vmcnt(4)
	v_fma_f64 v[85:86], v[85:86], v[154:155], -v[101:102]
	v_fma_f64 v[87:88], v[87:88], v[154:155], v[97:98]
	v_add_f64 v[1:2], v[1:2], v[89:90]
	v_add_f64 v[3:4], v[3:4], v[91:92]
	;; [unrolled: 1-line block ×4, first 2 shown]
	s_waitcnt vmcnt(2)
	v_add_f64 v[1:2], v[138:139], -v[1:2]
	s_waitcnt vmcnt(0)
	v_add_f64 v[3:4], v[148:149], -v[3:4]
	buffer_store_dword v2, off, s[0:3], 0 offset:148
	buffer_store_dword v1, off, s[0:3], 0 offset:144
	;; [unrolled: 1-line block ×4, first 2 shown]
	v_cmpx_lt_u32_e32 7, v0
	s_cbranch_execz .LBB103_239
; %bb.238:
	v_mov_b32_e32 v4, s45
	s_clause 0x3
	buffer_load_dword v1, v4, s[0:3], 0 offen
	buffer_load_dword v2, v4, s[0:3], 0 offen offset:4
	buffer_load_dword v3, v4, s[0:3], 0 offen offset:8
	;; [unrolled: 1-line block ×3, first 2 shown]
	buffer_store_dword v109, off, s[0:3], 0 offset:128
	buffer_store_dword v109, off, s[0:3], 0 offset:132
	;; [unrolled: 1-line block ×4, first 2 shown]
	s_waitcnt vmcnt(0)
	ds_write_b128 v141, v[1:4]
.LBB103_239:
	s_or_b32 exec_lo, exec_lo, s4
	s_waitcnt lgkmcnt(0)
	s_waitcnt_vscnt null, 0x0
	s_barrier
	buffer_gl0_inv
	s_clause 0x37
	buffer_load_dword v89, off, s[0:3], 0 offset:152
	buffer_load_dword v90, off, s[0:3], 0 offset:156
	;; [unrolled: 1-line block ×56, first 2 shown]
	ds_read_b128 v[110:113], v109 offset:768
	s_clause 0x2
	buffer_load_dword v151, off, s[0:3], 0 offset:380
	buffer_load_dword v155, off, s[0:3], 0 offset:356
	;; [unrolled: 1-line block ×3, first 2 shown]
	ds_read_b128 v[114:117], v109 offset:784
	s_clause 0x4
	buffer_load_dword v159, off, s[0:3], 0 offset:396
	buffer_load_dword v160, off, s[0:3], 0 offset:408
	buffer_load_dword v162, off, s[0:3], 0 offset:400
	buffer_load_dword v158, off, s[0:3], 0 offset:392
	buffer_load_dword v153, off, s[0:3], 0 offset:372
	ds_read_b128 v[118:121], v109 offset:800
	s_clause 0x2
	buffer_load_dword v161, off, s[0:3], 0 offset:412
	buffer_load_dword v166, off, s[0:3], 0 offset:388
	buffer_load_dword v165, off, s[0:3], 0 offset:384
	s_mov_b32 s4, exec_lo
	s_waitcnt vmcnt(62) lgkmcnt(2)
	v_mul_f64 v[156:157], v[112:113], v[89:90]
	v_mul_f64 v[89:90], v[110:111], v[89:90]
	s_waitcnt lgkmcnt(1)
	v_mul_f64 v[163:164], v[116:117], v[85:86]
	s_waitcnt vmcnt(59) lgkmcnt(0)
	v_mul_f64 v[167:168], v[120:121], v[3:4]
	v_fma_f64 v[110:111], v[110:111], v[87:88], -v[156:157]
	v_mul_f64 v[156:157], v[114:115], v[85:86]
	v_fma_f64 v[89:90], v[112:113], v[87:88], v[89:90]
	s_waitcnt vmcnt(57)
	v_fma_f64 v[114:115], v[114:115], v[1:2], -v[163:164]
	ds_read_b128 v[85:88], v109 offset:816
	v_mul_f64 v[112:113], v[118:119], v[3:4]
	s_waitcnt vmcnt(51)
	v_fma_f64 v[118:119], v[118:119], v[105:106], -v[167:168]
	v_add_f64 v[110:111], v[110:111], 0
	v_fma_f64 v[116:117], v[116:117], v[1:2], v[156:157]
	v_add_f64 v[89:90], v[89:90], 0
	s_clause 0x4
	buffer_load_dword v157, off, s[0:3], 0 offset:428
	buffer_load_dword v169, off, s[0:3], 0 offset:440
	buffer_load_dword v171, off, s[0:3], 0 offset:432
	buffer_load_dword v156, off, s[0:3], 0 offset:424
	buffer_load_dword v163, off, s[0:3], 0 offset:404
	s_waitcnt lgkmcnt(0)
	v_mul_f64 v[172:173], v[85:86], v[93:94]
	v_mul_f64 v[93:94], v[87:88], v[93:94]
	ds_read_b128 v[1:4], v109 offset:832
	v_fma_f64 v[105:106], v[120:121], v[105:106], v[112:113]
	v_add_f64 v[114:115], v[110:111], v[114:115]
	v_add_f64 v[89:90], v[89:90], v[116:117]
	s_clause 0x2
	buffer_load_dword v170, off, s[0:3], 0 offset:444
	buffer_load_dword v117, off, s[0:3], 0 offset:420
	;; [unrolled: 1-line block ×3, first 2 shown]
	s_waitcnt vmcnt(58) lgkmcnt(0)
	v_mul_f64 v[120:121], v[1:2], v[97:98]
	v_mul_f64 v[97:98], v[3:4], v[97:98]
	s_waitcnt vmcnt(56)
	v_fma_f64 v[93:94], v[85:86], v[99:100], -v[93:94]
	ds_read_b128 v[110:113], v109 offset:848
	v_fma_f64 v[99:100], v[87:88], v[99:100], v[172:173]
	v_add_f64 v[114:115], v[114:115], v[118:119]
	v_add_f64 v[89:90], v[89:90], v[105:106]
	s_clause 0x4
	buffer_load_dword v106, off, s[0:3], 0 offset:460
	buffer_load_dword v118, off, s[0:3], 0 offset:472
	;; [unrolled: 1-line block ×5, first 2 shown]
	ds_read_b128 v[85:88], v109 offset:864
	s_waitcnt vmcnt(57) lgkmcnt(1)
	v_mul_f64 v[173:174], v[110:111], v[101:102]
	v_mul_f64 v[101:102], v[112:113], v[101:102]
	s_waitcnt vmcnt(56)
	v_fma_f64 v[97:98], v[1:2], v[91:92], -v[97:98]
	v_fma_f64 v[91:92], v[3:4], v[91:92], v[120:121]
	v_add_f64 v[93:94], v[114:115], v[93:94]
	v_add_f64 v[89:90], v[89:90], v[99:100]
	s_clause 0x2
	buffer_load_dword v119, off, s[0:3], 0 offset:476
	buffer_load_dword v100, off, s[0:3], 0 offset:452
	;; [unrolled: 1-line block ×3, first 2 shown]
	s_waitcnt vmcnt(58) lgkmcnt(0)
	v_mul_f64 v[114:115], v[85:86], v[107:108]
	v_mul_f64 v[107:108], v[87:88], v[107:108]
	s_waitcnt vmcnt(56)
	v_fma_f64 v[101:102], v[110:111], v[122:123], -v[101:102]
	ds_read_b128 v[1:4], v109 offset:880
	v_add_f64 v[93:94], v[93:94], v[97:98]
	v_fma_f64 v[97:98], v[112:113], v[122:123], v[173:174]
	v_add_f64 v[110:111], v[89:90], v[91:92]
	s_clause 0x4
	buffer_load_dword v113, off, s[0:3], 0 offset:492
	buffer_load_dword v120, off, s[0:3], 0 offset:504
	;; [unrolled: 1-line block ×5, first 2 shown]
	ds_read_b128 v[89:92], v109 offset:896
	s_waitcnt vmcnt(57) lgkmcnt(1)
	v_mul_f64 v[173:174], v[1:2], v[124:125]
	v_mul_f64 v[123:124], v[3:4], v[124:125]
	s_waitcnt vmcnt(56)
	v_fma_f64 v[107:108], v[85:86], v[95:96], -v[107:108]
	v_fma_f64 v[95:96], v[87:88], v[95:96], v[114:115]
	v_add_f64 v[93:94], v[93:94], v[101:102]
	s_clause 0x2
	buffer_load_dword v121, off, s[0:3], 0 offset:508
	buffer_load_dword v102, off, s[0:3], 0 offset:484
	;; [unrolled: 1-line block ×3, first 2 shown]
	v_add_f64 v[97:98], v[110:111], v[97:98]
	s_waitcnt vmcnt(58) lgkmcnt(0)
	v_mul_f64 v[114:115], v[91:92], v[126:127]
	ds_read_b128 v[85:88], v109 offset:912
	v_mul_f64 v[110:111], v[89:90], v[126:127]
	s_waitcnt vmcnt(56)
	v_fma_f64 v[124:125], v[1:2], v[128:129], -v[123:124]
	v_add_f64 v[93:94], v[93:94], v[107:108]
	v_fma_f64 v[107:108], v[3:4], v[128:129], v[173:174]
	v_add_f64 v[95:96], v[97:98], v[95:96]
	s_clause 0x4
	buffer_load_dword v98, off, s[0:3], 0 offset:524
	buffer_load_dword v126, off, s[0:3], 0 offset:536
	buffer_load_dword v128, off, s[0:3], 0 offset:528
	buffer_load_dword v97, off, s[0:3], 0 offset:520
	buffer_load_dword v123, off, s[0:3], 0 offset:500
	s_waitcnt vmcnt(57) lgkmcnt(0)
	v_mul_f64 v[173:174], v[85:86], v[130:131]
	v_mul_f64 v[129:130], v[87:88], v[130:131]
	s_waitcnt vmcnt(56)
	v_fma_f64 v[114:115], v[89:90], v[103:104], -v[114:115]
	ds_read_b128 v[1:4], v109 offset:928
	v_fma_f64 v[103:104], v[91:92], v[103:104], v[110:111]
	v_add_f64 v[93:94], v[93:94], v[124:125]
	v_add_f64 v[95:96], v[95:96], v[107:108]
	s_clause 0x2
	buffer_load_dword v127, off, s[0:3], 0 offset:540
	buffer_load_dword v108, off, s[0:3], 0 offset:516
	buffer_load_dword v107, off, s[0:3], 0 offset:512
	ds_read_b128 v[89:92], v109 offset:944
	s_waitcnt vmcnt(58) lgkmcnt(1)
	v_mul_f64 v[124:125], v[3:4], v[132:133]
	s_waitcnt vmcnt(56)
	v_fma_f64 v[130:131], v[85:86], v[136:137], -v[129:130]
	v_mul_f64 v[110:111], v[1:2], v[132:133]
	v_add_f64 v[93:94], v[93:94], v[114:115]
	v_fma_f64 v[114:115], v[87:88], v[136:137], v[173:174]
	v_add_f64 v[95:96], v[95:96], v[103:104]
	s_clause 0x4
	buffer_load_dword v104, off, s[0:3], 0 offset:556
	buffer_load_dword v132, off, s[0:3], 0 offset:568
	buffer_load_dword v136, off, s[0:3], 0 offset:560
	buffer_load_dword v103, off, s[0:3], 0 offset:552
	buffer_load_dword v129, off, s[0:3], 0 offset:532
	s_waitcnt vmcnt(57) lgkmcnt(0)
	v_mul_f64 v[173:174], v[89:90], v[138:139]
	v_mul_f64 v[137:138], v[91:92], v[138:139]
	s_waitcnt vmcnt(56)
	v_fma_f64 v[124:125], v[1:2], v[134:135], -v[124:125]
	ds_read_b128 v[85:88], v109 offset:960
	v_fma_f64 v[110:111], v[3:4], v[134:135], v[110:111]
	v_add_f64 v[93:94], v[93:94], v[130:131]
	v_add_f64 v[95:96], v[95:96], v[114:115]
	s_clause 0x2
	buffer_load_dword v133, off, s[0:3], 0 offset:572
	buffer_load_dword v115, off, s[0:3], 0 offset:548
	buffer_load_dword v114, off, s[0:3], 0 offset:544
	ds_read_b128 v[1:4], v109 offset:976
	s_waitcnt vmcnt(58) lgkmcnt(1)
	v_mul_f64 v[134:135], v[87:88], v[142:143]
	s_waitcnt vmcnt(56)
	v_fma_f64 v[138:139], v[89:90], v[146:147], -v[137:138]
	v_mul_f64 v[130:131], v[85:86], v[142:143]
	v_add_f64 v[93:94], v[93:94], v[124:125]
	v_fma_f64 v[124:125], v[91:92], v[146:147], v[173:174]
	v_add_f64 v[95:96], v[95:96], v[110:111]
	s_clause 0x4
	buffer_load_dword v111, off, s[0:3], 0 offset:588
	buffer_load_dword v142, off, s[0:3], 0 offset:600
	buffer_load_dword v146, off, s[0:3], 0 offset:592
	buffer_load_dword v110, off, s[0:3], 0 offset:584
	buffer_load_dword v137, off, s[0:3], 0 offset:564
	s_waitcnt vmcnt(57) lgkmcnt(0)
	v_mul_f64 v[173:174], v[1:2], v[148:149]
	v_mul_f64 v[147:148], v[3:4], v[148:149]
	s_waitcnt vmcnt(56)
	v_fma_f64 v[134:135], v[85:86], v[144:145], -v[134:135]
	ds_read_b128 v[89:92], v109 offset:992
	v_fma_f64 v[130:131], v[87:88], v[144:145], v[130:131]
	v_add_f64 v[93:94], v[93:94], v[138:139]
	v_add_f64 v[95:96], v[95:96], v[124:125]
	s_clause 0x2
	buffer_load_dword v143, off, s[0:3], 0 offset:604
	buffer_load_dword v125, off, s[0:3], 0 offset:580
	buffer_load_dword v124, off, s[0:3], 0 offset:576
	ds_read_b128 v[85:88], v109 offset:1008
	s_waitcnt vmcnt(58) lgkmcnt(1)
	v_mul_f64 v[144:145], v[91:92], v[150:151]
	s_waitcnt vmcnt(56)
	v_fma_f64 v[148:149], v[1:2], v[154:155], -v[147:148]
	v_mul_f64 v[138:139], v[89:90], v[150:151]
	v_add_f64 v[93:94], v[93:94], v[134:135]
	v_fma_f64 v[134:135], v[3:4], v[154:155], v[173:174]
	v_add_f64 v[95:96], v[95:96], v[130:131]
	s_clause 0x4
	buffer_load_dword v131, off, s[0:3], 0 offset:620
	buffer_load_dword v150, off, s[0:3], 0 offset:632
	buffer_load_dword v154, off, s[0:3], 0 offset:624
	buffer_load_dword v130, off, s[0:3], 0 offset:616
	buffer_load_dword v147, off, s[0:3], 0 offset:596
	s_waitcnt vmcnt(57) lgkmcnt(0)
	v_mul_f64 v[173:174], v[85:86], v[158:159]
	v_mul_f64 v[158:159], v[87:88], v[158:159]
	s_waitcnt vmcnt(56)
	v_fma_f64 v[144:145], v[89:90], v[152:153], -v[144:145]
	ds_read_b128 v[1:4], v109 offset:1024
	v_fma_f64 v[138:139], v[91:92], v[152:153], v[138:139]
	v_add_f64 v[93:94], v[93:94], v[148:149]
	v_add_f64 v[95:96], v[95:96], v[134:135]
	s_clause 0x2
	buffer_load_dword v151, off, s[0:3], 0 offset:636
	buffer_load_dword v135, off, s[0:3], 0 offset:612
	buffer_load_dword v134, off, s[0:3], 0 offset:608
	ds_read_b128 v[89:92], v109 offset:1040
	s_waitcnt vmcnt(58) lgkmcnt(1)
	v_mul_f64 v[152:153], v[3:4], v[160:161]
	s_waitcnt vmcnt(56)
	v_fma_f64 v[158:159], v[85:86], v[165:166], -v[158:159]
	v_mul_f64 v[148:149], v[1:2], v[160:161]
	v_add_f64 v[93:94], v[93:94], v[144:145]
	v_fma_f64 v[144:145], v[87:88], v[165:166], v[173:174]
	v_add_f64 v[95:96], v[95:96], v[138:139]
	s_clause 0x2
	buffer_load_dword v139, off, s[0:3], 0 offset:652
	buffer_load_dword v138, off, s[0:3], 0 offset:648
	;; [unrolled: 1-line block ×3, first 2 shown]
	ds_read_b128 v[85:88], v109 offset:1056
	s_waitcnt vmcnt(55) lgkmcnt(1)
	v_mul_f64 v[160:161], v[89:90], v[156:157]
	v_mul_f64 v[156:157], v[91:92], v[156:157]
	s_waitcnt vmcnt(54)
	v_fma_f64 v[152:153], v[1:2], v[162:163], -v[152:153]
	v_fma_f64 v[148:149], v[3:4], v[162:163], v[148:149]
	v_add_f64 v[93:94], v[93:94], v[158:159]
	v_add_f64 v[95:96], v[95:96], v[144:145]
	s_clause 0x1
	buffer_load_dword v145, off, s[0:3], 0 offset:644
	buffer_load_dword v144, off, s[0:3], 0 offset:640
	ds_read_b128 v[1:4], v109 offset:1072
	s_waitcnt vmcnt(55) lgkmcnt(1)
	v_mul_f64 v[162:163], v[87:88], v[169:170]
	v_mul_f64 v[158:159], v[85:86], v[169:170]
	s_waitcnt vmcnt(53)
	v_fma_f64 v[156:157], v[89:90], v[116:117], -v[156:157]
	v_fma_f64 v[116:117], v[91:92], v[116:117], v[160:161]
	ds_read_b128 v[89:92], v109 offset:1088
	v_add_f64 v[93:94], v[93:94], v[152:153]
	v_add_f64 v[95:96], v[95:96], v[148:149]
	s_waitcnt vmcnt(49) lgkmcnt(1)
	v_mul_f64 v[148:149], v[1:2], v[105:106]
	v_mul_f64 v[105:106], v[3:4], v[105:106]
	s_waitcnt vmcnt(48)
	v_fma_f64 v[152:153], v[85:86], v[171:172], -v[162:163]
	v_add_f64 v[93:94], v[93:94], v[156:157]
	v_fma_f64 v[156:157], v[87:88], v[171:172], v[158:159]
	v_add_f64 v[95:96], v[95:96], v[116:117]
	s_clause 0x3
	buffer_load_dword v116, off, s[0:3], 0 offset:128
	buffer_load_dword v117, off, s[0:3], 0 offset:132
	buffer_load_dword v158, off, s[0:3], 0 offset:136
	buffer_load_dword v159, off, s[0:3], 0 offset:140
	ds_read_b128 v[85:88], v109 offset:1104
	s_waitcnt vmcnt(51) lgkmcnt(1)
	v_mul_f64 v[160:161], v[89:90], v[118:119]
	v_mul_f64 v[118:119], v[91:92], v[118:119]
	s_waitcnt vmcnt(49)
	v_fma_f64 v[105:106], v[1:2], v[99:100], -v[105:106]
	v_fma_f64 v[99:100], v[3:4], v[99:100], v[148:149]
	ds_read_b128 v[1:4], v109 offset:1120
	v_add_f64 v[93:94], v[93:94], v[152:153]
	v_add_f64 v[95:96], v[95:96], v[156:157]
	s_waitcnt vmcnt(45) lgkmcnt(1)
	v_mul_f64 v[148:149], v[85:86], v[112:113]
	v_mul_f64 v[112:113], v[87:88], v[112:113]
	s_waitcnt vmcnt(44)
	v_fma_f64 v[118:119], v[89:90], v[167:168], -v[118:119]
	v_add_f64 v[93:94], v[93:94], v[105:106]
	v_fma_f64 v[105:106], v[91:92], v[167:168], v[160:161]
	v_add_f64 v[95:96], v[95:96], v[99:100]
	ds_read_b128 v[89:92], v109 offset:1136
	s_waitcnt vmcnt(43) lgkmcnt(1)
	v_mul_f64 v[99:100], v[1:2], v[120:121]
	v_mul_f64 v[120:121], v[3:4], v[120:121]
	s_waitcnt vmcnt(41)
	v_fma_f64 v[112:113], v[85:86], v[101:102], -v[112:113]
	v_fma_f64 v[101:102], v[87:88], v[101:102], v[148:149]
	ds_read_b128 v[85:88], v109 offset:1152
	v_add_f64 v[93:94], v[93:94], v[118:119]
	v_add_f64 v[95:96], v[95:96], v[105:106]
	s_waitcnt vmcnt(37) lgkmcnt(1)
	v_mul_f64 v[105:106], v[89:90], v[97:98]
	v_mul_f64 v[97:98], v[91:92], v[97:98]
	s_waitcnt vmcnt(36)
	v_fma_f64 v[118:119], v[1:2], v[122:123], -v[120:121]
	v_fma_f64 v[99:100], v[3:4], v[122:123], v[99:100]
	ds_read_b128 v[1:4], v109 offset:1168
	v_add_f64 v[93:94], v[93:94], v[112:113]
	v_add_f64 v[95:96], v[95:96], v[101:102]
	;; [unrolled: 9-line block ×3, first 2 shown]
	s_waitcnt vmcnt(29) lgkmcnt(1)
	v_mul_f64 v[99:100], v[1:2], v[103:104]
	v_mul_f64 v[103:104], v[3:4], v[103:104]
	s_waitcnt vmcnt(28)
	v_fma_f64 v[107:108], v[85:86], v[128:129], -v[112:113]
	v_add_f64 v[93:94], v[93:94], v[97:98]
	v_fma_f64 v[97:98], v[87:88], v[128:129], v[101:102]
	v_add_f64 v[95:96], v[95:96], v[105:106]
	ds_read_b128 v[85:88], v109 offset:1200
	s_waitcnt vmcnt(27) lgkmcnt(1)
	v_mul_f64 v[105:106], v[91:92], v[132:133]
	v_mul_f64 v[101:102], v[89:90], v[132:133]
	s_waitcnt vmcnt(25)
	v_fma_f64 v[103:104], v[1:2], v[114:115], -v[103:104]
	v_fma_f64 v[99:100], v[3:4], v[114:115], v[99:100]
	ds_read_b128 v[1:4], v109 offset:1216
	v_add_f64 v[93:94], v[93:94], v[107:108]
	v_add_f64 v[95:96], v[95:96], v[97:98]
	s_waitcnt vmcnt(21) lgkmcnt(1)
	v_mul_f64 v[107:108], v[87:88], v[110:111]
	s_waitcnt vmcnt(20)
	v_fma_f64 v[105:106], v[89:90], v[136:137], -v[105:106]
	v_mul_f64 v[97:98], v[85:86], v[110:111]
	v_fma_f64 v[101:102], v[91:92], v[136:137], v[101:102]
	ds_read_b128 v[89:92], v109 offset:1232
	v_add_f64 v[93:94], v[93:94], v[103:104]
	v_add_f64 v[95:96], v[95:96], v[99:100]
	s_waitcnt vmcnt(19) lgkmcnt(1)
	v_mul_f64 v[103:104], v[3:4], v[142:143]
	v_mul_f64 v[99:100], v[1:2], v[142:143]
	s_waitcnt vmcnt(17)
	v_fma_f64 v[107:108], v[85:86], v[124:125], -v[107:108]
	v_fma_f64 v[97:98], v[87:88], v[124:125], v[97:98]
	ds_read_b128 v[85:88], v109 offset:1248
	v_add_f64 v[93:94], v[93:94], v[105:106]
	v_add_f64 v[95:96], v[95:96], v[101:102]
	s_waitcnt vmcnt(13) lgkmcnt(1)
	v_mul_f64 v[105:106], v[91:92], v[130:131]
	s_waitcnt vmcnt(12)
	v_fma_f64 v[103:104], v[1:2], v[146:147], -v[103:104]
	v_mul_f64 v[101:102], v[89:90], v[130:131]
	v_fma_f64 v[99:100], v[3:4], v[146:147], v[99:100]
	ds_read_b128 v[1:4], v109 offset:1264
	v_add_f64 v[93:94], v[93:94], v[107:108]
	v_add_f64 v[95:96], v[95:96], v[97:98]
	s_waitcnt vmcnt(11) lgkmcnt(1)
	v_mul_f64 v[107:108], v[87:88], v[150:151]
	v_mul_f64 v[97:98], v[85:86], v[150:151]
	s_waitcnt vmcnt(9)
	v_fma_f64 v[89:90], v[89:90], v[134:135], -v[105:106]
	v_fma_f64 v[91:92], v[91:92], v[134:135], v[101:102]
	v_add_f64 v[93:94], v[93:94], v[103:104]
	v_add_f64 v[95:96], v[95:96], v[99:100]
	s_waitcnt vmcnt(7) lgkmcnt(0)
	v_mul_f64 v[101:102], v[3:4], v[138:139]
	s_waitcnt vmcnt(6)
	v_fma_f64 v[85:86], v[85:86], v[154:155], -v[107:108]
	v_mul_f64 v[99:100], v[1:2], v[138:139]
	v_fma_f64 v[87:88], v[87:88], v[154:155], v[97:98]
	v_add_f64 v[89:90], v[93:94], v[89:90]
	v_add_f64 v[91:92], v[95:96], v[91:92]
	s_waitcnt vmcnt(4)
	v_fma_f64 v[1:2], v[1:2], v[144:145], -v[101:102]
	v_fma_f64 v[3:4], v[3:4], v[144:145], v[99:100]
	v_add_f64 v[85:86], v[89:90], v[85:86]
	v_add_f64 v[87:88], v[91:92], v[87:88]
	;; [unrolled: 1-line block ×4, first 2 shown]
	s_waitcnt vmcnt(2)
	v_add_f64 v[1:2], v[116:117], -v[1:2]
	s_waitcnt vmcnt(0)
	v_add_f64 v[3:4], v[158:159], -v[3:4]
	buffer_store_dword v2, off, s[0:3], 0 offset:132
	buffer_store_dword v1, off, s[0:3], 0 offset:128
	buffer_store_dword v4, off, s[0:3], 0 offset:140
	buffer_store_dword v3, off, s[0:3], 0 offset:136
	v_cmpx_lt_u32_e32 6, v0
	s_cbranch_execz .LBB103_241
; %bb.240:
	v_mov_b32_e32 v4, s46
	v_mov_b32_e32 v85, 0
	s_clause 0x3
	buffer_load_dword v1, v4, s[0:3], 0 offen
	buffer_load_dword v2, v4, s[0:3], 0 offen offset:4
	buffer_load_dword v3, v4, s[0:3], 0 offen offset:8
	buffer_load_dword v4, v4, s[0:3], 0 offen offset:12
	buffer_store_dword v85, off, s[0:3], 0 offset:112
	buffer_store_dword v85, off, s[0:3], 0 offset:116
	;; [unrolled: 1-line block ×4, first 2 shown]
	s_waitcnt vmcnt(0)
	ds_write_b128 v141, v[1:4]
.LBB103_241:
	s_or_b32 exec_lo, exec_lo, s4
	s_waitcnt lgkmcnt(0)
	s_waitcnt_vscnt null, 0x0
	s_barrier
	buffer_gl0_inv
	s_clause 0x37
	buffer_load_dword v89, off, s[0:3], 0 offset:136
	buffer_load_dword v90, off, s[0:3], 0 offset:140
	;; [unrolled: 1-line block ×56, first 2 shown]
	v_mov_b32_e32 v131, 0
	s_mov_b32 s4, exec_lo
	ds_read_b128 v[119:122], v131 offset:752
	s_clause 0x2
	buffer_load_dword v151, off, s[0:3], 0 offset:364
	buffer_load_dword v155, off, s[0:3], 0 offset:340
	;; [unrolled: 1-line block ×3, first 2 shown]
	ds_read_b128 v[123:126], v131 offset:768
	s_clause 0x4
	buffer_load_dword v159, off, s[0:3], 0 offset:380
	buffer_load_dword v160, off, s[0:3], 0 offset:392
	;; [unrolled: 1-line block ×5, first 2 shown]
	ds_read_b128 v[127:130], v131 offset:784
	s_clause 0x2
	buffer_load_dword v161, off, s[0:3], 0 offset:396
	buffer_load_dword v166, off, s[0:3], 0 offset:372
	;; [unrolled: 1-line block ×3, first 2 shown]
	s_waitcnt vmcnt(62) lgkmcnt(2)
	v_mul_f64 v[156:157], v[121:122], v[89:90]
	v_mul_f64 v[89:90], v[119:120], v[89:90]
	s_waitcnt lgkmcnt(1)
	v_mul_f64 v[163:164], v[125:126], v[85:86]
	s_waitcnt vmcnt(59) lgkmcnt(0)
	v_mul_f64 v[167:168], v[129:130], v[3:4]
	v_fma_f64 v[119:120], v[119:120], v[87:88], -v[156:157]
	v_mul_f64 v[156:157], v[123:124], v[85:86]
	v_fma_f64 v[89:90], v[121:122], v[87:88], v[89:90]
	s_waitcnt vmcnt(57)
	v_fma_f64 v[123:124], v[123:124], v[1:2], -v[163:164]
	ds_read_b128 v[85:88], v131 offset:800
	v_mul_f64 v[121:122], v[127:128], v[3:4]
	s_waitcnt vmcnt(51)
	v_fma_f64 v[127:128], v[127:128], v[105:106], -v[167:168]
	v_add_f64 v[119:120], v[119:120], 0
	v_fma_f64 v[125:126], v[125:126], v[1:2], v[156:157]
	v_add_f64 v[89:90], v[89:90], 0
	s_clause 0x4
	buffer_load_dword v157, off, s[0:3], 0 offset:412
	buffer_load_dword v169, off, s[0:3], 0 offset:424
	;; [unrolled: 1-line block ×5, first 2 shown]
	s_waitcnt lgkmcnt(0)
	v_mul_f64 v[172:173], v[85:86], v[93:94]
	v_mul_f64 v[93:94], v[87:88], v[93:94]
	ds_read_b128 v[1:4], v131 offset:816
	v_fma_f64 v[105:106], v[129:130], v[105:106], v[121:122]
	v_add_f64 v[123:124], v[119:120], v[123:124]
	v_add_f64 v[89:90], v[89:90], v[125:126]
	s_clause 0x2
	buffer_load_dword v170, off, s[0:3], 0 offset:428
	buffer_load_dword v126, off, s[0:3], 0 offset:404
	;; [unrolled: 1-line block ×3, first 2 shown]
	s_waitcnt vmcnt(58) lgkmcnt(0)
	v_mul_f64 v[129:130], v[1:2], v[97:98]
	v_mul_f64 v[97:98], v[3:4], v[97:98]
	s_waitcnt vmcnt(56)
	v_fma_f64 v[93:94], v[85:86], v[99:100], -v[93:94]
	ds_read_b128 v[119:122], v131 offset:832
	v_fma_f64 v[99:100], v[87:88], v[99:100], v[172:173]
	v_add_f64 v[123:124], v[123:124], v[127:128]
	v_add_f64 v[89:90], v[89:90], v[105:106]
	s_clause 0x4
	buffer_load_dword v106, off, s[0:3], 0 offset:444
	buffer_load_dword v127, off, s[0:3], 0 offset:456
	;; [unrolled: 1-line block ×5, first 2 shown]
	ds_read_b128 v[85:88], v131 offset:848
	s_waitcnt vmcnt(57) lgkmcnt(1)
	v_mul_f64 v[173:174], v[119:120], v[101:102]
	v_mul_f64 v[101:102], v[121:122], v[101:102]
	s_waitcnt vmcnt(56)
	v_fma_f64 v[97:98], v[1:2], v[91:92], -v[97:98]
	v_fma_f64 v[91:92], v[3:4], v[91:92], v[129:130]
	v_add_f64 v[93:94], v[123:124], v[93:94]
	v_add_f64 v[89:90], v[89:90], v[99:100]
	s_clause 0x2
	buffer_load_dword v128, off, s[0:3], 0 offset:460
	buffer_load_dword v100, off, s[0:3], 0 offset:436
	;; [unrolled: 1-line block ×3, first 2 shown]
	s_waitcnt vmcnt(58) lgkmcnt(0)
	v_mul_f64 v[123:124], v[85:86], v[107:108]
	v_mul_f64 v[107:108], v[87:88], v[107:108]
	s_waitcnt vmcnt(56)
	v_fma_f64 v[101:102], v[119:120], v[109:110], -v[101:102]
	ds_read_b128 v[1:4], v131 offset:864
	v_add_f64 v[93:94], v[93:94], v[97:98]
	v_fma_f64 v[97:98], v[121:122], v[109:110], v[173:174]
	v_add_f64 v[109:110], v[89:90], v[91:92]
	s_clause 0x4
	buffer_load_dword v120, off, s[0:3], 0 offset:476
	buffer_load_dword v121, off, s[0:3], 0 offset:488
	;; [unrolled: 1-line block ×5, first 2 shown]
	ds_read_b128 v[89:92], v131 offset:880
	s_waitcnt vmcnt(57) lgkmcnt(1)
	v_mul_f64 v[173:174], v[1:2], v[111:112]
	v_mul_f64 v[111:112], v[3:4], v[111:112]
	s_waitcnt vmcnt(56)
	v_fma_f64 v[107:108], v[85:86], v[95:96], -v[107:108]
	v_fma_f64 v[95:96], v[87:88], v[95:96], v[123:124]
	v_add_f64 v[93:94], v[93:94], v[101:102]
	s_clause 0x2
	buffer_load_dword v122, off, s[0:3], 0 offset:492
	buffer_load_dword v102, off, s[0:3], 0 offset:468
	;; [unrolled: 1-line block ×3, first 2 shown]
	v_add_f64 v[97:98], v[109:110], v[97:98]
	s_waitcnt vmcnt(58) lgkmcnt(0)
	v_mul_f64 v[109:110], v[89:90], v[115:116]
	v_mul_f64 v[115:116], v[91:92], v[115:116]
	ds_read_b128 v[85:88], v131 offset:896
	s_waitcnt vmcnt(56)
	v_fma_f64 v[111:112], v[1:2], v[117:118], -v[111:112]
	v_add_f64 v[93:94], v[93:94], v[107:108]
	v_fma_f64 v[107:108], v[3:4], v[117:118], v[173:174]
	v_add_f64 v[95:96], v[97:98], v[95:96]
	s_clause 0x4
	buffer_load_dword v98, off, s[0:3], 0 offset:508
	buffer_load_dword v117, off, s[0:3], 0 offset:520
	;; [unrolled: 1-line block ×5, first 2 shown]
	s_waitcnt vmcnt(57) lgkmcnt(0)
	v_mul_f64 v[173:174], v[85:86], v[132:133]
	v_mul_f64 v[132:133], v[87:88], v[132:133]
	s_waitcnt vmcnt(56)
	v_fma_f64 v[115:116], v[89:90], v[103:104], -v[115:116]
	ds_read_b128 v[1:4], v131 offset:912
	v_fma_f64 v[103:104], v[91:92], v[103:104], v[109:110]
	v_add_f64 v[93:94], v[93:94], v[111:112]
	v_add_f64 v[95:96], v[95:96], v[107:108]
	s_clause 0x2
	buffer_load_dword v118, off, s[0:3], 0 offset:524
	buffer_load_dword v108, off, s[0:3], 0 offset:500
	;; [unrolled: 1-line block ×3, first 2 shown]
	ds_read_b128 v[89:92], v131 offset:928
	s_waitcnt vmcnt(58) lgkmcnt(1)
	v_mul_f64 v[111:112], v[3:4], v[134:135]
	s_waitcnt vmcnt(56)
	v_fma_f64 v[132:133], v[85:86], v[136:137], -v[132:133]
	v_mul_f64 v[109:110], v[1:2], v[134:135]
	v_add_f64 v[93:94], v[93:94], v[115:116]
	v_fma_f64 v[115:116], v[87:88], v[136:137], v[173:174]
	v_add_f64 v[95:96], v[95:96], v[103:104]
	s_clause 0x4
	buffer_load_dword v104, off, s[0:3], 0 offset:540
	buffer_load_dword v134, off, s[0:3], 0 offset:552
	;; [unrolled: 1-line block ×5, first 2 shown]
	s_waitcnt vmcnt(57) lgkmcnt(0)
	v_mul_f64 v[173:174], v[89:90], v[138:139]
	v_mul_f64 v[137:138], v[91:92], v[138:139]
	s_waitcnt vmcnt(56)
	v_fma_f64 v[111:112], v[1:2], v[113:114], -v[111:112]
	ds_read_b128 v[85:88], v131 offset:944
	v_fma_f64 v[109:110], v[3:4], v[113:114], v[109:110]
	s_clause 0x2
	buffer_load_dword v135, off, s[0:3], 0 offset:556
	buffer_load_dword v114, off, s[0:3], 0 offset:532
	;; [unrolled: 1-line block ×3, first 2 shown]
	ds_read_b128 v[1:4], v131 offset:960
	v_add_f64 v[93:94], v[93:94], v[132:133]
	v_add_f64 v[95:96], v[95:96], v[115:116]
	s_waitcnt vmcnt(58) lgkmcnt(1)
	v_mul_f64 v[132:133], v[87:88], v[142:143]
	s_waitcnt vmcnt(56)
	v_fma_f64 v[138:139], v[89:90], v[146:147], -v[137:138]
	v_mul_f64 v[115:116], v[85:86], v[142:143]
	v_add_f64 v[93:94], v[93:94], v[111:112]
	v_fma_f64 v[111:112], v[91:92], v[146:147], v[173:174]
	v_add_f64 v[95:96], v[95:96], v[109:110]
	s_clause 0x4
	buffer_load_dword v110, off, s[0:3], 0 offset:572
	buffer_load_dword v142, off, s[0:3], 0 offset:584
	;; [unrolled: 1-line block ×5, first 2 shown]
	s_waitcnt vmcnt(57) lgkmcnt(0)
	v_mul_f64 v[173:174], v[1:2], v[148:149]
	v_mul_f64 v[147:148], v[3:4], v[148:149]
	s_waitcnt vmcnt(56)
	v_fma_f64 v[132:133], v[85:86], v[144:145], -v[132:133]
	ds_read_b128 v[89:92], v131 offset:976
	v_fma_f64 v[115:116], v[87:88], v[144:145], v[115:116]
	v_add_f64 v[93:94], v[93:94], v[138:139]
	v_add_f64 v[95:96], v[95:96], v[111:112]
	s_clause 0x2
	buffer_load_dword v143, off, s[0:3], 0 offset:588
	buffer_load_dword v112, off, s[0:3], 0 offset:564
	;; [unrolled: 1-line block ×3, first 2 shown]
	ds_read_b128 v[85:88], v131 offset:992
	s_waitcnt vmcnt(58) lgkmcnt(1)
	v_mul_f64 v[144:145], v[91:92], v[150:151]
	s_waitcnt vmcnt(56)
	v_fma_f64 v[148:149], v[1:2], v[154:155], -v[147:148]
	v_mul_f64 v[138:139], v[89:90], v[150:151]
	v_add_f64 v[93:94], v[93:94], v[132:133]
	v_fma_f64 v[132:133], v[3:4], v[154:155], v[173:174]
	v_add_f64 v[95:96], v[95:96], v[115:116]
	s_clause 0x4
	buffer_load_dword v116, off, s[0:3], 0 offset:604
	buffer_load_dword v150, off, s[0:3], 0 offset:616
	;; [unrolled: 1-line block ×5, first 2 shown]
	s_waitcnt vmcnt(57) lgkmcnt(0)
	v_mul_f64 v[173:174], v[85:86], v[158:159]
	v_mul_f64 v[158:159], v[87:88], v[158:159]
	s_waitcnt vmcnt(56)
	v_fma_f64 v[144:145], v[89:90], v[152:153], -v[144:145]
	ds_read_b128 v[1:4], v131 offset:1008
	v_fma_f64 v[138:139], v[91:92], v[152:153], v[138:139]
	v_add_f64 v[93:94], v[93:94], v[148:149]
	v_add_f64 v[95:96], v[95:96], v[132:133]
	s_clause 0x2
	buffer_load_dword v151, off, s[0:3], 0 offset:620
	buffer_load_dword v133, off, s[0:3], 0 offset:596
	;; [unrolled: 1-line block ×3, first 2 shown]
	ds_read_b128 v[89:92], v131 offset:1024
	s_waitcnt vmcnt(58) lgkmcnt(1)
	v_mul_f64 v[152:153], v[3:4], v[160:161]
	s_waitcnt vmcnt(56)
	v_fma_f64 v[158:159], v[85:86], v[165:166], -v[158:159]
	v_mul_f64 v[148:149], v[1:2], v[160:161]
	v_add_f64 v[93:94], v[93:94], v[144:145]
	v_fma_f64 v[144:145], v[87:88], v[165:166], v[173:174]
	v_add_f64 v[95:96], v[95:96], v[138:139]
	s_clause 0x4
	buffer_load_dword v139, off, s[0:3], 0 offset:636
	buffer_load_dword v160, off, s[0:3], 0 offset:648
	;; [unrolled: 1-line block ×5, first 2 shown]
	ds_read_b128 v[85:88], v131 offset:1040
	s_waitcnt vmcnt(57) lgkmcnt(1)
	v_mul_f64 v[165:166], v[89:90], v[156:157]
	v_mul_f64 v[156:157], v[91:92], v[156:157]
	s_waitcnt vmcnt(56)
	v_fma_f64 v[152:153], v[1:2], v[162:163], -v[152:153]
	v_fma_f64 v[148:149], v[3:4], v[162:163], v[148:149]
	v_add_f64 v[93:94], v[93:94], v[158:159]
	v_add_f64 v[95:96], v[95:96], v[144:145]
	s_clause 0x2
	buffer_load_dword v161, off, s[0:3], 0 offset:652
	buffer_load_dword v145, off, s[0:3], 0 offset:628
	;; [unrolled: 1-line block ×3, first 2 shown]
	ds_read_b128 v[1:4], v131 offset:1056
	s_waitcnt vmcnt(58) lgkmcnt(1)
	v_mul_f64 v[162:163], v[87:88], v[169:170]
	v_mul_f64 v[158:159], v[85:86], v[169:170]
	s_waitcnt vmcnt(56)
	v_fma_f64 v[156:157], v[89:90], v[125:126], -v[156:157]
	v_fma_f64 v[125:126], v[91:92], v[125:126], v[165:166]
	buffer_load_dword v165, off, s[0:3], 0 offset:644
	ds_read_b128 v[89:92], v131 offset:1072
	v_add_f64 v[93:94], v[93:94], v[152:153]
	v_add_f64 v[95:96], v[95:96], v[148:149]
	s_waitcnt vmcnt(53) lgkmcnt(1)
	v_mul_f64 v[148:149], v[1:2], v[105:106]
	v_mul_f64 v[105:106], v[3:4], v[105:106]
	s_waitcnt vmcnt(52)
	v_fma_f64 v[152:153], v[85:86], v[171:172], -v[162:163]
	v_add_f64 v[93:94], v[93:94], v[156:157]
	v_fma_f64 v[156:157], v[87:88], v[171:172], v[158:159]
	v_add_f64 v[95:96], v[95:96], v[125:126]
	ds_read_b128 v[85:88], v131 offset:1088
	s_waitcnt vmcnt(51) lgkmcnt(1)
	v_mul_f64 v[125:126], v[89:90], v[127:128]
	v_mul_f64 v[127:128], v[91:92], v[127:128]
	s_waitcnt vmcnt(49)
	v_fma_f64 v[105:106], v[1:2], v[99:100], -v[105:106]
	v_fma_f64 v[99:100], v[3:4], v[99:100], v[148:149]
	v_add_f64 v[93:94], v[93:94], v[152:153]
	s_clause 0x3
	buffer_load_dword v148, off, s[0:3], 0 offset:112
	buffer_load_dword v149, off, s[0:3], 0 offset:116
	;; [unrolled: 1-line block ×4, first 2 shown]
	v_add_f64 v[95:96], v[95:96], v[156:157]
	ds_read_b128 v[1:4], v131 offset:1104
	s_waitcnt vmcnt(49) lgkmcnt(1)
	v_mul_f64 v[156:157], v[85:86], v[119:120]
	v_mul_f64 v[119:120], v[87:88], v[119:120]
	s_waitcnt vmcnt(48)
	v_fma_f64 v[127:128], v[89:90], v[167:168], -v[127:128]
	v_add_f64 v[93:94], v[93:94], v[105:106]
	v_fma_f64 v[105:106], v[91:92], v[167:168], v[125:126]
	v_add_f64 v[95:96], v[95:96], v[99:100]
	ds_read_b128 v[89:92], v131 offset:1120
	s_waitcnt vmcnt(47) lgkmcnt(1)
	v_mul_f64 v[99:100], v[1:2], v[121:122]
	v_mul_f64 v[121:122], v[3:4], v[121:122]
	s_waitcnt vmcnt(45)
	v_fma_f64 v[119:120], v[85:86], v[101:102], -v[119:120]
	v_fma_f64 v[101:102], v[87:88], v[101:102], v[156:157]
	ds_read_b128 v[85:88], v131 offset:1136
	v_add_f64 v[93:94], v[93:94], v[127:128]
	v_add_f64 v[95:96], v[95:96], v[105:106]
	s_waitcnt vmcnt(41) lgkmcnt(1)
	v_mul_f64 v[105:106], v[89:90], v[97:98]
	v_mul_f64 v[97:98], v[91:92], v[97:98]
	s_waitcnt vmcnt(40)
	v_fma_f64 v[121:122], v[1:2], v[129:130], -v[121:122]
	v_fma_f64 v[99:100], v[3:4], v[129:130], v[99:100]
	ds_read_b128 v[1:4], v131 offset:1152
	v_add_f64 v[93:94], v[93:94], v[119:120]
	v_add_f64 v[95:96], v[95:96], v[101:102]
	;; [unrolled: 9-line block ×3, first 2 shown]
	s_waitcnt vmcnt(33) lgkmcnt(1)
	v_mul_f64 v[99:100], v[1:2], v[103:104]
	v_mul_f64 v[103:104], v[3:4], v[103:104]
	s_waitcnt vmcnt(32)
	v_fma_f64 v[107:108], v[85:86], v[123:124], -v[117:118]
	v_add_f64 v[93:94], v[93:94], v[97:98]
	v_fma_f64 v[97:98], v[87:88], v[123:124], v[101:102]
	v_add_f64 v[95:96], v[95:96], v[105:106]
	ds_read_b128 v[85:88], v131 offset:1184
	s_waitcnt vmcnt(31) lgkmcnt(1)
	v_mul_f64 v[105:106], v[91:92], v[134:135]
	v_mul_f64 v[101:102], v[89:90], v[134:135]
	s_waitcnt vmcnt(29)
	v_fma_f64 v[99:100], v[3:4], v[113:114], v[99:100]
	v_fma_f64 v[103:104], v[1:2], v[113:114], -v[103:104]
	ds_read_b128 v[1:4], v131 offset:1200
	v_add_f64 v[93:94], v[93:94], v[107:108]
	v_add_f64 v[95:96], v[95:96], v[97:98]
	s_waitcnt vmcnt(25) lgkmcnt(1)
	v_mul_f64 v[107:108], v[87:88], v[109:110]
	s_waitcnt vmcnt(24)
	v_fma_f64 v[105:106], v[89:90], v[136:137], -v[105:106]
	v_mul_f64 v[97:98], v[85:86], v[109:110]
	v_fma_f64 v[101:102], v[91:92], v[136:137], v[101:102]
	ds_read_b128 v[89:92], v131 offset:1216
	v_add_f64 v[93:94], v[93:94], v[103:104]
	v_add_f64 v[95:96], v[95:96], v[99:100]
	s_waitcnt vmcnt(23) lgkmcnt(1)
	v_mul_f64 v[103:104], v[3:4], v[142:143]
	v_mul_f64 v[99:100], v[1:2], v[142:143]
	s_waitcnt vmcnt(21)
	v_fma_f64 v[107:108], v[85:86], v[111:112], -v[107:108]
	v_fma_f64 v[97:98], v[87:88], v[111:112], v[97:98]
	ds_read_b128 v[85:88], v131 offset:1232
	v_add_f64 v[93:94], v[93:94], v[105:106]
	v_add_f64 v[95:96], v[95:96], v[101:102]
	s_waitcnt vmcnt(17) lgkmcnt(1)
	v_mul_f64 v[105:106], v[91:92], v[115:116]
	s_waitcnt vmcnt(16)
	v_fma_f64 v[103:104], v[1:2], v[146:147], -v[103:104]
	v_mul_f64 v[101:102], v[89:90], v[115:116]
	v_fma_f64 v[99:100], v[3:4], v[146:147], v[99:100]
	ds_read_b128 v[1:4], v131 offset:1248
	v_add_f64 v[93:94], v[93:94], v[107:108]
	v_add_f64 v[95:96], v[95:96], v[97:98]
	s_waitcnt vmcnt(15) lgkmcnt(1)
	v_mul_f64 v[107:108], v[87:88], v[150:151]
	v_mul_f64 v[97:98], v[85:86], v[150:151]
	s_waitcnt vmcnt(13)
	v_fma_f64 v[105:106], v[89:90], v[132:133], -v[105:106]
	v_fma_f64 v[101:102], v[91:92], v[132:133], v[101:102]
	ds_read_b128 v[89:92], v131 offset:1264
	v_add_f64 v[93:94], v[93:94], v[103:104]
	v_add_f64 v[95:96], v[95:96], v[99:100]
	s_waitcnt vmcnt(9) lgkmcnt(1)
	v_mul_f64 v[103:104], v[3:4], v[138:139]
	s_waitcnt vmcnt(8)
	v_fma_f64 v[85:86], v[85:86], v[154:155], -v[107:108]
	v_mul_f64 v[99:100], v[1:2], v[138:139]
	v_fma_f64 v[87:88], v[87:88], v[154:155], v[97:98]
	v_add_f64 v[93:94], v[93:94], v[105:106]
	v_add_f64 v[95:96], v[95:96], v[101:102]
	s_waitcnt vmcnt(7) lgkmcnt(0)
	v_mul_f64 v[101:102], v[91:92], v[160:161]
	v_mul_f64 v[97:98], v[89:90], v[160:161]
	s_waitcnt vmcnt(5)
	v_fma_f64 v[1:2], v[1:2], v[144:145], -v[103:104]
	v_fma_f64 v[3:4], v[3:4], v[144:145], v[99:100]
	v_add_f64 v[85:86], v[93:94], v[85:86]
	v_add_f64 v[87:88], v[95:96], v[87:88]
	s_waitcnt vmcnt(4)
	v_fma_f64 v[89:90], v[89:90], v[164:165], -v[101:102]
	v_add_f64 v[1:2], v[85:86], v[1:2]
	v_fma_f64 v[85:86], v[91:92], v[164:165], v[97:98]
	v_add_f64 v[3:4], v[87:88], v[3:4]
	v_add_f64 v[1:2], v[1:2], v[89:90]
	v_add_f64 v[3:4], v[3:4], v[85:86]
	s_waitcnt vmcnt(2)
	v_add_f64 v[1:2], v[148:149], -v[1:2]
	s_waitcnt vmcnt(0)
	v_add_f64 v[3:4], v[152:153], -v[3:4]
	buffer_store_dword v2, off, s[0:3], 0 offset:116
	buffer_store_dword v1, off, s[0:3], 0 offset:112
	;; [unrolled: 1-line block ×4, first 2 shown]
	v_cmpx_lt_u32_e32 5, v0
	s_cbranch_execz .LBB103_243
; %bb.242:
	v_mov_b32_e32 v4, s47
	s_clause 0x3
	buffer_load_dword v1, v4, s[0:3], 0 offen
	buffer_load_dword v2, v4, s[0:3], 0 offen offset:4
	buffer_load_dword v3, v4, s[0:3], 0 offen offset:8
	;; [unrolled: 1-line block ×3, first 2 shown]
	buffer_store_dword v131, off, s[0:3], 0 offset:96
	buffer_store_dword v131, off, s[0:3], 0 offset:100
	;; [unrolled: 1-line block ×4, first 2 shown]
	s_waitcnt vmcnt(0)
	ds_write_b128 v141, v[1:4]
.LBB103_243:
	s_or_b32 exec_lo, exec_lo, s4
	s_waitcnt lgkmcnt(0)
	s_waitcnt_vscnt null, 0x0
	s_barrier
	buffer_gl0_inv
	s_clause 0x37
	buffer_load_dword v89, off, s[0:3], 0 offset:120
	buffer_load_dword v90, off, s[0:3], 0 offset:124
	;; [unrolled: 1-line block ×56, first 2 shown]
	ds_read_b128 v[132:135], v131 offset:736
	s_clause 0x2
	buffer_load_dword v153, off, s[0:3], 0 offset:348
	buffer_load_dword v155, off, s[0:3], 0 offset:324
	;; [unrolled: 1-line block ×3, first 2 shown]
	ds_read_b128 v[136:139], v131 offset:752
	s_clause 0x4
	buffer_load_dword v159, off, s[0:3], 0 offset:364
	buffer_load_dword v160, off, s[0:3], 0 offset:376
	;; [unrolled: 1-line block ×5, first 2 shown]
	ds_read_b128 v[142:145], v131 offset:768
	s_clause 0x2
	buffer_load_dword v161, off, s[0:3], 0 offset:380
	buffer_load_dword v166, off, s[0:3], 0 offset:356
	;; [unrolled: 1-line block ×3, first 2 shown]
	s_mov_b32 s4, exec_lo
	s_waitcnt vmcnt(62) lgkmcnt(2)
	v_mul_f64 v[156:157], v[134:135], v[89:90]
	v_mul_f64 v[89:90], v[132:133], v[89:90]
	s_waitcnt lgkmcnt(1)
	v_mul_f64 v[163:164], v[138:139], v[85:86]
	s_waitcnt vmcnt(59) lgkmcnt(0)
	v_mul_f64 v[167:168], v[144:145], v[3:4]
	v_fma_f64 v[132:133], v[132:133], v[87:88], -v[156:157]
	v_mul_f64 v[156:157], v[136:137], v[85:86]
	v_fma_f64 v[89:90], v[134:135], v[87:88], v[89:90]
	s_waitcnt vmcnt(57)
	v_fma_f64 v[136:137], v[136:137], v[1:2], -v[163:164]
	ds_read_b128 v[85:88], v131 offset:784
	v_mul_f64 v[134:135], v[142:143], v[3:4]
	s_waitcnt vmcnt(51)
	v_fma_f64 v[142:143], v[142:143], v[105:106], -v[167:168]
	v_add_f64 v[132:133], v[132:133], 0
	v_fma_f64 v[138:139], v[138:139], v[1:2], v[156:157]
	v_add_f64 v[89:90], v[89:90], 0
	s_clause 0x4
	buffer_load_dword v157, off, s[0:3], 0 offset:396
	buffer_load_dword v169, off, s[0:3], 0 offset:408
	;; [unrolled: 1-line block ×5, first 2 shown]
	s_waitcnt lgkmcnt(0)
	v_mul_f64 v[172:173], v[85:86], v[93:94]
	v_mul_f64 v[93:94], v[87:88], v[93:94]
	ds_read_b128 v[1:4], v131 offset:800
	v_fma_f64 v[105:106], v[144:145], v[105:106], v[134:135]
	v_add_f64 v[136:137], v[132:133], v[136:137]
	v_add_f64 v[89:90], v[89:90], v[138:139]
	s_clause 0x2
	buffer_load_dword v170, off, s[0:3], 0 offset:412
	buffer_load_dword v139, off, s[0:3], 0 offset:388
	;; [unrolled: 1-line block ×3, first 2 shown]
	s_waitcnt vmcnt(58) lgkmcnt(0)
	v_mul_f64 v[144:145], v[1:2], v[97:98]
	v_mul_f64 v[97:98], v[3:4], v[97:98]
	s_waitcnt vmcnt(56)
	v_fma_f64 v[93:94], v[85:86], v[99:100], -v[93:94]
	ds_read_b128 v[132:135], v131 offset:816
	v_fma_f64 v[99:100], v[87:88], v[99:100], v[172:173]
	v_add_f64 v[136:137], v[136:137], v[142:143]
	v_add_f64 v[89:90], v[89:90], v[105:106]
	s_clause 0x4
	buffer_load_dword v106, off, s[0:3], 0 offset:428
	buffer_load_dword v142, off, s[0:3], 0 offset:440
	;; [unrolled: 1-line block ×5, first 2 shown]
	ds_read_b128 v[85:88], v131 offset:832
	s_waitcnt vmcnt(57) lgkmcnt(1)
	v_mul_f64 v[173:174], v[132:133], v[101:102]
	v_mul_f64 v[101:102], v[134:135], v[101:102]
	s_waitcnt vmcnt(56)
	v_fma_f64 v[97:98], v[1:2], v[91:92], -v[97:98]
	v_fma_f64 v[91:92], v[3:4], v[91:92], v[144:145]
	v_add_f64 v[93:94], v[136:137], v[93:94]
	v_add_f64 v[89:90], v[89:90], v[99:100]
	s_clause 0x2
	buffer_load_dword v143, off, s[0:3], 0 offset:444
	buffer_load_dword v100, off, s[0:3], 0 offset:420
	;; [unrolled: 1-line block ×3, first 2 shown]
	s_waitcnt vmcnt(58) lgkmcnt(0)
	v_mul_f64 v[136:137], v[85:86], v[107:108]
	v_mul_f64 v[107:108], v[87:88], v[107:108]
	s_waitcnt vmcnt(56)
	v_fma_f64 v[101:102], v[132:133], v[109:110], -v[101:102]
	ds_read_b128 v[1:4], v131 offset:848
	v_add_f64 v[93:94], v[93:94], v[97:98]
	v_fma_f64 v[97:98], v[134:135], v[109:110], v[173:174]
	v_add_f64 v[109:110], v[89:90], v[91:92]
	s_clause 0x4
	buffer_load_dword v133, off, s[0:3], 0 offset:460
	buffer_load_dword v134, off, s[0:3], 0 offset:472
	;; [unrolled: 1-line block ×5, first 2 shown]
	ds_read_b128 v[89:92], v131 offset:864
	s_waitcnt vmcnt(57) lgkmcnt(1)
	v_mul_f64 v[173:174], v[1:2], v[111:112]
	v_mul_f64 v[111:112], v[3:4], v[111:112]
	s_waitcnt vmcnt(56)
	v_fma_f64 v[107:108], v[85:86], v[95:96], -v[107:108]
	v_fma_f64 v[95:96], v[87:88], v[95:96], v[136:137]
	v_add_f64 v[93:94], v[93:94], v[101:102]
	s_clause 0x2
	buffer_load_dword v135, off, s[0:3], 0 offset:476
	buffer_load_dword v102, off, s[0:3], 0 offset:452
	buffer_load_dword v101, off, s[0:3], 0 offset:448
	v_add_f64 v[97:98], v[109:110], v[97:98]
	s_waitcnt vmcnt(58) lgkmcnt(0)
	v_mul_f64 v[109:110], v[89:90], v[115:116]
	v_mul_f64 v[115:116], v[91:92], v[115:116]
	ds_read_b128 v[85:88], v131 offset:880
	s_waitcnt vmcnt(56)
	v_fma_f64 v[111:112], v[1:2], v[117:118], -v[111:112]
	v_add_f64 v[93:94], v[93:94], v[107:108]
	v_fma_f64 v[107:108], v[3:4], v[117:118], v[173:174]
	v_add_f64 v[95:96], v[97:98], v[95:96]
	s_clause 0x4
	buffer_load_dword v98, off, s[0:3], 0 offset:492
	buffer_load_dword v117, off, s[0:3], 0 offset:504
	;; [unrolled: 1-line block ×5, first 2 shown]
	s_waitcnt vmcnt(57) lgkmcnt(0)
	v_mul_f64 v[173:174], v[85:86], v[119:120]
	v_mul_f64 v[119:120], v[87:88], v[119:120]
	s_waitcnt vmcnt(56)
	v_fma_f64 v[115:116], v[89:90], v[103:104], -v[115:116]
	ds_read_b128 v[1:4], v131 offset:896
	v_fma_f64 v[103:104], v[91:92], v[103:104], v[109:110]
	v_add_f64 v[93:94], v[93:94], v[111:112]
	v_add_f64 v[95:96], v[95:96], v[107:108]
	s_clause 0x2
	buffer_load_dword v118, off, s[0:3], 0 offset:508
	buffer_load_dword v108, off, s[0:3], 0 offset:484
	;; [unrolled: 1-line block ×3, first 2 shown]
	ds_read_b128 v[89:92], v131 offset:912
	s_waitcnt vmcnt(58) lgkmcnt(1)
	v_mul_f64 v[111:112], v[3:4], v[123:124]
	s_waitcnt vmcnt(56)
	v_fma_f64 v[119:120], v[85:86], v[125:126], -v[119:120]
	v_mul_f64 v[109:110], v[1:2], v[123:124]
	v_add_f64 v[93:94], v[93:94], v[115:116]
	v_fma_f64 v[115:116], v[87:88], v[125:126], v[173:174]
	v_add_f64 v[95:96], v[95:96], v[103:104]
	s_clause 0x4
	buffer_load_dword v104, off, s[0:3], 0 offset:524
	buffer_load_dword v123, off, s[0:3], 0 offset:536
	;; [unrolled: 1-line block ×5, first 2 shown]
	s_waitcnt vmcnt(57) lgkmcnt(0)
	v_mul_f64 v[173:174], v[89:90], v[127:128]
	v_mul_f64 v[126:127], v[91:92], v[127:128]
	s_waitcnt vmcnt(56)
	v_fma_f64 v[111:112], v[1:2], v[113:114], -v[111:112]
	ds_read_b128 v[85:88], v131 offset:928
	v_fma_f64 v[109:110], v[3:4], v[113:114], v[109:110]
	s_clause 0x2
	buffer_load_dword v124, off, s[0:3], 0 offset:540
	buffer_load_dword v114, off, s[0:3], 0 offset:516
	;; [unrolled: 1-line block ×3, first 2 shown]
	ds_read_b128 v[1:4], v131 offset:944
	v_add_f64 v[93:94], v[93:94], v[119:120]
	v_add_f64 v[95:96], v[95:96], v[115:116]
	s_waitcnt vmcnt(58) lgkmcnt(1)
	v_mul_f64 v[119:120], v[87:88], v[146:147]
	s_waitcnt vmcnt(56)
	v_fma_f64 v[127:128], v[89:90], v[148:149], -v[126:127]
	v_mul_f64 v[115:116], v[85:86], v[146:147]
	v_add_f64 v[93:94], v[93:94], v[111:112]
	v_fma_f64 v[111:112], v[91:92], v[148:149], v[173:174]
	v_add_f64 v[95:96], v[95:96], v[109:110]
	s_clause 0x4
	buffer_load_dword v110, off, s[0:3], 0 offset:556
	buffer_load_dword v146, off, s[0:3], 0 offset:568
	;; [unrolled: 1-line block ×5, first 2 shown]
	s_waitcnt vmcnt(57) lgkmcnt(0)
	v_mul_f64 v[173:174], v[1:2], v[150:151]
	v_mul_f64 v[149:150], v[3:4], v[150:151]
	s_waitcnt vmcnt(56)
	v_fma_f64 v[119:120], v[85:86], v[121:122], -v[119:120]
	ds_read_b128 v[89:92], v131 offset:960
	v_fma_f64 v[115:116], v[87:88], v[121:122], v[115:116]
	v_add_f64 v[93:94], v[93:94], v[127:128]
	v_add_f64 v[95:96], v[95:96], v[111:112]
	s_clause 0x2
	buffer_load_dword v147, off, s[0:3], 0 offset:572
	buffer_load_dword v112, off, s[0:3], 0 offset:548
	;; [unrolled: 1-line block ×3, first 2 shown]
	ds_read_b128 v[85:88], v131 offset:976
	s_waitcnt vmcnt(58) lgkmcnt(1)
	v_mul_f64 v[127:128], v[91:92], v[152:153]
	s_waitcnt vmcnt(56)
	v_fma_f64 v[150:151], v[1:2], v[154:155], -v[149:150]
	v_mul_f64 v[121:122], v[89:90], v[152:153]
	v_add_f64 v[93:94], v[93:94], v[119:120]
	v_fma_f64 v[119:120], v[3:4], v[154:155], v[173:174]
	v_add_f64 v[95:96], v[95:96], v[115:116]
	s_clause 0x4
	buffer_load_dword v116, off, s[0:3], 0 offset:588
	buffer_load_dword v152, off, s[0:3], 0 offset:600
	;; [unrolled: 1-line block ×5, first 2 shown]
	s_waitcnt vmcnt(57) lgkmcnt(0)
	v_mul_f64 v[173:174], v[85:86], v[158:159]
	v_mul_f64 v[158:159], v[87:88], v[158:159]
	s_waitcnt vmcnt(56)
	v_fma_f64 v[127:128], v[89:90], v[129:130], -v[127:128]
	ds_read_b128 v[1:4], v131 offset:992
	v_fma_f64 v[121:122], v[91:92], v[129:130], v[121:122]
	v_add_f64 v[93:94], v[93:94], v[150:151]
	v_add_f64 v[95:96], v[95:96], v[119:120]
	s_clause 0x2
	buffer_load_dword v153, off, s[0:3], 0 offset:604
	buffer_load_dword v120, off, s[0:3], 0 offset:580
	;; [unrolled: 1-line block ×3, first 2 shown]
	ds_read_b128 v[89:92], v131 offset:1008
	s_waitcnt vmcnt(58) lgkmcnt(1)
	v_mul_f64 v[150:151], v[3:4], v[160:161]
	s_waitcnt vmcnt(56)
	v_fma_f64 v[158:159], v[85:86], v[165:166], -v[158:159]
	v_mul_f64 v[129:130], v[1:2], v[160:161]
	v_add_f64 v[93:94], v[93:94], v[127:128]
	v_fma_f64 v[127:128], v[87:88], v[165:166], v[173:174]
	v_add_f64 v[95:96], v[95:96], v[121:122]
	s_clause 0x4
	buffer_load_dword v122, off, s[0:3], 0 offset:620
	buffer_load_dword v160, off, s[0:3], 0 offset:632
	;; [unrolled: 1-line block ×5, first 2 shown]
	ds_read_b128 v[85:88], v131 offset:1024
	s_waitcnt vmcnt(57) lgkmcnt(1)
	v_mul_f64 v[165:166], v[89:90], v[156:157]
	v_mul_f64 v[156:157], v[91:92], v[156:157]
	s_waitcnt vmcnt(56)
	v_fma_f64 v[150:151], v[1:2], v[162:163], -v[150:151]
	v_fma_f64 v[129:130], v[3:4], v[162:163], v[129:130]
	v_add_f64 v[93:94], v[93:94], v[158:159]
	v_add_f64 v[95:96], v[95:96], v[127:128]
	s_clause 0x2
	buffer_load_dword v161, off, s[0:3], 0 offset:636
	buffer_load_dword v128, off, s[0:3], 0 offset:612
	;; [unrolled: 1-line block ×3, first 2 shown]
	ds_read_b128 v[1:4], v131 offset:1040
	s_waitcnt vmcnt(58) lgkmcnt(1)
	v_mul_f64 v[162:163], v[87:88], v[169:170]
	v_mul_f64 v[158:159], v[85:86], v[169:170]
	s_waitcnt vmcnt(56)
	v_fma_f64 v[156:157], v[89:90], v[138:139], -v[156:157]
	v_fma_f64 v[138:139], v[91:92], v[138:139], v[165:166]
	v_add_f64 v[93:94], v[93:94], v[150:151]
	v_add_f64 v[95:96], v[95:96], v[129:130]
	s_clause 0x2
	buffer_load_dword v130, off, s[0:3], 0 offset:652
	buffer_load_dword v129, off, s[0:3], 0 offset:648
	;; [unrolled: 1-line block ×3, first 2 shown]
	ds_read_b128 v[89:92], v131 offset:1056
	s_waitcnt vmcnt(55) lgkmcnt(1)
	v_mul_f64 v[150:151], v[1:2], v[105:106]
	v_mul_f64 v[105:106], v[3:4], v[105:106]
	s_waitcnt vmcnt(54)
	v_fma_f64 v[162:163], v[85:86], v[171:172], -v[162:163]
	v_add_f64 v[93:94], v[93:94], v[156:157]
	v_fma_f64 v[156:157], v[87:88], v[171:172], v[158:159]
	v_add_f64 v[95:96], v[95:96], v[138:139]
	s_clause 0x1
	buffer_load_dword v139, off, s[0:3], 0 offset:644
	buffer_load_dword v138, off, s[0:3], 0 offset:640
	ds_read_b128 v[85:88], v131 offset:1072
	s_waitcnt vmcnt(55) lgkmcnt(1)
	v_mul_f64 v[158:159], v[89:90], v[142:143]
	v_mul_f64 v[142:143], v[91:92], v[142:143]
	s_waitcnt vmcnt(53)
	v_fma_f64 v[105:106], v[1:2], v[99:100], -v[105:106]
	v_fma_f64 v[99:100], v[3:4], v[99:100], v[150:151]
	ds_read_b128 v[1:4], v131 offset:1088
	v_add_f64 v[93:94], v[93:94], v[162:163]
	v_add_f64 v[95:96], v[95:96], v[156:157]
	s_waitcnt vmcnt(49) lgkmcnt(1)
	v_mul_f64 v[150:151], v[85:86], v[132:133]
	v_mul_f64 v[132:133], v[87:88], v[132:133]
	s_waitcnt vmcnt(48)
	v_fma_f64 v[142:143], v[89:90], v[167:168], -v[142:143]
	v_add_f64 v[93:94], v[93:94], v[105:106]
	v_fma_f64 v[105:106], v[91:92], v[167:168], v[158:159]
	v_add_f64 v[95:96], v[95:96], v[99:100]
	s_clause 0x3
	buffer_load_dword v99, off, s[0:3], 0 offset:96
	buffer_load_dword v100, off, s[0:3], 0 offset:100
	;; [unrolled: 1-line block ×4, first 2 shown]
	ds_read_b128 v[89:92], v131 offset:1104
	s_waitcnt vmcnt(51) lgkmcnt(1)
	v_mul_f64 v[158:159], v[1:2], v[134:135]
	v_mul_f64 v[134:135], v[3:4], v[134:135]
	s_waitcnt vmcnt(49)
	v_fma_f64 v[132:133], v[85:86], v[101:102], -v[132:133]
	v_fma_f64 v[101:102], v[87:88], v[101:102], v[150:151]
	ds_read_b128 v[85:88], v131 offset:1120
	v_add_f64 v[93:94], v[93:94], v[142:143]
	v_add_f64 v[95:96], v[95:96], v[105:106]
	s_waitcnt vmcnt(45) lgkmcnt(1)
	v_mul_f64 v[105:106], v[89:90], v[97:98]
	v_mul_f64 v[97:98], v[91:92], v[97:98]
	s_waitcnt vmcnt(44)
	v_fma_f64 v[134:135], v[1:2], v[144:145], -v[134:135]
	v_add_f64 v[93:94], v[93:94], v[132:133]
	v_fma_f64 v[132:133], v[3:4], v[144:145], v[158:159]
	v_add_f64 v[95:96], v[95:96], v[101:102]
	ds_read_b128 v[1:4], v131 offset:1136
	s_waitcnt vmcnt(43) lgkmcnt(1)
	v_mul_f64 v[101:102], v[85:86], v[117:118]
	v_mul_f64 v[117:118], v[87:88], v[117:118]
	s_waitcnt vmcnt(41)
	v_fma_f64 v[97:98], v[89:90], v[107:108], -v[97:98]
	v_fma_f64 v[105:106], v[91:92], v[107:108], v[105:106]
	ds_read_b128 v[89:92], v131 offset:1152
	v_add_f64 v[93:94], v[93:94], v[134:135]
	v_add_f64 v[95:96], v[95:96], v[132:133]
	s_waitcnt vmcnt(37) lgkmcnt(1)
	v_mul_f64 v[107:108], v[1:2], v[103:104]
	v_mul_f64 v[103:104], v[3:4], v[103:104]
	s_waitcnt vmcnt(36)
	v_fma_f64 v[117:118], v[85:86], v[136:137], -v[117:118]
	v_add_f64 v[93:94], v[93:94], v[97:98]
	v_fma_f64 v[97:98], v[87:88], v[136:137], v[101:102]
	v_add_f64 v[95:96], v[95:96], v[105:106]
	s_waitcnt vmcnt(35) lgkmcnt(0)
	v_mul_f64 v[105:106], v[91:92], v[123:124]
	ds_read_b128 v[85:88], v131 offset:1168
	v_mul_f64 v[101:102], v[89:90], v[123:124]
	s_waitcnt vmcnt(33)
	v_fma_f64 v[107:108], v[3:4], v[113:114], v[107:108]
	v_fma_f64 v[103:104], v[1:2], v[113:114], -v[103:104]
	ds_read_b128 v[1:4], v131 offset:1184
	v_add_f64 v[93:94], v[93:94], v[117:118]
	v_add_f64 v[95:96], v[95:96], v[97:98]
	s_waitcnt vmcnt(29) lgkmcnt(1)
	v_mul_f64 v[97:98], v[85:86], v[109:110]
	v_mul_f64 v[109:110], v[87:88], v[109:110]
	s_waitcnt vmcnt(28)
	v_fma_f64 v[105:106], v[89:90], v[125:126], -v[105:106]
	v_fma_f64 v[101:102], v[91:92], v[125:126], v[101:102]
	ds_read_b128 v[89:92], v131 offset:1200
	v_add_f64 v[93:94], v[93:94], v[103:104]
	v_add_f64 v[95:96], v[95:96], v[107:108]
	s_waitcnt vmcnt(27) lgkmcnt(1)
	v_mul_f64 v[107:108], v[3:4], v[146:147]
	v_mul_f64 v[103:104], v[1:2], v[146:147]
	s_waitcnt vmcnt(25)
	v_fma_f64 v[109:110], v[85:86], v[111:112], -v[109:110]
	v_fma_f64 v[97:98], v[87:88], v[111:112], v[97:98]
	ds_read_b128 v[85:88], v131 offset:1216
	v_add_f64 v[93:94], v[93:94], v[105:106]
	v_add_f64 v[95:96], v[95:96], v[101:102]
	s_waitcnt vmcnt(21) lgkmcnt(1)
	v_mul_f64 v[105:106], v[91:92], v[115:116]
	s_waitcnt vmcnt(20)
	v_fma_f64 v[107:108], v[1:2], v[148:149], -v[107:108]
	v_mul_f64 v[101:102], v[89:90], v[115:116]
	v_fma_f64 v[103:104], v[3:4], v[148:149], v[103:104]
	ds_read_b128 v[1:4], v131 offset:1232
	v_add_f64 v[93:94], v[93:94], v[109:110]
	v_add_f64 v[95:96], v[95:96], v[97:98]
	s_waitcnt vmcnt(19) lgkmcnt(1)
	v_mul_f64 v[109:110], v[87:88], v[152:153]
	v_mul_f64 v[97:98], v[85:86], v[152:153]
	s_waitcnt vmcnt(17)
	v_fma_f64 v[105:106], v[89:90], v[119:120], -v[105:106]
	v_fma_f64 v[101:102], v[91:92], v[119:120], v[101:102]
	ds_read_b128 v[89:92], v131 offset:1248
	v_add_f64 v[93:94], v[93:94], v[107:108]
	v_add_f64 v[95:96], v[95:96], v[103:104]
	s_waitcnt vmcnt(13) lgkmcnt(1)
	v_mul_f64 v[107:108], v[3:4], v[121:122]
	s_waitcnt vmcnt(12)
	v_fma_f64 v[109:110], v[85:86], v[154:155], -v[109:110]
	v_mul_f64 v[103:104], v[1:2], v[121:122]
	v_fma_f64 v[97:98], v[87:88], v[154:155], v[97:98]
	ds_read_b128 v[85:88], v131 offset:1264
	v_add_f64 v[93:94], v[93:94], v[105:106]
	v_add_f64 v[95:96], v[95:96], v[101:102]
	s_waitcnt vmcnt(11) lgkmcnt(1)
	v_mul_f64 v[105:106], v[91:92], v[160:161]
	v_mul_f64 v[101:102], v[89:90], v[160:161]
	s_waitcnt vmcnt(9)
	v_fma_f64 v[1:2], v[1:2], v[127:128], -v[107:108]
	v_fma_f64 v[3:4], v[3:4], v[127:128], v[103:104]
	v_add_f64 v[93:94], v[93:94], v[109:110]
	v_add_f64 v[95:96], v[95:96], v[97:98]
	s_waitcnt vmcnt(7) lgkmcnt(0)
	v_mul_f64 v[103:104], v[87:88], v[129:130]
	s_waitcnt vmcnt(6)
	v_fma_f64 v[89:90], v[89:90], v[164:165], -v[105:106]
	v_mul_f64 v[97:98], v[85:86], v[129:130]
	v_fma_f64 v[91:92], v[91:92], v[164:165], v[101:102]
	v_add_f64 v[1:2], v[93:94], v[1:2]
	v_add_f64 v[3:4], v[95:96], v[3:4]
	s_waitcnt vmcnt(4)
	v_fma_f64 v[85:86], v[85:86], v[138:139], -v[103:104]
	v_fma_f64 v[87:88], v[87:88], v[138:139], v[97:98]
	v_add_f64 v[1:2], v[1:2], v[89:90]
	v_add_f64 v[3:4], v[3:4], v[91:92]
	;; [unrolled: 1-line block ×4, first 2 shown]
	s_waitcnt vmcnt(2)
	v_add_f64 v[1:2], v[99:100], -v[1:2]
	s_waitcnt vmcnt(0)
	v_add_f64 v[3:4], v[156:157], -v[3:4]
	buffer_store_dword v2, off, s[0:3], 0 offset:100
	buffer_store_dword v1, off, s[0:3], 0 offset:96
	;; [unrolled: 1-line block ×4, first 2 shown]
	v_cmpx_lt_u32_e32 4, v0
	s_cbranch_execz .LBB103_245
; %bb.244:
	v_mov_b32_e32 v4, s48
	v_mov_b32_e32 v85, 0
	s_clause 0x3
	buffer_load_dword v1, v4, s[0:3], 0 offen
	buffer_load_dword v2, v4, s[0:3], 0 offen offset:4
	buffer_load_dword v3, v4, s[0:3], 0 offen offset:8
	;; [unrolled: 1-line block ×3, first 2 shown]
	buffer_store_dword v85, off, s[0:3], 0 offset:80
	buffer_store_dword v85, off, s[0:3], 0 offset:84
	;; [unrolled: 1-line block ×4, first 2 shown]
	s_waitcnt vmcnt(0)
	ds_write_b128 v141, v[1:4]
.LBB103_245:
	s_or_b32 exec_lo, exec_lo, s4
	s_waitcnt lgkmcnt(0)
	s_waitcnt_vscnt null, 0x0
	s_barrier
	buffer_gl0_inv
	s_clause 0x37
	buffer_load_dword v89, off, s[0:3], 0 offset:104
	buffer_load_dword v90, off, s[0:3], 0 offset:108
	;; [unrolled: 1-line block ×56, first 2 shown]
	v_mov_b32_e32 v142, 0
	s_mov_b32 s4, exec_lo
	ds_read_b128 v[143:146], v142 offset:720
	s_clause 0x2
	buffer_load_dword v138, off, s[0:3], 0 offset:332
	buffer_load_dword v140, off, s[0:3], 0 offset:308
	;; [unrolled: 1-line block ×3, first 2 shown]
	ds_read_b128 v[147:150], v142 offset:736
	s_clause 0x4
	buffer_load_dword v158, off, s[0:3], 0 offset:348
	buffer_load_dword v159, off, s[0:3], 0 offset:360
	;; [unrolled: 1-line block ×5, first 2 shown]
	ds_read_b128 v[151:154], v142 offset:752
	s_clause 0x2
	buffer_load_dword v160, off, s[0:3], 0 offset:364
	buffer_load_dword v165, off, s[0:3], 0 offset:340
	;; [unrolled: 1-line block ×3, first 2 shown]
	s_waitcnt vmcnt(62) lgkmcnt(2)
	v_mul_f64 v[155:156], v[145:146], v[89:90]
	v_mul_f64 v[89:90], v[143:144], v[89:90]
	s_waitcnt lgkmcnt(1)
	v_mul_f64 v[162:163], v[149:150], v[85:86]
	s_waitcnt vmcnt(59) lgkmcnt(0)
	v_mul_f64 v[166:167], v[153:154], v[3:4]
	v_fma_f64 v[143:144], v[143:144], v[87:88], -v[155:156]
	v_mul_f64 v[155:156], v[147:148], v[85:86]
	v_fma_f64 v[89:90], v[145:146], v[87:88], v[89:90]
	s_waitcnt vmcnt(57)
	v_fma_f64 v[147:148], v[147:148], v[1:2], -v[162:163]
	ds_read_b128 v[85:88], v142 offset:768
	v_mul_f64 v[145:146], v[151:152], v[3:4]
	s_waitcnt vmcnt(51)
	v_fma_f64 v[151:152], v[151:152], v[105:106], -v[166:167]
	v_add_f64 v[143:144], v[143:144], 0
	v_fma_f64 v[149:150], v[149:150], v[1:2], v[155:156]
	v_add_f64 v[89:90], v[89:90], 0
	s_clause 0x4
	buffer_load_dword v156, off, s[0:3], 0 offset:380
	buffer_load_dword v168, off, s[0:3], 0 offset:392
	;; [unrolled: 1-line block ×5, first 2 shown]
	s_waitcnt lgkmcnt(0)
	v_mul_f64 v[171:172], v[85:86], v[93:94]
	v_mul_f64 v[93:94], v[87:88], v[93:94]
	ds_read_b128 v[1:4], v142 offset:784
	v_fma_f64 v[105:106], v[153:154], v[105:106], v[145:146]
	v_add_f64 v[147:148], v[143:144], v[147:148]
	v_add_f64 v[89:90], v[89:90], v[149:150]
	s_clause 0x2
	buffer_load_dword v169, off, s[0:3], 0 offset:396
	buffer_load_dword v150, off, s[0:3], 0 offset:372
	;; [unrolled: 1-line block ×3, first 2 shown]
	s_waitcnt vmcnt(58) lgkmcnt(0)
	v_mul_f64 v[153:154], v[1:2], v[97:98]
	v_mul_f64 v[97:98], v[3:4], v[97:98]
	s_waitcnt vmcnt(56)
	v_fma_f64 v[93:94], v[85:86], v[99:100], -v[93:94]
	ds_read_b128 v[143:146], v142 offset:800
	v_fma_f64 v[99:100], v[87:88], v[99:100], v[171:172]
	v_add_f64 v[147:148], v[147:148], v[151:152]
	v_add_f64 v[89:90], v[89:90], v[105:106]
	s_clause 0x4
	buffer_load_dword v106, off, s[0:3], 0 offset:412
	buffer_load_dword v151, off, s[0:3], 0 offset:424
	;; [unrolled: 1-line block ×5, first 2 shown]
	ds_read_b128 v[85:88], v142 offset:816
	s_waitcnt vmcnt(57) lgkmcnt(1)
	v_mul_f64 v[172:173], v[143:144], v[101:102]
	v_mul_f64 v[101:102], v[145:146], v[101:102]
	s_waitcnt vmcnt(56)
	v_fma_f64 v[97:98], v[1:2], v[91:92], -v[97:98]
	v_fma_f64 v[91:92], v[3:4], v[91:92], v[153:154]
	v_add_f64 v[93:94], v[147:148], v[93:94]
	v_add_f64 v[89:90], v[89:90], v[99:100]
	s_clause 0x2
	buffer_load_dword v152, off, s[0:3], 0 offset:428
	buffer_load_dword v100, off, s[0:3], 0 offset:404
	;; [unrolled: 1-line block ×3, first 2 shown]
	s_waitcnt vmcnt(58) lgkmcnt(0)
	v_mul_f64 v[147:148], v[85:86], v[107:108]
	v_mul_f64 v[107:108], v[87:88], v[107:108]
	s_waitcnt vmcnt(56)
	v_fma_f64 v[101:102], v[143:144], v[109:110], -v[101:102]
	ds_read_b128 v[1:4], v142 offset:832
	v_add_f64 v[93:94], v[93:94], v[97:98]
	v_fma_f64 v[97:98], v[145:146], v[109:110], v[172:173]
	v_add_f64 v[109:110], v[89:90], v[91:92]
	s_clause 0x4
	buffer_load_dword v144, off, s[0:3], 0 offset:444
	buffer_load_dword v145, off, s[0:3], 0 offset:456
	;; [unrolled: 1-line block ×5, first 2 shown]
	ds_read_b128 v[89:92], v142 offset:848
	s_waitcnt vmcnt(57) lgkmcnt(1)
	v_mul_f64 v[172:173], v[1:2], v[111:112]
	v_mul_f64 v[111:112], v[3:4], v[111:112]
	s_waitcnt vmcnt(56)
	v_fma_f64 v[107:108], v[85:86], v[95:96], -v[107:108]
	v_fma_f64 v[95:96], v[87:88], v[95:96], v[147:148]
	v_add_f64 v[93:94], v[93:94], v[101:102]
	s_clause 0x2
	buffer_load_dword v146, off, s[0:3], 0 offset:460
	buffer_load_dword v102, off, s[0:3], 0 offset:436
	;; [unrolled: 1-line block ×3, first 2 shown]
	v_add_f64 v[97:98], v[109:110], v[97:98]
	s_waitcnt vmcnt(58) lgkmcnt(0)
	v_mul_f64 v[109:110], v[89:90], v[115:116]
	v_mul_f64 v[115:116], v[91:92], v[115:116]
	ds_read_b128 v[85:88], v142 offset:864
	s_waitcnt vmcnt(56)
	v_fma_f64 v[111:112], v[1:2], v[117:118], -v[111:112]
	v_add_f64 v[93:94], v[93:94], v[107:108]
	v_fma_f64 v[107:108], v[3:4], v[117:118], v[172:173]
	v_add_f64 v[95:96], v[97:98], v[95:96]
	s_clause 0x4
	buffer_load_dword v98, off, s[0:3], 0 offset:476
	buffer_load_dword v117, off, s[0:3], 0 offset:488
	;; [unrolled: 1-line block ×5, first 2 shown]
	s_waitcnt vmcnt(57) lgkmcnt(0)
	v_mul_f64 v[172:173], v[85:86], v[119:120]
	v_mul_f64 v[119:120], v[87:88], v[119:120]
	s_waitcnt vmcnt(56)
	v_fma_f64 v[115:116], v[89:90], v[103:104], -v[115:116]
	ds_read_b128 v[1:4], v142 offset:880
	v_fma_f64 v[103:104], v[91:92], v[103:104], v[109:110]
	v_add_f64 v[93:94], v[93:94], v[111:112]
	v_add_f64 v[95:96], v[95:96], v[107:108]
	s_clause 0x2
	buffer_load_dword v118, off, s[0:3], 0 offset:492
	buffer_load_dword v108, off, s[0:3], 0 offset:468
	;; [unrolled: 1-line block ×3, first 2 shown]
	ds_read_b128 v[89:92], v142 offset:896
	s_waitcnt vmcnt(58) lgkmcnt(1)
	v_mul_f64 v[111:112], v[3:4], v[123:124]
	s_waitcnt vmcnt(56)
	v_fma_f64 v[119:120], v[85:86], v[125:126], -v[119:120]
	v_mul_f64 v[109:110], v[1:2], v[123:124]
	v_add_f64 v[93:94], v[93:94], v[115:116]
	v_fma_f64 v[115:116], v[87:88], v[125:126], v[172:173]
	v_add_f64 v[95:96], v[95:96], v[103:104]
	s_clause 0x4
	buffer_load_dword v104, off, s[0:3], 0 offset:508
	buffer_load_dword v123, off, s[0:3], 0 offset:520
	;; [unrolled: 1-line block ×5, first 2 shown]
	s_waitcnt vmcnt(57) lgkmcnt(0)
	v_mul_f64 v[172:173], v[89:90], v[127:128]
	v_mul_f64 v[126:127], v[91:92], v[127:128]
	s_waitcnt vmcnt(56)
	v_fma_f64 v[111:112], v[1:2], v[113:114], -v[111:112]
	ds_read_b128 v[85:88], v142 offset:912
	v_fma_f64 v[109:110], v[3:4], v[113:114], v[109:110]
	s_clause 0x2
	buffer_load_dword v124, off, s[0:3], 0 offset:524
	buffer_load_dword v114, off, s[0:3], 0 offset:500
	buffer_load_dword v113, off, s[0:3], 0 offset:496
	ds_read_b128 v[1:4], v142 offset:928
	v_add_f64 v[93:94], v[93:94], v[119:120]
	v_add_f64 v[95:96], v[95:96], v[115:116]
	s_waitcnt vmcnt(58) lgkmcnt(1)
	v_mul_f64 v[119:120], v[87:88], v[131:132]
	s_waitcnt vmcnt(56)
	v_fma_f64 v[127:128], v[89:90], v[133:134], -v[126:127]
	v_mul_f64 v[115:116], v[85:86], v[131:132]
	v_add_f64 v[93:94], v[93:94], v[111:112]
	v_fma_f64 v[111:112], v[91:92], v[133:134], v[172:173]
	v_add_f64 v[95:96], v[95:96], v[109:110]
	s_clause 0x4
	buffer_load_dword v110, off, s[0:3], 0 offset:540
	buffer_load_dword v131, off, s[0:3], 0 offset:552
	;; [unrolled: 1-line block ×5, first 2 shown]
	s_waitcnt vmcnt(57) lgkmcnt(0)
	v_mul_f64 v[172:173], v[1:2], v[135:136]
	v_mul_f64 v[134:135], v[3:4], v[135:136]
	s_waitcnt vmcnt(56)
	v_fma_f64 v[119:120], v[85:86], v[121:122], -v[119:120]
	ds_read_b128 v[89:92], v142 offset:944
	v_fma_f64 v[115:116], v[87:88], v[121:122], v[115:116]
	v_add_f64 v[93:94], v[93:94], v[127:128]
	v_add_f64 v[95:96], v[95:96], v[111:112]
	s_clause 0x2
	buffer_load_dword v132, off, s[0:3], 0 offset:556
	buffer_load_dword v112, off, s[0:3], 0 offset:532
	;; [unrolled: 1-line block ×3, first 2 shown]
	ds_read_b128 v[85:88], v142 offset:960
	s_waitcnt vmcnt(58) lgkmcnt(1)
	v_mul_f64 v[127:128], v[91:92], v[137:138]
	s_waitcnt vmcnt(56)
	v_fma_f64 v[135:136], v[1:2], v[139:140], -v[134:135]
	v_mul_f64 v[121:122], v[89:90], v[137:138]
	v_add_f64 v[93:94], v[93:94], v[119:120]
	v_fma_f64 v[119:120], v[3:4], v[139:140], v[172:173]
	v_add_f64 v[95:96], v[95:96], v[115:116]
	s_clause 0x4
	buffer_load_dword v116, off, s[0:3], 0 offset:572
	buffer_load_dword v137, off, s[0:3], 0 offset:584
	;; [unrolled: 1-line block ×5, first 2 shown]
	s_waitcnt vmcnt(57) lgkmcnt(0)
	v_mul_f64 v[172:173], v[85:86], v[157:158]
	v_mul_f64 v[157:158], v[87:88], v[157:158]
	s_waitcnt vmcnt(56)
	v_fma_f64 v[127:128], v[89:90], v[129:130], -v[127:128]
	ds_read_b128 v[1:4], v142 offset:976
	v_fma_f64 v[121:122], v[91:92], v[129:130], v[121:122]
	v_add_f64 v[93:94], v[93:94], v[135:136]
	v_add_f64 v[95:96], v[95:96], v[119:120]
	s_clause 0x2
	buffer_load_dword v138, off, s[0:3], 0 offset:588
	buffer_load_dword v120, off, s[0:3], 0 offset:564
	;; [unrolled: 1-line block ×3, first 2 shown]
	ds_read_b128 v[89:92], v142 offset:992
	s_waitcnt vmcnt(58) lgkmcnt(1)
	v_mul_f64 v[135:136], v[3:4], v[159:160]
	s_waitcnt vmcnt(56)
	v_fma_f64 v[157:158], v[85:86], v[164:165], -v[157:158]
	v_mul_f64 v[129:130], v[1:2], v[159:160]
	v_add_f64 v[93:94], v[93:94], v[127:128]
	v_fma_f64 v[127:128], v[87:88], v[164:165], v[172:173]
	v_add_f64 v[95:96], v[95:96], v[121:122]
	s_clause 0x4
	buffer_load_dword v122, off, s[0:3], 0 offset:604
	buffer_load_dword v159, off, s[0:3], 0 offset:616
	;; [unrolled: 1-line block ×5, first 2 shown]
	ds_read_b128 v[85:88], v142 offset:1008
	s_waitcnt vmcnt(57) lgkmcnt(1)
	v_mul_f64 v[164:165], v[89:90], v[155:156]
	v_mul_f64 v[155:156], v[91:92], v[155:156]
	s_waitcnt vmcnt(56)
	v_fma_f64 v[135:136], v[1:2], v[161:162], -v[135:136]
	v_fma_f64 v[129:130], v[3:4], v[161:162], v[129:130]
	v_add_f64 v[93:94], v[93:94], v[157:158]
	v_add_f64 v[95:96], v[95:96], v[127:128]
	s_clause 0x2
	buffer_load_dword v160, off, s[0:3], 0 offset:620
	buffer_load_dword v128, off, s[0:3], 0 offset:596
	;; [unrolled: 1-line block ×3, first 2 shown]
	ds_read_b128 v[1:4], v142 offset:1024
	s_waitcnt vmcnt(58) lgkmcnt(1)
	v_mul_f64 v[161:162], v[87:88], v[168:169]
	v_mul_f64 v[157:158], v[85:86], v[168:169]
	s_waitcnt vmcnt(56)
	v_fma_f64 v[155:156], v[89:90], v[149:150], -v[155:156]
	v_add_f64 v[93:94], v[93:94], v[135:136]
	v_fma_f64 v[135:136], v[91:92], v[149:150], v[164:165]
	v_add_f64 v[95:96], v[95:96], v[129:130]
	s_clause 0x4
	buffer_load_dword v130, off, s[0:3], 0 offset:636
	buffer_load_dword v149, off, s[0:3], 0 offset:648
	;; [unrolled: 1-line block ×5, first 2 shown]
	ds_read_b128 v[89:92], v142 offset:1040
	s_waitcnt vmcnt(57) lgkmcnt(1)
	v_mul_f64 v[172:173], v[1:2], v[105:106]
	v_mul_f64 v[105:106], v[3:4], v[105:106]
	s_waitcnt vmcnt(56)
	v_fma_f64 v[161:162], v[85:86], v[170:171], -v[161:162]
	v_add_f64 v[93:94], v[93:94], v[155:156]
	v_fma_f64 v[155:156], v[87:88], v[170:171], v[157:158]
	v_add_f64 v[95:96], v[95:96], v[135:136]
	s_clause 0x2
	buffer_load_dword v150, off, s[0:3], 0 offset:652
	buffer_load_dword v136, off, s[0:3], 0 offset:628
	;; [unrolled: 1-line block ×3, first 2 shown]
	ds_read_b128 v[85:88], v142 offset:1056
	buffer_load_dword v169, off, s[0:3], 0 offset:644
	s_waitcnt vmcnt(59) lgkmcnt(1)
	v_mul_f64 v[157:158], v[89:90], v[151:152]
	v_mul_f64 v[151:152], v[91:92], v[151:152]
	s_waitcnt vmcnt(57)
	v_fma_f64 v[105:106], v[1:2], v[99:100], -v[105:106]
	v_fma_f64 v[99:100], v[3:4], v[99:100], v[172:173]
	ds_read_b128 v[1:4], v142 offset:1072
	v_add_f64 v[93:94], v[93:94], v[161:162]
	v_add_f64 v[95:96], v[95:96], v[155:156]
	s_waitcnt vmcnt(53) lgkmcnt(1)
	v_mul_f64 v[155:156], v[85:86], v[143:144]
	v_mul_f64 v[143:144], v[87:88], v[143:144]
	s_waitcnt vmcnt(52)
	v_fma_f64 v[151:152], v[89:90], v[166:167], -v[151:152]
	v_add_f64 v[93:94], v[93:94], v[105:106]
	v_fma_f64 v[105:106], v[91:92], v[166:167], v[157:158]
	v_add_f64 v[95:96], v[95:96], v[99:100]
	ds_read_b128 v[89:92], v142 offset:1088
	s_waitcnt vmcnt(51) lgkmcnt(1)
	v_mul_f64 v[99:100], v[1:2], v[145:146]
	v_mul_f64 v[145:146], v[3:4], v[145:146]
	s_waitcnt vmcnt(49)
	v_fma_f64 v[143:144], v[85:86], v[101:102], -v[143:144]
	v_fma_f64 v[101:102], v[87:88], v[101:102], v[155:156]
	v_add_f64 v[93:94], v[93:94], v[151:152]
	v_add_f64 v[95:96], v[95:96], v[105:106]
	s_clause 0x3
	buffer_load_dword v105, off, s[0:3], 0 offset:80
	buffer_load_dword v106, off, s[0:3], 0 offset:84
	;; [unrolled: 1-line block ×4, first 2 shown]
	ds_read_b128 v[85:88], v142 offset:1104
	s_waitcnt vmcnt(49) lgkmcnt(1)
	v_mul_f64 v[155:156], v[89:90], v[97:98]
	v_mul_f64 v[97:98], v[91:92], v[97:98]
	s_waitcnt vmcnt(48)
	v_fma_f64 v[145:146], v[1:2], v[153:154], -v[145:146]
	v_fma_f64 v[99:100], v[3:4], v[153:154], v[99:100]
	ds_read_b128 v[1:4], v142 offset:1120
	v_add_f64 v[93:94], v[93:94], v[143:144]
	v_add_f64 v[95:96], v[95:96], v[101:102]
	s_waitcnt vmcnt(47) lgkmcnt(1)
	v_mul_f64 v[101:102], v[85:86], v[117:118]
	v_mul_f64 v[117:118], v[87:88], v[117:118]
	s_waitcnt vmcnt(45)
	v_fma_f64 v[97:98], v[89:90], v[107:108], -v[97:98]
	v_fma_f64 v[107:108], v[91:92], v[107:108], v[155:156]
	ds_read_b128 v[89:92], v142 offset:1136
	v_add_f64 v[93:94], v[93:94], v[145:146]
	v_add_f64 v[95:96], v[95:96], v[99:100]
	s_waitcnt vmcnt(41) lgkmcnt(1)
	v_mul_f64 v[99:100], v[1:2], v[103:104]
	v_mul_f64 v[103:104], v[3:4], v[103:104]
	s_waitcnt vmcnt(40)
	v_fma_f64 v[117:118], v[85:86], v[147:148], -v[117:118]
	v_add_f64 v[93:94], v[93:94], v[97:98]
	v_fma_f64 v[97:98], v[87:88], v[147:148], v[101:102]
	v_add_f64 v[95:96], v[95:96], v[107:108]
	ds_read_b128 v[85:88], v142 offset:1152
	s_waitcnt vmcnt(39) lgkmcnt(1)
	v_mul_f64 v[107:108], v[91:92], v[123:124]
	v_mul_f64 v[101:102], v[89:90], v[123:124]
	s_waitcnt vmcnt(37)
	v_fma_f64 v[99:100], v[3:4], v[113:114], v[99:100]
	v_fma_f64 v[103:104], v[1:2], v[113:114], -v[103:104]
	ds_read_b128 v[1:4], v142 offset:1168
	v_add_f64 v[93:94], v[93:94], v[117:118]
	v_add_f64 v[95:96], v[95:96], v[97:98]
	s_waitcnt vmcnt(33) lgkmcnt(1)
	v_mul_f64 v[97:98], v[85:86], v[109:110]
	v_mul_f64 v[109:110], v[87:88], v[109:110]
	s_waitcnt vmcnt(32)
	v_fma_f64 v[107:108], v[89:90], v[125:126], -v[107:108]
	v_fma_f64 v[101:102], v[91:92], v[125:126], v[101:102]
	ds_read_b128 v[89:92], v142 offset:1184
	v_add_f64 v[93:94], v[93:94], v[103:104]
	v_add_f64 v[95:96], v[95:96], v[99:100]
	s_waitcnt vmcnt(31) lgkmcnt(1)
	v_mul_f64 v[103:104], v[3:4], v[131:132]
	v_mul_f64 v[99:100], v[1:2], v[131:132]
	s_waitcnt vmcnt(29)
	v_fma_f64 v[109:110], v[85:86], v[111:112], -v[109:110]
	v_fma_f64 v[97:98], v[87:88], v[111:112], v[97:98]
	ds_read_b128 v[85:88], v142 offset:1200
	v_add_f64 v[93:94], v[93:94], v[107:108]
	v_add_f64 v[95:96], v[95:96], v[101:102]
	s_waitcnt vmcnt(25) lgkmcnt(1)
	v_mul_f64 v[107:108], v[91:92], v[115:116]
	s_waitcnt vmcnt(24)
	v_fma_f64 v[103:104], v[1:2], v[133:134], -v[103:104]
	v_mul_f64 v[101:102], v[89:90], v[115:116]
	v_fma_f64 v[99:100], v[3:4], v[133:134], v[99:100]
	ds_read_b128 v[1:4], v142 offset:1216
	v_add_f64 v[93:94], v[93:94], v[109:110]
	v_add_f64 v[95:96], v[95:96], v[97:98]
	s_waitcnt vmcnt(23) lgkmcnt(1)
	v_mul_f64 v[109:110], v[87:88], v[137:138]
	v_mul_f64 v[97:98], v[85:86], v[137:138]
	s_waitcnt vmcnt(21)
	v_fma_f64 v[107:108], v[89:90], v[119:120], -v[107:108]
	v_fma_f64 v[101:102], v[91:92], v[119:120], v[101:102]
	ds_read_b128 v[89:92], v142 offset:1232
	v_add_f64 v[93:94], v[93:94], v[103:104]
	v_add_f64 v[95:96], v[95:96], v[99:100]
	s_waitcnt vmcnt(17) lgkmcnt(1)
	v_mul_f64 v[103:104], v[3:4], v[121:122]
	s_waitcnt vmcnt(16)
	v_fma_f64 v[109:110], v[85:86], v[139:140], -v[109:110]
	v_mul_f64 v[99:100], v[1:2], v[121:122]
	;; [unrolled: 18-line block ×3, first 2 shown]
	v_fma_f64 v[91:92], v[91:92], v[163:164], v[101:102]
	v_add_f64 v[93:94], v[93:94], v[103:104]
	v_add_f64 v[95:96], v[95:96], v[99:100]
	s_waitcnt vmcnt(7) lgkmcnt(0)
	v_mul_f64 v[101:102], v[3:4], v[149:150]
	v_mul_f64 v[99:100], v[1:2], v[149:150]
	s_waitcnt vmcnt(5)
	v_fma_f64 v[85:86], v[85:86], v[135:136], -v[109:110]
	v_fma_f64 v[87:88], v[87:88], v[135:136], v[97:98]
	v_add_f64 v[89:90], v[93:94], v[89:90]
	v_add_f64 v[91:92], v[95:96], v[91:92]
	s_waitcnt vmcnt(4)
	v_fma_f64 v[1:2], v[1:2], v[168:169], -v[101:102]
	v_fma_f64 v[3:4], v[3:4], v[168:169], v[99:100]
	v_add_f64 v[85:86], v[89:90], v[85:86]
	v_add_f64 v[87:88], v[91:92], v[87:88]
	;; [unrolled: 1-line block ×4, first 2 shown]
	s_waitcnt vmcnt(2)
	v_add_f64 v[1:2], v[105:106], -v[1:2]
	s_waitcnt vmcnt(0)
	v_add_f64 v[3:4], v[151:152], -v[3:4]
	buffer_store_dword v2, off, s[0:3], 0 offset:84
	buffer_store_dword v1, off, s[0:3], 0 offset:80
	;; [unrolled: 1-line block ×4, first 2 shown]
	v_cmpx_lt_u32_e32 3, v0
	s_cbranch_execz .LBB103_247
; %bb.246:
	v_mov_b32_e32 v4, s49
	s_clause 0x3
	buffer_load_dword v1, v4, s[0:3], 0 offen
	buffer_load_dword v2, v4, s[0:3], 0 offen offset:4
	buffer_load_dword v3, v4, s[0:3], 0 offen offset:8
	;; [unrolled: 1-line block ×3, first 2 shown]
	buffer_store_dword v142, off, s[0:3], 0 offset:64
	buffer_store_dword v142, off, s[0:3], 0 offset:68
	;; [unrolled: 1-line block ×4, first 2 shown]
	s_waitcnt vmcnt(0)
	ds_write_b128 v141, v[1:4]
.LBB103_247:
	s_or_b32 exec_lo, exec_lo, s4
	s_waitcnt lgkmcnt(0)
	s_waitcnt_vscnt null, 0x0
	s_barrier
	buffer_gl0_inv
	s_clause 0x37
	buffer_load_dword v89, off, s[0:3], 0 offset:88
	buffer_load_dword v90, off, s[0:3], 0 offset:92
	;; [unrolled: 1-line block ×56, first 2 shown]
	ds_read_b128 v[143:146], v142 offset:704
	s_clause 0x2
	buffer_load_dword v138, off, s[0:3], 0 offset:316
	buffer_load_dword v140, off, s[0:3], 0 offset:292
	;; [unrolled: 1-line block ×3, first 2 shown]
	ds_read_b128 v[147:150], v142 offset:720
	s_clause 0x4
	buffer_load_dword v158, off, s[0:3], 0 offset:332
	buffer_load_dword v159, off, s[0:3], 0 offset:344
	;; [unrolled: 1-line block ×5, first 2 shown]
	ds_read_b128 v[151:154], v142 offset:736
	s_clause 0x2
	buffer_load_dword v160, off, s[0:3], 0 offset:348
	buffer_load_dword v165, off, s[0:3], 0 offset:324
	;; [unrolled: 1-line block ×3, first 2 shown]
	s_mov_b32 s4, exec_lo
	s_waitcnt vmcnt(62) lgkmcnt(2)
	v_mul_f64 v[155:156], v[145:146], v[89:90]
	v_mul_f64 v[89:90], v[143:144], v[89:90]
	s_waitcnt lgkmcnt(1)
	v_mul_f64 v[162:163], v[149:150], v[85:86]
	s_waitcnt vmcnt(59) lgkmcnt(0)
	v_mul_f64 v[166:167], v[153:154], v[3:4]
	v_fma_f64 v[143:144], v[143:144], v[87:88], -v[155:156]
	v_mul_f64 v[155:156], v[147:148], v[85:86]
	v_fma_f64 v[89:90], v[145:146], v[87:88], v[89:90]
	s_waitcnt vmcnt(57)
	v_fma_f64 v[147:148], v[147:148], v[1:2], -v[162:163]
	ds_read_b128 v[85:88], v142 offset:752
	v_mul_f64 v[145:146], v[151:152], v[3:4]
	s_waitcnt vmcnt(51)
	v_fma_f64 v[151:152], v[151:152], v[105:106], -v[166:167]
	v_add_f64 v[143:144], v[143:144], 0
	v_fma_f64 v[149:150], v[149:150], v[1:2], v[155:156]
	v_add_f64 v[89:90], v[89:90], 0
	s_clause 0x4
	buffer_load_dword v156, off, s[0:3], 0 offset:364
	buffer_load_dword v168, off, s[0:3], 0 offset:376
	;; [unrolled: 1-line block ×5, first 2 shown]
	s_waitcnt lgkmcnt(0)
	v_mul_f64 v[171:172], v[85:86], v[93:94]
	v_mul_f64 v[93:94], v[87:88], v[93:94]
	ds_read_b128 v[1:4], v142 offset:768
	v_fma_f64 v[105:106], v[153:154], v[105:106], v[145:146]
	v_add_f64 v[147:148], v[143:144], v[147:148]
	v_add_f64 v[89:90], v[89:90], v[149:150]
	s_clause 0x2
	buffer_load_dword v169, off, s[0:3], 0 offset:380
	buffer_load_dword v150, off, s[0:3], 0 offset:356
	;; [unrolled: 1-line block ×3, first 2 shown]
	s_waitcnt vmcnt(58) lgkmcnt(0)
	v_mul_f64 v[153:154], v[1:2], v[97:98]
	v_mul_f64 v[97:98], v[3:4], v[97:98]
	s_waitcnt vmcnt(56)
	v_fma_f64 v[93:94], v[85:86], v[99:100], -v[93:94]
	ds_read_b128 v[143:146], v142 offset:784
	v_fma_f64 v[99:100], v[87:88], v[99:100], v[171:172]
	v_add_f64 v[147:148], v[147:148], v[151:152]
	v_add_f64 v[89:90], v[89:90], v[105:106]
	s_clause 0x4
	buffer_load_dword v106, off, s[0:3], 0 offset:396
	buffer_load_dword v151, off, s[0:3], 0 offset:408
	;; [unrolled: 1-line block ×5, first 2 shown]
	ds_read_b128 v[85:88], v142 offset:800
	s_waitcnt vmcnt(57) lgkmcnt(1)
	v_mul_f64 v[172:173], v[143:144], v[101:102]
	v_mul_f64 v[101:102], v[145:146], v[101:102]
	s_waitcnt vmcnt(56)
	v_fma_f64 v[97:98], v[1:2], v[91:92], -v[97:98]
	v_fma_f64 v[91:92], v[3:4], v[91:92], v[153:154]
	v_add_f64 v[93:94], v[147:148], v[93:94]
	v_add_f64 v[89:90], v[89:90], v[99:100]
	s_clause 0x2
	buffer_load_dword v152, off, s[0:3], 0 offset:412
	buffer_load_dword v100, off, s[0:3], 0 offset:388
	;; [unrolled: 1-line block ×3, first 2 shown]
	s_waitcnt vmcnt(58) lgkmcnt(0)
	v_mul_f64 v[147:148], v[85:86], v[107:108]
	v_mul_f64 v[107:108], v[87:88], v[107:108]
	s_waitcnt vmcnt(56)
	v_fma_f64 v[101:102], v[143:144], v[109:110], -v[101:102]
	ds_read_b128 v[1:4], v142 offset:816
	v_add_f64 v[93:94], v[93:94], v[97:98]
	v_fma_f64 v[97:98], v[145:146], v[109:110], v[172:173]
	v_add_f64 v[109:110], v[89:90], v[91:92]
	s_clause 0x4
	buffer_load_dword v144, off, s[0:3], 0 offset:428
	buffer_load_dword v145, off, s[0:3], 0 offset:440
	;; [unrolled: 1-line block ×5, first 2 shown]
	ds_read_b128 v[89:92], v142 offset:832
	s_waitcnt vmcnt(57) lgkmcnt(1)
	v_mul_f64 v[172:173], v[1:2], v[111:112]
	v_mul_f64 v[111:112], v[3:4], v[111:112]
	s_waitcnt vmcnt(56)
	v_fma_f64 v[107:108], v[85:86], v[95:96], -v[107:108]
	v_fma_f64 v[95:96], v[87:88], v[95:96], v[147:148]
	v_add_f64 v[93:94], v[93:94], v[101:102]
	s_clause 0x2
	buffer_load_dword v146, off, s[0:3], 0 offset:444
	buffer_load_dword v102, off, s[0:3], 0 offset:420
	;; [unrolled: 1-line block ×3, first 2 shown]
	v_add_f64 v[97:98], v[109:110], v[97:98]
	s_waitcnt vmcnt(58) lgkmcnt(0)
	v_mul_f64 v[109:110], v[89:90], v[115:116]
	v_mul_f64 v[115:116], v[91:92], v[115:116]
	ds_read_b128 v[85:88], v142 offset:848
	s_waitcnt vmcnt(56)
	v_fma_f64 v[111:112], v[1:2], v[117:118], -v[111:112]
	v_add_f64 v[93:94], v[93:94], v[107:108]
	v_fma_f64 v[107:108], v[3:4], v[117:118], v[172:173]
	v_add_f64 v[95:96], v[97:98], v[95:96]
	s_clause 0x4
	buffer_load_dword v98, off, s[0:3], 0 offset:460
	buffer_load_dword v117, off, s[0:3], 0 offset:472
	;; [unrolled: 1-line block ×5, first 2 shown]
	s_waitcnt vmcnt(57) lgkmcnt(0)
	v_mul_f64 v[172:173], v[85:86], v[119:120]
	v_mul_f64 v[119:120], v[87:88], v[119:120]
	s_waitcnt vmcnt(56)
	v_fma_f64 v[115:116], v[89:90], v[103:104], -v[115:116]
	ds_read_b128 v[1:4], v142 offset:864
	v_fma_f64 v[103:104], v[91:92], v[103:104], v[109:110]
	v_add_f64 v[93:94], v[93:94], v[111:112]
	v_add_f64 v[95:96], v[95:96], v[107:108]
	s_clause 0x2
	buffer_load_dword v118, off, s[0:3], 0 offset:476
	buffer_load_dword v108, off, s[0:3], 0 offset:452
	;; [unrolled: 1-line block ×3, first 2 shown]
	ds_read_b128 v[89:92], v142 offset:880
	s_waitcnt vmcnt(58) lgkmcnt(1)
	v_mul_f64 v[111:112], v[3:4], v[123:124]
	s_waitcnt vmcnt(56)
	v_fma_f64 v[119:120], v[85:86], v[125:126], -v[119:120]
	v_mul_f64 v[109:110], v[1:2], v[123:124]
	v_add_f64 v[93:94], v[93:94], v[115:116]
	v_fma_f64 v[115:116], v[87:88], v[125:126], v[172:173]
	v_add_f64 v[95:96], v[95:96], v[103:104]
	s_clause 0x4
	buffer_load_dword v104, off, s[0:3], 0 offset:492
	buffer_load_dword v123, off, s[0:3], 0 offset:504
	buffer_load_dword v125, off, s[0:3], 0 offset:496
	buffer_load_dword v103, off, s[0:3], 0 offset:488
	buffer_load_dword v148, off, s[0:3], 0 offset:468
	s_waitcnt vmcnt(57) lgkmcnt(0)
	v_mul_f64 v[172:173], v[89:90], v[127:128]
	v_mul_f64 v[126:127], v[91:92], v[127:128]
	s_waitcnt vmcnt(56)
	v_fma_f64 v[111:112], v[1:2], v[113:114], -v[111:112]
	ds_read_b128 v[85:88], v142 offset:896
	v_fma_f64 v[109:110], v[3:4], v[113:114], v[109:110]
	s_clause 0x2
	buffer_load_dword v124, off, s[0:3], 0 offset:508
	buffer_load_dword v114, off, s[0:3], 0 offset:484
	;; [unrolled: 1-line block ×3, first 2 shown]
	ds_read_b128 v[1:4], v142 offset:912
	v_add_f64 v[93:94], v[93:94], v[119:120]
	v_add_f64 v[95:96], v[95:96], v[115:116]
	s_waitcnt vmcnt(58) lgkmcnt(1)
	v_mul_f64 v[119:120], v[87:88], v[131:132]
	s_waitcnt vmcnt(56)
	v_fma_f64 v[127:128], v[89:90], v[133:134], -v[126:127]
	v_mul_f64 v[115:116], v[85:86], v[131:132]
	v_add_f64 v[93:94], v[93:94], v[111:112]
	v_fma_f64 v[111:112], v[91:92], v[133:134], v[172:173]
	v_add_f64 v[95:96], v[95:96], v[109:110]
	s_clause 0x4
	buffer_load_dword v110, off, s[0:3], 0 offset:524
	buffer_load_dword v131, off, s[0:3], 0 offset:536
	;; [unrolled: 1-line block ×5, first 2 shown]
	s_waitcnt vmcnt(57) lgkmcnt(0)
	v_mul_f64 v[172:173], v[1:2], v[135:136]
	v_mul_f64 v[134:135], v[3:4], v[135:136]
	s_waitcnt vmcnt(56)
	v_fma_f64 v[119:120], v[85:86], v[121:122], -v[119:120]
	ds_read_b128 v[89:92], v142 offset:928
	v_fma_f64 v[115:116], v[87:88], v[121:122], v[115:116]
	v_add_f64 v[93:94], v[93:94], v[127:128]
	v_add_f64 v[95:96], v[95:96], v[111:112]
	s_clause 0x2
	buffer_load_dword v132, off, s[0:3], 0 offset:540
	buffer_load_dword v112, off, s[0:3], 0 offset:516
	;; [unrolled: 1-line block ×3, first 2 shown]
	ds_read_b128 v[85:88], v142 offset:944
	s_waitcnt vmcnt(58) lgkmcnt(1)
	v_mul_f64 v[127:128], v[91:92], v[137:138]
	s_waitcnt vmcnt(56)
	v_fma_f64 v[135:136], v[1:2], v[139:140], -v[134:135]
	v_mul_f64 v[121:122], v[89:90], v[137:138]
	v_add_f64 v[93:94], v[93:94], v[119:120]
	v_fma_f64 v[119:120], v[3:4], v[139:140], v[172:173]
	v_add_f64 v[95:96], v[95:96], v[115:116]
	s_clause 0x4
	buffer_load_dword v116, off, s[0:3], 0 offset:556
	buffer_load_dword v137, off, s[0:3], 0 offset:568
	;; [unrolled: 1-line block ×5, first 2 shown]
	s_waitcnt vmcnt(57) lgkmcnt(0)
	v_mul_f64 v[172:173], v[85:86], v[157:158]
	v_mul_f64 v[157:158], v[87:88], v[157:158]
	s_waitcnt vmcnt(56)
	v_fma_f64 v[127:128], v[89:90], v[129:130], -v[127:128]
	ds_read_b128 v[1:4], v142 offset:960
	v_fma_f64 v[121:122], v[91:92], v[129:130], v[121:122]
	v_add_f64 v[93:94], v[93:94], v[135:136]
	v_add_f64 v[95:96], v[95:96], v[119:120]
	s_clause 0x2
	buffer_load_dword v138, off, s[0:3], 0 offset:572
	buffer_load_dword v120, off, s[0:3], 0 offset:548
	;; [unrolled: 1-line block ×3, first 2 shown]
	ds_read_b128 v[89:92], v142 offset:976
	s_waitcnt vmcnt(58) lgkmcnt(1)
	v_mul_f64 v[135:136], v[3:4], v[159:160]
	s_waitcnt vmcnt(56)
	v_fma_f64 v[157:158], v[85:86], v[164:165], -v[157:158]
	v_mul_f64 v[129:130], v[1:2], v[159:160]
	v_add_f64 v[93:94], v[93:94], v[127:128]
	v_fma_f64 v[127:128], v[87:88], v[164:165], v[172:173]
	v_add_f64 v[95:96], v[95:96], v[121:122]
	s_clause 0x4
	buffer_load_dword v122, off, s[0:3], 0 offset:588
	buffer_load_dword v159, off, s[0:3], 0 offset:600
	;; [unrolled: 1-line block ×5, first 2 shown]
	ds_read_b128 v[85:88], v142 offset:992
	s_waitcnt vmcnt(57) lgkmcnt(1)
	v_mul_f64 v[164:165], v[89:90], v[155:156]
	v_mul_f64 v[155:156], v[91:92], v[155:156]
	s_waitcnt vmcnt(56)
	v_fma_f64 v[135:136], v[1:2], v[161:162], -v[135:136]
	v_fma_f64 v[129:130], v[3:4], v[161:162], v[129:130]
	v_add_f64 v[93:94], v[93:94], v[157:158]
	v_add_f64 v[95:96], v[95:96], v[127:128]
	s_clause 0x2
	buffer_load_dword v160, off, s[0:3], 0 offset:604
	buffer_load_dword v128, off, s[0:3], 0 offset:580
	buffer_load_dword v127, off, s[0:3], 0 offset:576
	ds_read_b128 v[1:4], v142 offset:1008
	s_waitcnt vmcnt(58) lgkmcnt(1)
	v_mul_f64 v[161:162], v[87:88], v[168:169]
	v_mul_f64 v[157:158], v[85:86], v[168:169]
	s_waitcnt vmcnt(56)
	v_fma_f64 v[155:156], v[89:90], v[149:150], -v[155:156]
	v_add_f64 v[93:94], v[93:94], v[135:136]
	v_fma_f64 v[135:136], v[91:92], v[149:150], v[164:165]
	v_add_f64 v[95:96], v[95:96], v[129:130]
	s_clause 0x4
	buffer_load_dword v130, off, s[0:3], 0 offset:620
	buffer_load_dword v149, off, s[0:3], 0 offset:632
	;; [unrolled: 1-line block ×5, first 2 shown]
	ds_read_b128 v[89:92], v142 offset:1024
	s_waitcnt vmcnt(57) lgkmcnt(1)
	v_mul_f64 v[172:173], v[1:2], v[105:106]
	v_mul_f64 v[105:106], v[3:4], v[105:106]
	s_waitcnt vmcnt(56)
	v_fma_f64 v[161:162], v[85:86], v[170:171], -v[161:162]
	v_add_f64 v[93:94], v[93:94], v[155:156]
	v_fma_f64 v[155:156], v[87:88], v[170:171], v[157:158]
	v_add_f64 v[95:96], v[95:96], v[135:136]
	s_clause 0x2
	buffer_load_dword v150, off, s[0:3], 0 offset:636
	buffer_load_dword v136, off, s[0:3], 0 offset:612
	;; [unrolled: 1-line block ×3, first 2 shown]
	ds_read_b128 v[85:88], v142 offset:1040
	s_waitcnt vmcnt(58) lgkmcnt(1)
	v_mul_f64 v[157:158], v[89:90], v[151:152]
	v_mul_f64 v[151:152], v[91:92], v[151:152]
	s_waitcnt vmcnt(56)
	v_fma_f64 v[105:106], v[1:2], v[99:100], -v[105:106]
	v_fma_f64 v[99:100], v[3:4], v[99:100], v[172:173]
	v_add_f64 v[93:94], v[93:94], v[161:162]
	v_add_f64 v[95:96], v[95:96], v[155:156]
	s_clause 0x2
	buffer_load_dword v156, off, s[0:3], 0 offset:652
	buffer_load_dword v155, off, s[0:3], 0 offset:648
	;; [unrolled: 1-line block ×3, first 2 shown]
	ds_read_b128 v[1:4], v142 offset:1056
	s_waitcnt vmcnt(55) lgkmcnt(1)
	v_mul_f64 v[161:162], v[85:86], v[143:144]
	v_mul_f64 v[143:144], v[87:88], v[143:144]
	s_waitcnt vmcnt(54)
	v_fma_f64 v[151:152], v[89:90], v[166:167], -v[151:152]
	v_add_f64 v[93:94], v[93:94], v[105:106]
	v_fma_f64 v[105:106], v[91:92], v[166:167], v[157:158]
	v_add_f64 v[95:96], v[95:96], v[99:100]
	s_clause 0x1
	buffer_load_dword v100, off, s[0:3], 0 offset:644
	buffer_load_dword v99, off, s[0:3], 0 offset:640
	ds_read_b128 v[89:92], v142 offset:1072
	s_waitcnt vmcnt(55) lgkmcnt(1)
	v_mul_f64 v[157:158], v[1:2], v[145:146]
	v_mul_f64 v[145:146], v[3:4], v[145:146]
	s_waitcnt vmcnt(53)
	v_fma_f64 v[143:144], v[85:86], v[101:102], -v[143:144]
	v_fma_f64 v[101:102], v[87:88], v[101:102], v[161:162]
	ds_read_b128 v[85:88], v142 offset:1088
	v_add_f64 v[93:94], v[93:94], v[151:152]
	v_add_f64 v[95:96], v[95:96], v[105:106]
	s_waitcnt vmcnt(49) lgkmcnt(1)
	v_mul_f64 v[105:106], v[89:90], v[97:98]
	v_mul_f64 v[97:98], v[91:92], v[97:98]
	s_waitcnt vmcnt(48)
	v_fma_f64 v[145:146], v[1:2], v[153:154], -v[145:146]
	v_add_f64 v[93:94], v[93:94], v[143:144]
	v_fma_f64 v[143:144], v[3:4], v[153:154], v[157:158]
	v_add_f64 v[95:96], v[95:96], v[101:102]
	s_clause 0x3
	buffer_load_dword v101, off, s[0:3], 0 offset:64
	buffer_load_dword v102, off, s[0:3], 0 offset:68
	;; [unrolled: 1-line block ×4, first 2 shown]
	ds_read_b128 v[1:4], v142 offset:1104
	s_waitcnt vmcnt(51) lgkmcnt(1)
	v_mul_f64 v[153:154], v[85:86], v[117:118]
	v_mul_f64 v[117:118], v[87:88], v[117:118]
	s_waitcnt vmcnt(49)
	v_fma_f64 v[97:98], v[89:90], v[107:108], -v[97:98]
	v_fma_f64 v[105:106], v[91:92], v[107:108], v[105:106]
	ds_read_b128 v[89:92], v142 offset:1120
	v_add_f64 v[93:94], v[93:94], v[145:146]
	v_add_f64 v[95:96], v[95:96], v[143:144]
	s_waitcnt vmcnt(45) lgkmcnt(1)
	v_mul_f64 v[107:108], v[1:2], v[103:104]
	v_mul_f64 v[103:104], v[3:4], v[103:104]
	s_waitcnt vmcnt(44)
	v_fma_f64 v[117:118], v[85:86], v[147:148], -v[117:118]
	v_add_f64 v[93:94], v[93:94], v[97:98]
	v_fma_f64 v[97:98], v[87:88], v[147:148], v[153:154]
	v_add_f64 v[95:96], v[95:96], v[105:106]
	s_waitcnt vmcnt(43) lgkmcnt(0)
	v_mul_f64 v[105:106], v[89:90], v[123:124]
	v_mul_f64 v[123:124], v[91:92], v[123:124]
	ds_read_b128 v[85:88], v142 offset:1136
	s_waitcnt vmcnt(41)
	v_fma_f64 v[107:108], v[3:4], v[113:114], v[107:108]
	v_fma_f64 v[103:104], v[1:2], v[113:114], -v[103:104]
	ds_read_b128 v[1:4], v142 offset:1152
	v_add_f64 v[93:94], v[93:94], v[117:118]
	v_add_f64 v[95:96], v[95:96], v[97:98]
	s_waitcnt vmcnt(37) lgkmcnt(1)
	v_mul_f64 v[97:98], v[85:86], v[109:110]
	v_mul_f64 v[109:110], v[87:88], v[109:110]
	s_waitcnt vmcnt(36)
	v_fma_f64 v[113:114], v[89:90], v[125:126], -v[123:124]
	v_add_f64 v[93:94], v[93:94], v[103:104]
	v_fma_f64 v[103:104], v[91:92], v[125:126], v[105:106]
	v_add_f64 v[95:96], v[95:96], v[107:108]
	ds_read_b128 v[89:92], v142 offset:1168
	s_waitcnt vmcnt(35) lgkmcnt(1)
	v_mul_f64 v[107:108], v[3:4], v[131:132]
	v_mul_f64 v[105:106], v[1:2], v[131:132]
	s_waitcnt vmcnt(33)
	v_fma_f64 v[109:110], v[85:86], v[111:112], -v[109:110]
	v_fma_f64 v[97:98], v[87:88], v[111:112], v[97:98]
	ds_read_b128 v[85:88], v142 offset:1184
	v_add_f64 v[93:94], v[93:94], v[113:114]
	v_add_f64 v[95:96], v[95:96], v[103:104]
	s_waitcnt vmcnt(29) lgkmcnt(1)
	v_mul_f64 v[111:112], v[91:92], v[115:116]
	s_waitcnt vmcnt(28)
	v_fma_f64 v[107:108], v[1:2], v[133:134], -v[107:108]
	v_mul_f64 v[103:104], v[89:90], v[115:116]
	v_fma_f64 v[105:106], v[3:4], v[133:134], v[105:106]
	ds_read_b128 v[1:4], v142 offset:1200
	v_add_f64 v[93:94], v[93:94], v[109:110]
	v_add_f64 v[95:96], v[95:96], v[97:98]
	s_waitcnt vmcnt(27) lgkmcnt(1)
	v_mul_f64 v[109:110], v[87:88], v[137:138]
	v_mul_f64 v[97:98], v[85:86], v[137:138]
	s_waitcnt vmcnt(25)
	v_fma_f64 v[111:112], v[89:90], v[119:120], -v[111:112]
	v_fma_f64 v[103:104], v[91:92], v[119:120], v[103:104]
	ds_read_b128 v[89:92], v142 offset:1216
	v_add_f64 v[93:94], v[93:94], v[107:108]
	v_add_f64 v[95:96], v[95:96], v[105:106]
	s_waitcnt vmcnt(21) lgkmcnt(1)
	v_mul_f64 v[107:108], v[3:4], v[121:122]
	s_waitcnt vmcnt(20)
	v_fma_f64 v[109:110], v[85:86], v[139:140], -v[109:110]
	v_mul_f64 v[105:106], v[1:2], v[121:122]
	v_fma_f64 v[97:98], v[87:88], v[139:140], v[97:98]
	ds_read_b128 v[85:88], v142 offset:1232
	v_add_f64 v[93:94], v[93:94], v[111:112]
	v_add_f64 v[95:96], v[95:96], v[103:104]
	;; [unrolled: 18-line block ×3, first 2 shown]
	s_waitcnt vmcnt(11) lgkmcnt(1)
	v_mul_f64 v[107:108], v[3:4], v[149:150]
	v_mul_f64 v[105:106], v[1:2], v[149:150]
	s_waitcnt vmcnt(9)
	v_fma_f64 v[85:86], v[85:86], v[135:136], -v[109:110]
	v_fma_f64 v[87:88], v[87:88], v[135:136], v[97:98]
	v_add_f64 v[93:94], v[93:94], v[111:112]
	v_add_f64 v[95:96], v[95:96], v[103:104]
	s_waitcnt vmcnt(7) lgkmcnt(0)
	v_mul_f64 v[103:104], v[91:92], v[155:156]
	s_waitcnt vmcnt(6)
	v_fma_f64 v[1:2], v[1:2], v[168:169], -v[107:108]
	v_mul_f64 v[97:98], v[89:90], v[155:156]
	v_fma_f64 v[3:4], v[3:4], v[168:169], v[105:106]
	v_add_f64 v[85:86], v[93:94], v[85:86]
	v_add_f64 v[87:88], v[95:96], v[87:88]
	s_waitcnt vmcnt(4)
	v_fma_f64 v[89:90], v[89:90], v[99:100], -v[103:104]
	v_add_f64 v[1:2], v[85:86], v[1:2]
	v_fma_f64 v[85:86], v[91:92], v[99:100], v[97:98]
	v_add_f64 v[3:4], v[87:88], v[3:4]
	v_add_f64 v[1:2], v[1:2], v[89:90]
	;; [unrolled: 1-line block ×3, first 2 shown]
	s_waitcnt vmcnt(2)
	v_add_f64 v[1:2], v[101:102], -v[1:2]
	s_waitcnt vmcnt(0)
	v_add_f64 v[3:4], v[151:152], -v[3:4]
	buffer_store_dword v2, off, s[0:3], 0 offset:68
	buffer_store_dword v1, off, s[0:3], 0 offset:64
	;; [unrolled: 1-line block ×4, first 2 shown]
	v_cmpx_lt_u32_e32 2, v0
	s_cbranch_execz .LBB103_249
; %bb.248:
	v_mov_b32_e32 v4, s50
	v_mov_b32_e32 v85, 0
	s_clause 0x3
	buffer_load_dword v1, v4, s[0:3], 0 offen
	buffer_load_dword v2, v4, s[0:3], 0 offen offset:4
	buffer_load_dword v3, v4, s[0:3], 0 offen offset:8
	;; [unrolled: 1-line block ×3, first 2 shown]
	buffer_store_dword v85, off, s[0:3], 0 offset:48
	buffer_store_dword v85, off, s[0:3], 0 offset:52
	;; [unrolled: 1-line block ×4, first 2 shown]
	s_waitcnt vmcnt(0)
	ds_write_b128 v141, v[1:4]
.LBB103_249:
	s_or_b32 exec_lo, exec_lo, s4
	s_waitcnt lgkmcnt(0)
	s_waitcnt_vscnt null, 0x0
	s_barrier
	buffer_gl0_inv
	s_clause 0x37
	buffer_load_dword v89, off, s[0:3], 0 offset:72
	buffer_load_dword v90, off, s[0:3], 0 offset:76
	;; [unrolled: 1-line block ×56, first 2 shown]
	v_mov_b32_e32 v142, 0
	s_mov_b32 s4, exec_lo
	ds_read_b128 v[143:146], v142 offset:688
	s_clause 0x2
	buffer_load_dword v138, off, s[0:3], 0 offset:300
	buffer_load_dword v140, off, s[0:3], 0 offset:276
	;; [unrolled: 1-line block ×3, first 2 shown]
	ds_read_b128 v[147:150], v142 offset:704
	s_clause 0x4
	buffer_load_dword v158, off, s[0:3], 0 offset:316
	buffer_load_dword v159, off, s[0:3], 0 offset:328
	;; [unrolled: 1-line block ×5, first 2 shown]
	ds_read_b128 v[151:154], v142 offset:720
	s_clause 0x2
	buffer_load_dword v160, off, s[0:3], 0 offset:332
	buffer_load_dword v165, off, s[0:3], 0 offset:308
	;; [unrolled: 1-line block ×3, first 2 shown]
	s_waitcnt vmcnt(62) lgkmcnt(2)
	v_mul_f64 v[155:156], v[145:146], v[89:90]
	v_mul_f64 v[89:90], v[143:144], v[89:90]
	s_waitcnt lgkmcnt(1)
	v_mul_f64 v[162:163], v[149:150], v[85:86]
	s_waitcnt vmcnt(59) lgkmcnt(0)
	v_mul_f64 v[166:167], v[153:154], v[3:4]
	v_fma_f64 v[143:144], v[143:144], v[87:88], -v[155:156]
	v_mul_f64 v[155:156], v[147:148], v[85:86]
	v_fma_f64 v[89:90], v[145:146], v[87:88], v[89:90]
	s_waitcnt vmcnt(57)
	v_fma_f64 v[147:148], v[147:148], v[1:2], -v[162:163]
	ds_read_b128 v[85:88], v142 offset:736
	v_mul_f64 v[145:146], v[151:152], v[3:4]
	s_waitcnt vmcnt(51)
	v_fma_f64 v[151:152], v[151:152], v[105:106], -v[166:167]
	v_add_f64 v[143:144], v[143:144], 0
	v_fma_f64 v[149:150], v[149:150], v[1:2], v[155:156]
	v_add_f64 v[89:90], v[89:90], 0
	s_clause 0x4
	buffer_load_dword v156, off, s[0:3], 0 offset:348
	buffer_load_dword v168, off, s[0:3], 0 offset:360
	;; [unrolled: 1-line block ×5, first 2 shown]
	s_waitcnt lgkmcnt(0)
	v_mul_f64 v[171:172], v[85:86], v[93:94]
	v_mul_f64 v[93:94], v[87:88], v[93:94]
	ds_read_b128 v[1:4], v142 offset:752
	v_fma_f64 v[105:106], v[153:154], v[105:106], v[145:146]
	v_add_f64 v[147:148], v[143:144], v[147:148]
	v_add_f64 v[89:90], v[89:90], v[149:150]
	s_clause 0x2
	buffer_load_dword v169, off, s[0:3], 0 offset:364
	buffer_load_dword v150, off, s[0:3], 0 offset:340
	;; [unrolled: 1-line block ×3, first 2 shown]
	s_waitcnt vmcnt(58) lgkmcnt(0)
	v_mul_f64 v[153:154], v[1:2], v[97:98]
	v_mul_f64 v[97:98], v[3:4], v[97:98]
	s_waitcnt vmcnt(56)
	v_fma_f64 v[93:94], v[85:86], v[99:100], -v[93:94]
	ds_read_b128 v[143:146], v142 offset:768
	v_fma_f64 v[99:100], v[87:88], v[99:100], v[171:172]
	v_add_f64 v[147:148], v[147:148], v[151:152]
	v_add_f64 v[89:90], v[89:90], v[105:106]
	s_clause 0x4
	buffer_load_dword v106, off, s[0:3], 0 offset:380
	buffer_load_dword v151, off, s[0:3], 0 offset:392
	;; [unrolled: 1-line block ×5, first 2 shown]
	ds_read_b128 v[85:88], v142 offset:784
	s_waitcnt vmcnt(57) lgkmcnt(1)
	v_mul_f64 v[172:173], v[143:144], v[101:102]
	v_mul_f64 v[101:102], v[145:146], v[101:102]
	s_waitcnt vmcnt(56)
	v_fma_f64 v[97:98], v[1:2], v[91:92], -v[97:98]
	v_fma_f64 v[91:92], v[3:4], v[91:92], v[153:154]
	v_add_f64 v[93:94], v[147:148], v[93:94]
	v_add_f64 v[89:90], v[89:90], v[99:100]
	s_clause 0x2
	buffer_load_dword v152, off, s[0:3], 0 offset:396
	buffer_load_dword v100, off, s[0:3], 0 offset:372
	;; [unrolled: 1-line block ×3, first 2 shown]
	s_waitcnt vmcnt(58) lgkmcnt(0)
	v_mul_f64 v[147:148], v[85:86], v[107:108]
	v_mul_f64 v[107:108], v[87:88], v[107:108]
	s_waitcnt vmcnt(56)
	v_fma_f64 v[101:102], v[143:144], v[109:110], -v[101:102]
	ds_read_b128 v[1:4], v142 offset:800
	v_add_f64 v[93:94], v[93:94], v[97:98]
	v_fma_f64 v[97:98], v[145:146], v[109:110], v[172:173]
	v_add_f64 v[109:110], v[89:90], v[91:92]
	s_clause 0x4
	buffer_load_dword v144, off, s[0:3], 0 offset:412
	buffer_load_dword v145, off, s[0:3], 0 offset:424
	;; [unrolled: 1-line block ×5, first 2 shown]
	ds_read_b128 v[89:92], v142 offset:816
	s_waitcnt vmcnt(57) lgkmcnt(1)
	v_mul_f64 v[172:173], v[1:2], v[111:112]
	v_mul_f64 v[111:112], v[3:4], v[111:112]
	s_waitcnt vmcnt(56)
	v_fma_f64 v[107:108], v[85:86], v[95:96], -v[107:108]
	v_fma_f64 v[95:96], v[87:88], v[95:96], v[147:148]
	v_add_f64 v[93:94], v[93:94], v[101:102]
	s_clause 0x2
	buffer_load_dword v146, off, s[0:3], 0 offset:428
	buffer_load_dword v102, off, s[0:3], 0 offset:404
	buffer_load_dword v101, off, s[0:3], 0 offset:400
	v_add_f64 v[97:98], v[109:110], v[97:98]
	s_waitcnt vmcnt(58) lgkmcnt(0)
	v_mul_f64 v[109:110], v[89:90], v[115:116]
	v_mul_f64 v[115:116], v[91:92], v[115:116]
	ds_read_b128 v[85:88], v142 offset:832
	s_waitcnt vmcnt(56)
	v_fma_f64 v[111:112], v[1:2], v[117:118], -v[111:112]
	v_add_f64 v[93:94], v[93:94], v[107:108]
	v_fma_f64 v[107:108], v[3:4], v[117:118], v[172:173]
	v_add_f64 v[95:96], v[97:98], v[95:96]
	s_clause 0x4
	buffer_load_dword v98, off, s[0:3], 0 offset:444
	buffer_load_dword v117, off, s[0:3], 0 offset:456
	;; [unrolled: 1-line block ×5, first 2 shown]
	s_waitcnt vmcnt(57) lgkmcnt(0)
	v_mul_f64 v[172:173], v[85:86], v[119:120]
	v_mul_f64 v[119:120], v[87:88], v[119:120]
	s_waitcnt vmcnt(56)
	v_fma_f64 v[115:116], v[89:90], v[103:104], -v[115:116]
	ds_read_b128 v[1:4], v142 offset:848
	v_fma_f64 v[103:104], v[91:92], v[103:104], v[109:110]
	v_add_f64 v[93:94], v[93:94], v[111:112]
	v_add_f64 v[95:96], v[95:96], v[107:108]
	s_clause 0x2
	buffer_load_dword v118, off, s[0:3], 0 offset:460
	buffer_load_dword v108, off, s[0:3], 0 offset:436
	;; [unrolled: 1-line block ×3, first 2 shown]
	ds_read_b128 v[89:92], v142 offset:864
	s_waitcnt vmcnt(58) lgkmcnt(1)
	v_mul_f64 v[111:112], v[3:4], v[123:124]
	s_waitcnt vmcnt(56)
	v_fma_f64 v[119:120], v[85:86], v[125:126], -v[119:120]
	v_mul_f64 v[109:110], v[1:2], v[123:124]
	v_add_f64 v[93:94], v[93:94], v[115:116]
	v_fma_f64 v[115:116], v[87:88], v[125:126], v[172:173]
	v_add_f64 v[95:96], v[95:96], v[103:104]
	s_clause 0x4
	buffer_load_dword v104, off, s[0:3], 0 offset:476
	buffer_load_dword v123, off, s[0:3], 0 offset:488
	;; [unrolled: 1-line block ×5, first 2 shown]
	s_waitcnt vmcnt(57) lgkmcnt(0)
	v_mul_f64 v[172:173], v[89:90], v[127:128]
	v_mul_f64 v[126:127], v[91:92], v[127:128]
	s_waitcnt vmcnt(56)
	v_fma_f64 v[111:112], v[1:2], v[113:114], -v[111:112]
	ds_read_b128 v[85:88], v142 offset:880
	v_fma_f64 v[109:110], v[3:4], v[113:114], v[109:110]
	s_clause 0x2
	buffer_load_dword v124, off, s[0:3], 0 offset:492
	buffer_load_dword v114, off, s[0:3], 0 offset:468
	;; [unrolled: 1-line block ×3, first 2 shown]
	ds_read_b128 v[1:4], v142 offset:896
	v_add_f64 v[93:94], v[93:94], v[119:120]
	v_add_f64 v[95:96], v[95:96], v[115:116]
	s_waitcnt vmcnt(58) lgkmcnt(1)
	v_mul_f64 v[119:120], v[87:88], v[131:132]
	s_waitcnt vmcnt(56)
	v_fma_f64 v[127:128], v[89:90], v[133:134], -v[126:127]
	v_mul_f64 v[115:116], v[85:86], v[131:132]
	v_add_f64 v[93:94], v[93:94], v[111:112]
	v_fma_f64 v[111:112], v[91:92], v[133:134], v[172:173]
	v_add_f64 v[95:96], v[95:96], v[109:110]
	s_clause 0x4
	buffer_load_dword v110, off, s[0:3], 0 offset:508
	buffer_load_dword v131, off, s[0:3], 0 offset:520
	;; [unrolled: 1-line block ×5, first 2 shown]
	s_waitcnt vmcnt(57) lgkmcnt(0)
	v_mul_f64 v[172:173], v[1:2], v[135:136]
	v_mul_f64 v[134:135], v[3:4], v[135:136]
	s_waitcnt vmcnt(56)
	v_fma_f64 v[119:120], v[85:86], v[121:122], -v[119:120]
	ds_read_b128 v[89:92], v142 offset:912
	v_fma_f64 v[115:116], v[87:88], v[121:122], v[115:116]
	v_add_f64 v[93:94], v[93:94], v[127:128]
	v_add_f64 v[95:96], v[95:96], v[111:112]
	s_clause 0x2
	buffer_load_dword v132, off, s[0:3], 0 offset:524
	buffer_load_dword v112, off, s[0:3], 0 offset:500
	;; [unrolled: 1-line block ×3, first 2 shown]
	ds_read_b128 v[85:88], v142 offset:928
	s_waitcnt vmcnt(58) lgkmcnt(1)
	v_mul_f64 v[127:128], v[91:92], v[137:138]
	s_waitcnt vmcnt(56)
	v_fma_f64 v[135:136], v[1:2], v[139:140], -v[134:135]
	v_mul_f64 v[121:122], v[89:90], v[137:138]
	v_add_f64 v[93:94], v[93:94], v[119:120]
	v_fma_f64 v[119:120], v[3:4], v[139:140], v[172:173]
	v_add_f64 v[95:96], v[95:96], v[115:116]
	s_clause 0x4
	buffer_load_dword v116, off, s[0:3], 0 offset:540
	buffer_load_dword v137, off, s[0:3], 0 offset:552
	buffer_load_dword v139, off, s[0:3], 0 offset:544
	buffer_load_dword v115, off, s[0:3], 0 offset:536
	buffer_load_dword v134, off, s[0:3], 0 offset:516
	s_waitcnt vmcnt(57) lgkmcnt(0)
	v_mul_f64 v[172:173], v[85:86], v[157:158]
	v_mul_f64 v[157:158], v[87:88], v[157:158]
	s_waitcnt vmcnt(56)
	v_fma_f64 v[127:128], v[89:90], v[129:130], -v[127:128]
	ds_read_b128 v[1:4], v142 offset:944
	v_fma_f64 v[121:122], v[91:92], v[129:130], v[121:122]
	v_add_f64 v[93:94], v[93:94], v[135:136]
	v_add_f64 v[95:96], v[95:96], v[119:120]
	s_clause 0x2
	buffer_load_dword v138, off, s[0:3], 0 offset:556
	buffer_load_dword v120, off, s[0:3], 0 offset:532
	;; [unrolled: 1-line block ×3, first 2 shown]
	ds_read_b128 v[89:92], v142 offset:960
	s_waitcnt vmcnt(58) lgkmcnt(1)
	v_mul_f64 v[135:136], v[3:4], v[159:160]
	s_waitcnt vmcnt(56)
	v_fma_f64 v[157:158], v[85:86], v[164:165], -v[157:158]
	v_mul_f64 v[129:130], v[1:2], v[159:160]
	v_add_f64 v[93:94], v[93:94], v[127:128]
	v_fma_f64 v[127:128], v[87:88], v[164:165], v[172:173]
	v_add_f64 v[95:96], v[95:96], v[121:122]
	s_clause 0x4
	buffer_load_dword v122, off, s[0:3], 0 offset:572
	buffer_load_dword v159, off, s[0:3], 0 offset:584
	buffer_load_dword v163, off, s[0:3], 0 offset:576
	buffer_load_dword v121, off, s[0:3], 0 offset:568
	buffer_load_dword v140, off, s[0:3], 0 offset:548
	ds_read_b128 v[85:88], v142 offset:976
	s_waitcnt vmcnt(57) lgkmcnt(1)
	v_mul_f64 v[164:165], v[89:90], v[155:156]
	v_mul_f64 v[155:156], v[91:92], v[155:156]
	s_waitcnt vmcnt(56)
	v_fma_f64 v[135:136], v[1:2], v[161:162], -v[135:136]
	v_fma_f64 v[129:130], v[3:4], v[161:162], v[129:130]
	v_add_f64 v[93:94], v[93:94], v[157:158]
	v_add_f64 v[95:96], v[95:96], v[127:128]
	s_clause 0x2
	buffer_load_dword v160, off, s[0:3], 0 offset:588
	buffer_load_dword v128, off, s[0:3], 0 offset:564
	;; [unrolled: 1-line block ×3, first 2 shown]
	ds_read_b128 v[1:4], v142 offset:992
	s_waitcnt vmcnt(58) lgkmcnt(1)
	v_mul_f64 v[161:162], v[87:88], v[168:169]
	v_mul_f64 v[157:158], v[85:86], v[168:169]
	s_waitcnt vmcnt(56)
	v_fma_f64 v[155:156], v[89:90], v[149:150], -v[155:156]
	v_add_f64 v[93:94], v[93:94], v[135:136]
	v_fma_f64 v[135:136], v[91:92], v[149:150], v[164:165]
	v_add_f64 v[95:96], v[95:96], v[129:130]
	s_clause 0x4
	buffer_load_dword v130, off, s[0:3], 0 offset:604
	buffer_load_dword v149, off, s[0:3], 0 offset:616
	;; [unrolled: 1-line block ×5, first 2 shown]
	ds_read_b128 v[89:92], v142 offset:1008
	s_waitcnt vmcnt(57) lgkmcnt(1)
	v_mul_f64 v[172:173], v[1:2], v[105:106]
	v_mul_f64 v[105:106], v[3:4], v[105:106]
	s_waitcnt vmcnt(56)
	v_fma_f64 v[161:162], v[85:86], v[170:171], -v[161:162]
	v_add_f64 v[93:94], v[93:94], v[155:156]
	v_fma_f64 v[155:156], v[87:88], v[170:171], v[157:158]
	v_add_f64 v[95:96], v[95:96], v[135:136]
	s_clause 0x2
	buffer_load_dword v150, off, s[0:3], 0 offset:620
	buffer_load_dword v136, off, s[0:3], 0 offset:596
	;; [unrolled: 1-line block ×3, first 2 shown]
	ds_read_b128 v[85:88], v142 offset:1024
	s_waitcnt vmcnt(58) lgkmcnt(1)
	v_mul_f64 v[157:158], v[89:90], v[151:152]
	v_mul_f64 v[151:152], v[91:92], v[151:152]
	s_waitcnt vmcnt(56)
	v_fma_f64 v[105:106], v[1:2], v[99:100], -v[105:106]
	v_fma_f64 v[99:100], v[3:4], v[99:100], v[172:173]
	v_add_f64 v[93:94], v[93:94], v[161:162]
	v_add_f64 v[95:96], v[95:96], v[155:156]
	s_clause 0x4
	buffer_load_dword v156, off, s[0:3], 0 offset:636
	buffer_load_dword v161, off, s[0:3], 0 offset:648
	;; [unrolled: 1-line block ×5, first 2 shown]
	ds_read_b128 v[1:4], v142 offset:1040
	s_waitcnt vmcnt(57) lgkmcnt(1)
	v_mul_f64 v[170:171], v[85:86], v[143:144]
	v_mul_f64 v[143:144], v[87:88], v[143:144]
	s_waitcnt vmcnt(56)
	v_fma_f64 v[151:152], v[89:90], v[166:167], -v[151:152]
	v_add_f64 v[93:94], v[93:94], v[105:106]
	v_fma_f64 v[105:106], v[91:92], v[166:167], v[157:158]
	v_add_f64 v[95:96], v[95:96], v[99:100]
	s_clause 0x2
	buffer_load_dword v162, off, s[0:3], 0 offset:652
	buffer_load_dword v100, off, s[0:3], 0 offset:628
	buffer_load_dword v99, off, s[0:3], 0 offset:624
	ds_read_b128 v[89:92], v142 offset:1056
	buffer_load_dword v166, off, s[0:3], 0 offset:644
	s_waitcnt vmcnt(59) lgkmcnt(1)
	v_mul_f64 v[157:158], v[1:2], v[145:146]
	v_mul_f64 v[145:146], v[3:4], v[145:146]
	s_waitcnt vmcnt(57)
	v_fma_f64 v[143:144], v[85:86], v[101:102], -v[143:144]
	v_fma_f64 v[101:102], v[87:88], v[101:102], v[170:171]
	ds_read_b128 v[85:88], v142 offset:1072
	v_add_f64 v[93:94], v[93:94], v[151:152]
	v_add_f64 v[95:96], v[95:96], v[105:106]
	s_waitcnt vmcnt(53) lgkmcnt(1)
	v_mul_f64 v[105:106], v[89:90], v[97:98]
	v_mul_f64 v[97:98], v[91:92], v[97:98]
	s_waitcnt vmcnt(52)
	v_fma_f64 v[145:146], v[1:2], v[153:154], -v[145:146]
	v_add_f64 v[93:94], v[93:94], v[143:144]
	v_fma_f64 v[143:144], v[3:4], v[153:154], v[157:158]
	v_add_f64 v[95:96], v[95:96], v[101:102]
	ds_read_b128 v[1:4], v142 offset:1088
	s_waitcnt vmcnt(51) lgkmcnt(1)
	v_mul_f64 v[101:102], v[85:86], v[117:118]
	v_mul_f64 v[117:118], v[87:88], v[117:118]
	s_waitcnt vmcnt(49)
	v_fma_f64 v[97:98], v[89:90], v[107:108], -v[97:98]
	v_fma_f64 v[105:106], v[91:92], v[107:108], v[105:106]
	v_add_f64 v[93:94], v[93:94], v[145:146]
	v_add_f64 v[95:96], v[95:96], v[143:144]
	s_clause 0x3
	buffer_load_dword v107, off, s[0:3], 0 offset:48
	buffer_load_dword v108, off, s[0:3], 0 offset:52
	;; [unrolled: 1-line block ×4, first 2 shown]
	ds_read_b128 v[89:92], v142 offset:1104
	s_waitcnt vmcnt(49) lgkmcnt(1)
	v_mul_f64 v[145:146], v[1:2], v[103:104]
	v_mul_f64 v[103:104], v[3:4], v[103:104]
	s_waitcnt vmcnt(48)
	v_fma_f64 v[117:118], v[85:86], v[147:148], -v[117:118]
	v_add_f64 v[93:94], v[93:94], v[97:98]
	v_fma_f64 v[97:98], v[87:88], v[147:148], v[101:102]
	v_add_f64 v[95:96], v[95:96], v[105:106]
	ds_read_b128 v[85:88], v142 offset:1120
	s_waitcnt vmcnt(47) lgkmcnt(1)
	v_mul_f64 v[105:106], v[91:92], v[123:124]
	v_mul_f64 v[101:102], v[89:90], v[123:124]
	s_waitcnt vmcnt(45)
	v_fma_f64 v[103:104], v[1:2], v[113:114], -v[103:104]
	v_fma_f64 v[113:114], v[3:4], v[113:114], v[145:146]
	ds_read_b128 v[1:4], v142 offset:1136
	v_add_f64 v[93:94], v[93:94], v[117:118]
	v_add_f64 v[95:96], v[95:96], v[97:98]
	s_waitcnt vmcnt(41) lgkmcnt(1)
	v_mul_f64 v[97:98], v[85:86], v[109:110]
	v_mul_f64 v[109:110], v[87:88], v[109:110]
	s_waitcnt vmcnt(40)
	v_fma_f64 v[105:106], v[89:90], v[125:126], -v[105:106]
	v_fma_f64 v[101:102], v[91:92], v[125:126], v[101:102]
	ds_read_b128 v[89:92], v142 offset:1152
	v_add_f64 v[93:94], v[93:94], v[103:104]
	v_add_f64 v[95:96], v[95:96], v[113:114]
	;; [unrolled: 9-line block ×3, first 2 shown]
	s_waitcnt vmcnt(33) lgkmcnt(1)
	v_mul_f64 v[105:106], v[91:92], v[115:116]
	s_waitcnt vmcnt(32)
	v_fma_f64 v[111:112], v[1:2], v[133:134], -v[113:114]
	v_mul_f64 v[101:102], v[89:90], v[115:116]
	v_fma_f64 v[103:104], v[3:4], v[133:134], v[103:104]
	ds_read_b128 v[1:4], v142 offset:1184
	v_add_f64 v[93:94], v[93:94], v[109:110]
	v_add_f64 v[95:96], v[95:96], v[97:98]
	s_waitcnt vmcnt(31) lgkmcnt(1)
	v_mul_f64 v[109:110], v[87:88], v[137:138]
	v_mul_f64 v[97:98], v[85:86], v[137:138]
	s_waitcnt vmcnt(29)
	v_fma_f64 v[105:106], v[89:90], v[119:120], -v[105:106]
	v_fma_f64 v[101:102], v[91:92], v[119:120], v[101:102]
	ds_read_b128 v[89:92], v142 offset:1200
	v_add_f64 v[93:94], v[93:94], v[111:112]
	v_add_f64 v[95:96], v[95:96], v[103:104]
	s_waitcnt vmcnt(25) lgkmcnt(1)
	v_mul_f64 v[111:112], v[3:4], v[121:122]
	s_waitcnt vmcnt(24)
	v_fma_f64 v[109:110], v[85:86], v[139:140], -v[109:110]
	v_mul_f64 v[103:104], v[1:2], v[121:122]
	v_fma_f64 v[97:98], v[87:88], v[139:140], v[97:98]
	ds_read_b128 v[85:88], v142 offset:1216
	v_add_f64 v[93:94], v[93:94], v[105:106]
	v_add_f64 v[95:96], v[95:96], v[101:102]
	s_waitcnt vmcnt(23) lgkmcnt(1)
	v_mul_f64 v[105:106], v[91:92], v[159:160]
	v_mul_f64 v[101:102], v[89:90], v[159:160]
	s_waitcnt vmcnt(21)
	v_fma_f64 v[111:112], v[1:2], v[127:128], -v[111:112]
	v_fma_f64 v[103:104], v[3:4], v[127:128], v[103:104]
	ds_read_b128 v[1:4], v142 offset:1232
	v_add_f64 v[93:94], v[93:94], v[109:110]
	v_add_f64 v[95:96], v[95:96], v[97:98]
	;; [unrolled: 18-line block ×3, first 2 shown]
	s_waitcnt vmcnt(9) lgkmcnt(1)
	v_mul_f64 v[105:106], v[91:92], v[155:156]
	s_waitcnt vmcnt(8)
	v_fma_f64 v[1:2], v[1:2], v[168:169], -v[111:112]
	v_mul_f64 v[101:102], v[89:90], v[155:156]
	v_fma_f64 v[3:4], v[3:4], v[168:169], v[103:104]
	v_add_f64 v[93:94], v[93:94], v[109:110]
	v_add_f64 v[95:96], v[95:96], v[97:98]
	s_waitcnt vmcnt(7) lgkmcnt(0)
	v_mul_f64 v[103:104], v[87:88], v[161:162]
	v_mul_f64 v[97:98], v[85:86], v[161:162]
	s_waitcnt vmcnt(5)
	v_fma_f64 v[89:90], v[89:90], v[99:100], -v[105:106]
	v_fma_f64 v[91:92], v[91:92], v[99:100], v[101:102]
	v_add_f64 v[1:2], v[93:94], v[1:2]
	v_add_f64 v[3:4], v[95:96], v[3:4]
	s_waitcnt vmcnt(4)
	v_fma_f64 v[85:86], v[85:86], v[165:166], -v[103:104]
	v_fma_f64 v[87:88], v[87:88], v[165:166], v[97:98]
	v_add_f64 v[1:2], v[1:2], v[89:90]
	v_add_f64 v[3:4], v[3:4], v[91:92]
	;; [unrolled: 1-line block ×4, first 2 shown]
	s_waitcnt vmcnt(2)
	v_add_f64 v[1:2], v[107:108], -v[1:2]
	s_waitcnt vmcnt(0)
	v_add_f64 v[3:4], v[143:144], -v[3:4]
	buffer_store_dword v2, off, s[0:3], 0 offset:52
	buffer_store_dword v1, off, s[0:3], 0 offset:48
	;; [unrolled: 1-line block ×4, first 2 shown]
	v_cmpx_lt_u32_e32 1, v0
	s_cbranch_execz .LBB103_251
; %bb.250:
	v_mov_b32_e32 v4, s51
	s_clause 0x3
	buffer_load_dword v1, v4, s[0:3], 0 offen
	buffer_load_dword v2, v4, s[0:3], 0 offen offset:4
	buffer_load_dword v3, v4, s[0:3], 0 offen offset:8
	buffer_load_dword v4, v4, s[0:3], 0 offen offset:12
	buffer_store_dword v142, off, s[0:3], 0 offset:32
	buffer_store_dword v142, off, s[0:3], 0 offset:36
	buffer_store_dword v142, off, s[0:3], 0 offset:40
	buffer_store_dword v142, off, s[0:3], 0 offset:44
	s_waitcnt vmcnt(0)
	ds_write_b128 v141, v[1:4]
.LBB103_251:
	s_or_b32 exec_lo, exec_lo, s4
	s_waitcnt lgkmcnt(0)
	s_waitcnt_vscnt null, 0x0
	s_barrier
	buffer_gl0_inv
	s_clause 0x37
	buffer_load_dword v89, off, s[0:3], 0 offset:56
	buffer_load_dword v90, off, s[0:3], 0 offset:60
	;; [unrolled: 1-line block ×56, first 2 shown]
	ds_read_b128 v[143:146], v142 offset:672
	s_clause 0x2
	buffer_load_dword v138, off, s[0:3], 0 offset:284
	buffer_load_dword v140, off, s[0:3], 0 offset:260
	;; [unrolled: 1-line block ×3, first 2 shown]
	ds_read_b128 v[147:150], v142 offset:688
	s_clause 0x4
	buffer_load_dword v158, off, s[0:3], 0 offset:300
	buffer_load_dword v159, off, s[0:3], 0 offset:312
	;; [unrolled: 1-line block ×5, first 2 shown]
	ds_read_b128 v[151:154], v142 offset:704
	s_clause 0x2
	buffer_load_dword v160, off, s[0:3], 0 offset:316
	buffer_load_dword v165, off, s[0:3], 0 offset:292
	;; [unrolled: 1-line block ×3, first 2 shown]
	s_mov_b32 s4, exec_lo
	s_waitcnt vmcnt(62) lgkmcnt(2)
	v_mul_f64 v[155:156], v[145:146], v[89:90]
	v_mul_f64 v[89:90], v[143:144], v[89:90]
	s_waitcnt lgkmcnt(1)
	v_mul_f64 v[162:163], v[149:150], v[85:86]
	s_waitcnt vmcnt(59) lgkmcnt(0)
	v_mul_f64 v[166:167], v[153:154], v[3:4]
	v_fma_f64 v[143:144], v[143:144], v[87:88], -v[155:156]
	v_mul_f64 v[155:156], v[147:148], v[85:86]
	v_fma_f64 v[89:90], v[145:146], v[87:88], v[89:90]
	s_waitcnt vmcnt(57)
	v_fma_f64 v[147:148], v[147:148], v[1:2], -v[162:163]
	ds_read_b128 v[85:88], v142 offset:720
	v_mul_f64 v[145:146], v[151:152], v[3:4]
	s_waitcnt vmcnt(51)
	v_fma_f64 v[151:152], v[151:152], v[105:106], -v[166:167]
	v_add_f64 v[143:144], v[143:144], 0
	v_fma_f64 v[149:150], v[149:150], v[1:2], v[155:156]
	v_add_f64 v[89:90], v[89:90], 0
	s_clause 0x4
	buffer_load_dword v156, off, s[0:3], 0 offset:332
	buffer_load_dword v168, off, s[0:3], 0 offset:344
	;; [unrolled: 1-line block ×5, first 2 shown]
	s_waitcnt lgkmcnt(0)
	v_mul_f64 v[171:172], v[85:86], v[93:94]
	v_mul_f64 v[93:94], v[87:88], v[93:94]
	ds_read_b128 v[1:4], v142 offset:736
	v_fma_f64 v[105:106], v[153:154], v[105:106], v[145:146]
	v_add_f64 v[147:148], v[143:144], v[147:148]
	v_add_f64 v[89:90], v[89:90], v[149:150]
	s_clause 0x2
	buffer_load_dword v169, off, s[0:3], 0 offset:348
	buffer_load_dword v150, off, s[0:3], 0 offset:324
	;; [unrolled: 1-line block ×3, first 2 shown]
	s_waitcnt vmcnt(58) lgkmcnt(0)
	v_mul_f64 v[153:154], v[1:2], v[97:98]
	v_mul_f64 v[97:98], v[3:4], v[97:98]
	s_waitcnt vmcnt(56)
	v_fma_f64 v[93:94], v[85:86], v[99:100], -v[93:94]
	ds_read_b128 v[143:146], v142 offset:752
	v_fma_f64 v[99:100], v[87:88], v[99:100], v[171:172]
	v_add_f64 v[147:148], v[147:148], v[151:152]
	v_add_f64 v[89:90], v[89:90], v[105:106]
	s_clause 0x4
	buffer_load_dword v106, off, s[0:3], 0 offset:364
	buffer_load_dword v151, off, s[0:3], 0 offset:376
	;; [unrolled: 1-line block ×5, first 2 shown]
	ds_read_b128 v[85:88], v142 offset:768
	s_waitcnt vmcnt(57) lgkmcnt(1)
	v_mul_f64 v[172:173], v[143:144], v[101:102]
	v_mul_f64 v[101:102], v[145:146], v[101:102]
	s_waitcnt vmcnt(56)
	v_fma_f64 v[97:98], v[1:2], v[91:92], -v[97:98]
	v_fma_f64 v[91:92], v[3:4], v[91:92], v[153:154]
	v_add_f64 v[93:94], v[147:148], v[93:94]
	v_add_f64 v[89:90], v[89:90], v[99:100]
	s_clause 0x2
	buffer_load_dword v152, off, s[0:3], 0 offset:380
	buffer_load_dword v100, off, s[0:3], 0 offset:356
	;; [unrolled: 1-line block ×3, first 2 shown]
	s_waitcnt vmcnt(58) lgkmcnt(0)
	v_mul_f64 v[147:148], v[85:86], v[107:108]
	v_mul_f64 v[107:108], v[87:88], v[107:108]
	s_waitcnt vmcnt(56)
	v_fma_f64 v[101:102], v[143:144], v[109:110], -v[101:102]
	ds_read_b128 v[1:4], v142 offset:784
	v_add_f64 v[93:94], v[93:94], v[97:98]
	v_fma_f64 v[97:98], v[145:146], v[109:110], v[172:173]
	v_add_f64 v[109:110], v[89:90], v[91:92]
	s_clause 0x4
	buffer_load_dword v144, off, s[0:3], 0 offset:396
	buffer_load_dword v145, off, s[0:3], 0 offset:408
	;; [unrolled: 1-line block ×5, first 2 shown]
	ds_read_b128 v[89:92], v142 offset:800
	s_waitcnt vmcnt(57) lgkmcnt(1)
	v_mul_f64 v[172:173], v[1:2], v[111:112]
	v_mul_f64 v[111:112], v[3:4], v[111:112]
	s_waitcnt vmcnt(56)
	v_fma_f64 v[107:108], v[85:86], v[95:96], -v[107:108]
	v_fma_f64 v[95:96], v[87:88], v[95:96], v[147:148]
	v_add_f64 v[93:94], v[93:94], v[101:102]
	s_clause 0x2
	buffer_load_dword v146, off, s[0:3], 0 offset:412
	buffer_load_dword v102, off, s[0:3], 0 offset:388
	;; [unrolled: 1-line block ×3, first 2 shown]
	v_add_f64 v[97:98], v[109:110], v[97:98]
	s_waitcnt vmcnt(58) lgkmcnt(0)
	v_mul_f64 v[109:110], v[89:90], v[115:116]
	v_mul_f64 v[115:116], v[91:92], v[115:116]
	ds_read_b128 v[85:88], v142 offset:816
	s_waitcnt vmcnt(56)
	v_fma_f64 v[111:112], v[1:2], v[117:118], -v[111:112]
	v_add_f64 v[93:94], v[93:94], v[107:108]
	v_fma_f64 v[107:108], v[3:4], v[117:118], v[172:173]
	v_add_f64 v[95:96], v[97:98], v[95:96]
	s_clause 0x4
	buffer_load_dword v98, off, s[0:3], 0 offset:428
	buffer_load_dword v117, off, s[0:3], 0 offset:440
	;; [unrolled: 1-line block ×5, first 2 shown]
	s_waitcnt vmcnt(57) lgkmcnt(0)
	v_mul_f64 v[172:173], v[85:86], v[119:120]
	v_mul_f64 v[119:120], v[87:88], v[119:120]
	s_waitcnt vmcnt(56)
	v_fma_f64 v[115:116], v[89:90], v[103:104], -v[115:116]
	ds_read_b128 v[1:4], v142 offset:832
	v_fma_f64 v[103:104], v[91:92], v[103:104], v[109:110]
	v_add_f64 v[93:94], v[93:94], v[111:112]
	v_add_f64 v[95:96], v[95:96], v[107:108]
	s_clause 0x2
	buffer_load_dword v118, off, s[0:3], 0 offset:444
	buffer_load_dword v108, off, s[0:3], 0 offset:420
	;; [unrolled: 1-line block ×3, first 2 shown]
	ds_read_b128 v[89:92], v142 offset:848
	s_waitcnt vmcnt(58) lgkmcnt(1)
	v_mul_f64 v[111:112], v[3:4], v[123:124]
	s_waitcnt vmcnt(56)
	v_fma_f64 v[119:120], v[85:86], v[125:126], -v[119:120]
	v_mul_f64 v[109:110], v[1:2], v[123:124]
	v_add_f64 v[93:94], v[93:94], v[115:116]
	v_fma_f64 v[115:116], v[87:88], v[125:126], v[172:173]
	v_add_f64 v[95:96], v[95:96], v[103:104]
	s_clause 0x4
	buffer_load_dword v104, off, s[0:3], 0 offset:460
	buffer_load_dword v123, off, s[0:3], 0 offset:472
	;; [unrolled: 1-line block ×5, first 2 shown]
	s_waitcnt vmcnt(57) lgkmcnt(0)
	v_mul_f64 v[172:173], v[89:90], v[127:128]
	v_mul_f64 v[126:127], v[91:92], v[127:128]
	s_waitcnt vmcnt(56)
	v_fma_f64 v[111:112], v[1:2], v[113:114], -v[111:112]
	ds_read_b128 v[85:88], v142 offset:864
	v_fma_f64 v[109:110], v[3:4], v[113:114], v[109:110]
	s_clause 0x2
	buffer_load_dword v124, off, s[0:3], 0 offset:476
	buffer_load_dword v114, off, s[0:3], 0 offset:452
	;; [unrolled: 1-line block ×3, first 2 shown]
	ds_read_b128 v[1:4], v142 offset:880
	v_add_f64 v[93:94], v[93:94], v[119:120]
	v_add_f64 v[95:96], v[95:96], v[115:116]
	s_waitcnt vmcnt(58) lgkmcnt(1)
	v_mul_f64 v[119:120], v[87:88], v[131:132]
	s_waitcnt vmcnt(56)
	v_fma_f64 v[127:128], v[89:90], v[133:134], -v[126:127]
	v_mul_f64 v[115:116], v[85:86], v[131:132]
	v_add_f64 v[93:94], v[93:94], v[111:112]
	v_fma_f64 v[111:112], v[91:92], v[133:134], v[172:173]
	v_add_f64 v[95:96], v[95:96], v[109:110]
	s_clause 0x4
	buffer_load_dword v110, off, s[0:3], 0 offset:492
	buffer_load_dword v131, off, s[0:3], 0 offset:504
	buffer_load_dword v133, off, s[0:3], 0 offset:496
	buffer_load_dword v109, off, s[0:3], 0 offset:488
	buffer_load_dword v126, off, s[0:3], 0 offset:468
	s_waitcnt vmcnt(57) lgkmcnt(0)
	v_mul_f64 v[172:173], v[1:2], v[135:136]
	v_mul_f64 v[134:135], v[3:4], v[135:136]
	s_waitcnt vmcnt(56)
	v_fma_f64 v[119:120], v[85:86], v[121:122], -v[119:120]
	ds_read_b128 v[89:92], v142 offset:896
	v_fma_f64 v[115:116], v[87:88], v[121:122], v[115:116]
	v_add_f64 v[93:94], v[93:94], v[127:128]
	v_add_f64 v[95:96], v[95:96], v[111:112]
	s_clause 0x2
	buffer_load_dword v132, off, s[0:3], 0 offset:508
	buffer_load_dword v112, off, s[0:3], 0 offset:484
	;; [unrolled: 1-line block ×3, first 2 shown]
	ds_read_b128 v[85:88], v142 offset:912
	s_waitcnt vmcnt(58) lgkmcnt(1)
	v_mul_f64 v[127:128], v[91:92], v[137:138]
	s_waitcnt vmcnt(56)
	v_fma_f64 v[135:136], v[1:2], v[139:140], -v[134:135]
	v_mul_f64 v[121:122], v[89:90], v[137:138]
	v_add_f64 v[93:94], v[93:94], v[119:120]
	v_fma_f64 v[119:120], v[3:4], v[139:140], v[172:173]
	v_add_f64 v[95:96], v[95:96], v[115:116]
	s_clause 0x4
	buffer_load_dword v116, off, s[0:3], 0 offset:524
	buffer_load_dword v137, off, s[0:3], 0 offset:536
	;; [unrolled: 1-line block ×5, first 2 shown]
	s_waitcnt vmcnt(57) lgkmcnt(0)
	v_mul_f64 v[172:173], v[85:86], v[157:158]
	v_mul_f64 v[157:158], v[87:88], v[157:158]
	s_waitcnt vmcnt(56)
	v_fma_f64 v[127:128], v[89:90], v[129:130], -v[127:128]
	ds_read_b128 v[1:4], v142 offset:928
	v_fma_f64 v[121:122], v[91:92], v[129:130], v[121:122]
	v_add_f64 v[93:94], v[93:94], v[135:136]
	v_add_f64 v[95:96], v[95:96], v[119:120]
	s_clause 0x2
	buffer_load_dword v138, off, s[0:3], 0 offset:540
	buffer_load_dword v120, off, s[0:3], 0 offset:516
	;; [unrolled: 1-line block ×3, first 2 shown]
	ds_read_b128 v[89:92], v142 offset:944
	s_waitcnt vmcnt(58) lgkmcnt(1)
	v_mul_f64 v[135:136], v[3:4], v[159:160]
	s_waitcnt vmcnt(56)
	v_fma_f64 v[157:158], v[85:86], v[164:165], -v[157:158]
	v_mul_f64 v[129:130], v[1:2], v[159:160]
	v_add_f64 v[93:94], v[93:94], v[127:128]
	v_fma_f64 v[127:128], v[87:88], v[164:165], v[172:173]
	v_add_f64 v[95:96], v[95:96], v[121:122]
	s_clause 0x4
	buffer_load_dword v122, off, s[0:3], 0 offset:556
	buffer_load_dword v159, off, s[0:3], 0 offset:568
	;; [unrolled: 1-line block ×5, first 2 shown]
	ds_read_b128 v[85:88], v142 offset:960
	s_waitcnt vmcnt(57) lgkmcnt(1)
	v_mul_f64 v[164:165], v[89:90], v[155:156]
	v_mul_f64 v[155:156], v[91:92], v[155:156]
	s_waitcnt vmcnt(56)
	v_fma_f64 v[135:136], v[1:2], v[161:162], -v[135:136]
	v_fma_f64 v[129:130], v[3:4], v[161:162], v[129:130]
	v_add_f64 v[93:94], v[93:94], v[157:158]
	v_add_f64 v[95:96], v[95:96], v[127:128]
	s_clause 0x2
	buffer_load_dword v160, off, s[0:3], 0 offset:572
	buffer_load_dword v128, off, s[0:3], 0 offset:548
	;; [unrolled: 1-line block ×3, first 2 shown]
	ds_read_b128 v[1:4], v142 offset:976
	s_waitcnt vmcnt(58) lgkmcnt(1)
	v_mul_f64 v[161:162], v[87:88], v[168:169]
	v_mul_f64 v[157:158], v[85:86], v[168:169]
	s_waitcnt vmcnt(56)
	v_fma_f64 v[155:156], v[89:90], v[149:150], -v[155:156]
	v_add_f64 v[93:94], v[93:94], v[135:136]
	v_fma_f64 v[135:136], v[91:92], v[149:150], v[164:165]
	v_add_f64 v[95:96], v[95:96], v[129:130]
	s_clause 0x4
	buffer_load_dword v130, off, s[0:3], 0 offset:588
	buffer_load_dword v149, off, s[0:3], 0 offset:600
	;; [unrolled: 1-line block ×5, first 2 shown]
	ds_read_b128 v[89:92], v142 offset:992
	s_waitcnt vmcnt(57) lgkmcnt(1)
	v_mul_f64 v[172:173], v[1:2], v[105:106]
	v_mul_f64 v[105:106], v[3:4], v[105:106]
	s_waitcnt vmcnt(56)
	v_fma_f64 v[161:162], v[85:86], v[170:171], -v[161:162]
	v_add_f64 v[93:94], v[93:94], v[155:156]
	v_fma_f64 v[155:156], v[87:88], v[170:171], v[157:158]
	v_add_f64 v[95:96], v[95:96], v[135:136]
	s_clause 0x2
	buffer_load_dword v150, off, s[0:3], 0 offset:604
	buffer_load_dword v136, off, s[0:3], 0 offset:580
	;; [unrolled: 1-line block ×3, first 2 shown]
	ds_read_b128 v[85:88], v142 offset:1008
	s_waitcnt vmcnt(58) lgkmcnt(1)
	v_mul_f64 v[157:158], v[89:90], v[151:152]
	v_mul_f64 v[151:152], v[91:92], v[151:152]
	s_waitcnt vmcnt(56)
	v_fma_f64 v[105:106], v[1:2], v[99:100], -v[105:106]
	v_fma_f64 v[99:100], v[3:4], v[99:100], v[172:173]
	v_add_f64 v[93:94], v[93:94], v[161:162]
	v_add_f64 v[95:96], v[95:96], v[155:156]
	s_clause 0x4
	buffer_load_dword v156, off, s[0:3], 0 offset:620
	buffer_load_dword v161, off, s[0:3], 0 offset:632
	;; [unrolled: 1-line block ×5, first 2 shown]
	ds_read_b128 v[1:4], v142 offset:1024
	s_waitcnt vmcnt(57) lgkmcnt(1)
	v_mul_f64 v[170:171], v[85:86], v[143:144]
	v_mul_f64 v[143:144], v[87:88], v[143:144]
	s_waitcnt vmcnt(56)
	v_fma_f64 v[151:152], v[89:90], v[166:167], -v[151:152]
	v_add_f64 v[93:94], v[93:94], v[105:106]
	v_fma_f64 v[105:106], v[91:92], v[166:167], v[157:158]
	v_add_f64 v[95:96], v[95:96], v[99:100]
	s_clause 0x2
	buffer_load_dword v162, off, s[0:3], 0 offset:636
	buffer_load_dword v100, off, s[0:3], 0 offset:612
	;; [unrolled: 1-line block ×3, first 2 shown]
	ds_read_b128 v[89:92], v142 offset:1040
	s_waitcnt vmcnt(58) lgkmcnt(1)
	v_mul_f64 v[157:158], v[1:2], v[145:146]
	v_mul_f64 v[145:146], v[3:4], v[145:146]
	s_waitcnt vmcnt(56)
	v_fma_f64 v[143:144], v[85:86], v[101:102], -v[143:144]
	v_fma_f64 v[101:102], v[87:88], v[101:102], v[170:171]
	v_add_f64 v[93:94], v[93:94], v[151:152]
	v_add_f64 v[95:96], v[95:96], v[105:106]
	s_clause 0x2
	buffer_load_dword v106, off, s[0:3], 0 offset:652
	buffer_load_dword v105, off, s[0:3], 0 offset:648
	;; [unrolled: 1-line block ×3, first 2 shown]
	ds_read_b128 v[85:88], v142 offset:1056
	s_waitcnt vmcnt(55) lgkmcnt(1)
	v_mul_f64 v[151:152], v[89:90], v[97:98]
	v_mul_f64 v[97:98], v[91:92], v[97:98]
	s_waitcnt vmcnt(54)
	v_fma_f64 v[145:146], v[1:2], v[153:154], -v[145:146]
	v_add_f64 v[93:94], v[93:94], v[143:144]
	v_fma_f64 v[143:144], v[3:4], v[153:154], v[157:158]
	v_add_f64 v[95:96], v[95:96], v[101:102]
	s_clause 0x1
	buffer_load_dword v102, off, s[0:3], 0 offset:644
	buffer_load_dword v101, off, s[0:3], 0 offset:640
	ds_read_b128 v[1:4], v142 offset:1072
	s_waitcnt vmcnt(55) lgkmcnt(1)
	v_mul_f64 v[153:154], v[85:86], v[117:118]
	v_mul_f64 v[117:118], v[87:88], v[117:118]
	s_waitcnt vmcnt(53)
	v_fma_f64 v[97:98], v[89:90], v[107:108], -v[97:98]
	v_fma_f64 v[107:108], v[91:92], v[107:108], v[151:152]
	ds_read_b128 v[89:92], v142 offset:1088
	v_add_f64 v[93:94], v[93:94], v[145:146]
	v_add_f64 v[95:96], v[95:96], v[143:144]
	s_waitcnt vmcnt(49) lgkmcnt(1)
	v_mul_f64 v[143:144], v[1:2], v[103:104]
	v_mul_f64 v[103:104], v[3:4], v[103:104]
	s_waitcnt vmcnt(48)
	v_fma_f64 v[117:118], v[85:86], v[147:148], -v[117:118]
	v_add_f64 v[93:94], v[93:94], v[97:98]
	v_fma_f64 v[97:98], v[87:88], v[147:148], v[153:154]
	v_add_f64 v[95:96], v[95:96], v[107:108]
	s_clause 0x3
	buffer_load_dword v107, off, s[0:3], 0 offset:32
	buffer_load_dword v108, off, s[0:3], 0 offset:36
	;; [unrolled: 1-line block ×4, first 2 shown]
	s_waitcnt vmcnt(51) lgkmcnt(0)
	v_mul_f64 v[147:148], v[89:90], v[123:124]
	v_mul_f64 v[123:124], v[91:92], v[123:124]
	ds_read_b128 v[85:88], v142 offset:1104
	s_waitcnt vmcnt(49)
	v_fma_f64 v[103:104], v[1:2], v[113:114], -v[103:104]
	v_fma_f64 v[113:114], v[3:4], v[113:114], v[143:144]
	ds_read_b128 v[1:4], v142 offset:1120
	v_add_f64 v[93:94], v[93:94], v[117:118]
	v_add_f64 v[95:96], v[95:96], v[97:98]
	s_waitcnt vmcnt(45) lgkmcnt(1)
	v_mul_f64 v[97:98], v[85:86], v[109:110]
	v_mul_f64 v[109:110], v[87:88], v[109:110]
	s_waitcnt vmcnt(44)
	v_fma_f64 v[117:118], v[89:90], v[125:126], -v[123:124]
	v_add_f64 v[93:94], v[93:94], v[103:104]
	v_fma_f64 v[103:104], v[91:92], v[125:126], v[147:148]
	v_add_f64 v[95:96], v[95:96], v[113:114]
	ds_read_b128 v[89:92], v142 offset:1136
	s_waitcnt vmcnt(43) lgkmcnt(1)
	v_mul_f64 v[123:124], v[3:4], v[131:132]
	v_mul_f64 v[113:114], v[1:2], v[131:132]
	s_waitcnt vmcnt(41)
	v_fma_f64 v[109:110], v[85:86], v[111:112], -v[109:110]
	v_fma_f64 v[97:98], v[87:88], v[111:112], v[97:98]
	ds_read_b128 v[85:88], v142 offset:1152
	v_add_f64 v[93:94], v[93:94], v[117:118]
	v_add_f64 v[95:96], v[95:96], v[103:104]
	s_waitcnt vmcnt(37) lgkmcnt(1)
	v_mul_f64 v[103:104], v[89:90], v[115:116]
	v_mul_f64 v[111:112], v[91:92], v[115:116]
	s_waitcnt vmcnt(36)
	v_fma_f64 v[115:116], v[1:2], v[133:134], -v[123:124]
	v_add_f64 v[93:94], v[93:94], v[109:110]
	v_fma_f64 v[109:110], v[3:4], v[133:134], v[113:114]
	v_add_f64 v[95:96], v[95:96], v[97:98]
	ds_read_b128 v[1:4], v142 offset:1168
	s_waitcnt vmcnt(35) lgkmcnt(1)
	v_mul_f64 v[113:114], v[87:88], v[137:138]
	v_mul_f64 v[97:98], v[85:86], v[137:138]
	s_waitcnt vmcnt(33)
	v_fma_f64 v[111:112], v[89:90], v[119:120], -v[111:112]
	v_fma_f64 v[103:104], v[91:92], v[119:120], v[103:104]
	ds_read_b128 v[89:92], v142 offset:1184
	v_add_f64 v[93:94], v[93:94], v[115:116]
	v_add_f64 v[95:96], v[95:96], v[109:110]
	s_waitcnt vmcnt(29) lgkmcnt(1)
	v_mul_f64 v[115:116], v[3:4], v[121:122]
	s_waitcnt vmcnt(28)
	v_fma_f64 v[113:114], v[85:86], v[139:140], -v[113:114]
	v_mul_f64 v[109:110], v[1:2], v[121:122]
	v_fma_f64 v[97:98], v[87:88], v[139:140], v[97:98]
	ds_read_b128 v[85:88], v142 offset:1200
	v_add_f64 v[93:94], v[93:94], v[111:112]
	v_add_f64 v[95:96], v[95:96], v[103:104]
	s_waitcnt vmcnt(27) lgkmcnt(1)
	v_mul_f64 v[111:112], v[91:92], v[159:160]
	v_mul_f64 v[103:104], v[89:90], v[159:160]
	s_waitcnt vmcnt(25)
	v_fma_f64 v[115:116], v[1:2], v[127:128], -v[115:116]
	v_fma_f64 v[109:110], v[3:4], v[127:128], v[109:110]
	ds_read_b128 v[1:4], v142 offset:1216
	v_add_f64 v[93:94], v[93:94], v[113:114]
	v_add_f64 v[95:96], v[95:96], v[97:98]
	s_waitcnt vmcnt(21) lgkmcnt(1)
	v_mul_f64 v[113:114], v[87:88], v[129:130]
	s_waitcnt vmcnt(20)
	v_fma_f64 v[111:112], v[89:90], v[163:164], -v[111:112]
	v_mul_f64 v[97:98], v[85:86], v[129:130]
	v_fma_f64 v[103:104], v[91:92], v[163:164], v[103:104]
	ds_read_b128 v[89:92], v142 offset:1232
	v_add_f64 v[93:94], v[93:94], v[115:116]
	v_add_f64 v[95:96], v[95:96], v[109:110]
	;; [unrolled: 18-line block ×3, first 2 shown]
	s_waitcnt vmcnt(11) lgkmcnt(1)
	v_mul_f64 v[113:114], v[87:88], v[161:162]
	v_mul_f64 v[97:98], v[85:86], v[161:162]
	s_waitcnt vmcnt(9)
	v_fma_f64 v[89:90], v[89:90], v[99:100], -v[111:112]
	v_fma_f64 v[91:92], v[91:92], v[99:100], v[103:104]
	v_add_f64 v[93:94], v[93:94], v[115:116]
	v_add_f64 v[95:96], v[95:96], v[109:110]
	s_waitcnt vmcnt(7) lgkmcnt(0)
	v_mul_f64 v[103:104], v[3:4], v[105:106]
	s_waitcnt vmcnt(6)
	v_fma_f64 v[85:86], v[85:86], v[165:166], -v[113:114]
	v_mul_f64 v[99:100], v[1:2], v[105:106]
	v_fma_f64 v[87:88], v[87:88], v[165:166], v[97:98]
	v_add_f64 v[89:90], v[93:94], v[89:90]
	v_add_f64 v[91:92], v[95:96], v[91:92]
	s_waitcnt vmcnt(4)
	v_fma_f64 v[1:2], v[1:2], v[101:102], -v[103:104]
	v_fma_f64 v[3:4], v[3:4], v[101:102], v[99:100]
	v_add_f64 v[85:86], v[89:90], v[85:86]
	v_add_f64 v[87:88], v[91:92], v[87:88]
	;; [unrolled: 1-line block ×4, first 2 shown]
	s_waitcnt vmcnt(2)
	v_add_f64 v[1:2], v[107:108], -v[1:2]
	s_waitcnt vmcnt(0)
	v_add_f64 v[3:4], v[145:146], -v[3:4]
	buffer_store_dword v2, off, s[0:3], 0 offset:36
	buffer_store_dword v1, off, s[0:3], 0 offset:32
	;; [unrolled: 1-line block ×4, first 2 shown]
	v_cmpx_ne_u32_e32 0, v0
	s_cbranch_execz .LBB103_253
; %bb.252:
	s_clause 0x3
	buffer_load_dword v0, off, s[0:3], 0 offset:16
	buffer_load_dword v1, off, s[0:3], 0 offset:20
	;; [unrolled: 1-line block ×4, first 2 shown]
	v_mov_b32_e32 v4, 0
	buffer_store_dword v4, off, s[0:3], 0 offset:16
	buffer_store_dword v4, off, s[0:3], 0 offset:20
	buffer_store_dword v4, off, s[0:3], 0 offset:24
	buffer_store_dword v4, off, s[0:3], 0 offset:28
	s_waitcnt vmcnt(0)
	ds_write_b128 v141, v[0:3]
.LBB103_253:
	s_or_b32 exec_lo, exec_lo, s4
	s_waitcnt lgkmcnt(0)
	s_waitcnt_vscnt null, 0x0
	s_barrier
	buffer_gl0_inv
	s_clause 0x37
	buffer_load_dword v89, off, s[0:3], 0 offset:40
	buffer_load_dword v90, off, s[0:3], 0 offset:44
	;; [unrolled: 1-line block ×56, first 2 shown]
	v_mov_b32_e32 v4, 0
	s_and_b32 vcc_lo, exec_lo, s52
	ds_read_b128 v[141:144], v4 offset:656
	s_clause 0x2
	buffer_load_dword v138, off, s[0:3], 0 offset:268
	buffer_load_dword v140, off, s[0:3], 0 offset:244
	;; [unrolled: 1-line block ×3, first 2 shown]
	ds_read_b128 v[145:148], v4 offset:672
	s_clause 0x4
	buffer_load_dword v156, off, s[0:3], 0 offset:284
	buffer_load_dword v157, off, s[0:3], 0 offset:296
	;; [unrolled: 1-line block ×5, first 2 shown]
	ds_read_b128 v[149:152], v4 offset:688
	s_clause 0x2
	buffer_load_dword v158, off, s[0:3], 0 offset:300
	buffer_load_dword v163, off, s[0:3], 0 offset:276
	;; [unrolled: 1-line block ×3, first 2 shown]
	s_waitcnt vmcnt(62) lgkmcnt(2)
	v_mul_f64 v[153:154], v[143:144], v[89:90]
	v_mul_f64 v[89:90], v[141:142], v[89:90]
	s_waitcnt lgkmcnt(1)
	v_mul_f64 v[160:161], v[147:148], v[85:86]
	s_waitcnt vmcnt(59) lgkmcnt(0)
	v_mul_f64 v[164:165], v[151:152], v[2:3]
	v_fma_f64 v[141:142], v[141:142], v[87:88], -v[153:154]
	v_mul_f64 v[153:154], v[145:146], v[85:86]
	v_fma_f64 v[89:90], v[143:144], v[87:88], v[89:90]
	s_waitcnt vmcnt(57)
	v_fma_f64 v[145:146], v[145:146], v[0:1], -v[160:161]
	ds_read_b128 v[85:88], v4 offset:704
	v_mul_f64 v[143:144], v[149:150], v[2:3]
	s_waitcnt vmcnt(51)
	v_fma_f64 v[149:150], v[149:150], v[105:106], -v[164:165]
	v_add_f64 v[141:142], v[141:142], 0
	v_fma_f64 v[147:148], v[147:148], v[0:1], v[153:154]
	v_add_f64 v[89:90], v[89:90], 0
	s_clause 0x4
	buffer_load_dword v154, off, s[0:3], 0 offset:316
	buffer_load_dword v166, off, s[0:3], 0 offset:328
	;; [unrolled: 1-line block ×5, first 2 shown]
	s_waitcnt lgkmcnt(0)
	v_mul_f64 v[169:170], v[85:86], v[93:94]
	v_mul_f64 v[93:94], v[87:88], v[93:94]
	ds_read_b128 v[0:3], v4 offset:720
	v_fma_f64 v[105:106], v[151:152], v[105:106], v[143:144]
	v_add_f64 v[145:146], v[141:142], v[145:146]
	v_add_f64 v[89:90], v[89:90], v[147:148]
	s_clause 0x2
	buffer_load_dword v167, off, s[0:3], 0 offset:332
	buffer_load_dword v148, off, s[0:3], 0 offset:308
	;; [unrolled: 1-line block ×3, first 2 shown]
	s_waitcnt vmcnt(58) lgkmcnt(0)
	v_mul_f64 v[151:152], v[0:1], v[97:98]
	v_mul_f64 v[97:98], v[2:3], v[97:98]
	s_waitcnt vmcnt(56)
	v_fma_f64 v[93:94], v[85:86], v[99:100], -v[93:94]
	ds_read_b128 v[141:144], v4 offset:736
	v_fma_f64 v[99:100], v[87:88], v[99:100], v[169:170]
	v_add_f64 v[145:146], v[145:146], v[149:150]
	v_add_f64 v[89:90], v[89:90], v[105:106]
	s_clause 0x4
	buffer_load_dword v106, off, s[0:3], 0 offset:348
	buffer_load_dword v149, off, s[0:3], 0 offset:360
	;; [unrolled: 1-line block ×5, first 2 shown]
	ds_read_b128 v[85:88], v4 offset:752
	s_waitcnt vmcnt(57) lgkmcnt(1)
	v_mul_f64 v[170:171], v[141:142], v[101:102]
	v_mul_f64 v[101:102], v[143:144], v[101:102]
	s_waitcnt vmcnt(56)
	v_fma_f64 v[97:98], v[0:1], v[91:92], -v[97:98]
	v_fma_f64 v[91:92], v[2:3], v[91:92], v[151:152]
	v_add_f64 v[93:94], v[145:146], v[93:94]
	v_add_f64 v[89:90], v[89:90], v[99:100]
	s_clause 0x2
	buffer_load_dword v150, off, s[0:3], 0 offset:364
	buffer_load_dword v100, off, s[0:3], 0 offset:340
	;; [unrolled: 1-line block ×3, first 2 shown]
	s_waitcnt vmcnt(58) lgkmcnt(0)
	v_mul_f64 v[145:146], v[85:86], v[107:108]
	v_mul_f64 v[107:108], v[87:88], v[107:108]
	s_waitcnt vmcnt(56)
	v_fma_f64 v[101:102], v[141:142], v[109:110], -v[101:102]
	ds_read_b128 v[0:3], v4 offset:768
	v_add_f64 v[93:94], v[93:94], v[97:98]
	v_fma_f64 v[97:98], v[143:144], v[109:110], v[170:171]
	v_add_f64 v[109:110], v[89:90], v[91:92]
	s_clause 0x4
	buffer_load_dword v142, off, s[0:3], 0 offset:380
	buffer_load_dword v143, off, s[0:3], 0 offset:392
	;; [unrolled: 1-line block ×5, first 2 shown]
	ds_read_b128 v[89:92], v4 offset:784
	s_waitcnt vmcnt(57) lgkmcnt(1)
	v_mul_f64 v[170:171], v[0:1], v[111:112]
	v_mul_f64 v[111:112], v[2:3], v[111:112]
	s_waitcnt vmcnt(56)
	v_fma_f64 v[107:108], v[85:86], v[95:96], -v[107:108]
	v_fma_f64 v[95:96], v[87:88], v[95:96], v[145:146]
	v_add_f64 v[93:94], v[93:94], v[101:102]
	s_clause 0x2
	buffer_load_dword v144, off, s[0:3], 0 offset:396
	buffer_load_dword v102, off, s[0:3], 0 offset:372
	;; [unrolled: 1-line block ×3, first 2 shown]
	v_add_f64 v[97:98], v[109:110], v[97:98]
	s_waitcnt vmcnt(58) lgkmcnt(0)
	v_mul_f64 v[109:110], v[89:90], v[115:116]
	v_mul_f64 v[115:116], v[91:92], v[115:116]
	ds_read_b128 v[85:88], v4 offset:800
	s_waitcnt vmcnt(56)
	v_fma_f64 v[111:112], v[0:1], v[117:118], -v[111:112]
	v_add_f64 v[93:94], v[93:94], v[107:108]
	v_fma_f64 v[107:108], v[2:3], v[117:118], v[170:171]
	v_add_f64 v[95:96], v[97:98], v[95:96]
	s_clause 0x4
	buffer_load_dword v98, off, s[0:3], 0 offset:412
	buffer_load_dword v117, off, s[0:3], 0 offset:424
	;; [unrolled: 1-line block ×5, first 2 shown]
	s_waitcnt vmcnt(57) lgkmcnt(0)
	v_mul_f64 v[170:171], v[85:86], v[119:120]
	v_mul_f64 v[119:120], v[87:88], v[119:120]
	s_waitcnt vmcnt(56)
	v_fma_f64 v[115:116], v[89:90], v[103:104], -v[115:116]
	ds_read_b128 v[0:3], v4 offset:816
	v_fma_f64 v[103:104], v[91:92], v[103:104], v[109:110]
	v_add_f64 v[93:94], v[93:94], v[111:112]
	v_add_f64 v[95:96], v[95:96], v[107:108]
	s_clause 0x2
	buffer_load_dword v118, off, s[0:3], 0 offset:428
	buffer_load_dword v108, off, s[0:3], 0 offset:404
	;; [unrolled: 1-line block ×3, first 2 shown]
	ds_read_b128 v[89:92], v4 offset:832
	s_waitcnt vmcnt(58) lgkmcnt(1)
	v_mul_f64 v[111:112], v[2:3], v[123:124]
	s_waitcnt vmcnt(56)
	v_fma_f64 v[119:120], v[85:86], v[125:126], -v[119:120]
	v_mul_f64 v[109:110], v[0:1], v[123:124]
	v_add_f64 v[93:94], v[93:94], v[115:116]
	v_fma_f64 v[115:116], v[87:88], v[125:126], v[170:171]
	v_add_f64 v[95:96], v[95:96], v[103:104]
	s_clause 0x4
	buffer_load_dword v104, off, s[0:3], 0 offset:444
	buffer_load_dword v123, off, s[0:3], 0 offset:456
	;; [unrolled: 1-line block ×5, first 2 shown]
	s_waitcnt vmcnt(57) lgkmcnt(0)
	v_mul_f64 v[170:171], v[89:90], v[127:128]
	v_mul_f64 v[126:127], v[91:92], v[127:128]
	s_waitcnt vmcnt(56)
	v_fma_f64 v[111:112], v[0:1], v[113:114], -v[111:112]
	ds_read_b128 v[85:88], v4 offset:848
	v_fma_f64 v[109:110], v[2:3], v[113:114], v[109:110]
	s_clause 0x2
	buffer_load_dword v124, off, s[0:3], 0 offset:460
	buffer_load_dword v114, off, s[0:3], 0 offset:436
	;; [unrolled: 1-line block ×3, first 2 shown]
	ds_read_b128 v[0:3], v4 offset:864
	v_add_f64 v[93:94], v[93:94], v[119:120]
	v_add_f64 v[95:96], v[95:96], v[115:116]
	s_waitcnt vmcnt(58) lgkmcnt(1)
	v_mul_f64 v[119:120], v[87:88], v[131:132]
	s_waitcnt vmcnt(56)
	v_fma_f64 v[127:128], v[89:90], v[133:134], -v[126:127]
	v_mul_f64 v[115:116], v[85:86], v[131:132]
	v_add_f64 v[93:94], v[93:94], v[111:112]
	v_fma_f64 v[111:112], v[91:92], v[133:134], v[170:171]
	v_add_f64 v[95:96], v[95:96], v[109:110]
	s_clause 0x4
	buffer_load_dword v110, off, s[0:3], 0 offset:476
	buffer_load_dword v131, off, s[0:3], 0 offset:488
	;; [unrolled: 1-line block ×5, first 2 shown]
	s_waitcnt vmcnt(57) lgkmcnt(0)
	v_mul_f64 v[170:171], v[0:1], v[135:136]
	v_mul_f64 v[134:135], v[2:3], v[135:136]
	s_waitcnt vmcnt(56)
	v_fma_f64 v[119:120], v[85:86], v[121:122], -v[119:120]
	ds_read_b128 v[89:92], v4 offset:880
	v_fma_f64 v[115:116], v[87:88], v[121:122], v[115:116]
	v_add_f64 v[93:94], v[93:94], v[127:128]
	v_add_f64 v[95:96], v[95:96], v[111:112]
	s_clause 0x2
	buffer_load_dword v132, off, s[0:3], 0 offset:492
	buffer_load_dword v112, off, s[0:3], 0 offset:468
	;; [unrolled: 1-line block ×3, first 2 shown]
	ds_read_b128 v[85:88], v4 offset:896
	s_waitcnt vmcnt(58) lgkmcnt(1)
	v_mul_f64 v[127:128], v[91:92], v[137:138]
	s_waitcnt vmcnt(56)
	v_fma_f64 v[135:136], v[0:1], v[139:140], -v[134:135]
	v_mul_f64 v[121:122], v[89:90], v[137:138]
	v_add_f64 v[93:94], v[93:94], v[119:120]
	v_fma_f64 v[119:120], v[2:3], v[139:140], v[170:171]
	v_add_f64 v[95:96], v[95:96], v[115:116]
	s_clause 0x4
	buffer_load_dword v116, off, s[0:3], 0 offset:508
	buffer_load_dword v137, off, s[0:3], 0 offset:520
	;; [unrolled: 1-line block ×5, first 2 shown]
	s_waitcnt vmcnt(57) lgkmcnt(0)
	v_mul_f64 v[170:171], v[85:86], v[155:156]
	v_mul_f64 v[155:156], v[87:88], v[155:156]
	s_waitcnt vmcnt(56)
	v_fma_f64 v[127:128], v[89:90], v[129:130], -v[127:128]
	ds_read_b128 v[0:3], v4 offset:912
	v_fma_f64 v[121:122], v[91:92], v[129:130], v[121:122]
	v_add_f64 v[93:94], v[93:94], v[135:136]
	v_add_f64 v[95:96], v[95:96], v[119:120]
	s_clause 0x2
	buffer_load_dword v138, off, s[0:3], 0 offset:524
	buffer_load_dword v120, off, s[0:3], 0 offset:500
	;; [unrolled: 1-line block ×3, first 2 shown]
	ds_read_b128 v[89:92], v4 offset:928
	s_waitcnt vmcnt(58) lgkmcnt(1)
	v_mul_f64 v[135:136], v[2:3], v[157:158]
	s_waitcnt vmcnt(56)
	v_fma_f64 v[155:156], v[85:86], v[162:163], -v[155:156]
	v_mul_f64 v[129:130], v[0:1], v[157:158]
	v_add_f64 v[93:94], v[93:94], v[127:128]
	v_fma_f64 v[127:128], v[87:88], v[162:163], v[170:171]
	v_add_f64 v[95:96], v[95:96], v[121:122]
	s_clause 0x4
	buffer_load_dword v122, off, s[0:3], 0 offset:540
	buffer_load_dword v157, off, s[0:3], 0 offset:552
	;; [unrolled: 1-line block ×5, first 2 shown]
	ds_read_b128 v[85:88], v4 offset:944
	s_waitcnt vmcnt(57) lgkmcnt(1)
	v_mul_f64 v[162:163], v[89:90], v[153:154]
	v_mul_f64 v[153:154], v[91:92], v[153:154]
	s_waitcnt vmcnt(56)
	v_fma_f64 v[135:136], v[0:1], v[159:160], -v[135:136]
	v_fma_f64 v[129:130], v[2:3], v[159:160], v[129:130]
	v_add_f64 v[93:94], v[93:94], v[155:156]
	v_add_f64 v[95:96], v[95:96], v[127:128]
	s_clause 0x2
	buffer_load_dword v158, off, s[0:3], 0 offset:556
	buffer_load_dword v128, off, s[0:3], 0 offset:532
	;; [unrolled: 1-line block ×3, first 2 shown]
	ds_read_b128 v[0:3], v4 offset:960
	s_waitcnt vmcnt(58) lgkmcnt(1)
	v_mul_f64 v[159:160], v[87:88], v[166:167]
	v_mul_f64 v[155:156], v[85:86], v[166:167]
	s_waitcnt vmcnt(56)
	v_fma_f64 v[153:154], v[89:90], v[147:148], -v[153:154]
	v_add_f64 v[93:94], v[93:94], v[135:136]
	v_fma_f64 v[135:136], v[91:92], v[147:148], v[162:163]
	v_add_f64 v[95:96], v[95:96], v[129:130]
	s_clause 0x4
	buffer_load_dword v130, off, s[0:3], 0 offset:572
	buffer_load_dword v147, off, s[0:3], 0 offset:584
	;; [unrolled: 1-line block ×5, first 2 shown]
	ds_read_b128 v[89:92], v4 offset:976
	s_waitcnt vmcnt(57) lgkmcnt(1)
	v_mul_f64 v[170:171], v[0:1], v[105:106]
	v_mul_f64 v[105:106], v[2:3], v[105:106]
	s_waitcnt vmcnt(56)
	v_fma_f64 v[159:160], v[85:86], v[168:169], -v[159:160]
	v_add_f64 v[93:94], v[93:94], v[153:154]
	v_fma_f64 v[153:154], v[87:88], v[168:169], v[155:156]
	v_add_f64 v[95:96], v[95:96], v[135:136]
	s_clause 0x2
	buffer_load_dword v148, off, s[0:3], 0 offset:588
	buffer_load_dword v136, off, s[0:3], 0 offset:564
	buffer_load_dword v135, off, s[0:3], 0 offset:560
	ds_read_b128 v[85:88], v4 offset:992
	s_waitcnt vmcnt(58) lgkmcnt(1)
	v_mul_f64 v[155:156], v[89:90], v[149:150]
	v_mul_f64 v[149:150], v[91:92], v[149:150]
	s_waitcnt vmcnt(56)
	v_fma_f64 v[105:106], v[0:1], v[99:100], -v[105:106]
	v_fma_f64 v[99:100], v[2:3], v[99:100], v[170:171]
	v_add_f64 v[93:94], v[93:94], v[159:160]
	v_add_f64 v[95:96], v[95:96], v[153:154]
	s_clause 0x4
	buffer_load_dword v154, off, s[0:3], 0 offset:604
	buffer_load_dword v159, off, s[0:3], 0 offset:616
	;; [unrolled: 1-line block ×5, first 2 shown]
	ds_read_b128 v[0:3], v4 offset:1008
	s_waitcnt vmcnt(57) lgkmcnt(1)
	v_mul_f64 v[168:169], v[85:86], v[141:142]
	v_mul_f64 v[141:142], v[87:88], v[141:142]
	s_waitcnt vmcnt(56)
	v_fma_f64 v[149:150], v[89:90], v[164:165], -v[149:150]
	v_add_f64 v[93:94], v[93:94], v[105:106]
	v_fma_f64 v[105:106], v[91:92], v[164:165], v[155:156]
	v_add_f64 v[95:96], v[95:96], v[99:100]
	s_clause 0x2
	buffer_load_dword v160, off, s[0:3], 0 offset:620
	buffer_load_dword v100, off, s[0:3], 0 offset:596
	;; [unrolled: 1-line block ×3, first 2 shown]
	ds_read_b128 v[89:92], v4 offset:1024
	s_waitcnt vmcnt(58) lgkmcnt(1)
	v_mul_f64 v[155:156], v[0:1], v[143:144]
	v_mul_f64 v[143:144], v[2:3], v[143:144]
	s_waitcnt vmcnt(56)
	v_fma_f64 v[141:142], v[85:86], v[101:102], -v[141:142]
	v_fma_f64 v[101:102], v[87:88], v[101:102], v[168:169]
	v_add_f64 v[93:94], v[93:94], v[149:150]
	v_add_f64 v[95:96], v[95:96], v[105:106]
	s_clause 0x4
	buffer_load_dword v106, off, s[0:3], 0 offset:636
	buffer_load_dword v149, off, s[0:3], 0 offset:648
	;; [unrolled: 1-line block ×5, first 2 shown]
	ds_read_b128 v[85:88], v4 offset:1040
	s_waitcnt vmcnt(57) lgkmcnt(1)
	v_mul_f64 v[169:170], v[89:90], v[97:98]
	v_mul_f64 v[97:98], v[91:92], v[97:98]
	s_waitcnt vmcnt(56)
	v_fma_f64 v[143:144], v[0:1], v[151:152], -v[143:144]
	v_add_f64 v[93:94], v[93:94], v[141:142]
	v_fma_f64 v[141:142], v[2:3], v[151:152], v[155:156]
	v_add_f64 v[95:96], v[95:96], v[101:102]
	s_clause 0x2
	buffer_load_dword v150, off, s[0:3], 0 offset:652
	buffer_load_dword v102, off, s[0:3], 0 offset:628
	;; [unrolled: 1-line block ×3, first 2 shown]
	ds_read_b128 v[0:3], v4 offset:1056
	s_waitcnt vmcnt(58) lgkmcnt(1)
	v_mul_f64 v[151:152], v[85:86], v[117:118]
	v_mul_f64 v[117:118], v[87:88], v[117:118]
	s_waitcnt vmcnt(56)
	v_fma_f64 v[97:98], v[89:90], v[107:108], -v[97:98]
	v_fma_f64 v[107:108], v[91:92], v[107:108], v[169:170]
	buffer_load_dword v169, off, s[0:3], 0 offset:644
	ds_read_b128 v[89:92], v4 offset:1072
	v_add_f64 v[93:94], v[93:94], v[143:144]
	v_add_f64 v[95:96], v[95:96], v[141:142]
	s_waitcnt vmcnt(53) lgkmcnt(1)
	v_mul_f64 v[141:142], v[0:1], v[103:104]
	v_mul_f64 v[103:104], v[2:3], v[103:104]
	s_waitcnt vmcnt(52)
	v_fma_f64 v[117:118], v[85:86], v[145:146], -v[117:118]
	v_add_f64 v[93:94], v[93:94], v[97:98]
	v_fma_f64 v[97:98], v[87:88], v[145:146], v[151:152]
	v_add_f64 v[95:96], v[95:96], v[107:108]
	s_waitcnt vmcnt(51) lgkmcnt(0)
	v_mul_f64 v[107:108], v[89:90], v[123:124]
	v_mul_f64 v[123:124], v[91:92], v[123:124]
	ds_read_b128 v[85:88], v4 offset:1088
	s_waitcnt vmcnt(49)
	v_fma_f64 v[103:104], v[0:1], v[113:114], -v[103:104]
	v_fma_f64 v[113:114], v[2:3], v[113:114], v[141:142]
	v_add_f64 v[93:94], v[93:94], v[117:118]
	v_add_f64 v[95:96], v[95:96], v[97:98]
	s_clause 0x3
	buffer_load_dword v97, off, s[0:3], 0 offset:16
	buffer_load_dword v98, off, s[0:3], 0 offset:20
	;; [unrolled: 1-line block ×4, first 2 shown]
	ds_read_b128 v[0:3], v4 offset:1104
	s_waitcnt vmcnt(49) lgkmcnt(1)
	v_mul_f64 v[141:142], v[85:86], v[109:110]
	v_mul_f64 v[109:110], v[87:88], v[109:110]
	s_waitcnt vmcnt(48)
	v_fma_f64 v[123:124], v[89:90], v[125:126], -v[123:124]
	v_add_f64 v[93:94], v[93:94], v[103:104]
	v_fma_f64 v[103:104], v[91:92], v[125:126], v[107:108]
	v_add_f64 v[95:96], v[95:96], v[113:114]
	ds_read_b128 v[89:92], v4 offset:1120
	s_waitcnt vmcnt(47) lgkmcnt(1)
	v_mul_f64 v[113:114], v[2:3], v[131:132]
	v_mul_f64 v[107:108], v[0:1], v[131:132]
	s_waitcnt vmcnt(45)
	v_fma_f64 v[109:110], v[85:86], v[111:112], -v[109:110]
	v_fma_f64 v[111:112], v[87:88], v[111:112], v[141:142]
	ds_read_b128 v[85:88], v4 offset:1136
	v_add_f64 v[93:94], v[93:94], v[123:124]
	v_add_f64 v[95:96], v[95:96], v[103:104]
	s_waitcnt vmcnt(41) lgkmcnt(1)
	v_mul_f64 v[103:104], v[89:90], v[115:116]
	v_mul_f64 v[115:116], v[91:92], v[115:116]
	s_waitcnt vmcnt(40)
	v_fma_f64 v[113:114], v[0:1], v[133:134], -v[113:114]
	v_fma_f64 v[107:108], v[2:3], v[133:134], v[107:108]
	ds_read_b128 v[0:3], v4 offset:1152
	v_add_f64 v[93:94], v[93:94], v[109:110]
	v_add_f64 v[95:96], v[95:96], v[111:112]
	;; [unrolled: 9-line block ×3, first 2 shown]
	s_waitcnt vmcnt(33) lgkmcnt(1)
	v_mul_f64 v[113:114], v[2:3], v[121:122]
	s_waitcnt vmcnt(32)
	v_fma_f64 v[111:112], v[85:86], v[139:140], -v[111:112]
	v_mul_f64 v[107:108], v[0:1], v[121:122]
	v_fma_f64 v[109:110], v[87:88], v[139:140], v[109:110]
	ds_read_b128 v[85:88], v4 offset:1184
	v_add_f64 v[93:94], v[93:94], v[115:116]
	v_add_f64 v[95:96], v[95:96], v[103:104]
	s_waitcnt vmcnt(31) lgkmcnt(1)
	v_mul_f64 v[115:116], v[91:92], v[157:158]
	v_mul_f64 v[103:104], v[89:90], v[157:158]
	s_waitcnt vmcnt(29)
	v_fma_f64 v[113:114], v[0:1], v[127:128], -v[113:114]
	v_fma_f64 v[107:108], v[2:3], v[127:128], v[107:108]
	ds_read_b128 v[0:3], v4 offset:1200
	v_add_f64 v[93:94], v[93:94], v[111:112]
	v_add_f64 v[95:96], v[95:96], v[109:110]
	s_waitcnt vmcnt(25) lgkmcnt(1)
	v_mul_f64 v[111:112], v[87:88], v[129:130]
	s_waitcnt vmcnt(24)
	v_fma_f64 v[115:116], v[89:90], v[161:162], -v[115:116]
	v_mul_f64 v[109:110], v[85:86], v[129:130]
	v_fma_f64 v[103:104], v[91:92], v[161:162], v[103:104]
	ds_read_b128 v[89:92], v4 offset:1216
	v_add_f64 v[93:94], v[93:94], v[113:114]
	v_add_f64 v[95:96], v[95:96], v[107:108]
	s_waitcnt vmcnt(23) lgkmcnt(1)
	v_mul_f64 v[113:114], v[2:3], v[147:148]
	v_mul_f64 v[107:108], v[0:1], v[147:148]
	s_waitcnt vmcnt(21)
	v_fma_f64 v[111:112], v[85:86], v[135:136], -v[111:112]
	v_fma_f64 v[109:110], v[87:88], v[135:136], v[109:110]
	ds_read_b128 v[85:88], v4 offset:1232
	v_add_f64 v[93:94], v[93:94], v[115:116]
	v_add_f64 v[95:96], v[95:96], v[103:104]
	;; [unrolled: 18-line block ×3, first 2 shown]
	s_waitcnt vmcnt(9) lgkmcnt(1)
	v_mul_f64 v[103:104], v[0:1], v[105:106]
	v_mul_f64 v[105:106], v[2:3], v[105:106]
	s_waitcnt vmcnt(8)
	v_fma_f64 v[85:86], v[85:86], v[163:164], -v[111:112]
	v_fma_f64 v[87:88], v[87:88], v[163:164], v[109:110]
	v_add_f64 v[93:94], v[93:94], v[115:116]
	v_add_f64 v[95:96], v[95:96], v[99:100]
	s_waitcnt vmcnt(7) lgkmcnt(0)
	v_mul_f64 v[107:108], v[91:92], v[149:150]
	v_mul_f64 v[99:100], v[89:90], v[149:150]
	s_waitcnt vmcnt(5)
	v_fma_f64 v[0:1], v[0:1], v[101:102], -v[105:106]
	v_fma_f64 v[2:3], v[2:3], v[101:102], v[103:104]
	v_add_f64 v[85:86], v[93:94], v[85:86]
	v_add_f64 v[87:88], v[95:96], v[87:88]
	s_waitcnt vmcnt(4)
	v_fma_f64 v[89:90], v[89:90], v[168:169], -v[107:108]
	v_add_f64 v[0:1], v[85:86], v[0:1]
	v_fma_f64 v[85:86], v[91:92], v[168:169], v[99:100]
	v_add_f64 v[2:3], v[87:88], v[2:3]
	v_add_f64 v[0:1], v[0:1], v[89:90]
	;; [unrolled: 1-line block ×3, first 2 shown]
	s_waitcnt vmcnt(2)
	v_add_f64 v[0:1], v[97:98], -v[0:1]
	s_waitcnt vmcnt(0)
	v_add_f64 v[2:3], v[117:118], -v[2:3]
	buffer_store_dword v1, off, s[0:3], 0 offset:20
	buffer_store_dword v0, off, s[0:3], 0 offset:16
	;; [unrolled: 1-line block ×4, first 2 shown]
	s_cbranch_vccz .LBB103_332
; %bb.254:
	global_load_dword v0, v4, s[12:13] offset:152
	s_waitcnt vmcnt(0)
	v_add_nc_u32_e32 v0, -1, v0
	v_cmp_ne_u32_e32 vcc_lo, 38, v0
	s_cbranch_vccz .LBB103_256
; %bb.255:
	v_lshlrev_b32_e32 v0, 4, v0
	v_mov_b32_e32 v1, s9
	v_add_nc_u32_e32 v0, 16, v0
	s_clause 0x7
	buffer_load_dword v2, v0, s[0:3], 0 offen
	buffer_load_dword v3, v0, s[0:3], 0 offen offset:4
	buffer_load_dword v4, v0, s[0:3], 0 offen offset:8
	;; [unrolled: 1-line block ×6, first 2 shown]
	buffer_load_dword v89, v1, s[0:3], 0 offen
	s_waitcnt vmcnt(7)
	buffer_store_dword v2, v1, s[0:3], 0 offen
	s_waitcnt vmcnt(6)
	buffer_store_dword v3, v1, s[0:3], 0 offen offset:4
	s_waitcnt vmcnt(5)
	buffer_store_dword v4, v1, s[0:3], 0 offen offset:8
	;; [unrolled: 2-line block ×6, first 2 shown]
	s_waitcnt vmcnt(0)
	buffer_store_dword v89, v0, s[0:3], 0 offen
.LBB103_256:
	v_mov_b32_e32 v0, 0
	global_load_dword v1, v0, s[12:13] offset:148
	s_waitcnt vmcnt(0)
	v_add_nc_u32_e32 v1, -1, v1
	v_cmp_eq_u32_e32 vcc_lo, 37, v1
	s_cbranch_vccnz .LBB103_258
; %bb.257:
	v_lshlrev_b32_e32 v1, 4, v1
	v_mov_b32_e32 v2, s14
	v_add_nc_u32_e32 v1, 16, v1
	s_clause 0x7
	buffer_load_dword v3, v1, s[0:3], 0 offen
	buffer_load_dword v4, v1, s[0:3], 0 offen offset:4
	buffer_load_dword v85, v1, s[0:3], 0 offen offset:8
	buffer_load_dword v86, v1, s[0:3], 0 offen offset:12
	buffer_load_dword v87, v2, s[0:3], 0 offen offset:12
	buffer_load_dword v88, v2, s[0:3], 0 offen offset:8
	buffer_load_dword v89, v2, s[0:3], 0 offen offset:4
	buffer_load_dword v90, v2, s[0:3], 0 offen
	s_waitcnt vmcnt(7)
	buffer_store_dword v3, v2, s[0:3], 0 offen
	s_waitcnt vmcnt(6)
	buffer_store_dword v4, v2, s[0:3], 0 offen offset:4
	s_waitcnt vmcnt(5)
	buffer_store_dword v85, v2, s[0:3], 0 offen offset:8
	;; [unrolled: 2-line block ×6, first 2 shown]
	s_waitcnt vmcnt(0)
	buffer_store_dword v90, v1, s[0:3], 0 offen
.LBB103_258:
	global_load_dword v0, v0, s[12:13] offset:144
	s_waitcnt vmcnt(0)
	v_add_nc_u32_e32 v0, -1, v0
	v_cmp_eq_u32_e32 vcc_lo, 36, v0
	s_cbranch_vccnz .LBB103_260
; %bb.259:
	v_lshlrev_b32_e32 v0, 4, v0
	v_mov_b32_e32 v1, s15
	v_add_nc_u32_e32 v0, 16, v0
	s_clause 0x7
	buffer_load_dword v2, v0, s[0:3], 0 offen
	buffer_load_dword v3, v0, s[0:3], 0 offen offset:4
	buffer_load_dword v4, v0, s[0:3], 0 offen offset:8
	;; [unrolled: 1-line block ×6, first 2 shown]
	buffer_load_dword v89, v1, s[0:3], 0 offen
	s_waitcnt vmcnt(7)
	buffer_store_dword v2, v1, s[0:3], 0 offen
	s_waitcnt vmcnt(6)
	buffer_store_dword v3, v1, s[0:3], 0 offen offset:4
	s_waitcnt vmcnt(5)
	buffer_store_dword v4, v1, s[0:3], 0 offen offset:8
	;; [unrolled: 2-line block ×6, first 2 shown]
	s_waitcnt vmcnt(0)
	buffer_store_dword v89, v0, s[0:3], 0 offen
.LBB103_260:
	v_mov_b32_e32 v0, 0
	global_load_dword v1, v0, s[12:13] offset:140
	s_waitcnt vmcnt(0)
	v_add_nc_u32_e32 v1, -1, v1
	v_cmp_eq_u32_e32 vcc_lo, 35, v1
	s_cbranch_vccnz .LBB103_262
; %bb.261:
	v_lshlrev_b32_e32 v1, 4, v1
	v_mov_b32_e32 v2, s16
	v_add_nc_u32_e32 v1, 16, v1
	s_clause 0x7
	buffer_load_dword v3, v1, s[0:3], 0 offen
	buffer_load_dword v4, v1, s[0:3], 0 offen offset:4
	buffer_load_dword v85, v1, s[0:3], 0 offen offset:8
	;; [unrolled: 1-line block ×6, first 2 shown]
	buffer_load_dword v90, v2, s[0:3], 0 offen
	s_waitcnt vmcnt(7)
	buffer_store_dword v3, v2, s[0:3], 0 offen
	s_waitcnt vmcnt(6)
	buffer_store_dword v4, v2, s[0:3], 0 offen offset:4
	s_waitcnt vmcnt(5)
	buffer_store_dword v85, v2, s[0:3], 0 offen offset:8
	;; [unrolled: 2-line block ×6, first 2 shown]
	s_waitcnt vmcnt(0)
	buffer_store_dword v90, v1, s[0:3], 0 offen
.LBB103_262:
	global_load_dword v0, v0, s[12:13] offset:136
	s_waitcnt vmcnt(0)
	v_add_nc_u32_e32 v0, -1, v0
	v_cmp_eq_u32_e32 vcc_lo, 34, v0
	s_cbranch_vccnz .LBB103_264
; %bb.263:
	v_lshlrev_b32_e32 v0, 4, v0
	v_mov_b32_e32 v1, s17
	v_add_nc_u32_e32 v0, 16, v0
	s_clause 0x7
	buffer_load_dword v2, v0, s[0:3], 0 offen
	buffer_load_dword v3, v0, s[0:3], 0 offen offset:4
	buffer_load_dword v4, v0, s[0:3], 0 offen offset:8
	;; [unrolled: 1-line block ×6, first 2 shown]
	buffer_load_dword v89, v1, s[0:3], 0 offen
	s_waitcnt vmcnt(7)
	buffer_store_dword v2, v1, s[0:3], 0 offen
	s_waitcnt vmcnt(6)
	buffer_store_dword v3, v1, s[0:3], 0 offen offset:4
	s_waitcnt vmcnt(5)
	buffer_store_dword v4, v1, s[0:3], 0 offen offset:8
	;; [unrolled: 2-line block ×6, first 2 shown]
	s_waitcnt vmcnt(0)
	buffer_store_dword v89, v0, s[0:3], 0 offen
.LBB103_264:
	v_mov_b32_e32 v0, 0
	global_load_dword v1, v0, s[12:13] offset:132
	s_waitcnt vmcnt(0)
	v_add_nc_u32_e32 v1, -1, v1
	v_cmp_eq_u32_e32 vcc_lo, 33, v1
	s_cbranch_vccnz .LBB103_266
; %bb.265:
	v_lshlrev_b32_e32 v1, 4, v1
	v_mov_b32_e32 v2, s18
	v_add_nc_u32_e32 v1, 16, v1
	s_clause 0x7
	buffer_load_dword v3, v1, s[0:3], 0 offen
	buffer_load_dword v4, v1, s[0:3], 0 offen offset:4
	buffer_load_dword v85, v1, s[0:3], 0 offen offset:8
	;; [unrolled: 1-line block ×6, first 2 shown]
	buffer_load_dword v90, v2, s[0:3], 0 offen
	s_waitcnt vmcnt(7)
	buffer_store_dword v3, v2, s[0:3], 0 offen
	s_waitcnt vmcnt(6)
	buffer_store_dword v4, v2, s[0:3], 0 offen offset:4
	s_waitcnt vmcnt(5)
	buffer_store_dword v85, v2, s[0:3], 0 offen offset:8
	;; [unrolled: 2-line block ×6, first 2 shown]
	s_waitcnt vmcnt(0)
	buffer_store_dword v90, v1, s[0:3], 0 offen
.LBB103_266:
	global_load_dword v0, v0, s[12:13] offset:128
	s_waitcnt vmcnt(0)
	v_add_nc_u32_e32 v0, -1, v0
	v_cmp_eq_u32_e32 vcc_lo, 32, v0
	s_cbranch_vccnz .LBB103_268
; %bb.267:
	v_lshlrev_b32_e32 v0, 4, v0
	v_mov_b32_e32 v1, s19
	v_add_nc_u32_e32 v0, 16, v0
	s_clause 0x7
	buffer_load_dword v2, v0, s[0:3], 0 offen
	buffer_load_dword v3, v0, s[0:3], 0 offen offset:4
	buffer_load_dword v4, v0, s[0:3], 0 offen offset:8
	;; [unrolled: 1-line block ×6, first 2 shown]
	buffer_load_dword v89, v1, s[0:3], 0 offen
	s_waitcnt vmcnt(7)
	buffer_store_dword v2, v1, s[0:3], 0 offen
	s_waitcnt vmcnt(6)
	buffer_store_dword v3, v1, s[0:3], 0 offen offset:4
	s_waitcnt vmcnt(5)
	buffer_store_dword v4, v1, s[0:3], 0 offen offset:8
	s_waitcnt vmcnt(4)
	buffer_store_dword v85, v1, s[0:3], 0 offen offset:12
	s_waitcnt vmcnt(3)
	buffer_store_dword v86, v0, s[0:3], 0 offen offset:12
	s_waitcnt vmcnt(2)
	buffer_store_dword v87, v0, s[0:3], 0 offen offset:8
	s_waitcnt vmcnt(1)
	buffer_store_dword v88, v0, s[0:3], 0 offen offset:4
	s_waitcnt vmcnt(0)
	buffer_store_dword v89, v0, s[0:3], 0 offen
.LBB103_268:
	v_mov_b32_e32 v0, 0
	global_load_dword v1, v0, s[12:13] offset:124
	s_waitcnt vmcnt(0)
	v_add_nc_u32_e32 v1, -1, v1
	v_cmp_eq_u32_e32 vcc_lo, 31, v1
	s_cbranch_vccnz .LBB103_270
; %bb.269:
	v_lshlrev_b32_e32 v1, 4, v1
	v_mov_b32_e32 v2, s20
	v_add_nc_u32_e32 v1, 16, v1
	s_clause 0x7
	buffer_load_dword v3, v1, s[0:3], 0 offen
	buffer_load_dword v4, v1, s[0:3], 0 offen offset:4
	buffer_load_dword v85, v1, s[0:3], 0 offen offset:8
	;; [unrolled: 1-line block ×6, first 2 shown]
	buffer_load_dword v90, v2, s[0:3], 0 offen
	s_waitcnt vmcnt(7)
	buffer_store_dword v3, v2, s[0:3], 0 offen
	s_waitcnt vmcnt(6)
	buffer_store_dword v4, v2, s[0:3], 0 offen offset:4
	s_waitcnt vmcnt(5)
	buffer_store_dword v85, v2, s[0:3], 0 offen offset:8
	;; [unrolled: 2-line block ×6, first 2 shown]
	s_waitcnt vmcnt(0)
	buffer_store_dword v90, v1, s[0:3], 0 offen
.LBB103_270:
	global_load_dword v0, v0, s[12:13] offset:120
	s_waitcnt vmcnt(0)
	v_add_nc_u32_e32 v0, -1, v0
	v_cmp_eq_u32_e32 vcc_lo, 30, v0
	s_cbranch_vccnz .LBB103_272
; %bb.271:
	v_lshlrev_b32_e32 v0, 4, v0
	v_mov_b32_e32 v1, s21
	v_add_nc_u32_e32 v0, 16, v0
	s_clause 0x7
	buffer_load_dword v2, v0, s[0:3], 0 offen
	buffer_load_dword v3, v0, s[0:3], 0 offen offset:4
	buffer_load_dword v4, v0, s[0:3], 0 offen offset:8
	buffer_load_dword v85, v0, s[0:3], 0 offen offset:12
	buffer_load_dword v86, v1, s[0:3], 0 offen offset:12
	buffer_load_dword v87, v1, s[0:3], 0 offen offset:8
	buffer_load_dword v88, v1, s[0:3], 0 offen offset:4
	buffer_load_dword v89, v1, s[0:3], 0 offen
	s_waitcnt vmcnt(7)
	buffer_store_dword v2, v1, s[0:3], 0 offen
	s_waitcnt vmcnt(6)
	buffer_store_dword v3, v1, s[0:3], 0 offen offset:4
	s_waitcnt vmcnt(5)
	buffer_store_dword v4, v1, s[0:3], 0 offen offset:8
	;; [unrolled: 2-line block ×6, first 2 shown]
	s_waitcnt vmcnt(0)
	buffer_store_dword v89, v0, s[0:3], 0 offen
.LBB103_272:
	v_mov_b32_e32 v0, 0
	global_load_dword v1, v0, s[12:13] offset:116
	s_waitcnt vmcnt(0)
	v_add_nc_u32_e32 v1, -1, v1
	v_cmp_eq_u32_e32 vcc_lo, 29, v1
	s_cbranch_vccnz .LBB103_274
; %bb.273:
	v_lshlrev_b32_e32 v1, 4, v1
	v_mov_b32_e32 v2, s22
	v_add_nc_u32_e32 v1, 16, v1
	s_clause 0x7
	buffer_load_dword v3, v1, s[0:3], 0 offen
	buffer_load_dword v4, v1, s[0:3], 0 offen offset:4
	buffer_load_dword v85, v1, s[0:3], 0 offen offset:8
	buffer_load_dword v86, v1, s[0:3], 0 offen offset:12
	buffer_load_dword v87, v2, s[0:3], 0 offen offset:12
	buffer_load_dword v88, v2, s[0:3], 0 offen offset:8
	buffer_load_dword v89, v2, s[0:3], 0 offen offset:4
	buffer_load_dword v90, v2, s[0:3], 0 offen
	s_waitcnt vmcnt(7)
	buffer_store_dword v3, v2, s[0:3], 0 offen
	s_waitcnt vmcnt(6)
	buffer_store_dword v4, v2, s[0:3], 0 offen offset:4
	s_waitcnt vmcnt(5)
	buffer_store_dword v85, v2, s[0:3], 0 offen offset:8
	;; [unrolled: 2-line block ×6, first 2 shown]
	s_waitcnt vmcnt(0)
	buffer_store_dword v90, v1, s[0:3], 0 offen
.LBB103_274:
	global_load_dword v0, v0, s[12:13] offset:112
	s_waitcnt vmcnt(0)
	v_add_nc_u32_e32 v0, -1, v0
	v_cmp_eq_u32_e32 vcc_lo, 28, v0
	s_cbranch_vccnz .LBB103_276
; %bb.275:
	v_lshlrev_b32_e32 v0, 4, v0
	v_mov_b32_e32 v1, s23
	v_add_nc_u32_e32 v0, 16, v0
	s_clause 0x7
	buffer_load_dword v2, v0, s[0:3], 0 offen
	buffer_load_dword v3, v0, s[0:3], 0 offen offset:4
	buffer_load_dword v4, v0, s[0:3], 0 offen offset:8
	;; [unrolled: 1-line block ×6, first 2 shown]
	buffer_load_dword v89, v1, s[0:3], 0 offen
	s_waitcnt vmcnt(7)
	buffer_store_dword v2, v1, s[0:3], 0 offen
	s_waitcnt vmcnt(6)
	buffer_store_dword v3, v1, s[0:3], 0 offen offset:4
	s_waitcnt vmcnt(5)
	buffer_store_dword v4, v1, s[0:3], 0 offen offset:8
	;; [unrolled: 2-line block ×6, first 2 shown]
	s_waitcnt vmcnt(0)
	buffer_store_dword v89, v0, s[0:3], 0 offen
.LBB103_276:
	v_mov_b32_e32 v0, 0
	global_load_dword v1, v0, s[12:13] offset:108
	s_waitcnt vmcnt(0)
	v_add_nc_u32_e32 v1, -1, v1
	v_cmp_eq_u32_e32 vcc_lo, 27, v1
	s_cbranch_vccnz .LBB103_278
; %bb.277:
	v_lshlrev_b32_e32 v1, 4, v1
	v_mov_b32_e32 v2, s24
	v_add_nc_u32_e32 v1, 16, v1
	s_clause 0x7
	buffer_load_dword v3, v1, s[0:3], 0 offen
	buffer_load_dword v4, v1, s[0:3], 0 offen offset:4
	buffer_load_dword v85, v1, s[0:3], 0 offen offset:8
	;; [unrolled: 1-line block ×6, first 2 shown]
	buffer_load_dword v90, v2, s[0:3], 0 offen
	s_waitcnt vmcnt(7)
	buffer_store_dword v3, v2, s[0:3], 0 offen
	s_waitcnt vmcnt(6)
	buffer_store_dword v4, v2, s[0:3], 0 offen offset:4
	s_waitcnt vmcnt(5)
	buffer_store_dword v85, v2, s[0:3], 0 offen offset:8
	;; [unrolled: 2-line block ×6, first 2 shown]
	s_waitcnt vmcnt(0)
	buffer_store_dword v90, v1, s[0:3], 0 offen
.LBB103_278:
	global_load_dword v0, v0, s[12:13] offset:104
	s_waitcnt vmcnt(0)
	v_add_nc_u32_e32 v0, -1, v0
	v_cmp_eq_u32_e32 vcc_lo, 26, v0
	s_cbranch_vccnz .LBB103_280
; %bb.279:
	v_lshlrev_b32_e32 v0, 4, v0
	v_mov_b32_e32 v1, s25
	v_add_nc_u32_e32 v0, 16, v0
	s_clause 0x7
	buffer_load_dword v2, v0, s[0:3], 0 offen
	buffer_load_dword v3, v0, s[0:3], 0 offen offset:4
	buffer_load_dword v4, v0, s[0:3], 0 offen offset:8
	;; [unrolled: 1-line block ×6, first 2 shown]
	buffer_load_dword v89, v1, s[0:3], 0 offen
	s_waitcnt vmcnt(7)
	buffer_store_dword v2, v1, s[0:3], 0 offen
	s_waitcnt vmcnt(6)
	buffer_store_dword v3, v1, s[0:3], 0 offen offset:4
	s_waitcnt vmcnt(5)
	buffer_store_dword v4, v1, s[0:3], 0 offen offset:8
	;; [unrolled: 2-line block ×6, first 2 shown]
	s_waitcnt vmcnt(0)
	buffer_store_dword v89, v0, s[0:3], 0 offen
.LBB103_280:
	v_mov_b32_e32 v0, 0
	global_load_dword v1, v0, s[12:13] offset:100
	s_waitcnt vmcnt(0)
	v_add_nc_u32_e32 v1, -1, v1
	v_cmp_eq_u32_e32 vcc_lo, 25, v1
	s_cbranch_vccnz .LBB103_282
; %bb.281:
	v_lshlrev_b32_e32 v1, 4, v1
	v_mov_b32_e32 v2, s26
	v_add_nc_u32_e32 v1, 16, v1
	s_clause 0x7
	buffer_load_dword v3, v1, s[0:3], 0 offen
	buffer_load_dword v4, v1, s[0:3], 0 offen offset:4
	buffer_load_dword v85, v1, s[0:3], 0 offen offset:8
	;; [unrolled: 1-line block ×6, first 2 shown]
	buffer_load_dword v90, v2, s[0:3], 0 offen
	s_waitcnt vmcnt(7)
	buffer_store_dword v3, v2, s[0:3], 0 offen
	s_waitcnt vmcnt(6)
	buffer_store_dword v4, v2, s[0:3], 0 offen offset:4
	s_waitcnt vmcnt(5)
	buffer_store_dword v85, v2, s[0:3], 0 offen offset:8
	;; [unrolled: 2-line block ×6, first 2 shown]
	s_waitcnt vmcnt(0)
	buffer_store_dword v90, v1, s[0:3], 0 offen
.LBB103_282:
	global_load_dword v0, v0, s[12:13] offset:96
	s_waitcnt vmcnt(0)
	v_add_nc_u32_e32 v0, -1, v0
	v_cmp_eq_u32_e32 vcc_lo, 24, v0
	s_cbranch_vccnz .LBB103_284
; %bb.283:
	v_lshlrev_b32_e32 v0, 4, v0
	v_mov_b32_e32 v1, s27
	v_add_nc_u32_e32 v0, 16, v0
	s_clause 0x7
	buffer_load_dword v2, v0, s[0:3], 0 offen
	buffer_load_dword v3, v0, s[0:3], 0 offen offset:4
	buffer_load_dword v4, v0, s[0:3], 0 offen offset:8
	;; [unrolled: 1-line block ×6, first 2 shown]
	buffer_load_dword v89, v1, s[0:3], 0 offen
	s_waitcnt vmcnt(7)
	buffer_store_dword v2, v1, s[0:3], 0 offen
	s_waitcnt vmcnt(6)
	buffer_store_dword v3, v1, s[0:3], 0 offen offset:4
	s_waitcnt vmcnt(5)
	buffer_store_dword v4, v1, s[0:3], 0 offen offset:8
	;; [unrolled: 2-line block ×6, first 2 shown]
	s_waitcnt vmcnt(0)
	buffer_store_dword v89, v0, s[0:3], 0 offen
.LBB103_284:
	v_mov_b32_e32 v0, 0
	global_load_dword v1, v0, s[12:13] offset:92
	s_waitcnt vmcnt(0)
	v_add_nc_u32_e32 v1, -1, v1
	v_cmp_eq_u32_e32 vcc_lo, 23, v1
	s_cbranch_vccnz .LBB103_286
; %bb.285:
	v_lshlrev_b32_e32 v1, 4, v1
	v_mov_b32_e32 v2, s28
	v_add_nc_u32_e32 v1, 16, v1
	s_clause 0x7
	buffer_load_dword v3, v1, s[0:3], 0 offen
	buffer_load_dword v4, v1, s[0:3], 0 offen offset:4
	buffer_load_dword v85, v1, s[0:3], 0 offen offset:8
	;; [unrolled: 1-line block ×6, first 2 shown]
	buffer_load_dword v90, v2, s[0:3], 0 offen
	s_waitcnt vmcnt(7)
	buffer_store_dword v3, v2, s[0:3], 0 offen
	s_waitcnt vmcnt(6)
	buffer_store_dword v4, v2, s[0:3], 0 offen offset:4
	s_waitcnt vmcnt(5)
	buffer_store_dword v85, v2, s[0:3], 0 offen offset:8
	;; [unrolled: 2-line block ×6, first 2 shown]
	s_waitcnt vmcnt(0)
	buffer_store_dword v90, v1, s[0:3], 0 offen
.LBB103_286:
	global_load_dword v0, v0, s[12:13] offset:88
	s_waitcnt vmcnt(0)
	v_add_nc_u32_e32 v0, -1, v0
	v_cmp_eq_u32_e32 vcc_lo, 22, v0
	s_cbranch_vccnz .LBB103_288
; %bb.287:
	v_lshlrev_b32_e32 v0, 4, v0
	v_mov_b32_e32 v1, s29
	v_add_nc_u32_e32 v0, 16, v0
	s_clause 0x7
	buffer_load_dword v2, v0, s[0:3], 0 offen
	buffer_load_dword v3, v0, s[0:3], 0 offen offset:4
	buffer_load_dword v4, v0, s[0:3], 0 offen offset:8
	;; [unrolled: 1-line block ×6, first 2 shown]
	buffer_load_dword v89, v1, s[0:3], 0 offen
	s_waitcnt vmcnt(7)
	buffer_store_dword v2, v1, s[0:3], 0 offen
	s_waitcnt vmcnt(6)
	buffer_store_dword v3, v1, s[0:3], 0 offen offset:4
	s_waitcnt vmcnt(5)
	buffer_store_dword v4, v1, s[0:3], 0 offen offset:8
	;; [unrolled: 2-line block ×6, first 2 shown]
	s_waitcnt vmcnt(0)
	buffer_store_dword v89, v0, s[0:3], 0 offen
.LBB103_288:
	v_mov_b32_e32 v0, 0
	global_load_dword v1, v0, s[12:13] offset:84
	s_waitcnt vmcnt(0)
	v_add_nc_u32_e32 v1, -1, v1
	v_cmp_eq_u32_e32 vcc_lo, 21, v1
	s_cbranch_vccnz .LBB103_290
; %bb.289:
	v_lshlrev_b32_e32 v1, 4, v1
	v_mov_b32_e32 v2, s30
	v_add_nc_u32_e32 v1, 16, v1
	s_clause 0x7
	buffer_load_dword v3, v1, s[0:3], 0 offen
	buffer_load_dword v4, v1, s[0:3], 0 offen offset:4
	buffer_load_dword v85, v1, s[0:3], 0 offen offset:8
	;; [unrolled: 1-line block ×6, first 2 shown]
	buffer_load_dword v90, v2, s[0:3], 0 offen
	s_waitcnt vmcnt(7)
	buffer_store_dword v3, v2, s[0:3], 0 offen
	s_waitcnt vmcnt(6)
	buffer_store_dword v4, v2, s[0:3], 0 offen offset:4
	s_waitcnt vmcnt(5)
	buffer_store_dword v85, v2, s[0:3], 0 offen offset:8
	;; [unrolled: 2-line block ×6, first 2 shown]
	s_waitcnt vmcnt(0)
	buffer_store_dword v90, v1, s[0:3], 0 offen
.LBB103_290:
	global_load_dword v0, v0, s[12:13] offset:80
	s_waitcnt vmcnt(0)
	v_add_nc_u32_e32 v0, -1, v0
	v_cmp_eq_u32_e32 vcc_lo, 20, v0
	s_cbranch_vccnz .LBB103_292
; %bb.291:
	v_lshlrev_b32_e32 v0, 4, v0
	v_mov_b32_e32 v1, s31
	v_add_nc_u32_e32 v0, 16, v0
	s_clause 0x7
	buffer_load_dword v2, v0, s[0:3], 0 offen
	buffer_load_dword v3, v0, s[0:3], 0 offen offset:4
	buffer_load_dword v4, v0, s[0:3], 0 offen offset:8
	;; [unrolled: 1-line block ×6, first 2 shown]
	buffer_load_dword v89, v1, s[0:3], 0 offen
	s_waitcnt vmcnt(7)
	buffer_store_dword v2, v1, s[0:3], 0 offen
	s_waitcnt vmcnt(6)
	buffer_store_dword v3, v1, s[0:3], 0 offen offset:4
	s_waitcnt vmcnt(5)
	buffer_store_dword v4, v1, s[0:3], 0 offen offset:8
	;; [unrolled: 2-line block ×6, first 2 shown]
	s_waitcnt vmcnt(0)
	buffer_store_dword v89, v0, s[0:3], 0 offen
.LBB103_292:
	v_mov_b32_e32 v0, 0
	global_load_dword v1, v0, s[12:13] offset:76
	s_waitcnt vmcnt(0)
	v_add_nc_u32_e32 v1, -1, v1
	v_cmp_eq_u32_e32 vcc_lo, 19, v1
	s_cbranch_vccnz .LBB103_294
; %bb.293:
	v_lshlrev_b32_e32 v1, 4, v1
	v_mov_b32_e32 v2, s33
	v_add_nc_u32_e32 v1, 16, v1
	s_clause 0x7
	buffer_load_dword v3, v1, s[0:3], 0 offen
	buffer_load_dword v4, v1, s[0:3], 0 offen offset:4
	buffer_load_dword v85, v1, s[0:3], 0 offen offset:8
	;; [unrolled: 1-line block ×6, first 2 shown]
	buffer_load_dword v90, v2, s[0:3], 0 offen
	s_waitcnt vmcnt(7)
	buffer_store_dword v3, v2, s[0:3], 0 offen
	s_waitcnt vmcnt(6)
	buffer_store_dword v4, v2, s[0:3], 0 offen offset:4
	s_waitcnt vmcnt(5)
	buffer_store_dword v85, v2, s[0:3], 0 offen offset:8
	;; [unrolled: 2-line block ×6, first 2 shown]
	s_waitcnt vmcnt(0)
	buffer_store_dword v90, v1, s[0:3], 0 offen
.LBB103_294:
	global_load_dword v0, v0, s[12:13] offset:72
	s_waitcnt vmcnt(0)
	v_add_nc_u32_e32 v0, -1, v0
	v_cmp_eq_u32_e32 vcc_lo, 18, v0
	s_cbranch_vccnz .LBB103_296
; %bb.295:
	v_lshlrev_b32_e32 v0, 4, v0
	v_mov_b32_e32 v1, s34
	v_add_nc_u32_e32 v0, 16, v0
	s_clause 0x7
	buffer_load_dword v2, v0, s[0:3], 0 offen
	buffer_load_dword v3, v0, s[0:3], 0 offen offset:4
	buffer_load_dword v4, v0, s[0:3], 0 offen offset:8
	;; [unrolled: 1-line block ×6, first 2 shown]
	buffer_load_dword v89, v1, s[0:3], 0 offen
	s_waitcnt vmcnt(7)
	buffer_store_dword v2, v1, s[0:3], 0 offen
	s_waitcnt vmcnt(6)
	buffer_store_dword v3, v1, s[0:3], 0 offen offset:4
	s_waitcnt vmcnt(5)
	buffer_store_dword v4, v1, s[0:3], 0 offen offset:8
	;; [unrolled: 2-line block ×6, first 2 shown]
	s_waitcnt vmcnt(0)
	buffer_store_dword v89, v0, s[0:3], 0 offen
.LBB103_296:
	v_mov_b32_e32 v0, 0
	global_load_dword v1, v0, s[12:13] offset:68
	s_waitcnt vmcnt(0)
	v_add_nc_u32_e32 v1, -1, v1
	v_cmp_eq_u32_e32 vcc_lo, 17, v1
	s_cbranch_vccnz .LBB103_298
; %bb.297:
	v_lshlrev_b32_e32 v1, 4, v1
	v_mov_b32_e32 v2, s35
	v_add_nc_u32_e32 v1, 16, v1
	s_clause 0x7
	buffer_load_dword v3, v1, s[0:3], 0 offen
	buffer_load_dword v4, v1, s[0:3], 0 offen offset:4
	buffer_load_dword v85, v1, s[0:3], 0 offen offset:8
	;; [unrolled: 1-line block ×6, first 2 shown]
	buffer_load_dword v90, v2, s[0:3], 0 offen
	s_waitcnt vmcnt(7)
	buffer_store_dword v3, v2, s[0:3], 0 offen
	s_waitcnt vmcnt(6)
	buffer_store_dword v4, v2, s[0:3], 0 offen offset:4
	s_waitcnt vmcnt(5)
	buffer_store_dword v85, v2, s[0:3], 0 offen offset:8
	;; [unrolled: 2-line block ×6, first 2 shown]
	s_waitcnt vmcnt(0)
	buffer_store_dword v90, v1, s[0:3], 0 offen
.LBB103_298:
	global_load_dword v0, v0, s[12:13] offset:64
	s_waitcnt vmcnt(0)
	v_add_nc_u32_e32 v0, -1, v0
	v_cmp_eq_u32_e32 vcc_lo, 16, v0
	s_cbranch_vccnz .LBB103_300
; %bb.299:
	v_lshlrev_b32_e32 v0, 4, v0
	v_mov_b32_e32 v1, s36
	v_add_nc_u32_e32 v0, 16, v0
	s_clause 0x7
	buffer_load_dword v2, v0, s[0:3], 0 offen
	buffer_load_dword v3, v0, s[0:3], 0 offen offset:4
	buffer_load_dword v4, v0, s[0:3], 0 offen offset:8
	;; [unrolled: 1-line block ×6, first 2 shown]
	buffer_load_dword v89, v1, s[0:3], 0 offen
	s_waitcnt vmcnt(7)
	buffer_store_dword v2, v1, s[0:3], 0 offen
	s_waitcnt vmcnt(6)
	buffer_store_dword v3, v1, s[0:3], 0 offen offset:4
	s_waitcnt vmcnt(5)
	buffer_store_dword v4, v1, s[0:3], 0 offen offset:8
	;; [unrolled: 2-line block ×6, first 2 shown]
	s_waitcnt vmcnt(0)
	buffer_store_dword v89, v0, s[0:3], 0 offen
.LBB103_300:
	v_mov_b32_e32 v0, 0
	global_load_dword v1, v0, s[12:13] offset:60
	s_waitcnt vmcnt(0)
	v_add_nc_u32_e32 v1, -1, v1
	v_cmp_eq_u32_e32 vcc_lo, 15, v1
	s_cbranch_vccnz .LBB103_302
; %bb.301:
	v_lshlrev_b32_e32 v1, 4, v1
	v_mov_b32_e32 v2, s37
	v_add_nc_u32_e32 v1, 16, v1
	s_clause 0x7
	buffer_load_dword v3, v1, s[0:3], 0 offen
	buffer_load_dword v4, v1, s[0:3], 0 offen offset:4
	buffer_load_dword v85, v1, s[0:3], 0 offen offset:8
	;; [unrolled: 1-line block ×6, first 2 shown]
	buffer_load_dword v90, v2, s[0:3], 0 offen
	s_waitcnt vmcnt(7)
	buffer_store_dword v3, v2, s[0:3], 0 offen
	s_waitcnt vmcnt(6)
	buffer_store_dword v4, v2, s[0:3], 0 offen offset:4
	s_waitcnt vmcnt(5)
	buffer_store_dword v85, v2, s[0:3], 0 offen offset:8
	;; [unrolled: 2-line block ×6, first 2 shown]
	s_waitcnt vmcnt(0)
	buffer_store_dword v90, v1, s[0:3], 0 offen
.LBB103_302:
	global_load_dword v0, v0, s[12:13] offset:56
	s_waitcnt vmcnt(0)
	v_add_nc_u32_e32 v0, -1, v0
	v_cmp_eq_u32_e32 vcc_lo, 14, v0
	s_cbranch_vccnz .LBB103_304
; %bb.303:
	v_lshlrev_b32_e32 v0, 4, v0
	v_mov_b32_e32 v1, s38
	v_add_nc_u32_e32 v0, 16, v0
	s_clause 0x7
	buffer_load_dword v2, v0, s[0:3], 0 offen
	buffer_load_dword v3, v0, s[0:3], 0 offen offset:4
	buffer_load_dword v4, v0, s[0:3], 0 offen offset:8
	;; [unrolled: 1-line block ×6, first 2 shown]
	buffer_load_dword v89, v1, s[0:3], 0 offen
	s_waitcnt vmcnt(7)
	buffer_store_dword v2, v1, s[0:3], 0 offen
	s_waitcnt vmcnt(6)
	buffer_store_dword v3, v1, s[0:3], 0 offen offset:4
	s_waitcnt vmcnt(5)
	buffer_store_dword v4, v1, s[0:3], 0 offen offset:8
	;; [unrolled: 2-line block ×6, first 2 shown]
	s_waitcnt vmcnt(0)
	buffer_store_dword v89, v0, s[0:3], 0 offen
.LBB103_304:
	v_mov_b32_e32 v0, 0
	global_load_dword v1, v0, s[12:13] offset:52
	s_waitcnt vmcnt(0)
	v_add_nc_u32_e32 v1, -1, v1
	v_cmp_eq_u32_e32 vcc_lo, 13, v1
	s_cbranch_vccnz .LBB103_306
; %bb.305:
	v_lshlrev_b32_e32 v1, 4, v1
	v_mov_b32_e32 v2, s39
	v_add_nc_u32_e32 v1, 16, v1
	s_clause 0x7
	buffer_load_dword v3, v1, s[0:3], 0 offen
	buffer_load_dword v4, v1, s[0:3], 0 offen offset:4
	buffer_load_dword v85, v1, s[0:3], 0 offen offset:8
	;; [unrolled: 1-line block ×6, first 2 shown]
	buffer_load_dword v90, v2, s[0:3], 0 offen
	s_waitcnt vmcnt(7)
	buffer_store_dword v3, v2, s[0:3], 0 offen
	s_waitcnt vmcnt(6)
	buffer_store_dword v4, v2, s[0:3], 0 offen offset:4
	s_waitcnt vmcnt(5)
	buffer_store_dword v85, v2, s[0:3], 0 offen offset:8
	;; [unrolled: 2-line block ×6, first 2 shown]
	s_waitcnt vmcnt(0)
	buffer_store_dword v90, v1, s[0:3], 0 offen
.LBB103_306:
	global_load_dword v0, v0, s[12:13] offset:48
	s_waitcnt vmcnt(0)
	v_add_nc_u32_e32 v0, -1, v0
	v_cmp_eq_u32_e32 vcc_lo, 12, v0
	s_cbranch_vccnz .LBB103_308
; %bb.307:
	v_lshlrev_b32_e32 v0, 4, v0
	v_mov_b32_e32 v1, s40
	v_add_nc_u32_e32 v0, 16, v0
	s_clause 0x7
	buffer_load_dword v2, v0, s[0:3], 0 offen
	buffer_load_dword v3, v0, s[0:3], 0 offen offset:4
	buffer_load_dword v4, v0, s[0:3], 0 offen offset:8
	;; [unrolled: 1-line block ×6, first 2 shown]
	buffer_load_dword v89, v1, s[0:3], 0 offen
	s_waitcnt vmcnt(7)
	buffer_store_dword v2, v1, s[0:3], 0 offen
	s_waitcnt vmcnt(6)
	buffer_store_dword v3, v1, s[0:3], 0 offen offset:4
	s_waitcnt vmcnt(5)
	buffer_store_dword v4, v1, s[0:3], 0 offen offset:8
	s_waitcnt vmcnt(4)
	buffer_store_dword v85, v1, s[0:3], 0 offen offset:12
	s_waitcnt vmcnt(3)
	buffer_store_dword v86, v0, s[0:3], 0 offen offset:12
	s_waitcnt vmcnt(2)
	buffer_store_dword v87, v0, s[0:3], 0 offen offset:8
	s_waitcnt vmcnt(1)
	buffer_store_dword v88, v0, s[0:3], 0 offen offset:4
	s_waitcnt vmcnt(0)
	buffer_store_dword v89, v0, s[0:3], 0 offen
.LBB103_308:
	v_mov_b32_e32 v0, 0
	global_load_dword v1, v0, s[12:13] offset:44
	s_waitcnt vmcnt(0)
	v_add_nc_u32_e32 v1, -1, v1
	v_cmp_eq_u32_e32 vcc_lo, 11, v1
	s_cbranch_vccnz .LBB103_310
; %bb.309:
	v_lshlrev_b32_e32 v1, 4, v1
	v_mov_b32_e32 v2, s41
	v_add_nc_u32_e32 v1, 16, v1
	s_clause 0x7
	buffer_load_dword v3, v1, s[0:3], 0 offen
	buffer_load_dword v4, v1, s[0:3], 0 offen offset:4
	buffer_load_dword v85, v1, s[0:3], 0 offen offset:8
	;; [unrolled: 1-line block ×6, first 2 shown]
	buffer_load_dword v90, v2, s[0:3], 0 offen
	s_waitcnt vmcnt(7)
	buffer_store_dword v3, v2, s[0:3], 0 offen
	s_waitcnt vmcnt(6)
	buffer_store_dword v4, v2, s[0:3], 0 offen offset:4
	s_waitcnt vmcnt(5)
	buffer_store_dword v85, v2, s[0:3], 0 offen offset:8
	;; [unrolled: 2-line block ×6, first 2 shown]
	s_waitcnt vmcnt(0)
	buffer_store_dword v90, v1, s[0:3], 0 offen
.LBB103_310:
	global_load_dword v0, v0, s[12:13] offset:40
	s_waitcnt vmcnt(0)
	v_add_nc_u32_e32 v0, -1, v0
	v_cmp_eq_u32_e32 vcc_lo, 10, v0
	s_cbranch_vccnz .LBB103_312
; %bb.311:
	v_lshlrev_b32_e32 v0, 4, v0
	v_mov_b32_e32 v1, s42
	v_add_nc_u32_e32 v0, 16, v0
	s_clause 0x7
	buffer_load_dword v2, v0, s[0:3], 0 offen
	buffer_load_dword v3, v0, s[0:3], 0 offen offset:4
	buffer_load_dword v4, v0, s[0:3], 0 offen offset:8
	;; [unrolled: 1-line block ×6, first 2 shown]
	buffer_load_dword v89, v1, s[0:3], 0 offen
	s_waitcnt vmcnt(7)
	buffer_store_dword v2, v1, s[0:3], 0 offen
	s_waitcnt vmcnt(6)
	buffer_store_dword v3, v1, s[0:3], 0 offen offset:4
	s_waitcnt vmcnt(5)
	buffer_store_dword v4, v1, s[0:3], 0 offen offset:8
	;; [unrolled: 2-line block ×6, first 2 shown]
	s_waitcnt vmcnt(0)
	buffer_store_dword v89, v0, s[0:3], 0 offen
.LBB103_312:
	v_mov_b32_e32 v0, 0
	global_load_dword v1, v0, s[12:13] offset:36
	s_waitcnt vmcnt(0)
	v_add_nc_u32_e32 v1, -1, v1
	v_cmp_eq_u32_e32 vcc_lo, 9, v1
	s_cbranch_vccnz .LBB103_314
; %bb.313:
	v_lshlrev_b32_e32 v1, 4, v1
	v_mov_b32_e32 v2, s43
	v_add_nc_u32_e32 v1, 16, v1
	s_clause 0x7
	buffer_load_dword v3, v1, s[0:3], 0 offen
	buffer_load_dword v4, v1, s[0:3], 0 offen offset:4
	buffer_load_dword v85, v1, s[0:3], 0 offen offset:8
	;; [unrolled: 1-line block ×6, first 2 shown]
	buffer_load_dword v90, v2, s[0:3], 0 offen
	s_waitcnt vmcnt(7)
	buffer_store_dword v3, v2, s[0:3], 0 offen
	s_waitcnt vmcnt(6)
	buffer_store_dword v4, v2, s[0:3], 0 offen offset:4
	s_waitcnt vmcnt(5)
	buffer_store_dword v85, v2, s[0:3], 0 offen offset:8
	;; [unrolled: 2-line block ×6, first 2 shown]
	s_waitcnt vmcnt(0)
	buffer_store_dword v90, v1, s[0:3], 0 offen
.LBB103_314:
	global_load_dword v0, v0, s[12:13] offset:32
	s_waitcnt vmcnt(0)
	v_add_nc_u32_e32 v0, -1, v0
	v_cmp_eq_u32_e32 vcc_lo, 8, v0
	s_cbranch_vccnz .LBB103_316
; %bb.315:
	v_lshlrev_b32_e32 v0, 4, v0
	v_mov_b32_e32 v1, s44
	v_add_nc_u32_e32 v0, 16, v0
	s_clause 0x7
	buffer_load_dword v2, v0, s[0:3], 0 offen
	buffer_load_dword v3, v0, s[0:3], 0 offen offset:4
	buffer_load_dword v4, v0, s[0:3], 0 offen offset:8
	;; [unrolled: 1-line block ×6, first 2 shown]
	buffer_load_dword v89, v1, s[0:3], 0 offen
	s_waitcnt vmcnt(7)
	buffer_store_dword v2, v1, s[0:3], 0 offen
	s_waitcnt vmcnt(6)
	buffer_store_dword v3, v1, s[0:3], 0 offen offset:4
	s_waitcnt vmcnt(5)
	buffer_store_dword v4, v1, s[0:3], 0 offen offset:8
	;; [unrolled: 2-line block ×6, first 2 shown]
	s_waitcnt vmcnt(0)
	buffer_store_dword v89, v0, s[0:3], 0 offen
.LBB103_316:
	v_mov_b32_e32 v0, 0
	global_load_dword v1, v0, s[12:13] offset:28
	s_waitcnt vmcnt(0)
	v_add_nc_u32_e32 v1, -1, v1
	v_cmp_eq_u32_e32 vcc_lo, 7, v1
	s_cbranch_vccnz .LBB103_318
; %bb.317:
	v_lshlrev_b32_e32 v1, 4, v1
	v_mov_b32_e32 v2, s45
	v_add_nc_u32_e32 v1, 16, v1
	s_clause 0x7
	buffer_load_dword v3, v1, s[0:3], 0 offen
	buffer_load_dword v4, v1, s[0:3], 0 offen offset:4
	buffer_load_dword v85, v1, s[0:3], 0 offen offset:8
	;; [unrolled: 1-line block ×6, first 2 shown]
	buffer_load_dword v90, v2, s[0:3], 0 offen
	s_waitcnt vmcnt(7)
	buffer_store_dword v3, v2, s[0:3], 0 offen
	s_waitcnt vmcnt(6)
	buffer_store_dword v4, v2, s[0:3], 0 offen offset:4
	s_waitcnt vmcnt(5)
	buffer_store_dword v85, v2, s[0:3], 0 offen offset:8
	s_waitcnt vmcnt(4)
	buffer_store_dword v86, v2, s[0:3], 0 offen offset:12
	s_waitcnt vmcnt(3)
	buffer_store_dword v87, v1, s[0:3], 0 offen offset:12
	s_waitcnt vmcnt(2)
	buffer_store_dword v88, v1, s[0:3], 0 offen offset:8
	s_waitcnt vmcnt(1)
	buffer_store_dword v89, v1, s[0:3], 0 offen offset:4
	s_waitcnt vmcnt(0)
	buffer_store_dword v90, v1, s[0:3], 0 offen
.LBB103_318:
	global_load_dword v0, v0, s[12:13] offset:24
	s_waitcnt vmcnt(0)
	v_add_nc_u32_e32 v0, -1, v0
	v_cmp_eq_u32_e32 vcc_lo, 6, v0
	s_cbranch_vccnz .LBB103_320
; %bb.319:
	v_lshlrev_b32_e32 v0, 4, v0
	v_mov_b32_e32 v1, s46
	v_add_nc_u32_e32 v0, 16, v0
	s_clause 0x7
	buffer_load_dword v2, v0, s[0:3], 0 offen
	buffer_load_dword v3, v0, s[0:3], 0 offen offset:4
	buffer_load_dword v4, v0, s[0:3], 0 offen offset:8
	;; [unrolled: 1-line block ×6, first 2 shown]
	buffer_load_dword v89, v1, s[0:3], 0 offen
	s_waitcnt vmcnt(7)
	buffer_store_dword v2, v1, s[0:3], 0 offen
	s_waitcnt vmcnt(6)
	buffer_store_dword v3, v1, s[0:3], 0 offen offset:4
	s_waitcnt vmcnt(5)
	buffer_store_dword v4, v1, s[0:3], 0 offen offset:8
	;; [unrolled: 2-line block ×6, first 2 shown]
	s_waitcnt vmcnt(0)
	buffer_store_dword v89, v0, s[0:3], 0 offen
.LBB103_320:
	v_mov_b32_e32 v0, 0
	global_load_dword v1, v0, s[12:13] offset:20
	s_waitcnt vmcnt(0)
	v_add_nc_u32_e32 v1, -1, v1
	v_cmp_eq_u32_e32 vcc_lo, 5, v1
	s_cbranch_vccnz .LBB103_322
; %bb.321:
	v_lshlrev_b32_e32 v1, 4, v1
	v_mov_b32_e32 v2, s47
	v_add_nc_u32_e32 v1, 16, v1
	s_clause 0x7
	buffer_load_dword v3, v1, s[0:3], 0 offen
	buffer_load_dword v4, v1, s[0:3], 0 offen offset:4
	buffer_load_dword v85, v1, s[0:3], 0 offen offset:8
	;; [unrolled: 1-line block ×6, first 2 shown]
	buffer_load_dword v90, v2, s[0:3], 0 offen
	s_waitcnt vmcnt(7)
	buffer_store_dword v3, v2, s[0:3], 0 offen
	s_waitcnt vmcnt(6)
	buffer_store_dword v4, v2, s[0:3], 0 offen offset:4
	s_waitcnt vmcnt(5)
	buffer_store_dword v85, v2, s[0:3], 0 offen offset:8
	;; [unrolled: 2-line block ×6, first 2 shown]
	s_waitcnt vmcnt(0)
	buffer_store_dword v90, v1, s[0:3], 0 offen
.LBB103_322:
	global_load_dword v0, v0, s[12:13] offset:16
	s_waitcnt vmcnt(0)
	v_add_nc_u32_e32 v0, -1, v0
	v_cmp_eq_u32_e32 vcc_lo, 4, v0
	s_cbranch_vccnz .LBB103_324
; %bb.323:
	v_lshlrev_b32_e32 v0, 4, v0
	v_mov_b32_e32 v1, s48
	v_add_nc_u32_e32 v0, 16, v0
	s_clause 0x7
	buffer_load_dword v2, v0, s[0:3], 0 offen
	buffer_load_dword v3, v0, s[0:3], 0 offen offset:4
	buffer_load_dword v4, v0, s[0:3], 0 offen offset:8
	;; [unrolled: 1-line block ×6, first 2 shown]
	buffer_load_dword v89, v1, s[0:3], 0 offen
	s_waitcnt vmcnt(7)
	buffer_store_dword v2, v1, s[0:3], 0 offen
	s_waitcnt vmcnt(6)
	buffer_store_dword v3, v1, s[0:3], 0 offen offset:4
	s_waitcnt vmcnt(5)
	buffer_store_dword v4, v1, s[0:3], 0 offen offset:8
	;; [unrolled: 2-line block ×6, first 2 shown]
	s_waitcnt vmcnt(0)
	buffer_store_dword v89, v0, s[0:3], 0 offen
.LBB103_324:
	v_mov_b32_e32 v0, 0
	global_load_dword v1, v0, s[12:13] offset:12
	s_waitcnt vmcnt(0)
	v_add_nc_u32_e32 v1, -1, v1
	v_cmp_eq_u32_e32 vcc_lo, 3, v1
	s_cbranch_vccnz .LBB103_326
; %bb.325:
	v_lshlrev_b32_e32 v1, 4, v1
	v_mov_b32_e32 v2, s49
	v_add_nc_u32_e32 v1, 16, v1
	s_clause 0x7
	buffer_load_dword v3, v1, s[0:3], 0 offen
	buffer_load_dword v4, v1, s[0:3], 0 offen offset:4
	buffer_load_dword v85, v1, s[0:3], 0 offen offset:8
	;; [unrolled: 1-line block ×6, first 2 shown]
	buffer_load_dword v90, v2, s[0:3], 0 offen
	s_waitcnt vmcnt(7)
	buffer_store_dword v3, v2, s[0:3], 0 offen
	s_waitcnt vmcnt(6)
	buffer_store_dword v4, v2, s[0:3], 0 offen offset:4
	s_waitcnt vmcnt(5)
	buffer_store_dword v85, v2, s[0:3], 0 offen offset:8
	;; [unrolled: 2-line block ×6, first 2 shown]
	s_waitcnt vmcnt(0)
	buffer_store_dword v90, v1, s[0:3], 0 offen
.LBB103_326:
	global_load_dword v0, v0, s[12:13] offset:8
	s_waitcnt vmcnt(0)
	v_add_nc_u32_e32 v0, -1, v0
	v_cmp_eq_u32_e32 vcc_lo, 2, v0
	s_cbranch_vccnz .LBB103_328
; %bb.327:
	v_lshlrev_b32_e32 v0, 4, v0
	v_mov_b32_e32 v1, s50
	v_add_nc_u32_e32 v0, 16, v0
	s_clause 0x7
	buffer_load_dword v2, v0, s[0:3], 0 offen
	buffer_load_dword v3, v0, s[0:3], 0 offen offset:4
	buffer_load_dword v4, v0, s[0:3], 0 offen offset:8
	;; [unrolled: 1-line block ×6, first 2 shown]
	buffer_load_dword v89, v1, s[0:3], 0 offen
	s_waitcnt vmcnt(7)
	buffer_store_dword v2, v1, s[0:3], 0 offen
	s_waitcnt vmcnt(6)
	buffer_store_dword v3, v1, s[0:3], 0 offen offset:4
	s_waitcnt vmcnt(5)
	buffer_store_dword v4, v1, s[0:3], 0 offen offset:8
	;; [unrolled: 2-line block ×6, first 2 shown]
	s_waitcnt vmcnt(0)
	buffer_store_dword v89, v0, s[0:3], 0 offen
.LBB103_328:
	v_mov_b32_e32 v0, 0
	global_load_dword v1, v0, s[12:13] offset:4
	s_waitcnt vmcnt(0)
	v_add_nc_u32_e32 v1, -1, v1
	v_cmp_eq_u32_e32 vcc_lo, 1, v1
	s_cbranch_vccnz .LBB103_330
; %bb.329:
	v_lshlrev_b32_e32 v1, 4, v1
	v_mov_b32_e32 v2, s51
	v_add_nc_u32_e32 v1, 16, v1
	s_clause 0x7
	buffer_load_dword v3, v1, s[0:3], 0 offen
	buffer_load_dword v4, v1, s[0:3], 0 offen offset:4
	buffer_load_dword v85, v1, s[0:3], 0 offen offset:8
	;; [unrolled: 1-line block ×6, first 2 shown]
	buffer_load_dword v90, v2, s[0:3], 0 offen
	s_waitcnt vmcnt(7)
	buffer_store_dword v3, v2, s[0:3], 0 offen
	s_waitcnt vmcnt(6)
	buffer_store_dword v4, v2, s[0:3], 0 offen offset:4
	s_waitcnt vmcnt(5)
	buffer_store_dword v85, v2, s[0:3], 0 offen offset:8
	;; [unrolled: 2-line block ×6, first 2 shown]
	s_waitcnt vmcnt(0)
	buffer_store_dword v90, v1, s[0:3], 0 offen
.LBB103_330:
	global_load_dword v0, v0, s[12:13]
	s_waitcnt vmcnt(0)
	v_add_nc_u32_e32 v0, -1, v0
	v_cmp_eq_u32_e32 vcc_lo, 0, v0
	s_cbranch_vccnz .LBB103_332
; %bb.331:
	v_lshlrev_b32_e32 v0, 4, v0
	v_add_nc_u32_e32 v0, 16, v0
	s_clause 0x7
	buffer_load_dword v1, v0, s[0:3], 0 offen
	buffer_load_dword v2, v0, s[0:3], 0 offen offset:4
	buffer_load_dword v3, v0, s[0:3], 0 offen offset:8
	;; [unrolled: 1-line block ×3, first 2 shown]
	buffer_load_dword v85, off, s[0:3], 0 offset:28
	buffer_load_dword v86, off, s[0:3], 0 offset:24
	;; [unrolled: 1-line block ×4, first 2 shown]
	s_waitcnt vmcnt(7)
	buffer_store_dword v1, off, s[0:3], 0 offset:16
	s_waitcnt vmcnt(6)
	buffer_store_dword v2, off, s[0:3], 0 offset:20
	;; [unrolled: 2-line block ×4, first 2 shown]
	s_waitcnt vmcnt(3)
	buffer_store_dword v85, v0, s[0:3], 0 offen offset:12
	s_waitcnt vmcnt(2)
	buffer_store_dword v86, v0, s[0:3], 0 offen offset:8
	;; [unrolled: 2-line block ×3, first 2 shown]
	s_waitcnt vmcnt(0)
	buffer_store_dword v88, v0, s[0:3], 0 offen
.LBB103_332:
	s_clause 0x3
	buffer_load_dword v0, off, s[0:3], 0 offset:16
	buffer_load_dword v1, off, s[0:3], 0 offset:20
	;; [unrolled: 1-line block ×4, first 2 shown]
	v_mov_b32_e32 v4, s51
	s_waitcnt vmcnt(0)
	flat_store_dwordx4 v[5:6], v[0:3]
	s_clause 0x3
	buffer_load_dword v0, v4, s[0:3], 0 offen
	buffer_load_dword v1, v4, s[0:3], 0 offen offset:4
	buffer_load_dword v2, v4, s[0:3], 0 offen offset:8
	buffer_load_dword v3, v4, s[0:3], 0 offen offset:12
	v_mov_b32_e32 v4, s50
	s_waitcnt vmcnt(0)
	flat_store_dwordx4 v[59:60], v[0:3]
	s_clause 0x3
	buffer_load_dword v0, v4, s[0:3], 0 offen
	buffer_load_dword v1, v4, s[0:3], 0 offen offset:4
	buffer_load_dword v2, v4, s[0:3], 0 offen offset:8
	buffer_load_dword v3, v4, s[0:3], 0 offen offset:12
	;; [unrolled: 8-line block ×39, first 2 shown]
	s_waitcnt vmcnt(0)
	flat_store_dwordx4 v[83:84], v[0:3]
	s_endpgm
	.section	.rodata,"a",@progbits
	.p2align	6, 0x0
	.amdhsa_kernel _ZN9rocsolver6v33100L18getri_kernel_smallILi40E19rocblas_complex_numIdEPKPS3_EEvT1_iilPiilS8_bb
		.amdhsa_group_segment_fixed_size 1288
		.amdhsa_private_segment_fixed_size 672
		.amdhsa_kernarg_size 60
		.amdhsa_user_sgpr_count 6
		.amdhsa_user_sgpr_private_segment_buffer 1
		.amdhsa_user_sgpr_dispatch_ptr 0
		.amdhsa_user_sgpr_queue_ptr 0
		.amdhsa_user_sgpr_kernarg_segment_ptr 1
		.amdhsa_user_sgpr_dispatch_id 0
		.amdhsa_user_sgpr_flat_scratch_init 0
		.amdhsa_user_sgpr_private_segment_size 0
		.amdhsa_wavefront_size32 1
		.amdhsa_uses_dynamic_stack 0
		.amdhsa_system_sgpr_private_segment_wavefront_offset 1
		.amdhsa_system_sgpr_workgroup_id_x 1
		.amdhsa_system_sgpr_workgroup_id_y 0
		.amdhsa_system_sgpr_workgroup_id_z 0
		.amdhsa_system_sgpr_workgroup_info 0
		.amdhsa_system_vgpr_workitem_id 0
		.amdhsa_next_free_vgpr 175
		.amdhsa_next_free_sgpr 71
		.amdhsa_reserve_vcc 1
		.amdhsa_reserve_flat_scratch 0
		.amdhsa_float_round_mode_32 0
		.amdhsa_float_round_mode_16_64 0
		.amdhsa_float_denorm_mode_32 3
		.amdhsa_float_denorm_mode_16_64 3
		.amdhsa_dx10_clamp 1
		.amdhsa_ieee_mode 1
		.amdhsa_fp16_overflow 0
		.amdhsa_workgroup_processor_mode 1
		.amdhsa_memory_ordered 1
		.amdhsa_forward_progress 1
		.amdhsa_shared_vgpr_count 0
		.amdhsa_exception_fp_ieee_invalid_op 0
		.amdhsa_exception_fp_denorm_src 0
		.amdhsa_exception_fp_ieee_div_zero 0
		.amdhsa_exception_fp_ieee_overflow 0
		.amdhsa_exception_fp_ieee_underflow 0
		.amdhsa_exception_fp_ieee_inexact 0
		.amdhsa_exception_int_div_zero 0
	.end_amdhsa_kernel
	.section	.text._ZN9rocsolver6v33100L18getri_kernel_smallILi40E19rocblas_complex_numIdEPKPS3_EEvT1_iilPiilS8_bb,"axG",@progbits,_ZN9rocsolver6v33100L18getri_kernel_smallILi40E19rocblas_complex_numIdEPKPS3_EEvT1_iilPiilS8_bb,comdat
.Lfunc_end103:
	.size	_ZN9rocsolver6v33100L18getri_kernel_smallILi40E19rocblas_complex_numIdEPKPS3_EEvT1_iilPiilS8_bb, .Lfunc_end103-_ZN9rocsolver6v33100L18getri_kernel_smallILi40E19rocblas_complex_numIdEPKPS3_EEvT1_iilPiilS8_bb
                                        ; -- End function
	.set _ZN9rocsolver6v33100L18getri_kernel_smallILi40E19rocblas_complex_numIdEPKPS3_EEvT1_iilPiilS8_bb.num_vgpr, 175
	.set _ZN9rocsolver6v33100L18getri_kernel_smallILi40E19rocblas_complex_numIdEPKPS3_EEvT1_iilPiilS8_bb.num_agpr, 0
	.set _ZN9rocsolver6v33100L18getri_kernel_smallILi40E19rocblas_complex_numIdEPKPS3_EEvT1_iilPiilS8_bb.numbered_sgpr, 71
	.set _ZN9rocsolver6v33100L18getri_kernel_smallILi40E19rocblas_complex_numIdEPKPS3_EEvT1_iilPiilS8_bb.num_named_barrier, 0
	.set _ZN9rocsolver6v33100L18getri_kernel_smallILi40E19rocblas_complex_numIdEPKPS3_EEvT1_iilPiilS8_bb.private_seg_size, 672
	.set _ZN9rocsolver6v33100L18getri_kernel_smallILi40E19rocblas_complex_numIdEPKPS3_EEvT1_iilPiilS8_bb.uses_vcc, 1
	.set _ZN9rocsolver6v33100L18getri_kernel_smallILi40E19rocblas_complex_numIdEPKPS3_EEvT1_iilPiilS8_bb.uses_flat_scratch, 0
	.set _ZN9rocsolver6v33100L18getri_kernel_smallILi40E19rocblas_complex_numIdEPKPS3_EEvT1_iilPiilS8_bb.has_dyn_sized_stack, 0
	.set _ZN9rocsolver6v33100L18getri_kernel_smallILi40E19rocblas_complex_numIdEPKPS3_EEvT1_iilPiilS8_bb.has_recursion, 0
	.set _ZN9rocsolver6v33100L18getri_kernel_smallILi40E19rocblas_complex_numIdEPKPS3_EEvT1_iilPiilS8_bb.has_indirect_call, 0
	.section	.AMDGPU.csdata,"",@progbits
; Kernel info:
; codeLenInByte = 113932
; TotalNumSgprs: 73
; NumVgprs: 175
; ScratchSize: 672
; MemoryBound: 0
; FloatMode: 240
; IeeeMode: 1
; LDSByteSize: 1288 bytes/workgroup (compile time only)
; SGPRBlocks: 0
; VGPRBlocks: 21
; NumSGPRsForWavesPerEU: 73
; NumVGPRsForWavesPerEU: 175
; Occupancy: 5
; WaveLimiterHint : 1
; COMPUTE_PGM_RSRC2:SCRATCH_EN: 1
; COMPUTE_PGM_RSRC2:USER_SGPR: 6
; COMPUTE_PGM_RSRC2:TRAP_HANDLER: 0
; COMPUTE_PGM_RSRC2:TGID_X_EN: 1
; COMPUTE_PGM_RSRC2:TGID_Y_EN: 0
; COMPUTE_PGM_RSRC2:TGID_Z_EN: 0
; COMPUTE_PGM_RSRC2:TIDIG_COMP_CNT: 0
	.section	.text._ZN9rocsolver6v33100L18getri_kernel_smallILi41E19rocblas_complex_numIdEPKPS3_EEvT1_iilPiilS8_bb,"axG",@progbits,_ZN9rocsolver6v33100L18getri_kernel_smallILi41E19rocblas_complex_numIdEPKPS3_EEvT1_iilPiilS8_bb,comdat
	.globl	_ZN9rocsolver6v33100L18getri_kernel_smallILi41E19rocblas_complex_numIdEPKPS3_EEvT1_iilPiilS8_bb ; -- Begin function _ZN9rocsolver6v33100L18getri_kernel_smallILi41E19rocblas_complex_numIdEPKPS3_EEvT1_iilPiilS8_bb
	.p2align	8
	.type	_ZN9rocsolver6v33100L18getri_kernel_smallILi41E19rocblas_complex_numIdEPKPS3_EEvT1_iilPiilS8_bb,@function
_ZN9rocsolver6v33100L18getri_kernel_smallILi41E19rocblas_complex_numIdEPKPS3_EEvT1_iilPiilS8_bb: ; @_ZN9rocsolver6v33100L18getri_kernel_smallILi41E19rocblas_complex_numIdEPKPS3_EEvT1_iilPiilS8_bb
; %bb.0:
	s_add_u32 s0, s0, s7
	s_addc_u32 s1, s1, 0
	s_mov_b32 s7, exec_lo
	v_cmpx_gt_u32_e32 41, v0
	s_cbranch_execz .LBB104_178
; %bb.1:
	s_clause 0x2
	s_load_dword s16, s[4:5], 0x38
	s_load_dwordx2 s[12:13], s[4:5], 0x0
	s_load_dwordx4 s[8:11], s[4:5], 0x28
	s_waitcnt lgkmcnt(0)
	s_bitcmp1_b32 s16, 8
	s_cselect_b32 s53, -1, 0
	s_ashr_i32 s7, s6, 31
	s_lshl_b64 s[14:15], s[6:7], 3
	s_add_u32 s12, s12, s14
	s_addc_u32 s13, s13, s15
	s_load_dwordx2 s[14:15], s[12:13], 0x0
	s_bfe_u32 s12, s16, 0x10008
	s_cmp_eq_u32 s12, 0
                                        ; implicit-def: $sgpr12_sgpr13
	s_cbranch_scc1 .LBB104_3
; %bb.2:
	s_clause 0x1
	s_load_dword s12, s[4:5], 0x20
	s_load_dwordx2 s[16:17], s[4:5], 0x18
	s_mul_i32 s13, s8, s7
	s_mul_hi_u32 s18, s8, s6
	s_mul_i32 s9, s9, s6
	s_add_i32 s13, s18, s13
	s_mul_i32 s8, s8, s6
	s_add_i32 s9, s13, s9
	s_lshl_b64 s[8:9], s[8:9], 2
	s_waitcnt lgkmcnt(0)
	s_ashr_i32 s13, s12, 31
	s_add_u32 s16, s16, s8
	s_addc_u32 s17, s17, s9
	s_lshl_b64 s[8:9], s[12:13], 2
	s_add_u32 s12, s16, s8
	s_addc_u32 s13, s17, s9
.LBB104_3:
	s_clause 0x1
	s_load_dwordx2 s[8:9], s[4:5], 0x8
	s_load_dword s54, s[4:5], 0x38
	v_lshlrev_b32_e32 v93, 4, v0
	s_movk_i32 s16, 0xa0
	s_movk_i32 s17, 0xb0
	;; [unrolled: 1-line block ×17, first 2 shown]
	s_waitcnt lgkmcnt(0)
	s_ashr_i32 s5, s8, 31
	s_mov_b32 s4, s8
	v_add3_u32 v7, s9, s9, v0
	s_lshl_b64 s[4:5], s[4:5], 4
	s_movk_i32 s58, 0x1b0
	s_add_u32 s8, s14, s4
	s_addc_u32 s14, s15, s5
	v_add_co_u32 v5, s4, s8, v93
	v_add_co_ci_u32_e64 v6, null, s14, 0, s4
	s_mov_b32 s4, s9
	s_ashr_i32 s5, s9, 31
	v_ashrrev_i32_e32 v8, 31, v7
	flat_load_dwordx4 v[1:4], v[5:6]
	s_lshl_b64 s[4:5], s[4:5], 4
	s_movk_i32 s15, 0x90
	v_add_co_u32 v59, vcc_lo, v5, s4
	v_add_co_ci_u32_e64 v60, null, s5, v6, vcc_lo
	v_lshlrev_b64 v[8:9], 4, v[7:8]
	v_add_nc_u32_e32 v7, s9, v7
	s_movk_i32 s4, 0x50
	s_movk_i32 s59, 0x1c0
	;; [unrolled: 1-line block ×4, first 2 shown]
	v_add_co_u32 v57, vcc_lo, s8, v8
	v_add_co_ci_u32_e64 v58, null, s14, v9, vcc_lo
	v_ashrrev_i32_e32 v8, 31, v7
	s_movk_i32 s62, 0x1f0
	s_movk_i32 s63, 0x200
	;; [unrolled: 1-line block ×4, first 2 shown]
	v_lshlrev_b64 v[8:9], 4, v[7:8]
	v_add_nc_u32_e32 v7, s9, v7
	s_movk_i32 s66, 0x230
	s_movk_i32 s67, 0x240
	;; [unrolled: 1-line block ×4, first 2 shown]
	v_add_co_u32 v53, vcc_lo, s8, v8
	v_add_co_ci_u32_e64 v54, null, s14, v9, vcc_lo
	v_ashrrev_i32_e32 v8, 31, v7
	s_movk_i32 s70, 0x270
	s_movk_i32 s71, 0x280
	s_add_i32 s48, s4, 16
	s_add_i32 s44, s15, 16
	v_lshlrev_b64 v[8:9], 4, v[7:8]
	v_add_nc_u32_e32 v7, s9, v7
	s_add_i32 s43, s16, 16
	s_add_i32 s42, s17, 16
	s_add_i32 s41, s18, 16
	s_add_i32 s40, s19, 16
	v_add_co_u32 v51, vcc_lo, s8, v8
	v_add_co_ci_u32_e64 v52, null, s14, v9, vcc_lo
	v_ashrrev_i32_e32 v8, 31, v7
	s_add_i32 s39, s20, 16
	s_add_i32 s38, s21, 16
	s_add_i32 s37, s22, 16
	s_add_i32 s36, s23, 16
	v_lshlrev_b64 v[8:9], 4, v[7:8]
	v_add_nc_u32_e32 v7, s9, v7
	s_add_i32 s35, s24, 16
	s_add_i32 s34, s25, 16
	s_add_i32 s33, s26, 16
	s_add_i32 s31, s27, 16
	v_add_co_u32 v49, vcc_lo, s8, v8
	v_add_co_ci_u32_e64 v50, null, s14, v9, vcc_lo
	v_ashrrev_i32_e32 v8, 31, v7
	s_add_i32 s30, s28, 16
	s_add_i32 s29, s29, 16
	;; [unrolled: 13-line block ×3, first 2 shown]
	s_add_i32 s20, s63, 16
	s_add_i32 s19, s64, 16
	v_lshlrev_b64 v[8:9], 4, v[7:8]
	v_add_nc_u32_e32 v7, s9, v7
	s_add_i32 s18, s65, 16
	s_add_i32 s17, s66, 16
	;; [unrolled: 1-line block ×4, first 2 shown]
	v_add_co_u32 v45, vcc_lo, s8, v8
	v_add_co_ci_u32_e64 v46, null, s14, v9, vcc_lo
	v_ashrrev_i32_e32 v8, 31, v7
	s_mov_b32 s5, -1
	s_mov_b32 s52, 32
	s_mov_b32 s51, 48
	;; [unrolled: 1-line block ×3, first 2 shown]
	v_lshlrev_b64 v[8:9], 4, v[7:8]
	v_add_nc_u32_e32 v7, s9, v7
	s_movk_i32 s49, 0x50
	s_waitcnt vmcnt(0) lgkmcnt(0)
	buffer_store_dword v4, off, s[0:3], 0 offset:28
	buffer_store_dword v3, off, s[0:3], 0 offset:24
	buffer_store_dword v2, off, s[0:3], 0 offset:20
	buffer_store_dword v1, off, s[0:3], 0 offset:16
	flat_load_dwordx4 v[1:4], v[59:60]
	v_add_co_u32 v43, vcc_lo, s8, v8
	v_add_co_ci_u32_e64 v44, null, s14, v9, vcc_lo
	v_ashrrev_i32_e32 v8, 31, v7
	s_waitcnt vmcnt(0) lgkmcnt(0)
	buffer_store_dword v4, off, s[0:3], 0 offset:44
	buffer_store_dword v3, off, s[0:3], 0 offset:40
	buffer_store_dword v2, off, s[0:3], 0 offset:36
	buffer_store_dword v1, off, s[0:3], 0 offset:32
	flat_load_dwordx4 v[1:4], v[57:58]
	v_lshlrev_b64 v[8:9], 4, v[7:8]
	v_add_nc_u32_e32 v7, s9, v7
	s_waitcnt vmcnt(0) lgkmcnt(0)
	buffer_store_dword v4, off, s[0:3], 0 offset:60
	buffer_store_dword v3, off, s[0:3], 0 offset:56
	buffer_store_dword v2, off, s[0:3], 0 offset:52
	buffer_store_dword v1, off, s[0:3], 0 offset:48
	flat_load_dwordx4 v[1:4], v[53:54]
	v_add_co_u32 v41, vcc_lo, s8, v8
	v_add_co_ci_u32_e64 v42, null, s14, v9, vcc_lo
	v_ashrrev_i32_e32 v8, 31, v7
	s_waitcnt vmcnt(0) lgkmcnt(0)
	buffer_store_dword v4, off, s[0:3], 0 offset:76
	buffer_store_dword v3, off, s[0:3], 0 offset:72
	buffer_store_dword v2, off, s[0:3], 0 offset:68
	buffer_store_dword v1, off, s[0:3], 0 offset:64
	flat_load_dwordx4 v[1:4], v[51:52]
	v_lshlrev_b64 v[8:9], 4, v[7:8]
	v_add_nc_u32_e32 v7, s9, v7
	;; [unrolled: 17-line block ×7, first 2 shown]
	s_waitcnt vmcnt(0) lgkmcnt(0)
	buffer_store_dword v4, off, s[0:3], 0 offset:252
	buffer_store_dword v3, off, s[0:3], 0 offset:248
	buffer_store_dword v2, off, s[0:3], 0 offset:244
	buffer_store_dword v1, off, s[0:3], 0 offset:240
	v_add_co_u32 v27, vcc_lo, s8, v8
	v_add_co_ci_u32_e64 v28, null, s14, v9, vcc_lo
	v_ashrrev_i32_e32 v8, 31, v7
	flat_load_dwordx4 v[1:4], v[27:28]
	s_waitcnt vmcnt(0) lgkmcnt(0)
	buffer_store_dword v4, off, s[0:3], 0 offset:268
	buffer_store_dword v3, off, s[0:3], 0 offset:264
	buffer_store_dword v2, off, s[0:3], 0 offset:260
	buffer_store_dword v1, off, s[0:3], 0 offset:256
	v_lshlrev_b64 v[8:9], 4, v[7:8]
	v_add_nc_u32_e32 v7, s9, v7
	v_add_co_u32 v25, vcc_lo, s8, v8
	v_add_co_ci_u32_e64 v26, null, s14, v9, vcc_lo
	v_ashrrev_i32_e32 v8, 31, v7
	flat_load_dwordx4 v[1:4], v[25:26]
	s_waitcnt vmcnt(0) lgkmcnt(0)
	buffer_store_dword v4, off, s[0:3], 0 offset:284
	buffer_store_dword v3, off, s[0:3], 0 offset:280
	buffer_store_dword v2, off, s[0:3], 0 offset:276
	buffer_store_dword v1, off, s[0:3], 0 offset:272
	v_lshlrev_b64 v[8:9], 4, v[7:8]
	v_add_nc_u32_e32 v7, s9, v7
	v_add_co_u32 v23, vcc_lo, s8, v8
	v_add_co_ci_u32_e64 v24, null, s14, v9, vcc_lo
	v_ashrrev_i32_e32 v8, 31, v7
	flat_load_dwordx4 v[1:4], v[23:24]
	s_waitcnt vmcnt(0) lgkmcnt(0)
	buffer_store_dword v4, off, s[0:3], 0 offset:300
	buffer_store_dword v3, off, s[0:3], 0 offset:296
	buffer_store_dword v2, off, s[0:3], 0 offset:292
	buffer_store_dword v1, off, s[0:3], 0 offset:288
	v_lshlrev_b64 v[8:9], 4, v[7:8]
	v_add_nc_u32_e32 v7, s9, v7
	v_add_co_u32 v21, vcc_lo, s8, v8
	v_add_co_ci_u32_e64 v22, null, s14, v9, vcc_lo
	v_ashrrev_i32_e32 v8, 31, v7
	flat_load_dwordx4 v[1:4], v[21:22]
	s_waitcnt vmcnt(0) lgkmcnt(0)
	buffer_store_dword v4, off, s[0:3], 0 offset:316
	buffer_store_dword v3, off, s[0:3], 0 offset:312
	buffer_store_dword v2, off, s[0:3], 0 offset:308
	buffer_store_dword v1, off, s[0:3], 0 offset:304
	v_lshlrev_b64 v[8:9], 4, v[7:8]
	v_add_nc_u32_e32 v7, s9, v7
	v_add_co_u32 v19, vcc_lo, s8, v8
	v_add_co_ci_u32_e64 v20, null, s14, v9, vcc_lo
	v_ashrrev_i32_e32 v8, 31, v7
	flat_load_dwordx4 v[1:4], v[19:20]
	s_waitcnt vmcnt(0) lgkmcnt(0)
	buffer_store_dword v4, off, s[0:3], 0 offset:332
	buffer_store_dword v3, off, s[0:3], 0 offset:328
	buffer_store_dword v2, off, s[0:3], 0 offset:324
	buffer_store_dword v1, off, s[0:3], 0 offset:320
	v_lshlrev_b64 v[8:9], 4, v[7:8]
	v_add_nc_u32_e32 v7, s9, v7
	v_add_co_u32 v17, vcc_lo, s8, v8
	v_add_co_ci_u32_e64 v18, null, s14, v9, vcc_lo
	v_ashrrev_i32_e32 v8, 31, v7
	flat_load_dwordx4 v[1:4], v[17:18]
	s_waitcnt vmcnt(0) lgkmcnt(0)
	buffer_store_dword v4, off, s[0:3], 0 offset:348
	buffer_store_dword v3, off, s[0:3], 0 offset:344
	buffer_store_dword v2, off, s[0:3], 0 offset:340
	buffer_store_dword v1, off, s[0:3], 0 offset:336
	v_lshlrev_b64 v[8:9], 4, v[7:8]
	v_add_nc_u32_e32 v7, s9, v7
	v_add_co_u32 v15, vcc_lo, s8, v8
	v_add_co_ci_u32_e64 v16, null, s14, v9, vcc_lo
	v_ashrrev_i32_e32 v8, 31, v7
	flat_load_dwordx4 v[1:4], v[15:16]
	s_waitcnt vmcnt(0) lgkmcnt(0)
	buffer_store_dword v4, off, s[0:3], 0 offset:364
	buffer_store_dword v3, off, s[0:3], 0 offset:360
	buffer_store_dword v2, off, s[0:3], 0 offset:356
	buffer_store_dword v1, off, s[0:3], 0 offset:352
	v_lshlrev_b64 v[8:9], 4, v[7:8]
	v_add_nc_u32_e32 v7, s9, v7
	v_add_co_u32 v13, vcc_lo, s8, v8
	v_add_co_ci_u32_e64 v14, null, s14, v9, vcc_lo
	v_ashrrev_i32_e32 v8, 31, v7
	flat_load_dwordx4 v[1:4], v[13:14]
	s_waitcnt vmcnt(0) lgkmcnt(0)
	buffer_store_dword v4, off, s[0:3], 0 offset:380
	buffer_store_dword v3, off, s[0:3], 0 offset:376
	buffer_store_dword v2, off, s[0:3], 0 offset:372
	buffer_store_dword v1, off, s[0:3], 0 offset:368
	v_lshlrev_b64 v[8:9], 4, v[7:8]
	v_add_nc_u32_e32 v7, s9, v7
	v_add_co_u32 v11, vcc_lo, s8, v8
	v_add_co_ci_u32_e64 v12, null, s14, v9, vcc_lo
	v_ashrrev_i32_e32 v8, 31, v7
	v_add_nc_u32_e32 v35, s9, v7
	flat_load_dwordx4 v[1:4], v[11:12]
	s_waitcnt vmcnt(0) lgkmcnt(0)
	buffer_store_dword v4, off, s[0:3], 0 offset:396
	buffer_store_dword v3, off, s[0:3], 0 offset:392
	;; [unrolled: 1-line block ×4, first 2 shown]
	v_lshlrev_b64 v[9:10], 4, v[7:8]
	v_ashrrev_i32_e32 v36, 31, v35
	v_add_nc_u32_e32 v55, s9, v35
	v_add_co_u32 v9, vcc_lo, s8, v9
	v_add_co_ci_u32_e64 v10, null, s14, v10, vcc_lo
	v_lshlrev_b64 v[7:8], 4, v[35:36]
	v_ashrrev_i32_e32 v56, 31, v55
	v_add_nc_u32_e32 v61, s9, v55
	flat_load_dwordx4 v[1:4], v[9:10]
	s_waitcnt vmcnt(0) lgkmcnt(0)
	buffer_store_dword v4, off, s[0:3], 0 offset:412
	buffer_store_dword v3, off, s[0:3], 0 offset:408
	buffer_store_dword v2, off, s[0:3], 0 offset:404
	buffer_store_dword v1, off, s[0:3], 0 offset:400
	v_add_co_u32 v7, vcc_lo, s8, v7
	v_add_co_ci_u32_e64 v8, null, s14, v8, vcc_lo
	v_lshlrev_b64 v[35:36], 4, v[55:56]
	v_ashrrev_i32_e32 v62, 31, v61
	v_add_nc_u32_e32 v63, s9, v61
	flat_load_dwordx4 v[1:4], v[7:8]
	s_waitcnt vmcnt(0) lgkmcnt(0)
	buffer_store_dword v4, off, s[0:3], 0 offset:428
	buffer_store_dword v3, off, s[0:3], 0 offset:424
	buffer_store_dword v2, off, s[0:3], 0 offset:420
	buffer_store_dword v1, off, s[0:3], 0 offset:416
	;; [unrolled: 11-line block ×13, first 2 shown]
	v_add_co_u32 v79, vcc_lo, s8, v79
	v_add_co_ci_u32_e64 v80, null, s14, v80, vcc_lo
	v_lshlrev_b64 v[81:82], 4, v[83:84]
	v_ashrrev_i32_e32 v86, 31, v85
	flat_load_dwordx4 v[1:4], v[79:80]
	s_waitcnt vmcnt(0) lgkmcnt(0)
	buffer_store_dword v4, off, s[0:3], 0 offset:620
	buffer_store_dword v3, off, s[0:3], 0 offset:616
	;; [unrolled: 1-line block ×4, first 2 shown]
	v_add_co_u32 v81, vcc_lo, s8, v81
	v_add_co_ci_u32_e64 v82, null, s14, v82, vcc_lo
	v_lshlrev_b64 v[83:84], 4, v[85:86]
	v_add_nc_u32_e32 v85, s9, v85
	s_movk_i32 s9, 0x70
	flat_load_dwordx4 v[1:4], v[81:82]
	s_add_i32 s46, s9, 16
	s_add_i32 s9, s70, 16
	v_add_co_u32 v83, vcc_lo, s8, v83
	v_add_co_ci_u32_e64 v84, null, s14, v84, vcc_lo
	v_ashrrev_i32_e32 v86, 31, v85
	s_waitcnt vmcnt(0) lgkmcnt(0)
	buffer_store_dword v4, off, s[0:3], 0 offset:636
	buffer_store_dword v3, off, s[0:3], 0 offset:632
	;; [unrolled: 1-line block ×4, first 2 shown]
	flat_load_dwordx4 v[1:4], v[83:84]
	v_lshlrev_b64 v[85:86], 4, v[85:86]
	s_waitcnt vmcnt(0) lgkmcnt(0)
	buffer_store_dword v4, off, s[0:3], 0 offset:652
	buffer_store_dword v3, off, s[0:3], 0 offset:648
	buffer_store_dword v2, off, s[0:3], 0 offset:644
	buffer_store_dword v1, off, s[0:3], 0 offset:640
	v_add_co_u32 v85, vcc_lo, s8, v85
	v_add_co_ci_u32_e64 v86, null, s14, v86, vcc_lo
	s_movk_i32 s8, 0x60
	s_movk_i32 s14, 0x80
	s_add_i32 s47, s8, 16
	flat_load_dwordx4 v[1:4], v[85:86]
	s_add_i32 s45, s14, 16
	s_add_i32 s14, s69, 16
	;; [unrolled: 1-line block ×3, first 2 shown]
	s_bitcmp0_b32 s54, 0
	s_waitcnt vmcnt(0) lgkmcnt(0)
	buffer_store_dword v4, off, s[0:3], 0 offset:668
	buffer_store_dword v3, off, s[0:3], 0 offset:664
	buffer_store_dword v2, off, s[0:3], 0 offset:660
	buffer_store_dword v1, off, s[0:3], 0 offset:656
	s_cbranch_scc1 .LBB104_176
; %bb.4:
	v_cmp_eq_u32_e64 s4, 0, v0
	s_and_saveexec_b32 s5, s4
; %bb.5:
	v_mov_b32_e32 v1, 0
	ds_write_b32 v1, v1 offset:1312
; %bb.6:
	s_or_b32 exec_lo, exec_lo, s5
	v_lshl_add_u32 v94, v0, 4, 16
	s_waitcnt lgkmcnt(0)
	s_waitcnt_vscnt null, 0x0
	s_barrier
	buffer_gl0_inv
	s_clause 0x3
	buffer_load_dword v1, v94, s[0:3], 0 offen
	buffer_load_dword v2, v94, s[0:3], 0 offen offset:4
	buffer_load_dword v3, v94, s[0:3], 0 offen offset:8
	;; [unrolled: 1-line block ×3, first 2 shown]
	s_waitcnt vmcnt(2)
	v_cmp_eq_f64_e32 vcc_lo, 0, v[1:2]
	s_waitcnt vmcnt(0)
	v_cmp_eq_f64_e64 s5, 0, v[3:4]
	s_and_b32 s5, vcc_lo, s5
	s_and_saveexec_b32 s54, s5
	s_cbranch_execz .LBB104_10
; %bb.7:
	v_mov_b32_e32 v1, 0
	s_mov_b32 s55, 0
	ds_read_b32 v2, v1 offset:1312
	s_waitcnt lgkmcnt(0)
	v_readfirstlane_b32 s5, v2
	v_add_nc_u32_e32 v2, 1, v0
	s_cmp_eq_u32 s5, 0
	v_cmp_gt_i32_e32 vcc_lo, s5, v2
	s_cselect_b32 s56, -1, 0
	s_or_b32 s56, s56, vcc_lo
	s_and_b32 exec_lo, exec_lo, s56
	s_cbranch_execz .LBB104_10
; %bb.8:
	v_mov_b32_e32 v3, s5
.LBB104_9:                              ; =>This Inner Loop Header: Depth=1
	ds_cmpst_rtn_b32 v3, v1, v3, v2 offset:1312
	s_waitcnt lgkmcnt(0)
	v_cmp_ne_u32_e32 vcc_lo, 0, v3
	v_cmp_le_i32_e64 s5, v3, v2
	s_and_b32 s5, vcc_lo, s5
	s_and_b32 s5, exec_lo, s5
	s_or_b32 s55, s5, s55
	s_andn2_b32 exec_lo, exec_lo, s55
	s_cbranch_execnz .LBB104_9
.LBB104_10:
	s_or_b32 exec_lo, exec_lo, s54
	v_mov_b32_e32 v1, 0
	s_barrier
	buffer_gl0_inv
	ds_read_b32 v2, v1 offset:1312
	s_and_saveexec_b32 s5, s4
	s_cbranch_execz .LBB104_12
; %bb.11:
	s_lshl_b64 s[54:55], s[6:7], 2
	s_add_u32 s54, s10, s54
	s_addc_u32 s55, s11, s55
	s_waitcnt lgkmcnt(0)
	global_store_dword v1, v2, s[54:55]
.LBB104_12:
	s_or_b32 exec_lo, exec_lo, s5
	s_waitcnt lgkmcnt(0)
	v_cmp_ne_u32_e32 vcc_lo, 0, v2
	s_mov_b32 s5, 0
	s_cbranch_vccnz .LBB104_176
; %bb.13:
	s_clause 0x3
	buffer_load_dword v89, v94, s[0:3], 0 offen
	buffer_load_dword v90, v94, s[0:3], 0 offen offset:4
	buffer_load_dword v91, v94, s[0:3], 0 offen offset:8
	;; [unrolled: 1-line block ×3, first 2 shown]
                                        ; implicit-def: $vgpr87_vgpr88
                                        ; implicit-def: $vgpr3_vgpr4
	s_waitcnt vmcnt(0)
	v_cmp_ngt_f64_e64 s5, |v[89:90]|, |v[91:92]|
	s_and_saveexec_b32 s54, s5
	s_xor_b32 s5, exec_lo, s54
	s_cbranch_execz .LBB104_15
; %bb.14:
	v_div_scale_f64 v[1:2], null, v[91:92], v[91:92], v[89:90]
	v_div_scale_f64 v[95:96], vcc_lo, v[89:90], v[91:92], v[89:90]
	v_rcp_f64_e32 v[3:4], v[1:2]
	v_fma_f64 v[87:88], -v[1:2], v[3:4], 1.0
	v_fma_f64 v[3:4], v[3:4], v[87:88], v[3:4]
	v_fma_f64 v[87:88], -v[1:2], v[3:4], 1.0
	v_fma_f64 v[3:4], v[3:4], v[87:88], v[3:4]
	v_mul_f64 v[87:88], v[95:96], v[3:4]
	v_fma_f64 v[1:2], -v[1:2], v[87:88], v[95:96]
	v_div_fmas_f64 v[1:2], v[1:2], v[3:4], v[87:88]
	v_div_fixup_f64 v[1:2], v[1:2], v[91:92], v[89:90]
	v_fma_f64 v[3:4], v[89:90], v[1:2], v[91:92]
	v_div_scale_f64 v[87:88], null, v[3:4], v[3:4], 1.0
	v_div_scale_f64 v[95:96], vcc_lo, 1.0, v[3:4], 1.0
	v_rcp_f64_e32 v[89:90], v[87:88]
	v_fma_f64 v[91:92], -v[87:88], v[89:90], 1.0
	v_fma_f64 v[89:90], v[89:90], v[91:92], v[89:90]
	v_fma_f64 v[91:92], -v[87:88], v[89:90], 1.0
	v_fma_f64 v[89:90], v[89:90], v[91:92], v[89:90]
	v_mul_f64 v[91:92], v[95:96], v[89:90]
	v_fma_f64 v[87:88], -v[87:88], v[91:92], v[95:96]
	v_div_fmas_f64 v[87:88], v[87:88], v[89:90], v[91:92]
                                        ; implicit-def: $vgpr89_vgpr90
                                        ; implicit-def: $vgpr91_vgpr92
	v_div_fixup_f64 v[3:4], v[87:88], v[3:4], 1.0
	v_mul_f64 v[87:88], v[1:2], v[3:4]
	v_xor_b32_e32 v4, 0x80000000, v4
	v_xor_b32_e32 v2, 0x80000000, v88
	v_mov_b32_e32 v1, v87
.LBB104_15:
	s_andn2_saveexec_b32 s5, s5
	s_cbranch_execz .LBB104_17
; %bb.16:
	v_div_scale_f64 v[1:2], null, v[89:90], v[89:90], v[91:92]
	v_div_scale_f64 v[95:96], vcc_lo, v[91:92], v[89:90], v[91:92]
	v_rcp_f64_e32 v[3:4], v[1:2]
	v_fma_f64 v[87:88], -v[1:2], v[3:4], 1.0
	v_fma_f64 v[3:4], v[3:4], v[87:88], v[3:4]
	v_fma_f64 v[87:88], -v[1:2], v[3:4], 1.0
	v_fma_f64 v[3:4], v[3:4], v[87:88], v[3:4]
	v_mul_f64 v[87:88], v[95:96], v[3:4]
	v_fma_f64 v[1:2], -v[1:2], v[87:88], v[95:96]
	v_div_fmas_f64 v[1:2], v[1:2], v[3:4], v[87:88]
	v_div_fixup_f64 v[1:2], v[1:2], v[89:90], v[91:92]
	v_fma_f64 v[3:4], v[91:92], v[1:2], v[89:90]
	v_div_scale_f64 v[87:88], null, v[3:4], v[3:4], 1.0
	v_rcp_f64_e32 v[89:90], v[87:88]
	v_fma_f64 v[91:92], -v[87:88], v[89:90], 1.0
	v_fma_f64 v[89:90], v[89:90], v[91:92], v[89:90]
	v_fma_f64 v[91:92], -v[87:88], v[89:90], 1.0
	v_fma_f64 v[89:90], v[89:90], v[91:92], v[89:90]
	v_div_scale_f64 v[91:92], vcc_lo, 1.0, v[3:4], 1.0
	v_mul_f64 v[95:96], v[91:92], v[89:90]
	v_fma_f64 v[87:88], -v[87:88], v[95:96], v[91:92]
	v_div_fmas_f64 v[87:88], v[87:88], v[89:90], v[95:96]
	v_div_fixup_f64 v[87:88], v[87:88], v[3:4], 1.0
	v_mul_f64 v[3:4], v[1:2], -v[87:88]
	v_xor_b32_e32 v2, 0x80000000, v88
	v_mov_b32_e32 v1, v87
.LBB104_17:
	s_or_b32 exec_lo, exec_lo, s5
	v_mov_b32_e32 v92, s52
	buffer_store_dword v88, v94, s[0:3], 0 offen offset:4
	buffer_store_dword v87, v94, s[0:3], 0 offen
	buffer_store_dword v4, v94, s[0:3], 0 offen offset:12
	buffer_store_dword v3, v94, s[0:3], 0 offen offset:8
	v_xor_b32_e32 v4, 0x80000000, v4
	v_add_nc_u32_e32 v87, 0x290, v93
	s_clause 0x3
	buffer_load_dword v91, v92, s[0:3], 0 offen offset:12
	buffer_load_dword v90, v92, s[0:3], 0 offen offset:8
	;; [unrolled: 1-line block ×3, first 2 shown]
	buffer_load_dword v88, v92, s[0:3], 0 offen
	ds_write_b128 v93, v[1:4]
	s_waitcnt vmcnt(0)
	ds_write_b128 v93, v[88:91] offset:656
	s_waitcnt lgkmcnt(0)
	s_waitcnt_vscnt null, 0x0
	s_barrier
	buffer_gl0_inv
	s_and_saveexec_b32 s5, s4
	s_cbranch_execz .LBB104_19
; %bb.18:
	s_clause 0x3
	buffer_load_dword v95, v94, s[0:3], 0 offen offset:8
	buffer_load_dword v96, v94, s[0:3], 0 offen offset:12
	buffer_load_dword v97, v94, s[0:3], 0 offen
	buffer_load_dword v98, v94, s[0:3], 0 offen offset:4
	ds_read_b128 v[1:4], v87
	v_mov_b32_e32 v88, 0
	ds_read_b128 v[88:91], v88 offset:16
	s_waitcnt vmcnt(2) lgkmcnt(1)
	v_mul_f64 v[99:100], v[1:2], v[95:96]
	v_mul_f64 v[95:96], v[3:4], v[95:96]
	s_waitcnt vmcnt(0)
	v_fma_f64 v[3:4], v[3:4], v[97:98], v[99:100]
	v_fma_f64 v[1:2], v[1:2], v[97:98], -v[95:96]
	v_add_f64 v[3:4], v[3:4], 0
	v_add_f64 v[1:2], v[1:2], 0
	s_waitcnt lgkmcnt(0)
	v_mul_f64 v[95:96], v[3:4], v[90:91]
	v_mul_f64 v[90:91], v[1:2], v[90:91]
	v_fma_f64 v[1:2], v[1:2], v[88:89], -v[95:96]
	v_fma_f64 v[3:4], v[3:4], v[88:89], v[90:91]
	buffer_store_dword v1, off, s[0:3], 0 offset:32
	buffer_store_dword v2, off, s[0:3], 0 offset:36
	;; [unrolled: 1-line block ×4, first 2 shown]
.LBB104_19:
	s_or_b32 exec_lo, exec_lo, s5
	v_mov_b32_e32 v4, s51
	s_waitcnt_vscnt null, 0x0
	s_barrier
	buffer_gl0_inv
	s_mov_b32 s5, exec_lo
	s_clause 0x3
	buffer_load_dword v1, v4, s[0:3], 0 offen
	buffer_load_dword v2, v4, s[0:3], 0 offen offset:4
	buffer_load_dword v3, v4, s[0:3], 0 offen offset:8
	;; [unrolled: 1-line block ×3, first 2 shown]
	s_waitcnt vmcnt(0)
	ds_write_b128 v87, v[1:4]
	s_waitcnt lgkmcnt(0)
	s_barrier
	buffer_gl0_inv
	v_cmpx_gt_u32_e32 2, v0
	s_cbranch_execz .LBB104_23
; %bb.20:
	s_clause 0x3
	buffer_load_dword v88, v94, s[0:3], 0 offen offset:8
	buffer_load_dword v89, v94, s[0:3], 0 offen offset:12
	buffer_load_dword v90, v94, s[0:3], 0 offen
	buffer_load_dword v91, v94, s[0:3], 0 offen offset:4
	ds_read_b128 v[1:4], v87
	s_waitcnt vmcnt(2) lgkmcnt(0)
	v_mul_f64 v[94:95], v[3:4], v[88:89]
	v_mul_f64 v[88:89], v[1:2], v[88:89]
	s_waitcnt vmcnt(0)
	v_fma_f64 v[1:2], v[1:2], v[90:91], -v[94:95]
	v_fma_f64 v[3:4], v[3:4], v[90:91], v[88:89]
	v_add_f64 v[1:2], v[1:2], 0
	v_add_f64 v[3:4], v[3:4], 0
	s_and_saveexec_b32 s54, s4
	s_cbranch_execz .LBB104_22
; %bb.21:
	s_clause 0x3
	buffer_load_dword v94, off, s[0:3], 0 offset:40
	buffer_load_dword v95, off, s[0:3], 0 offset:44
	buffer_load_dword v96, off, s[0:3], 0 offset:32
	buffer_load_dword v97, off, s[0:3], 0 offset:36
	v_mov_b32_e32 v88, 0
	ds_read_b128 v[88:91], v88 offset:672
	s_waitcnt vmcnt(2) lgkmcnt(0)
	v_mul_f64 v[98:99], v[88:89], v[94:95]
	v_mul_f64 v[94:95], v[90:91], v[94:95]
	s_waitcnt vmcnt(0)
	v_fma_f64 v[90:91], v[90:91], v[96:97], v[98:99]
	v_fma_f64 v[88:89], v[88:89], v[96:97], -v[94:95]
	v_add_f64 v[3:4], v[3:4], v[90:91]
	v_add_f64 v[1:2], v[1:2], v[88:89]
.LBB104_22:
	s_or_b32 exec_lo, exec_lo, s54
	v_mov_b32_e32 v88, 0
	ds_read_b128 v[88:91], v88 offset:32
	s_waitcnt lgkmcnt(0)
	v_mul_f64 v[94:95], v[3:4], v[90:91]
	v_mul_f64 v[90:91], v[1:2], v[90:91]
	v_fma_f64 v[1:2], v[1:2], v[88:89], -v[94:95]
	v_fma_f64 v[3:4], v[3:4], v[88:89], v[90:91]
	buffer_store_dword v2, off, s[0:3], 0 offset:52
	buffer_store_dword v1, off, s[0:3], 0 offset:48
	;; [unrolled: 1-line block ×4, first 2 shown]
.LBB104_23:
	s_or_b32 exec_lo, exec_lo, s5
	v_mov_b32_e32 v4, s50
	s_waitcnt_vscnt null, 0x0
	s_barrier
	buffer_gl0_inv
	v_add_nc_u32_e32 v88, -1, v0
	s_clause 0x3
	buffer_load_dword v1, v4, s[0:3], 0 offen
	buffer_load_dword v2, v4, s[0:3], 0 offen offset:4
	buffer_load_dword v3, v4, s[0:3], 0 offen offset:8
	;; [unrolled: 1-line block ×3, first 2 shown]
	s_mov_b32 s4, exec_lo
	s_waitcnt vmcnt(0)
	ds_write_b128 v87, v[1:4]
	s_waitcnt lgkmcnt(0)
	s_barrier
	buffer_gl0_inv
	v_cmpx_gt_u32_e32 3, v0
	s_cbranch_execz .LBB104_27
; %bb.24:
	v_mov_b32_e32 v1, 0
	v_mov_b32_e32 v3, 0
	v_add_nc_u32_e32 v89, -1, v0
	v_add_nc_u32_e32 v90, 0x290, v93
	v_mov_b32_e32 v2, 0
	v_mov_b32_e32 v4, 0
	v_add_nc_u32_e32 v91, 16, v93
	s_mov_b32 s5, 0
	.p2align	6
.LBB104_25:                             ; =>This Inner Loop Header: Depth=1
	s_clause 0x3
	buffer_load_dword v98, v91, s[0:3], 0 offen offset:8
	buffer_load_dword v99, v91, s[0:3], 0 offen offset:12
	buffer_load_dword v100, v91, s[0:3], 0 offen
	buffer_load_dword v101, v91, s[0:3], 0 offen offset:4
	ds_read_b128 v[94:97], v90
	v_add_nc_u32_e32 v89, 1, v89
	v_add_nc_u32_e32 v90, 16, v90
	;; [unrolled: 1-line block ×3, first 2 shown]
	v_cmp_lt_u32_e32 vcc_lo, 1, v89
	s_or_b32 s5, vcc_lo, s5
	s_waitcnt vmcnt(2) lgkmcnt(0)
	v_mul_f64 v[102:103], v[96:97], v[98:99]
	v_mul_f64 v[98:99], v[94:95], v[98:99]
	s_waitcnt vmcnt(0)
	v_fma_f64 v[94:95], v[94:95], v[100:101], -v[102:103]
	v_fma_f64 v[96:97], v[96:97], v[100:101], v[98:99]
	v_add_f64 v[3:4], v[3:4], v[94:95]
	v_add_f64 v[1:2], v[1:2], v[96:97]
	s_andn2_b32 exec_lo, exec_lo, s5
	s_cbranch_execnz .LBB104_25
; %bb.26:
	s_or_b32 exec_lo, exec_lo, s5
	v_mov_b32_e32 v89, 0
	ds_read_b128 v[89:92], v89 offset:48
	s_waitcnt lgkmcnt(0)
	v_mul_f64 v[94:95], v[1:2], v[91:92]
	v_mul_f64 v[91:92], v[3:4], v[91:92]
	v_fma_f64 v[3:4], v[3:4], v[89:90], -v[94:95]
	v_fma_f64 v[1:2], v[1:2], v[89:90], v[91:92]
	buffer_store_dword v4, off, s[0:3], 0 offset:68
	buffer_store_dword v3, off, s[0:3], 0 offset:64
	;; [unrolled: 1-line block ×4, first 2 shown]
.LBB104_27:
	s_or_b32 exec_lo, exec_lo, s4
	v_mov_b32_e32 v4, s49
	s_waitcnt_vscnt null, 0x0
	s_barrier
	buffer_gl0_inv
	s_mov_b32 s4, exec_lo
	s_clause 0x3
	buffer_load_dword v1, v4, s[0:3], 0 offen
	buffer_load_dword v2, v4, s[0:3], 0 offen offset:4
	buffer_load_dword v3, v4, s[0:3], 0 offen offset:8
	;; [unrolled: 1-line block ×3, first 2 shown]
	s_waitcnt vmcnt(0)
	ds_write_b128 v87, v[1:4]
	s_waitcnt lgkmcnt(0)
	s_barrier
	buffer_gl0_inv
	v_cmpx_gt_u32_e32 4, v0
	s_cbranch_execz .LBB104_31
; %bb.28:
	v_mov_b32_e32 v1, 0
	v_mov_b32_e32 v3, 0
	v_add_nc_u32_e32 v89, -1, v0
	v_add_nc_u32_e32 v90, 0x290, v93
	v_mov_b32_e32 v2, 0
	v_mov_b32_e32 v4, 0
	v_add_nc_u32_e32 v91, 16, v93
	s_mov_b32 s5, 0
	.p2align	6
.LBB104_29:                             ; =>This Inner Loop Header: Depth=1
	s_clause 0x3
	buffer_load_dword v98, v91, s[0:3], 0 offen offset:8
	buffer_load_dword v99, v91, s[0:3], 0 offen offset:12
	buffer_load_dword v100, v91, s[0:3], 0 offen
	buffer_load_dword v101, v91, s[0:3], 0 offen offset:4
	ds_read_b128 v[94:97], v90
	v_add_nc_u32_e32 v89, 1, v89
	v_add_nc_u32_e32 v90, 16, v90
	v_add_nc_u32_e32 v91, 16, v91
	v_cmp_lt_u32_e32 vcc_lo, 2, v89
	s_or_b32 s5, vcc_lo, s5
	s_waitcnt vmcnt(2) lgkmcnt(0)
	v_mul_f64 v[102:103], v[96:97], v[98:99]
	v_mul_f64 v[98:99], v[94:95], v[98:99]
	s_waitcnt vmcnt(0)
	v_fma_f64 v[94:95], v[94:95], v[100:101], -v[102:103]
	v_fma_f64 v[96:97], v[96:97], v[100:101], v[98:99]
	v_add_f64 v[3:4], v[3:4], v[94:95]
	v_add_f64 v[1:2], v[1:2], v[96:97]
	s_andn2_b32 exec_lo, exec_lo, s5
	s_cbranch_execnz .LBB104_29
; %bb.30:
	s_or_b32 exec_lo, exec_lo, s5
	v_mov_b32_e32 v89, 0
	ds_read_b128 v[89:92], v89 offset:64
	s_waitcnt lgkmcnt(0)
	v_mul_f64 v[94:95], v[1:2], v[91:92]
	v_mul_f64 v[91:92], v[3:4], v[91:92]
	v_fma_f64 v[3:4], v[3:4], v[89:90], -v[94:95]
	v_fma_f64 v[1:2], v[1:2], v[89:90], v[91:92]
	buffer_store_dword v4, off, s[0:3], 0 offset:84
	buffer_store_dword v3, off, s[0:3], 0 offset:80
	;; [unrolled: 1-line block ×4, first 2 shown]
.LBB104_31:
	s_or_b32 exec_lo, exec_lo, s4
	v_mov_b32_e32 v4, s48
	s_waitcnt_vscnt null, 0x0
	s_barrier
	buffer_gl0_inv
	s_mov_b32 s4, exec_lo
	s_clause 0x3
	buffer_load_dword v1, v4, s[0:3], 0 offen
	buffer_load_dword v2, v4, s[0:3], 0 offen offset:4
	buffer_load_dword v3, v4, s[0:3], 0 offen offset:8
	;; [unrolled: 1-line block ×3, first 2 shown]
	s_waitcnt vmcnt(0)
	ds_write_b128 v87, v[1:4]
	s_waitcnt lgkmcnt(0)
	s_barrier
	buffer_gl0_inv
	v_cmpx_gt_u32_e32 5, v0
	s_cbranch_execz .LBB104_35
; %bb.32:
	v_mov_b32_e32 v1, 0
	v_mov_b32_e32 v3, 0
	v_add_nc_u32_e32 v89, -1, v0
	v_add_nc_u32_e32 v90, 0x290, v93
	v_mov_b32_e32 v2, 0
	v_mov_b32_e32 v4, 0
	v_add_nc_u32_e32 v91, 16, v93
	s_mov_b32 s5, 0
	.p2align	6
.LBB104_33:                             ; =>This Inner Loop Header: Depth=1
	s_clause 0x3
	buffer_load_dword v98, v91, s[0:3], 0 offen offset:8
	buffer_load_dword v99, v91, s[0:3], 0 offen offset:12
	buffer_load_dword v100, v91, s[0:3], 0 offen
	buffer_load_dword v101, v91, s[0:3], 0 offen offset:4
	ds_read_b128 v[94:97], v90
	v_add_nc_u32_e32 v89, 1, v89
	v_add_nc_u32_e32 v90, 16, v90
	;; [unrolled: 1-line block ×3, first 2 shown]
	v_cmp_lt_u32_e32 vcc_lo, 3, v89
	s_or_b32 s5, vcc_lo, s5
	s_waitcnt vmcnt(2) lgkmcnt(0)
	v_mul_f64 v[102:103], v[96:97], v[98:99]
	v_mul_f64 v[98:99], v[94:95], v[98:99]
	s_waitcnt vmcnt(0)
	v_fma_f64 v[94:95], v[94:95], v[100:101], -v[102:103]
	v_fma_f64 v[96:97], v[96:97], v[100:101], v[98:99]
	v_add_f64 v[3:4], v[3:4], v[94:95]
	v_add_f64 v[1:2], v[1:2], v[96:97]
	s_andn2_b32 exec_lo, exec_lo, s5
	s_cbranch_execnz .LBB104_33
; %bb.34:
	s_or_b32 exec_lo, exec_lo, s5
	v_mov_b32_e32 v89, 0
	ds_read_b128 v[89:92], v89 offset:80
	s_waitcnt lgkmcnt(0)
	v_mul_f64 v[94:95], v[1:2], v[91:92]
	v_mul_f64 v[91:92], v[3:4], v[91:92]
	v_fma_f64 v[3:4], v[3:4], v[89:90], -v[94:95]
	v_fma_f64 v[1:2], v[1:2], v[89:90], v[91:92]
	buffer_store_dword v4, off, s[0:3], 0 offset:100
	buffer_store_dword v3, off, s[0:3], 0 offset:96
	;; [unrolled: 1-line block ×4, first 2 shown]
.LBB104_35:
	s_or_b32 exec_lo, exec_lo, s4
	v_mov_b32_e32 v4, s47
	s_waitcnt_vscnt null, 0x0
	s_barrier
	buffer_gl0_inv
	s_mov_b32 s4, exec_lo
	s_clause 0x3
	buffer_load_dword v1, v4, s[0:3], 0 offen
	buffer_load_dword v2, v4, s[0:3], 0 offen offset:4
	buffer_load_dword v3, v4, s[0:3], 0 offen offset:8
	;; [unrolled: 1-line block ×3, first 2 shown]
	s_waitcnt vmcnt(0)
	ds_write_b128 v87, v[1:4]
	s_waitcnt lgkmcnt(0)
	s_barrier
	buffer_gl0_inv
	v_cmpx_gt_u32_e32 6, v0
	s_cbranch_execz .LBB104_39
; %bb.36:
	v_mov_b32_e32 v1, 0
	v_mov_b32_e32 v3, 0
	v_add_nc_u32_e32 v89, -1, v0
	v_add_nc_u32_e32 v90, 0x290, v93
	v_mov_b32_e32 v2, 0
	v_mov_b32_e32 v4, 0
	v_add_nc_u32_e32 v91, 16, v93
	s_mov_b32 s5, 0
	.p2align	6
.LBB104_37:                             ; =>This Inner Loop Header: Depth=1
	s_clause 0x3
	buffer_load_dword v98, v91, s[0:3], 0 offen offset:8
	buffer_load_dword v99, v91, s[0:3], 0 offen offset:12
	buffer_load_dword v100, v91, s[0:3], 0 offen
	buffer_load_dword v101, v91, s[0:3], 0 offen offset:4
	ds_read_b128 v[94:97], v90
	v_add_nc_u32_e32 v89, 1, v89
	v_add_nc_u32_e32 v90, 16, v90
	;; [unrolled: 1-line block ×3, first 2 shown]
	v_cmp_lt_u32_e32 vcc_lo, 4, v89
	s_or_b32 s5, vcc_lo, s5
	s_waitcnt vmcnt(2) lgkmcnt(0)
	v_mul_f64 v[102:103], v[96:97], v[98:99]
	v_mul_f64 v[98:99], v[94:95], v[98:99]
	s_waitcnt vmcnt(0)
	v_fma_f64 v[94:95], v[94:95], v[100:101], -v[102:103]
	v_fma_f64 v[96:97], v[96:97], v[100:101], v[98:99]
	v_add_f64 v[3:4], v[3:4], v[94:95]
	v_add_f64 v[1:2], v[1:2], v[96:97]
	s_andn2_b32 exec_lo, exec_lo, s5
	s_cbranch_execnz .LBB104_37
; %bb.38:
	s_or_b32 exec_lo, exec_lo, s5
	v_mov_b32_e32 v89, 0
	ds_read_b128 v[89:92], v89 offset:96
	s_waitcnt lgkmcnt(0)
	v_mul_f64 v[94:95], v[1:2], v[91:92]
	v_mul_f64 v[91:92], v[3:4], v[91:92]
	v_fma_f64 v[3:4], v[3:4], v[89:90], -v[94:95]
	v_fma_f64 v[1:2], v[1:2], v[89:90], v[91:92]
	buffer_store_dword v4, off, s[0:3], 0 offset:116
	buffer_store_dword v3, off, s[0:3], 0 offset:112
	;; [unrolled: 1-line block ×4, first 2 shown]
.LBB104_39:
	s_or_b32 exec_lo, exec_lo, s4
	v_mov_b32_e32 v4, s46
	s_waitcnt_vscnt null, 0x0
	s_barrier
	buffer_gl0_inv
	s_mov_b32 s4, exec_lo
	s_clause 0x3
	buffer_load_dword v1, v4, s[0:3], 0 offen
	buffer_load_dword v2, v4, s[0:3], 0 offen offset:4
	buffer_load_dword v3, v4, s[0:3], 0 offen offset:8
	;; [unrolled: 1-line block ×3, first 2 shown]
	s_waitcnt vmcnt(0)
	ds_write_b128 v87, v[1:4]
	s_waitcnt lgkmcnt(0)
	s_barrier
	buffer_gl0_inv
	v_cmpx_gt_u32_e32 7, v0
	s_cbranch_execz .LBB104_43
; %bb.40:
	v_mov_b32_e32 v1, 0
	v_mov_b32_e32 v3, 0
	v_add_nc_u32_e32 v89, -1, v0
	v_add_nc_u32_e32 v90, 0x290, v93
	v_mov_b32_e32 v2, 0
	v_mov_b32_e32 v4, 0
	v_add_nc_u32_e32 v91, 16, v93
	s_mov_b32 s5, 0
	.p2align	6
.LBB104_41:                             ; =>This Inner Loop Header: Depth=1
	s_clause 0x3
	buffer_load_dword v98, v91, s[0:3], 0 offen offset:8
	buffer_load_dword v99, v91, s[0:3], 0 offen offset:12
	buffer_load_dword v100, v91, s[0:3], 0 offen
	buffer_load_dword v101, v91, s[0:3], 0 offen offset:4
	ds_read_b128 v[94:97], v90
	v_add_nc_u32_e32 v89, 1, v89
	v_add_nc_u32_e32 v90, 16, v90
	;; [unrolled: 1-line block ×3, first 2 shown]
	v_cmp_lt_u32_e32 vcc_lo, 5, v89
	s_or_b32 s5, vcc_lo, s5
	s_waitcnt vmcnt(2) lgkmcnt(0)
	v_mul_f64 v[102:103], v[96:97], v[98:99]
	v_mul_f64 v[98:99], v[94:95], v[98:99]
	s_waitcnt vmcnt(0)
	v_fma_f64 v[94:95], v[94:95], v[100:101], -v[102:103]
	v_fma_f64 v[96:97], v[96:97], v[100:101], v[98:99]
	v_add_f64 v[3:4], v[3:4], v[94:95]
	v_add_f64 v[1:2], v[1:2], v[96:97]
	s_andn2_b32 exec_lo, exec_lo, s5
	s_cbranch_execnz .LBB104_41
; %bb.42:
	s_or_b32 exec_lo, exec_lo, s5
	v_mov_b32_e32 v89, 0
	ds_read_b128 v[89:92], v89 offset:112
	s_waitcnt lgkmcnt(0)
	v_mul_f64 v[94:95], v[1:2], v[91:92]
	v_mul_f64 v[91:92], v[3:4], v[91:92]
	v_fma_f64 v[3:4], v[3:4], v[89:90], -v[94:95]
	v_fma_f64 v[1:2], v[1:2], v[89:90], v[91:92]
	buffer_store_dword v4, off, s[0:3], 0 offset:132
	buffer_store_dword v3, off, s[0:3], 0 offset:128
	;; [unrolled: 1-line block ×4, first 2 shown]
.LBB104_43:
	s_or_b32 exec_lo, exec_lo, s4
	v_mov_b32_e32 v4, s45
	s_waitcnt_vscnt null, 0x0
	s_barrier
	buffer_gl0_inv
	s_mov_b32 s4, exec_lo
	s_clause 0x3
	buffer_load_dword v1, v4, s[0:3], 0 offen
	buffer_load_dword v2, v4, s[0:3], 0 offen offset:4
	buffer_load_dword v3, v4, s[0:3], 0 offen offset:8
	;; [unrolled: 1-line block ×3, first 2 shown]
	s_waitcnt vmcnt(0)
	ds_write_b128 v87, v[1:4]
	s_waitcnt lgkmcnt(0)
	s_barrier
	buffer_gl0_inv
	v_cmpx_gt_u32_e32 8, v0
	s_cbranch_execz .LBB104_47
; %bb.44:
	v_mov_b32_e32 v1, 0
	v_mov_b32_e32 v3, 0
	v_add_nc_u32_e32 v89, -1, v0
	v_add_nc_u32_e32 v90, 0x290, v93
	v_mov_b32_e32 v2, 0
	v_mov_b32_e32 v4, 0
	v_add_nc_u32_e32 v91, 16, v93
	s_mov_b32 s5, 0
	.p2align	6
.LBB104_45:                             ; =>This Inner Loop Header: Depth=1
	s_clause 0x3
	buffer_load_dword v98, v91, s[0:3], 0 offen offset:8
	buffer_load_dword v99, v91, s[0:3], 0 offen offset:12
	buffer_load_dword v100, v91, s[0:3], 0 offen
	buffer_load_dword v101, v91, s[0:3], 0 offen offset:4
	ds_read_b128 v[94:97], v90
	v_add_nc_u32_e32 v89, 1, v89
	v_add_nc_u32_e32 v90, 16, v90
	;; [unrolled: 1-line block ×3, first 2 shown]
	v_cmp_lt_u32_e32 vcc_lo, 6, v89
	s_or_b32 s5, vcc_lo, s5
	s_waitcnt vmcnt(2) lgkmcnt(0)
	v_mul_f64 v[102:103], v[96:97], v[98:99]
	v_mul_f64 v[98:99], v[94:95], v[98:99]
	s_waitcnt vmcnt(0)
	v_fma_f64 v[94:95], v[94:95], v[100:101], -v[102:103]
	v_fma_f64 v[96:97], v[96:97], v[100:101], v[98:99]
	v_add_f64 v[3:4], v[3:4], v[94:95]
	v_add_f64 v[1:2], v[1:2], v[96:97]
	s_andn2_b32 exec_lo, exec_lo, s5
	s_cbranch_execnz .LBB104_45
; %bb.46:
	s_or_b32 exec_lo, exec_lo, s5
	v_mov_b32_e32 v89, 0
	ds_read_b128 v[89:92], v89 offset:128
	s_waitcnt lgkmcnt(0)
	v_mul_f64 v[94:95], v[1:2], v[91:92]
	v_mul_f64 v[91:92], v[3:4], v[91:92]
	v_fma_f64 v[3:4], v[3:4], v[89:90], -v[94:95]
	v_fma_f64 v[1:2], v[1:2], v[89:90], v[91:92]
	buffer_store_dword v4, off, s[0:3], 0 offset:148
	buffer_store_dword v3, off, s[0:3], 0 offset:144
	;; [unrolled: 1-line block ×4, first 2 shown]
.LBB104_47:
	s_or_b32 exec_lo, exec_lo, s4
	v_mov_b32_e32 v4, s44
	s_waitcnt_vscnt null, 0x0
	s_barrier
	buffer_gl0_inv
	s_mov_b32 s4, exec_lo
	s_clause 0x3
	buffer_load_dword v1, v4, s[0:3], 0 offen
	buffer_load_dword v2, v4, s[0:3], 0 offen offset:4
	buffer_load_dword v3, v4, s[0:3], 0 offen offset:8
	;; [unrolled: 1-line block ×3, first 2 shown]
	s_waitcnt vmcnt(0)
	ds_write_b128 v87, v[1:4]
	s_waitcnt lgkmcnt(0)
	s_barrier
	buffer_gl0_inv
	v_cmpx_gt_u32_e32 9, v0
	s_cbranch_execz .LBB104_51
; %bb.48:
	v_mov_b32_e32 v1, 0
	v_mov_b32_e32 v3, 0
	v_add_nc_u32_e32 v89, -1, v0
	v_add_nc_u32_e32 v90, 0x290, v93
	v_mov_b32_e32 v2, 0
	v_mov_b32_e32 v4, 0
	v_add_nc_u32_e32 v91, 16, v93
	s_mov_b32 s5, 0
	.p2align	6
.LBB104_49:                             ; =>This Inner Loop Header: Depth=1
	s_clause 0x3
	buffer_load_dword v98, v91, s[0:3], 0 offen offset:8
	buffer_load_dword v99, v91, s[0:3], 0 offen offset:12
	buffer_load_dword v100, v91, s[0:3], 0 offen
	buffer_load_dword v101, v91, s[0:3], 0 offen offset:4
	ds_read_b128 v[94:97], v90
	v_add_nc_u32_e32 v89, 1, v89
	v_add_nc_u32_e32 v90, 16, v90
	;; [unrolled: 1-line block ×3, first 2 shown]
	v_cmp_lt_u32_e32 vcc_lo, 7, v89
	s_or_b32 s5, vcc_lo, s5
	s_waitcnt vmcnt(2) lgkmcnt(0)
	v_mul_f64 v[102:103], v[96:97], v[98:99]
	v_mul_f64 v[98:99], v[94:95], v[98:99]
	s_waitcnt vmcnt(0)
	v_fma_f64 v[94:95], v[94:95], v[100:101], -v[102:103]
	v_fma_f64 v[96:97], v[96:97], v[100:101], v[98:99]
	v_add_f64 v[3:4], v[3:4], v[94:95]
	v_add_f64 v[1:2], v[1:2], v[96:97]
	s_andn2_b32 exec_lo, exec_lo, s5
	s_cbranch_execnz .LBB104_49
; %bb.50:
	s_or_b32 exec_lo, exec_lo, s5
	v_mov_b32_e32 v89, 0
	ds_read_b128 v[89:92], v89 offset:144
	s_waitcnt lgkmcnt(0)
	v_mul_f64 v[94:95], v[1:2], v[91:92]
	v_mul_f64 v[91:92], v[3:4], v[91:92]
	v_fma_f64 v[3:4], v[3:4], v[89:90], -v[94:95]
	v_fma_f64 v[1:2], v[1:2], v[89:90], v[91:92]
	buffer_store_dword v4, off, s[0:3], 0 offset:164
	buffer_store_dword v3, off, s[0:3], 0 offset:160
	;; [unrolled: 1-line block ×4, first 2 shown]
.LBB104_51:
	s_or_b32 exec_lo, exec_lo, s4
	v_mov_b32_e32 v4, s43
	s_waitcnt_vscnt null, 0x0
	s_barrier
	buffer_gl0_inv
	s_mov_b32 s4, exec_lo
	s_clause 0x3
	buffer_load_dword v1, v4, s[0:3], 0 offen
	buffer_load_dword v2, v4, s[0:3], 0 offen offset:4
	buffer_load_dword v3, v4, s[0:3], 0 offen offset:8
	;; [unrolled: 1-line block ×3, first 2 shown]
	s_waitcnt vmcnt(0)
	ds_write_b128 v87, v[1:4]
	s_waitcnt lgkmcnt(0)
	s_barrier
	buffer_gl0_inv
	v_cmpx_gt_u32_e32 10, v0
	s_cbranch_execz .LBB104_55
; %bb.52:
	v_mov_b32_e32 v1, 0
	v_mov_b32_e32 v3, 0
	v_add_nc_u32_e32 v89, -1, v0
	v_add_nc_u32_e32 v90, 0x290, v93
	v_mov_b32_e32 v2, 0
	v_mov_b32_e32 v4, 0
	v_add_nc_u32_e32 v91, 16, v93
	s_mov_b32 s5, 0
	.p2align	6
.LBB104_53:                             ; =>This Inner Loop Header: Depth=1
	s_clause 0x3
	buffer_load_dword v98, v91, s[0:3], 0 offen offset:8
	buffer_load_dword v99, v91, s[0:3], 0 offen offset:12
	buffer_load_dword v100, v91, s[0:3], 0 offen
	buffer_load_dword v101, v91, s[0:3], 0 offen offset:4
	ds_read_b128 v[94:97], v90
	v_add_nc_u32_e32 v89, 1, v89
	v_add_nc_u32_e32 v90, 16, v90
	;; [unrolled: 1-line block ×3, first 2 shown]
	v_cmp_lt_u32_e32 vcc_lo, 8, v89
	s_or_b32 s5, vcc_lo, s5
	s_waitcnt vmcnt(2) lgkmcnt(0)
	v_mul_f64 v[102:103], v[96:97], v[98:99]
	v_mul_f64 v[98:99], v[94:95], v[98:99]
	s_waitcnt vmcnt(0)
	v_fma_f64 v[94:95], v[94:95], v[100:101], -v[102:103]
	v_fma_f64 v[96:97], v[96:97], v[100:101], v[98:99]
	v_add_f64 v[3:4], v[3:4], v[94:95]
	v_add_f64 v[1:2], v[1:2], v[96:97]
	s_andn2_b32 exec_lo, exec_lo, s5
	s_cbranch_execnz .LBB104_53
; %bb.54:
	s_or_b32 exec_lo, exec_lo, s5
	v_mov_b32_e32 v89, 0
	ds_read_b128 v[89:92], v89 offset:160
	s_waitcnt lgkmcnt(0)
	v_mul_f64 v[94:95], v[1:2], v[91:92]
	v_mul_f64 v[91:92], v[3:4], v[91:92]
	v_fma_f64 v[3:4], v[3:4], v[89:90], -v[94:95]
	v_fma_f64 v[1:2], v[1:2], v[89:90], v[91:92]
	buffer_store_dword v4, off, s[0:3], 0 offset:180
	buffer_store_dword v3, off, s[0:3], 0 offset:176
	;; [unrolled: 1-line block ×4, first 2 shown]
.LBB104_55:
	s_or_b32 exec_lo, exec_lo, s4
	v_mov_b32_e32 v4, s42
	s_waitcnt_vscnt null, 0x0
	s_barrier
	buffer_gl0_inv
	s_mov_b32 s4, exec_lo
	s_clause 0x3
	buffer_load_dword v1, v4, s[0:3], 0 offen
	buffer_load_dword v2, v4, s[0:3], 0 offen offset:4
	buffer_load_dword v3, v4, s[0:3], 0 offen offset:8
	;; [unrolled: 1-line block ×3, first 2 shown]
	s_waitcnt vmcnt(0)
	ds_write_b128 v87, v[1:4]
	s_waitcnt lgkmcnt(0)
	s_barrier
	buffer_gl0_inv
	v_cmpx_gt_u32_e32 11, v0
	s_cbranch_execz .LBB104_59
; %bb.56:
	v_mov_b32_e32 v1, 0
	v_mov_b32_e32 v3, 0
	v_add_nc_u32_e32 v89, -1, v0
	v_add_nc_u32_e32 v90, 0x290, v93
	v_mov_b32_e32 v2, 0
	v_mov_b32_e32 v4, 0
	v_add_nc_u32_e32 v91, 16, v93
	s_mov_b32 s5, 0
	.p2align	6
.LBB104_57:                             ; =>This Inner Loop Header: Depth=1
	s_clause 0x3
	buffer_load_dword v98, v91, s[0:3], 0 offen offset:8
	buffer_load_dword v99, v91, s[0:3], 0 offen offset:12
	buffer_load_dword v100, v91, s[0:3], 0 offen
	buffer_load_dword v101, v91, s[0:3], 0 offen offset:4
	ds_read_b128 v[94:97], v90
	v_add_nc_u32_e32 v89, 1, v89
	v_add_nc_u32_e32 v90, 16, v90
	;; [unrolled: 1-line block ×3, first 2 shown]
	v_cmp_lt_u32_e32 vcc_lo, 9, v89
	s_or_b32 s5, vcc_lo, s5
	s_waitcnt vmcnt(2) lgkmcnt(0)
	v_mul_f64 v[102:103], v[96:97], v[98:99]
	v_mul_f64 v[98:99], v[94:95], v[98:99]
	s_waitcnt vmcnt(0)
	v_fma_f64 v[94:95], v[94:95], v[100:101], -v[102:103]
	v_fma_f64 v[96:97], v[96:97], v[100:101], v[98:99]
	v_add_f64 v[3:4], v[3:4], v[94:95]
	v_add_f64 v[1:2], v[1:2], v[96:97]
	s_andn2_b32 exec_lo, exec_lo, s5
	s_cbranch_execnz .LBB104_57
; %bb.58:
	s_or_b32 exec_lo, exec_lo, s5
	v_mov_b32_e32 v89, 0
	ds_read_b128 v[89:92], v89 offset:176
	s_waitcnt lgkmcnt(0)
	v_mul_f64 v[94:95], v[1:2], v[91:92]
	v_mul_f64 v[91:92], v[3:4], v[91:92]
	v_fma_f64 v[3:4], v[3:4], v[89:90], -v[94:95]
	v_fma_f64 v[1:2], v[1:2], v[89:90], v[91:92]
	buffer_store_dword v4, off, s[0:3], 0 offset:196
	buffer_store_dword v3, off, s[0:3], 0 offset:192
	;; [unrolled: 1-line block ×4, first 2 shown]
.LBB104_59:
	s_or_b32 exec_lo, exec_lo, s4
	v_mov_b32_e32 v4, s41
	s_waitcnt_vscnt null, 0x0
	s_barrier
	buffer_gl0_inv
	s_mov_b32 s4, exec_lo
	s_clause 0x3
	buffer_load_dword v1, v4, s[0:3], 0 offen
	buffer_load_dword v2, v4, s[0:3], 0 offen offset:4
	buffer_load_dword v3, v4, s[0:3], 0 offen offset:8
	;; [unrolled: 1-line block ×3, first 2 shown]
	s_waitcnt vmcnt(0)
	ds_write_b128 v87, v[1:4]
	s_waitcnt lgkmcnt(0)
	s_barrier
	buffer_gl0_inv
	v_cmpx_gt_u32_e32 12, v0
	s_cbranch_execz .LBB104_63
; %bb.60:
	v_mov_b32_e32 v1, 0
	v_mov_b32_e32 v3, 0
	v_add_nc_u32_e32 v89, -1, v0
	v_add_nc_u32_e32 v90, 0x290, v93
	v_mov_b32_e32 v2, 0
	v_mov_b32_e32 v4, 0
	v_add_nc_u32_e32 v91, 16, v93
	s_mov_b32 s5, 0
	.p2align	6
.LBB104_61:                             ; =>This Inner Loop Header: Depth=1
	s_clause 0x3
	buffer_load_dword v98, v91, s[0:3], 0 offen offset:8
	buffer_load_dword v99, v91, s[0:3], 0 offen offset:12
	buffer_load_dword v100, v91, s[0:3], 0 offen
	buffer_load_dword v101, v91, s[0:3], 0 offen offset:4
	ds_read_b128 v[94:97], v90
	v_add_nc_u32_e32 v89, 1, v89
	v_add_nc_u32_e32 v90, 16, v90
	;; [unrolled: 1-line block ×3, first 2 shown]
	v_cmp_lt_u32_e32 vcc_lo, 10, v89
	s_or_b32 s5, vcc_lo, s5
	s_waitcnt vmcnt(2) lgkmcnt(0)
	v_mul_f64 v[102:103], v[96:97], v[98:99]
	v_mul_f64 v[98:99], v[94:95], v[98:99]
	s_waitcnt vmcnt(0)
	v_fma_f64 v[94:95], v[94:95], v[100:101], -v[102:103]
	v_fma_f64 v[96:97], v[96:97], v[100:101], v[98:99]
	v_add_f64 v[3:4], v[3:4], v[94:95]
	v_add_f64 v[1:2], v[1:2], v[96:97]
	s_andn2_b32 exec_lo, exec_lo, s5
	s_cbranch_execnz .LBB104_61
; %bb.62:
	s_or_b32 exec_lo, exec_lo, s5
	v_mov_b32_e32 v89, 0
	ds_read_b128 v[89:92], v89 offset:192
	s_waitcnt lgkmcnt(0)
	v_mul_f64 v[94:95], v[1:2], v[91:92]
	v_mul_f64 v[91:92], v[3:4], v[91:92]
	v_fma_f64 v[3:4], v[3:4], v[89:90], -v[94:95]
	v_fma_f64 v[1:2], v[1:2], v[89:90], v[91:92]
	buffer_store_dword v4, off, s[0:3], 0 offset:212
	buffer_store_dword v3, off, s[0:3], 0 offset:208
	buffer_store_dword v2, off, s[0:3], 0 offset:220
	buffer_store_dword v1, off, s[0:3], 0 offset:216
.LBB104_63:
	s_or_b32 exec_lo, exec_lo, s4
	v_mov_b32_e32 v4, s40
	s_waitcnt_vscnt null, 0x0
	s_barrier
	buffer_gl0_inv
	s_mov_b32 s4, exec_lo
	s_clause 0x3
	buffer_load_dword v1, v4, s[0:3], 0 offen
	buffer_load_dword v2, v4, s[0:3], 0 offen offset:4
	buffer_load_dword v3, v4, s[0:3], 0 offen offset:8
	;; [unrolled: 1-line block ×3, first 2 shown]
	s_waitcnt vmcnt(0)
	ds_write_b128 v87, v[1:4]
	s_waitcnt lgkmcnt(0)
	s_barrier
	buffer_gl0_inv
	v_cmpx_gt_u32_e32 13, v0
	s_cbranch_execz .LBB104_67
; %bb.64:
	v_mov_b32_e32 v1, 0
	v_mov_b32_e32 v3, 0
	v_add_nc_u32_e32 v89, -1, v0
	v_add_nc_u32_e32 v90, 0x290, v93
	v_mov_b32_e32 v2, 0
	v_mov_b32_e32 v4, 0
	v_add_nc_u32_e32 v91, 16, v93
	s_mov_b32 s5, 0
	.p2align	6
.LBB104_65:                             ; =>This Inner Loop Header: Depth=1
	s_clause 0x3
	buffer_load_dword v98, v91, s[0:3], 0 offen offset:8
	buffer_load_dword v99, v91, s[0:3], 0 offen offset:12
	buffer_load_dword v100, v91, s[0:3], 0 offen
	buffer_load_dword v101, v91, s[0:3], 0 offen offset:4
	ds_read_b128 v[94:97], v90
	v_add_nc_u32_e32 v89, 1, v89
	v_add_nc_u32_e32 v90, 16, v90
	;; [unrolled: 1-line block ×3, first 2 shown]
	v_cmp_lt_u32_e32 vcc_lo, 11, v89
	s_or_b32 s5, vcc_lo, s5
	s_waitcnt vmcnt(2) lgkmcnt(0)
	v_mul_f64 v[102:103], v[96:97], v[98:99]
	v_mul_f64 v[98:99], v[94:95], v[98:99]
	s_waitcnt vmcnt(0)
	v_fma_f64 v[94:95], v[94:95], v[100:101], -v[102:103]
	v_fma_f64 v[96:97], v[96:97], v[100:101], v[98:99]
	v_add_f64 v[3:4], v[3:4], v[94:95]
	v_add_f64 v[1:2], v[1:2], v[96:97]
	s_andn2_b32 exec_lo, exec_lo, s5
	s_cbranch_execnz .LBB104_65
; %bb.66:
	s_or_b32 exec_lo, exec_lo, s5
	v_mov_b32_e32 v89, 0
	ds_read_b128 v[89:92], v89 offset:208
	s_waitcnt lgkmcnt(0)
	v_mul_f64 v[94:95], v[1:2], v[91:92]
	v_mul_f64 v[91:92], v[3:4], v[91:92]
	v_fma_f64 v[3:4], v[3:4], v[89:90], -v[94:95]
	v_fma_f64 v[1:2], v[1:2], v[89:90], v[91:92]
	buffer_store_dword v4, off, s[0:3], 0 offset:228
	buffer_store_dword v3, off, s[0:3], 0 offset:224
	buffer_store_dword v2, off, s[0:3], 0 offset:236
	buffer_store_dword v1, off, s[0:3], 0 offset:232
.LBB104_67:
	s_or_b32 exec_lo, exec_lo, s4
	v_mov_b32_e32 v4, s39
	s_waitcnt_vscnt null, 0x0
	s_barrier
	buffer_gl0_inv
	s_mov_b32 s4, exec_lo
	s_clause 0x3
	buffer_load_dword v1, v4, s[0:3], 0 offen
	buffer_load_dword v2, v4, s[0:3], 0 offen offset:4
	buffer_load_dword v3, v4, s[0:3], 0 offen offset:8
	buffer_load_dword v4, v4, s[0:3], 0 offen offset:12
	s_waitcnt vmcnt(0)
	ds_write_b128 v87, v[1:4]
	s_waitcnt lgkmcnt(0)
	s_barrier
	buffer_gl0_inv
	v_cmpx_gt_u32_e32 14, v0
	s_cbranch_execz .LBB104_71
; %bb.68:
	v_mov_b32_e32 v1, 0
	v_mov_b32_e32 v3, 0
	v_add_nc_u32_e32 v89, -1, v0
	v_add_nc_u32_e32 v90, 0x290, v93
	v_mov_b32_e32 v2, 0
	v_mov_b32_e32 v4, 0
	v_add_nc_u32_e32 v91, 16, v93
	s_mov_b32 s5, 0
	.p2align	6
.LBB104_69:                             ; =>This Inner Loop Header: Depth=1
	s_clause 0x3
	buffer_load_dword v98, v91, s[0:3], 0 offen offset:8
	buffer_load_dword v99, v91, s[0:3], 0 offen offset:12
	buffer_load_dword v100, v91, s[0:3], 0 offen
	buffer_load_dword v101, v91, s[0:3], 0 offen offset:4
	ds_read_b128 v[94:97], v90
	v_add_nc_u32_e32 v89, 1, v89
	v_add_nc_u32_e32 v90, 16, v90
	v_add_nc_u32_e32 v91, 16, v91
	v_cmp_lt_u32_e32 vcc_lo, 12, v89
	s_or_b32 s5, vcc_lo, s5
	s_waitcnt vmcnt(2) lgkmcnt(0)
	v_mul_f64 v[102:103], v[96:97], v[98:99]
	v_mul_f64 v[98:99], v[94:95], v[98:99]
	s_waitcnt vmcnt(0)
	v_fma_f64 v[94:95], v[94:95], v[100:101], -v[102:103]
	v_fma_f64 v[96:97], v[96:97], v[100:101], v[98:99]
	v_add_f64 v[3:4], v[3:4], v[94:95]
	v_add_f64 v[1:2], v[1:2], v[96:97]
	s_andn2_b32 exec_lo, exec_lo, s5
	s_cbranch_execnz .LBB104_69
; %bb.70:
	s_or_b32 exec_lo, exec_lo, s5
	v_mov_b32_e32 v89, 0
	ds_read_b128 v[89:92], v89 offset:224
	s_waitcnt lgkmcnt(0)
	v_mul_f64 v[94:95], v[1:2], v[91:92]
	v_mul_f64 v[91:92], v[3:4], v[91:92]
	v_fma_f64 v[3:4], v[3:4], v[89:90], -v[94:95]
	v_fma_f64 v[1:2], v[1:2], v[89:90], v[91:92]
	buffer_store_dword v4, off, s[0:3], 0 offset:244
	buffer_store_dword v3, off, s[0:3], 0 offset:240
	;; [unrolled: 1-line block ×4, first 2 shown]
.LBB104_71:
	s_or_b32 exec_lo, exec_lo, s4
	v_mov_b32_e32 v4, s38
	s_waitcnt_vscnt null, 0x0
	s_barrier
	buffer_gl0_inv
	s_mov_b32 s4, exec_lo
	s_clause 0x3
	buffer_load_dword v1, v4, s[0:3], 0 offen
	buffer_load_dword v2, v4, s[0:3], 0 offen offset:4
	buffer_load_dword v3, v4, s[0:3], 0 offen offset:8
	;; [unrolled: 1-line block ×3, first 2 shown]
	s_waitcnt vmcnt(0)
	ds_write_b128 v87, v[1:4]
	s_waitcnt lgkmcnt(0)
	s_barrier
	buffer_gl0_inv
	v_cmpx_gt_u32_e32 15, v0
	s_cbranch_execz .LBB104_75
; %bb.72:
	v_mov_b32_e32 v1, 0
	v_mov_b32_e32 v3, 0
	v_add_nc_u32_e32 v89, -1, v0
	v_add_nc_u32_e32 v90, 0x290, v93
	v_mov_b32_e32 v2, 0
	v_mov_b32_e32 v4, 0
	v_add_nc_u32_e32 v91, 16, v93
	s_mov_b32 s5, 0
	.p2align	6
.LBB104_73:                             ; =>This Inner Loop Header: Depth=1
	s_clause 0x3
	buffer_load_dword v98, v91, s[0:3], 0 offen offset:8
	buffer_load_dword v99, v91, s[0:3], 0 offen offset:12
	buffer_load_dword v100, v91, s[0:3], 0 offen
	buffer_load_dword v101, v91, s[0:3], 0 offen offset:4
	ds_read_b128 v[94:97], v90
	v_add_nc_u32_e32 v89, 1, v89
	v_add_nc_u32_e32 v90, 16, v90
	;; [unrolled: 1-line block ×3, first 2 shown]
	v_cmp_lt_u32_e32 vcc_lo, 13, v89
	s_or_b32 s5, vcc_lo, s5
	s_waitcnt vmcnt(2) lgkmcnt(0)
	v_mul_f64 v[102:103], v[96:97], v[98:99]
	v_mul_f64 v[98:99], v[94:95], v[98:99]
	s_waitcnt vmcnt(0)
	v_fma_f64 v[94:95], v[94:95], v[100:101], -v[102:103]
	v_fma_f64 v[96:97], v[96:97], v[100:101], v[98:99]
	v_add_f64 v[3:4], v[3:4], v[94:95]
	v_add_f64 v[1:2], v[1:2], v[96:97]
	s_andn2_b32 exec_lo, exec_lo, s5
	s_cbranch_execnz .LBB104_73
; %bb.74:
	s_or_b32 exec_lo, exec_lo, s5
	v_mov_b32_e32 v89, 0
	ds_read_b128 v[89:92], v89 offset:240
	s_waitcnt lgkmcnt(0)
	v_mul_f64 v[94:95], v[1:2], v[91:92]
	v_mul_f64 v[91:92], v[3:4], v[91:92]
	v_fma_f64 v[3:4], v[3:4], v[89:90], -v[94:95]
	v_fma_f64 v[1:2], v[1:2], v[89:90], v[91:92]
	buffer_store_dword v4, off, s[0:3], 0 offset:260
	buffer_store_dword v3, off, s[0:3], 0 offset:256
	;; [unrolled: 1-line block ×4, first 2 shown]
.LBB104_75:
	s_or_b32 exec_lo, exec_lo, s4
	v_mov_b32_e32 v4, s37
	s_waitcnt_vscnt null, 0x0
	s_barrier
	buffer_gl0_inv
	s_mov_b32 s4, exec_lo
	s_clause 0x3
	buffer_load_dword v1, v4, s[0:3], 0 offen
	buffer_load_dword v2, v4, s[0:3], 0 offen offset:4
	buffer_load_dword v3, v4, s[0:3], 0 offen offset:8
	;; [unrolled: 1-line block ×3, first 2 shown]
	s_waitcnt vmcnt(0)
	ds_write_b128 v87, v[1:4]
	s_waitcnt lgkmcnt(0)
	s_barrier
	buffer_gl0_inv
	v_cmpx_gt_u32_e32 16, v0
	s_cbranch_execz .LBB104_79
; %bb.76:
	v_mov_b32_e32 v1, 0
	v_mov_b32_e32 v3, 0
	v_add_nc_u32_e32 v89, -1, v0
	v_add_nc_u32_e32 v90, 0x290, v93
	v_mov_b32_e32 v2, 0
	v_mov_b32_e32 v4, 0
	v_add_nc_u32_e32 v91, 16, v93
	s_mov_b32 s5, 0
	.p2align	6
.LBB104_77:                             ; =>This Inner Loop Header: Depth=1
	s_clause 0x3
	buffer_load_dword v98, v91, s[0:3], 0 offen offset:8
	buffer_load_dword v99, v91, s[0:3], 0 offen offset:12
	buffer_load_dword v100, v91, s[0:3], 0 offen
	buffer_load_dword v101, v91, s[0:3], 0 offen offset:4
	ds_read_b128 v[94:97], v90
	v_add_nc_u32_e32 v89, 1, v89
	v_add_nc_u32_e32 v90, 16, v90
	;; [unrolled: 1-line block ×3, first 2 shown]
	v_cmp_lt_u32_e32 vcc_lo, 14, v89
	s_or_b32 s5, vcc_lo, s5
	s_waitcnt vmcnt(2) lgkmcnt(0)
	v_mul_f64 v[102:103], v[96:97], v[98:99]
	v_mul_f64 v[98:99], v[94:95], v[98:99]
	s_waitcnt vmcnt(0)
	v_fma_f64 v[94:95], v[94:95], v[100:101], -v[102:103]
	v_fma_f64 v[96:97], v[96:97], v[100:101], v[98:99]
	v_add_f64 v[3:4], v[3:4], v[94:95]
	v_add_f64 v[1:2], v[1:2], v[96:97]
	s_andn2_b32 exec_lo, exec_lo, s5
	s_cbranch_execnz .LBB104_77
; %bb.78:
	s_or_b32 exec_lo, exec_lo, s5
	v_mov_b32_e32 v89, 0
	ds_read_b128 v[89:92], v89 offset:256
	s_waitcnt lgkmcnt(0)
	v_mul_f64 v[94:95], v[1:2], v[91:92]
	v_mul_f64 v[91:92], v[3:4], v[91:92]
	v_fma_f64 v[3:4], v[3:4], v[89:90], -v[94:95]
	v_fma_f64 v[1:2], v[1:2], v[89:90], v[91:92]
	buffer_store_dword v4, off, s[0:3], 0 offset:276
	buffer_store_dword v3, off, s[0:3], 0 offset:272
	buffer_store_dword v2, off, s[0:3], 0 offset:284
	buffer_store_dword v1, off, s[0:3], 0 offset:280
.LBB104_79:
	s_or_b32 exec_lo, exec_lo, s4
	v_mov_b32_e32 v4, s36
	s_waitcnt_vscnt null, 0x0
	s_barrier
	buffer_gl0_inv
	s_mov_b32 s4, exec_lo
	s_clause 0x3
	buffer_load_dword v1, v4, s[0:3], 0 offen
	buffer_load_dword v2, v4, s[0:3], 0 offen offset:4
	buffer_load_dword v3, v4, s[0:3], 0 offen offset:8
	;; [unrolled: 1-line block ×3, first 2 shown]
	s_waitcnt vmcnt(0)
	ds_write_b128 v87, v[1:4]
	s_waitcnt lgkmcnt(0)
	s_barrier
	buffer_gl0_inv
	v_cmpx_gt_u32_e32 17, v0
	s_cbranch_execz .LBB104_83
; %bb.80:
	v_mov_b32_e32 v1, 0
	v_mov_b32_e32 v3, 0
	v_add_nc_u32_e32 v89, -1, v0
	v_add_nc_u32_e32 v90, 0x290, v93
	v_mov_b32_e32 v2, 0
	v_mov_b32_e32 v4, 0
	v_add_nc_u32_e32 v91, 16, v93
	s_mov_b32 s5, 0
	.p2align	6
.LBB104_81:                             ; =>This Inner Loop Header: Depth=1
	s_clause 0x3
	buffer_load_dword v98, v91, s[0:3], 0 offen offset:8
	buffer_load_dword v99, v91, s[0:3], 0 offen offset:12
	buffer_load_dword v100, v91, s[0:3], 0 offen
	buffer_load_dword v101, v91, s[0:3], 0 offen offset:4
	ds_read_b128 v[94:97], v90
	v_add_nc_u32_e32 v89, 1, v89
	v_add_nc_u32_e32 v90, 16, v90
	;; [unrolled: 1-line block ×3, first 2 shown]
	v_cmp_lt_u32_e32 vcc_lo, 15, v89
	s_or_b32 s5, vcc_lo, s5
	s_waitcnt vmcnt(2) lgkmcnt(0)
	v_mul_f64 v[102:103], v[96:97], v[98:99]
	v_mul_f64 v[98:99], v[94:95], v[98:99]
	s_waitcnt vmcnt(0)
	v_fma_f64 v[94:95], v[94:95], v[100:101], -v[102:103]
	v_fma_f64 v[96:97], v[96:97], v[100:101], v[98:99]
	v_add_f64 v[3:4], v[3:4], v[94:95]
	v_add_f64 v[1:2], v[1:2], v[96:97]
	s_andn2_b32 exec_lo, exec_lo, s5
	s_cbranch_execnz .LBB104_81
; %bb.82:
	s_or_b32 exec_lo, exec_lo, s5
	v_mov_b32_e32 v89, 0
	ds_read_b128 v[89:92], v89 offset:272
	s_waitcnt lgkmcnt(0)
	v_mul_f64 v[94:95], v[1:2], v[91:92]
	v_mul_f64 v[91:92], v[3:4], v[91:92]
	v_fma_f64 v[3:4], v[3:4], v[89:90], -v[94:95]
	v_fma_f64 v[1:2], v[1:2], v[89:90], v[91:92]
	buffer_store_dword v4, off, s[0:3], 0 offset:292
	buffer_store_dword v3, off, s[0:3], 0 offset:288
	;; [unrolled: 1-line block ×4, first 2 shown]
.LBB104_83:
	s_or_b32 exec_lo, exec_lo, s4
	v_mov_b32_e32 v4, s35
	s_waitcnt_vscnt null, 0x0
	s_barrier
	buffer_gl0_inv
	s_mov_b32 s4, exec_lo
	s_clause 0x3
	buffer_load_dword v1, v4, s[0:3], 0 offen
	buffer_load_dword v2, v4, s[0:3], 0 offen offset:4
	buffer_load_dword v3, v4, s[0:3], 0 offen offset:8
	;; [unrolled: 1-line block ×3, first 2 shown]
	s_waitcnt vmcnt(0)
	ds_write_b128 v87, v[1:4]
	s_waitcnt lgkmcnt(0)
	s_barrier
	buffer_gl0_inv
	v_cmpx_gt_u32_e32 18, v0
	s_cbranch_execz .LBB104_87
; %bb.84:
	v_mov_b32_e32 v1, 0
	v_mov_b32_e32 v3, 0
	v_add_nc_u32_e32 v89, -1, v0
	v_add_nc_u32_e32 v90, 0x290, v93
	v_mov_b32_e32 v2, 0
	v_mov_b32_e32 v4, 0
	v_add_nc_u32_e32 v91, 16, v93
	s_mov_b32 s5, 0
	.p2align	6
.LBB104_85:                             ; =>This Inner Loop Header: Depth=1
	s_clause 0x3
	buffer_load_dword v98, v91, s[0:3], 0 offen offset:8
	buffer_load_dword v99, v91, s[0:3], 0 offen offset:12
	buffer_load_dword v100, v91, s[0:3], 0 offen
	buffer_load_dword v101, v91, s[0:3], 0 offen offset:4
	ds_read_b128 v[94:97], v90
	v_add_nc_u32_e32 v89, 1, v89
	v_add_nc_u32_e32 v90, 16, v90
	;; [unrolled: 1-line block ×3, first 2 shown]
	v_cmp_lt_u32_e32 vcc_lo, 16, v89
	s_or_b32 s5, vcc_lo, s5
	s_waitcnt vmcnt(2) lgkmcnt(0)
	v_mul_f64 v[102:103], v[96:97], v[98:99]
	v_mul_f64 v[98:99], v[94:95], v[98:99]
	s_waitcnt vmcnt(0)
	v_fma_f64 v[94:95], v[94:95], v[100:101], -v[102:103]
	v_fma_f64 v[96:97], v[96:97], v[100:101], v[98:99]
	v_add_f64 v[3:4], v[3:4], v[94:95]
	v_add_f64 v[1:2], v[1:2], v[96:97]
	s_andn2_b32 exec_lo, exec_lo, s5
	s_cbranch_execnz .LBB104_85
; %bb.86:
	s_or_b32 exec_lo, exec_lo, s5
	v_mov_b32_e32 v89, 0
	ds_read_b128 v[89:92], v89 offset:288
	s_waitcnt lgkmcnt(0)
	v_mul_f64 v[94:95], v[1:2], v[91:92]
	v_mul_f64 v[91:92], v[3:4], v[91:92]
	v_fma_f64 v[3:4], v[3:4], v[89:90], -v[94:95]
	v_fma_f64 v[1:2], v[1:2], v[89:90], v[91:92]
	buffer_store_dword v4, off, s[0:3], 0 offset:308
	buffer_store_dword v3, off, s[0:3], 0 offset:304
	;; [unrolled: 1-line block ×4, first 2 shown]
.LBB104_87:
	s_or_b32 exec_lo, exec_lo, s4
	v_mov_b32_e32 v4, s34
	s_waitcnt_vscnt null, 0x0
	s_barrier
	buffer_gl0_inv
	s_mov_b32 s4, exec_lo
	s_clause 0x3
	buffer_load_dword v1, v4, s[0:3], 0 offen
	buffer_load_dword v2, v4, s[0:3], 0 offen offset:4
	buffer_load_dword v3, v4, s[0:3], 0 offen offset:8
	;; [unrolled: 1-line block ×3, first 2 shown]
	s_waitcnt vmcnt(0)
	ds_write_b128 v87, v[1:4]
	s_waitcnt lgkmcnt(0)
	s_barrier
	buffer_gl0_inv
	v_cmpx_gt_u32_e32 19, v0
	s_cbranch_execz .LBB104_91
; %bb.88:
	v_mov_b32_e32 v1, 0
	v_mov_b32_e32 v3, 0
	v_add_nc_u32_e32 v89, -1, v0
	v_add_nc_u32_e32 v90, 0x290, v93
	v_mov_b32_e32 v2, 0
	v_mov_b32_e32 v4, 0
	v_add_nc_u32_e32 v91, 16, v93
	s_mov_b32 s5, 0
	.p2align	6
.LBB104_89:                             ; =>This Inner Loop Header: Depth=1
	s_clause 0x3
	buffer_load_dword v98, v91, s[0:3], 0 offen offset:8
	buffer_load_dword v99, v91, s[0:3], 0 offen offset:12
	buffer_load_dword v100, v91, s[0:3], 0 offen
	buffer_load_dword v101, v91, s[0:3], 0 offen offset:4
	ds_read_b128 v[94:97], v90
	v_add_nc_u32_e32 v89, 1, v89
	v_add_nc_u32_e32 v90, 16, v90
	;; [unrolled: 1-line block ×3, first 2 shown]
	v_cmp_lt_u32_e32 vcc_lo, 17, v89
	s_or_b32 s5, vcc_lo, s5
	s_waitcnt vmcnt(2) lgkmcnt(0)
	v_mul_f64 v[102:103], v[96:97], v[98:99]
	v_mul_f64 v[98:99], v[94:95], v[98:99]
	s_waitcnt vmcnt(0)
	v_fma_f64 v[94:95], v[94:95], v[100:101], -v[102:103]
	v_fma_f64 v[96:97], v[96:97], v[100:101], v[98:99]
	v_add_f64 v[3:4], v[3:4], v[94:95]
	v_add_f64 v[1:2], v[1:2], v[96:97]
	s_andn2_b32 exec_lo, exec_lo, s5
	s_cbranch_execnz .LBB104_89
; %bb.90:
	s_or_b32 exec_lo, exec_lo, s5
	v_mov_b32_e32 v89, 0
	ds_read_b128 v[89:92], v89 offset:304
	s_waitcnt lgkmcnt(0)
	v_mul_f64 v[94:95], v[1:2], v[91:92]
	v_mul_f64 v[91:92], v[3:4], v[91:92]
	v_fma_f64 v[3:4], v[3:4], v[89:90], -v[94:95]
	v_fma_f64 v[1:2], v[1:2], v[89:90], v[91:92]
	buffer_store_dword v4, off, s[0:3], 0 offset:324
	buffer_store_dword v3, off, s[0:3], 0 offset:320
	;; [unrolled: 1-line block ×4, first 2 shown]
.LBB104_91:
	s_or_b32 exec_lo, exec_lo, s4
	v_mov_b32_e32 v4, s33
	s_waitcnt_vscnt null, 0x0
	s_barrier
	buffer_gl0_inv
	s_mov_b32 s4, exec_lo
	s_clause 0x3
	buffer_load_dword v1, v4, s[0:3], 0 offen
	buffer_load_dword v2, v4, s[0:3], 0 offen offset:4
	buffer_load_dword v3, v4, s[0:3], 0 offen offset:8
	;; [unrolled: 1-line block ×3, first 2 shown]
	s_waitcnt vmcnt(0)
	ds_write_b128 v87, v[1:4]
	s_waitcnt lgkmcnt(0)
	s_barrier
	buffer_gl0_inv
	v_cmpx_gt_u32_e32 20, v0
	s_cbranch_execz .LBB104_95
; %bb.92:
	v_mov_b32_e32 v1, 0
	v_mov_b32_e32 v3, 0
	v_add_nc_u32_e32 v89, -1, v0
	v_add_nc_u32_e32 v90, 0x290, v93
	v_mov_b32_e32 v2, 0
	v_mov_b32_e32 v4, 0
	v_add_nc_u32_e32 v91, 16, v93
	s_mov_b32 s5, 0
	.p2align	6
.LBB104_93:                             ; =>This Inner Loop Header: Depth=1
	s_clause 0x3
	buffer_load_dword v98, v91, s[0:3], 0 offen offset:8
	buffer_load_dword v99, v91, s[0:3], 0 offen offset:12
	buffer_load_dword v100, v91, s[0:3], 0 offen
	buffer_load_dword v101, v91, s[0:3], 0 offen offset:4
	ds_read_b128 v[94:97], v90
	v_add_nc_u32_e32 v89, 1, v89
	v_add_nc_u32_e32 v90, 16, v90
	;; [unrolled: 1-line block ×3, first 2 shown]
	v_cmp_lt_u32_e32 vcc_lo, 18, v89
	s_or_b32 s5, vcc_lo, s5
	s_waitcnt vmcnt(2) lgkmcnt(0)
	v_mul_f64 v[102:103], v[96:97], v[98:99]
	v_mul_f64 v[98:99], v[94:95], v[98:99]
	s_waitcnt vmcnt(0)
	v_fma_f64 v[94:95], v[94:95], v[100:101], -v[102:103]
	v_fma_f64 v[96:97], v[96:97], v[100:101], v[98:99]
	v_add_f64 v[3:4], v[3:4], v[94:95]
	v_add_f64 v[1:2], v[1:2], v[96:97]
	s_andn2_b32 exec_lo, exec_lo, s5
	s_cbranch_execnz .LBB104_93
; %bb.94:
	s_or_b32 exec_lo, exec_lo, s5
	v_mov_b32_e32 v89, 0
	ds_read_b128 v[89:92], v89 offset:320
	s_waitcnt lgkmcnt(0)
	v_mul_f64 v[94:95], v[1:2], v[91:92]
	v_mul_f64 v[91:92], v[3:4], v[91:92]
	v_fma_f64 v[3:4], v[3:4], v[89:90], -v[94:95]
	v_fma_f64 v[1:2], v[1:2], v[89:90], v[91:92]
	buffer_store_dword v4, off, s[0:3], 0 offset:340
	buffer_store_dword v3, off, s[0:3], 0 offset:336
	buffer_store_dword v2, off, s[0:3], 0 offset:348
	buffer_store_dword v1, off, s[0:3], 0 offset:344
.LBB104_95:
	s_or_b32 exec_lo, exec_lo, s4
	v_mov_b32_e32 v4, s31
	s_waitcnt_vscnt null, 0x0
	s_barrier
	buffer_gl0_inv
	s_mov_b32 s4, exec_lo
	s_clause 0x3
	buffer_load_dword v1, v4, s[0:3], 0 offen
	buffer_load_dword v2, v4, s[0:3], 0 offen offset:4
	buffer_load_dword v3, v4, s[0:3], 0 offen offset:8
	;; [unrolled: 1-line block ×3, first 2 shown]
	s_waitcnt vmcnt(0)
	ds_write_b128 v87, v[1:4]
	s_waitcnt lgkmcnt(0)
	s_barrier
	buffer_gl0_inv
	v_cmpx_gt_u32_e32 21, v0
	s_cbranch_execz .LBB104_99
; %bb.96:
	v_mov_b32_e32 v1, 0
	v_mov_b32_e32 v3, 0
	v_add_nc_u32_e32 v89, -1, v0
	v_add_nc_u32_e32 v90, 0x290, v93
	v_mov_b32_e32 v2, 0
	v_mov_b32_e32 v4, 0
	v_add_nc_u32_e32 v91, 16, v93
	s_mov_b32 s5, 0
	.p2align	6
.LBB104_97:                             ; =>This Inner Loop Header: Depth=1
	s_clause 0x3
	buffer_load_dword v98, v91, s[0:3], 0 offen offset:8
	buffer_load_dword v99, v91, s[0:3], 0 offen offset:12
	buffer_load_dword v100, v91, s[0:3], 0 offen
	buffer_load_dword v101, v91, s[0:3], 0 offen offset:4
	ds_read_b128 v[94:97], v90
	v_add_nc_u32_e32 v89, 1, v89
	v_add_nc_u32_e32 v90, 16, v90
	;; [unrolled: 1-line block ×3, first 2 shown]
	v_cmp_lt_u32_e32 vcc_lo, 19, v89
	s_or_b32 s5, vcc_lo, s5
	s_waitcnt vmcnt(2) lgkmcnt(0)
	v_mul_f64 v[102:103], v[96:97], v[98:99]
	v_mul_f64 v[98:99], v[94:95], v[98:99]
	s_waitcnt vmcnt(0)
	v_fma_f64 v[94:95], v[94:95], v[100:101], -v[102:103]
	v_fma_f64 v[96:97], v[96:97], v[100:101], v[98:99]
	v_add_f64 v[3:4], v[3:4], v[94:95]
	v_add_f64 v[1:2], v[1:2], v[96:97]
	s_andn2_b32 exec_lo, exec_lo, s5
	s_cbranch_execnz .LBB104_97
; %bb.98:
	s_or_b32 exec_lo, exec_lo, s5
	v_mov_b32_e32 v89, 0
	ds_read_b128 v[89:92], v89 offset:336
	s_waitcnt lgkmcnt(0)
	v_mul_f64 v[94:95], v[1:2], v[91:92]
	v_mul_f64 v[91:92], v[3:4], v[91:92]
	v_fma_f64 v[3:4], v[3:4], v[89:90], -v[94:95]
	v_fma_f64 v[1:2], v[1:2], v[89:90], v[91:92]
	buffer_store_dword v4, off, s[0:3], 0 offset:356
	buffer_store_dword v3, off, s[0:3], 0 offset:352
	;; [unrolled: 1-line block ×4, first 2 shown]
.LBB104_99:
	s_or_b32 exec_lo, exec_lo, s4
	v_mov_b32_e32 v4, s30
	s_waitcnt_vscnt null, 0x0
	s_barrier
	buffer_gl0_inv
	s_mov_b32 s4, exec_lo
	s_clause 0x3
	buffer_load_dword v1, v4, s[0:3], 0 offen
	buffer_load_dword v2, v4, s[0:3], 0 offen offset:4
	buffer_load_dword v3, v4, s[0:3], 0 offen offset:8
	;; [unrolled: 1-line block ×3, first 2 shown]
	s_waitcnt vmcnt(0)
	ds_write_b128 v87, v[1:4]
	s_waitcnt lgkmcnt(0)
	s_barrier
	buffer_gl0_inv
	v_cmpx_gt_u32_e32 22, v0
	s_cbranch_execz .LBB104_103
; %bb.100:
	v_mov_b32_e32 v1, 0
	v_mov_b32_e32 v3, 0
	v_add_nc_u32_e32 v89, -1, v0
	v_add_nc_u32_e32 v90, 0x290, v93
	v_mov_b32_e32 v2, 0
	v_mov_b32_e32 v4, 0
	v_add_nc_u32_e32 v91, 16, v93
	s_mov_b32 s5, 0
	.p2align	6
.LBB104_101:                            ; =>This Inner Loop Header: Depth=1
	s_clause 0x3
	buffer_load_dword v98, v91, s[0:3], 0 offen offset:8
	buffer_load_dword v99, v91, s[0:3], 0 offen offset:12
	buffer_load_dword v100, v91, s[0:3], 0 offen
	buffer_load_dword v101, v91, s[0:3], 0 offen offset:4
	ds_read_b128 v[94:97], v90
	v_add_nc_u32_e32 v89, 1, v89
	v_add_nc_u32_e32 v90, 16, v90
	;; [unrolled: 1-line block ×3, first 2 shown]
	v_cmp_lt_u32_e32 vcc_lo, 20, v89
	s_or_b32 s5, vcc_lo, s5
	s_waitcnt vmcnt(2) lgkmcnt(0)
	v_mul_f64 v[102:103], v[96:97], v[98:99]
	v_mul_f64 v[98:99], v[94:95], v[98:99]
	s_waitcnt vmcnt(0)
	v_fma_f64 v[94:95], v[94:95], v[100:101], -v[102:103]
	v_fma_f64 v[96:97], v[96:97], v[100:101], v[98:99]
	v_add_f64 v[3:4], v[3:4], v[94:95]
	v_add_f64 v[1:2], v[1:2], v[96:97]
	s_andn2_b32 exec_lo, exec_lo, s5
	s_cbranch_execnz .LBB104_101
; %bb.102:
	s_or_b32 exec_lo, exec_lo, s5
	v_mov_b32_e32 v89, 0
	ds_read_b128 v[89:92], v89 offset:352
	s_waitcnt lgkmcnt(0)
	v_mul_f64 v[94:95], v[1:2], v[91:92]
	v_mul_f64 v[91:92], v[3:4], v[91:92]
	v_fma_f64 v[3:4], v[3:4], v[89:90], -v[94:95]
	v_fma_f64 v[1:2], v[1:2], v[89:90], v[91:92]
	buffer_store_dword v4, off, s[0:3], 0 offset:372
	buffer_store_dword v3, off, s[0:3], 0 offset:368
	;; [unrolled: 1-line block ×4, first 2 shown]
.LBB104_103:
	s_or_b32 exec_lo, exec_lo, s4
	v_mov_b32_e32 v4, s29
	s_waitcnt_vscnt null, 0x0
	s_barrier
	buffer_gl0_inv
	s_mov_b32 s4, exec_lo
	s_clause 0x3
	buffer_load_dword v1, v4, s[0:3], 0 offen
	buffer_load_dword v2, v4, s[0:3], 0 offen offset:4
	buffer_load_dword v3, v4, s[0:3], 0 offen offset:8
	;; [unrolled: 1-line block ×3, first 2 shown]
	s_waitcnt vmcnt(0)
	ds_write_b128 v87, v[1:4]
	s_waitcnt lgkmcnt(0)
	s_barrier
	buffer_gl0_inv
	v_cmpx_gt_u32_e32 23, v0
	s_cbranch_execz .LBB104_107
; %bb.104:
	v_mov_b32_e32 v1, 0
	v_mov_b32_e32 v3, 0
	v_add_nc_u32_e32 v89, -1, v0
	v_add_nc_u32_e32 v90, 0x290, v93
	v_mov_b32_e32 v2, 0
	v_mov_b32_e32 v4, 0
	v_add_nc_u32_e32 v91, 16, v93
	s_mov_b32 s5, 0
	.p2align	6
.LBB104_105:                            ; =>This Inner Loop Header: Depth=1
	s_clause 0x3
	buffer_load_dword v98, v91, s[0:3], 0 offen offset:8
	buffer_load_dword v99, v91, s[0:3], 0 offen offset:12
	buffer_load_dword v100, v91, s[0:3], 0 offen
	buffer_load_dword v101, v91, s[0:3], 0 offen offset:4
	ds_read_b128 v[94:97], v90
	v_add_nc_u32_e32 v89, 1, v89
	v_add_nc_u32_e32 v90, 16, v90
	;; [unrolled: 1-line block ×3, first 2 shown]
	v_cmp_lt_u32_e32 vcc_lo, 21, v89
	s_or_b32 s5, vcc_lo, s5
	s_waitcnt vmcnt(2) lgkmcnt(0)
	v_mul_f64 v[102:103], v[96:97], v[98:99]
	v_mul_f64 v[98:99], v[94:95], v[98:99]
	s_waitcnt vmcnt(0)
	v_fma_f64 v[94:95], v[94:95], v[100:101], -v[102:103]
	v_fma_f64 v[96:97], v[96:97], v[100:101], v[98:99]
	v_add_f64 v[3:4], v[3:4], v[94:95]
	v_add_f64 v[1:2], v[1:2], v[96:97]
	s_andn2_b32 exec_lo, exec_lo, s5
	s_cbranch_execnz .LBB104_105
; %bb.106:
	s_or_b32 exec_lo, exec_lo, s5
	v_mov_b32_e32 v89, 0
	ds_read_b128 v[89:92], v89 offset:368
	s_waitcnt lgkmcnt(0)
	v_mul_f64 v[94:95], v[1:2], v[91:92]
	v_mul_f64 v[91:92], v[3:4], v[91:92]
	v_fma_f64 v[3:4], v[3:4], v[89:90], -v[94:95]
	v_fma_f64 v[1:2], v[1:2], v[89:90], v[91:92]
	buffer_store_dword v4, off, s[0:3], 0 offset:388
	buffer_store_dword v3, off, s[0:3], 0 offset:384
	;; [unrolled: 1-line block ×4, first 2 shown]
.LBB104_107:
	s_or_b32 exec_lo, exec_lo, s4
	v_mov_b32_e32 v4, s28
	s_waitcnt_vscnt null, 0x0
	s_barrier
	buffer_gl0_inv
	s_mov_b32 s4, exec_lo
	s_clause 0x3
	buffer_load_dword v1, v4, s[0:3], 0 offen
	buffer_load_dword v2, v4, s[0:3], 0 offen offset:4
	buffer_load_dword v3, v4, s[0:3], 0 offen offset:8
	buffer_load_dword v4, v4, s[0:3], 0 offen offset:12
	s_waitcnt vmcnt(0)
	ds_write_b128 v87, v[1:4]
	s_waitcnt lgkmcnt(0)
	s_barrier
	buffer_gl0_inv
	v_cmpx_gt_u32_e32 24, v0
	s_cbranch_execz .LBB104_111
; %bb.108:
	v_mov_b32_e32 v1, 0
	v_mov_b32_e32 v3, 0
	v_add_nc_u32_e32 v89, -1, v0
	v_add_nc_u32_e32 v90, 0x290, v93
	v_mov_b32_e32 v2, 0
	v_mov_b32_e32 v4, 0
	v_add_nc_u32_e32 v91, 16, v93
	s_mov_b32 s5, 0
	.p2align	6
.LBB104_109:                            ; =>This Inner Loop Header: Depth=1
	s_clause 0x3
	buffer_load_dword v98, v91, s[0:3], 0 offen offset:8
	buffer_load_dword v99, v91, s[0:3], 0 offen offset:12
	buffer_load_dword v100, v91, s[0:3], 0 offen
	buffer_load_dword v101, v91, s[0:3], 0 offen offset:4
	ds_read_b128 v[94:97], v90
	v_add_nc_u32_e32 v89, 1, v89
	v_add_nc_u32_e32 v90, 16, v90
	;; [unrolled: 1-line block ×3, first 2 shown]
	v_cmp_lt_u32_e32 vcc_lo, 22, v89
	s_or_b32 s5, vcc_lo, s5
	s_waitcnt vmcnt(2) lgkmcnt(0)
	v_mul_f64 v[102:103], v[96:97], v[98:99]
	v_mul_f64 v[98:99], v[94:95], v[98:99]
	s_waitcnt vmcnt(0)
	v_fma_f64 v[94:95], v[94:95], v[100:101], -v[102:103]
	v_fma_f64 v[96:97], v[96:97], v[100:101], v[98:99]
	v_add_f64 v[3:4], v[3:4], v[94:95]
	v_add_f64 v[1:2], v[1:2], v[96:97]
	s_andn2_b32 exec_lo, exec_lo, s5
	s_cbranch_execnz .LBB104_109
; %bb.110:
	s_or_b32 exec_lo, exec_lo, s5
	v_mov_b32_e32 v89, 0
	ds_read_b128 v[89:92], v89 offset:384
	s_waitcnt lgkmcnt(0)
	v_mul_f64 v[94:95], v[1:2], v[91:92]
	v_mul_f64 v[91:92], v[3:4], v[91:92]
	v_fma_f64 v[3:4], v[3:4], v[89:90], -v[94:95]
	v_fma_f64 v[1:2], v[1:2], v[89:90], v[91:92]
	buffer_store_dword v4, off, s[0:3], 0 offset:404
	buffer_store_dword v3, off, s[0:3], 0 offset:400
	;; [unrolled: 1-line block ×4, first 2 shown]
.LBB104_111:
	s_or_b32 exec_lo, exec_lo, s4
	v_mov_b32_e32 v4, s27
	s_waitcnt_vscnt null, 0x0
	s_barrier
	buffer_gl0_inv
	s_mov_b32 s4, exec_lo
	s_clause 0x3
	buffer_load_dword v1, v4, s[0:3], 0 offen
	buffer_load_dword v2, v4, s[0:3], 0 offen offset:4
	buffer_load_dword v3, v4, s[0:3], 0 offen offset:8
	;; [unrolled: 1-line block ×3, first 2 shown]
	s_waitcnt vmcnt(0)
	ds_write_b128 v87, v[1:4]
	s_waitcnt lgkmcnt(0)
	s_barrier
	buffer_gl0_inv
	v_cmpx_gt_u32_e32 25, v0
	s_cbranch_execz .LBB104_115
; %bb.112:
	v_mov_b32_e32 v1, 0
	v_mov_b32_e32 v3, 0
	v_add_nc_u32_e32 v89, -1, v0
	v_add_nc_u32_e32 v90, 0x290, v93
	v_mov_b32_e32 v2, 0
	v_mov_b32_e32 v4, 0
	v_add_nc_u32_e32 v91, 16, v93
	s_mov_b32 s5, 0
	.p2align	6
.LBB104_113:                            ; =>This Inner Loop Header: Depth=1
	s_clause 0x3
	buffer_load_dword v98, v91, s[0:3], 0 offen offset:8
	buffer_load_dword v99, v91, s[0:3], 0 offen offset:12
	buffer_load_dword v100, v91, s[0:3], 0 offen
	buffer_load_dword v101, v91, s[0:3], 0 offen offset:4
	ds_read_b128 v[94:97], v90
	v_add_nc_u32_e32 v89, 1, v89
	v_add_nc_u32_e32 v90, 16, v90
	;; [unrolled: 1-line block ×3, first 2 shown]
	v_cmp_lt_u32_e32 vcc_lo, 23, v89
	s_or_b32 s5, vcc_lo, s5
	s_waitcnt vmcnt(2) lgkmcnt(0)
	v_mul_f64 v[102:103], v[96:97], v[98:99]
	v_mul_f64 v[98:99], v[94:95], v[98:99]
	s_waitcnt vmcnt(0)
	v_fma_f64 v[94:95], v[94:95], v[100:101], -v[102:103]
	v_fma_f64 v[96:97], v[96:97], v[100:101], v[98:99]
	v_add_f64 v[3:4], v[3:4], v[94:95]
	v_add_f64 v[1:2], v[1:2], v[96:97]
	s_andn2_b32 exec_lo, exec_lo, s5
	s_cbranch_execnz .LBB104_113
; %bb.114:
	s_or_b32 exec_lo, exec_lo, s5
	v_mov_b32_e32 v89, 0
	ds_read_b128 v[89:92], v89 offset:400
	s_waitcnt lgkmcnt(0)
	v_mul_f64 v[94:95], v[1:2], v[91:92]
	v_mul_f64 v[91:92], v[3:4], v[91:92]
	v_fma_f64 v[3:4], v[3:4], v[89:90], -v[94:95]
	v_fma_f64 v[1:2], v[1:2], v[89:90], v[91:92]
	buffer_store_dword v4, off, s[0:3], 0 offset:420
	buffer_store_dword v3, off, s[0:3], 0 offset:416
	;; [unrolled: 1-line block ×4, first 2 shown]
.LBB104_115:
	s_or_b32 exec_lo, exec_lo, s4
	v_mov_b32_e32 v4, s26
	s_waitcnt_vscnt null, 0x0
	s_barrier
	buffer_gl0_inv
	s_mov_b32 s4, exec_lo
	s_clause 0x3
	buffer_load_dword v1, v4, s[0:3], 0 offen
	buffer_load_dword v2, v4, s[0:3], 0 offen offset:4
	buffer_load_dword v3, v4, s[0:3], 0 offen offset:8
	;; [unrolled: 1-line block ×3, first 2 shown]
	s_waitcnt vmcnt(0)
	ds_write_b128 v87, v[1:4]
	s_waitcnt lgkmcnt(0)
	s_barrier
	buffer_gl0_inv
	v_cmpx_gt_u32_e32 26, v0
	s_cbranch_execz .LBB104_119
; %bb.116:
	v_mov_b32_e32 v1, 0
	v_mov_b32_e32 v3, 0
	v_add_nc_u32_e32 v89, -1, v0
	v_add_nc_u32_e32 v90, 0x290, v93
	v_mov_b32_e32 v2, 0
	v_mov_b32_e32 v4, 0
	v_add_nc_u32_e32 v91, 16, v93
	s_mov_b32 s5, 0
	.p2align	6
.LBB104_117:                            ; =>This Inner Loop Header: Depth=1
	s_clause 0x3
	buffer_load_dword v98, v91, s[0:3], 0 offen offset:8
	buffer_load_dword v99, v91, s[0:3], 0 offen offset:12
	buffer_load_dword v100, v91, s[0:3], 0 offen
	buffer_load_dword v101, v91, s[0:3], 0 offen offset:4
	ds_read_b128 v[94:97], v90
	v_add_nc_u32_e32 v89, 1, v89
	v_add_nc_u32_e32 v90, 16, v90
	;; [unrolled: 1-line block ×3, first 2 shown]
	v_cmp_lt_u32_e32 vcc_lo, 24, v89
	s_or_b32 s5, vcc_lo, s5
	s_waitcnt vmcnt(2) lgkmcnt(0)
	v_mul_f64 v[102:103], v[96:97], v[98:99]
	v_mul_f64 v[98:99], v[94:95], v[98:99]
	s_waitcnt vmcnt(0)
	v_fma_f64 v[94:95], v[94:95], v[100:101], -v[102:103]
	v_fma_f64 v[96:97], v[96:97], v[100:101], v[98:99]
	v_add_f64 v[3:4], v[3:4], v[94:95]
	v_add_f64 v[1:2], v[1:2], v[96:97]
	s_andn2_b32 exec_lo, exec_lo, s5
	s_cbranch_execnz .LBB104_117
; %bb.118:
	s_or_b32 exec_lo, exec_lo, s5
	v_mov_b32_e32 v89, 0
	ds_read_b128 v[89:92], v89 offset:416
	s_waitcnt lgkmcnt(0)
	v_mul_f64 v[94:95], v[1:2], v[91:92]
	v_mul_f64 v[91:92], v[3:4], v[91:92]
	v_fma_f64 v[3:4], v[3:4], v[89:90], -v[94:95]
	v_fma_f64 v[1:2], v[1:2], v[89:90], v[91:92]
	buffer_store_dword v4, off, s[0:3], 0 offset:436
	buffer_store_dword v3, off, s[0:3], 0 offset:432
	buffer_store_dword v2, off, s[0:3], 0 offset:444
	buffer_store_dword v1, off, s[0:3], 0 offset:440
.LBB104_119:
	s_or_b32 exec_lo, exec_lo, s4
	v_mov_b32_e32 v4, s25
	s_waitcnt_vscnt null, 0x0
	s_barrier
	buffer_gl0_inv
	s_mov_b32 s4, exec_lo
	s_clause 0x3
	buffer_load_dword v1, v4, s[0:3], 0 offen
	buffer_load_dword v2, v4, s[0:3], 0 offen offset:4
	buffer_load_dword v3, v4, s[0:3], 0 offen offset:8
	;; [unrolled: 1-line block ×3, first 2 shown]
	s_waitcnt vmcnt(0)
	ds_write_b128 v87, v[1:4]
	s_waitcnt lgkmcnt(0)
	s_barrier
	buffer_gl0_inv
	v_cmpx_gt_u32_e32 27, v0
	s_cbranch_execz .LBB104_123
; %bb.120:
	v_mov_b32_e32 v1, 0
	v_mov_b32_e32 v3, 0
	v_add_nc_u32_e32 v89, -1, v0
	v_add_nc_u32_e32 v90, 0x290, v93
	v_mov_b32_e32 v2, 0
	v_mov_b32_e32 v4, 0
	v_add_nc_u32_e32 v91, 16, v93
	s_mov_b32 s5, 0
	.p2align	6
.LBB104_121:                            ; =>This Inner Loop Header: Depth=1
	s_clause 0x3
	buffer_load_dword v98, v91, s[0:3], 0 offen offset:8
	buffer_load_dword v99, v91, s[0:3], 0 offen offset:12
	buffer_load_dword v100, v91, s[0:3], 0 offen
	buffer_load_dword v101, v91, s[0:3], 0 offen offset:4
	ds_read_b128 v[94:97], v90
	v_add_nc_u32_e32 v89, 1, v89
	v_add_nc_u32_e32 v90, 16, v90
	;; [unrolled: 1-line block ×3, first 2 shown]
	v_cmp_lt_u32_e32 vcc_lo, 25, v89
	s_or_b32 s5, vcc_lo, s5
	s_waitcnt vmcnt(2) lgkmcnt(0)
	v_mul_f64 v[102:103], v[96:97], v[98:99]
	v_mul_f64 v[98:99], v[94:95], v[98:99]
	s_waitcnt vmcnt(0)
	v_fma_f64 v[94:95], v[94:95], v[100:101], -v[102:103]
	v_fma_f64 v[96:97], v[96:97], v[100:101], v[98:99]
	v_add_f64 v[3:4], v[3:4], v[94:95]
	v_add_f64 v[1:2], v[1:2], v[96:97]
	s_andn2_b32 exec_lo, exec_lo, s5
	s_cbranch_execnz .LBB104_121
; %bb.122:
	s_or_b32 exec_lo, exec_lo, s5
	v_mov_b32_e32 v89, 0
	ds_read_b128 v[89:92], v89 offset:432
	s_waitcnt lgkmcnt(0)
	v_mul_f64 v[94:95], v[1:2], v[91:92]
	v_mul_f64 v[91:92], v[3:4], v[91:92]
	v_fma_f64 v[3:4], v[3:4], v[89:90], -v[94:95]
	v_fma_f64 v[1:2], v[1:2], v[89:90], v[91:92]
	buffer_store_dword v4, off, s[0:3], 0 offset:452
	buffer_store_dword v3, off, s[0:3], 0 offset:448
	;; [unrolled: 1-line block ×4, first 2 shown]
.LBB104_123:
	s_or_b32 exec_lo, exec_lo, s4
	v_mov_b32_e32 v4, s24
	s_waitcnt_vscnt null, 0x0
	s_barrier
	buffer_gl0_inv
	s_mov_b32 s4, exec_lo
	s_clause 0x3
	buffer_load_dword v1, v4, s[0:3], 0 offen
	buffer_load_dword v2, v4, s[0:3], 0 offen offset:4
	buffer_load_dword v3, v4, s[0:3], 0 offen offset:8
	;; [unrolled: 1-line block ×3, first 2 shown]
	s_waitcnt vmcnt(0)
	ds_write_b128 v87, v[1:4]
	s_waitcnt lgkmcnt(0)
	s_barrier
	buffer_gl0_inv
	v_cmpx_gt_u32_e32 28, v0
	s_cbranch_execz .LBB104_127
; %bb.124:
	v_mov_b32_e32 v1, 0
	v_mov_b32_e32 v3, 0
	v_add_nc_u32_e32 v89, -1, v0
	v_add_nc_u32_e32 v90, 0x290, v93
	v_mov_b32_e32 v2, 0
	v_mov_b32_e32 v4, 0
	v_add_nc_u32_e32 v91, 16, v93
	s_mov_b32 s5, 0
	.p2align	6
.LBB104_125:                            ; =>This Inner Loop Header: Depth=1
	s_clause 0x3
	buffer_load_dword v98, v91, s[0:3], 0 offen offset:8
	buffer_load_dword v99, v91, s[0:3], 0 offen offset:12
	buffer_load_dword v100, v91, s[0:3], 0 offen
	buffer_load_dword v101, v91, s[0:3], 0 offen offset:4
	ds_read_b128 v[94:97], v90
	v_add_nc_u32_e32 v89, 1, v89
	v_add_nc_u32_e32 v90, 16, v90
	;; [unrolled: 1-line block ×3, first 2 shown]
	v_cmp_lt_u32_e32 vcc_lo, 26, v89
	s_or_b32 s5, vcc_lo, s5
	s_waitcnt vmcnt(2) lgkmcnt(0)
	v_mul_f64 v[102:103], v[96:97], v[98:99]
	v_mul_f64 v[98:99], v[94:95], v[98:99]
	s_waitcnt vmcnt(0)
	v_fma_f64 v[94:95], v[94:95], v[100:101], -v[102:103]
	v_fma_f64 v[96:97], v[96:97], v[100:101], v[98:99]
	v_add_f64 v[3:4], v[3:4], v[94:95]
	v_add_f64 v[1:2], v[1:2], v[96:97]
	s_andn2_b32 exec_lo, exec_lo, s5
	s_cbranch_execnz .LBB104_125
; %bb.126:
	s_or_b32 exec_lo, exec_lo, s5
	v_mov_b32_e32 v89, 0
	ds_read_b128 v[89:92], v89 offset:448
	s_waitcnt lgkmcnt(0)
	v_mul_f64 v[94:95], v[1:2], v[91:92]
	v_mul_f64 v[91:92], v[3:4], v[91:92]
	v_fma_f64 v[3:4], v[3:4], v[89:90], -v[94:95]
	v_fma_f64 v[1:2], v[1:2], v[89:90], v[91:92]
	buffer_store_dword v4, off, s[0:3], 0 offset:468
	buffer_store_dword v3, off, s[0:3], 0 offset:464
	buffer_store_dword v2, off, s[0:3], 0 offset:476
	buffer_store_dword v1, off, s[0:3], 0 offset:472
.LBB104_127:
	s_or_b32 exec_lo, exec_lo, s4
	v_mov_b32_e32 v4, s23
	s_waitcnt_vscnt null, 0x0
	s_barrier
	buffer_gl0_inv
	s_mov_b32 s4, exec_lo
	s_clause 0x3
	buffer_load_dword v1, v4, s[0:3], 0 offen
	buffer_load_dword v2, v4, s[0:3], 0 offen offset:4
	buffer_load_dword v3, v4, s[0:3], 0 offen offset:8
	buffer_load_dword v4, v4, s[0:3], 0 offen offset:12
	s_waitcnt vmcnt(0)
	ds_write_b128 v87, v[1:4]
	s_waitcnt lgkmcnt(0)
	s_barrier
	buffer_gl0_inv
	v_cmpx_gt_u32_e32 29, v0
	s_cbranch_execz .LBB104_131
; %bb.128:
	v_mov_b32_e32 v1, 0
	v_mov_b32_e32 v3, 0
	v_add_nc_u32_e32 v89, -1, v0
	v_add_nc_u32_e32 v90, 0x290, v93
	v_mov_b32_e32 v2, 0
	v_mov_b32_e32 v4, 0
	v_add_nc_u32_e32 v91, 16, v93
	s_mov_b32 s5, 0
	.p2align	6
.LBB104_129:                            ; =>This Inner Loop Header: Depth=1
	s_clause 0x3
	buffer_load_dword v98, v91, s[0:3], 0 offen offset:8
	buffer_load_dword v99, v91, s[0:3], 0 offen offset:12
	buffer_load_dword v100, v91, s[0:3], 0 offen
	buffer_load_dword v101, v91, s[0:3], 0 offen offset:4
	ds_read_b128 v[94:97], v90
	v_add_nc_u32_e32 v89, 1, v89
	v_add_nc_u32_e32 v90, 16, v90
	;; [unrolled: 1-line block ×3, first 2 shown]
	v_cmp_lt_u32_e32 vcc_lo, 27, v89
	s_or_b32 s5, vcc_lo, s5
	s_waitcnt vmcnt(2) lgkmcnt(0)
	v_mul_f64 v[102:103], v[96:97], v[98:99]
	v_mul_f64 v[98:99], v[94:95], v[98:99]
	s_waitcnt vmcnt(0)
	v_fma_f64 v[94:95], v[94:95], v[100:101], -v[102:103]
	v_fma_f64 v[96:97], v[96:97], v[100:101], v[98:99]
	v_add_f64 v[3:4], v[3:4], v[94:95]
	v_add_f64 v[1:2], v[1:2], v[96:97]
	s_andn2_b32 exec_lo, exec_lo, s5
	s_cbranch_execnz .LBB104_129
; %bb.130:
	s_or_b32 exec_lo, exec_lo, s5
	v_mov_b32_e32 v89, 0
	ds_read_b128 v[89:92], v89 offset:464
	s_waitcnt lgkmcnt(0)
	v_mul_f64 v[94:95], v[1:2], v[91:92]
	v_mul_f64 v[91:92], v[3:4], v[91:92]
	v_fma_f64 v[3:4], v[3:4], v[89:90], -v[94:95]
	v_fma_f64 v[1:2], v[1:2], v[89:90], v[91:92]
	buffer_store_dword v4, off, s[0:3], 0 offset:484
	buffer_store_dword v3, off, s[0:3], 0 offset:480
	;; [unrolled: 1-line block ×4, first 2 shown]
.LBB104_131:
	s_or_b32 exec_lo, exec_lo, s4
	v_mov_b32_e32 v4, s22
	s_waitcnt_vscnt null, 0x0
	s_barrier
	buffer_gl0_inv
	s_mov_b32 s4, exec_lo
	s_clause 0x3
	buffer_load_dword v1, v4, s[0:3], 0 offen
	buffer_load_dword v2, v4, s[0:3], 0 offen offset:4
	buffer_load_dword v3, v4, s[0:3], 0 offen offset:8
	;; [unrolled: 1-line block ×3, first 2 shown]
	s_waitcnt vmcnt(0)
	ds_write_b128 v87, v[1:4]
	s_waitcnt lgkmcnt(0)
	s_barrier
	buffer_gl0_inv
	v_cmpx_gt_u32_e32 30, v0
	s_cbranch_execz .LBB104_135
; %bb.132:
	v_mov_b32_e32 v1, 0
	v_mov_b32_e32 v3, 0
	v_add_nc_u32_e32 v89, -1, v0
	v_add_nc_u32_e32 v90, 0x290, v93
	v_mov_b32_e32 v2, 0
	v_mov_b32_e32 v4, 0
	v_add_nc_u32_e32 v91, 16, v93
	s_mov_b32 s5, 0
	.p2align	6
.LBB104_133:                            ; =>This Inner Loop Header: Depth=1
	s_clause 0x3
	buffer_load_dword v98, v91, s[0:3], 0 offen offset:8
	buffer_load_dword v99, v91, s[0:3], 0 offen offset:12
	buffer_load_dword v100, v91, s[0:3], 0 offen
	buffer_load_dword v101, v91, s[0:3], 0 offen offset:4
	ds_read_b128 v[94:97], v90
	v_add_nc_u32_e32 v89, 1, v89
	v_add_nc_u32_e32 v90, 16, v90
	;; [unrolled: 1-line block ×3, first 2 shown]
	v_cmp_lt_u32_e32 vcc_lo, 28, v89
	s_or_b32 s5, vcc_lo, s5
	s_waitcnt vmcnt(2) lgkmcnt(0)
	v_mul_f64 v[102:103], v[96:97], v[98:99]
	v_mul_f64 v[98:99], v[94:95], v[98:99]
	s_waitcnt vmcnt(0)
	v_fma_f64 v[94:95], v[94:95], v[100:101], -v[102:103]
	v_fma_f64 v[96:97], v[96:97], v[100:101], v[98:99]
	v_add_f64 v[3:4], v[3:4], v[94:95]
	v_add_f64 v[1:2], v[1:2], v[96:97]
	s_andn2_b32 exec_lo, exec_lo, s5
	s_cbranch_execnz .LBB104_133
; %bb.134:
	s_or_b32 exec_lo, exec_lo, s5
	v_mov_b32_e32 v89, 0
	ds_read_b128 v[89:92], v89 offset:480
	s_waitcnt lgkmcnt(0)
	v_mul_f64 v[94:95], v[1:2], v[91:92]
	v_mul_f64 v[91:92], v[3:4], v[91:92]
	v_fma_f64 v[3:4], v[3:4], v[89:90], -v[94:95]
	v_fma_f64 v[1:2], v[1:2], v[89:90], v[91:92]
	buffer_store_dword v4, off, s[0:3], 0 offset:500
	buffer_store_dword v3, off, s[0:3], 0 offset:496
	;; [unrolled: 1-line block ×4, first 2 shown]
.LBB104_135:
	s_or_b32 exec_lo, exec_lo, s4
	v_mov_b32_e32 v4, s21
	s_waitcnt_vscnt null, 0x0
	s_barrier
	buffer_gl0_inv
	s_mov_b32 s4, exec_lo
	s_clause 0x3
	buffer_load_dword v1, v4, s[0:3], 0 offen
	buffer_load_dword v2, v4, s[0:3], 0 offen offset:4
	buffer_load_dword v3, v4, s[0:3], 0 offen offset:8
	;; [unrolled: 1-line block ×3, first 2 shown]
	s_waitcnt vmcnt(0)
	ds_write_b128 v87, v[1:4]
	s_waitcnt lgkmcnt(0)
	s_barrier
	buffer_gl0_inv
	v_cmpx_gt_u32_e32 31, v0
	s_cbranch_execz .LBB104_139
; %bb.136:
	v_mov_b32_e32 v1, 0
	v_mov_b32_e32 v3, 0
	v_add_nc_u32_e32 v89, -1, v0
	v_add_nc_u32_e32 v90, 0x290, v93
	v_mov_b32_e32 v2, 0
	v_mov_b32_e32 v4, 0
	v_add_nc_u32_e32 v91, 16, v93
	s_mov_b32 s5, 0
	.p2align	6
.LBB104_137:                            ; =>This Inner Loop Header: Depth=1
	s_clause 0x3
	buffer_load_dword v98, v91, s[0:3], 0 offen offset:8
	buffer_load_dword v99, v91, s[0:3], 0 offen offset:12
	buffer_load_dword v100, v91, s[0:3], 0 offen
	buffer_load_dword v101, v91, s[0:3], 0 offen offset:4
	ds_read_b128 v[94:97], v90
	v_add_nc_u32_e32 v89, 1, v89
	v_add_nc_u32_e32 v90, 16, v90
	;; [unrolled: 1-line block ×3, first 2 shown]
	v_cmp_lt_u32_e32 vcc_lo, 29, v89
	s_or_b32 s5, vcc_lo, s5
	s_waitcnt vmcnt(2) lgkmcnt(0)
	v_mul_f64 v[102:103], v[96:97], v[98:99]
	v_mul_f64 v[98:99], v[94:95], v[98:99]
	s_waitcnt vmcnt(0)
	v_fma_f64 v[94:95], v[94:95], v[100:101], -v[102:103]
	v_fma_f64 v[96:97], v[96:97], v[100:101], v[98:99]
	v_add_f64 v[3:4], v[3:4], v[94:95]
	v_add_f64 v[1:2], v[1:2], v[96:97]
	s_andn2_b32 exec_lo, exec_lo, s5
	s_cbranch_execnz .LBB104_137
; %bb.138:
	s_or_b32 exec_lo, exec_lo, s5
	v_mov_b32_e32 v89, 0
	ds_read_b128 v[89:92], v89 offset:496
	s_waitcnt lgkmcnt(0)
	v_mul_f64 v[94:95], v[1:2], v[91:92]
	v_mul_f64 v[91:92], v[3:4], v[91:92]
	v_fma_f64 v[3:4], v[3:4], v[89:90], -v[94:95]
	v_fma_f64 v[1:2], v[1:2], v[89:90], v[91:92]
	buffer_store_dword v4, off, s[0:3], 0 offset:516
	buffer_store_dword v3, off, s[0:3], 0 offset:512
	;; [unrolled: 1-line block ×4, first 2 shown]
.LBB104_139:
	s_or_b32 exec_lo, exec_lo, s4
	v_mov_b32_e32 v4, s20
	s_waitcnt_vscnt null, 0x0
	s_barrier
	buffer_gl0_inv
	s_mov_b32 s4, exec_lo
	s_clause 0x3
	buffer_load_dword v1, v4, s[0:3], 0 offen
	buffer_load_dword v2, v4, s[0:3], 0 offen offset:4
	buffer_load_dword v3, v4, s[0:3], 0 offen offset:8
	;; [unrolled: 1-line block ×3, first 2 shown]
	s_waitcnt vmcnt(0)
	ds_write_b128 v87, v[1:4]
	s_waitcnt lgkmcnt(0)
	s_barrier
	buffer_gl0_inv
	v_cmpx_gt_u32_e32 32, v0
	s_cbranch_execz .LBB104_143
; %bb.140:
	v_mov_b32_e32 v1, 0
	v_mov_b32_e32 v3, 0
	v_add_nc_u32_e32 v89, -1, v0
	v_add_nc_u32_e32 v90, 0x290, v93
	v_mov_b32_e32 v2, 0
	v_mov_b32_e32 v4, 0
	v_add_nc_u32_e32 v91, 16, v93
	s_mov_b32 s5, 0
	.p2align	6
.LBB104_141:                            ; =>This Inner Loop Header: Depth=1
	s_clause 0x3
	buffer_load_dword v98, v91, s[0:3], 0 offen offset:8
	buffer_load_dword v99, v91, s[0:3], 0 offen offset:12
	buffer_load_dword v100, v91, s[0:3], 0 offen
	buffer_load_dword v101, v91, s[0:3], 0 offen offset:4
	ds_read_b128 v[94:97], v90
	v_add_nc_u32_e32 v89, 1, v89
	v_add_nc_u32_e32 v90, 16, v90
	;; [unrolled: 1-line block ×3, first 2 shown]
	v_cmp_lt_u32_e32 vcc_lo, 30, v89
	s_or_b32 s5, vcc_lo, s5
	s_waitcnt vmcnt(2) lgkmcnt(0)
	v_mul_f64 v[102:103], v[96:97], v[98:99]
	v_mul_f64 v[98:99], v[94:95], v[98:99]
	s_waitcnt vmcnt(0)
	v_fma_f64 v[94:95], v[94:95], v[100:101], -v[102:103]
	v_fma_f64 v[96:97], v[96:97], v[100:101], v[98:99]
	v_add_f64 v[3:4], v[3:4], v[94:95]
	v_add_f64 v[1:2], v[1:2], v[96:97]
	s_andn2_b32 exec_lo, exec_lo, s5
	s_cbranch_execnz .LBB104_141
; %bb.142:
	s_or_b32 exec_lo, exec_lo, s5
	v_mov_b32_e32 v89, 0
	ds_read_b128 v[89:92], v89 offset:512
	s_waitcnt lgkmcnt(0)
	v_mul_f64 v[94:95], v[1:2], v[91:92]
	v_mul_f64 v[91:92], v[3:4], v[91:92]
	v_fma_f64 v[3:4], v[3:4], v[89:90], -v[94:95]
	v_fma_f64 v[1:2], v[1:2], v[89:90], v[91:92]
	buffer_store_dword v4, off, s[0:3], 0 offset:532
	buffer_store_dword v3, off, s[0:3], 0 offset:528
	;; [unrolled: 1-line block ×4, first 2 shown]
.LBB104_143:
	s_or_b32 exec_lo, exec_lo, s4
	v_mov_b32_e32 v4, s19
	s_waitcnt_vscnt null, 0x0
	s_barrier
	buffer_gl0_inv
	s_mov_b32 s4, exec_lo
	s_clause 0x3
	buffer_load_dword v1, v4, s[0:3], 0 offen
	buffer_load_dword v2, v4, s[0:3], 0 offen offset:4
	buffer_load_dword v3, v4, s[0:3], 0 offen offset:8
	;; [unrolled: 1-line block ×3, first 2 shown]
	s_waitcnt vmcnt(0)
	ds_write_b128 v87, v[1:4]
	s_waitcnt lgkmcnt(0)
	s_barrier
	buffer_gl0_inv
	v_cmpx_gt_u32_e32 33, v0
	s_cbranch_execz .LBB104_147
; %bb.144:
	v_mov_b32_e32 v1, 0
	v_mov_b32_e32 v3, 0
	v_add_nc_u32_e32 v89, -1, v0
	v_add_nc_u32_e32 v90, 0x290, v93
	v_mov_b32_e32 v2, 0
	v_mov_b32_e32 v4, 0
	v_add_nc_u32_e32 v91, 16, v93
	s_mov_b32 s5, 0
	.p2align	6
.LBB104_145:                            ; =>This Inner Loop Header: Depth=1
	s_clause 0x3
	buffer_load_dword v98, v91, s[0:3], 0 offen offset:8
	buffer_load_dword v99, v91, s[0:3], 0 offen offset:12
	buffer_load_dword v100, v91, s[0:3], 0 offen
	buffer_load_dword v101, v91, s[0:3], 0 offen offset:4
	ds_read_b128 v[94:97], v90
	v_add_nc_u32_e32 v89, 1, v89
	v_add_nc_u32_e32 v90, 16, v90
	;; [unrolled: 1-line block ×3, first 2 shown]
	v_cmp_lt_u32_e32 vcc_lo, 31, v89
	s_or_b32 s5, vcc_lo, s5
	s_waitcnt vmcnt(2) lgkmcnt(0)
	v_mul_f64 v[102:103], v[96:97], v[98:99]
	v_mul_f64 v[98:99], v[94:95], v[98:99]
	s_waitcnt vmcnt(0)
	v_fma_f64 v[94:95], v[94:95], v[100:101], -v[102:103]
	v_fma_f64 v[96:97], v[96:97], v[100:101], v[98:99]
	v_add_f64 v[3:4], v[3:4], v[94:95]
	v_add_f64 v[1:2], v[1:2], v[96:97]
	s_andn2_b32 exec_lo, exec_lo, s5
	s_cbranch_execnz .LBB104_145
; %bb.146:
	s_or_b32 exec_lo, exec_lo, s5
	v_mov_b32_e32 v89, 0
	ds_read_b128 v[89:92], v89 offset:528
	s_waitcnt lgkmcnt(0)
	v_mul_f64 v[94:95], v[1:2], v[91:92]
	v_mul_f64 v[91:92], v[3:4], v[91:92]
	v_fma_f64 v[3:4], v[3:4], v[89:90], -v[94:95]
	v_fma_f64 v[1:2], v[1:2], v[89:90], v[91:92]
	buffer_store_dword v4, off, s[0:3], 0 offset:548
	buffer_store_dword v3, off, s[0:3], 0 offset:544
	buffer_store_dword v2, off, s[0:3], 0 offset:556
	buffer_store_dword v1, off, s[0:3], 0 offset:552
.LBB104_147:
	s_or_b32 exec_lo, exec_lo, s4
	v_mov_b32_e32 v4, s18
	s_waitcnt_vscnt null, 0x0
	s_barrier
	buffer_gl0_inv
	s_mov_b32 s4, exec_lo
	s_clause 0x3
	buffer_load_dword v1, v4, s[0:3], 0 offen
	buffer_load_dword v2, v4, s[0:3], 0 offen offset:4
	buffer_load_dword v3, v4, s[0:3], 0 offen offset:8
	;; [unrolled: 1-line block ×3, first 2 shown]
	s_waitcnt vmcnt(0)
	ds_write_b128 v87, v[1:4]
	s_waitcnt lgkmcnt(0)
	s_barrier
	buffer_gl0_inv
	v_cmpx_gt_u32_e32 34, v0
	s_cbranch_execz .LBB104_151
; %bb.148:
	v_mov_b32_e32 v1, 0
	v_mov_b32_e32 v3, 0
	v_add_nc_u32_e32 v89, -1, v0
	v_add_nc_u32_e32 v90, 0x290, v93
	v_mov_b32_e32 v2, 0
	v_mov_b32_e32 v4, 0
	v_add_nc_u32_e32 v91, 16, v93
	s_mov_b32 s5, 0
	.p2align	6
.LBB104_149:                            ; =>This Inner Loop Header: Depth=1
	s_clause 0x3
	buffer_load_dword v98, v91, s[0:3], 0 offen offset:8
	buffer_load_dword v99, v91, s[0:3], 0 offen offset:12
	buffer_load_dword v100, v91, s[0:3], 0 offen
	buffer_load_dword v101, v91, s[0:3], 0 offen offset:4
	ds_read_b128 v[94:97], v90
	v_add_nc_u32_e32 v89, 1, v89
	v_add_nc_u32_e32 v90, 16, v90
	;; [unrolled: 1-line block ×3, first 2 shown]
	v_cmp_lt_u32_e32 vcc_lo, 32, v89
	s_or_b32 s5, vcc_lo, s5
	s_waitcnt vmcnt(2) lgkmcnt(0)
	v_mul_f64 v[102:103], v[96:97], v[98:99]
	v_mul_f64 v[98:99], v[94:95], v[98:99]
	s_waitcnt vmcnt(0)
	v_fma_f64 v[94:95], v[94:95], v[100:101], -v[102:103]
	v_fma_f64 v[96:97], v[96:97], v[100:101], v[98:99]
	v_add_f64 v[3:4], v[3:4], v[94:95]
	v_add_f64 v[1:2], v[1:2], v[96:97]
	s_andn2_b32 exec_lo, exec_lo, s5
	s_cbranch_execnz .LBB104_149
; %bb.150:
	s_or_b32 exec_lo, exec_lo, s5
	v_mov_b32_e32 v89, 0
	ds_read_b128 v[89:92], v89 offset:544
	s_waitcnt lgkmcnt(0)
	v_mul_f64 v[94:95], v[1:2], v[91:92]
	v_mul_f64 v[91:92], v[3:4], v[91:92]
	v_fma_f64 v[3:4], v[3:4], v[89:90], -v[94:95]
	v_fma_f64 v[1:2], v[1:2], v[89:90], v[91:92]
	buffer_store_dword v4, off, s[0:3], 0 offset:564
	buffer_store_dword v3, off, s[0:3], 0 offset:560
	;; [unrolled: 1-line block ×4, first 2 shown]
.LBB104_151:
	s_or_b32 exec_lo, exec_lo, s4
	v_mov_b32_e32 v4, s17
	s_waitcnt_vscnt null, 0x0
	s_barrier
	buffer_gl0_inv
	s_mov_b32 s4, exec_lo
	s_clause 0x3
	buffer_load_dword v1, v4, s[0:3], 0 offen
	buffer_load_dword v2, v4, s[0:3], 0 offen offset:4
	buffer_load_dword v3, v4, s[0:3], 0 offen offset:8
	;; [unrolled: 1-line block ×3, first 2 shown]
	s_waitcnt vmcnt(0)
	ds_write_b128 v87, v[1:4]
	s_waitcnt lgkmcnt(0)
	s_barrier
	buffer_gl0_inv
	v_cmpx_gt_u32_e32 35, v0
	s_cbranch_execz .LBB104_155
; %bb.152:
	v_mov_b32_e32 v1, 0
	v_mov_b32_e32 v3, 0
	v_add_nc_u32_e32 v89, -1, v0
	v_add_nc_u32_e32 v90, 0x290, v93
	v_mov_b32_e32 v2, 0
	v_mov_b32_e32 v4, 0
	v_add_nc_u32_e32 v91, 16, v93
	s_mov_b32 s5, 0
	.p2align	6
.LBB104_153:                            ; =>This Inner Loop Header: Depth=1
	s_clause 0x3
	buffer_load_dword v98, v91, s[0:3], 0 offen offset:8
	buffer_load_dword v99, v91, s[0:3], 0 offen offset:12
	buffer_load_dword v100, v91, s[0:3], 0 offen
	buffer_load_dword v101, v91, s[0:3], 0 offen offset:4
	ds_read_b128 v[94:97], v90
	v_add_nc_u32_e32 v89, 1, v89
	v_add_nc_u32_e32 v90, 16, v90
	;; [unrolled: 1-line block ×3, first 2 shown]
	v_cmp_lt_u32_e32 vcc_lo, 33, v89
	s_or_b32 s5, vcc_lo, s5
	s_waitcnt vmcnt(2) lgkmcnt(0)
	v_mul_f64 v[102:103], v[96:97], v[98:99]
	v_mul_f64 v[98:99], v[94:95], v[98:99]
	s_waitcnt vmcnt(0)
	v_fma_f64 v[94:95], v[94:95], v[100:101], -v[102:103]
	v_fma_f64 v[96:97], v[96:97], v[100:101], v[98:99]
	v_add_f64 v[3:4], v[3:4], v[94:95]
	v_add_f64 v[1:2], v[1:2], v[96:97]
	s_andn2_b32 exec_lo, exec_lo, s5
	s_cbranch_execnz .LBB104_153
; %bb.154:
	s_or_b32 exec_lo, exec_lo, s5
	v_mov_b32_e32 v89, 0
	ds_read_b128 v[89:92], v89 offset:560
	s_waitcnt lgkmcnt(0)
	v_mul_f64 v[94:95], v[1:2], v[91:92]
	v_mul_f64 v[91:92], v[3:4], v[91:92]
	v_fma_f64 v[3:4], v[3:4], v[89:90], -v[94:95]
	v_fma_f64 v[1:2], v[1:2], v[89:90], v[91:92]
	buffer_store_dword v4, off, s[0:3], 0 offset:580
	buffer_store_dword v3, off, s[0:3], 0 offset:576
	;; [unrolled: 1-line block ×4, first 2 shown]
.LBB104_155:
	s_or_b32 exec_lo, exec_lo, s4
	v_mov_b32_e32 v4, s16
	s_waitcnt_vscnt null, 0x0
	s_barrier
	buffer_gl0_inv
	s_mov_b32 s4, exec_lo
	s_clause 0x3
	buffer_load_dword v1, v4, s[0:3], 0 offen
	buffer_load_dword v2, v4, s[0:3], 0 offen offset:4
	buffer_load_dword v3, v4, s[0:3], 0 offen offset:8
	;; [unrolled: 1-line block ×3, first 2 shown]
	s_waitcnt vmcnt(0)
	ds_write_b128 v87, v[1:4]
	s_waitcnt lgkmcnt(0)
	s_barrier
	buffer_gl0_inv
	v_cmpx_gt_u32_e32 36, v0
	s_cbranch_execz .LBB104_159
; %bb.156:
	v_mov_b32_e32 v1, 0
	v_mov_b32_e32 v3, 0
	v_add_nc_u32_e32 v89, -1, v0
	v_add_nc_u32_e32 v90, 0x290, v93
	v_mov_b32_e32 v2, 0
	v_mov_b32_e32 v4, 0
	v_add_nc_u32_e32 v91, 16, v93
	s_mov_b32 s5, 0
	.p2align	6
.LBB104_157:                            ; =>This Inner Loop Header: Depth=1
	s_clause 0x3
	buffer_load_dword v98, v91, s[0:3], 0 offen offset:8
	buffer_load_dword v99, v91, s[0:3], 0 offen offset:12
	buffer_load_dword v100, v91, s[0:3], 0 offen
	buffer_load_dword v101, v91, s[0:3], 0 offen offset:4
	ds_read_b128 v[94:97], v90
	v_add_nc_u32_e32 v89, 1, v89
	v_add_nc_u32_e32 v90, 16, v90
	;; [unrolled: 1-line block ×3, first 2 shown]
	v_cmp_lt_u32_e32 vcc_lo, 34, v89
	s_or_b32 s5, vcc_lo, s5
	s_waitcnt vmcnt(2) lgkmcnt(0)
	v_mul_f64 v[102:103], v[96:97], v[98:99]
	v_mul_f64 v[98:99], v[94:95], v[98:99]
	s_waitcnt vmcnt(0)
	v_fma_f64 v[94:95], v[94:95], v[100:101], -v[102:103]
	v_fma_f64 v[96:97], v[96:97], v[100:101], v[98:99]
	v_add_f64 v[3:4], v[3:4], v[94:95]
	v_add_f64 v[1:2], v[1:2], v[96:97]
	s_andn2_b32 exec_lo, exec_lo, s5
	s_cbranch_execnz .LBB104_157
; %bb.158:
	s_or_b32 exec_lo, exec_lo, s5
	v_mov_b32_e32 v89, 0
	ds_read_b128 v[89:92], v89 offset:576
	s_waitcnt lgkmcnt(0)
	v_mul_f64 v[94:95], v[1:2], v[91:92]
	v_mul_f64 v[91:92], v[3:4], v[91:92]
	v_fma_f64 v[3:4], v[3:4], v[89:90], -v[94:95]
	v_fma_f64 v[1:2], v[1:2], v[89:90], v[91:92]
	buffer_store_dword v4, off, s[0:3], 0 offset:596
	buffer_store_dword v3, off, s[0:3], 0 offset:592
	;; [unrolled: 1-line block ×4, first 2 shown]
.LBB104_159:
	s_or_b32 exec_lo, exec_lo, s4
	v_mov_b32_e32 v4, s15
	s_waitcnt_vscnt null, 0x0
	s_barrier
	buffer_gl0_inv
	s_mov_b32 s4, exec_lo
	s_clause 0x3
	buffer_load_dword v1, v4, s[0:3], 0 offen
	buffer_load_dword v2, v4, s[0:3], 0 offen offset:4
	buffer_load_dword v3, v4, s[0:3], 0 offen offset:8
	;; [unrolled: 1-line block ×3, first 2 shown]
	s_waitcnt vmcnt(0)
	ds_write_b128 v87, v[1:4]
	s_waitcnt lgkmcnt(0)
	s_barrier
	buffer_gl0_inv
	v_cmpx_gt_u32_e32 37, v0
	s_cbranch_execz .LBB104_163
; %bb.160:
	v_mov_b32_e32 v1, 0
	v_mov_b32_e32 v3, 0
	v_add_nc_u32_e32 v89, -1, v0
	v_add_nc_u32_e32 v90, 0x290, v93
	v_mov_b32_e32 v2, 0
	v_mov_b32_e32 v4, 0
	v_add_nc_u32_e32 v91, 16, v93
	s_mov_b32 s5, 0
	.p2align	6
.LBB104_161:                            ; =>This Inner Loop Header: Depth=1
	s_clause 0x3
	buffer_load_dword v98, v91, s[0:3], 0 offen offset:8
	buffer_load_dword v99, v91, s[0:3], 0 offen offset:12
	buffer_load_dword v100, v91, s[0:3], 0 offen
	buffer_load_dword v101, v91, s[0:3], 0 offen offset:4
	ds_read_b128 v[94:97], v90
	v_add_nc_u32_e32 v89, 1, v89
	v_add_nc_u32_e32 v90, 16, v90
	;; [unrolled: 1-line block ×3, first 2 shown]
	v_cmp_lt_u32_e32 vcc_lo, 35, v89
	s_or_b32 s5, vcc_lo, s5
	s_waitcnt vmcnt(2) lgkmcnt(0)
	v_mul_f64 v[102:103], v[96:97], v[98:99]
	v_mul_f64 v[98:99], v[94:95], v[98:99]
	s_waitcnt vmcnt(0)
	v_fma_f64 v[94:95], v[94:95], v[100:101], -v[102:103]
	v_fma_f64 v[96:97], v[96:97], v[100:101], v[98:99]
	v_add_f64 v[3:4], v[3:4], v[94:95]
	v_add_f64 v[1:2], v[1:2], v[96:97]
	s_andn2_b32 exec_lo, exec_lo, s5
	s_cbranch_execnz .LBB104_161
; %bb.162:
	s_or_b32 exec_lo, exec_lo, s5
	v_mov_b32_e32 v89, 0
	ds_read_b128 v[89:92], v89 offset:592
	s_waitcnt lgkmcnt(0)
	v_mul_f64 v[94:95], v[1:2], v[91:92]
	v_mul_f64 v[91:92], v[3:4], v[91:92]
	v_fma_f64 v[3:4], v[3:4], v[89:90], -v[94:95]
	v_fma_f64 v[1:2], v[1:2], v[89:90], v[91:92]
	buffer_store_dword v4, off, s[0:3], 0 offset:612
	buffer_store_dword v3, off, s[0:3], 0 offset:608
	;; [unrolled: 1-line block ×4, first 2 shown]
.LBB104_163:
	s_or_b32 exec_lo, exec_lo, s4
	v_mov_b32_e32 v4, s14
	s_waitcnt_vscnt null, 0x0
	s_barrier
	buffer_gl0_inv
	s_mov_b32 s4, exec_lo
	s_clause 0x3
	buffer_load_dword v1, v4, s[0:3], 0 offen
	buffer_load_dword v2, v4, s[0:3], 0 offen offset:4
	buffer_load_dword v3, v4, s[0:3], 0 offen offset:8
	;; [unrolled: 1-line block ×3, first 2 shown]
	s_waitcnt vmcnt(0)
	ds_write_b128 v87, v[1:4]
	s_waitcnt lgkmcnt(0)
	s_barrier
	buffer_gl0_inv
	v_cmpx_gt_u32_e32 38, v0
	s_cbranch_execz .LBB104_167
; %bb.164:
	v_mov_b32_e32 v1, 0
	v_mov_b32_e32 v3, 0
	v_add_nc_u32_e32 v89, -1, v0
	v_add_nc_u32_e32 v90, 0x290, v93
	v_mov_b32_e32 v2, 0
	v_mov_b32_e32 v4, 0
	v_add_nc_u32_e32 v91, 16, v93
	s_mov_b32 s5, 0
	.p2align	6
.LBB104_165:                            ; =>This Inner Loop Header: Depth=1
	s_clause 0x3
	buffer_load_dword v98, v91, s[0:3], 0 offen offset:8
	buffer_load_dword v99, v91, s[0:3], 0 offen offset:12
	buffer_load_dword v100, v91, s[0:3], 0 offen
	buffer_load_dword v101, v91, s[0:3], 0 offen offset:4
	ds_read_b128 v[94:97], v90
	v_add_nc_u32_e32 v89, 1, v89
	v_add_nc_u32_e32 v90, 16, v90
	;; [unrolled: 1-line block ×3, first 2 shown]
	v_cmp_lt_u32_e32 vcc_lo, 36, v89
	s_or_b32 s5, vcc_lo, s5
	s_waitcnt vmcnt(2) lgkmcnt(0)
	v_mul_f64 v[102:103], v[96:97], v[98:99]
	v_mul_f64 v[98:99], v[94:95], v[98:99]
	s_waitcnt vmcnt(0)
	v_fma_f64 v[94:95], v[94:95], v[100:101], -v[102:103]
	v_fma_f64 v[96:97], v[96:97], v[100:101], v[98:99]
	v_add_f64 v[3:4], v[3:4], v[94:95]
	v_add_f64 v[1:2], v[1:2], v[96:97]
	s_andn2_b32 exec_lo, exec_lo, s5
	s_cbranch_execnz .LBB104_165
; %bb.166:
	s_or_b32 exec_lo, exec_lo, s5
	v_mov_b32_e32 v89, 0
	ds_read_b128 v[89:92], v89 offset:608
	s_waitcnt lgkmcnt(0)
	v_mul_f64 v[94:95], v[1:2], v[91:92]
	v_mul_f64 v[91:92], v[3:4], v[91:92]
	v_fma_f64 v[3:4], v[3:4], v[89:90], -v[94:95]
	v_fma_f64 v[1:2], v[1:2], v[89:90], v[91:92]
	buffer_store_dword v4, off, s[0:3], 0 offset:628
	buffer_store_dword v3, off, s[0:3], 0 offset:624
	;; [unrolled: 1-line block ×4, first 2 shown]
.LBB104_167:
	s_or_b32 exec_lo, exec_lo, s4
	v_mov_b32_e32 v4, s9
	s_waitcnt_vscnt null, 0x0
	s_barrier
	buffer_gl0_inv
	s_mov_b32 s4, exec_lo
	s_clause 0x3
	buffer_load_dword v1, v4, s[0:3], 0 offen
	buffer_load_dword v2, v4, s[0:3], 0 offen offset:4
	buffer_load_dword v3, v4, s[0:3], 0 offen offset:8
	;; [unrolled: 1-line block ×3, first 2 shown]
	s_waitcnt vmcnt(0)
	ds_write_b128 v87, v[1:4]
	s_waitcnt lgkmcnt(0)
	s_barrier
	buffer_gl0_inv
	v_cmpx_gt_u32_e32 39, v0
	s_cbranch_execz .LBB104_171
; %bb.168:
	v_mov_b32_e32 v1, 0
	v_mov_b32_e32 v3, 0
	v_add_nc_u32_e32 v89, -1, v0
	v_add_nc_u32_e32 v90, 0x290, v93
	v_mov_b32_e32 v2, 0
	v_mov_b32_e32 v4, 0
	v_add_nc_u32_e32 v91, 16, v93
	s_mov_b32 s5, 0
	.p2align	6
.LBB104_169:                            ; =>This Inner Loop Header: Depth=1
	s_clause 0x3
	buffer_load_dword v98, v91, s[0:3], 0 offen offset:8
	buffer_load_dword v99, v91, s[0:3], 0 offen offset:12
	buffer_load_dword v100, v91, s[0:3], 0 offen
	buffer_load_dword v101, v91, s[0:3], 0 offen offset:4
	ds_read_b128 v[94:97], v90
	v_add_nc_u32_e32 v89, 1, v89
	v_add_nc_u32_e32 v90, 16, v90
	;; [unrolled: 1-line block ×3, first 2 shown]
	v_cmp_lt_u32_e32 vcc_lo, 37, v89
	s_or_b32 s5, vcc_lo, s5
	s_waitcnt vmcnt(2) lgkmcnt(0)
	v_mul_f64 v[102:103], v[96:97], v[98:99]
	v_mul_f64 v[98:99], v[94:95], v[98:99]
	s_waitcnt vmcnt(0)
	v_fma_f64 v[94:95], v[94:95], v[100:101], -v[102:103]
	v_fma_f64 v[96:97], v[96:97], v[100:101], v[98:99]
	v_add_f64 v[3:4], v[3:4], v[94:95]
	v_add_f64 v[1:2], v[1:2], v[96:97]
	s_andn2_b32 exec_lo, exec_lo, s5
	s_cbranch_execnz .LBB104_169
; %bb.170:
	s_or_b32 exec_lo, exec_lo, s5
	v_mov_b32_e32 v89, 0
	ds_read_b128 v[89:92], v89 offset:624
	s_waitcnt lgkmcnt(0)
	v_mul_f64 v[94:95], v[1:2], v[91:92]
	v_mul_f64 v[91:92], v[3:4], v[91:92]
	v_fma_f64 v[3:4], v[3:4], v[89:90], -v[94:95]
	v_fma_f64 v[1:2], v[1:2], v[89:90], v[91:92]
	buffer_store_dword v4, off, s[0:3], 0 offset:644
	buffer_store_dword v3, off, s[0:3], 0 offset:640
	;; [unrolled: 1-line block ×4, first 2 shown]
.LBB104_171:
	s_or_b32 exec_lo, exec_lo, s4
	v_mov_b32_e32 v4, s8
	s_waitcnt_vscnt null, 0x0
	s_barrier
	buffer_gl0_inv
	s_mov_b32 s4, exec_lo
	s_clause 0x3
	buffer_load_dword v1, v4, s[0:3], 0 offen
	buffer_load_dword v2, v4, s[0:3], 0 offen offset:4
	buffer_load_dword v3, v4, s[0:3], 0 offen offset:8
	;; [unrolled: 1-line block ×3, first 2 shown]
	s_waitcnt vmcnt(0)
	ds_write_b128 v87, v[1:4]
	s_waitcnt lgkmcnt(0)
	s_barrier
	buffer_gl0_inv
	v_cmpx_ne_u32_e32 40, v0
	s_cbranch_execz .LBB104_175
; %bb.172:
	v_mov_b32_e32 v1, 0
	v_mov_b32_e32 v3, 0
	;; [unrolled: 1-line block ×4, first 2 shown]
	v_add_nc_u32_e32 v89, 16, v93
	s_mov_b32 s5, 0
	.p2align	6
.LBB104_173:                            ; =>This Inner Loop Header: Depth=1
	s_clause 0x3
	buffer_load_dword v94, v89, s[0:3], 0 offen offset:8
	buffer_load_dword v95, v89, s[0:3], 0 offen offset:12
	buffer_load_dword v96, v89, s[0:3], 0 offen
	buffer_load_dword v97, v89, s[0:3], 0 offen offset:4
	ds_read_b128 v[90:93], v87
	v_add_nc_u32_e32 v88, 1, v88
	v_add_nc_u32_e32 v87, 16, v87
	;; [unrolled: 1-line block ×3, first 2 shown]
	v_cmp_lt_u32_e32 vcc_lo, 38, v88
	s_or_b32 s5, vcc_lo, s5
	s_waitcnt vmcnt(2) lgkmcnt(0)
	v_mul_f64 v[98:99], v[92:93], v[94:95]
	v_mul_f64 v[94:95], v[90:91], v[94:95]
	s_waitcnt vmcnt(0)
	v_fma_f64 v[90:91], v[90:91], v[96:97], -v[98:99]
	v_fma_f64 v[92:93], v[92:93], v[96:97], v[94:95]
	v_add_f64 v[3:4], v[3:4], v[90:91]
	v_add_f64 v[1:2], v[1:2], v[92:93]
	s_andn2_b32 exec_lo, exec_lo, s5
	s_cbranch_execnz .LBB104_173
; %bb.174:
	s_or_b32 exec_lo, exec_lo, s5
	v_mov_b32_e32 v87, 0
	ds_read_b128 v[87:90], v87 offset:640
	s_waitcnt lgkmcnt(0)
	v_mul_f64 v[91:92], v[1:2], v[89:90]
	v_mul_f64 v[89:90], v[3:4], v[89:90]
	v_fma_f64 v[3:4], v[3:4], v[87:88], -v[91:92]
	v_fma_f64 v[1:2], v[1:2], v[87:88], v[89:90]
	buffer_store_dword v4, off, s[0:3], 0 offset:660
	buffer_store_dword v3, off, s[0:3], 0 offset:656
	buffer_store_dword v2, off, s[0:3], 0 offset:668
	buffer_store_dword v1, off, s[0:3], 0 offset:664
.LBB104_175:
	s_or_b32 exec_lo, exec_lo, s4
	s_mov_b32 s5, -1
	s_waitcnt_vscnt null, 0x0
	s_barrier
	buffer_gl0_inv
.LBB104_176:
	s_and_b32 vcc_lo, exec_lo, s5
	s_cbranch_vccz .LBB104_178
; %bb.177:
	s_lshl_b64 s[4:5], s[6:7], 2
	v_mov_b32_e32 v1, 0
	s_add_u32 s4, s10, s4
	s_addc_u32 s5, s11, s5
	global_load_dword v1, v1, s[4:5]
	s_waitcnt vmcnt(0)
	v_cmp_ne_u32_e32 vcc_lo, 0, v1
	s_cbranch_vccz .LBB104_179
.LBB104_178:
	s_endpgm
.LBB104_179:
	v_lshl_add_u32 v143, v0, 4, 0x290
	s_mov_b32 s4, exec_lo
	v_cmpx_eq_u32_e32 40, v0
	s_cbranch_execz .LBB104_181
; %bb.180:
	v_mov_b32_e32 v4, s9
	v_mov_b32_e32 v87, 0
	s_clause 0x3
	buffer_load_dword v1, v4, s[0:3], 0 offen
	buffer_load_dword v2, v4, s[0:3], 0 offen offset:4
	buffer_load_dword v3, v4, s[0:3], 0 offen offset:8
	;; [unrolled: 1-line block ×3, first 2 shown]
	buffer_store_dword v87, off, s[0:3], 0 offset:640
	buffer_store_dword v87, off, s[0:3], 0 offset:644
	;; [unrolled: 1-line block ×4, first 2 shown]
	s_waitcnt vmcnt(0)
	ds_write_b128 v143, v[1:4]
.LBB104_181:
	s_or_b32 exec_lo, exec_lo, s4
	s_waitcnt lgkmcnt(0)
	s_waitcnt_vscnt null, 0x0
	s_barrier
	buffer_gl0_inv
	s_clause 0x7
	buffer_load_dword v2, off, s[0:3], 0 offset:664
	buffer_load_dword v3, off, s[0:3], 0 offset:668
	buffer_load_dword v91, off, s[0:3], 0 offset:656
	buffer_load_dword v92, off, s[0:3], 0 offset:660
	buffer_load_dword v93, off, s[0:3], 0 offset:640
	buffer_load_dword v94, off, s[0:3], 0 offset:644
	buffer_load_dword v95, off, s[0:3], 0 offset:648
	buffer_load_dword v96, off, s[0:3], 0 offset:652
	v_mov_b32_e32 v1, 0
	s_mov_b32 s4, exec_lo
	ds_read_b128 v[87:90], v1 offset:1296
	s_waitcnt vmcnt(6) lgkmcnt(0)
	v_mul_f64 v[97:98], v[89:90], v[2:3]
	v_mul_f64 v[2:3], v[87:88], v[2:3]
	s_waitcnt vmcnt(4)
	v_fma_f64 v[87:88], v[87:88], v[91:92], -v[97:98]
	v_fma_f64 v[2:3], v[89:90], v[91:92], v[2:3]
	v_add_f64 v[87:88], v[87:88], 0
	v_add_f64 v[2:3], v[2:3], 0
	s_waitcnt vmcnt(2)
	v_add_f64 v[87:88], v[93:94], -v[87:88]
	s_waitcnt vmcnt(0)
	v_add_f64 v[2:3], v[95:96], -v[2:3]
	buffer_store_dword v87, off, s[0:3], 0 offset:640
	buffer_store_dword v88, off, s[0:3], 0 offset:644
	;; [unrolled: 1-line block ×4, first 2 shown]
	v_cmpx_lt_u32_e32 38, v0
	s_cbranch_execz .LBB104_183
; %bb.182:
	v_mov_b32_e32 v2, s14
	s_clause 0x3
	buffer_load_dword v87, v2, s[0:3], 0 offen
	buffer_load_dword v88, v2, s[0:3], 0 offen offset:4
	buffer_load_dword v89, v2, s[0:3], 0 offen offset:8
	;; [unrolled: 1-line block ×3, first 2 shown]
	buffer_store_dword v1, off, s[0:3], 0 offset:624
	buffer_store_dword v1, off, s[0:3], 0 offset:628
	;; [unrolled: 1-line block ×4, first 2 shown]
	s_waitcnt vmcnt(0)
	ds_write_b128 v143, v[87:90]
.LBB104_183:
	s_or_b32 exec_lo, exec_lo, s4
	s_waitcnt lgkmcnt(0)
	s_waitcnt_vscnt null, 0x0
	s_barrier
	buffer_gl0_inv
	s_clause 0xb
	buffer_load_dword v91, off, s[0:3], 0 offset:648
	buffer_load_dword v92, off, s[0:3], 0 offset:652
	;; [unrolled: 1-line block ×12, first 2 shown]
	ds_read_b128 v[87:90], v1 offset:1280
	ds_read_b128 v[1:4], v1 offset:1296
	s_mov_b32 s4, exec_lo
	s_waitcnt vmcnt(10) lgkmcnt(1)
	v_mul_f64 v[103:104], v[89:90], v[91:92]
	v_mul_f64 v[91:92], v[87:88], v[91:92]
	s_waitcnt vmcnt(8) lgkmcnt(0)
	v_mul_f64 v[105:106], v[3:4], v[93:94]
	v_mul_f64 v[93:94], v[1:2], v[93:94]
	s_waitcnt vmcnt(6)
	v_fma_f64 v[87:88], v[87:88], v[95:96], -v[103:104]
	v_fma_f64 v[89:90], v[89:90], v[95:96], v[91:92]
	s_waitcnt vmcnt(4)
	v_fma_f64 v[1:2], v[1:2], v[97:98], -v[105:106]
	v_fma_f64 v[3:4], v[3:4], v[97:98], v[93:94]
	v_add_f64 v[87:88], v[87:88], 0
	v_add_f64 v[89:90], v[89:90], 0
	;; [unrolled: 1-line block ×4, first 2 shown]
	s_waitcnt vmcnt(2)
	v_add_f64 v[1:2], v[99:100], -v[1:2]
	s_waitcnt vmcnt(0)
	v_add_f64 v[3:4], v[101:102], -v[3:4]
	buffer_store_dword v1, off, s[0:3], 0 offset:624
	buffer_store_dword v2, off, s[0:3], 0 offset:628
	;; [unrolled: 1-line block ×4, first 2 shown]
	v_cmpx_lt_u32_e32 37, v0
	s_cbranch_execz .LBB104_185
; %bb.184:
	v_mov_b32_e32 v4, s15
	v_mov_b32_e32 v87, 0
	s_clause 0x3
	buffer_load_dword v1, v4, s[0:3], 0 offen
	buffer_load_dword v2, v4, s[0:3], 0 offen offset:4
	buffer_load_dword v3, v4, s[0:3], 0 offen offset:8
	;; [unrolled: 1-line block ×3, first 2 shown]
	buffer_store_dword v87, off, s[0:3], 0 offset:608
	buffer_store_dword v87, off, s[0:3], 0 offset:612
	;; [unrolled: 1-line block ×4, first 2 shown]
	s_waitcnt vmcnt(0)
	ds_write_b128 v143, v[1:4]
.LBB104_185:
	s_or_b32 exec_lo, exec_lo, s4
	s_waitcnt lgkmcnt(0)
	s_waitcnt_vscnt null, 0x0
	s_barrier
	buffer_gl0_inv
	s_clause 0xf
	buffer_load_dword v2, off, s[0:3], 0 offset:632
	buffer_load_dword v3, off, s[0:3], 0 offset:636
	;; [unrolled: 1-line block ×16, first 2 shown]
	v_mov_b32_e32 v1, 0
	ds_read_b128 v[87:90], v1 offset:1264
	ds_read_b128 v[91:94], v1 offset:1280
	;; [unrolled: 1-line block ×3, first 2 shown]
	s_mov_b32 s4, exec_lo
	s_waitcnt vmcnt(14) lgkmcnt(2)
	v_mul_f64 v[113:114], v[89:90], v[2:3]
	v_mul_f64 v[2:3], v[87:88], v[2:3]
	s_waitcnt vmcnt(12) lgkmcnt(1)
	v_mul_f64 v[115:116], v[93:94], v[99:100]
	v_mul_f64 v[99:100], v[91:92], v[99:100]
	s_waitcnt vmcnt(10)
	v_fma_f64 v[87:88], v[87:88], v[101:102], -v[113:114]
	v_fma_f64 v[2:3], v[89:90], v[101:102], v[2:3]
	s_waitcnt vmcnt(8) lgkmcnt(0)
	v_mul_f64 v[101:102], v[97:98], v[103:104]
	s_waitcnt vmcnt(6)
	v_fma_f64 v[91:92], v[91:92], v[105:106], -v[115:116]
	v_mul_f64 v[89:90], v[95:96], v[103:104]
	v_fma_f64 v[93:94], v[93:94], v[105:106], v[99:100]
	v_add_f64 v[87:88], v[87:88], 0
	v_add_f64 v[2:3], v[2:3], 0
	s_waitcnt vmcnt(4)
	v_fma_f64 v[95:96], v[95:96], v[107:108], -v[101:102]
	v_fma_f64 v[89:90], v[97:98], v[107:108], v[89:90]
	v_add_f64 v[87:88], v[87:88], v[91:92]
	v_add_f64 v[2:3], v[2:3], v[93:94]
	;; [unrolled: 1-line block ×4, first 2 shown]
	s_waitcnt vmcnt(2)
	v_add_f64 v[87:88], v[109:110], -v[87:88]
	s_waitcnt vmcnt(0)
	v_add_f64 v[2:3], v[111:112], -v[2:3]
	buffer_store_dword v87, off, s[0:3], 0 offset:608
	buffer_store_dword v88, off, s[0:3], 0 offset:612
	;; [unrolled: 1-line block ×4, first 2 shown]
	v_cmpx_lt_u32_e32 36, v0
	s_cbranch_execz .LBB104_187
; %bb.186:
	v_mov_b32_e32 v2, s16
	s_clause 0x3
	buffer_load_dword v87, v2, s[0:3], 0 offen
	buffer_load_dword v88, v2, s[0:3], 0 offen offset:4
	buffer_load_dword v89, v2, s[0:3], 0 offen offset:8
	;; [unrolled: 1-line block ×3, first 2 shown]
	buffer_store_dword v1, off, s[0:3], 0 offset:592
	buffer_store_dword v1, off, s[0:3], 0 offset:596
	;; [unrolled: 1-line block ×4, first 2 shown]
	s_waitcnt vmcnt(0)
	ds_write_b128 v143, v[87:90]
.LBB104_187:
	s_or_b32 exec_lo, exec_lo, s4
	s_waitcnt lgkmcnt(0)
	s_waitcnt_vscnt null, 0x0
	s_barrier
	buffer_gl0_inv
	s_clause 0x13
	buffer_load_dword v2, off, s[0:3], 0 offset:616
	buffer_load_dword v3, off, s[0:3], 0 offset:620
	;; [unrolled: 1-line block ×20, first 2 shown]
	ds_read_b128 v[87:90], v1 offset:1248
	ds_read_b128 v[91:94], v1 offset:1264
	;; [unrolled: 1-line block ×3, first 2 shown]
	s_mov_b32 s4, exec_lo
	s_waitcnt vmcnt(18) lgkmcnt(2)
	v_mul_f64 v[117:118], v[89:90], v[2:3]
	v_mul_f64 v[2:3], v[87:88], v[2:3]
	s_waitcnt vmcnt(16) lgkmcnt(1)
	v_mul_f64 v[119:120], v[93:94], v[99:100]
	v_mul_f64 v[99:100], v[91:92], v[99:100]
	s_waitcnt vmcnt(14)
	v_fma_f64 v[87:88], v[87:88], v[101:102], -v[117:118]
	v_fma_f64 v[89:90], v[89:90], v[101:102], v[2:3]
	s_waitcnt vmcnt(12) lgkmcnt(0)
	v_mul_f64 v[101:102], v[95:96], v[103:104]
	v_mul_f64 v[103:104], v[97:98], v[103:104]
	s_waitcnt vmcnt(10)
	v_fma_f64 v[91:92], v[91:92], v[105:106], -v[119:120]
	ds_read_b128 v[1:4], v1 offset:1296
	v_fma_f64 v[93:94], v[93:94], v[105:106], v[99:100]
	v_add_f64 v[87:88], v[87:88], 0
	v_add_f64 v[89:90], v[89:90], 0
	s_waitcnt vmcnt(8) lgkmcnt(0)
	v_mul_f64 v[105:106], v[3:4], v[107:108]
	s_waitcnt vmcnt(6)
	v_fma_f64 v[95:96], v[95:96], v[109:110], -v[103:104]
	v_mul_f64 v[99:100], v[1:2], v[107:108]
	v_add_f64 v[87:88], v[87:88], v[91:92]
	v_fma_f64 v[91:92], v[97:98], v[109:110], v[101:102]
	v_add_f64 v[89:90], v[89:90], v[93:94]
	s_waitcnt vmcnt(4)
	v_fma_f64 v[1:2], v[1:2], v[111:112], -v[105:106]
	v_fma_f64 v[3:4], v[3:4], v[111:112], v[99:100]
	v_add_f64 v[87:88], v[87:88], v[95:96]
	v_add_f64 v[89:90], v[89:90], v[91:92]
	;; [unrolled: 1-line block ×4, first 2 shown]
	s_waitcnt vmcnt(2)
	v_add_f64 v[1:2], v[113:114], -v[1:2]
	s_waitcnt vmcnt(0)
	v_add_f64 v[3:4], v[115:116], -v[3:4]
	buffer_store_dword v1, off, s[0:3], 0 offset:592
	buffer_store_dword v2, off, s[0:3], 0 offset:596
	;; [unrolled: 1-line block ×4, first 2 shown]
	v_cmpx_lt_u32_e32 35, v0
	s_cbranch_execz .LBB104_189
; %bb.188:
	v_mov_b32_e32 v4, s17
	v_mov_b32_e32 v87, 0
	s_clause 0x3
	buffer_load_dword v1, v4, s[0:3], 0 offen
	buffer_load_dword v2, v4, s[0:3], 0 offen offset:4
	buffer_load_dword v3, v4, s[0:3], 0 offen offset:8
	;; [unrolled: 1-line block ×3, first 2 shown]
	buffer_store_dword v87, off, s[0:3], 0 offset:576
	buffer_store_dword v87, off, s[0:3], 0 offset:580
	;; [unrolled: 1-line block ×4, first 2 shown]
	s_waitcnt vmcnt(0)
	ds_write_b128 v143, v[1:4]
.LBB104_189:
	s_or_b32 exec_lo, exec_lo, s4
	s_waitcnt lgkmcnt(0)
	s_waitcnt_vscnt null, 0x0
	s_barrier
	buffer_gl0_inv
	s_clause 0x17
	buffer_load_dword v2, off, s[0:3], 0 offset:600
	buffer_load_dword v3, off, s[0:3], 0 offset:604
	;; [unrolled: 1-line block ×24, first 2 shown]
	v_mov_b32_e32 v1, 0
	ds_read_b128 v[87:90], v1 offset:1232
	ds_read_b128 v[91:94], v1 offset:1248
	;; [unrolled: 1-line block ×3, first 2 shown]
	s_mov_b32 s4, exec_lo
	s_waitcnt vmcnt(22) lgkmcnt(2)
	v_mul_f64 v[121:122], v[89:90], v[2:3]
	v_mul_f64 v[2:3], v[87:88], v[2:3]
	s_waitcnt vmcnt(20) lgkmcnt(1)
	v_mul_f64 v[123:124], v[93:94], v[99:100]
	v_mul_f64 v[99:100], v[91:92], v[99:100]
	s_waitcnt vmcnt(18)
	v_fma_f64 v[121:122], v[87:88], v[101:102], -v[121:122]
	v_fma_f64 v[2:3], v[89:90], v[101:102], v[2:3]
	ds_read_b128 v[87:90], v1 offset:1280
	s_waitcnt vmcnt(16) lgkmcnt(1)
	v_mul_f64 v[101:102], v[95:96], v[103:104]
	v_mul_f64 v[103:104], v[97:98], v[103:104]
	s_waitcnt vmcnt(14)
	v_fma_f64 v[123:124], v[91:92], v[105:106], -v[123:124]
	v_fma_f64 v[99:100], v[93:94], v[105:106], v[99:100]
	ds_read_b128 v[91:94], v1 offset:1296
	s_waitcnt vmcnt(10) lgkmcnt(1)
	v_mul_f64 v[105:106], v[87:88], v[107:108]
	v_add_f64 v[121:122], v[121:122], 0
	v_add_f64 v[2:3], v[2:3], 0
	v_mul_f64 v[107:108], v[89:90], v[107:108]
	s_waitcnt vmcnt(8)
	v_fma_f64 v[95:96], v[95:96], v[113:114], -v[103:104]
	v_fma_f64 v[97:98], v[97:98], v[113:114], v[101:102]
	s_waitcnt vmcnt(7) lgkmcnt(0)
	v_mul_f64 v[101:102], v[93:94], v[109:110]
	s_waitcnt vmcnt(5)
	v_fma_f64 v[89:90], v[89:90], v[115:116], v[105:106]
	v_add_f64 v[103:104], v[121:122], v[123:124]
	v_add_f64 v[2:3], v[2:3], v[99:100]
	v_fma_f64 v[87:88], v[87:88], v[115:116], -v[107:108]
	v_mul_f64 v[99:100], v[91:92], v[109:110]
	s_waitcnt vmcnt(4)
	v_fma_f64 v[91:92], v[91:92], v[111:112], -v[101:102]
	v_add_f64 v[95:96], v[103:104], v[95:96]
	v_add_f64 v[2:3], v[2:3], v[97:98]
	v_fma_f64 v[93:94], v[93:94], v[111:112], v[99:100]
	v_add_f64 v[87:88], v[95:96], v[87:88]
	v_add_f64 v[2:3], v[2:3], v[89:90]
	;; [unrolled: 1-line block ×4, first 2 shown]
	s_waitcnt vmcnt(2)
	v_add_f64 v[87:88], v[117:118], -v[87:88]
	s_waitcnt vmcnt(0)
	v_add_f64 v[2:3], v[119:120], -v[2:3]
	buffer_store_dword v88, off, s[0:3], 0 offset:580
	buffer_store_dword v87, off, s[0:3], 0 offset:576
	;; [unrolled: 1-line block ×4, first 2 shown]
	v_cmpx_lt_u32_e32 34, v0
	s_cbranch_execz .LBB104_191
; %bb.190:
	v_mov_b32_e32 v2, s18
	s_clause 0x3
	buffer_load_dword v87, v2, s[0:3], 0 offen
	buffer_load_dword v88, v2, s[0:3], 0 offen offset:4
	buffer_load_dword v89, v2, s[0:3], 0 offen offset:8
	;; [unrolled: 1-line block ×3, first 2 shown]
	buffer_store_dword v1, off, s[0:3], 0 offset:560
	buffer_store_dword v1, off, s[0:3], 0 offset:564
	;; [unrolled: 1-line block ×4, first 2 shown]
	s_waitcnt vmcnt(0)
	ds_write_b128 v143, v[87:90]
.LBB104_191:
	s_or_b32 exec_lo, exec_lo, s4
	s_waitcnt lgkmcnt(0)
	s_waitcnt_vscnt null, 0x0
	s_barrier
	buffer_gl0_inv
	s_clause 0x1b
	buffer_load_dword v2, off, s[0:3], 0 offset:584
	buffer_load_dword v3, off, s[0:3], 0 offset:588
	buffer_load_dword v99, off, s[0:3], 0 offset:600
	buffer_load_dword v100, off, s[0:3], 0 offset:604
	buffer_load_dword v101, off, s[0:3], 0 offset:576
	buffer_load_dword v102, off, s[0:3], 0 offset:580
	buffer_load_dword v103, off, s[0:3], 0 offset:616
	buffer_load_dword v104, off, s[0:3], 0 offset:620
	buffer_load_dword v105, off, s[0:3], 0 offset:592
	buffer_load_dword v106, off, s[0:3], 0 offset:596
	buffer_load_dword v108, off, s[0:3], 0 offset:636
	buffer_load_dword v109, off, s[0:3], 0 offset:648
	buffer_load_dword v111, off, s[0:3], 0 offset:640
	buffer_load_dword v107, off, s[0:3], 0 offset:632
	buffer_load_dword v113, off, s[0:3], 0 offset:608
	buffer_load_dword v114, off, s[0:3], 0 offset:612
	buffer_load_dword v110, off, s[0:3], 0 offset:652
	buffer_load_dword v116, off, s[0:3], 0 offset:628
	buffer_load_dword v115, off, s[0:3], 0 offset:624
	buffer_load_dword v118, off, s[0:3], 0 offset:668
	buffer_load_dword v117, off, s[0:3], 0 offset:664
	buffer_load_dword v112, off, s[0:3], 0 offset:644
	buffer_load_dword v120, off, s[0:3], 0 offset:660
	buffer_load_dword v119, off, s[0:3], 0 offset:656
	buffer_load_dword v121, off, s[0:3], 0 offset:560
	buffer_load_dword v122, off, s[0:3], 0 offset:564
	buffer_load_dword v123, off, s[0:3], 0 offset:568
	buffer_load_dword v124, off, s[0:3], 0 offset:572
	ds_read_b128 v[87:90], v1 offset:1216
	ds_read_b128 v[91:94], v1 offset:1232
	;; [unrolled: 1-line block ×3, first 2 shown]
	s_mov_b32 s4, exec_lo
	s_waitcnt vmcnt(26) lgkmcnt(2)
	v_mul_f64 v[125:126], v[89:90], v[2:3]
	v_mul_f64 v[2:3], v[87:88], v[2:3]
	s_waitcnt vmcnt(24) lgkmcnt(1)
	v_mul_f64 v[127:128], v[93:94], v[99:100]
	v_mul_f64 v[99:100], v[91:92], v[99:100]
	s_waitcnt vmcnt(22)
	v_fma_f64 v[125:126], v[87:88], v[101:102], -v[125:126]
	v_fma_f64 v[2:3], v[89:90], v[101:102], v[2:3]
	ds_read_b128 v[87:90], v1 offset:1264
	s_waitcnt vmcnt(20) lgkmcnt(1)
	v_mul_f64 v[101:102], v[95:96], v[103:104]
	v_mul_f64 v[103:104], v[97:98], v[103:104]
	s_waitcnt vmcnt(18)
	v_fma_f64 v[127:128], v[91:92], v[105:106], -v[127:128]
	v_fma_f64 v[99:100], v[93:94], v[105:106], v[99:100]
	ds_read_b128 v[91:94], v1 offset:1280
	s_waitcnt vmcnt(14) lgkmcnt(1)
	v_mul_f64 v[105:106], v[87:88], v[107:108]
	v_add_f64 v[125:126], v[125:126], 0
	v_add_f64 v[2:3], v[2:3], 0
	v_mul_f64 v[107:108], v[89:90], v[107:108]
	s_waitcnt vmcnt(12)
	v_fma_f64 v[95:96], v[95:96], v[113:114], -v[103:104]
	v_fma_f64 v[97:98], v[97:98], v[113:114], v[101:102]
	s_waitcnt vmcnt(11) lgkmcnt(0)
	v_mul_f64 v[101:102], v[91:92], v[109:110]
	v_mul_f64 v[109:110], v[93:94], v[109:110]
	s_waitcnt vmcnt(9)
	v_fma_f64 v[89:90], v[89:90], v[115:116], v[105:106]
	v_add_f64 v[103:104], v[125:126], v[127:128]
	v_add_f64 v[99:100], v[2:3], v[99:100]
	v_fma_f64 v[87:88], v[87:88], v[115:116], -v[107:108]
	ds_read_b128 v[1:4], v1 offset:1296
	s_waitcnt vmcnt(6)
	v_fma_f64 v[93:94], v[93:94], v[111:112], v[101:102]
	v_fma_f64 v[91:92], v[91:92], v[111:112], -v[109:110]
	v_add_f64 v[95:96], v[103:104], v[95:96]
	v_add_f64 v[97:98], v[99:100], v[97:98]
	s_waitcnt lgkmcnt(0)
	v_mul_f64 v[103:104], v[3:4], v[117:118]
	v_mul_f64 v[99:100], v[1:2], v[117:118]
	v_add_f64 v[87:88], v[95:96], v[87:88]
	v_add_f64 v[89:90], v[97:98], v[89:90]
	s_waitcnt vmcnt(4)
	v_fma_f64 v[1:2], v[1:2], v[119:120], -v[103:104]
	v_fma_f64 v[3:4], v[3:4], v[119:120], v[99:100]
	v_add_f64 v[87:88], v[87:88], v[91:92]
	v_add_f64 v[89:90], v[89:90], v[93:94]
	;; [unrolled: 1-line block ×4, first 2 shown]
	s_waitcnt vmcnt(2)
	v_add_f64 v[1:2], v[121:122], -v[1:2]
	s_waitcnt vmcnt(0)
	v_add_f64 v[3:4], v[123:124], -v[3:4]
	buffer_store_dword v2, off, s[0:3], 0 offset:564
	buffer_store_dword v1, off, s[0:3], 0 offset:560
	;; [unrolled: 1-line block ×4, first 2 shown]
	v_cmpx_lt_u32_e32 33, v0
	s_cbranch_execz .LBB104_193
; %bb.192:
	v_mov_b32_e32 v4, s19
	v_mov_b32_e32 v87, 0
	s_clause 0x3
	buffer_load_dword v1, v4, s[0:3], 0 offen
	buffer_load_dword v2, v4, s[0:3], 0 offen offset:4
	buffer_load_dword v3, v4, s[0:3], 0 offen offset:8
	buffer_load_dword v4, v4, s[0:3], 0 offen offset:12
	buffer_store_dword v87, off, s[0:3], 0 offset:544
	buffer_store_dword v87, off, s[0:3], 0 offset:548
	;; [unrolled: 1-line block ×4, first 2 shown]
	s_waitcnt vmcnt(0)
	ds_write_b128 v143, v[1:4]
.LBB104_193:
	s_or_b32 exec_lo, exec_lo, s4
	s_waitcnt lgkmcnt(0)
	s_waitcnt_vscnt null, 0x0
	s_barrier
	buffer_gl0_inv
	s_clause 0x1f
	buffer_load_dword v2, off, s[0:3], 0 offset:568
	buffer_load_dword v3, off, s[0:3], 0 offset:572
	;; [unrolled: 1-line block ×32, first 2 shown]
	v_mov_b32_e32 v1, 0
	ds_read_b128 v[87:90], v1 offset:1200
	ds_read_b128 v[91:94], v1 offset:1216
	;; [unrolled: 1-line block ×3, first 2 shown]
	s_mov_b32 s4, exec_lo
	s_waitcnt vmcnt(30) lgkmcnt(2)
	v_mul_f64 v[129:130], v[89:90], v[2:3]
	v_mul_f64 v[2:3], v[87:88], v[2:3]
	s_waitcnt vmcnt(28) lgkmcnt(1)
	v_mul_f64 v[131:132], v[93:94], v[99:100]
	v_mul_f64 v[99:100], v[91:92], v[99:100]
	s_waitcnt vmcnt(26)
	v_fma_f64 v[129:130], v[87:88], v[101:102], -v[129:130]
	v_fma_f64 v[2:3], v[89:90], v[101:102], v[2:3]
	ds_read_b128 v[87:90], v1 offset:1248
	s_waitcnt vmcnt(24) lgkmcnt(1)
	v_mul_f64 v[101:102], v[95:96], v[103:104]
	v_mul_f64 v[103:104], v[97:98], v[103:104]
	s_waitcnt vmcnt(22)
	v_fma_f64 v[131:132], v[91:92], v[105:106], -v[131:132]
	v_fma_f64 v[99:100], v[93:94], v[105:106], v[99:100]
	ds_read_b128 v[91:94], v1 offset:1264
	s_waitcnt vmcnt(18) lgkmcnt(1)
	v_mul_f64 v[105:106], v[87:88], v[107:108]
	v_add_f64 v[129:130], v[129:130], 0
	v_add_f64 v[2:3], v[2:3], 0
	v_mul_f64 v[107:108], v[89:90], v[107:108]
	s_waitcnt vmcnt(16)
	v_fma_f64 v[103:104], v[95:96], v[113:114], -v[103:104]
	v_fma_f64 v[101:102], v[97:98], v[113:114], v[101:102]
	ds_read_b128 v[95:98], v1 offset:1280
	s_waitcnt vmcnt(13)
	v_fma_f64 v[105:106], v[89:90], v[115:116], v[105:106]
	v_add_f64 v[129:130], v[129:130], v[131:132]
	v_add_f64 v[2:3], v[2:3], v[99:100]
	s_waitcnt lgkmcnt(1)
	v_mul_f64 v[99:100], v[91:92], v[109:110]
	v_mul_f64 v[109:110], v[93:94], v[109:110]
	v_fma_f64 v[107:108], v[87:88], v[115:116], -v[107:108]
	s_waitcnt vmcnt(9) lgkmcnt(0)
	v_mul_f64 v[113:114], v[97:98], v[117:118]
	ds_read_b128 v[87:90], v1 offset:1296
	v_add_f64 v[103:104], v[129:130], v[103:104]
	v_add_f64 v[2:3], v[2:3], v[101:102]
	v_mul_f64 v[101:102], v[95:96], v[117:118]
	s_waitcnt vmcnt(8)
	v_fma_f64 v[91:92], v[91:92], v[111:112], -v[109:110]
	v_fma_f64 v[93:94], v[93:94], v[111:112], v[99:100]
	s_waitcnt vmcnt(5)
	v_fma_f64 v[95:96], v[95:96], v[123:124], -v[113:114]
	s_waitcnt lgkmcnt(0)
	v_mul_f64 v[99:100], v[87:88], v[119:120]
	v_add_f64 v[103:104], v[103:104], v[107:108]
	v_add_f64 v[2:3], v[2:3], v[105:106]
	v_mul_f64 v[105:106], v[89:90], v[119:120]
	v_fma_f64 v[97:98], v[97:98], v[123:124], v[101:102]
	s_waitcnt vmcnt(4)
	v_fma_f64 v[89:90], v[89:90], v[121:122], v[99:100]
	v_add_f64 v[91:92], v[103:104], v[91:92]
	v_add_f64 v[2:3], v[2:3], v[93:94]
	v_fma_f64 v[87:88], v[87:88], v[121:122], -v[105:106]
	v_add_f64 v[91:92], v[91:92], v[95:96]
	v_add_f64 v[2:3], v[2:3], v[97:98]
	;; [unrolled: 1-line block ×4, first 2 shown]
	s_waitcnt vmcnt(2)
	v_add_f64 v[87:88], v[125:126], -v[87:88]
	s_waitcnt vmcnt(0)
	v_add_f64 v[2:3], v[127:128], -v[2:3]
	buffer_store_dword v88, off, s[0:3], 0 offset:548
	buffer_store_dword v87, off, s[0:3], 0 offset:544
	;; [unrolled: 1-line block ×4, first 2 shown]
	v_cmpx_lt_u32_e32 32, v0
	s_cbranch_execz .LBB104_195
; %bb.194:
	v_mov_b32_e32 v2, s20
	s_clause 0x3
	buffer_load_dword v87, v2, s[0:3], 0 offen
	buffer_load_dword v88, v2, s[0:3], 0 offen offset:4
	buffer_load_dword v89, v2, s[0:3], 0 offen offset:8
	;; [unrolled: 1-line block ×3, first 2 shown]
	buffer_store_dword v1, off, s[0:3], 0 offset:528
	buffer_store_dword v1, off, s[0:3], 0 offset:532
	;; [unrolled: 1-line block ×4, first 2 shown]
	s_waitcnt vmcnt(0)
	ds_write_b128 v143, v[87:90]
.LBB104_195:
	s_or_b32 exec_lo, exec_lo, s4
	s_waitcnt lgkmcnt(0)
	s_waitcnt_vscnt null, 0x0
	s_barrier
	buffer_gl0_inv
	s_clause 0x23
	buffer_load_dword v2, off, s[0:3], 0 offset:552
	buffer_load_dword v3, off, s[0:3], 0 offset:556
	;; [unrolled: 1-line block ×36, first 2 shown]
	ds_read_b128 v[87:90], v1 offset:1184
	ds_read_b128 v[91:94], v1 offset:1200
	;; [unrolled: 1-line block ×3, first 2 shown]
	s_mov_b32 s4, exec_lo
	s_waitcnt vmcnt(34) lgkmcnt(2)
	v_mul_f64 v[133:134], v[89:90], v[2:3]
	v_mul_f64 v[2:3], v[87:88], v[2:3]
	s_waitcnt vmcnt(32) lgkmcnt(1)
	v_mul_f64 v[135:136], v[93:94], v[99:100]
	v_mul_f64 v[99:100], v[91:92], v[99:100]
	s_waitcnt vmcnt(30)
	v_fma_f64 v[133:134], v[87:88], v[101:102], -v[133:134]
	v_fma_f64 v[2:3], v[89:90], v[101:102], v[2:3]
	ds_read_b128 v[87:90], v1 offset:1232
	s_waitcnt vmcnt(28) lgkmcnt(1)
	v_mul_f64 v[101:102], v[95:96], v[103:104]
	v_mul_f64 v[103:104], v[97:98], v[103:104]
	s_waitcnt vmcnt(26)
	v_fma_f64 v[135:136], v[91:92], v[105:106], -v[135:136]
	v_fma_f64 v[99:100], v[93:94], v[105:106], v[99:100]
	ds_read_b128 v[91:94], v1 offset:1248
	s_waitcnt vmcnt(22) lgkmcnt(1)
	v_mul_f64 v[105:106], v[87:88], v[107:108]
	v_add_f64 v[133:134], v[133:134], 0
	v_add_f64 v[2:3], v[2:3], 0
	v_mul_f64 v[107:108], v[89:90], v[107:108]
	s_waitcnt vmcnt(20)
	v_fma_f64 v[103:104], v[95:96], v[113:114], -v[103:104]
	v_fma_f64 v[101:102], v[97:98], v[113:114], v[101:102]
	ds_read_b128 v[95:98], v1 offset:1264
	s_waitcnt vmcnt(17)
	v_fma_f64 v[105:106], v[89:90], v[115:116], v[105:106]
	v_add_f64 v[133:134], v[133:134], v[135:136]
	v_add_f64 v[2:3], v[2:3], v[99:100]
	s_waitcnt lgkmcnt(1)
	v_mul_f64 v[99:100], v[91:92], v[109:110]
	v_mul_f64 v[109:110], v[93:94], v[109:110]
	v_fma_f64 v[107:108], v[87:88], v[115:116], -v[107:108]
	s_waitcnt vmcnt(13) lgkmcnt(0)
	v_mul_f64 v[113:114], v[97:98], v[117:118]
	ds_read_b128 v[87:90], v1 offset:1280
	v_add_f64 v[103:104], v[133:134], v[103:104]
	v_add_f64 v[2:3], v[2:3], v[101:102]
	v_mul_f64 v[101:102], v[95:96], v[117:118]
	s_waitcnt vmcnt(12)
	v_fma_f64 v[91:92], v[91:92], v[111:112], -v[109:110]
	v_fma_f64 v[93:94], v[93:94], v[111:112], v[99:100]
	s_waitcnt vmcnt(9)
	v_fma_f64 v[95:96], v[95:96], v[123:124], -v[113:114]
	v_add_f64 v[103:104], v[103:104], v[107:108]
	v_add_f64 v[99:100], v[2:3], v[105:106]
	s_waitcnt lgkmcnt(0)
	v_mul_f64 v[107:108], v[89:90], v[119:120]
	ds_read_b128 v[1:4], v1 offset:1296
	v_mul_f64 v[105:106], v[87:88], v[119:120]
	v_fma_f64 v[97:98], v[97:98], v[123:124], v[101:102]
	v_add_f64 v[91:92], v[103:104], v[91:92]
	v_add_f64 v[93:94], v[99:100], v[93:94]
	s_waitcnt vmcnt(7) lgkmcnt(0)
	v_mul_f64 v[101:102], v[3:4], v[125:126]
	s_waitcnt vmcnt(6)
	v_fma_f64 v[87:88], v[87:88], v[121:122], -v[107:108]
	v_mul_f64 v[99:100], v[1:2], v[125:126]
	v_fma_f64 v[89:90], v[89:90], v[121:122], v[105:106]
	v_add_f64 v[91:92], v[91:92], v[95:96]
	v_add_f64 v[93:94], v[93:94], v[97:98]
	s_waitcnt vmcnt(4)
	v_fma_f64 v[1:2], v[1:2], v[127:128], -v[101:102]
	v_fma_f64 v[3:4], v[3:4], v[127:128], v[99:100]
	v_add_f64 v[87:88], v[91:92], v[87:88]
	v_add_f64 v[89:90], v[93:94], v[89:90]
	;; [unrolled: 1-line block ×4, first 2 shown]
	s_waitcnt vmcnt(2)
	v_add_f64 v[1:2], v[129:130], -v[1:2]
	s_waitcnt vmcnt(0)
	v_add_f64 v[3:4], v[131:132], -v[3:4]
	buffer_store_dword v2, off, s[0:3], 0 offset:532
	buffer_store_dword v1, off, s[0:3], 0 offset:528
	;; [unrolled: 1-line block ×4, first 2 shown]
	v_cmpx_lt_u32_e32 31, v0
	s_cbranch_execz .LBB104_197
; %bb.196:
	v_mov_b32_e32 v4, s21
	v_mov_b32_e32 v87, 0
	s_clause 0x3
	buffer_load_dword v1, v4, s[0:3], 0 offen
	buffer_load_dword v2, v4, s[0:3], 0 offen offset:4
	buffer_load_dword v3, v4, s[0:3], 0 offen offset:8
	;; [unrolled: 1-line block ×3, first 2 shown]
	buffer_store_dword v87, off, s[0:3], 0 offset:512
	buffer_store_dword v87, off, s[0:3], 0 offset:516
	buffer_store_dword v87, off, s[0:3], 0 offset:520
	buffer_store_dword v87, off, s[0:3], 0 offset:524
	s_waitcnt vmcnt(0)
	ds_write_b128 v143, v[1:4]
.LBB104_197:
	s_or_b32 exec_lo, exec_lo, s4
	s_waitcnt lgkmcnt(0)
	s_waitcnt_vscnt null, 0x0
	s_barrier
	buffer_gl0_inv
	s_clause 0x27
	buffer_load_dword v2, off, s[0:3], 0 offset:536
	buffer_load_dword v3, off, s[0:3], 0 offset:540
	;; [unrolled: 1-line block ×40, first 2 shown]
	v_mov_b32_e32 v1, 0
	ds_read_b128 v[87:90], v1 offset:1168
	ds_read_b128 v[91:94], v1 offset:1184
	;; [unrolled: 1-line block ×3, first 2 shown]
	s_mov_b32 s4, exec_lo
	s_waitcnt vmcnt(38) lgkmcnt(2)
	v_mul_f64 v[137:138], v[89:90], v[2:3]
	v_mul_f64 v[2:3], v[87:88], v[2:3]
	s_waitcnt vmcnt(36) lgkmcnt(1)
	v_mul_f64 v[139:140], v[93:94], v[99:100]
	v_mul_f64 v[99:100], v[91:92], v[99:100]
	s_waitcnt vmcnt(34)
	v_fma_f64 v[137:138], v[87:88], v[101:102], -v[137:138]
	v_fma_f64 v[2:3], v[89:90], v[101:102], v[2:3]
	ds_read_b128 v[87:90], v1 offset:1216
	s_waitcnt vmcnt(32) lgkmcnt(1)
	v_mul_f64 v[101:102], v[95:96], v[103:104]
	v_mul_f64 v[103:104], v[97:98], v[103:104]
	s_waitcnt vmcnt(30)
	v_fma_f64 v[139:140], v[91:92], v[105:106], -v[139:140]
	v_fma_f64 v[99:100], v[93:94], v[105:106], v[99:100]
	ds_read_b128 v[91:94], v1 offset:1232
	s_waitcnt vmcnt(26) lgkmcnt(1)
	v_mul_f64 v[105:106], v[87:88], v[107:108]
	v_add_f64 v[137:138], v[137:138], 0
	v_add_f64 v[2:3], v[2:3], 0
	v_mul_f64 v[107:108], v[89:90], v[107:108]
	s_waitcnt vmcnt(24)
	v_fma_f64 v[103:104], v[95:96], v[113:114], -v[103:104]
	v_fma_f64 v[101:102], v[97:98], v[113:114], v[101:102]
	ds_read_b128 v[95:98], v1 offset:1248
	s_waitcnt vmcnt(21)
	v_fma_f64 v[105:106], v[89:90], v[115:116], v[105:106]
	v_add_f64 v[137:138], v[137:138], v[139:140]
	v_add_f64 v[2:3], v[2:3], v[99:100]
	s_waitcnt lgkmcnt(1)
	v_mul_f64 v[99:100], v[91:92], v[109:110]
	v_mul_f64 v[109:110], v[93:94], v[109:110]
	v_fma_f64 v[107:108], v[87:88], v[115:116], -v[107:108]
	s_waitcnt vmcnt(17) lgkmcnt(0)
	v_mul_f64 v[113:114], v[97:98], v[117:118]
	ds_read_b128 v[87:90], v1 offset:1264
	v_add_f64 v[103:104], v[137:138], v[103:104]
	v_add_f64 v[2:3], v[2:3], v[101:102]
	v_mul_f64 v[101:102], v[95:96], v[117:118]
	s_waitcnt vmcnt(16)
	v_fma_f64 v[109:110], v[91:92], v[111:112], -v[109:110]
	v_fma_f64 v[99:100], v[93:94], v[111:112], v[99:100]
	ds_read_b128 v[91:94], v1 offset:1280
	s_waitcnt vmcnt(13)
	v_fma_f64 v[111:112], v[95:96], v[123:124], -v[113:114]
	v_add_f64 v[103:104], v[103:104], v[107:108]
	v_add_f64 v[2:3], v[2:3], v[105:106]
	s_waitcnt lgkmcnt(1)
	v_mul_f64 v[107:108], v[89:90], v[119:120]
	v_mul_f64 v[105:106], v[87:88], v[119:120]
	v_fma_f64 v[101:102], v[97:98], v[123:124], v[101:102]
	ds_read_b128 v[95:98], v1 offset:1296
	v_add_f64 v[103:104], v[103:104], v[109:110]
	v_add_f64 v[2:3], v[2:3], v[99:100]
	s_waitcnt vmcnt(9) lgkmcnt(1)
	v_mul_f64 v[109:110], v[93:94], v[125:126]
	s_waitcnt vmcnt(8)
	v_fma_f64 v[87:88], v[87:88], v[121:122], -v[107:108]
	v_mul_f64 v[99:100], v[91:92], v[125:126]
	v_fma_f64 v[89:90], v[89:90], v[121:122], v[105:106]
	s_waitcnt vmcnt(7) lgkmcnt(0)
	v_mul_f64 v[105:106], v[97:98], v[127:128]
	v_add_f64 v[103:104], v[103:104], v[111:112]
	v_add_f64 v[2:3], v[2:3], v[101:102]
	s_waitcnt vmcnt(5)
	v_fma_f64 v[91:92], v[91:92], v[131:132], -v[109:110]
	v_mul_f64 v[101:102], v[95:96], v[127:128]
	v_fma_f64 v[93:94], v[93:94], v[131:132], v[99:100]
	v_add_f64 v[87:88], v[103:104], v[87:88]
	v_add_f64 v[2:3], v[2:3], v[89:90]
	s_waitcnt vmcnt(4)
	v_fma_f64 v[89:90], v[95:96], v[129:130], -v[105:106]
	v_add_f64 v[87:88], v[87:88], v[91:92]
	v_fma_f64 v[91:92], v[97:98], v[129:130], v[101:102]
	v_add_f64 v[2:3], v[2:3], v[93:94]
	v_add_f64 v[87:88], v[87:88], v[89:90]
	;; [unrolled: 1-line block ×3, first 2 shown]
	s_waitcnt vmcnt(2)
	v_add_f64 v[87:88], v[133:134], -v[87:88]
	s_waitcnt vmcnt(0)
	v_add_f64 v[2:3], v[135:136], -v[2:3]
	buffer_store_dword v88, off, s[0:3], 0 offset:516
	buffer_store_dword v87, off, s[0:3], 0 offset:512
	;; [unrolled: 1-line block ×4, first 2 shown]
	v_cmpx_lt_u32_e32 30, v0
	s_cbranch_execz .LBB104_199
; %bb.198:
	v_mov_b32_e32 v2, s22
	s_clause 0x3
	buffer_load_dword v87, v2, s[0:3], 0 offen
	buffer_load_dword v88, v2, s[0:3], 0 offen offset:4
	buffer_load_dword v89, v2, s[0:3], 0 offen offset:8
	;; [unrolled: 1-line block ×3, first 2 shown]
	buffer_store_dword v1, off, s[0:3], 0 offset:496
	buffer_store_dword v1, off, s[0:3], 0 offset:500
	;; [unrolled: 1-line block ×4, first 2 shown]
	s_waitcnt vmcnt(0)
	ds_write_b128 v143, v[87:90]
.LBB104_199:
	s_or_b32 exec_lo, exec_lo, s4
	s_waitcnt lgkmcnt(0)
	s_waitcnt_vscnt null, 0x0
	s_barrier
	buffer_gl0_inv
	s_clause 0x2b
	buffer_load_dword v2, off, s[0:3], 0 offset:520
	buffer_load_dword v3, off, s[0:3], 0 offset:524
	;; [unrolled: 1-line block ×44, first 2 shown]
	ds_read_b128 v[87:90], v1 offset:1152
	ds_read_b128 v[91:94], v1 offset:1168
	;; [unrolled: 1-line block ×3, first 2 shown]
	s_mov_b32 s4, exec_lo
	s_waitcnt vmcnt(42) lgkmcnt(2)
	v_mul_f64 v[141:142], v[89:90], v[2:3]
	v_mul_f64 v[2:3], v[87:88], v[2:3]
	s_waitcnt vmcnt(40) lgkmcnt(1)
	v_mul_f64 v[144:145], v[93:94], v[99:100]
	v_mul_f64 v[99:100], v[91:92], v[99:100]
	s_waitcnt vmcnt(38)
	v_fma_f64 v[141:142], v[87:88], v[101:102], -v[141:142]
	v_fma_f64 v[2:3], v[89:90], v[101:102], v[2:3]
	ds_read_b128 v[87:90], v1 offset:1200
	s_waitcnt vmcnt(36) lgkmcnt(1)
	v_mul_f64 v[101:102], v[95:96], v[103:104]
	v_mul_f64 v[103:104], v[97:98], v[103:104]
	s_waitcnt vmcnt(34)
	v_fma_f64 v[144:145], v[91:92], v[105:106], -v[144:145]
	v_fma_f64 v[99:100], v[93:94], v[105:106], v[99:100]
	ds_read_b128 v[91:94], v1 offset:1216
	s_waitcnt vmcnt(30) lgkmcnt(1)
	v_mul_f64 v[105:106], v[87:88], v[107:108]
	v_add_f64 v[141:142], v[141:142], 0
	v_add_f64 v[2:3], v[2:3], 0
	v_mul_f64 v[107:108], v[89:90], v[107:108]
	s_waitcnt vmcnt(28)
	v_fma_f64 v[103:104], v[95:96], v[113:114], -v[103:104]
	v_fma_f64 v[101:102], v[97:98], v[113:114], v[101:102]
	ds_read_b128 v[95:98], v1 offset:1232
	s_waitcnt vmcnt(25)
	v_fma_f64 v[105:106], v[89:90], v[115:116], v[105:106]
	v_add_f64 v[141:142], v[141:142], v[144:145]
	v_add_f64 v[2:3], v[2:3], v[99:100]
	s_waitcnt lgkmcnt(1)
	v_mul_f64 v[99:100], v[91:92], v[109:110]
	v_mul_f64 v[109:110], v[93:94], v[109:110]
	v_fma_f64 v[107:108], v[87:88], v[115:116], -v[107:108]
	s_waitcnt vmcnt(21) lgkmcnt(0)
	v_mul_f64 v[113:114], v[97:98], v[117:118]
	ds_read_b128 v[87:90], v1 offset:1248
	v_add_f64 v[103:104], v[141:142], v[103:104]
	v_add_f64 v[2:3], v[2:3], v[101:102]
	v_mul_f64 v[101:102], v[95:96], v[117:118]
	s_waitcnt vmcnt(20)
	v_fma_f64 v[109:110], v[91:92], v[111:112], -v[109:110]
	v_fma_f64 v[99:100], v[93:94], v[111:112], v[99:100]
	ds_read_b128 v[91:94], v1 offset:1264
	s_waitcnt vmcnt(17)
	v_fma_f64 v[111:112], v[95:96], v[123:124], -v[113:114]
	v_add_f64 v[103:104], v[103:104], v[107:108]
	v_add_f64 v[2:3], v[2:3], v[105:106]
	s_waitcnt lgkmcnt(1)
	v_mul_f64 v[107:108], v[89:90], v[119:120]
	v_mul_f64 v[105:106], v[87:88], v[119:120]
	v_fma_f64 v[101:102], v[97:98], v[123:124], v[101:102]
	ds_read_b128 v[95:98], v1 offset:1280
	v_add_f64 v[103:104], v[103:104], v[109:110]
	v_add_f64 v[2:3], v[2:3], v[99:100]
	s_waitcnt vmcnt(13) lgkmcnt(1)
	v_mul_f64 v[109:110], v[93:94], v[125:126]
	s_waitcnt vmcnt(12)
	v_fma_f64 v[87:88], v[87:88], v[121:122], -v[107:108]
	v_mul_f64 v[99:100], v[91:92], v[125:126]
	v_fma_f64 v[89:90], v[89:90], v[121:122], v[105:106]
	s_waitcnt vmcnt(11) lgkmcnt(0)
	v_mul_f64 v[107:108], v[97:98], v[127:128]
	v_mul_f64 v[105:106], v[95:96], v[127:128]
	v_add_f64 v[103:104], v[103:104], v[111:112]
	v_add_f64 v[101:102], v[2:3], v[101:102]
	s_waitcnt vmcnt(9)
	v_fma_f64 v[91:92], v[91:92], v[131:132], -v[109:110]
	ds_read_b128 v[1:4], v1 offset:1296
	v_fma_f64 v[93:94], v[93:94], v[131:132], v[99:100]
	s_waitcnt vmcnt(6)
	v_fma_f64 v[95:96], v[95:96], v[129:130], -v[107:108]
	v_add_f64 v[87:88], v[103:104], v[87:88]
	v_add_f64 v[89:90], v[101:102], v[89:90]
	s_waitcnt lgkmcnt(0)
	v_mul_f64 v[101:102], v[3:4], v[133:134]
	v_mul_f64 v[99:100], v[1:2], v[133:134]
	v_add_f64 v[87:88], v[87:88], v[91:92]
	v_fma_f64 v[91:92], v[97:98], v[129:130], v[105:106]
	v_add_f64 v[89:90], v[89:90], v[93:94]
	s_waitcnt vmcnt(4)
	v_fma_f64 v[1:2], v[1:2], v[135:136], -v[101:102]
	v_fma_f64 v[3:4], v[3:4], v[135:136], v[99:100]
	v_add_f64 v[87:88], v[87:88], v[95:96]
	v_add_f64 v[89:90], v[89:90], v[91:92]
	;; [unrolled: 1-line block ×4, first 2 shown]
	s_waitcnt vmcnt(2)
	v_add_f64 v[1:2], v[137:138], -v[1:2]
	s_waitcnt vmcnt(0)
	v_add_f64 v[3:4], v[139:140], -v[3:4]
	buffer_store_dword v2, off, s[0:3], 0 offset:500
	buffer_store_dword v1, off, s[0:3], 0 offset:496
	;; [unrolled: 1-line block ×4, first 2 shown]
	v_cmpx_lt_u32_e32 29, v0
	s_cbranch_execz .LBB104_201
; %bb.200:
	v_mov_b32_e32 v4, s23
	v_mov_b32_e32 v87, 0
	s_clause 0x3
	buffer_load_dword v1, v4, s[0:3], 0 offen
	buffer_load_dword v2, v4, s[0:3], 0 offen offset:4
	buffer_load_dword v3, v4, s[0:3], 0 offen offset:8
	;; [unrolled: 1-line block ×3, first 2 shown]
	buffer_store_dword v87, off, s[0:3], 0 offset:480
	buffer_store_dword v87, off, s[0:3], 0 offset:484
	;; [unrolled: 1-line block ×4, first 2 shown]
	s_waitcnt vmcnt(0)
	ds_write_b128 v143, v[1:4]
.LBB104_201:
	s_or_b32 exec_lo, exec_lo, s4
	s_waitcnt lgkmcnt(0)
	s_waitcnt_vscnt null, 0x0
	s_barrier
	buffer_gl0_inv
	s_clause 0x2f
	buffer_load_dword v2, off, s[0:3], 0 offset:504
	buffer_load_dword v3, off, s[0:3], 0 offset:508
	;; [unrolled: 1-line block ×48, first 2 shown]
	v_mov_b32_e32 v1, 0
	ds_read_b128 v[87:90], v1 offset:1136
	ds_read_b128 v[91:94], v1 offset:1152
	;; [unrolled: 1-line block ×3, first 2 shown]
	s_mov_b32 s4, exec_lo
	s_waitcnt vmcnt(46) lgkmcnt(2)
	v_mul_f64 v[146:147], v[89:90], v[2:3]
	v_mul_f64 v[2:3], v[87:88], v[2:3]
	s_waitcnt vmcnt(44) lgkmcnt(1)
	v_mul_f64 v[148:149], v[93:94], v[99:100]
	v_mul_f64 v[99:100], v[91:92], v[99:100]
	s_waitcnt vmcnt(42)
	v_fma_f64 v[146:147], v[87:88], v[101:102], -v[146:147]
	v_fma_f64 v[2:3], v[89:90], v[101:102], v[2:3]
	ds_read_b128 v[87:90], v1 offset:1184
	s_waitcnt vmcnt(40) lgkmcnt(1)
	v_mul_f64 v[101:102], v[95:96], v[103:104]
	v_mul_f64 v[103:104], v[97:98], v[103:104]
	s_waitcnt vmcnt(38)
	v_fma_f64 v[148:149], v[91:92], v[105:106], -v[148:149]
	v_fma_f64 v[99:100], v[93:94], v[105:106], v[99:100]
	ds_read_b128 v[91:94], v1 offset:1200
	s_waitcnt vmcnt(34) lgkmcnt(1)
	v_mul_f64 v[105:106], v[87:88], v[107:108]
	v_add_f64 v[146:147], v[146:147], 0
	v_add_f64 v[2:3], v[2:3], 0
	v_mul_f64 v[107:108], v[89:90], v[107:108]
	s_waitcnt vmcnt(32)
	v_fma_f64 v[103:104], v[95:96], v[113:114], -v[103:104]
	v_fma_f64 v[101:102], v[97:98], v[113:114], v[101:102]
	ds_read_b128 v[95:98], v1 offset:1216
	s_waitcnt vmcnt(29)
	v_fma_f64 v[105:106], v[89:90], v[115:116], v[105:106]
	v_add_f64 v[146:147], v[146:147], v[148:149]
	v_add_f64 v[2:3], v[2:3], v[99:100]
	s_waitcnt lgkmcnt(1)
	v_mul_f64 v[99:100], v[91:92], v[109:110]
	v_mul_f64 v[109:110], v[93:94], v[109:110]
	v_fma_f64 v[107:108], v[87:88], v[115:116], -v[107:108]
	s_waitcnt vmcnt(25) lgkmcnt(0)
	v_mul_f64 v[113:114], v[97:98], v[117:118]
	ds_read_b128 v[87:90], v1 offset:1232
	v_add_f64 v[103:104], v[146:147], v[103:104]
	v_add_f64 v[2:3], v[2:3], v[101:102]
	v_mul_f64 v[101:102], v[95:96], v[117:118]
	s_waitcnt vmcnt(24)
	v_fma_f64 v[109:110], v[91:92], v[111:112], -v[109:110]
	v_fma_f64 v[99:100], v[93:94], v[111:112], v[99:100]
	ds_read_b128 v[91:94], v1 offset:1248
	s_waitcnt vmcnt(21)
	v_fma_f64 v[111:112], v[95:96], v[123:124], -v[113:114]
	v_add_f64 v[103:104], v[103:104], v[107:108]
	v_add_f64 v[2:3], v[2:3], v[105:106]
	s_waitcnt lgkmcnt(1)
	v_mul_f64 v[107:108], v[89:90], v[119:120]
	v_mul_f64 v[105:106], v[87:88], v[119:120]
	v_fma_f64 v[101:102], v[97:98], v[123:124], v[101:102]
	ds_read_b128 v[95:98], v1 offset:1264
	v_add_f64 v[103:104], v[103:104], v[109:110]
	v_add_f64 v[2:3], v[2:3], v[99:100]
	s_waitcnt vmcnt(17) lgkmcnt(1)
	v_mul_f64 v[109:110], v[93:94], v[125:126]
	s_waitcnt vmcnt(16)
	v_fma_f64 v[107:108], v[87:88], v[121:122], -v[107:108]
	v_mul_f64 v[99:100], v[91:92], v[125:126]
	v_fma_f64 v[105:106], v[89:90], v[121:122], v[105:106]
	ds_read_b128 v[87:90], v1 offset:1280
	v_add_f64 v[103:104], v[103:104], v[111:112]
	v_add_f64 v[2:3], v[2:3], v[101:102]
	s_waitcnt vmcnt(15) lgkmcnt(1)
	v_mul_f64 v[111:112], v[97:98], v[127:128]
	s_waitcnt vmcnt(13)
	v_fma_f64 v[109:110], v[91:92], v[131:132], -v[109:110]
	;; [unrolled: 9-line block ×3, first 2 shown]
	v_mul_f64 v[105:106], v[87:88], v[133:134]
	v_fma_f64 v[97:98], v[97:98], v[129:130], v[101:102]
	s_waitcnt vmcnt(7) lgkmcnt(0)
	v_mul_f64 v[101:102], v[93:94], v[135:136]
	v_add_f64 v[103:104], v[103:104], v[109:110]
	v_add_f64 v[2:3], v[2:3], v[99:100]
	s_waitcnt vmcnt(5)
	v_fma_f64 v[87:88], v[87:88], v[139:140], -v[107:108]
	v_mul_f64 v[99:100], v[91:92], v[135:136]
	v_fma_f64 v[89:90], v[89:90], v[139:140], v[105:106]
	s_waitcnt vmcnt(4)
	v_fma_f64 v[91:92], v[91:92], v[137:138], -v[101:102]
	v_add_f64 v[95:96], v[103:104], v[95:96]
	v_add_f64 v[2:3], v[2:3], v[97:98]
	v_fma_f64 v[93:94], v[93:94], v[137:138], v[99:100]
	v_add_f64 v[87:88], v[95:96], v[87:88]
	v_add_f64 v[2:3], v[2:3], v[89:90]
	;; [unrolled: 1-line block ×4, first 2 shown]
	s_waitcnt vmcnt(2)
	v_add_f64 v[87:88], v[141:142], -v[87:88]
	s_waitcnt vmcnt(0)
	v_add_f64 v[2:3], v[144:145], -v[2:3]
	buffer_store_dword v88, off, s[0:3], 0 offset:484
	buffer_store_dword v87, off, s[0:3], 0 offset:480
	;; [unrolled: 1-line block ×4, first 2 shown]
	v_cmpx_lt_u32_e32 28, v0
	s_cbranch_execz .LBB104_203
; %bb.202:
	v_mov_b32_e32 v2, s24
	s_clause 0x3
	buffer_load_dword v87, v2, s[0:3], 0 offen
	buffer_load_dword v88, v2, s[0:3], 0 offen offset:4
	buffer_load_dword v89, v2, s[0:3], 0 offen offset:8
	;; [unrolled: 1-line block ×3, first 2 shown]
	buffer_store_dword v1, off, s[0:3], 0 offset:464
	buffer_store_dword v1, off, s[0:3], 0 offset:468
	;; [unrolled: 1-line block ×4, first 2 shown]
	s_waitcnt vmcnt(0)
	ds_write_b128 v143, v[87:90]
.LBB104_203:
	s_or_b32 exec_lo, exec_lo, s4
	s_waitcnt lgkmcnt(0)
	s_waitcnt_vscnt null, 0x0
	s_barrier
	buffer_gl0_inv
	s_clause 0x2f
	buffer_load_dword v2, off, s[0:3], 0 offset:488
	buffer_load_dword v3, off, s[0:3], 0 offset:492
	;; [unrolled: 1-line block ×48, first 2 shown]
	ds_read_b128 v[87:90], v1 offset:1120
	s_clause 0x3
	buffer_load_dword v146, off, s[0:3], 0 offset:464
	buffer_load_dword v147, off, s[0:3], 0 offset:468
	buffer_load_dword v148, off, s[0:3], 0 offset:472
	buffer_load_dword v149, off, s[0:3], 0 offset:476
	ds_read_b128 v[91:94], v1 offset:1136
	ds_read_b128 v[95:98], v1 offset:1152
	s_mov_b32 s4, exec_lo
	s_waitcnt vmcnt(50) lgkmcnt(2)
	v_mul_f64 v[150:151], v[89:90], v[2:3]
	v_mul_f64 v[2:3], v[87:88], v[2:3]
	s_waitcnt vmcnt(48) lgkmcnt(1)
	v_mul_f64 v[152:153], v[93:94], v[99:100]
	v_mul_f64 v[99:100], v[91:92], v[99:100]
	s_waitcnt vmcnt(46)
	v_fma_f64 v[150:151], v[87:88], v[101:102], -v[150:151]
	v_fma_f64 v[2:3], v[89:90], v[101:102], v[2:3]
	s_waitcnt vmcnt(44) lgkmcnt(0)
	v_mul_f64 v[101:102], v[95:96], v[103:104]
	v_mul_f64 v[103:104], v[97:98], v[103:104]
	s_waitcnt vmcnt(42)
	v_fma_f64 v[152:153], v[91:92], v[105:106], -v[152:153]
	ds_read_b128 v[87:90], v1 offset:1168
	v_fma_f64 v[99:100], v[93:94], v[105:106], v[99:100]
	ds_read_b128 v[91:94], v1 offset:1184
	v_add_f64 v[150:151], v[150:151], 0
	v_add_f64 v[2:3], v[2:3], 0
	s_waitcnt vmcnt(36)
	v_fma_f64 v[101:102], v[97:98], v[113:114], v[101:102]
	s_waitcnt lgkmcnt(1)
	v_mul_f64 v[105:106], v[87:88], v[107:108]
	v_mul_f64 v[107:108], v[89:90], v[107:108]
	v_fma_f64 v[103:104], v[95:96], v[113:114], -v[103:104]
	ds_read_b128 v[95:98], v1 offset:1200
	v_add_f64 v[150:151], v[150:151], v[152:153]
	v_add_f64 v[2:3], v[2:3], v[99:100]
	s_waitcnt vmcnt(35) lgkmcnt(1)
	v_mul_f64 v[99:100], v[91:92], v[109:110]
	v_mul_f64 v[109:110], v[93:94], v[109:110]
	s_waitcnt vmcnt(33)
	v_fma_f64 v[107:108], v[87:88], v[115:116], -v[107:108]
	v_fma_f64 v[105:106], v[89:90], v[115:116], v[105:106]
	ds_read_b128 v[87:90], v1 offset:1216
	s_waitcnt vmcnt(29) lgkmcnt(1)
	v_mul_f64 v[113:114], v[97:98], v[117:118]
	v_add_f64 v[103:104], v[150:151], v[103:104]
	v_add_f64 v[2:3], v[2:3], v[101:102]
	v_mul_f64 v[101:102], v[95:96], v[117:118]
	s_waitcnt vmcnt(28)
	v_fma_f64 v[109:110], v[91:92], v[111:112], -v[109:110]
	v_fma_f64 v[99:100], v[93:94], v[111:112], v[99:100]
	ds_read_b128 v[91:94], v1 offset:1232
	s_waitcnt vmcnt(25)
	v_fma_f64 v[111:112], v[95:96], v[123:124], -v[113:114]
	v_add_f64 v[103:104], v[103:104], v[107:108]
	v_add_f64 v[2:3], v[2:3], v[105:106]
	s_waitcnt lgkmcnt(1)
	v_mul_f64 v[107:108], v[89:90], v[119:120]
	v_mul_f64 v[105:106], v[87:88], v[119:120]
	v_fma_f64 v[101:102], v[97:98], v[123:124], v[101:102]
	ds_read_b128 v[95:98], v1 offset:1248
	v_add_f64 v[103:104], v[103:104], v[109:110]
	v_add_f64 v[2:3], v[2:3], v[99:100]
	s_waitcnt vmcnt(21) lgkmcnt(1)
	v_mul_f64 v[109:110], v[93:94], v[125:126]
	s_waitcnt vmcnt(20)
	v_fma_f64 v[107:108], v[87:88], v[121:122], -v[107:108]
	v_mul_f64 v[99:100], v[91:92], v[125:126]
	v_fma_f64 v[105:106], v[89:90], v[121:122], v[105:106]
	ds_read_b128 v[87:90], v1 offset:1264
	v_add_f64 v[103:104], v[103:104], v[111:112]
	v_add_f64 v[2:3], v[2:3], v[101:102]
	s_waitcnt vmcnt(19) lgkmcnt(1)
	v_mul_f64 v[111:112], v[97:98], v[127:128]
	s_waitcnt vmcnt(17)
	v_fma_f64 v[109:110], v[91:92], v[131:132], -v[109:110]
	;; [unrolled: 9-line block ×3, first 2 shown]
	v_mul_f64 v[105:106], v[87:88], v[133:134]
	v_fma_f64 v[97:98], v[97:98], v[129:130], v[101:102]
	s_waitcnt vmcnt(11) lgkmcnt(0)
	v_mul_f64 v[101:102], v[91:92], v[135:136]
	v_add_f64 v[103:104], v[103:104], v[109:110]
	v_add_f64 v[99:100], v[2:3], v[99:100]
	v_mul_f64 v[109:110], v[93:94], v[135:136]
	s_waitcnt vmcnt(9)
	v_fma_f64 v[87:88], v[87:88], v[139:140], -v[107:108]
	ds_read_b128 v[1:4], v1 offset:1296
	v_fma_f64 v[89:90], v[89:90], v[139:140], v[105:106]
	s_waitcnt vmcnt(6)
	v_fma_f64 v[93:94], v[93:94], v[137:138], v[101:102]
	v_add_f64 v[95:96], v[103:104], v[95:96]
	v_add_f64 v[97:98], v[99:100], v[97:98]
	s_waitcnt lgkmcnt(0)
	v_mul_f64 v[103:104], v[3:4], v[141:142]
	v_fma_f64 v[91:92], v[91:92], v[137:138], -v[109:110]
	v_mul_f64 v[99:100], v[1:2], v[141:142]
	v_add_f64 v[87:88], v[95:96], v[87:88]
	v_add_f64 v[89:90], v[97:98], v[89:90]
	s_waitcnt vmcnt(4)
	v_fma_f64 v[1:2], v[1:2], v[144:145], -v[103:104]
	v_fma_f64 v[3:4], v[3:4], v[144:145], v[99:100]
	v_add_f64 v[87:88], v[87:88], v[91:92]
	v_add_f64 v[89:90], v[89:90], v[93:94]
	v_add_f64 v[1:2], v[87:88], v[1:2]
	v_add_f64 v[3:4], v[89:90], v[3:4]
	s_waitcnt vmcnt(2)
	v_add_f64 v[1:2], v[146:147], -v[1:2]
	s_waitcnt vmcnt(0)
	v_add_f64 v[3:4], v[148:149], -v[3:4]
	buffer_store_dword v2, off, s[0:3], 0 offset:468
	buffer_store_dword v1, off, s[0:3], 0 offset:464
	;; [unrolled: 1-line block ×4, first 2 shown]
	v_cmpx_lt_u32_e32 27, v0
	s_cbranch_execz .LBB104_205
; %bb.204:
	v_mov_b32_e32 v4, s25
	v_mov_b32_e32 v87, 0
	s_clause 0x3
	buffer_load_dword v1, v4, s[0:3], 0 offen
	buffer_load_dword v2, v4, s[0:3], 0 offen offset:4
	buffer_load_dword v3, v4, s[0:3], 0 offen offset:8
	;; [unrolled: 1-line block ×3, first 2 shown]
	buffer_store_dword v87, off, s[0:3], 0 offset:448
	buffer_store_dword v87, off, s[0:3], 0 offset:452
	;; [unrolled: 1-line block ×4, first 2 shown]
	s_waitcnt vmcnt(0)
	ds_write_b128 v143, v[1:4]
.LBB104_205:
	s_or_b32 exec_lo, exec_lo, s4
	s_waitcnt lgkmcnt(0)
	s_waitcnt_vscnt null, 0x0
	s_barrier
	buffer_gl0_inv
	s_clause 0x33
	buffer_load_dword v2, off, s[0:3], 0 offset:472
	buffer_load_dword v3, off, s[0:3], 0 offset:476
	;; [unrolled: 1-line block ×52, first 2 shown]
	v_mov_b32_e32 v1, 0
	ds_read_b128 v[87:90], v1 offset:1104
	ds_read_b128 v[91:94], v1 offset:1120
	s_clause 0x3
	buffer_load_dword v152, off, s[0:3], 0 offset:448
	buffer_load_dword v153, off, s[0:3], 0 offset:452
	;; [unrolled: 1-line block ×4, first 2 shown]
	ds_read_b128 v[95:98], v1 offset:1136
	s_mov_b32 s4, exec_lo
	s_waitcnt vmcnt(54) lgkmcnt(2)
	v_mul_f64 v[150:151], v[89:90], v[2:3]
	v_mul_f64 v[2:3], v[87:88], v[2:3]
	s_waitcnt vmcnt(52) lgkmcnt(1)
	v_mul_f64 v[156:157], v[93:94], v[99:100]
	v_mul_f64 v[99:100], v[91:92], v[99:100]
	s_waitcnt vmcnt(50)
	v_fma_f64 v[150:151], v[87:88], v[101:102], -v[150:151]
	v_fma_f64 v[2:3], v[89:90], v[101:102], v[2:3]
	ds_read_b128 v[87:90], v1 offset:1152
	s_waitcnt vmcnt(48) lgkmcnt(1)
	v_mul_f64 v[101:102], v[95:96], v[103:104]
	v_mul_f64 v[103:104], v[97:98], v[103:104]
	s_waitcnt vmcnt(46)
	v_fma_f64 v[156:157], v[91:92], v[105:106], -v[156:157]
	v_fma_f64 v[99:100], v[93:94], v[105:106], v[99:100]
	ds_read_b128 v[91:94], v1 offset:1168
	s_waitcnt vmcnt(42) lgkmcnt(1)
	v_mul_f64 v[105:106], v[87:88], v[107:108]
	v_add_f64 v[150:151], v[150:151], 0
	v_add_f64 v[2:3], v[2:3], 0
	v_mul_f64 v[107:108], v[89:90], v[107:108]
	s_waitcnt vmcnt(40)
	v_fma_f64 v[103:104], v[95:96], v[113:114], -v[103:104]
	v_fma_f64 v[101:102], v[97:98], v[113:114], v[101:102]
	ds_read_b128 v[95:98], v1 offset:1184
	s_waitcnt vmcnt(37)
	v_fma_f64 v[105:106], v[89:90], v[115:116], v[105:106]
	v_add_f64 v[150:151], v[150:151], v[156:157]
	v_add_f64 v[2:3], v[2:3], v[99:100]
	s_waitcnt lgkmcnt(1)
	v_mul_f64 v[99:100], v[91:92], v[109:110]
	v_mul_f64 v[109:110], v[93:94], v[109:110]
	v_fma_f64 v[107:108], v[87:88], v[115:116], -v[107:108]
	s_waitcnt vmcnt(33) lgkmcnt(0)
	v_mul_f64 v[113:114], v[97:98], v[117:118]
	ds_read_b128 v[87:90], v1 offset:1200
	v_add_f64 v[103:104], v[150:151], v[103:104]
	v_add_f64 v[2:3], v[2:3], v[101:102]
	v_mul_f64 v[101:102], v[95:96], v[117:118]
	s_waitcnt vmcnt(32)
	v_fma_f64 v[109:110], v[91:92], v[111:112], -v[109:110]
	v_fma_f64 v[99:100], v[93:94], v[111:112], v[99:100]
	ds_read_b128 v[91:94], v1 offset:1216
	s_waitcnt vmcnt(29)
	v_fma_f64 v[111:112], v[95:96], v[123:124], -v[113:114]
	v_add_f64 v[103:104], v[103:104], v[107:108]
	v_add_f64 v[2:3], v[2:3], v[105:106]
	s_waitcnt lgkmcnt(1)
	v_mul_f64 v[107:108], v[89:90], v[119:120]
	v_mul_f64 v[105:106], v[87:88], v[119:120]
	v_fma_f64 v[101:102], v[97:98], v[123:124], v[101:102]
	ds_read_b128 v[95:98], v1 offset:1232
	v_add_f64 v[103:104], v[103:104], v[109:110]
	v_add_f64 v[2:3], v[2:3], v[99:100]
	s_waitcnt vmcnt(25) lgkmcnt(1)
	v_mul_f64 v[109:110], v[93:94], v[125:126]
	s_waitcnt vmcnt(24)
	v_fma_f64 v[107:108], v[87:88], v[121:122], -v[107:108]
	v_mul_f64 v[99:100], v[91:92], v[125:126]
	v_fma_f64 v[105:106], v[89:90], v[121:122], v[105:106]
	ds_read_b128 v[87:90], v1 offset:1248
	v_add_f64 v[103:104], v[103:104], v[111:112]
	v_add_f64 v[2:3], v[2:3], v[101:102]
	s_waitcnt vmcnt(23) lgkmcnt(1)
	v_mul_f64 v[111:112], v[97:98], v[127:128]
	s_waitcnt vmcnt(21)
	v_fma_f64 v[109:110], v[91:92], v[131:132], -v[109:110]
	v_mul_f64 v[101:102], v[95:96], v[127:128]
	v_fma_f64 v[99:100], v[93:94], v[131:132], v[99:100]
	ds_read_b128 v[91:94], v1 offset:1264
	v_add_f64 v[103:104], v[103:104], v[107:108]
	v_add_f64 v[2:3], v[2:3], v[105:106]
	s_waitcnt vmcnt(17) lgkmcnt(1)
	v_mul_f64 v[107:108], v[89:90], v[133:134]
	s_waitcnt vmcnt(16)
	v_fma_f64 v[111:112], v[95:96], v[129:130], -v[111:112]
	v_mul_f64 v[105:106], v[87:88], v[133:134]
	v_fma_f64 v[101:102], v[97:98], v[129:130], v[101:102]
	ds_read_b128 v[95:98], v1 offset:1280
	v_add_f64 v[103:104], v[103:104], v[109:110]
	v_add_f64 v[2:3], v[2:3], v[99:100]
	s_waitcnt vmcnt(15) lgkmcnt(1)
	v_mul_f64 v[109:110], v[93:94], v[135:136]
	s_waitcnt vmcnt(13)
	v_fma_f64 v[107:108], v[87:88], v[139:140], -v[107:108]
	v_mul_f64 v[99:100], v[91:92], v[135:136]
	v_fma_f64 v[105:106], v[89:90], v[139:140], v[105:106]
	ds_read_b128 v[87:90], v1 offset:1296
	v_add_f64 v[103:104], v[103:104], v[111:112]
	v_add_f64 v[2:3], v[2:3], v[101:102]
	s_waitcnt vmcnt(9) lgkmcnt(1)
	v_mul_f64 v[111:112], v[97:98], v[141:142]
	s_waitcnt vmcnt(8)
	v_fma_f64 v[91:92], v[91:92], v[137:138], -v[109:110]
	v_mul_f64 v[101:102], v[95:96], v[141:142]
	v_fma_f64 v[93:94], v[93:94], v[137:138], v[99:100]
	s_waitcnt vmcnt(7) lgkmcnt(0)
	v_mul_f64 v[99:100], v[87:88], v[144:145]
	v_add_f64 v[103:104], v[103:104], v[107:108]
	v_add_f64 v[2:3], v[2:3], v[105:106]
	v_mul_f64 v[105:106], v[89:90], v[144:145]
	s_waitcnt vmcnt(5)
	v_fma_f64 v[95:96], v[95:96], v[148:149], -v[111:112]
	v_fma_f64 v[97:98], v[97:98], v[148:149], v[101:102]
	s_waitcnt vmcnt(4)
	v_fma_f64 v[89:90], v[89:90], v[146:147], v[99:100]
	v_add_f64 v[91:92], v[103:104], v[91:92]
	v_add_f64 v[2:3], v[2:3], v[93:94]
	v_fma_f64 v[87:88], v[87:88], v[146:147], -v[105:106]
	v_add_f64 v[91:92], v[91:92], v[95:96]
	v_add_f64 v[2:3], v[2:3], v[97:98]
	;; [unrolled: 1-line block ×4, first 2 shown]
	s_waitcnt vmcnt(2)
	v_add_f64 v[87:88], v[152:153], -v[87:88]
	s_waitcnt vmcnt(0)
	v_add_f64 v[2:3], v[154:155], -v[2:3]
	buffer_store_dword v88, off, s[0:3], 0 offset:452
	buffer_store_dword v87, off, s[0:3], 0 offset:448
	;; [unrolled: 1-line block ×4, first 2 shown]
	v_cmpx_lt_u32_e32 26, v0
	s_cbranch_execz .LBB104_207
; %bb.206:
	v_mov_b32_e32 v2, s26
	s_clause 0x3
	buffer_load_dword v87, v2, s[0:3], 0 offen
	buffer_load_dword v88, v2, s[0:3], 0 offen offset:4
	buffer_load_dword v89, v2, s[0:3], 0 offen offset:8
	;; [unrolled: 1-line block ×3, first 2 shown]
	buffer_store_dword v1, off, s[0:3], 0 offset:432
	buffer_store_dword v1, off, s[0:3], 0 offset:436
	;; [unrolled: 1-line block ×4, first 2 shown]
	s_waitcnt vmcnt(0)
	ds_write_b128 v143, v[87:90]
.LBB104_207:
	s_or_b32 exec_lo, exec_lo, s4
	s_waitcnt lgkmcnt(0)
	s_waitcnt_vscnt null, 0x0
	s_barrier
	buffer_gl0_inv
	s_clause 0x35
	buffer_load_dword v2, off, s[0:3], 0 offset:456
	buffer_load_dword v3, off, s[0:3], 0 offset:460
	;; [unrolled: 1-line block ×54, first 2 shown]
	ds_read_b128 v[87:90], v1 offset:1088
	s_clause 0x1
	buffer_load_dword v153, off, s[0:3], 0 offset:660
	buffer_load_dword v152, off, s[0:3], 0 offset:656
	ds_read_b128 v[91:94], v1 offset:1104
	ds_read_b128 v[95:98], v1 offset:1120
	s_mov_b32 s4, exec_lo
	s_waitcnt vmcnt(54) lgkmcnt(2)
	v_mul_f64 v[154:155], v[89:90], v[2:3]
	v_mul_f64 v[2:3], v[87:88], v[2:3]
	s_waitcnt vmcnt(52) lgkmcnt(1)
	v_mul_f64 v[156:157], v[93:94], v[99:100]
	v_mul_f64 v[99:100], v[91:92], v[99:100]
	;; [unrolled: 3-line block ×3, first 2 shown]
	v_fma_f64 v[154:155], v[87:88], v[101:102], -v[154:155]
	v_fma_f64 v[2:3], v[89:90], v[101:102], v[2:3]
	s_clause 0x3
	buffer_load_dword v101, off, s[0:3], 0 offset:432
	buffer_load_dword v102, off, s[0:3], 0 offset:436
	;; [unrolled: 1-line block ×4, first 2 shown]
	s_waitcnt vmcnt(50)
	v_fma_f64 v[156:157], v[91:92], v[105:106], -v[156:157]
	ds_read_b128 v[87:90], v1 offset:1136
	v_fma_f64 v[99:100], v[93:94], v[105:106], v[99:100]
	ds_read_b128 v[91:94], v1 offset:1152
	s_waitcnt vmcnt(46)
	v_fma_f64 v[103:104], v[95:96], v[109:110], -v[103:104]
	v_fma_f64 v[109:110], v[97:98], v[109:110], v[160:161]
	ds_read_b128 v[95:98], v1 offset:1168
	v_add_f64 v[154:155], v[154:155], 0
	v_add_f64 v[2:3], v[2:3], 0
	s_waitcnt lgkmcnt(2)
	v_mul_f64 v[105:106], v[87:88], v[107:108]
	v_mul_f64 v[107:108], v[89:90], v[107:108]
	v_add_f64 v[154:155], v[154:155], v[156:157]
	v_add_f64 v[2:3], v[2:3], v[99:100]
	s_waitcnt vmcnt(44) lgkmcnt(1)
	v_mul_f64 v[99:100], v[91:92], v[111:112]
	v_mul_f64 v[111:112], v[93:94], v[111:112]
	s_waitcnt vmcnt(42)
	v_fma_f64 v[107:108], v[87:88], v[113:114], -v[107:108]
	v_fma_f64 v[105:106], v[89:90], v[113:114], v[105:106]
	ds_read_b128 v[87:90], v1 offset:1184
	s_waitcnt vmcnt(40) lgkmcnt(1)
	v_mul_f64 v[113:114], v[97:98], v[115:116]
	v_add_f64 v[103:104], v[154:155], v[103:104]
	v_add_f64 v[2:3], v[2:3], v[109:110]
	v_mul_f64 v[109:110], v[95:96], v[115:116]
	s_waitcnt vmcnt(38)
	v_fma_f64 v[111:112], v[91:92], v[117:118], -v[111:112]
	v_fma_f64 v[99:100], v[93:94], v[117:118], v[99:100]
	ds_read_b128 v[91:94], v1 offset:1200
	s_waitcnt vmcnt(34)
	v_fma_f64 v[113:114], v[95:96], v[121:122], -v[113:114]
	v_add_f64 v[103:104], v[103:104], v[107:108]
	v_add_f64 v[2:3], v[2:3], v[105:106]
	s_waitcnt lgkmcnt(1)
	v_mul_f64 v[107:108], v[89:90], v[119:120]
	v_mul_f64 v[105:106], v[87:88], v[119:120]
	v_fma_f64 v[109:110], v[97:98], v[121:122], v[109:110]
	ds_read_b128 v[95:98], v1 offset:1216
	v_add_f64 v[103:104], v[103:104], v[111:112]
	v_add_f64 v[2:3], v[2:3], v[99:100]
	s_waitcnt vmcnt(32) lgkmcnt(1)
	v_mul_f64 v[111:112], v[93:94], v[123:124]
	s_waitcnt vmcnt(30)
	v_fma_f64 v[107:108], v[87:88], v[125:126], -v[107:108]
	v_mul_f64 v[99:100], v[91:92], v[123:124]
	v_fma_f64 v[105:106], v[89:90], v[125:126], v[105:106]
	ds_read_b128 v[87:90], v1 offset:1232
	v_add_f64 v[103:104], v[103:104], v[113:114]
	v_add_f64 v[2:3], v[2:3], v[109:110]
	s_waitcnt vmcnt(28) lgkmcnt(1)
	v_mul_f64 v[113:114], v[97:98], v[127:128]
	s_waitcnt vmcnt(26)
	v_fma_f64 v[111:112], v[91:92], v[129:130], -v[111:112]
	;; [unrolled: 9-line block ×5, first 2 shown]
	v_mul_f64 v[109:110], v[95:96], v[139:140]
	v_fma_f64 v[93:94], v[93:94], v[141:142], v[99:100]
	v_add_f64 v[103:104], v[103:104], v[107:108]
	v_add_f64 v[99:100], v[2:3], v[105:106]
	s_waitcnt vmcnt(12) lgkmcnt(0)
	v_mul_f64 v[107:108], v[89:90], v[144:145]
	s_waitcnt vmcnt(10)
	v_fma_f64 v[95:96], v[95:96], v[146:147], -v[113:114]
	ds_read_b128 v[1:4], v1 offset:1296
	v_mul_f64 v[105:106], v[87:88], v[144:145]
	v_fma_f64 v[97:98], v[97:98], v[146:147], v[109:110]
	v_add_f64 v[91:92], v[103:104], v[91:92]
	v_add_f64 v[93:94], v[99:100], v[93:94]
	s_waitcnt vmcnt(8) lgkmcnt(0)
	v_mul_f64 v[103:104], v[3:4], v[148:149]
	s_waitcnt vmcnt(6)
	v_fma_f64 v[87:88], v[87:88], v[150:151], -v[107:108]
	v_mul_f64 v[99:100], v[1:2], v[148:149]
	v_fma_f64 v[89:90], v[89:90], v[150:151], v[105:106]
	v_add_f64 v[91:92], v[91:92], v[95:96]
	v_add_f64 v[93:94], v[93:94], v[97:98]
	s_waitcnt vmcnt(4)
	v_fma_f64 v[1:2], v[1:2], v[152:153], -v[103:104]
	v_fma_f64 v[3:4], v[3:4], v[152:153], v[99:100]
	v_add_f64 v[87:88], v[91:92], v[87:88]
	v_add_f64 v[89:90], v[93:94], v[89:90]
	;; [unrolled: 1-line block ×4, first 2 shown]
	s_waitcnt vmcnt(2)
	v_add_f64 v[1:2], v[101:102], -v[1:2]
	s_waitcnt vmcnt(0)
	v_add_f64 v[3:4], v[158:159], -v[3:4]
	buffer_store_dword v2, off, s[0:3], 0 offset:436
	buffer_store_dword v1, off, s[0:3], 0 offset:432
	buffer_store_dword v4, off, s[0:3], 0 offset:444
	buffer_store_dword v3, off, s[0:3], 0 offset:440
	v_cmpx_lt_u32_e32 25, v0
	s_cbranch_execz .LBB104_209
; %bb.208:
	v_mov_b32_e32 v4, s27
	v_mov_b32_e32 v87, 0
	s_clause 0x3
	buffer_load_dword v1, v4, s[0:3], 0 offen
	buffer_load_dword v2, v4, s[0:3], 0 offen offset:4
	buffer_load_dword v3, v4, s[0:3], 0 offen offset:8
	;; [unrolled: 1-line block ×3, first 2 shown]
	buffer_store_dword v87, off, s[0:3], 0 offset:416
	buffer_store_dword v87, off, s[0:3], 0 offset:420
	;; [unrolled: 1-line block ×4, first 2 shown]
	s_waitcnt vmcnt(0)
	ds_write_b128 v143, v[1:4]
.LBB104_209:
	s_or_b32 exec_lo, exec_lo, s4
	s_waitcnt lgkmcnt(0)
	s_waitcnt_vscnt null, 0x0
	s_barrier
	buffer_gl0_inv
	s_clause 0x37
	buffer_load_dword v2, off, s[0:3], 0 offset:440
	buffer_load_dword v3, off, s[0:3], 0 offset:444
	;; [unrolled: 1-line block ×56, first 2 shown]
	v_mov_b32_e32 v1, 0
	s_mov_b32 s4, exec_lo
	ds_read_b128 v[87:90], v1 offset:1072
	s_clause 0x2
	buffer_load_dword v153, off, s[0:3], 0 offset:668
	buffer_load_dword v157, off, s[0:3], 0 offset:644
	;; [unrolled: 1-line block ×3, first 2 shown]
	ds_read_b128 v[91:94], v1 offset:1088
	ds_read_b128 v[95:98], v1 offset:1104
	buffer_load_dword v155, off, s[0:3], 0 offset:660
	s_waitcnt vmcnt(58) lgkmcnt(2)
	v_mul_f64 v[158:159], v[89:90], v[2:3]
	v_mul_f64 v[2:3], v[87:88], v[2:3]
	s_waitcnt vmcnt(56) lgkmcnt(1)
	v_mul_f64 v[160:161], v[93:94], v[99:100]
	v_mul_f64 v[99:100], v[91:92], v[99:100]
	s_waitcnt vmcnt(54)
	v_fma_f64 v[158:159], v[87:88], v[101:102], -v[158:159]
	v_fma_f64 v[2:3], v[89:90], v[101:102], v[2:3]
	s_waitcnt vmcnt(52) lgkmcnt(0)
	v_mul_f64 v[101:102], v[95:96], v[103:104]
	v_mul_f64 v[103:104], v[97:98], v[103:104]
	s_waitcnt vmcnt(50)
	v_fma_f64 v[160:161], v[91:92], v[105:106], -v[160:161]
	ds_read_b128 v[87:90], v1 offset:1120
	v_fma_f64 v[99:100], v[93:94], v[105:106], v[99:100]
	s_clause 0x3
	buffer_load_dword v105, off, s[0:3], 0 offset:416
	buffer_load_dword v106, off, s[0:3], 0 offset:420
	buffer_load_dword v162, off, s[0:3], 0 offset:424
	buffer_load_dword v163, off, s[0:3], 0 offset:428
	ds_read_b128 v[91:94], v1 offset:1136
	v_add_f64 v[158:159], v[158:159], 0
	v_add_f64 v[2:3], v[2:3], 0
	s_waitcnt vmcnt(48)
	v_fma_f64 v[101:102], v[97:98], v[113:114], v[101:102]
	s_waitcnt lgkmcnt(1)
	v_mul_f64 v[164:165], v[87:88], v[107:108]
	v_mul_f64 v[107:108], v[89:90], v[107:108]
	v_fma_f64 v[103:104], v[95:96], v[113:114], -v[103:104]
	ds_read_b128 v[95:98], v1 offset:1152
	v_add_f64 v[158:159], v[158:159], v[160:161]
	v_add_f64 v[2:3], v[2:3], v[99:100]
	s_waitcnt vmcnt(47) lgkmcnt(1)
	v_mul_f64 v[99:100], v[91:92], v[109:110]
	v_mul_f64 v[109:110], v[93:94], v[109:110]
	s_waitcnt vmcnt(45)
	v_fma_f64 v[107:108], v[87:88], v[115:116], -v[107:108]
	v_fma_f64 v[113:114], v[89:90], v[115:116], v[164:165]
	s_waitcnt vmcnt(41) lgkmcnt(0)
	v_mul_f64 v[115:116], v[97:98], v[117:118]
	ds_read_b128 v[87:90], v1 offset:1168
	v_add_f64 v[103:104], v[158:159], v[103:104]
	v_add_f64 v[2:3], v[2:3], v[101:102]
	v_mul_f64 v[101:102], v[95:96], v[117:118]
	s_waitcnt vmcnt(40)
	v_fma_f64 v[109:110], v[91:92], v[111:112], -v[109:110]
	v_fma_f64 v[99:100], v[93:94], v[111:112], v[99:100]
	ds_read_b128 v[91:94], v1 offset:1184
	s_waitcnt vmcnt(39) lgkmcnt(1)
	v_mul_f64 v[111:112], v[89:90], v[119:120]
	v_add_f64 v[103:104], v[103:104], v[107:108]
	v_add_f64 v[2:3], v[2:3], v[113:114]
	s_waitcnt vmcnt(37)
	v_fma_f64 v[113:114], v[95:96], v[123:124], -v[115:116]
	v_mul_f64 v[107:108], v[87:88], v[119:120]
	v_fma_f64 v[101:102], v[97:98], v[123:124], v[101:102]
	ds_read_b128 v[95:98], v1 offset:1200
	s_waitcnt vmcnt(32)
	v_fma_f64 v[111:112], v[87:88], v[121:122], -v[111:112]
	v_add_f64 v[103:104], v[103:104], v[109:110]
	v_add_f64 v[2:3], v[2:3], v[99:100]
	s_waitcnt lgkmcnt(1)
	v_mul_f64 v[109:110], v[93:94], v[125:126]
	v_mul_f64 v[99:100], v[91:92], v[125:126]
	v_fma_f64 v[107:108], v[89:90], v[121:122], v[107:108]
	ds_read_b128 v[87:90], v1 offset:1216
	v_add_f64 v[103:104], v[103:104], v[113:114]
	v_add_f64 v[2:3], v[2:3], v[101:102]
	s_waitcnt vmcnt(31) lgkmcnt(1)
	v_mul_f64 v[113:114], v[97:98], v[127:128]
	s_waitcnt vmcnt(29)
	v_fma_f64 v[109:110], v[91:92], v[131:132], -v[109:110]
	v_mul_f64 v[101:102], v[95:96], v[127:128]
	v_fma_f64 v[99:100], v[93:94], v[131:132], v[99:100]
	ds_read_b128 v[91:94], v1 offset:1232
	v_add_f64 v[103:104], v[103:104], v[111:112]
	v_add_f64 v[2:3], v[2:3], v[107:108]
	s_waitcnt vmcnt(25) lgkmcnt(1)
	v_mul_f64 v[111:112], v[89:90], v[133:134]
	s_waitcnt vmcnt(24)
	v_fma_f64 v[113:114], v[95:96], v[129:130], -v[113:114]
	;; [unrolled: 9-line block ×6, first 2 shown]
	v_mul_f64 v[99:100], v[91:92], v[150:151]
	v_fma_f64 v[89:90], v[89:90], v[146:147], v[107:108]
	s_waitcnt vmcnt(7) lgkmcnt(0)
	v_mul_f64 v[107:108], v[97:98], v[152:153]
	v_add_f64 v[103:104], v[103:104], v[113:114]
	v_add_f64 v[2:3], v[2:3], v[101:102]
	s_waitcnt vmcnt(5)
	v_fma_f64 v[91:92], v[91:92], v[156:157], -v[109:110]
	v_mul_f64 v[101:102], v[95:96], v[152:153]
	v_fma_f64 v[93:94], v[93:94], v[156:157], v[99:100]
	v_add_f64 v[87:88], v[103:104], v[87:88]
	v_add_f64 v[2:3], v[2:3], v[89:90]
	s_waitcnt vmcnt(4)
	v_fma_f64 v[89:90], v[95:96], v[154:155], -v[107:108]
	v_add_f64 v[87:88], v[87:88], v[91:92]
	v_fma_f64 v[91:92], v[97:98], v[154:155], v[101:102]
	v_add_f64 v[2:3], v[2:3], v[93:94]
	v_add_f64 v[87:88], v[87:88], v[89:90]
	;; [unrolled: 1-line block ×3, first 2 shown]
	s_waitcnt vmcnt(2)
	v_add_f64 v[87:88], v[105:106], -v[87:88]
	s_waitcnt vmcnt(0)
	v_add_f64 v[2:3], v[162:163], -v[2:3]
	buffer_store_dword v88, off, s[0:3], 0 offset:420
	buffer_store_dword v87, off, s[0:3], 0 offset:416
	;; [unrolled: 1-line block ×4, first 2 shown]
	v_cmpx_lt_u32_e32 24, v0
	s_cbranch_execz .LBB104_211
; %bb.210:
	v_mov_b32_e32 v2, s28
	s_clause 0x3
	buffer_load_dword v87, v2, s[0:3], 0 offen
	buffer_load_dword v88, v2, s[0:3], 0 offen offset:4
	buffer_load_dword v89, v2, s[0:3], 0 offen offset:8
	;; [unrolled: 1-line block ×3, first 2 shown]
	buffer_store_dword v1, off, s[0:3], 0 offset:400
	buffer_store_dword v1, off, s[0:3], 0 offset:404
	;; [unrolled: 1-line block ×4, first 2 shown]
	s_waitcnt vmcnt(0)
	ds_write_b128 v143, v[87:90]
.LBB104_211:
	s_or_b32 exec_lo, exec_lo, s4
	s_waitcnt lgkmcnt(0)
	s_waitcnt_vscnt null, 0x0
	s_barrier
	buffer_gl0_inv
	s_clause 0x37
	buffer_load_dword v2, off, s[0:3], 0 offset:424
	buffer_load_dword v3, off, s[0:3], 0 offset:428
	;; [unrolled: 1-line block ×56, first 2 shown]
	ds_read_b128 v[87:90], v1 offset:1056
	s_clause 0x2
	buffer_load_dword v153, off, s[0:3], 0 offset:652
	buffer_load_dword v157, off, s[0:3], 0 offset:628
	buffer_load_dword v156, off, s[0:3], 0 offset:624
	ds_read_b128 v[91:94], v1 offset:1072
	s_clause 0x2
	buffer_load_dword v161, off, s[0:3], 0 offset:668
	buffer_load_dword v160, off, s[0:3], 0 offset:664
	;; [unrolled: 1-line block ×3, first 2 shown]
	ds_read_b128 v[95:98], v1 offset:1088
	s_mov_b32 s4, exec_lo
	s_waitcnt vmcnt(60) lgkmcnt(2)
	v_mul_f64 v[158:159], v[89:90], v[2:3]
	v_mul_f64 v[2:3], v[87:88], v[2:3]
	s_waitcnt vmcnt(58) lgkmcnt(1)
	v_mul_f64 v[162:163], v[93:94], v[99:100]
	v_mul_f64 v[99:100], v[91:92], v[99:100]
	;; [unrolled: 3-line block ×3, first 2 shown]
	v_fma_f64 v[158:159], v[87:88], v[101:102], -v[158:159]
	v_fma_f64 v[2:3], v[89:90], v[101:102], v[2:3]
	s_clause 0x1
	buffer_load_dword v102, off, s[0:3], 0 offset:660
	buffer_load_dword v101, off, s[0:3], 0 offset:656
	s_waitcnt vmcnt(54)
	v_fma_f64 v[162:163], v[91:92], v[105:106], -v[162:163]
	ds_read_b128 v[87:90], v1 offset:1104
	v_fma_f64 v[99:100], v[93:94], v[105:106], v[99:100]
	ds_read_b128 v[91:94], v1 offset:1120
	s_waitcnt vmcnt(48)
	v_fma_f64 v[103:104], v[95:96], v[113:114], -v[103:104]
	v_fma_f64 v[113:114], v[97:98], v[113:114], v[164:165]
	v_add_f64 v[158:159], v[158:159], 0
	v_add_f64 v[2:3], v[2:3], 0
	s_waitcnt lgkmcnt(1)
	v_mul_f64 v[105:106], v[87:88], v[107:108]
	v_mul_f64 v[107:108], v[89:90], v[107:108]
	s_waitcnt vmcnt(47) lgkmcnt(0)
	v_mul_f64 v[164:165], v[91:92], v[109:110]
	v_mul_f64 v[109:110], v[93:94], v[109:110]
	v_add_f64 v[158:159], v[158:159], v[162:163]
	v_add_f64 v[2:3], v[2:3], v[99:100]
	s_clause 0x3
	buffer_load_dword v99, off, s[0:3], 0 offset:400
	buffer_load_dword v100, off, s[0:3], 0 offset:404
	;; [unrolled: 1-line block ×4, first 2 shown]
	s_waitcnt vmcnt(49)
	v_fma_f64 v[107:108], v[87:88], v[115:116], -v[107:108]
	ds_read_b128 v[95:98], v1 offset:1136
	v_fma_f64 v[105:106], v[89:90], v[115:116], v[105:106]
	ds_read_b128 v[87:90], v1 offset:1152
	s_waitcnt vmcnt(44)
	v_fma_f64 v[109:110], v[91:92], v[111:112], -v[109:110]
	v_add_f64 v[103:104], v[158:159], v[103:104]
	v_add_f64 v[2:3], v[2:3], v[113:114]
	s_waitcnt lgkmcnt(1)
	v_mul_f64 v[115:116], v[97:98], v[117:118]
	v_mul_f64 v[113:114], v[95:96], v[117:118]
	v_add_f64 v[103:104], v[103:104], v[107:108]
	v_fma_f64 v[107:108], v[93:94], v[111:112], v[164:165]
	v_add_f64 v[2:3], v[2:3], v[105:106]
	s_waitcnt vmcnt(43) lgkmcnt(0)
	v_mul_f64 v[111:112], v[89:90], v[119:120]
	s_waitcnt vmcnt(41)
	v_fma_f64 v[115:116], v[95:96], v[123:124], -v[115:116]
	ds_read_b128 v[91:94], v1 offset:1168
	v_mul_f64 v[105:106], v[87:88], v[119:120]
	v_add_f64 v[103:104], v[103:104], v[109:110]
	v_fma_f64 v[109:110], v[97:98], v[123:124], v[113:114]
	v_add_f64 v[2:3], v[2:3], v[107:108]
	ds_read_b128 v[95:98], v1 offset:1184
	s_waitcnt vmcnt(37) lgkmcnt(1)
	v_mul_f64 v[113:114], v[93:94], v[125:126]
	s_waitcnt vmcnt(36)
	v_fma_f64 v[111:112], v[87:88], v[121:122], -v[111:112]
	v_mul_f64 v[107:108], v[91:92], v[125:126]
	v_fma_f64 v[105:106], v[89:90], v[121:122], v[105:106]
	ds_read_b128 v[87:90], v1 offset:1200
	v_add_f64 v[103:104], v[103:104], v[115:116]
	s_waitcnt vmcnt(35) lgkmcnt(1)
	v_mul_f64 v[115:116], v[97:98], v[127:128]
	v_add_f64 v[2:3], v[2:3], v[109:110]
	v_mul_f64 v[109:110], v[95:96], v[127:128]
	s_waitcnt vmcnt(33)
	v_fma_f64 v[113:114], v[91:92], v[131:132], -v[113:114]
	v_fma_f64 v[107:108], v[93:94], v[131:132], v[107:108]
	ds_read_b128 v[91:94], v1 offset:1216
	v_add_f64 v[103:104], v[103:104], v[111:112]
	s_waitcnt vmcnt(29) lgkmcnt(1)
	v_mul_f64 v[111:112], v[89:90], v[133:134]
	v_add_f64 v[2:3], v[2:3], v[105:106]
	s_waitcnt vmcnt(28)
	v_fma_f64 v[115:116], v[95:96], v[129:130], -v[115:116]
	v_mul_f64 v[105:106], v[87:88], v[133:134]
	v_fma_f64 v[109:110], v[97:98], v[129:130], v[109:110]
	ds_read_b128 v[95:98], v1 offset:1232
	v_add_f64 v[103:104], v[103:104], v[113:114]
	s_waitcnt vmcnt(27) lgkmcnt(1)
	v_mul_f64 v[113:114], v[93:94], v[135:136]
	v_add_f64 v[2:3], v[2:3], v[107:108]
	s_waitcnt vmcnt(25)
	v_fma_f64 v[111:112], v[87:88], v[139:140], -v[111:112]
	v_mul_f64 v[107:108], v[91:92], v[135:136]
	;; [unrolled: 9-line block ×5, first 2 shown]
	v_fma_f64 v[89:90], v[89:90], v[146:147], v[105:106]
	s_waitcnt vmcnt(11) lgkmcnt(0)
	v_mul_f64 v[111:112], v[97:98], v[152:153]
	v_add_f64 v[103:104], v[103:104], v[115:116]
	s_waitcnt vmcnt(9)
	v_fma_f64 v[91:92], v[91:92], v[156:157], -v[113:114]
	v_add_f64 v[105:106], v[2:3], v[109:110]
	ds_read_b128 v[1:4], v1 offset:1296
	v_mul_f64 v[109:110], v[95:96], v[152:153]
	v_fma_f64 v[93:94], v[93:94], v[156:157], v[107:108]
	s_waitcnt vmcnt(6)
	v_fma_f64 v[95:96], v[95:96], v[154:155], -v[111:112]
	v_add_f64 v[87:88], v[103:104], v[87:88]
	s_waitcnt lgkmcnt(0)
	v_mul_f64 v[103:104], v[1:2], v[160:161]
	v_add_f64 v[89:90], v[105:106], v[89:90]
	v_mul_f64 v[105:106], v[3:4], v[160:161]
	v_add_f64 v[87:88], v[87:88], v[91:92]
	v_fma_f64 v[91:92], v[97:98], v[154:155], v[109:110]
	v_add_f64 v[89:90], v[89:90], v[93:94]
	s_waitcnt vmcnt(4)
	v_fma_f64 v[1:2], v[1:2], v[101:102], -v[105:106]
	v_fma_f64 v[3:4], v[3:4], v[101:102], v[103:104]
	v_add_f64 v[87:88], v[87:88], v[95:96]
	v_add_f64 v[89:90], v[89:90], v[91:92]
	;; [unrolled: 1-line block ×4, first 2 shown]
	s_waitcnt vmcnt(2)
	v_add_f64 v[1:2], v[99:100], -v[1:2]
	s_waitcnt vmcnt(0)
	v_add_f64 v[3:4], v[162:163], -v[3:4]
	buffer_store_dword v2, off, s[0:3], 0 offset:404
	buffer_store_dword v1, off, s[0:3], 0 offset:400
	;; [unrolled: 1-line block ×4, first 2 shown]
	v_cmpx_lt_u32_e32 23, v0
	s_cbranch_execz .LBB104_213
; %bb.212:
	v_mov_b32_e32 v4, s29
	v_mov_b32_e32 v87, 0
	s_clause 0x3
	buffer_load_dword v1, v4, s[0:3], 0 offen
	buffer_load_dword v2, v4, s[0:3], 0 offen offset:4
	buffer_load_dword v3, v4, s[0:3], 0 offen offset:8
	;; [unrolled: 1-line block ×3, first 2 shown]
	buffer_store_dword v87, off, s[0:3], 0 offset:384
	buffer_store_dword v87, off, s[0:3], 0 offset:388
	;; [unrolled: 1-line block ×4, first 2 shown]
	s_waitcnt vmcnt(0)
	ds_write_b128 v143, v[1:4]
.LBB104_213:
	s_or_b32 exec_lo, exec_lo, s4
	s_waitcnt lgkmcnt(0)
	s_waitcnt_vscnt null, 0x0
	s_barrier
	buffer_gl0_inv
	s_clause 0x37
	buffer_load_dword v2, off, s[0:3], 0 offset:408
	buffer_load_dword v3, off, s[0:3], 0 offset:412
	;; [unrolled: 1-line block ×56, first 2 shown]
	v_mov_b32_e32 v1, 0
	s_mov_b32 s4, exec_lo
	ds_read_b128 v[87:90], v1 offset:1040
	s_clause 0x2
	buffer_load_dword v153, off, s[0:3], 0 offset:636
	buffer_load_dword v157, off, s[0:3], 0 offset:612
	;; [unrolled: 1-line block ×3, first 2 shown]
	ds_read_b128 v[91:94], v1 offset:1056
	s_clause 0x4
	buffer_load_dword v161, off, s[0:3], 0 offset:652
	buffer_load_dword v162, off, s[0:3], 0 offset:664
	;; [unrolled: 1-line block ×5, first 2 shown]
	ds_read_b128 v[95:98], v1 offset:1072
	s_waitcnt vmcnt(62) lgkmcnt(2)
	v_mul_f64 v[158:159], v[89:90], v[2:3]
	v_mul_f64 v[2:3], v[87:88], v[2:3]
	s_waitcnt vmcnt(60) lgkmcnt(1)
	v_mul_f64 v[165:166], v[93:94], v[99:100]
	v_mul_f64 v[99:100], v[91:92], v[99:100]
	;; [unrolled: 3-line block ×3, first 2 shown]
	v_fma_f64 v[158:159], v[87:88], v[101:102], -v[158:159]
	v_fma_f64 v[2:3], v[89:90], v[101:102], v[2:3]
	s_clause 0x2
	buffer_load_dword v163, off, s[0:3], 0 offset:668
	buffer_load_dword v102, off, s[0:3], 0 offset:644
	;; [unrolled: 1-line block ×3, first 2 shown]
	s_waitcnt vmcnt(57)
	v_fma_f64 v[169:170], v[91:92], v[105:106], -v[165:166]
	ds_read_b128 v[87:90], v1 offset:1088
	v_fma_f64 v[99:100], v[93:94], v[105:106], v[99:100]
	buffer_load_dword v165, off, s[0:3], 0 offset:660
	ds_read_b128 v[91:94], v1 offset:1104
	s_waitcnt vmcnt(52)
	v_fma_f64 v[103:104], v[95:96], v[113:114], -v[103:104]
	v_fma_f64 v[113:114], v[97:98], v[113:114], v[167:168]
	ds_read_b128 v[95:98], v1 offset:1120
	v_add_f64 v[158:159], v[158:159], 0
	v_add_f64 v[2:3], v[2:3], 0
	s_waitcnt lgkmcnt(2)
	v_mul_f64 v[105:106], v[87:88], v[107:108]
	v_mul_f64 v[107:108], v[89:90], v[107:108]
	v_add_f64 v[158:159], v[158:159], v[169:170]
	v_add_f64 v[2:3], v[2:3], v[99:100]
	s_waitcnt vmcnt(51) lgkmcnt(1)
	v_mul_f64 v[99:100], v[91:92], v[109:110]
	v_mul_f64 v[109:110], v[93:94], v[109:110]
	s_waitcnt vmcnt(49)
	v_fma_f64 v[107:108], v[87:88], v[115:116], -v[107:108]
	v_fma_f64 v[105:106], v[89:90], v[115:116], v[105:106]
	v_add_f64 v[103:104], v[158:159], v[103:104]
	v_add_f64 v[2:3], v[2:3], v[113:114]
	s_clause 0x3
	buffer_load_dword v113, off, s[0:3], 0 offset:384
	buffer_load_dword v114, off, s[0:3], 0 offset:388
	buffer_load_dword v115, off, s[0:3], 0 offset:392
	buffer_load_dword v116, off, s[0:3], 0 offset:396
	s_waitcnt vmcnt(49) lgkmcnt(0)
	v_mul_f64 v[158:159], v[95:96], v[117:118]
	v_mul_f64 v[117:118], v[97:98], v[117:118]
	s_waitcnt vmcnt(48)
	v_fma_f64 v[109:110], v[91:92], v[111:112], -v[109:110]
	ds_read_b128 v[87:90], v1 offset:1136
	v_fma_f64 v[99:100], v[93:94], v[111:112], v[99:100]
	ds_read_b128 v[91:94], v1 offset:1152
	v_add_f64 v[103:104], v[103:104], v[107:108]
	v_add_f64 v[2:3], v[2:3], v[105:106]
	s_waitcnt vmcnt(47) lgkmcnt(1)
	v_mul_f64 v[107:108], v[89:90], v[119:120]
	s_waitcnt vmcnt(45)
	v_fma_f64 v[111:112], v[95:96], v[123:124], -v[117:118]
	v_mul_f64 v[105:106], v[87:88], v[119:120]
	s_waitcnt vmcnt(41) lgkmcnt(0)
	v_mul_f64 v[117:118], v[93:94], v[125:126]
	v_add_f64 v[103:104], v[103:104], v[109:110]
	v_fma_f64 v[109:110], v[97:98], v[123:124], v[158:159]
	v_add_f64 v[2:3], v[2:3], v[99:100]
	ds_read_b128 v[95:98], v1 offset:1168
	s_waitcnt vmcnt(40)
	v_fma_f64 v[107:108], v[87:88], v[121:122], -v[107:108]
	v_mul_f64 v[99:100], v[91:92], v[125:126]
	v_fma_f64 v[105:106], v[89:90], v[121:122], v[105:106]
	ds_read_b128 v[87:90], v1 offset:1184
	s_waitcnt vmcnt(37)
	v_fma_f64 v[117:118], v[91:92], v[131:132], -v[117:118]
	v_add_f64 v[103:104], v[103:104], v[111:112]
	s_waitcnt lgkmcnt(1)
	v_mul_f64 v[111:112], v[97:98], v[127:128]
	v_add_f64 v[2:3], v[2:3], v[109:110]
	v_mul_f64 v[109:110], v[95:96], v[127:128]
	v_fma_f64 v[99:100], v[93:94], v[131:132], v[99:100]
	ds_read_b128 v[91:94], v1 offset:1200
	v_add_f64 v[103:104], v[103:104], v[107:108]
	s_waitcnt vmcnt(33) lgkmcnt(1)
	v_mul_f64 v[107:108], v[89:90], v[133:134]
	v_add_f64 v[2:3], v[2:3], v[105:106]
	s_waitcnt vmcnt(32)
	v_fma_f64 v[111:112], v[95:96], v[129:130], -v[111:112]
	v_mul_f64 v[105:106], v[87:88], v[133:134]
	v_fma_f64 v[109:110], v[97:98], v[129:130], v[109:110]
	ds_read_b128 v[95:98], v1 offset:1216
	v_add_f64 v[103:104], v[103:104], v[117:118]
	s_waitcnt vmcnt(31) lgkmcnt(1)
	v_mul_f64 v[117:118], v[93:94], v[135:136]
	v_add_f64 v[2:3], v[2:3], v[99:100]
	s_waitcnt vmcnt(29)
	v_fma_f64 v[107:108], v[87:88], v[139:140], -v[107:108]
	v_mul_f64 v[99:100], v[91:92], v[135:136]
	v_fma_f64 v[105:106], v[89:90], v[139:140], v[105:106]
	ds_read_b128 v[87:90], v1 offset:1232
	v_add_f64 v[103:104], v[103:104], v[111:112]
	s_waitcnt vmcnt(25) lgkmcnt(1)
	v_mul_f64 v[111:112], v[97:98], v[141:142]
	v_add_f64 v[2:3], v[2:3], v[109:110]
	s_waitcnt vmcnt(24)
	v_fma_f64 v[117:118], v[91:92], v[137:138], -v[117:118]
	v_mul_f64 v[109:110], v[95:96], v[141:142]
	v_fma_f64 v[99:100], v[93:94], v[137:138], v[99:100]
	ds_read_b128 v[91:94], v1 offset:1248
	v_add_f64 v[103:104], v[103:104], v[107:108]
	s_waitcnt vmcnt(23) lgkmcnt(1)
	v_mul_f64 v[107:108], v[89:90], v[144:145]
	v_add_f64 v[2:3], v[2:3], v[105:106]
	s_waitcnt vmcnt(21)
	v_fma_f64 v[111:112], v[95:96], v[148:149], -v[111:112]
	v_mul_f64 v[105:106], v[87:88], v[144:145]
	v_fma_f64 v[109:110], v[97:98], v[148:149], v[109:110]
	ds_read_b128 v[95:98], v1 offset:1264
	v_add_f64 v[103:104], v[103:104], v[117:118]
	s_waitcnt vmcnt(17) lgkmcnt(1)
	v_mul_f64 v[117:118], v[93:94], v[150:151]
	v_add_f64 v[2:3], v[2:3], v[99:100]
	s_waitcnt vmcnt(16)
	v_fma_f64 v[107:108], v[87:88], v[146:147], -v[107:108]
	v_mul_f64 v[99:100], v[91:92], v[150:151]
	v_fma_f64 v[105:106], v[89:90], v[146:147], v[105:106]
	ds_read_b128 v[87:90], v1 offset:1280
	v_add_f64 v[103:104], v[103:104], v[111:112]
	s_waitcnt vmcnt(15) lgkmcnt(1)
	v_mul_f64 v[111:112], v[97:98], v[152:153]
	v_add_f64 v[2:3], v[2:3], v[109:110]
	s_waitcnt vmcnt(13)
	v_fma_f64 v[117:118], v[91:92], v[156:157], -v[117:118]
	v_mul_f64 v[109:110], v[95:96], v[152:153]
	v_fma_f64 v[99:100], v[93:94], v[156:157], v[99:100]
	ds_read_b128 v[91:94], v1 offset:1296
	v_add_f64 v[103:104], v[103:104], v[107:108]
	s_waitcnt vmcnt(9) lgkmcnt(1)
	v_mul_f64 v[107:108], v[89:90], v[160:161]
	v_add_f64 v[2:3], v[2:3], v[105:106]
	s_waitcnt vmcnt(8)
	v_fma_f64 v[95:96], v[95:96], v[154:155], -v[111:112]
	v_mul_f64 v[105:106], v[87:88], v[160:161]
	v_fma_f64 v[97:98], v[97:98], v[154:155], v[109:110]
	v_add_f64 v[103:104], v[103:104], v[117:118]
	v_add_f64 v[2:3], v[2:3], v[99:100]
	s_waitcnt vmcnt(7) lgkmcnt(0)
	v_mul_f64 v[109:110], v[93:94], v[162:163]
	v_mul_f64 v[99:100], v[91:92], v[162:163]
	s_waitcnt vmcnt(5)
	v_fma_f64 v[87:88], v[87:88], v[101:102], -v[107:108]
	v_fma_f64 v[89:90], v[89:90], v[101:102], v[105:106]
	v_add_f64 v[95:96], v[103:104], v[95:96]
	v_add_f64 v[2:3], v[2:3], v[97:98]
	s_waitcnt vmcnt(4)
	v_fma_f64 v[91:92], v[91:92], v[164:165], -v[109:110]
	v_fma_f64 v[93:94], v[93:94], v[164:165], v[99:100]
	v_add_f64 v[87:88], v[95:96], v[87:88]
	v_add_f64 v[2:3], v[2:3], v[89:90]
	;; [unrolled: 1-line block ×4, first 2 shown]
	s_waitcnt vmcnt(2)
	v_add_f64 v[87:88], v[113:114], -v[87:88]
	s_waitcnt vmcnt(0)
	v_add_f64 v[2:3], v[115:116], -v[2:3]
	buffer_store_dword v88, off, s[0:3], 0 offset:388
	buffer_store_dword v87, off, s[0:3], 0 offset:384
	;; [unrolled: 1-line block ×4, first 2 shown]
	v_cmpx_lt_u32_e32 22, v0
	s_cbranch_execz .LBB104_215
; %bb.214:
	v_mov_b32_e32 v2, s30
	s_clause 0x3
	buffer_load_dword v87, v2, s[0:3], 0 offen
	buffer_load_dword v88, v2, s[0:3], 0 offen offset:4
	buffer_load_dword v89, v2, s[0:3], 0 offen offset:8
	;; [unrolled: 1-line block ×3, first 2 shown]
	buffer_store_dword v1, off, s[0:3], 0 offset:368
	buffer_store_dword v1, off, s[0:3], 0 offset:372
	;; [unrolled: 1-line block ×4, first 2 shown]
	s_waitcnt vmcnt(0)
	ds_write_b128 v143, v[87:90]
.LBB104_215:
	s_or_b32 exec_lo, exec_lo, s4
	s_waitcnt lgkmcnt(0)
	s_waitcnt_vscnt null, 0x0
	s_barrier
	buffer_gl0_inv
	s_clause 0x37
	buffer_load_dword v2, off, s[0:3], 0 offset:392
	buffer_load_dword v3, off, s[0:3], 0 offset:396
	;; [unrolled: 1-line block ×56, first 2 shown]
	ds_read_b128 v[87:90], v1 offset:1024
	s_clause 0x2
	buffer_load_dword v153, off, s[0:3], 0 offset:620
	buffer_load_dword v157, off, s[0:3], 0 offset:596
	;; [unrolled: 1-line block ×3, first 2 shown]
	ds_read_b128 v[91:94], v1 offset:1040
	s_clause 0x4
	buffer_load_dword v161, off, s[0:3], 0 offset:636
	buffer_load_dword v162, off, s[0:3], 0 offset:648
	;; [unrolled: 1-line block ×5, first 2 shown]
	ds_read_b128 v[95:98], v1 offset:1056
	s_mov_b32 s4, exec_lo
	s_waitcnt vmcnt(62) lgkmcnt(2)
	v_mul_f64 v[158:159], v[89:90], v[2:3]
	v_mul_f64 v[2:3], v[87:88], v[2:3]
	s_waitcnt vmcnt(60) lgkmcnt(1)
	v_mul_f64 v[165:166], v[93:94], v[99:100]
	v_mul_f64 v[99:100], v[91:92], v[99:100]
	;; [unrolled: 3-line block ×3, first 2 shown]
	v_fma_f64 v[158:159], v[87:88], v[101:102], -v[158:159]
	v_fma_f64 v[2:3], v[89:90], v[101:102], v[2:3]
	s_clause 0x2
	buffer_load_dword v163, off, s[0:3], 0 offset:652
	buffer_load_dword v102, off, s[0:3], 0 offset:628
	;; [unrolled: 1-line block ×3, first 2 shown]
	s_waitcnt vmcnt(57)
	v_fma_f64 v[169:170], v[91:92], v[105:106], -v[165:166]
	ds_read_b128 v[87:90], v1 offset:1072
	v_fma_f64 v[99:100], v[93:94], v[105:106], v[99:100]
	s_clause 0x2
	buffer_load_dword v106, off, s[0:3], 0 offset:668
	buffer_load_dword v105, off, s[0:3], 0 offset:664
	;; [unrolled: 1-line block ×3, first 2 shown]
	s_waitcnt vmcnt(54)
	v_fma_f64 v[103:104], v[95:96], v[113:114], -v[103:104]
	ds_read_b128 v[91:94], v1 offset:1088
	v_fma_f64 v[113:114], v[97:98], v[113:114], v[167:168]
	v_add_f64 v[158:159], v[158:159], 0
	v_add_f64 v[2:3], v[2:3], 0
	s_waitcnt lgkmcnt(1)
	v_mul_f64 v[171:172], v[87:88], v[107:108]
	v_mul_f64 v[107:108], v[89:90], v[107:108]
	s_waitcnt vmcnt(53) lgkmcnt(0)
	v_mul_f64 v[166:167], v[91:92], v[109:110]
	v_mul_f64 v[109:110], v[93:94], v[109:110]
	v_add_f64 v[158:159], v[158:159], v[169:170]
	v_add_f64 v[2:3], v[2:3], v[99:100]
	s_clause 0x1
	buffer_load_dword v100, off, s[0:3], 0 offset:660
	buffer_load_dword v99, off, s[0:3], 0 offset:656
	s_waitcnt vmcnt(53)
	v_fma_f64 v[107:108], v[87:88], v[115:116], -v[107:108]
	ds_read_b128 v[95:98], v1 offset:1104
	v_fma_f64 v[115:116], v[89:90], v[115:116], v[171:172]
	ds_read_b128 v[87:90], v1 offset:1120
	s_waitcnt vmcnt(48)
	v_fma_f64 v[109:110], v[91:92], v[111:112], -v[109:110]
	v_add_f64 v[103:104], v[158:159], v[103:104]
	v_add_f64 v[2:3], v[2:3], v[113:114]
	s_waitcnt lgkmcnt(1)
	v_mul_f64 v[113:114], v[95:96], v[117:118]
	v_mul_f64 v[117:118], v[97:98], v[117:118]
	s_waitcnt vmcnt(47) lgkmcnt(0)
	v_mul_f64 v[158:159], v[87:88], v[119:120]
	v_mul_f64 v[119:120], v[89:90], v[119:120]
	v_add_f64 v[103:104], v[103:104], v[107:108]
	v_fma_f64 v[107:108], v[93:94], v[111:112], v[166:167]
	v_add_f64 v[2:3], v[2:3], v[115:116]
	s_clause 0x3
	buffer_load_dword v111, off, s[0:3], 0 offset:368
	buffer_load_dword v112, off, s[0:3], 0 offset:372
	;; [unrolled: 1-line block ×4, first 2 shown]
	s_waitcnt vmcnt(49)
	v_fma_f64 v[117:118], v[95:96], v[123:124], -v[117:118]
	ds_read_b128 v[91:94], v1 offset:1136
	s_waitcnt vmcnt(44)
	v_fma_f64 v[119:120], v[87:88], v[121:122], -v[119:120]
	v_add_f64 v[103:104], v[103:104], v[109:110]
	v_fma_f64 v[109:110], v[97:98], v[123:124], v[113:114]
	v_add_f64 v[2:3], v[2:3], v[107:108]
	ds_read_b128 v[95:98], v1 offset:1152
	s_waitcnt lgkmcnt(1)
	v_mul_f64 v[113:114], v[93:94], v[125:126]
	v_mul_f64 v[107:108], v[91:92], v[125:126]
	v_add_f64 v[103:104], v[103:104], v[117:118]
	v_fma_f64 v[117:118], v[89:90], v[121:122], v[158:159]
	v_add_f64 v[2:3], v[2:3], v[109:110]
	s_waitcnt vmcnt(43) lgkmcnt(0)
	v_mul_f64 v[121:122], v[97:98], v[127:128]
	s_waitcnt vmcnt(41)
	v_fma_f64 v[113:114], v[91:92], v[131:132], -v[113:114]
	ds_read_b128 v[87:90], v1 offset:1168
	v_mul_f64 v[109:110], v[95:96], v[127:128]
	v_fma_f64 v[107:108], v[93:94], v[131:132], v[107:108]
	ds_read_b128 v[91:94], v1 offset:1184
	v_add_f64 v[103:104], v[103:104], v[119:120]
	v_add_f64 v[2:3], v[2:3], v[117:118]
	s_waitcnt vmcnt(37) lgkmcnt(1)
	v_mul_f64 v[119:120], v[89:90], v[133:134]
	s_waitcnt vmcnt(36)
	v_fma_f64 v[121:122], v[95:96], v[129:130], -v[121:122]
	v_mul_f64 v[117:118], v[87:88], v[133:134]
	v_fma_f64 v[109:110], v[97:98], v[129:130], v[109:110]
	ds_read_b128 v[95:98], v1 offset:1200
	v_add_f64 v[103:104], v[103:104], v[113:114]
	s_waitcnt vmcnt(35) lgkmcnt(1)
	v_mul_f64 v[113:114], v[93:94], v[135:136]
	v_add_f64 v[2:3], v[2:3], v[107:108]
	s_waitcnt vmcnt(33)
	v_fma_f64 v[119:120], v[87:88], v[139:140], -v[119:120]
	v_mul_f64 v[107:108], v[91:92], v[135:136]
	v_fma_f64 v[117:118], v[89:90], v[139:140], v[117:118]
	ds_read_b128 v[87:90], v1 offset:1216
	v_add_f64 v[103:104], v[103:104], v[121:122]
	s_waitcnt vmcnt(29) lgkmcnt(1)
	v_mul_f64 v[121:122], v[97:98], v[141:142]
	v_add_f64 v[2:3], v[2:3], v[109:110]
	;; [unrolled: 9-line block ×6, first 2 shown]
	s_waitcnt vmcnt(12)
	v_fma_f64 v[95:96], v[95:96], v[154:155], -v[121:122]
	v_mul_f64 v[117:118], v[87:88], v[160:161]
	v_fma_f64 v[97:98], v[97:98], v[154:155], v[109:110]
	v_add_f64 v[103:104], v[103:104], v[113:114]
	v_add_f64 v[107:108], v[2:3], v[107:108]
	ds_read_b128 v[1:4], v1 offset:1296
	s_waitcnt vmcnt(11) lgkmcnt(1)
	v_mul_f64 v[113:114], v[93:94], v[162:163]
	v_mul_f64 v[109:110], v[91:92], v[162:163]
	s_waitcnt vmcnt(9)
	v_fma_f64 v[87:88], v[87:88], v[101:102], -v[119:120]
	v_fma_f64 v[89:90], v[89:90], v[101:102], v[117:118]
	v_add_f64 v[95:96], v[103:104], v[95:96]
	s_waitcnt vmcnt(7) lgkmcnt(0)
	v_mul_f64 v[103:104], v[3:4], v[105:106]
	v_add_f64 v[97:98], v[107:108], v[97:98]
	v_mul_f64 v[101:102], v[1:2], v[105:106]
	s_waitcnt vmcnt(6)
	v_fma_f64 v[91:92], v[91:92], v[164:165], -v[113:114]
	v_fma_f64 v[93:94], v[93:94], v[164:165], v[109:110]
	v_add_f64 v[87:88], v[95:96], v[87:88]
	v_add_f64 v[89:90], v[97:98], v[89:90]
	s_waitcnt vmcnt(4)
	v_fma_f64 v[1:2], v[1:2], v[99:100], -v[103:104]
	v_fma_f64 v[3:4], v[3:4], v[99:100], v[101:102]
	v_add_f64 v[87:88], v[87:88], v[91:92]
	v_add_f64 v[89:90], v[89:90], v[93:94]
	;; [unrolled: 1-line block ×4, first 2 shown]
	s_waitcnt vmcnt(2)
	v_add_f64 v[1:2], v[111:112], -v[1:2]
	s_waitcnt vmcnt(0)
	v_add_f64 v[3:4], v[115:116], -v[3:4]
	buffer_store_dword v2, off, s[0:3], 0 offset:372
	buffer_store_dword v1, off, s[0:3], 0 offset:368
	;; [unrolled: 1-line block ×4, first 2 shown]
	v_cmpx_lt_u32_e32 21, v0
	s_cbranch_execz .LBB104_217
; %bb.216:
	v_mov_b32_e32 v4, s31
	v_mov_b32_e32 v87, 0
	s_clause 0x3
	buffer_load_dword v1, v4, s[0:3], 0 offen
	buffer_load_dword v2, v4, s[0:3], 0 offen offset:4
	buffer_load_dword v3, v4, s[0:3], 0 offen offset:8
	;; [unrolled: 1-line block ×3, first 2 shown]
	buffer_store_dword v87, off, s[0:3], 0 offset:352
	buffer_store_dword v87, off, s[0:3], 0 offset:356
	;; [unrolled: 1-line block ×4, first 2 shown]
	s_waitcnt vmcnt(0)
	ds_write_b128 v143, v[1:4]
.LBB104_217:
	s_or_b32 exec_lo, exec_lo, s4
	s_waitcnt lgkmcnt(0)
	s_waitcnt_vscnt null, 0x0
	s_barrier
	buffer_gl0_inv
	s_clause 0x37
	buffer_load_dword v2, off, s[0:3], 0 offset:376
	buffer_load_dword v3, off, s[0:3], 0 offset:380
	;; [unrolled: 1-line block ×56, first 2 shown]
	v_mov_b32_e32 v1, 0
	s_mov_b32 s4, exec_lo
	ds_read_b128 v[87:90], v1 offset:1008
	s_clause 0x2
	buffer_load_dword v153, off, s[0:3], 0 offset:604
	buffer_load_dword v157, off, s[0:3], 0 offset:580
	;; [unrolled: 1-line block ×3, first 2 shown]
	ds_read_b128 v[91:94], v1 offset:1024
	s_clause 0x4
	buffer_load_dword v161, off, s[0:3], 0 offset:620
	buffer_load_dword v162, off, s[0:3], 0 offset:632
	;; [unrolled: 1-line block ×5, first 2 shown]
	ds_read_b128 v[95:98], v1 offset:1040
	s_waitcnt vmcnt(62) lgkmcnt(2)
	v_mul_f64 v[158:159], v[89:90], v[2:3]
	v_mul_f64 v[2:3], v[87:88], v[2:3]
	s_waitcnt vmcnt(60) lgkmcnt(1)
	v_mul_f64 v[165:166], v[93:94], v[99:100]
	v_mul_f64 v[99:100], v[91:92], v[99:100]
	;; [unrolled: 3-line block ×3, first 2 shown]
	v_fma_f64 v[158:159], v[87:88], v[101:102], -v[158:159]
	v_fma_f64 v[2:3], v[89:90], v[101:102], v[2:3]
	s_clause 0x2
	buffer_load_dword v163, off, s[0:3], 0 offset:636
	buffer_load_dword v102, off, s[0:3], 0 offset:612
	;; [unrolled: 1-line block ×3, first 2 shown]
	s_waitcnt vmcnt(57)
	v_fma_f64 v[169:170], v[91:92], v[105:106], -v[165:166]
	ds_read_b128 v[87:90], v1 offset:1056
	v_fma_f64 v[99:100], v[93:94], v[105:106], v[99:100]
	s_clause 0x4
	buffer_load_dword v106, off, s[0:3], 0 offset:652
	buffer_load_dword v166, off, s[0:3], 0 offset:664
	;; [unrolled: 1-line block ×5, first 2 shown]
	s_waitcnt vmcnt(56)
	v_fma_f64 v[103:104], v[95:96], v[113:114], -v[103:104]
	ds_read_b128 v[91:94], v1 offset:1072
	v_fma_f64 v[113:114], v[97:98], v[113:114], v[167:168]
	v_add_f64 v[158:159], v[158:159], 0
	v_add_f64 v[2:3], v[2:3], 0
	s_waitcnt lgkmcnt(1)
	v_mul_f64 v[172:173], v[87:88], v[107:108]
	v_mul_f64 v[107:108], v[89:90], v[107:108]
	v_add_f64 v[158:159], v[158:159], v[169:170]
	v_add_f64 v[2:3], v[2:3], v[99:100]
	s_clause 0x2
	buffer_load_dword v167, off, s[0:3], 0 offset:668
	buffer_load_dword v100, off, s[0:3], 0 offset:644
	buffer_load_dword v99, off, s[0:3], 0 offset:640
	s_waitcnt vmcnt(58) lgkmcnt(0)
	v_mul_f64 v[168:169], v[91:92], v[109:110]
	v_mul_f64 v[109:110], v[93:94], v[109:110]
	s_waitcnt vmcnt(56)
	v_fma_f64 v[107:108], v[87:88], v[115:116], -v[107:108]
	ds_read_b128 v[95:98], v1 offset:1088
	v_fma_f64 v[115:116], v[89:90], v[115:116], v[172:173]
	buffer_load_dword v172, off, s[0:3], 0 offset:660
	ds_read_b128 v[87:90], v1 offset:1104
	v_add_f64 v[103:104], v[158:159], v[103:104]
	v_add_f64 v[2:3], v[2:3], v[113:114]
	s_waitcnt vmcnt(53) lgkmcnt(1)
	v_mul_f64 v[113:114], v[95:96], v[117:118]
	v_mul_f64 v[117:118], v[97:98], v[117:118]
	s_waitcnt vmcnt(52)
	v_fma_f64 v[109:110], v[91:92], v[111:112], -v[109:110]
	v_add_f64 v[103:104], v[103:104], v[107:108]
	v_fma_f64 v[107:108], v[93:94], v[111:112], v[168:169]
	v_add_f64 v[2:3], v[2:3], v[115:116]
	s_waitcnt vmcnt(51) lgkmcnt(0)
	v_mul_f64 v[115:116], v[89:90], v[119:120]
	ds_read_b128 v[91:94], v1 offset:1120
	s_waitcnt vmcnt(49)
	v_fma_f64 v[117:118], v[95:96], v[123:124], -v[117:118]
	v_mul_f64 v[111:112], v[87:88], v[119:120]
	v_add_f64 v[103:104], v[103:104], v[109:110]
	v_fma_f64 v[109:110], v[97:98], v[123:124], v[113:114]
	v_add_f64 v[2:3], v[2:3], v[107:108]
	s_clause 0x3
	buffer_load_dword v107, off, s[0:3], 0 offset:352
	buffer_load_dword v108, off, s[0:3], 0 offset:356
	;; [unrolled: 1-line block ×4, first 2 shown]
	s_waitcnt vmcnt(49) lgkmcnt(0)
	v_mul_f64 v[123:124], v[93:94], v[125:126]
	s_waitcnt vmcnt(48)
	v_fma_f64 v[115:116], v[87:88], v[121:122], -v[115:116]
	ds_read_b128 v[95:98], v1 offset:1136
	v_mul_f64 v[119:120], v[91:92], v[125:126]
	v_fma_f64 v[111:112], v[89:90], v[121:122], v[111:112]
	ds_read_b128 v[87:90], v1 offset:1152
	v_add_f64 v[103:104], v[103:104], v[117:118]
	v_add_f64 v[2:3], v[2:3], v[109:110]
	s_waitcnt vmcnt(47) lgkmcnt(1)
	v_mul_f64 v[117:118], v[97:98], v[127:128]
	s_waitcnt vmcnt(45)
	v_fma_f64 v[121:122], v[91:92], v[131:132], -v[123:124]
	v_mul_f64 v[109:110], v[95:96], v[127:128]
	v_add_f64 v[103:104], v[103:104], v[115:116]
	v_fma_f64 v[115:116], v[93:94], v[131:132], v[119:120]
	v_add_f64 v[2:3], v[2:3], v[111:112]
	s_waitcnt vmcnt(41) lgkmcnt(0)
	v_mul_f64 v[119:120], v[89:90], v[133:134]
	s_waitcnt vmcnt(40)
	v_fma_f64 v[117:118], v[95:96], v[129:130], -v[117:118]
	ds_read_b128 v[91:94], v1 offset:1168
	v_mul_f64 v[111:112], v[87:88], v[133:134]
	v_fma_f64 v[109:110], v[97:98], v[129:130], v[109:110]
	ds_read_b128 v[95:98], v1 offset:1184
	v_add_f64 v[103:104], v[103:104], v[121:122]
	v_add_f64 v[2:3], v[2:3], v[115:116]
	s_waitcnt vmcnt(39) lgkmcnt(1)
	v_mul_f64 v[121:122], v[93:94], v[135:136]
	s_waitcnt vmcnt(37)
	v_fma_f64 v[119:120], v[87:88], v[139:140], -v[119:120]
	v_mul_f64 v[115:116], v[91:92], v[135:136]
	v_fma_f64 v[111:112], v[89:90], v[139:140], v[111:112]
	ds_read_b128 v[87:90], v1 offset:1200
	v_add_f64 v[103:104], v[103:104], v[117:118]
	s_waitcnt vmcnt(33) lgkmcnt(1)
	v_mul_f64 v[117:118], v[97:98], v[141:142]
	v_add_f64 v[2:3], v[2:3], v[109:110]
	s_waitcnt vmcnt(32)
	v_fma_f64 v[121:122], v[91:92], v[137:138], -v[121:122]
	v_mul_f64 v[109:110], v[95:96], v[141:142]
	v_fma_f64 v[115:116], v[93:94], v[137:138], v[115:116]
	ds_read_b128 v[91:94], v1 offset:1216
	v_add_f64 v[103:104], v[103:104], v[119:120]
	s_waitcnt vmcnt(31) lgkmcnt(1)
	v_mul_f64 v[119:120], v[89:90], v[144:145]
	v_add_f64 v[2:3], v[2:3], v[111:112]
	;; [unrolled: 9-line block ×5, first 2 shown]
	s_waitcnt vmcnt(16)
	v_fma_f64 v[117:118], v[95:96], v[154:155], -v[117:118]
	v_mul_f64 v[111:112], v[87:88], v[160:161]
	v_fma_f64 v[109:110], v[97:98], v[154:155], v[109:110]
	ds_read_b128 v[95:98], v1 offset:1280
	v_add_f64 v[103:104], v[103:104], v[121:122]
	v_add_f64 v[2:3], v[2:3], v[115:116]
	s_waitcnt vmcnt(15) lgkmcnt(1)
	v_mul_f64 v[121:122], v[93:94], v[162:163]
	v_mul_f64 v[115:116], v[91:92], v[162:163]
	s_waitcnt vmcnt(13)
	v_fma_f64 v[119:120], v[87:88], v[101:102], -v[119:120]
	v_fma_f64 v[101:102], v[89:90], v[101:102], v[111:112]
	ds_read_b128 v[87:90], v1 offset:1296
	v_add_f64 v[103:104], v[103:104], v[117:118]
	v_add_f64 v[2:3], v[2:3], v[109:110]
	s_waitcnt vmcnt(9) lgkmcnt(1)
	v_mul_f64 v[109:110], v[95:96], v[105:106]
	v_mul_f64 v[105:106], v[97:98], v[105:106]
	s_waitcnt vmcnt(8)
	v_fma_f64 v[91:92], v[91:92], v[164:165], -v[121:122]
	v_fma_f64 v[93:94], v[93:94], v[164:165], v[115:116]
	v_add_f64 v[103:104], v[103:104], v[119:120]
	v_add_f64 v[2:3], v[2:3], v[101:102]
	s_waitcnt vmcnt(7) lgkmcnt(0)
	v_mul_f64 v[111:112], v[89:90], v[166:167]
	v_mul_f64 v[101:102], v[87:88], v[166:167]
	s_waitcnt vmcnt(5)
	v_fma_f64 v[95:96], v[95:96], v[99:100], -v[105:106]
	v_fma_f64 v[97:98], v[97:98], v[99:100], v[109:110]
	v_add_f64 v[91:92], v[103:104], v[91:92]
	v_add_f64 v[2:3], v[2:3], v[93:94]
	s_waitcnt vmcnt(4)
	v_fma_f64 v[87:88], v[87:88], v[171:172], -v[111:112]
	v_fma_f64 v[89:90], v[89:90], v[171:172], v[101:102]
	v_add_f64 v[91:92], v[91:92], v[95:96]
	v_add_f64 v[2:3], v[2:3], v[97:98]
	;; [unrolled: 1-line block ×4, first 2 shown]
	s_waitcnt vmcnt(2)
	v_add_f64 v[87:88], v[107:108], -v[87:88]
	s_waitcnt vmcnt(0)
	v_add_f64 v[2:3], v[113:114], -v[2:3]
	buffer_store_dword v88, off, s[0:3], 0 offset:356
	buffer_store_dword v87, off, s[0:3], 0 offset:352
	buffer_store_dword v3, off, s[0:3], 0 offset:364
	buffer_store_dword v2, off, s[0:3], 0 offset:360
	v_cmpx_lt_u32_e32 20, v0
	s_cbranch_execz .LBB104_219
; %bb.218:
	v_mov_b32_e32 v2, s33
	s_clause 0x3
	buffer_load_dword v87, v2, s[0:3], 0 offen
	buffer_load_dword v88, v2, s[0:3], 0 offen offset:4
	buffer_load_dword v89, v2, s[0:3], 0 offen offset:8
	;; [unrolled: 1-line block ×3, first 2 shown]
	buffer_store_dword v1, off, s[0:3], 0 offset:336
	buffer_store_dword v1, off, s[0:3], 0 offset:340
	;; [unrolled: 1-line block ×4, first 2 shown]
	s_waitcnt vmcnt(0)
	ds_write_b128 v143, v[87:90]
.LBB104_219:
	s_or_b32 exec_lo, exec_lo, s4
	s_waitcnt lgkmcnt(0)
	s_waitcnt_vscnt null, 0x0
	s_barrier
	buffer_gl0_inv
	s_clause 0x37
	buffer_load_dword v2, off, s[0:3], 0 offset:360
	buffer_load_dword v3, off, s[0:3], 0 offset:364
	;; [unrolled: 1-line block ×56, first 2 shown]
	ds_read_b128 v[87:90], v1 offset:992
	s_clause 0x2
	buffer_load_dword v153, off, s[0:3], 0 offset:588
	buffer_load_dword v157, off, s[0:3], 0 offset:564
	;; [unrolled: 1-line block ×3, first 2 shown]
	ds_read_b128 v[91:94], v1 offset:1008
	s_clause 0x4
	buffer_load_dword v161, off, s[0:3], 0 offset:604
	buffer_load_dword v162, off, s[0:3], 0 offset:616
	;; [unrolled: 1-line block ×5, first 2 shown]
	ds_read_b128 v[95:98], v1 offset:1024
	s_mov_b32 s4, exec_lo
	s_waitcnt vmcnt(62) lgkmcnt(2)
	v_mul_f64 v[158:159], v[89:90], v[2:3]
	v_mul_f64 v[2:3], v[87:88], v[2:3]
	s_waitcnt vmcnt(60) lgkmcnt(1)
	v_mul_f64 v[165:166], v[93:94], v[99:100]
	v_mul_f64 v[99:100], v[91:92], v[99:100]
	;; [unrolled: 3-line block ×3, first 2 shown]
	v_fma_f64 v[158:159], v[87:88], v[101:102], -v[158:159]
	v_fma_f64 v[2:3], v[89:90], v[101:102], v[2:3]
	s_clause 0x2
	buffer_load_dword v163, off, s[0:3], 0 offset:620
	buffer_load_dword v102, off, s[0:3], 0 offset:596
	;; [unrolled: 1-line block ×3, first 2 shown]
	s_waitcnt vmcnt(57)
	v_fma_f64 v[169:170], v[91:92], v[105:106], -v[165:166]
	ds_read_b128 v[87:90], v1 offset:1040
	v_fma_f64 v[99:100], v[93:94], v[105:106], v[99:100]
	s_clause 0x4
	buffer_load_dword v106, off, s[0:3], 0 offset:636
	buffer_load_dword v166, off, s[0:3], 0 offset:648
	;; [unrolled: 1-line block ×5, first 2 shown]
	s_waitcnt vmcnt(56)
	v_fma_f64 v[103:104], v[95:96], v[113:114], -v[103:104]
	ds_read_b128 v[91:94], v1 offset:1056
	v_fma_f64 v[113:114], v[97:98], v[113:114], v[167:168]
	v_add_f64 v[158:159], v[158:159], 0
	v_add_f64 v[2:3], v[2:3], 0
	s_waitcnt lgkmcnt(1)
	v_mul_f64 v[172:173], v[87:88], v[107:108]
	v_mul_f64 v[107:108], v[89:90], v[107:108]
	v_add_f64 v[158:159], v[158:159], v[169:170]
	v_add_f64 v[2:3], v[2:3], v[99:100]
	s_clause 0x2
	buffer_load_dword v167, off, s[0:3], 0 offset:652
	buffer_load_dword v100, off, s[0:3], 0 offset:628
	;; [unrolled: 1-line block ×3, first 2 shown]
	s_waitcnt vmcnt(58) lgkmcnt(0)
	v_mul_f64 v[168:169], v[91:92], v[109:110]
	v_mul_f64 v[109:110], v[93:94], v[109:110]
	s_waitcnt vmcnt(56)
	v_fma_f64 v[107:108], v[87:88], v[115:116], -v[107:108]
	ds_read_b128 v[95:98], v1 offset:1072
	v_fma_f64 v[115:116], v[89:90], v[115:116], v[172:173]
	v_add_f64 v[103:104], v[158:159], v[103:104]
	v_add_f64 v[2:3], v[2:3], v[113:114]
	s_clause 0x2
	buffer_load_dword v114, off, s[0:3], 0 offset:668
	buffer_load_dword v113, off, s[0:3], 0 offset:664
	;; [unrolled: 1-line block ×3, first 2 shown]
	ds_read_b128 v[87:90], v1 offset:1088
	s_waitcnt vmcnt(55) lgkmcnt(1)
	v_mul_f64 v[158:159], v[95:96], v[117:118]
	v_mul_f64 v[117:118], v[97:98], v[117:118]
	s_waitcnt vmcnt(54)
	v_fma_f64 v[109:110], v[91:92], v[111:112], -v[109:110]
	v_add_f64 v[103:104], v[103:104], v[107:108]
	v_fma_f64 v[107:108], v[93:94], v[111:112], v[168:169]
	v_add_f64 v[2:3], v[2:3], v[115:116]
	s_clause 0x1
	buffer_load_dword v112, off, s[0:3], 0 offset:660
	buffer_load_dword v111, off, s[0:3], 0 offset:656
	s_waitcnt vmcnt(55) lgkmcnt(0)
	v_mul_f64 v[115:116], v[87:88], v[119:120]
	v_mul_f64 v[119:120], v[89:90], v[119:120]
	s_waitcnt vmcnt(53)
	v_fma_f64 v[117:118], v[95:96], v[123:124], -v[117:118]
	ds_read_b128 v[91:94], v1 offset:1104
	v_add_f64 v[103:104], v[103:104], v[109:110]
	v_fma_f64 v[109:110], v[97:98], v[123:124], v[158:159]
	v_add_f64 v[2:3], v[2:3], v[107:108]
	ds_read_b128 v[95:98], v1 offset:1120
	s_waitcnt vmcnt(48)
	v_fma_f64 v[115:116], v[89:90], v[121:122], v[115:116]
	s_waitcnt lgkmcnt(1)
	v_mul_f64 v[123:124], v[93:94], v[125:126]
	v_fma_f64 v[119:120], v[87:88], v[121:122], -v[119:120]
	v_mul_f64 v[107:108], v[91:92], v[125:126]
	v_add_f64 v[103:104], v[103:104], v[117:118]
	s_waitcnt vmcnt(47) lgkmcnt(0)
	v_mul_f64 v[125:126], v[97:98], v[127:128]
	v_add_f64 v[2:3], v[2:3], v[109:110]
	s_clause 0x3
	buffer_load_dword v109, off, s[0:3], 0 offset:336
	buffer_load_dword v110, off, s[0:3], 0 offset:340
	;; [unrolled: 1-line block ×4, first 2 shown]
	ds_read_b128 v[87:90], v1 offset:1136
	s_waitcnt vmcnt(49)
	v_fma_f64 v[123:124], v[91:92], v[131:132], -v[123:124]
	v_mul_f64 v[121:122], v[95:96], v[127:128]
	v_fma_f64 v[107:108], v[93:94], v[131:132], v[107:108]
	ds_read_b128 v[91:94], v1 offset:1152
	v_add_f64 v[103:104], v[103:104], v[119:120]
	s_waitcnt vmcnt(44)
	v_fma_f64 v[125:126], v[95:96], v[129:130], -v[125:126]
	v_add_f64 v[2:3], v[2:3], v[115:116]
	s_waitcnt lgkmcnt(1)
	v_mul_f64 v[119:120], v[89:90], v[133:134]
	v_mul_f64 v[115:116], v[87:88], v[133:134]
	v_fma_f64 v[121:122], v[97:98], v[129:130], v[121:122]
	ds_read_b128 v[95:98], v1 offset:1168
	v_add_f64 v[103:104], v[103:104], v[123:124]
	s_waitcnt vmcnt(43) lgkmcnt(1)
	v_mul_f64 v[123:124], v[93:94], v[135:136]
	v_add_f64 v[2:3], v[2:3], v[107:108]
	s_waitcnt vmcnt(41)
	v_fma_f64 v[119:120], v[87:88], v[139:140], -v[119:120]
	v_mul_f64 v[107:108], v[91:92], v[135:136]
	v_fma_f64 v[115:116], v[89:90], v[139:140], v[115:116]
	ds_read_b128 v[87:90], v1 offset:1184
	v_add_f64 v[103:104], v[103:104], v[125:126]
	s_waitcnt vmcnt(37) lgkmcnt(1)
	v_mul_f64 v[125:126], v[97:98], v[141:142]
	v_add_f64 v[2:3], v[2:3], v[121:122]
	s_waitcnt vmcnt(36)
	v_fma_f64 v[123:124], v[91:92], v[137:138], -v[123:124]
	;; [unrolled: 9-line block ×6, first 2 shown]
	v_mul_f64 v[115:116], v[87:88], v[160:161]
	v_fma_f64 v[121:122], v[97:98], v[154:155], v[121:122]
	ds_read_b128 v[95:98], v1 offset:1264
	v_add_f64 v[103:104], v[103:104], v[123:124]
	v_add_f64 v[2:3], v[2:3], v[107:108]
	s_waitcnt vmcnt(19) lgkmcnt(1)
	v_mul_f64 v[123:124], v[93:94], v[162:163]
	v_mul_f64 v[107:108], v[91:92], v[162:163]
	s_waitcnt vmcnt(17)
	v_fma_f64 v[119:120], v[87:88], v[101:102], -v[119:120]
	v_fma_f64 v[101:102], v[89:90], v[101:102], v[115:116]
	ds_read_b128 v[87:90], v1 offset:1280
	s_waitcnt vmcnt(13) lgkmcnt(1)
	v_mul_f64 v[115:116], v[95:96], v[105:106]
	v_mul_f64 v[105:106], v[97:98], v[105:106]
	v_add_f64 v[103:104], v[103:104], v[125:126]
	v_add_f64 v[2:3], v[2:3], v[121:122]
	s_waitcnt vmcnt(12)
	v_fma_f64 v[91:92], v[91:92], v[164:165], -v[123:124]
	v_fma_f64 v[93:94], v[93:94], v[164:165], v[107:108]
	v_add_f64 v[103:104], v[103:104], v[119:120]
	v_add_f64 v[101:102], v[2:3], v[101:102]
	ds_read_b128 v[1:4], v1 offset:1296
	s_waitcnt vmcnt(11) lgkmcnt(1)
	v_mul_f64 v[119:120], v[89:90], v[166:167]
	v_mul_f64 v[107:108], v[87:88], v[166:167]
	s_waitcnt vmcnt(9)
	v_fma_f64 v[95:96], v[95:96], v[99:100], -v[105:106]
	v_fma_f64 v[97:98], v[97:98], v[99:100], v[115:116]
	v_add_f64 v[91:92], v[103:104], v[91:92]
	v_add_f64 v[93:94], v[101:102], v[93:94]
	s_waitcnt vmcnt(7) lgkmcnt(0)
	v_mul_f64 v[101:102], v[3:4], v[113:114]
	s_waitcnt vmcnt(6)
	v_fma_f64 v[87:88], v[87:88], v[171:172], -v[119:120]
	v_mul_f64 v[99:100], v[1:2], v[113:114]
	v_fma_f64 v[89:90], v[89:90], v[171:172], v[107:108]
	v_add_f64 v[91:92], v[91:92], v[95:96]
	v_add_f64 v[93:94], v[93:94], v[97:98]
	s_waitcnt vmcnt(4)
	v_fma_f64 v[1:2], v[1:2], v[111:112], -v[101:102]
	v_fma_f64 v[3:4], v[3:4], v[111:112], v[99:100]
	v_add_f64 v[87:88], v[91:92], v[87:88]
	v_add_f64 v[89:90], v[93:94], v[89:90]
	;; [unrolled: 1-line block ×4, first 2 shown]
	s_waitcnt vmcnt(2)
	v_add_f64 v[1:2], v[109:110], -v[1:2]
	s_waitcnt vmcnt(0)
	v_add_f64 v[3:4], v[117:118], -v[3:4]
	buffer_store_dword v2, off, s[0:3], 0 offset:340
	buffer_store_dword v1, off, s[0:3], 0 offset:336
	;; [unrolled: 1-line block ×4, first 2 shown]
	v_cmpx_lt_u32_e32 19, v0
	s_cbranch_execz .LBB104_221
; %bb.220:
	v_mov_b32_e32 v4, s34
	v_mov_b32_e32 v87, 0
	s_clause 0x3
	buffer_load_dword v1, v4, s[0:3], 0 offen
	buffer_load_dword v2, v4, s[0:3], 0 offen offset:4
	buffer_load_dword v3, v4, s[0:3], 0 offen offset:8
	;; [unrolled: 1-line block ×3, first 2 shown]
	buffer_store_dword v87, off, s[0:3], 0 offset:320
	buffer_store_dword v87, off, s[0:3], 0 offset:324
	;; [unrolled: 1-line block ×4, first 2 shown]
	s_waitcnt vmcnt(0)
	ds_write_b128 v143, v[1:4]
.LBB104_221:
	s_or_b32 exec_lo, exec_lo, s4
	s_waitcnt lgkmcnt(0)
	s_waitcnt_vscnt null, 0x0
	s_barrier
	buffer_gl0_inv
	s_clause 0x37
	buffer_load_dword v2, off, s[0:3], 0 offset:344
	buffer_load_dword v3, off, s[0:3], 0 offset:348
	;; [unrolled: 1-line block ×56, first 2 shown]
	v_mov_b32_e32 v1, 0
	s_mov_b32 s4, exec_lo
	ds_read_b128 v[87:90], v1 offset:976
	s_clause 0x2
	buffer_load_dword v153, off, s[0:3], 0 offset:572
	buffer_load_dword v157, off, s[0:3], 0 offset:548
	;; [unrolled: 1-line block ×3, first 2 shown]
	ds_read_b128 v[91:94], v1 offset:992
	s_clause 0x4
	buffer_load_dword v161, off, s[0:3], 0 offset:588
	buffer_load_dword v162, off, s[0:3], 0 offset:600
	;; [unrolled: 1-line block ×5, first 2 shown]
	ds_read_b128 v[95:98], v1 offset:1008
	s_waitcnt vmcnt(62) lgkmcnt(2)
	v_mul_f64 v[158:159], v[89:90], v[2:3]
	v_mul_f64 v[2:3], v[87:88], v[2:3]
	s_waitcnt vmcnt(60) lgkmcnt(1)
	v_mul_f64 v[165:166], v[93:94], v[99:100]
	v_mul_f64 v[99:100], v[91:92], v[99:100]
	;; [unrolled: 3-line block ×3, first 2 shown]
	v_fma_f64 v[158:159], v[87:88], v[101:102], -v[158:159]
	v_fma_f64 v[2:3], v[89:90], v[101:102], v[2:3]
	s_clause 0x2
	buffer_load_dword v163, off, s[0:3], 0 offset:604
	buffer_load_dword v102, off, s[0:3], 0 offset:580
	;; [unrolled: 1-line block ×3, first 2 shown]
	s_waitcnt vmcnt(57)
	v_fma_f64 v[169:170], v[91:92], v[105:106], -v[165:166]
	ds_read_b128 v[87:90], v1 offset:1024
	v_fma_f64 v[99:100], v[93:94], v[105:106], v[99:100]
	s_clause 0x4
	buffer_load_dword v106, off, s[0:3], 0 offset:620
	buffer_load_dword v166, off, s[0:3], 0 offset:632
	;; [unrolled: 1-line block ×5, first 2 shown]
	s_waitcnt vmcnt(56)
	v_fma_f64 v[103:104], v[95:96], v[113:114], -v[103:104]
	ds_read_b128 v[91:94], v1 offset:1040
	v_fma_f64 v[113:114], v[97:98], v[113:114], v[167:168]
	v_add_f64 v[158:159], v[158:159], 0
	v_add_f64 v[2:3], v[2:3], 0
	s_waitcnt lgkmcnt(1)
	v_mul_f64 v[172:173], v[87:88], v[107:108]
	v_mul_f64 v[107:108], v[89:90], v[107:108]
	v_add_f64 v[158:159], v[158:159], v[169:170]
	v_add_f64 v[2:3], v[2:3], v[99:100]
	s_clause 0x2
	buffer_load_dword v167, off, s[0:3], 0 offset:636
	buffer_load_dword v100, off, s[0:3], 0 offset:612
	;; [unrolled: 1-line block ×3, first 2 shown]
	s_waitcnt vmcnt(58) lgkmcnt(0)
	v_mul_f64 v[168:169], v[91:92], v[109:110]
	v_mul_f64 v[109:110], v[93:94], v[109:110]
	s_waitcnt vmcnt(56)
	v_fma_f64 v[107:108], v[87:88], v[115:116], -v[107:108]
	ds_read_b128 v[95:98], v1 offset:1056
	v_fma_f64 v[115:116], v[89:90], v[115:116], v[172:173]
	v_add_f64 v[103:104], v[158:159], v[103:104]
	v_add_f64 v[2:3], v[2:3], v[113:114]
	s_clause 0x4
	buffer_load_dword v114, off, s[0:3], 0 offset:652
	buffer_load_dword v158, off, s[0:3], 0 offset:664
	;; [unrolled: 1-line block ×5, first 2 shown]
	ds_read_b128 v[87:90], v1 offset:1072
	s_waitcnt vmcnt(57) lgkmcnt(1)
	v_mul_f64 v[174:175], v[95:96], v[117:118]
	v_mul_f64 v[117:118], v[97:98], v[117:118]
	s_waitcnt vmcnt(56)
	v_fma_f64 v[109:110], v[91:92], v[111:112], -v[109:110]
	v_add_f64 v[103:104], v[103:104], v[107:108]
	v_fma_f64 v[107:108], v[93:94], v[111:112], v[168:169]
	v_add_f64 v[2:3], v[2:3], v[115:116]
	s_clause 0x2
	buffer_load_dword v159, off, s[0:3], 0 offset:668
	buffer_load_dword v112, off, s[0:3], 0 offset:644
	;; [unrolled: 1-line block ×3, first 2 shown]
	s_waitcnt vmcnt(58) lgkmcnt(0)
	v_mul_f64 v[115:116], v[87:88], v[119:120]
	v_mul_f64 v[119:120], v[89:90], v[119:120]
	s_waitcnt vmcnt(56)
	v_fma_f64 v[117:118], v[95:96], v[123:124], -v[117:118]
	ds_read_b128 v[91:94], v1 offset:1088
	v_add_f64 v[103:104], v[103:104], v[109:110]
	v_fma_f64 v[109:110], v[97:98], v[123:124], v[174:175]
	v_add_f64 v[2:3], v[2:3], v[107:108]
	buffer_load_dword v174, off, s[0:3], 0 offset:660
	ds_read_b128 v[95:98], v1 offset:1104
	s_waitcnt vmcnt(53) lgkmcnt(1)
	v_mul_f64 v[123:124], v[93:94], v[125:126]
	s_waitcnt vmcnt(52)
	v_fma_f64 v[119:120], v[87:88], v[121:122], -v[119:120]
	v_mul_f64 v[107:108], v[91:92], v[125:126]
	v_fma_f64 v[115:116], v[89:90], v[121:122], v[115:116]
	ds_read_b128 v[87:90], v1 offset:1120
	v_add_f64 v[103:104], v[103:104], v[117:118]
	v_add_f64 v[2:3], v[2:3], v[109:110]
	s_waitcnt vmcnt(51) lgkmcnt(1)
	v_mul_f64 v[117:118], v[97:98], v[127:128]
	v_mul_f64 v[109:110], v[95:96], v[127:128]
	s_waitcnt vmcnt(49)
	v_fma_f64 v[121:122], v[91:92], v[131:132], -v[123:124]
	v_fma_f64 v[107:108], v[93:94], v[131:132], v[107:108]
	s_waitcnt vmcnt(45) lgkmcnt(0)
	v_mul_f64 v[125:126], v[89:90], v[133:134]
	v_mul_f64 v[123:124], v[87:88], v[133:134]
	v_add_f64 v[103:104], v[103:104], v[119:120]
	v_add_f64 v[2:3], v[2:3], v[115:116]
	s_clause 0x3
	buffer_load_dword v115, off, s[0:3], 0 offset:320
	buffer_load_dword v116, off, s[0:3], 0 offset:324
	buffer_load_dword v119, off, s[0:3], 0 offset:328
	buffer_load_dword v120, off, s[0:3], 0 offset:332
	s_waitcnt vmcnt(48)
	v_fma_f64 v[117:118], v[95:96], v[129:130], -v[117:118]
	ds_read_b128 v[91:94], v1 offset:1136
	v_fma_f64 v[109:110], v[97:98], v[129:130], v[109:110]
	ds_read_b128 v[95:98], v1 offset:1152
	s_waitcnt vmcnt(45)
	v_fma_f64 v[125:126], v[87:88], v[139:140], -v[125:126]
	v_add_f64 v[103:104], v[103:104], v[121:122]
	v_add_f64 v[2:3], v[2:3], v[107:108]
	s_waitcnt lgkmcnt(1)
	v_mul_f64 v[121:122], v[93:94], v[135:136]
	v_mul_f64 v[107:108], v[91:92], v[135:136]
	v_add_f64 v[103:104], v[103:104], v[117:118]
	v_fma_f64 v[117:118], v[89:90], v[139:140], v[123:124]
	v_add_f64 v[2:3], v[2:3], v[109:110]
	s_waitcnt vmcnt(41) lgkmcnt(0)
	v_mul_f64 v[123:124], v[97:98], v[141:142]
	s_waitcnt vmcnt(40)
	v_fma_f64 v[121:122], v[91:92], v[137:138], -v[121:122]
	ds_read_b128 v[87:90], v1 offset:1168
	v_mul_f64 v[109:110], v[95:96], v[141:142]
	v_fma_f64 v[107:108], v[93:94], v[137:138], v[107:108]
	ds_read_b128 v[91:94], v1 offset:1184
	v_add_f64 v[103:104], v[103:104], v[125:126]
	v_add_f64 v[2:3], v[2:3], v[117:118]
	s_waitcnt vmcnt(39) lgkmcnt(1)
	v_mul_f64 v[125:126], v[89:90], v[144:145]
	s_waitcnt vmcnt(37)
	v_fma_f64 v[123:124], v[95:96], v[148:149], -v[123:124]
	v_mul_f64 v[117:118], v[87:88], v[144:145]
	v_fma_f64 v[109:110], v[97:98], v[148:149], v[109:110]
	ds_read_b128 v[95:98], v1 offset:1200
	v_add_f64 v[103:104], v[103:104], v[121:122]
	s_waitcnt vmcnt(33) lgkmcnt(1)
	v_mul_f64 v[121:122], v[93:94], v[150:151]
	v_add_f64 v[2:3], v[2:3], v[107:108]
	s_waitcnt vmcnt(32)
	v_fma_f64 v[125:126], v[87:88], v[146:147], -v[125:126]
	v_mul_f64 v[107:108], v[91:92], v[150:151]
	v_fma_f64 v[117:118], v[89:90], v[146:147], v[117:118]
	ds_read_b128 v[87:90], v1 offset:1216
	v_add_f64 v[103:104], v[103:104], v[123:124]
	s_waitcnt vmcnt(31) lgkmcnt(1)
	v_mul_f64 v[123:124], v[97:98], v[152:153]
	v_add_f64 v[2:3], v[2:3], v[109:110]
	;; [unrolled: 9-line block ×3, first 2 shown]
	s_waitcnt vmcnt(24)
	v_fma_f64 v[123:124], v[95:96], v[154:155], -v[123:124]
	v_mul_f64 v[117:118], v[87:88], v[160:161]
	v_fma_f64 v[109:110], v[97:98], v[154:155], v[109:110]
	ds_read_b128 v[95:98], v1 offset:1248
	v_add_f64 v[103:104], v[103:104], v[121:122]
	v_add_f64 v[2:3], v[2:3], v[107:108]
	s_waitcnt vmcnt(23) lgkmcnt(1)
	v_mul_f64 v[121:122], v[93:94], v[162:163]
	v_mul_f64 v[107:108], v[91:92], v[162:163]
	s_waitcnt vmcnt(21)
	v_fma_f64 v[125:126], v[87:88], v[101:102], -v[125:126]
	v_fma_f64 v[101:102], v[89:90], v[101:102], v[117:118]
	ds_read_b128 v[87:90], v1 offset:1264
	v_add_f64 v[103:104], v[103:104], v[123:124]
	v_add_f64 v[2:3], v[2:3], v[109:110]
	s_waitcnt vmcnt(17) lgkmcnt(1)
	v_mul_f64 v[109:110], v[95:96], v[105:106]
	v_mul_f64 v[105:106], v[97:98], v[105:106]
	s_waitcnt vmcnt(16)
	v_fma_f64 v[117:118], v[91:92], v[164:165], -v[121:122]
	;; [unrolled: 9-line block ×3, first 2 shown]
	v_fma_f64 v[99:100], v[97:98], v[99:100], v[109:110]
	ds_read_b128 v[95:98], v1 offset:1296
	v_add_f64 v[103:104], v[103:104], v[117:118]
	v_add_f64 v[2:3], v[2:3], v[107:108]
	s_waitcnt vmcnt(9) lgkmcnt(1)
	v_mul_f64 v[109:110], v[93:94], v[113:114]
	s_waitcnt vmcnt(8)
	v_fma_f64 v[87:88], v[87:88], v[171:172], -v[121:122]
	v_mul_f64 v[107:108], v[91:92], v[113:114]
	v_fma_f64 v[89:90], v[89:90], v[171:172], v[101:102]
	v_add_f64 v[103:104], v[103:104], v[105:106]
	v_add_f64 v[2:3], v[2:3], v[99:100]
	s_waitcnt vmcnt(7) lgkmcnt(0)
	v_mul_f64 v[101:102], v[97:98], v[158:159]
	v_mul_f64 v[99:100], v[95:96], v[158:159]
	s_waitcnt vmcnt(5)
	v_fma_f64 v[91:92], v[91:92], v[111:112], -v[109:110]
	v_fma_f64 v[93:94], v[93:94], v[111:112], v[107:108]
	v_add_f64 v[87:88], v[103:104], v[87:88]
	v_add_f64 v[2:3], v[2:3], v[89:90]
	s_waitcnt vmcnt(4)
	v_fma_f64 v[89:90], v[95:96], v[173:174], -v[101:102]
	v_add_f64 v[87:88], v[87:88], v[91:92]
	v_fma_f64 v[91:92], v[97:98], v[173:174], v[99:100]
	v_add_f64 v[2:3], v[2:3], v[93:94]
	v_add_f64 v[87:88], v[87:88], v[89:90]
	;; [unrolled: 1-line block ×3, first 2 shown]
	s_waitcnt vmcnt(2)
	v_add_f64 v[87:88], v[115:116], -v[87:88]
	s_waitcnt vmcnt(0)
	v_add_f64 v[2:3], v[119:120], -v[2:3]
	buffer_store_dword v88, off, s[0:3], 0 offset:324
	buffer_store_dword v87, off, s[0:3], 0 offset:320
	;; [unrolled: 1-line block ×4, first 2 shown]
	v_cmpx_lt_u32_e32 18, v0
	s_cbranch_execz .LBB104_223
; %bb.222:
	v_mov_b32_e32 v2, s35
	s_clause 0x3
	buffer_load_dword v87, v2, s[0:3], 0 offen
	buffer_load_dword v88, v2, s[0:3], 0 offen offset:4
	buffer_load_dword v89, v2, s[0:3], 0 offen offset:8
	;; [unrolled: 1-line block ×3, first 2 shown]
	buffer_store_dword v1, off, s[0:3], 0 offset:304
	buffer_store_dword v1, off, s[0:3], 0 offset:308
	buffer_store_dword v1, off, s[0:3], 0 offset:312
	buffer_store_dword v1, off, s[0:3], 0 offset:316
	s_waitcnt vmcnt(0)
	ds_write_b128 v143, v[87:90]
.LBB104_223:
	s_or_b32 exec_lo, exec_lo, s4
	s_waitcnt lgkmcnt(0)
	s_waitcnt_vscnt null, 0x0
	s_barrier
	buffer_gl0_inv
	s_clause 0x37
	buffer_load_dword v2, off, s[0:3], 0 offset:328
	buffer_load_dword v3, off, s[0:3], 0 offset:332
	;; [unrolled: 1-line block ×56, first 2 shown]
	ds_read_b128 v[87:90], v1 offset:960
	s_clause 0x2
	buffer_load_dword v153, off, s[0:3], 0 offset:556
	buffer_load_dword v157, off, s[0:3], 0 offset:532
	;; [unrolled: 1-line block ×3, first 2 shown]
	ds_read_b128 v[91:94], v1 offset:976
	s_clause 0x4
	buffer_load_dword v161, off, s[0:3], 0 offset:572
	buffer_load_dword v162, off, s[0:3], 0 offset:584
	;; [unrolled: 1-line block ×5, first 2 shown]
	ds_read_b128 v[95:98], v1 offset:992
	s_mov_b32 s4, exec_lo
	s_waitcnt vmcnt(62) lgkmcnt(2)
	v_mul_f64 v[158:159], v[89:90], v[2:3]
	v_mul_f64 v[2:3], v[87:88], v[2:3]
	s_waitcnt vmcnt(60) lgkmcnt(1)
	v_mul_f64 v[165:166], v[93:94], v[99:100]
	v_mul_f64 v[99:100], v[91:92], v[99:100]
	;; [unrolled: 3-line block ×3, first 2 shown]
	v_fma_f64 v[158:159], v[87:88], v[101:102], -v[158:159]
	v_fma_f64 v[2:3], v[89:90], v[101:102], v[2:3]
	s_clause 0x2
	buffer_load_dword v163, off, s[0:3], 0 offset:588
	buffer_load_dword v102, off, s[0:3], 0 offset:564
	;; [unrolled: 1-line block ×3, first 2 shown]
	s_waitcnt vmcnt(57)
	v_fma_f64 v[169:170], v[91:92], v[105:106], -v[165:166]
	ds_read_b128 v[87:90], v1 offset:1008
	v_fma_f64 v[99:100], v[93:94], v[105:106], v[99:100]
	s_clause 0x4
	buffer_load_dword v106, off, s[0:3], 0 offset:604
	buffer_load_dword v166, off, s[0:3], 0 offset:616
	buffer_load_dword v171, off, s[0:3], 0 offset:608
	buffer_load_dword v105, off, s[0:3], 0 offset:600
	buffer_load_dword v165, off, s[0:3], 0 offset:580
	s_waitcnt vmcnt(56)
	v_fma_f64 v[103:104], v[95:96], v[113:114], -v[103:104]
	ds_read_b128 v[91:94], v1 offset:1024
	v_fma_f64 v[113:114], v[97:98], v[113:114], v[167:168]
	v_add_f64 v[158:159], v[158:159], 0
	v_add_f64 v[2:3], v[2:3], 0
	s_waitcnt lgkmcnt(1)
	v_mul_f64 v[172:173], v[87:88], v[107:108]
	v_mul_f64 v[107:108], v[89:90], v[107:108]
	v_add_f64 v[158:159], v[158:159], v[169:170]
	v_add_f64 v[2:3], v[2:3], v[99:100]
	s_clause 0x2
	buffer_load_dword v167, off, s[0:3], 0 offset:620
	buffer_load_dword v100, off, s[0:3], 0 offset:596
	;; [unrolled: 1-line block ×3, first 2 shown]
	s_waitcnt vmcnt(58) lgkmcnt(0)
	v_mul_f64 v[168:169], v[91:92], v[109:110]
	v_mul_f64 v[109:110], v[93:94], v[109:110]
	s_waitcnt vmcnt(56)
	v_fma_f64 v[107:108], v[87:88], v[115:116], -v[107:108]
	ds_read_b128 v[95:98], v1 offset:1040
	v_fma_f64 v[115:116], v[89:90], v[115:116], v[172:173]
	v_add_f64 v[103:104], v[158:159], v[103:104]
	v_add_f64 v[2:3], v[2:3], v[113:114]
	s_clause 0x4
	buffer_load_dword v114, off, s[0:3], 0 offset:636
	buffer_load_dword v158, off, s[0:3], 0 offset:648
	;; [unrolled: 1-line block ×5, first 2 shown]
	ds_read_b128 v[87:90], v1 offset:1056
	s_waitcnt vmcnt(57) lgkmcnt(1)
	v_mul_f64 v[174:175], v[95:96], v[117:118]
	v_mul_f64 v[117:118], v[97:98], v[117:118]
	s_waitcnt vmcnt(56)
	v_fma_f64 v[109:110], v[91:92], v[111:112], -v[109:110]
	v_add_f64 v[103:104], v[103:104], v[107:108]
	v_fma_f64 v[107:108], v[93:94], v[111:112], v[168:169]
	v_add_f64 v[2:3], v[2:3], v[115:116]
	s_clause 0x2
	buffer_load_dword v159, off, s[0:3], 0 offset:652
	buffer_load_dword v112, off, s[0:3], 0 offset:628
	;; [unrolled: 1-line block ×3, first 2 shown]
	s_waitcnt vmcnt(58) lgkmcnt(0)
	v_mul_f64 v[115:116], v[87:88], v[119:120]
	v_mul_f64 v[119:120], v[89:90], v[119:120]
	s_waitcnt vmcnt(56)
	v_fma_f64 v[117:118], v[95:96], v[123:124], -v[117:118]
	ds_read_b128 v[91:94], v1 offset:1072
	v_add_f64 v[103:104], v[103:104], v[109:110]
	v_fma_f64 v[109:110], v[97:98], v[123:124], v[174:175]
	v_add_f64 v[2:3], v[2:3], v[107:108]
	s_clause 0x2
	buffer_load_dword v108, off, s[0:3], 0 offset:668
	buffer_load_dword v107, off, s[0:3], 0 offset:664
	;; [unrolled: 1-line block ×3, first 2 shown]
	ds_read_b128 v[95:98], v1 offset:1088
	s_waitcnt vmcnt(55) lgkmcnt(1)
	v_mul_f64 v[123:124], v[91:92], v[125:126]
	v_mul_f64 v[125:126], v[93:94], v[125:126]
	s_waitcnt vmcnt(54)
	v_fma_f64 v[119:120], v[87:88], v[121:122], -v[119:120]
	v_fma_f64 v[115:116], v[89:90], v[121:122], v[115:116]
	v_add_f64 v[103:104], v[103:104], v[117:118]
	v_add_f64 v[2:3], v[2:3], v[109:110]
	s_clause 0x1
	buffer_load_dword v110, off, s[0:3], 0 offset:660
	buffer_load_dword v109, off, s[0:3], 0 offset:656
	s_waitcnt vmcnt(55) lgkmcnt(0)
	v_mul_f64 v[121:122], v[97:98], v[127:128]
	ds_read_b128 v[87:90], v1 offset:1104
	s_waitcnt vmcnt(53)
	v_fma_f64 v[125:126], v[91:92], v[131:132], -v[125:126]
	v_mul_f64 v[117:118], v[95:96], v[127:128]
	v_add_f64 v[103:104], v[103:104], v[119:120]
	v_fma_f64 v[119:120], v[93:94], v[131:132], v[123:124]
	v_add_f64 v[2:3], v[2:3], v[115:116]
	ds_read_b128 v[91:94], v1 offset:1120
	s_waitcnt vmcnt(49) lgkmcnt(1)
	v_mul_f64 v[123:124], v[89:90], v[133:134]
	s_waitcnt vmcnt(48)
	v_fma_f64 v[121:122], v[95:96], v[129:130], -v[121:122]
	v_mul_f64 v[115:116], v[87:88], v[133:134]
	v_fma_f64 v[117:118], v[97:98], v[129:130], v[117:118]
	v_add_f64 v[103:104], v[103:104], v[125:126]
	s_waitcnt vmcnt(47) lgkmcnt(0)
	v_mul_f64 v[129:130], v[93:94], v[135:136]
	v_add_f64 v[2:3], v[2:3], v[119:120]
	s_clause 0x3
	buffer_load_dword v119, off, s[0:3], 0 offset:304
	buffer_load_dword v120, off, s[0:3], 0 offset:308
	;; [unrolled: 1-line block ×4, first 2 shown]
	s_waitcnt vmcnt(49)
	v_fma_f64 v[123:124], v[87:88], v[139:140], -v[123:124]
	ds_read_b128 v[95:98], v1 offset:1136
	v_mul_f64 v[127:128], v[91:92], v[135:136]
	v_fma_f64 v[115:116], v[89:90], v[139:140], v[115:116]
	ds_read_b128 v[87:90], v1 offset:1152
	v_add_f64 v[103:104], v[103:104], v[121:122]
	s_waitcnt vmcnt(44)
	v_fma_f64 v[129:130], v[91:92], v[137:138], -v[129:130]
	v_add_f64 v[2:3], v[2:3], v[117:118]
	s_waitcnt lgkmcnt(1)
	v_mul_f64 v[121:122], v[97:98], v[141:142]
	v_mul_f64 v[117:118], v[95:96], v[141:142]
	v_add_f64 v[103:104], v[103:104], v[123:124]
	v_fma_f64 v[123:124], v[93:94], v[137:138], v[127:128]
	v_add_f64 v[2:3], v[2:3], v[115:116]
	s_waitcnt vmcnt(43) lgkmcnt(0)
	v_mul_f64 v[127:128], v[89:90], v[144:145]
	s_waitcnt vmcnt(41)
	v_fma_f64 v[121:122], v[95:96], v[148:149], -v[121:122]
	ds_read_b128 v[91:94], v1 offset:1168
	v_mul_f64 v[115:116], v[87:88], v[144:145]
	v_fma_f64 v[117:118], v[97:98], v[148:149], v[117:118]
	ds_read_b128 v[95:98], v1 offset:1184
	v_add_f64 v[103:104], v[103:104], v[129:130]
	v_add_f64 v[2:3], v[2:3], v[123:124]
	s_waitcnt vmcnt(37) lgkmcnt(1)
	v_mul_f64 v[129:130], v[93:94], v[150:151]
	s_waitcnt vmcnt(36)
	v_fma_f64 v[127:128], v[87:88], v[146:147], -v[127:128]
	v_mul_f64 v[123:124], v[91:92], v[150:151]
	v_fma_f64 v[115:116], v[89:90], v[146:147], v[115:116]
	ds_read_b128 v[87:90], v1 offset:1200
	v_add_f64 v[103:104], v[103:104], v[121:122]
	s_waitcnt vmcnt(35) lgkmcnt(1)
	v_mul_f64 v[121:122], v[97:98], v[152:153]
	v_add_f64 v[2:3], v[2:3], v[117:118]
	s_waitcnt vmcnt(33)
	v_fma_f64 v[129:130], v[91:92], v[156:157], -v[129:130]
	v_mul_f64 v[117:118], v[95:96], v[152:153]
	v_fma_f64 v[123:124], v[93:94], v[156:157], v[123:124]
	ds_read_b128 v[91:94], v1 offset:1216
	v_add_f64 v[103:104], v[103:104], v[127:128]
	s_waitcnt vmcnt(29) lgkmcnt(1)
	v_mul_f64 v[127:128], v[89:90], v[160:161]
	v_add_f64 v[2:3], v[2:3], v[115:116]
	s_waitcnt vmcnt(28)
	v_fma_f64 v[121:122], v[95:96], v[154:155], -v[121:122]
	v_mul_f64 v[115:116], v[87:88], v[160:161]
	v_fma_f64 v[117:118], v[97:98], v[154:155], v[117:118]
	ds_read_b128 v[95:98], v1 offset:1232
	v_add_f64 v[103:104], v[103:104], v[129:130]
	v_add_f64 v[2:3], v[2:3], v[123:124]
	s_waitcnt vmcnt(27) lgkmcnt(1)
	v_mul_f64 v[129:130], v[93:94], v[162:163]
	v_mul_f64 v[123:124], v[91:92], v[162:163]
	s_waitcnt vmcnt(25)
	v_fma_f64 v[127:128], v[87:88], v[101:102], -v[127:128]
	v_fma_f64 v[101:102], v[89:90], v[101:102], v[115:116]
	ds_read_b128 v[87:90], v1 offset:1248
	s_waitcnt vmcnt(21) lgkmcnt(1)
	v_mul_f64 v[115:116], v[95:96], v[105:106]
	v_mul_f64 v[105:106], v[97:98], v[105:106]
	v_add_f64 v[103:104], v[103:104], v[121:122]
	v_add_f64 v[2:3], v[2:3], v[117:118]
	s_waitcnt vmcnt(20)
	v_fma_f64 v[117:118], v[91:92], v[164:165], -v[129:130]
	v_fma_f64 v[121:122], v[93:94], v[164:165], v[123:124]
	ds_read_b128 v[91:94], v1 offset:1264
	v_add_f64 v[103:104], v[103:104], v[127:128]
	v_add_f64 v[2:3], v[2:3], v[101:102]
	s_waitcnt vmcnt(19) lgkmcnt(1)
	v_mul_f64 v[123:124], v[89:90], v[166:167]
	v_mul_f64 v[101:102], v[87:88], v[166:167]
	s_waitcnt vmcnt(17)
	v_fma_f64 v[105:106], v[95:96], v[99:100], -v[105:106]
	v_fma_f64 v[99:100], v[97:98], v[99:100], v[115:116]
	ds_read_b128 v[95:98], v1 offset:1280
	v_add_f64 v[103:104], v[103:104], v[117:118]
	v_add_f64 v[2:3], v[2:3], v[121:122]
	s_waitcnt vmcnt(13) lgkmcnt(1)
	v_mul_f64 v[115:116], v[91:92], v[113:114]
	v_mul_f64 v[113:114], v[93:94], v[113:114]
	s_waitcnt vmcnt(12)
	v_fma_f64 v[87:88], v[87:88], v[171:172], -v[123:124]
	v_fma_f64 v[89:90], v[89:90], v[171:172], v[101:102]
	v_add_f64 v[103:104], v[103:104], v[105:106]
	v_add_f64 v[99:100], v[2:3], v[99:100]
	ds_read_b128 v[1:4], v1 offset:1296
	s_waitcnt vmcnt(11) lgkmcnt(1)
	v_mul_f64 v[105:106], v[97:98], v[158:159]
	v_mul_f64 v[101:102], v[95:96], v[158:159]
	s_waitcnt vmcnt(9)
	v_fma_f64 v[91:92], v[91:92], v[111:112], -v[113:114]
	v_fma_f64 v[93:94], v[93:94], v[111:112], v[115:116]
	v_add_f64 v[87:88], v[103:104], v[87:88]
	v_add_f64 v[89:90], v[99:100], v[89:90]
	s_waitcnt vmcnt(7) lgkmcnt(0)
	v_mul_f64 v[103:104], v[3:4], v[107:108]
	s_waitcnt vmcnt(6)
	v_fma_f64 v[95:96], v[95:96], v[173:174], -v[105:106]
	v_mul_f64 v[99:100], v[1:2], v[107:108]
	v_add_f64 v[87:88], v[87:88], v[91:92]
	v_fma_f64 v[91:92], v[97:98], v[173:174], v[101:102]
	v_add_f64 v[89:90], v[89:90], v[93:94]
	s_waitcnt vmcnt(4)
	v_fma_f64 v[1:2], v[1:2], v[109:110], -v[103:104]
	v_fma_f64 v[3:4], v[3:4], v[109:110], v[99:100]
	v_add_f64 v[87:88], v[87:88], v[95:96]
	v_add_f64 v[89:90], v[89:90], v[91:92]
	;; [unrolled: 1-line block ×4, first 2 shown]
	s_waitcnt vmcnt(2)
	v_add_f64 v[1:2], v[119:120], -v[1:2]
	s_waitcnt vmcnt(0)
	v_add_f64 v[3:4], v[125:126], -v[3:4]
	buffer_store_dword v2, off, s[0:3], 0 offset:308
	buffer_store_dword v1, off, s[0:3], 0 offset:304
	;; [unrolled: 1-line block ×4, first 2 shown]
	v_cmpx_lt_u32_e32 17, v0
	s_cbranch_execz .LBB104_225
; %bb.224:
	v_mov_b32_e32 v4, s36
	v_mov_b32_e32 v87, 0
	s_clause 0x3
	buffer_load_dword v1, v4, s[0:3], 0 offen
	buffer_load_dword v2, v4, s[0:3], 0 offen offset:4
	buffer_load_dword v3, v4, s[0:3], 0 offen offset:8
	;; [unrolled: 1-line block ×3, first 2 shown]
	buffer_store_dword v87, off, s[0:3], 0 offset:288
	buffer_store_dword v87, off, s[0:3], 0 offset:292
	;; [unrolled: 1-line block ×4, first 2 shown]
	s_waitcnt vmcnt(0)
	ds_write_b128 v143, v[1:4]
.LBB104_225:
	s_or_b32 exec_lo, exec_lo, s4
	s_waitcnt lgkmcnt(0)
	s_waitcnt_vscnt null, 0x0
	s_barrier
	buffer_gl0_inv
	s_clause 0x37
	buffer_load_dword v2, off, s[0:3], 0 offset:312
	buffer_load_dword v3, off, s[0:3], 0 offset:316
	;; [unrolled: 1-line block ×56, first 2 shown]
	v_mov_b32_e32 v1, 0
	s_mov_b32 s4, exec_lo
	ds_read_b128 v[87:90], v1 offset:944
	s_clause 0x2
	buffer_load_dword v153, off, s[0:3], 0 offset:540
	buffer_load_dword v157, off, s[0:3], 0 offset:516
	;; [unrolled: 1-line block ×3, first 2 shown]
	ds_read_b128 v[91:94], v1 offset:960
	s_clause 0x4
	buffer_load_dword v161, off, s[0:3], 0 offset:556
	buffer_load_dword v162, off, s[0:3], 0 offset:568
	;; [unrolled: 1-line block ×5, first 2 shown]
	ds_read_b128 v[95:98], v1 offset:976
	s_waitcnt vmcnt(62) lgkmcnt(2)
	v_mul_f64 v[158:159], v[89:90], v[2:3]
	v_mul_f64 v[2:3], v[87:88], v[2:3]
	s_waitcnt vmcnt(60) lgkmcnt(1)
	v_mul_f64 v[165:166], v[93:94], v[99:100]
	v_mul_f64 v[99:100], v[91:92], v[99:100]
	;; [unrolled: 3-line block ×3, first 2 shown]
	v_fma_f64 v[158:159], v[87:88], v[101:102], -v[158:159]
	v_fma_f64 v[2:3], v[89:90], v[101:102], v[2:3]
	s_clause 0x2
	buffer_load_dword v163, off, s[0:3], 0 offset:572
	buffer_load_dword v102, off, s[0:3], 0 offset:548
	;; [unrolled: 1-line block ×3, first 2 shown]
	s_waitcnt vmcnt(57)
	v_fma_f64 v[169:170], v[91:92], v[105:106], -v[165:166]
	ds_read_b128 v[87:90], v1 offset:992
	v_fma_f64 v[99:100], v[93:94], v[105:106], v[99:100]
	s_clause 0x4
	buffer_load_dword v106, off, s[0:3], 0 offset:588
	buffer_load_dword v166, off, s[0:3], 0 offset:600
	;; [unrolled: 1-line block ×5, first 2 shown]
	s_waitcnt vmcnt(56)
	v_fma_f64 v[103:104], v[95:96], v[113:114], -v[103:104]
	ds_read_b128 v[91:94], v1 offset:1008
	v_fma_f64 v[113:114], v[97:98], v[113:114], v[167:168]
	v_add_f64 v[158:159], v[158:159], 0
	v_add_f64 v[2:3], v[2:3], 0
	s_waitcnt lgkmcnt(1)
	v_mul_f64 v[172:173], v[87:88], v[107:108]
	v_mul_f64 v[107:108], v[89:90], v[107:108]
	v_add_f64 v[158:159], v[158:159], v[169:170]
	v_add_f64 v[2:3], v[2:3], v[99:100]
	s_clause 0x2
	buffer_load_dword v167, off, s[0:3], 0 offset:604
	buffer_load_dword v100, off, s[0:3], 0 offset:580
	;; [unrolled: 1-line block ×3, first 2 shown]
	s_waitcnt vmcnt(58) lgkmcnt(0)
	v_mul_f64 v[168:169], v[91:92], v[109:110]
	v_mul_f64 v[109:110], v[93:94], v[109:110]
	s_waitcnt vmcnt(56)
	v_fma_f64 v[107:108], v[87:88], v[115:116], -v[107:108]
	ds_read_b128 v[95:98], v1 offset:1024
	v_fma_f64 v[115:116], v[89:90], v[115:116], v[172:173]
	v_add_f64 v[103:104], v[158:159], v[103:104]
	v_add_f64 v[2:3], v[2:3], v[113:114]
	s_clause 0x4
	buffer_load_dword v114, off, s[0:3], 0 offset:620
	buffer_load_dword v158, off, s[0:3], 0 offset:632
	;; [unrolled: 1-line block ×5, first 2 shown]
	ds_read_b128 v[87:90], v1 offset:1040
	s_waitcnt vmcnt(57) lgkmcnt(1)
	v_mul_f64 v[174:175], v[95:96], v[117:118]
	v_mul_f64 v[117:118], v[97:98], v[117:118]
	s_waitcnt vmcnt(56)
	v_fma_f64 v[109:110], v[91:92], v[111:112], -v[109:110]
	v_add_f64 v[103:104], v[103:104], v[107:108]
	v_fma_f64 v[107:108], v[93:94], v[111:112], v[168:169]
	v_add_f64 v[2:3], v[2:3], v[115:116]
	s_clause 0x2
	buffer_load_dword v159, off, s[0:3], 0 offset:636
	buffer_load_dword v112, off, s[0:3], 0 offset:612
	;; [unrolled: 1-line block ×3, first 2 shown]
	s_waitcnt vmcnt(58) lgkmcnt(0)
	v_mul_f64 v[115:116], v[87:88], v[119:120]
	v_mul_f64 v[119:120], v[89:90], v[119:120]
	s_waitcnt vmcnt(56)
	v_fma_f64 v[117:118], v[95:96], v[123:124], -v[117:118]
	ds_read_b128 v[91:94], v1 offset:1056
	v_add_f64 v[103:104], v[103:104], v[109:110]
	v_fma_f64 v[109:110], v[97:98], v[123:124], v[174:175]
	v_add_f64 v[2:3], v[2:3], v[107:108]
	s_clause 0x4
	buffer_load_dword v108, off, s[0:3], 0 offset:652
	buffer_load_dword v123, off, s[0:3], 0 offset:664
	;; [unrolled: 1-line block ×5, first 2 shown]
	ds_read_b128 v[95:98], v1 offset:1072
	s_waitcnt vmcnt(57) lgkmcnt(1)
	v_mul_f64 v[169:170], v[91:92], v[125:126]
	v_mul_f64 v[125:126], v[93:94], v[125:126]
	s_waitcnt vmcnt(56)
	v_fma_f64 v[119:120], v[87:88], v[121:122], -v[119:120]
	v_fma_f64 v[115:116], v[89:90], v[121:122], v[115:116]
	v_add_f64 v[103:104], v[103:104], v[117:118]
	v_add_f64 v[2:3], v[2:3], v[109:110]
	s_clause 0x2
	buffer_load_dword v124, off, s[0:3], 0 offset:668
	buffer_load_dword v110, off, s[0:3], 0 offset:644
	;; [unrolled: 1-line block ×3, first 2 shown]
	s_waitcnt vmcnt(58) lgkmcnt(0)
	v_mul_f64 v[121:122], v[97:98], v[127:128]
	ds_read_b128 v[87:90], v1 offset:1088
	s_waitcnt vmcnt(56)
	v_fma_f64 v[125:126], v[91:92], v[131:132], -v[125:126]
	v_mul_f64 v[117:118], v[95:96], v[127:128]
	v_add_f64 v[103:104], v[103:104], v[119:120]
	v_fma_f64 v[119:120], v[93:94], v[131:132], v[169:170]
	v_add_f64 v[2:3], v[2:3], v[115:116]
	buffer_load_dword v169, off, s[0:3], 0 offset:660
	ds_read_b128 v[91:94], v1 offset:1104
	s_waitcnt vmcnt(53) lgkmcnt(1)
	v_mul_f64 v[127:128], v[89:90], v[133:134]
	s_waitcnt vmcnt(52)
	v_fma_f64 v[121:122], v[95:96], v[129:130], -v[121:122]
	v_mul_f64 v[115:116], v[87:88], v[133:134]
	v_fma_f64 v[117:118], v[97:98], v[129:130], v[117:118]
	ds_read_b128 v[95:98], v1 offset:1120
	v_add_f64 v[103:104], v[103:104], v[125:126]
	v_add_f64 v[2:3], v[2:3], v[119:120]
	s_waitcnt vmcnt(51) lgkmcnt(1)
	v_mul_f64 v[125:126], v[93:94], v[135:136]
	v_mul_f64 v[119:120], v[91:92], v[135:136]
	s_waitcnt vmcnt(49)
	v_fma_f64 v[127:128], v[87:88], v[139:140], -v[127:128]
	v_fma_f64 v[115:116], v[89:90], v[139:140], v[115:116]
	s_waitcnt vmcnt(45) lgkmcnt(0)
	v_mul_f64 v[131:132], v[97:98], v[141:142]
	v_mul_f64 v[129:130], v[95:96], v[141:142]
	v_add_f64 v[103:104], v[103:104], v[121:122]
	v_add_f64 v[2:3], v[2:3], v[117:118]
	s_clause 0x3
	buffer_load_dword v117, off, s[0:3], 0 offset:288
	buffer_load_dword v118, off, s[0:3], 0 offset:292
	;; [unrolled: 1-line block ×4, first 2 shown]
	s_waitcnt vmcnt(48)
	v_fma_f64 v[125:126], v[91:92], v[137:138], -v[125:126]
	ds_read_b128 v[87:90], v1 offset:1136
	v_fma_f64 v[119:120], v[93:94], v[137:138], v[119:120]
	ds_read_b128 v[91:94], v1 offset:1152
	s_waitcnt vmcnt(45)
	v_fma_f64 v[131:132], v[95:96], v[148:149], -v[131:132]
	v_add_f64 v[103:104], v[103:104], v[127:128]
	v_add_f64 v[2:3], v[2:3], v[115:116]
	s_waitcnt lgkmcnt(1)
	v_mul_f64 v[127:128], v[89:90], v[144:145]
	v_mul_f64 v[115:116], v[87:88], v[144:145]
	v_add_f64 v[103:104], v[103:104], v[125:126]
	v_fma_f64 v[125:126], v[97:98], v[148:149], v[129:130]
	v_add_f64 v[2:3], v[2:3], v[119:120]
	s_waitcnt vmcnt(41) lgkmcnt(0)
	v_mul_f64 v[129:130], v[93:94], v[150:151]
	s_waitcnt vmcnt(40)
	v_fma_f64 v[127:128], v[87:88], v[146:147], -v[127:128]
	ds_read_b128 v[95:98], v1 offset:1168
	v_mul_f64 v[119:120], v[91:92], v[150:151]
	v_fma_f64 v[115:116], v[89:90], v[146:147], v[115:116]
	ds_read_b128 v[87:90], v1 offset:1184
	v_add_f64 v[103:104], v[103:104], v[131:132]
	v_add_f64 v[2:3], v[2:3], v[125:126]
	s_waitcnt vmcnt(39) lgkmcnt(1)
	v_mul_f64 v[131:132], v[97:98], v[152:153]
	s_waitcnt vmcnt(37)
	v_fma_f64 v[129:130], v[91:92], v[156:157], -v[129:130]
	v_mul_f64 v[125:126], v[95:96], v[152:153]
	v_fma_f64 v[119:120], v[93:94], v[156:157], v[119:120]
	ds_read_b128 v[91:94], v1 offset:1200
	v_add_f64 v[103:104], v[103:104], v[127:128]
	s_waitcnt vmcnt(33) lgkmcnt(1)
	v_mul_f64 v[127:128], v[89:90], v[160:161]
	v_add_f64 v[2:3], v[2:3], v[115:116]
	s_waitcnt vmcnt(32)
	v_fma_f64 v[131:132], v[95:96], v[154:155], -v[131:132]
	v_mul_f64 v[115:116], v[87:88], v[160:161]
	v_fma_f64 v[125:126], v[97:98], v[154:155], v[125:126]
	ds_read_b128 v[95:98], v1 offset:1216
	v_add_f64 v[103:104], v[103:104], v[129:130]
	v_add_f64 v[2:3], v[2:3], v[119:120]
	s_waitcnt vmcnt(31) lgkmcnt(1)
	v_mul_f64 v[129:130], v[93:94], v[162:163]
	v_mul_f64 v[119:120], v[91:92], v[162:163]
	s_waitcnt vmcnt(29)
	v_fma_f64 v[127:128], v[87:88], v[101:102], -v[127:128]
	v_fma_f64 v[101:102], v[89:90], v[101:102], v[115:116]
	ds_read_b128 v[87:90], v1 offset:1232
	s_waitcnt vmcnt(25) lgkmcnt(1)
	v_mul_f64 v[115:116], v[95:96], v[105:106]
	v_mul_f64 v[105:106], v[97:98], v[105:106]
	v_add_f64 v[103:104], v[103:104], v[131:132]
	v_add_f64 v[2:3], v[2:3], v[125:126]
	s_waitcnt vmcnt(24)
	v_fma_f64 v[125:126], v[91:92], v[164:165], -v[129:130]
	v_fma_f64 v[119:120], v[93:94], v[164:165], v[119:120]
	ds_read_b128 v[91:94], v1 offset:1248
	v_add_f64 v[103:104], v[103:104], v[127:128]
	v_add_f64 v[2:3], v[2:3], v[101:102]
	s_waitcnt vmcnt(23) lgkmcnt(1)
	v_mul_f64 v[127:128], v[89:90], v[166:167]
	v_mul_f64 v[101:102], v[87:88], v[166:167]
	s_waitcnt vmcnt(21)
	v_fma_f64 v[105:106], v[95:96], v[99:100], -v[105:106]
	v_fma_f64 v[99:100], v[97:98], v[99:100], v[115:116]
	ds_read_b128 v[95:98], v1 offset:1264
	v_add_f64 v[103:104], v[103:104], v[125:126]
	v_add_f64 v[2:3], v[2:3], v[119:120]
	s_waitcnt vmcnt(17) lgkmcnt(1)
	v_mul_f64 v[115:116], v[91:92], v[113:114]
	v_mul_f64 v[113:114], v[93:94], v[113:114]
	;; [unrolled: 9-line block ×4, first 2 shown]
	s_waitcnt vmcnt(8)
	v_fma_f64 v[95:96], v[95:96], v[173:174], -v[105:106]
	v_fma_f64 v[97:98], v[97:98], v[173:174], v[99:100]
	v_add_f64 v[103:104], v[103:104], v[113:114]
	v_add_f64 v[2:3], v[2:3], v[111:112]
	s_waitcnt vmcnt(7) lgkmcnt(0)
	v_mul_f64 v[105:106], v[93:94], v[123:124]
	v_mul_f64 v[99:100], v[91:92], v[123:124]
	s_waitcnt vmcnt(5)
	v_fma_f64 v[87:88], v[87:88], v[109:110], -v[107:108]
	v_fma_f64 v[89:90], v[89:90], v[109:110], v[101:102]
	v_add_f64 v[95:96], v[103:104], v[95:96]
	v_add_f64 v[2:3], v[2:3], v[97:98]
	s_waitcnt vmcnt(4)
	v_fma_f64 v[91:92], v[91:92], v[168:169], -v[105:106]
	v_fma_f64 v[93:94], v[93:94], v[168:169], v[99:100]
	v_add_f64 v[87:88], v[95:96], v[87:88]
	v_add_f64 v[2:3], v[2:3], v[89:90]
	;; [unrolled: 1-line block ×4, first 2 shown]
	s_waitcnt vmcnt(2)
	v_add_f64 v[87:88], v[117:118], -v[87:88]
	s_waitcnt vmcnt(0)
	v_add_f64 v[2:3], v[121:122], -v[2:3]
	buffer_store_dword v88, off, s[0:3], 0 offset:292
	buffer_store_dword v87, off, s[0:3], 0 offset:288
	;; [unrolled: 1-line block ×4, first 2 shown]
	v_cmpx_lt_u32_e32 16, v0
	s_cbranch_execz .LBB104_227
; %bb.226:
	v_mov_b32_e32 v2, s37
	s_clause 0x3
	buffer_load_dword v87, v2, s[0:3], 0 offen
	buffer_load_dword v88, v2, s[0:3], 0 offen offset:4
	buffer_load_dword v89, v2, s[0:3], 0 offen offset:8
	;; [unrolled: 1-line block ×3, first 2 shown]
	buffer_store_dword v1, off, s[0:3], 0 offset:272
	buffer_store_dword v1, off, s[0:3], 0 offset:276
	;; [unrolled: 1-line block ×4, first 2 shown]
	s_waitcnt vmcnt(0)
	ds_write_b128 v143, v[87:90]
.LBB104_227:
	s_or_b32 exec_lo, exec_lo, s4
	s_waitcnt lgkmcnt(0)
	s_waitcnt_vscnt null, 0x0
	s_barrier
	buffer_gl0_inv
	s_clause 0x37
	buffer_load_dword v2, off, s[0:3], 0 offset:296
	buffer_load_dword v3, off, s[0:3], 0 offset:300
	;; [unrolled: 1-line block ×56, first 2 shown]
	ds_read_b128 v[87:90], v1 offset:928
	s_clause 0x2
	buffer_load_dword v153, off, s[0:3], 0 offset:524
	buffer_load_dword v157, off, s[0:3], 0 offset:500
	;; [unrolled: 1-line block ×3, first 2 shown]
	ds_read_b128 v[91:94], v1 offset:944
	s_clause 0x4
	buffer_load_dword v161, off, s[0:3], 0 offset:540
	buffer_load_dword v162, off, s[0:3], 0 offset:552
	;; [unrolled: 1-line block ×5, first 2 shown]
	ds_read_b128 v[95:98], v1 offset:960
	s_mov_b32 s4, exec_lo
	s_waitcnt vmcnt(62) lgkmcnt(2)
	v_mul_f64 v[158:159], v[89:90], v[2:3]
	v_mul_f64 v[2:3], v[87:88], v[2:3]
	s_waitcnt vmcnt(60) lgkmcnt(1)
	v_mul_f64 v[165:166], v[93:94], v[99:100]
	v_mul_f64 v[99:100], v[91:92], v[99:100]
	;; [unrolled: 3-line block ×3, first 2 shown]
	v_fma_f64 v[158:159], v[87:88], v[101:102], -v[158:159]
	v_fma_f64 v[2:3], v[89:90], v[101:102], v[2:3]
	s_clause 0x2
	buffer_load_dword v163, off, s[0:3], 0 offset:556
	buffer_load_dword v102, off, s[0:3], 0 offset:532
	;; [unrolled: 1-line block ×3, first 2 shown]
	s_waitcnt vmcnt(57)
	v_fma_f64 v[169:170], v[91:92], v[105:106], -v[165:166]
	ds_read_b128 v[87:90], v1 offset:976
	v_fma_f64 v[99:100], v[93:94], v[105:106], v[99:100]
	s_clause 0x4
	buffer_load_dword v106, off, s[0:3], 0 offset:572
	buffer_load_dword v166, off, s[0:3], 0 offset:584
	;; [unrolled: 1-line block ×5, first 2 shown]
	s_waitcnt vmcnt(56)
	v_fma_f64 v[103:104], v[95:96], v[113:114], -v[103:104]
	ds_read_b128 v[91:94], v1 offset:992
	v_fma_f64 v[113:114], v[97:98], v[113:114], v[167:168]
	v_add_f64 v[158:159], v[158:159], 0
	v_add_f64 v[2:3], v[2:3], 0
	s_waitcnt lgkmcnt(1)
	v_mul_f64 v[172:173], v[87:88], v[107:108]
	v_mul_f64 v[107:108], v[89:90], v[107:108]
	v_add_f64 v[158:159], v[158:159], v[169:170]
	v_add_f64 v[2:3], v[2:3], v[99:100]
	s_clause 0x2
	buffer_load_dword v167, off, s[0:3], 0 offset:588
	buffer_load_dword v100, off, s[0:3], 0 offset:564
	;; [unrolled: 1-line block ×3, first 2 shown]
	s_waitcnt vmcnt(58) lgkmcnt(0)
	v_mul_f64 v[168:169], v[91:92], v[109:110]
	v_mul_f64 v[109:110], v[93:94], v[109:110]
	s_waitcnt vmcnt(56)
	v_fma_f64 v[107:108], v[87:88], v[115:116], -v[107:108]
	ds_read_b128 v[95:98], v1 offset:1008
	v_fma_f64 v[115:116], v[89:90], v[115:116], v[172:173]
	v_add_f64 v[103:104], v[158:159], v[103:104]
	v_add_f64 v[2:3], v[2:3], v[113:114]
	s_clause 0x4
	buffer_load_dword v114, off, s[0:3], 0 offset:604
	buffer_load_dword v158, off, s[0:3], 0 offset:616
	;; [unrolled: 1-line block ×5, first 2 shown]
	ds_read_b128 v[87:90], v1 offset:1024
	s_waitcnt vmcnt(57) lgkmcnt(1)
	v_mul_f64 v[174:175], v[95:96], v[117:118]
	v_mul_f64 v[117:118], v[97:98], v[117:118]
	s_waitcnt vmcnt(56)
	v_fma_f64 v[109:110], v[91:92], v[111:112], -v[109:110]
	v_add_f64 v[103:104], v[103:104], v[107:108]
	v_fma_f64 v[107:108], v[93:94], v[111:112], v[168:169]
	v_add_f64 v[2:3], v[2:3], v[115:116]
	s_clause 0x2
	buffer_load_dword v159, off, s[0:3], 0 offset:620
	buffer_load_dword v112, off, s[0:3], 0 offset:596
	;; [unrolled: 1-line block ×3, first 2 shown]
	s_waitcnt vmcnt(58) lgkmcnt(0)
	v_mul_f64 v[115:116], v[87:88], v[119:120]
	v_mul_f64 v[119:120], v[89:90], v[119:120]
	s_waitcnt vmcnt(56)
	v_fma_f64 v[117:118], v[95:96], v[123:124], -v[117:118]
	ds_read_b128 v[91:94], v1 offset:1040
	v_add_f64 v[103:104], v[103:104], v[109:110]
	v_fma_f64 v[109:110], v[97:98], v[123:124], v[174:175]
	v_add_f64 v[2:3], v[2:3], v[107:108]
	s_clause 0x4
	buffer_load_dword v108, off, s[0:3], 0 offset:636
	buffer_load_dword v123, off, s[0:3], 0 offset:648
	;; [unrolled: 1-line block ×5, first 2 shown]
	ds_read_b128 v[95:98], v1 offset:1056
	s_waitcnt vmcnt(57) lgkmcnt(1)
	v_mul_f64 v[169:170], v[91:92], v[125:126]
	v_mul_f64 v[125:126], v[93:94], v[125:126]
	s_waitcnt vmcnt(56)
	v_fma_f64 v[119:120], v[87:88], v[121:122], -v[119:120]
	v_fma_f64 v[115:116], v[89:90], v[121:122], v[115:116]
	v_add_f64 v[103:104], v[103:104], v[117:118]
	v_add_f64 v[2:3], v[2:3], v[109:110]
	s_clause 0x2
	buffer_load_dword v124, off, s[0:3], 0 offset:652
	buffer_load_dword v110, off, s[0:3], 0 offset:628
	;; [unrolled: 1-line block ×3, first 2 shown]
	s_waitcnt vmcnt(58) lgkmcnt(0)
	v_mul_f64 v[121:122], v[97:98], v[127:128]
	ds_read_b128 v[87:90], v1 offset:1072
	s_waitcnt vmcnt(56)
	v_fma_f64 v[125:126], v[91:92], v[131:132], -v[125:126]
	v_mul_f64 v[117:118], v[95:96], v[127:128]
	v_add_f64 v[103:104], v[103:104], v[119:120]
	v_fma_f64 v[119:120], v[93:94], v[131:132], v[169:170]
	v_add_f64 v[2:3], v[2:3], v[115:116]
	s_clause 0x2
	buffer_load_dword v116, off, s[0:3], 0 offset:668
	buffer_load_dword v115, off, s[0:3], 0 offset:664
	;; [unrolled: 1-line block ×3, first 2 shown]
	s_waitcnt vmcnt(55) lgkmcnt(0)
	v_mul_f64 v[131:132], v[89:90], v[133:134]
	s_waitcnt vmcnt(54)
	v_fma_f64 v[121:122], v[95:96], v[129:130], -v[121:122]
	ds_read_b128 v[91:94], v1 offset:1088
	v_mul_f64 v[127:128], v[87:88], v[133:134]
	v_fma_f64 v[117:118], v[97:98], v[129:130], v[117:118]
	v_add_f64 v[103:104], v[103:104], v[125:126]
	v_add_f64 v[2:3], v[2:3], v[119:120]
	s_clause 0x1
	buffer_load_dword v120, off, s[0:3], 0 offset:660
	buffer_load_dword v119, off, s[0:3], 0 offset:656
	s_waitcnt vmcnt(55) lgkmcnt(0)
	v_mul_f64 v[129:130], v[93:94], v[135:136]
	s_waitcnt vmcnt(53)
	v_fma_f64 v[131:132], v[87:88], v[139:140], -v[131:132]
	ds_read_b128 v[95:98], v1 offset:1104
	v_mul_f64 v[125:126], v[91:92], v[135:136]
	v_add_f64 v[103:104], v[103:104], v[121:122]
	v_fma_f64 v[121:122], v[89:90], v[139:140], v[127:128]
	v_add_f64 v[2:3], v[2:3], v[117:118]
	ds_read_b128 v[87:90], v1 offset:1120
	s_waitcnt vmcnt(49) lgkmcnt(1)
	v_mul_f64 v[127:128], v[97:98], v[141:142]
	s_waitcnt vmcnt(48)
	v_fma_f64 v[129:130], v[91:92], v[137:138], -v[129:130]
	v_mul_f64 v[117:118], v[95:96], v[141:142]
	v_fma_f64 v[125:126], v[93:94], v[137:138], v[125:126]
	v_add_f64 v[103:104], v[103:104], v[131:132]
	s_waitcnt vmcnt(47) lgkmcnt(0)
	v_mul_f64 v[135:136], v[89:90], v[144:145]
	v_add_f64 v[2:3], v[2:3], v[121:122]
	s_clause 0x3
	buffer_load_dword v121, off, s[0:3], 0 offset:272
	buffer_load_dword v122, off, s[0:3], 0 offset:276
	;; [unrolled: 1-line block ×4, first 2 shown]
	s_waitcnt vmcnt(49)
	v_fma_f64 v[127:128], v[95:96], v[148:149], -v[127:128]
	ds_read_b128 v[91:94], v1 offset:1136
	v_mul_f64 v[133:134], v[87:88], v[144:145]
	v_fma_f64 v[117:118], v[97:98], v[148:149], v[117:118]
	ds_read_b128 v[95:98], v1 offset:1152
	v_add_f64 v[103:104], v[103:104], v[129:130]
	s_waitcnt vmcnt(44)
	v_fma_f64 v[135:136], v[87:88], v[146:147], -v[135:136]
	v_add_f64 v[2:3], v[2:3], v[125:126]
	s_waitcnt lgkmcnt(1)
	v_mul_f64 v[129:130], v[93:94], v[150:151]
	v_mul_f64 v[125:126], v[91:92], v[150:151]
	v_add_f64 v[103:104], v[103:104], v[127:128]
	v_fma_f64 v[127:128], v[89:90], v[146:147], v[133:134]
	v_add_f64 v[2:3], v[2:3], v[117:118]
	s_waitcnt vmcnt(43) lgkmcnt(0)
	v_mul_f64 v[133:134], v[97:98], v[152:153]
	s_waitcnt vmcnt(41)
	v_fma_f64 v[129:130], v[91:92], v[156:157], -v[129:130]
	ds_read_b128 v[87:90], v1 offset:1168
	v_mul_f64 v[117:118], v[95:96], v[152:153]
	v_fma_f64 v[125:126], v[93:94], v[156:157], v[125:126]
	ds_read_b128 v[91:94], v1 offset:1184
	v_add_f64 v[103:104], v[103:104], v[135:136]
	v_add_f64 v[2:3], v[2:3], v[127:128]
	s_waitcnt vmcnt(37) lgkmcnt(1)
	v_mul_f64 v[135:136], v[89:90], v[160:161]
	s_waitcnt vmcnt(36)
	v_fma_f64 v[133:134], v[95:96], v[154:155], -v[133:134]
	v_mul_f64 v[127:128], v[87:88], v[160:161]
	v_fma_f64 v[117:118], v[97:98], v[154:155], v[117:118]
	ds_read_b128 v[95:98], v1 offset:1200
	v_add_f64 v[103:104], v[103:104], v[129:130]
	v_add_f64 v[2:3], v[2:3], v[125:126]
	s_waitcnt vmcnt(35) lgkmcnt(1)
	v_mul_f64 v[129:130], v[93:94], v[162:163]
	v_mul_f64 v[125:126], v[91:92], v[162:163]
	s_waitcnt vmcnt(33)
	v_fma_f64 v[135:136], v[87:88], v[101:102], -v[135:136]
	v_fma_f64 v[101:102], v[89:90], v[101:102], v[127:128]
	ds_read_b128 v[87:90], v1 offset:1216
	v_add_f64 v[103:104], v[103:104], v[133:134]
	v_add_f64 v[2:3], v[2:3], v[117:118]
	s_waitcnt vmcnt(29) lgkmcnt(1)
	v_mul_f64 v[117:118], v[95:96], v[105:106]
	v_mul_f64 v[105:106], v[97:98], v[105:106]
	s_waitcnt vmcnt(28)
	v_fma_f64 v[127:128], v[91:92], v[164:165], -v[129:130]
	;; [unrolled: 9-line block ×6, first 2 shown]
	v_fma_f64 v[97:98], v[97:98], v[173:174], v[99:100]
	v_add_f64 v[103:104], v[103:104], v[113:114]
	v_add_f64 v[99:100], v[2:3], v[111:112]
	ds_read_b128 v[1:4], v1 offset:1296
	s_waitcnt vmcnt(11) lgkmcnt(1)
	v_mul_f64 v[111:112], v[93:94], v[123:124]
	v_mul_f64 v[105:106], v[91:92], v[123:124]
	s_waitcnt vmcnt(9)
	v_fma_f64 v[87:88], v[87:88], v[109:110], -v[107:108]
	v_fma_f64 v[89:90], v[89:90], v[109:110], v[101:102]
	v_add_f64 v[95:96], v[103:104], v[95:96]
	v_add_f64 v[97:98], v[99:100], v[97:98]
	s_waitcnt vmcnt(7) lgkmcnt(0)
	v_mul_f64 v[101:102], v[3:4], v[115:116]
	s_waitcnt vmcnt(6)
	v_fma_f64 v[91:92], v[91:92], v[168:169], -v[111:112]
	v_mul_f64 v[99:100], v[1:2], v[115:116]
	v_fma_f64 v[93:94], v[93:94], v[168:169], v[105:106]
	v_add_f64 v[87:88], v[95:96], v[87:88]
	v_add_f64 v[89:90], v[97:98], v[89:90]
	s_waitcnt vmcnt(4)
	v_fma_f64 v[1:2], v[1:2], v[119:120], -v[101:102]
	v_fma_f64 v[3:4], v[3:4], v[119:120], v[99:100]
	v_add_f64 v[87:88], v[87:88], v[91:92]
	v_add_f64 v[89:90], v[89:90], v[93:94]
	;; [unrolled: 1-line block ×4, first 2 shown]
	s_waitcnt vmcnt(2)
	v_add_f64 v[1:2], v[121:122], -v[1:2]
	s_waitcnt vmcnt(0)
	v_add_f64 v[3:4], v[131:132], -v[3:4]
	buffer_store_dword v2, off, s[0:3], 0 offset:276
	buffer_store_dword v1, off, s[0:3], 0 offset:272
	;; [unrolled: 1-line block ×4, first 2 shown]
	v_cmpx_lt_u32_e32 15, v0
	s_cbranch_execz .LBB104_229
; %bb.228:
	v_mov_b32_e32 v4, s38
	v_mov_b32_e32 v87, 0
	s_clause 0x3
	buffer_load_dword v1, v4, s[0:3], 0 offen
	buffer_load_dword v2, v4, s[0:3], 0 offen offset:4
	buffer_load_dword v3, v4, s[0:3], 0 offen offset:8
	;; [unrolled: 1-line block ×3, first 2 shown]
	buffer_store_dword v87, off, s[0:3], 0 offset:256
	buffer_store_dword v87, off, s[0:3], 0 offset:260
	;; [unrolled: 1-line block ×4, first 2 shown]
	s_waitcnt vmcnt(0)
	ds_write_b128 v143, v[1:4]
.LBB104_229:
	s_or_b32 exec_lo, exec_lo, s4
	s_waitcnt lgkmcnt(0)
	s_waitcnt_vscnt null, 0x0
	s_barrier
	buffer_gl0_inv
	s_clause 0x37
	buffer_load_dword v2, off, s[0:3], 0 offset:280
	buffer_load_dword v3, off, s[0:3], 0 offset:284
	;; [unrolled: 1-line block ×56, first 2 shown]
	v_mov_b32_e32 v1, 0
	s_mov_b32 s4, exec_lo
	ds_read_b128 v[87:90], v1 offset:912
	s_clause 0x2
	buffer_load_dword v153, off, s[0:3], 0 offset:508
	buffer_load_dword v157, off, s[0:3], 0 offset:484
	;; [unrolled: 1-line block ×3, first 2 shown]
	ds_read_b128 v[91:94], v1 offset:928
	s_clause 0x4
	buffer_load_dword v161, off, s[0:3], 0 offset:524
	buffer_load_dword v162, off, s[0:3], 0 offset:536
	;; [unrolled: 1-line block ×5, first 2 shown]
	ds_read_b128 v[95:98], v1 offset:944
	s_waitcnt vmcnt(62) lgkmcnt(2)
	v_mul_f64 v[158:159], v[89:90], v[2:3]
	v_mul_f64 v[2:3], v[87:88], v[2:3]
	s_waitcnt vmcnt(60) lgkmcnt(1)
	v_mul_f64 v[165:166], v[93:94], v[99:100]
	v_mul_f64 v[99:100], v[91:92], v[99:100]
	;; [unrolled: 3-line block ×3, first 2 shown]
	v_fma_f64 v[158:159], v[87:88], v[101:102], -v[158:159]
	v_fma_f64 v[2:3], v[89:90], v[101:102], v[2:3]
	s_clause 0x2
	buffer_load_dword v163, off, s[0:3], 0 offset:540
	buffer_load_dword v102, off, s[0:3], 0 offset:516
	;; [unrolled: 1-line block ×3, first 2 shown]
	s_waitcnt vmcnt(57)
	v_fma_f64 v[169:170], v[91:92], v[105:106], -v[165:166]
	ds_read_b128 v[87:90], v1 offset:960
	v_fma_f64 v[99:100], v[93:94], v[105:106], v[99:100]
	s_clause 0x4
	buffer_load_dword v106, off, s[0:3], 0 offset:556
	buffer_load_dword v166, off, s[0:3], 0 offset:568
	;; [unrolled: 1-line block ×5, first 2 shown]
	s_waitcnt vmcnt(56)
	v_fma_f64 v[103:104], v[95:96], v[113:114], -v[103:104]
	ds_read_b128 v[91:94], v1 offset:976
	v_fma_f64 v[113:114], v[97:98], v[113:114], v[167:168]
	v_add_f64 v[158:159], v[158:159], 0
	v_add_f64 v[2:3], v[2:3], 0
	s_waitcnt lgkmcnt(1)
	v_mul_f64 v[172:173], v[87:88], v[107:108]
	v_mul_f64 v[107:108], v[89:90], v[107:108]
	v_add_f64 v[158:159], v[158:159], v[169:170]
	v_add_f64 v[2:3], v[2:3], v[99:100]
	s_clause 0x2
	buffer_load_dword v167, off, s[0:3], 0 offset:572
	buffer_load_dword v100, off, s[0:3], 0 offset:548
	;; [unrolled: 1-line block ×3, first 2 shown]
	s_waitcnt vmcnt(58) lgkmcnt(0)
	v_mul_f64 v[168:169], v[91:92], v[109:110]
	v_mul_f64 v[109:110], v[93:94], v[109:110]
	s_waitcnt vmcnt(56)
	v_fma_f64 v[107:108], v[87:88], v[115:116], -v[107:108]
	ds_read_b128 v[95:98], v1 offset:992
	v_fma_f64 v[115:116], v[89:90], v[115:116], v[172:173]
	v_add_f64 v[103:104], v[158:159], v[103:104]
	v_add_f64 v[2:3], v[2:3], v[113:114]
	s_clause 0x4
	buffer_load_dword v114, off, s[0:3], 0 offset:588
	buffer_load_dword v158, off, s[0:3], 0 offset:600
	;; [unrolled: 1-line block ×5, first 2 shown]
	ds_read_b128 v[87:90], v1 offset:1008
	s_waitcnt vmcnt(57) lgkmcnt(1)
	v_mul_f64 v[174:175], v[95:96], v[117:118]
	v_mul_f64 v[117:118], v[97:98], v[117:118]
	s_waitcnt vmcnt(56)
	v_fma_f64 v[109:110], v[91:92], v[111:112], -v[109:110]
	v_add_f64 v[103:104], v[103:104], v[107:108]
	v_fma_f64 v[107:108], v[93:94], v[111:112], v[168:169]
	v_add_f64 v[2:3], v[2:3], v[115:116]
	s_clause 0x2
	buffer_load_dword v159, off, s[0:3], 0 offset:604
	buffer_load_dword v112, off, s[0:3], 0 offset:580
	;; [unrolled: 1-line block ×3, first 2 shown]
	s_waitcnt vmcnt(58) lgkmcnt(0)
	v_mul_f64 v[115:116], v[87:88], v[119:120]
	v_mul_f64 v[119:120], v[89:90], v[119:120]
	s_waitcnt vmcnt(56)
	v_fma_f64 v[117:118], v[95:96], v[123:124], -v[117:118]
	ds_read_b128 v[91:94], v1 offset:1024
	v_add_f64 v[103:104], v[103:104], v[109:110]
	v_fma_f64 v[109:110], v[97:98], v[123:124], v[174:175]
	v_add_f64 v[2:3], v[2:3], v[107:108]
	s_clause 0x4
	buffer_load_dword v108, off, s[0:3], 0 offset:620
	buffer_load_dword v123, off, s[0:3], 0 offset:632
	;; [unrolled: 1-line block ×5, first 2 shown]
	ds_read_b128 v[95:98], v1 offset:1040
	s_waitcnt vmcnt(57) lgkmcnt(1)
	v_mul_f64 v[169:170], v[91:92], v[125:126]
	v_mul_f64 v[125:126], v[93:94], v[125:126]
	s_waitcnt vmcnt(56)
	v_fma_f64 v[119:120], v[87:88], v[121:122], -v[119:120]
	v_fma_f64 v[115:116], v[89:90], v[121:122], v[115:116]
	v_add_f64 v[103:104], v[103:104], v[117:118]
	v_add_f64 v[2:3], v[2:3], v[109:110]
	s_clause 0x2
	buffer_load_dword v124, off, s[0:3], 0 offset:636
	buffer_load_dword v110, off, s[0:3], 0 offset:612
	;; [unrolled: 1-line block ×3, first 2 shown]
	s_waitcnt vmcnt(58) lgkmcnt(0)
	v_mul_f64 v[121:122], v[97:98], v[127:128]
	ds_read_b128 v[87:90], v1 offset:1056
	s_waitcnt vmcnt(56)
	v_fma_f64 v[125:126], v[91:92], v[131:132], -v[125:126]
	v_mul_f64 v[117:118], v[95:96], v[127:128]
	v_add_f64 v[103:104], v[103:104], v[119:120]
	v_fma_f64 v[119:120], v[93:94], v[131:132], v[169:170]
	v_add_f64 v[2:3], v[2:3], v[115:116]
	s_clause 0x4
	buffer_load_dword v116, off, s[0:3], 0 offset:652
	buffer_load_dword v127, off, s[0:3], 0 offset:664
	;; [unrolled: 1-line block ×5, first 2 shown]
	s_waitcnt vmcnt(57) lgkmcnt(0)
	v_mul_f64 v[175:176], v[87:88], v[133:134]
	v_mul_f64 v[132:133], v[89:90], v[133:134]
	s_waitcnt vmcnt(56)
	v_fma_f64 v[121:122], v[95:96], v[129:130], -v[121:122]
	ds_read_b128 v[91:94], v1 offset:1072
	v_fma_f64 v[117:118], v[97:98], v[129:130], v[117:118]
	v_add_f64 v[103:104], v[103:104], v[125:126]
	v_add_f64 v[2:3], v[2:3], v[119:120]
	s_clause 0x2
	buffer_load_dword v128, off, s[0:3], 0 offset:668
	buffer_load_dword v120, off, s[0:3], 0 offset:644
	;; [unrolled: 1-line block ×3, first 2 shown]
	ds_read_b128 v[95:98], v1 offset:1088
	s_waitcnt vmcnt(58) lgkmcnt(1)
	v_mul_f64 v[129:130], v[93:94], v[135:136]
	s_waitcnt vmcnt(56)
	v_fma_f64 v[133:134], v[87:88], v[139:140], -v[132:133]
	v_mul_f64 v[125:126], v[91:92], v[135:136]
	buffer_load_dword v132, off, s[0:3], 0 offset:660
	v_add_f64 v[103:104], v[103:104], v[121:122]
	v_fma_f64 v[121:122], v[89:90], v[139:140], v[175:176]
	v_add_f64 v[2:3], v[2:3], v[117:118]
	ds_read_b128 v[87:90], v1 offset:1104
	s_waitcnt vmcnt(53) lgkmcnt(1)
	v_mul_f64 v[135:136], v[97:98], v[141:142]
	s_waitcnt vmcnt(52)
	v_fma_f64 v[129:130], v[91:92], v[137:138], -v[129:130]
	v_mul_f64 v[117:118], v[95:96], v[141:142]
	v_fma_f64 v[125:126], v[93:94], v[137:138], v[125:126]
	ds_read_b128 v[91:94], v1 offset:1120
	v_add_f64 v[103:104], v[103:104], v[133:134]
	s_waitcnt vmcnt(51) lgkmcnt(1)
	v_mul_f64 v[133:134], v[89:90], v[144:145]
	v_add_f64 v[2:3], v[2:3], v[121:122]
	v_mul_f64 v[121:122], v[87:88], v[144:145]
	s_waitcnt vmcnt(49)
	v_fma_f64 v[135:136], v[95:96], v[148:149], -v[135:136]
	v_fma_f64 v[117:118], v[97:98], v[148:149], v[117:118]
	s_waitcnt vmcnt(45) lgkmcnt(0)
	v_mul_f64 v[139:140], v[93:94], v[150:151]
	v_mul_f64 v[137:138], v[91:92], v[150:151]
	v_add_f64 v[103:104], v[103:104], v[129:130]
	s_waitcnt vmcnt(44)
	v_fma_f64 v[133:134], v[87:88], v[146:147], -v[133:134]
	v_add_f64 v[2:3], v[2:3], v[125:126]
	s_clause 0x3
	buffer_load_dword v125, off, s[0:3], 0 offset:256
	buffer_load_dword v126, off, s[0:3], 0 offset:260
	;; [unrolled: 1-line block ×4, first 2 shown]
	ds_read_b128 v[95:98], v1 offset:1136
	v_fma_f64 v[121:122], v[89:90], v[146:147], v[121:122]
	ds_read_b128 v[87:90], v1 offset:1152
	s_waitcnt vmcnt(45)
	v_fma_f64 v[139:140], v[91:92], v[156:157], -v[139:140]
	v_add_f64 v[103:104], v[103:104], v[135:136]
	v_add_f64 v[2:3], v[2:3], v[117:118]
	s_waitcnt lgkmcnt(1)
	v_mul_f64 v[135:136], v[97:98], v[152:153]
	v_mul_f64 v[117:118], v[95:96], v[152:153]
	v_add_f64 v[103:104], v[103:104], v[133:134]
	v_fma_f64 v[133:134], v[93:94], v[156:157], v[137:138]
	v_add_f64 v[2:3], v[2:3], v[121:122]
	s_waitcnt vmcnt(41) lgkmcnt(0)
	v_mul_f64 v[137:138], v[89:90], v[160:161]
	s_waitcnt vmcnt(40)
	v_fma_f64 v[135:136], v[95:96], v[154:155], -v[135:136]
	ds_read_b128 v[91:94], v1 offset:1168
	v_mul_f64 v[121:122], v[87:88], v[160:161]
	v_fma_f64 v[117:118], v[97:98], v[154:155], v[117:118]
	ds_read_b128 v[95:98], v1 offset:1184
	v_add_f64 v[103:104], v[103:104], v[139:140]
	v_add_f64 v[2:3], v[2:3], v[133:134]
	s_waitcnt vmcnt(39) lgkmcnt(1)
	v_mul_f64 v[139:140], v[93:94], v[162:163]
	v_mul_f64 v[133:134], v[91:92], v[162:163]
	s_waitcnt vmcnt(37)
	v_fma_f64 v[137:138], v[87:88], v[101:102], -v[137:138]
	v_fma_f64 v[101:102], v[89:90], v[101:102], v[121:122]
	ds_read_b128 v[87:90], v1 offset:1200
	v_add_f64 v[103:104], v[103:104], v[135:136]
	v_add_f64 v[2:3], v[2:3], v[117:118]
	s_waitcnt vmcnt(33) lgkmcnt(1)
	v_mul_f64 v[117:118], v[95:96], v[105:106]
	v_mul_f64 v[105:106], v[97:98], v[105:106]
	s_waitcnt vmcnt(32)
	v_fma_f64 v[121:122], v[91:92], v[164:165], -v[139:140]
	;; [unrolled: 9-line block ×7, first 2 shown]
	v_fma_f64 v[101:102], v[89:90], v[109:110], v[101:102]
	ds_read_b128 v[87:90], v1 offset:1296
	v_add_f64 v[103:104], v[103:104], v[105:106]
	v_add_f64 v[2:3], v[2:3], v[99:100]
	s_waitcnt vmcnt(9) lgkmcnt(1)
	v_mul_f64 v[105:106], v[97:98], v[115:116]
	s_waitcnt vmcnt(8)
	v_fma_f64 v[91:92], v[91:92], v[168:169], -v[113:114]
	v_mul_f64 v[99:100], v[95:96], v[115:116]
	v_fma_f64 v[93:94], v[93:94], v[168:169], v[111:112]
	v_add_f64 v[103:104], v[103:104], v[107:108]
	v_add_f64 v[2:3], v[2:3], v[101:102]
	s_waitcnt vmcnt(7) lgkmcnt(0)
	v_mul_f64 v[107:108], v[89:90], v[127:128]
	v_mul_f64 v[101:102], v[87:88], v[127:128]
	s_waitcnt vmcnt(5)
	v_fma_f64 v[95:96], v[95:96], v[119:120], -v[105:106]
	v_fma_f64 v[97:98], v[97:98], v[119:120], v[99:100]
	v_add_f64 v[91:92], v[103:104], v[91:92]
	v_add_f64 v[2:3], v[2:3], v[93:94]
	s_waitcnt vmcnt(4)
	v_fma_f64 v[87:88], v[87:88], v[131:132], -v[107:108]
	v_fma_f64 v[89:90], v[89:90], v[131:132], v[101:102]
	v_add_f64 v[91:92], v[91:92], v[95:96]
	v_add_f64 v[2:3], v[2:3], v[97:98]
	;; [unrolled: 1-line block ×4, first 2 shown]
	s_waitcnt vmcnt(2)
	v_add_f64 v[87:88], v[125:126], -v[87:88]
	s_waitcnt vmcnt(0)
	v_add_f64 v[2:3], v[129:130], -v[2:3]
	buffer_store_dword v88, off, s[0:3], 0 offset:260
	buffer_store_dword v87, off, s[0:3], 0 offset:256
	;; [unrolled: 1-line block ×4, first 2 shown]
	v_cmpx_lt_u32_e32 14, v0
	s_cbranch_execz .LBB104_231
; %bb.230:
	v_mov_b32_e32 v2, s39
	s_clause 0x3
	buffer_load_dword v87, v2, s[0:3], 0 offen
	buffer_load_dword v88, v2, s[0:3], 0 offen offset:4
	buffer_load_dword v89, v2, s[0:3], 0 offen offset:8
	;; [unrolled: 1-line block ×3, first 2 shown]
	buffer_store_dword v1, off, s[0:3], 0 offset:240
	buffer_store_dword v1, off, s[0:3], 0 offset:244
	;; [unrolled: 1-line block ×4, first 2 shown]
	s_waitcnt vmcnt(0)
	ds_write_b128 v143, v[87:90]
.LBB104_231:
	s_or_b32 exec_lo, exec_lo, s4
	s_waitcnt lgkmcnt(0)
	s_waitcnt_vscnt null, 0x0
	s_barrier
	buffer_gl0_inv
	s_clause 0x37
	buffer_load_dword v2, off, s[0:3], 0 offset:264
	buffer_load_dword v3, off, s[0:3], 0 offset:268
	;; [unrolled: 1-line block ×56, first 2 shown]
	ds_read_b128 v[87:90], v1 offset:896
	s_clause 0x2
	buffer_load_dword v153, off, s[0:3], 0 offset:492
	buffer_load_dword v157, off, s[0:3], 0 offset:468
	;; [unrolled: 1-line block ×3, first 2 shown]
	ds_read_b128 v[91:94], v1 offset:912
	s_clause 0x4
	buffer_load_dword v161, off, s[0:3], 0 offset:508
	buffer_load_dword v162, off, s[0:3], 0 offset:520
	;; [unrolled: 1-line block ×5, first 2 shown]
	ds_read_b128 v[95:98], v1 offset:928
	s_mov_b32 s4, exec_lo
	s_waitcnt vmcnt(62) lgkmcnt(2)
	v_mul_f64 v[158:159], v[89:90], v[2:3]
	v_mul_f64 v[2:3], v[87:88], v[2:3]
	s_waitcnt vmcnt(60) lgkmcnt(1)
	v_mul_f64 v[165:166], v[93:94], v[99:100]
	v_mul_f64 v[99:100], v[91:92], v[99:100]
	;; [unrolled: 3-line block ×3, first 2 shown]
	v_fma_f64 v[158:159], v[87:88], v[101:102], -v[158:159]
	v_fma_f64 v[2:3], v[89:90], v[101:102], v[2:3]
	s_clause 0x2
	buffer_load_dword v163, off, s[0:3], 0 offset:524
	buffer_load_dword v102, off, s[0:3], 0 offset:500
	;; [unrolled: 1-line block ×3, first 2 shown]
	s_waitcnt vmcnt(57)
	v_fma_f64 v[169:170], v[91:92], v[105:106], -v[165:166]
	ds_read_b128 v[87:90], v1 offset:944
	v_fma_f64 v[99:100], v[93:94], v[105:106], v[99:100]
	s_clause 0x4
	buffer_load_dword v106, off, s[0:3], 0 offset:540
	buffer_load_dword v166, off, s[0:3], 0 offset:552
	;; [unrolled: 1-line block ×5, first 2 shown]
	s_waitcnt vmcnt(56)
	v_fma_f64 v[103:104], v[95:96], v[113:114], -v[103:104]
	ds_read_b128 v[91:94], v1 offset:960
	v_fma_f64 v[113:114], v[97:98], v[113:114], v[167:168]
	v_add_f64 v[158:159], v[158:159], 0
	v_add_f64 v[2:3], v[2:3], 0
	s_waitcnt lgkmcnt(1)
	v_mul_f64 v[172:173], v[87:88], v[107:108]
	v_mul_f64 v[107:108], v[89:90], v[107:108]
	v_add_f64 v[158:159], v[158:159], v[169:170]
	v_add_f64 v[2:3], v[2:3], v[99:100]
	s_clause 0x2
	buffer_load_dword v167, off, s[0:3], 0 offset:556
	buffer_load_dword v100, off, s[0:3], 0 offset:532
	;; [unrolled: 1-line block ×3, first 2 shown]
	s_waitcnt vmcnt(58) lgkmcnt(0)
	v_mul_f64 v[168:169], v[91:92], v[109:110]
	v_mul_f64 v[109:110], v[93:94], v[109:110]
	s_waitcnt vmcnt(56)
	v_fma_f64 v[107:108], v[87:88], v[115:116], -v[107:108]
	ds_read_b128 v[95:98], v1 offset:976
	v_fma_f64 v[115:116], v[89:90], v[115:116], v[172:173]
	v_add_f64 v[103:104], v[158:159], v[103:104]
	v_add_f64 v[2:3], v[2:3], v[113:114]
	s_clause 0x4
	buffer_load_dword v114, off, s[0:3], 0 offset:572
	buffer_load_dword v158, off, s[0:3], 0 offset:584
	;; [unrolled: 1-line block ×5, first 2 shown]
	ds_read_b128 v[87:90], v1 offset:992
	s_waitcnt vmcnt(57) lgkmcnt(1)
	v_mul_f64 v[174:175], v[95:96], v[117:118]
	v_mul_f64 v[117:118], v[97:98], v[117:118]
	s_waitcnt vmcnt(56)
	v_fma_f64 v[109:110], v[91:92], v[111:112], -v[109:110]
	v_add_f64 v[103:104], v[103:104], v[107:108]
	v_fma_f64 v[107:108], v[93:94], v[111:112], v[168:169]
	v_add_f64 v[2:3], v[2:3], v[115:116]
	s_clause 0x2
	buffer_load_dword v159, off, s[0:3], 0 offset:588
	buffer_load_dword v112, off, s[0:3], 0 offset:564
	;; [unrolled: 1-line block ×3, first 2 shown]
	s_waitcnt vmcnt(58) lgkmcnt(0)
	v_mul_f64 v[115:116], v[87:88], v[119:120]
	v_mul_f64 v[119:120], v[89:90], v[119:120]
	s_waitcnt vmcnt(56)
	v_fma_f64 v[117:118], v[95:96], v[123:124], -v[117:118]
	ds_read_b128 v[91:94], v1 offset:1008
	v_add_f64 v[103:104], v[103:104], v[109:110]
	v_fma_f64 v[109:110], v[97:98], v[123:124], v[174:175]
	v_add_f64 v[2:3], v[2:3], v[107:108]
	s_clause 0x4
	buffer_load_dword v108, off, s[0:3], 0 offset:604
	buffer_load_dword v123, off, s[0:3], 0 offset:616
	;; [unrolled: 1-line block ×5, first 2 shown]
	ds_read_b128 v[95:98], v1 offset:1024
	s_waitcnt vmcnt(57) lgkmcnt(1)
	v_mul_f64 v[169:170], v[91:92], v[125:126]
	v_mul_f64 v[125:126], v[93:94], v[125:126]
	s_waitcnt vmcnt(56)
	v_fma_f64 v[119:120], v[87:88], v[121:122], -v[119:120]
	v_fma_f64 v[115:116], v[89:90], v[121:122], v[115:116]
	v_add_f64 v[103:104], v[103:104], v[117:118]
	v_add_f64 v[2:3], v[2:3], v[109:110]
	s_clause 0x2
	buffer_load_dword v124, off, s[0:3], 0 offset:620
	buffer_load_dword v110, off, s[0:3], 0 offset:596
	;; [unrolled: 1-line block ×3, first 2 shown]
	s_waitcnt vmcnt(58) lgkmcnt(0)
	v_mul_f64 v[121:122], v[97:98], v[127:128]
	ds_read_b128 v[87:90], v1 offset:1040
	s_waitcnt vmcnt(56)
	v_fma_f64 v[125:126], v[91:92], v[131:132], -v[125:126]
	v_mul_f64 v[117:118], v[95:96], v[127:128]
	v_add_f64 v[103:104], v[103:104], v[119:120]
	v_fma_f64 v[119:120], v[93:94], v[131:132], v[169:170]
	v_add_f64 v[2:3], v[2:3], v[115:116]
	s_clause 0x4
	buffer_load_dword v116, off, s[0:3], 0 offset:636
	buffer_load_dword v127, off, s[0:3], 0 offset:648
	buffer_load_dword v131, off, s[0:3], 0 offset:640
	buffer_load_dword v115, off, s[0:3], 0 offset:632
	buffer_load_dword v169, off, s[0:3], 0 offset:612
	s_waitcnt vmcnt(57) lgkmcnt(0)
	v_mul_f64 v[175:176], v[87:88], v[133:134]
	v_mul_f64 v[132:133], v[89:90], v[133:134]
	s_waitcnt vmcnt(56)
	v_fma_f64 v[121:122], v[95:96], v[129:130], -v[121:122]
	ds_read_b128 v[91:94], v1 offset:1056
	v_fma_f64 v[117:118], v[97:98], v[129:130], v[117:118]
	v_add_f64 v[103:104], v[103:104], v[125:126]
	v_add_f64 v[2:3], v[2:3], v[119:120]
	s_clause 0x2
	buffer_load_dword v128, off, s[0:3], 0 offset:652
	buffer_load_dword v120, off, s[0:3], 0 offset:628
	;; [unrolled: 1-line block ×3, first 2 shown]
	ds_read_b128 v[95:98], v1 offset:1072
	s_waitcnt vmcnt(58) lgkmcnt(1)
	v_mul_f64 v[129:130], v[93:94], v[135:136]
	s_waitcnt vmcnt(56)
	v_fma_f64 v[133:134], v[87:88], v[139:140], -v[132:133]
	v_mul_f64 v[125:126], v[91:92], v[135:136]
	v_add_f64 v[103:104], v[103:104], v[121:122]
	v_fma_f64 v[121:122], v[89:90], v[139:140], v[175:176]
	v_add_f64 v[2:3], v[2:3], v[117:118]
	s_clause 0x2
	buffer_load_dword v118, off, s[0:3], 0 offset:668
	buffer_load_dword v117, off, s[0:3], 0 offset:664
	;; [unrolled: 1-line block ×3, first 2 shown]
	s_waitcnt vmcnt(55) lgkmcnt(0)
	v_mul_f64 v[139:140], v[97:98], v[141:142]
	s_waitcnt vmcnt(54)
	v_fma_f64 v[129:130], v[91:92], v[137:138], -v[129:130]
	ds_read_b128 v[87:90], v1 offset:1088
	v_mul_f64 v[135:136], v[95:96], v[141:142]
	v_fma_f64 v[125:126], v[93:94], v[137:138], v[125:126]
	v_add_f64 v[103:104], v[103:104], v[133:134]
	v_add_f64 v[2:3], v[2:3], v[121:122]
	s_clause 0x1
	buffer_load_dword v122, off, s[0:3], 0 offset:660
	buffer_load_dword v121, off, s[0:3], 0 offset:656
	s_waitcnt vmcnt(55) lgkmcnt(0)
	v_mul_f64 v[137:138], v[89:90], v[144:145]
	s_waitcnt vmcnt(53)
	v_fma_f64 v[139:140], v[95:96], v[148:149], -v[139:140]
	ds_read_b128 v[91:94], v1 offset:1104
	v_mul_f64 v[133:134], v[87:88], v[144:145]
	v_add_f64 v[103:104], v[103:104], v[129:130]
	v_fma_f64 v[129:130], v[97:98], v[148:149], v[135:136]
	v_add_f64 v[2:3], v[2:3], v[125:126]
	ds_read_b128 v[95:98], v1 offset:1120
	s_waitcnt vmcnt(49) lgkmcnt(1)
	v_mul_f64 v[135:136], v[93:94], v[150:151]
	s_waitcnt vmcnt(48)
	v_fma_f64 v[137:138], v[87:88], v[146:147], -v[137:138]
	v_mul_f64 v[125:126], v[91:92], v[150:151]
	v_fma_f64 v[133:134], v[89:90], v[146:147], v[133:134]
	v_add_f64 v[103:104], v[103:104], v[139:140]
	s_waitcnt vmcnt(47) lgkmcnt(0)
	v_mul_f64 v[144:145], v[97:98], v[152:153]
	v_add_f64 v[2:3], v[2:3], v[129:130]
	s_clause 0x3
	buffer_load_dword v129, off, s[0:3], 0 offset:240
	buffer_load_dword v130, off, s[0:3], 0 offset:244
	;; [unrolled: 1-line block ×4, first 2 shown]
	s_waitcnt vmcnt(49)
	v_fma_f64 v[135:136], v[91:92], v[156:157], -v[135:136]
	ds_read_b128 v[87:90], v1 offset:1136
	v_mul_f64 v[141:142], v[95:96], v[152:153]
	v_fma_f64 v[125:126], v[93:94], v[156:157], v[125:126]
	ds_read_b128 v[91:94], v1 offset:1152
	v_add_f64 v[103:104], v[103:104], v[137:138]
	s_waitcnt vmcnt(44)
	v_fma_f64 v[144:145], v[95:96], v[154:155], -v[144:145]
	v_add_f64 v[2:3], v[2:3], v[133:134]
	s_waitcnt lgkmcnt(1)
	v_mul_f64 v[137:138], v[89:90], v[160:161]
	v_mul_f64 v[133:134], v[87:88], v[160:161]
	v_add_f64 v[103:104], v[103:104], v[135:136]
	v_fma_f64 v[135:136], v[97:98], v[154:155], v[141:142]
	v_add_f64 v[2:3], v[2:3], v[125:126]
	ds_read_b128 v[95:98], v1 offset:1168
	s_waitcnt vmcnt(43) lgkmcnt(1)
	v_mul_f64 v[141:142], v[93:94], v[162:163]
	v_mul_f64 v[125:126], v[91:92], v[162:163]
	s_waitcnt vmcnt(41)
	v_fma_f64 v[137:138], v[87:88], v[101:102], -v[137:138]
	v_fma_f64 v[101:102], v[89:90], v[101:102], v[133:134]
	ds_read_b128 v[87:90], v1 offset:1184
	v_add_f64 v[103:104], v[103:104], v[144:145]
	s_waitcnt vmcnt(37) lgkmcnt(1)
	v_mul_f64 v[133:134], v[95:96], v[105:106]
	v_add_f64 v[2:3], v[2:3], v[135:136]
	v_mul_f64 v[105:106], v[97:98], v[105:106]
	s_waitcnt vmcnt(36)
	v_fma_f64 v[135:136], v[91:92], v[164:165], -v[141:142]
	v_fma_f64 v[125:126], v[93:94], v[164:165], v[125:126]
	ds_read_b128 v[91:94], v1 offset:1200
	v_add_f64 v[103:104], v[103:104], v[137:138]
	v_add_f64 v[2:3], v[2:3], v[101:102]
	s_waitcnt vmcnt(35) lgkmcnt(1)
	v_mul_f64 v[137:138], v[89:90], v[166:167]
	v_mul_f64 v[101:102], v[87:88], v[166:167]
	s_waitcnt vmcnt(33)
	v_fma_f64 v[105:106], v[95:96], v[99:100], -v[105:106]
	v_fma_f64 v[99:100], v[97:98], v[99:100], v[133:134]
	ds_read_b128 v[95:98], v1 offset:1216
	v_add_f64 v[103:104], v[103:104], v[135:136]
	v_add_f64 v[2:3], v[2:3], v[125:126]
	s_waitcnt vmcnt(29) lgkmcnt(1)
	v_mul_f64 v[125:126], v[91:92], v[113:114]
	;; [unrolled: 9-line block ×6, first 2 shown]
	s_waitcnt vmcnt(12)
	v_fma_f64 v[91:92], v[91:92], v[168:169], -v[113:114]
	v_mul_f64 v[99:100], v[95:96], v[115:116]
	v_fma_f64 v[93:94], v[93:94], v[168:169], v[111:112]
	v_add_f64 v[103:104], v[103:104], v[107:108]
	v_add_f64 v[101:102], v[2:3], v[101:102]
	ds_read_b128 v[1:4], v1 offset:1296
	s_waitcnt vmcnt(11) lgkmcnt(1)
	v_mul_f64 v[109:110], v[89:90], v[127:128]
	v_mul_f64 v[107:108], v[87:88], v[127:128]
	s_waitcnt vmcnt(9)
	v_fma_f64 v[95:96], v[95:96], v[119:120], -v[105:106]
	v_fma_f64 v[97:98], v[97:98], v[119:120], v[99:100]
	v_add_f64 v[91:92], v[103:104], v[91:92]
	v_add_f64 v[93:94], v[101:102], v[93:94]
	s_waitcnt vmcnt(7) lgkmcnt(0)
	v_mul_f64 v[101:102], v[3:4], v[117:118]
	s_waitcnt vmcnt(6)
	v_fma_f64 v[87:88], v[87:88], v[131:132], -v[109:110]
	v_mul_f64 v[99:100], v[1:2], v[117:118]
	v_fma_f64 v[89:90], v[89:90], v[131:132], v[107:108]
	v_add_f64 v[91:92], v[91:92], v[95:96]
	v_add_f64 v[93:94], v[93:94], v[97:98]
	s_waitcnt vmcnt(4)
	v_fma_f64 v[1:2], v[1:2], v[121:122], -v[101:102]
	v_fma_f64 v[3:4], v[3:4], v[121:122], v[99:100]
	v_add_f64 v[87:88], v[91:92], v[87:88]
	v_add_f64 v[89:90], v[93:94], v[89:90]
	;; [unrolled: 1-line block ×4, first 2 shown]
	s_waitcnt vmcnt(2)
	v_add_f64 v[1:2], v[129:130], -v[1:2]
	s_waitcnt vmcnt(0)
	v_add_f64 v[3:4], v[139:140], -v[3:4]
	buffer_store_dword v2, off, s[0:3], 0 offset:244
	buffer_store_dword v1, off, s[0:3], 0 offset:240
	;; [unrolled: 1-line block ×4, first 2 shown]
	v_cmpx_lt_u32_e32 13, v0
	s_cbranch_execz .LBB104_233
; %bb.232:
	v_mov_b32_e32 v4, s40
	v_mov_b32_e32 v87, 0
	s_clause 0x3
	buffer_load_dword v1, v4, s[0:3], 0 offen
	buffer_load_dword v2, v4, s[0:3], 0 offen offset:4
	buffer_load_dword v3, v4, s[0:3], 0 offen offset:8
	;; [unrolled: 1-line block ×3, first 2 shown]
	buffer_store_dword v87, off, s[0:3], 0 offset:224
	buffer_store_dword v87, off, s[0:3], 0 offset:228
	;; [unrolled: 1-line block ×4, first 2 shown]
	s_waitcnt vmcnt(0)
	ds_write_b128 v143, v[1:4]
.LBB104_233:
	s_or_b32 exec_lo, exec_lo, s4
	s_waitcnt lgkmcnt(0)
	s_waitcnt_vscnt null, 0x0
	s_barrier
	buffer_gl0_inv
	s_clause 0x37
	buffer_load_dword v2, off, s[0:3], 0 offset:248
	buffer_load_dword v3, off, s[0:3], 0 offset:252
	;; [unrolled: 1-line block ×56, first 2 shown]
	v_mov_b32_e32 v1, 0
	s_mov_b32 s4, exec_lo
	ds_read_b128 v[87:90], v1 offset:880
	s_clause 0x2
	buffer_load_dword v153, off, s[0:3], 0 offset:476
	buffer_load_dword v157, off, s[0:3], 0 offset:452
	buffer_load_dword v156, off, s[0:3], 0 offset:448
	ds_read_b128 v[91:94], v1 offset:896
	s_clause 0x4
	buffer_load_dword v161, off, s[0:3], 0 offset:492
	buffer_load_dword v162, off, s[0:3], 0 offset:504
	;; [unrolled: 1-line block ×5, first 2 shown]
	ds_read_b128 v[95:98], v1 offset:912
	s_waitcnt vmcnt(62) lgkmcnt(2)
	v_mul_f64 v[158:159], v[89:90], v[2:3]
	v_mul_f64 v[2:3], v[87:88], v[2:3]
	s_waitcnt vmcnt(60) lgkmcnt(1)
	v_mul_f64 v[165:166], v[93:94], v[99:100]
	v_mul_f64 v[99:100], v[91:92], v[99:100]
	;; [unrolled: 3-line block ×3, first 2 shown]
	v_fma_f64 v[158:159], v[87:88], v[101:102], -v[158:159]
	v_fma_f64 v[2:3], v[89:90], v[101:102], v[2:3]
	s_clause 0x2
	buffer_load_dword v163, off, s[0:3], 0 offset:508
	buffer_load_dword v102, off, s[0:3], 0 offset:484
	;; [unrolled: 1-line block ×3, first 2 shown]
	s_waitcnt vmcnt(57)
	v_fma_f64 v[169:170], v[91:92], v[105:106], -v[165:166]
	ds_read_b128 v[87:90], v1 offset:928
	v_fma_f64 v[99:100], v[93:94], v[105:106], v[99:100]
	s_clause 0x4
	buffer_load_dword v106, off, s[0:3], 0 offset:524
	buffer_load_dword v166, off, s[0:3], 0 offset:536
	buffer_load_dword v171, off, s[0:3], 0 offset:528
	buffer_load_dword v105, off, s[0:3], 0 offset:520
	buffer_load_dword v165, off, s[0:3], 0 offset:500
	s_waitcnt vmcnt(56)
	v_fma_f64 v[103:104], v[95:96], v[113:114], -v[103:104]
	ds_read_b128 v[91:94], v1 offset:944
	v_fma_f64 v[113:114], v[97:98], v[113:114], v[167:168]
	v_add_f64 v[158:159], v[158:159], 0
	v_add_f64 v[2:3], v[2:3], 0
	s_waitcnt lgkmcnt(1)
	v_mul_f64 v[172:173], v[87:88], v[107:108]
	v_mul_f64 v[107:108], v[89:90], v[107:108]
	v_add_f64 v[158:159], v[158:159], v[169:170]
	v_add_f64 v[2:3], v[2:3], v[99:100]
	s_clause 0x2
	buffer_load_dword v167, off, s[0:3], 0 offset:540
	buffer_load_dword v100, off, s[0:3], 0 offset:516
	;; [unrolled: 1-line block ×3, first 2 shown]
	s_waitcnt vmcnt(58) lgkmcnt(0)
	v_mul_f64 v[168:169], v[91:92], v[109:110]
	v_mul_f64 v[109:110], v[93:94], v[109:110]
	s_waitcnt vmcnt(56)
	v_fma_f64 v[107:108], v[87:88], v[115:116], -v[107:108]
	ds_read_b128 v[95:98], v1 offset:960
	v_fma_f64 v[115:116], v[89:90], v[115:116], v[172:173]
	v_add_f64 v[103:104], v[158:159], v[103:104]
	v_add_f64 v[2:3], v[2:3], v[113:114]
	s_clause 0x4
	buffer_load_dword v114, off, s[0:3], 0 offset:556
	buffer_load_dword v158, off, s[0:3], 0 offset:568
	;; [unrolled: 1-line block ×5, first 2 shown]
	ds_read_b128 v[87:90], v1 offset:976
	s_waitcnt vmcnt(57) lgkmcnt(1)
	v_mul_f64 v[174:175], v[95:96], v[117:118]
	v_mul_f64 v[117:118], v[97:98], v[117:118]
	s_waitcnt vmcnt(56)
	v_fma_f64 v[109:110], v[91:92], v[111:112], -v[109:110]
	v_add_f64 v[103:104], v[103:104], v[107:108]
	v_fma_f64 v[107:108], v[93:94], v[111:112], v[168:169]
	v_add_f64 v[2:3], v[2:3], v[115:116]
	s_clause 0x2
	buffer_load_dword v159, off, s[0:3], 0 offset:572
	buffer_load_dword v112, off, s[0:3], 0 offset:548
	;; [unrolled: 1-line block ×3, first 2 shown]
	s_waitcnt vmcnt(58) lgkmcnt(0)
	v_mul_f64 v[115:116], v[87:88], v[119:120]
	v_mul_f64 v[119:120], v[89:90], v[119:120]
	s_waitcnt vmcnt(56)
	v_fma_f64 v[117:118], v[95:96], v[123:124], -v[117:118]
	ds_read_b128 v[91:94], v1 offset:992
	v_add_f64 v[103:104], v[103:104], v[109:110]
	v_fma_f64 v[109:110], v[97:98], v[123:124], v[174:175]
	v_add_f64 v[2:3], v[2:3], v[107:108]
	s_clause 0x4
	buffer_load_dword v108, off, s[0:3], 0 offset:588
	buffer_load_dword v123, off, s[0:3], 0 offset:600
	;; [unrolled: 1-line block ×5, first 2 shown]
	ds_read_b128 v[95:98], v1 offset:1008
	s_waitcnt vmcnt(57) lgkmcnt(1)
	v_mul_f64 v[169:170], v[91:92], v[125:126]
	v_mul_f64 v[125:126], v[93:94], v[125:126]
	s_waitcnt vmcnt(56)
	v_fma_f64 v[119:120], v[87:88], v[121:122], -v[119:120]
	v_fma_f64 v[115:116], v[89:90], v[121:122], v[115:116]
	v_add_f64 v[103:104], v[103:104], v[117:118]
	v_add_f64 v[2:3], v[2:3], v[109:110]
	s_clause 0x2
	buffer_load_dword v124, off, s[0:3], 0 offset:604
	buffer_load_dword v110, off, s[0:3], 0 offset:580
	;; [unrolled: 1-line block ×3, first 2 shown]
	s_waitcnt vmcnt(58) lgkmcnt(0)
	v_mul_f64 v[121:122], v[97:98], v[127:128]
	ds_read_b128 v[87:90], v1 offset:1024
	s_waitcnt vmcnt(56)
	v_fma_f64 v[125:126], v[91:92], v[131:132], -v[125:126]
	v_mul_f64 v[117:118], v[95:96], v[127:128]
	v_add_f64 v[103:104], v[103:104], v[119:120]
	v_fma_f64 v[119:120], v[93:94], v[131:132], v[169:170]
	v_add_f64 v[2:3], v[2:3], v[115:116]
	s_clause 0x4
	buffer_load_dword v116, off, s[0:3], 0 offset:620
	buffer_load_dword v127, off, s[0:3], 0 offset:632
	;; [unrolled: 1-line block ×5, first 2 shown]
	s_waitcnt vmcnt(57) lgkmcnt(0)
	v_mul_f64 v[175:176], v[87:88], v[133:134]
	v_mul_f64 v[132:133], v[89:90], v[133:134]
	s_waitcnt vmcnt(56)
	v_fma_f64 v[121:122], v[95:96], v[129:130], -v[121:122]
	ds_read_b128 v[91:94], v1 offset:1040
	v_fma_f64 v[117:118], v[97:98], v[129:130], v[117:118]
	v_add_f64 v[103:104], v[103:104], v[125:126]
	v_add_f64 v[2:3], v[2:3], v[119:120]
	s_clause 0x2
	buffer_load_dword v128, off, s[0:3], 0 offset:636
	buffer_load_dword v120, off, s[0:3], 0 offset:612
	;; [unrolled: 1-line block ×3, first 2 shown]
	ds_read_b128 v[95:98], v1 offset:1056
	s_waitcnt vmcnt(58) lgkmcnt(1)
	v_mul_f64 v[129:130], v[93:94], v[135:136]
	s_waitcnt vmcnt(56)
	v_fma_f64 v[133:134], v[87:88], v[139:140], -v[132:133]
	v_mul_f64 v[125:126], v[91:92], v[135:136]
	v_add_f64 v[103:104], v[103:104], v[121:122]
	v_fma_f64 v[121:122], v[89:90], v[139:140], v[175:176]
	v_add_f64 v[2:3], v[2:3], v[117:118]
	s_clause 0x4
	buffer_load_dword v118, off, s[0:3], 0 offset:652
	buffer_load_dword v135, off, s[0:3], 0 offset:664
	;; [unrolled: 1-line block ×5, first 2 shown]
	s_waitcnt vmcnt(57) lgkmcnt(0)
	v_mul_f64 v[175:176], v[95:96], v[141:142]
	v_mul_f64 v[140:141], v[97:98], v[141:142]
	s_waitcnt vmcnt(56)
	v_fma_f64 v[129:130], v[91:92], v[137:138], -v[129:130]
	ds_read_b128 v[87:90], v1 offset:1072
	v_fma_f64 v[125:126], v[93:94], v[137:138], v[125:126]
	v_add_f64 v[103:104], v[103:104], v[133:134]
	v_add_f64 v[2:3], v[2:3], v[121:122]
	s_clause 0x2
	buffer_load_dword v136, off, s[0:3], 0 offset:668
	buffer_load_dword v122, off, s[0:3], 0 offset:644
	;; [unrolled: 1-line block ×3, first 2 shown]
	ds_read_b128 v[91:94], v1 offset:1088
	s_waitcnt vmcnt(58) lgkmcnt(1)
	v_mul_f64 v[137:138], v[89:90], v[144:145]
	s_waitcnt vmcnt(56)
	v_fma_f64 v[141:142], v[95:96], v[148:149], -v[140:141]
	v_mul_f64 v[133:134], v[87:88], v[144:145]
	buffer_load_dword v140, off, s[0:3], 0 offset:660
	v_add_f64 v[103:104], v[103:104], v[129:130]
	v_fma_f64 v[129:130], v[97:98], v[148:149], v[175:176]
	v_add_f64 v[2:3], v[2:3], v[125:126]
	ds_read_b128 v[95:98], v1 offset:1104
	s_waitcnt vmcnt(53) lgkmcnt(1)
	v_mul_f64 v[144:145], v[93:94], v[150:151]
	s_waitcnt vmcnt(52)
	v_fma_f64 v[137:138], v[87:88], v[146:147], -v[137:138]
	v_mul_f64 v[125:126], v[91:92], v[150:151]
	v_fma_f64 v[133:134], v[89:90], v[146:147], v[133:134]
	ds_read_b128 v[87:90], v1 offset:1120
	v_add_f64 v[103:104], v[103:104], v[141:142]
	s_waitcnt vmcnt(51) lgkmcnt(1)
	v_mul_f64 v[141:142], v[97:98], v[152:153]
	v_add_f64 v[2:3], v[2:3], v[129:130]
	v_mul_f64 v[129:130], v[95:96], v[152:153]
	s_waitcnt vmcnt(49)
	v_fma_f64 v[144:145], v[91:92], v[156:157], -v[144:145]
	v_fma_f64 v[125:126], v[93:94], v[156:157], v[125:126]
	s_waitcnt vmcnt(45) lgkmcnt(0)
	v_mul_f64 v[148:149], v[89:90], v[160:161]
	v_mul_f64 v[146:147], v[87:88], v[160:161]
	v_add_f64 v[103:104], v[103:104], v[137:138]
	s_waitcnt vmcnt(44)
	v_fma_f64 v[141:142], v[95:96], v[154:155], -v[141:142]
	v_add_f64 v[2:3], v[2:3], v[133:134]
	s_clause 0x3
	buffer_load_dword v133, off, s[0:3], 0 offset:224
	buffer_load_dword v134, off, s[0:3], 0 offset:228
	;; [unrolled: 1-line block ×4, first 2 shown]
	ds_read_b128 v[91:94], v1 offset:1136
	v_fma_f64 v[129:130], v[97:98], v[154:155], v[129:130]
	ds_read_b128 v[95:98], v1 offset:1152
	v_add_f64 v[103:104], v[103:104], v[144:145]
	v_add_f64 v[2:3], v[2:3], v[125:126]
	s_waitcnt vmcnt(47) lgkmcnt(1)
	v_mul_f64 v[144:145], v[93:94], v[162:163]
	v_mul_f64 v[125:126], v[91:92], v[162:163]
	s_waitcnt vmcnt(45)
	v_fma_f64 v[148:149], v[87:88], v[101:102], -v[148:149]
	v_fma_f64 v[101:102], v[89:90], v[101:102], v[146:147]
	ds_read_b128 v[87:90], v1 offset:1168
	v_add_f64 v[103:104], v[103:104], v[141:142]
	v_add_f64 v[2:3], v[2:3], v[129:130]
	s_waitcnt vmcnt(41) lgkmcnt(1)
	v_mul_f64 v[129:130], v[95:96], v[105:106]
	v_mul_f64 v[105:106], v[97:98], v[105:106]
	s_waitcnt vmcnt(40)
	v_fma_f64 v[141:142], v[91:92], v[164:165], -v[144:145]
	;; [unrolled: 9-line block ×7, first 2 shown]
	v_fma_f64 v[101:102], v[89:90], v[109:110], v[101:102]
	ds_read_b128 v[87:90], v1 offset:1264
	v_add_f64 v[103:104], v[103:104], v[105:106]
	v_add_f64 v[2:3], v[2:3], v[99:100]
	s_waitcnt vmcnt(17) lgkmcnt(1)
	v_mul_f64 v[105:106], v[97:98], v[115:116]
	s_waitcnt vmcnt(16)
	v_fma_f64 v[109:110], v[91:92], v[168:169], -v[113:114]
	v_mul_f64 v[99:100], v[95:96], v[115:116]
	v_add_f64 v[103:104], v[103:104], v[107:108]
	v_fma_f64 v[107:108], v[93:94], v[168:169], v[111:112]
	v_add_f64 v[2:3], v[2:3], v[101:102]
	ds_read_b128 v[91:94], v1 offset:1280
	s_waitcnt vmcnt(15) lgkmcnt(1)
	v_mul_f64 v[111:112], v[89:90], v[127:128]
	v_mul_f64 v[101:102], v[87:88], v[127:128]
	s_waitcnt vmcnt(13)
	v_fma_f64 v[105:106], v[95:96], v[119:120], -v[105:106]
	v_fma_f64 v[99:100], v[97:98], v[119:120], v[99:100]
	ds_read_b128 v[95:98], v1 offset:1296
	v_add_f64 v[103:104], v[103:104], v[109:110]
	v_add_f64 v[2:3], v[2:3], v[107:108]
	s_waitcnt vmcnt(9) lgkmcnt(1)
	v_mul_f64 v[109:110], v[93:94], v[117:118]
	s_waitcnt vmcnt(8)
	v_fma_f64 v[87:88], v[87:88], v[131:132], -v[111:112]
	v_mul_f64 v[107:108], v[91:92], v[117:118]
	v_fma_f64 v[89:90], v[89:90], v[131:132], v[101:102]
	v_add_f64 v[103:104], v[103:104], v[105:106]
	v_add_f64 v[2:3], v[2:3], v[99:100]
	s_waitcnt vmcnt(7) lgkmcnt(0)
	v_mul_f64 v[101:102], v[97:98], v[135:136]
	v_mul_f64 v[99:100], v[95:96], v[135:136]
	s_waitcnt vmcnt(5)
	v_fma_f64 v[91:92], v[91:92], v[121:122], -v[109:110]
	v_fma_f64 v[93:94], v[93:94], v[121:122], v[107:108]
	v_add_f64 v[87:88], v[103:104], v[87:88]
	v_add_f64 v[2:3], v[2:3], v[89:90]
	s_waitcnt vmcnt(4)
	v_fma_f64 v[89:90], v[95:96], v[139:140], -v[101:102]
	v_add_f64 v[87:88], v[87:88], v[91:92]
	v_fma_f64 v[91:92], v[97:98], v[139:140], v[99:100]
	v_add_f64 v[2:3], v[2:3], v[93:94]
	v_add_f64 v[87:88], v[87:88], v[89:90]
	;; [unrolled: 1-line block ×3, first 2 shown]
	s_waitcnt vmcnt(2)
	v_add_f64 v[87:88], v[133:134], -v[87:88]
	s_waitcnt vmcnt(0)
	v_add_f64 v[2:3], v[137:138], -v[2:3]
	buffer_store_dword v88, off, s[0:3], 0 offset:228
	buffer_store_dword v87, off, s[0:3], 0 offset:224
	;; [unrolled: 1-line block ×4, first 2 shown]
	v_cmpx_lt_u32_e32 12, v0
	s_cbranch_execz .LBB104_235
; %bb.234:
	v_mov_b32_e32 v2, s41
	s_clause 0x3
	buffer_load_dword v87, v2, s[0:3], 0 offen
	buffer_load_dword v88, v2, s[0:3], 0 offen offset:4
	buffer_load_dword v89, v2, s[0:3], 0 offen offset:8
	;; [unrolled: 1-line block ×3, first 2 shown]
	buffer_store_dword v1, off, s[0:3], 0 offset:208
	buffer_store_dword v1, off, s[0:3], 0 offset:212
	;; [unrolled: 1-line block ×4, first 2 shown]
	s_waitcnt vmcnt(0)
	ds_write_b128 v143, v[87:90]
.LBB104_235:
	s_or_b32 exec_lo, exec_lo, s4
	s_waitcnt lgkmcnt(0)
	s_waitcnt_vscnt null, 0x0
	s_barrier
	buffer_gl0_inv
	s_clause 0x37
	buffer_load_dword v2, off, s[0:3], 0 offset:232
	buffer_load_dword v3, off, s[0:3], 0 offset:236
	;; [unrolled: 1-line block ×56, first 2 shown]
	ds_read_b128 v[87:90], v1 offset:864
	s_clause 0x2
	buffer_load_dword v153, off, s[0:3], 0 offset:460
	buffer_load_dword v157, off, s[0:3], 0 offset:436
	;; [unrolled: 1-line block ×3, first 2 shown]
	ds_read_b128 v[91:94], v1 offset:880
	s_clause 0x4
	buffer_load_dword v161, off, s[0:3], 0 offset:476
	buffer_load_dword v162, off, s[0:3], 0 offset:488
	;; [unrolled: 1-line block ×5, first 2 shown]
	ds_read_b128 v[95:98], v1 offset:896
	s_mov_b32 s4, exec_lo
	s_waitcnt vmcnt(62) lgkmcnt(2)
	v_mul_f64 v[158:159], v[89:90], v[2:3]
	v_mul_f64 v[2:3], v[87:88], v[2:3]
	s_waitcnt vmcnt(60) lgkmcnt(1)
	v_mul_f64 v[165:166], v[93:94], v[99:100]
	v_mul_f64 v[99:100], v[91:92], v[99:100]
	;; [unrolled: 3-line block ×3, first 2 shown]
	v_fma_f64 v[158:159], v[87:88], v[101:102], -v[158:159]
	v_fma_f64 v[2:3], v[89:90], v[101:102], v[2:3]
	s_clause 0x2
	buffer_load_dword v163, off, s[0:3], 0 offset:492
	buffer_load_dword v102, off, s[0:3], 0 offset:468
	;; [unrolled: 1-line block ×3, first 2 shown]
	s_waitcnt vmcnt(57)
	v_fma_f64 v[169:170], v[91:92], v[105:106], -v[165:166]
	ds_read_b128 v[87:90], v1 offset:912
	v_fma_f64 v[99:100], v[93:94], v[105:106], v[99:100]
	s_clause 0x4
	buffer_load_dword v106, off, s[0:3], 0 offset:508
	buffer_load_dword v166, off, s[0:3], 0 offset:520
	;; [unrolled: 1-line block ×5, first 2 shown]
	s_waitcnt vmcnt(56)
	v_fma_f64 v[103:104], v[95:96], v[113:114], -v[103:104]
	ds_read_b128 v[91:94], v1 offset:928
	v_fma_f64 v[113:114], v[97:98], v[113:114], v[167:168]
	v_add_f64 v[158:159], v[158:159], 0
	v_add_f64 v[2:3], v[2:3], 0
	s_waitcnt lgkmcnt(1)
	v_mul_f64 v[172:173], v[87:88], v[107:108]
	v_mul_f64 v[107:108], v[89:90], v[107:108]
	v_add_f64 v[158:159], v[158:159], v[169:170]
	v_add_f64 v[2:3], v[2:3], v[99:100]
	s_clause 0x2
	buffer_load_dword v167, off, s[0:3], 0 offset:524
	buffer_load_dword v100, off, s[0:3], 0 offset:500
	;; [unrolled: 1-line block ×3, first 2 shown]
	s_waitcnt vmcnt(58) lgkmcnt(0)
	v_mul_f64 v[168:169], v[91:92], v[109:110]
	v_mul_f64 v[109:110], v[93:94], v[109:110]
	s_waitcnt vmcnt(56)
	v_fma_f64 v[107:108], v[87:88], v[115:116], -v[107:108]
	ds_read_b128 v[95:98], v1 offset:944
	v_fma_f64 v[115:116], v[89:90], v[115:116], v[172:173]
	v_add_f64 v[103:104], v[158:159], v[103:104]
	v_add_f64 v[2:3], v[2:3], v[113:114]
	s_clause 0x4
	buffer_load_dword v114, off, s[0:3], 0 offset:540
	buffer_load_dword v158, off, s[0:3], 0 offset:552
	;; [unrolled: 1-line block ×5, first 2 shown]
	ds_read_b128 v[87:90], v1 offset:960
	s_waitcnt vmcnt(57) lgkmcnt(1)
	v_mul_f64 v[174:175], v[95:96], v[117:118]
	v_mul_f64 v[117:118], v[97:98], v[117:118]
	s_waitcnt vmcnt(56)
	v_fma_f64 v[109:110], v[91:92], v[111:112], -v[109:110]
	v_add_f64 v[103:104], v[103:104], v[107:108]
	v_fma_f64 v[107:108], v[93:94], v[111:112], v[168:169]
	v_add_f64 v[2:3], v[2:3], v[115:116]
	s_clause 0x2
	buffer_load_dword v159, off, s[0:3], 0 offset:556
	buffer_load_dword v112, off, s[0:3], 0 offset:532
	buffer_load_dword v111, off, s[0:3], 0 offset:528
	s_waitcnt vmcnt(58) lgkmcnt(0)
	v_mul_f64 v[115:116], v[87:88], v[119:120]
	v_mul_f64 v[119:120], v[89:90], v[119:120]
	s_waitcnt vmcnt(56)
	v_fma_f64 v[117:118], v[95:96], v[123:124], -v[117:118]
	ds_read_b128 v[91:94], v1 offset:976
	v_add_f64 v[103:104], v[103:104], v[109:110]
	v_fma_f64 v[109:110], v[97:98], v[123:124], v[174:175]
	v_add_f64 v[2:3], v[2:3], v[107:108]
	s_clause 0x4
	buffer_load_dword v108, off, s[0:3], 0 offset:572
	buffer_load_dword v123, off, s[0:3], 0 offset:584
	;; [unrolled: 1-line block ×5, first 2 shown]
	ds_read_b128 v[95:98], v1 offset:992
	s_waitcnt vmcnt(57) lgkmcnt(1)
	v_mul_f64 v[169:170], v[91:92], v[125:126]
	v_mul_f64 v[125:126], v[93:94], v[125:126]
	s_waitcnt vmcnt(56)
	v_fma_f64 v[119:120], v[87:88], v[121:122], -v[119:120]
	v_fma_f64 v[115:116], v[89:90], v[121:122], v[115:116]
	v_add_f64 v[103:104], v[103:104], v[117:118]
	v_add_f64 v[2:3], v[2:3], v[109:110]
	s_clause 0x2
	buffer_load_dword v124, off, s[0:3], 0 offset:588
	buffer_load_dword v110, off, s[0:3], 0 offset:564
	;; [unrolled: 1-line block ×3, first 2 shown]
	s_waitcnt vmcnt(58) lgkmcnt(0)
	v_mul_f64 v[121:122], v[97:98], v[127:128]
	ds_read_b128 v[87:90], v1 offset:1008
	s_waitcnt vmcnt(56)
	v_fma_f64 v[125:126], v[91:92], v[131:132], -v[125:126]
	v_mul_f64 v[117:118], v[95:96], v[127:128]
	v_add_f64 v[103:104], v[103:104], v[119:120]
	v_fma_f64 v[119:120], v[93:94], v[131:132], v[169:170]
	v_add_f64 v[2:3], v[2:3], v[115:116]
	s_clause 0x4
	buffer_load_dword v116, off, s[0:3], 0 offset:604
	buffer_load_dword v127, off, s[0:3], 0 offset:616
	;; [unrolled: 1-line block ×5, first 2 shown]
	s_waitcnt vmcnt(57) lgkmcnt(0)
	v_mul_f64 v[175:176], v[87:88], v[133:134]
	v_mul_f64 v[132:133], v[89:90], v[133:134]
	s_waitcnt vmcnt(56)
	v_fma_f64 v[121:122], v[95:96], v[129:130], -v[121:122]
	ds_read_b128 v[91:94], v1 offset:1024
	v_fma_f64 v[117:118], v[97:98], v[129:130], v[117:118]
	v_add_f64 v[103:104], v[103:104], v[125:126]
	v_add_f64 v[2:3], v[2:3], v[119:120]
	s_clause 0x2
	buffer_load_dword v128, off, s[0:3], 0 offset:620
	buffer_load_dword v120, off, s[0:3], 0 offset:596
	;; [unrolled: 1-line block ×3, first 2 shown]
	ds_read_b128 v[95:98], v1 offset:1040
	s_waitcnt vmcnt(58) lgkmcnt(1)
	v_mul_f64 v[129:130], v[93:94], v[135:136]
	s_waitcnt vmcnt(56)
	v_fma_f64 v[133:134], v[87:88], v[139:140], -v[132:133]
	v_mul_f64 v[125:126], v[91:92], v[135:136]
	v_add_f64 v[103:104], v[103:104], v[121:122]
	v_fma_f64 v[121:122], v[89:90], v[139:140], v[175:176]
	v_add_f64 v[2:3], v[2:3], v[117:118]
	s_clause 0x4
	buffer_load_dword v118, off, s[0:3], 0 offset:636
	buffer_load_dword v135, off, s[0:3], 0 offset:648
	;; [unrolled: 1-line block ×5, first 2 shown]
	s_waitcnt vmcnt(57) lgkmcnt(0)
	v_mul_f64 v[175:176], v[95:96], v[141:142]
	v_mul_f64 v[140:141], v[97:98], v[141:142]
	s_waitcnt vmcnt(56)
	v_fma_f64 v[129:130], v[91:92], v[137:138], -v[129:130]
	ds_read_b128 v[87:90], v1 offset:1056
	v_fma_f64 v[125:126], v[93:94], v[137:138], v[125:126]
	v_add_f64 v[103:104], v[103:104], v[133:134]
	v_add_f64 v[2:3], v[2:3], v[121:122]
	s_clause 0x2
	buffer_load_dword v136, off, s[0:3], 0 offset:652
	buffer_load_dword v122, off, s[0:3], 0 offset:628
	;; [unrolled: 1-line block ×3, first 2 shown]
	ds_read_b128 v[91:94], v1 offset:1072
	s_waitcnt vmcnt(58) lgkmcnt(1)
	v_mul_f64 v[137:138], v[89:90], v[144:145]
	s_waitcnt vmcnt(56)
	v_fma_f64 v[141:142], v[95:96], v[148:149], -v[140:141]
	v_mul_f64 v[133:134], v[87:88], v[144:145]
	v_add_f64 v[103:104], v[103:104], v[129:130]
	v_fma_f64 v[129:130], v[97:98], v[148:149], v[175:176]
	v_add_f64 v[2:3], v[2:3], v[125:126]
	s_clause 0x2
	buffer_load_dword v126, off, s[0:3], 0 offset:668
	buffer_load_dword v125, off, s[0:3], 0 offset:664
	;; [unrolled: 1-line block ×3, first 2 shown]
	s_waitcnt vmcnt(55) lgkmcnt(0)
	v_mul_f64 v[148:149], v[93:94], v[150:151]
	s_waitcnt vmcnt(54)
	v_fma_f64 v[137:138], v[87:88], v[146:147], -v[137:138]
	ds_read_b128 v[95:98], v1 offset:1088
	v_mul_f64 v[144:145], v[91:92], v[150:151]
	v_fma_f64 v[133:134], v[89:90], v[146:147], v[133:134]
	v_add_f64 v[103:104], v[103:104], v[141:142]
	v_add_f64 v[2:3], v[2:3], v[129:130]
	s_clause 0x1
	buffer_load_dword v130, off, s[0:3], 0 offset:660
	buffer_load_dword v129, off, s[0:3], 0 offset:656
	s_waitcnt vmcnt(55) lgkmcnt(0)
	v_mul_f64 v[146:147], v[97:98], v[152:153]
	s_waitcnt vmcnt(53)
	v_fma_f64 v[148:149], v[91:92], v[156:157], -v[148:149]
	ds_read_b128 v[87:90], v1 offset:1104
	v_mul_f64 v[141:142], v[95:96], v[152:153]
	v_add_f64 v[103:104], v[103:104], v[137:138]
	v_fma_f64 v[137:138], v[93:94], v[156:157], v[144:145]
	v_add_f64 v[2:3], v[2:3], v[133:134]
	ds_read_b128 v[91:94], v1 offset:1120
	s_waitcnt vmcnt(49) lgkmcnt(1)
	v_mul_f64 v[144:145], v[89:90], v[160:161]
	s_waitcnt vmcnt(48)
	v_fma_f64 v[146:147], v[95:96], v[154:155], -v[146:147]
	v_mul_f64 v[133:134], v[87:88], v[160:161]
	v_fma_f64 v[141:142], v[97:98], v[154:155], v[141:142]
	v_add_f64 v[103:104], v[103:104], v[148:149]
	v_add_f64 v[2:3], v[2:3], v[137:138]
	s_clause 0x3
	buffer_load_dword v137, off, s[0:3], 0 offset:208
	buffer_load_dword v138, off, s[0:3], 0 offset:212
	;; [unrolled: 1-line block ×4, first 2 shown]
	ds_read_b128 v[95:98], v1 offset:1136
	s_waitcnt vmcnt(51) lgkmcnt(1)
	v_mul_f64 v[152:153], v[93:94], v[162:163]
	v_mul_f64 v[150:151], v[91:92], v[162:163]
	s_waitcnt vmcnt(49)
	v_fma_f64 v[144:145], v[87:88], v[101:102], -v[144:145]
	v_fma_f64 v[101:102], v[89:90], v[101:102], v[133:134]
	ds_read_b128 v[87:90], v1 offset:1152
	v_add_f64 v[103:104], v[103:104], v[146:147]
	v_add_f64 v[2:3], v[2:3], v[141:142]
	s_waitcnt vmcnt(45) lgkmcnt(1)
	v_mul_f64 v[133:134], v[95:96], v[105:106]
	v_mul_f64 v[105:106], v[97:98], v[105:106]
	s_waitcnt vmcnt(44)
	v_fma_f64 v[141:142], v[91:92], v[164:165], -v[152:153]
	v_add_f64 v[103:104], v[103:104], v[144:145]
	v_fma_f64 v[144:145], v[93:94], v[164:165], v[150:151]
	v_add_f64 v[2:3], v[2:3], v[101:102]
	ds_read_b128 v[91:94], v1 offset:1168
	s_waitcnt vmcnt(43) lgkmcnt(1)
	v_mul_f64 v[146:147], v[89:90], v[166:167]
	v_mul_f64 v[101:102], v[87:88], v[166:167]
	s_waitcnt vmcnt(41)
	v_fma_f64 v[105:106], v[95:96], v[99:100], -v[105:106]
	v_fma_f64 v[99:100], v[97:98], v[99:100], v[133:134]
	ds_read_b128 v[95:98], v1 offset:1184
	v_add_f64 v[103:104], v[103:104], v[141:142]
	v_add_f64 v[2:3], v[2:3], v[144:145]
	s_waitcnt vmcnt(37) lgkmcnt(1)
	v_mul_f64 v[133:134], v[91:92], v[113:114]
	v_mul_f64 v[113:114], v[93:94], v[113:114]
	s_waitcnt vmcnt(36)
	v_fma_f64 v[141:142], v[87:88], v[171:172], -v[146:147]
	v_fma_f64 v[101:102], v[89:90], v[171:172], v[101:102]
	ds_read_b128 v[87:90], v1 offset:1200
	v_add_f64 v[103:104], v[103:104], v[105:106]
	v_add_f64 v[2:3], v[2:3], v[99:100]
	;; [unrolled: 9-line block ×5, first 2 shown]
	s_waitcnt vmcnt(21) lgkmcnt(1)
	v_mul_f64 v[105:106], v[97:98], v[115:116]
	s_waitcnt vmcnt(20)
	v_fma_f64 v[109:110], v[91:92], v[168:169], -v[113:114]
	v_mul_f64 v[99:100], v[95:96], v[115:116]
	v_add_f64 v[103:104], v[103:104], v[107:108]
	v_fma_f64 v[107:108], v[93:94], v[168:169], v[111:112]
	v_add_f64 v[2:3], v[2:3], v[101:102]
	ds_read_b128 v[91:94], v1 offset:1264
	s_waitcnt vmcnt(19) lgkmcnt(1)
	v_mul_f64 v[111:112], v[89:90], v[127:128]
	v_mul_f64 v[101:102], v[87:88], v[127:128]
	s_waitcnt vmcnt(17)
	v_fma_f64 v[105:106], v[95:96], v[119:120], -v[105:106]
	v_fma_f64 v[99:100], v[97:98], v[119:120], v[99:100]
	ds_read_b128 v[95:98], v1 offset:1280
	v_add_f64 v[103:104], v[103:104], v[109:110]
	v_add_f64 v[2:3], v[2:3], v[107:108]
	s_waitcnt vmcnt(13) lgkmcnt(1)
	v_mul_f64 v[109:110], v[93:94], v[117:118]
	s_waitcnt vmcnt(12)
	v_fma_f64 v[87:88], v[87:88], v[131:132], -v[111:112]
	v_mul_f64 v[107:108], v[91:92], v[117:118]
	v_fma_f64 v[89:90], v[89:90], v[131:132], v[101:102]
	v_add_f64 v[103:104], v[103:104], v[105:106]
	v_add_f64 v[99:100], v[2:3], v[99:100]
	ds_read_b128 v[1:4], v1 offset:1296
	s_waitcnt vmcnt(11) lgkmcnt(1)
	v_mul_f64 v[105:106], v[97:98], v[135:136]
	v_mul_f64 v[101:102], v[95:96], v[135:136]
	s_waitcnt vmcnt(9)
	v_fma_f64 v[91:92], v[91:92], v[121:122], -v[109:110]
	v_fma_f64 v[93:94], v[93:94], v[121:122], v[107:108]
	v_add_f64 v[87:88], v[103:104], v[87:88]
	v_add_f64 v[89:90], v[99:100], v[89:90]
	s_waitcnt vmcnt(7) lgkmcnt(0)
	v_mul_f64 v[103:104], v[3:4], v[125:126]
	s_waitcnt vmcnt(6)
	v_fma_f64 v[95:96], v[95:96], v[139:140], -v[105:106]
	v_mul_f64 v[99:100], v[1:2], v[125:126]
	v_add_f64 v[87:88], v[87:88], v[91:92]
	v_fma_f64 v[91:92], v[97:98], v[139:140], v[101:102]
	v_add_f64 v[89:90], v[89:90], v[93:94]
	s_waitcnt vmcnt(4)
	v_fma_f64 v[1:2], v[1:2], v[129:130], -v[103:104]
	v_fma_f64 v[3:4], v[3:4], v[129:130], v[99:100]
	v_add_f64 v[87:88], v[87:88], v[95:96]
	v_add_f64 v[89:90], v[89:90], v[91:92]
	;; [unrolled: 1-line block ×4, first 2 shown]
	s_waitcnt vmcnt(2)
	v_add_f64 v[1:2], v[137:138], -v[1:2]
	s_waitcnt vmcnt(0)
	v_add_f64 v[3:4], v[148:149], -v[3:4]
	buffer_store_dword v2, off, s[0:3], 0 offset:212
	buffer_store_dword v1, off, s[0:3], 0 offset:208
	;; [unrolled: 1-line block ×4, first 2 shown]
	v_cmpx_lt_u32_e32 11, v0
	s_cbranch_execz .LBB104_237
; %bb.236:
	v_mov_b32_e32 v4, s42
	v_mov_b32_e32 v87, 0
	s_clause 0x3
	buffer_load_dword v1, v4, s[0:3], 0 offen
	buffer_load_dword v2, v4, s[0:3], 0 offen offset:4
	buffer_load_dword v3, v4, s[0:3], 0 offen offset:8
	buffer_load_dword v4, v4, s[0:3], 0 offen offset:12
	buffer_store_dword v87, off, s[0:3], 0 offset:192
	buffer_store_dword v87, off, s[0:3], 0 offset:196
	;; [unrolled: 1-line block ×4, first 2 shown]
	s_waitcnt vmcnt(0)
	ds_write_b128 v143, v[1:4]
.LBB104_237:
	s_or_b32 exec_lo, exec_lo, s4
	s_waitcnt lgkmcnt(0)
	s_waitcnt_vscnt null, 0x0
	s_barrier
	buffer_gl0_inv
	s_clause 0x37
	buffer_load_dword v91, off, s[0:3], 0 offset:216
	buffer_load_dword v92, off, s[0:3], 0 offset:220
	;; [unrolled: 1-line block ×56, first 2 shown]
	v_mov_b32_e32 v93, 0
	s_mov_b32 s4, exec_lo
	ds_read_b128 v[87:90], v93 offset:848
	s_clause 0x2
	buffer_load_dword v153, off, s[0:3], 0 offset:444
	buffer_load_dword v157, off, s[0:3], 0 offset:420
	;; [unrolled: 1-line block ×3, first 2 shown]
	ds_read_b128 v[94:97], v93 offset:864
	s_clause 0x4
	buffer_load_dword v161, off, s[0:3], 0 offset:460
	buffer_load_dword v162, off, s[0:3], 0 offset:472
	;; [unrolled: 1-line block ×5, first 2 shown]
	ds_read_b128 v[98:101], v93 offset:880
	s_waitcnt vmcnt(62) lgkmcnt(2)
	v_mul_f64 v[158:159], v[89:90], v[91:92]
	v_mul_f64 v[91:92], v[87:88], v[91:92]
	s_waitcnt vmcnt(60) lgkmcnt(1)
	v_mul_f64 v[165:166], v[96:97], v[102:103]
	v_mul_f64 v[102:103], v[94:95], v[102:103]
	s_waitcnt vmcnt(56) lgkmcnt(0)
	v_mul_f64 v[169:170], v[100:101], v[3:4]
	v_mul_f64 v[167:168], v[98:99], v[3:4]
	v_fma_f64 v[158:159], v[87:88], v[104:105], -v[158:159]
	v_fma_f64 v[91:92], v[89:90], v[104:105], v[91:92]
	s_clause 0x2
	buffer_load_dword v163, off, s[0:3], 0 offset:476
	buffer_load_dword v105, off, s[0:3], 0 offset:452
	;; [unrolled: 1-line block ×3, first 2 shown]
	s_waitcnt vmcnt(57)
	v_fma_f64 v[94:95], v[94:95], v[1:2], -v[165:166]
	ds_read_b128 v[87:90], v93 offset:896
	v_fma_f64 v[96:97], v[96:97], v[1:2], v[102:103]
	s_clause 0x4
	buffer_load_dword v103, off, s[0:3], 0 offset:492
	buffer_load_dword v166, off, s[0:3], 0 offset:504
	;; [unrolled: 1-line block ×5, first 2 shown]
	s_waitcnt vmcnt(56)
	v_fma_f64 v[98:99], v[98:99], v[112:113], -v[169:170]
	ds_read_b128 v[1:4], v93 offset:912
	v_fma_f64 v[100:101], v[100:101], v[112:113], v[167:168]
	s_clause 0x2
	buffer_load_dword v167, off, s[0:3], 0 offset:508
	buffer_load_dword v113, off, s[0:3], 0 offset:484
	;; [unrolled: 1-line block ×3, first 2 shown]
	v_add_f64 v[158:159], v[158:159], 0
	v_add_f64 v[91:92], v[91:92], 0
	s_waitcnt lgkmcnt(1)
	v_mul_f64 v[172:173], v[87:88], v[106:107]
	v_mul_f64 v[106:107], v[89:90], v[106:107]
	s_waitcnt vmcnt(58) lgkmcnt(0)
	v_mul_f64 v[168:169], v[1:2], v[108:109]
	v_mul_f64 v[108:109], v[3:4], v[108:109]
	v_add_f64 v[158:159], v[158:159], v[94:95]
	v_add_f64 v[91:92], v[91:92], v[96:97]
	ds_read_b128 v[94:97], v93 offset:928
	s_waitcnt vmcnt(56)
	v_fma_f64 v[106:107], v[87:88], v[114:115], -v[106:107]
	v_fma_f64 v[114:115], v[89:90], v[114:115], v[172:173]
	s_waitcnt vmcnt(51)
	v_fma_f64 v[108:109], v[1:2], v[110:111], -v[108:109]
	s_waitcnt lgkmcnt(0)
	v_mul_f64 v[174:175], v[94:95], v[116:117]
	v_add_f64 v[98:99], v[158:159], v[98:99]
	v_add_f64 v[91:92], v[91:92], v[100:101]
	s_clause 0x4
	buffer_load_dword v101, off, s[0:3], 0 offset:524
	buffer_load_dword v158, off, s[0:3], 0 offset:536
	;; [unrolled: 1-line block ×5, first 2 shown]
	v_mul_f64 v[116:117], v[96:97], v[116:117]
	ds_read_b128 v[87:90], v93 offset:944
	v_add_f64 v[98:99], v[98:99], v[106:107]
	v_fma_f64 v[106:107], v[3:4], v[110:111], v[168:169]
	v_add_f64 v[91:92], v[91:92], v[114:115]
	s_clause 0x2
	buffer_load_dword v159, off, s[0:3], 0 offset:540
	buffer_load_dword v111, off, s[0:3], 0 offset:516
	;; [unrolled: 1-line block ×3, first 2 shown]
	s_waitcnt vmcnt(58) lgkmcnt(0)
	v_mul_f64 v[114:115], v[87:88], v[118:119]
	v_mul_f64 v[118:119], v[89:90], v[118:119]
	s_waitcnt vmcnt(56)
	v_fma_f64 v[116:117], v[94:95], v[122:123], -v[116:117]
	ds_read_b128 v[1:4], v93 offset:960
	v_add_f64 v[98:99], v[98:99], v[108:109]
	v_fma_f64 v[108:109], v[96:97], v[122:123], v[174:175]
	v_add_f64 v[91:92], v[91:92], v[106:107]
	s_clause 0x4
	buffer_load_dword v107, off, s[0:3], 0 offset:556
	buffer_load_dword v122, off, s[0:3], 0 offset:568
	;; [unrolled: 1-line block ×5, first 2 shown]
	ds_read_b128 v[94:97], v93 offset:976
	s_waitcnt vmcnt(57) lgkmcnt(1)
	v_mul_f64 v[169:170], v[1:2], v[124:125]
	v_mul_f64 v[124:125], v[3:4], v[124:125]
	s_waitcnt vmcnt(56)
	v_fma_f64 v[118:119], v[87:88], v[120:121], -v[118:119]
	v_fma_f64 v[114:115], v[89:90], v[120:121], v[114:115]
	v_add_f64 v[98:99], v[98:99], v[116:117]
	v_add_f64 v[91:92], v[91:92], v[108:109]
	s_clause 0x2
	buffer_load_dword v123, off, s[0:3], 0 offset:572
	buffer_load_dword v109, off, s[0:3], 0 offset:548
	buffer_load_dword v108, off, s[0:3], 0 offset:544
	s_waitcnt vmcnt(58) lgkmcnt(0)
	v_mul_f64 v[120:121], v[96:97], v[126:127]
	ds_read_b128 v[87:90], v93 offset:992
	s_waitcnt vmcnt(56)
	v_fma_f64 v[124:125], v[1:2], v[130:131], -v[124:125]
	v_mul_f64 v[116:117], v[94:95], v[126:127]
	v_add_f64 v[98:99], v[98:99], v[118:119]
	v_fma_f64 v[118:119], v[3:4], v[130:131], v[169:170]
	v_add_f64 v[91:92], v[91:92], v[114:115]
	s_clause 0x4
	buffer_load_dword v115, off, s[0:3], 0 offset:588
	buffer_load_dword v126, off, s[0:3], 0 offset:600
	buffer_load_dword v130, off, s[0:3], 0 offset:592
	buffer_load_dword v114, off, s[0:3], 0 offset:584
	buffer_load_dword v169, off, s[0:3], 0 offset:564
	s_waitcnt vmcnt(57) lgkmcnt(0)
	v_mul_f64 v[175:176], v[87:88], v[132:133]
	v_mul_f64 v[131:132], v[89:90], v[132:133]
	s_waitcnt vmcnt(56)
	v_fma_f64 v[120:121], v[94:95], v[128:129], -v[120:121]
	ds_read_b128 v[1:4], v93 offset:1008
	v_fma_f64 v[116:117], v[96:97], v[128:129], v[116:117]
	v_add_f64 v[98:99], v[98:99], v[124:125]
	v_add_f64 v[91:92], v[91:92], v[118:119]
	s_clause 0x2
	buffer_load_dword v127, off, s[0:3], 0 offset:604
	buffer_load_dword v119, off, s[0:3], 0 offset:580
	buffer_load_dword v118, off, s[0:3], 0 offset:576
	ds_read_b128 v[94:97], v93 offset:1024
	s_waitcnt vmcnt(58) lgkmcnt(1)
	v_mul_f64 v[128:129], v[3:4], v[134:135]
	s_waitcnt vmcnt(56)
	v_fma_f64 v[132:133], v[87:88], v[138:139], -v[131:132]
	v_mul_f64 v[124:125], v[1:2], v[134:135]
	v_add_f64 v[98:99], v[98:99], v[120:121]
	v_fma_f64 v[120:121], v[89:90], v[138:139], v[175:176]
	v_add_f64 v[91:92], v[91:92], v[116:117]
	s_clause 0x4
	buffer_load_dword v117, off, s[0:3], 0 offset:620
	buffer_load_dword v134, off, s[0:3], 0 offset:632
	buffer_load_dword v138, off, s[0:3], 0 offset:624
	buffer_load_dword v116, off, s[0:3], 0 offset:616
	buffer_load_dword v131, off, s[0:3], 0 offset:596
	s_waitcnt vmcnt(57) lgkmcnt(0)
	v_mul_f64 v[175:176], v[94:95], v[140:141]
	v_mul_f64 v[139:140], v[96:97], v[140:141]
	s_waitcnt vmcnt(56)
	v_fma_f64 v[128:129], v[1:2], v[136:137], -v[128:129]
	ds_read_b128 v[87:90], v93 offset:1040
	v_fma_f64 v[124:125], v[3:4], v[136:137], v[124:125]
	v_add_f64 v[98:99], v[98:99], v[132:133]
	v_add_f64 v[91:92], v[91:92], v[120:121]
	s_clause 0x2
	buffer_load_dword v135, off, s[0:3], 0 offset:636
	buffer_load_dword v121, off, s[0:3], 0 offset:612
	buffer_load_dword v120, off, s[0:3], 0 offset:608
	ds_read_b128 v[1:4], v93 offset:1056
	s_waitcnt vmcnt(58) lgkmcnt(1)
	v_mul_f64 v[136:137], v[89:90], v[144:145]
	;; [unrolled: 28-line block ×3, first 2 shown]
	s_waitcnt vmcnt(56)
	v_fma_f64 v[150:151], v[1:2], v[156:157], -v[149:150]
	v_mul_f64 v[140:141], v[94:95], v[152:153]
	buffer_load_dword v149, off, s[0:3], 0 offset:660
	v_add_f64 v[98:99], v[98:99], v[136:137]
	v_fma_f64 v[136:137], v[3:4], v[156:157], v[175:176]
	v_add_f64 v[91:92], v[91:92], v[132:133]
	ds_read_b128 v[1:4], v93 offset:1104
	s_waitcnt vmcnt(53) lgkmcnt(1)
	v_mul_f64 v[152:153], v[89:90], v[160:161]
	s_waitcnt vmcnt(52)
	v_fma_f64 v[146:147], v[94:95], v[154:155], -v[146:147]
	v_mul_f64 v[132:133], v[87:88], v[160:161]
	v_fma_f64 v[140:141], v[96:97], v[154:155], v[140:141]
	ds_read_b128 v[94:97], v93 offset:1120
	v_add_f64 v[98:99], v[98:99], v[150:151]
	v_add_f64 v[91:92], v[91:92], v[136:137]
	s_waitcnt vmcnt(51) lgkmcnt(1)
	v_mul_f64 v[150:151], v[3:4], v[162:163]
	v_mul_f64 v[136:137], v[1:2], v[162:163]
	s_waitcnt vmcnt(49)
	v_fma_f64 v[152:153], v[87:88], v[104:105], -v[152:153]
	v_fma_f64 v[104:105], v[89:90], v[104:105], v[132:133]
	v_add_f64 v[98:99], v[98:99], v[146:147]
	s_waitcnt vmcnt(45) lgkmcnt(0)
	v_mul_f64 v[146:147], v[94:95], v[102:103]
	v_add_f64 v[91:92], v[91:92], v[140:141]
	s_clause 0x3
	buffer_load_dword v132, off, s[0:3], 0 offset:192
	buffer_load_dword v133, off, s[0:3], 0 offset:196
	;; [unrolled: 1-line block ×4, first 2 shown]
	v_mul_f64 v[102:103], v[96:97], v[102:103]
	ds_read_b128 v[87:90], v93 offset:1136
	s_waitcnt vmcnt(48)
	v_fma_f64 v[150:151], v[1:2], v[164:165], -v[150:151]
	v_fma_f64 v[136:137], v[3:4], v[164:165], v[136:137]
	ds_read_b128 v[1:4], v93 offset:1152
	v_add_f64 v[98:99], v[98:99], v[152:153]
	v_add_f64 v[91:92], v[91:92], v[104:105]
	s_waitcnt vmcnt(47) lgkmcnt(1)
	v_mul_f64 v[152:153], v[89:90], v[166:167]
	s_waitcnt vmcnt(45)
	v_fma_f64 v[102:103], v[94:95], v[112:113], -v[102:103]
	v_mul_f64 v[104:105], v[87:88], v[166:167]
	v_fma_f64 v[112:113], v[96:97], v[112:113], v[146:147]
	ds_read_b128 v[94:97], v93 offset:1168
	v_add_f64 v[98:99], v[98:99], v[150:151]
	v_add_f64 v[91:92], v[91:92], v[136:137]
	s_waitcnt vmcnt(41) lgkmcnt(1)
	v_mul_f64 v[136:137], v[1:2], v[100:101]
	v_mul_f64 v[100:101], v[3:4], v[100:101]
	s_waitcnt vmcnt(40)
	v_fma_f64 v[146:147], v[87:88], v[171:172], -v[152:153]
	v_add_f64 v[98:99], v[98:99], v[102:103]
	v_fma_f64 v[102:103], v[89:90], v[171:172], v[104:105]
	v_add_f64 v[91:92], v[91:92], v[112:113]
	ds_read_b128 v[87:90], v93 offset:1184
	s_waitcnt vmcnt(39) lgkmcnt(1)
	v_mul_f64 v[112:113], v[96:97], v[158:159]
	v_mul_f64 v[104:105], v[94:95], v[158:159]
	s_waitcnt vmcnt(37)
	v_fma_f64 v[100:101], v[1:2], v[110:111], -v[100:101]
	v_fma_f64 v[110:111], v[3:4], v[110:111], v[136:137]
	ds_read_b128 v[1:4], v93 offset:1200
	v_add_f64 v[98:99], v[98:99], v[146:147]
	v_add_f64 v[91:92], v[91:92], v[102:103]
	s_waitcnt vmcnt(33) lgkmcnt(1)
	v_mul_f64 v[102:103], v[87:88], v[106:107]
	v_mul_f64 v[106:107], v[89:90], v[106:107]
	s_waitcnt vmcnt(32)
	v_fma_f64 v[112:113], v[94:95], v[173:174], -v[112:113]
	v_add_f64 v[98:99], v[98:99], v[100:101]
	v_fma_f64 v[100:101], v[96:97], v[173:174], v[104:105]
	v_add_f64 v[91:92], v[91:92], v[110:111]
	ds_read_b128 v[94:97], v93 offset:1216
	s_waitcnt vmcnt(31) lgkmcnt(1)
	v_mul_f64 v[110:111], v[3:4], v[122:123]
	v_mul_f64 v[104:105], v[1:2], v[122:123]
	s_waitcnt vmcnt(29)
	v_fma_f64 v[106:107], v[87:88], v[108:109], -v[106:107]
	v_fma_f64 v[102:103], v[89:90], v[108:109], v[102:103]
	ds_read_b128 v[87:90], v93 offset:1232
	v_add_f64 v[98:99], v[98:99], v[112:113]
	v_add_f64 v[91:92], v[91:92], v[100:101]
	s_waitcnt vmcnt(25) lgkmcnt(1)
	v_mul_f64 v[108:109], v[96:97], v[114:115]
	s_waitcnt vmcnt(24)
	v_fma_f64 v[110:111], v[1:2], v[168:169], -v[110:111]
	v_mul_f64 v[100:101], v[94:95], v[114:115]
	v_fma_f64 v[104:105], v[3:4], v[168:169], v[104:105]
	ds_read_b128 v[1:4], v93 offset:1248
	v_add_f64 v[98:99], v[98:99], v[106:107]
	v_add_f64 v[91:92], v[91:92], v[102:103]
	s_waitcnt vmcnt(23) lgkmcnt(1)
	v_mul_f64 v[106:107], v[89:90], v[126:127]
	v_mul_f64 v[102:103], v[87:88], v[126:127]
	s_waitcnt vmcnt(21)
	v_fma_f64 v[108:109], v[94:95], v[118:119], -v[108:109]
	v_fma_f64 v[100:101], v[96:97], v[118:119], v[100:101]
	ds_read_b128 v[94:97], v93 offset:1264
	v_add_f64 v[98:99], v[98:99], v[110:111]
	v_add_f64 v[91:92], v[91:92], v[104:105]
	s_waitcnt vmcnt(17) lgkmcnt(1)
	v_mul_f64 v[110:111], v[3:4], v[116:117]
	s_waitcnt vmcnt(16)
	v_fma_f64 v[106:107], v[87:88], v[130:131], -v[106:107]
	v_mul_f64 v[104:105], v[1:2], v[116:117]
	v_fma_f64 v[102:103], v[89:90], v[130:131], v[102:103]
	ds_read_b128 v[87:90], v93 offset:1280
	v_add_f64 v[98:99], v[98:99], v[108:109]
	v_add_f64 v[91:92], v[91:92], v[100:101]
	s_waitcnt vmcnt(15) lgkmcnt(1)
	v_mul_f64 v[108:109], v[96:97], v[134:135]
	v_mul_f64 v[100:101], v[94:95], v[134:135]
	s_waitcnt vmcnt(13)
	v_fma_f64 v[110:111], v[1:2], v[120:121], -v[110:111]
	v_fma_f64 v[104:105], v[3:4], v[120:121], v[104:105]
	ds_read_b128 v[1:4], v93 offset:1296
	v_add_f64 v[98:99], v[98:99], v[106:107]
	v_add_f64 v[91:92], v[91:92], v[102:103]
	s_waitcnt vmcnt(9) lgkmcnt(1)
	v_mul_f64 v[106:107], v[89:90], v[124:125]
	s_waitcnt vmcnt(8)
	v_fma_f64 v[94:95], v[94:95], v[138:139], -v[108:109]
	v_mul_f64 v[102:103], v[87:88], v[124:125]
	v_fma_f64 v[96:97], v[96:97], v[138:139], v[100:101]
	v_add_f64 v[98:99], v[98:99], v[110:111]
	v_add_f64 v[91:92], v[91:92], v[104:105]
	s_waitcnt vmcnt(7) lgkmcnt(0)
	v_mul_f64 v[104:105], v[3:4], v[144:145]
	v_mul_f64 v[100:101], v[1:2], v[144:145]
	s_waitcnt vmcnt(5)
	v_fma_f64 v[87:88], v[87:88], v[128:129], -v[106:107]
	v_fma_f64 v[89:90], v[89:90], v[128:129], v[102:103]
	v_add_f64 v[94:95], v[98:99], v[94:95]
	v_add_f64 v[91:92], v[91:92], v[96:97]
	s_waitcnt vmcnt(4)
	v_fma_f64 v[1:2], v[1:2], v[148:149], -v[104:105]
	v_fma_f64 v[3:4], v[3:4], v[148:149], v[100:101]
	v_add_f64 v[87:88], v[94:95], v[87:88]
	v_add_f64 v[89:90], v[91:92], v[89:90]
	;; [unrolled: 1-line block ×4, first 2 shown]
	s_waitcnt vmcnt(2)
	v_add_f64 v[1:2], v[132:133], -v[1:2]
	s_waitcnt vmcnt(0)
	v_add_f64 v[3:4], v[140:141], -v[3:4]
	buffer_store_dword v2, off, s[0:3], 0 offset:196
	buffer_store_dword v1, off, s[0:3], 0 offset:192
	;; [unrolled: 1-line block ×4, first 2 shown]
	v_cmpx_lt_u32_e32 10, v0
	s_cbranch_execz .LBB104_239
; %bb.238:
	v_mov_b32_e32 v4, s43
	s_clause 0x3
	buffer_load_dword v1, v4, s[0:3], 0 offen
	buffer_load_dword v2, v4, s[0:3], 0 offen offset:4
	buffer_load_dword v3, v4, s[0:3], 0 offen offset:8
	;; [unrolled: 1-line block ×3, first 2 shown]
	buffer_store_dword v93, off, s[0:3], 0 offset:176
	buffer_store_dword v93, off, s[0:3], 0 offset:180
	;; [unrolled: 1-line block ×4, first 2 shown]
	s_waitcnt vmcnt(0)
	ds_write_b128 v143, v[1:4]
.LBB104_239:
	s_or_b32 exec_lo, exec_lo, s4
	s_waitcnt lgkmcnt(0)
	s_waitcnt_vscnt null, 0x0
	s_barrier
	buffer_gl0_inv
	s_clause 0x37
	buffer_load_dword v91, off, s[0:3], 0 offset:200
	buffer_load_dword v92, off, s[0:3], 0 offset:204
	;; [unrolled: 1-line block ×56, first 2 shown]
	ds_read_b128 v[94:97], v93 offset:832
	s_clause 0x2
	buffer_load_dword v153, off, s[0:3], 0 offset:428
	buffer_load_dword v157, off, s[0:3], 0 offset:404
	;; [unrolled: 1-line block ×3, first 2 shown]
	ds_read_b128 v[98:101], v93 offset:848
	s_clause 0x4
	buffer_load_dword v161, off, s[0:3], 0 offset:444
	buffer_load_dword v162, off, s[0:3], 0 offset:456
	;; [unrolled: 1-line block ×5, first 2 shown]
	ds_read_b128 v[102:105], v93 offset:864
	s_clause 0x2
	buffer_load_dword v163, off, s[0:3], 0 offset:460
	buffer_load_dword v168, off, s[0:3], 0 offset:436
	buffer_load_dword v167, off, s[0:3], 0 offset:432
	s_mov_b32 s4, exec_lo
	s_waitcnt vmcnt(62) lgkmcnt(2)
	v_mul_f64 v[158:159], v[96:97], v[91:92]
	v_mul_f64 v[91:92], v[94:95], v[91:92]
	s_waitcnt lgkmcnt(1)
	v_mul_f64 v[165:166], v[100:101], v[87:88]
	s_waitcnt vmcnt(59) lgkmcnt(0)
	v_mul_f64 v[169:170], v[104:105], v[3:4]
	v_fma_f64 v[94:95], v[94:95], v[89:90], -v[158:159]
	v_mul_f64 v[158:159], v[98:99], v[87:88]
	v_fma_f64 v[91:92], v[96:97], v[89:90], v[91:92]
	s_waitcnt vmcnt(57)
	v_fma_f64 v[98:99], v[98:99], v[1:2], -v[165:166]
	ds_read_b128 v[87:90], v93 offset:880
	v_mul_f64 v[96:97], v[102:103], v[3:4]
	s_waitcnt vmcnt(51)
	v_fma_f64 v[102:103], v[102:103], v[112:113], -v[169:170]
	v_add_f64 v[94:95], v[94:95], 0
	v_fma_f64 v[100:101], v[100:101], v[1:2], v[158:159]
	v_add_f64 v[91:92], v[91:92], 0
	s_clause 0x4
	buffer_load_dword v159, off, s[0:3], 0 offset:476
	buffer_load_dword v171, off, s[0:3], 0 offset:488
	;; [unrolled: 1-line block ×5, first 2 shown]
	s_waitcnt lgkmcnt(0)
	v_mul_f64 v[174:175], v[87:88], v[106:107]
	v_mul_f64 v[106:107], v[89:90], v[106:107]
	ds_read_b128 v[1:4], v93 offset:896
	v_fma_f64 v[104:105], v[104:105], v[112:113], v[96:97]
	v_add_f64 v[98:99], v[94:95], v[98:99]
	v_add_f64 v[91:92], v[91:92], v[100:101]
	s_clause 0x2
	buffer_load_dword v172, off, s[0:3], 0 offset:492
	buffer_load_dword v101, off, s[0:3], 0 offset:468
	;; [unrolled: 1-line block ×3, first 2 shown]
	s_waitcnt vmcnt(58) lgkmcnt(0)
	v_mul_f64 v[112:113], v[1:2], v[108:109]
	v_mul_f64 v[108:109], v[3:4], v[108:109]
	s_waitcnt vmcnt(56)
	v_fma_f64 v[106:107], v[87:88], v[114:115], -v[106:107]
	ds_read_b128 v[94:97], v93 offset:912
	v_add_f64 v[98:99], v[98:99], v[102:103]
	v_fma_f64 v[102:103], v[89:90], v[114:115], v[174:175]
	v_add_f64 v[91:92], v[91:92], v[104:105]
	s_clause 0x4
	buffer_load_dword v105, off, s[0:3], 0 offset:508
	buffer_load_dword v114, off, s[0:3], 0 offset:520
	;; [unrolled: 1-line block ×5, first 2 shown]
	ds_read_b128 v[87:90], v93 offset:928
	s_waitcnt vmcnt(57) lgkmcnt(1)
	v_mul_f64 v[175:176], v[94:95], v[116:117]
	v_mul_f64 v[116:117], v[96:97], v[116:117]
	s_waitcnt vmcnt(56)
	v_fma_f64 v[108:109], v[1:2], v[110:111], -v[108:109]
	v_add_f64 v[98:99], v[98:99], v[106:107]
	v_fma_f64 v[106:107], v[3:4], v[110:111], v[112:113]
	v_add_f64 v[91:92], v[91:92], v[102:103]
	s_clause 0x2
	buffer_load_dword v115, off, s[0:3], 0 offset:524
	buffer_load_dword v103, off, s[0:3], 0 offset:500
	buffer_load_dword v102, off, s[0:3], 0 offset:496
	s_waitcnt vmcnt(58) lgkmcnt(0)
	v_mul_f64 v[112:113], v[89:90], v[118:119]
	ds_read_b128 v[1:4], v93 offset:944
	s_waitcnt vmcnt(56)
	v_fma_f64 v[116:117], v[94:95], v[122:123], -v[116:117]
	v_mul_f64 v[110:111], v[87:88], v[118:119]
	v_add_f64 v[98:99], v[98:99], v[108:109]
	v_fma_f64 v[108:109], v[96:97], v[122:123], v[175:176]
	v_add_f64 v[91:92], v[91:92], v[106:107]
	s_clause 0x4
	buffer_load_dword v107, off, s[0:3], 0 offset:540
	buffer_load_dword v118, off, s[0:3], 0 offset:552
	buffer_load_dword v122, off, s[0:3], 0 offset:544
	buffer_load_dword v106, off, s[0:3], 0 offset:536
	buffer_load_dword v170, off, s[0:3], 0 offset:516
	s_waitcnt vmcnt(57) lgkmcnt(0)
	v_mul_f64 v[175:176], v[1:2], v[124:125]
	v_mul_f64 v[123:124], v[3:4], v[124:125]
	s_waitcnt vmcnt(56)
	v_fma_f64 v[112:113], v[87:88], v[120:121], -v[112:113]
	ds_read_b128 v[94:97], v93 offset:960
	v_fma_f64 v[110:111], v[89:90], v[120:121], v[110:111]
	v_add_f64 v[98:99], v[98:99], v[116:117]
	v_add_f64 v[91:92], v[91:92], v[108:109]
	s_clause 0x2
	buffer_load_dword v119, off, s[0:3], 0 offset:556
	buffer_load_dword v109, off, s[0:3], 0 offset:532
	buffer_load_dword v108, off, s[0:3], 0 offset:528
	ds_read_b128 v[87:90], v93 offset:976
	s_waitcnt vmcnt(58) lgkmcnt(1)
	v_mul_f64 v[120:121], v[96:97], v[126:127]
	s_waitcnt vmcnt(56)
	v_fma_f64 v[124:125], v[1:2], v[130:131], -v[123:124]
	v_mul_f64 v[116:117], v[94:95], v[126:127]
	v_add_f64 v[98:99], v[98:99], v[112:113]
	v_fma_f64 v[112:113], v[3:4], v[130:131], v[175:176]
	v_add_f64 v[91:92], v[91:92], v[110:111]
	s_clause 0x4
	buffer_load_dword v111, off, s[0:3], 0 offset:572
	buffer_load_dword v126, off, s[0:3], 0 offset:584
	buffer_load_dword v130, off, s[0:3], 0 offset:576
	buffer_load_dword v110, off, s[0:3], 0 offset:568
	buffer_load_dword v123, off, s[0:3], 0 offset:548
	s_waitcnt vmcnt(57) lgkmcnt(0)
	v_mul_f64 v[175:176], v[87:88], v[132:133]
	v_mul_f64 v[131:132], v[89:90], v[132:133]
	s_waitcnt vmcnt(56)
	v_fma_f64 v[120:121], v[94:95], v[128:129], -v[120:121]
	ds_read_b128 v[1:4], v93 offset:992
	v_fma_f64 v[116:117], v[96:97], v[128:129], v[116:117]
	v_add_f64 v[98:99], v[98:99], v[124:125]
	v_add_f64 v[91:92], v[91:92], v[112:113]
	s_clause 0x2
	buffer_load_dword v127, off, s[0:3], 0 offset:588
	buffer_load_dword v113, off, s[0:3], 0 offset:564
	buffer_load_dword v112, off, s[0:3], 0 offset:560
	ds_read_b128 v[94:97], v93 offset:1008
	s_waitcnt vmcnt(58) lgkmcnt(1)
	v_mul_f64 v[128:129], v[3:4], v[134:135]
	;; [unrolled: 28-line block ×4, first 2 shown]
	s_waitcnt vmcnt(56)
	v_fma_f64 v[150:151], v[1:2], v[156:157], -v[149:150]
	v_mul_f64 v[140:141], v[94:95], v[152:153]
	v_add_f64 v[98:99], v[98:99], v[136:137]
	v_fma_f64 v[136:137], v[3:4], v[156:157], v[175:176]
	v_add_f64 v[91:92], v[91:92], v[132:133]
	s_clause 0x2
	buffer_load_dword v133, off, s[0:3], 0 offset:668
	buffer_load_dword v132, off, s[0:3], 0 offset:664
	;; [unrolled: 1-line block ×3, first 2 shown]
	s_waitcnt vmcnt(55) lgkmcnt(0)
	v_mul_f64 v[156:157], v[89:90], v[160:161]
	s_waitcnt vmcnt(54)
	v_fma_f64 v[146:147], v[94:95], v[154:155], -v[146:147]
	ds_read_b128 v[1:4], v93 offset:1088
	v_mul_f64 v[152:153], v[87:88], v[160:161]
	v_fma_f64 v[140:141], v[96:97], v[154:155], v[140:141]
	v_add_f64 v[98:99], v[98:99], v[150:151]
	v_add_f64 v[91:92], v[91:92], v[136:137]
	s_clause 0x1
	buffer_load_dword v137, off, s[0:3], 0 offset:660
	buffer_load_dword v136, off, s[0:3], 0 offset:656
	s_waitcnt vmcnt(55) lgkmcnt(0)
	v_mul_f64 v[154:155], v[3:4], v[162:163]
	s_waitcnt vmcnt(53)
	v_fma_f64 v[156:157], v[87:88], v[167:168], -v[156:157]
	ds_read_b128 v[94:97], v93 offset:1104
	v_mul_f64 v[150:151], v[1:2], v[162:163]
	v_add_f64 v[98:99], v[98:99], v[146:147]
	v_fma_f64 v[146:147], v[89:90], v[167:168], v[152:153]
	v_add_f64 v[91:92], v[91:92], v[140:141]
	ds_read_b128 v[87:90], v93 offset:1120
	s_waitcnt vmcnt(49) lgkmcnt(1)
	v_mul_f64 v[152:153], v[96:97], v[158:159]
	s_waitcnt vmcnt(48)
	v_fma_f64 v[154:155], v[1:2], v[164:165], -v[154:155]
	v_mul_f64 v[140:141], v[94:95], v[158:159]
	v_fma_f64 v[150:151], v[3:4], v[164:165], v[150:151]
	v_add_f64 v[98:99], v[98:99], v[156:157]
	v_add_f64 v[91:92], v[91:92], v[146:147]
	s_clause 0x3
	buffer_load_dword v146, off, s[0:3], 0 offset:176
	buffer_load_dword v147, off, s[0:3], 0 offset:180
	;; [unrolled: 1-line block ×4, first 2 shown]
	ds_read_b128 v[1:4], v93 offset:1136
	s_waitcnt vmcnt(51) lgkmcnt(1)
	v_mul_f64 v[160:161], v[89:90], v[171:172]
	v_mul_f64 v[158:159], v[87:88], v[171:172]
	s_waitcnt vmcnt(49)
	v_fma_f64 v[152:153], v[94:95], v[100:101], -v[152:153]
	v_fma_f64 v[100:101], v[96:97], v[100:101], v[140:141]
	ds_read_b128 v[94:97], v93 offset:1152
	v_add_f64 v[98:99], v[98:99], v[154:155]
	v_add_f64 v[91:92], v[91:92], v[150:151]
	s_waitcnt vmcnt(45) lgkmcnt(1)
	v_mul_f64 v[140:141], v[1:2], v[104:105]
	v_mul_f64 v[104:105], v[3:4], v[104:105]
	s_waitcnt vmcnt(44)
	v_fma_f64 v[150:151], v[87:88], v[173:174], -v[160:161]
	v_add_f64 v[98:99], v[98:99], v[152:153]
	v_fma_f64 v[152:153], v[89:90], v[173:174], v[158:159]
	v_add_f64 v[91:92], v[91:92], v[100:101]
	ds_read_b128 v[87:90], v93 offset:1168
	s_waitcnt vmcnt(43) lgkmcnt(1)
	v_mul_f64 v[100:101], v[94:95], v[114:115]
	v_mul_f64 v[114:115], v[96:97], v[114:115]
	s_waitcnt vmcnt(41)
	v_fma_f64 v[104:105], v[1:2], v[102:103], -v[104:105]
	v_fma_f64 v[102:103], v[3:4], v[102:103], v[140:141]
	ds_read_b128 v[1:4], v93 offset:1184
	v_add_f64 v[98:99], v[98:99], v[150:151]
	v_add_f64 v[91:92], v[91:92], v[152:153]
	s_waitcnt vmcnt(37) lgkmcnt(1)
	v_mul_f64 v[140:141], v[87:88], v[106:107]
	v_mul_f64 v[106:107], v[89:90], v[106:107]
	s_waitcnt vmcnt(36)
	v_fma_f64 v[114:115], v[94:95], v[169:170], -v[114:115]
	v_fma_f64 v[100:101], v[96:97], v[169:170], v[100:101]
	ds_read_b128 v[94:97], v93 offset:1200
	v_add_f64 v[98:99], v[98:99], v[104:105]
	v_add_f64 v[91:92], v[91:92], v[102:103]
	s_waitcnt vmcnt(35) lgkmcnt(1)
	v_mul_f64 v[104:105], v[3:4], v[118:119]
	v_mul_f64 v[102:103], v[1:2], v[118:119]
	s_waitcnt vmcnt(33)
	v_fma_f64 v[106:107], v[87:88], v[108:109], -v[106:107]
	v_fma_f64 v[108:109], v[89:90], v[108:109], v[140:141]
	ds_read_b128 v[87:90], v93 offset:1216
	v_add_f64 v[98:99], v[98:99], v[114:115]
	v_add_f64 v[91:92], v[91:92], v[100:101]
	s_waitcnt vmcnt(29) lgkmcnt(1)
	v_mul_f64 v[100:101], v[94:95], v[110:111]
	v_mul_f64 v[110:111], v[96:97], v[110:111]
	s_waitcnt vmcnt(28)
	v_fma_f64 v[104:105], v[1:2], v[122:123], -v[104:105]
	v_fma_f64 v[102:103], v[3:4], v[122:123], v[102:103]
	ds_read_b128 v[1:4], v93 offset:1232
	v_add_f64 v[98:99], v[98:99], v[106:107]
	v_add_f64 v[91:92], v[91:92], v[108:109]
	s_waitcnt vmcnt(27) lgkmcnt(1)
	v_mul_f64 v[108:109], v[89:90], v[126:127]
	v_mul_f64 v[106:107], v[87:88], v[126:127]
	s_waitcnt vmcnt(25)
	v_fma_f64 v[110:111], v[94:95], v[112:113], -v[110:111]
	v_fma_f64 v[100:101], v[96:97], v[112:113], v[100:101]
	ds_read_b128 v[94:97], v93 offset:1248
	v_add_f64 v[98:99], v[98:99], v[104:105]
	v_add_f64 v[91:92], v[91:92], v[102:103]
	s_waitcnt vmcnt(21) lgkmcnt(1)
	v_mul_f64 v[104:105], v[3:4], v[116:117]
	s_waitcnt vmcnt(20)
	v_fma_f64 v[108:109], v[87:88], v[130:131], -v[108:109]
	v_mul_f64 v[102:103], v[1:2], v[116:117]
	v_fma_f64 v[106:107], v[89:90], v[130:131], v[106:107]
	ds_read_b128 v[87:90], v93 offset:1264
	v_add_f64 v[98:99], v[98:99], v[110:111]
	v_add_f64 v[91:92], v[91:92], v[100:101]
	s_waitcnt vmcnt(19) lgkmcnt(1)
	v_mul_f64 v[110:111], v[96:97], v[134:135]
	v_mul_f64 v[100:101], v[94:95], v[134:135]
	s_waitcnt vmcnt(17)
	v_fma_f64 v[104:105], v[1:2], v[120:121], -v[104:105]
	v_fma_f64 v[102:103], v[3:4], v[120:121], v[102:103]
	ds_read_b128 v[1:4], v93 offset:1280
	v_add_f64 v[98:99], v[98:99], v[108:109]
	v_add_f64 v[91:92], v[91:92], v[106:107]
	s_waitcnt vmcnt(13) lgkmcnt(1)
	v_mul_f64 v[108:109], v[89:90], v[124:125]
	s_waitcnt vmcnt(12)
	v_fma_f64 v[110:111], v[94:95], v[138:139], -v[110:111]
	v_mul_f64 v[106:107], v[87:88], v[124:125]
	v_fma_f64 v[95:96], v[96:97], v[138:139], v[100:101]
	v_add_f64 v[98:99], v[98:99], v[104:105]
	v_add_f64 v[100:101], v[91:92], v[102:103]
	ds_read_b128 v[91:94], v93 offset:1296
	s_waitcnt vmcnt(11) lgkmcnt(1)
	v_mul_f64 v[104:105], v[3:4], v[144:145]
	v_mul_f64 v[102:103], v[1:2], v[144:145]
	s_waitcnt vmcnt(9)
	v_fma_f64 v[87:88], v[87:88], v[128:129], -v[108:109]
	v_fma_f64 v[89:90], v[89:90], v[128:129], v[106:107]
	v_add_f64 v[97:98], v[98:99], v[110:111]
	v_add_f64 v[95:96], v[100:101], v[95:96]
	s_waitcnt vmcnt(7) lgkmcnt(0)
	v_mul_f64 v[106:107], v[93:94], v[132:133]
	s_waitcnt vmcnt(6)
	v_fma_f64 v[1:2], v[1:2], v[148:149], -v[104:105]
	v_mul_f64 v[99:100], v[91:92], v[132:133]
	v_fma_f64 v[3:4], v[3:4], v[148:149], v[102:103]
	v_add_f64 v[87:88], v[97:98], v[87:88]
	v_add_f64 v[89:90], v[95:96], v[89:90]
	s_waitcnt vmcnt(4)
	v_fma_f64 v[91:92], v[91:92], v[136:137], -v[106:107]
	v_add_f64 v[1:2], v[87:88], v[1:2]
	v_fma_f64 v[87:88], v[93:94], v[136:137], v[99:100]
	v_add_f64 v[3:4], v[89:90], v[3:4]
	v_add_f64 v[1:2], v[1:2], v[91:92]
	;; [unrolled: 1-line block ×3, first 2 shown]
	s_waitcnt vmcnt(2)
	v_add_f64 v[1:2], v[146:147], -v[1:2]
	s_waitcnt vmcnt(0)
	v_add_f64 v[3:4], v[156:157], -v[3:4]
	buffer_store_dword v2, off, s[0:3], 0 offset:180
	buffer_store_dword v1, off, s[0:3], 0 offset:176
	;; [unrolled: 1-line block ×4, first 2 shown]
	v_cmpx_lt_u32_e32 9, v0
	s_cbranch_execz .LBB104_241
; %bb.240:
	v_mov_b32_e32 v4, s44
	v_mov_b32_e32 v87, 0
	s_clause 0x3
	buffer_load_dword v1, v4, s[0:3], 0 offen
	buffer_load_dword v2, v4, s[0:3], 0 offen offset:4
	buffer_load_dword v3, v4, s[0:3], 0 offen offset:8
	;; [unrolled: 1-line block ×3, first 2 shown]
	buffer_store_dword v87, off, s[0:3], 0 offset:160
	buffer_store_dword v87, off, s[0:3], 0 offset:164
	;; [unrolled: 1-line block ×4, first 2 shown]
	s_waitcnt vmcnt(0)
	ds_write_b128 v143, v[1:4]
.LBB104_241:
	s_or_b32 exec_lo, exec_lo, s4
	s_waitcnt lgkmcnt(0)
	s_waitcnt_vscnt null, 0x0
	s_barrier
	buffer_gl0_inv
	s_clause 0x37
	buffer_load_dword v91, off, s[0:3], 0 offset:184
	buffer_load_dword v92, off, s[0:3], 0 offset:188
	;; [unrolled: 1-line block ×56, first 2 shown]
	v_mov_b32_e32 v111, 0
	s_mov_b32 s4, exec_lo
	ds_read_b128 v[99:102], v111 offset:816
	s_clause 0x2
	buffer_load_dword v153, off, s[0:3], 0 offset:412
	buffer_load_dword v157, off, s[0:3], 0 offset:388
	;; [unrolled: 1-line block ×3, first 2 shown]
	ds_read_b128 v[103:106], v111 offset:832
	s_clause 0x4
	buffer_load_dword v161, off, s[0:3], 0 offset:428
	buffer_load_dword v162, off, s[0:3], 0 offset:440
	;; [unrolled: 1-line block ×5, first 2 shown]
	ds_read_b128 v[107:110], v111 offset:848
	s_clause 0x2
	buffer_load_dword v163, off, s[0:3], 0 offset:444
	buffer_load_dword v168, off, s[0:3], 0 offset:420
	;; [unrolled: 1-line block ×3, first 2 shown]
	s_waitcnt vmcnt(62) lgkmcnt(2)
	v_mul_f64 v[158:159], v[101:102], v[91:92]
	v_mul_f64 v[91:92], v[99:100], v[91:92]
	s_waitcnt lgkmcnt(1)
	v_mul_f64 v[165:166], v[105:106], v[87:88]
	s_waitcnt vmcnt(59) lgkmcnt(0)
	v_mul_f64 v[169:170], v[109:110], v[3:4]
	v_fma_f64 v[99:100], v[99:100], v[89:90], -v[158:159]
	v_mul_f64 v[158:159], v[103:104], v[87:88]
	v_fma_f64 v[91:92], v[101:102], v[89:90], v[91:92]
	s_waitcnt vmcnt(57)
	v_fma_f64 v[103:104], v[103:104], v[1:2], -v[165:166]
	ds_read_b128 v[87:90], v111 offset:864
	v_mul_f64 v[101:102], v[107:108], v[3:4]
	s_waitcnt vmcnt(51)
	v_fma_f64 v[107:108], v[107:108], v[114:115], -v[169:170]
	v_add_f64 v[99:100], v[99:100], 0
	v_fma_f64 v[105:106], v[105:106], v[1:2], v[158:159]
	v_add_f64 v[91:92], v[91:92], 0
	s_clause 0x4
	buffer_load_dword v159, off, s[0:3], 0 offset:460
	buffer_load_dword v171, off, s[0:3], 0 offset:472
	;; [unrolled: 1-line block ×5, first 2 shown]
	s_waitcnt lgkmcnt(0)
	v_mul_f64 v[174:175], v[87:88], v[95:96]
	v_mul_f64 v[95:96], v[89:90], v[95:96]
	ds_read_b128 v[1:4], v111 offset:880
	v_fma_f64 v[109:110], v[109:110], v[114:115], v[101:102]
	v_add_f64 v[103:104], v[99:100], v[103:104]
	v_add_f64 v[91:92], v[91:92], v[105:106]
	s_clause 0x2
	buffer_load_dword v172, off, s[0:3], 0 offset:476
	buffer_load_dword v106, off, s[0:3], 0 offset:452
	;; [unrolled: 1-line block ×3, first 2 shown]
	s_waitcnt vmcnt(58) lgkmcnt(0)
	v_mul_f64 v[114:115], v[1:2], v[112:113]
	v_mul_f64 v[112:113], v[3:4], v[112:113]
	s_waitcnt vmcnt(56)
	v_fma_f64 v[95:96], v[87:88], v[116:117], -v[95:96]
	ds_read_b128 v[99:102], v111 offset:896
	v_add_f64 v[103:104], v[103:104], v[107:108]
	v_fma_f64 v[107:108], v[89:90], v[116:117], v[174:175]
	v_add_f64 v[91:92], v[91:92], v[109:110]
	s_clause 0x4
	buffer_load_dword v110, off, s[0:3], 0 offset:492
	buffer_load_dword v116, off, s[0:3], 0 offset:504
	;; [unrolled: 1-line block ×5, first 2 shown]
	ds_read_b128 v[87:90], v111 offset:912
	s_waitcnt vmcnt(57) lgkmcnt(1)
	v_mul_f64 v[175:176], v[99:100], v[118:119]
	v_mul_f64 v[118:119], v[101:102], v[118:119]
	s_waitcnt vmcnt(56)
	v_fma_f64 v[112:113], v[1:2], v[93:94], -v[112:113]
	v_fma_f64 v[93:94], v[3:4], v[93:94], v[114:115]
	v_add_f64 v[95:96], v[103:104], v[95:96]
	s_clause 0x2
	buffer_load_dword v117, off, s[0:3], 0 offset:508
	buffer_load_dword v104, off, s[0:3], 0 offset:484
	;; [unrolled: 1-line block ×3, first 2 shown]
	v_add_f64 v[91:92], v[91:92], v[107:108]
	s_waitcnt vmcnt(58) lgkmcnt(0)
	v_mul_f64 v[114:115], v[89:90], v[120:121]
	ds_read_b128 v[1:4], v111 offset:928
	v_mul_f64 v[107:108], v[87:88], v[120:121]
	s_waitcnt vmcnt(56)
	v_fma_f64 v[99:100], v[99:100], v[122:123], -v[118:119]
	v_fma_f64 v[101:102], v[101:102], v[122:123], v[175:176]
	s_clause 0x4
	buffer_load_dword v119, off, s[0:3], 0 offset:524
	buffer_load_dword v120, off, s[0:3], 0 offset:536
	buffer_load_dword v122, off, s[0:3], 0 offset:528
	buffer_load_dword v118, off, s[0:3], 0 offset:520
	buffer_load_dword v170, off, s[0:3], 0 offset:500
	v_add_f64 v[95:96], v[95:96], v[112:113]
	v_add_f64 v[112:113], v[91:92], v[93:94]
	s_waitcnt vmcnt(57) lgkmcnt(0)
	v_mul_f64 v[175:176], v[1:2], v[124:125]
	v_mul_f64 v[123:124], v[3:4], v[124:125]
	s_waitcnt vmcnt(56)
	v_fma_f64 v[114:115], v[87:88], v[97:98], -v[114:115]
	ds_read_b128 v[91:94], v111 offset:944
	v_fma_f64 v[97:98], v[89:90], v[97:98], v[107:108]
	v_add_f64 v[95:96], v[95:96], v[99:100]
	v_add_f64 v[99:100], v[112:113], v[101:102]
	s_clause 0x2
	buffer_load_dword v121, off, s[0:3], 0 offset:540
	buffer_load_dword v102, off, s[0:3], 0 offset:516
	;; [unrolled: 1-line block ×3, first 2 shown]
	s_waitcnt vmcnt(58) lgkmcnt(0)
	v_mul_f64 v[112:113], v[93:94], v[126:127]
	s_waitcnt vmcnt(56)
	v_fma_f64 v[124:125], v[1:2], v[130:131], -v[123:124]
	ds_read_b128 v[87:90], v111 offset:960
	v_mul_f64 v[107:108], v[91:92], v[126:127]
	v_add_f64 v[95:96], v[95:96], v[114:115]
	v_fma_f64 v[114:115], v[3:4], v[130:131], v[175:176]
	v_add_f64 v[97:98], v[99:100], v[97:98]
	s_clause 0x4
	buffer_load_dword v100, off, s[0:3], 0 offset:556
	buffer_load_dword v126, off, s[0:3], 0 offset:568
	buffer_load_dword v130, off, s[0:3], 0 offset:560
	buffer_load_dword v99, off, s[0:3], 0 offset:552
	buffer_load_dword v123, off, s[0:3], 0 offset:532
	s_waitcnt vmcnt(57) lgkmcnt(0)
	v_mul_f64 v[175:176], v[87:88], v[132:133]
	v_mul_f64 v[131:132], v[89:90], v[132:133]
	s_waitcnt vmcnt(56)
	v_fma_f64 v[112:113], v[91:92], v[128:129], -v[112:113]
	ds_read_b128 v[1:4], v111 offset:976
	v_fma_f64 v[107:108], v[93:94], v[128:129], v[107:108]
	v_add_f64 v[95:96], v[95:96], v[124:125]
	v_add_f64 v[97:98], v[97:98], v[114:115]
	s_clause 0x2
	buffer_load_dword v127, off, s[0:3], 0 offset:572
	buffer_load_dword v115, off, s[0:3], 0 offset:548
	buffer_load_dword v114, off, s[0:3], 0 offset:544
	ds_read_b128 v[91:94], v111 offset:992
	s_waitcnt vmcnt(58) lgkmcnt(1)
	v_mul_f64 v[128:129], v[3:4], v[134:135]
	s_waitcnt vmcnt(56)
	v_fma_f64 v[132:133], v[87:88], v[138:139], -v[131:132]
	v_mul_f64 v[124:125], v[1:2], v[134:135]
	v_add_f64 v[95:96], v[95:96], v[112:113]
	v_fma_f64 v[112:113], v[89:90], v[138:139], v[175:176]
	v_add_f64 v[97:98], v[97:98], v[107:108]
	s_clause 0x4
	buffer_load_dword v108, off, s[0:3], 0 offset:588
	buffer_load_dword v134, off, s[0:3], 0 offset:600
	buffer_load_dword v138, off, s[0:3], 0 offset:592
	buffer_load_dword v107, off, s[0:3], 0 offset:584
	buffer_load_dword v131, off, s[0:3], 0 offset:564
	s_waitcnt vmcnt(57) lgkmcnt(0)
	v_mul_f64 v[175:176], v[91:92], v[140:141]
	v_mul_f64 v[139:140], v[93:94], v[140:141]
	s_waitcnt vmcnt(56)
	v_fma_f64 v[128:129], v[1:2], v[136:137], -v[128:129]
	ds_read_b128 v[87:90], v111 offset:1008
	v_fma_f64 v[124:125], v[3:4], v[136:137], v[124:125]
	v_add_f64 v[95:96], v[95:96], v[132:133]
	v_add_f64 v[97:98], v[97:98], v[112:113]
	s_clause 0x2
	buffer_load_dword v135, off, s[0:3], 0 offset:604
	buffer_load_dword v113, off, s[0:3], 0 offset:580
	buffer_load_dword v112, off, s[0:3], 0 offset:576
	ds_read_b128 v[1:4], v111 offset:1024
	s_waitcnt vmcnt(58) lgkmcnt(1)
	v_mul_f64 v[136:137], v[89:90], v[144:145]
	s_waitcnt vmcnt(56)
	v_fma_f64 v[140:141], v[91:92], v[148:149], -v[139:140]
	v_mul_f64 v[132:133], v[87:88], v[144:145]
	v_add_f64 v[95:96], v[95:96], v[128:129]
	v_fma_f64 v[128:129], v[93:94], v[148:149], v[175:176]
	v_add_f64 v[97:98], v[97:98], v[124:125]
	s_clause 0x4
	buffer_load_dword v125, off, s[0:3], 0 offset:620
	buffer_load_dword v144, off, s[0:3], 0 offset:632
	buffer_load_dword v148, off, s[0:3], 0 offset:624
	buffer_load_dword v124, off, s[0:3], 0 offset:616
	buffer_load_dword v139, off, s[0:3], 0 offset:596
	s_waitcnt vmcnt(57) lgkmcnt(0)
	v_mul_f64 v[175:176], v[1:2], v[150:151]
	v_mul_f64 v[149:150], v[3:4], v[150:151]
	s_waitcnt vmcnt(56)
	v_fma_f64 v[136:137], v[87:88], v[146:147], -v[136:137]
	ds_read_b128 v[91:94], v111 offset:1040
	v_fma_f64 v[132:133], v[89:90], v[146:147], v[132:133]
	v_add_f64 v[95:96], v[95:96], v[140:141]
	v_add_f64 v[97:98], v[97:98], v[128:129]
	s_clause 0x2
	buffer_load_dword v145, off, s[0:3], 0 offset:636
	buffer_load_dword v129, off, s[0:3], 0 offset:612
	buffer_load_dword v128, off, s[0:3], 0 offset:608
	ds_read_b128 v[87:90], v111 offset:1056
	s_waitcnt vmcnt(58) lgkmcnt(1)
	v_mul_f64 v[146:147], v[93:94], v[152:153]
	s_waitcnt vmcnt(56)
	v_fma_f64 v[150:151], v[1:2], v[156:157], -v[149:150]
	v_mul_f64 v[140:141], v[91:92], v[152:153]
	v_add_f64 v[95:96], v[95:96], v[136:137]
	v_fma_f64 v[136:137], v[3:4], v[156:157], v[175:176]
	v_add_f64 v[97:98], v[97:98], v[132:133]
	s_clause 0x4
	buffer_load_dword v133, off, s[0:3], 0 offset:652
	buffer_load_dword v152, off, s[0:3], 0 offset:664
	buffer_load_dword v156, off, s[0:3], 0 offset:656
	buffer_load_dword v132, off, s[0:3], 0 offset:648
	buffer_load_dword v149, off, s[0:3], 0 offset:628
	s_waitcnt vmcnt(57) lgkmcnt(0)
	v_mul_f64 v[175:176], v[87:88], v[160:161]
	v_mul_f64 v[160:161], v[89:90], v[160:161]
	s_waitcnt vmcnt(56)
	v_fma_f64 v[146:147], v[91:92], v[154:155], -v[146:147]
	ds_read_b128 v[1:4], v111 offset:1072
	v_fma_f64 v[140:141], v[93:94], v[154:155], v[140:141]
	v_add_f64 v[95:96], v[95:96], v[150:151]
	v_add_f64 v[97:98], v[97:98], v[136:137]
	s_clause 0x2
	buffer_load_dword v153, off, s[0:3], 0 offset:668
	buffer_load_dword v137, off, s[0:3], 0 offset:644
	buffer_load_dword v136, off, s[0:3], 0 offset:640
	ds_read_b128 v[91:94], v111 offset:1088
	s_waitcnt vmcnt(58) lgkmcnt(1)
	v_mul_f64 v[154:155], v[3:4], v[162:163]
	s_waitcnt vmcnt(56)
	v_fma_f64 v[160:161], v[87:88], v[167:168], -v[160:161]
	v_mul_f64 v[150:151], v[1:2], v[162:163]
	buffer_load_dword v157, off, s[0:3], 0 offset:660
	v_add_f64 v[95:96], v[95:96], v[146:147]
	v_fma_f64 v[146:147], v[89:90], v[167:168], v[175:176]
	v_add_f64 v[97:98], v[97:98], v[140:141]
	ds_read_b128 v[87:90], v111 offset:1104
	s_waitcnt vmcnt(53) lgkmcnt(1)
	v_mul_f64 v[140:141], v[91:92], v[158:159]
	v_mul_f64 v[158:159], v[93:94], v[158:159]
	s_waitcnt vmcnt(52)
	v_fma_f64 v[154:155], v[1:2], v[164:165], -v[154:155]
	v_fma_f64 v[150:151], v[3:4], v[164:165], v[150:151]
	ds_read_b128 v[1:4], v111 offset:1120
	v_add_f64 v[95:96], v[95:96], v[160:161]
	v_add_f64 v[97:98], v[97:98], v[146:147]
	s_waitcnt vmcnt(51) lgkmcnt(1)
	v_mul_f64 v[160:161], v[89:90], v[171:172]
	v_mul_f64 v[146:147], v[87:88], v[171:172]
	s_waitcnt vmcnt(49)
	v_fma_f64 v[158:159], v[91:92], v[105:106], -v[158:159]
	v_fma_f64 v[105:106], v[93:94], v[105:106], v[140:141]
	v_add_f64 v[95:96], v[95:96], v[154:155]
	v_add_f64 v[97:98], v[97:98], v[150:151]
	s_clause 0x3
	buffer_load_dword v140, off, s[0:3], 0 offset:160
	buffer_load_dword v141, off, s[0:3], 0 offset:164
	buffer_load_dword v150, off, s[0:3], 0 offset:168
	buffer_load_dword v151, off, s[0:3], 0 offset:172
	ds_read_b128 v[91:94], v111 offset:1136
	s_waitcnt vmcnt(49) lgkmcnt(1)
	v_mul_f64 v[154:155], v[1:2], v[109:110]
	v_mul_f64 v[109:110], v[3:4], v[109:110]
	s_waitcnt vmcnt(48)
	v_fma_f64 v[160:161], v[87:88], v[173:174], -v[160:161]
	v_fma_f64 v[146:147], v[89:90], v[173:174], v[146:147]
	ds_read_b128 v[87:90], v111 offset:1152
	v_add_f64 v[95:96], v[95:96], v[158:159]
	v_add_f64 v[97:98], v[97:98], v[105:106]
	s_waitcnt vmcnt(47) lgkmcnt(1)
	v_mul_f64 v[105:106], v[91:92], v[116:117]
	v_mul_f64 v[116:117], v[93:94], v[116:117]
	s_waitcnt vmcnt(45)
	v_fma_f64 v[109:110], v[1:2], v[103:104], -v[109:110]
	v_fma_f64 v[103:104], v[3:4], v[103:104], v[154:155]
	ds_read_b128 v[1:4], v111 offset:1168
	v_add_f64 v[95:96], v[95:96], v[160:161]
	v_add_f64 v[97:98], v[97:98], v[146:147]
	s_waitcnt vmcnt(41) lgkmcnt(1)
	v_mul_f64 v[146:147], v[87:88], v[118:119]
	v_mul_f64 v[118:119], v[89:90], v[118:119]
	s_waitcnt vmcnt(40)
	v_fma_f64 v[105:106], v[93:94], v[169:170], v[105:106]
	v_fma_f64 v[116:117], v[91:92], v[169:170], -v[116:117]
	ds_read_b128 v[91:94], v111 offset:1184
	v_add_f64 v[95:96], v[95:96], v[109:110]
	v_add_f64 v[97:98], v[97:98], v[103:104]
	s_waitcnt vmcnt(39) lgkmcnt(1)
	v_mul_f64 v[109:110], v[3:4], v[120:121]
	v_mul_f64 v[103:104], v[1:2], v[120:121]
	s_waitcnt vmcnt(37)
	v_fma_f64 v[118:119], v[87:88], v[101:102], -v[118:119]
	v_fma_f64 v[101:102], v[89:90], v[101:102], v[146:147]
	ds_read_b128 v[87:90], v111 offset:1200
	v_add_f64 v[95:96], v[95:96], v[116:117]
	v_add_f64 v[97:98], v[97:98], v[105:106]
	s_waitcnt vmcnt(33) lgkmcnt(1)
	v_mul_f64 v[105:106], v[91:92], v[99:100]
	v_mul_f64 v[99:100], v[93:94], v[99:100]
	s_waitcnt vmcnt(32)
	v_fma_f64 v[109:110], v[1:2], v[122:123], -v[109:110]
	v_fma_f64 v[103:104], v[3:4], v[122:123], v[103:104]
	;; [unrolled: 9-line block ×3, first 2 shown]
	ds_read_b128 v[91:94], v111 offset:1232
	v_add_f64 v[95:96], v[95:96], v[109:110]
	v_add_f64 v[97:98], v[97:98], v[103:104]
	s_waitcnt vmcnt(25) lgkmcnt(1)
	v_mul_f64 v[103:104], v[1:2], v[107:108]
	v_mul_f64 v[107:108], v[3:4], v[107:108]
	s_waitcnt vmcnt(24)
	v_fma_f64 v[109:110], v[87:88], v[130:131], -v[116:117]
	v_add_f64 v[95:96], v[95:96], v[99:100]
	v_fma_f64 v[99:100], v[89:90], v[130:131], v[101:102]
	v_add_f64 v[97:98], v[97:98], v[105:106]
	ds_read_b128 v[87:90], v111 offset:1248
	s_waitcnt vmcnt(23) lgkmcnt(1)
	v_mul_f64 v[105:106], v[93:94], v[134:135]
	v_mul_f64 v[101:102], v[91:92], v[134:135]
	s_waitcnt vmcnt(21)
	v_fma_f64 v[107:108], v[1:2], v[112:113], -v[107:108]
	v_fma_f64 v[103:104], v[3:4], v[112:113], v[103:104]
	ds_read_b128 v[1:4], v111 offset:1264
	v_add_f64 v[95:96], v[95:96], v[109:110]
	v_add_f64 v[97:98], v[97:98], v[99:100]
	s_waitcnt vmcnt(17) lgkmcnt(1)
	v_mul_f64 v[109:110], v[89:90], v[124:125]
	s_waitcnt vmcnt(16)
	v_fma_f64 v[105:106], v[91:92], v[138:139], -v[105:106]
	v_mul_f64 v[99:100], v[87:88], v[124:125]
	v_fma_f64 v[101:102], v[93:94], v[138:139], v[101:102]
	ds_read_b128 v[91:94], v111 offset:1280
	v_add_f64 v[95:96], v[95:96], v[107:108]
	v_add_f64 v[97:98], v[97:98], v[103:104]
	s_waitcnt vmcnt(15) lgkmcnt(1)
	v_mul_f64 v[107:108], v[3:4], v[144:145]
	v_mul_f64 v[103:104], v[1:2], v[144:145]
	s_waitcnt vmcnt(13)
	v_fma_f64 v[109:110], v[87:88], v[128:129], -v[109:110]
	v_fma_f64 v[99:100], v[89:90], v[128:129], v[99:100]
	ds_read_b128 v[87:90], v111 offset:1296
	v_add_f64 v[95:96], v[95:96], v[105:106]
	v_add_f64 v[97:98], v[97:98], v[101:102]
	s_waitcnt vmcnt(9) lgkmcnt(1)
	v_mul_f64 v[105:106], v[93:94], v[132:133]
	s_waitcnt vmcnt(8)
	v_fma_f64 v[1:2], v[1:2], v[148:149], -v[107:108]
	v_mul_f64 v[101:102], v[91:92], v[132:133]
	v_fma_f64 v[3:4], v[3:4], v[148:149], v[103:104]
	v_add_f64 v[95:96], v[95:96], v[109:110]
	v_add_f64 v[97:98], v[97:98], v[99:100]
	s_waitcnt vmcnt(7) lgkmcnt(0)
	v_mul_f64 v[103:104], v[89:90], v[152:153]
	v_mul_f64 v[99:100], v[87:88], v[152:153]
	s_waitcnt vmcnt(5)
	v_fma_f64 v[91:92], v[91:92], v[136:137], -v[105:106]
	v_fma_f64 v[93:94], v[93:94], v[136:137], v[101:102]
	v_add_f64 v[1:2], v[95:96], v[1:2]
	v_add_f64 v[3:4], v[97:98], v[3:4]
	s_waitcnt vmcnt(4)
	v_fma_f64 v[87:88], v[87:88], v[156:157], -v[103:104]
	v_fma_f64 v[89:90], v[89:90], v[156:157], v[99:100]
	v_add_f64 v[1:2], v[1:2], v[91:92]
	v_add_f64 v[3:4], v[3:4], v[93:94]
	v_add_f64 v[1:2], v[1:2], v[87:88]
	v_add_f64 v[3:4], v[3:4], v[89:90]
	s_waitcnt vmcnt(2)
	v_add_f64 v[1:2], v[140:141], -v[1:2]
	s_waitcnt vmcnt(0)
	v_add_f64 v[3:4], v[150:151], -v[3:4]
	buffer_store_dword v2, off, s[0:3], 0 offset:164
	buffer_store_dword v1, off, s[0:3], 0 offset:160
	;; [unrolled: 1-line block ×4, first 2 shown]
	v_cmpx_lt_u32_e32 8, v0
	s_cbranch_execz .LBB104_243
; %bb.242:
	v_mov_b32_e32 v4, s45
	s_clause 0x3
	buffer_load_dword v1, v4, s[0:3], 0 offen
	buffer_load_dword v2, v4, s[0:3], 0 offen offset:4
	buffer_load_dword v3, v4, s[0:3], 0 offen offset:8
	;; [unrolled: 1-line block ×3, first 2 shown]
	buffer_store_dword v111, off, s[0:3], 0 offset:144
	buffer_store_dword v111, off, s[0:3], 0 offset:148
	;; [unrolled: 1-line block ×4, first 2 shown]
	s_waitcnt vmcnt(0)
	ds_write_b128 v143, v[1:4]
.LBB104_243:
	s_or_b32 exec_lo, exec_lo, s4
	s_waitcnt lgkmcnt(0)
	s_waitcnt_vscnt null, 0x0
	s_barrier
	buffer_gl0_inv
	s_clause 0x37
	buffer_load_dword v91, off, s[0:3], 0 offset:168
	buffer_load_dword v92, off, s[0:3], 0 offset:172
	;; [unrolled: 1-line block ×56, first 2 shown]
	ds_read_b128 v[112:115], v111 offset:800
	s_clause 0x2
	buffer_load_dword v153, off, s[0:3], 0 offset:396
	buffer_load_dword v157, off, s[0:3], 0 offset:372
	buffer_load_dword v156, off, s[0:3], 0 offset:368
	ds_read_b128 v[116:119], v111 offset:816
	s_clause 0x4
	buffer_load_dword v161, off, s[0:3], 0 offset:412
	buffer_load_dword v162, off, s[0:3], 0 offset:424
	;; [unrolled: 1-line block ×5, first 2 shown]
	ds_read_b128 v[120:123], v111 offset:832
	s_clause 0x2
	buffer_load_dword v163, off, s[0:3], 0 offset:428
	buffer_load_dword v168, off, s[0:3], 0 offset:404
	;; [unrolled: 1-line block ×3, first 2 shown]
	s_mov_b32 s4, exec_lo
	s_waitcnt vmcnt(62) lgkmcnt(2)
	v_mul_f64 v[158:159], v[114:115], v[91:92]
	v_mul_f64 v[91:92], v[112:113], v[91:92]
	s_waitcnt lgkmcnt(1)
	v_mul_f64 v[165:166], v[118:119], v[87:88]
	s_waitcnt vmcnt(59) lgkmcnt(0)
	v_mul_f64 v[169:170], v[122:123], v[3:4]
	v_fma_f64 v[112:113], v[112:113], v[89:90], -v[158:159]
	v_mul_f64 v[158:159], v[116:117], v[87:88]
	v_fma_f64 v[91:92], v[114:115], v[89:90], v[91:92]
	s_waitcnt vmcnt(57)
	v_fma_f64 v[116:117], v[116:117], v[1:2], -v[165:166]
	ds_read_b128 v[87:90], v111 offset:848
	v_mul_f64 v[114:115], v[120:121], v[3:4]
	s_waitcnt vmcnt(51)
	v_fma_f64 v[120:121], v[120:121], v[107:108], -v[169:170]
	v_add_f64 v[112:113], v[112:113], 0
	v_fma_f64 v[118:119], v[118:119], v[1:2], v[158:159]
	v_add_f64 v[91:92], v[91:92], 0
	s_clause 0x4
	buffer_load_dword v159, off, s[0:3], 0 offset:444
	buffer_load_dword v171, off, s[0:3], 0 offset:456
	;; [unrolled: 1-line block ×5, first 2 shown]
	s_waitcnt lgkmcnt(0)
	v_mul_f64 v[174:175], v[87:88], v[95:96]
	v_mul_f64 v[95:96], v[89:90], v[95:96]
	ds_read_b128 v[1:4], v111 offset:864
	v_fma_f64 v[107:108], v[122:123], v[107:108], v[114:115]
	v_add_f64 v[116:117], v[112:113], v[116:117]
	v_add_f64 v[91:92], v[91:92], v[118:119]
	s_clause 0x2
	buffer_load_dword v172, off, s[0:3], 0 offset:460
	buffer_load_dword v119, off, s[0:3], 0 offset:436
	buffer_load_dword v118, off, s[0:3], 0 offset:432
	s_waitcnt vmcnt(58) lgkmcnt(0)
	v_mul_f64 v[122:123], v[1:2], v[99:100]
	v_mul_f64 v[99:100], v[3:4], v[99:100]
	s_waitcnt vmcnt(56)
	v_fma_f64 v[95:96], v[87:88], v[101:102], -v[95:96]
	ds_read_b128 v[112:115], v111 offset:880
	v_fma_f64 v[101:102], v[89:90], v[101:102], v[174:175]
	v_add_f64 v[116:117], v[116:117], v[120:121]
	v_add_f64 v[91:92], v[91:92], v[107:108]
	s_clause 0x4
	buffer_load_dword v108, off, s[0:3], 0 offset:476
	buffer_load_dword v120, off, s[0:3], 0 offset:488
	;; [unrolled: 1-line block ×5, first 2 shown]
	ds_read_b128 v[87:90], v111 offset:896
	s_waitcnt vmcnt(57) lgkmcnt(1)
	v_mul_f64 v[175:176], v[112:113], v[103:104]
	v_mul_f64 v[103:104], v[114:115], v[103:104]
	s_waitcnt vmcnt(56)
	v_fma_f64 v[99:100], v[1:2], v[93:94], -v[99:100]
	v_fma_f64 v[93:94], v[3:4], v[93:94], v[122:123]
	v_add_f64 v[95:96], v[116:117], v[95:96]
	v_add_f64 v[91:92], v[91:92], v[101:102]
	s_clause 0x2
	buffer_load_dword v121, off, s[0:3], 0 offset:492
	buffer_load_dword v102, off, s[0:3], 0 offset:468
	;; [unrolled: 1-line block ×3, first 2 shown]
	s_waitcnt vmcnt(58) lgkmcnt(0)
	v_mul_f64 v[116:117], v[87:88], v[109:110]
	v_mul_f64 v[109:110], v[89:90], v[109:110]
	s_waitcnt vmcnt(56)
	v_fma_f64 v[103:104], v[112:113], v[124:125], -v[103:104]
	ds_read_b128 v[1:4], v111 offset:912
	v_add_f64 v[95:96], v[95:96], v[99:100]
	v_fma_f64 v[99:100], v[114:115], v[124:125], v[175:176]
	v_add_f64 v[112:113], v[91:92], v[93:94]
	s_clause 0x4
	buffer_load_dword v115, off, s[0:3], 0 offset:508
	buffer_load_dword v122, off, s[0:3], 0 offset:520
	;; [unrolled: 1-line block ×5, first 2 shown]
	ds_read_b128 v[91:94], v111 offset:928
	s_waitcnt vmcnt(57) lgkmcnt(1)
	v_mul_f64 v[175:176], v[1:2], v[126:127]
	v_mul_f64 v[125:126], v[3:4], v[126:127]
	s_waitcnt vmcnt(56)
	v_fma_f64 v[109:110], v[87:88], v[97:98], -v[109:110]
	v_fma_f64 v[97:98], v[89:90], v[97:98], v[116:117]
	v_add_f64 v[95:96], v[95:96], v[103:104]
	s_clause 0x2
	buffer_load_dword v123, off, s[0:3], 0 offset:524
	buffer_load_dword v104, off, s[0:3], 0 offset:500
	;; [unrolled: 1-line block ×3, first 2 shown]
	v_add_f64 v[99:100], v[112:113], v[99:100]
	s_waitcnt vmcnt(58) lgkmcnt(0)
	v_mul_f64 v[116:117], v[93:94], v[128:129]
	ds_read_b128 v[87:90], v111 offset:944
	v_mul_f64 v[112:113], v[91:92], v[128:129]
	s_waitcnt vmcnt(56)
	v_fma_f64 v[126:127], v[1:2], v[130:131], -v[125:126]
	v_add_f64 v[95:96], v[95:96], v[109:110]
	v_fma_f64 v[109:110], v[3:4], v[130:131], v[175:176]
	v_add_f64 v[97:98], v[99:100], v[97:98]
	s_clause 0x4
	buffer_load_dword v100, off, s[0:3], 0 offset:540
	buffer_load_dword v128, off, s[0:3], 0 offset:552
	buffer_load_dword v130, off, s[0:3], 0 offset:544
	buffer_load_dword v99, off, s[0:3], 0 offset:536
	buffer_load_dword v125, off, s[0:3], 0 offset:516
	s_waitcnt vmcnt(57) lgkmcnt(0)
	v_mul_f64 v[175:176], v[87:88], v[132:133]
	v_mul_f64 v[131:132], v[89:90], v[132:133]
	s_waitcnt vmcnt(56)
	v_fma_f64 v[116:117], v[91:92], v[105:106], -v[116:117]
	ds_read_b128 v[1:4], v111 offset:960
	v_fma_f64 v[105:106], v[93:94], v[105:106], v[112:113]
	v_add_f64 v[95:96], v[95:96], v[126:127]
	v_add_f64 v[97:98], v[97:98], v[109:110]
	s_clause 0x2
	buffer_load_dword v129, off, s[0:3], 0 offset:556
	buffer_load_dword v110, off, s[0:3], 0 offset:532
	buffer_load_dword v109, off, s[0:3], 0 offset:528
	ds_read_b128 v[91:94], v111 offset:976
	s_waitcnt vmcnt(58) lgkmcnt(1)
	v_mul_f64 v[126:127], v[3:4], v[134:135]
	s_waitcnt vmcnt(56)
	v_fma_f64 v[132:133], v[87:88], v[138:139], -v[131:132]
	v_mul_f64 v[112:113], v[1:2], v[134:135]
	v_add_f64 v[95:96], v[95:96], v[116:117]
	v_fma_f64 v[116:117], v[89:90], v[138:139], v[175:176]
	v_add_f64 v[97:98], v[97:98], v[105:106]
	s_clause 0x4
	buffer_load_dword v106, off, s[0:3], 0 offset:572
	buffer_load_dword v134, off, s[0:3], 0 offset:584
	buffer_load_dword v138, off, s[0:3], 0 offset:576
	buffer_load_dword v105, off, s[0:3], 0 offset:568
	buffer_load_dword v131, off, s[0:3], 0 offset:548
	s_waitcnt vmcnt(57) lgkmcnt(0)
	v_mul_f64 v[175:176], v[91:92], v[140:141]
	v_mul_f64 v[139:140], v[93:94], v[140:141]
	s_waitcnt vmcnt(56)
	v_fma_f64 v[126:127], v[1:2], v[136:137], -v[126:127]
	ds_read_b128 v[87:90], v111 offset:992
	v_fma_f64 v[112:113], v[3:4], v[136:137], v[112:113]
	v_add_f64 v[95:96], v[95:96], v[132:133]
	v_add_f64 v[97:98], v[97:98], v[116:117]
	s_clause 0x2
	buffer_load_dword v135, off, s[0:3], 0 offset:588
	buffer_load_dword v117, off, s[0:3], 0 offset:564
	buffer_load_dword v116, off, s[0:3], 0 offset:560
	ds_read_b128 v[1:4], v111 offset:1008
	s_waitcnt vmcnt(58) lgkmcnt(1)
	v_mul_f64 v[136:137], v[89:90], v[144:145]
	s_waitcnt vmcnt(56)
	v_fma_f64 v[140:141], v[91:92], v[148:149], -v[139:140]
	v_mul_f64 v[132:133], v[87:88], v[144:145]
	;; [unrolled: 28-line block ×4, first 2 shown]
	v_add_f64 v[95:96], v[95:96], v[146:147]
	v_fma_f64 v[146:147], v[89:90], v[167:168], v[175:176]
	v_add_f64 v[97:98], v[97:98], v[140:141]
	s_clause 0x2
	buffer_load_dword v141, off, s[0:3], 0 offset:668
	buffer_load_dword v140, off, s[0:3], 0 offset:664
	;; [unrolled: 1-line block ×3, first 2 shown]
	ds_read_b128 v[87:90], v111 offset:1088
	s_waitcnt vmcnt(55) lgkmcnt(1)
	v_mul_f64 v[162:163], v[91:92], v[158:159]
	v_mul_f64 v[158:159], v[93:94], v[158:159]
	s_waitcnt vmcnt(54)
	v_fma_f64 v[154:155], v[1:2], v[164:165], -v[154:155]
	v_fma_f64 v[150:151], v[3:4], v[164:165], v[150:151]
	v_add_f64 v[95:96], v[95:96], v[160:161]
	v_add_f64 v[97:98], v[97:98], v[146:147]
	s_clause 0x1
	buffer_load_dword v147, off, s[0:3], 0 offset:660
	buffer_load_dword v146, off, s[0:3], 0 offset:656
	ds_read_b128 v[1:4], v111 offset:1104
	s_waitcnt vmcnt(55) lgkmcnt(1)
	v_mul_f64 v[164:165], v[89:90], v[171:172]
	v_mul_f64 v[160:161], v[87:88], v[171:172]
	s_waitcnt vmcnt(53)
	v_fma_f64 v[158:159], v[91:92], v[118:119], -v[158:159]
	v_fma_f64 v[118:119], v[93:94], v[118:119], v[162:163]
	ds_read_b128 v[91:94], v111 offset:1120
	v_add_f64 v[95:96], v[95:96], v[154:155]
	v_add_f64 v[97:98], v[97:98], v[150:151]
	s_waitcnt vmcnt(49) lgkmcnt(1)
	v_mul_f64 v[150:151], v[1:2], v[107:108]
	v_mul_f64 v[107:108], v[3:4], v[107:108]
	s_waitcnt vmcnt(48)
	v_fma_f64 v[154:155], v[87:88], v[173:174], -v[164:165]
	v_add_f64 v[95:96], v[95:96], v[158:159]
	v_fma_f64 v[158:159], v[89:90], v[173:174], v[160:161]
	v_add_f64 v[97:98], v[97:98], v[118:119]
	s_clause 0x3
	buffer_load_dword v118, off, s[0:3], 0 offset:144
	buffer_load_dword v119, off, s[0:3], 0 offset:148
	;; [unrolled: 1-line block ×4, first 2 shown]
	ds_read_b128 v[87:90], v111 offset:1136
	s_waitcnt vmcnt(51) lgkmcnt(1)
	v_mul_f64 v[162:163], v[91:92], v[120:121]
	v_mul_f64 v[120:121], v[93:94], v[120:121]
	s_waitcnt vmcnt(49)
	v_fma_f64 v[107:108], v[1:2], v[101:102], -v[107:108]
	v_fma_f64 v[101:102], v[3:4], v[101:102], v[150:151]
	ds_read_b128 v[1:4], v111 offset:1152
	v_add_f64 v[95:96], v[95:96], v[154:155]
	v_add_f64 v[97:98], v[97:98], v[158:159]
	s_waitcnt vmcnt(45) lgkmcnt(1)
	v_mul_f64 v[150:151], v[87:88], v[114:115]
	v_mul_f64 v[114:115], v[89:90], v[114:115]
	s_waitcnt vmcnt(44)
	v_fma_f64 v[120:121], v[91:92], v[169:170], -v[120:121]
	v_add_f64 v[95:96], v[95:96], v[107:108]
	v_fma_f64 v[107:108], v[93:94], v[169:170], v[162:163]
	v_add_f64 v[97:98], v[97:98], v[101:102]
	ds_read_b128 v[91:94], v111 offset:1168
	s_waitcnt vmcnt(43) lgkmcnt(1)
	v_mul_f64 v[101:102], v[1:2], v[122:123]
	v_mul_f64 v[122:123], v[3:4], v[122:123]
	s_waitcnt vmcnt(41)
	v_fma_f64 v[114:115], v[87:88], v[103:104], -v[114:115]
	v_fma_f64 v[103:104], v[89:90], v[103:104], v[150:151]
	ds_read_b128 v[87:90], v111 offset:1184
	v_add_f64 v[95:96], v[95:96], v[120:121]
	v_add_f64 v[97:98], v[97:98], v[107:108]
	s_waitcnt vmcnt(37) lgkmcnt(1)
	v_mul_f64 v[107:108], v[91:92], v[99:100]
	v_mul_f64 v[99:100], v[93:94], v[99:100]
	s_waitcnt vmcnt(36)
	v_fma_f64 v[120:121], v[1:2], v[124:125], -v[122:123]
	v_fma_f64 v[101:102], v[3:4], v[124:125], v[101:102]
	ds_read_b128 v[1:4], v111 offset:1200
	v_add_f64 v[95:96], v[95:96], v[114:115]
	v_add_f64 v[97:98], v[97:98], v[103:104]
	s_waitcnt vmcnt(35) lgkmcnt(1)
	v_mul_f64 v[114:115], v[89:90], v[128:129]
	v_mul_f64 v[103:104], v[87:88], v[128:129]
	s_waitcnt vmcnt(33)
	v_fma_f64 v[99:100], v[91:92], v[109:110], -v[99:100]
	v_fma_f64 v[107:108], v[93:94], v[109:110], v[107:108]
	ds_read_b128 v[91:94], v111 offset:1216
	v_add_f64 v[95:96], v[95:96], v[120:121]
	v_add_f64 v[97:98], v[97:98], v[101:102]
	s_waitcnt vmcnt(29) lgkmcnt(1)
	v_mul_f64 v[101:102], v[1:2], v[105:106]
	v_mul_f64 v[105:106], v[3:4], v[105:106]
	s_waitcnt vmcnt(28)
	v_fma_f64 v[109:110], v[87:88], v[130:131], -v[114:115]
	v_add_f64 v[95:96], v[95:96], v[99:100]
	v_fma_f64 v[99:100], v[89:90], v[130:131], v[103:104]
	v_add_f64 v[97:98], v[97:98], v[107:108]
	ds_read_b128 v[87:90], v111 offset:1232
	s_waitcnt vmcnt(27) lgkmcnt(1)
	v_mul_f64 v[107:108], v[93:94], v[134:135]
	v_mul_f64 v[103:104], v[91:92], v[134:135]
	s_waitcnt vmcnt(25)
	v_fma_f64 v[105:106], v[1:2], v[116:117], -v[105:106]
	v_fma_f64 v[101:102], v[3:4], v[116:117], v[101:102]
	ds_read_b128 v[1:4], v111 offset:1248
	v_add_f64 v[95:96], v[95:96], v[109:110]
	v_add_f64 v[97:98], v[97:98], v[99:100]
	s_waitcnt vmcnt(21) lgkmcnt(1)
	v_mul_f64 v[109:110], v[89:90], v[112:113]
	s_waitcnt vmcnt(20)
	v_fma_f64 v[107:108], v[91:92], v[138:139], -v[107:108]
	v_mul_f64 v[99:100], v[87:88], v[112:113]
	v_fma_f64 v[103:104], v[93:94], v[138:139], v[103:104]
	ds_read_b128 v[91:94], v111 offset:1264
	v_add_f64 v[95:96], v[95:96], v[105:106]
	v_add_f64 v[97:98], v[97:98], v[101:102]
	s_waitcnt vmcnt(19) lgkmcnt(1)
	v_mul_f64 v[105:106], v[3:4], v[144:145]
	v_mul_f64 v[101:102], v[1:2], v[144:145]
	s_waitcnt vmcnt(17)
	v_fma_f64 v[109:110], v[87:88], v[126:127], -v[109:110]
	v_fma_f64 v[99:100], v[89:90], v[126:127], v[99:100]
	ds_read_b128 v[87:90], v111 offset:1280
	v_add_f64 v[95:96], v[95:96], v[107:108]
	v_add_f64 v[97:98], v[97:98], v[103:104]
	s_waitcnt vmcnt(13) lgkmcnt(1)
	v_mul_f64 v[107:108], v[93:94], v[132:133]
	s_waitcnt vmcnt(12)
	v_fma_f64 v[105:106], v[1:2], v[148:149], -v[105:106]
	v_mul_f64 v[103:104], v[91:92], v[132:133]
	v_fma_f64 v[101:102], v[3:4], v[148:149], v[101:102]
	ds_read_b128 v[1:4], v111 offset:1296
	v_add_f64 v[95:96], v[95:96], v[109:110]
	v_add_f64 v[97:98], v[97:98], v[99:100]
	s_waitcnt vmcnt(11) lgkmcnt(1)
	v_mul_f64 v[109:110], v[89:90], v[152:153]
	v_mul_f64 v[99:100], v[87:88], v[152:153]
	s_waitcnt vmcnt(9)
	v_fma_f64 v[91:92], v[91:92], v[136:137], -v[107:108]
	v_fma_f64 v[93:94], v[93:94], v[136:137], v[103:104]
	v_add_f64 v[95:96], v[95:96], v[105:106]
	v_add_f64 v[97:98], v[97:98], v[101:102]
	s_waitcnt vmcnt(7) lgkmcnt(0)
	v_mul_f64 v[103:104], v[3:4], v[140:141]
	s_waitcnt vmcnt(6)
	v_fma_f64 v[87:88], v[87:88], v[156:157], -v[109:110]
	v_mul_f64 v[101:102], v[1:2], v[140:141]
	v_fma_f64 v[89:90], v[89:90], v[156:157], v[99:100]
	v_add_f64 v[91:92], v[95:96], v[91:92]
	v_add_f64 v[93:94], v[97:98], v[93:94]
	s_waitcnt vmcnt(4)
	v_fma_f64 v[1:2], v[1:2], v[146:147], -v[103:104]
	v_fma_f64 v[3:4], v[3:4], v[146:147], v[101:102]
	v_add_f64 v[87:88], v[91:92], v[87:88]
	v_add_f64 v[89:90], v[93:94], v[89:90]
	;; [unrolled: 1-line block ×4, first 2 shown]
	s_waitcnt vmcnt(2)
	v_add_f64 v[1:2], v[118:119], -v[1:2]
	s_waitcnt vmcnt(0)
	v_add_f64 v[3:4], v[160:161], -v[3:4]
	buffer_store_dword v2, off, s[0:3], 0 offset:148
	buffer_store_dword v1, off, s[0:3], 0 offset:144
	;; [unrolled: 1-line block ×4, first 2 shown]
	v_cmpx_lt_u32_e32 7, v0
	s_cbranch_execz .LBB104_245
; %bb.244:
	v_mov_b32_e32 v4, s46
	v_mov_b32_e32 v87, 0
	s_clause 0x3
	buffer_load_dword v1, v4, s[0:3], 0 offen
	buffer_load_dword v2, v4, s[0:3], 0 offen offset:4
	buffer_load_dword v3, v4, s[0:3], 0 offen offset:8
	;; [unrolled: 1-line block ×3, first 2 shown]
	buffer_store_dword v87, off, s[0:3], 0 offset:128
	buffer_store_dword v87, off, s[0:3], 0 offset:132
	;; [unrolled: 1-line block ×4, first 2 shown]
	s_waitcnt vmcnt(0)
	ds_write_b128 v143, v[1:4]
.LBB104_245:
	s_or_b32 exec_lo, exec_lo, s4
	s_waitcnt lgkmcnt(0)
	s_waitcnt_vscnt null, 0x0
	s_barrier
	buffer_gl0_inv
	s_clause 0x37
	buffer_load_dword v91, off, s[0:3], 0 offset:152
	buffer_load_dword v92, off, s[0:3], 0 offset:156
	;; [unrolled: 1-line block ×56, first 2 shown]
	v_mov_b32_e32 v133, 0
	s_mov_b32 s4, exec_lo
	ds_read_b128 v[121:124], v133 offset:784
	s_clause 0x2
	buffer_load_dword v153, off, s[0:3], 0 offset:380
	buffer_load_dword v157, off, s[0:3], 0 offset:356
	;; [unrolled: 1-line block ×3, first 2 shown]
	ds_read_b128 v[125:128], v133 offset:800
	s_clause 0x4
	buffer_load_dword v161, off, s[0:3], 0 offset:396
	buffer_load_dword v162, off, s[0:3], 0 offset:408
	;; [unrolled: 1-line block ×5, first 2 shown]
	ds_read_b128 v[129:132], v133 offset:816
	s_clause 0x2
	buffer_load_dword v163, off, s[0:3], 0 offset:412
	buffer_load_dword v168, off, s[0:3], 0 offset:388
	;; [unrolled: 1-line block ×3, first 2 shown]
	s_waitcnt vmcnt(62) lgkmcnt(2)
	v_mul_f64 v[158:159], v[123:124], v[91:92]
	v_mul_f64 v[91:92], v[121:122], v[91:92]
	s_waitcnt lgkmcnt(1)
	v_mul_f64 v[165:166], v[127:128], v[87:88]
	s_waitcnt vmcnt(59) lgkmcnt(0)
	v_mul_f64 v[169:170], v[131:132], v[3:4]
	v_fma_f64 v[121:122], v[121:122], v[89:90], -v[158:159]
	v_mul_f64 v[158:159], v[125:126], v[87:88]
	v_fma_f64 v[91:92], v[123:124], v[89:90], v[91:92]
	s_waitcnt vmcnt(57)
	v_fma_f64 v[125:126], v[125:126], v[1:2], -v[165:166]
	ds_read_b128 v[87:90], v133 offset:832
	v_mul_f64 v[123:124], v[129:130], v[3:4]
	s_waitcnt vmcnt(51)
	v_fma_f64 v[129:130], v[129:130], v[107:108], -v[169:170]
	v_add_f64 v[121:122], v[121:122], 0
	v_fma_f64 v[127:128], v[127:128], v[1:2], v[158:159]
	v_add_f64 v[91:92], v[91:92], 0
	s_clause 0x4
	buffer_load_dword v159, off, s[0:3], 0 offset:428
	buffer_load_dword v171, off, s[0:3], 0 offset:440
	buffer_load_dword v173, off, s[0:3], 0 offset:432
	buffer_load_dword v158, off, s[0:3], 0 offset:424
	buffer_load_dword v165, off, s[0:3], 0 offset:404
	s_waitcnt lgkmcnt(0)
	v_mul_f64 v[174:175], v[87:88], v[95:96]
	v_mul_f64 v[95:96], v[89:90], v[95:96]
	ds_read_b128 v[1:4], v133 offset:848
	v_fma_f64 v[107:108], v[131:132], v[107:108], v[123:124]
	v_add_f64 v[125:126], v[121:122], v[125:126]
	v_add_f64 v[91:92], v[91:92], v[127:128]
	s_clause 0x2
	buffer_load_dword v172, off, s[0:3], 0 offset:444
	buffer_load_dword v128, off, s[0:3], 0 offset:420
	;; [unrolled: 1-line block ×3, first 2 shown]
	s_waitcnt vmcnt(58) lgkmcnt(0)
	v_mul_f64 v[131:132], v[1:2], v[99:100]
	v_mul_f64 v[99:100], v[3:4], v[99:100]
	s_waitcnt vmcnt(56)
	v_fma_f64 v[95:96], v[87:88], v[101:102], -v[95:96]
	ds_read_b128 v[121:124], v133 offset:864
	v_fma_f64 v[101:102], v[89:90], v[101:102], v[174:175]
	v_add_f64 v[125:126], v[125:126], v[129:130]
	v_add_f64 v[91:92], v[91:92], v[107:108]
	s_clause 0x4
	buffer_load_dword v108, off, s[0:3], 0 offset:460
	buffer_load_dword v129, off, s[0:3], 0 offset:472
	;; [unrolled: 1-line block ×5, first 2 shown]
	ds_read_b128 v[87:90], v133 offset:880
	s_waitcnt vmcnt(57) lgkmcnt(1)
	v_mul_f64 v[175:176], v[121:122], v[103:104]
	v_mul_f64 v[103:104], v[123:124], v[103:104]
	s_waitcnt vmcnt(56)
	v_fma_f64 v[99:100], v[1:2], v[93:94], -v[99:100]
	v_fma_f64 v[93:94], v[3:4], v[93:94], v[131:132]
	v_add_f64 v[95:96], v[125:126], v[95:96]
	v_add_f64 v[91:92], v[91:92], v[101:102]
	s_clause 0x2
	buffer_load_dword v130, off, s[0:3], 0 offset:476
	buffer_load_dword v102, off, s[0:3], 0 offset:452
	buffer_load_dword v101, off, s[0:3], 0 offset:448
	s_waitcnt vmcnt(58) lgkmcnt(0)
	v_mul_f64 v[125:126], v[87:88], v[109:110]
	v_mul_f64 v[109:110], v[89:90], v[109:110]
	s_waitcnt vmcnt(56)
	v_fma_f64 v[103:104], v[121:122], v[111:112], -v[103:104]
	ds_read_b128 v[1:4], v133 offset:896
	v_add_f64 v[95:96], v[95:96], v[99:100]
	v_fma_f64 v[99:100], v[123:124], v[111:112], v[175:176]
	v_add_f64 v[111:112], v[91:92], v[93:94]
	s_clause 0x4
	buffer_load_dword v122, off, s[0:3], 0 offset:492
	buffer_load_dword v123, off, s[0:3], 0 offset:504
	;; [unrolled: 1-line block ×5, first 2 shown]
	ds_read_b128 v[91:94], v133 offset:912
	s_waitcnt vmcnt(57) lgkmcnt(1)
	v_mul_f64 v[175:176], v[1:2], v[113:114]
	v_mul_f64 v[113:114], v[3:4], v[113:114]
	s_waitcnt vmcnt(56)
	v_fma_f64 v[109:110], v[87:88], v[97:98], -v[109:110]
	v_fma_f64 v[97:98], v[89:90], v[97:98], v[125:126]
	v_add_f64 v[95:96], v[95:96], v[103:104]
	s_clause 0x2
	buffer_load_dword v124, off, s[0:3], 0 offset:508
	buffer_load_dword v104, off, s[0:3], 0 offset:484
	;; [unrolled: 1-line block ×3, first 2 shown]
	v_add_f64 v[99:100], v[111:112], v[99:100]
	s_waitcnt vmcnt(58) lgkmcnt(0)
	v_mul_f64 v[111:112], v[91:92], v[117:118]
	v_mul_f64 v[117:118], v[93:94], v[117:118]
	ds_read_b128 v[87:90], v133 offset:928
	s_waitcnt vmcnt(56)
	v_fma_f64 v[113:114], v[1:2], v[119:120], -v[113:114]
	v_add_f64 v[95:96], v[95:96], v[109:110]
	v_fma_f64 v[109:110], v[3:4], v[119:120], v[175:176]
	v_add_f64 v[97:98], v[99:100], v[97:98]
	s_clause 0x4
	buffer_load_dword v100, off, s[0:3], 0 offset:524
	buffer_load_dword v119, off, s[0:3], 0 offset:536
	;; [unrolled: 1-line block ×5, first 2 shown]
	s_waitcnt vmcnt(57) lgkmcnt(0)
	v_mul_f64 v[175:176], v[87:88], v[134:135]
	v_mul_f64 v[134:135], v[89:90], v[134:135]
	s_waitcnt vmcnt(56)
	v_fma_f64 v[117:118], v[91:92], v[105:106], -v[117:118]
	ds_read_b128 v[1:4], v133 offset:944
	v_fma_f64 v[105:106], v[93:94], v[105:106], v[111:112]
	v_add_f64 v[95:96], v[95:96], v[113:114]
	v_add_f64 v[97:98], v[97:98], v[109:110]
	s_clause 0x2
	buffer_load_dword v120, off, s[0:3], 0 offset:540
	buffer_load_dword v110, off, s[0:3], 0 offset:516
	;; [unrolled: 1-line block ×3, first 2 shown]
	ds_read_b128 v[91:94], v133 offset:960
	s_waitcnt vmcnt(58) lgkmcnt(1)
	v_mul_f64 v[113:114], v[3:4], v[136:137]
	s_waitcnt vmcnt(56)
	v_fma_f64 v[134:135], v[87:88], v[138:139], -v[134:135]
	v_mul_f64 v[111:112], v[1:2], v[136:137]
	v_add_f64 v[95:96], v[95:96], v[117:118]
	v_fma_f64 v[117:118], v[89:90], v[138:139], v[175:176]
	v_add_f64 v[97:98], v[97:98], v[105:106]
	s_clause 0x4
	buffer_load_dword v106, off, s[0:3], 0 offset:556
	buffer_load_dword v136, off, s[0:3], 0 offset:568
	;; [unrolled: 1-line block ×5, first 2 shown]
	s_waitcnt vmcnt(57) lgkmcnt(0)
	v_mul_f64 v[175:176], v[91:92], v[140:141]
	v_mul_f64 v[139:140], v[93:94], v[140:141]
	s_waitcnt vmcnt(56)
	v_fma_f64 v[113:114], v[1:2], v[115:116], -v[113:114]
	ds_read_b128 v[87:90], v133 offset:976
	v_fma_f64 v[111:112], v[3:4], v[115:116], v[111:112]
	s_clause 0x2
	buffer_load_dword v137, off, s[0:3], 0 offset:572
	buffer_load_dword v116, off, s[0:3], 0 offset:548
	;; [unrolled: 1-line block ×3, first 2 shown]
	ds_read_b128 v[1:4], v133 offset:992
	v_add_f64 v[95:96], v[95:96], v[134:135]
	v_add_f64 v[97:98], v[97:98], v[117:118]
	s_waitcnt vmcnt(58) lgkmcnt(1)
	v_mul_f64 v[134:135], v[89:90], v[144:145]
	s_waitcnt vmcnt(56)
	v_fma_f64 v[140:141], v[91:92], v[148:149], -v[139:140]
	v_mul_f64 v[117:118], v[87:88], v[144:145]
	v_add_f64 v[95:96], v[95:96], v[113:114]
	v_fma_f64 v[113:114], v[93:94], v[148:149], v[175:176]
	v_add_f64 v[97:98], v[97:98], v[111:112]
	s_clause 0x4
	buffer_load_dword v112, off, s[0:3], 0 offset:588
	buffer_load_dword v144, off, s[0:3], 0 offset:600
	;; [unrolled: 1-line block ×5, first 2 shown]
	s_waitcnt vmcnt(57) lgkmcnt(0)
	v_mul_f64 v[175:176], v[1:2], v[150:151]
	v_mul_f64 v[149:150], v[3:4], v[150:151]
	s_waitcnt vmcnt(56)
	v_fma_f64 v[134:135], v[87:88], v[146:147], -v[134:135]
	ds_read_b128 v[91:94], v133 offset:1008
	v_fma_f64 v[117:118], v[89:90], v[146:147], v[117:118]
	v_add_f64 v[95:96], v[95:96], v[140:141]
	v_add_f64 v[97:98], v[97:98], v[113:114]
	s_clause 0x2
	buffer_load_dword v145, off, s[0:3], 0 offset:604
	buffer_load_dword v114, off, s[0:3], 0 offset:580
	;; [unrolled: 1-line block ×3, first 2 shown]
	ds_read_b128 v[87:90], v133 offset:1024
	s_waitcnt vmcnt(58) lgkmcnt(1)
	v_mul_f64 v[146:147], v[93:94], v[152:153]
	s_waitcnt vmcnt(56)
	v_fma_f64 v[150:151], v[1:2], v[156:157], -v[149:150]
	v_mul_f64 v[140:141], v[91:92], v[152:153]
	v_add_f64 v[95:96], v[95:96], v[134:135]
	v_fma_f64 v[134:135], v[3:4], v[156:157], v[175:176]
	v_add_f64 v[97:98], v[97:98], v[117:118]
	s_clause 0x4
	buffer_load_dword v118, off, s[0:3], 0 offset:620
	buffer_load_dword v152, off, s[0:3], 0 offset:632
	;; [unrolled: 1-line block ×5, first 2 shown]
	s_waitcnt vmcnt(57) lgkmcnt(0)
	v_mul_f64 v[175:176], v[87:88], v[160:161]
	v_mul_f64 v[160:161], v[89:90], v[160:161]
	s_waitcnt vmcnt(56)
	v_fma_f64 v[146:147], v[91:92], v[154:155], -v[146:147]
	ds_read_b128 v[1:4], v133 offset:1040
	v_fma_f64 v[140:141], v[93:94], v[154:155], v[140:141]
	v_add_f64 v[95:96], v[95:96], v[150:151]
	v_add_f64 v[97:98], v[97:98], v[134:135]
	s_clause 0x2
	buffer_load_dword v153, off, s[0:3], 0 offset:636
	buffer_load_dword v135, off, s[0:3], 0 offset:612
	;; [unrolled: 1-line block ×3, first 2 shown]
	ds_read_b128 v[91:94], v133 offset:1056
	s_waitcnt vmcnt(58) lgkmcnt(1)
	v_mul_f64 v[154:155], v[3:4], v[162:163]
	s_waitcnt vmcnt(56)
	v_fma_f64 v[160:161], v[87:88], v[167:168], -v[160:161]
	v_mul_f64 v[150:151], v[1:2], v[162:163]
	v_add_f64 v[95:96], v[95:96], v[146:147]
	v_fma_f64 v[146:147], v[89:90], v[167:168], v[175:176]
	v_add_f64 v[97:98], v[97:98], v[140:141]
	s_clause 0x4
	buffer_load_dword v141, off, s[0:3], 0 offset:652
	buffer_load_dword v162, off, s[0:3], 0 offset:664
	;; [unrolled: 1-line block ×5, first 2 shown]
	ds_read_b128 v[87:90], v133 offset:1072
	s_waitcnt vmcnt(57) lgkmcnt(1)
	v_mul_f64 v[167:168], v[91:92], v[158:159]
	v_mul_f64 v[158:159], v[93:94], v[158:159]
	s_waitcnt vmcnt(56)
	v_fma_f64 v[154:155], v[1:2], v[164:165], -v[154:155]
	v_fma_f64 v[150:151], v[3:4], v[164:165], v[150:151]
	v_add_f64 v[95:96], v[95:96], v[160:161]
	v_add_f64 v[97:98], v[97:98], v[146:147]
	s_clause 0x2
	buffer_load_dword v163, off, s[0:3], 0 offset:668
	buffer_load_dword v147, off, s[0:3], 0 offset:644
	;; [unrolled: 1-line block ×3, first 2 shown]
	ds_read_b128 v[1:4], v133 offset:1088
	s_waitcnt vmcnt(58) lgkmcnt(1)
	v_mul_f64 v[164:165], v[89:90], v[171:172]
	v_mul_f64 v[160:161], v[87:88], v[171:172]
	s_waitcnt vmcnt(56)
	v_fma_f64 v[158:159], v[91:92], v[127:128], -v[158:159]
	v_fma_f64 v[127:128], v[93:94], v[127:128], v[167:168]
	buffer_load_dword v167, off, s[0:3], 0 offset:660
	ds_read_b128 v[91:94], v133 offset:1104
	v_add_f64 v[95:96], v[95:96], v[154:155]
	v_add_f64 v[97:98], v[97:98], v[150:151]
	s_waitcnt vmcnt(53) lgkmcnt(1)
	v_mul_f64 v[150:151], v[1:2], v[107:108]
	v_mul_f64 v[107:108], v[3:4], v[107:108]
	s_waitcnt vmcnt(52)
	v_fma_f64 v[154:155], v[87:88], v[173:174], -v[164:165]
	v_add_f64 v[95:96], v[95:96], v[158:159]
	v_fma_f64 v[158:159], v[89:90], v[173:174], v[160:161]
	v_add_f64 v[97:98], v[97:98], v[127:128]
	ds_read_b128 v[87:90], v133 offset:1120
	s_waitcnt vmcnt(51) lgkmcnt(1)
	v_mul_f64 v[127:128], v[91:92], v[129:130]
	v_mul_f64 v[129:130], v[93:94], v[129:130]
	s_waitcnt vmcnt(49)
	v_fma_f64 v[107:108], v[1:2], v[101:102], -v[107:108]
	v_fma_f64 v[101:102], v[3:4], v[101:102], v[150:151]
	v_add_f64 v[95:96], v[95:96], v[154:155]
	s_clause 0x3
	buffer_load_dword v150, off, s[0:3], 0 offset:128
	buffer_load_dword v151, off, s[0:3], 0 offset:132
	;; [unrolled: 1-line block ×4, first 2 shown]
	v_add_f64 v[97:98], v[97:98], v[158:159]
	ds_read_b128 v[1:4], v133 offset:1136
	s_waitcnt vmcnt(49) lgkmcnt(1)
	v_mul_f64 v[158:159], v[87:88], v[121:122]
	v_mul_f64 v[121:122], v[89:90], v[121:122]
	s_waitcnt vmcnt(48)
	v_fma_f64 v[129:130], v[91:92], v[169:170], -v[129:130]
	v_add_f64 v[95:96], v[95:96], v[107:108]
	v_fma_f64 v[107:108], v[93:94], v[169:170], v[127:128]
	v_add_f64 v[97:98], v[97:98], v[101:102]
	ds_read_b128 v[91:94], v133 offset:1152
	s_waitcnt vmcnt(47) lgkmcnt(1)
	v_mul_f64 v[101:102], v[1:2], v[123:124]
	v_mul_f64 v[123:124], v[3:4], v[123:124]
	s_waitcnt vmcnt(45)
	v_fma_f64 v[121:122], v[87:88], v[103:104], -v[121:122]
	v_fma_f64 v[103:104], v[89:90], v[103:104], v[158:159]
	ds_read_b128 v[87:90], v133 offset:1168
	v_add_f64 v[95:96], v[95:96], v[129:130]
	v_add_f64 v[97:98], v[97:98], v[107:108]
	s_waitcnt vmcnt(41) lgkmcnt(1)
	v_mul_f64 v[107:108], v[91:92], v[99:100]
	v_mul_f64 v[99:100], v[93:94], v[99:100]
	s_waitcnt vmcnt(40)
	v_fma_f64 v[123:124], v[1:2], v[131:132], -v[123:124]
	v_fma_f64 v[101:102], v[3:4], v[131:132], v[101:102]
	ds_read_b128 v[1:4], v133 offset:1184
	v_add_f64 v[95:96], v[95:96], v[121:122]
	v_add_f64 v[97:98], v[97:98], v[103:104]
	;; [unrolled: 9-line block ×3, first 2 shown]
	s_waitcnt vmcnt(33) lgkmcnt(1)
	v_mul_f64 v[101:102], v[1:2], v[105:106]
	v_mul_f64 v[105:106], v[3:4], v[105:106]
	s_waitcnt vmcnt(32)
	v_fma_f64 v[109:110], v[87:88], v[125:126], -v[119:120]
	v_add_f64 v[95:96], v[95:96], v[99:100]
	v_fma_f64 v[99:100], v[89:90], v[125:126], v[103:104]
	v_add_f64 v[97:98], v[97:98], v[107:108]
	ds_read_b128 v[87:90], v133 offset:1216
	s_waitcnt vmcnt(31) lgkmcnt(1)
	v_mul_f64 v[107:108], v[93:94], v[136:137]
	v_mul_f64 v[103:104], v[91:92], v[136:137]
	s_waitcnt vmcnt(29)
	v_fma_f64 v[101:102], v[3:4], v[115:116], v[101:102]
	v_fma_f64 v[105:106], v[1:2], v[115:116], -v[105:106]
	ds_read_b128 v[1:4], v133 offset:1232
	v_add_f64 v[95:96], v[95:96], v[109:110]
	v_add_f64 v[97:98], v[97:98], v[99:100]
	s_waitcnt vmcnt(25) lgkmcnt(1)
	v_mul_f64 v[109:110], v[89:90], v[111:112]
	s_waitcnt vmcnt(24)
	v_fma_f64 v[107:108], v[91:92], v[138:139], -v[107:108]
	v_mul_f64 v[99:100], v[87:88], v[111:112]
	v_fma_f64 v[103:104], v[93:94], v[138:139], v[103:104]
	ds_read_b128 v[91:94], v133 offset:1248
	v_add_f64 v[95:96], v[95:96], v[105:106]
	v_add_f64 v[97:98], v[97:98], v[101:102]
	s_waitcnt vmcnt(23) lgkmcnt(1)
	v_mul_f64 v[105:106], v[3:4], v[144:145]
	v_mul_f64 v[101:102], v[1:2], v[144:145]
	s_waitcnt vmcnt(21)
	v_fma_f64 v[109:110], v[87:88], v[113:114], -v[109:110]
	v_fma_f64 v[99:100], v[89:90], v[113:114], v[99:100]
	ds_read_b128 v[87:90], v133 offset:1264
	v_add_f64 v[95:96], v[95:96], v[107:108]
	v_add_f64 v[97:98], v[97:98], v[103:104]
	s_waitcnt vmcnt(17) lgkmcnt(1)
	v_mul_f64 v[107:108], v[93:94], v[117:118]
	s_waitcnt vmcnt(16)
	v_fma_f64 v[105:106], v[1:2], v[148:149], -v[105:106]
	v_mul_f64 v[103:104], v[91:92], v[117:118]
	v_fma_f64 v[101:102], v[3:4], v[148:149], v[101:102]
	ds_read_b128 v[1:4], v133 offset:1280
	v_add_f64 v[95:96], v[95:96], v[109:110]
	v_add_f64 v[97:98], v[97:98], v[99:100]
	s_waitcnt vmcnt(15) lgkmcnt(1)
	v_mul_f64 v[109:110], v[89:90], v[152:153]
	v_mul_f64 v[99:100], v[87:88], v[152:153]
	s_waitcnt vmcnt(13)
	v_fma_f64 v[107:108], v[91:92], v[134:135], -v[107:108]
	v_fma_f64 v[103:104], v[93:94], v[134:135], v[103:104]
	ds_read_b128 v[91:94], v133 offset:1296
	v_add_f64 v[95:96], v[95:96], v[105:106]
	v_add_f64 v[97:98], v[97:98], v[101:102]
	s_waitcnt vmcnt(9) lgkmcnt(1)
	v_mul_f64 v[105:106], v[3:4], v[140:141]
	s_waitcnt vmcnt(8)
	v_fma_f64 v[87:88], v[87:88], v[156:157], -v[109:110]
	v_mul_f64 v[101:102], v[1:2], v[140:141]
	v_fma_f64 v[89:90], v[89:90], v[156:157], v[99:100]
	v_add_f64 v[95:96], v[95:96], v[107:108]
	v_add_f64 v[97:98], v[97:98], v[103:104]
	s_waitcnt vmcnt(7) lgkmcnt(0)
	v_mul_f64 v[103:104], v[93:94], v[162:163]
	v_mul_f64 v[99:100], v[91:92], v[162:163]
	s_waitcnt vmcnt(5)
	v_fma_f64 v[1:2], v[1:2], v[146:147], -v[105:106]
	v_fma_f64 v[3:4], v[3:4], v[146:147], v[101:102]
	v_add_f64 v[87:88], v[95:96], v[87:88]
	v_add_f64 v[89:90], v[97:98], v[89:90]
	s_waitcnt vmcnt(4)
	v_fma_f64 v[91:92], v[91:92], v[166:167], -v[103:104]
	v_add_f64 v[1:2], v[87:88], v[1:2]
	v_fma_f64 v[87:88], v[93:94], v[166:167], v[99:100]
	v_add_f64 v[3:4], v[89:90], v[3:4]
	v_add_f64 v[1:2], v[1:2], v[91:92]
	;; [unrolled: 1-line block ×3, first 2 shown]
	s_waitcnt vmcnt(2)
	v_add_f64 v[1:2], v[150:151], -v[1:2]
	s_waitcnt vmcnt(0)
	v_add_f64 v[3:4], v[154:155], -v[3:4]
	buffer_store_dword v2, off, s[0:3], 0 offset:132
	buffer_store_dword v1, off, s[0:3], 0 offset:128
	;; [unrolled: 1-line block ×4, first 2 shown]
	v_cmpx_lt_u32_e32 6, v0
	s_cbranch_execz .LBB104_247
; %bb.246:
	v_mov_b32_e32 v4, s47
	s_clause 0x3
	buffer_load_dword v1, v4, s[0:3], 0 offen
	buffer_load_dword v2, v4, s[0:3], 0 offen offset:4
	buffer_load_dword v3, v4, s[0:3], 0 offen offset:8
	;; [unrolled: 1-line block ×3, first 2 shown]
	buffer_store_dword v133, off, s[0:3], 0 offset:112
	buffer_store_dword v133, off, s[0:3], 0 offset:116
	;; [unrolled: 1-line block ×4, first 2 shown]
	s_waitcnt vmcnt(0)
	ds_write_b128 v143, v[1:4]
.LBB104_247:
	s_or_b32 exec_lo, exec_lo, s4
	s_waitcnt lgkmcnt(0)
	s_waitcnt_vscnt null, 0x0
	s_barrier
	buffer_gl0_inv
	s_clause 0x37
	buffer_load_dword v91, off, s[0:3], 0 offset:136
	buffer_load_dword v92, off, s[0:3], 0 offset:140
	;; [unrolled: 1-line block ×56, first 2 shown]
	ds_read_b128 v[134:137], v133 offset:768
	s_clause 0x2
	buffer_load_dword v155, off, s[0:3], 0 offset:364
	buffer_load_dword v157, off, s[0:3], 0 offset:340
	buffer_load_dword v156, off, s[0:3], 0 offset:336
	ds_read_b128 v[138:141], v133 offset:784
	s_clause 0x4
	buffer_load_dword v161, off, s[0:3], 0 offset:380
	buffer_load_dword v162, off, s[0:3], 0 offset:392
	;; [unrolled: 1-line block ×5, first 2 shown]
	ds_read_b128 v[144:147], v133 offset:800
	s_clause 0x2
	buffer_load_dword v163, off, s[0:3], 0 offset:396
	buffer_load_dword v168, off, s[0:3], 0 offset:372
	buffer_load_dword v167, off, s[0:3], 0 offset:368
	s_mov_b32 s4, exec_lo
	s_waitcnt vmcnt(62) lgkmcnt(2)
	v_mul_f64 v[158:159], v[136:137], v[91:92]
	v_mul_f64 v[91:92], v[134:135], v[91:92]
	s_waitcnt lgkmcnt(1)
	v_mul_f64 v[165:166], v[140:141], v[87:88]
	s_waitcnt vmcnt(59) lgkmcnt(0)
	v_mul_f64 v[169:170], v[146:147], v[3:4]
	v_fma_f64 v[134:135], v[134:135], v[89:90], -v[158:159]
	v_mul_f64 v[158:159], v[138:139], v[87:88]
	v_fma_f64 v[91:92], v[136:137], v[89:90], v[91:92]
	s_waitcnt vmcnt(57)
	v_fma_f64 v[138:139], v[138:139], v[1:2], -v[165:166]
	ds_read_b128 v[87:90], v133 offset:816
	v_mul_f64 v[136:137], v[144:145], v[3:4]
	s_waitcnt vmcnt(51)
	v_fma_f64 v[144:145], v[144:145], v[107:108], -v[169:170]
	v_add_f64 v[134:135], v[134:135], 0
	v_fma_f64 v[140:141], v[140:141], v[1:2], v[158:159]
	v_add_f64 v[91:92], v[91:92], 0
	s_clause 0x4
	buffer_load_dword v159, off, s[0:3], 0 offset:412
	buffer_load_dword v171, off, s[0:3], 0 offset:424
	;; [unrolled: 1-line block ×5, first 2 shown]
	s_waitcnt lgkmcnt(0)
	v_mul_f64 v[174:175], v[87:88], v[95:96]
	v_mul_f64 v[95:96], v[89:90], v[95:96]
	ds_read_b128 v[1:4], v133 offset:832
	v_fma_f64 v[107:108], v[146:147], v[107:108], v[136:137]
	v_add_f64 v[138:139], v[134:135], v[138:139]
	v_add_f64 v[91:92], v[91:92], v[140:141]
	s_clause 0x2
	buffer_load_dword v172, off, s[0:3], 0 offset:428
	buffer_load_dword v141, off, s[0:3], 0 offset:404
	;; [unrolled: 1-line block ×3, first 2 shown]
	s_waitcnt vmcnt(58) lgkmcnt(0)
	v_mul_f64 v[146:147], v[1:2], v[99:100]
	v_mul_f64 v[99:100], v[3:4], v[99:100]
	s_waitcnt vmcnt(56)
	v_fma_f64 v[95:96], v[87:88], v[101:102], -v[95:96]
	ds_read_b128 v[134:137], v133 offset:848
	v_fma_f64 v[101:102], v[89:90], v[101:102], v[174:175]
	v_add_f64 v[138:139], v[138:139], v[144:145]
	v_add_f64 v[91:92], v[91:92], v[107:108]
	s_clause 0x4
	buffer_load_dword v108, off, s[0:3], 0 offset:444
	buffer_load_dword v144, off, s[0:3], 0 offset:456
	;; [unrolled: 1-line block ×5, first 2 shown]
	ds_read_b128 v[87:90], v133 offset:864
	s_waitcnt vmcnt(57) lgkmcnt(1)
	v_mul_f64 v[175:176], v[134:135], v[103:104]
	v_mul_f64 v[103:104], v[136:137], v[103:104]
	s_waitcnt vmcnt(56)
	v_fma_f64 v[99:100], v[1:2], v[93:94], -v[99:100]
	v_fma_f64 v[93:94], v[3:4], v[93:94], v[146:147]
	v_add_f64 v[95:96], v[138:139], v[95:96]
	v_add_f64 v[91:92], v[91:92], v[101:102]
	s_clause 0x2
	buffer_load_dword v145, off, s[0:3], 0 offset:460
	buffer_load_dword v102, off, s[0:3], 0 offset:436
	;; [unrolled: 1-line block ×3, first 2 shown]
	s_waitcnt vmcnt(58) lgkmcnt(0)
	v_mul_f64 v[138:139], v[87:88], v[109:110]
	v_mul_f64 v[109:110], v[89:90], v[109:110]
	s_waitcnt vmcnt(56)
	v_fma_f64 v[103:104], v[134:135], v[111:112], -v[103:104]
	ds_read_b128 v[1:4], v133 offset:880
	v_add_f64 v[95:96], v[95:96], v[99:100]
	v_fma_f64 v[99:100], v[136:137], v[111:112], v[175:176]
	v_add_f64 v[111:112], v[91:92], v[93:94]
	s_clause 0x4
	buffer_load_dword v135, off, s[0:3], 0 offset:476
	buffer_load_dword v136, off, s[0:3], 0 offset:488
	;; [unrolled: 1-line block ×5, first 2 shown]
	ds_read_b128 v[91:94], v133 offset:896
	s_waitcnt vmcnt(57) lgkmcnt(1)
	v_mul_f64 v[175:176], v[1:2], v[113:114]
	v_mul_f64 v[113:114], v[3:4], v[113:114]
	s_waitcnt vmcnt(56)
	v_fma_f64 v[109:110], v[87:88], v[97:98], -v[109:110]
	v_fma_f64 v[97:98], v[89:90], v[97:98], v[138:139]
	v_add_f64 v[95:96], v[95:96], v[103:104]
	s_clause 0x2
	buffer_load_dword v137, off, s[0:3], 0 offset:492
	buffer_load_dword v104, off, s[0:3], 0 offset:468
	;; [unrolled: 1-line block ×3, first 2 shown]
	v_add_f64 v[99:100], v[111:112], v[99:100]
	s_waitcnt vmcnt(58) lgkmcnt(0)
	v_mul_f64 v[111:112], v[91:92], v[117:118]
	v_mul_f64 v[117:118], v[93:94], v[117:118]
	ds_read_b128 v[87:90], v133 offset:912
	s_waitcnt vmcnt(56)
	v_fma_f64 v[113:114], v[1:2], v[119:120], -v[113:114]
	v_add_f64 v[95:96], v[95:96], v[109:110]
	v_fma_f64 v[109:110], v[3:4], v[119:120], v[175:176]
	v_add_f64 v[97:98], v[99:100], v[97:98]
	s_clause 0x4
	buffer_load_dword v100, off, s[0:3], 0 offset:508
	buffer_load_dword v119, off, s[0:3], 0 offset:520
	;; [unrolled: 1-line block ×5, first 2 shown]
	s_waitcnt vmcnt(57) lgkmcnt(0)
	v_mul_f64 v[175:176], v[87:88], v[121:122]
	v_mul_f64 v[121:122], v[89:90], v[121:122]
	s_waitcnt vmcnt(56)
	v_fma_f64 v[117:118], v[91:92], v[105:106], -v[117:118]
	ds_read_b128 v[1:4], v133 offset:928
	v_fma_f64 v[105:106], v[93:94], v[105:106], v[111:112]
	v_add_f64 v[95:96], v[95:96], v[113:114]
	v_add_f64 v[97:98], v[97:98], v[109:110]
	s_clause 0x2
	buffer_load_dword v120, off, s[0:3], 0 offset:524
	buffer_load_dword v110, off, s[0:3], 0 offset:500
	buffer_load_dword v109, off, s[0:3], 0 offset:496
	ds_read_b128 v[91:94], v133 offset:944
	s_waitcnt vmcnt(58) lgkmcnt(1)
	v_mul_f64 v[113:114], v[3:4], v[125:126]
	s_waitcnt vmcnt(56)
	v_fma_f64 v[121:122], v[87:88], v[127:128], -v[121:122]
	v_mul_f64 v[111:112], v[1:2], v[125:126]
	v_add_f64 v[95:96], v[95:96], v[117:118]
	v_fma_f64 v[117:118], v[89:90], v[127:128], v[175:176]
	v_add_f64 v[97:98], v[97:98], v[105:106]
	s_clause 0x4
	buffer_load_dword v106, off, s[0:3], 0 offset:540
	buffer_load_dword v125, off, s[0:3], 0 offset:552
	;; [unrolled: 1-line block ×5, first 2 shown]
	s_waitcnt vmcnt(57) lgkmcnt(0)
	v_mul_f64 v[175:176], v[91:92], v[129:130]
	v_mul_f64 v[128:129], v[93:94], v[129:130]
	s_waitcnt vmcnt(56)
	v_fma_f64 v[113:114], v[1:2], v[115:116], -v[113:114]
	ds_read_b128 v[87:90], v133 offset:960
	v_fma_f64 v[111:112], v[3:4], v[115:116], v[111:112]
	s_clause 0x2
	buffer_load_dword v126, off, s[0:3], 0 offset:556
	buffer_load_dword v116, off, s[0:3], 0 offset:532
	;; [unrolled: 1-line block ×3, first 2 shown]
	ds_read_b128 v[1:4], v133 offset:976
	v_add_f64 v[95:96], v[95:96], v[121:122]
	v_add_f64 v[97:98], v[97:98], v[117:118]
	s_waitcnt vmcnt(58) lgkmcnt(1)
	v_mul_f64 v[121:122], v[89:90], v[148:149]
	s_waitcnt vmcnt(56)
	v_fma_f64 v[129:130], v[91:92], v[150:151], -v[128:129]
	v_mul_f64 v[117:118], v[87:88], v[148:149]
	v_add_f64 v[95:96], v[95:96], v[113:114]
	v_fma_f64 v[113:114], v[93:94], v[150:151], v[175:176]
	v_add_f64 v[97:98], v[97:98], v[111:112]
	s_clause 0x4
	buffer_load_dword v112, off, s[0:3], 0 offset:572
	buffer_load_dword v148, off, s[0:3], 0 offset:584
	;; [unrolled: 1-line block ×5, first 2 shown]
	s_waitcnt vmcnt(57) lgkmcnt(0)
	v_mul_f64 v[175:176], v[1:2], v[152:153]
	v_mul_f64 v[151:152], v[3:4], v[152:153]
	s_waitcnt vmcnt(56)
	v_fma_f64 v[121:122], v[87:88], v[123:124], -v[121:122]
	ds_read_b128 v[91:94], v133 offset:992
	v_fma_f64 v[117:118], v[89:90], v[123:124], v[117:118]
	v_add_f64 v[95:96], v[95:96], v[129:130]
	v_add_f64 v[97:98], v[97:98], v[113:114]
	s_clause 0x2
	buffer_load_dword v149, off, s[0:3], 0 offset:588
	buffer_load_dword v114, off, s[0:3], 0 offset:564
	;; [unrolled: 1-line block ×3, first 2 shown]
	ds_read_b128 v[87:90], v133 offset:1008
	s_waitcnt vmcnt(58) lgkmcnt(1)
	v_mul_f64 v[129:130], v[93:94], v[154:155]
	s_waitcnt vmcnt(56)
	v_fma_f64 v[152:153], v[1:2], v[156:157], -v[151:152]
	v_mul_f64 v[123:124], v[91:92], v[154:155]
	v_add_f64 v[95:96], v[95:96], v[121:122]
	v_fma_f64 v[121:122], v[3:4], v[156:157], v[175:176]
	v_add_f64 v[97:98], v[97:98], v[117:118]
	s_clause 0x4
	buffer_load_dword v118, off, s[0:3], 0 offset:604
	buffer_load_dword v154, off, s[0:3], 0 offset:616
	;; [unrolled: 1-line block ×5, first 2 shown]
	s_waitcnt vmcnt(57) lgkmcnt(0)
	v_mul_f64 v[175:176], v[87:88], v[160:161]
	v_mul_f64 v[160:161], v[89:90], v[160:161]
	s_waitcnt vmcnt(56)
	v_fma_f64 v[129:130], v[91:92], v[131:132], -v[129:130]
	ds_read_b128 v[1:4], v133 offset:1024
	v_fma_f64 v[123:124], v[93:94], v[131:132], v[123:124]
	v_add_f64 v[95:96], v[95:96], v[152:153]
	v_add_f64 v[97:98], v[97:98], v[121:122]
	s_clause 0x2
	buffer_load_dword v155, off, s[0:3], 0 offset:620
	buffer_load_dword v122, off, s[0:3], 0 offset:596
	;; [unrolled: 1-line block ×3, first 2 shown]
	ds_read_b128 v[91:94], v133 offset:1040
	s_waitcnt vmcnt(58) lgkmcnt(1)
	v_mul_f64 v[152:153], v[3:4], v[162:163]
	s_waitcnt vmcnt(56)
	v_fma_f64 v[160:161], v[87:88], v[167:168], -v[160:161]
	v_mul_f64 v[131:132], v[1:2], v[162:163]
	v_add_f64 v[95:96], v[95:96], v[129:130]
	v_fma_f64 v[129:130], v[89:90], v[167:168], v[175:176]
	v_add_f64 v[97:98], v[97:98], v[123:124]
	s_clause 0x4
	buffer_load_dword v124, off, s[0:3], 0 offset:636
	buffer_load_dword v162, off, s[0:3], 0 offset:648
	;; [unrolled: 1-line block ×5, first 2 shown]
	ds_read_b128 v[87:90], v133 offset:1056
	s_waitcnt vmcnt(57) lgkmcnt(1)
	v_mul_f64 v[167:168], v[91:92], v[158:159]
	v_mul_f64 v[158:159], v[93:94], v[158:159]
	s_waitcnt vmcnt(56)
	v_fma_f64 v[152:153], v[1:2], v[164:165], -v[152:153]
	v_fma_f64 v[131:132], v[3:4], v[164:165], v[131:132]
	v_add_f64 v[95:96], v[95:96], v[160:161]
	v_add_f64 v[97:98], v[97:98], v[129:130]
	s_clause 0x2
	buffer_load_dword v163, off, s[0:3], 0 offset:652
	buffer_load_dword v130, off, s[0:3], 0 offset:628
	;; [unrolled: 1-line block ×3, first 2 shown]
	ds_read_b128 v[1:4], v133 offset:1072
	s_waitcnt vmcnt(58) lgkmcnt(1)
	v_mul_f64 v[164:165], v[89:90], v[171:172]
	v_mul_f64 v[160:161], v[87:88], v[171:172]
	s_waitcnt vmcnt(56)
	v_fma_f64 v[158:159], v[91:92], v[140:141], -v[158:159]
	v_fma_f64 v[140:141], v[93:94], v[140:141], v[167:168]
	v_add_f64 v[95:96], v[95:96], v[152:153]
	v_add_f64 v[97:98], v[97:98], v[131:132]
	s_clause 0x2
	buffer_load_dword v132, off, s[0:3], 0 offset:668
	buffer_load_dword v131, off, s[0:3], 0 offset:664
	;; [unrolled: 1-line block ×3, first 2 shown]
	ds_read_b128 v[91:94], v133 offset:1088
	s_waitcnt vmcnt(55) lgkmcnt(1)
	v_mul_f64 v[152:153], v[1:2], v[107:108]
	v_mul_f64 v[107:108], v[3:4], v[107:108]
	s_waitcnt vmcnt(54)
	v_fma_f64 v[164:165], v[87:88], v[173:174], -v[164:165]
	v_add_f64 v[95:96], v[95:96], v[158:159]
	v_fma_f64 v[158:159], v[89:90], v[173:174], v[160:161]
	v_add_f64 v[97:98], v[97:98], v[140:141]
	s_clause 0x1
	buffer_load_dword v141, off, s[0:3], 0 offset:660
	buffer_load_dword v140, off, s[0:3], 0 offset:656
	ds_read_b128 v[87:90], v133 offset:1104
	s_waitcnt vmcnt(55) lgkmcnt(1)
	v_mul_f64 v[160:161], v[91:92], v[144:145]
	v_mul_f64 v[144:145], v[93:94], v[144:145]
	s_waitcnt vmcnt(53)
	v_fma_f64 v[107:108], v[1:2], v[101:102], -v[107:108]
	v_fma_f64 v[101:102], v[3:4], v[101:102], v[152:153]
	ds_read_b128 v[1:4], v133 offset:1120
	v_add_f64 v[95:96], v[95:96], v[164:165]
	v_add_f64 v[97:98], v[97:98], v[158:159]
	s_waitcnt vmcnt(49) lgkmcnt(1)
	v_mul_f64 v[152:153], v[87:88], v[134:135]
	v_mul_f64 v[134:135], v[89:90], v[134:135]
	s_waitcnt vmcnt(48)
	v_fma_f64 v[144:145], v[91:92], v[169:170], -v[144:145]
	v_add_f64 v[95:96], v[95:96], v[107:108]
	v_fma_f64 v[107:108], v[93:94], v[169:170], v[160:161]
	v_add_f64 v[97:98], v[97:98], v[101:102]
	s_clause 0x3
	buffer_load_dword v101, off, s[0:3], 0 offset:112
	buffer_load_dword v102, off, s[0:3], 0 offset:116
	;; [unrolled: 1-line block ×4, first 2 shown]
	ds_read_b128 v[91:94], v133 offset:1136
	s_waitcnt vmcnt(51) lgkmcnt(1)
	v_mul_f64 v[160:161], v[1:2], v[136:137]
	v_mul_f64 v[136:137], v[3:4], v[136:137]
	s_waitcnt vmcnt(49)
	v_fma_f64 v[134:135], v[87:88], v[103:104], -v[134:135]
	v_fma_f64 v[103:104], v[89:90], v[103:104], v[152:153]
	ds_read_b128 v[87:90], v133 offset:1152
	v_add_f64 v[95:96], v[95:96], v[144:145]
	v_add_f64 v[97:98], v[97:98], v[107:108]
	s_waitcnt vmcnt(45) lgkmcnt(1)
	v_mul_f64 v[107:108], v[91:92], v[99:100]
	v_mul_f64 v[99:100], v[93:94], v[99:100]
	s_waitcnt vmcnt(44)
	v_fma_f64 v[136:137], v[1:2], v[146:147], -v[136:137]
	v_add_f64 v[95:96], v[95:96], v[134:135]
	v_fma_f64 v[134:135], v[3:4], v[146:147], v[160:161]
	v_add_f64 v[97:98], v[97:98], v[103:104]
	ds_read_b128 v[1:4], v133 offset:1168
	s_waitcnt vmcnt(43) lgkmcnt(1)
	v_mul_f64 v[103:104], v[87:88], v[119:120]
	v_mul_f64 v[119:120], v[89:90], v[119:120]
	s_waitcnt vmcnt(41)
	v_fma_f64 v[99:100], v[91:92], v[109:110], -v[99:100]
	v_fma_f64 v[107:108], v[93:94], v[109:110], v[107:108]
	ds_read_b128 v[91:94], v133 offset:1184
	v_add_f64 v[95:96], v[95:96], v[136:137]
	v_add_f64 v[97:98], v[97:98], v[134:135]
	s_waitcnt vmcnt(37) lgkmcnt(1)
	v_mul_f64 v[109:110], v[1:2], v[105:106]
	v_mul_f64 v[105:106], v[3:4], v[105:106]
	s_waitcnt vmcnt(36)
	v_fma_f64 v[119:120], v[87:88], v[138:139], -v[119:120]
	v_add_f64 v[95:96], v[95:96], v[99:100]
	v_fma_f64 v[99:100], v[89:90], v[138:139], v[103:104]
	v_add_f64 v[97:98], v[97:98], v[107:108]
	s_waitcnt vmcnt(35) lgkmcnt(0)
	v_mul_f64 v[107:108], v[93:94], v[125:126]
	ds_read_b128 v[87:90], v133 offset:1200
	v_mul_f64 v[103:104], v[91:92], v[125:126]
	s_waitcnt vmcnt(33)
	v_fma_f64 v[109:110], v[3:4], v[115:116], v[109:110]
	v_fma_f64 v[105:106], v[1:2], v[115:116], -v[105:106]
	ds_read_b128 v[1:4], v133 offset:1216
	v_add_f64 v[95:96], v[95:96], v[119:120]
	v_add_f64 v[97:98], v[97:98], v[99:100]
	s_waitcnt vmcnt(29) lgkmcnt(1)
	v_mul_f64 v[99:100], v[87:88], v[111:112]
	v_mul_f64 v[111:112], v[89:90], v[111:112]
	s_waitcnt vmcnt(28)
	v_fma_f64 v[107:108], v[91:92], v[127:128], -v[107:108]
	v_fma_f64 v[103:104], v[93:94], v[127:128], v[103:104]
	ds_read_b128 v[91:94], v133 offset:1232
	v_add_f64 v[95:96], v[95:96], v[105:106]
	v_add_f64 v[97:98], v[97:98], v[109:110]
	s_waitcnt vmcnt(27) lgkmcnt(1)
	v_mul_f64 v[109:110], v[3:4], v[148:149]
	v_mul_f64 v[105:106], v[1:2], v[148:149]
	s_waitcnt vmcnt(25)
	v_fma_f64 v[111:112], v[87:88], v[113:114], -v[111:112]
	v_fma_f64 v[99:100], v[89:90], v[113:114], v[99:100]
	ds_read_b128 v[87:90], v133 offset:1248
	v_add_f64 v[95:96], v[95:96], v[107:108]
	v_add_f64 v[97:98], v[97:98], v[103:104]
	s_waitcnt vmcnt(21) lgkmcnt(1)
	v_mul_f64 v[107:108], v[93:94], v[117:118]
	s_waitcnt vmcnt(20)
	v_fma_f64 v[109:110], v[1:2], v[150:151], -v[109:110]
	v_mul_f64 v[103:104], v[91:92], v[117:118]
	v_fma_f64 v[105:106], v[3:4], v[150:151], v[105:106]
	ds_read_b128 v[1:4], v133 offset:1264
	v_add_f64 v[95:96], v[95:96], v[111:112]
	v_add_f64 v[97:98], v[97:98], v[99:100]
	s_waitcnt vmcnt(19) lgkmcnt(1)
	v_mul_f64 v[111:112], v[89:90], v[154:155]
	v_mul_f64 v[99:100], v[87:88], v[154:155]
	s_waitcnt vmcnt(17)
	v_fma_f64 v[107:108], v[91:92], v[121:122], -v[107:108]
	v_fma_f64 v[103:104], v[93:94], v[121:122], v[103:104]
	ds_read_b128 v[91:94], v133 offset:1280
	v_add_f64 v[95:96], v[95:96], v[109:110]
	v_add_f64 v[97:98], v[97:98], v[105:106]
	s_waitcnt vmcnt(13) lgkmcnt(1)
	v_mul_f64 v[109:110], v[3:4], v[123:124]
	s_waitcnt vmcnt(12)
	v_fma_f64 v[111:112], v[87:88], v[156:157], -v[111:112]
	v_mul_f64 v[105:106], v[1:2], v[123:124]
	v_fma_f64 v[99:100], v[89:90], v[156:157], v[99:100]
	ds_read_b128 v[87:90], v133 offset:1296
	v_add_f64 v[95:96], v[95:96], v[107:108]
	v_add_f64 v[97:98], v[97:98], v[103:104]
	s_waitcnt vmcnt(11) lgkmcnt(1)
	v_mul_f64 v[107:108], v[93:94], v[162:163]
	v_mul_f64 v[103:104], v[91:92], v[162:163]
	s_waitcnt vmcnt(9)
	v_fma_f64 v[1:2], v[1:2], v[129:130], -v[109:110]
	v_fma_f64 v[3:4], v[3:4], v[129:130], v[105:106]
	v_add_f64 v[95:96], v[95:96], v[111:112]
	v_add_f64 v[97:98], v[97:98], v[99:100]
	s_waitcnt vmcnt(7) lgkmcnt(0)
	v_mul_f64 v[105:106], v[89:90], v[131:132]
	s_waitcnt vmcnt(6)
	v_fma_f64 v[91:92], v[91:92], v[166:167], -v[107:108]
	v_mul_f64 v[99:100], v[87:88], v[131:132]
	v_fma_f64 v[93:94], v[93:94], v[166:167], v[103:104]
	v_add_f64 v[1:2], v[95:96], v[1:2]
	v_add_f64 v[3:4], v[97:98], v[3:4]
	s_waitcnt vmcnt(4)
	v_fma_f64 v[87:88], v[87:88], v[140:141], -v[105:106]
	v_fma_f64 v[89:90], v[89:90], v[140:141], v[99:100]
	v_add_f64 v[1:2], v[1:2], v[91:92]
	v_add_f64 v[3:4], v[3:4], v[93:94]
	v_add_f64 v[1:2], v[1:2], v[87:88]
	v_add_f64 v[3:4], v[3:4], v[89:90]
	s_waitcnt vmcnt(2)
	v_add_f64 v[1:2], v[101:102], -v[1:2]
	s_waitcnt vmcnt(0)
	v_add_f64 v[3:4], v[158:159], -v[3:4]
	buffer_store_dword v2, off, s[0:3], 0 offset:116
	buffer_store_dword v1, off, s[0:3], 0 offset:112
	;; [unrolled: 1-line block ×4, first 2 shown]
	v_cmpx_lt_u32_e32 5, v0
	s_cbranch_execz .LBB104_249
; %bb.248:
	v_mov_b32_e32 v4, s48
	v_mov_b32_e32 v87, 0
	s_clause 0x3
	buffer_load_dword v1, v4, s[0:3], 0 offen
	buffer_load_dword v2, v4, s[0:3], 0 offen offset:4
	buffer_load_dword v3, v4, s[0:3], 0 offen offset:8
	;; [unrolled: 1-line block ×3, first 2 shown]
	buffer_store_dword v87, off, s[0:3], 0 offset:96
	buffer_store_dword v87, off, s[0:3], 0 offset:100
	;; [unrolled: 1-line block ×4, first 2 shown]
	s_waitcnt vmcnt(0)
	ds_write_b128 v143, v[1:4]
.LBB104_249:
	s_or_b32 exec_lo, exec_lo, s4
	s_waitcnt lgkmcnt(0)
	s_waitcnt_vscnt null, 0x0
	s_barrier
	buffer_gl0_inv
	s_clause 0x37
	buffer_load_dword v91, off, s[0:3], 0 offset:120
	buffer_load_dword v92, off, s[0:3], 0 offset:124
	;; [unrolled: 1-line block ×56, first 2 shown]
	v_mov_b32_e32 v144, 0
	s_mov_b32 s4, exec_lo
	ds_read_b128 v[145:148], v144 offset:752
	s_clause 0x2
	buffer_load_dword v140, off, s[0:3], 0 offset:348
	buffer_load_dword v142, off, s[0:3], 0 offset:324
	;; [unrolled: 1-line block ×3, first 2 shown]
	ds_read_b128 v[149:152], v144 offset:768
	s_clause 0x4
	buffer_load_dword v160, off, s[0:3], 0 offset:364
	buffer_load_dword v161, off, s[0:3], 0 offset:376
	;; [unrolled: 1-line block ×5, first 2 shown]
	ds_read_b128 v[153:156], v144 offset:784
	s_clause 0x2
	buffer_load_dword v162, off, s[0:3], 0 offset:380
	buffer_load_dword v167, off, s[0:3], 0 offset:356
	;; [unrolled: 1-line block ×3, first 2 shown]
	s_waitcnt vmcnt(62) lgkmcnt(2)
	v_mul_f64 v[157:158], v[147:148], v[91:92]
	v_mul_f64 v[91:92], v[145:146], v[91:92]
	s_waitcnt lgkmcnt(1)
	v_mul_f64 v[164:165], v[151:152], v[87:88]
	s_waitcnt vmcnt(59) lgkmcnt(0)
	v_mul_f64 v[168:169], v[155:156], v[3:4]
	v_fma_f64 v[145:146], v[145:146], v[89:90], -v[157:158]
	v_mul_f64 v[157:158], v[149:150], v[87:88]
	v_fma_f64 v[91:92], v[147:148], v[89:90], v[91:92]
	s_waitcnt vmcnt(57)
	v_fma_f64 v[149:150], v[149:150], v[1:2], -v[164:165]
	ds_read_b128 v[87:90], v144 offset:800
	v_mul_f64 v[147:148], v[153:154], v[3:4]
	s_waitcnt vmcnt(51)
	v_fma_f64 v[153:154], v[153:154], v[107:108], -v[168:169]
	v_add_f64 v[145:146], v[145:146], 0
	v_fma_f64 v[151:152], v[151:152], v[1:2], v[157:158]
	v_add_f64 v[91:92], v[91:92], 0
	s_clause 0x4
	buffer_load_dword v158, off, s[0:3], 0 offset:396
	buffer_load_dword v170, off, s[0:3], 0 offset:408
	;; [unrolled: 1-line block ×5, first 2 shown]
	s_waitcnt lgkmcnt(0)
	v_mul_f64 v[173:174], v[87:88], v[95:96]
	v_mul_f64 v[95:96], v[89:90], v[95:96]
	ds_read_b128 v[1:4], v144 offset:816
	v_fma_f64 v[107:108], v[155:156], v[107:108], v[147:148]
	v_add_f64 v[149:150], v[145:146], v[149:150]
	v_add_f64 v[91:92], v[91:92], v[151:152]
	s_clause 0x2
	buffer_load_dword v171, off, s[0:3], 0 offset:412
	buffer_load_dword v152, off, s[0:3], 0 offset:388
	;; [unrolled: 1-line block ×3, first 2 shown]
	s_waitcnt vmcnt(58) lgkmcnt(0)
	v_mul_f64 v[155:156], v[1:2], v[99:100]
	v_mul_f64 v[99:100], v[3:4], v[99:100]
	s_waitcnt vmcnt(56)
	v_fma_f64 v[95:96], v[87:88], v[101:102], -v[95:96]
	ds_read_b128 v[145:148], v144 offset:832
	v_fma_f64 v[101:102], v[89:90], v[101:102], v[173:174]
	v_add_f64 v[149:150], v[149:150], v[153:154]
	v_add_f64 v[91:92], v[91:92], v[107:108]
	s_clause 0x4
	buffer_load_dword v108, off, s[0:3], 0 offset:428
	buffer_load_dword v153, off, s[0:3], 0 offset:440
	;; [unrolled: 1-line block ×5, first 2 shown]
	ds_read_b128 v[87:90], v144 offset:848
	s_waitcnt vmcnt(57) lgkmcnt(1)
	v_mul_f64 v[174:175], v[145:146], v[103:104]
	v_mul_f64 v[103:104], v[147:148], v[103:104]
	s_waitcnt vmcnt(56)
	v_fma_f64 v[99:100], v[1:2], v[93:94], -v[99:100]
	v_fma_f64 v[93:94], v[3:4], v[93:94], v[155:156]
	v_add_f64 v[95:96], v[149:150], v[95:96]
	v_add_f64 v[91:92], v[91:92], v[101:102]
	s_clause 0x2
	buffer_load_dword v154, off, s[0:3], 0 offset:444
	buffer_load_dword v102, off, s[0:3], 0 offset:420
	;; [unrolled: 1-line block ×3, first 2 shown]
	s_waitcnt vmcnt(58) lgkmcnt(0)
	v_mul_f64 v[149:150], v[87:88], v[109:110]
	v_mul_f64 v[109:110], v[89:90], v[109:110]
	s_waitcnt vmcnt(56)
	v_fma_f64 v[103:104], v[145:146], v[111:112], -v[103:104]
	ds_read_b128 v[1:4], v144 offset:864
	v_add_f64 v[95:96], v[95:96], v[99:100]
	v_fma_f64 v[99:100], v[147:148], v[111:112], v[174:175]
	v_add_f64 v[111:112], v[91:92], v[93:94]
	s_clause 0x4
	buffer_load_dword v146, off, s[0:3], 0 offset:460
	buffer_load_dword v147, off, s[0:3], 0 offset:472
	;; [unrolled: 1-line block ×5, first 2 shown]
	ds_read_b128 v[91:94], v144 offset:880
	s_waitcnt vmcnt(57) lgkmcnt(1)
	v_mul_f64 v[174:175], v[1:2], v[113:114]
	v_mul_f64 v[113:114], v[3:4], v[113:114]
	s_waitcnt vmcnt(56)
	v_fma_f64 v[109:110], v[87:88], v[97:98], -v[109:110]
	v_fma_f64 v[97:98], v[89:90], v[97:98], v[149:150]
	v_add_f64 v[95:96], v[95:96], v[103:104]
	s_clause 0x2
	buffer_load_dword v148, off, s[0:3], 0 offset:476
	buffer_load_dword v104, off, s[0:3], 0 offset:452
	;; [unrolled: 1-line block ×3, first 2 shown]
	v_add_f64 v[99:100], v[111:112], v[99:100]
	s_waitcnt vmcnt(58) lgkmcnt(0)
	v_mul_f64 v[111:112], v[91:92], v[117:118]
	v_mul_f64 v[117:118], v[93:94], v[117:118]
	ds_read_b128 v[87:90], v144 offset:896
	s_waitcnt vmcnt(56)
	v_fma_f64 v[113:114], v[1:2], v[119:120], -v[113:114]
	v_add_f64 v[95:96], v[95:96], v[109:110]
	v_fma_f64 v[109:110], v[3:4], v[119:120], v[174:175]
	v_add_f64 v[97:98], v[99:100], v[97:98]
	s_clause 0x4
	buffer_load_dword v100, off, s[0:3], 0 offset:492
	buffer_load_dword v119, off, s[0:3], 0 offset:504
	;; [unrolled: 1-line block ×5, first 2 shown]
	s_waitcnt vmcnt(57) lgkmcnt(0)
	v_mul_f64 v[174:175], v[87:88], v[121:122]
	v_mul_f64 v[121:122], v[89:90], v[121:122]
	s_waitcnt vmcnt(56)
	v_fma_f64 v[117:118], v[91:92], v[105:106], -v[117:118]
	ds_read_b128 v[1:4], v144 offset:912
	v_fma_f64 v[105:106], v[93:94], v[105:106], v[111:112]
	v_add_f64 v[95:96], v[95:96], v[113:114]
	v_add_f64 v[97:98], v[97:98], v[109:110]
	s_clause 0x2
	buffer_load_dword v120, off, s[0:3], 0 offset:508
	buffer_load_dword v110, off, s[0:3], 0 offset:484
	;; [unrolled: 1-line block ×3, first 2 shown]
	ds_read_b128 v[91:94], v144 offset:928
	s_waitcnt vmcnt(58) lgkmcnt(1)
	v_mul_f64 v[113:114], v[3:4], v[125:126]
	s_waitcnt vmcnt(56)
	v_fma_f64 v[121:122], v[87:88], v[127:128], -v[121:122]
	v_mul_f64 v[111:112], v[1:2], v[125:126]
	v_add_f64 v[95:96], v[95:96], v[117:118]
	v_fma_f64 v[117:118], v[89:90], v[127:128], v[174:175]
	v_add_f64 v[97:98], v[97:98], v[105:106]
	s_clause 0x4
	buffer_load_dword v106, off, s[0:3], 0 offset:524
	buffer_load_dword v125, off, s[0:3], 0 offset:536
	;; [unrolled: 1-line block ×5, first 2 shown]
	s_waitcnt vmcnt(57) lgkmcnt(0)
	v_mul_f64 v[174:175], v[91:92], v[129:130]
	v_mul_f64 v[128:129], v[93:94], v[129:130]
	s_waitcnt vmcnt(56)
	v_fma_f64 v[113:114], v[1:2], v[115:116], -v[113:114]
	ds_read_b128 v[87:90], v144 offset:944
	v_fma_f64 v[111:112], v[3:4], v[115:116], v[111:112]
	s_clause 0x2
	buffer_load_dword v126, off, s[0:3], 0 offset:540
	buffer_load_dword v116, off, s[0:3], 0 offset:516
	;; [unrolled: 1-line block ×3, first 2 shown]
	ds_read_b128 v[1:4], v144 offset:960
	v_add_f64 v[95:96], v[95:96], v[121:122]
	v_add_f64 v[97:98], v[97:98], v[117:118]
	s_waitcnt vmcnt(58) lgkmcnt(1)
	v_mul_f64 v[121:122], v[89:90], v[133:134]
	s_waitcnt vmcnt(56)
	v_fma_f64 v[129:130], v[91:92], v[135:136], -v[128:129]
	v_mul_f64 v[117:118], v[87:88], v[133:134]
	v_add_f64 v[95:96], v[95:96], v[113:114]
	v_fma_f64 v[113:114], v[93:94], v[135:136], v[174:175]
	v_add_f64 v[97:98], v[97:98], v[111:112]
	s_clause 0x4
	buffer_load_dword v112, off, s[0:3], 0 offset:556
	buffer_load_dword v133, off, s[0:3], 0 offset:568
	;; [unrolled: 1-line block ×5, first 2 shown]
	s_waitcnt vmcnt(57) lgkmcnt(0)
	v_mul_f64 v[174:175], v[1:2], v[137:138]
	v_mul_f64 v[136:137], v[3:4], v[137:138]
	s_waitcnt vmcnt(56)
	v_fma_f64 v[121:122], v[87:88], v[123:124], -v[121:122]
	ds_read_b128 v[91:94], v144 offset:976
	v_fma_f64 v[117:118], v[89:90], v[123:124], v[117:118]
	v_add_f64 v[95:96], v[95:96], v[129:130]
	v_add_f64 v[97:98], v[97:98], v[113:114]
	s_clause 0x2
	buffer_load_dword v134, off, s[0:3], 0 offset:572
	buffer_load_dword v114, off, s[0:3], 0 offset:548
	;; [unrolled: 1-line block ×3, first 2 shown]
	ds_read_b128 v[87:90], v144 offset:992
	s_waitcnt vmcnt(58) lgkmcnt(1)
	v_mul_f64 v[129:130], v[93:94], v[139:140]
	s_waitcnt vmcnt(56)
	v_fma_f64 v[137:138], v[1:2], v[141:142], -v[136:137]
	v_mul_f64 v[123:124], v[91:92], v[139:140]
	v_add_f64 v[95:96], v[95:96], v[121:122]
	v_fma_f64 v[121:122], v[3:4], v[141:142], v[174:175]
	v_add_f64 v[97:98], v[97:98], v[117:118]
	s_clause 0x4
	buffer_load_dword v118, off, s[0:3], 0 offset:588
	buffer_load_dword v139, off, s[0:3], 0 offset:600
	buffer_load_dword v141, off, s[0:3], 0 offset:592
	buffer_load_dword v117, off, s[0:3], 0 offset:584
	buffer_load_dword v136, off, s[0:3], 0 offset:564
	s_waitcnt vmcnt(57) lgkmcnt(0)
	v_mul_f64 v[174:175], v[87:88], v[159:160]
	v_mul_f64 v[159:160], v[89:90], v[159:160]
	s_waitcnt vmcnt(56)
	v_fma_f64 v[129:130], v[91:92], v[131:132], -v[129:130]
	ds_read_b128 v[1:4], v144 offset:1008
	v_fma_f64 v[123:124], v[93:94], v[131:132], v[123:124]
	v_add_f64 v[95:96], v[95:96], v[137:138]
	v_add_f64 v[97:98], v[97:98], v[121:122]
	s_clause 0x2
	buffer_load_dword v140, off, s[0:3], 0 offset:604
	buffer_load_dword v122, off, s[0:3], 0 offset:580
	;; [unrolled: 1-line block ×3, first 2 shown]
	ds_read_b128 v[91:94], v144 offset:1024
	s_waitcnt vmcnt(58) lgkmcnt(1)
	v_mul_f64 v[137:138], v[3:4], v[161:162]
	s_waitcnt vmcnt(56)
	v_fma_f64 v[159:160], v[87:88], v[166:167], -v[159:160]
	v_mul_f64 v[131:132], v[1:2], v[161:162]
	v_add_f64 v[95:96], v[95:96], v[129:130]
	v_fma_f64 v[129:130], v[89:90], v[166:167], v[174:175]
	v_add_f64 v[97:98], v[97:98], v[123:124]
	s_clause 0x4
	buffer_load_dword v124, off, s[0:3], 0 offset:620
	buffer_load_dword v161, off, s[0:3], 0 offset:632
	;; [unrolled: 1-line block ×5, first 2 shown]
	ds_read_b128 v[87:90], v144 offset:1040
	s_waitcnt vmcnt(57) lgkmcnt(1)
	v_mul_f64 v[166:167], v[91:92], v[157:158]
	v_mul_f64 v[157:158], v[93:94], v[157:158]
	s_waitcnt vmcnt(56)
	v_fma_f64 v[137:138], v[1:2], v[163:164], -v[137:138]
	v_fma_f64 v[131:132], v[3:4], v[163:164], v[131:132]
	v_add_f64 v[95:96], v[95:96], v[159:160]
	v_add_f64 v[97:98], v[97:98], v[129:130]
	s_clause 0x2
	buffer_load_dword v162, off, s[0:3], 0 offset:636
	buffer_load_dword v130, off, s[0:3], 0 offset:612
	;; [unrolled: 1-line block ×3, first 2 shown]
	ds_read_b128 v[1:4], v144 offset:1056
	s_waitcnt vmcnt(58) lgkmcnt(1)
	v_mul_f64 v[163:164], v[89:90], v[170:171]
	v_mul_f64 v[159:160], v[87:88], v[170:171]
	s_waitcnt vmcnt(56)
	v_fma_f64 v[157:158], v[91:92], v[151:152], -v[157:158]
	v_add_f64 v[95:96], v[95:96], v[137:138]
	v_fma_f64 v[137:138], v[93:94], v[151:152], v[166:167]
	v_add_f64 v[97:98], v[97:98], v[131:132]
	s_clause 0x4
	buffer_load_dword v132, off, s[0:3], 0 offset:652
	buffer_load_dword v151, off, s[0:3], 0 offset:664
	;; [unrolled: 1-line block ×5, first 2 shown]
	ds_read_b128 v[91:94], v144 offset:1072
	s_waitcnt vmcnt(57) lgkmcnt(1)
	v_mul_f64 v[174:175], v[1:2], v[107:108]
	v_mul_f64 v[107:108], v[3:4], v[107:108]
	s_waitcnt vmcnt(56)
	v_fma_f64 v[163:164], v[87:88], v[172:173], -v[163:164]
	v_add_f64 v[95:96], v[95:96], v[157:158]
	v_fma_f64 v[157:158], v[89:90], v[172:173], v[159:160]
	v_add_f64 v[97:98], v[97:98], v[137:138]
	s_clause 0x2
	buffer_load_dword v152, off, s[0:3], 0 offset:668
	buffer_load_dword v138, off, s[0:3], 0 offset:644
	;; [unrolled: 1-line block ×3, first 2 shown]
	ds_read_b128 v[87:90], v144 offset:1088
	buffer_load_dword v171, off, s[0:3], 0 offset:660
	s_waitcnt vmcnt(59) lgkmcnt(1)
	v_mul_f64 v[159:160], v[91:92], v[153:154]
	v_mul_f64 v[153:154], v[93:94], v[153:154]
	s_waitcnt vmcnt(57)
	v_fma_f64 v[107:108], v[1:2], v[101:102], -v[107:108]
	v_fma_f64 v[101:102], v[3:4], v[101:102], v[174:175]
	ds_read_b128 v[1:4], v144 offset:1104
	v_add_f64 v[95:96], v[95:96], v[163:164]
	v_add_f64 v[97:98], v[97:98], v[157:158]
	s_waitcnt vmcnt(53) lgkmcnt(1)
	v_mul_f64 v[157:158], v[87:88], v[145:146]
	v_mul_f64 v[145:146], v[89:90], v[145:146]
	s_waitcnt vmcnt(52)
	v_fma_f64 v[153:154], v[91:92], v[168:169], -v[153:154]
	v_add_f64 v[95:96], v[95:96], v[107:108]
	v_fma_f64 v[107:108], v[93:94], v[168:169], v[159:160]
	v_add_f64 v[97:98], v[97:98], v[101:102]
	ds_read_b128 v[91:94], v144 offset:1120
	s_waitcnt vmcnt(51) lgkmcnt(1)
	v_mul_f64 v[101:102], v[1:2], v[147:148]
	v_mul_f64 v[147:148], v[3:4], v[147:148]
	s_waitcnt vmcnt(49)
	v_fma_f64 v[145:146], v[87:88], v[103:104], -v[145:146]
	v_fma_f64 v[103:104], v[89:90], v[103:104], v[157:158]
	v_add_f64 v[95:96], v[95:96], v[153:154]
	v_add_f64 v[97:98], v[97:98], v[107:108]
	s_clause 0x3
	buffer_load_dword v107, off, s[0:3], 0 offset:96
	buffer_load_dword v108, off, s[0:3], 0 offset:100
	;; [unrolled: 1-line block ×4, first 2 shown]
	ds_read_b128 v[87:90], v144 offset:1136
	s_waitcnt vmcnt(49) lgkmcnt(1)
	v_mul_f64 v[157:158], v[91:92], v[99:100]
	v_mul_f64 v[99:100], v[93:94], v[99:100]
	s_waitcnt vmcnt(48)
	v_fma_f64 v[147:148], v[1:2], v[155:156], -v[147:148]
	v_fma_f64 v[101:102], v[3:4], v[155:156], v[101:102]
	ds_read_b128 v[1:4], v144 offset:1152
	v_add_f64 v[95:96], v[95:96], v[145:146]
	v_add_f64 v[97:98], v[97:98], v[103:104]
	s_waitcnt vmcnt(47) lgkmcnt(1)
	v_mul_f64 v[103:104], v[87:88], v[119:120]
	v_mul_f64 v[119:120], v[89:90], v[119:120]
	s_waitcnt vmcnt(45)
	v_fma_f64 v[99:100], v[91:92], v[109:110], -v[99:100]
	v_fma_f64 v[109:110], v[93:94], v[109:110], v[157:158]
	ds_read_b128 v[91:94], v144 offset:1168
	v_add_f64 v[95:96], v[95:96], v[147:148]
	v_add_f64 v[97:98], v[97:98], v[101:102]
	s_waitcnt vmcnt(41) lgkmcnt(1)
	v_mul_f64 v[101:102], v[1:2], v[105:106]
	v_mul_f64 v[105:106], v[3:4], v[105:106]
	s_waitcnt vmcnt(40)
	v_fma_f64 v[119:120], v[87:88], v[149:150], -v[119:120]
	v_add_f64 v[95:96], v[95:96], v[99:100]
	v_fma_f64 v[99:100], v[89:90], v[149:150], v[103:104]
	v_add_f64 v[97:98], v[97:98], v[109:110]
	ds_read_b128 v[87:90], v144 offset:1184
	s_waitcnt vmcnt(39) lgkmcnt(1)
	v_mul_f64 v[109:110], v[93:94], v[125:126]
	v_mul_f64 v[103:104], v[91:92], v[125:126]
	s_waitcnt vmcnt(37)
	v_fma_f64 v[101:102], v[3:4], v[115:116], v[101:102]
	v_fma_f64 v[105:106], v[1:2], v[115:116], -v[105:106]
	ds_read_b128 v[1:4], v144 offset:1200
	v_add_f64 v[95:96], v[95:96], v[119:120]
	v_add_f64 v[97:98], v[97:98], v[99:100]
	s_waitcnt vmcnt(33) lgkmcnt(1)
	v_mul_f64 v[99:100], v[87:88], v[111:112]
	v_mul_f64 v[111:112], v[89:90], v[111:112]
	s_waitcnt vmcnt(32)
	v_fma_f64 v[109:110], v[91:92], v[127:128], -v[109:110]
	v_fma_f64 v[103:104], v[93:94], v[127:128], v[103:104]
	ds_read_b128 v[91:94], v144 offset:1216
	v_add_f64 v[95:96], v[95:96], v[105:106]
	v_add_f64 v[97:98], v[97:98], v[101:102]
	s_waitcnt vmcnt(31) lgkmcnt(1)
	v_mul_f64 v[105:106], v[3:4], v[133:134]
	v_mul_f64 v[101:102], v[1:2], v[133:134]
	s_waitcnt vmcnt(29)
	v_fma_f64 v[111:112], v[87:88], v[113:114], -v[111:112]
	v_fma_f64 v[99:100], v[89:90], v[113:114], v[99:100]
	ds_read_b128 v[87:90], v144 offset:1232
	v_add_f64 v[95:96], v[95:96], v[109:110]
	v_add_f64 v[97:98], v[97:98], v[103:104]
	s_waitcnt vmcnt(25) lgkmcnt(1)
	v_mul_f64 v[109:110], v[93:94], v[117:118]
	s_waitcnt vmcnt(24)
	v_fma_f64 v[105:106], v[1:2], v[135:136], -v[105:106]
	v_mul_f64 v[103:104], v[91:92], v[117:118]
	v_fma_f64 v[101:102], v[3:4], v[135:136], v[101:102]
	ds_read_b128 v[1:4], v144 offset:1248
	v_add_f64 v[95:96], v[95:96], v[111:112]
	v_add_f64 v[97:98], v[97:98], v[99:100]
	s_waitcnt vmcnt(23) lgkmcnt(1)
	v_mul_f64 v[111:112], v[89:90], v[139:140]
	v_mul_f64 v[99:100], v[87:88], v[139:140]
	s_waitcnt vmcnt(21)
	v_fma_f64 v[109:110], v[91:92], v[121:122], -v[109:110]
	v_fma_f64 v[103:104], v[93:94], v[121:122], v[103:104]
	ds_read_b128 v[91:94], v144 offset:1264
	v_add_f64 v[95:96], v[95:96], v[105:106]
	v_add_f64 v[97:98], v[97:98], v[101:102]
	s_waitcnt vmcnt(17) lgkmcnt(1)
	v_mul_f64 v[105:106], v[3:4], v[123:124]
	s_waitcnt vmcnt(16)
	v_fma_f64 v[111:112], v[87:88], v[141:142], -v[111:112]
	v_mul_f64 v[101:102], v[1:2], v[123:124]
	;; [unrolled: 18-line block ×3, first 2 shown]
	v_fma_f64 v[93:94], v[93:94], v[165:166], v[103:104]
	v_add_f64 v[95:96], v[95:96], v[105:106]
	v_add_f64 v[97:98], v[97:98], v[101:102]
	s_waitcnt vmcnt(7) lgkmcnt(0)
	v_mul_f64 v[103:104], v[3:4], v[151:152]
	v_mul_f64 v[101:102], v[1:2], v[151:152]
	s_waitcnt vmcnt(5)
	v_fma_f64 v[87:88], v[87:88], v[137:138], -v[111:112]
	v_fma_f64 v[89:90], v[89:90], v[137:138], v[99:100]
	v_add_f64 v[91:92], v[95:96], v[91:92]
	v_add_f64 v[93:94], v[97:98], v[93:94]
	s_waitcnt vmcnt(4)
	v_fma_f64 v[1:2], v[1:2], v[170:171], -v[103:104]
	v_fma_f64 v[3:4], v[3:4], v[170:171], v[101:102]
	v_add_f64 v[87:88], v[91:92], v[87:88]
	v_add_f64 v[89:90], v[93:94], v[89:90]
	;; [unrolled: 1-line block ×4, first 2 shown]
	s_waitcnt vmcnt(2)
	v_add_f64 v[1:2], v[107:108], -v[1:2]
	s_waitcnt vmcnt(0)
	v_add_f64 v[3:4], v[153:154], -v[3:4]
	buffer_store_dword v2, off, s[0:3], 0 offset:100
	buffer_store_dword v1, off, s[0:3], 0 offset:96
	;; [unrolled: 1-line block ×4, first 2 shown]
	v_cmpx_lt_u32_e32 4, v0
	s_cbranch_execz .LBB104_251
; %bb.250:
	v_mov_b32_e32 v4, s49
	s_clause 0x3
	buffer_load_dword v1, v4, s[0:3], 0 offen
	buffer_load_dword v2, v4, s[0:3], 0 offen offset:4
	buffer_load_dword v3, v4, s[0:3], 0 offen offset:8
	;; [unrolled: 1-line block ×3, first 2 shown]
	buffer_store_dword v144, off, s[0:3], 0 offset:80
	buffer_store_dword v144, off, s[0:3], 0 offset:84
	;; [unrolled: 1-line block ×4, first 2 shown]
	s_waitcnt vmcnt(0)
	ds_write_b128 v143, v[1:4]
.LBB104_251:
	s_or_b32 exec_lo, exec_lo, s4
	s_waitcnt lgkmcnt(0)
	s_waitcnt_vscnt null, 0x0
	s_barrier
	buffer_gl0_inv
	s_clause 0x37
	buffer_load_dword v91, off, s[0:3], 0 offset:104
	buffer_load_dword v92, off, s[0:3], 0 offset:108
	;; [unrolled: 1-line block ×56, first 2 shown]
	ds_read_b128 v[145:148], v144 offset:736
	s_clause 0x2
	buffer_load_dword v140, off, s[0:3], 0 offset:332
	buffer_load_dword v142, off, s[0:3], 0 offset:308
	;; [unrolled: 1-line block ×3, first 2 shown]
	ds_read_b128 v[149:152], v144 offset:752
	s_clause 0x4
	buffer_load_dword v160, off, s[0:3], 0 offset:348
	buffer_load_dword v161, off, s[0:3], 0 offset:360
	;; [unrolled: 1-line block ×5, first 2 shown]
	ds_read_b128 v[153:156], v144 offset:768
	s_clause 0x2
	buffer_load_dword v162, off, s[0:3], 0 offset:364
	buffer_load_dword v167, off, s[0:3], 0 offset:340
	buffer_load_dword v166, off, s[0:3], 0 offset:336
	s_mov_b32 s4, exec_lo
	s_waitcnt vmcnt(62) lgkmcnt(2)
	v_mul_f64 v[157:158], v[147:148], v[91:92]
	v_mul_f64 v[91:92], v[145:146], v[91:92]
	s_waitcnt lgkmcnt(1)
	v_mul_f64 v[164:165], v[151:152], v[87:88]
	s_waitcnt vmcnt(59) lgkmcnt(0)
	v_mul_f64 v[168:169], v[155:156], v[3:4]
	v_fma_f64 v[145:146], v[145:146], v[89:90], -v[157:158]
	v_mul_f64 v[157:158], v[149:150], v[87:88]
	v_fma_f64 v[91:92], v[147:148], v[89:90], v[91:92]
	s_waitcnt vmcnt(57)
	v_fma_f64 v[149:150], v[149:150], v[1:2], -v[164:165]
	ds_read_b128 v[87:90], v144 offset:784
	v_mul_f64 v[147:148], v[153:154], v[3:4]
	s_waitcnt vmcnt(51)
	v_fma_f64 v[153:154], v[153:154], v[107:108], -v[168:169]
	v_add_f64 v[145:146], v[145:146], 0
	v_fma_f64 v[151:152], v[151:152], v[1:2], v[157:158]
	v_add_f64 v[91:92], v[91:92], 0
	s_clause 0x4
	buffer_load_dword v158, off, s[0:3], 0 offset:380
	buffer_load_dword v170, off, s[0:3], 0 offset:392
	;; [unrolled: 1-line block ×5, first 2 shown]
	s_waitcnt lgkmcnt(0)
	v_mul_f64 v[173:174], v[87:88], v[95:96]
	v_mul_f64 v[95:96], v[89:90], v[95:96]
	ds_read_b128 v[1:4], v144 offset:800
	v_fma_f64 v[107:108], v[155:156], v[107:108], v[147:148]
	v_add_f64 v[149:150], v[145:146], v[149:150]
	v_add_f64 v[91:92], v[91:92], v[151:152]
	s_clause 0x2
	buffer_load_dword v171, off, s[0:3], 0 offset:396
	buffer_load_dword v152, off, s[0:3], 0 offset:372
	;; [unrolled: 1-line block ×3, first 2 shown]
	s_waitcnt vmcnt(58) lgkmcnt(0)
	v_mul_f64 v[155:156], v[1:2], v[99:100]
	v_mul_f64 v[99:100], v[3:4], v[99:100]
	s_waitcnt vmcnt(56)
	v_fma_f64 v[95:96], v[87:88], v[101:102], -v[95:96]
	ds_read_b128 v[145:148], v144 offset:816
	v_fma_f64 v[101:102], v[89:90], v[101:102], v[173:174]
	v_add_f64 v[149:150], v[149:150], v[153:154]
	v_add_f64 v[91:92], v[91:92], v[107:108]
	s_clause 0x4
	buffer_load_dword v108, off, s[0:3], 0 offset:412
	buffer_load_dword v153, off, s[0:3], 0 offset:424
	;; [unrolled: 1-line block ×5, first 2 shown]
	ds_read_b128 v[87:90], v144 offset:832
	s_waitcnt vmcnt(57) lgkmcnt(1)
	v_mul_f64 v[174:175], v[145:146], v[103:104]
	v_mul_f64 v[103:104], v[147:148], v[103:104]
	s_waitcnt vmcnt(56)
	v_fma_f64 v[99:100], v[1:2], v[93:94], -v[99:100]
	v_fma_f64 v[93:94], v[3:4], v[93:94], v[155:156]
	v_add_f64 v[95:96], v[149:150], v[95:96]
	v_add_f64 v[91:92], v[91:92], v[101:102]
	s_clause 0x2
	buffer_load_dword v154, off, s[0:3], 0 offset:428
	buffer_load_dword v102, off, s[0:3], 0 offset:404
	;; [unrolled: 1-line block ×3, first 2 shown]
	s_waitcnt vmcnt(58) lgkmcnt(0)
	v_mul_f64 v[149:150], v[87:88], v[109:110]
	v_mul_f64 v[109:110], v[89:90], v[109:110]
	s_waitcnt vmcnt(56)
	v_fma_f64 v[103:104], v[145:146], v[111:112], -v[103:104]
	ds_read_b128 v[1:4], v144 offset:848
	v_add_f64 v[95:96], v[95:96], v[99:100]
	v_fma_f64 v[99:100], v[147:148], v[111:112], v[174:175]
	v_add_f64 v[111:112], v[91:92], v[93:94]
	s_clause 0x4
	buffer_load_dword v146, off, s[0:3], 0 offset:444
	buffer_load_dword v147, off, s[0:3], 0 offset:456
	;; [unrolled: 1-line block ×5, first 2 shown]
	ds_read_b128 v[91:94], v144 offset:864
	s_waitcnt vmcnt(57) lgkmcnt(1)
	v_mul_f64 v[174:175], v[1:2], v[113:114]
	v_mul_f64 v[113:114], v[3:4], v[113:114]
	s_waitcnt vmcnt(56)
	v_fma_f64 v[109:110], v[87:88], v[97:98], -v[109:110]
	v_fma_f64 v[97:98], v[89:90], v[97:98], v[149:150]
	v_add_f64 v[95:96], v[95:96], v[103:104]
	s_clause 0x2
	buffer_load_dword v148, off, s[0:3], 0 offset:460
	buffer_load_dword v104, off, s[0:3], 0 offset:436
	;; [unrolled: 1-line block ×3, first 2 shown]
	v_add_f64 v[99:100], v[111:112], v[99:100]
	s_waitcnt vmcnt(58) lgkmcnt(0)
	v_mul_f64 v[111:112], v[91:92], v[117:118]
	v_mul_f64 v[117:118], v[93:94], v[117:118]
	ds_read_b128 v[87:90], v144 offset:880
	s_waitcnt vmcnt(56)
	v_fma_f64 v[113:114], v[1:2], v[119:120], -v[113:114]
	v_add_f64 v[95:96], v[95:96], v[109:110]
	v_fma_f64 v[109:110], v[3:4], v[119:120], v[174:175]
	v_add_f64 v[97:98], v[99:100], v[97:98]
	s_clause 0x4
	buffer_load_dword v100, off, s[0:3], 0 offset:476
	buffer_load_dword v119, off, s[0:3], 0 offset:488
	;; [unrolled: 1-line block ×5, first 2 shown]
	s_waitcnt vmcnt(57) lgkmcnt(0)
	v_mul_f64 v[174:175], v[87:88], v[121:122]
	v_mul_f64 v[121:122], v[89:90], v[121:122]
	s_waitcnt vmcnt(56)
	v_fma_f64 v[117:118], v[91:92], v[105:106], -v[117:118]
	ds_read_b128 v[1:4], v144 offset:896
	v_fma_f64 v[105:106], v[93:94], v[105:106], v[111:112]
	v_add_f64 v[95:96], v[95:96], v[113:114]
	v_add_f64 v[97:98], v[97:98], v[109:110]
	s_clause 0x2
	buffer_load_dword v120, off, s[0:3], 0 offset:492
	buffer_load_dword v110, off, s[0:3], 0 offset:468
	;; [unrolled: 1-line block ×3, first 2 shown]
	ds_read_b128 v[91:94], v144 offset:912
	s_waitcnt vmcnt(58) lgkmcnt(1)
	v_mul_f64 v[113:114], v[3:4], v[125:126]
	s_waitcnt vmcnt(56)
	v_fma_f64 v[121:122], v[87:88], v[127:128], -v[121:122]
	v_mul_f64 v[111:112], v[1:2], v[125:126]
	v_add_f64 v[95:96], v[95:96], v[117:118]
	v_fma_f64 v[117:118], v[89:90], v[127:128], v[174:175]
	v_add_f64 v[97:98], v[97:98], v[105:106]
	s_clause 0x4
	buffer_load_dword v106, off, s[0:3], 0 offset:508
	buffer_load_dword v125, off, s[0:3], 0 offset:520
	buffer_load_dword v127, off, s[0:3], 0 offset:512
	buffer_load_dword v105, off, s[0:3], 0 offset:504
	buffer_load_dword v150, off, s[0:3], 0 offset:484
	s_waitcnt vmcnt(57) lgkmcnt(0)
	v_mul_f64 v[174:175], v[91:92], v[129:130]
	v_mul_f64 v[128:129], v[93:94], v[129:130]
	s_waitcnt vmcnt(56)
	v_fma_f64 v[113:114], v[1:2], v[115:116], -v[113:114]
	ds_read_b128 v[87:90], v144 offset:928
	v_fma_f64 v[111:112], v[3:4], v[115:116], v[111:112]
	s_clause 0x2
	buffer_load_dword v126, off, s[0:3], 0 offset:524
	buffer_load_dword v116, off, s[0:3], 0 offset:500
	;; [unrolled: 1-line block ×3, first 2 shown]
	ds_read_b128 v[1:4], v144 offset:944
	v_add_f64 v[95:96], v[95:96], v[121:122]
	v_add_f64 v[97:98], v[97:98], v[117:118]
	s_waitcnt vmcnt(58) lgkmcnt(1)
	v_mul_f64 v[121:122], v[89:90], v[133:134]
	s_waitcnt vmcnt(56)
	v_fma_f64 v[129:130], v[91:92], v[135:136], -v[128:129]
	v_mul_f64 v[117:118], v[87:88], v[133:134]
	v_add_f64 v[95:96], v[95:96], v[113:114]
	v_fma_f64 v[113:114], v[93:94], v[135:136], v[174:175]
	v_add_f64 v[97:98], v[97:98], v[111:112]
	s_clause 0x4
	buffer_load_dword v112, off, s[0:3], 0 offset:540
	buffer_load_dword v133, off, s[0:3], 0 offset:552
	;; [unrolled: 1-line block ×5, first 2 shown]
	s_waitcnt vmcnt(57) lgkmcnt(0)
	v_mul_f64 v[174:175], v[1:2], v[137:138]
	v_mul_f64 v[136:137], v[3:4], v[137:138]
	s_waitcnt vmcnt(56)
	v_fma_f64 v[121:122], v[87:88], v[123:124], -v[121:122]
	ds_read_b128 v[91:94], v144 offset:960
	v_fma_f64 v[117:118], v[89:90], v[123:124], v[117:118]
	v_add_f64 v[95:96], v[95:96], v[129:130]
	v_add_f64 v[97:98], v[97:98], v[113:114]
	s_clause 0x2
	buffer_load_dword v134, off, s[0:3], 0 offset:556
	buffer_load_dword v114, off, s[0:3], 0 offset:532
	;; [unrolled: 1-line block ×3, first 2 shown]
	ds_read_b128 v[87:90], v144 offset:976
	s_waitcnt vmcnt(58) lgkmcnt(1)
	v_mul_f64 v[129:130], v[93:94], v[139:140]
	s_waitcnt vmcnt(56)
	v_fma_f64 v[137:138], v[1:2], v[141:142], -v[136:137]
	v_mul_f64 v[123:124], v[91:92], v[139:140]
	v_add_f64 v[95:96], v[95:96], v[121:122]
	v_fma_f64 v[121:122], v[3:4], v[141:142], v[174:175]
	v_add_f64 v[97:98], v[97:98], v[117:118]
	s_clause 0x4
	buffer_load_dword v118, off, s[0:3], 0 offset:572
	buffer_load_dword v139, off, s[0:3], 0 offset:584
	;; [unrolled: 1-line block ×5, first 2 shown]
	s_waitcnt vmcnt(57) lgkmcnt(0)
	v_mul_f64 v[174:175], v[87:88], v[159:160]
	v_mul_f64 v[159:160], v[89:90], v[159:160]
	s_waitcnt vmcnt(56)
	v_fma_f64 v[129:130], v[91:92], v[131:132], -v[129:130]
	ds_read_b128 v[1:4], v144 offset:992
	v_fma_f64 v[123:124], v[93:94], v[131:132], v[123:124]
	v_add_f64 v[95:96], v[95:96], v[137:138]
	v_add_f64 v[97:98], v[97:98], v[121:122]
	s_clause 0x2
	buffer_load_dword v140, off, s[0:3], 0 offset:588
	buffer_load_dword v122, off, s[0:3], 0 offset:564
	;; [unrolled: 1-line block ×3, first 2 shown]
	ds_read_b128 v[91:94], v144 offset:1008
	s_waitcnt vmcnt(58) lgkmcnt(1)
	v_mul_f64 v[137:138], v[3:4], v[161:162]
	s_waitcnt vmcnt(56)
	v_fma_f64 v[159:160], v[87:88], v[166:167], -v[159:160]
	v_mul_f64 v[131:132], v[1:2], v[161:162]
	v_add_f64 v[95:96], v[95:96], v[129:130]
	v_fma_f64 v[129:130], v[89:90], v[166:167], v[174:175]
	v_add_f64 v[97:98], v[97:98], v[123:124]
	s_clause 0x4
	buffer_load_dword v124, off, s[0:3], 0 offset:604
	buffer_load_dword v161, off, s[0:3], 0 offset:616
	;; [unrolled: 1-line block ×5, first 2 shown]
	ds_read_b128 v[87:90], v144 offset:1024
	s_waitcnt vmcnt(57) lgkmcnt(1)
	v_mul_f64 v[166:167], v[91:92], v[157:158]
	v_mul_f64 v[157:158], v[93:94], v[157:158]
	s_waitcnt vmcnt(56)
	v_fma_f64 v[137:138], v[1:2], v[163:164], -v[137:138]
	v_fma_f64 v[131:132], v[3:4], v[163:164], v[131:132]
	v_add_f64 v[95:96], v[95:96], v[159:160]
	v_add_f64 v[97:98], v[97:98], v[129:130]
	s_clause 0x2
	buffer_load_dword v162, off, s[0:3], 0 offset:620
	buffer_load_dword v130, off, s[0:3], 0 offset:596
	;; [unrolled: 1-line block ×3, first 2 shown]
	ds_read_b128 v[1:4], v144 offset:1040
	s_waitcnt vmcnt(58) lgkmcnt(1)
	v_mul_f64 v[163:164], v[89:90], v[170:171]
	v_mul_f64 v[159:160], v[87:88], v[170:171]
	s_waitcnt vmcnt(56)
	v_fma_f64 v[157:158], v[91:92], v[151:152], -v[157:158]
	v_add_f64 v[95:96], v[95:96], v[137:138]
	v_fma_f64 v[137:138], v[93:94], v[151:152], v[166:167]
	v_add_f64 v[97:98], v[97:98], v[131:132]
	s_clause 0x4
	buffer_load_dword v132, off, s[0:3], 0 offset:636
	buffer_load_dword v151, off, s[0:3], 0 offset:648
	;; [unrolled: 1-line block ×5, first 2 shown]
	ds_read_b128 v[91:94], v144 offset:1056
	s_waitcnt vmcnt(57) lgkmcnt(1)
	v_mul_f64 v[174:175], v[1:2], v[107:108]
	v_mul_f64 v[107:108], v[3:4], v[107:108]
	s_waitcnt vmcnt(56)
	v_fma_f64 v[163:164], v[87:88], v[172:173], -v[163:164]
	v_add_f64 v[95:96], v[95:96], v[157:158]
	v_fma_f64 v[157:158], v[89:90], v[172:173], v[159:160]
	v_add_f64 v[97:98], v[97:98], v[137:138]
	s_clause 0x2
	buffer_load_dword v152, off, s[0:3], 0 offset:652
	buffer_load_dword v138, off, s[0:3], 0 offset:628
	;; [unrolled: 1-line block ×3, first 2 shown]
	ds_read_b128 v[87:90], v144 offset:1072
	s_waitcnt vmcnt(58) lgkmcnt(1)
	v_mul_f64 v[159:160], v[91:92], v[153:154]
	v_mul_f64 v[153:154], v[93:94], v[153:154]
	s_waitcnt vmcnt(56)
	v_fma_f64 v[107:108], v[1:2], v[101:102], -v[107:108]
	v_fma_f64 v[101:102], v[3:4], v[101:102], v[174:175]
	v_add_f64 v[95:96], v[95:96], v[163:164]
	v_add_f64 v[97:98], v[97:98], v[157:158]
	s_clause 0x2
	buffer_load_dword v158, off, s[0:3], 0 offset:668
	buffer_load_dword v157, off, s[0:3], 0 offset:664
	buffer_load_dword v171, off, s[0:3], 0 offset:644
	ds_read_b128 v[1:4], v144 offset:1088
	s_waitcnt vmcnt(55) lgkmcnt(1)
	v_mul_f64 v[163:164], v[87:88], v[145:146]
	v_mul_f64 v[145:146], v[89:90], v[145:146]
	s_waitcnt vmcnt(54)
	v_fma_f64 v[153:154], v[91:92], v[168:169], -v[153:154]
	v_add_f64 v[95:96], v[95:96], v[107:108]
	v_fma_f64 v[107:108], v[93:94], v[168:169], v[159:160]
	v_add_f64 v[97:98], v[97:98], v[101:102]
	s_clause 0x1
	buffer_load_dword v102, off, s[0:3], 0 offset:660
	buffer_load_dword v101, off, s[0:3], 0 offset:656
	ds_read_b128 v[91:94], v144 offset:1104
	s_waitcnt vmcnt(55) lgkmcnt(1)
	v_mul_f64 v[159:160], v[1:2], v[147:148]
	v_mul_f64 v[147:148], v[3:4], v[147:148]
	s_waitcnt vmcnt(53)
	v_fma_f64 v[145:146], v[87:88], v[103:104], -v[145:146]
	v_fma_f64 v[103:104], v[89:90], v[103:104], v[163:164]
	ds_read_b128 v[87:90], v144 offset:1120
	v_add_f64 v[95:96], v[95:96], v[153:154]
	v_add_f64 v[97:98], v[97:98], v[107:108]
	s_waitcnt vmcnt(49) lgkmcnt(1)
	v_mul_f64 v[107:108], v[91:92], v[99:100]
	v_mul_f64 v[99:100], v[93:94], v[99:100]
	s_waitcnt vmcnt(48)
	v_fma_f64 v[147:148], v[1:2], v[155:156], -v[147:148]
	v_add_f64 v[95:96], v[95:96], v[145:146]
	v_fma_f64 v[145:146], v[3:4], v[155:156], v[159:160]
	v_add_f64 v[97:98], v[97:98], v[103:104]
	s_clause 0x3
	buffer_load_dword v103, off, s[0:3], 0 offset:80
	buffer_load_dword v104, off, s[0:3], 0 offset:84
	;; [unrolled: 1-line block ×4, first 2 shown]
	ds_read_b128 v[1:4], v144 offset:1136
	s_waitcnt vmcnt(51) lgkmcnt(1)
	v_mul_f64 v[155:156], v[87:88], v[119:120]
	v_mul_f64 v[119:120], v[89:90], v[119:120]
	s_waitcnt vmcnt(49)
	v_fma_f64 v[99:100], v[91:92], v[109:110], -v[99:100]
	v_fma_f64 v[107:108], v[93:94], v[109:110], v[107:108]
	ds_read_b128 v[91:94], v144 offset:1152
	v_add_f64 v[95:96], v[95:96], v[147:148]
	v_add_f64 v[97:98], v[97:98], v[145:146]
	s_waitcnt vmcnt(45) lgkmcnt(1)
	v_mul_f64 v[109:110], v[1:2], v[105:106]
	v_mul_f64 v[105:106], v[3:4], v[105:106]
	s_waitcnt vmcnt(44)
	v_fma_f64 v[119:120], v[87:88], v[149:150], -v[119:120]
	v_add_f64 v[95:96], v[95:96], v[99:100]
	v_fma_f64 v[99:100], v[89:90], v[149:150], v[155:156]
	v_add_f64 v[97:98], v[97:98], v[107:108]
	s_waitcnt vmcnt(43) lgkmcnt(0)
	v_mul_f64 v[107:108], v[91:92], v[125:126]
	v_mul_f64 v[125:126], v[93:94], v[125:126]
	ds_read_b128 v[87:90], v144 offset:1168
	s_waitcnt vmcnt(41)
	v_fma_f64 v[109:110], v[3:4], v[115:116], v[109:110]
	v_fma_f64 v[105:106], v[1:2], v[115:116], -v[105:106]
	ds_read_b128 v[1:4], v144 offset:1184
	v_add_f64 v[95:96], v[95:96], v[119:120]
	v_add_f64 v[97:98], v[97:98], v[99:100]
	s_waitcnt vmcnt(37) lgkmcnt(1)
	v_mul_f64 v[99:100], v[87:88], v[111:112]
	v_mul_f64 v[111:112], v[89:90], v[111:112]
	s_waitcnt vmcnt(36)
	v_fma_f64 v[115:116], v[91:92], v[127:128], -v[125:126]
	v_add_f64 v[95:96], v[95:96], v[105:106]
	v_fma_f64 v[105:106], v[93:94], v[127:128], v[107:108]
	v_add_f64 v[97:98], v[97:98], v[109:110]
	ds_read_b128 v[91:94], v144 offset:1200
	s_waitcnt vmcnt(35) lgkmcnt(1)
	v_mul_f64 v[109:110], v[3:4], v[133:134]
	v_mul_f64 v[107:108], v[1:2], v[133:134]
	s_waitcnt vmcnt(33)
	v_fma_f64 v[111:112], v[87:88], v[113:114], -v[111:112]
	v_fma_f64 v[99:100], v[89:90], v[113:114], v[99:100]
	ds_read_b128 v[87:90], v144 offset:1216
	v_add_f64 v[95:96], v[95:96], v[115:116]
	v_add_f64 v[97:98], v[97:98], v[105:106]
	s_waitcnt vmcnt(29) lgkmcnt(1)
	v_mul_f64 v[113:114], v[93:94], v[117:118]
	s_waitcnt vmcnt(28)
	v_fma_f64 v[109:110], v[1:2], v[135:136], -v[109:110]
	v_mul_f64 v[105:106], v[91:92], v[117:118]
	v_fma_f64 v[107:108], v[3:4], v[135:136], v[107:108]
	ds_read_b128 v[1:4], v144 offset:1232
	v_add_f64 v[95:96], v[95:96], v[111:112]
	v_add_f64 v[97:98], v[97:98], v[99:100]
	s_waitcnt vmcnt(27) lgkmcnt(1)
	v_mul_f64 v[111:112], v[89:90], v[139:140]
	v_mul_f64 v[99:100], v[87:88], v[139:140]
	s_waitcnt vmcnt(25)
	v_fma_f64 v[113:114], v[91:92], v[121:122], -v[113:114]
	v_fma_f64 v[105:106], v[93:94], v[121:122], v[105:106]
	ds_read_b128 v[91:94], v144 offset:1248
	v_add_f64 v[95:96], v[95:96], v[109:110]
	v_add_f64 v[97:98], v[97:98], v[107:108]
	s_waitcnt vmcnt(21) lgkmcnt(1)
	v_mul_f64 v[109:110], v[3:4], v[123:124]
	s_waitcnt vmcnt(20)
	v_fma_f64 v[111:112], v[87:88], v[141:142], -v[111:112]
	v_mul_f64 v[107:108], v[1:2], v[123:124]
	v_fma_f64 v[99:100], v[89:90], v[141:142], v[99:100]
	ds_read_b128 v[87:90], v144 offset:1264
	v_add_f64 v[95:96], v[95:96], v[113:114]
	v_add_f64 v[97:98], v[97:98], v[105:106]
	;; [unrolled: 18-line block ×3, first 2 shown]
	s_waitcnt vmcnt(11) lgkmcnt(1)
	v_mul_f64 v[109:110], v[3:4], v[151:152]
	v_mul_f64 v[107:108], v[1:2], v[151:152]
	s_waitcnt vmcnt(9)
	v_fma_f64 v[87:88], v[87:88], v[137:138], -v[111:112]
	v_fma_f64 v[89:90], v[89:90], v[137:138], v[99:100]
	v_add_f64 v[95:96], v[95:96], v[113:114]
	v_add_f64 v[97:98], v[97:98], v[105:106]
	s_waitcnt vmcnt(7) lgkmcnt(0)
	v_mul_f64 v[105:106], v[93:94], v[157:158]
	s_waitcnt vmcnt(6)
	v_fma_f64 v[1:2], v[1:2], v[170:171], -v[109:110]
	v_mul_f64 v[99:100], v[91:92], v[157:158]
	v_fma_f64 v[3:4], v[3:4], v[170:171], v[107:108]
	v_add_f64 v[87:88], v[95:96], v[87:88]
	v_add_f64 v[89:90], v[97:98], v[89:90]
	s_waitcnt vmcnt(4)
	v_fma_f64 v[91:92], v[91:92], v[101:102], -v[105:106]
	v_add_f64 v[1:2], v[87:88], v[1:2]
	v_fma_f64 v[87:88], v[93:94], v[101:102], v[99:100]
	v_add_f64 v[3:4], v[89:90], v[3:4]
	v_add_f64 v[1:2], v[1:2], v[91:92]
	;; [unrolled: 1-line block ×3, first 2 shown]
	s_waitcnt vmcnt(2)
	v_add_f64 v[1:2], v[103:104], -v[1:2]
	s_waitcnt vmcnt(0)
	v_add_f64 v[3:4], v[153:154], -v[3:4]
	buffer_store_dword v2, off, s[0:3], 0 offset:84
	buffer_store_dword v1, off, s[0:3], 0 offset:80
	;; [unrolled: 1-line block ×4, first 2 shown]
	v_cmpx_lt_u32_e32 3, v0
	s_cbranch_execz .LBB104_253
; %bb.252:
	v_mov_b32_e32 v4, s50
	v_mov_b32_e32 v87, 0
	s_clause 0x3
	buffer_load_dword v1, v4, s[0:3], 0 offen
	buffer_load_dword v2, v4, s[0:3], 0 offen offset:4
	buffer_load_dword v3, v4, s[0:3], 0 offen offset:8
	;; [unrolled: 1-line block ×3, first 2 shown]
	buffer_store_dword v87, off, s[0:3], 0 offset:64
	buffer_store_dword v87, off, s[0:3], 0 offset:68
	;; [unrolled: 1-line block ×4, first 2 shown]
	s_waitcnt vmcnt(0)
	ds_write_b128 v143, v[1:4]
.LBB104_253:
	s_or_b32 exec_lo, exec_lo, s4
	s_waitcnt lgkmcnt(0)
	s_waitcnt_vscnt null, 0x0
	s_barrier
	buffer_gl0_inv
	s_clause 0x37
	buffer_load_dword v91, off, s[0:3], 0 offset:88
	buffer_load_dword v92, off, s[0:3], 0 offset:92
	;; [unrolled: 1-line block ×56, first 2 shown]
	v_mov_b32_e32 v144, 0
	s_mov_b32 s4, exec_lo
	ds_read_b128 v[145:148], v144 offset:720
	s_clause 0x2
	buffer_load_dword v140, off, s[0:3], 0 offset:316
	buffer_load_dword v142, off, s[0:3], 0 offset:292
	;; [unrolled: 1-line block ×3, first 2 shown]
	ds_read_b128 v[149:152], v144 offset:736
	s_clause 0x4
	buffer_load_dword v160, off, s[0:3], 0 offset:332
	buffer_load_dword v161, off, s[0:3], 0 offset:344
	;; [unrolled: 1-line block ×5, first 2 shown]
	ds_read_b128 v[153:156], v144 offset:752
	s_clause 0x2
	buffer_load_dword v162, off, s[0:3], 0 offset:348
	buffer_load_dword v167, off, s[0:3], 0 offset:324
	;; [unrolled: 1-line block ×3, first 2 shown]
	s_waitcnt vmcnt(62) lgkmcnt(2)
	v_mul_f64 v[157:158], v[147:148], v[91:92]
	v_mul_f64 v[91:92], v[145:146], v[91:92]
	s_waitcnt lgkmcnt(1)
	v_mul_f64 v[164:165], v[151:152], v[87:88]
	s_waitcnt vmcnt(59) lgkmcnt(0)
	v_mul_f64 v[168:169], v[155:156], v[3:4]
	v_fma_f64 v[145:146], v[145:146], v[89:90], -v[157:158]
	v_mul_f64 v[157:158], v[149:150], v[87:88]
	v_fma_f64 v[91:92], v[147:148], v[89:90], v[91:92]
	s_waitcnt vmcnt(57)
	v_fma_f64 v[149:150], v[149:150], v[1:2], -v[164:165]
	ds_read_b128 v[87:90], v144 offset:768
	v_mul_f64 v[147:148], v[153:154], v[3:4]
	s_waitcnt vmcnt(51)
	v_fma_f64 v[153:154], v[153:154], v[107:108], -v[168:169]
	v_add_f64 v[145:146], v[145:146], 0
	v_fma_f64 v[151:152], v[151:152], v[1:2], v[157:158]
	v_add_f64 v[91:92], v[91:92], 0
	s_clause 0x4
	buffer_load_dword v158, off, s[0:3], 0 offset:364
	buffer_load_dword v170, off, s[0:3], 0 offset:376
	;; [unrolled: 1-line block ×5, first 2 shown]
	s_waitcnt lgkmcnt(0)
	v_mul_f64 v[173:174], v[87:88], v[95:96]
	v_mul_f64 v[95:96], v[89:90], v[95:96]
	ds_read_b128 v[1:4], v144 offset:784
	v_fma_f64 v[107:108], v[155:156], v[107:108], v[147:148]
	v_add_f64 v[149:150], v[145:146], v[149:150]
	v_add_f64 v[91:92], v[91:92], v[151:152]
	s_clause 0x2
	buffer_load_dword v171, off, s[0:3], 0 offset:380
	buffer_load_dword v152, off, s[0:3], 0 offset:356
	;; [unrolled: 1-line block ×3, first 2 shown]
	s_waitcnt vmcnt(58) lgkmcnt(0)
	v_mul_f64 v[155:156], v[1:2], v[99:100]
	v_mul_f64 v[99:100], v[3:4], v[99:100]
	s_waitcnt vmcnt(56)
	v_fma_f64 v[95:96], v[87:88], v[101:102], -v[95:96]
	ds_read_b128 v[145:148], v144 offset:800
	v_fma_f64 v[101:102], v[89:90], v[101:102], v[173:174]
	v_add_f64 v[149:150], v[149:150], v[153:154]
	v_add_f64 v[91:92], v[91:92], v[107:108]
	s_clause 0x4
	buffer_load_dword v108, off, s[0:3], 0 offset:396
	buffer_load_dword v153, off, s[0:3], 0 offset:408
	;; [unrolled: 1-line block ×5, first 2 shown]
	ds_read_b128 v[87:90], v144 offset:816
	s_waitcnt vmcnt(57) lgkmcnt(1)
	v_mul_f64 v[174:175], v[145:146], v[103:104]
	v_mul_f64 v[103:104], v[147:148], v[103:104]
	s_waitcnt vmcnt(56)
	v_fma_f64 v[99:100], v[1:2], v[93:94], -v[99:100]
	v_fma_f64 v[93:94], v[3:4], v[93:94], v[155:156]
	v_add_f64 v[95:96], v[149:150], v[95:96]
	v_add_f64 v[91:92], v[91:92], v[101:102]
	s_clause 0x2
	buffer_load_dword v154, off, s[0:3], 0 offset:412
	buffer_load_dword v102, off, s[0:3], 0 offset:388
	;; [unrolled: 1-line block ×3, first 2 shown]
	s_waitcnt vmcnt(58) lgkmcnt(0)
	v_mul_f64 v[149:150], v[87:88], v[109:110]
	v_mul_f64 v[109:110], v[89:90], v[109:110]
	s_waitcnt vmcnt(56)
	v_fma_f64 v[103:104], v[145:146], v[111:112], -v[103:104]
	ds_read_b128 v[1:4], v144 offset:832
	v_add_f64 v[95:96], v[95:96], v[99:100]
	v_fma_f64 v[99:100], v[147:148], v[111:112], v[174:175]
	v_add_f64 v[111:112], v[91:92], v[93:94]
	s_clause 0x4
	buffer_load_dword v146, off, s[0:3], 0 offset:428
	buffer_load_dword v147, off, s[0:3], 0 offset:440
	buffer_load_dword v155, off, s[0:3], 0 offset:432
	buffer_load_dword v145, off, s[0:3], 0 offset:424
	buffer_load_dword v169, off, s[0:3], 0 offset:404
	ds_read_b128 v[91:94], v144 offset:848
	s_waitcnt vmcnt(57) lgkmcnt(1)
	v_mul_f64 v[174:175], v[1:2], v[113:114]
	v_mul_f64 v[113:114], v[3:4], v[113:114]
	s_waitcnt vmcnt(56)
	v_fma_f64 v[109:110], v[87:88], v[97:98], -v[109:110]
	v_fma_f64 v[97:98], v[89:90], v[97:98], v[149:150]
	v_add_f64 v[95:96], v[95:96], v[103:104]
	s_clause 0x2
	buffer_load_dword v148, off, s[0:3], 0 offset:444
	buffer_load_dword v104, off, s[0:3], 0 offset:420
	;; [unrolled: 1-line block ×3, first 2 shown]
	v_add_f64 v[99:100], v[111:112], v[99:100]
	s_waitcnt vmcnt(58) lgkmcnt(0)
	v_mul_f64 v[111:112], v[91:92], v[117:118]
	v_mul_f64 v[117:118], v[93:94], v[117:118]
	ds_read_b128 v[87:90], v144 offset:864
	s_waitcnt vmcnt(56)
	v_fma_f64 v[113:114], v[1:2], v[119:120], -v[113:114]
	v_add_f64 v[95:96], v[95:96], v[109:110]
	v_fma_f64 v[109:110], v[3:4], v[119:120], v[174:175]
	v_add_f64 v[97:98], v[99:100], v[97:98]
	s_clause 0x4
	buffer_load_dword v100, off, s[0:3], 0 offset:460
	buffer_load_dword v119, off, s[0:3], 0 offset:472
	;; [unrolled: 1-line block ×5, first 2 shown]
	s_waitcnt vmcnt(57) lgkmcnt(0)
	v_mul_f64 v[174:175], v[87:88], v[121:122]
	v_mul_f64 v[121:122], v[89:90], v[121:122]
	s_waitcnt vmcnt(56)
	v_fma_f64 v[117:118], v[91:92], v[105:106], -v[117:118]
	ds_read_b128 v[1:4], v144 offset:880
	v_fma_f64 v[105:106], v[93:94], v[105:106], v[111:112]
	v_add_f64 v[95:96], v[95:96], v[113:114]
	v_add_f64 v[97:98], v[97:98], v[109:110]
	s_clause 0x2
	buffer_load_dword v120, off, s[0:3], 0 offset:476
	buffer_load_dword v110, off, s[0:3], 0 offset:452
	;; [unrolled: 1-line block ×3, first 2 shown]
	ds_read_b128 v[91:94], v144 offset:896
	s_waitcnt vmcnt(58) lgkmcnt(1)
	v_mul_f64 v[113:114], v[3:4], v[125:126]
	s_waitcnt vmcnt(56)
	v_fma_f64 v[121:122], v[87:88], v[127:128], -v[121:122]
	v_mul_f64 v[111:112], v[1:2], v[125:126]
	v_add_f64 v[95:96], v[95:96], v[117:118]
	v_fma_f64 v[117:118], v[89:90], v[127:128], v[174:175]
	v_add_f64 v[97:98], v[97:98], v[105:106]
	s_clause 0x4
	buffer_load_dword v106, off, s[0:3], 0 offset:492
	buffer_load_dword v125, off, s[0:3], 0 offset:504
	;; [unrolled: 1-line block ×5, first 2 shown]
	s_waitcnt vmcnt(57) lgkmcnt(0)
	v_mul_f64 v[174:175], v[91:92], v[129:130]
	v_mul_f64 v[128:129], v[93:94], v[129:130]
	s_waitcnt vmcnt(56)
	v_fma_f64 v[113:114], v[1:2], v[115:116], -v[113:114]
	ds_read_b128 v[87:90], v144 offset:912
	v_fma_f64 v[111:112], v[3:4], v[115:116], v[111:112]
	s_clause 0x2
	buffer_load_dword v126, off, s[0:3], 0 offset:508
	buffer_load_dword v116, off, s[0:3], 0 offset:484
	buffer_load_dword v115, off, s[0:3], 0 offset:480
	ds_read_b128 v[1:4], v144 offset:928
	v_add_f64 v[95:96], v[95:96], v[121:122]
	v_add_f64 v[97:98], v[97:98], v[117:118]
	s_waitcnt vmcnt(58) lgkmcnt(1)
	v_mul_f64 v[121:122], v[89:90], v[133:134]
	s_waitcnt vmcnt(56)
	v_fma_f64 v[129:130], v[91:92], v[135:136], -v[128:129]
	v_mul_f64 v[117:118], v[87:88], v[133:134]
	v_add_f64 v[95:96], v[95:96], v[113:114]
	v_fma_f64 v[113:114], v[93:94], v[135:136], v[174:175]
	v_add_f64 v[97:98], v[97:98], v[111:112]
	s_clause 0x4
	buffer_load_dword v112, off, s[0:3], 0 offset:524
	buffer_load_dword v133, off, s[0:3], 0 offset:536
	;; [unrolled: 1-line block ×5, first 2 shown]
	s_waitcnt vmcnt(57) lgkmcnt(0)
	v_mul_f64 v[174:175], v[1:2], v[137:138]
	v_mul_f64 v[136:137], v[3:4], v[137:138]
	s_waitcnt vmcnt(56)
	v_fma_f64 v[121:122], v[87:88], v[123:124], -v[121:122]
	ds_read_b128 v[91:94], v144 offset:944
	v_fma_f64 v[117:118], v[89:90], v[123:124], v[117:118]
	v_add_f64 v[95:96], v[95:96], v[129:130]
	v_add_f64 v[97:98], v[97:98], v[113:114]
	s_clause 0x2
	buffer_load_dword v134, off, s[0:3], 0 offset:540
	buffer_load_dword v114, off, s[0:3], 0 offset:516
	;; [unrolled: 1-line block ×3, first 2 shown]
	ds_read_b128 v[87:90], v144 offset:960
	s_waitcnt vmcnt(58) lgkmcnt(1)
	v_mul_f64 v[129:130], v[93:94], v[139:140]
	s_waitcnt vmcnt(56)
	v_fma_f64 v[137:138], v[1:2], v[141:142], -v[136:137]
	v_mul_f64 v[123:124], v[91:92], v[139:140]
	v_add_f64 v[95:96], v[95:96], v[121:122]
	v_fma_f64 v[121:122], v[3:4], v[141:142], v[174:175]
	v_add_f64 v[97:98], v[97:98], v[117:118]
	s_clause 0x4
	buffer_load_dword v118, off, s[0:3], 0 offset:556
	buffer_load_dword v139, off, s[0:3], 0 offset:568
	;; [unrolled: 1-line block ×5, first 2 shown]
	s_waitcnt vmcnt(57) lgkmcnt(0)
	v_mul_f64 v[174:175], v[87:88], v[159:160]
	v_mul_f64 v[159:160], v[89:90], v[159:160]
	s_waitcnt vmcnt(56)
	v_fma_f64 v[129:130], v[91:92], v[131:132], -v[129:130]
	ds_read_b128 v[1:4], v144 offset:976
	v_fma_f64 v[123:124], v[93:94], v[131:132], v[123:124]
	v_add_f64 v[95:96], v[95:96], v[137:138]
	v_add_f64 v[97:98], v[97:98], v[121:122]
	s_clause 0x2
	buffer_load_dword v140, off, s[0:3], 0 offset:572
	buffer_load_dword v122, off, s[0:3], 0 offset:548
	;; [unrolled: 1-line block ×3, first 2 shown]
	ds_read_b128 v[91:94], v144 offset:992
	s_waitcnt vmcnt(58) lgkmcnt(1)
	v_mul_f64 v[137:138], v[3:4], v[161:162]
	s_waitcnt vmcnt(56)
	v_fma_f64 v[159:160], v[87:88], v[166:167], -v[159:160]
	v_mul_f64 v[131:132], v[1:2], v[161:162]
	v_add_f64 v[95:96], v[95:96], v[129:130]
	v_fma_f64 v[129:130], v[89:90], v[166:167], v[174:175]
	v_add_f64 v[97:98], v[97:98], v[123:124]
	s_clause 0x4
	buffer_load_dword v124, off, s[0:3], 0 offset:588
	buffer_load_dword v161, off, s[0:3], 0 offset:600
	buffer_load_dword v165, off, s[0:3], 0 offset:592
	buffer_load_dword v123, off, s[0:3], 0 offset:584
	buffer_load_dword v142, off, s[0:3], 0 offset:564
	ds_read_b128 v[87:90], v144 offset:1008
	s_waitcnt vmcnt(57) lgkmcnt(1)
	v_mul_f64 v[166:167], v[91:92], v[157:158]
	v_mul_f64 v[157:158], v[93:94], v[157:158]
	s_waitcnt vmcnt(56)
	v_fma_f64 v[137:138], v[1:2], v[163:164], -v[137:138]
	v_fma_f64 v[131:132], v[3:4], v[163:164], v[131:132]
	v_add_f64 v[95:96], v[95:96], v[159:160]
	v_add_f64 v[97:98], v[97:98], v[129:130]
	s_clause 0x2
	buffer_load_dword v162, off, s[0:3], 0 offset:604
	buffer_load_dword v130, off, s[0:3], 0 offset:580
	;; [unrolled: 1-line block ×3, first 2 shown]
	ds_read_b128 v[1:4], v144 offset:1024
	s_waitcnt vmcnt(58) lgkmcnt(1)
	v_mul_f64 v[163:164], v[89:90], v[170:171]
	v_mul_f64 v[159:160], v[87:88], v[170:171]
	s_waitcnt vmcnt(56)
	v_fma_f64 v[157:158], v[91:92], v[151:152], -v[157:158]
	v_add_f64 v[95:96], v[95:96], v[137:138]
	v_fma_f64 v[137:138], v[93:94], v[151:152], v[166:167]
	v_add_f64 v[97:98], v[97:98], v[131:132]
	s_clause 0x4
	buffer_load_dword v132, off, s[0:3], 0 offset:620
	buffer_load_dword v151, off, s[0:3], 0 offset:632
	;; [unrolled: 1-line block ×5, first 2 shown]
	ds_read_b128 v[91:94], v144 offset:1040
	s_waitcnt vmcnt(57) lgkmcnt(1)
	v_mul_f64 v[174:175], v[1:2], v[107:108]
	v_mul_f64 v[107:108], v[3:4], v[107:108]
	s_waitcnt vmcnt(56)
	v_fma_f64 v[163:164], v[87:88], v[172:173], -v[163:164]
	v_add_f64 v[95:96], v[95:96], v[157:158]
	v_fma_f64 v[157:158], v[89:90], v[172:173], v[159:160]
	v_add_f64 v[97:98], v[97:98], v[137:138]
	s_clause 0x2
	buffer_load_dword v152, off, s[0:3], 0 offset:636
	buffer_load_dword v138, off, s[0:3], 0 offset:612
	;; [unrolled: 1-line block ×3, first 2 shown]
	ds_read_b128 v[87:90], v144 offset:1056
	s_waitcnt vmcnt(58) lgkmcnt(1)
	v_mul_f64 v[159:160], v[91:92], v[153:154]
	v_mul_f64 v[153:154], v[93:94], v[153:154]
	s_waitcnt vmcnt(56)
	v_fma_f64 v[107:108], v[1:2], v[101:102], -v[107:108]
	v_fma_f64 v[101:102], v[3:4], v[101:102], v[174:175]
	v_add_f64 v[95:96], v[95:96], v[163:164]
	v_add_f64 v[97:98], v[97:98], v[157:158]
	s_clause 0x4
	buffer_load_dword v158, off, s[0:3], 0 offset:652
	buffer_load_dword v163, off, s[0:3], 0 offset:664
	;; [unrolled: 1-line block ×5, first 2 shown]
	ds_read_b128 v[1:4], v144 offset:1072
	s_waitcnt vmcnt(57) lgkmcnt(1)
	v_mul_f64 v[172:173], v[87:88], v[145:146]
	v_mul_f64 v[145:146], v[89:90], v[145:146]
	s_waitcnt vmcnt(56)
	v_fma_f64 v[153:154], v[91:92], v[168:169], -v[153:154]
	v_add_f64 v[95:96], v[95:96], v[107:108]
	v_fma_f64 v[107:108], v[93:94], v[168:169], v[159:160]
	v_add_f64 v[97:98], v[97:98], v[101:102]
	s_clause 0x2
	buffer_load_dword v164, off, s[0:3], 0 offset:668
	buffer_load_dword v102, off, s[0:3], 0 offset:644
	;; [unrolled: 1-line block ×3, first 2 shown]
	ds_read_b128 v[91:94], v144 offset:1088
	buffer_load_dword v168, off, s[0:3], 0 offset:660
	s_waitcnt vmcnt(59) lgkmcnt(1)
	v_mul_f64 v[159:160], v[1:2], v[147:148]
	v_mul_f64 v[147:148], v[3:4], v[147:148]
	s_waitcnt vmcnt(57)
	v_fma_f64 v[145:146], v[87:88], v[103:104], -v[145:146]
	v_fma_f64 v[103:104], v[89:90], v[103:104], v[172:173]
	ds_read_b128 v[87:90], v144 offset:1104
	v_add_f64 v[95:96], v[95:96], v[153:154]
	v_add_f64 v[97:98], v[97:98], v[107:108]
	s_waitcnt vmcnt(53) lgkmcnt(1)
	v_mul_f64 v[107:108], v[91:92], v[99:100]
	v_mul_f64 v[99:100], v[93:94], v[99:100]
	s_waitcnt vmcnt(52)
	v_fma_f64 v[147:148], v[1:2], v[155:156], -v[147:148]
	v_add_f64 v[95:96], v[95:96], v[145:146]
	v_fma_f64 v[145:146], v[3:4], v[155:156], v[159:160]
	v_add_f64 v[97:98], v[97:98], v[103:104]
	ds_read_b128 v[1:4], v144 offset:1120
	s_waitcnt vmcnt(51) lgkmcnt(1)
	v_mul_f64 v[103:104], v[87:88], v[119:120]
	v_mul_f64 v[119:120], v[89:90], v[119:120]
	s_waitcnt vmcnt(49)
	v_fma_f64 v[99:100], v[91:92], v[109:110], -v[99:100]
	v_fma_f64 v[107:108], v[93:94], v[109:110], v[107:108]
	v_add_f64 v[95:96], v[95:96], v[147:148]
	v_add_f64 v[97:98], v[97:98], v[145:146]
	s_clause 0x3
	buffer_load_dword v109, off, s[0:3], 0 offset:64
	buffer_load_dword v110, off, s[0:3], 0 offset:68
	;; [unrolled: 1-line block ×4, first 2 shown]
	ds_read_b128 v[91:94], v144 offset:1136
	s_waitcnt vmcnt(49) lgkmcnt(1)
	v_mul_f64 v[147:148], v[1:2], v[105:106]
	v_mul_f64 v[105:106], v[3:4], v[105:106]
	s_waitcnt vmcnt(48)
	v_fma_f64 v[119:120], v[87:88], v[149:150], -v[119:120]
	v_add_f64 v[95:96], v[95:96], v[99:100]
	v_fma_f64 v[99:100], v[89:90], v[149:150], v[103:104]
	v_add_f64 v[97:98], v[97:98], v[107:108]
	ds_read_b128 v[87:90], v144 offset:1152
	s_waitcnt vmcnt(47) lgkmcnt(1)
	v_mul_f64 v[107:108], v[93:94], v[125:126]
	v_mul_f64 v[103:104], v[91:92], v[125:126]
	s_waitcnt vmcnt(45)
	v_fma_f64 v[105:106], v[1:2], v[115:116], -v[105:106]
	v_fma_f64 v[115:116], v[3:4], v[115:116], v[147:148]
	ds_read_b128 v[1:4], v144 offset:1168
	v_add_f64 v[95:96], v[95:96], v[119:120]
	v_add_f64 v[97:98], v[97:98], v[99:100]
	s_waitcnt vmcnt(41) lgkmcnt(1)
	v_mul_f64 v[99:100], v[87:88], v[111:112]
	v_mul_f64 v[111:112], v[89:90], v[111:112]
	s_waitcnt vmcnt(40)
	v_fma_f64 v[107:108], v[91:92], v[127:128], -v[107:108]
	v_fma_f64 v[103:104], v[93:94], v[127:128], v[103:104]
	ds_read_b128 v[91:94], v144 offset:1184
	v_add_f64 v[95:96], v[95:96], v[105:106]
	v_add_f64 v[97:98], v[97:98], v[115:116]
	;; [unrolled: 9-line block ×3, first 2 shown]
	s_waitcnt vmcnt(33) lgkmcnt(1)
	v_mul_f64 v[107:108], v[93:94], v[117:118]
	s_waitcnt vmcnt(32)
	v_fma_f64 v[113:114], v[1:2], v[135:136], -v[115:116]
	v_mul_f64 v[103:104], v[91:92], v[117:118]
	v_fma_f64 v[105:106], v[3:4], v[135:136], v[105:106]
	ds_read_b128 v[1:4], v144 offset:1216
	v_add_f64 v[95:96], v[95:96], v[111:112]
	v_add_f64 v[97:98], v[97:98], v[99:100]
	s_waitcnt vmcnt(31) lgkmcnt(1)
	v_mul_f64 v[111:112], v[89:90], v[139:140]
	v_mul_f64 v[99:100], v[87:88], v[139:140]
	s_waitcnt vmcnt(29)
	v_fma_f64 v[107:108], v[91:92], v[121:122], -v[107:108]
	v_fma_f64 v[103:104], v[93:94], v[121:122], v[103:104]
	ds_read_b128 v[91:94], v144 offset:1232
	v_add_f64 v[95:96], v[95:96], v[113:114]
	v_add_f64 v[97:98], v[97:98], v[105:106]
	s_waitcnt vmcnt(25) lgkmcnt(1)
	v_mul_f64 v[113:114], v[3:4], v[123:124]
	s_waitcnt vmcnt(24)
	v_fma_f64 v[111:112], v[87:88], v[141:142], -v[111:112]
	v_mul_f64 v[105:106], v[1:2], v[123:124]
	v_fma_f64 v[99:100], v[89:90], v[141:142], v[99:100]
	ds_read_b128 v[87:90], v144 offset:1248
	v_add_f64 v[95:96], v[95:96], v[107:108]
	v_add_f64 v[97:98], v[97:98], v[103:104]
	s_waitcnt vmcnt(23) lgkmcnt(1)
	v_mul_f64 v[107:108], v[93:94], v[161:162]
	v_mul_f64 v[103:104], v[91:92], v[161:162]
	s_waitcnt vmcnt(21)
	v_fma_f64 v[113:114], v[1:2], v[129:130], -v[113:114]
	v_fma_f64 v[105:106], v[3:4], v[129:130], v[105:106]
	ds_read_b128 v[1:4], v144 offset:1264
	v_add_f64 v[95:96], v[95:96], v[111:112]
	v_add_f64 v[97:98], v[97:98], v[99:100]
	;; [unrolled: 18-line block ×3, first 2 shown]
	s_waitcnt vmcnt(9) lgkmcnt(1)
	v_mul_f64 v[107:108], v[93:94], v[157:158]
	s_waitcnt vmcnt(8)
	v_fma_f64 v[1:2], v[1:2], v[170:171], -v[113:114]
	v_mul_f64 v[103:104], v[91:92], v[157:158]
	v_fma_f64 v[3:4], v[3:4], v[170:171], v[105:106]
	v_add_f64 v[95:96], v[95:96], v[111:112]
	v_add_f64 v[97:98], v[97:98], v[99:100]
	s_waitcnt vmcnt(7) lgkmcnt(0)
	v_mul_f64 v[105:106], v[89:90], v[163:164]
	v_mul_f64 v[99:100], v[87:88], v[163:164]
	s_waitcnt vmcnt(5)
	v_fma_f64 v[91:92], v[91:92], v[101:102], -v[107:108]
	v_fma_f64 v[93:94], v[93:94], v[101:102], v[103:104]
	v_add_f64 v[1:2], v[95:96], v[1:2]
	v_add_f64 v[3:4], v[97:98], v[3:4]
	s_waitcnt vmcnt(4)
	v_fma_f64 v[87:88], v[87:88], v[167:168], -v[105:106]
	v_fma_f64 v[89:90], v[89:90], v[167:168], v[99:100]
	v_add_f64 v[1:2], v[1:2], v[91:92]
	v_add_f64 v[3:4], v[3:4], v[93:94]
	;; [unrolled: 1-line block ×4, first 2 shown]
	s_waitcnt vmcnt(2)
	v_add_f64 v[1:2], v[109:110], -v[1:2]
	s_waitcnt vmcnt(0)
	v_add_f64 v[3:4], v[145:146], -v[3:4]
	buffer_store_dword v2, off, s[0:3], 0 offset:68
	buffer_store_dword v1, off, s[0:3], 0 offset:64
	;; [unrolled: 1-line block ×4, first 2 shown]
	v_cmpx_lt_u32_e32 2, v0
	s_cbranch_execz .LBB104_255
; %bb.254:
	v_mov_b32_e32 v4, s51
	s_clause 0x3
	buffer_load_dword v1, v4, s[0:3], 0 offen
	buffer_load_dword v2, v4, s[0:3], 0 offen offset:4
	buffer_load_dword v3, v4, s[0:3], 0 offen offset:8
	;; [unrolled: 1-line block ×3, first 2 shown]
	buffer_store_dword v144, off, s[0:3], 0 offset:48
	buffer_store_dword v144, off, s[0:3], 0 offset:52
	;; [unrolled: 1-line block ×4, first 2 shown]
	s_waitcnt vmcnt(0)
	ds_write_b128 v143, v[1:4]
.LBB104_255:
	s_or_b32 exec_lo, exec_lo, s4
	s_waitcnt lgkmcnt(0)
	s_waitcnt_vscnt null, 0x0
	s_barrier
	buffer_gl0_inv
	s_clause 0x37
	buffer_load_dword v91, off, s[0:3], 0 offset:72
	buffer_load_dword v92, off, s[0:3], 0 offset:76
	;; [unrolled: 1-line block ×56, first 2 shown]
	ds_read_b128 v[145:148], v144 offset:704
	s_clause 0x2
	buffer_load_dword v140, off, s[0:3], 0 offset:300
	buffer_load_dword v142, off, s[0:3], 0 offset:276
	;; [unrolled: 1-line block ×3, first 2 shown]
	ds_read_b128 v[149:152], v144 offset:720
	s_clause 0x4
	buffer_load_dword v160, off, s[0:3], 0 offset:316
	buffer_load_dword v161, off, s[0:3], 0 offset:328
	;; [unrolled: 1-line block ×5, first 2 shown]
	ds_read_b128 v[153:156], v144 offset:736
	s_clause 0x2
	buffer_load_dword v162, off, s[0:3], 0 offset:332
	buffer_load_dword v167, off, s[0:3], 0 offset:308
	;; [unrolled: 1-line block ×3, first 2 shown]
	s_mov_b32 s4, exec_lo
	s_waitcnt vmcnt(62) lgkmcnt(2)
	v_mul_f64 v[157:158], v[147:148], v[91:92]
	v_mul_f64 v[91:92], v[145:146], v[91:92]
	s_waitcnt lgkmcnt(1)
	v_mul_f64 v[164:165], v[151:152], v[87:88]
	s_waitcnt vmcnt(59) lgkmcnt(0)
	v_mul_f64 v[168:169], v[155:156], v[3:4]
	v_fma_f64 v[145:146], v[145:146], v[89:90], -v[157:158]
	v_mul_f64 v[157:158], v[149:150], v[87:88]
	v_fma_f64 v[91:92], v[147:148], v[89:90], v[91:92]
	s_waitcnt vmcnt(57)
	v_fma_f64 v[149:150], v[149:150], v[1:2], -v[164:165]
	ds_read_b128 v[87:90], v144 offset:752
	v_mul_f64 v[147:148], v[153:154], v[3:4]
	s_waitcnt vmcnt(51)
	v_fma_f64 v[153:154], v[153:154], v[107:108], -v[168:169]
	v_add_f64 v[145:146], v[145:146], 0
	v_fma_f64 v[151:152], v[151:152], v[1:2], v[157:158]
	v_add_f64 v[91:92], v[91:92], 0
	s_clause 0x4
	buffer_load_dword v158, off, s[0:3], 0 offset:348
	buffer_load_dword v170, off, s[0:3], 0 offset:360
	;; [unrolled: 1-line block ×5, first 2 shown]
	s_waitcnt lgkmcnt(0)
	v_mul_f64 v[173:174], v[87:88], v[95:96]
	v_mul_f64 v[95:96], v[89:90], v[95:96]
	ds_read_b128 v[1:4], v144 offset:768
	v_fma_f64 v[107:108], v[155:156], v[107:108], v[147:148]
	v_add_f64 v[149:150], v[145:146], v[149:150]
	v_add_f64 v[91:92], v[91:92], v[151:152]
	s_clause 0x2
	buffer_load_dword v171, off, s[0:3], 0 offset:364
	buffer_load_dword v152, off, s[0:3], 0 offset:340
	;; [unrolled: 1-line block ×3, first 2 shown]
	s_waitcnt vmcnt(58) lgkmcnt(0)
	v_mul_f64 v[155:156], v[1:2], v[99:100]
	v_mul_f64 v[99:100], v[3:4], v[99:100]
	s_waitcnt vmcnt(56)
	v_fma_f64 v[95:96], v[87:88], v[101:102], -v[95:96]
	ds_read_b128 v[145:148], v144 offset:784
	v_fma_f64 v[101:102], v[89:90], v[101:102], v[173:174]
	v_add_f64 v[149:150], v[149:150], v[153:154]
	v_add_f64 v[91:92], v[91:92], v[107:108]
	s_clause 0x4
	buffer_load_dword v108, off, s[0:3], 0 offset:380
	buffer_load_dword v153, off, s[0:3], 0 offset:392
	;; [unrolled: 1-line block ×5, first 2 shown]
	ds_read_b128 v[87:90], v144 offset:800
	s_waitcnt vmcnt(57) lgkmcnt(1)
	v_mul_f64 v[174:175], v[145:146], v[103:104]
	v_mul_f64 v[103:104], v[147:148], v[103:104]
	s_waitcnt vmcnt(56)
	v_fma_f64 v[99:100], v[1:2], v[93:94], -v[99:100]
	v_fma_f64 v[93:94], v[3:4], v[93:94], v[155:156]
	v_add_f64 v[95:96], v[149:150], v[95:96]
	v_add_f64 v[91:92], v[91:92], v[101:102]
	s_clause 0x2
	buffer_load_dword v154, off, s[0:3], 0 offset:396
	buffer_load_dword v102, off, s[0:3], 0 offset:372
	;; [unrolled: 1-line block ×3, first 2 shown]
	s_waitcnt vmcnt(58) lgkmcnt(0)
	v_mul_f64 v[149:150], v[87:88], v[109:110]
	v_mul_f64 v[109:110], v[89:90], v[109:110]
	s_waitcnt vmcnt(56)
	v_fma_f64 v[103:104], v[145:146], v[111:112], -v[103:104]
	ds_read_b128 v[1:4], v144 offset:816
	v_add_f64 v[95:96], v[95:96], v[99:100]
	v_fma_f64 v[99:100], v[147:148], v[111:112], v[174:175]
	v_add_f64 v[111:112], v[91:92], v[93:94]
	s_clause 0x4
	buffer_load_dword v146, off, s[0:3], 0 offset:412
	buffer_load_dword v147, off, s[0:3], 0 offset:424
	;; [unrolled: 1-line block ×5, first 2 shown]
	ds_read_b128 v[91:94], v144 offset:832
	s_waitcnt vmcnt(57) lgkmcnt(1)
	v_mul_f64 v[174:175], v[1:2], v[113:114]
	v_mul_f64 v[113:114], v[3:4], v[113:114]
	s_waitcnt vmcnt(56)
	v_fma_f64 v[109:110], v[87:88], v[97:98], -v[109:110]
	v_fma_f64 v[97:98], v[89:90], v[97:98], v[149:150]
	v_add_f64 v[95:96], v[95:96], v[103:104]
	s_clause 0x2
	buffer_load_dword v148, off, s[0:3], 0 offset:428
	buffer_load_dword v104, off, s[0:3], 0 offset:404
	;; [unrolled: 1-line block ×3, first 2 shown]
	v_add_f64 v[99:100], v[111:112], v[99:100]
	s_waitcnt vmcnt(58) lgkmcnt(0)
	v_mul_f64 v[111:112], v[91:92], v[117:118]
	v_mul_f64 v[117:118], v[93:94], v[117:118]
	ds_read_b128 v[87:90], v144 offset:848
	s_waitcnt vmcnt(56)
	v_fma_f64 v[113:114], v[1:2], v[119:120], -v[113:114]
	v_add_f64 v[95:96], v[95:96], v[109:110]
	v_fma_f64 v[109:110], v[3:4], v[119:120], v[174:175]
	v_add_f64 v[97:98], v[99:100], v[97:98]
	s_clause 0x4
	buffer_load_dword v100, off, s[0:3], 0 offset:444
	buffer_load_dword v119, off, s[0:3], 0 offset:456
	;; [unrolled: 1-line block ×5, first 2 shown]
	s_waitcnt vmcnt(57) lgkmcnt(0)
	v_mul_f64 v[174:175], v[87:88], v[121:122]
	v_mul_f64 v[121:122], v[89:90], v[121:122]
	s_waitcnt vmcnt(56)
	v_fma_f64 v[117:118], v[91:92], v[105:106], -v[117:118]
	ds_read_b128 v[1:4], v144 offset:864
	v_fma_f64 v[105:106], v[93:94], v[105:106], v[111:112]
	v_add_f64 v[95:96], v[95:96], v[113:114]
	v_add_f64 v[97:98], v[97:98], v[109:110]
	s_clause 0x2
	buffer_load_dword v120, off, s[0:3], 0 offset:460
	buffer_load_dword v110, off, s[0:3], 0 offset:436
	;; [unrolled: 1-line block ×3, first 2 shown]
	ds_read_b128 v[91:94], v144 offset:880
	s_waitcnt vmcnt(58) lgkmcnt(1)
	v_mul_f64 v[113:114], v[3:4], v[125:126]
	s_waitcnt vmcnt(56)
	v_fma_f64 v[121:122], v[87:88], v[127:128], -v[121:122]
	v_mul_f64 v[111:112], v[1:2], v[125:126]
	v_add_f64 v[95:96], v[95:96], v[117:118]
	v_fma_f64 v[117:118], v[89:90], v[127:128], v[174:175]
	v_add_f64 v[97:98], v[97:98], v[105:106]
	s_clause 0x4
	buffer_load_dword v106, off, s[0:3], 0 offset:476
	buffer_load_dword v125, off, s[0:3], 0 offset:488
	;; [unrolled: 1-line block ×5, first 2 shown]
	s_waitcnt vmcnt(57) lgkmcnt(0)
	v_mul_f64 v[174:175], v[91:92], v[129:130]
	v_mul_f64 v[128:129], v[93:94], v[129:130]
	s_waitcnt vmcnt(56)
	v_fma_f64 v[113:114], v[1:2], v[115:116], -v[113:114]
	ds_read_b128 v[87:90], v144 offset:896
	v_fma_f64 v[111:112], v[3:4], v[115:116], v[111:112]
	s_clause 0x2
	buffer_load_dword v126, off, s[0:3], 0 offset:492
	buffer_load_dword v116, off, s[0:3], 0 offset:468
	;; [unrolled: 1-line block ×3, first 2 shown]
	ds_read_b128 v[1:4], v144 offset:912
	v_add_f64 v[95:96], v[95:96], v[121:122]
	v_add_f64 v[97:98], v[97:98], v[117:118]
	s_waitcnt vmcnt(58) lgkmcnt(1)
	v_mul_f64 v[121:122], v[89:90], v[133:134]
	s_waitcnt vmcnt(56)
	v_fma_f64 v[129:130], v[91:92], v[135:136], -v[128:129]
	v_mul_f64 v[117:118], v[87:88], v[133:134]
	v_add_f64 v[95:96], v[95:96], v[113:114]
	v_fma_f64 v[113:114], v[93:94], v[135:136], v[174:175]
	v_add_f64 v[97:98], v[97:98], v[111:112]
	s_clause 0x4
	buffer_load_dword v112, off, s[0:3], 0 offset:508
	buffer_load_dword v133, off, s[0:3], 0 offset:520
	;; [unrolled: 1-line block ×5, first 2 shown]
	s_waitcnt vmcnt(57) lgkmcnt(0)
	v_mul_f64 v[174:175], v[1:2], v[137:138]
	v_mul_f64 v[136:137], v[3:4], v[137:138]
	s_waitcnt vmcnt(56)
	v_fma_f64 v[121:122], v[87:88], v[123:124], -v[121:122]
	ds_read_b128 v[91:94], v144 offset:928
	v_fma_f64 v[117:118], v[89:90], v[123:124], v[117:118]
	v_add_f64 v[95:96], v[95:96], v[129:130]
	v_add_f64 v[97:98], v[97:98], v[113:114]
	s_clause 0x2
	buffer_load_dword v134, off, s[0:3], 0 offset:524
	buffer_load_dword v114, off, s[0:3], 0 offset:500
	;; [unrolled: 1-line block ×3, first 2 shown]
	ds_read_b128 v[87:90], v144 offset:944
	s_waitcnt vmcnt(58) lgkmcnt(1)
	v_mul_f64 v[129:130], v[93:94], v[139:140]
	s_waitcnt vmcnt(56)
	v_fma_f64 v[137:138], v[1:2], v[141:142], -v[136:137]
	v_mul_f64 v[123:124], v[91:92], v[139:140]
	v_add_f64 v[95:96], v[95:96], v[121:122]
	v_fma_f64 v[121:122], v[3:4], v[141:142], v[174:175]
	v_add_f64 v[97:98], v[97:98], v[117:118]
	s_clause 0x4
	buffer_load_dword v118, off, s[0:3], 0 offset:540
	buffer_load_dword v139, off, s[0:3], 0 offset:552
	;; [unrolled: 1-line block ×5, first 2 shown]
	s_waitcnt vmcnt(57) lgkmcnt(0)
	v_mul_f64 v[174:175], v[87:88], v[159:160]
	v_mul_f64 v[159:160], v[89:90], v[159:160]
	s_waitcnt vmcnt(56)
	v_fma_f64 v[129:130], v[91:92], v[131:132], -v[129:130]
	ds_read_b128 v[1:4], v144 offset:960
	v_fma_f64 v[123:124], v[93:94], v[131:132], v[123:124]
	v_add_f64 v[95:96], v[95:96], v[137:138]
	v_add_f64 v[97:98], v[97:98], v[121:122]
	s_clause 0x2
	buffer_load_dword v140, off, s[0:3], 0 offset:556
	buffer_load_dword v122, off, s[0:3], 0 offset:532
	;; [unrolled: 1-line block ×3, first 2 shown]
	ds_read_b128 v[91:94], v144 offset:976
	s_waitcnt vmcnt(58) lgkmcnt(1)
	v_mul_f64 v[137:138], v[3:4], v[161:162]
	s_waitcnt vmcnt(56)
	v_fma_f64 v[159:160], v[87:88], v[166:167], -v[159:160]
	v_mul_f64 v[131:132], v[1:2], v[161:162]
	v_add_f64 v[95:96], v[95:96], v[129:130]
	v_fma_f64 v[129:130], v[89:90], v[166:167], v[174:175]
	v_add_f64 v[97:98], v[97:98], v[123:124]
	s_clause 0x4
	buffer_load_dword v124, off, s[0:3], 0 offset:572
	buffer_load_dword v161, off, s[0:3], 0 offset:584
	;; [unrolled: 1-line block ×5, first 2 shown]
	ds_read_b128 v[87:90], v144 offset:992
	s_waitcnt vmcnt(57) lgkmcnt(1)
	v_mul_f64 v[166:167], v[91:92], v[157:158]
	v_mul_f64 v[157:158], v[93:94], v[157:158]
	s_waitcnt vmcnt(56)
	v_fma_f64 v[137:138], v[1:2], v[163:164], -v[137:138]
	v_fma_f64 v[131:132], v[3:4], v[163:164], v[131:132]
	v_add_f64 v[95:96], v[95:96], v[159:160]
	v_add_f64 v[97:98], v[97:98], v[129:130]
	s_clause 0x2
	buffer_load_dword v162, off, s[0:3], 0 offset:588
	buffer_load_dword v130, off, s[0:3], 0 offset:564
	;; [unrolled: 1-line block ×3, first 2 shown]
	ds_read_b128 v[1:4], v144 offset:1008
	s_waitcnt vmcnt(58) lgkmcnt(1)
	v_mul_f64 v[163:164], v[89:90], v[170:171]
	v_mul_f64 v[159:160], v[87:88], v[170:171]
	s_waitcnt vmcnt(56)
	v_fma_f64 v[157:158], v[91:92], v[151:152], -v[157:158]
	v_add_f64 v[95:96], v[95:96], v[137:138]
	v_fma_f64 v[137:138], v[93:94], v[151:152], v[166:167]
	v_add_f64 v[97:98], v[97:98], v[131:132]
	s_clause 0x4
	buffer_load_dword v132, off, s[0:3], 0 offset:604
	buffer_load_dword v151, off, s[0:3], 0 offset:616
	;; [unrolled: 1-line block ×5, first 2 shown]
	ds_read_b128 v[91:94], v144 offset:1024
	s_waitcnt vmcnt(57) lgkmcnt(1)
	v_mul_f64 v[174:175], v[1:2], v[107:108]
	v_mul_f64 v[107:108], v[3:4], v[107:108]
	s_waitcnt vmcnt(56)
	v_fma_f64 v[163:164], v[87:88], v[172:173], -v[163:164]
	v_add_f64 v[95:96], v[95:96], v[157:158]
	v_fma_f64 v[157:158], v[89:90], v[172:173], v[159:160]
	v_add_f64 v[97:98], v[97:98], v[137:138]
	s_clause 0x2
	buffer_load_dword v152, off, s[0:3], 0 offset:620
	buffer_load_dword v138, off, s[0:3], 0 offset:596
	;; [unrolled: 1-line block ×3, first 2 shown]
	ds_read_b128 v[87:90], v144 offset:1040
	s_waitcnt vmcnt(58) lgkmcnt(1)
	v_mul_f64 v[159:160], v[91:92], v[153:154]
	v_mul_f64 v[153:154], v[93:94], v[153:154]
	s_waitcnt vmcnt(56)
	v_fma_f64 v[107:108], v[1:2], v[101:102], -v[107:108]
	v_fma_f64 v[101:102], v[3:4], v[101:102], v[174:175]
	v_add_f64 v[95:96], v[95:96], v[163:164]
	v_add_f64 v[97:98], v[97:98], v[157:158]
	s_clause 0x4
	buffer_load_dword v158, off, s[0:3], 0 offset:636
	buffer_load_dword v163, off, s[0:3], 0 offset:648
	;; [unrolled: 1-line block ×5, first 2 shown]
	ds_read_b128 v[1:4], v144 offset:1056
	s_waitcnt vmcnt(57) lgkmcnt(1)
	v_mul_f64 v[172:173], v[87:88], v[145:146]
	v_mul_f64 v[145:146], v[89:90], v[145:146]
	s_waitcnt vmcnt(56)
	v_fma_f64 v[153:154], v[91:92], v[168:169], -v[153:154]
	v_add_f64 v[95:96], v[95:96], v[107:108]
	v_fma_f64 v[107:108], v[93:94], v[168:169], v[159:160]
	v_add_f64 v[97:98], v[97:98], v[101:102]
	s_clause 0x2
	buffer_load_dword v164, off, s[0:3], 0 offset:652
	buffer_load_dword v102, off, s[0:3], 0 offset:628
	;; [unrolled: 1-line block ×3, first 2 shown]
	ds_read_b128 v[91:94], v144 offset:1072
	s_waitcnt vmcnt(58) lgkmcnt(1)
	v_mul_f64 v[159:160], v[1:2], v[147:148]
	v_mul_f64 v[147:148], v[3:4], v[147:148]
	s_waitcnt vmcnt(56)
	v_fma_f64 v[145:146], v[87:88], v[103:104], -v[145:146]
	v_fma_f64 v[103:104], v[89:90], v[103:104], v[172:173]
	v_add_f64 v[95:96], v[95:96], v[153:154]
	v_add_f64 v[97:98], v[97:98], v[107:108]
	s_clause 0x2
	buffer_load_dword v108, off, s[0:3], 0 offset:668
	buffer_load_dword v107, off, s[0:3], 0 offset:664
	;; [unrolled: 1-line block ×3, first 2 shown]
	ds_read_b128 v[87:90], v144 offset:1088
	s_waitcnt vmcnt(55) lgkmcnt(1)
	v_mul_f64 v[153:154], v[91:92], v[99:100]
	v_mul_f64 v[99:100], v[93:94], v[99:100]
	s_waitcnt vmcnt(54)
	v_fma_f64 v[147:148], v[1:2], v[155:156], -v[147:148]
	v_add_f64 v[95:96], v[95:96], v[145:146]
	v_fma_f64 v[145:146], v[3:4], v[155:156], v[159:160]
	v_add_f64 v[97:98], v[97:98], v[103:104]
	s_clause 0x1
	buffer_load_dword v104, off, s[0:3], 0 offset:660
	buffer_load_dword v103, off, s[0:3], 0 offset:656
	ds_read_b128 v[1:4], v144 offset:1104
	s_waitcnt vmcnt(55) lgkmcnt(1)
	v_mul_f64 v[155:156], v[87:88], v[119:120]
	v_mul_f64 v[119:120], v[89:90], v[119:120]
	s_waitcnt vmcnt(53)
	v_fma_f64 v[99:100], v[91:92], v[109:110], -v[99:100]
	v_fma_f64 v[109:110], v[93:94], v[109:110], v[153:154]
	ds_read_b128 v[91:94], v144 offset:1120
	v_add_f64 v[95:96], v[95:96], v[147:148]
	v_add_f64 v[97:98], v[97:98], v[145:146]
	s_waitcnt vmcnt(49) lgkmcnt(1)
	v_mul_f64 v[145:146], v[1:2], v[105:106]
	v_mul_f64 v[105:106], v[3:4], v[105:106]
	s_waitcnt vmcnt(48)
	v_fma_f64 v[119:120], v[87:88], v[149:150], -v[119:120]
	v_add_f64 v[95:96], v[95:96], v[99:100]
	v_fma_f64 v[99:100], v[89:90], v[149:150], v[155:156]
	v_add_f64 v[97:98], v[97:98], v[109:110]
	s_clause 0x3
	buffer_load_dword v109, off, s[0:3], 0 offset:48
	buffer_load_dword v110, off, s[0:3], 0 offset:52
	;; [unrolled: 1-line block ×4, first 2 shown]
	s_waitcnt vmcnt(51) lgkmcnt(0)
	v_mul_f64 v[149:150], v[91:92], v[125:126]
	v_mul_f64 v[125:126], v[93:94], v[125:126]
	ds_read_b128 v[87:90], v144 offset:1136
	s_waitcnt vmcnt(49)
	v_fma_f64 v[105:106], v[1:2], v[115:116], -v[105:106]
	v_fma_f64 v[115:116], v[3:4], v[115:116], v[145:146]
	ds_read_b128 v[1:4], v144 offset:1152
	v_add_f64 v[95:96], v[95:96], v[119:120]
	v_add_f64 v[97:98], v[97:98], v[99:100]
	s_waitcnt vmcnt(45) lgkmcnt(1)
	v_mul_f64 v[99:100], v[87:88], v[111:112]
	v_mul_f64 v[111:112], v[89:90], v[111:112]
	s_waitcnt vmcnt(44)
	v_fma_f64 v[119:120], v[91:92], v[127:128], -v[125:126]
	v_add_f64 v[95:96], v[95:96], v[105:106]
	v_fma_f64 v[105:106], v[93:94], v[127:128], v[149:150]
	v_add_f64 v[97:98], v[97:98], v[115:116]
	ds_read_b128 v[91:94], v144 offset:1168
	s_waitcnt vmcnt(43) lgkmcnt(1)
	v_mul_f64 v[125:126], v[3:4], v[133:134]
	v_mul_f64 v[115:116], v[1:2], v[133:134]
	s_waitcnt vmcnt(41)
	v_fma_f64 v[111:112], v[87:88], v[113:114], -v[111:112]
	v_fma_f64 v[99:100], v[89:90], v[113:114], v[99:100]
	ds_read_b128 v[87:90], v144 offset:1184
	v_add_f64 v[95:96], v[95:96], v[119:120]
	v_add_f64 v[97:98], v[97:98], v[105:106]
	s_waitcnt vmcnt(37) lgkmcnt(1)
	v_mul_f64 v[105:106], v[91:92], v[117:118]
	v_mul_f64 v[113:114], v[93:94], v[117:118]
	s_waitcnt vmcnt(36)
	v_fma_f64 v[117:118], v[1:2], v[135:136], -v[125:126]
	v_add_f64 v[95:96], v[95:96], v[111:112]
	v_fma_f64 v[111:112], v[3:4], v[135:136], v[115:116]
	v_add_f64 v[97:98], v[97:98], v[99:100]
	ds_read_b128 v[1:4], v144 offset:1200
	s_waitcnt vmcnt(35) lgkmcnt(1)
	v_mul_f64 v[115:116], v[89:90], v[139:140]
	v_mul_f64 v[99:100], v[87:88], v[139:140]
	s_waitcnt vmcnt(33)
	v_fma_f64 v[113:114], v[91:92], v[121:122], -v[113:114]
	v_fma_f64 v[105:106], v[93:94], v[121:122], v[105:106]
	ds_read_b128 v[91:94], v144 offset:1216
	v_add_f64 v[95:96], v[95:96], v[117:118]
	v_add_f64 v[97:98], v[97:98], v[111:112]
	s_waitcnt vmcnt(29) lgkmcnt(1)
	v_mul_f64 v[117:118], v[3:4], v[123:124]
	s_waitcnt vmcnt(28)
	v_fma_f64 v[115:116], v[87:88], v[141:142], -v[115:116]
	v_mul_f64 v[111:112], v[1:2], v[123:124]
	v_fma_f64 v[99:100], v[89:90], v[141:142], v[99:100]
	ds_read_b128 v[87:90], v144 offset:1232
	v_add_f64 v[95:96], v[95:96], v[113:114]
	v_add_f64 v[97:98], v[97:98], v[105:106]
	s_waitcnt vmcnt(27) lgkmcnt(1)
	v_mul_f64 v[113:114], v[93:94], v[161:162]
	v_mul_f64 v[105:106], v[91:92], v[161:162]
	s_waitcnt vmcnt(25)
	v_fma_f64 v[117:118], v[1:2], v[129:130], -v[117:118]
	v_fma_f64 v[111:112], v[3:4], v[129:130], v[111:112]
	ds_read_b128 v[1:4], v144 offset:1248
	v_add_f64 v[95:96], v[95:96], v[115:116]
	v_add_f64 v[97:98], v[97:98], v[99:100]
	s_waitcnt vmcnt(21) lgkmcnt(1)
	v_mul_f64 v[115:116], v[89:90], v[131:132]
	s_waitcnt vmcnt(20)
	v_fma_f64 v[113:114], v[91:92], v[165:166], -v[113:114]
	v_mul_f64 v[99:100], v[87:88], v[131:132]
	v_fma_f64 v[105:106], v[93:94], v[165:166], v[105:106]
	ds_read_b128 v[91:94], v144 offset:1264
	v_add_f64 v[95:96], v[95:96], v[117:118]
	v_add_f64 v[97:98], v[97:98], v[111:112]
	;; [unrolled: 18-line block ×3, first 2 shown]
	s_waitcnt vmcnt(11) lgkmcnt(1)
	v_mul_f64 v[115:116], v[89:90], v[163:164]
	v_mul_f64 v[99:100], v[87:88], v[163:164]
	s_waitcnt vmcnt(9)
	v_fma_f64 v[91:92], v[91:92], v[101:102], -v[113:114]
	v_fma_f64 v[93:94], v[93:94], v[101:102], v[105:106]
	v_add_f64 v[95:96], v[95:96], v[117:118]
	v_add_f64 v[97:98], v[97:98], v[111:112]
	s_waitcnt vmcnt(7) lgkmcnt(0)
	v_mul_f64 v[105:106], v[3:4], v[107:108]
	s_waitcnt vmcnt(6)
	v_fma_f64 v[87:88], v[87:88], v[167:168], -v[115:116]
	v_mul_f64 v[101:102], v[1:2], v[107:108]
	v_fma_f64 v[89:90], v[89:90], v[167:168], v[99:100]
	v_add_f64 v[91:92], v[95:96], v[91:92]
	v_add_f64 v[93:94], v[97:98], v[93:94]
	s_waitcnt vmcnt(4)
	v_fma_f64 v[1:2], v[1:2], v[103:104], -v[105:106]
	v_fma_f64 v[3:4], v[3:4], v[103:104], v[101:102]
	v_add_f64 v[87:88], v[91:92], v[87:88]
	v_add_f64 v[89:90], v[93:94], v[89:90]
	;; [unrolled: 1-line block ×4, first 2 shown]
	s_waitcnt vmcnt(2)
	v_add_f64 v[1:2], v[109:110], -v[1:2]
	s_waitcnt vmcnt(0)
	v_add_f64 v[3:4], v[147:148], -v[3:4]
	buffer_store_dword v2, off, s[0:3], 0 offset:52
	buffer_store_dword v1, off, s[0:3], 0 offset:48
	;; [unrolled: 1-line block ×4, first 2 shown]
	v_cmpx_lt_u32_e32 1, v0
	s_cbranch_execz .LBB104_257
; %bb.256:
	v_mov_b32_e32 v4, s52
	v_mov_b32_e32 v87, 0
	s_clause 0x3
	buffer_load_dword v1, v4, s[0:3], 0 offen
	buffer_load_dword v2, v4, s[0:3], 0 offen offset:4
	buffer_load_dword v3, v4, s[0:3], 0 offen offset:8
	;; [unrolled: 1-line block ×3, first 2 shown]
	buffer_store_dword v87, off, s[0:3], 0 offset:32
	buffer_store_dword v87, off, s[0:3], 0 offset:36
	;; [unrolled: 1-line block ×4, first 2 shown]
	s_waitcnt vmcnt(0)
	ds_write_b128 v143, v[1:4]
.LBB104_257:
	s_or_b32 exec_lo, exec_lo, s4
	s_waitcnt lgkmcnt(0)
	s_waitcnt_vscnt null, 0x0
	s_barrier
	buffer_gl0_inv
	s_clause 0x37
	buffer_load_dword v91, off, s[0:3], 0 offset:56
	buffer_load_dword v92, off, s[0:3], 0 offset:60
	;; [unrolled: 1-line block ×56, first 2 shown]
	v_mov_b32_e32 v144, 0
	s_mov_b32 s4, exec_lo
	ds_read_b128 v[145:148], v144 offset:688
	s_clause 0x2
	buffer_load_dword v140, off, s[0:3], 0 offset:284
	buffer_load_dword v142, off, s[0:3], 0 offset:260
	;; [unrolled: 1-line block ×3, first 2 shown]
	ds_read_b128 v[149:152], v144 offset:704
	s_clause 0x4
	buffer_load_dword v160, off, s[0:3], 0 offset:300
	buffer_load_dword v161, off, s[0:3], 0 offset:312
	;; [unrolled: 1-line block ×5, first 2 shown]
	ds_read_b128 v[153:156], v144 offset:720
	s_clause 0x2
	buffer_load_dword v162, off, s[0:3], 0 offset:316
	buffer_load_dword v167, off, s[0:3], 0 offset:292
	;; [unrolled: 1-line block ×3, first 2 shown]
	s_waitcnt vmcnt(62) lgkmcnt(2)
	v_mul_f64 v[157:158], v[147:148], v[91:92]
	v_mul_f64 v[91:92], v[145:146], v[91:92]
	s_waitcnt lgkmcnt(1)
	v_mul_f64 v[164:165], v[151:152], v[87:88]
	s_waitcnt vmcnt(59) lgkmcnt(0)
	v_mul_f64 v[168:169], v[155:156], v[3:4]
	v_fma_f64 v[145:146], v[145:146], v[89:90], -v[157:158]
	v_mul_f64 v[157:158], v[149:150], v[87:88]
	v_fma_f64 v[91:92], v[147:148], v[89:90], v[91:92]
	s_waitcnt vmcnt(57)
	v_fma_f64 v[149:150], v[149:150], v[1:2], -v[164:165]
	ds_read_b128 v[87:90], v144 offset:736
	v_mul_f64 v[147:148], v[153:154], v[3:4]
	s_waitcnt vmcnt(51)
	v_fma_f64 v[153:154], v[153:154], v[107:108], -v[168:169]
	v_add_f64 v[145:146], v[145:146], 0
	v_fma_f64 v[151:152], v[151:152], v[1:2], v[157:158]
	v_add_f64 v[91:92], v[91:92], 0
	s_clause 0x4
	buffer_load_dword v158, off, s[0:3], 0 offset:332
	buffer_load_dword v170, off, s[0:3], 0 offset:344
	;; [unrolled: 1-line block ×5, first 2 shown]
	s_waitcnt lgkmcnt(0)
	v_mul_f64 v[173:174], v[87:88], v[95:96]
	v_mul_f64 v[95:96], v[89:90], v[95:96]
	ds_read_b128 v[1:4], v144 offset:752
	v_fma_f64 v[107:108], v[155:156], v[107:108], v[147:148]
	v_add_f64 v[149:150], v[145:146], v[149:150]
	v_add_f64 v[91:92], v[91:92], v[151:152]
	s_clause 0x2
	buffer_load_dword v171, off, s[0:3], 0 offset:348
	buffer_load_dword v152, off, s[0:3], 0 offset:324
	;; [unrolled: 1-line block ×3, first 2 shown]
	s_waitcnt vmcnt(58) lgkmcnt(0)
	v_mul_f64 v[155:156], v[1:2], v[99:100]
	v_mul_f64 v[99:100], v[3:4], v[99:100]
	s_waitcnt vmcnt(56)
	v_fma_f64 v[95:96], v[87:88], v[101:102], -v[95:96]
	ds_read_b128 v[145:148], v144 offset:768
	v_fma_f64 v[101:102], v[89:90], v[101:102], v[173:174]
	v_add_f64 v[149:150], v[149:150], v[153:154]
	v_add_f64 v[91:92], v[91:92], v[107:108]
	s_clause 0x4
	buffer_load_dword v108, off, s[0:3], 0 offset:364
	buffer_load_dword v153, off, s[0:3], 0 offset:376
	;; [unrolled: 1-line block ×5, first 2 shown]
	ds_read_b128 v[87:90], v144 offset:784
	s_waitcnt vmcnt(57) lgkmcnt(1)
	v_mul_f64 v[174:175], v[145:146], v[103:104]
	v_mul_f64 v[103:104], v[147:148], v[103:104]
	s_waitcnt vmcnt(56)
	v_fma_f64 v[99:100], v[1:2], v[93:94], -v[99:100]
	v_fma_f64 v[93:94], v[3:4], v[93:94], v[155:156]
	v_add_f64 v[95:96], v[149:150], v[95:96]
	v_add_f64 v[91:92], v[91:92], v[101:102]
	s_clause 0x2
	buffer_load_dword v154, off, s[0:3], 0 offset:380
	buffer_load_dword v102, off, s[0:3], 0 offset:356
	;; [unrolled: 1-line block ×3, first 2 shown]
	s_waitcnt vmcnt(58) lgkmcnt(0)
	v_mul_f64 v[149:150], v[87:88], v[109:110]
	v_mul_f64 v[109:110], v[89:90], v[109:110]
	s_waitcnt vmcnt(56)
	v_fma_f64 v[103:104], v[145:146], v[111:112], -v[103:104]
	ds_read_b128 v[1:4], v144 offset:800
	v_add_f64 v[95:96], v[95:96], v[99:100]
	v_fma_f64 v[99:100], v[147:148], v[111:112], v[174:175]
	v_add_f64 v[111:112], v[91:92], v[93:94]
	s_clause 0x4
	buffer_load_dword v146, off, s[0:3], 0 offset:396
	buffer_load_dword v147, off, s[0:3], 0 offset:408
	;; [unrolled: 1-line block ×5, first 2 shown]
	ds_read_b128 v[91:94], v144 offset:816
	s_waitcnt vmcnt(57) lgkmcnt(1)
	v_mul_f64 v[174:175], v[1:2], v[113:114]
	v_mul_f64 v[113:114], v[3:4], v[113:114]
	s_waitcnt vmcnt(56)
	v_fma_f64 v[109:110], v[87:88], v[97:98], -v[109:110]
	v_fma_f64 v[97:98], v[89:90], v[97:98], v[149:150]
	v_add_f64 v[95:96], v[95:96], v[103:104]
	s_clause 0x2
	buffer_load_dword v148, off, s[0:3], 0 offset:412
	buffer_load_dword v104, off, s[0:3], 0 offset:388
	;; [unrolled: 1-line block ×3, first 2 shown]
	v_add_f64 v[99:100], v[111:112], v[99:100]
	s_waitcnt vmcnt(58) lgkmcnt(0)
	v_mul_f64 v[111:112], v[91:92], v[117:118]
	v_mul_f64 v[117:118], v[93:94], v[117:118]
	ds_read_b128 v[87:90], v144 offset:832
	s_waitcnt vmcnt(56)
	v_fma_f64 v[113:114], v[1:2], v[119:120], -v[113:114]
	v_add_f64 v[95:96], v[95:96], v[109:110]
	v_fma_f64 v[109:110], v[3:4], v[119:120], v[174:175]
	v_add_f64 v[97:98], v[99:100], v[97:98]
	s_clause 0x4
	buffer_load_dword v100, off, s[0:3], 0 offset:428
	buffer_load_dword v119, off, s[0:3], 0 offset:440
	;; [unrolled: 1-line block ×5, first 2 shown]
	s_waitcnt vmcnt(57) lgkmcnt(0)
	v_mul_f64 v[174:175], v[87:88], v[121:122]
	v_mul_f64 v[121:122], v[89:90], v[121:122]
	s_waitcnt vmcnt(56)
	v_fma_f64 v[117:118], v[91:92], v[105:106], -v[117:118]
	ds_read_b128 v[1:4], v144 offset:848
	v_fma_f64 v[105:106], v[93:94], v[105:106], v[111:112]
	v_add_f64 v[95:96], v[95:96], v[113:114]
	v_add_f64 v[97:98], v[97:98], v[109:110]
	s_clause 0x2
	buffer_load_dword v120, off, s[0:3], 0 offset:444
	buffer_load_dword v110, off, s[0:3], 0 offset:420
	buffer_load_dword v109, off, s[0:3], 0 offset:416
	ds_read_b128 v[91:94], v144 offset:864
	s_waitcnt vmcnt(58) lgkmcnt(1)
	v_mul_f64 v[113:114], v[3:4], v[125:126]
	s_waitcnt vmcnt(56)
	v_fma_f64 v[121:122], v[87:88], v[127:128], -v[121:122]
	v_mul_f64 v[111:112], v[1:2], v[125:126]
	v_add_f64 v[95:96], v[95:96], v[117:118]
	v_fma_f64 v[117:118], v[89:90], v[127:128], v[174:175]
	v_add_f64 v[97:98], v[97:98], v[105:106]
	s_clause 0x4
	buffer_load_dword v106, off, s[0:3], 0 offset:460
	buffer_load_dword v125, off, s[0:3], 0 offset:472
	;; [unrolled: 1-line block ×5, first 2 shown]
	s_waitcnt vmcnt(57) lgkmcnt(0)
	v_mul_f64 v[174:175], v[91:92], v[129:130]
	v_mul_f64 v[128:129], v[93:94], v[129:130]
	s_waitcnt vmcnt(56)
	v_fma_f64 v[113:114], v[1:2], v[115:116], -v[113:114]
	ds_read_b128 v[87:90], v144 offset:880
	v_fma_f64 v[111:112], v[3:4], v[115:116], v[111:112]
	s_clause 0x2
	buffer_load_dword v126, off, s[0:3], 0 offset:476
	buffer_load_dword v116, off, s[0:3], 0 offset:452
	;; [unrolled: 1-line block ×3, first 2 shown]
	ds_read_b128 v[1:4], v144 offset:896
	v_add_f64 v[95:96], v[95:96], v[121:122]
	v_add_f64 v[97:98], v[97:98], v[117:118]
	s_waitcnt vmcnt(58) lgkmcnt(1)
	v_mul_f64 v[121:122], v[89:90], v[133:134]
	s_waitcnt vmcnt(56)
	v_fma_f64 v[129:130], v[91:92], v[135:136], -v[128:129]
	v_mul_f64 v[117:118], v[87:88], v[133:134]
	v_add_f64 v[95:96], v[95:96], v[113:114]
	v_fma_f64 v[113:114], v[93:94], v[135:136], v[174:175]
	v_add_f64 v[97:98], v[97:98], v[111:112]
	s_clause 0x4
	buffer_load_dword v112, off, s[0:3], 0 offset:492
	buffer_load_dword v133, off, s[0:3], 0 offset:504
	;; [unrolled: 1-line block ×5, first 2 shown]
	s_waitcnt vmcnt(57) lgkmcnt(0)
	v_mul_f64 v[174:175], v[1:2], v[137:138]
	v_mul_f64 v[136:137], v[3:4], v[137:138]
	s_waitcnt vmcnt(56)
	v_fma_f64 v[121:122], v[87:88], v[123:124], -v[121:122]
	ds_read_b128 v[91:94], v144 offset:912
	v_fma_f64 v[117:118], v[89:90], v[123:124], v[117:118]
	v_add_f64 v[95:96], v[95:96], v[129:130]
	v_add_f64 v[97:98], v[97:98], v[113:114]
	s_clause 0x2
	buffer_load_dword v134, off, s[0:3], 0 offset:508
	buffer_load_dword v114, off, s[0:3], 0 offset:484
	;; [unrolled: 1-line block ×3, first 2 shown]
	ds_read_b128 v[87:90], v144 offset:928
	s_waitcnt vmcnt(58) lgkmcnt(1)
	v_mul_f64 v[129:130], v[93:94], v[139:140]
	s_waitcnt vmcnt(56)
	v_fma_f64 v[137:138], v[1:2], v[141:142], -v[136:137]
	v_mul_f64 v[123:124], v[91:92], v[139:140]
	v_add_f64 v[95:96], v[95:96], v[121:122]
	v_fma_f64 v[121:122], v[3:4], v[141:142], v[174:175]
	v_add_f64 v[97:98], v[97:98], v[117:118]
	s_clause 0x4
	buffer_load_dword v118, off, s[0:3], 0 offset:524
	buffer_load_dword v139, off, s[0:3], 0 offset:536
	;; [unrolled: 1-line block ×5, first 2 shown]
	s_waitcnt vmcnt(57) lgkmcnt(0)
	v_mul_f64 v[174:175], v[87:88], v[159:160]
	v_mul_f64 v[159:160], v[89:90], v[159:160]
	s_waitcnt vmcnt(56)
	v_fma_f64 v[129:130], v[91:92], v[131:132], -v[129:130]
	ds_read_b128 v[1:4], v144 offset:944
	v_fma_f64 v[123:124], v[93:94], v[131:132], v[123:124]
	v_add_f64 v[95:96], v[95:96], v[137:138]
	v_add_f64 v[97:98], v[97:98], v[121:122]
	s_clause 0x2
	buffer_load_dword v140, off, s[0:3], 0 offset:540
	buffer_load_dword v122, off, s[0:3], 0 offset:516
	;; [unrolled: 1-line block ×3, first 2 shown]
	ds_read_b128 v[91:94], v144 offset:960
	s_waitcnt vmcnt(58) lgkmcnt(1)
	v_mul_f64 v[137:138], v[3:4], v[161:162]
	s_waitcnt vmcnt(56)
	v_fma_f64 v[159:160], v[87:88], v[166:167], -v[159:160]
	v_mul_f64 v[131:132], v[1:2], v[161:162]
	v_add_f64 v[95:96], v[95:96], v[129:130]
	v_fma_f64 v[129:130], v[89:90], v[166:167], v[174:175]
	v_add_f64 v[97:98], v[97:98], v[123:124]
	s_clause 0x4
	buffer_load_dword v124, off, s[0:3], 0 offset:556
	buffer_load_dword v161, off, s[0:3], 0 offset:568
	;; [unrolled: 1-line block ×5, first 2 shown]
	ds_read_b128 v[87:90], v144 offset:976
	s_waitcnt vmcnt(57) lgkmcnt(1)
	v_mul_f64 v[166:167], v[91:92], v[157:158]
	v_mul_f64 v[157:158], v[93:94], v[157:158]
	s_waitcnt vmcnt(56)
	v_fma_f64 v[137:138], v[1:2], v[163:164], -v[137:138]
	v_fma_f64 v[131:132], v[3:4], v[163:164], v[131:132]
	v_add_f64 v[95:96], v[95:96], v[159:160]
	v_add_f64 v[97:98], v[97:98], v[129:130]
	s_clause 0x2
	buffer_load_dword v162, off, s[0:3], 0 offset:572
	buffer_load_dword v130, off, s[0:3], 0 offset:548
	;; [unrolled: 1-line block ×3, first 2 shown]
	ds_read_b128 v[1:4], v144 offset:992
	s_waitcnt vmcnt(58) lgkmcnt(1)
	v_mul_f64 v[163:164], v[89:90], v[170:171]
	v_mul_f64 v[159:160], v[87:88], v[170:171]
	s_waitcnt vmcnt(56)
	v_fma_f64 v[157:158], v[91:92], v[151:152], -v[157:158]
	v_add_f64 v[95:96], v[95:96], v[137:138]
	v_fma_f64 v[137:138], v[93:94], v[151:152], v[166:167]
	v_add_f64 v[97:98], v[97:98], v[131:132]
	s_clause 0x4
	buffer_load_dword v132, off, s[0:3], 0 offset:588
	buffer_load_dword v151, off, s[0:3], 0 offset:600
	;; [unrolled: 1-line block ×5, first 2 shown]
	ds_read_b128 v[91:94], v144 offset:1008
	s_waitcnt vmcnt(57) lgkmcnt(1)
	v_mul_f64 v[174:175], v[1:2], v[107:108]
	v_mul_f64 v[107:108], v[3:4], v[107:108]
	s_waitcnt vmcnt(56)
	v_fma_f64 v[163:164], v[87:88], v[172:173], -v[163:164]
	v_add_f64 v[95:96], v[95:96], v[157:158]
	v_fma_f64 v[157:158], v[89:90], v[172:173], v[159:160]
	v_add_f64 v[97:98], v[97:98], v[137:138]
	s_clause 0x2
	buffer_load_dword v152, off, s[0:3], 0 offset:604
	buffer_load_dword v138, off, s[0:3], 0 offset:580
	;; [unrolled: 1-line block ×3, first 2 shown]
	ds_read_b128 v[87:90], v144 offset:1024
	s_waitcnt vmcnt(58) lgkmcnt(1)
	v_mul_f64 v[159:160], v[91:92], v[153:154]
	v_mul_f64 v[153:154], v[93:94], v[153:154]
	s_waitcnt vmcnt(56)
	v_fma_f64 v[107:108], v[1:2], v[101:102], -v[107:108]
	v_fma_f64 v[101:102], v[3:4], v[101:102], v[174:175]
	v_add_f64 v[95:96], v[95:96], v[163:164]
	v_add_f64 v[97:98], v[97:98], v[157:158]
	s_clause 0x4
	buffer_load_dword v158, off, s[0:3], 0 offset:620
	buffer_load_dword v163, off, s[0:3], 0 offset:632
	;; [unrolled: 1-line block ×5, first 2 shown]
	ds_read_b128 v[1:4], v144 offset:1040
	s_waitcnt vmcnt(57) lgkmcnt(1)
	v_mul_f64 v[172:173], v[87:88], v[145:146]
	v_mul_f64 v[145:146], v[89:90], v[145:146]
	s_waitcnt vmcnt(56)
	v_fma_f64 v[153:154], v[91:92], v[168:169], -v[153:154]
	v_add_f64 v[95:96], v[95:96], v[107:108]
	v_fma_f64 v[107:108], v[93:94], v[168:169], v[159:160]
	v_add_f64 v[97:98], v[97:98], v[101:102]
	s_clause 0x2
	buffer_load_dword v164, off, s[0:3], 0 offset:636
	buffer_load_dword v102, off, s[0:3], 0 offset:612
	;; [unrolled: 1-line block ×3, first 2 shown]
	ds_read_b128 v[91:94], v144 offset:1056
	s_waitcnt vmcnt(58) lgkmcnt(1)
	v_mul_f64 v[159:160], v[1:2], v[147:148]
	v_mul_f64 v[147:148], v[3:4], v[147:148]
	s_waitcnt vmcnt(56)
	v_fma_f64 v[145:146], v[87:88], v[103:104], -v[145:146]
	v_fma_f64 v[103:104], v[89:90], v[103:104], v[172:173]
	v_add_f64 v[95:96], v[95:96], v[153:154]
	v_add_f64 v[97:98], v[97:98], v[107:108]
	s_clause 0x4
	buffer_load_dword v108, off, s[0:3], 0 offset:652
	buffer_load_dword v153, off, s[0:3], 0 offset:664
	;; [unrolled: 1-line block ×5, first 2 shown]
	ds_read_b128 v[87:90], v144 offset:1072
	s_waitcnt vmcnt(57) lgkmcnt(1)
	v_mul_f64 v[173:174], v[91:92], v[99:100]
	v_mul_f64 v[99:100], v[93:94], v[99:100]
	s_waitcnt vmcnt(56)
	v_fma_f64 v[147:148], v[1:2], v[155:156], -v[147:148]
	v_add_f64 v[95:96], v[95:96], v[145:146]
	v_fma_f64 v[145:146], v[3:4], v[155:156], v[159:160]
	v_add_f64 v[97:98], v[97:98], v[103:104]
	s_clause 0x2
	buffer_load_dword v154, off, s[0:3], 0 offset:668
	buffer_load_dword v104, off, s[0:3], 0 offset:644
	;; [unrolled: 1-line block ×3, first 2 shown]
	ds_read_b128 v[1:4], v144 offset:1088
	s_waitcnt vmcnt(58) lgkmcnt(1)
	v_mul_f64 v[155:156], v[87:88], v[119:120]
	v_mul_f64 v[119:120], v[89:90], v[119:120]
	s_waitcnt vmcnt(56)
	v_fma_f64 v[99:100], v[91:92], v[109:110], -v[99:100]
	v_fma_f64 v[109:110], v[93:94], v[109:110], v[173:174]
	buffer_load_dword v173, off, s[0:3], 0 offset:660
	ds_read_b128 v[91:94], v144 offset:1104
	v_add_f64 v[95:96], v[95:96], v[147:148]
	v_add_f64 v[97:98], v[97:98], v[145:146]
	s_waitcnt vmcnt(53) lgkmcnt(1)
	v_mul_f64 v[145:146], v[1:2], v[105:106]
	v_mul_f64 v[105:106], v[3:4], v[105:106]
	s_waitcnt vmcnt(52)
	v_fma_f64 v[119:120], v[87:88], v[149:150], -v[119:120]
	v_add_f64 v[95:96], v[95:96], v[99:100]
	v_fma_f64 v[99:100], v[89:90], v[149:150], v[155:156]
	v_add_f64 v[97:98], v[97:98], v[109:110]
	s_waitcnt vmcnt(51) lgkmcnt(0)
	v_mul_f64 v[109:110], v[91:92], v[125:126]
	v_mul_f64 v[125:126], v[93:94], v[125:126]
	ds_read_b128 v[87:90], v144 offset:1120
	s_waitcnt vmcnt(49)
	v_fma_f64 v[105:106], v[1:2], v[115:116], -v[105:106]
	v_fma_f64 v[115:116], v[3:4], v[115:116], v[145:146]
	v_add_f64 v[95:96], v[95:96], v[119:120]
	v_add_f64 v[97:98], v[97:98], v[99:100]
	s_clause 0x3
	buffer_load_dword v99, off, s[0:3], 0 offset:32
	buffer_load_dword v100, off, s[0:3], 0 offset:36
	;; [unrolled: 1-line block ×4, first 2 shown]
	ds_read_b128 v[1:4], v144 offset:1136
	s_waitcnt vmcnt(49) lgkmcnt(1)
	v_mul_f64 v[145:146], v[87:88], v[111:112]
	v_mul_f64 v[111:112], v[89:90], v[111:112]
	s_waitcnt vmcnt(48)
	v_fma_f64 v[125:126], v[91:92], v[127:128], -v[125:126]
	v_add_f64 v[95:96], v[95:96], v[105:106]
	v_fma_f64 v[105:106], v[93:94], v[127:128], v[109:110]
	v_add_f64 v[97:98], v[97:98], v[115:116]
	ds_read_b128 v[91:94], v144 offset:1152
	s_waitcnt vmcnt(47) lgkmcnt(1)
	v_mul_f64 v[115:116], v[3:4], v[133:134]
	v_mul_f64 v[109:110], v[1:2], v[133:134]
	s_waitcnt vmcnt(45)
	v_fma_f64 v[111:112], v[87:88], v[113:114], -v[111:112]
	v_fma_f64 v[113:114], v[89:90], v[113:114], v[145:146]
	ds_read_b128 v[87:90], v144 offset:1168
	v_add_f64 v[95:96], v[95:96], v[125:126]
	v_add_f64 v[97:98], v[97:98], v[105:106]
	s_waitcnt vmcnt(41) lgkmcnt(1)
	v_mul_f64 v[105:106], v[91:92], v[117:118]
	v_mul_f64 v[117:118], v[93:94], v[117:118]
	s_waitcnt vmcnt(40)
	v_fma_f64 v[115:116], v[1:2], v[135:136], -v[115:116]
	v_fma_f64 v[109:110], v[3:4], v[135:136], v[109:110]
	ds_read_b128 v[1:4], v144 offset:1184
	v_add_f64 v[95:96], v[95:96], v[111:112]
	v_add_f64 v[97:98], v[97:98], v[113:114]
	;; [unrolled: 9-line block ×3, first 2 shown]
	s_waitcnt vmcnt(33) lgkmcnt(1)
	v_mul_f64 v[115:116], v[3:4], v[123:124]
	s_waitcnt vmcnt(32)
	v_fma_f64 v[113:114], v[87:88], v[141:142], -v[113:114]
	v_mul_f64 v[109:110], v[1:2], v[123:124]
	v_fma_f64 v[111:112], v[89:90], v[141:142], v[111:112]
	ds_read_b128 v[87:90], v144 offset:1216
	v_add_f64 v[95:96], v[95:96], v[117:118]
	v_add_f64 v[97:98], v[97:98], v[105:106]
	s_waitcnt vmcnt(31) lgkmcnt(1)
	v_mul_f64 v[117:118], v[93:94], v[161:162]
	v_mul_f64 v[105:106], v[91:92], v[161:162]
	s_waitcnt vmcnt(29)
	v_fma_f64 v[115:116], v[1:2], v[129:130], -v[115:116]
	v_fma_f64 v[109:110], v[3:4], v[129:130], v[109:110]
	ds_read_b128 v[1:4], v144 offset:1232
	v_add_f64 v[95:96], v[95:96], v[113:114]
	v_add_f64 v[97:98], v[97:98], v[111:112]
	s_waitcnt vmcnt(25) lgkmcnt(1)
	v_mul_f64 v[113:114], v[89:90], v[131:132]
	s_waitcnt vmcnt(24)
	v_fma_f64 v[117:118], v[91:92], v[165:166], -v[117:118]
	v_mul_f64 v[111:112], v[87:88], v[131:132]
	v_fma_f64 v[105:106], v[93:94], v[165:166], v[105:106]
	ds_read_b128 v[91:94], v144 offset:1248
	v_add_f64 v[95:96], v[95:96], v[115:116]
	v_add_f64 v[97:98], v[97:98], v[109:110]
	s_waitcnt vmcnt(23) lgkmcnt(1)
	v_mul_f64 v[115:116], v[3:4], v[151:152]
	v_mul_f64 v[109:110], v[1:2], v[151:152]
	s_waitcnt vmcnt(21)
	v_fma_f64 v[113:114], v[87:88], v[137:138], -v[113:114]
	v_fma_f64 v[111:112], v[89:90], v[137:138], v[111:112]
	ds_read_b128 v[87:90], v144 offset:1264
	v_add_f64 v[95:96], v[95:96], v[117:118]
	v_add_f64 v[97:98], v[97:98], v[105:106]
	;; [unrolled: 18-line block ×3, first 2 shown]
	s_waitcnt vmcnt(9) lgkmcnt(1)
	v_mul_f64 v[105:106], v[1:2], v[107:108]
	v_mul_f64 v[107:108], v[3:4], v[107:108]
	s_waitcnt vmcnt(8)
	v_fma_f64 v[87:88], v[87:88], v[167:168], -v[113:114]
	v_fma_f64 v[89:90], v[89:90], v[167:168], v[111:112]
	v_add_f64 v[95:96], v[95:96], v[117:118]
	v_add_f64 v[97:98], v[97:98], v[101:102]
	s_waitcnt vmcnt(7) lgkmcnt(0)
	v_mul_f64 v[109:110], v[93:94], v[153:154]
	v_mul_f64 v[101:102], v[91:92], v[153:154]
	s_waitcnt vmcnt(5)
	v_fma_f64 v[1:2], v[1:2], v[103:104], -v[107:108]
	v_fma_f64 v[3:4], v[3:4], v[103:104], v[105:106]
	v_add_f64 v[87:88], v[95:96], v[87:88]
	v_add_f64 v[89:90], v[97:98], v[89:90]
	s_waitcnt vmcnt(4)
	v_fma_f64 v[91:92], v[91:92], v[172:173], -v[109:110]
	v_add_f64 v[1:2], v[87:88], v[1:2]
	v_fma_f64 v[87:88], v[93:94], v[172:173], v[101:102]
	v_add_f64 v[3:4], v[89:90], v[3:4]
	v_add_f64 v[1:2], v[1:2], v[91:92]
	;; [unrolled: 1-line block ×3, first 2 shown]
	s_waitcnt vmcnt(2)
	v_add_f64 v[1:2], v[99:100], -v[1:2]
	s_waitcnt vmcnt(0)
	v_add_f64 v[3:4], v[119:120], -v[3:4]
	buffer_store_dword v2, off, s[0:3], 0 offset:36
	buffer_store_dword v1, off, s[0:3], 0 offset:32
	;; [unrolled: 1-line block ×4, first 2 shown]
	v_cmpx_ne_u32_e32 0, v0
	s_cbranch_execz .LBB104_259
; %bb.258:
	s_clause 0x3
	buffer_load_dword v0, off, s[0:3], 0 offset:16
	buffer_load_dword v1, off, s[0:3], 0 offset:20
	;; [unrolled: 1-line block ×4, first 2 shown]
	buffer_store_dword v144, off, s[0:3], 0 offset:16
	buffer_store_dword v144, off, s[0:3], 0 offset:20
	;; [unrolled: 1-line block ×4, first 2 shown]
	s_waitcnt vmcnt(0)
	ds_write_b128 v143, v[0:3]
.LBB104_259:
	s_or_b32 exec_lo, exec_lo, s4
	s_waitcnt lgkmcnt(0)
	s_waitcnt_vscnt null, 0x0
	s_barrier
	buffer_gl0_inv
	s_clause 0x37
	buffer_load_dword v91, off, s[0:3], 0 offset:40
	buffer_load_dword v92, off, s[0:3], 0 offset:44
	;; [unrolled: 1-line block ×56, first 2 shown]
	ds_read_b128 v[145:148], v144 offset:672
	s_clause 0x2
	buffer_load_dword v140, off, s[0:3], 0 offset:268
	buffer_load_dword v142, off, s[0:3], 0 offset:244
	;; [unrolled: 1-line block ×3, first 2 shown]
	ds_read_b128 v[149:152], v144 offset:688
	s_clause 0x4
	buffer_load_dword v160, off, s[0:3], 0 offset:284
	buffer_load_dword v161, off, s[0:3], 0 offset:296
	;; [unrolled: 1-line block ×5, first 2 shown]
	ds_read_b128 v[153:156], v144 offset:704
	s_clause 0x2
	buffer_load_dword v162, off, s[0:3], 0 offset:300
	buffer_load_dword v167, off, s[0:3], 0 offset:276
	;; [unrolled: 1-line block ×3, first 2 shown]
	s_and_b32 vcc_lo, exec_lo, s53
	s_waitcnt vmcnt(62) lgkmcnt(2)
	v_mul_f64 v[157:158], v[147:148], v[91:92]
	v_mul_f64 v[91:92], v[145:146], v[91:92]
	s_waitcnt lgkmcnt(1)
	v_mul_f64 v[164:165], v[151:152], v[87:88]
	s_waitcnt vmcnt(59) lgkmcnt(0)
	v_mul_f64 v[168:169], v[155:156], v[2:3]
	v_fma_f64 v[145:146], v[145:146], v[89:90], -v[157:158]
	v_mul_f64 v[157:158], v[149:150], v[87:88]
	v_fma_f64 v[91:92], v[147:148], v[89:90], v[91:92]
	s_waitcnt vmcnt(57)
	v_fma_f64 v[149:150], v[149:150], v[0:1], -v[164:165]
	ds_read_b128 v[87:90], v144 offset:720
	v_mul_f64 v[147:148], v[153:154], v[2:3]
	s_waitcnt vmcnt(51)
	v_fma_f64 v[153:154], v[153:154], v[107:108], -v[168:169]
	v_add_f64 v[145:146], v[145:146], 0
	v_fma_f64 v[151:152], v[151:152], v[0:1], v[157:158]
	v_add_f64 v[91:92], v[91:92], 0
	s_clause 0x4
	buffer_load_dword v158, off, s[0:3], 0 offset:316
	buffer_load_dword v170, off, s[0:3], 0 offset:328
	;; [unrolled: 1-line block ×5, first 2 shown]
	s_waitcnt lgkmcnt(0)
	v_mul_f64 v[173:174], v[87:88], v[95:96]
	v_mul_f64 v[95:96], v[89:90], v[95:96]
	ds_read_b128 v[0:3], v144 offset:736
	v_fma_f64 v[107:108], v[155:156], v[107:108], v[147:148]
	v_add_f64 v[149:150], v[145:146], v[149:150]
	v_add_f64 v[91:92], v[91:92], v[151:152]
	s_clause 0x2
	buffer_load_dword v171, off, s[0:3], 0 offset:332
	buffer_load_dword v152, off, s[0:3], 0 offset:308
	;; [unrolled: 1-line block ×3, first 2 shown]
	s_waitcnt vmcnt(58) lgkmcnt(0)
	v_mul_f64 v[155:156], v[0:1], v[99:100]
	v_mul_f64 v[99:100], v[2:3], v[99:100]
	s_waitcnt vmcnt(56)
	v_fma_f64 v[95:96], v[87:88], v[101:102], -v[95:96]
	ds_read_b128 v[145:148], v144 offset:752
	v_fma_f64 v[101:102], v[89:90], v[101:102], v[173:174]
	v_add_f64 v[149:150], v[149:150], v[153:154]
	v_add_f64 v[91:92], v[91:92], v[107:108]
	s_clause 0x4
	buffer_load_dword v108, off, s[0:3], 0 offset:348
	buffer_load_dword v153, off, s[0:3], 0 offset:360
	buffer_load_dword v168, off, s[0:3], 0 offset:352
	buffer_load_dword v107, off, s[0:3], 0 offset:344
	buffer_load_dword v173, off, s[0:3], 0 offset:324
	ds_read_b128 v[87:90], v144 offset:768
	s_waitcnt vmcnt(57) lgkmcnt(1)
	v_mul_f64 v[174:175], v[145:146], v[103:104]
	v_mul_f64 v[103:104], v[147:148], v[103:104]
	s_waitcnt vmcnt(56)
	v_fma_f64 v[99:100], v[0:1], v[93:94], -v[99:100]
	v_fma_f64 v[93:94], v[2:3], v[93:94], v[155:156]
	v_add_f64 v[95:96], v[149:150], v[95:96]
	v_add_f64 v[91:92], v[91:92], v[101:102]
	s_clause 0x2
	buffer_load_dword v154, off, s[0:3], 0 offset:364
	buffer_load_dword v102, off, s[0:3], 0 offset:340
	;; [unrolled: 1-line block ×3, first 2 shown]
	s_waitcnt vmcnt(58) lgkmcnt(0)
	v_mul_f64 v[149:150], v[87:88], v[109:110]
	v_mul_f64 v[109:110], v[89:90], v[109:110]
	s_waitcnt vmcnt(56)
	v_fma_f64 v[103:104], v[145:146], v[111:112], -v[103:104]
	ds_read_b128 v[0:3], v144 offset:784
	v_add_f64 v[95:96], v[95:96], v[99:100]
	v_fma_f64 v[99:100], v[147:148], v[111:112], v[174:175]
	v_add_f64 v[111:112], v[91:92], v[93:94]
	s_clause 0x4
	buffer_load_dword v146, off, s[0:3], 0 offset:380
	buffer_load_dword v147, off, s[0:3], 0 offset:392
	;; [unrolled: 1-line block ×5, first 2 shown]
	ds_read_b128 v[91:94], v144 offset:800
	s_waitcnt vmcnt(57) lgkmcnt(1)
	v_mul_f64 v[174:175], v[0:1], v[113:114]
	v_mul_f64 v[113:114], v[2:3], v[113:114]
	s_waitcnt vmcnt(56)
	v_fma_f64 v[109:110], v[87:88], v[97:98], -v[109:110]
	v_fma_f64 v[97:98], v[89:90], v[97:98], v[149:150]
	v_add_f64 v[95:96], v[95:96], v[103:104]
	s_clause 0x2
	buffer_load_dword v148, off, s[0:3], 0 offset:396
	buffer_load_dword v104, off, s[0:3], 0 offset:372
	;; [unrolled: 1-line block ×3, first 2 shown]
	v_add_f64 v[99:100], v[111:112], v[99:100]
	s_waitcnt vmcnt(58) lgkmcnt(0)
	v_mul_f64 v[111:112], v[91:92], v[117:118]
	v_mul_f64 v[117:118], v[93:94], v[117:118]
	ds_read_b128 v[87:90], v144 offset:816
	s_waitcnt vmcnt(56)
	v_fma_f64 v[113:114], v[0:1], v[119:120], -v[113:114]
	v_add_f64 v[95:96], v[95:96], v[109:110]
	v_fma_f64 v[109:110], v[2:3], v[119:120], v[174:175]
	v_add_f64 v[97:98], v[99:100], v[97:98]
	s_clause 0x4
	buffer_load_dword v100, off, s[0:3], 0 offset:412
	buffer_load_dword v119, off, s[0:3], 0 offset:424
	;; [unrolled: 1-line block ×5, first 2 shown]
	s_waitcnt vmcnt(57) lgkmcnt(0)
	v_mul_f64 v[174:175], v[87:88], v[121:122]
	v_mul_f64 v[121:122], v[89:90], v[121:122]
	s_waitcnt vmcnt(56)
	v_fma_f64 v[117:118], v[91:92], v[105:106], -v[117:118]
	ds_read_b128 v[0:3], v144 offset:832
	v_fma_f64 v[105:106], v[93:94], v[105:106], v[111:112]
	v_add_f64 v[95:96], v[95:96], v[113:114]
	v_add_f64 v[97:98], v[97:98], v[109:110]
	s_clause 0x2
	buffer_load_dword v120, off, s[0:3], 0 offset:428
	buffer_load_dword v110, off, s[0:3], 0 offset:404
	;; [unrolled: 1-line block ×3, first 2 shown]
	ds_read_b128 v[91:94], v144 offset:848
	s_waitcnt vmcnt(58) lgkmcnt(1)
	v_mul_f64 v[113:114], v[2:3], v[125:126]
	s_waitcnt vmcnt(56)
	v_fma_f64 v[121:122], v[87:88], v[127:128], -v[121:122]
	v_mul_f64 v[111:112], v[0:1], v[125:126]
	v_add_f64 v[95:96], v[95:96], v[117:118]
	v_fma_f64 v[117:118], v[89:90], v[127:128], v[174:175]
	v_add_f64 v[97:98], v[97:98], v[105:106]
	s_clause 0x4
	buffer_load_dword v106, off, s[0:3], 0 offset:444
	buffer_load_dword v125, off, s[0:3], 0 offset:456
	;; [unrolled: 1-line block ×5, first 2 shown]
	s_waitcnt vmcnt(57) lgkmcnt(0)
	v_mul_f64 v[174:175], v[91:92], v[129:130]
	v_mul_f64 v[128:129], v[93:94], v[129:130]
	s_waitcnt vmcnt(56)
	v_fma_f64 v[113:114], v[0:1], v[115:116], -v[113:114]
	ds_read_b128 v[87:90], v144 offset:864
	v_fma_f64 v[111:112], v[2:3], v[115:116], v[111:112]
	s_clause 0x2
	buffer_load_dword v126, off, s[0:3], 0 offset:460
	buffer_load_dword v116, off, s[0:3], 0 offset:436
	;; [unrolled: 1-line block ×3, first 2 shown]
	ds_read_b128 v[0:3], v144 offset:880
	v_add_f64 v[95:96], v[95:96], v[121:122]
	v_add_f64 v[97:98], v[97:98], v[117:118]
	s_waitcnt vmcnt(58) lgkmcnt(1)
	v_mul_f64 v[121:122], v[89:90], v[133:134]
	s_waitcnt vmcnt(56)
	v_fma_f64 v[129:130], v[91:92], v[135:136], -v[128:129]
	v_mul_f64 v[117:118], v[87:88], v[133:134]
	v_add_f64 v[95:96], v[95:96], v[113:114]
	v_fma_f64 v[113:114], v[93:94], v[135:136], v[174:175]
	v_add_f64 v[97:98], v[97:98], v[111:112]
	s_clause 0x4
	buffer_load_dword v112, off, s[0:3], 0 offset:476
	buffer_load_dword v133, off, s[0:3], 0 offset:488
	;; [unrolled: 1-line block ×5, first 2 shown]
	s_waitcnt vmcnt(57) lgkmcnt(0)
	v_mul_f64 v[174:175], v[0:1], v[137:138]
	v_mul_f64 v[136:137], v[2:3], v[137:138]
	s_waitcnt vmcnt(56)
	v_fma_f64 v[121:122], v[87:88], v[123:124], -v[121:122]
	ds_read_b128 v[91:94], v144 offset:896
	v_fma_f64 v[117:118], v[89:90], v[123:124], v[117:118]
	v_add_f64 v[95:96], v[95:96], v[129:130]
	v_add_f64 v[97:98], v[97:98], v[113:114]
	s_clause 0x2
	buffer_load_dword v134, off, s[0:3], 0 offset:492
	buffer_load_dword v114, off, s[0:3], 0 offset:468
	;; [unrolled: 1-line block ×3, first 2 shown]
	ds_read_b128 v[87:90], v144 offset:912
	s_waitcnt vmcnt(58) lgkmcnt(1)
	v_mul_f64 v[129:130], v[93:94], v[139:140]
	s_waitcnt vmcnt(56)
	v_fma_f64 v[137:138], v[0:1], v[141:142], -v[136:137]
	v_mul_f64 v[123:124], v[91:92], v[139:140]
	v_add_f64 v[95:96], v[95:96], v[121:122]
	v_fma_f64 v[121:122], v[2:3], v[141:142], v[174:175]
	v_add_f64 v[97:98], v[97:98], v[117:118]
	s_clause 0x4
	buffer_load_dword v118, off, s[0:3], 0 offset:508
	buffer_load_dword v139, off, s[0:3], 0 offset:520
	;; [unrolled: 1-line block ×5, first 2 shown]
	s_waitcnt vmcnt(57) lgkmcnt(0)
	v_mul_f64 v[142:143], v[87:88], v[159:160]
	v_mul_f64 v[159:160], v[89:90], v[159:160]
	s_waitcnt vmcnt(56)
	v_fma_f64 v[129:130], v[91:92], v[131:132], -v[129:130]
	ds_read_b128 v[0:3], v144 offset:928
	v_fma_f64 v[123:124], v[93:94], v[131:132], v[123:124]
	v_add_f64 v[95:96], v[95:96], v[137:138]
	v_add_f64 v[97:98], v[97:98], v[121:122]
	s_clause 0x2
	buffer_load_dword v140, off, s[0:3], 0 offset:524
	buffer_load_dword v122, off, s[0:3], 0 offset:500
	;; [unrolled: 1-line block ×3, first 2 shown]
	ds_read_b128 v[91:94], v144 offset:944
	s_waitcnt vmcnt(58) lgkmcnt(1)
	v_mul_f64 v[137:138], v[2:3], v[161:162]
	s_waitcnt vmcnt(56)
	v_fma_f64 v[159:160], v[87:88], v[166:167], -v[159:160]
	v_mul_f64 v[131:132], v[0:1], v[161:162]
	v_add_f64 v[95:96], v[95:96], v[129:130]
	v_fma_f64 v[129:130], v[89:90], v[166:167], v[142:143]
	v_add_f64 v[97:98], v[97:98], v[123:124]
	s_clause 0x4
	buffer_load_dword v124, off, s[0:3], 0 offset:540
	buffer_load_dword v161, off, s[0:3], 0 offset:552
	;; [unrolled: 1-line block ×5, first 2 shown]
	ds_read_b128 v[87:90], v144 offset:960
	s_waitcnt vmcnt(57) lgkmcnt(1)
	v_mul_f64 v[166:167], v[91:92], v[157:158]
	v_mul_f64 v[157:158], v[93:94], v[157:158]
	s_waitcnt vmcnt(56)
	v_fma_f64 v[137:138], v[0:1], v[163:164], -v[137:138]
	v_fma_f64 v[131:132], v[2:3], v[163:164], v[131:132]
	v_add_f64 v[95:96], v[95:96], v[159:160]
	v_add_f64 v[97:98], v[97:98], v[129:130]
	s_clause 0x2
	buffer_load_dword v162, off, s[0:3], 0 offset:556
	buffer_load_dword v130, off, s[0:3], 0 offset:532
	;; [unrolled: 1-line block ×3, first 2 shown]
	ds_read_b128 v[0:3], v144 offset:976
	s_waitcnt vmcnt(58) lgkmcnt(1)
	v_mul_f64 v[163:164], v[89:90], v[170:171]
	v_mul_f64 v[159:160], v[87:88], v[170:171]
	s_waitcnt vmcnt(56)
	v_fma_f64 v[157:158], v[91:92], v[151:152], -v[157:158]
	v_add_f64 v[95:96], v[95:96], v[137:138]
	v_fma_f64 v[137:138], v[93:94], v[151:152], v[166:167]
	v_add_f64 v[97:98], v[97:98], v[131:132]
	s_clause 0x4
	buffer_load_dword v132, off, s[0:3], 0 offset:572
	buffer_load_dword v151, off, s[0:3], 0 offset:584
	buffer_load_dword v170, off, s[0:3], 0 offset:576
	buffer_load_dword v131, off, s[0:3], 0 offset:568
	buffer_load_dword v166, off, s[0:3], 0 offset:548
	ds_read_b128 v[91:94], v144 offset:992
	s_waitcnt vmcnt(57) lgkmcnt(1)
	v_mul_f64 v[174:175], v[0:1], v[107:108]
	v_mul_f64 v[107:108], v[2:3], v[107:108]
	s_waitcnt vmcnt(56)
	v_fma_f64 v[163:164], v[87:88], v[172:173], -v[163:164]
	v_add_f64 v[95:96], v[95:96], v[157:158]
	v_fma_f64 v[157:158], v[89:90], v[172:173], v[159:160]
	v_add_f64 v[97:98], v[97:98], v[137:138]
	s_clause 0x2
	buffer_load_dword v152, off, s[0:3], 0 offset:588
	buffer_load_dword v138, off, s[0:3], 0 offset:564
	buffer_load_dword v137, off, s[0:3], 0 offset:560
	ds_read_b128 v[87:90], v144 offset:1008
	s_waitcnt vmcnt(58) lgkmcnt(1)
	v_mul_f64 v[159:160], v[91:92], v[153:154]
	v_mul_f64 v[153:154], v[93:94], v[153:154]
	s_waitcnt vmcnt(56)
	v_fma_f64 v[107:108], v[0:1], v[101:102], -v[107:108]
	v_fma_f64 v[101:102], v[2:3], v[101:102], v[174:175]
	v_add_f64 v[95:96], v[95:96], v[163:164]
	v_add_f64 v[97:98], v[97:98], v[157:158]
	s_clause 0x4
	buffer_load_dword v158, off, s[0:3], 0 offset:604
	buffer_load_dword v163, off, s[0:3], 0 offset:616
	buffer_load_dword v167, off, s[0:3], 0 offset:608
	buffer_load_dword v157, off, s[0:3], 0 offset:600
	buffer_load_dword v171, off, s[0:3], 0 offset:580
	ds_read_b128 v[0:3], v144 offset:1024
	s_waitcnt vmcnt(57) lgkmcnt(1)
	v_mul_f64 v[172:173], v[87:88], v[145:146]
	v_mul_f64 v[145:146], v[89:90], v[145:146]
	s_waitcnt vmcnt(56)
	v_fma_f64 v[153:154], v[91:92], v[168:169], -v[153:154]
	v_add_f64 v[95:96], v[95:96], v[107:108]
	v_fma_f64 v[107:108], v[93:94], v[168:169], v[159:160]
	v_add_f64 v[97:98], v[97:98], v[101:102]
	s_clause 0x2
	buffer_load_dword v164, off, s[0:3], 0 offset:620
	buffer_load_dword v102, off, s[0:3], 0 offset:596
	buffer_load_dword v101, off, s[0:3], 0 offset:592
	ds_read_b128 v[91:94], v144 offset:1040
	s_waitcnt vmcnt(58) lgkmcnt(1)
	v_mul_f64 v[159:160], v[0:1], v[147:148]
	v_mul_f64 v[147:148], v[2:3], v[147:148]
	s_waitcnt vmcnt(56)
	v_fma_f64 v[145:146], v[87:88], v[103:104], -v[145:146]
	v_fma_f64 v[103:104], v[89:90], v[103:104], v[172:173]
	v_add_f64 v[95:96], v[95:96], v[153:154]
	;; [unrolled: 28-line block ×3, first 2 shown]
	v_add_f64 v[97:98], v[97:98], v[145:146]
	s_clause 0x2
	buffer_load_dword v146, off, s[0:3], 0 offset:668
	buffer_load_dword v145, off, s[0:3], 0 offset:664
	;; [unrolled: 1-line block ×3, first 2 shown]
	ds_read_b128 v[91:94], v144 offset:1088
	s_waitcnt vmcnt(55) lgkmcnt(1)
	v_mul_f64 v[147:148], v[0:1], v[105:106]
	v_mul_f64 v[105:106], v[2:3], v[105:106]
	s_waitcnt vmcnt(54)
	v_fma_f64 v[119:120], v[87:88], v[149:150], -v[119:120]
	v_add_f64 v[95:96], v[95:96], v[99:100]
	v_fma_f64 v[99:100], v[89:90], v[149:150], v[155:156]
	v_add_f64 v[97:98], v[97:98], v[109:110]
	s_clause 0x1
	buffer_load_dword v110, off, s[0:3], 0 offset:660
	buffer_load_dword v109, off, s[0:3], 0 offset:656
	s_waitcnt vmcnt(55) lgkmcnt(0)
	v_mul_f64 v[149:150], v[91:92], v[125:126]
	v_mul_f64 v[125:126], v[93:94], v[125:126]
	ds_read_b128 v[87:90], v144 offset:1104
	s_waitcnt vmcnt(53)
	v_fma_f64 v[105:106], v[0:1], v[115:116], -v[105:106]
	v_fma_f64 v[115:116], v[2:3], v[115:116], v[147:148]
	ds_read_b128 v[0:3], v144 offset:1120
	v_add_f64 v[95:96], v[95:96], v[119:120]
	v_add_f64 v[97:98], v[97:98], v[99:100]
	s_waitcnt vmcnt(49) lgkmcnt(1)
	v_mul_f64 v[99:100], v[87:88], v[111:112]
	v_mul_f64 v[111:112], v[89:90], v[111:112]
	s_waitcnt vmcnt(48)
	v_fma_f64 v[119:120], v[91:92], v[127:128], -v[125:126]
	v_add_f64 v[95:96], v[95:96], v[105:106]
	v_fma_f64 v[105:106], v[93:94], v[127:128], v[149:150]
	v_add_f64 v[97:98], v[97:98], v[115:116]
	s_clause 0x3
	buffer_load_dword v115, off, s[0:3], 0 offset:16
	buffer_load_dword v116, off, s[0:3], 0 offset:20
	buffer_load_dword v125, off, s[0:3], 0 offset:24
	buffer_load_dword v126, off, s[0:3], 0 offset:28
	ds_read_b128 v[91:94], v144 offset:1136
	s_waitcnt vmcnt(51) lgkmcnt(1)
	v_mul_f64 v[127:128], v[0:1], v[133:134]
	v_mul_f64 v[133:134], v[2:3], v[133:134]
	s_waitcnt vmcnt(49)
	v_fma_f64 v[111:112], v[87:88], v[113:114], -v[111:112]
	v_fma_f64 v[99:100], v[89:90], v[113:114], v[99:100]
	ds_read_b128 v[87:90], v144 offset:1152
	v_add_f64 v[95:96], v[95:96], v[119:120]
	v_add_f64 v[97:98], v[97:98], v[105:106]
	s_waitcnt vmcnt(45) lgkmcnt(1)
	v_mul_f64 v[105:106], v[91:92], v[117:118]
	v_mul_f64 v[113:114], v[93:94], v[117:118]
	s_waitcnt vmcnt(44)
	v_fma_f64 v[117:118], v[0:1], v[135:136], -v[133:134]
	v_add_f64 v[95:96], v[95:96], v[111:112]
	v_fma_f64 v[111:112], v[2:3], v[135:136], v[127:128]
	v_add_f64 v[97:98], v[97:98], v[99:100]
	ds_read_b128 v[0:3], v144 offset:1168
	s_waitcnt vmcnt(43) lgkmcnt(1)
	v_mul_f64 v[119:120], v[89:90], v[139:140]
	v_mul_f64 v[99:100], v[87:88], v[139:140]
	s_waitcnt vmcnt(41)
	v_fma_f64 v[113:114], v[91:92], v[121:122], -v[113:114]
	v_fma_f64 v[105:106], v[93:94], v[121:122], v[105:106]
	ds_read_b128 v[91:94], v144 offset:1184
	v_add_f64 v[95:96], v[95:96], v[117:118]
	v_add_f64 v[97:98], v[97:98], v[111:112]
	s_waitcnt vmcnt(37) lgkmcnt(1)
	v_mul_f64 v[117:118], v[2:3], v[123:124]
	s_waitcnt vmcnt(36)
	v_fma_f64 v[119:120], v[87:88], v[141:142], -v[119:120]
	v_mul_f64 v[111:112], v[0:1], v[123:124]
	v_fma_f64 v[99:100], v[89:90], v[141:142], v[99:100]
	ds_read_b128 v[87:90], v144 offset:1200
	v_add_f64 v[95:96], v[95:96], v[113:114]
	v_add_f64 v[97:98], v[97:98], v[105:106]
	s_waitcnt vmcnt(35) lgkmcnt(1)
	v_mul_f64 v[113:114], v[93:94], v[161:162]
	v_mul_f64 v[105:106], v[91:92], v[161:162]
	s_waitcnt vmcnt(33)
	v_fma_f64 v[117:118], v[0:1], v[129:130], -v[117:118]
	v_fma_f64 v[111:112], v[2:3], v[129:130], v[111:112]
	ds_read_b128 v[0:3], v144 offset:1216
	v_add_f64 v[95:96], v[95:96], v[119:120]
	v_add_f64 v[97:98], v[97:98], v[99:100]
	s_waitcnt vmcnt(29) lgkmcnt(1)
	v_mul_f64 v[119:120], v[89:90], v[131:132]
	s_waitcnt vmcnt(28)
	v_fma_f64 v[113:114], v[91:92], v[165:166], -v[113:114]
	v_mul_f64 v[99:100], v[87:88], v[131:132]
	v_fma_f64 v[105:106], v[93:94], v[165:166], v[105:106]
	ds_read_b128 v[91:94], v144 offset:1232
	v_add_f64 v[95:96], v[95:96], v[117:118]
	v_add_f64 v[97:98], v[97:98], v[111:112]
	;; [unrolled: 18-line block ×3, first 2 shown]
	s_waitcnt vmcnt(19) lgkmcnt(1)
	v_mul_f64 v[119:120], v[89:90], v[163:164]
	v_mul_f64 v[99:100], v[87:88], v[163:164]
	s_waitcnt vmcnt(17)
	v_fma_f64 v[113:114], v[91:92], v[101:102], -v[113:114]
	v_fma_f64 v[101:102], v[93:94], v[101:102], v[105:106]
	ds_read_b128 v[91:94], v144 offset:1280
	v_add_f64 v[95:96], v[95:96], v[117:118]
	v_add_f64 v[97:98], v[97:98], v[111:112]
	s_waitcnt vmcnt(13) lgkmcnt(1)
	v_mul_f64 v[105:106], v[0:1], v[107:108]
	v_mul_f64 v[107:108], v[2:3], v[107:108]
	s_waitcnt vmcnt(12)
	v_fma_f64 v[111:112], v[87:88], v[167:168], -v[119:120]
	v_fma_f64 v[99:100], v[89:90], v[167:168], v[99:100]
	ds_read_b128 v[87:90], v144 offset:1296
	v_add_f64 v[95:96], v[95:96], v[113:114]
	v_add_f64 v[97:98], v[97:98], v[101:102]
	s_waitcnt vmcnt(11) lgkmcnt(1)
	v_mul_f64 v[113:114], v[93:94], v[153:154]
	v_mul_f64 v[101:102], v[91:92], v[153:154]
	s_waitcnt vmcnt(9)
	v_fma_f64 v[0:1], v[0:1], v[103:104], -v[107:108]
	v_fma_f64 v[2:3], v[2:3], v[103:104], v[105:106]
	v_add_f64 v[95:96], v[95:96], v[111:112]
	v_add_f64 v[97:98], v[97:98], v[99:100]
	s_waitcnt vmcnt(7) lgkmcnt(0)
	v_mul_f64 v[103:104], v[89:90], v[145:146]
	s_waitcnt vmcnt(6)
	v_fma_f64 v[91:92], v[91:92], v[172:173], -v[113:114]
	v_mul_f64 v[99:100], v[87:88], v[145:146]
	v_fma_f64 v[93:94], v[93:94], v[172:173], v[101:102]
	v_add_f64 v[0:1], v[95:96], v[0:1]
	v_add_f64 v[2:3], v[97:98], v[2:3]
	s_waitcnt vmcnt(4)
	v_fma_f64 v[87:88], v[87:88], v[109:110], -v[103:104]
	v_fma_f64 v[89:90], v[89:90], v[109:110], v[99:100]
	v_add_f64 v[0:1], v[0:1], v[91:92]
	v_add_f64 v[2:3], v[2:3], v[93:94]
	;; [unrolled: 1-line block ×4, first 2 shown]
	s_waitcnt vmcnt(2)
	v_add_f64 v[0:1], v[115:116], -v[0:1]
	s_waitcnt vmcnt(0)
	v_add_f64 v[2:3], v[125:126], -v[2:3]
	buffer_store_dword v1, off, s[0:3], 0 offset:20
	buffer_store_dword v0, off, s[0:3], 0 offset:16
	;; [unrolled: 1-line block ×4, first 2 shown]
	s_cbranch_vccz .LBB104_340
; %bb.260:
	v_mov_b32_e32 v0, 0
	global_load_dword v1, v0, s[12:13] offset:156
	s_waitcnt vmcnt(0)
	v_add_nc_u32_e32 v1, -1, v1
	v_cmp_ne_u32_e32 vcc_lo, 39, v1
	s_cbranch_vccz .LBB104_262
; %bb.261:
	v_lshlrev_b32_e32 v1, 4, v1
	v_mov_b32_e32 v2, s9
	v_add_nc_u32_e32 v1, 16, v1
	s_clause 0x7
	buffer_load_dword v3, v1, s[0:3], 0 offen
	buffer_load_dword v4, v1, s[0:3], 0 offen offset:4
	buffer_load_dword v87, v1, s[0:3], 0 offen offset:8
	;; [unrolled: 1-line block ×6, first 2 shown]
	buffer_load_dword v92, v2, s[0:3], 0 offen
	s_waitcnt vmcnt(7)
	buffer_store_dword v3, v2, s[0:3], 0 offen
	s_waitcnt vmcnt(6)
	buffer_store_dword v4, v2, s[0:3], 0 offen offset:4
	s_waitcnt vmcnt(5)
	buffer_store_dword v87, v2, s[0:3], 0 offen offset:8
	;; [unrolled: 2-line block ×6, first 2 shown]
	s_waitcnt vmcnt(0)
	buffer_store_dword v92, v1, s[0:3], 0 offen
.LBB104_262:
	global_load_dword v0, v0, s[12:13] offset:152
	s_waitcnt vmcnt(0)
	v_add_nc_u32_e32 v0, -1, v0
	v_cmp_eq_u32_e32 vcc_lo, 38, v0
	s_cbranch_vccnz .LBB104_264
; %bb.263:
	v_lshlrev_b32_e32 v0, 4, v0
	v_mov_b32_e32 v1, s14
	v_add_nc_u32_e32 v0, 16, v0
	s_clause 0x7
	buffer_load_dword v2, v0, s[0:3], 0 offen
	buffer_load_dword v3, v0, s[0:3], 0 offen offset:4
	buffer_load_dword v4, v0, s[0:3], 0 offen offset:8
	;; [unrolled: 1-line block ×6, first 2 shown]
	buffer_load_dword v91, v1, s[0:3], 0 offen
	s_waitcnt vmcnt(7)
	buffer_store_dword v2, v1, s[0:3], 0 offen
	s_waitcnt vmcnt(6)
	buffer_store_dword v3, v1, s[0:3], 0 offen offset:4
	s_waitcnt vmcnt(5)
	buffer_store_dword v4, v1, s[0:3], 0 offen offset:8
	;; [unrolled: 2-line block ×6, first 2 shown]
	s_waitcnt vmcnt(0)
	buffer_store_dword v91, v0, s[0:3], 0 offen
.LBB104_264:
	v_mov_b32_e32 v0, 0
	global_load_dword v1, v0, s[12:13] offset:148
	s_waitcnt vmcnt(0)
	v_add_nc_u32_e32 v1, -1, v1
	v_cmp_eq_u32_e32 vcc_lo, 37, v1
	s_cbranch_vccnz .LBB104_266
; %bb.265:
	v_lshlrev_b32_e32 v1, 4, v1
	v_mov_b32_e32 v2, s15
	v_add_nc_u32_e32 v1, 16, v1
	s_clause 0x7
	buffer_load_dword v3, v1, s[0:3], 0 offen
	buffer_load_dword v4, v1, s[0:3], 0 offen offset:4
	buffer_load_dword v87, v1, s[0:3], 0 offen offset:8
	;; [unrolled: 1-line block ×6, first 2 shown]
	buffer_load_dword v92, v2, s[0:3], 0 offen
	s_waitcnt vmcnt(7)
	buffer_store_dword v3, v2, s[0:3], 0 offen
	s_waitcnt vmcnt(6)
	buffer_store_dword v4, v2, s[0:3], 0 offen offset:4
	s_waitcnt vmcnt(5)
	buffer_store_dword v87, v2, s[0:3], 0 offen offset:8
	;; [unrolled: 2-line block ×6, first 2 shown]
	s_waitcnt vmcnt(0)
	buffer_store_dword v92, v1, s[0:3], 0 offen
.LBB104_266:
	global_load_dword v0, v0, s[12:13] offset:144
	s_waitcnt vmcnt(0)
	v_add_nc_u32_e32 v0, -1, v0
	v_cmp_eq_u32_e32 vcc_lo, 36, v0
	s_cbranch_vccnz .LBB104_268
; %bb.267:
	v_lshlrev_b32_e32 v0, 4, v0
	v_mov_b32_e32 v1, s16
	v_add_nc_u32_e32 v0, 16, v0
	s_clause 0x7
	buffer_load_dword v2, v0, s[0:3], 0 offen
	buffer_load_dword v3, v0, s[0:3], 0 offen offset:4
	buffer_load_dword v4, v0, s[0:3], 0 offen offset:8
	;; [unrolled: 1-line block ×6, first 2 shown]
	buffer_load_dword v91, v1, s[0:3], 0 offen
	s_waitcnt vmcnt(7)
	buffer_store_dword v2, v1, s[0:3], 0 offen
	s_waitcnt vmcnt(6)
	buffer_store_dword v3, v1, s[0:3], 0 offen offset:4
	s_waitcnt vmcnt(5)
	buffer_store_dword v4, v1, s[0:3], 0 offen offset:8
	;; [unrolled: 2-line block ×6, first 2 shown]
	s_waitcnt vmcnt(0)
	buffer_store_dword v91, v0, s[0:3], 0 offen
.LBB104_268:
	v_mov_b32_e32 v0, 0
	global_load_dword v1, v0, s[12:13] offset:140
	s_waitcnt vmcnt(0)
	v_add_nc_u32_e32 v1, -1, v1
	v_cmp_eq_u32_e32 vcc_lo, 35, v1
	s_cbranch_vccnz .LBB104_270
; %bb.269:
	v_lshlrev_b32_e32 v1, 4, v1
	v_mov_b32_e32 v2, s17
	v_add_nc_u32_e32 v1, 16, v1
	s_clause 0x7
	buffer_load_dword v3, v1, s[0:3], 0 offen
	buffer_load_dword v4, v1, s[0:3], 0 offen offset:4
	buffer_load_dword v87, v1, s[0:3], 0 offen offset:8
	;; [unrolled: 1-line block ×6, first 2 shown]
	buffer_load_dword v92, v2, s[0:3], 0 offen
	s_waitcnt vmcnt(7)
	buffer_store_dword v3, v2, s[0:3], 0 offen
	s_waitcnt vmcnt(6)
	buffer_store_dword v4, v2, s[0:3], 0 offen offset:4
	s_waitcnt vmcnt(5)
	buffer_store_dword v87, v2, s[0:3], 0 offen offset:8
	;; [unrolled: 2-line block ×6, first 2 shown]
	s_waitcnt vmcnt(0)
	buffer_store_dword v92, v1, s[0:3], 0 offen
.LBB104_270:
	global_load_dword v0, v0, s[12:13] offset:136
	s_waitcnt vmcnt(0)
	v_add_nc_u32_e32 v0, -1, v0
	v_cmp_eq_u32_e32 vcc_lo, 34, v0
	s_cbranch_vccnz .LBB104_272
; %bb.271:
	v_lshlrev_b32_e32 v0, 4, v0
	v_mov_b32_e32 v1, s18
	v_add_nc_u32_e32 v0, 16, v0
	s_clause 0x7
	buffer_load_dword v2, v0, s[0:3], 0 offen
	buffer_load_dword v3, v0, s[0:3], 0 offen offset:4
	buffer_load_dword v4, v0, s[0:3], 0 offen offset:8
	;; [unrolled: 1-line block ×6, first 2 shown]
	buffer_load_dword v91, v1, s[0:3], 0 offen
	s_waitcnt vmcnt(7)
	buffer_store_dword v2, v1, s[0:3], 0 offen
	s_waitcnt vmcnt(6)
	buffer_store_dword v3, v1, s[0:3], 0 offen offset:4
	s_waitcnt vmcnt(5)
	buffer_store_dword v4, v1, s[0:3], 0 offen offset:8
	;; [unrolled: 2-line block ×6, first 2 shown]
	s_waitcnt vmcnt(0)
	buffer_store_dword v91, v0, s[0:3], 0 offen
.LBB104_272:
	v_mov_b32_e32 v0, 0
	global_load_dword v1, v0, s[12:13] offset:132
	s_waitcnt vmcnt(0)
	v_add_nc_u32_e32 v1, -1, v1
	v_cmp_eq_u32_e32 vcc_lo, 33, v1
	s_cbranch_vccnz .LBB104_274
; %bb.273:
	v_lshlrev_b32_e32 v1, 4, v1
	v_mov_b32_e32 v2, s19
	v_add_nc_u32_e32 v1, 16, v1
	s_clause 0x7
	buffer_load_dword v3, v1, s[0:3], 0 offen
	buffer_load_dword v4, v1, s[0:3], 0 offen offset:4
	buffer_load_dword v87, v1, s[0:3], 0 offen offset:8
	buffer_load_dword v88, v1, s[0:3], 0 offen offset:12
	buffer_load_dword v89, v2, s[0:3], 0 offen offset:12
	buffer_load_dword v90, v2, s[0:3], 0 offen offset:8
	buffer_load_dword v91, v2, s[0:3], 0 offen offset:4
	buffer_load_dword v92, v2, s[0:3], 0 offen
	s_waitcnt vmcnt(7)
	buffer_store_dword v3, v2, s[0:3], 0 offen
	s_waitcnt vmcnt(6)
	buffer_store_dword v4, v2, s[0:3], 0 offen offset:4
	s_waitcnt vmcnt(5)
	buffer_store_dword v87, v2, s[0:3], 0 offen offset:8
	;; [unrolled: 2-line block ×6, first 2 shown]
	s_waitcnt vmcnt(0)
	buffer_store_dword v92, v1, s[0:3], 0 offen
.LBB104_274:
	global_load_dword v0, v0, s[12:13] offset:128
	s_waitcnt vmcnt(0)
	v_add_nc_u32_e32 v0, -1, v0
	v_cmp_eq_u32_e32 vcc_lo, 32, v0
	s_cbranch_vccnz .LBB104_276
; %bb.275:
	v_lshlrev_b32_e32 v0, 4, v0
	v_mov_b32_e32 v1, s20
	v_add_nc_u32_e32 v0, 16, v0
	s_clause 0x7
	buffer_load_dword v2, v0, s[0:3], 0 offen
	buffer_load_dword v3, v0, s[0:3], 0 offen offset:4
	buffer_load_dword v4, v0, s[0:3], 0 offen offset:8
	;; [unrolled: 1-line block ×6, first 2 shown]
	buffer_load_dword v91, v1, s[0:3], 0 offen
	s_waitcnt vmcnt(7)
	buffer_store_dword v2, v1, s[0:3], 0 offen
	s_waitcnt vmcnt(6)
	buffer_store_dword v3, v1, s[0:3], 0 offen offset:4
	s_waitcnt vmcnt(5)
	buffer_store_dword v4, v1, s[0:3], 0 offen offset:8
	;; [unrolled: 2-line block ×6, first 2 shown]
	s_waitcnt vmcnt(0)
	buffer_store_dword v91, v0, s[0:3], 0 offen
.LBB104_276:
	v_mov_b32_e32 v0, 0
	global_load_dword v1, v0, s[12:13] offset:124
	s_waitcnt vmcnt(0)
	v_add_nc_u32_e32 v1, -1, v1
	v_cmp_eq_u32_e32 vcc_lo, 31, v1
	s_cbranch_vccnz .LBB104_278
; %bb.277:
	v_lshlrev_b32_e32 v1, 4, v1
	v_mov_b32_e32 v2, s21
	v_add_nc_u32_e32 v1, 16, v1
	s_clause 0x7
	buffer_load_dword v3, v1, s[0:3], 0 offen
	buffer_load_dword v4, v1, s[0:3], 0 offen offset:4
	buffer_load_dword v87, v1, s[0:3], 0 offen offset:8
	;; [unrolled: 1-line block ×6, first 2 shown]
	buffer_load_dword v92, v2, s[0:3], 0 offen
	s_waitcnt vmcnt(7)
	buffer_store_dword v3, v2, s[0:3], 0 offen
	s_waitcnt vmcnt(6)
	buffer_store_dword v4, v2, s[0:3], 0 offen offset:4
	s_waitcnt vmcnt(5)
	buffer_store_dword v87, v2, s[0:3], 0 offen offset:8
	;; [unrolled: 2-line block ×6, first 2 shown]
	s_waitcnt vmcnt(0)
	buffer_store_dword v92, v1, s[0:3], 0 offen
.LBB104_278:
	global_load_dword v0, v0, s[12:13] offset:120
	s_waitcnt vmcnt(0)
	v_add_nc_u32_e32 v0, -1, v0
	v_cmp_eq_u32_e32 vcc_lo, 30, v0
	s_cbranch_vccnz .LBB104_280
; %bb.279:
	v_lshlrev_b32_e32 v0, 4, v0
	v_mov_b32_e32 v1, s22
	v_add_nc_u32_e32 v0, 16, v0
	s_clause 0x7
	buffer_load_dword v2, v0, s[0:3], 0 offen
	buffer_load_dword v3, v0, s[0:3], 0 offen offset:4
	buffer_load_dword v4, v0, s[0:3], 0 offen offset:8
	;; [unrolled: 1-line block ×6, first 2 shown]
	buffer_load_dword v91, v1, s[0:3], 0 offen
	s_waitcnt vmcnt(7)
	buffer_store_dword v2, v1, s[0:3], 0 offen
	s_waitcnt vmcnt(6)
	buffer_store_dword v3, v1, s[0:3], 0 offen offset:4
	s_waitcnt vmcnt(5)
	buffer_store_dword v4, v1, s[0:3], 0 offen offset:8
	;; [unrolled: 2-line block ×6, first 2 shown]
	s_waitcnt vmcnt(0)
	buffer_store_dword v91, v0, s[0:3], 0 offen
.LBB104_280:
	v_mov_b32_e32 v0, 0
	global_load_dword v1, v0, s[12:13] offset:116
	s_waitcnt vmcnt(0)
	v_add_nc_u32_e32 v1, -1, v1
	v_cmp_eq_u32_e32 vcc_lo, 29, v1
	s_cbranch_vccnz .LBB104_282
; %bb.281:
	v_lshlrev_b32_e32 v1, 4, v1
	v_mov_b32_e32 v2, s23
	v_add_nc_u32_e32 v1, 16, v1
	s_clause 0x7
	buffer_load_dword v3, v1, s[0:3], 0 offen
	buffer_load_dword v4, v1, s[0:3], 0 offen offset:4
	buffer_load_dword v87, v1, s[0:3], 0 offen offset:8
	;; [unrolled: 1-line block ×6, first 2 shown]
	buffer_load_dword v92, v2, s[0:3], 0 offen
	s_waitcnt vmcnt(7)
	buffer_store_dword v3, v2, s[0:3], 0 offen
	s_waitcnt vmcnt(6)
	buffer_store_dword v4, v2, s[0:3], 0 offen offset:4
	s_waitcnt vmcnt(5)
	buffer_store_dword v87, v2, s[0:3], 0 offen offset:8
	;; [unrolled: 2-line block ×6, first 2 shown]
	s_waitcnt vmcnt(0)
	buffer_store_dword v92, v1, s[0:3], 0 offen
.LBB104_282:
	global_load_dword v0, v0, s[12:13] offset:112
	s_waitcnt vmcnt(0)
	v_add_nc_u32_e32 v0, -1, v0
	v_cmp_eq_u32_e32 vcc_lo, 28, v0
	s_cbranch_vccnz .LBB104_284
; %bb.283:
	v_lshlrev_b32_e32 v0, 4, v0
	v_mov_b32_e32 v1, s24
	v_add_nc_u32_e32 v0, 16, v0
	s_clause 0x7
	buffer_load_dword v2, v0, s[0:3], 0 offen
	buffer_load_dword v3, v0, s[0:3], 0 offen offset:4
	buffer_load_dword v4, v0, s[0:3], 0 offen offset:8
	;; [unrolled: 1-line block ×6, first 2 shown]
	buffer_load_dword v91, v1, s[0:3], 0 offen
	s_waitcnt vmcnt(7)
	buffer_store_dword v2, v1, s[0:3], 0 offen
	s_waitcnt vmcnt(6)
	buffer_store_dword v3, v1, s[0:3], 0 offen offset:4
	s_waitcnt vmcnt(5)
	buffer_store_dword v4, v1, s[0:3], 0 offen offset:8
	;; [unrolled: 2-line block ×6, first 2 shown]
	s_waitcnt vmcnt(0)
	buffer_store_dword v91, v0, s[0:3], 0 offen
.LBB104_284:
	v_mov_b32_e32 v0, 0
	global_load_dword v1, v0, s[12:13] offset:108
	s_waitcnt vmcnt(0)
	v_add_nc_u32_e32 v1, -1, v1
	v_cmp_eq_u32_e32 vcc_lo, 27, v1
	s_cbranch_vccnz .LBB104_286
; %bb.285:
	v_lshlrev_b32_e32 v1, 4, v1
	v_mov_b32_e32 v2, s25
	v_add_nc_u32_e32 v1, 16, v1
	s_clause 0x7
	buffer_load_dword v3, v1, s[0:3], 0 offen
	buffer_load_dword v4, v1, s[0:3], 0 offen offset:4
	buffer_load_dword v87, v1, s[0:3], 0 offen offset:8
	;; [unrolled: 1-line block ×6, first 2 shown]
	buffer_load_dword v92, v2, s[0:3], 0 offen
	s_waitcnt vmcnt(7)
	buffer_store_dword v3, v2, s[0:3], 0 offen
	s_waitcnt vmcnt(6)
	buffer_store_dword v4, v2, s[0:3], 0 offen offset:4
	s_waitcnt vmcnt(5)
	buffer_store_dword v87, v2, s[0:3], 0 offen offset:8
	s_waitcnt vmcnt(4)
	buffer_store_dword v88, v2, s[0:3], 0 offen offset:12
	s_waitcnt vmcnt(3)
	buffer_store_dword v89, v1, s[0:3], 0 offen offset:12
	s_waitcnt vmcnt(2)
	buffer_store_dword v90, v1, s[0:3], 0 offen offset:8
	s_waitcnt vmcnt(1)
	buffer_store_dword v91, v1, s[0:3], 0 offen offset:4
	s_waitcnt vmcnt(0)
	buffer_store_dword v92, v1, s[0:3], 0 offen
.LBB104_286:
	global_load_dword v0, v0, s[12:13] offset:104
	s_waitcnt vmcnt(0)
	v_add_nc_u32_e32 v0, -1, v0
	v_cmp_eq_u32_e32 vcc_lo, 26, v0
	s_cbranch_vccnz .LBB104_288
; %bb.287:
	v_lshlrev_b32_e32 v0, 4, v0
	v_mov_b32_e32 v1, s26
	v_add_nc_u32_e32 v0, 16, v0
	s_clause 0x7
	buffer_load_dword v2, v0, s[0:3], 0 offen
	buffer_load_dword v3, v0, s[0:3], 0 offen offset:4
	buffer_load_dword v4, v0, s[0:3], 0 offen offset:8
	;; [unrolled: 1-line block ×6, first 2 shown]
	buffer_load_dword v91, v1, s[0:3], 0 offen
	s_waitcnt vmcnt(7)
	buffer_store_dword v2, v1, s[0:3], 0 offen
	s_waitcnt vmcnt(6)
	buffer_store_dword v3, v1, s[0:3], 0 offen offset:4
	s_waitcnt vmcnt(5)
	buffer_store_dword v4, v1, s[0:3], 0 offen offset:8
	;; [unrolled: 2-line block ×6, first 2 shown]
	s_waitcnt vmcnt(0)
	buffer_store_dword v91, v0, s[0:3], 0 offen
.LBB104_288:
	v_mov_b32_e32 v0, 0
	global_load_dword v1, v0, s[12:13] offset:100
	s_waitcnt vmcnt(0)
	v_add_nc_u32_e32 v1, -1, v1
	v_cmp_eq_u32_e32 vcc_lo, 25, v1
	s_cbranch_vccnz .LBB104_290
; %bb.289:
	v_lshlrev_b32_e32 v1, 4, v1
	v_mov_b32_e32 v2, s27
	v_add_nc_u32_e32 v1, 16, v1
	s_clause 0x7
	buffer_load_dword v3, v1, s[0:3], 0 offen
	buffer_load_dword v4, v1, s[0:3], 0 offen offset:4
	buffer_load_dword v87, v1, s[0:3], 0 offen offset:8
	;; [unrolled: 1-line block ×6, first 2 shown]
	buffer_load_dword v92, v2, s[0:3], 0 offen
	s_waitcnt vmcnt(7)
	buffer_store_dword v3, v2, s[0:3], 0 offen
	s_waitcnt vmcnt(6)
	buffer_store_dword v4, v2, s[0:3], 0 offen offset:4
	s_waitcnt vmcnt(5)
	buffer_store_dword v87, v2, s[0:3], 0 offen offset:8
	;; [unrolled: 2-line block ×6, first 2 shown]
	s_waitcnt vmcnt(0)
	buffer_store_dword v92, v1, s[0:3], 0 offen
.LBB104_290:
	global_load_dword v0, v0, s[12:13] offset:96
	s_waitcnt vmcnt(0)
	v_add_nc_u32_e32 v0, -1, v0
	v_cmp_eq_u32_e32 vcc_lo, 24, v0
	s_cbranch_vccnz .LBB104_292
; %bb.291:
	v_lshlrev_b32_e32 v0, 4, v0
	v_mov_b32_e32 v1, s28
	v_add_nc_u32_e32 v0, 16, v0
	s_clause 0x7
	buffer_load_dword v2, v0, s[0:3], 0 offen
	buffer_load_dword v3, v0, s[0:3], 0 offen offset:4
	buffer_load_dword v4, v0, s[0:3], 0 offen offset:8
	;; [unrolled: 1-line block ×6, first 2 shown]
	buffer_load_dword v91, v1, s[0:3], 0 offen
	s_waitcnt vmcnt(7)
	buffer_store_dword v2, v1, s[0:3], 0 offen
	s_waitcnt vmcnt(6)
	buffer_store_dword v3, v1, s[0:3], 0 offen offset:4
	s_waitcnt vmcnt(5)
	buffer_store_dword v4, v1, s[0:3], 0 offen offset:8
	;; [unrolled: 2-line block ×6, first 2 shown]
	s_waitcnt vmcnt(0)
	buffer_store_dword v91, v0, s[0:3], 0 offen
.LBB104_292:
	v_mov_b32_e32 v0, 0
	global_load_dword v1, v0, s[12:13] offset:92
	s_waitcnt vmcnt(0)
	v_add_nc_u32_e32 v1, -1, v1
	v_cmp_eq_u32_e32 vcc_lo, 23, v1
	s_cbranch_vccnz .LBB104_294
; %bb.293:
	v_lshlrev_b32_e32 v1, 4, v1
	v_mov_b32_e32 v2, s29
	v_add_nc_u32_e32 v1, 16, v1
	s_clause 0x7
	buffer_load_dword v3, v1, s[0:3], 0 offen
	buffer_load_dword v4, v1, s[0:3], 0 offen offset:4
	buffer_load_dword v87, v1, s[0:3], 0 offen offset:8
	;; [unrolled: 1-line block ×6, first 2 shown]
	buffer_load_dword v92, v2, s[0:3], 0 offen
	s_waitcnt vmcnt(7)
	buffer_store_dword v3, v2, s[0:3], 0 offen
	s_waitcnt vmcnt(6)
	buffer_store_dword v4, v2, s[0:3], 0 offen offset:4
	s_waitcnt vmcnt(5)
	buffer_store_dword v87, v2, s[0:3], 0 offen offset:8
	;; [unrolled: 2-line block ×6, first 2 shown]
	s_waitcnt vmcnt(0)
	buffer_store_dword v92, v1, s[0:3], 0 offen
.LBB104_294:
	global_load_dword v0, v0, s[12:13] offset:88
	s_waitcnt vmcnt(0)
	v_add_nc_u32_e32 v0, -1, v0
	v_cmp_eq_u32_e32 vcc_lo, 22, v0
	s_cbranch_vccnz .LBB104_296
; %bb.295:
	v_lshlrev_b32_e32 v0, 4, v0
	v_mov_b32_e32 v1, s30
	v_add_nc_u32_e32 v0, 16, v0
	s_clause 0x7
	buffer_load_dword v2, v0, s[0:3], 0 offen
	buffer_load_dword v3, v0, s[0:3], 0 offen offset:4
	buffer_load_dword v4, v0, s[0:3], 0 offen offset:8
	;; [unrolled: 1-line block ×6, first 2 shown]
	buffer_load_dword v91, v1, s[0:3], 0 offen
	s_waitcnt vmcnt(7)
	buffer_store_dword v2, v1, s[0:3], 0 offen
	s_waitcnt vmcnt(6)
	buffer_store_dword v3, v1, s[0:3], 0 offen offset:4
	s_waitcnt vmcnt(5)
	buffer_store_dword v4, v1, s[0:3], 0 offen offset:8
	;; [unrolled: 2-line block ×6, first 2 shown]
	s_waitcnt vmcnt(0)
	buffer_store_dword v91, v0, s[0:3], 0 offen
.LBB104_296:
	v_mov_b32_e32 v0, 0
	global_load_dword v1, v0, s[12:13] offset:84
	s_waitcnt vmcnt(0)
	v_add_nc_u32_e32 v1, -1, v1
	v_cmp_eq_u32_e32 vcc_lo, 21, v1
	s_cbranch_vccnz .LBB104_298
; %bb.297:
	v_lshlrev_b32_e32 v1, 4, v1
	v_mov_b32_e32 v2, s31
	v_add_nc_u32_e32 v1, 16, v1
	s_clause 0x7
	buffer_load_dword v3, v1, s[0:3], 0 offen
	buffer_load_dword v4, v1, s[0:3], 0 offen offset:4
	buffer_load_dword v87, v1, s[0:3], 0 offen offset:8
	;; [unrolled: 1-line block ×6, first 2 shown]
	buffer_load_dword v92, v2, s[0:3], 0 offen
	s_waitcnt vmcnt(7)
	buffer_store_dword v3, v2, s[0:3], 0 offen
	s_waitcnt vmcnt(6)
	buffer_store_dword v4, v2, s[0:3], 0 offen offset:4
	s_waitcnt vmcnt(5)
	buffer_store_dword v87, v2, s[0:3], 0 offen offset:8
	;; [unrolled: 2-line block ×6, first 2 shown]
	s_waitcnt vmcnt(0)
	buffer_store_dword v92, v1, s[0:3], 0 offen
.LBB104_298:
	global_load_dword v0, v0, s[12:13] offset:80
	s_waitcnt vmcnt(0)
	v_add_nc_u32_e32 v0, -1, v0
	v_cmp_eq_u32_e32 vcc_lo, 20, v0
	s_cbranch_vccnz .LBB104_300
; %bb.299:
	v_lshlrev_b32_e32 v0, 4, v0
	v_mov_b32_e32 v1, s33
	v_add_nc_u32_e32 v0, 16, v0
	s_clause 0x7
	buffer_load_dword v2, v0, s[0:3], 0 offen
	buffer_load_dword v3, v0, s[0:3], 0 offen offset:4
	buffer_load_dword v4, v0, s[0:3], 0 offen offset:8
	;; [unrolled: 1-line block ×6, first 2 shown]
	buffer_load_dword v91, v1, s[0:3], 0 offen
	s_waitcnt vmcnt(7)
	buffer_store_dword v2, v1, s[0:3], 0 offen
	s_waitcnt vmcnt(6)
	buffer_store_dword v3, v1, s[0:3], 0 offen offset:4
	s_waitcnt vmcnt(5)
	buffer_store_dword v4, v1, s[0:3], 0 offen offset:8
	;; [unrolled: 2-line block ×6, first 2 shown]
	s_waitcnt vmcnt(0)
	buffer_store_dword v91, v0, s[0:3], 0 offen
.LBB104_300:
	v_mov_b32_e32 v0, 0
	global_load_dword v1, v0, s[12:13] offset:76
	s_waitcnt vmcnt(0)
	v_add_nc_u32_e32 v1, -1, v1
	v_cmp_eq_u32_e32 vcc_lo, 19, v1
	s_cbranch_vccnz .LBB104_302
; %bb.301:
	v_lshlrev_b32_e32 v1, 4, v1
	v_mov_b32_e32 v2, s34
	v_add_nc_u32_e32 v1, 16, v1
	s_clause 0x7
	buffer_load_dword v3, v1, s[0:3], 0 offen
	buffer_load_dword v4, v1, s[0:3], 0 offen offset:4
	buffer_load_dword v87, v1, s[0:3], 0 offen offset:8
	buffer_load_dword v88, v1, s[0:3], 0 offen offset:12
	buffer_load_dword v89, v2, s[0:3], 0 offen offset:12
	buffer_load_dword v90, v2, s[0:3], 0 offen offset:8
	buffer_load_dword v91, v2, s[0:3], 0 offen offset:4
	buffer_load_dword v92, v2, s[0:3], 0 offen
	s_waitcnt vmcnt(7)
	buffer_store_dword v3, v2, s[0:3], 0 offen
	s_waitcnt vmcnt(6)
	buffer_store_dword v4, v2, s[0:3], 0 offen offset:4
	s_waitcnt vmcnt(5)
	buffer_store_dword v87, v2, s[0:3], 0 offen offset:8
	;; [unrolled: 2-line block ×6, first 2 shown]
	s_waitcnt vmcnt(0)
	buffer_store_dword v92, v1, s[0:3], 0 offen
.LBB104_302:
	global_load_dword v0, v0, s[12:13] offset:72
	s_waitcnt vmcnt(0)
	v_add_nc_u32_e32 v0, -1, v0
	v_cmp_eq_u32_e32 vcc_lo, 18, v0
	s_cbranch_vccnz .LBB104_304
; %bb.303:
	v_lshlrev_b32_e32 v0, 4, v0
	v_mov_b32_e32 v1, s35
	v_add_nc_u32_e32 v0, 16, v0
	s_clause 0x7
	buffer_load_dword v2, v0, s[0:3], 0 offen
	buffer_load_dword v3, v0, s[0:3], 0 offen offset:4
	buffer_load_dword v4, v0, s[0:3], 0 offen offset:8
	buffer_load_dword v87, v0, s[0:3], 0 offen offset:12
	buffer_load_dword v88, v1, s[0:3], 0 offen offset:12
	buffer_load_dword v89, v1, s[0:3], 0 offen offset:8
	buffer_load_dword v90, v1, s[0:3], 0 offen offset:4
	buffer_load_dword v91, v1, s[0:3], 0 offen
	s_waitcnt vmcnt(7)
	buffer_store_dword v2, v1, s[0:3], 0 offen
	s_waitcnt vmcnt(6)
	buffer_store_dword v3, v1, s[0:3], 0 offen offset:4
	s_waitcnt vmcnt(5)
	buffer_store_dword v4, v1, s[0:3], 0 offen offset:8
	s_waitcnt vmcnt(4)
	buffer_store_dword v87, v1, s[0:3], 0 offen offset:12
	s_waitcnt vmcnt(3)
	buffer_store_dword v88, v0, s[0:3], 0 offen offset:12
	s_waitcnt vmcnt(2)
	buffer_store_dword v89, v0, s[0:3], 0 offen offset:8
	s_waitcnt vmcnt(1)
	buffer_store_dword v90, v0, s[0:3], 0 offen offset:4
	s_waitcnt vmcnt(0)
	buffer_store_dword v91, v0, s[0:3], 0 offen
.LBB104_304:
	v_mov_b32_e32 v0, 0
	global_load_dword v1, v0, s[12:13] offset:68
	s_waitcnt vmcnt(0)
	v_add_nc_u32_e32 v1, -1, v1
	v_cmp_eq_u32_e32 vcc_lo, 17, v1
	s_cbranch_vccnz .LBB104_306
; %bb.305:
	v_lshlrev_b32_e32 v1, 4, v1
	v_mov_b32_e32 v2, s36
	v_add_nc_u32_e32 v1, 16, v1
	s_clause 0x7
	buffer_load_dword v3, v1, s[0:3], 0 offen
	buffer_load_dword v4, v1, s[0:3], 0 offen offset:4
	buffer_load_dword v87, v1, s[0:3], 0 offen offset:8
	buffer_load_dword v88, v1, s[0:3], 0 offen offset:12
	buffer_load_dword v89, v2, s[0:3], 0 offen offset:12
	buffer_load_dword v90, v2, s[0:3], 0 offen offset:8
	buffer_load_dword v91, v2, s[0:3], 0 offen offset:4
	buffer_load_dword v92, v2, s[0:3], 0 offen
	s_waitcnt vmcnt(7)
	buffer_store_dword v3, v2, s[0:3], 0 offen
	s_waitcnt vmcnt(6)
	buffer_store_dword v4, v2, s[0:3], 0 offen offset:4
	s_waitcnt vmcnt(5)
	buffer_store_dword v87, v2, s[0:3], 0 offen offset:8
	;; [unrolled: 2-line block ×6, first 2 shown]
	s_waitcnt vmcnt(0)
	buffer_store_dword v92, v1, s[0:3], 0 offen
.LBB104_306:
	global_load_dword v0, v0, s[12:13] offset:64
	s_waitcnt vmcnt(0)
	v_add_nc_u32_e32 v0, -1, v0
	v_cmp_eq_u32_e32 vcc_lo, 16, v0
	s_cbranch_vccnz .LBB104_308
; %bb.307:
	v_lshlrev_b32_e32 v0, 4, v0
	v_mov_b32_e32 v1, s37
	v_add_nc_u32_e32 v0, 16, v0
	s_clause 0x7
	buffer_load_dword v2, v0, s[0:3], 0 offen
	buffer_load_dword v3, v0, s[0:3], 0 offen offset:4
	buffer_load_dword v4, v0, s[0:3], 0 offen offset:8
	;; [unrolled: 1-line block ×6, first 2 shown]
	buffer_load_dword v91, v1, s[0:3], 0 offen
	s_waitcnt vmcnt(7)
	buffer_store_dword v2, v1, s[0:3], 0 offen
	s_waitcnt vmcnt(6)
	buffer_store_dword v3, v1, s[0:3], 0 offen offset:4
	s_waitcnt vmcnt(5)
	buffer_store_dword v4, v1, s[0:3], 0 offen offset:8
	;; [unrolled: 2-line block ×6, first 2 shown]
	s_waitcnt vmcnt(0)
	buffer_store_dword v91, v0, s[0:3], 0 offen
.LBB104_308:
	v_mov_b32_e32 v0, 0
	global_load_dword v1, v0, s[12:13] offset:60
	s_waitcnt vmcnt(0)
	v_add_nc_u32_e32 v1, -1, v1
	v_cmp_eq_u32_e32 vcc_lo, 15, v1
	s_cbranch_vccnz .LBB104_310
; %bb.309:
	v_lshlrev_b32_e32 v1, 4, v1
	v_mov_b32_e32 v2, s38
	v_add_nc_u32_e32 v1, 16, v1
	s_clause 0x7
	buffer_load_dword v3, v1, s[0:3], 0 offen
	buffer_load_dword v4, v1, s[0:3], 0 offen offset:4
	buffer_load_dword v87, v1, s[0:3], 0 offen offset:8
	;; [unrolled: 1-line block ×6, first 2 shown]
	buffer_load_dword v92, v2, s[0:3], 0 offen
	s_waitcnt vmcnt(7)
	buffer_store_dword v3, v2, s[0:3], 0 offen
	s_waitcnt vmcnt(6)
	buffer_store_dword v4, v2, s[0:3], 0 offen offset:4
	s_waitcnt vmcnt(5)
	buffer_store_dword v87, v2, s[0:3], 0 offen offset:8
	;; [unrolled: 2-line block ×6, first 2 shown]
	s_waitcnt vmcnt(0)
	buffer_store_dword v92, v1, s[0:3], 0 offen
.LBB104_310:
	global_load_dword v0, v0, s[12:13] offset:56
	s_waitcnt vmcnt(0)
	v_add_nc_u32_e32 v0, -1, v0
	v_cmp_eq_u32_e32 vcc_lo, 14, v0
	s_cbranch_vccnz .LBB104_312
; %bb.311:
	v_lshlrev_b32_e32 v0, 4, v0
	v_mov_b32_e32 v1, s39
	v_add_nc_u32_e32 v0, 16, v0
	s_clause 0x7
	buffer_load_dword v2, v0, s[0:3], 0 offen
	buffer_load_dword v3, v0, s[0:3], 0 offen offset:4
	buffer_load_dword v4, v0, s[0:3], 0 offen offset:8
	;; [unrolled: 1-line block ×6, first 2 shown]
	buffer_load_dword v91, v1, s[0:3], 0 offen
	s_waitcnt vmcnt(7)
	buffer_store_dword v2, v1, s[0:3], 0 offen
	s_waitcnt vmcnt(6)
	buffer_store_dword v3, v1, s[0:3], 0 offen offset:4
	s_waitcnt vmcnt(5)
	buffer_store_dword v4, v1, s[0:3], 0 offen offset:8
	;; [unrolled: 2-line block ×6, first 2 shown]
	s_waitcnt vmcnt(0)
	buffer_store_dword v91, v0, s[0:3], 0 offen
.LBB104_312:
	v_mov_b32_e32 v0, 0
	global_load_dword v1, v0, s[12:13] offset:52
	s_waitcnt vmcnt(0)
	v_add_nc_u32_e32 v1, -1, v1
	v_cmp_eq_u32_e32 vcc_lo, 13, v1
	s_cbranch_vccnz .LBB104_314
; %bb.313:
	v_lshlrev_b32_e32 v1, 4, v1
	v_mov_b32_e32 v2, s40
	v_add_nc_u32_e32 v1, 16, v1
	s_clause 0x7
	buffer_load_dword v3, v1, s[0:3], 0 offen
	buffer_load_dword v4, v1, s[0:3], 0 offen offset:4
	buffer_load_dword v87, v1, s[0:3], 0 offen offset:8
	;; [unrolled: 1-line block ×6, first 2 shown]
	buffer_load_dword v92, v2, s[0:3], 0 offen
	s_waitcnt vmcnt(7)
	buffer_store_dword v3, v2, s[0:3], 0 offen
	s_waitcnt vmcnt(6)
	buffer_store_dword v4, v2, s[0:3], 0 offen offset:4
	s_waitcnt vmcnt(5)
	buffer_store_dword v87, v2, s[0:3], 0 offen offset:8
	s_waitcnt vmcnt(4)
	buffer_store_dword v88, v2, s[0:3], 0 offen offset:12
	s_waitcnt vmcnt(3)
	buffer_store_dword v89, v1, s[0:3], 0 offen offset:12
	s_waitcnt vmcnt(2)
	buffer_store_dword v90, v1, s[0:3], 0 offen offset:8
	s_waitcnt vmcnt(1)
	buffer_store_dword v91, v1, s[0:3], 0 offen offset:4
	s_waitcnt vmcnt(0)
	buffer_store_dword v92, v1, s[0:3], 0 offen
.LBB104_314:
	global_load_dword v0, v0, s[12:13] offset:48
	s_waitcnt vmcnt(0)
	v_add_nc_u32_e32 v0, -1, v0
	v_cmp_eq_u32_e32 vcc_lo, 12, v0
	s_cbranch_vccnz .LBB104_316
; %bb.315:
	v_lshlrev_b32_e32 v0, 4, v0
	v_mov_b32_e32 v1, s41
	v_add_nc_u32_e32 v0, 16, v0
	s_clause 0x7
	buffer_load_dword v2, v0, s[0:3], 0 offen
	buffer_load_dword v3, v0, s[0:3], 0 offen offset:4
	buffer_load_dword v4, v0, s[0:3], 0 offen offset:8
	;; [unrolled: 1-line block ×6, first 2 shown]
	buffer_load_dword v91, v1, s[0:3], 0 offen
	s_waitcnt vmcnt(7)
	buffer_store_dword v2, v1, s[0:3], 0 offen
	s_waitcnt vmcnt(6)
	buffer_store_dword v3, v1, s[0:3], 0 offen offset:4
	s_waitcnt vmcnt(5)
	buffer_store_dword v4, v1, s[0:3], 0 offen offset:8
	;; [unrolled: 2-line block ×6, first 2 shown]
	s_waitcnt vmcnt(0)
	buffer_store_dword v91, v0, s[0:3], 0 offen
.LBB104_316:
	v_mov_b32_e32 v0, 0
	global_load_dword v1, v0, s[12:13] offset:44
	s_waitcnt vmcnt(0)
	v_add_nc_u32_e32 v1, -1, v1
	v_cmp_eq_u32_e32 vcc_lo, 11, v1
	s_cbranch_vccnz .LBB104_318
; %bb.317:
	v_lshlrev_b32_e32 v1, 4, v1
	v_mov_b32_e32 v2, s42
	v_add_nc_u32_e32 v1, 16, v1
	s_clause 0x7
	buffer_load_dword v3, v1, s[0:3], 0 offen
	buffer_load_dword v4, v1, s[0:3], 0 offen offset:4
	buffer_load_dword v87, v1, s[0:3], 0 offen offset:8
	buffer_load_dword v88, v1, s[0:3], 0 offen offset:12
	buffer_load_dword v89, v2, s[0:3], 0 offen offset:12
	buffer_load_dword v90, v2, s[0:3], 0 offen offset:8
	buffer_load_dword v91, v2, s[0:3], 0 offen offset:4
	buffer_load_dword v92, v2, s[0:3], 0 offen
	s_waitcnt vmcnt(7)
	buffer_store_dword v3, v2, s[0:3], 0 offen
	s_waitcnt vmcnt(6)
	buffer_store_dword v4, v2, s[0:3], 0 offen offset:4
	s_waitcnt vmcnt(5)
	buffer_store_dword v87, v2, s[0:3], 0 offen offset:8
	;; [unrolled: 2-line block ×6, first 2 shown]
	s_waitcnt vmcnt(0)
	buffer_store_dword v92, v1, s[0:3], 0 offen
.LBB104_318:
	global_load_dword v0, v0, s[12:13] offset:40
	s_waitcnt vmcnt(0)
	v_add_nc_u32_e32 v0, -1, v0
	v_cmp_eq_u32_e32 vcc_lo, 10, v0
	s_cbranch_vccnz .LBB104_320
; %bb.319:
	v_lshlrev_b32_e32 v0, 4, v0
	v_mov_b32_e32 v1, s43
	v_add_nc_u32_e32 v0, 16, v0
	s_clause 0x7
	buffer_load_dword v2, v0, s[0:3], 0 offen
	buffer_load_dword v3, v0, s[0:3], 0 offen offset:4
	buffer_load_dword v4, v0, s[0:3], 0 offen offset:8
	;; [unrolled: 1-line block ×6, first 2 shown]
	buffer_load_dword v91, v1, s[0:3], 0 offen
	s_waitcnt vmcnt(7)
	buffer_store_dword v2, v1, s[0:3], 0 offen
	s_waitcnt vmcnt(6)
	buffer_store_dword v3, v1, s[0:3], 0 offen offset:4
	s_waitcnt vmcnt(5)
	buffer_store_dword v4, v1, s[0:3], 0 offen offset:8
	;; [unrolled: 2-line block ×6, first 2 shown]
	s_waitcnt vmcnt(0)
	buffer_store_dword v91, v0, s[0:3], 0 offen
.LBB104_320:
	v_mov_b32_e32 v0, 0
	global_load_dword v1, v0, s[12:13] offset:36
	s_waitcnt vmcnt(0)
	v_add_nc_u32_e32 v1, -1, v1
	v_cmp_eq_u32_e32 vcc_lo, 9, v1
	s_cbranch_vccnz .LBB104_322
; %bb.321:
	v_lshlrev_b32_e32 v1, 4, v1
	v_mov_b32_e32 v2, s44
	v_add_nc_u32_e32 v1, 16, v1
	s_clause 0x7
	buffer_load_dword v3, v1, s[0:3], 0 offen
	buffer_load_dword v4, v1, s[0:3], 0 offen offset:4
	buffer_load_dword v87, v1, s[0:3], 0 offen offset:8
	;; [unrolled: 1-line block ×6, first 2 shown]
	buffer_load_dword v92, v2, s[0:3], 0 offen
	s_waitcnt vmcnt(7)
	buffer_store_dword v3, v2, s[0:3], 0 offen
	s_waitcnt vmcnt(6)
	buffer_store_dword v4, v2, s[0:3], 0 offen offset:4
	s_waitcnt vmcnt(5)
	buffer_store_dword v87, v2, s[0:3], 0 offen offset:8
	;; [unrolled: 2-line block ×6, first 2 shown]
	s_waitcnt vmcnt(0)
	buffer_store_dword v92, v1, s[0:3], 0 offen
.LBB104_322:
	global_load_dword v0, v0, s[12:13] offset:32
	s_waitcnt vmcnt(0)
	v_add_nc_u32_e32 v0, -1, v0
	v_cmp_eq_u32_e32 vcc_lo, 8, v0
	s_cbranch_vccnz .LBB104_324
; %bb.323:
	v_lshlrev_b32_e32 v0, 4, v0
	v_mov_b32_e32 v1, s45
	v_add_nc_u32_e32 v0, 16, v0
	s_clause 0x7
	buffer_load_dword v2, v0, s[0:3], 0 offen
	buffer_load_dword v3, v0, s[0:3], 0 offen offset:4
	buffer_load_dword v4, v0, s[0:3], 0 offen offset:8
	;; [unrolled: 1-line block ×6, first 2 shown]
	buffer_load_dword v91, v1, s[0:3], 0 offen
	s_waitcnt vmcnt(7)
	buffer_store_dword v2, v1, s[0:3], 0 offen
	s_waitcnt vmcnt(6)
	buffer_store_dword v3, v1, s[0:3], 0 offen offset:4
	s_waitcnt vmcnt(5)
	buffer_store_dword v4, v1, s[0:3], 0 offen offset:8
	;; [unrolled: 2-line block ×6, first 2 shown]
	s_waitcnt vmcnt(0)
	buffer_store_dword v91, v0, s[0:3], 0 offen
.LBB104_324:
	v_mov_b32_e32 v0, 0
	global_load_dword v1, v0, s[12:13] offset:28
	s_waitcnt vmcnt(0)
	v_add_nc_u32_e32 v1, -1, v1
	v_cmp_eq_u32_e32 vcc_lo, 7, v1
	s_cbranch_vccnz .LBB104_326
; %bb.325:
	v_lshlrev_b32_e32 v1, 4, v1
	v_mov_b32_e32 v2, s46
	v_add_nc_u32_e32 v1, 16, v1
	s_clause 0x7
	buffer_load_dword v3, v1, s[0:3], 0 offen
	buffer_load_dword v4, v1, s[0:3], 0 offen offset:4
	buffer_load_dword v87, v1, s[0:3], 0 offen offset:8
	;; [unrolled: 1-line block ×6, first 2 shown]
	buffer_load_dword v92, v2, s[0:3], 0 offen
	s_waitcnt vmcnt(7)
	buffer_store_dword v3, v2, s[0:3], 0 offen
	s_waitcnt vmcnt(6)
	buffer_store_dword v4, v2, s[0:3], 0 offen offset:4
	s_waitcnt vmcnt(5)
	buffer_store_dword v87, v2, s[0:3], 0 offen offset:8
	;; [unrolled: 2-line block ×6, first 2 shown]
	s_waitcnt vmcnt(0)
	buffer_store_dword v92, v1, s[0:3], 0 offen
.LBB104_326:
	global_load_dword v0, v0, s[12:13] offset:24
	s_waitcnt vmcnt(0)
	v_add_nc_u32_e32 v0, -1, v0
	v_cmp_eq_u32_e32 vcc_lo, 6, v0
	s_cbranch_vccnz .LBB104_328
; %bb.327:
	v_lshlrev_b32_e32 v0, 4, v0
	v_mov_b32_e32 v1, s47
	v_add_nc_u32_e32 v0, 16, v0
	s_clause 0x7
	buffer_load_dword v2, v0, s[0:3], 0 offen
	buffer_load_dword v3, v0, s[0:3], 0 offen offset:4
	buffer_load_dword v4, v0, s[0:3], 0 offen offset:8
	;; [unrolled: 1-line block ×6, first 2 shown]
	buffer_load_dword v91, v1, s[0:3], 0 offen
	s_waitcnt vmcnt(7)
	buffer_store_dword v2, v1, s[0:3], 0 offen
	s_waitcnt vmcnt(6)
	buffer_store_dword v3, v1, s[0:3], 0 offen offset:4
	s_waitcnt vmcnt(5)
	buffer_store_dword v4, v1, s[0:3], 0 offen offset:8
	s_waitcnt vmcnt(4)
	buffer_store_dword v87, v1, s[0:3], 0 offen offset:12
	s_waitcnt vmcnt(3)
	buffer_store_dword v88, v0, s[0:3], 0 offen offset:12
	s_waitcnt vmcnt(2)
	buffer_store_dword v89, v0, s[0:3], 0 offen offset:8
	s_waitcnt vmcnt(1)
	buffer_store_dword v90, v0, s[0:3], 0 offen offset:4
	s_waitcnt vmcnt(0)
	buffer_store_dword v91, v0, s[0:3], 0 offen
.LBB104_328:
	v_mov_b32_e32 v0, 0
	global_load_dword v1, v0, s[12:13] offset:20
	s_waitcnt vmcnt(0)
	v_add_nc_u32_e32 v1, -1, v1
	v_cmp_eq_u32_e32 vcc_lo, 5, v1
	s_cbranch_vccnz .LBB104_330
; %bb.329:
	v_lshlrev_b32_e32 v1, 4, v1
	v_mov_b32_e32 v2, s48
	v_add_nc_u32_e32 v1, 16, v1
	s_clause 0x7
	buffer_load_dword v3, v1, s[0:3], 0 offen
	buffer_load_dword v4, v1, s[0:3], 0 offen offset:4
	buffer_load_dword v87, v1, s[0:3], 0 offen offset:8
	;; [unrolled: 1-line block ×6, first 2 shown]
	buffer_load_dword v92, v2, s[0:3], 0 offen
	s_waitcnt vmcnt(7)
	buffer_store_dword v3, v2, s[0:3], 0 offen
	s_waitcnt vmcnt(6)
	buffer_store_dword v4, v2, s[0:3], 0 offen offset:4
	s_waitcnt vmcnt(5)
	buffer_store_dword v87, v2, s[0:3], 0 offen offset:8
	s_waitcnt vmcnt(4)
	buffer_store_dword v88, v2, s[0:3], 0 offen offset:12
	s_waitcnt vmcnt(3)
	buffer_store_dword v89, v1, s[0:3], 0 offen offset:12
	s_waitcnt vmcnt(2)
	buffer_store_dword v90, v1, s[0:3], 0 offen offset:8
	s_waitcnt vmcnt(1)
	buffer_store_dword v91, v1, s[0:3], 0 offen offset:4
	s_waitcnt vmcnt(0)
	buffer_store_dword v92, v1, s[0:3], 0 offen
.LBB104_330:
	global_load_dword v0, v0, s[12:13] offset:16
	s_waitcnt vmcnt(0)
	v_add_nc_u32_e32 v0, -1, v0
	v_cmp_eq_u32_e32 vcc_lo, 4, v0
	s_cbranch_vccnz .LBB104_332
; %bb.331:
	v_lshlrev_b32_e32 v0, 4, v0
	v_mov_b32_e32 v1, s49
	v_add_nc_u32_e32 v0, 16, v0
	s_clause 0x7
	buffer_load_dword v2, v0, s[0:3], 0 offen
	buffer_load_dword v3, v0, s[0:3], 0 offen offset:4
	buffer_load_dword v4, v0, s[0:3], 0 offen offset:8
	;; [unrolled: 1-line block ×6, first 2 shown]
	buffer_load_dword v91, v1, s[0:3], 0 offen
	s_waitcnt vmcnt(7)
	buffer_store_dword v2, v1, s[0:3], 0 offen
	s_waitcnt vmcnt(6)
	buffer_store_dword v3, v1, s[0:3], 0 offen offset:4
	s_waitcnt vmcnt(5)
	buffer_store_dword v4, v1, s[0:3], 0 offen offset:8
	s_waitcnt vmcnt(4)
	buffer_store_dword v87, v1, s[0:3], 0 offen offset:12
	s_waitcnt vmcnt(3)
	buffer_store_dword v88, v0, s[0:3], 0 offen offset:12
	s_waitcnt vmcnt(2)
	buffer_store_dword v89, v0, s[0:3], 0 offen offset:8
	s_waitcnt vmcnt(1)
	buffer_store_dword v90, v0, s[0:3], 0 offen offset:4
	s_waitcnt vmcnt(0)
	buffer_store_dword v91, v0, s[0:3], 0 offen
.LBB104_332:
	v_mov_b32_e32 v0, 0
	global_load_dword v1, v0, s[12:13] offset:12
	s_waitcnt vmcnt(0)
	v_add_nc_u32_e32 v1, -1, v1
	v_cmp_eq_u32_e32 vcc_lo, 3, v1
	s_cbranch_vccnz .LBB104_334
; %bb.333:
	v_lshlrev_b32_e32 v1, 4, v1
	v_mov_b32_e32 v2, s50
	v_add_nc_u32_e32 v1, 16, v1
	s_clause 0x7
	buffer_load_dword v3, v1, s[0:3], 0 offen
	buffer_load_dword v4, v1, s[0:3], 0 offen offset:4
	buffer_load_dword v87, v1, s[0:3], 0 offen offset:8
	;; [unrolled: 1-line block ×6, first 2 shown]
	buffer_load_dword v92, v2, s[0:3], 0 offen
	s_waitcnt vmcnt(7)
	buffer_store_dword v3, v2, s[0:3], 0 offen
	s_waitcnt vmcnt(6)
	buffer_store_dword v4, v2, s[0:3], 0 offen offset:4
	s_waitcnt vmcnt(5)
	buffer_store_dword v87, v2, s[0:3], 0 offen offset:8
	;; [unrolled: 2-line block ×6, first 2 shown]
	s_waitcnt vmcnt(0)
	buffer_store_dword v92, v1, s[0:3], 0 offen
.LBB104_334:
	global_load_dword v0, v0, s[12:13] offset:8
	s_waitcnt vmcnt(0)
	v_add_nc_u32_e32 v0, -1, v0
	v_cmp_eq_u32_e32 vcc_lo, 2, v0
	s_cbranch_vccnz .LBB104_336
; %bb.335:
	v_lshlrev_b32_e32 v0, 4, v0
	v_mov_b32_e32 v1, s51
	v_add_nc_u32_e32 v0, 16, v0
	s_clause 0x7
	buffer_load_dword v2, v0, s[0:3], 0 offen
	buffer_load_dword v3, v0, s[0:3], 0 offen offset:4
	buffer_load_dword v4, v0, s[0:3], 0 offen offset:8
	;; [unrolled: 1-line block ×6, first 2 shown]
	buffer_load_dword v91, v1, s[0:3], 0 offen
	s_waitcnt vmcnt(7)
	buffer_store_dword v2, v1, s[0:3], 0 offen
	s_waitcnt vmcnt(6)
	buffer_store_dword v3, v1, s[0:3], 0 offen offset:4
	s_waitcnt vmcnt(5)
	buffer_store_dword v4, v1, s[0:3], 0 offen offset:8
	;; [unrolled: 2-line block ×6, first 2 shown]
	s_waitcnt vmcnt(0)
	buffer_store_dword v91, v0, s[0:3], 0 offen
.LBB104_336:
	v_mov_b32_e32 v0, 0
	global_load_dword v1, v0, s[12:13] offset:4
	s_waitcnt vmcnt(0)
	v_add_nc_u32_e32 v1, -1, v1
	v_cmp_eq_u32_e32 vcc_lo, 1, v1
	s_cbranch_vccnz .LBB104_338
; %bb.337:
	v_lshlrev_b32_e32 v1, 4, v1
	v_mov_b32_e32 v2, s52
	v_add_nc_u32_e32 v1, 16, v1
	s_clause 0x7
	buffer_load_dword v3, v1, s[0:3], 0 offen
	buffer_load_dword v4, v1, s[0:3], 0 offen offset:4
	buffer_load_dword v87, v1, s[0:3], 0 offen offset:8
	;; [unrolled: 1-line block ×6, first 2 shown]
	buffer_load_dword v92, v2, s[0:3], 0 offen
	s_waitcnt vmcnt(7)
	buffer_store_dword v3, v2, s[0:3], 0 offen
	s_waitcnt vmcnt(6)
	buffer_store_dword v4, v2, s[0:3], 0 offen offset:4
	s_waitcnt vmcnt(5)
	buffer_store_dword v87, v2, s[0:3], 0 offen offset:8
	;; [unrolled: 2-line block ×6, first 2 shown]
	s_waitcnt vmcnt(0)
	buffer_store_dword v92, v1, s[0:3], 0 offen
.LBB104_338:
	global_load_dword v0, v0, s[12:13]
	s_waitcnt vmcnt(0)
	v_add_nc_u32_e32 v0, -1, v0
	v_cmp_eq_u32_e32 vcc_lo, 0, v0
	s_cbranch_vccnz .LBB104_340
; %bb.339:
	v_lshlrev_b32_e32 v0, 4, v0
	v_add_nc_u32_e32 v0, 16, v0
	s_clause 0x7
	buffer_load_dword v1, v0, s[0:3], 0 offen
	buffer_load_dword v2, v0, s[0:3], 0 offen offset:4
	buffer_load_dword v3, v0, s[0:3], 0 offen offset:8
	;; [unrolled: 1-line block ×3, first 2 shown]
	buffer_load_dword v87, off, s[0:3], 0 offset:28
	buffer_load_dword v88, off, s[0:3], 0 offset:24
	;; [unrolled: 1-line block ×4, first 2 shown]
	s_waitcnt vmcnt(7)
	buffer_store_dword v1, off, s[0:3], 0 offset:16
	s_waitcnt vmcnt(6)
	buffer_store_dword v2, off, s[0:3], 0 offset:20
	;; [unrolled: 2-line block ×4, first 2 shown]
	s_waitcnt vmcnt(3)
	buffer_store_dword v87, v0, s[0:3], 0 offen offset:12
	s_waitcnt vmcnt(2)
	buffer_store_dword v88, v0, s[0:3], 0 offen offset:8
	s_waitcnt vmcnt(1)
	buffer_store_dword v89, v0, s[0:3], 0 offen offset:4
	s_waitcnt vmcnt(0)
	buffer_store_dword v90, v0, s[0:3], 0 offen
.LBB104_340:
	s_clause 0x3
	buffer_load_dword v0, off, s[0:3], 0 offset:16
	buffer_load_dword v1, off, s[0:3], 0 offset:20
	;; [unrolled: 1-line block ×4, first 2 shown]
	v_mov_b32_e32 v4, s52
	s_waitcnt vmcnt(0)
	flat_store_dwordx4 v[5:6], v[0:3]
	s_clause 0x3
	buffer_load_dword v0, v4, s[0:3], 0 offen
	buffer_load_dword v1, v4, s[0:3], 0 offen offset:4
	buffer_load_dword v2, v4, s[0:3], 0 offen offset:8
	buffer_load_dword v3, v4, s[0:3], 0 offen offset:12
	v_mov_b32_e32 v4, s51
	s_waitcnt vmcnt(0)
	flat_store_dwordx4 v[59:60], v[0:3]
	s_clause 0x3
	buffer_load_dword v0, v4, s[0:3], 0 offen
	buffer_load_dword v1, v4, s[0:3], 0 offen offset:4
	buffer_load_dword v2, v4, s[0:3], 0 offen offset:8
	buffer_load_dword v3, v4, s[0:3], 0 offen offset:12
	;; [unrolled: 8-line block ×40, first 2 shown]
	s_waitcnt vmcnt(0)
	flat_store_dwordx4 v[85:86], v[0:3]
	s_endpgm
	.section	.rodata,"a",@progbits
	.p2align	6, 0x0
	.amdhsa_kernel _ZN9rocsolver6v33100L18getri_kernel_smallILi41E19rocblas_complex_numIdEPKPS3_EEvT1_iilPiilS8_bb
		.amdhsa_group_segment_fixed_size 1320
		.amdhsa_private_segment_fixed_size 688
		.amdhsa_kernarg_size 60
		.amdhsa_user_sgpr_count 6
		.amdhsa_user_sgpr_private_segment_buffer 1
		.amdhsa_user_sgpr_dispatch_ptr 0
		.amdhsa_user_sgpr_queue_ptr 0
		.amdhsa_user_sgpr_kernarg_segment_ptr 1
		.amdhsa_user_sgpr_dispatch_id 0
		.amdhsa_user_sgpr_flat_scratch_init 0
		.amdhsa_user_sgpr_private_segment_size 0
		.amdhsa_wavefront_size32 1
		.amdhsa_uses_dynamic_stack 0
		.amdhsa_system_sgpr_private_segment_wavefront_offset 1
		.amdhsa_system_sgpr_workgroup_id_x 1
		.amdhsa_system_sgpr_workgroup_id_y 0
		.amdhsa_system_sgpr_workgroup_id_z 0
		.amdhsa_system_sgpr_workgroup_info 0
		.amdhsa_system_vgpr_workitem_id 0
		.amdhsa_next_free_vgpr 177
		.amdhsa_next_free_sgpr 72
		.amdhsa_reserve_vcc 1
		.amdhsa_reserve_flat_scratch 0
		.amdhsa_float_round_mode_32 0
		.amdhsa_float_round_mode_16_64 0
		.amdhsa_float_denorm_mode_32 3
		.amdhsa_float_denorm_mode_16_64 3
		.amdhsa_dx10_clamp 1
		.amdhsa_ieee_mode 1
		.amdhsa_fp16_overflow 0
		.amdhsa_workgroup_processor_mode 1
		.amdhsa_memory_ordered 1
		.amdhsa_forward_progress 1
		.amdhsa_shared_vgpr_count 0
		.amdhsa_exception_fp_ieee_invalid_op 0
		.amdhsa_exception_fp_denorm_src 0
		.amdhsa_exception_fp_ieee_div_zero 0
		.amdhsa_exception_fp_ieee_overflow 0
		.amdhsa_exception_fp_ieee_underflow 0
		.amdhsa_exception_fp_ieee_inexact 0
		.amdhsa_exception_int_div_zero 0
	.end_amdhsa_kernel
	.section	.text._ZN9rocsolver6v33100L18getri_kernel_smallILi41E19rocblas_complex_numIdEPKPS3_EEvT1_iilPiilS8_bb,"axG",@progbits,_ZN9rocsolver6v33100L18getri_kernel_smallILi41E19rocblas_complex_numIdEPKPS3_EEvT1_iilPiilS8_bb,comdat
.Lfunc_end104:
	.size	_ZN9rocsolver6v33100L18getri_kernel_smallILi41E19rocblas_complex_numIdEPKPS3_EEvT1_iilPiilS8_bb, .Lfunc_end104-_ZN9rocsolver6v33100L18getri_kernel_smallILi41E19rocblas_complex_numIdEPKPS3_EEvT1_iilPiilS8_bb
                                        ; -- End function
	.set _ZN9rocsolver6v33100L18getri_kernel_smallILi41E19rocblas_complex_numIdEPKPS3_EEvT1_iilPiilS8_bb.num_vgpr, 177
	.set _ZN9rocsolver6v33100L18getri_kernel_smallILi41E19rocblas_complex_numIdEPKPS3_EEvT1_iilPiilS8_bb.num_agpr, 0
	.set _ZN9rocsolver6v33100L18getri_kernel_smallILi41E19rocblas_complex_numIdEPKPS3_EEvT1_iilPiilS8_bb.numbered_sgpr, 72
	.set _ZN9rocsolver6v33100L18getri_kernel_smallILi41E19rocblas_complex_numIdEPKPS3_EEvT1_iilPiilS8_bb.num_named_barrier, 0
	.set _ZN9rocsolver6v33100L18getri_kernel_smallILi41E19rocblas_complex_numIdEPKPS3_EEvT1_iilPiilS8_bb.private_seg_size, 688
	.set _ZN9rocsolver6v33100L18getri_kernel_smallILi41E19rocblas_complex_numIdEPKPS3_EEvT1_iilPiilS8_bb.uses_vcc, 1
	.set _ZN9rocsolver6v33100L18getri_kernel_smallILi41E19rocblas_complex_numIdEPKPS3_EEvT1_iilPiilS8_bb.uses_flat_scratch, 0
	.set _ZN9rocsolver6v33100L18getri_kernel_smallILi41E19rocblas_complex_numIdEPKPS3_EEvT1_iilPiilS8_bb.has_dyn_sized_stack, 0
	.set _ZN9rocsolver6v33100L18getri_kernel_smallILi41E19rocblas_complex_numIdEPKPS3_EEvT1_iilPiilS8_bb.has_recursion, 0
	.set _ZN9rocsolver6v33100L18getri_kernel_smallILi41E19rocblas_complex_numIdEPKPS3_EEvT1_iilPiilS8_bb.has_indirect_call, 0
	.section	.AMDGPU.csdata,"",@progbits
; Kernel info:
; codeLenInByte = 118860
; TotalNumSgprs: 74
; NumVgprs: 177
; ScratchSize: 688
; MemoryBound: 0
; FloatMode: 240
; IeeeMode: 1
; LDSByteSize: 1320 bytes/workgroup (compile time only)
; SGPRBlocks: 0
; VGPRBlocks: 22
; NumSGPRsForWavesPerEU: 74
; NumVGPRsForWavesPerEU: 177
; Occupancy: 5
; WaveLimiterHint : 1
; COMPUTE_PGM_RSRC2:SCRATCH_EN: 1
; COMPUTE_PGM_RSRC2:USER_SGPR: 6
; COMPUTE_PGM_RSRC2:TRAP_HANDLER: 0
; COMPUTE_PGM_RSRC2:TGID_X_EN: 1
; COMPUTE_PGM_RSRC2:TGID_Y_EN: 0
; COMPUTE_PGM_RSRC2:TGID_Z_EN: 0
; COMPUTE_PGM_RSRC2:TIDIG_COMP_CNT: 0
	.section	.text._ZN9rocsolver6v33100L18getri_kernel_smallILi42E19rocblas_complex_numIdEPKPS3_EEvT1_iilPiilS8_bb,"axG",@progbits,_ZN9rocsolver6v33100L18getri_kernel_smallILi42E19rocblas_complex_numIdEPKPS3_EEvT1_iilPiilS8_bb,comdat
	.globl	_ZN9rocsolver6v33100L18getri_kernel_smallILi42E19rocblas_complex_numIdEPKPS3_EEvT1_iilPiilS8_bb ; -- Begin function _ZN9rocsolver6v33100L18getri_kernel_smallILi42E19rocblas_complex_numIdEPKPS3_EEvT1_iilPiilS8_bb
	.p2align	8
	.type	_ZN9rocsolver6v33100L18getri_kernel_smallILi42E19rocblas_complex_numIdEPKPS3_EEvT1_iilPiilS8_bb,@function
_ZN9rocsolver6v33100L18getri_kernel_smallILi42E19rocblas_complex_numIdEPKPS3_EEvT1_iilPiilS8_bb: ; @_ZN9rocsolver6v33100L18getri_kernel_smallILi42E19rocblas_complex_numIdEPKPS3_EEvT1_iilPiilS8_bb
; %bb.0:
	s_add_u32 s0, s0, s7
	s_addc_u32 s1, s1, 0
	s_mov_b32 s7, exec_lo
	v_cmpx_gt_u32_e32 42, v0
	s_cbranch_execz .LBB105_182
; %bb.1:
	s_clause 0x2
	s_load_dword s16, s[4:5], 0x38
	s_load_dwordx2 s[12:13], s[4:5], 0x0
	s_load_dwordx4 s[8:11], s[4:5], 0x28
	s_waitcnt lgkmcnt(0)
	s_bitcmp1_b32 s16, 8
	s_cselect_b32 s54, -1, 0
	s_ashr_i32 s7, s6, 31
	s_lshl_b64 s[14:15], s[6:7], 3
	s_add_u32 s12, s12, s14
	s_addc_u32 s13, s13, s15
	s_load_dwordx2 s[14:15], s[12:13], 0x0
	s_bfe_u32 s12, s16, 0x10008
	s_cmp_eq_u32 s12, 0
                                        ; implicit-def: $sgpr12_sgpr13
	s_cbranch_scc1 .LBB105_3
; %bb.2:
	s_clause 0x1
	s_load_dword s12, s[4:5], 0x20
	s_load_dwordx2 s[16:17], s[4:5], 0x18
	s_mul_i32 s13, s8, s7
	s_mul_hi_u32 s18, s8, s6
	s_mul_i32 s9, s9, s6
	s_add_i32 s13, s18, s13
	s_mul_i32 s8, s8, s6
	s_add_i32 s9, s13, s9
	s_lshl_b64 s[8:9], s[8:9], 2
	s_waitcnt lgkmcnt(0)
	s_ashr_i32 s13, s12, 31
	s_add_u32 s16, s16, s8
	s_addc_u32 s17, s17, s9
	s_lshl_b64 s[8:9], s[12:13], 2
	s_add_u32 s12, s16, s8
	s_addc_u32 s13, s17, s9
.LBB105_3:
	s_clause 0x1
	s_load_dwordx2 s[8:9], s[4:5], 0x8
	s_load_dword s55, s[4:5], 0x38
	v_lshlrev_b32_e32 v95, 4, v0
	s_movk_i32 s16, 0xa0
	s_movk_i32 s17, 0xb0
	;; [unrolled: 1-line block ×17, first 2 shown]
	s_waitcnt lgkmcnt(0)
	s_ashr_i32 s5, s8, 31
	s_mov_b32 s4, s8
	v_add3_u32 v7, s9, s9, v0
	s_lshl_b64 s[4:5], s[4:5], 4
	s_movk_i32 s59, 0x1b0
	s_add_u32 s8, s14, s4
	s_addc_u32 s14, s15, s5
	v_add_co_u32 v5, s4, s8, v95
	v_add_co_ci_u32_e64 v6, null, s14, 0, s4
	s_mov_b32 s4, s9
	s_ashr_i32 s5, s9, 31
	v_ashrrev_i32_e32 v8, 31, v7
	flat_load_dwordx4 v[1:4], v[5:6]
	s_lshl_b64 s[4:5], s[4:5], 4
	s_movk_i32 s15, 0x90
	v_add_co_u32 v59, vcc_lo, v5, s4
	v_add_co_ci_u32_e64 v60, null, s5, v6, vcc_lo
	v_lshlrev_b64 v[8:9], 4, v[7:8]
	v_add_nc_u32_e32 v7, s9, v7
	s_movk_i32 s4, 0x50
	s_movk_i32 s60, 0x1c0
	;; [unrolled: 1-line block ×4, first 2 shown]
	v_add_co_u32 v57, vcc_lo, s8, v8
	v_add_co_ci_u32_e64 v58, null, s14, v9, vcc_lo
	v_ashrrev_i32_e32 v8, 31, v7
	s_movk_i32 s63, 0x1f0
	s_movk_i32 s64, 0x200
	;; [unrolled: 1-line block ×4, first 2 shown]
	v_lshlrev_b64 v[8:9], 4, v[7:8]
	v_add_nc_u32_e32 v7, s9, v7
	s_movk_i32 s67, 0x230
	s_movk_i32 s68, 0x240
	;; [unrolled: 1-line block ×4, first 2 shown]
	v_add_co_u32 v53, vcc_lo, s8, v8
	v_add_co_ci_u32_e64 v54, null, s14, v9, vcc_lo
	v_ashrrev_i32_e32 v8, 31, v7
	s_movk_i32 s71, 0x270
	s_movk_i32 s72, 0x280
	;; [unrolled: 1-line block ×3, first 2 shown]
	s_add_i32 s49, s4, 16
	v_lshlrev_b64 v[8:9], 4, v[7:8]
	v_add_nc_u32_e32 v7, s9, v7
	s_add_i32 s45, s15, 16
	s_add_i32 s44, s16, 16
	s_add_i32 s43, s17, 16
	s_add_i32 s42, s18, 16
	v_add_co_u32 v51, vcc_lo, s8, v8
	v_add_co_ci_u32_e64 v52, null, s14, v9, vcc_lo
	v_ashrrev_i32_e32 v8, 31, v7
	s_add_i32 s41, s19, 16
	s_add_i32 s40, s20, 16
	s_add_i32 s39, s21, 16
	s_add_i32 s38, s22, 16
	v_lshlrev_b64 v[8:9], 4, v[7:8]
	v_add_nc_u32_e32 v7, s9, v7
	s_add_i32 s37, s23, 16
	s_add_i32 s36, s24, 16
	s_add_i32 s35, s25, 16
	s_add_i32 s34, s26, 16
	v_add_co_u32 v49, vcc_lo, s8, v8
	v_add_co_ci_u32_e64 v50, null, s14, v9, vcc_lo
	v_ashrrev_i32_e32 v8, 31, v7
	s_add_i32 s33, s27, 16
	s_add_i32 s31, s28, 16
	s_add_i32 s30, s29, 16
	;; [unrolled: 13-line block ×3, first 2 shown]
	s_add_i32 s21, s64, 16
	v_lshlrev_b64 v[8:9], 4, v[7:8]
	v_add_nc_u32_e32 v7, s9, v7
	s_add_i32 s20, s65, 16
	s_add_i32 s19, s66, 16
	;; [unrolled: 1-line block ×4, first 2 shown]
	v_add_co_u32 v45, vcc_lo, s8, v8
	v_add_co_ci_u32_e64 v46, null, s14, v9, vcc_lo
	v_ashrrev_i32_e32 v8, 31, v7
	s_add_i32 s16, s69, 16
	s_add_i32 s15, s70, 16
	s_mov_b32 s5, -1
	s_mov_b32 s53, 32
	v_lshlrev_b64 v[8:9], 4, v[7:8]
	v_add_nc_u32_e32 v7, s9, v7
	s_mov_b32 s52, 48
	s_mov_b32 s51, 64
	s_movk_i32 s50, 0x50
	s_waitcnt vmcnt(0) lgkmcnt(0)
	buffer_store_dword v4, off, s[0:3], 0 offset:28
	buffer_store_dword v3, off, s[0:3], 0 offset:24
	buffer_store_dword v2, off, s[0:3], 0 offset:20
	buffer_store_dword v1, off, s[0:3], 0 offset:16
	flat_load_dwordx4 v[1:4], v[59:60]
	v_add_co_u32 v43, vcc_lo, s8, v8
	v_add_co_ci_u32_e64 v44, null, s14, v9, vcc_lo
	v_ashrrev_i32_e32 v8, 31, v7
	s_waitcnt vmcnt(0) lgkmcnt(0)
	buffer_store_dword v4, off, s[0:3], 0 offset:44
	buffer_store_dword v3, off, s[0:3], 0 offset:40
	buffer_store_dword v2, off, s[0:3], 0 offset:36
	buffer_store_dword v1, off, s[0:3], 0 offset:32
	flat_load_dwordx4 v[1:4], v[57:58]
	v_lshlrev_b64 v[8:9], 4, v[7:8]
	v_add_nc_u32_e32 v7, s9, v7
	s_waitcnt vmcnt(0) lgkmcnt(0)
	buffer_store_dword v4, off, s[0:3], 0 offset:60
	buffer_store_dword v3, off, s[0:3], 0 offset:56
	buffer_store_dword v2, off, s[0:3], 0 offset:52
	buffer_store_dword v1, off, s[0:3], 0 offset:48
	flat_load_dwordx4 v[1:4], v[53:54]
	v_add_co_u32 v41, vcc_lo, s8, v8
	v_add_co_ci_u32_e64 v42, null, s14, v9, vcc_lo
	v_ashrrev_i32_e32 v8, 31, v7
	s_waitcnt vmcnt(0) lgkmcnt(0)
	buffer_store_dword v4, off, s[0:3], 0 offset:76
	buffer_store_dword v3, off, s[0:3], 0 offset:72
	buffer_store_dword v2, off, s[0:3], 0 offset:68
	buffer_store_dword v1, off, s[0:3], 0 offset:64
	flat_load_dwordx4 v[1:4], v[51:52]
	v_lshlrev_b64 v[8:9], 4, v[7:8]
	v_add_nc_u32_e32 v7, s9, v7
	;; [unrolled: 17-line block ×7, first 2 shown]
	s_waitcnt vmcnt(0) lgkmcnt(0)
	buffer_store_dword v4, off, s[0:3], 0 offset:252
	buffer_store_dword v3, off, s[0:3], 0 offset:248
	;; [unrolled: 1-line block ×4, first 2 shown]
	v_add_co_u32 v27, vcc_lo, s8, v8
	v_add_co_ci_u32_e64 v28, null, s14, v9, vcc_lo
	v_ashrrev_i32_e32 v8, 31, v7
	flat_load_dwordx4 v[1:4], v[27:28]
	s_waitcnt vmcnt(0) lgkmcnt(0)
	buffer_store_dword v4, off, s[0:3], 0 offset:268
	buffer_store_dword v3, off, s[0:3], 0 offset:264
	buffer_store_dword v2, off, s[0:3], 0 offset:260
	buffer_store_dword v1, off, s[0:3], 0 offset:256
	v_lshlrev_b64 v[8:9], 4, v[7:8]
	v_add_nc_u32_e32 v7, s9, v7
	v_add_co_u32 v25, vcc_lo, s8, v8
	v_add_co_ci_u32_e64 v26, null, s14, v9, vcc_lo
	v_ashrrev_i32_e32 v8, 31, v7
	flat_load_dwordx4 v[1:4], v[25:26]
	s_waitcnt vmcnt(0) lgkmcnt(0)
	buffer_store_dword v4, off, s[0:3], 0 offset:284
	buffer_store_dword v3, off, s[0:3], 0 offset:280
	buffer_store_dword v2, off, s[0:3], 0 offset:276
	buffer_store_dword v1, off, s[0:3], 0 offset:272
	v_lshlrev_b64 v[8:9], 4, v[7:8]
	v_add_nc_u32_e32 v7, s9, v7
	;; [unrolled: 11-line block ×8, first 2 shown]
	v_add_co_u32 v11, vcc_lo, s8, v8
	v_add_co_ci_u32_e64 v12, null, s14, v9, vcc_lo
	v_ashrrev_i32_e32 v8, 31, v7
	v_add_nc_u32_e32 v35, s9, v7
	flat_load_dwordx4 v[1:4], v[11:12]
	s_waitcnt vmcnt(0) lgkmcnt(0)
	buffer_store_dword v4, off, s[0:3], 0 offset:396
	buffer_store_dword v3, off, s[0:3], 0 offset:392
	;; [unrolled: 1-line block ×4, first 2 shown]
	v_lshlrev_b64 v[9:10], 4, v[7:8]
	v_ashrrev_i32_e32 v36, 31, v35
	v_add_nc_u32_e32 v55, s9, v35
	v_add_co_u32 v9, vcc_lo, s8, v9
	v_add_co_ci_u32_e64 v10, null, s14, v10, vcc_lo
	v_lshlrev_b64 v[7:8], 4, v[35:36]
	v_ashrrev_i32_e32 v56, 31, v55
	v_add_nc_u32_e32 v61, s9, v55
	flat_load_dwordx4 v[1:4], v[9:10]
	s_waitcnt vmcnt(0) lgkmcnt(0)
	buffer_store_dword v4, off, s[0:3], 0 offset:412
	buffer_store_dword v3, off, s[0:3], 0 offset:408
	buffer_store_dword v2, off, s[0:3], 0 offset:404
	buffer_store_dword v1, off, s[0:3], 0 offset:400
	v_add_co_u32 v7, vcc_lo, s8, v7
	v_add_co_ci_u32_e64 v8, null, s14, v8, vcc_lo
	v_lshlrev_b64 v[35:36], 4, v[55:56]
	v_ashrrev_i32_e32 v62, 31, v61
	v_add_nc_u32_e32 v63, s9, v61
	flat_load_dwordx4 v[1:4], v[7:8]
	s_waitcnt vmcnt(0) lgkmcnt(0)
	buffer_store_dword v4, off, s[0:3], 0 offset:428
	buffer_store_dword v3, off, s[0:3], 0 offset:424
	buffer_store_dword v2, off, s[0:3], 0 offset:420
	buffer_store_dword v1, off, s[0:3], 0 offset:416
	;; [unrolled: 11-line block ×14, first 2 shown]
	v_add_co_u32 v81, vcc_lo, s8, v81
	v_add_co_ci_u32_e64 v82, null, s14, v82, vcc_lo
	v_lshlrev_b64 v[83:84], 4, v[85:86]
	v_ashrrev_i32_e32 v88, 31, v87
	flat_load_dwordx4 v[1:4], v[81:82]
	s_waitcnt vmcnt(0) lgkmcnt(0)
	buffer_store_dword v4, off, s[0:3], 0 offset:636
	buffer_store_dword v3, off, s[0:3], 0 offset:632
	;; [unrolled: 1-line block ×4, first 2 shown]
	v_add_co_u32 v83, vcc_lo, s8, v83
	v_add_co_ci_u32_e64 v84, null, s14, v84, vcc_lo
	v_lshlrev_b64 v[85:86], 4, v[87:88]
	v_add_nc_u32_e32 v87, s9, v87
	s_movk_i32 s9, 0x70
	flat_load_dwordx4 v[1:4], v[83:84]
	s_add_i32 s47, s9, 16
	s_add_i32 s9, s72, 16
	v_add_co_u32 v85, vcc_lo, s8, v85
	v_add_co_ci_u32_e64 v86, null, s14, v86, vcc_lo
	v_ashrrev_i32_e32 v88, 31, v87
	s_waitcnt vmcnt(0) lgkmcnt(0)
	buffer_store_dword v4, off, s[0:3], 0 offset:652
	buffer_store_dword v3, off, s[0:3], 0 offset:648
	;; [unrolled: 1-line block ×4, first 2 shown]
	flat_load_dwordx4 v[1:4], v[85:86]
	v_lshlrev_b64 v[87:88], 4, v[87:88]
	s_waitcnt vmcnt(0) lgkmcnt(0)
	buffer_store_dword v4, off, s[0:3], 0 offset:668
	buffer_store_dword v3, off, s[0:3], 0 offset:664
	;; [unrolled: 1-line block ×4, first 2 shown]
	v_add_co_u32 v87, vcc_lo, s8, v87
	v_add_co_ci_u32_e64 v88, null, s14, v88, vcc_lo
	s_movk_i32 s8, 0x60
	s_movk_i32 s14, 0x80
	s_add_i32 s48, s8, 16
	flat_load_dwordx4 v[1:4], v[87:88]
	s_add_i32 s46, s14, 16
	s_add_i32 s14, s71, 16
	;; [unrolled: 1-line block ×3, first 2 shown]
	s_bitcmp0_b32 s55, 0
	s_waitcnt vmcnt(0) lgkmcnt(0)
	buffer_store_dword v4, off, s[0:3], 0 offset:684
	buffer_store_dword v3, off, s[0:3], 0 offset:680
	buffer_store_dword v2, off, s[0:3], 0 offset:676
	buffer_store_dword v1, off, s[0:3], 0 offset:672
	s_cbranch_scc1 .LBB105_180
; %bb.4:
	v_cmp_eq_u32_e64 s4, 0, v0
	s_and_saveexec_b32 s5, s4
; %bb.5:
	v_mov_b32_e32 v1, 0
	ds_write_b32 v1, v1 offset:1344
; %bb.6:
	s_or_b32 exec_lo, exec_lo, s5
	v_lshl_add_u32 v96, v0, 4, 16
	s_waitcnt lgkmcnt(0)
	s_waitcnt_vscnt null, 0x0
	s_barrier
	buffer_gl0_inv
	s_clause 0x3
	buffer_load_dword v1, v96, s[0:3], 0 offen
	buffer_load_dword v2, v96, s[0:3], 0 offen offset:4
	buffer_load_dword v3, v96, s[0:3], 0 offen offset:8
	;; [unrolled: 1-line block ×3, first 2 shown]
	s_waitcnt vmcnt(2)
	v_cmp_eq_f64_e32 vcc_lo, 0, v[1:2]
	s_waitcnt vmcnt(0)
	v_cmp_eq_f64_e64 s5, 0, v[3:4]
	s_and_b32 s5, vcc_lo, s5
	s_and_saveexec_b32 s55, s5
	s_cbranch_execz .LBB105_10
; %bb.7:
	v_mov_b32_e32 v1, 0
	s_mov_b32 s56, 0
	ds_read_b32 v2, v1 offset:1344
	s_waitcnt lgkmcnt(0)
	v_readfirstlane_b32 s5, v2
	v_add_nc_u32_e32 v2, 1, v0
	s_cmp_eq_u32 s5, 0
	v_cmp_gt_i32_e32 vcc_lo, s5, v2
	s_cselect_b32 s57, -1, 0
	s_or_b32 s57, s57, vcc_lo
	s_and_b32 exec_lo, exec_lo, s57
	s_cbranch_execz .LBB105_10
; %bb.8:
	v_mov_b32_e32 v3, s5
.LBB105_9:                              ; =>This Inner Loop Header: Depth=1
	ds_cmpst_rtn_b32 v3, v1, v3, v2 offset:1344
	s_waitcnt lgkmcnt(0)
	v_cmp_ne_u32_e32 vcc_lo, 0, v3
	v_cmp_le_i32_e64 s5, v3, v2
	s_and_b32 s5, vcc_lo, s5
	s_and_b32 s5, exec_lo, s5
	s_or_b32 s56, s5, s56
	s_andn2_b32 exec_lo, exec_lo, s56
	s_cbranch_execnz .LBB105_9
.LBB105_10:
	s_or_b32 exec_lo, exec_lo, s55
	v_mov_b32_e32 v1, 0
	s_barrier
	buffer_gl0_inv
	ds_read_b32 v2, v1 offset:1344
	s_and_saveexec_b32 s5, s4
	s_cbranch_execz .LBB105_12
; %bb.11:
	s_lshl_b64 s[56:57], s[6:7], 2
	s_add_u32 s56, s10, s56
	s_addc_u32 s57, s11, s57
	s_waitcnt lgkmcnt(0)
	global_store_dword v1, v2, s[56:57]
.LBB105_12:
	s_or_b32 exec_lo, exec_lo, s5
	s_waitcnt lgkmcnt(0)
	v_cmp_ne_u32_e32 vcc_lo, 0, v2
	s_mov_b32 s5, 0
	s_cbranch_vccnz .LBB105_180
; %bb.13:
	s_clause 0x3
	buffer_load_dword v91, v96, s[0:3], 0 offen
	buffer_load_dword v92, v96, s[0:3], 0 offen offset:4
	buffer_load_dword v93, v96, s[0:3], 0 offen offset:8
	;; [unrolled: 1-line block ×3, first 2 shown]
                                        ; implicit-def: $vgpr89_vgpr90
                                        ; implicit-def: $vgpr3_vgpr4
	s_waitcnt vmcnt(0)
	v_cmp_ngt_f64_e64 s5, |v[91:92]|, |v[93:94]|
	s_and_saveexec_b32 s55, s5
	s_xor_b32 s5, exec_lo, s55
	s_cbranch_execz .LBB105_15
; %bb.14:
	v_div_scale_f64 v[1:2], null, v[93:94], v[93:94], v[91:92]
	v_div_scale_f64 v[97:98], vcc_lo, v[91:92], v[93:94], v[91:92]
	v_rcp_f64_e32 v[3:4], v[1:2]
	v_fma_f64 v[89:90], -v[1:2], v[3:4], 1.0
	v_fma_f64 v[3:4], v[3:4], v[89:90], v[3:4]
	v_fma_f64 v[89:90], -v[1:2], v[3:4], 1.0
	v_fma_f64 v[3:4], v[3:4], v[89:90], v[3:4]
	v_mul_f64 v[89:90], v[97:98], v[3:4]
	v_fma_f64 v[1:2], -v[1:2], v[89:90], v[97:98]
	v_div_fmas_f64 v[1:2], v[1:2], v[3:4], v[89:90]
	v_div_fixup_f64 v[1:2], v[1:2], v[93:94], v[91:92]
	v_fma_f64 v[3:4], v[91:92], v[1:2], v[93:94]
	v_div_scale_f64 v[89:90], null, v[3:4], v[3:4], 1.0
	v_div_scale_f64 v[97:98], vcc_lo, 1.0, v[3:4], 1.0
	v_rcp_f64_e32 v[91:92], v[89:90]
	v_fma_f64 v[93:94], -v[89:90], v[91:92], 1.0
	v_fma_f64 v[91:92], v[91:92], v[93:94], v[91:92]
	v_fma_f64 v[93:94], -v[89:90], v[91:92], 1.0
	v_fma_f64 v[91:92], v[91:92], v[93:94], v[91:92]
	v_mul_f64 v[93:94], v[97:98], v[91:92]
	v_fma_f64 v[89:90], -v[89:90], v[93:94], v[97:98]
	v_div_fmas_f64 v[89:90], v[89:90], v[91:92], v[93:94]
                                        ; implicit-def: $vgpr91_vgpr92
                                        ; implicit-def: $vgpr93_vgpr94
	v_div_fixup_f64 v[3:4], v[89:90], v[3:4], 1.0
	v_mul_f64 v[89:90], v[1:2], v[3:4]
	v_xor_b32_e32 v4, 0x80000000, v4
	v_xor_b32_e32 v2, 0x80000000, v90
	v_mov_b32_e32 v1, v89
.LBB105_15:
	s_andn2_saveexec_b32 s5, s5
	s_cbranch_execz .LBB105_17
; %bb.16:
	v_div_scale_f64 v[1:2], null, v[91:92], v[91:92], v[93:94]
	v_div_scale_f64 v[97:98], vcc_lo, v[93:94], v[91:92], v[93:94]
	v_rcp_f64_e32 v[3:4], v[1:2]
	v_fma_f64 v[89:90], -v[1:2], v[3:4], 1.0
	v_fma_f64 v[3:4], v[3:4], v[89:90], v[3:4]
	v_fma_f64 v[89:90], -v[1:2], v[3:4], 1.0
	v_fma_f64 v[3:4], v[3:4], v[89:90], v[3:4]
	v_mul_f64 v[89:90], v[97:98], v[3:4]
	v_fma_f64 v[1:2], -v[1:2], v[89:90], v[97:98]
	v_div_fmas_f64 v[1:2], v[1:2], v[3:4], v[89:90]
	v_div_fixup_f64 v[1:2], v[1:2], v[91:92], v[93:94]
	v_fma_f64 v[3:4], v[93:94], v[1:2], v[91:92]
	v_div_scale_f64 v[89:90], null, v[3:4], v[3:4], 1.0
	v_rcp_f64_e32 v[91:92], v[89:90]
	v_fma_f64 v[93:94], -v[89:90], v[91:92], 1.0
	v_fma_f64 v[91:92], v[91:92], v[93:94], v[91:92]
	v_fma_f64 v[93:94], -v[89:90], v[91:92], 1.0
	v_fma_f64 v[91:92], v[91:92], v[93:94], v[91:92]
	v_div_scale_f64 v[93:94], vcc_lo, 1.0, v[3:4], 1.0
	v_mul_f64 v[97:98], v[93:94], v[91:92]
	v_fma_f64 v[89:90], -v[89:90], v[97:98], v[93:94]
	v_div_fmas_f64 v[89:90], v[89:90], v[91:92], v[97:98]
	v_div_fixup_f64 v[89:90], v[89:90], v[3:4], 1.0
	v_mul_f64 v[3:4], v[1:2], -v[89:90]
	v_xor_b32_e32 v2, 0x80000000, v90
	v_mov_b32_e32 v1, v89
.LBB105_17:
	s_or_b32 exec_lo, exec_lo, s5
	v_mov_b32_e32 v94, s53
	buffer_store_dword v90, v96, s[0:3], 0 offen offset:4
	buffer_store_dword v89, v96, s[0:3], 0 offen
	buffer_store_dword v4, v96, s[0:3], 0 offen offset:12
	buffer_store_dword v3, v96, s[0:3], 0 offen offset:8
	v_xor_b32_e32 v4, 0x80000000, v4
	v_add_nc_u32_e32 v89, 0x2a0, v95
	s_clause 0x3
	buffer_load_dword v93, v94, s[0:3], 0 offen offset:12
	buffer_load_dword v92, v94, s[0:3], 0 offen offset:8
	;; [unrolled: 1-line block ×3, first 2 shown]
	buffer_load_dword v90, v94, s[0:3], 0 offen
	ds_write_b128 v95, v[1:4]
	s_waitcnt vmcnt(0)
	ds_write_b128 v95, v[90:93] offset:672
	s_waitcnt lgkmcnt(0)
	s_waitcnt_vscnt null, 0x0
	s_barrier
	buffer_gl0_inv
	s_and_saveexec_b32 s5, s4
	s_cbranch_execz .LBB105_19
; %bb.18:
	s_clause 0x3
	buffer_load_dword v97, v96, s[0:3], 0 offen offset:8
	buffer_load_dword v98, v96, s[0:3], 0 offen offset:12
	buffer_load_dword v99, v96, s[0:3], 0 offen
	buffer_load_dword v100, v96, s[0:3], 0 offen offset:4
	ds_read_b128 v[1:4], v89
	v_mov_b32_e32 v90, 0
	ds_read_b128 v[90:93], v90 offset:16
	s_waitcnt vmcnt(2) lgkmcnt(1)
	v_mul_f64 v[101:102], v[1:2], v[97:98]
	v_mul_f64 v[97:98], v[3:4], v[97:98]
	s_waitcnt vmcnt(0)
	v_fma_f64 v[3:4], v[3:4], v[99:100], v[101:102]
	v_fma_f64 v[1:2], v[1:2], v[99:100], -v[97:98]
	v_add_f64 v[3:4], v[3:4], 0
	v_add_f64 v[1:2], v[1:2], 0
	s_waitcnt lgkmcnt(0)
	v_mul_f64 v[97:98], v[3:4], v[92:93]
	v_mul_f64 v[92:93], v[1:2], v[92:93]
	v_fma_f64 v[1:2], v[1:2], v[90:91], -v[97:98]
	v_fma_f64 v[3:4], v[3:4], v[90:91], v[92:93]
	buffer_store_dword v1, off, s[0:3], 0 offset:32
	buffer_store_dword v2, off, s[0:3], 0 offset:36
	;; [unrolled: 1-line block ×4, first 2 shown]
.LBB105_19:
	s_or_b32 exec_lo, exec_lo, s5
	v_mov_b32_e32 v4, s52
	s_waitcnt_vscnt null, 0x0
	s_barrier
	buffer_gl0_inv
	s_mov_b32 s5, exec_lo
	s_clause 0x3
	buffer_load_dword v1, v4, s[0:3], 0 offen
	buffer_load_dword v2, v4, s[0:3], 0 offen offset:4
	buffer_load_dword v3, v4, s[0:3], 0 offen offset:8
	;; [unrolled: 1-line block ×3, first 2 shown]
	s_waitcnt vmcnt(0)
	ds_write_b128 v89, v[1:4]
	s_waitcnt lgkmcnt(0)
	s_barrier
	buffer_gl0_inv
	v_cmpx_gt_u32_e32 2, v0
	s_cbranch_execz .LBB105_23
; %bb.20:
	s_clause 0x3
	buffer_load_dword v90, v96, s[0:3], 0 offen offset:8
	buffer_load_dword v91, v96, s[0:3], 0 offen offset:12
	buffer_load_dword v92, v96, s[0:3], 0 offen
	buffer_load_dword v93, v96, s[0:3], 0 offen offset:4
	ds_read_b128 v[1:4], v89
	s_waitcnt vmcnt(2) lgkmcnt(0)
	v_mul_f64 v[96:97], v[3:4], v[90:91]
	v_mul_f64 v[90:91], v[1:2], v[90:91]
	s_waitcnt vmcnt(0)
	v_fma_f64 v[1:2], v[1:2], v[92:93], -v[96:97]
	v_fma_f64 v[3:4], v[3:4], v[92:93], v[90:91]
	v_add_f64 v[1:2], v[1:2], 0
	v_add_f64 v[3:4], v[3:4], 0
	s_and_saveexec_b32 s55, s4
	s_cbranch_execz .LBB105_22
; %bb.21:
	s_clause 0x3
	buffer_load_dword v96, off, s[0:3], 0 offset:40
	buffer_load_dword v97, off, s[0:3], 0 offset:44
	;; [unrolled: 1-line block ×4, first 2 shown]
	v_mov_b32_e32 v90, 0
	ds_read_b128 v[90:93], v90 offset:688
	s_waitcnt vmcnt(2) lgkmcnt(0)
	v_mul_f64 v[100:101], v[90:91], v[96:97]
	v_mul_f64 v[96:97], v[92:93], v[96:97]
	s_waitcnt vmcnt(0)
	v_fma_f64 v[92:93], v[92:93], v[98:99], v[100:101]
	v_fma_f64 v[90:91], v[90:91], v[98:99], -v[96:97]
	v_add_f64 v[3:4], v[3:4], v[92:93]
	v_add_f64 v[1:2], v[1:2], v[90:91]
.LBB105_22:
	s_or_b32 exec_lo, exec_lo, s55
	v_mov_b32_e32 v90, 0
	ds_read_b128 v[90:93], v90 offset:32
	s_waitcnt lgkmcnt(0)
	v_mul_f64 v[96:97], v[3:4], v[92:93]
	v_mul_f64 v[92:93], v[1:2], v[92:93]
	v_fma_f64 v[1:2], v[1:2], v[90:91], -v[96:97]
	v_fma_f64 v[3:4], v[3:4], v[90:91], v[92:93]
	buffer_store_dword v2, off, s[0:3], 0 offset:52
	buffer_store_dword v1, off, s[0:3], 0 offset:48
	;; [unrolled: 1-line block ×4, first 2 shown]
.LBB105_23:
	s_or_b32 exec_lo, exec_lo, s5
	v_mov_b32_e32 v4, s51
	s_waitcnt_vscnt null, 0x0
	s_barrier
	buffer_gl0_inv
	v_add_nc_u32_e32 v90, -1, v0
	s_clause 0x3
	buffer_load_dword v1, v4, s[0:3], 0 offen
	buffer_load_dword v2, v4, s[0:3], 0 offen offset:4
	buffer_load_dword v3, v4, s[0:3], 0 offen offset:8
	;; [unrolled: 1-line block ×3, first 2 shown]
	s_mov_b32 s4, exec_lo
	s_waitcnt vmcnt(0)
	ds_write_b128 v89, v[1:4]
	s_waitcnt lgkmcnt(0)
	s_barrier
	buffer_gl0_inv
	v_cmpx_gt_u32_e32 3, v0
	s_cbranch_execz .LBB105_27
; %bb.24:
	v_mov_b32_e32 v1, 0
	v_mov_b32_e32 v3, 0
	v_add_nc_u32_e32 v91, -1, v0
	v_add_nc_u32_e32 v92, 0x2a0, v95
	v_mov_b32_e32 v2, 0
	v_mov_b32_e32 v4, 0
	v_add_nc_u32_e32 v93, 16, v95
	s_mov_b32 s5, 0
	.p2align	6
.LBB105_25:                             ; =>This Inner Loop Header: Depth=1
	s_clause 0x3
	buffer_load_dword v100, v93, s[0:3], 0 offen offset:8
	buffer_load_dword v101, v93, s[0:3], 0 offen offset:12
	buffer_load_dword v102, v93, s[0:3], 0 offen
	buffer_load_dword v103, v93, s[0:3], 0 offen offset:4
	ds_read_b128 v[96:99], v92
	v_add_nc_u32_e32 v91, 1, v91
	v_add_nc_u32_e32 v92, 16, v92
	;; [unrolled: 1-line block ×3, first 2 shown]
	v_cmp_lt_u32_e32 vcc_lo, 1, v91
	s_or_b32 s5, vcc_lo, s5
	s_waitcnt vmcnt(2) lgkmcnt(0)
	v_mul_f64 v[104:105], v[98:99], v[100:101]
	v_mul_f64 v[100:101], v[96:97], v[100:101]
	s_waitcnt vmcnt(0)
	v_fma_f64 v[96:97], v[96:97], v[102:103], -v[104:105]
	v_fma_f64 v[98:99], v[98:99], v[102:103], v[100:101]
	v_add_f64 v[3:4], v[3:4], v[96:97]
	v_add_f64 v[1:2], v[1:2], v[98:99]
	s_andn2_b32 exec_lo, exec_lo, s5
	s_cbranch_execnz .LBB105_25
; %bb.26:
	s_or_b32 exec_lo, exec_lo, s5
	v_mov_b32_e32 v91, 0
	ds_read_b128 v[91:94], v91 offset:48
	s_waitcnt lgkmcnt(0)
	v_mul_f64 v[96:97], v[1:2], v[93:94]
	v_mul_f64 v[93:94], v[3:4], v[93:94]
	v_fma_f64 v[3:4], v[3:4], v[91:92], -v[96:97]
	v_fma_f64 v[1:2], v[1:2], v[91:92], v[93:94]
	buffer_store_dword v4, off, s[0:3], 0 offset:68
	buffer_store_dword v3, off, s[0:3], 0 offset:64
	buffer_store_dword v2, off, s[0:3], 0 offset:76
	buffer_store_dword v1, off, s[0:3], 0 offset:72
.LBB105_27:
	s_or_b32 exec_lo, exec_lo, s4
	v_mov_b32_e32 v4, s50
	s_waitcnt_vscnt null, 0x0
	s_barrier
	buffer_gl0_inv
	s_mov_b32 s4, exec_lo
	s_clause 0x3
	buffer_load_dword v1, v4, s[0:3], 0 offen
	buffer_load_dword v2, v4, s[0:3], 0 offen offset:4
	buffer_load_dword v3, v4, s[0:3], 0 offen offset:8
	;; [unrolled: 1-line block ×3, first 2 shown]
	s_waitcnt vmcnt(0)
	ds_write_b128 v89, v[1:4]
	s_waitcnt lgkmcnt(0)
	s_barrier
	buffer_gl0_inv
	v_cmpx_gt_u32_e32 4, v0
	s_cbranch_execz .LBB105_31
; %bb.28:
	v_mov_b32_e32 v1, 0
	v_mov_b32_e32 v3, 0
	v_add_nc_u32_e32 v91, -1, v0
	v_add_nc_u32_e32 v92, 0x2a0, v95
	v_mov_b32_e32 v2, 0
	v_mov_b32_e32 v4, 0
	v_add_nc_u32_e32 v93, 16, v95
	s_mov_b32 s5, 0
	.p2align	6
.LBB105_29:                             ; =>This Inner Loop Header: Depth=1
	s_clause 0x3
	buffer_load_dword v100, v93, s[0:3], 0 offen offset:8
	buffer_load_dword v101, v93, s[0:3], 0 offen offset:12
	buffer_load_dword v102, v93, s[0:3], 0 offen
	buffer_load_dword v103, v93, s[0:3], 0 offen offset:4
	ds_read_b128 v[96:99], v92
	v_add_nc_u32_e32 v91, 1, v91
	v_add_nc_u32_e32 v92, 16, v92
	;; [unrolled: 1-line block ×3, first 2 shown]
	v_cmp_lt_u32_e32 vcc_lo, 2, v91
	s_or_b32 s5, vcc_lo, s5
	s_waitcnt vmcnt(2) lgkmcnt(0)
	v_mul_f64 v[104:105], v[98:99], v[100:101]
	v_mul_f64 v[100:101], v[96:97], v[100:101]
	s_waitcnt vmcnt(0)
	v_fma_f64 v[96:97], v[96:97], v[102:103], -v[104:105]
	v_fma_f64 v[98:99], v[98:99], v[102:103], v[100:101]
	v_add_f64 v[3:4], v[3:4], v[96:97]
	v_add_f64 v[1:2], v[1:2], v[98:99]
	s_andn2_b32 exec_lo, exec_lo, s5
	s_cbranch_execnz .LBB105_29
; %bb.30:
	s_or_b32 exec_lo, exec_lo, s5
	v_mov_b32_e32 v91, 0
	ds_read_b128 v[91:94], v91 offset:64
	s_waitcnt lgkmcnt(0)
	v_mul_f64 v[96:97], v[1:2], v[93:94]
	v_mul_f64 v[93:94], v[3:4], v[93:94]
	v_fma_f64 v[3:4], v[3:4], v[91:92], -v[96:97]
	v_fma_f64 v[1:2], v[1:2], v[91:92], v[93:94]
	buffer_store_dword v4, off, s[0:3], 0 offset:84
	buffer_store_dword v3, off, s[0:3], 0 offset:80
	;; [unrolled: 1-line block ×4, first 2 shown]
.LBB105_31:
	s_or_b32 exec_lo, exec_lo, s4
	v_mov_b32_e32 v4, s49
	s_waitcnt_vscnt null, 0x0
	s_barrier
	buffer_gl0_inv
	s_mov_b32 s4, exec_lo
	s_clause 0x3
	buffer_load_dword v1, v4, s[0:3], 0 offen
	buffer_load_dword v2, v4, s[0:3], 0 offen offset:4
	buffer_load_dword v3, v4, s[0:3], 0 offen offset:8
	;; [unrolled: 1-line block ×3, first 2 shown]
	s_waitcnt vmcnt(0)
	ds_write_b128 v89, v[1:4]
	s_waitcnt lgkmcnt(0)
	s_barrier
	buffer_gl0_inv
	v_cmpx_gt_u32_e32 5, v0
	s_cbranch_execz .LBB105_35
; %bb.32:
	v_mov_b32_e32 v1, 0
	v_mov_b32_e32 v3, 0
	v_add_nc_u32_e32 v91, -1, v0
	v_add_nc_u32_e32 v92, 0x2a0, v95
	v_mov_b32_e32 v2, 0
	v_mov_b32_e32 v4, 0
	v_add_nc_u32_e32 v93, 16, v95
	s_mov_b32 s5, 0
	.p2align	6
.LBB105_33:                             ; =>This Inner Loop Header: Depth=1
	s_clause 0x3
	buffer_load_dword v100, v93, s[0:3], 0 offen offset:8
	buffer_load_dword v101, v93, s[0:3], 0 offen offset:12
	buffer_load_dword v102, v93, s[0:3], 0 offen
	buffer_load_dword v103, v93, s[0:3], 0 offen offset:4
	ds_read_b128 v[96:99], v92
	v_add_nc_u32_e32 v91, 1, v91
	v_add_nc_u32_e32 v92, 16, v92
	;; [unrolled: 1-line block ×3, first 2 shown]
	v_cmp_lt_u32_e32 vcc_lo, 3, v91
	s_or_b32 s5, vcc_lo, s5
	s_waitcnt vmcnt(2) lgkmcnt(0)
	v_mul_f64 v[104:105], v[98:99], v[100:101]
	v_mul_f64 v[100:101], v[96:97], v[100:101]
	s_waitcnt vmcnt(0)
	v_fma_f64 v[96:97], v[96:97], v[102:103], -v[104:105]
	v_fma_f64 v[98:99], v[98:99], v[102:103], v[100:101]
	v_add_f64 v[3:4], v[3:4], v[96:97]
	v_add_f64 v[1:2], v[1:2], v[98:99]
	s_andn2_b32 exec_lo, exec_lo, s5
	s_cbranch_execnz .LBB105_33
; %bb.34:
	s_or_b32 exec_lo, exec_lo, s5
	v_mov_b32_e32 v91, 0
	ds_read_b128 v[91:94], v91 offset:80
	s_waitcnt lgkmcnt(0)
	v_mul_f64 v[96:97], v[1:2], v[93:94]
	v_mul_f64 v[93:94], v[3:4], v[93:94]
	v_fma_f64 v[3:4], v[3:4], v[91:92], -v[96:97]
	v_fma_f64 v[1:2], v[1:2], v[91:92], v[93:94]
	buffer_store_dword v4, off, s[0:3], 0 offset:100
	buffer_store_dword v3, off, s[0:3], 0 offset:96
	;; [unrolled: 1-line block ×4, first 2 shown]
.LBB105_35:
	s_or_b32 exec_lo, exec_lo, s4
	v_mov_b32_e32 v4, s48
	s_waitcnt_vscnt null, 0x0
	s_barrier
	buffer_gl0_inv
	s_mov_b32 s4, exec_lo
	s_clause 0x3
	buffer_load_dword v1, v4, s[0:3], 0 offen
	buffer_load_dword v2, v4, s[0:3], 0 offen offset:4
	buffer_load_dword v3, v4, s[0:3], 0 offen offset:8
	;; [unrolled: 1-line block ×3, first 2 shown]
	s_waitcnt vmcnt(0)
	ds_write_b128 v89, v[1:4]
	s_waitcnt lgkmcnt(0)
	s_barrier
	buffer_gl0_inv
	v_cmpx_gt_u32_e32 6, v0
	s_cbranch_execz .LBB105_39
; %bb.36:
	v_mov_b32_e32 v1, 0
	v_mov_b32_e32 v3, 0
	v_add_nc_u32_e32 v91, -1, v0
	v_add_nc_u32_e32 v92, 0x2a0, v95
	v_mov_b32_e32 v2, 0
	v_mov_b32_e32 v4, 0
	v_add_nc_u32_e32 v93, 16, v95
	s_mov_b32 s5, 0
	.p2align	6
.LBB105_37:                             ; =>This Inner Loop Header: Depth=1
	s_clause 0x3
	buffer_load_dword v100, v93, s[0:3], 0 offen offset:8
	buffer_load_dword v101, v93, s[0:3], 0 offen offset:12
	buffer_load_dword v102, v93, s[0:3], 0 offen
	buffer_load_dword v103, v93, s[0:3], 0 offen offset:4
	ds_read_b128 v[96:99], v92
	v_add_nc_u32_e32 v91, 1, v91
	v_add_nc_u32_e32 v92, 16, v92
	;; [unrolled: 1-line block ×3, first 2 shown]
	v_cmp_lt_u32_e32 vcc_lo, 4, v91
	s_or_b32 s5, vcc_lo, s5
	s_waitcnt vmcnt(2) lgkmcnt(0)
	v_mul_f64 v[104:105], v[98:99], v[100:101]
	v_mul_f64 v[100:101], v[96:97], v[100:101]
	s_waitcnt vmcnt(0)
	v_fma_f64 v[96:97], v[96:97], v[102:103], -v[104:105]
	v_fma_f64 v[98:99], v[98:99], v[102:103], v[100:101]
	v_add_f64 v[3:4], v[3:4], v[96:97]
	v_add_f64 v[1:2], v[1:2], v[98:99]
	s_andn2_b32 exec_lo, exec_lo, s5
	s_cbranch_execnz .LBB105_37
; %bb.38:
	s_or_b32 exec_lo, exec_lo, s5
	v_mov_b32_e32 v91, 0
	ds_read_b128 v[91:94], v91 offset:96
	s_waitcnt lgkmcnt(0)
	v_mul_f64 v[96:97], v[1:2], v[93:94]
	v_mul_f64 v[93:94], v[3:4], v[93:94]
	v_fma_f64 v[3:4], v[3:4], v[91:92], -v[96:97]
	v_fma_f64 v[1:2], v[1:2], v[91:92], v[93:94]
	buffer_store_dword v4, off, s[0:3], 0 offset:116
	buffer_store_dword v3, off, s[0:3], 0 offset:112
	;; [unrolled: 1-line block ×4, first 2 shown]
.LBB105_39:
	s_or_b32 exec_lo, exec_lo, s4
	v_mov_b32_e32 v4, s47
	s_waitcnt_vscnt null, 0x0
	s_barrier
	buffer_gl0_inv
	s_mov_b32 s4, exec_lo
	s_clause 0x3
	buffer_load_dword v1, v4, s[0:3], 0 offen
	buffer_load_dword v2, v4, s[0:3], 0 offen offset:4
	buffer_load_dword v3, v4, s[0:3], 0 offen offset:8
	;; [unrolled: 1-line block ×3, first 2 shown]
	s_waitcnt vmcnt(0)
	ds_write_b128 v89, v[1:4]
	s_waitcnt lgkmcnt(0)
	s_barrier
	buffer_gl0_inv
	v_cmpx_gt_u32_e32 7, v0
	s_cbranch_execz .LBB105_43
; %bb.40:
	v_mov_b32_e32 v1, 0
	v_mov_b32_e32 v3, 0
	v_add_nc_u32_e32 v91, -1, v0
	v_add_nc_u32_e32 v92, 0x2a0, v95
	v_mov_b32_e32 v2, 0
	v_mov_b32_e32 v4, 0
	v_add_nc_u32_e32 v93, 16, v95
	s_mov_b32 s5, 0
	.p2align	6
.LBB105_41:                             ; =>This Inner Loop Header: Depth=1
	s_clause 0x3
	buffer_load_dword v100, v93, s[0:3], 0 offen offset:8
	buffer_load_dword v101, v93, s[0:3], 0 offen offset:12
	buffer_load_dword v102, v93, s[0:3], 0 offen
	buffer_load_dword v103, v93, s[0:3], 0 offen offset:4
	ds_read_b128 v[96:99], v92
	v_add_nc_u32_e32 v91, 1, v91
	v_add_nc_u32_e32 v92, 16, v92
	;; [unrolled: 1-line block ×3, first 2 shown]
	v_cmp_lt_u32_e32 vcc_lo, 5, v91
	s_or_b32 s5, vcc_lo, s5
	s_waitcnt vmcnt(2) lgkmcnt(0)
	v_mul_f64 v[104:105], v[98:99], v[100:101]
	v_mul_f64 v[100:101], v[96:97], v[100:101]
	s_waitcnt vmcnt(0)
	v_fma_f64 v[96:97], v[96:97], v[102:103], -v[104:105]
	v_fma_f64 v[98:99], v[98:99], v[102:103], v[100:101]
	v_add_f64 v[3:4], v[3:4], v[96:97]
	v_add_f64 v[1:2], v[1:2], v[98:99]
	s_andn2_b32 exec_lo, exec_lo, s5
	s_cbranch_execnz .LBB105_41
; %bb.42:
	s_or_b32 exec_lo, exec_lo, s5
	v_mov_b32_e32 v91, 0
	ds_read_b128 v[91:94], v91 offset:112
	s_waitcnt lgkmcnt(0)
	v_mul_f64 v[96:97], v[1:2], v[93:94]
	v_mul_f64 v[93:94], v[3:4], v[93:94]
	v_fma_f64 v[3:4], v[3:4], v[91:92], -v[96:97]
	v_fma_f64 v[1:2], v[1:2], v[91:92], v[93:94]
	buffer_store_dword v4, off, s[0:3], 0 offset:132
	buffer_store_dword v3, off, s[0:3], 0 offset:128
	buffer_store_dword v2, off, s[0:3], 0 offset:140
	buffer_store_dword v1, off, s[0:3], 0 offset:136
.LBB105_43:
	s_or_b32 exec_lo, exec_lo, s4
	v_mov_b32_e32 v4, s46
	s_waitcnt_vscnt null, 0x0
	s_barrier
	buffer_gl0_inv
	s_mov_b32 s4, exec_lo
	s_clause 0x3
	buffer_load_dword v1, v4, s[0:3], 0 offen
	buffer_load_dword v2, v4, s[0:3], 0 offen offset:4
	buffer_load_dword v3, v4, s[0:3], 0 offen offset:8
	;; [unrolled: 1-line block ×3, first 2 shown]
	s_waitcnt vmcnt(0)
	ds_write_b128 v89, v[1:4]
	s_waitcnt lgkmcnt(0)
	s_barrier
	buffer_gl0_inv
	v_cmpx_gt_u32_e32 8, v0
	s_cbranch_execz .LBB105_47
; %bb.44:
	v_mov_b32_e32 v1, 0
	v_mov_b32_e32 v3, 0
	v_add_nc_u32_e32 v91, -1, v0
	v_add_nc_u32_e32 v92, 0x2a0, v95
	v_mov_b32_e32 v2, 0
	v_mov_b32_e32 v4, 0
	v_add_nc_u32_e32 v93, 16, v95
	s_mov_b32 s5, 0
	.p2align	6
.LBB105_45:                             ; =>This Inner Loop Header: Depth=1
	s_clause 0x3
	buffer_load_dword v100, v93, s[0:3], 0 offen offset:8
	buffer_load_dword v101, v93, s[0:3], 0 offen offset:12
	buffer_load_dword v102, v93, s[0:3], 0 offen
	buffer_load_dword v103, v93, s[0:3], 0 offen offset:4
	ds_read_b128 v[96:99], v92
	v_add_nc_u32_e32 v91, 1, v91
	v_add_nc_u32_e32 v92, 16, v92
	;; [unrolled: 1-line block ×3, first 2 shown]
	v_cmp_lt_u32_e32 vcc_lo, 6, v91
	s_or_b32 s5, vcc_lo, s5
	s_waitcnt vmcnt(2) lgkmcnt(0)
	v_mul_f64 v[104:105], v[98:99], v[100:101]
	v_mul_f64 v[100:101], v[96:97], v[100:101]
	s_waitcnt vmcnt(0)
	v_fma_f64 v[96:97], v[96:97], v[102:103], -v[104:105]
	v_fma_f64 v[98:99], v[98:99], v[102:103], v[100:101]
	v_add_f64 v[3:4], v[3:4], v[96:97]
	v_add_f64 v[1:2], v[1:2], v[98:99]
	s_andn2_b32 exec_lo, exec_lo, s5
	s_cbranch_execnz .LBB105_45
; %bb.46:
	s_or_b32 exec_lo, exec_lo, s5
	v_mov_b32_e32 v91, 0
	ds_read_b128 v[91:94], v91 offset:128
	s_waitcnt lgkmcnt(0)
	v_mul_f64 v[96:97], v[1:2], v[93:94]
	v_mul_f64 v[93:94], v[3:4], v[93:94]
	v_fma_f64 v[3:4], v[3:4], v[91:92], -v[96:97]
	v_fma_f64 v[1:2], v[1:2], v[91:92], v[93:94]
	buffer_store_dword v4, off, s[0:3], 0 offset:148
	buffer_store_dword v3, off, s[0:3], 0 offset:144
	;; [unrolled: 1-line block ×4, first 2 shown]
.LBB105_47:
	s_or_b32 exec_lo, exec_lo, s4
	v_mov_b32_e32 v4, s45
	s_waitcnt_vscnt null, 0x0
	s_barrier
	buffer_gl0_inv
	s_mov_b32 s4, exec_lo
	s_clause 0x3
	buffer_load_dword v1, v4, s[0:3], 0 offen
	buffer_load_dword v2, v4, s[0:3], 0 offen offset:4
	buffer_load_dword v3, v4, s[0:3], 0 offen offset:8
	;; [unrolled: 1-line block ×3, first 2 shown]
	s_waitcnt vmcnt(0)
	ds_write_b128 v89, v[1:4]
	s_waitcnt lgkmcnt(0)
	s_barrier
	buffer_gl0_inv
	v_cmpx_gt_u32_e32 9, v0
	s_cbranch_execz .LBB105_51
; %bb.48:
	v_mov_b32_e32 v1, 0
	v_mov_b32_e32 v3, 0
	v_add_nc_u32_e32 v91, -1, v0
	v_add_nc_u32_e32 v92, 0x2a0, v95
	v_mov_b32_e32 v2, 0
	v_mov_b32_e32 v4, 0
	v_add_nc_u32_e32 v93, 16, v95
	s_mov_b32 s5, 0
	.p2align	6
.LBB105_49:                             ; =>This Inner Loop Header: Depth=1
	s_clause 0x3
	buffer_load_dword v100, v93, s[0:3], 0 offen offset:8
	buffer_load_dword v101, v93, s[0:3], 0 offen offset:12
	buffer_load_dword v102, v93, s[0:3], 0 offen
	buffer_load_dword v103, v93, s[0:3], 0 offen offset:4
	ds_read_b128 v[96:99], v92
	v_add_nc_u32_e32 v91, 1, v91
	v_add_nc_u32_e32 v92, 16, v92
	;; [unrolled: 1-line block ×3, first 2 shown]
	v_cmp_lt_u32_e32 vcc_lo, 7, v91
	s_or_b32 s5, vcc_lo, s5
	s_waitcnt vmcnt(2) lgkmcnt(0)
	v_mul_f64 v[104:105], v[98:99], v[100:101]
	v_mul_f64 v[100:101], v[96:97], v[100:101]
	s_waitcnt vmcnt(0)
	v_fma_f64 v[96:97], v[96:97], v[102:103], -v[104:105]
	v_fma_f64 v[98:99], v[98:99], v[102:103], v[100:101]
	v_add_f64 v[3:4], v[3:4], v[96:97]
	v_add_f64 v[1:2], v[1:2], v[98:99]
	s_andn2_b32 exec_lo, exec_lo, s5
	s_cbranch_execnz .LBB105_49
; %bb.50:
	s_or_b32 exec_lo, exec_lo, s5
	v_mov_b32_e32 v91, 0
	ds_read_b128 v[91:94], v91 offset:144
	s_waitcnt lgkmcnt(0)
	v_mul_f64 v[96:97], v[1:2], v[93:94]
	v_mul_f64 v[93:94], v[3:4], v[93:94]
	v_fma_f64 v[3:4], v[3:4], v[91:92], -v[96:97]
	v_fma_f64 v[1:2], v[1:2], v[91:92], v[93:94]
	buffer_store_dword v4, off, s[0:3], 0 offset:164
	buffer_store_dword v3, off, s[0:3], 0 offset:160
	;; [unrolled: 1-line block ×4, first 2 shown]
.LBB105_51:
	s_or_b32 exec_lo, exec_lo, s4
	v_mov_b32_e32 v4, s44
	s_waitcnt_vscnt null, 0x0
	s_barrier
	buffer_gl0_inv
	s_mov_b32 s4, exec_lo
	s_clause 0x3
	buffer_load_dword v1, v4, s[0:3], 0 offen
	buffer_load_dword v2, v4, s[0:3], 0 offen offset:4
	buffer_load_dword v3, v4, s[0:3], 0 offen offset:8
	;; [unrolled: 1-line block ×3, first 2 shown]
	s_waitcnt vmcnt(0)
	ds_write_b128 v89, v[1:4]
	s_waitcnt lgkmcnt(0)
	s_barrier
	buffer_gl0_inv
	v_cmpx_gt_u32_e32 10, v0
	s_cbranch_execz .LBB105_55
; %bb.52:
	v_mov_b32_e32 v1, 0
	v_mov_b32_e32 v3, 0
	v_add_nc_u32_e32 v91, -1, v0
	v_add_nc_u32_e32 v92, 0x2a0, v95
	v_mov_b32_e32 v2, 0
	v_mov_b32_e32 v4, 0
	v_add_nc_u32_e32 v93, 16, v95
	s_mov_b32 s5, 0
	.p2align	6
.LBB105_53:                             ; =>This Inner Loop Header: Depth=1
	s_clause 0x3
	buffer_load_dword v100, v93, s[0:3], 0 offen offset:8
	buffer_load_dword v101, v93, s[0:3], 0 offen offset:12
	buffer_load_dword v102, v93, s[0:3], 0 offen
	buffer_load_dword v103, v93, s[0:3], 0 offen offset:4
	ds_read_b128 v[96:99], v92
	v_add_nc_u32_e32 v91, 1, v91
	v_add_nc_u32_e32 v92, 16, v92
	v_add_nc_u32_e32 v93, 16, v93
	v_cmp_lt_u32_e32 vcc_lo, 8, v91
	s_or_b32 s5, vcc_lo, s5
	s_waitcnt vmcnt(2) lgkmcnt(0)
	v_mul_f64 v[104:105], v[98:99], v[100:101]
	v_mul_f64 v[100:101], v[96:97], v[100:101]
	s_waitcnt vmcnt(0)
	v_fma_f64 v[96:97], v[96:97], v[102:103], -v[104:105]
	v_fma_f64 v[98:99], v[98:99], v[102:103], v[100:101]
	v_add_f64 v[3:4], v[3:4], v[96:97]
	v_add_f64 v[1:2], v[1:2], v[98:99]
	s_andn2_b32 exec_lo, exec_lo, s5
	s_cbranch_execnz .LBB105_53
; %bb.54:
	s_or_b32 exec_lo, exec_lo, s5
	v_mov_b32_e32 v91, 0
	ds_read_b128 v[91:94], v91 offset:160
	s_waitcnt lgkmcnt(0)
	v_mul_f64 v[96:97], v[1:2], v[93:94]
	v_mul_f64 v[93:94], v[3:4], v[93:94]
	v_fma_f64 v[3:4], v[3:4], v[91:92], -v[96:97]
	v_fma_f64 v[1:2], v[1:2], v[91:92], v[93:94]
	buffer_store_dword v4, off, s[0:3], 0 offset:180
	buffer_store_dword v3, off, s[0:3], 0 offset:176
	;; [unrolled: 1-line block ×4, first 2 shown]
.LBB105_55:
	s_or_b32 exec_lo, exec_lo, s4
	v_mov_b32_e32 v4, s43
	s_waitcnt_vscnt null, 0x0
	s_barrier
	buffer_gl0_inv
	s_mov_b32 s4, exec_lo
	s_clause 0x3
	buffer_load_dword v1, v4, s[0:3], 0 offen
	buffer_load_dword v2, v4, s[0:3], 0 offen offset:4
	buffer_load_dword v3, v4, s[0:3], 0 offen offset:8
	;; [unrolled: 1-line block ×3, first 2 shown]
	s_waitcnt vmcnt(0)
	ds_write_b128 v89, v[1:4]
	s_waitcnt lgkmcnt(0)
	s_barrier
	buffer_gl0_inv
	v_cmpx_gt_u32_e32 11, v0
	s_cbranch_execz .LBB105_59
; %bb.56:
	v_mov_b32_e32 v1, 0
	v_mov_b32_e32 v3, 0
	v_add_nc_u32_e32 v91, -1, v0
	v_add_nc_u32_e32 v92, 0x2a0, v95
	v_mov_b32_e32 v2, 0
	v_mov_b32_e32 v4, 0
	v_add_nc_u32_e32 v93, 16, v95
	s_mov_b32 s5, 0
	.p2align	6
.LBB105_57:                             ; =>This Inner Loop Header: Depth=1
	s_clause 0x3
	buffer_load_dword v100, v93, s[0:3], 0 offen offset:8
	buffer_load_dword v101, v93, s[0:3], 0 offen offset:12
	buffer_load_dword v102, v93, s[0:3], 0 offen
	buffer_load_dword v103, v93, s[0:3], 0 offen offset:4
	ds_read_b128 v[96:99], v92
	v_add_nc_u32_e32 v91, 1, v91
	v_add_nc_u32_e32 v92, 16, v92
	;; [unrolled: 1-line block ×3, first 2 shown]
	v_cmp_lt_u32_e32 vcc_lo, 9, v91
	s_or_b32 s5, vcc_lo, s5
	s_waitcnt vmcnt(2) lgkmcnt(0)
	v_mul_f64 v[104:105], v[98:99], v[100:101]
	v_mul_f64 v[100:101], v[96:97], v[100:101]
	s_waitcnt vmcnt(0)
	v_fma_f64 v[96:97], v[96:97], v[102:103], -v[104:105]
	v_fma_f64 v[98:99], v[98:99], v[102:103], v[100:101]
	v_add_f64 v[3:4], v[3:4], v[96:97]
	v_add_f64 v[1:2], v[1:2], v[98:99]
	s_andn2_b32 exec_lo, exec_lo, s5
	s_cbranch_execnz .LBB105_57
; %bb.58:
	s_or_b32 exec_lo, exec_lo, s5
	v_mov_b32_e32 v91, 0
	ds_read_b128 v[91:94], v91 offset:176
	s_waitcnt lgkmcnt(0)
	v_mul_f64 v[96:97], v[1:2], v[93:94]
	v_mul_f64 v[93:94], v[3:4], v[93:94]
	v_fma_f64 v[3:4], v[3:4], v[91:92], -v[96:97]
	v_fma_f64 v[1:2], v[1:2], v[91:92], v[93:94]
	buffer_store_dword v4, off, s[0:3], 0 offset:196
	buffer_store_dword v3, off, s[0:3], 0 offset:192
	;; [unrolled: 1-line block ×4, first 2 shown]
.LBB105_59:
	s_or_b32 exec_lo, exec_lo, s4
	v_mov_b32_e32 v4, s42
	s_waitcnt_vscnt null, 0x0
	s_barrier
	buffer_gl0_inv
	s_mov_b32 s4, exec_lo
	s_clause 0x3
	buffer_load_dword v1, v4, s[0:3], 0 offen
	buffer_load_dword v2, v4, s[0:3], 0 offen offset:4
	buffer_load_dword v3, v4, s[0:3], 0 offen offset:8
	;; [unrolled: 1-line block ×3, first 2 shown]
	s_waitcnt vmcnt(0)
	ds_write_b128 v89, v[1:4]
	s_waitcnt lgkmcnt(0)
	s_barrier
	buffer_gl0_inv
	v_cmpx_gt_u32_e32 12, v0
	s_cbranch_execz .LBB105_63
; %bb.60:
	v_mov_b32_e32 v1, 0
	v_mov_b32_e32 v3, 0
	v_add_nc_u32_e32 v91, -1, v0
	v_add_nc_u32_e32 v92, 0x2a0, v95
	v_mov_b32_e32 v2, 0
	v_mov_b32_e32 v4, 0
	v_add_nc_u32_e32 v93, 16, v95
	s_mov_b32 s5, 0
	.p2align	6
.LBB105_61:                             ; =>This Inner Loop Header: Depth=1
	s_clause 0x3
	buffer_load_dword v100, v93, s[0:3], 0 offen offset:8
	buffer_load_dword v101, v93, s[0:3], 0 offen offset:12
	buffer_load_dword v102, v93, s[0:3], 0 offen
	buffer_load_dword v103, v93, s[0:3], 0 offen offset:4
	ds_read_b128 v[96:99], v92
	v_add_nc_u32_e32 v91, 1, v91
	v_add_nc_u32_e32 v92, 16, v92
	;; [unrolled: 1-line block ×3, first 2 shown]
	v_cmp_lt_u32_e32 vcc_lo, 10, v91
	s_or_b32 s5, vcc_lo, s5
	s_waitcnt vmcnt(2) lgkmcnt(0)
	v_mul_f64 v[104:105], v[98:99], v[100:101]
	v_mul_f64 v[100:101], v[96:97], v[100:101]
	s_waitcnt vmcnt(0)
	v_fma_f64 v[96:97], v[96:97], v[102:103], -v[104:105]
	v_fma_f64 v[98:99], v[98:99], v[102:103], v[100:101]
	v_add_f64 v[3:4], v[3:4], v[96:97]
	v_add_f64 v[1:2], v[1:2], v[98:99]
	s_andn2_b32 exec_lo, exec_lo, s5
	s_cbranch_execnz .LBB105_61
; %bb.62:
	s_or_b32 exec_lo, exec_lo, s5
	v_mov_b32_e32 v91, 0
	ds_read_b128 v[91:94], v91 offset:192
	s_waitcnt lgkmcnt(0)
	v_mul_f64 v[96:97], v[1:2], v[93:94]
	v_mul_f64 v[93:94], v[3:4], v[93:94]
	v_fma_f64 v[3:4], v[3:4], v[91:92], -v[96:97]
	v_fma_f64 v[1:2], v[1:2], v[91:92], v[93:94]
	buffer_store_dword v4, off, s[0:3], 0 offset:212
	buffer_store_dword v3, off, s[0:3], 0 offset:208
	;; [unrolled: 1-line block ×4, first 2 shown]
.LBB105_63:
	s_or_b32 exec_lo, exec_lo, s4
	v_mov_b32_e32 v4, s41
	s_waitcnt_vscnt null, 0x0
	s_barrier
	buffer_gl0_inv
	s_mov_b32 s4, exec_lo
	s_clause 0x3
	buffer_load_dword v1, v4, s[0:3], 0 offen
	buffer_load_dword v2, v4, s[0:3], 0 offen offset:4
	buffer_load_dword v3, v4, s[0:3], 0 offen offset:8
	;; [unrolled: 1-line block ×3, first 2 shown]
	s_waitcnt vmcnt(0)
	ds_write_b128 v89, v[1:4]
	s_waitcnt lgkmcnt(0)
	s_barrier
	buffer_gl0_inv
	v_cmpx_gt_u32_e32 13, v0
	s_cbranch_execz .LBB105_67
; %bb.64:
	v_mov_b32_e32 v1, 0
	v_mov_b32_e32 v3, 0
	v_add_nc_u32_e32 v91, -1, v0
	v_add_nc_u32_e32 v92, 0x2a0, v95
	v_mov_b32_e32 v2, 0
	v_mov_b32_e32 v4, 0
	v_add_nc_u32_e32 v93, 16, v95
	s_mov_b32 s5, 0
	.p2align	6
.LBB105_65:                             ; =>This Inner Loop Header: Depth=1
	s_clause 0x3
	buffer_load_dword v100, v93, s[0:3], 0 offen offset:8
	buffer_load_dword v101, v93, s[0:3], 0 offen offset:12
	buffer_load_dword v102, v93, s[0:3], 0 offen
	buffer_load_dword v103, v93, s[0:3], 0 offen offset:4
	ds_read_b128 v[96:99], v92
	v_add_nc_u32_e32 v91, 1, v91
	v_add_nc_u32_e32 v92, 16, v92
	;; [unrolled: 1-line block ×3, first 2 shown]
	v_cmp_lt_u32_e32 vcc_lo, 11, v91
	s_or_b32 s5, vcc_lo, s5
	s_waitcnt vmcnt(2) lgkmcnt(0)
	v_mul_f64 v[104:105], v[98:99], v[100:101]
	v_mul_f64 v[100:101], v[96:97], v[100:101]
	s_waitcnt vmcnt(0)
	v_fma_f64 v[96:97], v[96:97], v[102:103], -v[104:105]
	v_fma_f64 v[98:99], v[98:99], v[102:103], v[100:101]
	v_add_f64 v[3:4], v[3:4], v[96:97]
	v_add_f64 v[1:2], v[1:2], v[98:99]
	s_andn2_b32 exec_lo, exec_lo, s5
	s_cbranch_execnz .LBB105_65
; %bb.66:
	s_or_b32 exec_lo, exec_lo, s5
	v_mov_b32_e32 v91, 0
	ds_read_b128 v[91:94], v91 offset:208
	s_waitcnt lgkmcnt(0)
	v_mul_f64 v[96:97], v[1:2], v[93:94]
	v_mul_f64 v[93:94], v[3:4], v[93:94]
	v_fma_f64 v[3:4], v[3:4], v[91:92], -v[96:97]
	v_fma_f64 v[1:2], v[1:2], v[91:92], v[93:94]
	buffer_store_dword v4, off, s[0:3], 0 offset:228
	buffer_store_dword v3, off, s[0:3], 0 offset:224
	;; [unrolled: 1-line block ×4, first 2 shown]
.LBB105_67:
	s_or_b32 exec_lo, exec_lo, s4
	v_mov_b32_e32 v4, s40
	s_waitcnt_vscnt null, 0x0
	s_barrier
	buffer_gl0_inv
	s_mov_b32 s4, exec_lo
	s_clause 0x3
	buffer_load_dword v1, v4, s[0:3], 0 offen
	buffer_load_dword v2, v4, s[0:3], 0 offen offset:4
	buffer_load_dword v3, v4, s[0:3], 0 offen offset:8
	;; [unrolled: 1-line block ×3, first 2 shown]
	s_waitcnt vmcnt(0)
	ds_write_b128 v89, v[1:4]
	s_waitcnt lgkmcnt(0)
	s_barrier
	buffer_gl0_inv
	v_cmpx_gt_u32_e32 14, v0
	s_cbranch_execz .LBB105_71
; %bb.68:
	v_mov_b32_e32 v1, 0
	v_mov_b32_e32 v3, 0
	v_add_nc_u32_e32 v91, -1, v0
	v_add_nc_u32_e32 v92, 0x2a0, v95
	v_mov_b32_e32 v2, 0
	v_mov_b32_e32 v4, 0
	v_add_nc_u32_e32 v93, 16, v95
	s_mov_b32 s5, 0
	.p2align	6
.LBB105_69:                             ; =>This Inner Loop Header: Depth=1
	s_clause 0x3
	buffer_load_dword v100, v93, s[0:3], 0 offen offset:8
	buffer_load_dword v101, v93, s[0:3], 0 offen offset:12
	buffer_load_dword v102, v93, s[0:3], 0 offen
	buffer_load_dword v103, v93, s[0:3], 0 offen offset:4
	ds_read_b128 v[96:99], v92
	v_add_nc_u32_e32 v91, 1, v91
	v_add_nc_u32_e32 v92, 16, v92
	;; [unrolled: 1-line block ×3, first 2 shown]
	v_cmp_lt_u32_e32 vcc_lo, 12, v91
	s_or_b32 s5, vcc_lo, s5
	s_waitcnt vmcnt(2) lgkmcnt(0)
	v_mul_f64 v[104:105], v[98:99], v[100:101]
	v_mul_f64 v[100:101], v[96:97], v[100:101]
	s_waitcnt vmcnt(0)
	v_fma_f64 v[96:97], v[96:97], v[102:103], -v[104:105]
	v_fma_f64 v[98:99], v[98:99], v[102:103], v[100:101]
	v_add_f64 v[3:4], v[3:4], v[96:97]
	v_add_f64 v[1:2], v[1:2], v[98:99]
	s_andn2_b32 exec_lo, exec_lo, s5
	s_cbranch_execnz .LBB105_69
; %bb.70:
	s_or_b32 exec_lo, exec_lo, s5
	v_mov_b32_e32 v91, 0
	ds_read_b128 v[91:94], v91 offset:224
	s_waitcnt lgkmcnt(0)
	v_mul_f64 v[96:97], v[1:2], v[93:94]
	v_mul_f64 v[93:94], v[3:4], v[93:94]
	v_fma_f64 v[3:4], v[3:4], v[91:92], -v[96:97]
	v_fma_f64 v[1:2], v[1:2], v[91:92], v[93:94]
	buffer_store_dword v4, off, s[0:3], 0 offset:244
	buffer_store_dword v3, off, s[0:3], 0 offset:240
	;; [unrolled: 1-line block ×4, first 2 shown]
.LBB105_71:
	s_or_b32 exec_lo, exec_lo, s4
	v_mov_b32_e32 v4, s39
	s_waitcnt_vscnt null, 0x0
	s_barrier
	buffer_gl0_inv
	s_mov_b32 s4, exec_lo
	s_clause 0x3
	buffer_load_dword v1, v4, s[0:3], 0 offen
	buffer_load_dword v2, v4, s[0:3], 0 offen offset:4
	buffer_load_dword v3, v4, s[0:3], 0 offen offset:8
	;; [unrolled: 1-line block ×3, first 2 shown]
	s_waitcnt vmcnt(0)
	ds_write_b128 v89, v[1:4]
	s_waitcnt lgkmcnt(0)
	s_barrier
	buffer_gl0_inv
	v_cmpx_gt_u32_e32 15, v0
	s_cbranch_execz .LBB105_75
; %bb.72:
	v_mov_b32_e32 v1, 0
	v_mov_b32_e32 v3, 0
	v_add_nc_u32_e32 v91, -1, v0
	v_add_nc_u32_e32 v92, 0x2a0, v95
	v_mov_b32_e32 v2, 0
	v_mov_b32_e32 v4, 0
	v_add_nc_u32_e32 v93, 16, v95
	s_mov_b32 s5, 0
	.p2align	6
.LBB105_73:                             ; =>This Inner Loop Header: Depth=1
	s_clause 0x3
	buffer_load_dword v100, v93, s[0:3], 0 offen offset:8
	buffer_load_dword v101, v93, s[0:3], 0 offen offset:12
	buffer_load_dword v102, v93, s[0:3], 0 offen
	buffer_load_dword v103, v93, s[0:3], 0 offen offset:4
	ds_read_b128 v[96:99], v92
	v_add_nc_u32_e32 v91, 1, v91
	v_add_nc_u32_e32 v92, 16, v92
	;; [unrolled: 1-line block ×3, first 2 shown]
	v_cmp_lt_u32_e32 vcc_lo, 13, v91
	s_or_b32 s5, vcc_lo, s5
	s_waitcnt vmcnt(2) lgkmcnt(0)
	v_mul_f64 v[104:105], v[98:99], v[100:101]
	v_mul_f64 v[100:101], v[96:97], v[100:101]
	s_waitcnt vmcnt(0)
	v_fma_f64 v[96:97], v[96:97], v[102:103], -v[104:105]
	v_fma_f64 v[98:99], v[98:99], v[102:103], v[100:101]
	v_add_f64 v[3:4], v[3:4], v[96:97]
	v_add_f64 v[1:2], v[1:2], v[98:99]
	s_andn2_b32 exec_lo, exec_lo, s5
	s_cbranch_execnz .LBB105_73
; %bb.74:
	s_or_b32 exec_lo, exec_lo, s5
	v_mov_b32_e32 v91, 0
	ds_read_b128 v[91:94], v91 offset:240
	s_waitcnt lgkmcnt(0)
	v_mul_f64 v[96:97], v[1:2], v[93:94]
	v_mul_f64 v[93:94], v[3:4], v[93:94]
	v_fma_f64 v[3:4], v[3:4], v[91:92], -v[96:97]
	v_fma_f64 v[1:2], v[1:2], v[91:92], v[93:94]
	buffer_store_dword v4, off, s[0:3], 0 offset:260
	buffer_store_dword v3, off, s[0:3], 0 offset:256
	buffer_store_dword v2, off, s[0:3], 0 offset:268
	buffer_store_dword v1, off, s[0:3], 0 offset:264
.LBB105_75:
	s_or_b32 exec_lo, exec_lo, s4
	v_mov_b32_e32 v4, s38
	s_waitcnt_vscnt null, 0x0
	s_barrier
	buffer_gl0_inv
	s_mov_b32 s4, exec_lo
	s_clause 0x3
	buffer_load_dword v1, v4, s[0:3], 0 offen
	buffer_load_dword v2, v4, s[0:3], 0 offen offset:4
	buffer_load_dword v3, v4, s[0:3], 0 offen offset:8
	;; [unrolled: 1-line block ×3, first 2 shown]
	s_waitcnt vmcnt(0)
	ds_write_b128 v89, v[1:4]
	s_waitcnt lgkmcnt(0)
	s_barrier
	buffer_gl0_inv
	v_cmpx_gt_u32_e32 16, v0
	s_cbranch_execz .LBB105_79
; %bb.76:
	v_mov_b32_e32 v1, 0
	v_mov_b32_e32 v3, 0
	v_add_nc_u32_e32 v91, -1, v0
	v_add_nc_u32_e32 v92, 0x2a0, v95
	v_mov_b32_e32 v2, 0
	v_mov_b32_e32 v4, 0
	v_add_nc_u32_e32 v93, 16, v95
	s_mov_b32 s5, 0
	.p2align	6
.LBB105_77:                             ; =>This Inner Loop Header: Depth=1
	s_clause 0x3
	buffer_load_dword v100, v93, s[0:3], 0 offen offset:8
	buffer_load_dword v101, v93, s[0:3], 0 offen offset:12
	buffer_load_dword v102, v93, s[0:3], 0 offen
	buffer_load_dword v103, v93, s[0:3], 0 offen offset:4
	ds_read_b128 v[96:99], v92
	v_add_nc_u32_e32 v91, 1, v91
	v_add_nc_u32_e32 v92, 16, v92
	;; [unrolled: 1-line block ×3, first 2 shown]
	v_cmp_lt_u32_e32 vcc_lo, 14, v91
	s_or_b32 s5, vcc_lo, s5
	s_waitcnt vmcnt(2) lgkmcnt(0)
	v_mul_f64 v[104:105], v[98:99], v[100:101]
	v_mul_f64 v[100:101], v[96:97], v[100:101]
	s_waitcnt vmcnt(0)
	v_fma_f64 v[96:97], v[96:97], v[102:103], -v[104:105]
	v_fma_f64 v[98:99], v[98:99], v[102:103], v[100:101]
	v_add_f64 v[3:4], v[3:4], v[96:97]
	v_add_f64 v[1:2], v[1:2], v[98:99]
	s_andn2_b32 exec_lo, exec_lo, s5
	s_cbranch_execnz .LBB105_77
; %bb.78:
	s_or_b32 exec_lo, exec_lo, s5
	v_mov_b32_e32 v91, 0
	ds_read_b128 v[91:94], v91 offset:256
	s_waitcnt lgkmcnt(0)
	v_mul_f64 v[96:97], v[1:2], v[93:94]
	v_mul_f64 v[93:94], v[3:4], v[93:94]
	v_fma_f64 v[3:4], v[3:4], v[91:92], -v[96:97]
	v_fma_f64 v[1:2], v[1:2], v[91:92], v[93:94]
	buffer_store_dword v4, off, s[0:3], 0 offset:276
	buffer_store_dword v3, off, s[0:3], 0 offset:272
	;; [unrolled: 1-line block ×4, first 2 shown]
.LBB105_79:
	s_or_b32 exec_lo, exec_lo, s4
	v_mov_b32_e32 v4, s37
	s_waitcnt_vscnt null, 0x0
	s_barrier
	buffer_gl0_inv
	s_mov_b32 s4, exec_lo
	s_clause 0x3
	buffer_load_dword v1, v4, s[0:3], 0 offen
	buffer_load_dword v2, v4, s[0:3], 0 offen offset:4
	buffer_load_dword v3, v4, s[0:3], 0 offen offset:8
	;; [unrolled: 1-line block ×3, first 2 shown]
	s_waitcnt vmcnt(0)
	ds_write_b128 v89, v[1:4]
	s_waitcnt lgkmcnt(0)
	s_barrier
	buffer_gl0_inv
	v_cmpx_gt_u32_e32 17, v0
	s_cbranch_execz .LBB105_83
; %bb.80:
	v_mov_b32_e32 v1, 0
	v_mov_b32_e32 v3, 0
	v_add_nc_u32_e32 v91, -1, v0
	v_add_nc_u32_e32 v92, 0x2a0, v95
	v_mov_b32_e32 v2, 0
	v_mov_b32_e32 v4, 0
	v_add_nc_u32_e32 v93, 16, v95
	s_mov_b32 s5, 0
	.p2align	6
.LBB105_81:                             ; =>This Inner Loop Header: Depth=1
	s_clause 0x3
	buffer_load_dword v100, v93, s[0:3], 0 offen offset:8
	buffer_load_dword v101, v93, s[0:3], 0 offen offset:12
	buffer_load_dword v102, v93, s[0:3], 0 offen
	buffer_load_dword v103, v93, s[0:3], 0 offen offset:4
	ds_read_b128 v[96:99], v92
	v_add_nc_u32_e32 v91, 1, v91
	v_add_nc_u32_e32 v92, 16, v92
	;; [unrolled: 1-line block ×3, first 2 shown]
	v_cmp_lt_u32_e32 vcc_lo, 15, v91
	s_or_b32 s5, vcc_lo, s5
	s_waitcnt vmcnt(2) lgkmcnt(0)
	v_mul_f64 v[104:105], v[98:99], v[100:101]
	v_mul_f64 v[100:101], v[96:97], v[100:101]
	s_waitcnt vmcnt(0)
	v_fma_f64 v[96:97], v[96:97], v[102:103], -v[104:105]
	v_fma_f64 v[98:99], v[98:99], v[102:103], v[100:101]
	v_add_f64 v[3:4], v[3:4], v[96:97]
	v_add_f64 v[1:2], v[1:2], v[98:99]
	s_andn2_b32 exec_lo, exec_lo, s5
	s_cbranch_execnz .LBB105_81
; %bb.82:
	s_or_b32 exec_lo, exec_lo, s5
	v_mov_b32_e32 v91, 0
	ds_read_b128 v[91:94], v91 offset:272
	s_waitcnt lgkmcnt(0)
	v_mul_f64 v[96:97], v[1:2], v[93:94]
	v_mul_f64 v[93:94], v[3:4], v[93:94]
	v_fma_f64 v[3:4], v[3:4], v[91:92], -v[96:97]
	v_fma_f64 v[1:2], v[1:2], v[91:92], v[93:94]
	buffer_store_dword v4, off, s[0:3], 0 offset:292
	buffer_store_dword v3, off, s[0:3], 0 offset:288
	;; [unrolled: 1-line block ×4, first 2 shown]
.LBB105_83:
	s_or_b32 exec_lo, exec_lo, s4
	v_mov_b32_e32 v4, s36
	s_waitcnt_vscnt null, 0x0
	s_barrier
	buffer_gl0_inv
	s_mov_b32 s4, exec_lo
	s_clause 0x3
	buffer_load_dword v1, v4, s[0:3], 0 offen
	buffer_load_dword v2, v4, s[0:3], 0 offen offset:4
	buffer_load_dword v3, v4, s[0:3], 0 offen offset:8
	;; [unrolled: 1-line block ×3, first 2 shown]
	s_waitcnt vmcnt(0)
	ds_write_b128 v89, v[1:4]
	s_waitcnt lgkmcnt(0)
	s_barrier
	buffer_gl0_inv
	v_cmpx_gt_u32_e32 18, v0
	s_cbranch_execz .LBB105_87
; %bb.84:
	v_mov_b32_e32 v1, 0
	v_mov_b32_e32 v3, 0
	v_add_nc_u32_e32 v91, -1, v0
	v_add_nc_u32_e32 v92, 0x2a0, v95
	v_mov_b32_e32 v2, 0
	v_mov_b32_e32 v4, 0
	v_add_nc_u32_e32 v93, 16, v95
	s_mov_b32 s5, 0
	.p2align	6
.LBB105_85:                             ; =>This Inner Loop Header: Depth=1
	s_clause 0x3
	buffer_load_dword v100, v93, s[0:3], 0 offen offset:8
	buffer_load_dword v101, v93, s[0:3], 0 offen offset:12
	buffer_load_dword v102, v93, s[0:3], 0 offen
	buffer_load_dword v103, v93, s[0:3], 0 offen offset:4
	ds_read_b128 v[96:99], v92
	v_add_nc_u32_e32 v91, 1, v91
	v_add_nc_u32_e32 v92, 16, v92
	;; [unrolled: 1-line block ×3, first 2 shown]
	v_cmp_lt_u32_e32 vcc_lo, 16, v91
	s_or_b32 s5, vcc_lo, s5
	s_waitcnt vmcnt(2) lgkmcnt(0)
	v_mul_f64 v[104:105], v[98:99], v[100:101]
	v_mul_f64 v[100:101], v[96:97], v[100:101]
	s_waitcnt vmcnt(0)
	v_fma_f64 v[96:97], v[96:97], v[102:103], -v[104:105]
	v_fma_f64 v[98:99], v[98:99], v[102:103], v[100:101]
	v_add_f64 v[3:4], v[3:4], v[96:97]
	v_add_f64 v[1:2], v[1:2], v[98:99]
	s_andn2_b32 exec_lo, exec_lo, s5
	s_cbranch_execnz .LBB105_85
; %bb.86:
	s_or_b32 exec_lo, exec_lo, s5
	v_mov_b32_e32 v91, 0
	ds_read_b128 v[91:94], v91 offset:288
	s_waitcnt lgkmcnt(0)
	v_mul_f64 v[96:97], v[1:2], v[93:94]
	v_mul_f64 v[93:94], v[3:4], v[93:94]
	v_fma_f64 v[3:4], v[3:4], v[91:92], -v[96:97]
	v_fma_f64 v[1:2], v[1:2], v[91:92], v[93:94]
	buffer_store_dword v4, off, s[0:3], 0 offset:308
	buffer_store_dword v3, off, s[0:3], 0 offset:304
	;; [unrolled: 1-line block ×4, first 2 shown]
.LBB105_87:
	s_or_b32 exec_lo, exec_lo, s4
	v_mov_b32_e32 v4, s35
	s_waitcnt_vscnt null, 0x0
	s_barrier
	buffer_gl0_inv
	s_mov_b32 s4, exec_lo
	s_clause 0x3
	buffer_load_dword v1, v4, s[0:3], 0 offen
	buffer_load_dword v2, v4, s[0:3], 0 offen offset:4
	buffer_load_dword v3, v4, s[0:3], 0 offen offset:8
	;; [unrolled: 1-line block ×3, first 2 shown]
	s_waitcnt vmcnt(0)
	ds_write_b128 v89, v[1:4]
	s_waitcnt lgkmcnt(0)
	s_barrier
	buffer_gl0_inv
	v_cmpx_gt_u32_e32 19, v0
	s_cbranch_execz .LBB105_91
; %bb.88:
	v_mov_b32_e32 v1, 0
	v_mov_b32_e32 v3, 0
	v_add_nc_u32_e32 v91, -1, v0
	v_add_nc_u32_e32 v92, 0x2a0, v95
	v_mov_b32_e32 v2, 0
	v_mov_b32_e32 v4, 0
	v_add_nc_u32_e32 v93, 16, v95
	s_mov_b32 s5, 0
	.p2align	6
.LBB105_89:                             ; =>This Inner Loop Header: Depth=1
	s_clause 0x3
	buffer_load_dword v100, v93, s[0:3], 0 offen offset:8
	buffer_load_dword v101, v93, s[0:3], 0 offen offset:12
	buffer_load_dword v102, v93, s[0:3], 0 offen
	buffer_load_dword v103, v93, s[0:3], 0 offen offset:4
	ds_read_b128 v[96:99], v92
	v_add_nc_u32_e32 v91, 1, v91
	v_add_nc_u32_e32 v92, 16, v92
	;; [unrolled: 1-line block ×3, first 2 shown]
	v_cmp_lt_u32_e32 vcc_lo, 17, v91
	s_or_b32 s5, vcc_lo, s5
	s_waitcnt vmcnt(2) lgkmcnt(0)
	v_mul_f64 v[104:105], v[98:99], v[100:101]
	v_mul_f64 v[100:101], v[96:97], v[100:101]
	s_waitcnt vmcnt(0)
	v_fma_f64 v[96:97], v[96:97], v[102:103], -v[104:105]
	v_fma_f64 v[98:99], v[98:99], v[102:103], v[100:101]
	v_add_f64 v[3:4], v[3:4], v[96:97]
	v_add_f64 v[1:2], v[1:2], v[98:99]
	s_andn2_b32 exec_lo, exec_lo, s5
	s_cbranch_execnz .LBB105_89
; %bb.90:
	s_or_b32 exec_lo, exec_lo, s5
	v_mov_b32_e32 v91, 0
	ds_read_b128 v[91:94], v91 offset:304
	s_waitcnt lgkmcnt(0)
	v_mul_f64 v[96:97], v[1:2], v[93:94]
	v_mul_f64 v[93:94], v[3:4], v[93:94]
	v_fma_f64 v[3:4], v[3:4], v[91:92], -v[96:97]
	v_fma_f64 v[1:2], v[1:2], v[91:92], v[93:94]
	buffer_store_dword v4, off, s[0:3], 0 offset:324
	buffer_store_dword v3, off, s[0:3], 0 offset:320
	;; [unrolled: 1-line block ×4, first 2 shown]
.LBB105_91:
	s_or_b32 exec_lo, exec_lo, s4
	v_mov_b32_e32 v4, s34
	s_waitcnt_vscnt null, 0x0
	s_barrier
	buffer_gl0_inv
	s_mov_b32 s4, exec_lo
	s_clause 0x3
	buffer_load_dword v1, v4, s[0:3], 0 offen
	buffer_load_dword v2, v4, s[0:3], 0 offen offset:4
	buffer_load_dword v3, v4, s[0:3], 0 offen offset:8
	buffer_load_dword v4, v4, s[0:3], 0 offen offset:12
	s_waitcnt vmcnt(0)
	ds_write_b128 v89, v[1:4]
	s_waitcnt lgkmcnt(0)
	s_barrier
	buffer_gl0_inv
	v_cmpx_gt_u32_e32 20, v0
	s_cbranch_execz .LBB105_95
; %bb.92:
	v_mov_b32_e32 v1, 0
	v_mov_b32_e32 v3, 0
	v_add_nc_u32_e32 v91, -1, v0
	v_add_nc_u32_e32 v92, 0x2a0, v95
	v_mov_b32_e32 v2, 0
	v_mov_b32_e32 v4, 0
	v_add_nc_u32_e32 v93, 16, v95
	s_mov_b32 s5, 0
	.p2align	6
.LBB105_93:                             ; =>This Inner Loop Header: Depth=1
	s_clause 0x3
	buffer_load_dword v100, v93, s[0:3], 0 offen offset:8
	buffer_load_dword v101, v93, s[0:3], 0 offen offset:12
	buffer_load_dword v102, v93, s[0:3], 0 offen
	buffer_load_dword v103, v93, s[0:3], 0 offen offset:4
	ds_read_b128 v[96:99], v92
	v_add_nc_u32_e32 v91, 1, v91
	v_add_nc_u32_e32 v92, 16, v92
	;; [unrolled: 1-line block ×3, first 2 shown]
	v_cmp_lt_u32_e32 vcc_lo, 18, v91
	s_or_b32 s5, vcc_lo, s5
	s_waitcnt vmcnt(2) lgkmcnt(0)
	v_mul_f64 v[104:105], v[98:99], v[100:101]
	v_mul_f64 v[100:101], v[96:97], v[100:101]
	s_waitcnt vmcnt(0)
	v_fma_f64 v[96:97], v[96:97], v[102:103], -v[104:105]
	v_fma_f64 v[98:99], v[98:99], v[102:103], v[100:101]
	v_add_f64 v[3:4], v[3:4], v[96:97]
	v_add_f64 v[1:2], v[1:2], v[98:99]
	s_andn2_b32 exec_lo, exec_lo, s5
	s_cbranch_execnz .LBB105_93
; %bb.94:
	s_or_b32 exec_lo, exec_lo, s5
	v_mov_b32_e32 v91, 0
	ds_read_b128 v[91:94], v91 offset:320
	s_waitcnt lgkmcnt(0)
	v_mul_f64 v[96:97], v[1:2], v[93:94]
	v_mul_f64 v[93:94], v[3:4], v[93:94]
	v_fma_f64 v[3:4], v[3:4], v[91:92], -v[96:97]
	v_fma_f64 v[1:2], v[1:2], v[91:92], v[93:94]
	buffer_store_dword v4, off, s[0:3], 0 offset:340
	buffer_store_dword v3, off, s[0:3], 0 offset:336
	;; [unrolled: 1-line block ×4, first 2 shown]
.LBB105_95:
	s_or_b32 exec_lo, exec_lo, s4
	v_mov_b32_e32 v4, s33
	s_waitcnt_vscnt null, 0x0
	s_barrier
	buffer_gl0_inv
	s_mov_b32 s4, exec_lo
	s_clause 0x3
	buffer_load_dword v1, v4, s[0:3], 0 offen
	buffer_load_dword v2, v4, s[0:3], 0 offen offset:4
	buffer_load_dword v3, v4, s[0:3], 0 offen offset:8
	;; [unrolled: 1-line block ×3, first 2 shown]
	s_waitcnt vmcnt(0)
	ds_write_b128 v89, v[1:4]
	s_waitcnt lgkmcnt(0)
	s_barrier
	buffer_gl0_inv
	v_cmpx_gt_u32_e32 21, v0
	s_cbranch_execz .LBB105_99
; %bb.96:
	v_mov_b32_e32 v1, 0
	v_mov_b32_e32 v3, 0
	v_add_nc_u32_e32 v91, -1, v0
	v_add_nc_u32_e32 v92, 0x2a0, v95
	v_mov_b32_e32 v2, 0
	v_mov_b32_e32 v4, 0
	v_add_nc_u32_e32 v93, 16, v95
	s_mov_b32 s5, 0
	.p2align	6
.LBB105_97:                             ; =>This Inner Loop Header: Depth=1
	s_clause 0x3
	buffer_load_dword v100, v93, s[0:3], 0 offen offset:8
	buffer_load_dword v101, v93, s[0:3], 0 offen offset:12
	buffer_load_dword v102, v93, s[0:3], 0 offen
	buffer_load_dword v103, v93, s[0:3], 0 offen offset:4
	ds_read_b128 v[96:99], v92
	v_add_nc_u32_e32 v91, 1, v91
	v_add_nc_u32_e32 v92, 16, v92
	v_add_nc_u32_e32 v93, 16, v93
	v_cmp_lt_u32_e32 vcc_lo, 19, v91
	s_or_b32 s5, vcc_lo, s5
	s_waitcnt vmcnt(2) lgkmcnt(0)
	v_mul_f64 v[104:105], v[98:99], v[100:101]
	v_mul_f64 v[100:101], v[96:97], v[100:101]
	s_waitcnt vmcnt(0)
	v_fma_f64 v[96:97], v[96:97], v[102:103], -v[104:105]
	v_fma_f64 v[98:99], v[98:99], v[102:103], v[100:101]
	v_add_f64 v[3:4], v[3:4], v[96:97]
	v_add_f64 v[1:2], v[1:2], v[98:99]
	s_andn2_b32 exec_lo, exec_lo, s5
	s_cbranch_execnz .LBB105_97
; %bb.98:
	s_or_b32 exec_lo, exec_lo, s5
	v_mov_b32_e32 v91, 0
	ds_read_b128 v[91:94], v91 offset:336
	s_waitcnt lgkmcnt(0)
	v_mul_f64 v[96:97], v[1:2], v[93:94]
	v_mul_f64 v[93:94], v[3:4], v[93:94]
	v_fma_f64 v[3:4], v[3:4], v[91:92], -v[96:97]
	v_fma_f64 v[1:2], v[1:2], v[91:92], v[93:94]
	buffer_store_dword v4, off, s[0:3], 0 offset:356
	buffer_store_dword v3, off, s[0:3], 0 offset:352
	;; [unrolled: 1-line block ×4, first 2 shown]
.LBB105_99:
	s_or_b32 exec_lo, exec_lo, s4
	v_mov_b32_e32 v4, s31
	s_waitcnt_vscnt null, 0x0
	s_barrier
	buffer_gl0_inv
	s_mov_b32 s4, exec_lo
	s_clause 0x3
	buffer_load_dword v1, v4, s[0:3], 0 offen
	buffer_load_dword v2, v4, s[0:3], 0 offen offset:4
	buffer_load_dword v3, v4, s[0:3], 0 offen offset:8
	;; [unrolled: 1-line block ×3, first 2 shown]
	s_waitcnt vmcnt(0)
	ds_write_b128 v89, v[1:4]
	s_waitcnt lgkmcnt(0)
	s_barrier
	buffer_gl0_inv
	v_cmpx_gt_u32_e32 22, v0
	s_cbranch_execz .LBB105_103
; %bb.100:
	v_mov_b32_e32 v1, 0
	v_mov_b32_e32 v3, 0
	v_add_nc_u32_e32 v91, -1, v0
	v_add_nc_u32_e32 v92, 0x2a0, v95
	v_mov_b32_e32 v2, 0
	v_mov_b32_e32 v4, 0
	v_add_nc_u32_e32 v93, 16, v95
	s_mov_b32 s5, 0
	.p2align	6
.LBB105_101:                            ; =>This Inner Loop Header: Depth=1
	s_clause 0x3
	buffer_load_dword v100, v93, s[0:3], 0 offen offset:8
	buffer_load_dword v101, v93, s[0:3], 0 offen offset:12
	buffer_load_dword v102, v93, s[0:3], 0 offen
	buffer_load_dword v103, v93, s[0:3], 0 offen offset:4
	ds_read_b128 v[96:99], v92
	v_add_nc_u32_e32 v91, 1, v91
	v_add_nc_u32_e32 v92, 16, v92
	;; [unrolled: 1-line block ×3, first 2 shown]
	v_cmp_lt_u32_e32 vcc_lo, 20, v91
	s_or_b32 s5, vcc_lo, s5
	s_waitcnt vmcnt(2) lgkmcnt(0)
	v_mul_f64 v[104:105], v[98:99], v[100:101]
	v_mul_f64 v[100:101], v[96:97], v[100:101]
	s_waitcnt vmcnt(0)
	v_fma_f64 v[96:97], v[96:97], v[102:103], -v[104:105]
	v_fma_f64 v[98:99], v[98:99], v[102:103], v[100:101]
	v_add_f64 v[3:4], v[3:4], v[96:97]
	v_add_f64 v[1:2], v[1:2], v[98:99]
	s_andn2_b32 exec_lo, exec_lo, s5
	s_cbranch_execnz .LBB105_101
; %bb.102:
	s_or_b32 exec_lo, exec_lo, s5
	v_mov_b32_e32 v91, 0
	ds_read_b128 v[91:94], v91 offset:352
	s_waitcnt lgkmcnt(0)
	v_mul_f64 v[96:97], v[1:2], v[93:94]
	v_mul_f64 v[93:94], v[3:4], v[93:94]
	v_fma_f64 v[3:4], v[3:4], v[91:92], -v[96:97]
	v_fma_f64 v[1:2], v[1:2], v[91:92], v[93:94]
	buffer_store_dword v4, off, s[0:3], 0 offset:372
	buffer_store_dword v3, off, s[0:3], 0 offset:368
	;; [unrolled: 1-line block ×4, first 2 shown]
.LBB105_103:
	s_or_b32 exec_lo, exec_lo, s4
	v_mov_b32_e32 v4, s30
	s_waitcnt_vscnt null, 0x0
	s_barrier
	buffer_gl0_inv
	s_mov_b32 s4, exec_lo
	s_clause 0x3
	buffer_load_dword v1, v4, s[0:3], 0 offen
	buffer_load_dword v2, v4, s[0:3], 0 offen offset:4
	buffer_load_dword v3, v4, s[0:3], 0 offen offset:8
	;; [unrolled: 1-line block ×3, first 2 shown]
	s_waitcnt vmcnt(0)
	ds_write_b128 v89, v[1:4]
	s_waitcnt lgkmcnt(0)
	s_barrier
	buffer_gl0_inv
	v_cmpx_gt_u32_e32 23, v0
	s_cbranch_execz .LBB105_107
; %bb.104:
	v_mov_b32_e32 v1, 0
	v_mov_b32_e32 v3, 0
	v_add_nc_u32_e32 v91, -1, v0
	v_add_nc_u32_e32 v92, 0x2a0, v95
	v_mov_b32_e32 v2, 0
	v_mov_b32_e32 v4, 0
	v_add_nc_u32_e32 v93, 16, v95
	s_mov_b32 s5, 0
	.p2align	6
.LBB105_105:                            ; =>This Inner Loop Header: Depth=1
	s_clause 0x3
	buffer_load_dword v100, v93, s[0:3], 0 offen offset:8
	buffer_load_dword v101, v93, s[0:3], 0 offen offset:12
	buffer_load_dword v102, v93, s[0:3], 0 offen
	buffer_load_dword v103, v93, s[0:3], 0 offen offset:4
	ds_read_b128 v[96:99], v92
	v_add_nc_u32_e32 v91, 1, v91
	v_add_nc_u32_e32 v92, 16, v92
	;; [unrolled: 1-line block ×3, first 2 shown]
	v_cmp_lt_u32_e32 vcc_lo, 21, v91
	s_or_b32 s5, vcc_lo, s5
	s_waitcnt vmcnt(2) lgkmcnt(0)
	v_mul_f64 v[104:105], v[98:99], v[100:101]
	v_mul_f64 v[100:101], v[96:97], v[100:101]
	s_waitcnt vmcnt(0)
	v_fma_f64 v[96:97], v[96:97], v[102:103], -v[104:105]
	v_fma_f64 v[98:99], v[98:99], v[102:103], v[100:101]
	v_add_f64 v[3:4], v[3:4], v[96:97]
	v_add_f64 v[1:2], v[1:2], v[98:99]
	s_andn2_b32 exec_lo, exec_lo, s5
	s_cbranch_execnz .LBB105_105
; %bb.106:
	s_or_b32 exec_lo, exec_lo, s5
	v_mov_b32_e32 v91, 0
	ds_read_b128 v[91:94], v91 offset:368
	s_waitcnt lgkmcnt(0)
	v_mul_f64 v[96:97], v[1:2], v[93:94]
	v_mul_f64 v[93:94], v[3:4], v[93:94]
	v_fma_f64 v[3:4], v[3:4], v[91:92], -v[96:97]
	v_fma_f64 v[1:2], v[1:2], v[91:92], v[93:94]
	buffer_store_dword v4, off, s[0:3], 0 offset:388
	buffer_store_dword v3, off, s[0:3], 0 offset:384
	;; [unrolled: 1-line block ×4, first 2 shown]
.LBB105_107:
	s_or_b32 exec_lo, exec_lo, s4
	v_mov_b32_e32 v4, s29
	s_waitcnt_vscnt null, 0x0
	s_barrier
	buffer_gl0_inv
	s_mov_b32 s4, exec_lo
	s_clause 0x3
	buffer_load_dword v1, v4, s[0:3], 0 offen
	buffer_load_dword v2, v4, s[0:3], 0 offen offset:4
	buffer_load_dword v3, v4, s[0:3], 0 offen offset:8
	;; [unrolled: 1-line block ×3, first 2 shown]
	s_waitcnt vmcnt(0)
	ds_write_b128 v89, v[1:4]
	s_waitcnt lgkmcnt(0)
	s_barrier
	buffer_gl0_inv
	v_cmpx_gt_u32_e32 24, v0
	s_cbranch_execz .LBB105_111
; %bb.108:
	v_mov_b32_e32 v1, 0
	v_mov_b32_e32 v3, 0
	v_add_nc_u32_e32 v91, -1, v0
	v_add_nc_u32_e32 v92, 0x2a0, v95
	v_mov_b32_e32 v2, 0
	v_mov_b32_e32 v4, 0
	v_add_nc_u32_e32 v93, 16, v95
	s_mov_b32 s5, 0
	.p2align	6
.LBB105_109:                            ; =>This Inner Loop Header: Depth=1
	s_clause 0x3
	buffer_load_dword v100, v93, s[0:3], 0 offen offset:8
	buffer_load_dword v101, v93, s[0:3], 0 offen offset:12
	buffer_load_dword v102, v93, s[0:3], 0 offen
	buffer_load_dword v103, v93, s[0:3], 0 offen offset:4
	ds_read_b128 v[96:99], v92
	v_add_nc_u32_e32 v91, 1, v91
	v_add_nc_u32_e32 v92, 16, v92
	;; [unrolled: 1-line block ×3, first 2 shown]
	v_cmp_lt_u32_e32 vcc_lo, 22, v91
	s_or_b32 s5, vcc_lo, s5
	s_waitcnt vmcnt(2) lgkmcnt(0)
	v_mul_f64 v[104:105], v[98:99], v[100:101]
	v_mul_f64 v[100:101], v[96:97], v[100:101]
	s_waitcnt vmcnt(0)
	v_fma_f64 v[96:97], v[96:97], v[102:103], -v[104:105]
	v_fma_f64 v[98:99], v[98:99], v[102:103], v[100:101]
	v_add_f64 v[3:4], v[3:4], v[96:97]
	v_add_f64 v[1:2], v[1:2], v[98:99]
	s_andn2_b32 exec_lo, exec_lo, s5
	s_cbranch_execnz .LBB105_109
; %bb.110:
	s_or_b32 exec_lo, exec_lo, s5
	v_mov_b32_e32 v91, 0
	ds_read_b128 v[91:94], v91 offset:384
	s_waitcnt lgkmcnt(0)
	v_mul_f64 v[96:97], v[1:2], v[93:94]
	v_mul_f64 v[93:94], v[3:4], v[93:94]
	v_fma_f64 v[3:4], v[3:4], v[91:92], -v[96:97]
	v_fma_f64 v[1:2], v[1:2], v[91:92], v[93:94]
	buffer_store_dword v4, off, s[0:3], 0 offset:404
	buffer_store_dword v3, off, s[0:3], 0 offset:400
	;; [unrolled: 1-line block ×4, first 2 shown]
.LBB105_111:
	s_or_b32 exec_lo, exec_lo, s4
	v_mov_b32_e32 v4, s28
	s_waitcnt_vscnt null, 0x0
	s_barrier
	buffer_gl0_inv
	s_mov_b32 s4, exec_lo
	s_clause 0x3
	buffer_load_dword v1, v4, s[0:3], 0 offen
	buffer_load_dword v2, v4, s[0:3], 0 offen offset:4
	buffer_load_dword v3, v4, s[0:3], 0 offen offset:8
	;; [unrolled: 1-line block ×3, first 2 shown]
	s_waitcnt vmcnt(0)
	ds_write_b128 v89, v[1:4]
	s_waitcnt lgkmcnt(0)
	s_barrier
	buffer_gl0_inv
	v_cmpx_gt_u32_e32 25, v0
	s_cbranch_execz .LBB105_115
; %bb.112:
	v_mov_b32_e32 v1, 0
	v_mov_b32_e32 v3, 0
	v_add_nc_u32_e32 v91, -1, v0
	v_add_nc_u32_e32 v92, 0x2a0, v95
	v_mov_b32_e32 v2, 0
	v_mov_b32_e32 v4, 0
	v_add_nc_u32_e32 v93, 16, v95
	s_mov_b32 s5, 0
	.p2align	6
.LBB105_113:                            ; =>This Inner Loop Header: Depth=1
	s_clause 0x3
	buffer_load_dword v100, v93, s[0:3], 0 offen offset:8
	buffer_load_dword v101, v93, s[0:3], 0 offen offset:12
	buffer_load_dword v102, v93, s[0:3], 0 offen
	buffer_load_dword v103, v93, s[0:3], 0 offen offset:4
	ds_read_b128 v[96:99], v92
	v_add_nc_u32_e32 v91, 1, v91
	v_add_nc_u32_e32 v92, 16, v92
	;; [unrolled: 1-line block ×3, first 2 shown]
	v_cmp_lt_u32_e32 vcc_lo, 23, v91
	s_or_b32 s5, vcc_lo, s5
	s_waitcnt vmcnt(2) lgkmcnt(0)
	v_mul_f64 v[104:105], v[98:99], v[100:101]
	v_mul_f64 v[100:101], v[96:97], v[100:101]
	s_waitcnt vmcnt(0)
	v_fma_f64 v[96:97], v[96:97], v[102:103], -v[104:105]
	v_fma_f64 v[98:99], v[98:99], v[102:103], v[100:101]
	v_add_f64 v[3:4], v[3:4], v[96:97]
	v_add_f64 v[1:2], v[1:2], v[98:99]
	s_andn2_b32 exec_lo, exec_lo, s5
	s_cbranch_execnz .LBB105_113
; %bb.114:
	s_or_b32 exec_lo, exec_lo, s5
	v_mov_b32_e32 v91, 0
	ds_read_b128 v[91:94], v91 offset:400
	s_waitcnt lgkmcnt(0)
	v_mul_f64 v[96:97], v[1:2], v[93:94]
	v_mul_f64 v[93:94], v[3:4], v[93:94]
	v_fma_f64 v[3:4], v[3:4], v[91:92], -v[96:97]
	v_fma_f64 v[1:2], v[1:2], v[91:92], v[93:94]
	buffer_store_dword v4, off, s[0:3], 0 offset:420
	buffer_store_dword v3, off, s[0:3], 0 offset:416
	;; [unrolled: 1-line block ×4, first 2 shown]
.LBB105_115:
	s_or_b32 exec_lo, exec_lo, s4
	v_mov_b32_e32 v4, s27
	s_waitcnt_vscnt null, 0x0
	s_barrier
	buffer_gl0_inv
	s_mov_b32 s4, exec_lo
	s_clause 0x3
	buffer_load_dword v1, v4, s[0:3], 0 offen
	buffer_load_dword v2, v4, s[0:3], 0 offen offset:4
	buffer_load_dword v3, v4, s[0:3], 0 offen offset:8
	;; [unrolled: 1-line block ×3, first 2 shown]
	s_waitcnt vmcnt(0)
	ds_write_b128 v89, v[1:4]
	s_waitcnt lgkmcnt(0)
	s_barrier
	buffer_gl0_inv
	v_cmpx_gt_u32_e32 26, v0
	s_cbranch_execz .LBB105_119
; %bb.116:
	v_mov_b32_e32 v1, 0
	v_mov_b32_e32 v3, 0
	v_add_nc_u32_e32 v91, -1, v0
	v_add_nc_u32_e32 v92, 0x2a0, v95
	v_mov_b32_e32 v2, 0
	v_mov_b32_e32 v4, 0
	v_add_nc_u32_e32 v93, 16, v95
	s_mov_b32 s5, 0
	.p2align	6
.LBB105_117:                            ; =>This Inner Loop Header: Depth=1
	s_clause 0x3
	buffer_load_dword v100, v93, s[0:3], 0 offen offset:8
	buffer_load_dword v101, v93, s[0:3], 0 offen offset:12
	buffer_load_dword v102, v93, s[0:3], 0 offen
	buffer_load_dword v103, v93, s[0:3], 0 offen offset:4
	ds_read_b128 v[96:99], v92
	v_add_nc_u32_e32 v91, 1, v91
	v_add_nc_u32_e32 v92, 16, v92
	;; [unrolled: 1-line block ×3, first 2 shown]
	v_cmp_lt_u32_e32 vcc_lo, 24, v91
	s_or_b32 s5, vcc_lo, s5
	s_waitcnt vmcnt(2) lgkmcnt(0)
	v_mul_f64 v[104:105], v[98:99], v[100:101]
	v_mul_f64 v[100:101], v[96:97], v[100:101]
	s_waitcnt vmcnt(0)
	v_fma_f64 v[96:97], v[96:97], v[102:103], -v[104:105]
	v_fma_f64 v[98:99], v[98:99], v[102:103], v[100:101]
	v_add_f64 v[3:4], v[3:4], v[96:97]
	v_add_f64 v[1:2], v[1:2], v[98:99]
	s_andn2_b32 exec_lo, exec_lo, s5
	s_cbranch_execnz .LBB105_117
; %bb.118:
	s_or_b32 exec_lo, exec_lo, s5
	v_mov_b32_e32 v91, 0
	ds_read_b128 v[91:94], v91 offset:416
	s_waitcnt lgkmcnt(0)
	v_mul_f64 v[96:97], v[1:2], v[93:94]
	v_mul_f64 v[93:94], v[3:4], v[93:94]
	v_fma_f64 v[3:4], v[3:4], v[91:92], -v[96:97]
	v_fma_f64 v[1:2], v[1:2], v[91:92], v[93:94]
	buffer_store_dword v4, off, s[0:3], 0 offset:436
	buffer_store_dword v3, off, s[0:3], 0 offset:432
	;; [unrolled: 1-line block ×4, first 2 shown]
.LBB105_119:
	s_or_b32 exec_lo, exec_lo, s4
	v_mov_b32_e32 v4, s26
	s_waitcnt_vscnt null, 0x0
	s_barrier
	buffer_gl0_inv
	s_mov_b32 s4, exec_lo
	s_clause 0x3
	buffer_load_dword v1, v4, s[0:3], 0 offen
	buffer_load_dword v2, v4, s[0:3], 0 offen offset:4
	buffer_load_dword v3, v4, s[0:3], 0 offen offset:8
	buffer_load_dword v4, v4, s[0:3], 0 offen offset:12
	s_waitcnt vmcnt(0)
	ds_write_b128 v89, v[1:4]
	s_waitcnt lgkmcnt(0)
	s_barrier
	buffer_gl0_inv
	v_cmpx_gt_u32_e32 27, v0
	s_cbranch_execz .LBB105_123
; %bb.120:
	v_mov_b32_e32 v1, 0
	v_mov_b32_e32 v3, 0
	v_add_nc_u32_e32 v91, -1, v0
	v_add_nc_u32_e32 v92, 0x2a0, v95
	v_mov_b32_e32 v2, 0
	v_mov_b32_e32 v4, 0
	v_add_nc_u32_e32 v93, 16, v95
	s_mov_b32 s5, 0
	.p2align	6
.LBB105_121:                            ; =>This Inner Loop Header: Depth=1
	s_clause 0x3
	buffer_load_dword v100, v93, s[0:3], 0 offen offset:8
	buffer_load_dword v101, v93, s[0:3], 0 offen offset:12
	buffer_load_dword v102, v93, s[0:3], 0 offen
	buffer_load_dword v103, v93, s[0:3], 0 offen offset:4
	ds_read_b128 v[96:99], v92
	v_add_nc_u32_e32 v91, 1, v91
	v_add_nc_u32_e32 v92, 16, v92
	;; [unrolled: 1-line block ×3, first 2 shown]
	v_cmp_lt_u32_e32 vcc_lo, 25, v91
	s_or_b32 s5, vcc_lo, s5
	s_waitcnt vmcnt(2) lgkmcnt(0)
	v_mul_f64 v[104:105], v[98:99], v[100:101]
	v_mul_f64 v[100:101], v[96:97], v[100:101]
	s_waitcnt vmcnt(0)
	v_fma_f64 v[96:97], v[96:97], v[102:103], -v[104:105]
	v_fma_f64 v[98:99], v[98:99], v[102:103], v[100:101]
	v_add_f64 v[3:4], v[3:4], v[96:97]
	v_add_f64 v[1:2], v[1:2], v[98:99]
	s_andn2_b32 exec_lo, exec_lo, s5
	s_cbranch_execnz .LBB105_121
; %bb.122:
	s_or_b32 exec_lo, exec_lo, s5
	v_mov_b32_e32 v91, 0
	ds_read_b128 v[91:94], v91 offset:432
	s_waitcnt lgkmcnt(0)
	v_mul_f64 v[96:97], v[1:2], v[93:94]
	v_mul_f64 v[93:94], v[3:4], v[93:94]
	v_fma_f64 v[3:4], v[3:4], v[91:92], -v[96:97]
	v_fma_f64 v[1:2], v[1:2], v[91:92], v[93:94]
	buffer_store_dword v4, off, s[0:3], 0 offset:452
	buffer_store_dword v3, off, s[0:3], 0 offset:448
	;; [unrolled: 1-line block ×4, first 2 shown]
.LBB105_123:
	s_or_b32 exec_lo, exec_lo, s4
	v_mov_b32_e32 v4, s25
	s_waitcnt_vscnt null, 0x0
	s_barrier
	buffer_gl0_inv
	s_mov_b32 s4, exec_lo
	s_clause 0x3
	buffer_load_dword v1, v4, s[0:3], 0 offen
	buffer_load_dword v2, v4, s[0:3], 0 offen offset:4
	buffer_load_dword v3, v4, s[0:3], 0 offen offset:8
	;; [unrolled: 1-line block ×3, first 2 shown]
	s_waitcnt vmcnt(0)
	ds_write_b128 v89, v[1:4]
	s_waitcnt lgkmcnt(0)
	s_barrier
	buffer_gl0_inv
	v_cmpx_gt_u32_e32 28, v0
	s_cbranch_execz .LBB105_127
; %bb.124:
	v_mov_b32_e32 v1, 0
	v_mov_b32_e32 v3, 0
	v_add_nc_u32_e32 v91, -1, v0
	v_add_nc_u32_e32 v92, 0x2a0, v95
	v_mov_b32_e32 v2, 0
	v_mov_b32_e32 v4, 0
	v_add_nc_u32_e32 v93, 16, v95
	s_mov_b32 s5, 0
	.p2align	6
.LBB105_125:                            ; =>This Inner Loop Header: Depth=1
	s_clause 0x3
	buffer_load_dword v100, v93, s[0:3], 0 offen offset:8
	buffer_load_dword v101, v93, s[0:3], 0 offen offset:12
	buffer_load_dword v102, v93, s[0:3], 0 offen
	buffer_load_dword v103, v93, s[0:3], 0 offen offset:4
	ds_read_b128 v[96:99], v92
	v_add_nc_u32_e32 v91, 1, v91
	v_add_nc_u32_e32 v92, 16, v92
	;; [unrolled: 1-line block ×3, first 2 shown]
	v_cmp_lt_u32_e32 vcc_lo, 26, v91
	s_or_b32 s5, vcc_lo, s5
	s_waitcnt vmcnt(2) lgkmcnt(0)
	v_mul_f64 v[104:105], v[98:99], v[100:101]
	v_mul_f64 v[100:101], v[96:97], v[100:101]
	s_waitcnt vmcnt(0)
	v_fma_f64 v[96:97], v[96:97], v[102:103], -v[104:105]
	v_fma_f64 v[98:99], v[98:99], v[102:103], v[100:101]
	v_add_f64 v[3:4], v[3:4], v[96:97]
	v_add_f64 v[1:2], v[1:2], v[98:99]
	s_andn2_b32 exec_lo, exec_lo, s5
	s_cbranch_execnz .LBB105_125
; %bb.126:
	s_or_b32 exec_lo, exec_lo, s5
	v_mov_b32_e32 v91, 0
	ds_read_b128 v[91:94], v91 offset:448
	s_waitcnt lgkmcnt(0)
	v_mul_f64 v[96:97], v[1:2], v[93:94]
	v_mul_f64 v[93:94], v[3:4], v[93:94]
	v_fma_f64 v[3:4], v[3:4], v[91:92], -v[96:97]
	v_fma_f64 v[1:2], v[1:2], v[91:92], v[93:94]
	buffer_store_dword v4, off, s[0:3], 0 offset:468
	buffer_store_dword v3, off, s[0:3], 0 offset:464
	;; [unrolled: 1-line block ×4, first 2 shown]
.LBB105_127:
	s_or_b32 exec_lo, exec_lo, s4
	v_mov_b32_e32 v4, s24
	s_waitcnt_vscnt null, 0x0
	s_barrier
	buffer_gl0_inv
	s_mov_b32 s4, exec_lo
	s_clause 0x3
	buffer_load_dword v1, v4, s[0:3], 0 offen
	buffer_load_dword v2, v4, s[0:3], 0 offen offset:4
	buffer_load_dword v3, v4, s[0:3], 0 offen offset:8
	;; [unrolled: 1-line block ×3, first 2 shown]
	s_waitcnt vmcnt(0)
	ds_write_b128 v89, v[1:4]
	s_waitcnt lgkmcnt(0)
	s_barrier
	buffer_gl0_inv
	v_cmpx_gt_u32_e32 29, v0
	s_cbranch_execz .LBB105_131
; %bb.128:
	v_mov_b32_e32 v1, 0
	v_mov_b32_e32 v3, 0
	v_add_nc_u32_e32 v91, -1, v0
	v_add_nc_u32_e32 v92, 0x2a0, v95
	v_mov_b32_e32 v2, 0
	v_mov_b32_e32 v4, 0
	v_add_nc_u32_e32 v93, 16, v95
	s_mov_b32 s5, 0
	.p2align	6
.LBB105_129:                            ; =>This Inner Loop Header: Depth=1
	s_clause 0x3
	buffer_load_dword v100, v93, s[0:3], 0 offen offset:8
	buffer_load_dword v101, v93, s[0:3], 0 offen offset:12
	buffer_load_dword v102, v93, s[0:3], 0 offen
	buffer_load_dword v103, v93, s[0:3], 0 offen offset:4
	ds_read_b128 v[96:99], v92
	v_add_nc_u32_e32 v91, 1, v91
	v_add_nc_u32_e32 v92, 16, v92
	;; [unrolled: 1-line block ×3, first 2 shown]
	v_cmp_lt_u32_e32 vcc_lo, 27, v91
	s_or_b32 s5, vcc_lo, s5
	s_waitcnt vmcnt(2) lgkmcnt(0)
	v_mul_f64 v[104:105], v[98:99], v[100:101]
	v_mul_f64 v[100:101], v[96:97], v[100:101]
	s_waitcnt vmcnt(0)
	v_fma_f64 v[96:97], v[96:97], v[102:103], -v[104:105]
	v_fma_f64 v[98:99], v[98:99], v[102:103], v[100:101]
	v_add_f64 v[3:4], v[3:4], v[96:97]
	v_add_f64 v[1:2], v[1:2], v[98:99]
	s_andn2_b32 exec_lo, exec_lo, s5
	s_cbranch_execnz .LBB105_129
; %bb.130:
	s_or_b32 exec_lo, exec_lo, s5
	v_mov_b32_e32 v91, 0
	ds_read_b128 v[91:94], v91 offset:464
	s_waitcnt lgkmcnt(0)
	v_mul_f64 v[96:97], v[1:2], v[93:94]
	v_mul_f64 v[93:94], v[3:4], v[93:94]
	v_fma_f64 v[3:4], v[3:4], v[91:92], -v[96:97]
	v_fma_f64 v[1:2], v[1:2], v[91:92], v[93:94]
	buffer_store_dword v4, off, s[0:3], 0 offset:484
	buffer_store_dword v3, off, s[0:3], 0 offset:480
	;; [unrolled: 1-line block ×4, first 2 shown]
.LBB105_131:
	s_or_b32 exec_lo, exec_lo, s4
	v_mov_b32_e32 v4, s23
	s_waitcnt_vscnt null, 0x0
	s_barrier
	buffer_gl0_inv
	s_mov_b32 s4, exec_lo
	s_clause 0x3
	buffer_load_dword v1, v4, s[0:3], 0 offen
	buffer_load_dword v2, v4, s[0:3], 0 offen offset:4
	buffer_load_dword v3, v4, s[0:3], 0 offen offset:8
	buffer_load_dword v4, v4, s[0:3], 0 offen offset:12
	s_waitcnt vmcnt(0)
	ds_write_b128 v89, v[1:4]
	s_waitcnt lgkmcnt(0)
	s_barrier
	buffer_gl0_inv
	v_cmpx_gt_u32_e32 30, v0
	s_cbranch_execz .LBB105_135
; %bb.132:
	v_mov_b32_e32 v1, 0
	v_mov_b32_e32 v3, 0
	v_add_nc_u32_e32 v91, -1, v0
	v_add_nc_u32_e32 v92, 0x2a0, v95
	v_mov_b32_e32 v2, 0
	v_mov_b32_e32 v4, 0
	v_add_nc_u32_e32 v93, 16, v95
	s_mov_b32 s5, 0
	.p2align	6
.LBB105_133:                            ; =>This Inner Loop Header: Depth=1
	s_clause 0x3
	buffer_load_dword v100, v93, s[0:3], 0 offen offset:8
	buffer_load_dword v101, v93, s[0:3], 0 offen offset:12
	buffer_load_dword v102, v93, s[0:3], 0 offen
	buffer_load_dword v103, v93, s[0:3], 0 offen offset:4
	ds_read_b128 v[96:99], v92
	v_add_nc_u32_e32 v91, 1, v91
	v_add_nc_u32_e32 v92, 16, v92
	;; [unrolled: 1-line block ×3, first 2 shown]
	v_cmp_lt_u32_e32 vcc_lo, 28, v91
	s_or_b32 s5, vcc_lo, s5
	s_waitcnt vmcnt(2) lgkmcnt(0)
	v_mul_f64 v[104:105], v[98:99], v[100:101]
	v_mul_f64 v[100:101], v[96:97], v[100:101]
	s_waitcnt vmcnt(0)
	v_fma_f64 v[96:97], v[96:97], v[102:103], -v[104:105]
	v_fma_f64 v[98:99], v[98:99], v[102:103], v[100:101]
	v_add_f64 v[3:4], v[3:4], v[96:97]
	v_add_f64 v[1:2], v[1:2], v[98:99]
	s_andn2_b32 exec_lo, exec_lo, s5
	s_cbranch_execnz .LBB105_133
; %bb.134:
	s_or_b32 exec_lo, exec_lo, s5
	v_mov_b32_e32 v91, 0
	ds_read_b128 v[91:94], v91 offset:480
	s_waitcnt lgkmcnt(0)
	v_mul_f64 v[96:97], v[1:2], v[93:94]
	v_mul_f64 v[93:94], v[3:4], v[93:94]
	v_fma_f64 v[3:4], v[3:4], v[91:92], -v[96:97]
	v_fma_f64 v[1:2], v[1:2], v[91:92], v[93:94]
	buffer_store_dword v4, off, s[0:3], 0 offset:500
	buffer_store_dword v3, off, s[0:3], 0 offset:496
	;; [unrolled: 1-line block ×4, first 2 shown]
.LBB105_135:
	s_or_b32 exec_lo, exec_lo, s4
	v_mov_b32_e32 v4, s22
	s_waitcnt_vscnt null, 0x0
	s_barrier
	buffer_gl0_inv
	s_mov_b32 s4, exec_lo
	s_clause 0x3
	buffer_load_dword v1, v4, s[0:3], 0 offen
	buffer_load_dword v2, v4, s[0:3], 0 offen offset:4
	buffer_load_dword v3, v4, s[0:3], 0 offen offset:8
	;; [unrolled: 1-line block ×3, first 2 shown]
	s_waitcnt vmcnt(0)
	ds_write_b128 v89, v[1:4]
	s_waitcnt lgkmcnt(0)
	s_barrier
	buffer_gl0_inv
	v_cmpx_gt_u32_e32 31, v0
	s_cbranch_execz .LBB105_139
; %bb.136:
	v_mov_b32_e32 v1, 0
	v_mov_b32_e32 v3, 0
	v_add_nc_u32_e32 v91, -1, v0
	v_add_nc_u32_e32 v92, 0x2a0, v95
	v_mov_b32_e32 v2, 0
	v_mov_b32_e32 v4, 0
	v_add_nc_u32_e32 v93, 16, v95
	s_mov_b32 s5, 0
	.p2align	6
.LBB105_137:                            ; =>This Inner Loop Header: Depth=1
	s_clause 0x3
	buffer_load_dword v100, v93, s[0:3], 0 offen offset:8
	buffer_load_dword v101, v93, s[0:3], 0 offen offset:12
	buffer_load_dword v102, v93, s[0:3], 0 offen
	buffer_load_dword v103, v93, s[0:3], 0 offen offset:4
	ds_read_b128 v[96:99], v92
	v_add_nc_u32_e32 v91, 1, v91
	v_add_nc_u32_e32 v92, 16, v92
	;; [unrolled: 1-line block ×3, first 2 shown]
	v_cmp_lt_u32_e32 vcc_lo, 29, v91
	s_or_b32 s5, vcc_lo, s5
	s_waitcnt vmcnt(2) lgkmcnt(0)
	v_mul_f64 v[104:105], v[98:99], v[100:101]
	v_mul_f64 v[100:101], v[96:97], v[100:101]
	s_waitcnt vmcnt(0)
	v_fma_f64 v[96:97], v[96:97], v[102:103], -v[104:105]
	v_fma_f64 v[98:99], v[98:99], v[102:103], v[100:101]
	v_add_f64 v[3:4], v[3:4], v[96:97]
	v_add_f64 v[1:2], v[1:2], v[98:99]
	s_andn2_b32 exec_lo, exec_lo, s5
	s_cbranch_execnz .LBB105_137
; %bb.138:
	s_or_b32 exec_lo, exec_lo, s5
	v_mov_b32_e32 v91, 0
	ds_read_b128 v[91:94], v91 offset:496
	s_waitcnt lgkmcnt(0)
	v_mul_f64 v[96:97], v[1:2], v[93:94]
	v_mul_f64 v[93:94], v[3:4], v[93:94]
	v_fma_f64 v[3:4], v[3:4], v[91:92], -v[96:97]
	v_fma_f64 v[1:2], v[1:2], v[91:92], v[93:94]
	buffer_store_dword v4, off, s[0:3], 0 offset:516
	buffer_store_dword v3, off, s[0:3], 0 offset:512
	;; [unrolled: 1-line block ×4, first 2 shown]
.LBB105_139:
	s_or_b32 exec_lo, exec_lo, s4
	v_mov_b32_e32 v4, s21
	s_waitcnt_vscnt null, 0x0
	s_barrier
	buffer_gl0_inv
	s_mov_b32 s4, exec_lo
	s_clause 0x3
	buffer_load_dword v1, v4, s[0:3], 0 offen
	buffer_load_dword v2, v4, s[0:3], 0 offen offset:4
	buffer_load_dword v3, v4, s[0:3], 0 offen offset:8
	;; [unrolled: 1-line block ×3, first 2 shown]
	s_waitcnt vmcnt(0)
	ds_write_b128 v89, v[1:4]
	s_waitcnt lgkmcnt(0)
	s_barrier
	buffer_gl0_inv
	v_cmpx_gt_u32_e32 32, v0
	s_cbranch_execz .LBB105_143
; %bb.140:
	v_mov_b32_e32 v1, 0
	v_mov_b32_e32 v3, 0
	v_add_nc_u32_e32 v91, -1, v0
	v_add_nc_u32_e32 v92, 0x2a0, v95
	v_mov_b32_e32 v2, 0
	v_mov_b32_e32 v4, 0
	v_add_nc_u32_e32 v93, 16, v95
	s_mov_b32 s5, 0
	.p2align	6
.LBB105_141:                            ; =>This Inner Loop Header: Depth=1
	s_clause 0x3
	buffer_load_dword v100, v93, s[0:3], 0 offen offset:8
	buffer_load_dword v101, v93, s[0:3], 0 offen offset:12
	buffer_load_dword v102, v93, s[0:3], 0 offen
	buffer_load_dword v103, v93, s[0:3], 0 offen offset:4
	ds_read_b128 v[96:99], v92
	v_add_nc_u32_e32 v91, 1, v91
	v_add_nc_u32_e32 v92, 16, v92
	;; [unrolled: 1-line block ×3, first 2 shown]
	v_cmp_lt_u32_e32 vcc_lo, 30, v91
	s_or_b32 s5, vcc_lo, s5
	s_waitcnt vmcnt(2) lgkmcnt(0)
	v_mul_f64 v[104:105], v[98:99], v[100:101]
	v_mul_f64 v[100:101], v[96:97], v[100:101]
	s_waitcnt vmcnt(0)
	v_fma_f64 v[96:97], v[96:97], v[102:103], -v[104:105]
	v_fma_f64 v[98:99], v[98:99], v[102:103], v[100:101]
	v_add_f64 v[3:4], v[3:4], v[96:97]
	v_add_f64 v[1:2], v[1:2], v[98:99]
	s_andn2_b32 exec_lo, exec_lo, s5
	s_cbranch_execnz .LBB105_141
; %bb.142:
	s_or_b32 exec_lo, exec_lo, s5
	v_mov_b32_e32 v91, 0
	ds_read_b128 v[91:94], v91 offset:512
	s_waitcnt lgkmcnt(0)
	v_mul_f64 v[96:97], v[1:2], v[93:94]
	v_mul_f64 v[93:94], v[3:4], v[93:94]
	v_fma_f64 v[3:4], v[3:4], v[91:92], -v[96:97]
	v_fma_f64 v[1:2], v[1:2], v[91:92], v[93:94]
	buffer_store_dword v4, off, s[0:3], 0 offset:532
	buffer_store_dword v3, off, s[0:3], 0 offset:528
	;; [unrolled: 1-line block ×4, first 2 shown]
.LBB105_143:
	s_or_b32 exec_lo, exec_lo, s4
	v_mov_b32_e32 v4, s20
	s_waitcnt_vscnt null, 0x0
	s_barrier
	buffer_gl0_inv
	s_mov_b32 s4, exec_lo
	s_clause 0x3
	buffer_load_dword v1, v4, s[0:3], 0 offen
	buffer_load_dword v2, v4, s[0:3], 0 offen offset:4
	buffer_load_dword v3, v4, s[0:3], 0 offen offset:8
	;; [unrolled: 1-line block ×3, first 2 shown]
	s_waitcnt vmcnt(0)
	ds_write_b128 v89, v[1:4]
	s_waitcnt lgkmcnt(0)
	s_barrier
	buffer_gl0_inv
	v_cmpx_gt_u32_e32 33, v0
	s_cbranch_execz .LBB105_147
; %bb.144:
	v_mov_b32_e32 v1, 0
	v_mov_b32_e32 v3, 0
	v_add_nc_u32_e32 v91, -1, v0
	v_add_nc_u32_e32 v92, 0x2a0, v95
	v_mov_b32_e32 v2, 0
	v_mov_b32_e32 v4, 0
	v_add_nc_u32_e32 v93, 16, v95
	s_mov_b32 s5, 0
	.p2align	6
.LBB105_145:                            ; =>This Inner Loop Header: Depth=1
	s_clause 0x3
	buffer_load_dword v100, v93, s[0:3], 0 offen offset:8
	buffer_load_dword v101, v93, s[0:3], 0 offen offset:12
	buffer_load_dword v102, v93, s[0:3], 0 offen
	buffer_load_dword v103, v93, s[0:3], 0 offen offset:4
	ds_read_b128 v[96:99], v92
	v_add_nc_u32_e32 v91, 1, v91
	v_add_nc_u32_e32 v92, 16, v92
	v_add_nc_u32_e32 v93, 16, v93
	v_cmp_lt_u32_e32 vcc_lo, 31, v91
	s_or_b32 s5, vcc_lo, s5
	s_waitcnt vmcnt(2) lgkmcnt(0)
	v_mul_f64 v[104:105], v[98:99], v[100:101]
	v_mul_f64 v[100:101], v[96:97], v[100:101]
	s_waitcnt vmcnt(0)
	v_fma_f64 v[96:97], v[96:97], v[102:103], -v[104:105]
	v_fma_f64 v[98:99], v[98:99], v[102:103], v[100:101]
	v_add_f64 v[3:4], v[3:4], v[96:97]
	v_add_f64 v[1:2], v[1:2], v[98:99]
	s_andn2_b32 exec_lo, exec_lo, s5
	s_cbranch_execnz .LBB105_145
; %bb.146:
	s_or_b32 exec_lo, exec_lo, s5
	v_mov_b32_e32 v91, 0
	ds_read_b128 v[91:94], v91 offset:528
	s_waitcnt lgkmcnt(0)
	v_mul_f64 v[96:97], v[1:2], v[93:94]
	v_mul_f64 v[93:94], v[3:4], v[93:94]
	v_fma_f64 v[3:4], v[3:4], v[91:92], -v[96:97]
	v_fma_f64 v[1:2], v[1:2], v[91:92], v[93:94]
	buffer_store_dword v4, off, s[0:3], 0 offset:548
	buffer_store_dword v3, off, s[0:3], 0 offset:544
	;; [unrolled: 1-line block ×4, first 2 shown]
.LBB105_147:
	s_or_b32 exec_lo, exec_lo, s4
	v_mov_b32_e32 v4, s19
	s_waitcnt_vscnt null, 0x0
	s_barrier
	buffer_gl0_inv
	s_mov_b32 s4, exec_lo
	s_clause 0x3
	buffer_load_dword v1, v4, s[0:3], 0 offen
	buffer_load_dword v2, v4, s[0:3], 0 offen offset:4
	buffer_load_dword v3, v4, s[0:3], 0 offen offset:8
	;; [unrolled: 1-line block ×3, first 2 shown]
	s_waitcnt vmcnt(0)
	ds_write_b128 v89, v[1:4]
	s_waitcnt lgkmcnt(0)
	s_barrier
	buffer_gl0_inv
	v_cmpx_gt_u32_e32 34, v0
	s_cbranch_execz .LBB105_151
; %bb.148:
	v_mov_b32_e32 v1, 0
	v_mov_b32_e32 v3, 0
	v_add_nc_u32_e32 v91, -1, v0
	v_add_nc_u32_e32 v92, 0x2a0, v95
	v_mov_b32_e32 v2, 0
	v_mov_b32_e32 v4, 0
	v_add_nc_u32_e32 v93, 16, v95
	s_mov_b32 s5, 0
	.p2align	6
.LBB105_149:                            ; =>This Inner Loop Header: Depth=1
	s_clause 0x3
	buffer_load_dword v100, v93, s[0:3], 0 offen offset:8
	buffer_load_dword v101, v93, s[0:3], 0 offen offset:12
	buffer_load_dword v102, v93, s[0:3], 0 offen
	buffer_load_dword v103, v93, s[0:3], 0 offen offset:4
	ds_read_b128 v[96:99], v92
	v_add_nc_u32_e32 v91, 1, v91
	v_add_nc_u32_e32 v92, 16, v92
	;; [unrolled: 1-line block ×3, first 2 shown]
	v_cmp_lt_u32_e32 vcc_lo, 32, v91
	s_or_b32 s5, vcc_lo, s5
	s_waitcnt vmcnt(2) lgkmcnt(0)
	v_mul_f64 v[104:105], v[98:99], v[100:101]
	v_mul_f64 v[100:101], v[96:97], v[100:101]
	s_waitcnt vmcnt(0)
	v_fma_f64 v[96:97], v[96:97], v[102:103], -v[104:105]
	v_fma_f64 v[98:99], v[98:99], v[102:103], v[100:101]
	v_add_f64 v[3:4], v[3:4], v[96:97]
	v_add_f64 v[1:2], v[1:2], v[98:99]
	s_andn2_b32 exec_lo, exec_lo, s5
	s_cbranch_execnz .LBB105_149
; %bb.150:
	s_or_b32 exec_lo, exec_lo, s5
	v_mov_b32_e32 v91, 0
	ds_read_b128 v[91:94], v91 offset:544
	s_waitcnt lgkmcnt(0)
	v_mul_f64 v[96:97], v[1:2], v[93:94]
	v_mul_f64 v[93:94], v[3:4], v[93:94]
	v_fma_f64 v[3:4], v[3:4], v[91:92], -v[96:97]
	v_fma_f64 v[1:2], v[1:2], v[91:92], v[93:94]
	buffer_store_dword v4, off, s[0:3], 0 offset:564
	buffer_store_dword v3, off, s[0:3], 0 offset:560
	;; [unrolled: 1-line block ×4, first 2 shown]
.LBB105_151:
	s_or_b32 exec_lo, exec_lo, s4
	v_mov_b32_e32 v4, s18
	s_waitcnt_vscnt null, 0x0
	s_barrier
	buffer_gl0_inv
	s_mov_b32 s4, exec_lo
	s_clause 0x3
	buffer_load_dword v1, v4, s[0:3], 0 offen
	buffer_load_dword v2, v4, s[0:3], 0 offen offset:4
	buffer_load_dword v3, v4, s[0:3], 0 offen offset:8
	;; [unrolled: 1-line block ×3, first 2 shown]
	s_waitcnt vmcnt(0)
	ds_write_b128 v89, v[1:4]
	s_waitcnt lgkmcnt(0)
	s_barrier
	buffer_gl0_inv
	v_cmpx_gt_u32_e32 35, v0
	s_cbranch_execz .LBB105_155
; %bb.152:
	v_mov_b32_e32 v1, 0
	v_mov_b32_e32 v3, 0
	v_add_nc_u32_e32 v91, -1, v0
	v_add_nc_u32_e32 v92, 0x2a0, v95
	v_mov_b32_e32 v2, 0
	v_mov_b32_e32 v4, 0
	v_add_nc_u32_e32 v93, 16, v95
	s_mov_b32 s5, 0
	.p2align	6
.LBB105_153:                            ; =>This Inner Loop Header: Depth=1
	s_clause 0x3
	buffer_load_dword v100, v93, s[0:3], 0 offen offset:8
	buffer_load_dword v101, v93, s[0:3], 0 offen offset:12
	buffer_load_dword v102, v93, s[0:3], 0 offen
	buffer_load_dword v103, v93, s[0:3], 0 offen offset:4
	ds_read_b128 v[96:99], v92
	v_add_nc_u32_e32 v91, 1, v91
	v_add_nc_u32_e32 v92, 16, v92
	;; [unrolled: 1-line block ×3, first 2 shown]
	v_cmp_lt_u32_e32 vcc_lo, 33, v91
	s_or_b32 s5, vcc_lo, s5
	s_waitcnt vmcnt(2) lgkmcnt(0)
	v_mul_f64 v[104:105], v[98:99], v[100:101]
	v_mul_f64 v[100:101], v[96:97], v[100:101]
	s_waitcnt vmcnt(0)
	v_fma_f64 v[96:97], v[96:97], v[102:103], -v[104:105]
	v_fma_f64 v[98:99], v[98:99], v[102:103], v[100:101]
	v_add_f64 v[3:4], v[3:4], v[96:97]
	v_add_f64 v[1:2], v[1:2], v[98:99]
	s_andn2_b32 exec_lo, exec_lo, s5
	s_cbranch_execnz .LBB105_153
; %bb.154:
	s_or_b32 exec_lo, exec_lo, s5
	v_mov_b32_e32 v91, 0
	ds_read_b128 v[91:94], v91 offset:560
	s_waitcnt lgkmcnt(0)
	v_mul_f64 v[96:97], v[1:2], v[93:94]
	v_mul_f64 v[93:94], v[3:4], v[93:94]
	v_fma_f64 v[3:4], v[3:4], v[91:92], -v[96:97]
	v_fma_f64 v[1:2], v[1:2], v[91:92], v[93:94]
	buffer_store_dword v4, off, s[0:3], 0 offset:580
	buffer_store_dword v3, off, s[0:3], 0 offset:576
	;; [unrolled: 1-line block ×4, first 2 shown]
.LBB105_155:
	s_or_b32 exec_lo, exec_lo, s4
	v_mov_b32_e32 v4, s17
	s_waitcnt_vscnt null, 0x0
	s_barrier
	buffer_gl0_inv
	s_mov_b32 s4, exec_lo
	s_clause 0x3
	buffer_load_dword v1, v4, s[0:3], 0 offen
	buffer_load_dword v2, v4, s[0:3], 0 offen offset:4
	buffer_load_dword v3, v4, s[0:3], 0 offen offset:8
	;; [unrolled: 1-line block ×3, first 2 shown]
	s_waitcnt vmcnt(0)
	ds_write_b128 v89, v[1:4]
	s_waitcnt lgkmcnt(0)
	s_barrier
	buffer_gl0_inv
	v_cmpx_gt_u32_e32 36, v0
	s_cbranch_execz .LBB105_159
; %bb.156:
	v_mov_b32_e32 v1, 0
	v_mov_b32_e32 v3, 0
	v_add_nc_u32_e32 v91, -1, v0
	v_add_nc_u32_e32 v92, 0x2a0, v95
	v_mov_b32_e32 v2, 0
	v_mov_b32_e32 v4, 0
	v_add_nc_u32_e32 v93, 16, v95
	s_mov_b32 s5, 0
	.p2align	6
.LBB105_157:                            ; =>This Inner Loop Header: Depth=1
	s_clause 0x3
	buffer_load_dword v100, v93, s[0:3], 0 offen offset:8
	buffer_load_dword v101, v93, s[0:3], 0 offen offset:12
	buffer_load_dword v102, v93, s[0:3], 0 offen
	buffer_load_dword v103, v93, s[0:3], 0 offen offset:4
	ds_read_b128 v[96:99], v92
	v_add_nc_u32_e32 v91, 1, v91
	v_add_nc_u32_e32 v92, 16, v92
	v_add_nc_u32_e32 v93, 16, v93
	v_cmp_lt_u32_e32 vcc_lo, 34, v91
	s_or_b32 s5, vcc_lo, s5
	s_waitcnt vmcnt(2) lgkmcnt(0)
	v_mul_f64 v[104:105], v[98:99], v[100:101]
	v_mul_f64 v[100:101], v[96:97], v[100:101]
	s_waitcnt vmcnt(0)
	v_fma_f64 v[96:97], v[96:97], v[102:103], -v[104:105]
	v_fma_f64 v[98:99], v[98:99], v[102:103], v[100:101]
	v_add_f64 v[3:4], v[3:4], v[96:97]
	v_add_f64 v[1:2], v[1:2], v[98:99]
	s_andn2_b32 exec_lo, exec_lo, s5
	s_cbranch_execnz .LBB105_157
; %bb.158:
	s_or_b32 exec_lo, exec_lo, s5
	v_mov_b32_e32 v91, 0
	ds_read_b128 v[91:94], v91 offset:576
	s_waitcnt lgkmcnt(0)
	v_mul_f64 v[96:97], v[1:2], v[93:94]
	v_mul_f64 v[93:94], v[3:4], v[93:94]
	v_fma_f64 v[3:4], v[3:4], v[91:92], -v[96:97]
	v_fma_f64 v[1:2], v[1:2], v[91:92], v[93:94]
	buffer_store_dword v4, off, s[0:3], 0 offset:596
	buffer_store_dword v3, off, s[0:3], 0 offset:592
	;; [unrolled: 1-line block ×4, first 2 shown]
.LBB105_159:
	s_or_b32 exec_lo, exec_lo, s4
	v_mov_b32_e32 v4, s16
	s_waitcnt_vscnt null, 0x0
	s_barrier
	buffer_gl0_inv
	s_mov_b32 s4, exec_lo
	s_clause 0x3
	buffer_load_dword v1, v4, s[0:3], 0 offen
	buffer_load_dword v2, v4, s[0:3], 0 offen offset:4
	buffer_load_dword v3, v4, s[0:3], 0 offen offset:8
	;; [unrolled: 1-line block ×3, first 2 shown]
	s_waitcnt vmcnt(0)
	ds_write_b128 v89, v[1:4]
	s_waitcnt lgkmcnt(0)
	s_barrier
	buffer_gl0_inv
	v_cmpx_gt_u32_e32 37, v0
	s_cbranch_execz .LBB105_163
; %bb.160:
	v_mov_b32_e32 v1, 0
	v_mov_b32_e32 v3, 0
	v_add_nc_u32_e32 v91, -1, v0
	v_add_nc_u32_e32 v92, 0x2a0, v95
	v_mov_b32_e32 v2, 0
	v_mov_b32_e32 v4, 0
	v_add_nc_u32_e32 v93, 16, v95
	s_mov_b32 s5, 0
	.p2align	6
.LBB105_161:                            ; =>This Inner Loop Header: Depth=1
	s_clause 0x3
	buffer_load_dword v100, v93, s[0:3], 0 offen offset:8
	buffer_load_dword v101, v93, s[0:3], 0 offen offset:12
	buffer_load_dword v102, v93, s[0:3], 0 offen
	buffer_load_dword v103, v93, s[0:3], 0 offen offset:4
	ds_read_b128 v[96:99], v92
	v_add_nc_u32_e32 v91, 1, v91
	v_add_nc_u32_e32 v92, 16, v92
	;; [unrolled: 1-line block ×3, first 2 shown]
	v_cmp_lt_u32_e32 vcc_lo, 35, v91
	s_or_b32 s5, vcc_lo, s5
	s_waitcnt vmcnt(2) lgkmcnt(0)
	v_mul_f64 v[104:105], v[98:99], v[100:101]
	v_mul_f64 v[100:101], v[96:97], v[100:101]
	s_waitcnt vmcnt(0)
	v_fma_f64 v[96:97], v[96:97], v[102:103], -v[104:105]
	v_fma_f64 v[98:99], v[98:99], v[102:103], v[100:101]
	v_add_f64 v[3:4], v[3:4], v[96:97]
	v_add_f64 v[1:2], v[1:2], v[98:99]
	s_andn2_b32 exec_lo, exec_lo, s5
	s_cbranch_execnz .LBB105_161
; %bb.162:
	s_or_b32 exec_lo, exec_lo, s5
	v_mov_b32_e32 v91, 0
	ds_read_b128 v[91:94], v91 offset:592
	s_waitcnt lgkmcnt(0)
	v_mul_f64 v[96:97], v[1:2], v[93:94]
	v_mul_f64 v[93:94], v[3:4], v[93:94]
	v_fma_f64 v[3:4], v[3:4], v[91:92], -v[96:97]
	v_fma_f64 v[1:2], v[1:2], v[91:92], v[93:94]
	buffer_store_dword v4, off, s[0:3], 0 offset:612
	buffer_store_dword v3, off, s[0:3], 0 offset:608
	;; [unrolled: 1-line block ×4, first 2 shown]
.LBB105_163:
	s_or_b32 exec_lo, exec_lo, s4
	v_mov_b32_e32 v4, s15
	s_waitcnt_vscnt null, 0x0
	s_barrier
	buffer_gl0_inv
	s_mov_b32 s4, exec_lo
	s_clause 0x3
	buffer_load_dword v1, v4, s[0:3], 0 offen
	buffer_load_dword v2, v4, s[0:3], 0 offen offset:4
	buffer_load_dword v3, v4, s[0:3], 0 offen offset:8
	;; [unrolled: 1-line block ×3, first 2 shown]
	s_waitcnt vmcnt(0)
	ds_write_b128 v89, v[1:4]
	s_waitcnt lgkmcnt(0)
	s_barrier
	buffer_gl0_inv
	v_cmpx_gt_u32_e32 38, v0
	s_cbranch_execz .LBB105_167
; %bb.164:
	v_mov_b32_e32 v1, 0
	v_mov_b32_e32 v3, 0
	v_add_nc_u32_e32 v91, -1, v0
	v_add_nc_u32_e32 v92, 0x2a0, v95
	v_mov_b32_e32 v2, 0
	v_mov_b32_e32 v4, 0
	v_add_nc_u32_e32 v93, 16, v95
	s_mov_b32 s5, 0
	.p2align	6
.LBB105_165:                            ; =>This Inner Loop Header: Depth=1
	s_clause 0x3
	buffer_load_dword v100, v93, s[0:3], 0 offen offset:8
	buffer_load_dword v101, v93, s[0:3], 0 offen offset:12
	buffer_load_dword v102, v93, s[0:3], 0 offen
	buffer_load_dword v103, v93, s[0:3], 0 offen offset:4
	ds_read_b128 v[96:99], v92
	v_add_nc_u32_e32 v91, 1, v91
	v_add_nc_u32_e32 v92, 16, v92
	;; [unrolled: 1-line block ×3, first 2 shown]
	v_cmp_lt_u32_e32 vcc_lo, 36, v91
	s_or_b32 s5, vcc_lo, s5
	s_waitcnt vmcnt(2) lgkmcnt(0)
	v_mul_f64 v[104:105], v[98:99], v[100:101]
	v_mul_f64 v[100:101], v[96:97], v[100:101]
	s_waitcnt vmcnt(0)
	v_fma_f64 v[96:97], v[96:97], v[102:103], -v[104:105]
	v_fma_f64 v[98:99], v[98:99], v[102:103], v[100:101]
	v_add_f64 v[3:4], v[3:4], v[96:97]
	v_add_f64 v[1:2], v[1:2], v[98:99]
	s_andn2_b32 exec_lo, exec_lo, s5
	s_cbranch_execnz .LBB105_165
; %bb.166:
	s_or_b32 exec_lo, exec_lo, s5
	v_mov_b32_e32 v91, 0
	ds_read_b128 v[91:94], v91 offset:608
	s_waitcnt lgkmcnt(0)
	v_mul_f64 v[96:97], v[1:2], v[93:94]
	v_mul_f64 v[93:94], v[3:4], v[93:94]
	v_fma_f64 v[3:4], v[3:4], v[91:92], -v[96:97]
	v_fma_f64 v[1:2], v[1:2], v[91:92], v[93:94]
	buffer_store_dword v4, off, s[0:3], 0 offset:628
	buffer_store_dword v3, off, s[0:3], 0 offset:624
	;; [unrolled: 1-line block ×4, first 2 shown]
.LBB105_167:
	s_or_b32 exec_lo, exec_lo, s4
	v_mov_b32_e32 v4, s14
	s_waitcnt_vscnt null, 0x0
	s_barrier
	buffer_gl0_inv
	s_mov_b32 s4, exec_lo
	s_clause 0x3
	buffer_load_dword v1, v4, s[0:3], 0 offen
	buffer_load_dword v2, v4, s[0:3], 0 offen offset:4
	buffer_load_dword v3, v4, s[0:3], 0 offen offset:8
	;; [unrolled: 1-line block ×3, first 2 shown]
	s_waitcnt vmcnt(0)
	ds_write_b128 v89, v[1:4]
	s_waitcnt lgkmcnt(0)
	s_barrier
	buffer_gl0_inv
	v_cmpx_gt_u32_e32 39, v0
	s_cbranch_execz .LBB105_171
; %bb.168:
	v_mov_b32_e32 v1, 0
	v_mov_b32_e32 v3, 0
	v_add_nc_u32_e32 v91, -1, v0
	v_add_nc_u32_e32 v92, 0x2a0, v95
	v_mov_b32_e32 v2, 0
	v_mov_b32_e32 v4, 0
	v_add_nc_u32_e32 v93, 16, v95
	s_mov_b32 s5, 0
	.p2align	6
.LBB105_169:                            ; =>This Inner Loop Header: Depth=1
	s_clause 0x3
	buffer_load_dword v100, v93, s[0:3], 0 offen offset:8
	buffer_load_dword v101, v93, s[0:3], 0 offen offset:12
	buffer_load_dword v102, v93, s[0:3], 0 offen
	buffer_load_dword v103, v93, s[0:3], 0 offen offset:4
	ds_read_b128 v[96:99], v92
	v_add_nc_u32_e32 v91, 1, v91
	v_add_nc_u32_e32 v92, 16, v92
	;; [unrolled: 1-line block ×3, first 2 shown]
	v_cmp_lt_u32_e32 vcc_lo, 37, v91
	s_or_b32 s5, vcc_lo, s5
	s_waitcnt vmcnt(2) lgkmcnt(0)
	v_mul_f64 v[104:105], v[98:99], v[100:101]
	v_mul_f64 v[100:101], v[96:97], v[100:101]
	s_waitcnt vmcnt(0)
	v_fma_f64 v[96:97], v[96:97], v[102:103], -v[104:105]
	v_fma_f64 v[98:99], v[98:99], v[102:103], v[100:101]
	v_add_f64 v[3:4], v[3:4], v[96:97]
	v_add_f64 v[1:2], v[1:2], v[98:99]
	s_andn2_b32 exec_lo, exec_lo, s5
	s_cbranch_execnz .LBB105_169
; %bb.170:
	s_or_b32 exec_lo, exec_lo, s5
	v_mov_b32_e32 v91, 0
	ds_read_b128 v[91:94], v91 offset:624
	s_waitcnt lgkmcnt(0)
	v_mul_f64 v[96:97], v[1:2], v[93:94]
	v_mul_f64 v[93:94], v[3:4], v[93:94]
	v_fma_f64 v[3:4], v[3:4], v[91:92], -v[96:97]
	v_fma_f64 v[1:2], v[1:2], v[91:92], v[93:94]
	buffer_store_dword v4, off, s[0:3], 0 offset:644
	buffer_store_dword v3, off, s[0:3], 0 offset:640
	;; [unrolled: 1-line block ×4, first 2 shown]
.LBB105_171:
	s_or_b32 exec_lo, exec_lo, s4
	v_mov_b32_e32 v4, s9
	s_waitcnt_vscnt null, 0x0
	s_barrier
	buffer_gl0_inv
	s_mov_b32 s4, exec_lo
	s_clause 0x3
	buffer_load_dword v1, v4, s[0:3], 0 offen
	buffer_load_dword v2, v4, s[0:3], 0 offen offset:4
	buffer_load_dword v3, v4, s[0:3], 0 offen offset:8
	;; [unrolled: 1-line block ×3, first 2 shown]
	s_waitcnt vmcnt(0)
	ds_write_b128 v89, v[1:4]
	s_waitcnt lgkmcnt(0)
	s_barrier
	buffer_gl0_inv
	v_cmpx_gt_u32_e32 40, v0
	s_cbranch_execz .LBB105_175
; %bb.172:
	v_mov_b32_e32 v1, 0
	v_mov_b32_e32 v3, 0
	v_add_nc_u32_e32 v91, -1, v0
	v_add_nc_u32_e32 v92, 0x2a0, v95
	v_mov_b32_e32 v2, 0
	v_mov_b32_e32 v4, 0
	v_add_nc_u32_e32 v93, 16, v95
	s_mov_b32 s5, 0
	.p2align	6
.LBB105_173:                            ; =>This Inner Loop Header: Depth=1
	s_clause 0x3
	buffer_load_dword v100, v93, s[0:3], 0 offen offset:8
	buffer_load_dword v101, v93, s[0:3], 0 offen offset:12
	buffer_load_dword v102, v93, s[0:3], 0 offen
	buffer_load_dword v103, v93, s[0:3], 0 offen offset:4
	ds_read_b128 v[96:99], v92
	v_add_nc_u32_e32 v91, 1, v91
	v_add_nc_u32_e32 v92, 16, v92
	;; [unrolled: 1-line block ×3, first 2 shown]
	v_cmp_lt_u32_e32 vcc_lo, 38, v91
	s_or_b32 s5, vcc_lo, s5
	s_waitcnt vmcnt(2) lgkmcnt(0)
	v_mul_f64 v[104:105], v[98:99], v[100:101]
	v_mul_f64 v[100:101], v[96:97], v[100:101]
	s_waitcnt vmcnt(0)
	v_fma_f64 v[96:97], v[96:97], v[102:103], -v[104:105]
	v_fma_f64 v[98:99], v[98:99], v[102:103], v[100:101]
	v_add_f64 v[3:4], v[3:4], v[96:97]
	v_add_f64 v[1:2], v[1:2], v[98:99]
	s_andn2_b32 exec_lo, exec_lo, s5
	s_cbranch_execnz .LBB105_173
; %bb.174:
	s_or_b32 exec_lo, exec_lo, s5
	v_mov_b32_e32 v91, 0
	ds_read_b128 v[91:94], v91 offset:640
	s_waitcnt lgkmcnt(0)
	v_mul_f64 v[96:97], v[1:2], v[93:94]
	v_mul_f64 v[93:94], v[3:4], v[93:94]
	v_fma_f64 v[3:4], v[3:4], v[91:92], -v[96:97]
	v_fma_f64 v[1:2], v[1:2], v[91:92], v[93:94]
	buffer_store_dword v4, off, s[0:3], 0 offset:660
	buffer_store_dword v3, off, s[0:3], 0 offset:656
	;; [unrolled: 1-line block ×4, first 2 shown]
.LBB105_175:
	s_or_b32 exec_lo, exec_lo, s4
	v_mov_b32_e32 v4, s8
	s_waitcnt_vscnt null, 0x0
	s_barrier
	buffer_gl0_inv
	s_mov_b32 s4, exec_lo
	s_clause 0x3
	buffer_load_dword v1, v4, s[0:3], 0 offen
	buffer_load_dword v2, v4, s[0:3], 0 offen offset:4
	buffer_load_dword v3, v4, s[0:3], 0 offen offset:8
	;; [unrolled: 1-line block ×3, first 2 shown]
	s_waitcnt vmcnt(0)
	ds_write_b128 v89, v[1:4]
	s_waitcnt lgkmcnt(0)
	s_barrier
	buffer_gl0_inv
	v_cmpx_ne_u32_e32 41, v0
	s_cbranch_execz .LBB105_179
; %bb.176:
	v_mov_b32_e32 v1, 0
	v_mov_b32_e32 v3, 0
	;; [unrolled: 1-line block ×4, first 2 shown]
	v_add_nc_u32_e32 v91, 16, v95
	s_mov_b32 s5, 0
	.p2align	6
.LBB105_177:                            ; =>This Inner Loop Header: Depth=1
	s_clause 0x3
	buffer_load_dword v96, v91, s[0:3], 0 offen offset:8
	buffer_load_dword v97, v91, s[0:3], 0 offen offset:12
	buffer_load_dword v98, v91, s[0:3], 0 offen
	buffer_load_dword v99, v91, s[0:3], 0 offen offset:4
	ds_read_b128 v[92:95], v89
	v_add_nc_u32_e32 v90, 1, v90
	v_add_nc_u32_e32 v89, 16, v89
	;; [unrolled: 1-line block ×3, first 2 shown]
	v_cmp_lt_u32_e32 vcc_lo, 39, v90
	s_or_b32 s5, vcc_lo, s5
	s_waitcnt vmcnt(2) lgkmcnt(0)
	v_mul_f64 v[100:101], v[94:95], v[96:97]
	v_mul_f64 v[96:97], v[92:93], v[96:97]
	s_waitcnt vmcnt(0)
	v_fma_f64 v[92:93], v[92:93], v[98:99], -v[100:101]
	v_fma_f64 v[94:95], v[94:95], v[98:99], v[96:97]
	v_add_f64 v[3:4], v[3:4], v[92:93]
	v_add_f64 v[1:2], v[1:2], v[94:95]
	s_andn2_b32 exec_lo, exec_lo, s5
	s_cbranch_execnz .LBB105_177
; %bb.178:
	s_or_b32 exec_lo, exec_lo, s5
	v_mov_b32_e32 v89, 0
	ds_read_b128 v[89:92], v89 offset:656
	s_waitcnt lgkmcnt(0)
	v_mul_f64 v[93:94], v[1:2], v[91:92]
	v_mul_f64 v[91:92], v[3:4], v[91:92]
	v_fma_f64 v[3:4], v[3:4], v[89:90], -v[93:94]
	v_fma_f64 v[1:2], v[1:2], v[89:90], v[91:92]
	buffer_store_dword v4, off, s[0:3], 0 offset:676
	buffer_store_dword v3, off, s[0:3], 0 offset:672
	buffer_store_dword v2, off, s[0:3], 0 offset:684
	buffer_store_dword v1, off, s[0:3], 0 offset:680
.LBB105_179:
	s_or_b32 exec_lo, exec_lo, s4
	s_mov_b32 s5, -1
	s_waitcnt_vscnt null, 0x0
	s_barrier
	buffer_gl0_inv
.LBB105_180:
	s_and_b32 vcc_lo, exec_lo, s5
	s_cbranch_vccz .LBB105_182
; %bb.181:
	s_lshl_b64 s[4:5], s[6:7], 2
	v_mov_b32_e32 v1, 0
	s_add_u32 s4, s10, s4
	s_addc_u32 s5, s11, s5
	global_load_dword v1, v1, s[4:5]
	s_waitcnt vmcnt(0)
	v_cmp_ne_u32_e32 vcc_lo, 0, v1
	s_cbranch_vccz .LBB105_183
.LBB105_182:
	s_endpgm
.LBB105_183:
	v_lshl_add_u32 v145, v0, 4, 0x2a0
	s_mov_b32 s4, exec_lo
	v_cmpx_eq_u32_e32 41, v0
	s_cbranch_execz .LBB105_185
; %bb.184:
	v_mov_b32_e32 v4, s9
	v_mov_b32_e32 v89, 0
	s_clause 0x3
	buffer_load_dword v1, v4, s[0:3], 0 offen
	buffer_load_dword v2, v4, s[0:3], 0 offen offset:4
	buffer_load_dword v3, v4, s[0:3], 0 offen offset:8
	buffer_load_dword v4, v4, s[0:3], 0 offen offset:12
	buffer_store_dword v89, off, s[0:3], 0 offset:656
	buffer_store_dword v89, off, s[0:3], 0 offset:660
	;; [unrolled: 1-line block ×4, first 2 shown]
	s_waitcnt vmcnt(0)
	ds_write_b128 v145, v[1:4]
.LBB105_185:
	s_or_b32 exec_lo, exec_lo, s4
	s_waitcnt lgkmcnt(0)
	s_waitcnt_vscnt null, 0x0
	s_barrier
	buffer_gl0_inv
	s_clause 0x7
	buffer_load_dword v2, off, s[0:3], 0 offset:680
	buffer_load_dword v3, off, s[0:3], 0 offset:684
	;; [unrolled: 1-line block ×8, first 2 shown]
	v_mov_b32_e32 v1, 0
	s_mov_b32 s4, exec_lo
	ds_read_b128 v[89:92], v1 offset:1328
	s_waitcnt vmcnt(6) lgkmcnt(0)
	v_mul_f64 v[99:100], v[91:92], v[2:3]
	v_mul_f64 v[2:3], v[89:90], v[2:3]
	s_waitcnt vmcnt(4)
	v_fma_f64 v[89:90], v[89:90], v[93:94], -v[99:100]
	v_fma_f64 v[2:3], v[91:92], v[93:94], v[2:3]
	v_add_f64 v[89:90], v[89:90], 0
	v_add_f64 v[2:3], v[2:3], 0
	s_waitcnt vmcnt(2)
	v_add_f64 v[89:90], v[95:96], -v[89:90]
	s_waitcnt vmcnt(0)
	v_add_f64 v[2:3], v[97:98], -v[2:3]
	buffer_store_dword v89, off, s[0:3], 0 offset:656
	buffer_store_dword v90, off, s[0:3], 0 offset:660
	;; [unrolled: 1-line block ×4, first 2 shown]
	v_cmpx_lt_u32_e32 39, v0
	s_cbranch_execz .LBB105_187
; %bb.186:
	v_mov_b32_e32 v2, s14
	s_clause 0x3
	buffer_load_dword v89, v2, s[0:3], 0 offen
	buffer_load_dword v90, v2, s[0:3], 0 offen offset:4
	buffer_load_dword v91, v2, s[0:3], 0 offen offset:8
	;; [unrolled: 1-line block ×3, first 2 shown]
	buffer_store_dword v1, off, s[0:3], 0 offset:640
	buffer_store_dword v1, off, s[0:3], 0 offset:644
	;; [unrolled: 1-line block ×4, first 2 shown]
	s_waitcnt vmcnt(0)
	ds_write_b128 v145, v[89:92]
.LBB105_187:
	s_or_b32 exec_lo, exec_lo, s4
	s_waitcnt lgkmcnt(0)
	s_waitcnt_vscnt null, 0x0
	s_barrier
	buffer_gl0_inv
	s_clause 0xb
	buffer_load_dword v93, off, s[0:3], 0 offset:664
	buffer_load_dword v94, off, s[0:3], 0 offset:668
	buffer_load_dword v95, off, s[0:3], 0 offset:680
	buffer_load_dword v96, off, s[0:3], 0 offset:684
	buffer_load_dword v97, off, s[0:3], 0 offset:656
	buffer_load_dword v98, off, s[0:3], 0 offset:660
	buffer_load_dword v99, off, s[0:3], 0 offset:672
	buffer_load_dword v100, off, s[0:3], 0 offset:676
	buffer_load_dword v101, off, s[0:3], 0 offset:640
	buffer_load_dword v102, off, s[0:3], 0 offset:644
	buffer_load_dword v103, off, s[0:3], 0 offset:648
	buffer_load_dword v104, off, s[0:3], 0 offset:652
	ds_read_b128 v[89:92], v1 offset:1312
	ds_read_b128 v[1:4], v1 offset:1328
	s_mov_b32 s4, exec_lo
	s_waitcnt vmcnt(10) lgkmcnt(1)
	v_mul_f64 v[105:106], v[91:92], v[93:94]
	v_mul_f64 v[93:94], v[89:90], v[93:94]
	s_waitcnt vmcnt(8) lgkmcnt(0)
	v_mul_f64 v[107:108], v[3:4], v[95:96]
	v_mul_f64 v[95:96], v[1:2], v[95:96]
	s_waitcnt vmcnt(6)
	v_fma_f64 v[89:90], v[89:90], v[97:98], -v[105:106]
	v_fma_f64 v[91:92], v[91:92], v[97:98], v[93:94]
	s_waitcnt vmcnt(4)
	v_fma_f64 v[1:2], v[1:2], v[99:100], -v[107:108]
	v_fma_f64 v[3:4], v[3:4], v[99:100], v[95:96]
	v_add_f64 v[89:90], v[89:90], 0
	v_add_f64 v[91:92], v[91:92], 0
	v_add_f64 v[1:2], v[89:90], v[1:2]
	v_add_f64 v[3:4], v[91:92], v[3:4]
	s_waitcnt vmcnt(2)
	v_add_f64 v[1:2], v[101:102], -v[1:2]
	s_waitcnt vmcnt(0)
	v_add_f64 v[3:4], v[103:104], -v[3:4]
	buffer_store_dword v1, off, s[0:3], 0 offset:640
	buffer_store_dword v2, off, s[0:3], 0 offset:644
	;; [unrolled: 1-line block ×4, first 2 shown]
	v_cmpx_lt_u32_e32 38, v0
	s_cbranch_execz .LBB105_189
; %bb.188:
	v_mov_b32_e32 v4, s15
	v_mov_b32_e32 v89, 0
	s_clause 0x3
	buffer_load_dword v1, v4, s[0:3], 0 offen
	buffer_load_dword v2, v4, s[0:3], 0 offen offset:4
	buffer_load_dword v3, v4, s[0:3], 0 offen offset:8
	;; [unrolled: 1-line block ×3, first 2 shown]
	buffer_store_dword v89, off, s[0:3], 0 offset:624
	buffer_store_dword v89, off, s[0:3], 0 offset:628
	;; [unrolled: 1-line block ×4, first 2 shown]
	s_waitcnt vmcnt(0)
	ds_write_b128 v145, v[1:4]
.LBB105_189:
	s_or_b32 exec_lo, exec_lo, s4
	s_waitcnt lgkmcnt(0)
	s_waitcnt_vscnt null, 0x0
	s_barrier
	buffer_gl0_inv
	s_clause 0xf
	buffer_load_dword v2, off, s[0:3], 0 offset:648
	buffer_load_dword v3, off, s[0:3], 0 offset:652
	;; [unrolled: 1-line block ×16, first 2 shown]
	v_mov_b32_e32 v1, 0
	ds_read_b128 v[89:92], v1 offset:1296
	ds_read_b128 v[93:96], v1 offset:1312
	;; [unrolled: 1-line block ×3, first 2 shown]
	s_mov_b32 s4, exec_lo
	s_waitcnt vmcnt(14) lgkmcnt(2)
	v_mul_f64 v[115:116], v[91:92], v[2:3]
	v_mul_f64 v[2:3], v[89:90], v[2:3]
	s_waitcnt vmcnt(12) lgkmcnt(1)
	v_mul_f64 v[117:118], v[95:96], v[101:102]
	v_mul_f64 v[101:102], v[93:94], v[101:102]
	s_waitcnt vmcnt(10)
	v_fma_f64 v[89:90], v[89:90], v[103:104], -v[115:116]
	v_fma_f64 v[2:3], v[91:92], v[103:104], v[2:3]
	s_waitcnt vmcnt(8) lgkmcnt(0)
	v_mul_f64 v[103:104], v[99:100], v[105:106]
	s_waitcnt vmcnt(6)
	v_fma_f64 v[93:94], v[93:94], v[107:108], -v[117:118]
	v_mul_f64 v[91:92], v[97:98], v[105:106]
	v_fma_f64 v[95:96], v[95:96], v[107:108], v[101:102]
	v_add_f64 v[89:90], v[89:90], 0
	v_add_f64 v[2:3], v[2:3], 0
	s_waitcnt vmcnt(4)
	v_fma_f64 v[97:98], v[97:98], v[109:110], -v[103:104]
	v_fma_f64 v[91:92], v[99:100], v[109:110], v[91:92]
	v_add_f64 v[89:90], v[89:90], v[93:94]
	v_add_f64 v[2:3], v[2:3], v[95:96]
	v_add_f64 v[89:90], v[89:90], v[97:98]
	v_add_f64 v[2:3], v[2:3], v[91:92]
	s_waitcnt vmcnt(2)
	v_add_f64 v[89:90], v[111:112], -v[89:90]
	s_waitcnt vmcnt(0)
	v_add_f64 v[2:3], v[113:114], -v[2:3]
	buffer_store_dword v89, off, s[0:3], 0 offset:624
	buffer_store_dword v90, off, s[0:3], 0 offset:628
	;; [unrolled: 1-line block ×4, first 2 shown]
	v_cmpx_lt_u32_e32 37, v0
	s_cbranch_execz .LBB105_191
; %bb.190:
	v_mov_b32_e32 v2, s16
	s_clause 0x3
	buffer_load_dword v89, v2, s[0:3], 0 offen
	buffer_load_dword v90, v2, s[0:3], 0 offen offset:4
	buffer_load_dword v91, v2, s[0:3], 0 offen offset:8
	;; [unrolled: 1-line block ×3, first 2 shown]
	buffer_store_dword v1, off, s[0:3], 0 offset:608
	buffer_store_dword v1, off, s[0:3], 0 offset:612
	;; [unrolled: 1-line block ×4, first 2 shown]
	s_waitcnt vmcnt(0)
	ds_write_b128 v145, v[89:92]
.LBB105_191:
	s_or_b32 exec_lo, exec_lo, s4
	s_waitcnt lgkmcnt(0)
	s_waitcnt_vscnt null, 0x0
	s_barrier
	buffer_gl0_inv
	s_clause 0x13
	buffer_load_dword v2, off, s[0:3], 0 offset:632
	buffer_load_dword v3, off, s[0:3], 0 offset:636
	;; [unrolled: 1-line block ×20, first 2 shown]
	ds_read_b128 v[89:92], v1 offset:1280
	ds_read_b128 v[93:96], v1 offset:1296
	;; [unrolled: 1-line block ×3, first 2 shown]
	s_mov_b32 s4, exec_lo
	s_waitcnt vmcnt(18) lgkmcnt(2)
	v_mul_f64 v[119:120], v[91:92], v[2:3]
	v_mul_f64 v[2:3], v[89:90], v[2:3]
	s_waitcnt vmcnt(16) lgkmcnt(1)
	v_mul_f64 v[121:122], v[95:96], v[101:102]
	v_mul_f64 v[101:102], v[93:94], v[101:102]
	s_waitcnt vmcnt(14)
	v_fma_f64 v[89:90], v[89:90], v[103:104], -v[119:120]
	v_fma_f64 v[91:92], v[91:92], v[103:104], v[2:3]
	s_waitcnt vmcnt(12) lgkmcnt(0)
	v_mul_f64 v[103:104], v[97:98], v[105:106]
	v_mul_f64 v[105:106], v[99:100], v[105:106]
	s_waitcnt vmcnt(10)
	v_fma_f64 v[93:94], v[93:94], v[107:108], -v[121:122]
	ds_read_b128 v[1:4], v1 offset:1328
	v_fma_f64 v[95:96], v[95:96], v[107:108], v[101:102]
	v_add_f64 v[89:90], v[89:90], 0
	v_add_f64 v[91:92], v[91:92], 0
	s_waitcnt vmcnt(8) lgkmcnt(0)
	v_mul_f64 v[107:108], v[3:4], v[109:110]
	s_waitcnt vmcnt(6)
	v_fma_f64 v[97:98], v[97:98], v[111:112], -v[105:106]
	v_mul_f64 v[101:102], v[1:2], v[109:110]
	v_add_f64 v[89:90], v[89:90], v[93:94]
	v_fma_f64 v[93:94], v[99:100], v[111:112], v[103:104]
	v_add_f64 v[91:92], v[91:92], v[95:96]
	s_waitcnt vmcnt(4)
	v_fma_f64 v[1:2], v[1:2], v[113:114], -v[107:108]
	v_fma_f64 v[3:4], v[3:4], v[113:114], v[101:102]
	v_add_f64 v[89:90], v[89:90], v[97:98]
	v_add_f64 v[91:92], v[91:92], v[93:94]
	;; [unrolled: 1-line block ×4, first 2 shown]
	s_waitcnt vmcnt(2)
	v_add_f64 v[1:2], v[115:116], -v[1:2]
	s_waitcnt vmcnt(0)
	v_add_f64 v[3:4], v[117:118], -v[3:4]
	buffer_store_dword v1, off, s[0:3], 0 offset:608
	buffer_store_dword v2, off, s[0:3], 0 offset:612
	;; [unrolled: 1-line block ×4, first 2 shown]
	v_cmpx_lt_u32_e32 36, v0
	s_cbranch_execz .LBB105_193
; %bb.192:
	v_mov_b32_e32 v4, s17
	v_mov_b32_e32 v89, 0
	s_clause 0x3
	buffer_load_dword v1, v4, s[0:3], 0 offen
	buffer_load_dword v2, v4, s[0:3], 0 offen offset:4
	buffer_load_dword v3, v4, s[0:3], 0 offen offset:8
	;; [unrolled: 1-line block ×3, first 2 shown]
	buffer_store_dword v89, off, s[0:3], 0 offset:592
	buffer_store_dword v89, off, s[0:3], 0 offset:596
	;; [unrolled: 1-line block ×4, first 2 shown]
	s_waitcnt vmcnt(0)
	ds_write_b128 v145, v[1:4]
.LBB105_193:
	s_or_b32 exec_lo, exec_lo, s4
	s_waitcnt lgkmcnt(0)
	s_waitcnt_vscnt null, 0x0
	s_barrier
	buffer_gl0_inv
	s_clause 0x17
	buffer_load_dword v2, off, s[0:3], 0 offset:616
	buffer_load_dword v3, off, s[0:3], 0 offset:620
	;; [unrolled: 1-line block ×24, first 2 shown]
	v_mov_b32_e32 v1, 0
	ds_read_b128 v[89:92], v1 offset:1264
	ds_read_b128 v[93:96], v1 offset:1280
	;; [unrolled: 1-line block ×3, first 2 shown]
	s_mov_b32 s4, exec_lo
	s_waitcnt vmcnt(22) lgkmcnt(2)
	v_mul_f64 v[123:124], v[91:92], v[2:3]
	v_mul_f64 v[2:3], v[89:90], v[2:3]
	s_waitcnt vmcnt(20) lgkmcnt(1)
	v_mul_f64 v[125:126], v[95:96], v[101:102]
	v_mul_f64 v[101:102], v[93:94], v[101:102]
	s_waitcnt vmcnt(18)
	v_fma_f64 v[123:124], v[89:90], v[103:104], -v[123:124]
	v_fma_f64 v[2:3], v[91:92], v[103:104], v[2:3]
	ds_read_b128 v[89:92], v1 offset:1312
	s_waitcnt vmcnt(16) lgkmcnt(1)
	v_mul_f64 v[103:104], v[97:98], v[105:106]
	v_mul_f64 v[105:106], v[99:100], v[105:106]
	s_waitcnt vmcnt(14)
	v_fma_f64 v[125:126], v[93:94], v[107:108], -v[125:126]
	v_fma_f64 v[101:102], v[95:96], v[107:108], v[101:102]
	ds_read_b128 v[93:96], v1 offset:1328
	s_waitcnt vmcnt(10) lgkmcnt(1)
	v_mul_f64 v[107:108], v[89:90], v[109:110]
	v_add_f64 v[123:124], v[123:124], 0
	v_add_f64 v[2:3], v[2:3], 0
	v_mul_f64 v[109:110], v[91:92], v[109:110]
	s_waitcnt vmcnt(8)
	v_fma_f64 v[97:98], v[97:98], v[115:116], -v[105:106]
	v_fma_f64 v[99:100], v[99:100], v[115:116], v[103:104]
	s_waitcnt vmcnt(7) lgkmcnt(0)
	v_mul_f64 v[103:104], v[95:96], v[111:112]
	s_waitcnt vmcnt(5)
	v_fma_f64 v[91:92], v[91:92], v[117:118], v[107:108]
	v_add_f64 v[105:106], v[123:124], v[125:126]
	v_add_f64 v[2:3], v[2:3], v[101:102]
	v_fma_f64 v[89:90], v[89:90], v[117:118], -v[109:110]
	v_mul_f64 v[101:102], v[93:94], v[111:112]
	s_waitcnt vmcnt(4)
	v_fma_f64 v[93:94], v[93:94], v[113:114], -v[103:104]
	v_add_f64 v[97:98], v[105:106], v[97:98]
	v_add_f64 v[2:3], v[2:3], v[99:100]
	v_fma_f64 v[95:96], v[95:96], v[113:114], v[101:102]
	v_add_f64 v[89:90], v[97:98], v[89:90]
	v_add_f64 v[2:3], v[2:3], v[91:92]
	;; [unrolled: 1-line block ×4, first 2 shown]
	s_waitcnt vmcnt(2)
	v_add_f64 v[89:90], v[119:120], -v[89:90]
	s_waitcnt vmcnt(0)
	v_add_f64 v[2:3], v[121:122], -v[2:3]
	buffer_store_dword v90, off, s[0:3], 0 offset:596
	buffer_store_dword v89, off, s[0:3], 0 offset:592
	;; [unrolled: 1-line block ×4, first 2 shown]
	v_cmpx_lt_u32_e32 35, v0
	s_cbranch_execz .LBB105_195
; %bb.194:
	v_mov_b32_e32 v2, s18
	s_clause 0x3
	buffer_load_dword v89, v2, s[0:3], 0 offen
	buffer_load_dword v90, v2, s[0:3], 0 offen offset:4
	buffer_load_dword v91, v2, s[0:3], 0 offen offset:8
	;; [unrolled: 1-line block ×3, first 2 shown]
	buffer_store_dword v1, off, s[0:3], 0 offset:576
	buffer_store_dword v1, off, s[0:3], 0 offset:580
	;; [unrolled: 1-line block ×4, first 2 shown]
	s_waitcnt vmcnt(0)
	ds_write_b128 v145, v[89:92]
.LBB105_195:
	s_or_b32 exec_lo, exec_lo, s4
	s_waitcnt lgkmcnt(0)
	s_waitcnt_vscnt null, 0x0
	s_barrier
	buffer_gl0_inv
	s_clause 0x1b
	buffer_load_dword v2, off, s[0:3], 0 offset:600
	buffer_load_dword v3, off, s[0:3], 0 offset:604
	buffer_load_dword v101, off, s[0:3], 0 offset:616
	buffer_load_dword v102, off, s[0:3], 0 offset:620
	buffer_load_dword v103, off, s[0:3], 0 offset:592
	buffer_load_dword v104, off, s[0:3], 0 offset:596
	buffer_load_dword v105, off, s[0:3], 0 offset:632
	buffer_load_dword v106, off, s[0:3], 0 offset:636
	buffer_load_dword v107, off, s[0:3], 0 offset:608
	buffer_load_dword v108, off, s[0:3], 0 offset:612
	buffer_load_dword v110, off, s[0:3], 0 offset:652
	buffer_load_dword v111, off, s[0:3], 0 offset:664
	buffer_load_dword v113, off, s[0:3], 0 offset:656
	buffer_load_dword v109, off, s[0:3], 0 offset:648
	buffer_load_dword v115, off, s[0:3], 0 offset:624
	buffer_load_dword v116, off, s[0:3], 0 offset:628
	buffer_load_dword v112, off, s[0:3], 0 offset:668
	buffer_load_dword v118, off, s[0:3], 0 offset:644
	buffer_load_dword v117, off, s[0:3], 0 offset:640
	buffer_load_dword v120, off, s[0:3], 0 offset:684
	buffer_load_dword v119, off, s[0:3], 0 offset:680
	buffer_load_dword v114, off, s[0:3], 0 offset:660
	buffer_load_dword v122, off, s[0:3], 0 offset:676
	buffer_load_dword v121, off, s[0:3], 0 offset:672
	buffer_load_dword v123, off, s[0:3], 0 offset:576
	buffer_load_dword v124, off, s[0:3], 0 offset:580
	buffer_load_dword v125, off, s[0:3], 0 offset:584
	buffer_load_dword v126, off, s[0:3], 0 offset:588
	ds_read_b128 v[89:92], v1 offset:1248
	ds_read_b128 v[93:96], v1 offset:1264
	ds_read_b128 v[97:100], v1 offset:1280
	s_mov_b32 s4, exec_lo
	s_waitcnt vmcnt(26) lgkmcnt(2)
	v_mul_f64 v[127:128], v[91:92], v[2:3]
	v_mul_f64 v[2:3], v[89:90], v[2:3]
	s_waitcnt vmcnt(24) lgkmcnt(1)
	v_mul_f64 v[129:130], v[95:96], v[101:102]
	v_mul_f64 v[101:102], v[93:94], v[101:102]
	s_waitcnt vmcnt(22)
	v_fma_f64 v[127:128], v[89:90], v[103:104], -v[127:128]
	v_fma_f64 v[2:3], v[91:92], v[103:104], v[2:3]
	ds_read_b128 v[89:92], v1 offset:1296
	s_waitcnt vmcnt(20) lgkmcnt(1)
	v_mul_f64 v[103:104], v[97:98], v[105:106]
	v_mul_f64 v[105:106], v[99:100], v[105:106]
	s_waitcnt vmcnt(18)
	v_fma_f64 v[129:130], v[93:94], v[107:108], -v[129:130]
	v_fma_f64 v[101:102], v[95:96], v[107:108], v[101:102]
	ds_read_b128 v[93:96], v1 offset:1312
	s_waitcnt vmcnt(14) lgkmcnt(1)
	v_mul_f64 v[107:108], v[89:90], v[109:110]
	v_add_f64 v[127:128], v[127:128], 0
	v_add_f64 v[2:3], v[2:3], 0
	v_mul_f64 v[109:110], v[91:92], v[109:110]
	s_waitcnt vmcnt(12)
	v_fma_f64 v[97:98], v[97:98], v[115:116], -v[105:106]
	v_fma_f64 v[99:100], v[99:100], v[115:116], v[103:104]
	s_waitcnt vmcnt(11) lgkmcnt(0)
	v_mul_f64 v[103:104], v[93:94], v[111:112]
	v_mul_f64 v[111:112], v[95:96], v[111:112]
	s_waitcnt vmcnt(9)
	v_fma_f64 v[91:92], v[91:92], v[117:118], v[107:108]
	v_add_f64 v[105:106], v[127:128], v[129:130]
	v_add_f64 v[101:102], v[2:3], v[101:102]
	v_fma_f64 v[89:90], v[89:90], v[117:118], -v[109:110]
	ds_read_b128 v[1:4], v1 offset:1328
	s_waitcnt vmcnt(6)
	v_fma_f64 v[95:96], v[95:96], v[113:114], v[103:104]
	v_fma_f64 v[93:94], v[93:94], v[113:114], -v[111:112]
	v_add_f64 v[97:98], v[105:106], v[97:98]
	v_add_f64 v[99:100], v[101:102], v[99:100]
	s_waitcnt lgkmcnt(0)
	v_mul_f64 v[105:106], v[3:4], v[119:120]
	v_mul_f64 v[101:102], v[1:2], v[119:120]
	v_add_f64 v[89:90], v[97:98], v[89:90]
	v_add_f64 v[91:92], v[99:100], v[91:92]
	s_waitcnt vmcnt(4)
	v_fma_f64 v[1:2], v[1:2], v[121:122], -v[105:106]
	v_fma_f64 v[3:4], v[3:4], v[121:122], v[101:102]
	v_add_f64 v[89:90], v[89:90], v[93:94]
	v_add_f64 v[91:92], v[91:92], v[95:96]
	;; [unrolled: 1-line block ×4, first 2 shown]
	s_waitcnt vmcnt(2)
	v_add_f64 v[1:2], v[123:124], -v[1:2]
	s_waitcnt vmcnt(0)
	v_add_f64 v[3:4], v[125:126], -v[3:4]
	buffer_store_dword v2, off, s[0:3], 0 offset:580
	buffer_store_dword v1, off, s[0:3], 0 offset:576
	;; [unrolled: 1-line block ×4, first 2 shown]
	v_cmpx_lt_u32_e32 34, v0
	s_cbranch_execz .LBB105_197
; %bb.196:
	v_mov_b32_e32 v4, s19
	v_mov_b32_e32 v89, 0
	s_clause 0x3
	buffer_load_dword v1, v4, s[0:3], 0 offen
	buffer_load_dword v2, v4, s[0:3], 0 offen offset:4
	buffer_load_dword v3, v4, s[0:3], 0 offen offset:8
	buffer_load_dword v4, v4, s[0:3], 0 offen offset:12
	buffer_store_dword v89, off, s[0:3], 0 offset:560
	buffer_store_dword v89, off, s[0:3], 0 offset:564
	;; [unrolled: 1-line block ×4, first 2 shown]
	s_waitcnt vmcnt(0)
	ds_write_b128 v145, v[1:4]
.LBB105_197:
	s_or_b32 exec_lo, exec_lo, s4
	s_waitcnt lgkmcnt(0)
	s_waitcnt_vscnt null, 0x0
	s_barrier
	buffer_gl0_inv
	s_clause 0x1f
	buffer_load_dword v2, off, s[0:3], 0 offset:584
	buffer_load_dword v3, off, s[0:3], 0 offset:588
	buffer_load_dword v101, off, s[0:3], 0 offset:600
	buffer_load_dword v102, off, s[0:3], 0 offset:604
	buffer_load_dword v103, off, s[0:3], 0 offset:576
	buffer_load_dword v104, off, s[0:3], 0 offset:580
	buffer_load_dword v105, off, s[0:3], 0 offset:616
	buffer_load_dword v106, off, s[0:3], 0 offset:620
	buffer_load_dword v107, off, s[0:3], 0 offset:592
	buffer_load_dword v108, off, s[0:3], 0 offset:596
	buffer_load_dword v110, off, s[0:3], 0 offset:636
	buffer_load_dword v111, off, s[0:3], 0 offset:648
	buffer_load_dword v113, off, s[0:3], 0 offset:640
	buffer_load_dword v109, off, s[0:3], 0 offset:632
	buffer_load_dword v115, off, s[0:3], 0 offset:608
	buffer_load_dword v116, off, s[0:3], 0 offset:612
	buffer_load_dword v112, off, s[0:3], 0 offset:652
	buffer_load_dword v118, off, s[0:3], 0 offset:628
	buffer_load_dword v117, off, s[0:3], 0 offset:624
	buffer_load_dword v120, off, s[0:3], 0 offset:668
	buffer_load_dword v121, off, s[0:3], 0 offset:680
	buffer_load_dword v123, off, s[0:3], 0 offset:672
	buffer_load_dword v119, off, s[0:3], 0 offset:664
	buffer_load_dword v114, off, s[0:3], 0 offset:644
	buffer_load_dword v122, off, s[0:3], 0 offset:684
	buffer_load_dword v126, off, s[0:3], 0 offset:660
	buffer_load_dword v125, off, s[0:3], 0 offset:656
	buffer_load_dword v124, off, s[0:3], 0 offset:676
	buffer_load_dword v127, off, s[0:3], 0 offset:560
	buffer_load_dword v128, off, s[0:3], 0 offset:564
	buffer_load_dword v129, off, s[0:3], 0 offset:568
	buffer_load_dword v130, off, s[0:3], 0 offset:572
	v_mov_b32_e32 v1, 0
	ds_read_b128 v[89:92], v1 offset:1232
	ds_read_b128 v[93:96], v1 offset:1248
	;; [unrolled: 1-line block ×3, first 2 shown]
	s_mov_b32 s4, exec_lo
	s_waitcnt vmcnt(30) lgkmcnt(2)
	v_mul_f64 v[131:132], v[91:92], v[2:3]
	v_mul_f64 v[2:3], v[89:90], v[2:3]
	s_waitcnt vmcnt(28) lgkmcnt(1)
	v_mul_f64 v[133:134], v[95:96], v[101:102]
	v_mul_f64 v[101:102], v[93:94], v[101:102]
	s_waitcnt vmcnt(26)
	v_fma_f64 v[131:132], v[89:90], v[103:104], -v[131:132]
	v_fma_f64 v[2:3], v[91:92], v[103:104], v[2:3]
	ds_read_b128 v[89:92], v1 offset:1280
	s_waitcnt vmcnt(24) lgkmcnt(1)
	v_mul_f64 v[103:104], v[97:98], v[105:106]
	v_mul_f64 v[105:106], v[99:100], v[105:106]
	s_waitcnt vmcnt(22)
	v_fma_f64 v[133:134], v[93:94], v[107:108], -v[133:134]
	v_fma_f64 v[101:102], v[95:96], v[107:108], v[101:102]
	ds_read_b128 v[93:96], v1 offset:1296
	s_waitcnt vmcnt(18) lgkmcnt(1)
	v_mul_f64 v[107:108], v[89:90], v[109:110]
	v_add_f64 v[131:132], v[131:132], 0
	v_add_f64 v[2:3], v[2:3], 0
	v_mul_f64 v[109:110], v[91:92], v[109:110]
	s_waitcnt vmcnt(16)
	v_fma_f64 v[105:106], v[97:98], v[115:116], -v[105:106]
	v_fma_f64 v[103:104], v[99:100], v[115:116], v[103:104]
	ds_read_b128 v[97:100], v1 offset:1312
	s_waitcnt vmcnt(13)
	v_fma_f64 v[107:108], v[91:92], v[117:118], v[107:108]
	v_add_f64 v[131:132], v[131:132], v[133:134]
	v_add_f64 v[2:3], v[2:3], v[101:102]
	s_waitcnt lgkmcnt(1)
	v_mul_f64 v[101:102], v[93:94], v[111:112]
	v_mul_f64 v[111:112], v[95:96], v[111:112]
	v_fma_f64 v[109:110], v[89:90], v[117:118], -v[109:110]
	s_waitcnt vmcnt(9) lgkmcnt(0)
	v_mul_f64 v[115:116], v[99:100], v[119:120]
	ds_read_b128 v[89:92], v1 offset:1328
	v_add_f64 v[105:106], v[131:132], v[105:106]
	v_add_f64 v[2:3], v[2:3], v[103:104]
	v_mul_f64 v[103:104], v[97:98], v[119:120]
	s_waitcnt vmcnt(8)
	v_fma_f64 v[93:94], v[93:94], v[113:114], -v[111:112]
	v_fma_f64 v[95:96], v[95:96], v[113:114], v[101:102]
	s_waitcnt vmcnt(5)
	v_fma_f64 v[97:98], v[97:98], v[125:126], -v[115:116]
	s_waitcnt lgkmcnt(0)
	v_mul_f64 v[101:102], v[89:90], v[121:122]
	v_add_f64 v[105:106], v[105:106], v[109:110]
	v_add_f64 v[2:3], v[2:3], v[107:108]
	v_mul_f64 v[107:108], v[91:92], v[121:122]
	v_fma_f64 v[99:100], v[99:100], v[125:126], v[103:104]
	s_waitcnt vmcnt(4)
	v_fma_f64 v[91:92], v[91:92], v[123:124], v[101:102]
	v_add_f64 v[93:94], v[105:106], v[93:94]
	v_add_f64 v[2:3], v[2:3], v[95:96]
	v_fma_f64 v[89:90], v[89:90], v[123:124], -v[107:108]
	v_add_f64 v[93:94], v[93:94], v[97:98]
	v_add_f64 v[2:3], v[2:3], v[99:100]
	v_add_f64 v[89:90], v[93:94], v[89:90]
	v_add_f64 v[2:3], v[2:3], v[91:92]
	s_waitcnt vmcnt(2)
	v_add_f64 v[89:90], v[127:128], -v[89:90]
	s_waitcnt vmcnt(0)
	v_add_f64 v[2:3], v[129:130], -v[2:3]
	buffer_store_dword v90, off, s[0:3], 0 offset:564
	buffer_store_dword v89, off, s[0:3], 0 offset:560
	;; [unrolled: 1-line block ×4, first 2 shown]
	v_cmpx_lt_u32_e32 33, v0
	s_cbranch_execz .LBB105_199
; %bb.198:
	v_mov_b32_e32 v2, s20
	s_clause 0x3
	buffer_load_dword v89, v2, s[0:3], 0 offen
	buffer_load_dword v90, v2, s[0:3], 0 offen offset:4
	buffer_load_dword v91, v2, s[0:3], 0 offen offset:8
	;; [unrolled: 1-line block ×3, first 2 shown]
	buffer_store_dword v1, off, s[0:3], 0 offset:544
	buffer_store_dword v1, off, s[0:3], 0 offset:548
	;; [unrolled: 1-line block ×4, first 2 shown]
	s_waitcnt vmcnt(0)
	ds_write_b128 v145, v[89:92]
.LBB105_199:
	s_or_b32 exec_lo, exec_lo, s4
	s_waitcnt lgkmcnt(0)
	s_waitcnt_vscnt null, 0x0
	s_barrier
	buffer_gl0_inv
	s_clause 0x23
	buffer_load_dword v2, off, s[0:3], 0 offset:568
	buffer_load_dword v3, off, s[0:3], 0 offset:572
	;; [unrolled: 1-line block ×36, first 2 shown]
	ds_read_b128 v[89:92], v1 offset:1216
	ds_read_b128 v[93:96], v1 offset:1232
	;; [unrolled: 1-line block ×3, first 2 shown]
	s_mov_b32 s4, exec_lo
	s_waitcnt vmcnt(34) lgkmcnt(2)
	v_mul_f64 v[135:136], v[91:92], v[2:3]
	v_mul_f64 v[2:3], v[89:90], v[2:3]
	s_waitcnt vmcnt(32) lgkmcnt(1)
	v_mul_f64 v[137:138], v[95:96], v[101:102]
	v_mul_f64 v[101:102], v[93:94], v[101:102]
	s_waitcnt vmcnt(30)
	v_fma_f64 v[135:136], v[89:90], v[103:104], -v[135:136]
	v_fma_f64 v[2:3], v[91:92], v[103:104], v[2:3]
	ds_read_b128 v[89:92], v1 offset:1264
	s_waitcnt vmcnt(28) lgkmcnt(1)
	v_mul_f64 v[103:104], v[97:98], v[105:106]
	v_mul_f64 v[105:106], v[99:100], v[105:106]
	s_waitcnt vmcnt(26)
	v_fma_f64 v[137:138], v[93:94], v[107:108], -v[137:138]
	v_fma_f64 v[101:102], v[95:96], v[107:108], v[101:102]
	ds_read_b128 v[93:96], v1 offset:1280
	s_waitcnt vmcnt(22) lgkmcnt(1)
	v_mul_f64 v[107:108], v[89:90], v[109:110]
	v_add_f64 v[135:136], v[135:136], 0
	v_add_f64 v[2:3], v[2:3], 0
	v_mul_f64 v[109:110], v[91:92], v[109:110]
	s_waitcnt vmcnt(20)
	v_fma_f64 v[105:106], v[97:98], v[115:116], -v[105:106]
	v_fma_f64 v[103:104], v[99:100], v[115:116], v[103:104]
	ds_read_b128 v[97:100], v1 offset:1296
	s_waitcnt vmcnt(17)
	v_fma_f64 v[107:108], v[91:92], v[117:118], v[107:108]
	v_add_f64 v[135:136], v[135:136], v[137:138]
	v_add_f64 v[2:3], v[2:3], v[101:102]
	s_waitcnt lgkmcnt(1)
	v_mul_f64 v[101:102], v[93:94], v[111:112]
	v_mul_f64 v[111:112], v[95:96], v[111:112]
	v_fma_f64 v[109:110], v[89:90], v[117:118], -v[109:110]
	s_waitcnt vmcnt(13) lgkmcnt(0)
	v_mul_f64 v[115:116], v[99:100], v[119:120]
	ds_read_b128 v[89:92], v1 offset:1312
	v_add_f64 v[105:106], v[135:136], v[105:106]
	v_add_f64 v[2:3], v[2:3], v[103:104]
	v_mul_f64 v[103:104], v[97:98], v[119:120]
	s_waitcnt vmcnt(12)
	v_fma_f64 v[93:94], v[93:94], v[113:114], -v[111:112]
	v_fma_f64 v[95:96], v[95:96], v[113:114], v[101:102]
	s_waitcnt vmcnt(9)
	v_fma_f64 v[97:98], v[97:98], v[125:126], -v[115:116]
	v_add_f64 v[105:106], v[105:106], v[109:110]
	v_add_f64 v[101:102], v[2:3], v[107:108]
	s_waitcnt lgkmcnt(0)
	v_mul_f64 v[109:110], v[91:92], v[121:122]
	ds_read_b128 v[1:4], v1 offset:1328
	v_mul_f64 v[107:108], v[89:90], v[121:122]
	v_fma_f64 v[99:100], v[99:100], v[125:126], v[103:104]
	v_add_f64 v[93:94], v[105:106], v[93:94]
	v_add_f64 v[95:96], v[101:102], v[95:96]
	s_waitcnt vmcnt(7) lgkmcnt(0)
	v_mul_f64 v[103:104], v[3:4], v[127:128]
	s_waitcnt vmcnt(6)
	v_fma_f64 v[89:90], v[89:90], v[123:124], -v[109:110]
	v_mul_f64 v[101:102], v[1:2], v[127:128]
	v_fma_f64 v[91:92], v[91:92], v[123:124], v[107:108]
	v_add_f64 v[93:94], v[93:94], v[97:98]
	v_add_f64 v[95:96], v[95:96], v[99:100]
	s_waitcnt vmcnt(4)
	v_fma_f64 v[1:2], v[1:2], v[129:130], -v[103:104]
	v_fma_f64 v[3:4], v[3:4], v[129:130], v[101:102]
	v_add_f64 v[89:90], v[93:94], v[89:90]
	v_add_f64 v[91:92], v[95:96], v[91:92]
	;; [unrolled: 1-line block ×4, first 2 shown]
	s_waitcnt vmcnt(2)
	v_add_f64 v[1:2], v[131:132], -v[1:2]
	s_waitcnt vmcnt(0)
	v_add_f64 v[3:4], v[133:134], -v[3:4]
	buffer_store_dword v2, off, s[0:3], 0 offset:548
	buffer_store_dword v1, off, s[0:3], 0 offset:544
	;; [unrolled: 1-line block ×4, first 2 shown]
	v_cmpx_lt_u32_e32 32, v0
	s_cbranch_execz .LBB105_201
; %bb.200:
	v_mov_b32_e32 v4, s21
	v_mov_b32_e32 v89, 0
	s_clause 0x3
	buffer_load_dword v1, v4, s[0:3], 0 offen
	buffer_load_dword v2, v4, s[0:3], 0 offen offset:4
	buffer_load_dword v3, v4, s[0:3], 0 offen offset:8
	;; [unrolled: 1-line block ×3, first 2 shown]
	buffer_store_dword v89, off, s[0:3], 0 offset:528
	buffer_store_dword v89, off, s[0:3], 0 offset:532
	;; [unrolled: 1-line block ×4, first 2 shown]
	s_waitcnt vmcnt(0)
	ds_write_b128 v145, v[1:4]
.LBB105_201:
	s_or_b32 exec_lo, exec_lo, s4
	s_waitcnt lgkmcnt(0)
	s_waitcnt_vscnt null, 0x0
	s_barrier
	buffer_gl0_inv
	s_clause 0x27
	buffer_load_dword v2, off, s[0:3], 0 offset:552
	buffer_load_dword v3, off, s[0:3], 0 offset:556
	;; [unrolled: 1-line block ×40, first 2 shown]
	v_mov_b32_e32 v1, 0
	ds_read_b128 v[89:92], v1 offset:1200
	ds_read_b128 v[93:96], v1 offset:1216
	;; [unrolled: 1-line block ×3, first 2 shown]
	s_mov_b32 s4, exec_lo
	s_waitcnt vmcnt(38) lgkmcnt(2)
	v_mul_f64 v[139:140], v[91:92], v[2:3]
	v_mul_f64 v[2:3], v[89:90], v[2:3]
	s_waitcnt vmcnt(36) lgkmcnt(1)
	v_mul_f64 v[141:142], v[95:96], v[101:102]
	v_mul_f64 v[101:102], v[93:94], v[101:102]
	s_waitcnt vmcnt(34)
	v_fma_f64 v[139:140], v[89:90], v[103:104], -v[139:140]
	v_fma_f64 v[2:3], v[91:92], v[103:104], v[2:3]
	ds_read_b128 v[89:92], v1 offset:1248
	s_waitcnt vmcnt(32) lgkmcnt(1)
	v_mul_f64 v[103:104], v[97:98], v[105:106]
	v_mul_f64 v[105:106], v[99:100], v[105:106]
	s_waitcnt vmcnt(30)
	v_fma_f64 v[141:142], v[93:94], v[107:108], -v[141:142]
	v_fma_f64 v[101:102], v[95:96], v[107:108], v[101:102]
	ds_read_b128 v[93:96], v1 offset:1264
	s_waitcnt vmcnt(26) lgkmcnt(1)
	v_mul_f64 v[107:108], v[89:90], v[109:110]
	v_add_f64 v[139:140], v[139:140], 0
	v_add_f64 v[2:3], v[2:3], 0
	v_mul_f64 v[109:110], v[91:92], v[109:110]
	s_waitcnt vmcnt(24)
	v_fma_f64 v[105:106], v[97:98], v[115:116], -v[105:106]
	v_fma_f64 v[103:104], v[99:100], v[115:116], v[103:104]
	ds_read_b128 v[97:100], v1 offset:1280
	s_waitcnt vmcnt(21)
	v_fma_f64 v[107:108], v[91:92], v[117:118], v[107:108]
	v_add_f64 v[139:140], v[139:140], v[141:142]
	v_add_f64 v[2:3], v[2:3], v[101:102]
	s_waitcnt lgkmcnt(1)
	v_mul_f64 v[101:102], v[93:94], v[111:112]
	v_mul_f64 v[111:112], v[95:96], v[111:112]
	v_fma_f64 v[109:110], v[89:90], v[117:118], -v[109:110]
	s_waitcnt vmcnt(17) lgkmcnt(0)
	v_mul_f64 v[115:116], v[99:100], v[119:120]
	ds_read_b128 v[89:92], v1 offset:1296
	v_add_f64 v[105:106], v[139:140], v[105:106]
	v_add_f64 v[2:3], v[2:3], v[103:104]
	v_mul_f64 v[103:104], v[97:98], v[119:120]
	s_waitcnt vmcnt(16)
	v_fma_f64 v[111:112], v[93:94], v[113:114], -v[111:112]
	v_fma_f64 v[101:102], v[95:96], v[113:114], v[101:102]
	ds_read_b128 v[93:96], v1 offset:1312
	s_waitcnt vmcnt(13)
	v_fma_f64 v[113:114], v[97:98], v[125:126], -v[115:116]
	v_add_f64 v[105:106], v[105:106], v[109:110]
	v_add_f64 v[2:3], v[2:3], v[107:108]
	s_waitcnt lgkmcnt(1)
	v_mul_f64 v[109:110], v[91:92], v[121:122]
	v_mul_f64 v[107:108], v[89:90], v[121:122]
	v_fma_f64 v[103:104], v[99:100], v[125:126], v[103:104]
	ds_read_b128 v[97:100], v1 offset:1328
	v_add_f64 v[105:106], v[105:106], v[111:112]
	v_add_f64 v[2:3], v[2:3], v[101:102]
	s_waitcnt vmcnt(9) lgkmcnt(1)
	v_mul_f64 v[111:112], v[95:96], v[127:128]
	s_waitcnt vmcnt(8)
	v_fma_f64 v[89:90], v[89:90], v[123:124], -v[109:110]
	v_mul_f64 v[101:102], v[93:94], v[127:128]
	v_fma_f64 v[91:92], v[91:92], v[123:124], v[107:108]
	s_waitcnt vmcnt(7) lgkmcnt(0)
	v_mul_f64 v[107:108], v[99:100], v[129:130]
	v_add_f64 v[105:106], v[105:106], v[113:114]
	v_add_f64 v[2:3], v[2:3], v[103:104]
	s_waitcnt vmcnt(5)
	v_fma_f64 v[93:94], v[93:94], v[133:134], -v[111:112]
	v_mul_f64 v[103:104], v[97:98], v[129:130]
	v_fma_f64 v[95:96], v[95:96], v[133:134], v[101:102]
	v_add_f64 v[89:90], v[105:106], v[89:90]
	v_add_f64 v[2:3], v[2:3], v[91:92]
	s_waitcnt vmcnt(4)
	v_fma_f64 v[91:92], v[97:98], v[131:132], -v[107:108]
	v_add_f64 v[89:90], v[89:90], v[93:94]
	v_fma_f64 v[93:94], v[99:100], v[131:132], v[103:104]
	v_add_f64 v[2:3], v[2:3], v[95:96]
	v_add_f64 v[89:90], v[89:90], v[91:92]
	;; [unrolled: 1-line block ×3, first 2 shown]
	s_waitcnt vmcnt(2)
	v_add_f64 v[89:90], v[135:136], -v[89:90]
	s_waitcnt vmcnt(0)
	v_add_f64 v[2:3], v[137:138], -v[2:3]
	buffer_store_dword v90, off, s[0:3], 0 offset:532
	buffer_store_dword v89, off, s[0:3], 0 offset:528
	buffer_store_dword v3, off, s[0:3], 0 offset:540
	buffer_store_dword v2, off, s[0:3], 0 offset:536
	v_cmpx_lt_u32_e32 31, v0
	s_cbranch_execz .LBB105_203
; %bb.202:
	v_mov_b32_e32 v2, s22
	s_clause 0x3
	buffer_load_dword v89, v2, s[0:3], 0 offen
	buffer_load_dword v90, v2, s[0:3], 0 offen offset:4
	buffer_load_dword v91, v2, s[0:3], 0 offen offset:8
	;; [unrolled: 1-line block ×3, first 2 shown]
	buffer_store_dword v1, off, s[0:3], 0 offset:512
	buffer_store_dword v1, off, s[0:3], 0 offset:516
	;; [unrolled: 1-line block ×4, first 2 shown]
	s_waitcnt vmcnt(0)
	ds_write_b128 v145, v[89:92]
.LBB105_203:
	s_or_b32 exec_lo, exec_lo, s4
	s_waitcnt lgkmcnt(0)
	s_waitcnt_vscnt null, 0x0
	s_barrier
	buffer_gl0_inv
	s_clause 0x2b
	buffer_load_dword v2, off, s[0:3], 0 offset:536
	buffer_load_dword v3, off, s[0:3], 0 offset:540
	;; [unrolled: 1-line block ×44, first 2 shown]
	ds_read_b128 v[89:92], v1 offset:1184
	ds_read_b128 v[93:96], v1 offset:1200
	;; [unrolled: 1-line block ×3, first 2 shown]
	s_mov_b32 s4, exec_lo
	s_waitcnt vmcnt(42) lgkmcnt(2)
	v_mul_f64 v[143:144], v[91:92], v[2:3]
	v_mul_f64 v[2:3], v[89:90], v[2:3]
	s_waitcnt vmcnt(40) lgkmcnt(1)
	v_mul_f64 v[146:147], v[95:96], v[101:102]
	v_mul_f64 v[101:102], v[93:94], v[101:102]
	s_waitcnt vmcnt(38)
	v_fma_f64 v[143:144], v[89:90], v[103:104], -v[143:144]
	v_fma_f64 v[2:3], v[91:92], v[103:104], v[2:3]
	ds_read_b128 v[89:92], v1 offset:1232
	s_waitcnt vmcnt(36) lgkmcnt(1)
	v_mul_f64 v[103:104], v[97:98], v[105:106]
	v_mul_f64 v[105:106], v[99:100], v[105:106]
	s_waitcnt vmcnt(34)
	v_fma_f64 v[146:147], v[93:94], v[107:108], -v[146:147]
	v_fma_f64 v[101:102], v[95:96], v[107:108], v[101:102]
	ds_read_b128 v[93:96], v1 offset:1248
	s_waitcnt vmcnt(30) lgkmcnt(1)
	v_mul_f64 v[107:108], v[89:90], v[109:110]
	v_add_f64 v[143:144], v[143:144], 0
	v_add_f64 v[2:3], v[2:3], 0
	v_mul_f64 v[109:110], v[91:92], v[109:110]
	s_waitcnt vmcnt(28)
	v_fma_f64 v[105:106], v[97:98], v[115:116], -v[105:106]
	v_fma_f64 v[103:104], v[99:100], v[115:116], v[103:104]
	ds_read_b128 v[97:100], v1 offset:1264
	s_waitcnt vmcnt(25)
	v_fma_f64 v[107:108], v[91:92], v[117:118], v[107:108]
	v_add_f64 v[143:144], v[143:144], v[146:147]
	v_add_f64 v[2:3], v[2:3], v[101:102]
	s_waitcnt lgkmcnt(1)
	v_mul_f64 v[101:102], v[93:94], v[111:112]
	v_mul_f64 v[111:112], v[95:96], v[111:112]
	v_fma_f64 v[109:110], v[89:90], v[117:118], -v[109:110]
	s_waitcnt vmcnt(21) lgkmcnt(0)
	v_mul_f64 v[115:116], v[99:100], v[119:120]
	ds_read_b128 v[89:92], v1 offset:1280
	v_add_f64 v[105:106], v[143:144], v[105:106]
	v_add_f64 v[2:3], v[2:3], v[103:104]
	v_mul_f64 v[103:104], v[97:98], v[119:120]
	s_waitcnt vmcnt(20)
	v_fma_f64 v[111:112], v[93:94], v[113:114], -v[111:112]
	v_fma_f64 v[101:102], v[95:96], v[113:114], v[101:102]
	ds_read_b128 v[93:96], v1 offset:1296
	s_waitcnt vmcnt(17)
	v_fma_f64 v[113:114], v[97:98], v[125:126], -v[115:116]
	v_add_f64 v[105:106], v[105:106], v[109:110]
	v_add_f64 v[2:3], v[2:3], v[107:108]
	s_waitcnt lgkmcnt(1)
	v_mul_f64 v[109:110], v[91:92], v[121:122]
	v_mul_f64 v[107:108], v[89:90], v[121:122]
	v_fma_f64 v[103:104], v[99:100], v[125:126], v[103:104]
	ds_read_b128 v[97:100], v1 offset:1312
	v_add_f64 v[105:106], v[105:106], v[111:112]
	v_add_f64 v[2:3], v[2:3], v[101:102]
	s_waitcnt vmcnt(13) lgkmcnt(1)
	v_mul_f64 v[111:112], v[95:96], v[127:128]
	s_waitcnt vmcnt(12)
	v_fma_f64 v[89:90], v[89:90], v[123:124], -v[109:110]
	v_mul_f64 v[101:102], v[93:94], v[127:128]
	v_fma_f64 v[91:92], v[91:92], v[123:124], v[107:108]
	s_waitcnt vmcnt(11) lgkmcnt(0)
	v_mul_f64 v[109:110], v[99:100], v[129:130]
	v_mul_f64 v[107:108], v[97:98], v[129:130]
	v_add_f64 v[105:106], v[105:106], v[113:114]
	v_add_f64 v[103:104], v[2:3], v[103:104]
	s_waitcnt vmcnt(9)
	v_fma_f64 v[93:94], v[93:94], v[133:134], -v[111:112]
	ds_read_b128 v[1:4], v1 offset:1328
	v_fma_f64 v[95:96], v[95:96], v[133:134], v[101:102]
	s_waitcnt vmcnt(6)
	v_fma_f64 v[97:98], v[97:98], v[131:132], -v[109:110]
	v_add_f64 v[89:90], v[105:106], v[89:90]
	v_add_f64 v[91:92], v[103:104], v[91:92]
	s_waitcnt lgkmcnt(0)
	v_mul_f64 v[103:104], v[3:4], v[135:136]
	v_mul_f64 v[101:102], v[1:2], v[135:136]
	v_add_f64 v[89:90], v[89:90], v[93:94]
	v_fma_f64 v[93:94], v[99:100], v[131:132], v[107:108]
	v_add_f64 v[91:92], v[91:92], v[95:96]
	s_waitcnt vmcnt(4)
	v_fma_f64 v[1:2], v[1:2], v[137:138], -v[103:104]
	v_fma_f64 v[3:4], v[3:4], v[137:138], v[101:102]
	v_add_f64 v[89:90], v[89:90], v[97:98]
	v_add_f64 v[91:92], v[91:92], v[93:94]
	;; [unrolled: 1-line block ×4, first 2 shown]
	s_waitcnt vmcnt(2)
	v_add_f64 v[1:2], v[139:140], -v[1:2]
	s_waitcnt vmcnt(0)
	v_add_f64 v[3:4], v[141:142], -v[3:4]
	buffer_store_dword v2, off, s[0:3], 0 offset:516
	buffer_store_dword v1, off, s[0:3], 0 offset:512
	;; [unrolled: 1-line block ×4, first 2 shown]
	v_cmpx_lt_u32_e32 30, v0
	s_cbranch_execz .LBB105_205
; %bb.204:
	v_mov_b32_e32 v4, s23
	v_mov_b32_e32 v89, 0
	s_clause 0x3
	buffer_load_dword v1, v4, s[0:3], 0 offen
	buffer_load_dword v2, v4, s[0:3], 0 offen offset:4
	buffer_load_dword v3, v4, s[0:3], 0 offen offset:8
	;; [unrolled: 1-line block ×3, first 2 shown]
	buffer_store_dword v89, off, s[0:3], 0 offset:496
	buffer_store_dword v89, off, s[0:3], 0 offset:500
	buffer_store_dword v89, off, s[0:3], 0 offset:504
	buffer_store_dword v89, off, s[0:3], 0 offset:508
	s_waitcnt vmcnt(0)
	ds_write_b128 v145, v[1:4]
.LBB105_205:
	s_or_b32 exec_lo, exec_lo, s4
	s_waitcnt lgkmcnt(0)
	s_waitcnt_vscnt null, 0x0
	s_barrier
	buffer_gl0_inv
	s_clause 0x2f
	buffer_load_dword v2, off, s[0:3], 0 offset:520
	buffer_load_dword v3, off, s[0:3], 0 offset:524
	;; [unrolled: 1-line block ×48, first 2 shown]
	v_mov_b32_e32 v1, 0
	ds_read_b128 v[89:92], v1 offset:1168
	ds_read_b128 v[93:96], v1 offset:1184
	;; [unrolled: 1-line block ×3, first 2 shown]
	s_mov_b32 s4, exec_lo
	s_waitcnt vmcnt(46) lgkmcnt(2)
	v_mul_f64 v[148:149], v[91:92], v[2:3]
	v_mul_f64 v[2:3], v[89:90], v[2:3]
	s_waitcnt vmcnt(44) lgkmcnt(1)
	v_mul_f64 v[150:151], v[95:96], v[101:102]
	v_mul_f64 v[101:102], v[93:94], v[101:102]
	s_waitcnt vmcnt(42)
	v_fma_f64 v[148:149], v[89:90], v[103:104], -v[148:149]
	v_fma_f64 v[2:3], v[91:92], v[103:104], v[2:3]
	ds_read_b128 v[89:92], v1 offset:1216
	s_waitcnt vmcnt(40) lgkmcnt(1)
	v_mul_f64 v[103:104], v[97:98], v[105:106]
	v_mul_f64 v[105:106], v[99:100], v[105:106]
	s_waitcnt vmcnt(38)
	v_fma_f64 v[150:151], v[93:94], v[107:108], -v[150:151]
	v_fma_f64 v[101:102], v[95:96], v[107:108], v[101:102]
	ds_read_b128 v[93:96], v1 offset:1232
	s_waitcnt vmcnt(34) lgkmcnt(1)
	v_mul_f64 v[107:108], v[89:90], v[109:110]
	v_add_f64 v[148:149], v[148:149], 0
	v_add_f64 v[2:3], v[2:3], 0
	v_mul_f64 v[109:110], v[91:92], v[109:110]
	s_waitcnt vmcnt(32)
	v_fma_f64 v[105:106], v[97:98], v[115:116], -v[105:106]
	v_fma_f64 v[103:104], v[99:100], v[115:116], v[103:104]
	ds_read_b128 v[97:100], v1 offset:1248
	s_waitcnt vmcnt(29)
	v_fma_f64 v[107:108], v[91:92], v[117:118], v[107:108]
	v_add_f64 v[148:149], v[148:149], v[150:151]
	v_add_f64 v[2:3], v[2:3], v[101:102]
	s_waitcnt lgkmcnt(1)
	v_mul_f64 v[101:102], v[93:94], v[111:112]
	v_mul_f64 v[111:112], v[95:96], v[111:112]
	v_fma_f64 v[109:110], v[89:90], v[117:118], -v[109:110]
	s_waitcnt vmcnt(25) lgkmcnt(0)
	v_mul_f64 v[115:116], v[99:100], v[119:120]
	ds_read_b128 v[89:92], v1 offset:1264
	v_add_f64 v[105:106], v[148:149], v[105:106]
	v_add_f64 v[2:3], v[2:3], v[103:104]
	v_mul_f64 v[103:104], v[97:98], v[119:120]
	s_waitcnt vmcnt(24)
	v_fma_f64 v[111:112], v[93:94], v[113:114], -v[111:112]
	v_fma_f64 v[101:102], v[95:96], v[113:114], v[101:102]
	ds_read_b128 v[93:96], v1 offset:1280
	s_waitcnt vmcnt(21)
	v_fma_f64 v[113:114], v[97:98], v[125:126], -v[115:116]
	v_add_f64 v[105:106], v[105:106], v[109:110]
	v_add_f64 v[2:3], v[2:3], v[107:108]
	s_waitcnt lgkmcnt(1)
	v_mul_f64 v[109:110], v[91:92], v[121:122]
	v_mul_f64 v[107:108], v[89:90], v[121:122]
	v_fma_f64 v[103:104], v[99:100], v[125:126], v[103:104]
	ds_read_b128 v[97:100], v1 offset:1296
	v_add_f64 v[105:106], v[105:106], v[111:112]
	v_add_f64 v[2:3], v[2:3], v[101:102]
	s_waitcnt vmcnt(17) lgkmcnt(1)
	v_mul_f64 v[111:112], v[95:96], v[127:128]
	s_waitcnt vmcnt(16)
	v_fma_f64 v[109:110], v[89:90], v[123:124], -v[109:110]
	v_mul_f64 v[101:102], v[93:94], v[127:128]
	v_fma_f64 v[107:108], v[91:92], v[123:124], v[107:108]
	ds_read_b128 v[89:92], v1 offset:1312
	v_add_f64 v[105:106], v[105:106], v[113:114]
	v_add_f64 v[2:3], v[2:3], v[103:104]
	s_waitcnt vmcnt(15) lgkmcnt(1)
	v_mul_f64 v[113:114], v[99:100], v[129:130]
	s_waitcnt vmcnt(13)
	v_fma_f64 v[111:112], v[93:94], v[133:134], -v[111:112]
	;; [unrolled: 9-line block ×3, first 2 shown]
	v_mul_f64 v[107:108], v[89:90], v[135:136]
	v_fma_f64 v[99:100], v[99:100], v[131:132], v[103:104]
	s_waitcnt vmcnt(7) lgkmcnt(0)
	v_mul_f64 v[103:104], v[95:96], v[137:138]
	v_add_f64 v[105:106], v[105:106], v[111:112]
	v_add_f64 v[2:3], v[2:3], v[101:102]
	s_waitcnt vmcnt(5)
	v_fma_f64 v[89:90], v[89:90], v[141:142], -v[109:110]
	v_mul_f64 v[101:102], v[93:94], v[137:138]
	v_fma_f64 v[91:92], v[91:92], v[141:142], v[107:108]
	s_waitcnt vmcnt(4)
	v_fma_f64 v[93:94], v[93:94], v[139:140], -v[103:104]
	v_add_f64 v[97:98], v[105:106], v[97:98]
	v_add_f64 v[2:3], v[2:3], v[99:100]
	v_fma_f64 v[95:96], v[95:96], v[139:140], v[101:102]
	v_add_f64 v[89:90], v[97:98], v[89:90]
	v_add_f64 v[2:3], v[2:3], v[91:92]
	;; [unrolled: 1-line block ×4, first 2 shown]
	s_waitcnt vmcnt(2)
	v_add_f64 v[89:90], v[143:144], -v[89:90]
	s_waitcnt vmcnt(0)
	v_add_f64 v[2:3], v[146:147], -v[2:3]
	buffer_store_dword v90, off, s[0:3], 0 offset:500
	buffer_store_dword v89, off, s[0:3], 0 offset:496
	;; [unrolled: 1-line block ×4, first 2 shown]
	v_cmpx_lt_u32_e32 29, v0
	s_cbranch_execz .LBB105_207
; %bb.206:
	v_mov_b32_e32 v2, s24
	s_clause 0x3
	buffer_load_dword v89, v2, s[0:3], 0 offen
	buffer_load_dword v90, v2, s[0:3], 0 offen offset:4
	buffer_load_dword v91, v2, s[0:3], 0 offen offset:8
	;; [unrolled: 1-line block ×3, first 2 shown]
	buffer_store_dword v1, off, s[0:3], 0 offset:480
	buffer_store_dword v1, off, s[0:3], 0 offset:484
	buffer_store_dword v1, off, s[0:3], 0 offset:488
	buffer_store_dword v1, off, s[0:3], 0 offset:492
	s_waitcnt vmcnt(0)
	ds_write_b128 v145, v[89:92]
.LBB105_207:
	s_or_b32 exec_lo, exec_lo, s4
	s_waitcnt lgkmcnt(0)
	s_waitcnt_vscnt null, 0x0
	s_barrier
	buffer_gl0_inv
	s_clause 0x2f
	buffer_load_dword v2, off, s[0:3], 0 offset:504
	buffer_load_dword v3, off, s[0:3], 0 offset:508
	buffer_load_dword v101, off, s[0:3], 0 offset:520
	buffer_load_dword v102, off, s[0:3], 0 offset:524
	buffer_load_dword v103, off, s[0:3], 0 offset:496
	buffer_load_dword v104, off, s[0:3], 0 offset:500
	buffer_load_dword v105, off, s[0:3], 0 offset:536
	buffer_load_dword v106, off, s[0:3], 0 offset:540
	buffer_load_dword v107, off, s[0:3], 0 offset:512
	buffer_load_dword v108, off, s[0:3], 0 offset:516
	buffer_load_dword v110, off, s[0:3], 0 offset:556
	buffer_load_dword v111, off, s[0:3], 0 offset:568
	buffer_load_dword v113, off, s[0:3], 0 offset:560
	buffer_load_dword v109, off, s[0:3], 0 offset:552
	buffer_load_dword v115, off, s[0:3], 0 offset:528
	buffer_load_dword v116, off, s[0:3], 0 offset:532
	buffer_load_dword v112, off, s[0:3], 0 offset:572
	buffer_load_dword v118, off, s[0:3], 0 offset:548
	buffer_load_dword v117, off, s[0:3], 0 offset:544
	buffer_load_dword v120, off, s[0:3], 0 offset:588
	buffer_load_dword v121, off, s[0:3], 0 offset:600
	buffer_load_dword v123, off, s[0:3], 0 offset:592
	buffer_load_dword v119, off, s[0:3], 0 offset:584
	buffer_load_dword v114, off, s[0:3], 0 offset:564
	buffer_load_dword v122, off, s[0:3], 0 offset:604
	buffer_load_dword v126, off, s[0:3], 0 offset:580
	buffer_load_dword v125, off, s[0:3], 0 offset:576
	buffer_load_dword v128, off, s[0:3], 0 offset:620
	buffer_load_dword v129, off, s[0:3], 0 offset:632
	buffer_load_dword v131, off, s[0:3], 0 offset:624
	buffer_load_dword v127, off, s[0:3], 0 offset:616
	buffer_load_dword v124, off, s[0:3], 0 offset:596
	buffer_load_dword v130, off, s[0:3], 0 offset:636
	buffer_load_dword v134, off, s[0:3], 0 offset:612
	buffer_load_dword v133, off, s[0:3], 0 offset:608
	buffer_load_dword v136, off, s[0:3], 0 offset:652
	buffer_load_dword v137, off, s[0:3], 0 offset:664
	buffer_load_dword v139, off, s[0:3], 0 offset:656
	buffer_load_dword v135, off, s[0:3], 0 offset:648
	buffer_load_dword v132, off, s[0:3], 0 offset:628
	buffer_load_dword v138, off, s[0:3], 0 offset:668
	buffer_load_dword v142, off, s[0:3], 0 offset:644
	buffer_load_dword v141, off, s[0:3], 0 offset:640
	buffer_load_dword v144, off, s[0:3], 0 offset:684
	buffer_load_dword v143, off, s[0:3], 0 offset:680
	buffer_load_dword v140, off, s[0:3], 0 offset:660
	buffer_load_dword v147, off, s[0:3], 0 offset:676
	buffer_load_dword v146, off, s[0:3], 0 offset:672
	ds_read_b128 v[89:92], v1 offset:1152
	s_clause 0x3
	buffer_load_dword v148, off, s[0:3], 0 offset:480
	buffer_load_dword v149, off, s[0:3], 0 offset:484
	;; [unrolled: 1-line block ×4, first 2 shown]
	ds_read_b128 v[93:96], v1 offset:1168
	ds_read_b128 v[97:100], v1 offset:1184
	s_mov_b32 s4, exec_lo
	s_waitcnt vmcnt(50) lgkmcnt(2)
	v_mul_f64 v[152:153], v[91:92], v[2:3]
	v_mul_f64 v[2:3], v[89:90], v[2:3]
	s_waitcnt vmcnt(48) lgkmcnt(1)
	v_mul_f64 v[154:155], v[95:96], v[101:102]
	v_mul_f64 v[101:102], v[93:94], v[101:102]
	s_waitcnt vmcnt(46)
	v_fma_f64 v[152:153], v[89:90], v[103:104], -v[152:153]
	v_fma_f64 v[2:3], v[91:92], v[103:104], v[2:3]
	s_waitcnt vmcnt(44) lgkmcnt(0)
	v_mul_f64 v[103:104], v[97:98], v[105:106]
	v_mul_f64 v[105:106], v[99:100], v[105:106]
	s_waitcnt vmcnt(42)
	v_fma_f64 v[154:155], v[93:94], v[107:108], -v[154:155]
	ds_read_b128 v[89:92], v1 offset:1200
	v_fma_f64 v[101:102], v[95:96], v[107:108], v[101:102]
	ds_read_b128 v[93:96], v1 offset:1216
	v_add_f64 v[152:153], v[152:153], 0
	v_add_f64 v[2:3], v[2:3], 0
	s_waitcnt vmcnt(36)
	v_fma_f64 v[103:104], v[99:100], v[115:116], v[103:104]
	s_waitcnt lgkmcnt(1)
	v_mul_f64 v[107:108], v[89:90], v[109:110]
	v_mul_f64 v[109:110], v[91:92], v[109:110]
	v_fma_f64 v[105:106], v[97:98], v[115:116], -v[105:106]
	ds_read_b128 v[97:100], v1 offset:1232
	v_add_f64 v[152:153], v[152:153], v[154:155]
	v_add_f64 v[2:3], v[2:3], v[101:102]
	s_waitcnt vmcnt(35) lgkmcnt(1)
	v_mul_f64 v[101:102], v[93:94], v[111:112]
	v_mul_f64 v[111:112], v[95:96], v[111:112]
	s_waitcnt vmcnt(33)
	v_fma_f64 v[109:110], v[89:90], v[117:118], -v[109:110]
	v_fma_f64 v[107:108], v[91:92], v[117:118], v[107:108]
	ds_read_b128 v[89:92], v1 offset:1248
	s_waitcnt vmcnt(29) lgkmcnt(1)
	v_mul_f64 v[115:116], v[99:100], v[119:120]
	v_add_f64 v[105:106], v[152:153], v[105:106]
	v_add_f64 v[2:3], v[2:3], v[103:104]
	v_mul_f64 v[103:104], v[97:98], v[119:120]
	s_waitcnt vmcnt(28)
	v_fma_f64 v[111:112], v[93:94], v[113:114], -v[111:112]
	v_fma_f64 v[101:102], v[95:96], v[113:114], v[101:102]
	ds_read_b128 v[93:96], v1 offset:1264
	s_waitcnt vmcnt(25)
	v_fma_f64 v[113:114], v[97:98], v[125:126], -v[115:116]
	v_add_f64 v[105:106], v[105:106], v[109:110]
	v_add_f64 v[2:3], v[2:3], v[107:108]
	s_waitcnt lgkmcnt(1)
	v_mul_f64 v[109:110], v[91:92], v[121:122]
	v_mul_f64 v[107:108], v[89:90], v[121:122]
	v_fma_f64 v[103:104], v[99:100], v[125:126], v[103:104]
	ds_read_b128 v[97:100], v1 offset:1280
	v_add_f64 v[105:106], v[105:106], v[111:112]
	v_add_f64 v[2:3], v[2:3], v[101:102]
	s_waitcnt vmcnt(21) lgkmcnt(1)
	v_mul_f64 v[111:112], v[95:96], v[127:128]
	s_waitcnt vmcnt(20)
	v_fma_f64 v[109:110], v[89:90], v[123:124], -v[109:110]
	v_mul_f64 v[101:102], v[93:94], v[127:128]
	v_fma_f64 v[107:108], v[91:92], v[123:124], v[107:108]
	ds_read_b128 v[89:92], v1 offset:1296
	v_add_f64 v[105:106], v[105:106], v[113:114]
	v_add_f64 v[2:3], v[2:3], v[103:104]
	s_waitcnt vmcnt(19) lgkmcnt(1)
	v_mul_f64 v[113:114], v[99:100], v[129:130]
	s_waitcnt vmcnt(17)
	v_fma_f64 v[111:112], v[93:94], v[133:134], -v[111:112]
	;; [unrolled: 9-line block ×3, first 2 shown]
	v_mul_f64 v[107:108], v[89:90], v[135:136]
	v_fma_f64 v[99:100], v[99:100], v[131:132], v[103:104]
	s_waitcnt vmcnt(11) lgkmcnt(0)
	v_mul_f64 v[103:104], v[93:94], v[137:138]
	v_add_f64 v[105:106], v[105:106], v[111:112]
	v_add_f64 v[101:102], v[2:3], v[101:102]
	v_mul_f64 v[111:112], v[95:96], v[137:138]
	s_waitcnt vmcnt(9)
	v_fma_f64 v[89:90], v[89:90], v[141:142], -v[109:110]
	ds_read_b128 v[1:4], v1 offset:1328
	v_fma_f64 v[91:92], v[91:92], v[141:142], v[107:108]
	s_waitcnt vmcnt(6)
	v_fma_f64 v[95:96], v[95:96], v[139:140], v[103:104]
	v_add_f64 v[97:98], v[105:106], v[97:98]
	v_add_f64 v[99:100], v[101:102], v[99:100]
	s_waitcnt lgkmcnt(0)
	v_mul_f64 v[105:106], v[3:4], v[143:144]
	v_fma_f64 v[93:94], v[93:94], v[139:140], -v[111:112]
	v_mul_f64 v[101:102], v[1:2], v[143:144]
	v_add_f64 v[89:90], v[97:98], v[89:90]
	v_add_f64 v[91:92], v[99:100], v[91:92]
	s_waitcnt vmcnt(4)
	v_fma_f64 v[1:2], v[1:2], v[146:147], -v[105:106]
	v_fma_f64 v[3:4], v[3:4], v[146:147], v[101:102]
	v_add_f64 v[89:90], v[89:90], v[93:94]
	v_add_f64 v[91:92], v[91:92], v[95:96]
	;; [unrolled: 1-line block ×4, first 2 shown]
	s_waitcnt vmcnt(2)
	v_add_f64 v[1:2], v[148:149], -v[1:2]
	s_waitcnt vmcnt(0)
	v_add_f64 v[3:4], v[150:151], -v[3:4]
	buffer_store_dword v2, off, s[0:3], 0 offset:484
	buffer_store_dword v1, off, s[0:3], 0 offset:480
	;; [unrolled: 1-line block ×4, first 2 shown]
	v_cmpx_lt_u32_e32 28, v0
	s_cbranch_execz .LBB105_209
; %bb.208:
	v_mov_b32_e32 v4, s25
	v_mov_b32_e32 v89, 0
	s_clause 0x3
	buffer_load_dword v1, v4, s[0:3], 0 offen
	buffer_load_dword v2, v4, s[0:3], 0 offen offset:4
	buffer_load_dword v3, v4, s[0:3], 0 offen offset:8
	;; [unrolled: 1-line block ×3, first 2 shown]
	buffer_store_dword v89, off, s[0:3], 0 offset:464
	buffer_store_dword v89, off, s[0:3], 0 offset:468
	;; [unrolled: 1-line block ×4, first 2 shown]
	s_waitcnt vmcnt(0)
	ds_write_b128 v145, v[1:4]
.LBB105_209:
	s_or_b32 exec_lo, exec_lo, s4
	s_waitcnt lgkmcnt(0)
	s_waitcnt_vscnt null, 0x0
	s_barrier
	buffer_gl0_inv
	s_clause 0x33
	buffer_load_dword v2, off, s[0:3], 0 offset:488
	buffer_load_dword v3, off, s[0:3], 0 offset:492
	;; [unrolled: 1-line block ×52, first 2 shown]
	v_mov_b32_e32 v1, 0
	s_mov_b32 s4, exec_lo
	ds_read_b128 v[89:92], v1 offset:1136
	ds_read_b128 v[93:96], v1 offset:1152
	s_clause 0x3
	buffer_load_dword v154, off, s[0:3], 0 offset:464
	buffer_load_dword v155, off, s[0:3], 0 offset:468
	;; [unrolled: 1-line block ×4, first 2 shown]
	ds_read_b128 v[97:100], v1 offset:1168
	s_waitcnt vmcnt(54) lgkmcnt(2)
	v_mul_f64 v[152:153], v[91:92], v[2:3]
	v_mul_f64 v[2:3], v[89:90], v[2:3]
	s_waitcnt vmcnt(52) lgkmcnt(1)
	v_mul_f64 v[158:159], v[95:96], v[101:102]
	v_mul_f64 v[101:102], v[93:94], v[101:102]
	s_waitcnt vmcnt(50)
	v_fma_f64 v[152:153], v[89:90], v[103:104], -v[152:153]
	v_fma_f64 v[2:3], v[91:92], v[103:104], v[2:3]
	ds_read_b128 v[89:92], v1 offset:1184
	s_waitcnt vmcnt(48) lgkmcnt(1)
	v_mul_f64 v[103:104], v[97:98], v[105:106]
	v_mul_f64 v[105:106], v[99:100], v[105:106]
	s_waitcnt vmcnt(46)
	v_fma_f64 v[158:159], v[93:94], v[107:108], -v[158:159]
	v_fma_f64 v[101:102], v[95:96], v[107:108], v[101:102]
	ds_read_b128 v[93:96], v1 offset:1200
	s_waitcnt vmcnt(44) lgkmcnt(1)
	v_mul_f64 v[107:108], v[89:90], v[109:110]
	v_add_f64 v[152:153], v[152:153], 0
	v_add_f64 v[2:3], v[2:3], 0
	v_mul_f64 v[109:110], v[91:92], v[109:110]
	s_waitcnt vmcnt(42)
	v_fma_f64 v[105:106], v[97:98], v[111:112], -v[105:106]
	v_fma_f64 v[103:104], v[99:100], v[111:112], v[103:104]
	ds_read_b128 v[97:100], v1 offset:1216
	s_waitcnt vmcnt(40) lgkmcnt(1)
	v_mul_f64 v[111:112], v[95:96], v[113:114]
	s_waitcnt vmcnt(38)
	v_fma_f64 v[107:108], v[91:92], v[115:116], v[107:108]
	v_add_f64 v[152:153], v[152:153], v[158:159]
	v_add_f64 v[2:3], v[2:3], v[101:102]
	v_fma_f64 v[109:110], v[89:90], v[115:116], -v[109:110]
	v_mul_f64 v[101:102], v[93:94], v[113:114]
	s_waitcnt vmcnt(36) lgkmcnt(0)
	v_mul_f64 v[113:114], v[99:100], v[117:118]
	ds_read_b128 v[89:92], v1 offset:1232
	s_waitcnt vmcnt(34)
	v_fma_f64 v[111:112], v[93:94], v[119:120], -v[111:112]
	v_add_f64 v[105:106], v[152:153], v[105:106]
	v_add_f64 v[2:3], v[2:3], v[103:104]
	v_mul_f64 v[103:104], v[97:98], v[117:118]
	v_fma_f64 v[101:102], v[95:96], v[119:120], v[101:102]
	ds_read_b128 v[93:96], v1 offset:1248
	s_waitcnt vmcnt(30)
	v_fma_f64 v[113:114], v[97:98], v[123:124], -v[113:114]
	v_add_f64 v[105:106], v[105:106], v[109:110]
	v_add_f64 v[2:3], v[2:3], v[107:108]
	s_waitcnt lgkmcnt(1)
	v_mul_f64 v[109:110], v[91:92], v[121:122]
	v_mul_f64 v[107:108], v[89:90], v[121:122]
	v_fma_f64 v[103:104], v[99:100], v[123:124], v[103:104]
	ds_read_b128 v[97:100], v1 offset:1264
	v_add_f64 v[105:106], v[105:106], v[111:112]
	v_add_f64 v[2:3], v[2:3], v[101:102]
	s_waitcnt vmcnt(28) lgkmcnt(1)
	v_mul_f64 v[111:112], v[95:96], v[125:126]
	s_waitcnt vmcnt(26)
	v_fma_f64 v[109:110], v[89:90], v[127:128], -v[109:110]
	v_mul_f64 v[101:102], v[93:94], v[125:126]
	v_fma_f64 v[107:108], v[91:92], v[127:128], v[107:108]
	ds_read_b128 v[89:92], v1 offset:1280
	v_add_f64 v[105:106], v[105:106], v[113:114]
	v_add_f64 v[2:3], v[2:3], v[103:104]
	s_waitcnt vmcnt(24) lgkmcnt(1)
	v_mul_f64 v[113:114], v[99:100], v[129:130]
	s_waitcnt vmcnt(22)
	v_fma_f64 v[111:112], v[93:94], v[131:132], -v[111:112]
	;; [unrolled: 9-line block ×5, first 2 shown]
	v_mul_f64 v[103:104], v[97:98], v[141:142]
	v_fma_f64 v[95:96], v[95:96], v[143:144], v[101:102]
	s_waitcnt vmcnt(8) lgkmcnt(0)
	v_mul_f64 v[101:102], v[89:90], v[146:147]
	v_add_f64 v[105:106], v[105:106], v[109:110]
	v_add_f64 v[2:3], v[2:3], v[107:108]
	v_mul_f64 v[107:108], v[91:92], v[146:147]
	s_waitcnt vmcnt(6)
	v_fma_f64 v[97:98], v[97:98], v[148:149], -v[113:114]
	v_fma_f64 v[99:100], v[99:100], v[148:149], v[103:104]
	s_waitcnt vmcnt(4)
	v_fma_f64 v[91:92], v[91:92], v[150:151], v[101:102]
	v_add_f64 v[93:94], v[105:106], v[93:94]
	v_add_f64 v[2:3], v[2:3], v[95:96]
	v_fma_f64 v[89:90], v[89:90], v[150:151], -v[107:108]
	v_add_f64 v[93:94], v[93:94], v[97:98]
	v_add_f64 v[2:3], v[2:3], v[99:100]
	;; [unrolled: 1-line block ×4, first 2 shown]
	s_waitcnt vmcnt(2)
	v_add_f64 v[89:90], v[154:155], -v[89:90]
	s_waitcnt vmcnt(0)
	v_add_f64 v[2:3], v[156:157], -v[2:3]
	buffer_store_dword v90, off, s[0:3], 0 offset:468
	buffer_store_dword v89, off, s[0:3], 0 offset:464
	;; [unrolled: 1-line block ×4, first 2 shown]
	v_cmpx_lt_u32_e32 27, v0
	s_cbranch_execz .LBB105_211
; %bb.210:
	v_mov_b32_e32 v2, s26
	s_clause 0x3
	buffer_load_dword v89, v2, s[0:3], 0 offen
	buffer_load_dword v90, v2, s[0:3], 0 offen offset:4
	buffer_load_dword v91, v2, s[0:3], 0 offen offset:8
	buffer_load_dword v92, v2, s[0:3], 0 offen offset:12
	buffer_store_dword v1, off, s[0:3], 0 offset:448
	buffer_store_dword v1, off, s[0:3], 0 offset:452
	;; [unrolled: 1-line block ×4, first 2 shown]
	s_waitcnt vmcnt(0)
	ds_write_b128 v145, v[89:92]
.LBB105_211:
	s_or_b32 exec_lo, exec_lo, s4
	s_waitcnt lgkmcnt(0)
	s_waitcnt_vscnt null, 0x0
	s_barrier
	buffer_gl0_inv
	s_clause 0x35
	buffer_load_dword v2, off, s[0:3], 0 offset:472
	buffer_load_dword v3, off, s[0:3], 0 offset:476
	;; [unrolled: 1-line block ×54, first 2 shown]
	ds_read_b128 v[89:92], v1 offset:1120
	s_clause 0x1
	buffer_load_dword v155, off, s[0:3], 0 offset:676
	buffer_load_dword v154, off, s[0:3], 0 offset:672
	ds_read_b128 v[93:96], v1 offset:1136
	ds_read_b128 v[97:100], v1 offset:1152
	s_mov_b32 s4, exec_lo
	s_waitcnt vmcnt(54) lgkmcnt(2)
	v_mul_f64 v[156:157], v[91:92], v[2:3]
	v_mul_f64 v[2:3], v[89:90], v[2:3]
	s_waitcnt vmcnt(52) lgkmcnt(1)
	v_mul_f64 v[158:159], v[95:96], v[101:102]
	v_mul_f64 v[101:102], v[93:94], v[101:102]
	;; [unrolled: 3-line block ×3, first 2 shown]
	v_fma_f64 v[156:157], v[89:90], v[103:104], -v[156:157]
	v_fma_f64 v[2:3], v[91:92], v[103:104], v[2:3]
	s_clause 0x3
	buffer_load_dword v103, off, s[0:3], 0 offset:448
	buffer_load_dword v104, off, s[0:3], 0 offset:452
	;; [unrolled: 1-line block ×4, first 2 shown]
	s_waitcnt vmcnt(50)
	v_fma_f64 v[158:159], v[93:94], v[107:108], -v[158:159]
	ds_read_b128 v[89:92], v1 offset:1168
	v_fma_f64 v[101:102], v[95:96], v[107:108], v[101:102]
	ds_read_b128 v[93:96], v1 offset:1184
	s_waitcnt vmcnt(44)
	v_fma_f64 v[105:106], v[97:98], v[115:116], -v[105:106]
	v_fma_f64 v[115:116], v[99:100], v[115:116], v[162:163]
	ds_read_b128 v[97:100], v1 offset:1200
	v_add_f64 v[156:157], v[156:157], 0
	v_add_f64 v[2:3], v[2:3], 0
	s_waitcnt lgkmcnt(2)
	v_mul_f64 v[107:108], v[89:90], v[109:110]
	v_mul_f64 v[109:110], v[91:92], v[109:110]
	v_add_f64 v[156:157], v[156:157], v[158:159]
	v_add_f64 v[2:3], v[2:3], v[101:102]
	s_waitcnt vmcnt(43) lgkmcnt(1)
	v_mul_f64 v[101:102], v[93:94], v[111:112]
	v_mul_f64 v[111:112], v[95:96], v[111:112]
	s_waitcnt vmcnt(41)
	v_fma_f64 v[109:110], v[89:90], v[117:118], -v[109:110]
	v_fma_f64 v[107:108], v[91:92], v[117:118], v[107:108]
	ds_read_b128 v[89:92], v1 offset:1216
	s_waitcnt vmcnt(37) lgkmcnt(1)
	v_mul_f64 v[117:118], v[99:100], v[119:120]
	v_add_f64 v[105:106], v[156:157], v[105:106]
	v_add_f64 v[2:3], v[2:3], v[115:116]
	v_mul_f64 v[115:116], v[97:98], v[119:120]
	s_waitcnt vmcnt(36)
	v_fma_f64 v[111:112], v[93:94], v[113:114], -v[111:112]
	v_fma_f64 v[101:102], v[95:96], v[113:114], v[101:102]
	ds_read_b128 v[93:96], v1 offset:1232
	s_waitcnt vmcnt(33)
	v_fma_f64 v[113:114], v[97:98], v[125:126], -v[117:118]
	v_add_f64 v[105:106], v[105:106], v[109:110]
	v_add_f64 v[2:3], v[2:3], v[107:108]
	s_waitcnt lgkmcnt(1)
	v_mul_f64 v[109:110], v[91:92], v[121:122]
	v_mul_f64 v[107:108], v[89:90], v[121:122]
	v_add_f64 v[105:106], v[105:106], v[111:112]
	v_fma_f64 v[111:112], v[99:100], v[125:126], v[115:116]
	v_add_f64 v[2:3], v[2:3], v[101:102]
	ds_read_b128 v[97:100], v1 offset:1248
	s_waitcnt vmcnt(29) lgkmcnt(1)
	v_mul_f64 v[115:116], v[95:96], v[127:128]
	s_waitcnt vmcnt(28)
	v_fma_f64 v[109:110], v[89:90], v[123:124], -v[109:110]
	v_mul_f64 v[101:102], v[93:94], v[127:128]
	v_fma_f64 v[107:108], v[91:92], v[123:124], v[107:108]
	ds_read_b128 v[89:92], v1 offset:1264
	v_add_f64 v[105:106], v[105:106], v[113:114]
	s_waitcnt vmcnt(27) lgkmcnt(1)
	v_mul_f64 v[113:114], v[99:100], v[129:130]
	v_add_f64 v[2:3], v[2:3], v[111:112]
	v_mul_f64 v[111:112], v[97:98], v[129:130]
	s_waitcnt vmcnt(25)
	v_fma_f64 v[115:116], v[93:94], v[133:134], -v[115:116]
	v_fma_f64 v[101:102], v[95:96], v[133:134], v[101:102]
	ds_read_b128 v[93:96], v1 offset:1280
	v_add_f64 v[105:106], v[105:106], v[109:110]
	s_waitcnt vmcnt(21) lgkmcnt(1)
	v_mul_f64 v[109:110], v[91:92], v[135:136]
	v_add_f64 v[2:3], v[2:3], v[107:108]
	s_waitcnt vmcnt(20)
	v_fma_f64 v[113:114], v[97:98], v[131:132], -v[113:114]
	v_mul_f64 v[107:108], v[89:90], v[135:136]
	v_fma_f64 v[111:112], v[99:100], v[131:132], v[111:112]
	ds_read_b128 v[97:100], v1 offset:1296
	v_add_f64 v[105:106], v[105:106], v[115:116]
	s_waitcnt vmcnt(19) lgkmcnt(1)
	v_mul_f64 v[115:116], v[95:96], v[137:138]
	v_add_f64 v[2:3], v[2:3], v[101:102]
	s_waitcnt vmcnt(17)
	v_fma_f64 v[109:110], v[89:90], v[141:142], -v[109:110]
	v_mul_f64 v[101:102], v[93:94], v[137:138]
	v_fma_f64 v[107:108], v[91:92], v[141:142], v[107:108]
	ds_read_b128 v[89:92], v1 offset:1312
	v_add_f64 v[105:106], v[105:106], v[113:114]
	s_waitcnt vmcnt(13) lgkmcnt(1)
	v_mul_f64 v[113:114], v[99:100], v[143:144]
	v_add_f64 v[2:3], v[2:3], v[111:112]
	s_waitcnt vmcnt(12)
	v_fma_f64 v[93:94], v[93:94], v[139:140], -v[115:116]
	v_mul_f64 v[111:112], v[97:98], v[143:144]
	v_fma_f64 v[95:96], v[95:96], v[139:140], v[101:102]
	v_add_f64 v[105:106], v[105:106], v[109:110]
	s_waitcnt vmcnt(11) lgkmcnt(0)
	v_mul_f64 v[109:110], v[91:92], v[146:147]
	v_add_f64 v[101:102], v[2:3], v[107:108]
	s_waitcnt vmcnt(9)
	v_fma_f64 v[97:98], v[97:98], v[150:151], -v[113:114]
	ds_read_b128 v[1:4], v1 offset:1328
	v_mul_f64 v[107:108], v[89:90], v[146:147]
	v_fma_f64 v[99:100], v[99:100], v[150:151], v[111:112]
	v_add_f64 v[93:94], v[105:106], v[93:94]
	s_waitcnt vmcnt(6)
	v_fma_f64 v[89:90], v[89:90], v[148:149], -v[109:110]
	v_add_f64 v[95:96], v[101:102], v[95:96]
	s_waitcnt lgkmcnt(0)
	v_mul_f64 v[105:106], v[3:4], v[152:153]
	v_mul_f64 v[101:102], v[1:2], v[152:153]
	v_fma_f64 v[91:92], v[91:92], v[148:149], v[107:108]
	v_add_f64 v[93:94], v[93:94], v[97:98]
	v_add_f64 v[95:96], v[95:96], v[99:100]
	s_waitcnt vmcnt(4)
	v_fma_f64 v[1:2], v[1:2], v[154:155], -v[105:106]
	v_fma_f64 v[3:4], v[3:4], v[154:155], v[101:102]
	v_add_f64 v[89:90], v[93:94], v[89:90]
	v_add_f64 v[91:92], v[95:96], v[91:92]
	;; [unrolled: 1-line block ×4, first 2 shown]
	s_waitcnt vmcnt(2)
	v_add_f64 v[1:2], v[103:104], -v[1:2]
	s_waitcnt vmcnt(0)
	v_add_f64 v[3:4], v[160:161], -v[3:4]
	buffer_store_dword v2, off, s[0:3], 0 offset:452
	buffer_store_dword v1, off, s[0:3], 0 offset:448
	;; [unrolled: 1-line block ×4, first 2 shown]
	v_cmpx_lt_u32_e32 26, v0
	s_cbranch_execz .LBB105_213
; %bb.212:
	v_mov_b32_e32 v4, s27
	v_mov_b32_e32 v89, 0
	s_clause 0x3
	buffer_load_dword v1, v4, s[0:3], 0 offen
	buffer_load_dword v2, v4, s[0:3], 0 offen offset:4
	buffer_load_dword v3, v4, s[0:3], 0 offen offset:8
	;; [unrolled: 1-line block ×3, first 2 shown]
	buffer_store_dword v89, off, s[0:3], 0 offset:432
	buffer_store_dword v89, off, s[0:3], 0 offset:436
	;; [unrolled: 1-line block ×4, first 2 shown]
	s_waitcnt vmcnt(0)
	ds_write_b128 v145, v[1:4]
.LBB105_213:
	s_or_b32 exec_lo, exec_lo, s4
	s_waitcnt lgkmcnt(0)
	s_waitcnt_vscnt null, 0x0
	s_barrier
	buffer_gl0_inv
	s_clause 0x37
	buffer_load_dword v2, off, s[0:3], 0 offset:456
	buffer_load_dword v3, off, s[0:3], 0 offset:460
	;; [unrolled: 1-line block ×56, first 2 shown]
	v_mov_b32_e32 v1, 0
	s_mov_b32 s4, exec_lo
	ds_read_b128 v[89:92], v1 offset:1104
	s_clause 0x2
	buffer_load_dword v155, off, s[0:3], 0 offset:684
	buffer_load_dword v159, off, s[0:3], 0 offset:660
	buffer_load_dword v158, off, s[0:3], 0 offset:656
	ds_read_b128 v[93:96], v1 offset:1120
	ds_read_b128 v[97:100], v1 offset:1136
	buffer_load_dword v157, off, s[0:3], 0 offset:676
	s_waitcnt vmcnt(58) lgkmcnt(2)
	v_mul_f64 v[160:161], v[91:92], v[2:3]
	v_mul_f64 v[2:3], v[89:90], v[2:3]
	s_waitcnt vmcnt(56) lgkmcnt(1)
	v_mul_f64 v[162:163], v[95:96], v[101:102]
	v_mul_f64 v[101:102], v[93:94], v[101:102]
	s_waitcnt vmcnt(54)
	v_fma_f64 v[160:161], v[89:90], v[103:104], -v[160:161]
	v_fma_f64 v[2:3], v[91:92], v[103:104], v[2:3]
	s_waitcnt vmcnt(52) lgkmcnt(0)
	v_mul_f64 v[103:104], v[97:98], v[105:106]
	v_mul_f64 v[105:106], v[99:100], v[105:106]
	s_waitcnt vmcnt(50)
	v_fma_f64 v[162:163], v[93:94], v[107:108], -v[162:163]
	ds_read_b128 v[89:92], v1 offset:1152
	v_fma_f64 v[101:102], v[95:96], v[107:108], v[101:102]
	s_clause 0x3
	buffer_load_dword v107, off, s[0:3], 0 offset:432
	buffer_load_dword v108, off, s[0:3], 0 offset:436
	;; [unrolled: 1-line block ×4, first 2 shown]
	ds_read_b128 v[93:96], v1 offset:1168
	v_add_f64 v[160:161], v[160:161], 0
	v_add_f64 v[2:3], v[2:3], 0
	s_waitcnt vmcnt(48)
	v_fma_f64 v[103:104], v[99:100], v[115:116], v[103:104]
	s_waitcnt lgkmcnt(1)
	v_mul_f64 v[166:167], v[89:90], v[109:110]
	v_mul_f64 v[109:110], v[91:92], v[109:110]
	v_fma_f64 v[105:106], v[97:98], v[115:116], -v[105:106]
	ds_read_b128 v[97:100], v1 offset:1184
	v_add_f64 v[160:161], v[160:161], v[162:163]
	v_add_f64 v[2:3], v[2:3], v[101:102]
	s_waitcnt vmcnt(47) lgkmcnt(1)
	v_mul_f64 v[101:102], v[93:94], v[111:112]
	v_mul_f64 v[111:112], v[95:96], v[111:112]
	s_waitcnt vmcnt(45)
	v_fma_f64 v[109:110], v[89:90], v[117:118], -v[109:110]
	v_fma_f64 v[115:116], v[91:92], v[117:118], v[166:167]
	s_waitcnt vmcnt(41) lgkmcnt(0)
	v_mul_f64 v[117:118], v[99:100], v[119:120]
	ds_read_b128 v[89:92], v1 offset:1200
	v_add_f64 v[105:106], v[160:161], v[105:106]
	v_add_f64 v[2:3], v[2:3], v[103:104]
	v_mul_f64 v[103:104], v[97:98], v[119:120]
	s_waitcnt vmcnt(40)
	v_fma_f64 v[111:112], v[93:94], v[113:114], -v[111:112]
	v_fma_f64 v[101:102], v[95:96], v[113:114], v[101:102]
	ds_read_b128 v[93:96], v1 offset:1216
	s_waitcnt vmcnt(39) lgkmcnt(1)
	v_mul_f64 v[113:114], v[91:92], v[121:122]
	v_add_f64 v[105:106], v[105:106], v[109:110]
	v_add_f64 v[2:3], v[2:3], v[115:116]
	s_waitcnt vmcnt(37)
	v_fma_f64 v[115:116], v[97:98], v[125:126], -v[117:118]
	v_mul_f64 v[109:110], v[89:90], v[121:122]
	v_fma_f64 v[103:104], v[99:100], v[125:126], v[103:104]
	ds_read_b128 v[97:100], v1 offset:1232
	s_waitcnt vmcnt(32)
	v_fma_f64 v[113:114], v[89:90], v[123:124], -v[113:114]
	v_add_f64 v[105:106], v[105:106], v[111:112]
	v_add_f64 v[2:3], v[2:3], v[101:102]
	s_waitcnt lgkmcnt(1)
	v_mul_f64 v[111:112], v[95:96], v[127:128]
	v_mul_f64 v[101:102], v[93:94], v[127:128]
	v_fma_f64 v[109:110], v[91:92], v[123:124], v[109:110]
	ds_read_b128 v[89:92], v1 offset:1248
	v_add_f64 v[105:106], v[105:106], v[115:116]
	v_add_f64 v[2:3], v[2:3], v[103:104]
	s_waitcnt vmcnt(31) lgkmcnt(1)
	v_mul_f64 v[115:116], v[99:100], v[129:130]
	s_waitcnt vmcnt(29)
	v_fma_f64 v[111:112], v[93:94], v[133:134], -v[111:112]
	v_mul_f64 v[103:104], v[97:98], v[129:130]
	v_fma_f64 v[101:102], v[95:96], v[133:134], v[101:102]
	ds_read_b128 v[93:96], v1 offset:1264
	v_add_f64 v[105:106], v[105:106], v[113:114]
	v_add_f64 v[2:3], v[2:3], v[109:110]
	s_waitcnt vmcnt(25) lgkmcnt(1)
	v_mul_f64 v[113:114], v[91:92], v[135:136]
	s_waitcnt vmcnt(24)
	v_fma_f64 v[115:116], v[97:98], v[131:132], -v[115:116]
	;; [unrolled: 9-line block ×6, first 2 shown]
	v_mul_f64 v[101:102], v[93:94], v[152:153]
	v_fma_f64 v[91:92], v[91:92], v[148:149], v[109:110]
	s_waitcnt vmcnt(7) lgkmcnt(0)
	v_mul_f64 v[109:110], v[99:100], v[154:155]
	v_add_f64 v[105:106], v[105:106], v[115:116]
	v_add_f64 v[2:3], v[2:3], v[103:104]
	s_waitcnt vmcnt(5)
	v_fma_f64 v[93:94], v[93:94], v[158:159], -v[111:112]
	v_mul_f64 v[103:104], v[97:98], v[154:155]
	v_fma_f64 v[95:96], v[95:96], v[158:159], v[101:102]
	v_add_f64 v[89:90], v[105:106], v[89:90]
	v_add_f64 v[2:3], v[2:3], v[91:92]
	s_waitcnt vmcnt(4)
	v_fma_f64 v[91:92], v[97:98], v[156:157], -v[109:110]
	v_add_f64 v[89:90], v[89:90], v[93:94]
	v_fma_f64 v[93:94], v[99:100], v[156:157], v[103:104]
	v_add_f64 v[2:3], v[2:3], v[95:96]
	v_add_f64 v[89:90], v[89:90], v[91:92]
	;; [unrolled: 1-line block ×3, first 2 shown]
	s_waitcnt vmcnt(2)
	v_add_f64 v[89:90], v[107:108], -v[89:90]
	s_waitcnt vmcnt(0)
	v_add_f64 v[2:3], v[164:165], -v[2:3]
	buffer_store_dword v90, off, s[0:3], 0 offset:436
	buffer_store_dword v89, off, s[0:3], 0 offset:432
	;; [unrolled: 1-line block ×4, first 2 shown]
	v_cmpx_lt_u32_e32 25, v0
	s_cbranch_execz .LBB105_215
; %bb.214:
	v_mov_b32_e32 v2, s28
	s_clause 0x3
	buffer_load_dword v89, v2, s[0:3], 0 offen
	buffer_load_dword v90, v2, s[0:3], 0 offen offset:4
	buffer_load_dword v91, v2, s[0:3], 0 offen offset:8
	;; [unrolled: 1-line block ×3, first 2 shown]
	buffer_store_dword v1, off, s[0:3], 0 offset:416
	buffer_store_dword v1, off, s[0:3], 0 offset:420
	;; [unrolled: 1-line block ×4, first 2 shown]
	s_waitcnt vmcnt(0)
	ds_write_b128 v145, v[89:92]
.LBB105_215:
	s_or_b32 exec_lo, exec_lo, s4
	s_waitcnt lgkmcnt(0)
	s_waitcnt_vscnt null, 0x0
	s_barrier
	buffer_gl0_inv
	s_clause 0x37
	buffer_load_dword v2, off, s[0:3], 0 offset:440
	buffer_load_dword v3, off, s[0:3], 0 offset:444
	;; [unrolled: 1-line block ×56, first 2 shown]
	ds_read_b128 v[89:92], v1 offset:1088
	s_clause 0x2
	buffer_load_dword v155, off, s[0:3], 0 offset:668
	buffer_load_dword v159, off, s[0:3], 0 offset:644
	;; [unrolled: 1-line block ×3, first 2 shown]
	ds_read_b128 v[93:96], v1 offset:1104
	s_clause 0x2
	buffer_load_dword v163, off, s[0:3], 0 offset:684
	buffer_load_dword v162, off, s[0:3], 0 offset:680
	;; [unrolled: 1-line block ×3, first 2 shown]
	ds_read_b128 v[97:100], v1 offset:1120
	s_mov_b32 s4, exec_lo
	s_waitcnt vmcnt(60) lgkmcnt(2)
	v_mul_f64 v[160:161], v[91:92], v[2:3]
	v_mul_f64 v[2:3], v[89:90], v[2:3]
	s_waitcnt vmcnt(58) lgkmcnt(1)
	v_mul_f64 v[164:165], v[95:96], v[101:102]
	v_mul_f64 v[101:102], v[93:94], v[101:102]
	;; [unrolled: 3-line block ×3, first 2 shown]
	v_fma_f64 v[160:161], v[89:90], v[103:104], -v[160:161]
	v_fma_f64 v[2:3], v[91:92], v[103:104], v[2:3]
	s_clause 0x1
	buffer_load_dword v104, off, s[0:3], 0 offset:676
	buffer_load_dword v103, off, s[0:3], 0 offset:672
	s_waitcnt vmcnt(54)
	v_fma_f64 v[164:165], v[93:94], v[107:108], -v[164:165]
	ds_read_b128 v[89:92], v1 offset:1136
	v_fma_f64 v[101:102], v[95:96], v[107:108], v[101:102]
	ds_read_b128 v[93:96], v1 offset:1152
	s_waitcnt vmcnt(48)
	v_fma_f64 v[105:106], v[97:98], v[115:116], -v[105:106]
	v_fma_f64 v[115:116], v[99:100], v[115:116], v[166:167]
	v_add_f64 v[160:161], v[160:161], 0
	v_add_f64 v[2:3], v[2:3], 0
	s_waitcnt lgkmcnt(1)
	v_mul_f64 v[107:108], v[89:90], v[109:110]
	v_mul_f64 v[109:110], v[91:92], v[109:110]
	s_waitcnt vmcnt(47) lgkmcnt(0)
	v_mul_f64 v[166:167], v[93:94], v[111:112]
	v_mul_f64 v[111:112], v[95:96], v[111:112]
	v_add_f64 v[160:161], v[160:161], v[164:165]
	v_add_f64 v[2:3], v[2:3], v[101:102]
	s_clause 0x3
	buffer_load_dword v101, off, s[0:3], 0 offset:416
	buffer_load_dword v102, off, s[0:3], 0 offset:420
	;; [unrolled: 1-line block ×4, first 2 shown]
	s_waitcnt vmcnt(49)
	v_fma_f64 v[109:110], v[89:90], v[117:118], -v[109:110]
	ds_read_b128 v[97:100], v1 offset:1168
	v_fma_f64 v[107:108], v[91:92], v[117:118], v[107:108]
	ds_read_b128 v[89:92], v1 offset:1184
	s_waitcnt vmcnt(44)
	v_fma_f64 v[111:112], v[93:94], v[113:114], -v[111:112]
	v_add_f64 v[105:106], v[160:161], v[105:106]
	v_add_f64 v[2:3], v[2:3], v[115:116]
	s_waitcnt lgkmcnt(1)
	v_mul_f64 v[117:118], v[99:100], v[119:120]
	v_mul_f64 v[115:116], v[97:98], v[119:120]
	v_add_f64 v[105:106], v[105:106], v[109:110]
	v_fma_f64 v[109:110], v[95:96], v[113:114], v[166:167]
	v_add_f64 v[2:3], v[2:3], v[107:108]
	s_waitcnt vmcnt(43) lgkmcnt(0)
	v_mul_f64 v[113:114], v[91:92], v[121:122]
	s_waitcnt vmcnt(41)
	v_fma_f64 v[117:118], v[97:98], v[125:126], -v[117:118]
	ds_read_b128 v[93:96], v1 offset:1200
	v_mul_f64 v[107:108], v[89:90], v[121:122]
	v_add_f64 v[105:106], v[105:106], v[111:112]
	v_fma_f64 v[111:112], v[99:100], v[125:126], v[115:116]
	v_add_f64 v[2:3], v[2:3], v[109:110]
	ds_read_b128 v[97:100], v1 offset:1216
	s_waitcnt vmcnt(37) lgkmcnt(1)
	v_mul_f64 v[115:116], v[95:96], v[127:128]
	s_waitcnt vmcnt(36)
	v_fma_f64 v[113:114], v[89:90], v[123:124], -v[113:114]
	v_mul_f64 v[109:110], v[93:94], v[127:128]
	v_fma_f64 v[107:108], v[91:92], v[123:124], v[107:108]
	ds_read_b128 v[89:92], v1 offset:1232
	v_add_f64 v[105:106], v[105:106], v[117:118]
	s_waitcnt vmcnt(35) lgkmcnt(1)
	v_mul_f64 v[117:118], v[99:100], v[129:130]
	v_add_f64 v[2:3], v[2:3], v[111:112]
	v_mul_f64 v[111:112], v[97:98], v[129:130]
	s_waitcnt vmcnt(33)
	v_fma_f64 v[115:116], v[93:94], v[133:134], -v[115:116]
	v_fma_f64 v[109:110], v[95:96], v[133:134], v[109:110]
	ds_read_b128 v[93:96], v1 offset:1248
	v_add_f64 v[105:106], v[105:106], v[113:114]
	s_waitcnt vmcnt(29) lgkmcnt(1)
	v_mul_f64 v[113:114], v[91:92], v[135:136]
	v_add_f64 v[2:3], v[2:3], v[107:108]
	s_waitcnt vmcnt(28)
	v_fma_f64 v[117:118], v[97:98], v[131:132], -v[117:118]
	v_mul_f64 v[107:108], v[89:90], v[135:136]
	v_fma_f64 v[111:112], v[99:100], v[131:132], v[111:112]
	ds_read_b128 v[97:100], v1 offset:1264
	v_add_f64 v[105:106], v[105:106], v[115:116]
	s_waitcnt vmcnt(27) lgkmcnt(1)
	v_mul_f64 v[115:116], v[95:96], v[137:138]
	v_add_f64 v[2:3], v[2:3], v[109:110]
	s_waitcnt vmcnt(25)
	v_fma_f64 v[113:114], v[89:90], v[141:142], -v[113:114]
	v_mul_f64 v[109:110], v[93:94], v[137:138]
	;; [unrolled: 9-line block ×5, first 2 shown]
	v_fma_f64 v[91:92], v[91:92], v[148:149], v[107:108]
	s_waitcnt vmcnt(11) lgkmcnt(0)
	v_mul_f64 v[113:114], v[99:100], v[154:155]
	v_add_f64 v[105:106], v[105:106], v[117:118]
	s_waitcnt vmcnt(9)
	v_fma_f64 v[93:94], v[93:94], v[158:159], -v[115:116]
	v_add_f64 v[107:108], v[2:3], v[111:112]
	ds_read_b128 v[1:4], v1 offset:1328
	v_mul_f64 v[111:112], v[97:98], v[154:155]
	v_fma_f64 v[95:96], v[95:96], v[158:159], v[109:110]
	s_waitcnt vmcnt(6)
	v_fma_f64 v[97:98], v[97:98], v[156:157], -v[113:114]
	v_add_f64 v[89:90], v[105:106], v[89:90]
	s_waitcnt lgkmcnt(0)
	v_mul_f64 v[105:106], v[1:2], v[162:163]
	v_add_f64 v[91:92], v[107:108], v[91:92]
	v_mul_f64 v[107:108], v[3:4], v[162:163]
	v_add_f64 v[89:90], v[89:90], v[93:94]
	v_fma_f64 v[93:94], v[99:100], v[156:157], v[111:112]
	v_add_f64 v[91:92], v[91:92], v[95:96]
	s_waitcnt vmcnt(4)
	v_fma_f64 v[1:2], v[1:2], v[103:104], -v[107:108]
	v_fma_f64 v[3:4], v[3:4], v[103:104], v[105:106]
	v_add_f64 v[89:90], v[89:90], v[97:98]
	v_add_f64 v[91:92], v[91:92], v[93:94]
	;; [unrolled: 1-line block ×4, first 2 shown]
	s_waitcnt vmcnt(2)
	v_add_f64 v[1:2], v[101:102], -v[1:2]
	s_waitcnt vmcnt(0)
	v_add_f64 v[3:4], v[164:165], -v[3:4]
	buffer_store_dword v2, off, s[0:3], 0 offset:420
	buffer_store_dword v1, off, s[0:3], 0 offset:416
	;; [unrolled: 1-line block ×4, first 2 shown]
	v_cmpx_lt_u32_e32 24, v0
	s_cbranch_execz .LBB105_217
; %bb.216:
	v_mov_b32_e32 v4, s29
	v_mov_b32_e32 v89, 0
	s_clause 0x3
	buffer_load_dword v1, v4, s[0:3], 0 offen
	buffer_load_dword v2, v4, s[0:3], 0 offen offset:4
	buffer_load_dword v3, v4, s[0:3], 0 offen offset:8
	;; [unrolled: 1-line block ×3, first 2 shown]
	buffer_store_dword v89, off, s[0:3], 0 offset:400
	buffer_store_dword v89, off, s[0:3], 0 offset:404
	;; [unrolled: 1-line block ×4, first 2 shown]
	s_waitcnt vmcnt(0)
	ds_write_b128 v145, v[1:4]
.LBB105_217:
	s_or_b32 exec_lo, exec_lo, s4
	s_waitcnt lgkmcnt(0)
	s_waitcnt_vscnt null, 0x0
	s_barrier
	buffer_gl0_inv
	s_clause 0x37
	buffer_load_dword v2, off, s[0:3], 0 offset:424
	buffer_load_dword v3, off, s[0:3], 0 offset:428
	;; [unrolled: 1-line block ×56, first 2 shown]
	v_mov_b32_e32 v1, 0
	s_mov_b32 s4, exec_lo
	ds_read_b128 v[89:92], v1 offset:1072
	s_clause 0x2
	buffer_load_dword v155, off, s[0:3], 0 offset:652
	buffer_load_dword v159, off, s[0:3], 0 offset:628
	;; [unrolled: 1-line block ×3, first 2 shown]
	ds_read_b128 v[93:96], v1 offset:1088
	s_clause 0x4
	buffer_load_dword v163, off, s[0:3], 0 offset:668
	buffer_load_dword v164, off, s[0:3], 0 offset:680
	buffer_load_dword v166, off, s[0:3], 0 offset:672
	buffer_load_dword v162, off, s[0:3], 0 offset:664
	buffer_load_dword v157, off, s[0:3], 0 offset:644
	ds_read_b128 v[97:100], v1 offset:1104
	s_waitcnt vmcnt(62) lgkmcnt(2)
	v_mul_f64 v[160:161], v[91:92], v[2:3]
	v_mul_f64 v[2:3], v[89:90], v[2:3]
	s_waitcnt vmcnt(60) lgkmcnt(1)
	v_mul_f64 v[167:168], v[95:96], v[101:102]
	v_mul_f64 v[101:102], v[93:94], v[101:102]
	;; [unrolled: 3-line block ×3, first 2 shown]
	v_fma_f64 v[160:161], v[89:90], v[103:104], -v[160:161]
	v_fma_f64 v[2:3], v[91:92], v[103:104], v[2:3]
	s_clause 0x2
	buffer_load_dword v165, off, s[0:3], 0 offset:684
	buffer_load_dword v104, off, s[0:3], 0 offset:660
	;; [unrolled: 1-line block ×3, first 2 shown]
	s_waitcnt vmcnt(57)
	v_fma_f64 v[171:172], v[93:94], v[107:108], -v[167:168]
	ds_read_b128 v[89:92], v1 offset:1120
	v_fma_f64 v[101:102], v[95:96], v[107:108], v[101:102]
	buffer_load_dword v167, off, s[0:3], 0 offset:676
	ds_read_b128 v[93:96], v1 offset:1136
	s_waitcnt vmcnt(52)
	v_fma_f64 v[105:106], v[97:98], v[115:116], -v[105:106]
	v_fma_f64 v[115:116], v[99:100], v[115:116], v[169:170]
	ds_read_b128 v[97:100], v1 offset:1152
	v_add_f64 v[160:161], v[160:161], 0
	v_add_f64 v[2:3], v[2:3], 0
	s_waitcnt lgkmcnt(2)
	v_mul_f64 v[107:108], v[89:90], v[109:110]
	v_mul_f64 v[109:110], v[91:92], v[109:110]
	v_add_f64 v[160:161], v[160:161], v[171:172]
	v_add_f64 v[2:3], v[2:3], v[101:102]
	s_waitcnt vmcnt(51) lgkmcnt(1)
	v_mul_f64 v[101:102], v[93:94], v[111:112]
	v_mul_f64 v[111:112], v[95:96], v[111:112]
	s_waitcnt vmcnt(49)
	v_fma_f64 v[109:110], v[89:90], v[117:118], -v[109:110]
	v_fma_f64 v[107:108], v[91:92], v[117:118], v[107:108]
	v_add_f64 v[105:106], v[160:161], v[105:106]
	v_add_f64 v[2:3], v[2:3], v[115:116]
	s_clause 0x3
	buffer_load_dword v115, off, s[0:3], 0 offset:400
	buffer_load_dword v116, off, s[0:3], 0 offset:404
	;; [unrolled: 1-line block ×4, first 2 shown]
	s_waitcnt vmcnt(49) lgkmcnt(0)
	v_mul_f64 v[160:161], v[97:98], v[119:120]
	v_mul_f64 v[119:120], v[99:100], v[119:120]
	s_waitcnt vmcnt(48)
	v_fma_f64 v[111:112], v[93:94], v[113:114], -v[111:112]
	ds_read_b128 v[89:92], v1 offset:1168
	v_fma_f64 v[101:102], v[95:96], v[113:114], v[101:102]
	ds_read_b128 v[93:96], v1 offset:1184
	v_add_f64 v[105:106], v[105:106], v[109:110]
	v_add_f64 v[2:3], v[2:3], v[107:108]
	s_waitcnt vmcnt(47) lgkmcnt(1)
	v_mul_f64 v[109:110], v[91:92], v[121:122]
	s_waitcnt vmcnt(45)
	v_fma_f64 v[113:114], v[97:98], v[125:126], -v[119:120]
	v_mul_f64 v[107:108], v[89:90], v[121:122]
	s_waitcnt vmcnt(41) lgkmcnt(0)
	v_mul_f64 v[119:120], v[95:96], v[127:128]
	v_add_f64 v[105:106], v[105:106], v[111:112]
	v_fma_f64 v[111:112], v[99:100], v[125:126], v[160:161]
	v_add_f64 v[2:3], v[2:3], v[101:102]
	ds_read_b128 v[97:100], v1 offset:1200
	s_waitcnt vmcnt(40)
	v_fma_f64 v[109:110], v[89:90], v[123:124], -v[109:110]
	v_mul_f64 v[101:102], v[93:94], v[127:128]
	v_fma_f64 v[107:108], v[91:92], v[123:124], v[107:108]
	ds_read_b128 v[89:92], v1 offset:1216
	s_waitcnt vmcnt(37)
	v_fma_f64 v[119:120], v[93:94], v[133:134], -v[119:120]
	v_add_f64 v[105:106], v[105:106], v[113:114]
	s_waitcnt lgkmcnt(1)
	v_mul_f64 v[113:114], v[99:100], v[129:130]
	v_add_f64 v[2:3], v[2:3], v[111:112]
	v_mul_f64 v[111:112], v[97:98], v[129:130]
	v_fma_f64 v[101:102], v[95:96], v[133:134], v[101:102]
	ds_read_b128 v[93:96], v1 offset:1232
	v_add_f64 v[105:106], v[105:106], v[109:110]
	s_waitcnt vmcnt(33) lgkmcnt(1)
	v_mul_f64 v[109:110], v[91:92], v[135:136]
	v_add_f64 v[2:3], v[2:3], v[107:108]
	s_waitcnt vmcnt(32)
	v_fma_f64 v[113:114], v[97:98], v[131:132], -v[113:114]
	v_mul_f64 v[107:108], v[89:90], v[135:136]
	v_fma_f64 v[111:112], v[99:100], v[131:132], v[111:112]
	ds_read_b128 v[97:100], v1 offset:1248
	v_add_f64 v[105:106], v[105:106], v[119:120]
	s_waitcnt vmcnt(31) lgkmcnt(1)
	v_mul_f64 v[119:120], v[95:96], v[137:138]
	v_add_f64 v[2:3], v[2:3], v[101:102]
	s_waitcnt vmcnt(29)
	v_fma_f64 v[109:110], v[89:90], v[141:142], -v[109:110]
	;; [unrolled: 9-line block ×7, first 2 shown]
	v_mul_f64 v[107:108], v[89:90], v[162:163]
	v_fma_f64 v[99:100], v[99:100], v[156:157], v[111:112]
	v_add_f64 v[105:106], v[105:106], v[119:120]
	v_add_f64 v[2:3], v[2:3], v[101:102]
	s_waitcnt vmcnt(7) lgkmcnt(0)
	v_mul_f64 v[111:112], v[95:96], v[164:165]
	v_mul_f64 v[101:102], v[93:94], v[164:165]
	s_waitcnt vmcnt(5)
	v_fma_f64 v[89:90], v[89:90], v[103:104], -v[109:110]
	v_fma_f64 v[91:92], v[91:92], v[103:104], v[107:108]
	v_add_f64 v[97:98], v[105:106], v[97:98]
	v_add_f64 v[2:3], v[2:3], v[99:100]
	s_waitcnt vmcnt(4)
	v_fma_f64 v[93:94], v[93:94], v[166:167], -v[111:112]
	v_fma_f64 v[95:96], v[95:96], v[166:167], v[101:102]
	v_add_f64 v[89:90], v[97:98], v[89:90]
	v_add_f64 v[2:3], v[2:3], v[91:92]
	;; [unrolled: 1-line block ×4, first 2 shown]
	s_waitcnt vmcnt(2)
	v_add_f64 v[89:90], v[115:116], -v[89:90]
	s_waitcnt vmcnt(0)
	v_add_f64 v[2:3], v[117:118], -v[2:3]
	buffer_store_dword v90, off, s[0:3], 0 offset:404
	buffer_store_dword v89, off, s[0:3], 0 offset:400
	;; [unrolled: 1-line block ×4, first 2 shown]
	v_cmpx_lt_u32_e32 23, v0
	s_cbranch_execz .LBB105_219
; %bb.218:
	v_mov_b32_e32 v2, s30
	s_clause 0x3
	buffer_load_dword v89, v2, s[0:3], 0 offen
	buffer_load_dword v90, v2, s[0:3], 0 offen offset:4
	buffer_load_dword v91, v2, s[0:3], 0 offen offset:8
	buffer_load_dword v92, v2, s[0:3], 0 offen offset:12
	buffer_store_dword v1, off, s[0:3], 0 offset:384
	buffer_store_dword v1, off, s[0:3], 0 offset:388
	;; [unrolled: 1-line block ×4, first 2 shown]
	s_waitcnt vmcnt(0)
	ds_write_b128 v145, v[89:92]
.LBB105_219:
	s_or_b32 exec_lo, exec_lo, s4
	s_waitcnt lgkmcnt(0)
	s_waitcnt_vscnt null, 0x0
	s_barrier
	buffer_gl0_inv
	s_clause 0x37
	buffer_load_dword v2, off, s[0:3], 0 offset:408
	buffer_load_dword v3, off, s[0:3], 0 offset:412
	;; [unrolled: 1-line block ×56, first 2 shown]
	ds_read_b128 v[89:92], v1 offset:1056
	s_clause 0x2
	buffer_load_dword v155, off, s[0:3], 0 offset:636
	buffer_load_dword v159, off, s[0:3], 0 offset:612
	;; [unrolled: 1-line block ×3, first 2 shown]
	ds_read_b128 v[93:96], v1 offset:1072
	s_clause 0x4
	buffer_load_dword v163, off, s[0:3], 0 offset:652
	buffer_load_dword v164, off, s[0:3], 0 offset:664
	buffer_load_dword v166, off, s[0:3], 0 offset:656
	buffer_load_dword v162, off, s[0:3], 0 offset:648
	buffer_load_dword v157, off, s[0:3], 0 offset:628
	ds_read_b128 v[97:100], v1 offset:1088
	s_mov_b32 s4, exec_lo
	s_waitcnt vmcnt(62) lgkmcnt(2)
	v_mul_f64 v[160:161], v[91:92], v[2:3]
	v_mul_f64 v[2:3], v[89:90], v[2:3]
	s_waitcnt vmcnt(60) lgkmcnt(1)
	v_mul_f64 v[167:168], v[95:96], v[101:102]
	v_mul_f64 v[101:102], v[93:94], v[101:102]
	;; [unrolled: 3-line block ×3, first 2 shown]
	v_fma_f64 v[160:161], v[89:90], v[103:104], -v[160:161]
	v_fma_f64 v[2:3], v[91:92], v[103:104], v[2:3]
	s_clause 0x2
	buffer_load_dword v165, off, s[0:3], 0 offset:668
	buffer_load_dword v104, off, s[0:3], 0 offset:644
	;; [unrolled: 1-line block ×3, first 2 shown]
	s_waitcnt vmcnt(57)
	v_fma_f64 v[171:172], v[93:94], v[107:108], -v[167:168]
	ds_read_b128 v[89:92], v1 offset:1104
	v_fma_f64 v[101:102], v[95:96], v[107:108], v[101:102]
	s_clause 0x2
	buffer_load_dword v108, off, s[0:3], 0 offset:684
	buffer_load_dword v107, off, s[0:3], 0 offset:680
	;; [unrolled: 1-line block ×3, first 2 shown]
	s_waitcnt vmcnt(54)
	v_fma_f64 v[105:106], v[97:98], v[115:116], -v[105:106]
	ds_read_b128 v[93:96], v1 offset:1120
	v_fma_f64 v[115:116], v[99:100], v[115:116], v[169:170]
	v_add_f64 v[160:161], v[160:161], 0
	v_add_f64 v[2:3], v[2:3], 0
	s_waitcnt lgkmcnt(1)
	v_mul_f64 v[173:174], v[89:90], v[109:110]
	v_mul_f64 v[109:110], v[91:92], v[109:110]
	s_waitcnt vmcnt(53) lgkmcnt(0)
	v_mul_f64 v[168:169], v[93:94], v[111:112]
	v_mul_f64 v[111:112], v[95:96], v[111:112]
	v_add_f64 v[160:161], v[160:161], v[171:172]
	v_add_f64 v[2:3], v[2:3], v[101:102]
	s_clause 0x1
	buffer_load_dword v102, off, s[0:3], 0 offset:676
	buffer_load_dword v101, off, s[0:3], 0 offset:672
	s_waitcnt vmcnt(53)
	v_fma_f64 v[109:110], v[89:90], v[117:118], -v[109:110]
	ds_read_b128 v[97:100], v1 offset:1136
	v_fma_f64 v[117:118], v[91:92], v[117:118], v[173:174]
	ds_read_b128 v[89:92], v1 offset:1152
	s_waitcnt vmcnt(48)
	v_fma_f64 v[111:112], v[93:94], v[113:114], -v[111:112]
	v_add_f64 v[105:106], v[160:161], v[105:106]
	v_add_f64 v[2:3], v[2:3], v[115:116]
	s_waitcnt lgkmcnt(1)
	v_mul_f64 v[115:116], v[97:98], v[119:120]
	v_mul_f64 v[119:120], v[99:100], v[119:120]
	s_waitcnt vmcnt(47) lgkmcnt(0)
	v_mul_f64 v[160:161], v[89:90], v[121:122]
	v_mul_f64 v[121:122], v[91:92], v[121:122]
	v_add_f64 v[105:106], v[105:106], v[109:110]
	v_fma_f64 v[109:110], v[95:96], v[113:114], v[168:169]
	v_add_f64 v[2:3], v[2:3], v[117:118]
	s_clause 0x3
	buffer_load_dword v113, off, s[0:3], 0 offset:384
	buffer_load_dword v114, off, s[0:3], 0 offset:388
	;; [unrolled: 1-line block ×4, first 2 shown]
	s_waitcnt vmcnt(49)
	v_fma_f64 v[119:120], v[97:98], v[125:126], -v[119:120]
	ds_read_b128 v[93:96], v1 offset:1168
	s_waitcnt vmcnt(44)
	v_fma_f64 v[121:122], v[89:90], v[123:124], -v[121:122]
	v_add_f64 v[105:106], v[105:106], v[111:112]
	v_fma_f64 v[111:112], v[99:100], v[125:126], v[115:116]
	v_add_f64 v[2:3], v[2:3], v[109:110]
	ds_read_b128 v[97:100], v1 offset:1184
	s_waitcnt lgkmcnt(1)
	v_mul_f64 v[115:116], v[95:96], v[127:128]
	v_mul_f64 v[109:110], v[93:94], v[127:128]
	v_add_f64 v[105:106], v[105:106], v[119:120]
	v_fma_f64 v[119:120], v[91:92], v[123:124], v[160:161]
	v_add_f64 v[2:3], v[2:3], v[111:112]
	s_waitcnt vmcnt(43) lgkmcnt(0)
	v_mul_f64 v[123:124], v[99:100], v[129:130]
	s_waitcnt vmcnt(41)
	v_fma_f64 v[115:116], v[93:94], v[133:134], -v[115:116]
	ds_read_b128 v[89:92], v1 offset:1200
	v_mul_f64 v[111:112], v[97:98], v[129:130]
	v_fma_f64 v[109:110], v[95:96], v[133:134], v[109:110]
	ds_read_b128 v[93:96], v1 offset:1216
	v_add_f64 v[105:106], v[105:106], v[121:122]
	v_add_f64 v[2:3], v[2:3], v[119:120]
	s_waitcnt vmcnt(37) lgkmcnt(1)
	v_mul_f64 v[121:122], v[91:92], v[135:136]
	s_waitcnt vmcnt(36)
	v_fma_f64 v[123:124], v[97:98], v[131:132], -v[123:124]
	v_mul_f64 v[119:120], v[89:90], v[135:136]
	v_fma_f64 v[111:112], v[99:100], v[131:132], v[111:112]
	ds_read_b128 v[97:100], v1 offset:1232
	v_add_f64 v[105:106], v[105:106], v[115:116]
	s_waitcnt vmcnt(35) lgkmcnt(1)
	v_mul_f64 v[115:116], v[95:96], v[137:138]
	v_add_f64 v[2:3], v[2:3], v[109:110]
	s_waitcnt vmcnt(33)
	v_fma_f64 v[121:122], v[89:90], v[141:142], -v[121:122]
	v_mul_f64 v[109:110], v[93:94], v[137:138]
	v_fma_f64 v[119:120], v[91:92], v[141:142], v[119:120]
	ds_read_b128 v[89:92], v1 offset:1248
	v_add_f64 v[105:106], v[105:106], v[123:124]
	s_waitcnt vmcnt(29) lgkmcnt(1)
	v_mul_f64 v[123:124], v[99:100], v[143:144]
	v_add_f64 v[2:3], v[2:3], v[111:112]
	;; [unrolled: 9-line block ×6, first 2 shown]
	s_waitcnt vmcnt(12)
	v_fma_f64 v[97:98], v[97:98], v[156:157], -v[123:124]
	v_mul_f64 v[119:120], v[89:90], v[162:163]
	v_fma_f64 v[99:100], v[99:100], v[156:157], v[111:112]
	v_add_f64 v[105:106], v[105:106], v[115:116]
	v_add_f64 v[109:110], v[2:3], v[109:110]
	ds_read_b128 v[1:4], v1 offset:1328
	s_waitcnt vmcnt(11) lgkmcnt(1)
	v_mul_f64 v[115:116], v[95:96], v[164:165]
	v_mul_f64 v[111:112], v[93:94], v[164:165]
	s_waitcnt vmcnt(9)
	v_fma_f64 v[89:90], v[89:90], v[103:104], -v[121:122]
	v_fma_f64 v[91:92], v[91:92], v[103:104], v[119:120]
	v_add_f64 v[97:98], v[105:106], v[97:98]
	s_waitcnt vmcnt(7) lgkmcnt(0)
	v_mul_f64 v[105:106], v[3:4], v[107:108]
	v_add_f64 v[99:100], v[109:110], v[99:100]
	v_mul_f64 v[103:104], v[1:2], v[107:108]
	s_waitcnt vmcnt(6)
	v_fma_f64 v[93:94], v[93:94], v[166:167], -v[115:116]
	v_fma_f64 v[95:96], v[95:96], v[166:167], v[111:112]
	v_add_f64 v[89:90], v[97:98], v[89:90]
	v_add_f64 v[91:92], v[99:100], v[91:92]
	s_waitcnt vmcnt(4)
	v_fma_f64 v[1:2], v[1:2], v[101:102], -v[105:106]
	v_fma_f64 v[3:4], v[3:4], v[101:102], v[103:104]
	v_add_f64 v[89:90], v[89:90], v[93:94]
	v_add_f64 v[91:92], v[91:92], v[95:96]
	;; [unrolled: 1-line block ×4, first 2 shown]
	s_waitcnt vmcnt(2)
	v_add_f64 v[1:2], v[113:114], -v[1:2]
	s_waitcnt vmcnt(0)
	v_add_f64 v[3:4], v[117:118], -v[3:4]
	buffer_store_dword v2, off, s[0:3], 0 offset:388
	buffer_store_dword v1, off, s[0:3], 0 offset:384
	;; [unrolled: 1-line block ×4, first 2 shown]
	v_cmpx_lt_u32_e32 22, v0
	s_cbranch_execz .LBB105_221
; %bb.220:
	v_mov_b32_e32 v4, s31
	v_mov_b32_e32 v89, 0
	s_clause 0x3
	buffer_load_dword v1, v4, s[0:3], 0 offen
	buffer_load_dword v2, v4, s[0:3], 0 offen offset:4
	buffer_load_dword v3, v4, s[0:3], 0 offen offset:8
	buffer_load_dword v4, v4, s[0:3], 0 offen offset:12
	buffer_store_dword v89, off, s[0:3], 0 offset:368
	buffer_store_dword v89, off, s[0:3], 0 offset:372
	;; [unrolled: 1-line block ×4, first 2 shown]
	s_waitcnt vmcnt(0)
	ds_write_b128 v145, v[1:4]
.LBB105_221:
	s_or_b32 exec_lo, exec_lo, s4
	s_waitcnt lgkmcnt(0)
	s_waitcnt_vscnt null, 0x0
	s_barrier
	buffer_gl0_inv
	s_clause 0x37
	buffer_load_dword v2, off, s[0:3], 0 offset:392
	buffer_load_dword v3, off, s[0:3], 0 offset:396
	;; [unrolled: 1-line block ×56, first 2 shown]
	v_mov_b32_e32 v1, 0
	s_mov_b32 s4, exec_lo
	ds_read_b128 v[89:92], v1 offset:1040
	s_clause 0x2
	buffer_load_dword v155, off, s[0:3], 0 offset:620
	buffer_load_dword v159, off, s[0:3], 0 offset:596
	;; [unrolled: 1-line block ×3, first 2 shown]
	ds_read_b128 v[93:96], v1 offset:1056
	s_clause 0x4
	buffer_load_dword v163, off, s[0:3], 0 offset:636
	buffer_load_dword v164, off, s[0:3], 0 offset:648
	;; [unrolled: 1-line block ×5, first 2 shown]
	ds_read_b128 v[97:100], v1 offset:1072
	s_waitcnt vmcnt(62) lgkmcnt(2)
	v_mul_f64 v[160:161], v[91:92], v[2:3]
	v_mul_f64 v[2:3], v[89:90], v[2:3]
	s_waitcnt vmcnt(60) lgkmcnt(1)
	v_mul_f64 v[167:168], v[95:96], v[101:102]
	v_mul_f64 v[101:102], v[93:94], v[101:102]
	;; [unrolled: 3-line block ×3, first 2 shown]
	v_fma_f64 v[160:161], v[89:90], v[103:104], -v[160:161]
	v_fma_f64 v[2:3], v[91:92], v[103:104], v[2:3]
	s_clause 0x2
	buffer_load_dword v165, off, s[0:3], 0 offset:652
	buffer_load_dword v104, off, s[0:3], 0 offset:628
	;; [unrolled: 1-line block ×3, first 2 shown]
	s_waitcnt vmcnt(57)
	v_fma_f64 v[171:172], v[93:94], v[107:108], -v[167:168]
	ds_read_b128 v[89:92], v1 offset:1088
	v_fma_f64 v[101:102], v[95:96], v[107:108], v[101:102]
	s_clause 0x4
	buffer_load_dword v108, off, s[0:3], 0 offset:668
	buffer_load_dword v168, off, s[0:3], 0 offset:680
	;; [unrolled: 1-line block ×5, first 2 shown]
	s_waitcnt vmcnt(56)
	v_fma_f64 v[105:106], v[97:98], v[115:116], -v[105:106]
	ds_read_b128 v[93:96], v1 offset:1104
	v_fma_f64 v[115:116], v[99:100], v[115:116], v[169:170]
	v_add_f64 v[160:161], v[160:161], 0
	v_add_f64 v[2:3], v[2:3], 0
	s_waitcnt lgkmcnt(1)
	v_mul_f64 v[174:175], v[89:90], v[109:110]
	v_mul_f64 v[109:110], v[91:92], v[109:110]
	v_add_f64 v[160:161], v[160:161], v[171:172]
	v_add_f64 v[2:3], v[2:3], v[101:102]
	s_clause 0x2
	buffer_load_dword v169, off, s[0:3], 0 offset:684
	buffer_load_dword v102, off, s[0:3], 0 offset:660
	;; [unrolled: 1-line block ×3, first 2 shown]
	s_waitcnt vmcnt(58) lgkmcnt(0)
	v_mul_f64 v[170:171], v[93:94], v[111:112]
	v_mul_f64 v[111:112], v[95:96], v[111:112]
	s_waitcnt vmcnt(56)
	v_fma_f64 v[109:110], v[89:90], v[117:118], -v[109:110]
	ds_read_b128 v[97:100], v1 offset:1120
	v_fma_f64 v[117:118], v[91:92], v[117:118], v[174:175]
	buffer_load_dword v174, off, s[0:3], 0 offset:676
	ds_read_b128 v[89:92], v1 offset:1136
	v_add_f64 v[105:106], v[160:161], v[105:106]
	v_add_f64 v[2:3], v[2:3], v[115:116]
	s_waitcnt vmcnt(53) lgkmcnt(1)
	v_mul_f64 v[115:116], v[97:98], v[119:120]
	v_mul_f64 v[119:120], v[99:100], v[119:120]
	s_waitcnt vmcnt(52)
	v_fma_f64 v[111:112], v[93:94], v[113:114], -v[111:112]
	v_add_f64 v[105:106], v[105:106], v[109:110]
	v_fma_f64 v[109:110], v[95:96], v[113:114], v[170:171]
	v_add_f64 v[2:3], v[2:3], v[117:118]
	s_waitcnt vmcnt(51) lgkmcnt(0)
	v_mul_f64 v[117:118], v[91:92], v[121:122]
	ds_read_b128 v[93:96], v1 offset:1152
	s_waitcnt vmcnt(49)
	v_fma_f64 v[119:120], v[97:98], v[125:126], -v[119:120]
	v_mul_f64 v[113:114], v[89:90], v[121:122]
	v_add_f64 v[105:106], v[105:106], v[111:112]
	v_fma_f64 v[111:112], v[99:100], v[125:126], v[115:116]
	v_add_f64 v[2:3], v[2:3], v[109:110]
	s_clause 0x3
	buffer_load_dword v109, off, s[0:3], 0 offset:368
	buffer_load_dword v110, off, s[0:3], 0 offset:372
	;; [unrolled: 1-line block ×4, first 2 shown]
	s_waitcnt vmcnt(49) lgkmcnt(0)
	v_mul_f64 v[125:126], v[95:96], v[127:128]
	s_waitcnt vmcnt(48)
	v_fma_f64 v[117:118], v[89:90], v[123:124], -v[117:118]
	ds_read_b128 v[97:100], v1 offset:1168
	v_mul_f64 v[121:122], v[93:94], v[127:128]
	v_fma_f64 v[113:114], v[91:92], v[123:124], v[113:114]
	ds_read_b128 v[89:92], v1 offset:1184
	v_add_f64 v[105:106], v[105:106], v[119:120]
	v_add_f64 v[2:3], v[2:3], v[111:112]
	s_waitcnt vmcnt(47) lgkmcnt(1)
	v_mul_f64 v[119:120], v[99:100], v[129:130]
	s_waitcnt vmcnt(45)
	v_fma_f64 v[123:124], v[93:94], v[133:134], -v[125:126]
	v_mul_f64 v[111:112], v[97:98], v[129:130]
	v_add_f64 v[105:106], v[105:106], v[117:118]
	v_fma_f64 v[117:118], v[95:96], v[133:134], v[121:122]
	v_add_f64 v[2:3], v[2:3], v[113:114]
	s_waitcnt vmcnt(41) lgkmcnt(0)
	v_mul_f64 v[121:122], v[91:92], v[135:136]
	s_waitcnt vmcnt(40)
	v_fma_f64 v[119:120], v[97:98], v[131:132], -v[119:120]
	ds_read_b128 v[93:96], v1 offset:1200
	v_mul_f64 v[113:114], v[89:90], v[135:136]
	v_fma_f64 v[111:112], v[99:100], v[131:132], v[111:112]
	ds_read_b128 v[97:100], v1 offset:1216
	v_add_f64 v[105:106], v[105:106], v[123:124]
	v_add_f64 v[2:3], v[2:3], v[117:118]
	s_waitcnt vmcnt(39) lgkmcnt(1)
	v_mul_f64 v[123:124], v[95:96], v[137:138]
	s_waitcnt vmcnt(37)
	v_fma_f64 v[121:122], v[89:90], v[141:142], -v[121:122]
	v_mul_f64 v[117:118], v[93:94], v[137:138]
	v_fma_f64 v[113:114], v[91:92], v[141:142], v[113:114]
	ds_read_b128 v[89:92], v1 offset:1232
	v_add_f64 v[105:106], v[105:106], v[119:120]
	s_waitcnt vmcnt(33) lgkmcnt(1)
	v_mul_f64 v[119:120], v[99:100], v[143:144]
	v_add_f64 v[2:3], v[2:3], v[111:112]
	s_waitcnt vmcnt(32)
	v_fma_f64 v[123:124], v[93:94], v[139:140], -v[123:124]
	v_mul_f64 v[111:112], v[97:98], v[143:144]
	v_fma_f64 v[117:118], v[95:96], v[139:140], v[117:118]
	ds_read_b128 v[93:96], v1 offset:1248
	v_add_f64 v[105:106], v[105:106], v[121:122]
	s_waitcnt vmcnt(31) lgkmcnt(1)
	v_mul_f64 v[121:122], v[91:92], v[146:147]
	v_add_f64 v[2:3], v[2:3], v[113:114]
	;; [unrolled: 9-line block ×5, first 2 shown]
	s_waitcnt vmcnt(16)
	v_fma_f64 v[119:120], v[97:98], v[156:157], -v[119:120]
	v_mul_f64 v[113:114], v[89:90], v[162:163]
	v_fma_f64 v[111:112], v[99:100], v[156:157], v[111:112]
	ds_read_b128 v[97:100], v1 offset:1312
	v_add_f64 v[105:106], v[105:106], v[123:124]
	v_add_f64 v[2:3], v[2:3], v[117:118]
	s_waitcnt vmcnt(15) lgkmcnt(1)
	v_mul_f64 v[123:124], v[95:96], v[164:165]
	v_mul_f64 v[117:118], v[93:94], v[164:165]
	s_waitcnt vmcnt(13)
	v_fma_f64 v[121:122], v[89:90], v[103:104], -v[121:122]
	v_fma_f64 v[103:104], v[91:92], v[103:104], v[113:114]
	ds_read_b128 v[89:92], v1 offset:1328
	v_add_f64 v[105:106], v[105:106], v[119:120]
	v_add_f64 v[2:3], v[2:3], v[111:112]
	s_waitcnt vmcnt(9) lgkmcnt(1)
	v_mul_f64 v[111:112], v[97:98], v[107:108]
	v_mul_f64 v[107:108], v[99:100], v[107:108]
	s_waitcnt vmcnt(8)
	v_fma_f64 v[93:94], v[93:94], v[166:167], -v[123:124]
	v_fma_f64 v[95:96], v[95:96], v[166:167], v[117:118]
	v_add_f64 v[105:106], v[105:106], v[121:122]
	v_add_f64 v[2:3], v[2:3], v[103:104]
	s_waitcnt vmcnt(7) lgkmcnt(0)
	v_mul_f64 v[113:114], v[91:92], v[168:169]
	v_mul_f64 v[103:104], v[89:90], v[168:169]
	s_waitcnt vmcnt(5)
	v_fma_f64 v[97:98], v[97:98], v[101:102], -v[107:108]
	v_fma_f64 v[99:100], v[99:100], v[101:102], v[111:112]
	v_add_f64 v[93:94], v[105:106], v[93:94]
	v_add_f64 v[2:3], v[2:3], v[95:96]
	s_waitcnt vmcnt(4)
	v_fma_f64 v[89:90], v[89:90], v[173:174], -v[113:114]
	v_fma_f64 v[91:92], v[91:92], v[173:174], v[103:104]
	v_add_f64 v[93:94], v[93:94], v[97:98]
	v_add_f64 v[2:3], v[2:3], v[99:100]
	;; [unrolled: 1-line block ×4, first 2 shown]
	s_waitcnt vmcnt(2)
	v_add_f64 v[89:90], v[109:110], -v[89:90]
	s_waitcnt vmcnt(0)
	v_add_f64 v[2:3], v[115:116], -v[2:3]
	buffer_store_dword v90, off, s[0:3], 0 offset:372
	buffer_store_dword v89, off, s[0:3], 0 offset:368
	;; [unrolled: 1-line block ×4, first 2 shown]
	v_cmpx_lt_u32_e32 21, v0
	s_cbranch_execz .LBB105_223
; %bb.222:
	v_mov_b32_e32 v2, s33
	s_clause 0x3
	buffer_load_dword v89, v2, s[0:3], 0 offen
	buffer_load_dword v90, v2, s[0:3], 0 offen offset:4
	buffer_load_dword v91, v2, s[0:3], 0 offen offset:8
	;; [unrolled: 1-line block ×3, first 2 shown]
	buffer_store_dword v1, off, s[0:3], 0 offset:352
	buffer_store_dword v1, off, s[0:3], 0 offset:356
	;; [unrolled: 1-line block ×4, first 2 shown]
	s_waitcnt vmcnt(0)
	ds_write_b128 v145, v[89:92]
.LBB105_223:
	s_or_b32 exec_lo, exec_lo, s4
	s_waitcnt lgkmcnt(0)
	s_waitcnt_vscnt null, 0x0
	s_barrier
	buffer_gl0_inv
	s_clause 0x37
	buffer_load_dword v2, off, s[0:3], 0 offset:376
	buffer_load_dword v3, off, s[0:3], 0 offset:380
	;; [unrolled: 1-line block ×56, first 2 shown]
	ds_read_b128 v[89:92], v1 offset:1024
	s_clause 0x2
	buffer_load_dword v155, off, s[0:3], 0 offset:604
	buffer_load_dword v159, off, s[0:3], 0 offset:580
	;; [unrolled: 1-line block ×3, first 2 shown]
	ds_read_b128 v[93:96], v1 offset:1040
	s_clause 0x4
	buffer_load_dword v163, off, s[0:3], 0 offset:620
	buffer_load_dword v164, off, s[0:3], 0 offset:632
	;; [unrolled: 1-line block ×5, first 2 shown]
	ds_read_b128 v[97:100], v1 offset:1056
	s_mov_b32 s4, exec_lo
	s_waitcnt vmcnt(62) lgkmcnt(2)
	v_mul_f64 v[160:161], v[91:92], v[2:3]
	v_mul_f64 v[2:3], v[89:90], v[2:3]
	s_waitcnt vmcnt(60) lgkmcnt(1)
	v_mul_f64 v[167:168], v[95:96], v[101:102]
	v_mul_f64 v[101:102], v[93:94], v[101:102]
	;; [unrolled: 3-line block ×3, first 2 shown]
	v_fma_f64 v[160:161], v[89:90], v[103:104], -v[160:161]
	v_fma_f64 v[2:3], v[91:92], v[103:104], v[2:3]
	s_clause 0x2
	buffer_load_dword v165, off, s[0:3], 0 offset:636
	buffer_load_dword v104, off, s[0:3], 0 offset:612
	;; [unrolled: 1-line block ×3, first 2 shown]
	s_waitcnt vmcnt(57)
	v_fma_f64 v[171:172], v[93:94], v[107:108], -v[167:168]
	ds_read_b128 v[89:92], v1 offset:1072
	v_fma_f64 v[101:102], v[95:96], v[107:108], v[101:102]
	s_clause 0x4
	buffer_load_dword v108, off, s[0:3], 0 offset:652
	buffer_load_dword v168, off, s[0:3], 0 offset:664
	;; [unrolled: 1-line block ×5, first 2 shown]
	s_waitcnt vmcnt(56)
	v_fma_f64 v[105:106], v[97:98], v[115:116], -v[105:106]
	ds_read_b128 v[93:96], v1 offset:1088
	v_fma_f64 v[115:116], v[99:100], v[115:116], v[169:170]
	v_add_f64 v[160:161], v[160:161], 0
	v_add_f64 v[2:3], v[2:3], 0
	s_waitcnt lgkmcnt(1)
	v_mul_f64 v[174:175], v[89:90], v[109:110]
	v_mul_f64 v[109:110], v[91:92], v[109:110]
	v_add_f64 v[160:161], v[160:161], v[171:172]
	v_add_f64 v[2:3], v[2:3], v[101:102]
	s_clause 0x2
	buffer_load_dword v169, off, s[0:3], 0 offset:668
	buffer_load_dword v102, off, s[0:3], 0 offset:644
	;; [unrolled: 1-line block ×3, first 2 shown]
	s_waitcnt vmcnt(58) lgkmcnt(0)
	v_mul_f64 v[170:171], v[93:94], v[111:112]
	v_mul_f64 v[111:112], v[95:96], v[111:112]
	s_waitcnt vmcnt(56)
	v_fma_f64 v[109:110], v[89:90], v[117:118], -v[109:110]
	ds_read_b128 v[97:100], v1 offset:1104
	v_fma_f64 v[117:118], v[91:92], v[117:118], v[174:175]
	v_add_f64 v[105:106], v[160:161], v[105:106]
	v_add_f64 v[2:3], v[2:3], v[115:116]
	s_clause 0x2
	buffer_load_dword v116, off, s[0:3], 0 offset:684
	buffer_load_dword v115, off, s[0:3], 0 offset:680
	;; [unrolled: 1-line block ×3, first 2 shown]
	ds_read_b128 v[89:92], v1 offset:1120
	s_waitcnt vmcnt(55) lgkmcnt(1)
	v_mul_f64 v[160:161], v[97:98], v[119:120]
	v_mul_f64 v[119:120], v[99:100], v[119:120]
	s_waitcnt vmcnt(54)
	v_fma_f64 v[111:112], v[93:94], v[113:114], -v[111:112]
	v_add_f64 v[105:106], v[105:106], v[109:110]
	v_fma_f64 v[109:110], v[95:96], v[113:114], v[170:171]
	v_add_f64 v[2:3], v[2:3], v[117:118]
	s_clause 0x1
	buffer_load_dword v114, off, s[0:3], 0 offset:676
	buffer_load_dword v113, off, s[0:3], 0 offset:672
	s_waitcnt vmcnt(55) lgkmcnt(0)
	v_mul_f64 v[117:118], v[89:90], v[121:122]
	v_mul_f64 v[121:122], v[91:92], v[121:122]
	s_waitcnt vmcnt(53)
	v_fma_f64 v[119:120], v[97:98], v[125:126], -v[119:120]
	ds_read_b128 v[93:96], v1 offset:1136
	v_add_f64 v[105:106], v[105:106], v[111:112]
	v_fma_f64 v[111:112], v[99:100], v[125:126], v[160:161]
	v_add_f64 v[2:3], v[2:3], v[109:110]
	ds_read_b128 v[97:100], v1 offset:1152
	s_waitcnt vmcnt(48)
	v_fma_f64 v[117:118], v[91:92], v[123:124], v[117:118]
	s_waitcnt lgkmcnt(1)
	v_mul_f64 v[125:126], v[95:96], v[127:128]
	v_fma_f64 v[121:122], v[89:90], v[123:124], -v[121:122]
	v_mul_f64 v[109:110], v[93:94], v[127:128]
	v_add_f64 v[105:106], v[105:106], v[119:120]
	s_waitcnt vmcnt(47) lgkmcnt(0)
	v_mul_f64 v[127:128], v[99:100], v[129:130]
	v_add_f64 v[2:3], v[2:3], v[111:112]
	s_clause 0x3
	buffer_load_dword v111, off, s[0:3], 0 offset:352
	buffer_load_dword v112, off, s[0:3], 0 offset:356
	buffer_load_dword v119, off, s[0:3], 0 offset:360
	buffer_load_dword v120, off, s[0:3], 0 offset:364
	ds_read_b128 v[89:92], v1 offset:1168
	s_waitcnt vmcnt(49)
	v_fma_f64 v[125:126], v[93:94], v[133:134], -v[125:126]
	v_mul_f64 v[123:124], v[97:98], v[129:130]
	v_fma_f64 v[109:110], v[95:96], v[133:134], v[109:110]
	ds_read_b128 v[93:96], v1 offset:1184
	v_add_f64 v[105:106], v[105:106], v[121:122]
	s_waitcnt vmcnt(44)
	v_fma_f64 v[127:128], v[97:98], v[131:132], -v[127:128]
	v_add_f64 v[2:3], v[2:3], v[117:118]
	s_waitcnt lgkmcnt(1)
	v_mul_f64 v[121:122], v[91:92], v[135:136]
	v_mul_f64 v[117:118], v[89:90], v[135:136]
	v_fma_f64 v[123:124], v[99:100], v[131:132], v[123:124]
	ds_read_b128 v[97:100], v1 offset:1200
	v_add_f64 v[105:106], v[105:106], v[125:126]
	s_waitcnt vmcnt(43) lgkmcnt(1)
	v_mul_f64 v[125:126], v[95:96], v[137:138]
	v_add_f64 v[2:3], v[2:3], v[109:110]
	s_waitcnt vmcnt(41)
	v_fma_f64 v[121:122], v[89:90], v[141:142], -v[121:122]
	v_mul_f64 v[109:110], v[93:94], v[137:138]
	v_fma_f64 v[117:118], v[91:92], v[141:142], v[117:118]
	ds_read_b128 v[89:92], v1 offset:1216
	v_add_f64 v[105:106], v[105:106], v[127:128]
	s_waitcnt vmcnt(37) lgkmcnt(1)
	v_mul_f64 v[127:128], v[99:100], v[143:144]
	v_add_f64 v[2:3], v[2:3], v[123:124]
	s_waitcnt vmcnt(36)
	v_fma_f64 v[125:126], v[93:94], v[139:140], -v[125:126]
	;; [unrolled: 9-line block ×6, first 2 shown]
	v_mul_f64 v[117:118], v[89:90], v[162:163]
	v_fma_f64 v[123:124], v[99:100], v[156:157], v[123:124]
	ds_read_b128 v[97:100], v1 offset:1296
	v_add_f64 v[105:106], v[105:106], v[125:126]
	v_add_f64 v[2:3], v[2:3], v[109:110]
	s_waitcnt vmcnt(19) lgkmcnt(1)
	v_mul_f64 v[125:126], v[95:96], v[164:165]
	v_mul_f64 v[109:110], v[93:94], v[164:165]
	s_waitcnt vmcnt(17)
	v_fma_f64 v[121:122], v[89:90], v[103:104], -v[121:122]
	v_fma_f64 v[103:104], v[91:92], v[103:104], v[117:118]
	ds_read_b128 v[89:92], v1 offset:1312
	s_waitcnt vmcnt(13) lgkmcnt(1)
	v_mul_f64 v[117:118], v[97:98], v[107:108]
	v_mul_f64 v[107:108], v[99:100], v[107:108]
	v_add_f64 v[105:106], v[105:106], v[127:128]
	v_add_f64 v[2:3], v[2:3], v[123:124]
	s_waitcnt vmcnt(12)
	v_fma_f64 v[93:94], v[93:94], v[166:167], -v[125:126]
	v_fma_f64 v[95:96], v[95:96], v[166:167], v[109:110]
	v_add_f64 v[105:106], v[105:106], v[121:122]
	v_add_f64 v[103:104], v[2:3], v[103:104]
	ds_read_b128 v[1:4], v1 offset:1328
	s_waitcnt vmcnt(11) lgkmcnt(1)
	v_mul_f64 v[121:122], v[91:92], v[168:169]
	v_mul_f64 v[109:110], v[89:90], v[168:169]
	s_waitcnt vmcnt(9)
	v_fma_f64 v[97:98], v[97:98], v[101:102], -v[107:108]
	v_fma_f64 v[99:100], v[99:100], v[101:102], v[117:118]
	v_add_f64 v[93:94], v[105:106], v[93:94]
	v_add_f64 v[95:96], v[103:104], v[95:96]
	s_waitcnt vmcnt(7) lgkmcnt(0)
	v_mul_f64 v[103:104], v[3:4], v[115:116]
	s_waitcnt vmcnt(6)
	v_fma_f64 v[89:90], v[89:90], v[173:174], -v[121:122]
	v_mul_f64 v[101:102], v[1:2], v[115:116]
	v_fma_f64 v[91:92], v[91:92], v[173:174], v[109:110]
	v_add_f64 v[93:94], v[93:94], v[97:98]
	v_add_f64 v[95:96], v[95:96], v[99:100]
	s_waitcnt vmcnt(4)
	v_fma_f64 v[1:2], v[1:2], v[113:114], -v[103:104]
	v_fma_f64 v[3:4], v[3:4], v[113:114], v[101:102]
	v_add_f64 v[89:90], v[93:94], v[89:90]
	v_add_f64 v[91:92], v[95:96], v[91:92]
	;; [unrolled: 1-line block ×4, first 2 shown]
	s_waitcnt vmcnt(2)
	v_add_f64 v[1:2], v[111:112], -v[1:2]
	s_waitcnt vmcnt(0)
	v_add_f64 v[3:4], v[119:120], -v[3:4]
	buffer_store_dword v2, off, s[0:3], 0 offset:356
	buffer_store_dword v1, off, s[0:3], 0 offset:352
	;; [unrolled: 1-line block ×4, first 2 shown]
	v_cmpx_lt_u32_e32 20, v0
	s_cbranch_execz .LBB105_225
; %bb.224:
	v_mov_b32_e32 v4, s34
	v_mov_b32_e32 v89, 0
	s_clause 0x3
	buffer_load_dword v1, v4, s[0:3], 0 offen
	buffer_load_dword v2, v4, s[0:3], 0 offen offset:4
	buffer_load_dword v3, v4, s[0:3], 0 offen offset:8
	;; [unrolled: 1-line block ×3, first 2 shown]
	buffer_store_dword v89, off, s[0:3], 0 offset:336
	buffer_store_dword v89, off, s[0:3], 0 offset:340
	;; [unrolled: 1-line block ×4, first 2 shown]
	s_waitcnt vmcnt(0)
	ds_write_b128 v145, v[1:4]
.LBB105_225:
	s_or_b32 exec_lo, exec_lo, s4
	s_waitcnt lgkmcnt(0)
	s_waitcnt_vscnt null, 0x0
	s_barrier
	buffer_gl0_inv
	s_clause 0x37
	buffer_load_dword v2, off, s[0:3], 0 offset:360
	buffer_load_dword v3, off, s[0:3], 0 offset:364
	buffer_load_dword v101, off, s[0:3], 0 offset:376
	buffer_load_dword v102, off, s[0:3], 0 offset:380
	buffer_load_dword v103, off, s[0:3], 0 offset:352
	buffer_load_dword v104, off, s[0:3], 0 offset:356
	buffer_load_dword v105, off, s[0:3], 0 offset:392
	buffer_load_dword v106, off, s[0:3], 0 offset:396
	buffer_load_dword v107, off, s[0:3], 0 offset:368
	buffer_load_dword v108, off, s[0:3], 0 offset:372
	buffer_load_dword v110, off, s[0:3], 0 offset:412
	buffer_load_dword v111, off, s[0:3], 0 offset:424
	buffer_load_dword v113, off, s[0:3], 0 offset:416
	buffer_load_dword v109, off, s[0:3], 0 offset:408
	buffer_load_dword v115, off, s[0:3], 0 offset:384
	buffer_load_dword v116, off, s[0:3], 0 offset:388
	buffer_load_dword v112, off, s[0:3], 0 offset:428
	buffer_load_dword v118, off, s[0:3], 0 offset:404
	buffer_load_dword v117, off, s[0:3], 0 offset:400
	buffer_load_dword v120, off, s[0:3], 0 offset:444
	buffer_load_dword v121, off, s[0:3], 0 offset:456
	buffer_load_dword v123, off, s[0:3], 0 offset:448
	buffer_load_dword v119, off, s[0:3], 0 offset:440
	buffer_load_dword v114, off, s[0:3], 0 offset:420
	buffer_load_dword v122, off, s[0:3], 0 offset:460
	buffer_load_dword v126, off, s[0:3], 0 offset:436
	buffer_load_dword v125, off, s[0:3], 0 offset:432
	buffer_load_dword v128, off, s[0:3], 0 offset:476
	buffer_load_dword v129, off, s[0:3], 0 offset:488
	buffer_load_dword v131, off, s[0:3], 0 offset:480
	buffer_load_dword v127, off, s[0:3], 0 offset:472
	buffer_load_dword v124, off, s[0:3], 0 offset:452
	buffer_load_dword v130, off, s[0:3], 0 offset:492
	buffer_load_dword v134, off, s[0:3], 0 offset:468
	buffer_load_dword v133, off, s[0:3], 0 offset:464
	buffer_load_dword v136, off, s[0:3], 0 offset:508
	buffer_load_dword v137, off, s[0:3], 0 offset:520
	buffer_load_dword v139, off, s[0:3], 0 offset:512
	buffer_load_dword v135, off, s[0:3], 0 offset:504
	buffer_load_dword v132, off, s[0:3], 0 offset:484
	buffer_load_dword v138, off, s[0:3], 0 offset:524
	buffer_load_dword v142, off, s[0:3], 0 offset:500
	buffer_load_dword v141, off, s[0:3], 0 offset:496
	buffer_load_dword v144, off, s[0:3], 0 offset:540
	buffer_load_dword v146, off, s[0:3], 0 offset:552
	buffer_load_dword v148, off, s[0:3], 0 offset:544
	buffer_load_dword v143, off, s[0:3], 0 offset:536
	buffer_load_dword v140, off, s[0:3], 0 offset:516
	buffer_load_dword v147, off, s[0:3], 0 offset:556
	buffer_load_dword v151, off, s[0:3], 0 offset:532
	buffer_load_dword v150, off, s[0:3], 0 offset:528
	buffer_load_dword v153, off, s[0:3], 0 offset:572
	buffer_load_dword v154, off, s[0:3], 0 offset:584
	buffer_load_dword v156, off, s[0:3], 0 offset:576
	buffer_load_dword v152, off, s[0:3], 0 offset:568
	buffer_load_dword v149, off, s[0:3], 0 offset:548
	v_mov_b32_e32 v1, 0
	s_mov_b32 s4, exec_lo
	ds_read_b128 v[89:92], v1 offset:1008
	s_clause 0x2
	buffer_load_dword v155, off, s[0:3], 0 offset:588
	buffer_load_dword v159, off, s[0:3], 0 offset:564
	buffer_load_dword v158, off, s[0:3], 0 offset:560
	ds_read_b128 v[93:96], v1 offset:1024
	s_clause 0x4
	buffer_load_dword v163, off, s[0:3], 0 offset:604
	buffer_load_dword v164, off, s[0:3], 0 offset:616
	;; [unrolled: 1-line block ×5, first 2 shown]
	ds_read_b128 v[97:100], v1 offset:1040
	s_waitcnt vmcnt(62) lgkmcnt(2)
	v_mul_f64 v[160:161], v[91:92], v[2:3]
	v_mul_f64 v[2:3], v[89:90], v[2:3]
	s_waitcnt vmcnt(60) lgkmcnt(1)
	v_mul_f64 v[167:168], v[95:96], v[101:102]
	v_mul_f64 v[101:102], v[93:94], v[101:102]
	;; [unrolled: 3-line block ×3, first 2 shown]
	v_fma_f64 v[160:161], v[89:90], v[103:104], -v[160:161]
	v_fma_f64 v[2:3], v[91:92], v[103:104], v[2:3]
	s_clause 0x2
	buffer_load_dword v165, off, s[0:3], 0 offset:620
	buffer_load_dword v104, off, s[0:3], 0 offset:596
	;; [unrolled: 1-line block ×3, first 2 shown]
	s_waitcnt vmcnt(57)
	v_fma_f64 v[171:172], v[93:94], v[107:108], -v[167:168]
	ds_read_b128 v[89:92], v1 offset:1056
	v_fma_f64 v[101:102], v[95:96], v[107:108], v[101:102]
	s_clause 0x4
	buffer_load_dword v108, off, s[0:3], 0 offset:636
	buffer_load_dword v168, off, s[0:3], 0 offset:648
	;; [unrolled: 1-line block ×5, first 2 shown]
	s_waitcnt vmcnt(56)
	v_fma_f64 v[105:106], v[97:98], v[115:116], -v[105:106]
	ds_read_b128 v[93:96], v1 offset:1072
	v_fma_f64 v[115:116], v[99:100], v[115:116], v[169:170]
	v_add_f64 v[160:161], v[160:161], 0
	v_add_f64 v[2:3], v[2:3], 0
	s_waitcnt lgkmcnt(1)
	v_mul_f64 v[174:175], v[89:90], v[109:110]
	v_mul_f64 v[109:110], v[91:92], v[109:110]
	v_add_f64 v[160:161], v[160:161], v[171:172]
	v_add_f64 v[2:3], v[2:3], v[101:102]
	s_clause 0x2
	buffer_load_dword v169, off, s[0:3], 0 offset:652
	buffer_load_dword v102, off, s[0:3], 0 offset:628
	;; [unrolled: 1-line block ×3, first 2 shown]
	s_waitcnt vmcnt(58) lgkmcnt(0)
	v_mul_f64 v[170:171], v[93:94], v[111:112]
	v_mul_f64 v[111:112], v[95:96], v[111:112]
	s_waitcnt vmcnt(56)
	v_fma_f64 v[109:110], v[89:90], v[117:118], -v[109:110]
	ds_read_b128 v[97:100], v1 offset:1088
	v_fma_f64 v[117:118], v[91:92], v[117:118], v[174:175]
	v_add_f64 v[105:106], v[160:161], v[105:106]
	v_add_f64 v[2:3], v[2:3], v[115:116]
	s_clause 0x4
	buffer_load_dword v116, off, s[0:3], 0 offset:668
	buffer_load_dword v160, off, s[0:3], 0 offset:680
	;; [unrolled: 1-line block ×5, first 2 shown]
	ds_read_b128 v[89:92], v1 offset:1104
	s_waitcnt vmcnt(57) lgkmcnt(1)
	v_mul_f64 v[176:177], v[97:98], v[119:120]
	v_mul_f64 v[119:120], v[99:100], v[119:120]
	s_waitcnt vmcnt(56)
	v_fma_f64 v[111:112], v[93:94], v[113:114], -v[111:112]
	v_add_f64 v[105:106], v[105:106], v[109:110]
	v_fma_f64 v[109:110], v[95:96], v[113:114], v[170:171]
	v_add_f64 v[2:3], v[2:3], v[117:118]
	s_clause 0x2
	buffer_load_dword v161, off, s[0:3], 0 offset:684
	buffer_load_dword v114, off, s[0:3], 0 offset:660
	;; [unrolled: 1-line block ×3, first 2 shown]
	s_waitcnt vmcnt(58) lgkmcnt(0)
	v_mul_f64 v[117:118], v[89:90], v[121:122]
	v_mul_f64 v[121:122], v[91:92], v[121:122]
	s_waitcnt vmcnt(56)
	v_fma_f64 v[119:120], v[97:98], v[125:126], -v[119:120]
	ds_read_b128 v[93:96], v1 offset:1120
	v_add_f64 v[105:106], v[105:106], v[111:112]
	v_fma_f64 v[111:112], v[99:100], v[125:126], v[176:177]
	v_add_f64 v[2:3], v[2:3], v[109:110]
	buffer_load_dword v176, off, s[0:3], 0 offset:676
	ds_read_b128 v[97:100], v1 offset:1136
	s_waitcnt vmcnt(53) lgkmcnt(1)
	v_mul_f64 v[125:126], v[95:96], v[127:128]
	s_waitcnt vmcnt(52)
	v_fma_f64 v[121:122], v[89:90], v[123:124], -v[121:122]
	v_mul_f64 v[109:110], v[93:94], v[127:128]
	v_fma_f64 v[117:118], v[91:92], v[123:124], v[117:118]
	ds_read_b128 v[89:92], v1 offset:1152
	v_add_f64 v[105:106], v[105:106], v[119:120]
	v_add_f64 v[2:3], v[2:3], v[111:112]
	s_waitcnt vmcnt(51) lgkmcnt(1)
	v_mul_f64 v[119:120], v[99:100], v[129:130]
	v_mul_f64 v[111:112], v[97:98], v[129:130]
	s_waitcnt vmcnt(49)
	v_fma_f64 v[123:124], v[93:94], v[133:134], -v[125:126]
	v_fma_f64 v[109:110], v[95:96], v[133:134], v[109:110]
	s_waitcnt vmcnt(45) lgkmcnt(0)
	v_mul_f64 v[127:128], v[91:92], v[135:136]
	v_mul_f64 v[125:126], v[89:90], v[135:136]
	v_add_f64 v[105:106], v[105:106], v[121:122]
	v_add_f64 v[2:3], v[2:3], v[117:118]
	s_clause 0x3
	buffer_load_dword v117, off, s[0:3], 0 offset:336
	buffer_load_dword v118, off, s[0:3], 0 offset:340
	;; [unrolled: 1-line block ×4, first 2 shown]
	s_waitcnt vmcnt(48)
	v_fma_f64 v[119:120], v[97:98], v[131:132], -v[119:120]
	ds_read_b128 v[93:96], v1 offset:1168
	v_fma_f64 v[111:112], v[99:100], v[131:132], v[111:112]
	ds_read_b128 v[97:100], v1 offset:1184
	s_waitcnt vmcnt(45)
	v_fma_f64 v[127:128], v[89:90], v[141:142], -v[127:128]
	v_add_f64 v[105:106], v[105:106], v[123:124]
	v_add_f64 v[2:3], v[2:3], v[109:110]
	s_waitcnt lgkmcnt(1)
	v_mul_f64 v[123:124], v[95:96], v[137:138]
	v_mul_f64 v[109:110], v[93:94], v[137:138]
	v_add_f64 v[105:106], v[105:106], v[119:120]
	v_fma_f64 v[119:120], v[91:92], v[141:142], v[125:126]
	v_add_f64 v[2:3], v[2:3], v[111:112]
	s_waitcnt vmcnt(41) lgkmcnt(0)
	v_mul_f64 v[125:126], v[99:100], v[143:144]
	s_waitcnt vmcnt(40)
	v_fma_f64 v[123:124], v[93:94], v[139:140], -v[123:124]
	ds_read_b128 v[89:92], v1 offset:1200
	v_mul_f64 v[111:112], v[97:98], v[143:144]
	v_fma_f64 v[109:110], v[95:96], v[139:140], v[109:110]
	ds_read_b128 v[93:96], v1 offset:1216
	v_add_f64 v[105:106], v[105:106], v[127:128]
	v_add_f64 v[2:3], v[2:3], v[119:120]
	s_waitcnt vmcnt(39) lgkmcnt(1)
	v_mul_f64 v[127:128], v[91:92], v[146:147]
	s_waitcnt vmcnt(37)
	v_fma_f64 v[125:126], v[97:98], v[150:151], -v[125:126]
	v_mul_f64 v[119:120], v[89:90], v[146:147]
	v_fma_f64 v[111:112], v[99:100], v[150:151], v[111:112]
	ds_read_b128 v[97:100], v1 offset:1232
	v_add_f64 v[105:106], v[105:106], v[123:124]
	s_waitcnt vmcnt(33) lgkmcnt(1)
	v_mul_f64 v[123:124], v[95:96], v[152:153]
	v_add_f64 v[2:3], v[2:3], v[109:110]
	s_waitcnt vmcnt(32)
	v_fma_f64 v[127:128], v[89:90], v[148:149], -v[127:128]
	v_mul_f64 v[109:110], v[93:94], v[152:153]
	v_fma_f64 v[119:120], v[91:92], v[148:149], v[119:120]
	ds_read_b128 v[89:92], v1 offset:1248
	v_add_f64 v[105:106], v[105:106], v[125:126]
	s_waitcnt vmcnt(31) lgkmcnt(1)
	v_mul_f64 v[125:126], v[99:100], v[154:155]
	v_add_f64 v[2:3], v[2:3], v[111:112]
	;; [unrolled: 9-line block ×3, first 2 shown]
	s_waitcnt vmcnt(24)
	v_fma_f64 v[125:126], v[97:98], v[156:157], -v[125:126]
	v_mul_f64 v[119:120], v[89:90], v[162:163]
	v_fma_f64 v[111:112], v[99:100], v[156:157], v[111:112]
	ds_read_b128 v[97:100], v1 offset:1280
	v_add_f64 v[105:106], v[105:106], v[123:124]
	v_add_f64 v[2:3], v[2:3], v[109:110]
	s_waitcnt vmcnt(23) lgkmcnt(1)
	v_mul_f64 v[123:124], v[95:96], v[164:165]
	v_mul_f64 v[109:110], v[93:94], v[164:165]
	s_waitcnt vmcnt(21)
	v_fma_f64 v[127:128], v[89:90], v[103:104], -v[127:128]
	v_fma_f64 v[103:104], v[91:92], v[103:104], v[119:120]
	ds_read_b128 v[89:92], v1 offset:1296
	v_add_f64 v[105:106], v[105:106], v[125:126]
	v_add_f64 v[2:3], v[2:3], v[111:112]
	s_waitcnt vmcnt(17) lgkmcnt(1)
	v_mul_f64 v[111:112], v[97:98], v[107:108]
	v_mul_f64 v[107:108], v[99:100], v[107:108]
	s_waitcnt vmcnt(16)
	v_fma_f64 v[119:120], v[93:94], v[166:167], -v[123:124]
	;; [unrolled: 9-line block ×3, first 2 shown]
	v_fma_f64 v[101:102], v[99:100], v[101:102], v[111:112]
	ds_read_b128 v[97:100], v1 offset:1328
	v_add_f64 v[105:106], v[105:106], v[119:120]
	v_add_f64 v[2:3], v[2:3], v[109:110]
	s_waitcnt vmcnt(9) lgkmcnt(1)
	v_mul_f64 v[111:112], v[95:96], v[115:116]
	s_waitcnt vmcnt(8)
	v_fma_f64 v[89:90], v[89:90], v[173:174], -v[123:124]
	v_mul_f64 v[109:110], v[93:94], v[115:116]
	v_fma_f64 v[91:92], v[91:92], v[173:174], v[103:104]
	v_add_f64 v[105:106], v[105:106], v[107:108]
	v_add_f64 v[2:3], v[2:3], v[101:102]
	s_waitcnt vmcnt(7) lgkmcnt(0)
	v_mul_f64 v[103:104], v[99:100], v[160:161]
	v_mul_f64 v[101:102], v[97:98], v[160:161]
	s_waitcnt vmcnt(5)
	v_fma_f64 v[93:94], v[93:94], v[113:114], -v[111:112]
	v_fma_f64 v[95:96], v[95:96], v[113:114], v[109:110]
	v_add_f64 v[89:90], v[105:106], v[89:90]
	v_add_f64 v[2:3], v[2:3], v[91:92]
	s_waitcnt vmcnt(4)
	v_fma_f64 v[91:92], v[97:98], v[175:176], -v[103:104]
	v_add_f64 v[89:90], v[89:90], v[93:94]
	v_fma_f64 v[93:94], v[99:100], v[175:176], v[101:102]
	v_add_f64 v[2:3], v[2:3], v[95:96]
	v_add_f64 v[89:90], v[89:90], v[91:92]
	;; [unrolled: 1-line block ×3, first 2 shown]
	s_waitcnt vmcnt(2)
	v_add_f64 v[89:90], v[117:118], -v[89:90]
	s_waitcnt vmcnt(0)
	v_add_f64 v[2:3], v[121:122], -v[2:3]
	buffer_store_dword v90, off, s[0:3], 0 offset:340
	buffer_store_dword v89, off, s[0:3], 0 offset:336
	;; [unrolled: 1-line block ×4, first 2 shown]
	v_cmpx_lt_u32_e32 19, v0
	s_cbranch_execz .LBB105_227
; %bb.226:
	v_mov_b32_e32 v2, s35
	s_clause 0x3
	buffer_load_dword v89, v2, s[0:3], 0 offen
	buffer_load_dword v90, v2, s[0:3], 0 offen offset:4
	buffer_load_dword v91, v2, s[0:3], 0 offen offset:8
	;; [unrolled: 1-line block ×3, first 2 shown]
	buffer_store_dword v1, off, s[0:3], 0 offset:320
	buffer_store_dword v1, off, s[0:3], 0 offset:324
	;; [unrolled: 1-line block ×4, first 2 shown]
	s_waitcnt vmcnt(0)
	ds_write_b128 v145, v[89:92]
.LBB105_227:
	s_or_b32 exec_lo, exec_lo, s4
	s_waitcnt lgkmcnt(0)
	s_waitcnt_vscnt null, 0x0
	s_barrier
	buffer_gl0_inv
	s_clause 0x37
	buffer_load_dword v2, off, s[0:3], 0 offset:344
	buffer_load_dword v3, off, s[0:3], 0 offset:348
	;; [unrolled: 1-line block ×56, first 2 shown]
	ds_read_b128 v[89:92], v1 offset:992
	s_clause 0x2
	buffer_load_dword v155, off, s[0:3], 0 offset:572
	buffer_load_dword v159, off, s[0:3], 0 offset:548
	;; [unrolled: 1-line block ×3, first 2 shown]
	ds_read_b128 v[93:96], v1 offset:1008
	s_clause 0x4
	buffer_load_dword v163, off, s[0:3], 0 offset:588
	buffer_load_dword v164, off, s[0:3], 0 offset:600
	;; [unrolled: 1-line block ×5, first 2 shown]
	ds_read_b128 v[97:100], v1 offset:1024
	s_mov_b32 s4, exec_lo
	s_waitcnt vmcnt(62) lgkmcnt(2)
	v_mul_f64 v[160:161], v[91:92], v[2:3]
	v_mul_f64 v[2:3], v[89:90], v[2:3]
	s_waitcnt vmcnt(60) lgkmcnt(1)
	v_mul_f64 v[167:168], v[95:96], v[101:102]
	v_mul_f64 v[101:102], v[93:94], v[101:102]
	;; [unrolled: 3-line block ×3, first 2 shown]
	v_fma_f64 v[160:161], v[89:90], v[103:104], -v[160:161]
	v_fma_f64 v[2:3], v[91:92], v[103:104], v[2:3]
	s_clause 0x2
	buffer_load_dword v165, off, s[0:3], 0 offset:604
	buffer_load_dword v104, off, s[0:3], 0 offset:580
	;; [unrolled: 1-line block ×3, first 2 shown]
	s_waitcnt vmcnt(57)
	v_fma_f64 v[171:172], v[93:94], v[107:108], -v[167:168]
	ds_read_b128 v[89:92], v1 offset:1040
	v_fma_f64 v[101:102], v[95:96], v[107:108], v[101:102]
	s_clause 0x4
	buffer_load_dword v108, off, s[0:3], 0 offset:620
	buffer_load_dword v168, off, s[0:3], 0 offset:632
	;; [unrolled: 1-line block ×5, first 2 shown]
	s_waitcnt vmcnt(56)
	v_fma_f64 v[105:106], v[97:98], v[115:116], -v[105:106]
	ds_read_b128 v[93:96], v1 offset:1056
	v_fma_f64 v[115:116], v[99:100], v[115:116], v[169:170]
	v_add_f64 v[160:161], v[160:161], 0
	v_add_f64 v[2:3], v[2:3], 0
	s_waitcnt lgkmcnt(1)
	v_mul_f64 v[174:175], v[89:90], v[109:110]
	v_mul_f64 v[109:110], v[91:92], v[109:110]
	v_add_f64 v[160:161], v[160:161], v[171:172]
	v_add_f64 v[2:3], v[2:3], v[101:102]
	s_clause 0x2
	buffer_load_dword v169, off, s[0:3], 0 offset:636
	buffer_load_dword v102, off, s[0:3], 0 offset:612
	;; [unrolled: 1-line block ×3, first 2 shown]
	s_waitcnt vmcnt(58) lgkmcnt(0)
	v_mul_f64 v[170:171], v[93:94], v[111:112]
	v_mul_f64 v[111:112], v[95:96], v[111:112]
	s_waitcnt vmcnt(56)
	v_fma_f64 v[109:110], v[89:90], v[117:118], -v[109:110]
	ds_read_b128 v[97:100], v1 offset:1072
	v_fma_f64 v[117:118], v[91:92], v[117:118], v[174:175]
	v_add_f64 v[105:106], v[160:161], v[105:106]
	v_add_f64 v[2:3], v[2:3], v[115:116]
	s_clause 0x4
	buffer_load_dword v116, off, s[0:3], 0 offset:652
	buffer_load_dword v160, off, s[0:3], 0 offset:664
	;; [unrolled: 1-line block ×5, first 2 shown]
	ds_read_b128 v[89:92], v1 offset:1088
	s_waitcnt vmcnt(57) lgkmcnt(1)
	v_mul_f64 v[176:177], v[97:98], v[119:120]
	v_mul_f64 v[119:120], v[99:100], v[119:120]
	s_waitcnt vmcnt(56)
	v_fma_f64 v[111:112], v[93:94], v[113:114], -v[111:112]
	v_add_f64 v[105:106], v[105:106], v[109:110]
	v_fma_f64 v[109:110], v[95:96], v[113:114], v[170:171]
	v_add_f64 v[2:3], v[2:3], v[117:118]
	s_clause 0x2
	buffer_load_dword v161, off, s[0:3], 0 offset:668
	buffer_load_dword v114, off, s[0:3], 0 offset:644
	;; [unrolled: 1-line block ×3, first 2 shown]
	s_waitcnt vmcnt(58) lgkmcnt(0)
	v_mul_f64 v[117:118], v[89:90], v[121:122]
	v_mul_f64 v[121:122], v[91:92], v[121:122]
	s_waitcnt vmcnt(56)
	v_fma_f64 v[119:120], v[97:98], v[125:126], -v[119:120]
	ds_read_b128 v[93:96], v1 offset:1104
	v_add_f64 v[105:106], v[105:106], v[111:112]
	v_fma_f64 v[111:112], v[99:100], v[125:126], v[176:177]
	v_add_f64 v[2:3], v[2:3], v[109:110]
	s_clause 0x2
	buffer_load_dword v110, off, s[0:3], 0 offset:684
	buffer_load_dword v109, off, s[0:3], 0 offset:680
	;; [unrolled: 1-line block ×3, first 2 shown]
	ds_read_b128 v[97:100], v1 offset:1120
	s_waitcnt vmcnt(55) lgkmcnt(1)
	v_mul_f64 v[125:126], v[93:94], v[127:128]
	v_mul_f64 v[127:128], v[95:96], v[127:128]
	s_waitcnt vmcnt(54)
	v_fma_f64 v[121:122], v[89:90], v[123:124], -v[121:122]
	v_fma_f64 v[117:118], v[91:92], v[123:124], v[117:118]
	v_add_f64 v[105:106], v[105:106], v[119:120]
	v_add_f64 v[2:3], v[2:3], v[111:112]
	s_clause 0x1
	buffer_load_dword v112, off, s[0:3], 0 offset:676
	buffer_load_dword v111, off, s[0:3], 0 offset:672
	s_waitcnt vmcnt(55) lgkmcnt(0)
	v_mul_f64 v[123:124], v[99:100], v[129:130]
	ds_read_b128 v[89:92], v1 offset:1136
	s_waitcnt vmcnt(53)
	v_fma_f64 v[127:128], v[93:94], v[133:134], -v[127:128]
	v_mul_f64 v[119:120], v[97:98], v[129:130]
	v_add_f64 v[105:106], v[105:106], v[121:122]
	v_fma_f64 v[121:122], v[95:96], v[133:134], v[125:126]
	v_add_f64 v[2:3], v[2:3], v[117:118]
	ds_read_b128 v[93:96], v1 offset:1152
	s_waitcnt vmcnt(49) lgkmcnt(1)
	v_mul_f64 v[125:126], v[91:92], v[135:136]
	s_waitcnt vmcnt(48)
	v_fma_f64 v[123:124], v[97:98], v[131:132], -v[123:124]
	v_mul_f64 v[117:118], v[89:90], v[135:136]
	v_fma_f64 v[119:120], v[99:100], v[131:132], v[119:120]
	v_add_f64 v[105:106], v[105:106], v[127:128]
	s_waitcnt vmcnt(47) lgkmcnt(0)
	v_mul_f64 v[131:132], v[95:96], v[137:138]
	v_add_f64 v[2:3], v[2:3], v[121:122]
	s_clause 0x3
	buffer_load_dword v121, off, s[0:3], 0 offset:320
	buffer_load_dword v122, off, s[0:3], 0 offset:324
	;; [unrolled: 1-line block ×4, first 2 shown]
	s_waitcnt vmcnt(49)
	v_fma_f64 v[125:126], v[89:90], v[141:142], -v[125:126]
	ds_read_b128 v[97:100], v1 offset:1168
	v_mul_f64 v[129:130], v[93:94], v[137:138]
	v_fma_f64 v[117:118], v[91:92], v[141:142], v[117:118]
	ds_read_b128 v[89:92], v1 offset:1184
	v_add_f64 v[105:106], v[105:106], v[123:124]
	s_waitcnt vmcnt(44)
	v_fma_f64 v[131:132], v[93:94], v[139:140], -v[131:132]
	v_add_f64 v[2:3], v[2:3], v[119:120]
	s_waitcnt lgkmcnt(1)
	v_mul_f64 v[123:124], v[99:100], v[143:144]
	v_mul_f64 v[119:120], v[97:98], v[143:144]
	v_add_f64 v[105:106], v[105:106], v[125:126]
	v_fma_f64 v[125:126], v[95:96], v[139:140], v[129:130]
	v_add_f64 v[2:3], v[2:3], v[117:118]
	s_waitcnt vmcnt(43) lgkmcnt(0)
	v_mul_f64 v[129:130], v[91:92], v[146:147]
	s_waitcnt vmcnt(41)
	v_fma_f64 v[123:124], v[97:98], v[150:151], -v[123:124]
	ds_read_b128 v[93:96], v1 offset:1200
	v_mul_f64 v[117:118], v[89:90], v[146:147]
	v_fma_f64 v[119:120], v[99:100], v[150:151], v[119:120]
	ds_read_b128 v[97:100], v1 offset:1216
	v_add_f64 v[105:106], v[105:106], v[131:132]
	v_add_f64 v[2:3], v[2:3], v[125:126]
	s_waitcnt vmcnt(37) lgkmcnt(1)
	v_mul_f64 v[131:132], v[95:96], v[152:153]
	s_waitcnt vmcnt(36)
	v_fma_f64 v[129:130], v[89:90], v[148:149], -v[129:130]
	v_mul_f64 v[125:126], v[93:94], v[152:153]
	v_fma_f64 v[117:118], v[91:92], v[148:149], v[117:118]
	ds_read_b128 v[89:92], v1 offset:1232
	v_add_f64 v[105:106], v[105:106], v[123:124]
	s_waitcnt vmcnt(35) lgkmcnt(1)
	v_mul_f64 v[123:124], v[99:100], v[154:155]
	v_add_f64 v[2:3], v[2:3], v[119:120]
	s_waitcnt vmcnt(33)
	v_fma_f64 v[131:132], v[93:94], v[158:159], -v[131:132]
	v_mul_f64 v[119:120], v[97:98], v[154:155]
	v_fma_f64 v[125:126], v[95:96], v[158:159], v[125:126]
	ds_read_b128 v[93:96], v1 offset:1248
	v_add_f64 v[105:106], v[105:106], v[129:130]
	s_waitcnt vmcnt(29) lgkmcnt(1)
	v_mul_f64 v[129:130], v[91:92], v[162:163]
	v_add_f64 v[2:3], v[2:3], v[117:118]
	s_waitcnt vmcnt(28)
	v_fma_f64 v[123:124], v[97:98], v[156:157], -v[123:124]
	v_mul_f64 v[117:118], v[89:90], v[162:163]
	v_fma_f64 v[119:120], v[99:100], v[156:157], v[119:120]
	ds_read_b128 v[97:100], v1 offset:1264
	v_add_f64 v[105:106], v[105:106], v[131:132]
	v_add_f64 v[2:3], v[2:3], v[125:126]
	s_waitcnt vmcnt(27) lgkmcnt(1)
	v_mul_f64 v[131:132], v[95:96], v[164:165]
	v_mul_f64 v[125:126], v[93:94], v[164:165]
	s_waitcnt vmcnt(25)
	v_fma_f64 v[129:130], v[89:90], v[103:104], -v[129:130]
	v_fma_f64 v[103:104], v[91:92], v[103:104], v[117:118]
	ds_read_b128 v[89:92], v1 offset:1280
	s_waitcnt vmcnt(21) lgkmcnt(1)
	v_mul_f64 v[117:118], v[97:98], v[107:108]
	v_mul_f64 v[107:108], v[99:100], v[107:108]
	v_add_f64 v[105:106], v[105:106], v[123:124]
	v_add_f64 v[2:3], v[2:3], v[119:120]
	s_waitcnt vmcnt(20)
	v_fma_f64 v[119:120], v[93:94], v[166:167], -v[131:132]
	v_fma_f64 v[123:124], v[95:96], v[166:167], v[125:126]
	ds_read_b128 v[93:96], v1 offset:1296
	v_add_f64 v[105:106], v[105:106], v[129:130]
	v_add_f64 v[2:3], v[2:3], v[103:104]
	s_waitcnt vmcnt(19) lgkmcnt(1)
	v_mul_f64 v[125:126], v[91:92], v[168:169]
	v_mul_f64 v[103:104], v[89:90], v[168:169]
	s_waitcnt vmcnt(17)
	v_fma_f64 v[107:108], v[97:98], v[101:102], -v[107:108]
	v_fma_f64 v[101:102], v[99:100], v[101:102], v[117:118]
	ds_read_b128 v[97:100], v1 offset:1312
	v_add_f64 v[105:106], v[105:106], v[119:120]
	v_add_f64 v[2:3], v[2:3], v[123:124]
	s_waitcnt vmcnt(13) lgkmcnt(1)
	v_mul_f64 v[117:118], v[93:94], v[115:116]
	v_mul_f64 v[115:116], v[95:96], v[115:116]
	s_waitcnt vmcnt(12)
	v_fma_f64 v[89:90], v[89:90], v[173:174], -v[125:126]
	v_fma_f64 v[91:92], v[91:92], v[173:174], v[103:104]
	v_add_f64 v[105:106], v[105:106], v[107:108]
	v_add_f64 v[101:102], v[2:3], v[101:102]
	ds_read_b128 v[1:4], v1 offset:1328
	s_waitcnt vmcnt(11) lgkmcnt(1)
	v_mul_f64 v[107:108], v[99:100], v[160:161]
	v_mul_f64 v[103:104], v[97:98], v[160:161]
	s_waitcnt vmcnt(9)
	v_fma_f64 v[93:94], v[93:94], v[113:114], -v[115:116]
	v_fma_f64 v[95:96], v[95:96], v[113:114], v[117:118]
	v_add_f64 v[89:90], v[105:106], v[89:90]
	v_add_f64 v[91:92], v[101:102], v[91:92]
	s_waitcnt vmcnt(7) lgkmcnt(0)
	v_mul_f64 v[105:106], v[3:4], v[109:110]
	s_waitcnt vmcnt(6)
	v_fma_f64 v[97:98], v[97:98], v[175:176], -v[107:108]
	v_mul_f64 v[101:102], v[1:2], v[109:110]
	v_add_f64 v[89:90], v[89:90], v[93:94]
	v_fma_f64 v[93:94], v[99:100], v[175:176], v[103:104]
	v_add_f64 v[91:92], v[91:92], v[95:96]
	s_waitcnt vmcnt(4)
	v_fma_f64 v[1:2], v[1:2], v[111:112], -v[105:106]
	v_fma_f64 v[3:4], v[3:4], v[111:112], v[101:102]
	v_add_f64 v[89:90], v[89:90], v[97:98]
	v_add_f64 v[91:92], v[91:92], v[93:94]
	;; [unrolled: 1-line block ×4, first 2 shown]
	s_waitcnt vmcnt(2)
	v_add_f64 v[1:2], v[121:122], -v[1:2]
	s_waitcnt vmcnt(0)
	v_add_f64 v[3:4], v[127:128], -v[3:4]
	buffer_store_dword v2, off, s[0:3], 0 offset:324
	buffer_store_dword v1, off, s[0:3], 0 offset:320
	;; [unrolled: 1-line block ×4, first 2 shown]
	v_cmpx_lt_u32_e32 18, v0
	s_cbranch_execz .LBB105_229
; %bb.228:
	v_mov_b32_e32 v4, s36
	v_mov_b32_e32 v89, 0
	s_clause 0x3
	buffer_load_dword v1, v4, s[0:3], 0 offen
	buffer_load_dword v2, v4, s[0:3], 0 offen offset:4
	buffer_load_dword v3, v4, s[0:3], 0 offen offset:8
	;; [unrolled: 1-line block ×3, first 2 shown]
	buffer_store_dword v89, off, s[0:3], 0 offset:304
	buffer_store_dword v89, off, s[0:3], 0 offset:308
	;; [unrolled: 1-line block ×4, first 2 shown]
	s_waitcnt vmcnt(0)
	ds_write_b128 v145, v[1:4]
.LBB105_229:
	s_or_b32 exec_lo, exec_lo, s4
	s_waitcnt lgkmcnt(0)
	s_waitcnt_vscnt null, 0x0
	s_barrier
	buffer_gl0_inv
	s_clause 0x37
	buffer_load_dword v2, off, s[0:3], 0 offset:328
	buffer_load_dword v3, off, s[0:3], 0 offset:332
	;; [unrolled: 1-line block ×56, first 2 shown]
	v_mov_b32_e32 v1, 0
	s_mov_b32 s4, exec_lo
	ds_read_b128 v[89:92], v1 offset:976
	s_clause 0x2
	buffer_load_dword v155, off, s[0:3], 0 offset:556
	buffer_load_dword v159, off, s[0:3], 0 offset:532
	;; [unrolled: 1-line block ×3, first 2 shown]
	ds_read_b128 v[93:96], v1 offset:992
	s_clause 0x4
	buffer_load_dword v163, off, s[0:3], 0 offset:572
	buffer_load_dword v164, off, s[0:3], 0 offset:584
	;; [unrolled: 1-line block ×5, first 2 shown]
	ds_read_b128 v[97:100], v1 offset:1008
	s_waitcnt vmcnt(62) lgkmcnt(2)
	v_mul_f64 v[160:161], v[91:92], v[2:3]
	v_mul_f64 v[2:3], v[89:90], v[2:3]
	s_waitcnt vmcnt(60) lgkmcnt(1)
	v_mul_f64 v[167:168], v[95:96], v[101:102]
	v_mul_f64 v[101:102], v[93:94], v[101:102]
	;; [unrolled: 3-line block ×3, first 2 shown]
	v_fma_f64 v[160:161], v[89:90], v[103:104], -v[160:161]
	v_fma_f64 v[2:3], v[91:92], v[103:104], v[2:3]
	s_clause 0x2
	buffer_load_dword v165, off, s[0:3], 0 offset:588
	buffer_load_dword v104, off, s[0:3], 0 offset:564
	;; [unrolled: 1-line block ×3, first 2 shown]
	s_waitcnt vmcnt(57)
	v_fma_f64 v[171:172], v[93:94], v[107:108], -v[167:168]
	ds_read_b128 v[89:92], v1 offset:1024
	v_fma_f64 v[101:102], v[95:96], v[107:108], v[101:102]
	s_clause 0x4
	buffer_load_dword v108, off, s[0:3], 0 offset:604
	buffer_load_dword v168, off, s[0:3], 0 offset:616
	;; [unrolled: 1-line block ×5, first 2 shown]
	s_waitcnt vmcnt(56)
	v_fma_f64 v[105:106], v[97:98], v[115:116], -v[105:106]
	ds_read_b128 v[93:96], v1 offset:1040
	v_fma_f64 v[115:116], v[99:100], v[115:116], v[169:170]
	v_add_f64 v[160:161], v[160:161], 0
	v_add_f64 v[2:3], v[2:3], 0
	s_waitcnt lgkmcnt(1)
	v_mul_f64 v[174:175], v[89:90], v[109:110]
	v_mul_f64 v[109:110], v[91:92], v[109:110]
	v_add_f64 v[160:161], v[160:161], v[171:172]
	v_add_f64 v[2:3], v[2:3], v[101:102]
	s_clause 0x2
	buffer_load_dword v169, off, s[0:3], 0 offset:620
	buffer_load_dword v102, off, s[0:3], 0 offset:596
	;; [unrolled: 1-line block ×3, first 2 shown]
	s_waitcnt vmcnt(58) lgkmcnt(0)
	v_mul_f64 v[170:171], v[93:94], v[111:112]
	v_mul_f64 v[111:112], v[95:96], v[111:112]
	s_waitcnt vmcnt(56)
	v_fma_f64 v[109:110], v[89:90], v[117:118], -v[109:110]
	ds_read_b128 v[97:100], v1 offset:1056
	v_fma_f64 v[117:118], v[91:92], v[117:118], v[174:175]
	v_add_f64 v[105:106], v[160:161], v[105:106]
	v_add_f64 v[2:3], v[2:3], v[115:116]
	s_clause 0x4
	buffer_load_dword v116, off, s[0:3], 0 offset:636
	buffer_load_dword v160, off, s[0:3], 0 offset:648
	;; [unrolled: 1-line block ×5, first 2 shown]
	ds_read_b128 v[89:92], v1 offset:1072
	s_waitcnt vmcnt(57) lgkmcnt(1)
	v_mul_f64 v[176:177], v[97:98], v[119:120]
	v_mul_f64 v[119:120], v[99:100], v[119:120]
	s_waitcnt vmcnt(56)
	v_fma_f64 v[111:112], v[93:94], v[113:114], -v[111:112]
	v_add_f64 v[105:106], v[105:106], v[109:110]
	v_fma_f64 v[109:110], v[95:96], v[113:114], v[170:171]
	v_add_f64 v[2:3], v[2:3], v[117:118]
	s_clause 0x2
	buffer_load_dword v161, off, s[0:3], 0 offset:652
	buffer_load_dword v114, off, s[0:3], 0 offset:628
	;; [unrolled: 1-line block ×3, first 2 shown]
	s_waitcnt vmcnt(58) lgkmcnt(0)
	v_mul_f64 v[117:118], v[89:90], v[121:122]
	v_mul_f64 v[121:122], v[91:92], v[121:122]
	s_waitcnt vmcnt(56)
	v_fma_f64 v[119:120], v[97:98], v[125:126], -v[119:120]
	ds_read_b128 v[93:96], v1 offset:1088
	v_add_f64 v[105:106], v[105:106], v[111:112]
	v_fma_f64 v[111:112], v[99:100], v[125:126], v[176:177]
	v_add_f64 v[2:3], v[2:3], v[109:110]
	s_clause 0x4
	buffer_load_dword v110, off, s[0:3], 0 offset:668
	buffer_load_dword v125, off, s[0:3], 0 offset:680
	;; [unrolled: 1-line block ×5, first 2 shown]
	ds_read_b128 v[97:100], v1 offset:1104
	s_waitcnt vmcnt(57) lgkmcnt(1)
	v_mul_f64 v[171:172], v[93:94], v[127:128]
	v_mul_f64 v[127:128], v[95:96], v[127:128]
	s_waitcnt vmcnt(56)
	v_fma_f64 v[121:122], v[89:90], v[123:124], -v[121:122]
	v_fma_f64 v[117:118], v[91:92], v[123:124], v[117:118]
	v_add_f64 v[105:106], v[105:106], v[119:120]
	v_add_f64 v[2:3], v[2:3], v[111:112]
	s_clause 0x2
	buffer_load_dword v126, off, s[0:3], 0 offset:684
	buffer_load_dword v112, off, s[0:3], 0 offset:660
	;; [unrolled: 1-line block ×3, first 2 shown]
	s_waitcnt vmcnt(58) lgkmcnt(0)
	v_mul_f64 v[123:124], v[99:100], v[129:130]
	ds_read_b128 v[89:92], v1 offset:1120
	s_waitcnt vmcnt(56)
	v_fma_f64 v[127:128], v[93:94], v[133:134], -v[127:128]
	v_mul_f64 v[119:120], v[97:98], v[129:130]
	v_add_f64 v[105:106], v[105:106], v[121:122]
	v_fma_f64 v[121:122], v[95:96], v[133:134], v[171:172]
	v_add_f64 v[2:3], v[2:3], v[117:118]
	buffer_load_dword v171, off, s[0:3], 0 offset:676
	ds_read_b128 v[93:96], v1 offset:1136
	s_waitcnt vmcnt(53) lgkmcnt(1)
	v_mul_f64 v[129:130], v[91:92], v[135:136]
	s_waitcnt vmcnt(52)
	v_fma_f64 v[123:124], v[97:98], v[131:132], -v[123:124]
	v_mul_f64 v[117:118], v[89:90], v[135:136]
	v_fma_f64 v[119:120], v[99:100], v[131:132], v[119:120]
	ds_read_b128 v[97:100], v1 offset:1152
	v_add_f64 v[105:106], v[105:106], v[127:128]
	v_add_f64 v[2:3], v[2:3], v[121:122]
	s_waitcnt vmcnt(51) lgkmcnt(1)
	v_mul_f64 v[127:128], v[95:96], v[137:138]
	v_mul_f64 v[121:122], v[93:94], v[137:138]
	s_waitcnt vmcnt(49)
	v_fma_f64 v[129:130], v[89:90], v[141:142], -v[129:130]
	v_fma_f64 v[117:118], v[91:92], v[141:142], v[117:118]
	s_waitcnt vmcnt(45) lgkmcnt(0)
	v_mul_f64 v[133:134], v[99:100], v[143:144]
	v_mul_f64 v[131:132], v[97:98], v[143:144]
	v_add_f64 v[105:106], v[105:106], v[123:124]
	v_add_f64 v[2:3], v[2:3], v[119:120]
	s_clause 0x3
	buffer_load_dword v119, off, s[0:3], 0 offset:304
	buffer_load_dword v120, off, s[0:3], 0 offset:308
	;; [unrolled: 1-line block ×4, first 2 shown]
	s_waitcnt vmcnt(48)
	v_fma_f64 v[127:128], v[93:94], v[139:140], -v[127:128]
	ds_read_b128 v[89:92], v1 offset:1168
	v_fma_f64 v[121:122], v[95:96], v[139:140], v[121:122]
	ds_read_b128 v[93:96], v1 offset:1184
	s_waitcnt vmcnt(45)
	v_fma_f64 v[133:134], v[97:98], v[150:151], -v[133:134]
	v_add_f64 v[105:106], v[105:106], v[129:130]
	v_add_f64 v[2:3], v[2:3], v[117:118]
	s_waitcnt lgkmcnt(1)
	v_mul_f64 v[129:130], v[91:92], v[146:147]
	v_mul_f64 v[117:118], v[89:90], v[146:147]
	v_add_f64 v[105:106], v[105:106], v[127:128]
	v_fma_f64 v[127:128], v[99:100], v[150:151], v[131:132]
	v_add_f64 v[2:3], v[2:3], v[121:122]
	s_waitcnt vmcnt(41) lgkmcnt(0)
	v_mul_f64 v[131:132], v[95:96], v[152:153]
	s_waitcnt vmcnt(40)
	v_fma_f64 v[129:130], v[89:90], v[148:149], -v[129:130]
	ds_read_b128 v[97:100], v1 offset:1200
	v_mul_f64 v[121:122], v[93:94], v[152:153]
	v_fma_f64 v[117:118], v[91:92], v[148:149], v[117:118]
	ds_read_b128 v[89:92], v1 offset:1216
	v_add_f64 v[105:106], v[105:106], v[133:134]
	v_add_f64 v[2:3], v[2:3], v[127:128]
	s_waitcnt vmcnt(39) lgkmcnt(1)
	v_mul_f64 v[133:134], v[99:100], v[154:155]
	s_waitcnt vmcnt(37)
	v_fma_f64 v[131:132], v[93:94], v[158:159], -v[131:132]
	v_mul_f64 v[127:128], v[97:98], v[154:155]
	v_fma_f64 v[121:122], v[95:96], v[158:159], v[121:122]
	ds_read_b128 v[93:96], v1 offset:1232
	v_add_f64 v[105:106], v[105:106], v[129:130]
	s_waitcnt vmcnt(33) lgkmcnt(1)
	v_mul_f64 v[129:130], v[91:92], v[162:163]
	v_add_f64 v[2:3], v[2:3], v[117:118]
	s_waitcnt vmcnt(32)
	v_fma_f64 v[133:134], v[97:98], v[156:157], -v[133:134]
	v_mul_f64 v[117:118], v[89:90], v[162:163]
	v_fma_f64 v[127:128], v[99:100], v[156:157], v[127:128]
	ds_read_b128 v[97:100], v1 offset:1248
	v_add_f64 v[105:106], v[105:106], v[131:132]
	v_add_f64 v[2:3], v[2:3], v[121:122]
	s_waitcnt vmcnt(31) lgkmcnt(1)
	v_mul_f64 v[131:132], v[95:96], v[164:165]
	v_mul_f64 v[121:122], v[93:94], v[164:165]
	s_waitcnt vmcnt(29)
	v_fma_f64 v[129:130], v[89:90], v[103:104], -v[129:130]
	v_fma_f64 v[103:104], v[91:92], v[103:104], v[117:118]
	ds_read_b128 v[89:92], v1 offset:1264
	s_waitcnt vmcnt(25) lgkmcnt(1)
	v_mul_f64 v[117:118], v[97:98], v[107:108]
	v_mul_f64 v[107:108], v[99:100], v[107:108]
	v_add_f64 v[105:106], v[105:106], v[133:134]
	v_add_f64 v[2:3], v[2:3], v[127:128]
	s_waitcnt vmcnt(24)
	v_fma_f64 v[127:128], v[93:94], v[166:167], -v[131:132]
	v_fma_f64 v[121:122], v[95:96], v[166:167], v[121:122]
	ds_read_b128 v[93:96], v1 offset:1280
	v_add_f64 v[105:106], v[105:106], v[129:130]
	v_add_f64 v[2:3], v[2:3], v[103:104]
	s_waitcnt vmcnt(23) lgkmcnt(1)
	v_mul_f64 v[129:130], v[91:92], v[168:169]
	v_mul_f64 v[103:104], v[89:90], v[168:169]
	s_waitcnt vmcnt(21)
	v_fma_f64 v[107:108], v[97:98], v[101:102], -v[107:108]
	v_fma_f64 v[101:102], v[99:100], v[101:102], v[117:118]
	ds_read_b128 v[97:100], v1 offset:1296
	v_add_f64 v[105:106], v[105:106], v[127:128]
	v_add_f64 v[2:3], v[2:3], v[121:122]
	s_waitcnt vmcnt(17) lgkmcnt(1)
	v_mul_f64 v[117:118], v[93:94], v[115:116]
	v_mul_f64 v[115:116], v[95:96], v[115:116]
	;; [unrolled: 9-line block ×4, first 2 shown]
	s_waitcnt vmcnt(8)
	v_fma_f64 v[97:98], v[97:98], v[175:176], -v[107:108]
	v_fma_f64 v[99:100], v[99:100], v[175:176], v[101:102]
	v_add_f64 v[105:106], v[105:106], v[115:116]
	v_add_f64 v[2:3], v[2:3], v[113:114]
	s_waitcnt vmcnt(7) lgkmcnt(0)
	v_mul_f64 v[107:108], v[95:96], v[125:126]
	v_mul_f64 v[101:102], v[93:94], v[125:126]
	s_waitcnt vmcnt(5)
	v_fma_f64 v[89:90], v[89:90], v[111:112], -v[109:110]
	v_fma_f64 v[91:92], v[91:92], v[111:112], v[103:104]
	v_add_f64 v[97:98], v[105:106], v[97:98]
	v_add_f64 v[2:3], v[2:3], v[99:100]
	s_waitcnt vmcnt(4)
	v_fma_f64 v[93:94], v[93:94], v[170:171], -v[107:108]
	v_fma_f64 v[95:96], v[95:96], v[170:171], v[101:102]
	v_add_f64 v[89:90], v[97:98], v[89:90]
	v_add_f64 v[2:3], v[2:3], v[91:92]
	;; [unrolled: 1-line block ×4, first 2 shown]
	s_waitcnt vmcnt(2)
	v_add_f64 v[89:90], v[119:120], -v[89:90]
	s_waitcnt vmcnt(0)
	v_add_f64 v[2:3], v[123:124], -v[2:3]
	buffer_store_dword v90, off, s[0:3], 0 offset:308
	buffer_store_dword v89, off, s[0:3], 0 offset:304
	;; [unrolled: 1-line block ×4, first 2 shown]
	v_cmpx_lt_u32_e32 17, v0
	s_cbranch_execz .LBB105_231
; %bb.230:
	v_mov_b32_e32 v2, s37
	s_clause 0x3
	buffer_load_dword v89, v2, s[0:3], 0 offen
	buffer_load_dword v90, v2, s[0:3], 0 offen offset:4
	buffer_load_dword v91, v2, s[0:3], 0 offen offset:8
	;; [unrolled: 1-line block ×3, first 2 shown]
	buffer_store_dword v1, off, s[0:3], 0 offset:288
	buffer_store_dword v1, off, s[0:3], 0 offset:292
	;; [unrolled: 1-line block ×4, first 2 shown]
	s_waitcnt vmcnt(0)
	ds_write_b128 v145, v[89:92]
.LBB105_231:
	s_or_b32 exec_lo, exec_lo, s4
	s_waitcnt lgkmcnt(0)
	s_waitcnt_vscnt null, 0x0
	s_barrier
	buffer_gl0_inv
	s_clause 0x37
	buffer_load_dword v2, off, s[0:3], 0 offset:312
	buffer_load_dword v3, off, s[0:3], 0 offset:316
	;; [unrolled: 1-line block ×56, first 2 shown]
	ds_read_b128 v[89:92], v1 offset:960
	s_clause 0x2
	buffer_load_dword v155, off, s[0:3], 0 offset:540
	buffer_load_dword v159, off, s[0:3], 0 offset:516
	;; [unrolled: 1-line block ×3, first 2 shown]
	ds_read_b128 v[93:96], v1 offset:976
	s_clause 0x4
	buffer_load_dword v163, off, s[0:3], 0 offset:556
	buffer_load_dword v164, off, s[0:3], 0 offset:568
	;; [unrolled: 1-line block ×5, first 2 shown]
	ds_read_b128 v[97:100], v1 offset:992
	s_mov_b32 s4, exec_lo
	s_waitcnt vmcnt(62) lgkmcnt(2)
	v_mul_f64 v[160:161], v[91:92], v[2:3]
	v_mul_f64 v[2:3], v[89:90], v[2:3]
	s_waitcnt vmcnt(60) lgkmcnt(1)
	v_mul_f64 v[167:168], v[95:96], v[101:102]
	v_mul_f64 v[101:102], v[93:94], v[101:102]
	;; [unrolled: 3-line block ×3, first 2 shown]
	v_fma_f64 v[160:161], v[89:90], v[103:104], -v[160:161]
	v_fma_f64 v[2:3], v[91:92], v[103:104], v[2:3]
	s_clause 0x2
	buffer_load_dword v165, off, s[0:3], 0 offset:572
	buffer_load_dword v104, off, s[0:3], 0 offset:548
	;; [unrolled: 1-line block ×3, first 2 shown]
	s_waitcnt vmcnt(57)
	v_fma_f64 v[171:172], v[93:94], v[107:108], -v[167:168]
	ds_read_b128 v[89:92], v1 offset:1008
	v_fma_f64 v[101:102], v[95:96], v[107:108], v[101:102]
	s_clause 0x4
	buffer_load_dword v108, off, s[0:3], 0 offset:588
	buffer_load_dword v168, off, s[0:3], 0 offset:600
	;; [unrolled: 1-line block ×5, first 2 shown]
	s_waitcnt vmcnt(56)
	v_fma_f64 v[105:106], v[97:98], v[115:116], -v[105:106]
	ds_read_b128 v[93:96], v1 offset:1024
	v_fma_f64 v[115:116], v[99:100], v[115:116], v[169:170]
	v_add_f64 v[160:161], v[160:161], 0
	v_add_f64 v[2:3], v[2:3], 0
	s_waitcnt lgkmcnt(1)
	v_mul_f64 v[174:175], v[89:90], v[109:110]
	v_mul_f64 v[109:110], v[91:92], v[109:110]
	v_add_f64 v[160:161], v[160:161], v[171:172]
	v_add_f64 v[2:3], v[2:3], v[101:102]
	s_clause 0x2
	buffer_load_dword v169, off, s[0:3], 0 offset:604
	buffer_load_dword v102, off, s[0:3], 0 offset:580
	;; [unrolled: 1-line block ×3, first 2 shown]
	s_waitcnt vmcnt(58) lgkmcnt(0)
	v_mul_f64 v[170:171], v[93:94], v[111:112]
	v_mul_f64 v[111:112], v[95:96], v[111:112]
	s_waitcnt vmcnt(56)
	v_fma_f64 v[109:110], v[89:90], v[117:118], -v[109:110]
	ds_read_b128 v[97:100], v1 offset:1040
	v_fma_f64 v[117:118], v[91:92], v[117:118], v[174:175]
	v_add_f64 v[105:106], v[160:161], v[105:106]
	v_add_f64 v[2:3], v[2:3], v[115:116]
	s_clause 0x4
	buffer_load_dword v116, off, s[0:3], 0 offset:620
	buffer_load_dword v160, off, s[0:3], 0 offset:632
	;; [unrolled: 1-line block ×5, first 2 shown]
	ds_read_b128 v[89:92], v1 offset:1056
	s_waitcnt vmcnt(57) lgkmcnt(1)
	v_mul_f64 v[176:177], v[97:98], v[119:120]
	v_mul_f64 v[119:120], v[99:100], v[119:120]
	s_waitcnt vmcnt(56)
	v_fma_f64 v[111:112], v[93:94], v[113:114], -v[111:112]
	v_add_f64 v[105:106], v[105:106], v[109:110]
	v_fma_f64 v[109:110], v[95:96], v[113:114], v[170:171]
	v_add_f64 v[2:3], v[2:3], v[117:118]
	s_clause 0x2
	buffer_load_dword v161, off, s[0:3], 0 offset:636
	buffer_load_dword v114, off, s[0:3], 0 offset:612
	;; [unrolled: 1-line block ×3, first 2 shown]
	s_waitcnt vmcnt(58) lgkmcnt(0)
	v_mul_f64 v[117:118], v[89:90], v[121:122]
	v_mul_f64 v[121:122], v[91:92], v[121:122]
	s_waitcnt vmcnt(56)
	v_fma_f64 v[119:120], v[97:98], v[125:126], -v[119:120]
	ds_read_b128 v[93:96], v1 offset:1072
	v_add_f64 v[105:106], v[105:106], v[111:112]
	v_fma_f64 v[111:112], v[99:100], v[125:126], v[176:177]
	v_add_f64 v[2:3], v[2:3], v[109:110]
	s_clause 0x4
	buffer_load_dword v110, off, s[0:3], 0 offset:652
	buffer_load_dword v125, off, s[0:3], 0 offset:664
	buffer_load_dword v170, off, s[0:3], 0 offset:656
	buffer_load_dword v109, off, s[0:3], 0 offset:648
	buffer_load_dword v176, off, s[0:3], 0 offset:628
	ds_read_b128 v[97:100], v1 offset:1088
	s_waitcnt vmcnt(57) lgkmcnt(1)
	v_mul_f64 v[171:172], v[93:94], v[127:128]
	v_mul_f64 v[127:128], v[95:96], v[127:128]
	s_waitcnt vmcnt(56)
	v_fma_f64 v[121:122], v[89:90], v[123:124], -v[121:122]
	v_fma_f64 v[117:118], v[91:92], v[123:124], v[117:118]
	v_add_f64 v[105:106], v[105:106], v[119:120]
	v_add_f64 v[2:3], v[2:3], v[111:112]
	s_clause 0x2
	buffer_load_dword v126, off, s[0:3], 0 offset:668
	buffer_load_dword v112, off, s[0:3], 0 offset:644
	;; [unrolled: 1-line block ×3, first 2 shown]
	s_waitcnt vmcnt(58) lgkmcnt(0)
	v_mul_f64 v[123:124], v[99:100], v[129:130]
	ds_read_b128 v[89:92], v1 offset:1104
	s_waitcnt vmcnt(56)
	v_fma_f64 v[127:128], v[93:94], v[133:134], -v[127:128]
	v_mul_f64 v[119:120], v[97:98], v[129:130]
	v_add_f64 v[105:106], v[105:106], v[121:122]
	v_fma_f64 v[121:122], v[95:96], v[133:134], v[171:172]
	v_add_f64 v[2:3], v[2:3], v[117:118]
	s_clause 0x2
	buffer_load_dword v118, off, s[0:3], 0 offset:684
	buffer_load_dword v117, off, s[0:3], 0 offset:680
	;; [unrolled: 1-line block ×3, first 2 shown]
	s_waitcnt vmcnt(55) lgkmcnt(0)
	v_mul_f64 v[133:134], v[91:92], v[135:136]
	s_waitcnt vmcnt(54)
	v_fma_f64 v[123:124], v[97:98], v[131:132], -v[123:124]
	ds_read_b128 v[93:96], v1 offset:1120
	v_mul_f64 v[129:130], v[89:90], v[135:136]
	v_fma_f64 v[119:120], v[99:100], v[131:132], v[119:120]
	v_add_f64 v[105:106], v[105:106], v[127:128]
	v_add_f64 v[2:3], v[2:3], v[121:122]
	s_clause 0x1
	buffer_load_dword v122, off, s[0:3], 0 offset:676
	buffer_load_dword v121, off, s[0:3], 0 offset:672
	s_waitcnt vmcnt(55) lgkmcnt(0)
	v_mul_f64 v[131:132], v[95:96], v[137:138]
	s_waitcnt vmcnt(53)
	v_fma_f64 v[133:134], v[89:90], v[141:142], -v[133:134]
	ds_read_b128 v[97:100], v1 offset:1136
	v_mul_f64 v[127:128], v[93:94], v[137:138]
	v_add_f64 v[105:106], v[105:106], v[123:124]
	v_fma_f64 v[123:124], v[91:92], v[141:142], v[129:130]
	v_add_f64 v[2:3], v[2:3], v[119:120]
	ds_read_b128 v[89:92], v1 offset:1152
	s_waitcnt vmcnt(49) lgkmcnt(1)
	v_mul_f64 v[129:130], v[99:100], v[143:144]
	s_waitcnt vmcnt(48)
	v_fma_f64 v[131:132], v[93:94], v[139:140], -v[131:132]
	v_mul_f64 v[119:120], v[97:98], v[143:144]
	v_fma_f64 v[127:128], v[95:96], v[139:140], v[127:128]
	v_add_f64 v[105:106], v[105:106], v[133:134]
	s_waitcnt vmcnt(47) lgkmcnt(0)
	v_mul_f64 v[137:138], v[91:92], v[146:147]
	v_add_f64 v[2:3], v[2:3], v[123:124]
	s_clause 0x3
	buffer_load_dword v123, off, s[0:3], 0 offset:288
	buffer_load_dword v124, off, s[0:3], 0 offset:292
	;; [unrolled: 1-line block ×4, first 2 shown]
	s_waitcnt vmcnt(49)
	v_fma_f64 v[129:130], v[97:98], v[150:151], -v[129:130]
	ds_read_b128 v[93:96], v1 offset:1168
	v_mul_f64 v[135:136], v[89:90], v[146:147]
	v_fma_f64 v[119:120], v[99:100], v[150:151], v[119:120]
	ds_read_b128 v[97:100], v1 offset:1184
	v_add_f64 v[105:106], v[105:106], v[131:132]
	s_waitcnt vmcnt(44)
	v_fma_f64 v[137:138], v[89:90], v[148:149], -v[137:138]
	v_add_f64 v[2:3], v[2:3], v[127:128]
	s_waitcnt lgkmcnt(1)
	v_mul_f64 v[131:132], v[95:96], v[152:153]
	v_mul_f64 v[127:128], v[93:94], v[152:153]
	v_add_f64 v[105:106], v[105:106], v[129:130]
	v_fma_f64 v[129:130], v[91:92], v[148:149], v[135:136]
	v_add_f64 v[2:3], v[2:3], v[119:120]
	s_waitcnt vmcnt(43) lgkmcnt(0)
	v_mul_f64 v[135:136], v[99:100], v[154:155]
	s_waitcnt vmcnt(41)
	v_fma_f64 v[131:132], v[93:94], v[158:159], -v[131:132]
	ds_read_b128 v[89:92], v1 offset:1200
	v_mul_f64 v[119:120], v[97:98], v[154:155]
	v_fma_f64 v[127:128], v[95:96], v[158:159], v[127:128]
	ds_read_b128 v[93:96], v1 offset:1216
	v_add_f64 v[105:106], v[105:106], v[137:138]
	v_add_f64 v[2:3], v[2:3], v[129:130]
	s_waitcnt vmcnt(37) lgkmcnt(1)
	v_mul_f64 v[137:138], v[91:92], v[162:163]
	s_waitcnt vmcnt(36)
	v_fma_f64 v[135:136], v[97:98], v[156:157], -v[135:136]
	v_mul_f64 v[129:130], v[89:90], v[162:163]
	v_fma_f64 v[119:120], v[99:100], v[156:157], v[119:120]
	ds_read_b128 v[97:100], v1 offset:1232
	v_add_f64 v[105:106], v[105:106], v[131:132]
	v_add_f64 v[2:3], v[2:3], v[127:128]
	s_waitcnt vmcnt(35) lgkmcnt(1)
	v_mul_f64 v[131:132], v[95:96], v[164:165]
	v_mul_f64 v[127:128], v[93:94], v[164:165]
	s_waitcnt vmcnt(33)
	v_fma_f64 v[137:138], v[89:90], v[103:104], -v[137:138]
	v_fma_f64 v[103:104], v[91:92], v[103:104], v[129:130]
	ds_read_b128 v[89:92], v1 offset:1248
	v_add_f64 v[105:106], v[105:106], v[135:136]
	v_add_f64 v[2:3], v[2:3], v[119:120]
	s_waitcnt vmcnt(29) lgkmcnt(1)
	v_mul_f64 v[119:120], v[97:98], v[107:108]
	v_mul_f64 v[107:108], v[99:100], v[107:108]
	s_waitcnt vmcnt(28)
	v_fma_f64 v[129:130], v[93:94], v[166:167], -v[131:132]
	;; [unrolled: 9-line block ×6, first 2 shown]
	v_fma_f64 v[99:100], v[99:100], v[175:176], v[101:102]
	v_add_f64 v[105:106], v[105:106], v[115:116]
	v_add_f64 v[101:102], v[2:3], v[113:114]
	ds_read_b128 v[1:4], v1 offset:1328
	s_waitcnt vmcnt(11) lgkmcnt(1)
	v_mul_f64 v[113:114], v[95:96], v[125:126]
	v_mul_f64 v[107:108], v[93:94], v[125:126]
	s_waitcnt vmcnt(9)
	v_fma_f64 v[89:90], v[89:90], v[111:112], -v[109:110]
	v_fma_f64 v[91:92], v[91:92], v[111:112], v[103:104]
	v_add_f64 v[97:98], v[105:106], v[97:98]
	v_add_f64 v[99:100], v[101:102], v[99:100]
	s_waitcnt vmcnt(7) lgkmcnt(0)
	v_mul_f64 v[103:104], v[3:4], v[117:118]
	s_waitcnt vmcnt(6)
	v_fma_f64 v[93:94], v[93:94], v[170:171], -v[113:114]
	v_mul_f64 v[101:102], v[1:2], v[117:118]
	v_fma_f64 v[95:96], v[95:96], v[170:171], v[107:108]
	v_add_f64 v[89:90], v[97:98], v[89:90]
	v_add_f64 v[91:92], v[99:100], v[91:92]
	s_waitcnt vmcnt(4)
	v_fma_f64 v[1:2], v[1:2], v[121:122], -v[103:104]
	v_fma_f64 v[3:4], v[3:4], v[121:122], v[101:102]
	v_add_f64 v[89:90], v[89:90], v[93:94]
	v_add_f64 v[91:92], v[91:92], v[95:96]
	;; [unrolled: 1-line block ×4, first 2 shown]
	s_waitcnt vmcnt(2)
	v_add_f64 v[1:2], v[123:124], -v[1:2]
	s_waitcnt vmcnt(0)
	v_add_f64 v[3:4], v[133:134], -v[3:4]
	buffer_store_dword v2, off, s[0:3], 0 offset:292
	buffer_store_dword v1, off, s[0:3], 0 offset:288
	;; [unrolled: 1-line block ×4, first 2 shown]
	v_cmpx_lt_u32_e32 16, v0
	s_cbranch_execz .LBB105_233
; %bb.232:
	v_mov_b32_e32 v4, s38
	v_mov_b32_e32 v89, 0
	s_clause 0x3
	buffer_load_dword v1, v4, s[0:3], 0 offen
	buffer_load_dword v2, v4, s[0:3], 0 offen offset:4
	buffer_load_dword v3, v4, s[0:3], 0 offen offset:8
	;; [unrolled: 1-line block ×3, first 2 shown]
	buffer_store_dword v89, off, s[0:3], 0 offset:272
	buffer_store_dword v89, off, s[0:3], 0 offset:276
	;; [unrolled: 1-line block ×4, first 2 shown]
	s_waitcnt vmcnt(0)
	ds_write_b128 v145, v[1:4]
.LBB105_233:
	s_or_b32 exec_lo, exec_lo, s4
	s_waitcnt lgkmcnt(0)
	s_waitcnt_vscnt null, 0x0
	s_barrier
	buffer_gl0_inv
	s_clause 0x37
	buffer_load_dword v2, off, s[0:3], 0 offset:296
	buffer_load_dword v3, off, s[0:3], 0 offset:300
	;; [unrolled: 1-line block ×56, first 2 shown]
	v_mov_b32_e32 v1, 0
	s_mov_b32 s4, exec_lo
	ds_read_b128 v[89:92], v1 offset:944
	s_clause 0x2
	buffer_load_dword v155, off, s[0:3], 0 offset:524
	buffer_load_dword v159, off, s[0:3], 0 offset:500
	;; [unrolled: 1-line block ×3, first 2 shown]
	ds_read_b128 v[93:96], v1 offset:960
	s_clause 0x4
	buffer_load_dword v163, off, s[0:3], 0 offset:540
	buffer_load_dword v164, off, s[0:3], 0 offset:552
	;; [unrolled: 1-line block ×5, first 2 shown]
	ds_read_b128 v[97:100], v1 offset:976
	s_waitcnt vmcnt(62) lgkmcnt(2)
	v_mul_f64 v[160:161], v[91:92], v[2:3]
	v_mul_f64 v[2:3], v[89:90], v[2:3]
	s_waitcnt vmcnt(60) lgkmcnt(1)
	v_mul_f64 v[167:168], v[95:96], v[101:102]
	v_mul_f64 v[101:102], v[93:94], v[101:102]
	;; [unrolled: 3-line block ×3, first 2 shown]
	v_fma_f64 v[160:161], v[89:90], v[103:104], -v[160:161]
	v_fma_f64 v[2:3], v[91:92], v[103:104], v[2:3]
	s_clause 0x2
	buffer_load_dword v165, off, s[0:3], 0 offset:556
	buffer_load_dword v104, off, s[0:3], 0 offset:532
	;; [unrolled: 1-line block ×3, first 2 shown]
	s_waitcnt vmcnt(57)
	v_fma_f64 v[171:172], v[93:94], v[107:108], -v[167:168]
	ds_read_b128 v[89:92], v1 offset:992
	v_fma_f64 v[101:102], v[95:96], v[107:108], v[101:102]
	s_clause 0x4
	buffer_load_dword v108, off, s[0:3], 0 offset:572
	buffer_load_dword v168, off, s[0:3], 0 offset:584
	;; [unrolled: 1-line block ×5, first 2 shown]
	s_waitcnt vmcnt(56)
	v_fma_f64 v[105:106], v[97:98], v[115:116], -v[105:106]
	ds_read_b128 v[93:96], v1 offset:1008
	v_fma_f64 v[115:116], v[99:100], v[115:116], v[169:170]
	v_add_f64 v[160:161], v[160:161], 0
	v_add_f64 v[2:3], v[2:3], 0
	s_waitcnt lgkmcnt(1)
	v_mul_f64 v[174:175], v[89:90], v[109:110]
	v_mul_f64 v[109:110], v[91:92], v[109:110]
	v_add_f64 v[160:161], v[160:161], v[171:172]
	v_add_f64 v[2:3], v[2:3], v[101:102]
	s_clause 0x2
	buffer_load_dword v169, off, s[0:3], 0 offset:588
	buffer_load_dword v102, off, s[0:3], 0 offset:564
	;; [unrolled: 1-line block ×3, first 2 shown]
	s_waitcnt vmcnt(58) lgkmcnt(0)
	v_mul_f64 v[170:171], v[93:94], v[111:112]
	v_mul_f64 v[111:112], v[95:96], v[111:112]
	s_waitcnt vmcnt(56)
	v_fma_f64 v[109:110], v[89:90], v[117:118], -v[109:110]
	ds_read_b128 v[97:100], v1 offset:1024
	v_fma_f64 v[117:118], v[91:92], v[117:118], v[174:175]
	v_add_f64 v[105:106], v[160:161], v[105:106]
	v_add_f64 v[2:3], v[2:3], v[115:116]
	s_clause 0x4
	buffer_load_dword v116, off, s[0:3], 0 offset:604
	buffer_load_dword v160, off, s[0:3], 0 offset:616
	;; [unrolled: 1-line block ×5, first 2 shown]
	ds_read_b128 v[89:92], v1 offset:1040
	s_waitcnt vmcnt(57) lgkmcnt(1)
	v_mul_f64 v[176:177], v[97:98], v[119:120]
	v_mul_f64 v[119:120], v[99:100], v[119:120]
	s_waitcnt vmcnt(56)
	v_fma_f64 v[111:112], v[93:94], v[113:114], -v[111:112]
	v_add_f64 v[105:106], v[105:106], v[109:110]
	v_fma_f64 v[109:110], v[95:96], v[113:114], v[170:171]
	v_add_f64 v[2:3], v[2:3], v[117:118]
	s_clause 0x2
	buffer_load_dword v161, off, s[0:3], 0 offset:620
	buffer_load_dword v114, off, s[0:3], 0 offset:596
	;; [unrolled: 1-line block ×3, first 2 shown]
	s_waitcnt vmcnt(58) lgkmcnt(0)
	v_mul_f64 v[117:118], v[89:90], v[121:122]
	v_mul_f64 v[121:122], v[91:92], v[121:122]
	s_waitcnt vmcnt(56)
	v_fma_f64 v[119:120], v[97:98], v[125:126], -v[119:120]
	ds_read_b128 v[93:96], v1 offset:1056
	v_add_f64 v[105:106], v[105:106], v[111:112]
	v_fma_f64 v[111:112], v[99:100], v[125:126], v[176:177]
	v_add_f64 v[2:3], v[2:3], v[109:110]
	s_clause 0x4
	buffer_load_dword v110, off, s[0:3], 0 offset:636
	buffer_load_dword v125, off, s[0:3], 0 offset:648
	;; [unrolled: 1-line block ×5, first 2 shown]
	ds_read_b128 v[97:100], v1 offset:1072
	s_waitcnt vmcnt(57) lgkmcnt(1)
	v_mul_f64 v[171:172], v[93:94], v[127:128]
	v_mul_f64 v[127:128], v[95:96], v[127:128]
	s_waitcnt vmcnt(56)
	v_fma_f64 v[121:122], v[89:90], v[123:124], -v[121:122]
	v_fma_f64 v[117:118], v[91:92], v[123:124], v[117:118]
	v_add_f64 v[105:106], v[105:106], v[119:120]
	v_add_f64 v[2:3], v[2:3], v[111:112]
	s_clause 0x2
	buffer_load_dword v126, off, s[0:3], 0 offset:652
	buffer_load_dword v112, off, s[0:3], 0 offset:628
	buffer_load_dword v111, off, s[0:3], 0 offset:624
	s_waitcnt vmcnt(58) lgkmcnt(0)
	v_mul_f64 v[123:124], v[99:100], v[129:130]
	ds_read_b128 v[89:92], v1 offset:1088
	s_waitcnt vmcnt(56)
	v_fma_f64 v[127:128], v[93:94], v[133:134], -v[127:128]
	v_mul_f64 v[119:120], v[97:98], v[129:130]
	v_add_f64 v[105:106], v[105:106], v[121:122]
	v_fma_f64 v[121:122], v[95:96], v[133:134], v[171:172]
	v_add_f64 v[2:3], v[2:3], v[117:118]
	s_clause 0x4
	buffer_load_dword v118, off, s[0:3], 0 offset:668
	buffer_load_dword v129, off, s[0:3], 0 offset:680
	;; [unrolled: 1-line block ×5, first 2 shown]
	s_waitcnt vmcnt(57) lgkmcnt(0)
	v_mul_f64 v[177:178], v[89:90], v[135:136]
	v_mul_f64 v[134:135], v[91:92], v[135:136]
	s_waitcnt vmcnt(56)
	v_fma_f64 v[123:124], v[97:98], v[131:132], -v[123:124]
	ds_read_b128 v[93:96], v1 offset:1104
	v_fma_f64 v[119:120], v[99:100], v[131:132], v[119:120]
	v_add_f64 v[105:106], v[105:106], v[127:128]
	v_add_f64 v[2:3], v[2:3], v[121:122]
	s_clause 0x2
	buffer_load_dword v130, off, s[0:3], 0 offset:684
	buffer_load_dword v122, off, s[0:3], 0 offset:660
	;; [unrolled: 1-line block ×3, first 2 shown]
	ds_read_b128 v[97:100], v1 offset:1120
	s_waitcnt vmcnt(58) lgkmcnt(1)
	v_mul_f64 v[131:132], v[95:96], v[137:138]
	s_waitcnt vmcnt(56)
	v_fma_f64 v[135:136], v[89:90], v[141:142], -v[134:135]
	v_mul_f64 v[127:128], v[93:94], v[137:138]
	buffer_load_dword v134, off, s[0:3], 0 offset:676
	v_add_f64 v[105:106], v[105:106], v[123:124]
	v_fma_f64 v[123:124], v[91:92], v[141:142], v[177:178]
	v_add_f64 v[2:3], v[2:3], v[119:120]
	ds_read_b128 v[89:92], v1 offset:1136
	s_waitcnt vmcnt(53) lgkmcnt(1)
	v_mul_f64 v[137:138], v[99:100], v[143:144]
	s_waitcnt vmcnt(52)
	v_fma_f64 v[131:132], v[93:94], v[139:140], -v[131:132]
	v_mul_f64 v[119:120], v[97:98], v[143:144]
	v_fma_f64 v[127:128], v[95:96], v[139:140], v[127:128]
	ds_read_b128 v[93:96], v1 offset:1152
	v_add_f64 v[105:106], v[105:106], v[135:136]
	s_waitcnt vmcnt(51) lgkmcnt(1)
	v_mul_f64 v[135:136], v[91:92], v[146:147]
	v_add_f64 v[2:3], v[2:3], v[123:124]
	v_mul_f64 v[123:124], v[89:90], v[146:147]
	s_waitcnt vmcnt(49)
	v_fma_f64 v[137:138], v[97:98], v[150:151], -v[137:138]
	v_fma_f64 v[119:120], v[99:100], v[150:151], v[119:120]
	s_waitcnt vmcnt(45) lgkmcnt(0)
	v_mul_f64 v[141:142], v[95:96], v[152:153]
	v_mul_f64 v[139:140], v[93:94], v[152:153]
	v_add_f64 v[105:106], v[105:106], v[131:132]
	s_waitcnt vmcnt(44)
	v_fma_f64 v[135:136], v[89:90], v[148:149], -v[135:136]
	v_add_f64 v[2:3], v[2:3], v[127:128]
	s_clause 0x3
	buffer_load_dword v127, off, s[0:3], 0 offset:272
	buffer_load_dword v128, off, s[0:3], 0 offset:276
	;; [unrolled: 1-line block ×4, first 2 shown]
	ds_read_b128 v[97:100], v1 offset:1168
	v_fma_f64 v[123:124], v[91:92], v[148:149], v[123:124]
	ds_read_b128 v[89:92], v1 offset:1184
	s_waitcnt vmcnt(45)
	v_fma_f64 v[141:142], v[93:94], v[158:159], -v[141:142]
	v_add_f64 v[105:106], v[105:106], v[137:138]
	v_add_f64 v[2:3], v[2:3], v[119:120]
	s_waitcnt lgkmcnt(1)
	v_mul_f64 v[137:138], v[99:100], v[154:155]
	v_mul_f64 v[119:120], v[97:98], v[154:155]
	v_add_f64 v[105:106], v[105:106], v[135:136]
	v_fma_f64 v[135:136], v[95:96], v[158:159], v[139:140]
	v_add_f64 v[2:3], v[2:3], v[123:124]
	s_waitcnt vmcnt(41) lgkmcnt(0)
	v_mul_f64 v[139:140], v[91:92], v[162:163]
	s_waitcnt vmcnt(40)
	v_fma_f64 v[137:138], v[97:98], v[156:157], -v[137:138]
	ds_read_b128 v[93:96], v1 offset:1200
	v_mul_f64 v[123:124], v[89:90], v[162:163]
	v_fma_f64 v[119:120], v[99:100], v[156:157], v[119:120]
	ds_read_b128 v[97:100], v1 offset:1216
	v_add_f64 v[105:106], v[105:106], v[141:142]
	v_add_f64 v[2:3], v[2:3], v[135:136]
	s_waitcnt vmcnt(39) lgkmcnt(1)
	v_mul_f64 v[141:142], v[95:96], v[164:165]
	v_mul_f64 v[135:136], v[93:94], v[164:165]
	s_waitcnt vmcnt(37)
	v_fma_f64 v[139:140], v[89:90], v[103:104], -v[139:140]
	v_fma_f64 v[103:104], v[91:92], v[103:104], v[123:124]
	ds_read_b128 v[89:92], v1 offset:1232
	v_add_f64 v[105:106], v[105:106], v[137:138]
	v_add_f64 v[2:3], v[2:3], v[119:120]
	s_waitcnt vmcnt(33) lgkmcnt(1)
	v_mul_f64 v[119:120], v[97:98], v[107:108]
	v_mul_f64 v[107:108], v[99:100], v[107:108]
	s_waitcnt vmcnt(32)
	v_fma_f64 v[123:124], v[93:94], v[166:167], -v[141:142]
	;; [unrolled: 9-line block ×7, first 2 shown]
	v_fma_f64 v[103:104], v[91:92], v[111:112], v[103:104]
	ds_read_b128 v[89:92], v1 offset:1328
	v_add_f64 v[105:106], v[105:106], v[107:108]
	v_add_f64 v[2:3], v[2:3], v[101:102]
	s_waitcnt vmcnt(9) lgkmcnt(1)
	v_mul_f64 v[107:108], v[99:100], v[117:118]
	s_waitcnt vmcnt(8)
	v_fma_f64 v[93:94], v[93:94], v[170:171], -v[115:116]
	v_mul_f64 v[101:102], v[97:98], v[117:118]
	v_fma_f64 v[95:96], v[95:96], v[170:171], v[113:114]
	v_add_f64 v[105:106], v[105:106], v[109:110]
	v_add_f64 v[2:3], v[2:3], v[103:104]
	s_waitcnt vmcnt(7) lgkmcnt(0)
	v_mul_f64 v[109:110], v[91:92], v[129:130]
	v_mul_f64 v[103:104], v[89:90], v[129:130]
	s_waitcnt vmcnt(5)
	v_fma_f64 v[97:98], v[97:98], v[121:122], -v[107:108]
	v_fma_f64 v[99:100], v[99:100], v[121:122], v[101:102]
	v_add_f64 v[93:94], v[105:106], v[93:94]
	v_add_f64 v[2:3], v[2:3], v[95:96]
	s_waitcnt vmcnt(4)
	v_fma_f64 v[89:90], v[89:90], v[133:134], -v[109:110]
	v_fma_f64 v[91:92], v[91:92], v[133:134], v[103:104]
	v_add_f64 v[93:94], v[93:94], v[97:98]
	v_add_f64 v[2:3], v[2:3], v[99:100]
	;; [unrolled: 1-line block ×4, first 2 shown]
	s_waitcnt vmcnt(2)
	v_add_f64 v[89:90], v[127:128], -v[89:90]
	s_waitcnt vmcnt(0)
	v_add_f64 v[2:3], v[131:132], -v[2:3]
	buffer_store_dword v90, off, s[0:3], 0 offset:276
	buffer_store_dword v89, off, s[0:3], 0 offset:272
	buffer_store_dword v3, off, s[0:3], 0 offset:284
	buffer_store_dword v2, off, s[0:3], 0 offset:280
	v_cmpx_lt_u32_e32 15, v0
	s_cbranch_execz .LBB105_235
; %bb.234:
	v_mov_b32_e32 v2, s39
	s_clause 0x3
	buffer_load_dword v89, v2, s[0:3], 0 offen
	buffer_load_dword v90, v2, s[0:3], 0 offen offset:4
	buffer_load_dword v91, v2, s[0:3], 0 offen offset:8
	buffer_load_dword v92, v2, s[0:3], 0 offen offset:12
	buffer_store_dword v1, off, s[0:3], 0 offset:256
	buffer_store_dword v1, off, s[0:3], 0 offset:260
	;; [unrolled: 1-line block ×4, first 2 shown]
	s_waitcnt vmcnt(0)
	ds_write_b128 v145, v[89:92]
.LBB105_235:
	s_or_b32 exec_lo, exec_lo, s4
	s_waitcnt lgkmcnt(0)
	s_waitcnt_vscnt null, 0x0
	s_barrier
	buffer_gl0_inv
	s_clause 0x37
	buffer_load_dword v2, off, s[0:3], 0 offset:280
	buffer_load_dword v3, off, s[0:3], 0 offset:284
	;; [unrolled: 1-line block ×56, first 2 shown]
	ds_read_b128 v[89:92], v1 offset:928
	s_clause 0x2
	buffer_load_dword v155, off, s[0:3], 0 offset:508
	buffer_load_dword v159, off, s[0:3], 0 offset:484
	;; [unrolled: 1-line block ×3, first 2 shown]
	ds_read_b128 v[93:96], v1 offset:944
	s_clause 0x4
	buffer_load_dword v163, off, s[0:3], 0 offset:524
	buffer_load_dword v164, off, s[0:3], 0 offset:536
	;; [unrolled: 1-line block ×5, first 2 shown]
	ds_read_b128 v[97:100], v1 offset:960
	s_mov_b32 s4, exec_lo
	s_waitcnt vmcnt(62) lgkmcnt(2)
	v_mul_f64 v[160:161], v[91:92], v[2:3]
	v_mul_f64 v[2:3], v[89:90], v[2:3]
	s_waitcnt vmcnt(60) lgkmcnt(1)
	v_mul_f64 v[167:168], v[95:96], v[101:102]
	v_mul_f64 v[101:102], v[93:94], v[101:102]
	;; [unrolled: 3-line block ×3, first 2 shown]
	v_fma_f64 v[160:161], v[89:90], v[103:104], -v[160:161]
	v_fma_f64 v[2:3], v[91:92], v[103:104], v[2:3]
	s_clause 0x2
	buffer_load_dword v165, off, s[0:3], 0 offset:540
	buffer_load_dword v104, off, s[0:3], 0 offset:516
	;; [unrolled: 1-line block ×3, first 2 shown]
	s_waitcnt vmcnt(57)
	v_fma_f64 v[171:172], v[93:94], v[107:108], -v[167:168]
	ds_read_b128 v[89:92], v1 offset:976
	v_fma_f64 v[101:102], v[95:96], v[107:108], v[101:102]
	s_clause 0x4
	buffer_load_dword v108, off, s[0:3], 0 offset:556
	buffer_load_dword v168, off, s[0:3], 0 offset:568
	buffer_load_dword v173, off, s[0:3], 0 offset:560
	buffer_load_dword v107, off, s[0:3], 0 offset:552
	buffer_load_dword v167, off, s[0:3], 0 offset:532
	s_waitcnt vmcnt(56)
	v_fma_f64 v[105:106], v[97:98], v[115:116], -v[105:106]
	ds_read_b128 v[93:96], v1 offset:992
	v_fma_f64 v[115:116], v[99:100], v[115:116], v[169:170]
	v_add_f64 v[160:161], v[160:161], 0
	v_add_f64 v[2:3], v[2:3], 0
	s_waitcnt lgkmcnt(1)
	v_mul_f64 v[174:175], v[89:90], v[109:110]
	v_mul_f64 v[109:110], v[91:92], v[109:110]
	v_add_f64 v[160:161], v[160:161], v[171:172]
	v_add_f64 v[2:3], v[2:3], v[101:102]
	s_clause 0x2
	buffer_load_dword v169, off, s[0:3], 0 offset:572
	buffer_load_dword v102, off, s[0:3], 0 offset:548
	;; [unrolled: 1-line block ×3, first 2 shown]
	s_waitcnt vmcnt(58) lgkmcnt(0)
	v_mul_f64 v[170:171], v[93:94], v[111:112]
	v_mul_f64 v[111:112], v[95:96], v[111:112]
	s_waitcnt vmcnt(56)
	v_fma_f64 v[109:110], v[89:90], v[117:118], -v[109:110]
	ds_read_b128 v[97:100], v1 offset:1008
	v_fma_f64 v[117:118], v[91:92], v[117:118], v[174:175]
	v_add_f64 v[105:106], v[160:161], v[105:106]
	v_add_f64 v[2:3], v[2:3], v[115:116]
	s_clause 0x4
	buffer_load_dword v116, off, s[0:3], 0 offset:588
	buffer_load_dword v160, off, s[0:3], 0 offset:600
	;; [unrolled: 1-line block ×5, first 2 shown]
	ds_read_b128 v[89:92], v1 offset:1024
	s_waitcnt vmcnt(57) lgkmcnt(1)
	v_mul_f64 v[176:177], v[97:98], v[119:120]
	v_mul_f64 v[119:120], v[99:100], v[119:120]
	s_waitcnt vmcnt(56)
	v_fma_f64 v[111:112], v[93:94], v[113:114], -v[111:112]
	v_add_f64 v[105:106], v[105:106], v[109:110]
	v_fma_f64 v[109:110], v[95:96], v[113:114], v[170:171]
	v_add_f64 v[2:3], v[2:3], v[117:118]
	s_clause 0x2
	buffer_load_dword v161, off, s[0:3], 0 offset:604
	buffer_load_dword v114, off, s[0:3], 0 offset:580
	;; [unrolled: 1-line block ×3, first 2 shown]
	s_waitcnt vmcnt(58) lgkmcnt(0)
	v_mul_f64 v[117:118], v[89:90], v[121:122]
	v_mul_f64 v[121:122], v[91:92], v[121:122]
	s_waitcnt vmcnt(56)
	v_fma_f64 v[119:120], v[97:98], v[125:126], -v[119:120]
	ds_read_b128 v[93:96], v1 offset:1040
	v_add_f64 v[105:106], v[105:106], v[111:112]
	v_fma_f64 v[111:112], v[99:100], v[125:126], v[176:177]
	v_add_f64 v[2:3], v[2:3], v[109:110]
	s_clause 0x4
	buffer_load_dword v110, off, s[0:3], 0 offset:620
	buffer_load_dword v125, off, s[0:3], 0 offset:632
	;; [unrolled: 1-line block ×5, first 2 shown]
	ds_read_b128 v[97:100], v1 offset:1056
	s_waitcnt vmcnt(57) lgkmcnt(1)
	v_mul_f64 v[171:172], v[93:94], v[127:128]
	v_mul_f64 v[127:128], v[95:96], v[127:128]
	s_waitcnt vmcnt(56)
	v_fma_f64 v[121:122], v[89:90], v[123:124], -v[121:122]
	v_fma_f64 v[117:118], v[91:92], v[123:124], v[117:118]
	v_add_f64 v[105:106], v[105:106], v[119:120]
	v_add_f64 v[2:3], v[2:3], v[111:112]
	s_clause 0x2
	buffer_load_dword v126, off, s[0:3], 0 offset:636
	buffer_load_dword v112, off, s[0:3], 0 offset:612
	;; [unrolled: 1-line block ×3, first 2 shown]
	s_waitcnt vmcnt(58) lgkmcnt(0)
	v_mul_f64 v[123:124], v[99:100], v[129:130]
	ds_read_b128 v[89:92], v1 offset:1072
	s_waitcnt vmcnt(56)
	v_fma_f64 v[127:128], v[93:94], v[133:134], -v[127:128]
	v_mul_f64 v[119:120], v[97:98], v[129:130]
	v_add_f64 v[105:106], v[105:106], v[121:122]
	v_fma_f64 v[121:122], v[95:96], v[133:134], v[171:172]
	v_add_f64 v[2:3], v[2:3], v[117:118]
	s_clause 0x4
	buffer_load_dword v118, off, s[0:3], 0 offset:652
	buffer_load_dword v129, off, s[0:3], 0 offset:664
	;; [unrolled: 1-line block ×5, first 2 shown]
	s_waitcnt vmcnt(57) lgkmcnt(0)
	v_mul_f64 v[177:178], v[89:90], v[135:136]
	v_mul_f64 v[134:135], v[91:92], v[135:136]
	s_waitcnt vmcnt(56)
	v_fma_f64 v[123:124], v[97:98], v[131:132], -v[123:124]
	ds_read_b128 v[93:96], v1 offset:1088
	v_fma_f64 v[119:120], v[99:100], v[131:132], v[119:120]
	v_add_f64 v[105:106], v[105:106], v[127:128]
	v_add_f64 v[2:3], v[2:3], v[121:122]
	s_clause 0x2
	buffer_load_dword v130, off, s[0:3], 0 offset:668
	buffer_load_dword v122, off, s[0:3], 0 offset:644
	;; [unrolled: 1-line block ×3, first 2 shown]
	ds_read_b128 v[97:100], v1 offset:1104
	s_waitcnt vmcnt(58) lgkmcnt(1)
	v_mul_f64 v[131:132], v[95:96], v[137:138]
	s_waitcnt vmcnt(56)
	v_fma_f64 v[135:136], v[89:90], v[141:142], -v[134:135]
	v_mul_f64 v[127:128], v[93:94], v[137:138]
	v_add_f64 v[105:106], v[105:106], v[123:124]
	v_fma_f64 v[123:124], v[91:92], v[141:142], v[177:178]
	v_add_f64 v[2:3], v[2:3], v[119:120]
	s_clause 0x2
	buffer_load_dword v120, off, s[0:3], 0 offset:684
	buffer_load_dword v119, off, s[0:3], 0 offset:680
	;; [unrolled: 1-line block ×3, first 2 shown]
	s_waitcnt vmcnt(55) lgkmcnt(0)
	v_mul_f64 v[141:142], v[99:100], v[143:144]
	s_waitcnt vmcnt(54)
	v_fma_f64 v[131:132], v[93:94], v[139:140], -v[131:132]
	ds_read_b128 v[89:92], v1 offset:1120
	v_mul_f64 v[137:138], v[97:98], v[143:144]
	v_fma_f64 v[127:128], v[95:96], v[139:140], v[127:128]
	v_add_f64 v[105:106], v[105:106], v[135:136]
	v_add_f64 v[2:3], v[2:3], v[123:124]
	s_clause 0x1
	buffer_load_dword v124, off, s[0:3], 0 offset:676
	buffer_load_dword v123, off, s[0:3], 0 offset:672
	s_waitcnt vmcnt(55) lgkmcnt(0)
	v_mul_f64 v[139:140], v[91:92], v[146:147]
	s_waitcnt vmcnt(53)
	v_fma_f64 v[141:142], v[97:98], v[150:151], -v[141:142]
	ds_read_b128 v[93:96], v1 offset:1136
	v_mul_f64 v[135:136], v[89:90], v[146:147]
	v_add_f64 v[105:106], v[105:106], v[131:132]
	v_fma_f64 v[131:132], v[99:100], v[150:151], v[137:138]
	v_add_f64 v[2:3], v[2:3], v[127:128]
	ds_read_b128 v[97:100], v1 offset:1152
	s_waitcnt vmcnt(49) lgkmcnt(1)
	v_mul_f64 v[137:138], v[95:96], v[152:153]
	s_waitcnt vmcnt(48)
	v_fma_f64 v[139:140], v[89:90], v[148:149], -v[139:140]
	v_mul_f64 v[127:128], v[93:94], v[152:153]
	v_fma_f64 v[135:136], v[91:92], v[148:149], v[135:136]
	v_add_f64 v[105:106], v[105:106], v[141:142]
	s_waitcnt vmcnt(47) lgkmcnt(0)
	v_mul_f64 v[146:147], v[99:100], v[154:155]
	v_add_f64 v[2:3], v[2:3], v[131:132]
	s_clause 0x3
	buffer_load_dword v131, off, s[0:3], 0 offset:256
	buffer_load_dword v132, off, s[0:3], 0 offset:260
	;; [unrolled: 1-line block ×4, first 2 shown]
	s_waitcnt vmcnt(49)
	v_fma_f64 v[137:138], v[93:94], v[158:159], -v[137:138]
	ds_read_b128 v[89:92], v1 offset:1168
	v_mul_f64 v[143:144], v[97:98], v[154:155]
	v_fma_f64 v[127:128], v[95:96], v[158:159], v[127:128]
	ds_read_b128 v[93:96], v1 offset:1184
	v_add_f64 v[105:106], v[105:106], v[139:140]
	s_waitcnt vmcnt(44)
	v_fma_f64 v[146:147], v[97:98], v[156:157], -v[146:147]
	v_add_f64 v[2:3], v[2:3], v[135:136]
	s_waitcnt lgkmcnt(1)
	v_mul_f64 v[139:140], v[91:92], v[162:163]
	v_mul_f64 v[135:136], v[89:90], v[162:163]
	v_add_f64 v[105:106], v[105:106], v[137:138]
	v_fma_f64 v[137:138], v[99:100], v[156:157], v[143:144]
	v_add_f64 v[2:3], v[2:3], v[127:128]
	ds_read_b128 v[97:100], v1 offset:1200
	s_waitcnt vmcnt(43) lgkmcnt(1)
	v_mul_f64 v[143:144], v[95:96], v[164:165]
	v_mul_f64 v[127:128], v[93:94], v[164:165]
	s_waitcnt vmcnt(41)
	v_fma_f64 v[139:140], v[89:90], v[103:104], -v[139:140]
	v_fma_f64 v[103:104], v[91:92], v[103:104], v[135:136]
	ds_read_b128 v[89:92], v1 offset:1216
	v_add_f64 v[105:106], v[105:106], v[146:147]
	s_waitcnt vmcnt(37) lgkmcnt(1)
	v_mul_f64 v[135:136], v[97:98], v[107:108]
	v_add_f64 v[2:3], v[2:3], v[137:138]
	v_mul_f64 v[107:108], v[99:100], v[107:108]
	s_waitcnt vmcnt(36)
	v_fma_f64 v[137:138], v[93:94], v[166:167], -v[143:144]
	v_fma_f64 v[127:128], v[95:96], v[166:167], v[127:128]
	ds_read_b128 v[93:96], v1 offset:1232
	v_add_f64 v[105:106], v[105:106], v[139:140]
	v_add_f64 v[2:3], v[2:3], v[103:104]
	s_waitcnt vmcnt(35) lgkmcnt(1)
	v_mul_f64 v[139:140], v[91:92], v[168:169]
	v_mul_f64 v[103:104], v[89:90], v[168:169]
	s_waitcnt vmcnt(33)
	v_fma_f64 v[107:108], v[97:98], v[101:102], -v[107:108]
	v_fma_f64 v[101:102], v[99:100], v[101:102], v[135:136]
	ds_read_b128 v[97:100], v1 offset:1248
	v_add_f64 v[105:106], v[105:106], v[137:138]
	v_add_f64 v[2:3], v[2:3], v[127:128]
	s_waitcnt vmcnt(29) lgkmcnt(1)
	v_mul_f64 v[127:128], v[93:94], v[115:116]
	;; [unrolled: 9-line block ×6, first 2 shown]
	s_waitcnt vmcnt(12)
	v_fma_f64 v[93:94], v[93:94], v[170:171], -v[115:116]
	v_mul_f64 v[101:102], v[97:98], v[117:118]
	v_fma_f64 v[95:96], v[95:96], v[170:171], v[113:114]
	v_add_f64 v[105:106], v[105:106], v[109:110]
	v_add_f64 v[103:104], v[2:3], v[103:104]
	ds_read_b128 v[1:4], v1 offset:1328
	s_waitcnt vmcnt(11) lgkmcnt(1)
	v_mul_f64 v[111:112], v[91:92], v[129:130]
	v_mul_f64 v[109:110], v[89:90], v[129:130]
	s_waitcnt vmcnt(9)
	v_fma_f64 v[97:98], v[97:98], v[121:122], -v[107:108]
	v_fma_f64 v[99:100], v[99:100], v[121:122], v[101:102]
	v_add_f64 v[93:94], v[105:106], v[93:94]
	v_add_f64 v[95:96], v[103:104], v[95:96]
	s_waitcnt vmcnt(7) lgkmcnt(0)
	v_mul_f64 v[103:104], v[3:4], v[119:120]
	s_waitcnt vmcnt(6)
	v_fma_f64 v[89:90], v[89:90], v[133:134], -v[111:112]
	v_mul_f64 v[101:102], v[1:2], v[119:120]
	v_fma_f64 v[91:92], v[91:92], v[133:134], v[109:110]
	v_add_f64 v[93:94], v[93:94], v[97:98]
	v_add_f64 v[95:96], v[95:96], v[99:100]
	s_waitcnt vmcnt(4)
	v_fma_f64 v[1:2], v[1:2], v[123:124], -v[103:104]
	v_fma_f64 v[3:4], v[3:4], v[123:124], v[101:102]
	v_add_f64 v[89:90], v[93:94], v[89:90]
	v_add_f64 v[91:92], v[95:96], v[91:92]
	;; [unrolled: 1-line block ×4, first 2 shown]
	s_waitcnt vmcnt(2)
	v_add_f64 v[1:2], v[131:132], -v[1:2]
	s_waitcnt vmcnt(0)
	v_add_f64 v[3:4], v[141:142], -v[3:4]
	buffer_store_dword v2, off, s[0:3], 0 offset:260
	buffer_store_dword v1, off, s[0:3], 0 offset:256
	;; [unrolled: 1-line block ×4, first 2 shown]
	v_cmpx_lt_u32_e32 14, v0
	s_cbranch_execz .LBB105_237
; %bb.236:
	v_mov_b32_e32 v4, s40
	v_mov_b32_e32 v89, 0
	s_clause 0x3
	buffer_load_dword v1, v4, s[0:3], 0 offen
	buffer_load_dword v2, v4, s[0:3], 0 offen offset:4
	buffer_load_dword v3, v4, s[0:3], 0 offen offset:8
	;; [unrolled: 1-line block ×3, first 2 shown]
	buffer_store_dword v89, off, s[0:3], 0 offset:240
	buffer_store_dword v89, off, s[0:3], 0 offset:244
	;; [unrolled: 1-line block ×4, first 2 shown]
	s_waitcnt vmcnt(0)
	ds_write_b128 v145, v[1:4]
.LBB105_237:
	s_or_b32 exec_lo, exec_lo, s4
	s_waitcnt lgkmcnt(0)
	s_waitcnt_vscnt null, 0x0
	s_barrier
	buffer_gl0_inv
	s_clause 0x37
	buffer_load_dword v2, off, s[0:3], 0 offset:264
	buffer_load_dword v3, off, s[0:3], 0 offset:268
	;; [unrolled: 1-line block ×56, first 2 shown]
	v_mov_b32_e32 v1, 0
	s_mov_b32 s4, exec_lo
	ds_read_b128 v[89:92], v1 offset:912
	s_clause 0x2
	buffer_load_dword v155, off, s[0:3], 0 offset:492
	buffer_load_dword v159, off, s[0:3], 0 offset:468
	;; [unrolled: 1-line block ×3, first 2 shown]
	ds_read_b128 v[93:96], v1 offset:928
	s_clause 0x4
	buffer_load_dword v163, off, s[0:3], 0 offset:508
	buffer_load_dword v164, off, s[0:3], 0 offset:520
	;; [unrolled: 1-line block ×5, first 2 shown]
	ds_read_b128 v[97:100], v1 offset:944
	s_waitcnt vmcnt(62) lgkmcnt(2)
	v_mul_f64 v[160:161], v[91:92], v[2:3]
	v_mul_f64 v[2:3], v[89:90], v[2:3]
	s_waitcnt vmcnt(60) lgkmcnt(1)
	v_mul_f64 v[167:168], v[95:96], v[101:102]
	v_mul_f64 v[101:102], v[93:94], v[101:102]
	s_waitcnt vmcnt(56) lgkmcnt(0)
	v_mul_f64 v[169:170], v[97:98], v[105:106]
	v_mul_f64 v[105:106], v[99:100], v[105:106]
	v_fma_f64 v[160:161], v[89:90], v[103:104], -v[160:161]
	v_fma_f64 v[2:3], v[91:92], v[103:104], v[2:3]
	s_clause 0x2
	buffer_load_dword v165, off, s[0:3], 0 offset:524
	buffer_load_dword v104, off, s[0:3], 0 offset:500
	;; [unrolled: 1-line block ×3, first 2 shown]
	s_waitcnt vmcnt(57)
	v_fma_f64 v[171:172], v[93:94], v[107:108], -v[167:168]
	ds_read_b128 v[89:92], v1 offset:960
	v_fma_f64 v[101:102], v[95:96], v[107:108], v[101:102]
	s_clause 0x4
	buffer_load_dword v108, off, s[0:3], 0 offset:540
	buffer_load_dword v168, off, s[0:3], 0 offset:552
	buffer_load_dword v173, off, s[0:3], 0 offset:544
	buffer_load_dword v107, off, s[0:3], 0 offset:536
	buffer_load_dword v167, off, s[0:3], 0 offset:516
	s_waitcnt vmcnt(56)
	v_fma_f64 v[105:106], v[97:98], v[115:116], -v[105:106]
	ds_read_b128 v[93:96], v1 offset:976
	v_fma_f64 v[115:116], v[99:100], v[115:116], v[169:170]
	v_add_f64 v[160:161], v[160:161], 0
	v_add_f64 v[2:3], v[2:3], 0
	s_waitcnt lgkmcnt(1)
	v_mul_f64 v[174:175], v[89:90], v[109:110]
	v_mul_f64 v[109:110], v[91:92], v[109:110]
	v_add_f64 v[160:161], v[160:161], v[171:172]
	v_add_f64 v[2:3], v[2:3], v[101:102]
	s_clause 0x2
	buffer_load_dword v169, off, s[0:3], 0 offset:556
	buffer_load_dword v102, off, s[0:3], 0 offset:532
	buffer_load_dword v101, off, s[0:3], 0 offset:528
	s_waitcnt vmcnt(58) lgkmcnt(0)
	v_mul_f64 v[170:171], v[93:94], v[111:112]
	v_mul_f64 v[111:112], v[95:96], v[111:112]
	s_waitcnt vmcnt(56)
	v_fma_f64 v[109:110], v[89:90], v[117:118], -v[109:110]
	ds_read_b128 v[97:100], v1 offset:992
	v_fma_f64 v[117:118], v[91:92], v[117:118], v[174:175]
	v_add_f64 v[105:106], v[160:161], v[105:106]
	v_add_f64 v[2:3], v[2:3], v[115:116]
	s_clause 0x4
	buffer_load_dword v116, off, s[0:3], 0 offset:572
	buffer_load_dword v160, off, s[0:3], 0 offset:584
	;; [unrolled: 1-line block ×5, first 2 shown]
	ds_read_b128 v[89:92], v1 offset:1008
	s_waitcnt vmcnt(57) lgkmcnt(1)
	v_mul_f64 v[176:177], v[97:98], v[119:120]
	v_mul_f64 v[119:120], v[99:100], v[119:120]
	s_waitcnt vmcnt(56)
	v_fma_f64 v[111:112], v[93:94], v[113:114], -v[111:112]
	v_add_f64 v[105:106], v[105:106], v[109:110]
	v_fma_f64 v[109:110], v[95:96], v[113:114], v[170:171]
	v_add_f64 v[2:3], v[2:3], v[117:118]
	s_clause 0x2
	buffer_load_dword v161, off, s[0:3], 0 offset:588
	buffer_load_dword v114, off, s[0:3], 0 offset:564
	;; [unrolled: 1-line block ×3, first 2 shown]
	s_waitcnt vmcnt(58) lgkmcnt(0)
	v_mul_f64 v[117:118], v[89:90], v[121:122]
	v_mul_f64 v[121:122], v[91:92], v[121:122]
	s_waitcnt vmcnt(56)
	v_fma_f64 v[119:120], v[97:98], v[125:126], -v[119:120]
	ds_read_b128 v[93:96], v1 offset:1024
	v_add_f64 v[105:106], v[105:106], v[111:112]
	v_fma_f64 v[111:112], v[99:100], v[125:126], v[176:177]
	v_add_f64 v[2:3], v[2:3], v[109:110]
	s_clause 0x4
	buffer_load_dword v110, off, s[0:3], 0 offset:604
	buffer_load_dword v125, off, s[0:3], 0 offset:616
	;; [unrolled: 1-line block ×5, first 2 shown]
	ds_read_b128 v[97:100], v1 offset:1040
	s_waitcnt vmcnt(57) lgkmcnt(1)
	v_mul_f64 v[171:172], v[93:94], v[127:128]
	v_mul_f64 v[127:128], v[95:96], v[127:128]
	s_waitcnt vmcnt(56)
	v_fma_f64 v[121:122], v[89:90], v[123:124], -v[121:122]
	v_fma_f64 v[117:118], v[91:92], v[123:124], v[117:118]
	v_add_f64 v[105:106], v[105:106], v[119:120]
	v_add_f64 v[2:3], v[2:3], v[111:112]
	s_clause 0x2
	buffer_load_dword v126, off, s[0:3], 0 offset:620
	buffer_load_dword v112, off, s[0:3], 0 offset:596
	;; [unrolled: 1-line block ×3, first 2 shown]
	s_waitcnt vmcnt(58) lgkmcnt(0)
	v_mul_f64 v[123:124], v[99:100], v[129:130]
	ds_read_b128 v[89:92], v1 offset:1056
	s_waitcnt vmcnt(56)
	v_fma_f64 v[127:128], v[93:94], v[133:134], -v[127:128]
	v_mul_f64 v[119:120], v[97:98], v[129:130]
	v_add_f64 v[105:106], v[105:106], v[121:122]
	v_fma_f64 v[121:122], v[95:96], v[133:134], v[171:172]
	v_add_f64 v[2:3], v[2:3], v[117:118]
	s_clause 0x4
	buffer_load_dword v118, off, s[0:3], 0 offset:636
	buffer_load_dword v129, off, s[0:3], 0 offset:648
	;; [unrolled: 1-line block ×5, first 2 shown]
	s_waitcnt vmcnt(57) lgkmcnt(0)
	v_mul_f64 v[177:178], v[89:90], v[135:136]
	v_mul_f64 v[134:135], v[91:92], v[135:136]
	s_waitcnt vmcnt(56)
	v_fma_f64 v[123:124], v[97:98], v[131:132], -v[123:124]
	ds_read_b128 v[93:96], v1 offset:1072
	v_fma_f64 v[119:120], v[99:100], v[131:132], v[119:120]
	v_add_f64 v[105:106], v[105:106], v[127:128]
	v_add_f64 v[2:3], v[2:3], v[121:122]
	s_clause 0x2
	buffer_load_dword v130, off, s[0:3], 0 offset:652
	buffer_load_dword v122, off, s[0:3], 0 offset:628
	;; [unrolled: 1-line block ×3, first 2 shown]
	ds_read_b128 v[97:100], v1 offset:1088
	s_waitcnt vmcnt(58) lgkmcnt(1)
	v_mul_f64 v[131:132], v[95:96], v[137:138]
	s_waitcnt vmcnt(56)
	v_fma_f64 v[135:136], v[89:90], v[141:142], -v[134:135]
	v_mul_f64 v[127:128], v[93:94], v[137:138]
	v_add_f64 v[105:106], v[105:106], v[123:124]
	v_fma_f64 v[123:124], v[91:92], v[141:142], v[177:178]
	v_add_f64 v[2:3], v[2:3], v[119:120]
	s_clause 0x4
	buffer_load_dword v120, off, s[0:3], 0 offset:668
	buffer_load_dword v137, off, s[0:3], 0 offset:680
	;; [unrolled: 1-line block ×5, first 2 shown]
	s_waitcnt vmcnt(57) lgkmcnt(0)
	v_mul_f64 v[177:178], v[97:98], v[143:144]
	v_mul_f64 v[142:143], v[99:100], v[143:144]
	s_waitcnt vmcnt(56)
	v_fma_f64 v[131:132], v[93:94], v[139:140], -v[131:132]
	ds_read_b128 v[89:92], v1 offset:1104
	v_fma_f64 v[127:128], v[95:96], v[139:140], v[127:128]
	v_add_f64 v[105:106], v[105:106], v[135:136]
	v_add_f64 v[2:3], v[2:3], v[123:124]
	s_clause 0x2
	buffer_load_dword v138, off, s[0:3], 0 offset:684
	buffer_load_dword v124, off, s[0:3], 0 offset:660
	;; [unrolled: 1-line block ×3, first 2 shown]
	ds_read_b128 v[93:96], v1 offset:1120
	s_waitcnt vmcnt(58) lgkmcnt(1)
	v_mul_f64 v[139:140], v[91:92], v[146:147]
	s_waitcnt vmcnt(56)
	v_fma_f64 v[143:144], v[97:98], v[150:151], -v[142:143]
	v_mul_f64 v[135:136], v[89:90], v[146:147]
	buffer_load_dword v142, off, s[0:3], 0 offset:676
	v_add_f64 v[105:106], v[105:106], v[131:132]
	v_fma_f64 v[131:132], v[99:100], v[150:151], v[177:178]
	v_add_f64 v[2:3], v[2:3], v[127:128]
	ds_read_b128 v[97:100], v1 offset:1136
	s_waitcnt vmcnt(53) lgkmcnt(1)
	v_mul_f64 v[146:147], v[95:96], v[152:153]
	s_waitcnt vmcnt(52)
	v_fma_f64 v[139:140], v[89:90], v[148:149], -v[139:140]
	v_mul_f64 v[127:128], v[93:94], v[152:153]
	v_fma_f64 v[135:136], v[91:92], v[148:149], v[135:136]
	ds_read_b128 v[89:92], v1 offset:1152
	v_add_f64 v[105:106], v[105:106], v[143:144]
	s_waitcnt vmcnt(51) lgkmcnt(1)
	v_mul_f64 v[143:144], v[99:100], v[154:155]
	v_add_f64 v[2:3], v[2:3], v[131:132]
	v_mul_f64 v[131:132], v[97:98], v[154:155]
	s_waitcnt vmcnt(49)
	v_fma_f64 v[146:147], v[93:94], v[158:159], -v[146:147]
	v_fma_f64 v[127:128], v[95:96], v[158:159], v[127:128]
	s_waitcnt vmcnt(45) lgkmcnt(0)
	v_mul_f64 v[150:151], v[91:92], v[162:163]
	v_mul_f64 v[148:149], v[89:90], v[162:163]
	v_add_f64 v[105:106], v[105:106], v[139:140]
	s_waitcnt vmcnt(44)
	v_fma_f64 v[143:144], v[97:98], v[156:157], -v[143:144]
	v_add_f64 v[2:3], v[2:3], v[135:136]
	s_clause 0x3
	buffer_load_dword v135, off, s[0:3], 0 offset:240
	buffer_load_dword v136, off, s[0:3], 0 offset:244
	;; [unrolled: 1-line block ×4, first 2 shown]
	ds_read_b128 v[93:96], v1 offset:1168
	v_fma_f64 v[131:132], v[99:100], v[156:157], v[131:132]
	ds_read_b128 v[97:100], v1 offset:1184
	v_add_f64 v[105:106], v[105:106], v[146:147]
	v_add_f64 v[2:3], v[2:3], v[127:128]
	s_waitcnt vmcnt(47) lgkmcnt(1)
	v_mul_f64 v[146:147], v[95:96], v[164:165]
	v_mul_f64 v[127:128], v[93:94], v[164:165]
	s_waitcnt vmcnt(45)
	v_fma_f64 v[150:151], v[89:90], v[103:104], -v[150:151]
	v_fma_f64 v[103:104], v[91:92], v[103:104], v[148:149]
	ds_read_b128 v[89:92], v1 offset:1200
	v_add_f64 v[105:106], v[105:106], v[143:144]
	v_add_f64 v[2:3], v[2:3], v[131:132]
	s_waitcnt vmcnt(41) lgkmcnt(1)
	v_mul_f64 v[131:132], v[97:98], v[107:108]
	v_mul_f64 v[107:108], v[99:100], v[107:108]
	s_waitcnt vmcnt(40)
	v_fma_f64 v[143:144], v[93:94], v[166:167], -v[146:147]
	;; [unrolled: 9-line block ×7, first 2 shown]
	v_fma_f64 v[103:104], v[91:92], v[111:112], v[103:104]
	ds_read_b128 v[89:92], v1 offset:1296
	v_add_f64 v[105:106], v[105:106], v[107:108]
	v_add_f64 v[2:3], v[2:3], v[101:102]
	s_waitcnt vmcnt(17) lgkmcnt(1)
	v_mul_f64 v[107:108], v[99:100], v[117:118]
	s_waitcnt vmcnt(16)
	v_fma_f64 v[111:112], v[93:94], v[170:171], -v[115:116]
	v_mul_f64 v[101:102], v[97:98], v[117:118]
	v_add_f64 v[105:106], v[105:106], v[109:110]
	v_fma_f64 v[109:110], v[95:96], v[170:171], v[113:114]
	v_add_f64 v[2:3], v[2:3], v[103:104]
	ds_read_b128 v[93:96], v1 offset:1312
	s_waitcnt vmcnt(15) lgkmcnt(1)
	v_mul_f64 v[113:114], v[91:92], v[129:130]
	v_mul_f64 v[103:104], v[89:90], v[129:130]
	s_waitcnt vmcnt(13)
	v_fma_f64 v[107:108], v[97:98], v[121:122], -v[107:108]
	v_fma_f64 v[101:102], v[99:100], v[121:122], v[101:102]
	ds_read_b128 v[97:100], v1 offset:1328
	v_add_f64 v[105:106], v[105:106], v[111:112]
	v_add_f64 v[2:3], v[2:3], v[109:110]
	s_waitcnt vmcnt(9) lgkmcnt(1)
	v_mul_f64 v[111:112], v[95:96], v[119:120]
	s_waitcnt vmcnt(8)
	v_fma_f64 v[89:90], v[89:90], v[133:134], -v[113:114]
	v_mul_f64 v[109:110], v[93:94], v[119:120]
	v_fma_f64 v[91:92], v[91:92], v[133:134], v[103:104]
	v_add_f64 v[105:106], v[105:106], v[107:108]
	v_add_f64 v[2:3], v[2:3], v[101:102]
	s_waitcnt vmcnt(7) lgkmcnt(0)
	v_mul_f64 v[103:104], v[99:100], v[137:138]
	v_mul_f64 v[101:102], v[97:98], v[137:138]
	s_waitcnt vmcnt(5)
	v_fma_f64 v[93:94], v[93:94], v[123:124], -v[111:112]
	v_fma_f64 v[95:96], v[95:96], v[123:124], v[109:110]
	v_add_f64 v[89:90], v[105:106], v[89:90]
	v_add_f64 v[2:3], v[2:3], v[91:92]
	s_waitcnt vmcnt(4)
	v_fma_f64 v[91:92], v[97:98], v[141:142], -v[103:104]
	v_add_f64 v[89:90], v[89:90], v[93:94]
	v_fma_f64 v[93:94], v[99:100], v[141:142], v[101:102]
	v_add_f64 v[2:3], v[2:3], v[95:96]
	v_add_f64 v[89:90], v[89:90], v[91:92]
	v_add_f64 v[2:3], v[2:3], v[93:94]
	s_waitcnt vmcnt(2)
	v_add_f64 v[89:90], v[135:136], -v[89:90]
	s_waitcnt vmcnt(0)
	v_add_f64 v[2:3], v[139:140], -v[2:3]
	buffer_store_dword v90, off, s[0:3], 0 offset:244
	buffer_store_dword v89, off, s[0:3], 0 offset:240
	;; [unrolled: 1-line block ×4, first 2 shown]
	v_cmpx_lt_u32_e32 13, v0
	s_cbranch_execz .LBB105_239
; %bb.238:
	v_mov_b32_e32 v2, s41
	s_clause 0x3
	buffer_load_dword v89, v2, s[0:3], 0 offen
	buffer_load_dword v90, v2, s[0:3], 0 offen offset:4
	buffer_load_dword v91, v2, s[0:3], 0 offen offset:8
	;; [unrolled: 1-line block ×3, first 2 shown]
	buffer_store_dword v1, off, s[0:3], 0 offset:224
	buffer_store_dword v1, off, s[0:3], 0 offset:228
	;; [unrolled: 1-line block ×4, first 2 shown]
	s_waitcnt vmcnt(0)
	ds_write_b128 v145, v[89:92]
.LBB105_239:
	s_or_b32 exec_lo, exec_lo, s4
	s_waitcnt lgkmcnt(0)
	s_waitcnt_vscnt null, 0x0
	s_barrier
	buffer_gl0_inv
	s_clause 0x37
	buffer_load_dword v2, off, s[0:3], 0 offset:248
	buffer_load_dword v3, off, s[0:3], 0 offset:252
	;; [unrolled: 1-line block ×56, first 2 shown]
	ds_read_b128 v[89:92], v1 offset:896
	s_clause 0x2
	buffer_load_dword v155, off, s[0:3], 0 offset:476
	buffer_load_dword v159, off, s[0:3], 0 offset:452
	;; [unrolled: 1-line block ×3, first 2 shown]
	ds_read_b128 v[93:96], v1 offset:912
	s_clause 0x4
	buffer_load_dword v163, off, s[0:3], 0 offset:492
	buffer_load_dword v164, off, s[0:3], 0 offset:504
	;; [unrolled: 1-line block ×5, first 2 shown]
	ds_read_b128 v[97:100], v1 offset:928
	s_mov_b32 s4, exec_lo
	s_waitcnt vmcnt(62) lgkmcnt(2)
	v_mul_f64 v[160:161], v[91:92], v[2:3]
	v_mul_f64 v[2:3], v[89:90], v[2:3]
	s_waitcnt vmcnt(60) lgkmcnt(1)
	v_mul_f64 v[167:168], v[95:96], v[101:102]
	v_mul_f64 v[101:102], v[93:94], v[101:102]
	;; [unrolled: 3-line block ×3, first 2 shown]
	v_fma_f64 v[160:161], v[89:90], v[103:104], -v[160:161]
	v_fma_f64 v[2:3], v[91:92], v[103:104], v[2:3]
	s_clause 0x2
	buffer_load_dword v165, off, s[0:3], 0 offset:508
	buffer_load_dword v104, off, s[0:3], 0 offset:484
	;; [unrolled: 1-line block ×3, first 2 shown]
	s_waitcnt vmcnt(57)
	v_fma_f64 v[171:172], v[93:94], v[107:108], -v[167:168]
	ds_read_b128 v[89:92], v1 offset:944
	v_fma_f64 v[101:102], v[95:96], v[107:108], v[101:102]
	s_clause 0x4
	buffer_load_dword v108, off, s[0:3], 0 offset:524
	buffer_load_dword v168, off, s[0:3], 0 offset:536
	;; [unrolled: 1-line block ×5, first 2 shown]
	s_waitcnt vmcnt(56)
	v_fma_f64 v[105:106], v[97:98], v[115:116], -v[105:106]
	ds_read_b128 v[93:96], v1 offset:960
	v_fma_f64 v[115:116], v[99:100], v[115:116], v[169:170]
	v_add_f64 v[160:161], v[160:161], 0
	v_add_f64 v[2:3], v[2:3], 0
	s_waitcnt lgkmcnt(1)
	v_mul_f64 v[174:175], v[89:90], v[109:110]
	v_mul_f64 v[109:110], v[91:92], v[109:110]
	v_add_f64 v[160:161], v[160:161], v[171:172]
	v_add_f64 v[2:3], v[2:3], v[101:102]
	s_clause 0x2
	buffer_load_dword v169, off, s[0:3], 0 offset:540
	buffer_load_dword v102, off, s[0:3], 0 offset:516
	;; [unrolled: 1-line block ×3, first 2 shown]
	s_waitcnt vmcnt(58) lgkmcnt(0)
	v_mul_f64 v[170:171], v[93:94], v[111:112]
	v_mul_f64 v[111:112], v[95:96], v[111:112]
	s_waitcnt vmcnt(56)
	v_fma_f64 v[109:110], v[89:90], v[117:118], -v[109:110]
	ds_read_b128 v[97:100], v1 offset:976
	v_fma_f64 v[117:118], v[91:92], v[117:118], v[174:175]
	v_add_f64 v[105:106], v[160:161], v[105:106]
	v_add_f64 v[2:3], v[2:3], v[115:116]
	s_clause 0x4
	buffer_load_dword v116, off, s[0:3], 0 offset:556
	buffer_load_dword v160, off, s[0:3], 0 offset:568
	;; [unrolled: 1-line block ×5, first 2 shown]
	ds_read_b128 v[89:92], v1 offset:992
	s_waitcnt vmcnt(57) lgkmcnt(1)
	v_mul_f64 v[176:177], v[97:98], v[119:120]
	v_mul_f64 v[119:120], v[99:100], v[119:120]
	s_waitcnt vmcnt(56)
	v_fma_f64 v[111:112], v[93:94], v[113:114], -v[111:112]
	v_add_f64 v[105:106], v[105:106], v[109:110]
	v_fma_f64 v[109:110], v[95:96], v[113:114], v[170:171]
	v_add_f64 v[2:3], v[2:3], v[117:118]
	s_clause 0x2
	buffer_load_dword v161, off, s[0:3], 0 offset:572
	buffer_load_dword v114, off, s[0:3], 0 offset:548
	;; [unrolled: 1-line block ×3, first 2 shown]
	s_waitcnt vmcnt(58) lgkmcnt(0)
	v_mul_f64 v[117:118], v[89:90], v[121:122]
	v_mul_f64 v[121:122], v[91:92], v[121:122]
	s_waitcnt vmcnt(56)
	v_fma_f64 v[119:120], v[97:98], v[125:126], -v[119:120]
	ds_read_b128 v[93:96], v1 offset:1008
	v_add_f64 v[105:106], v[105:106], v[111:112]
	v_fma_f64 v[111:112], v[99:100], v[125:126], v[176:177]
	v_add_f64 v[2:3], v[2:3], v[109:110]
	s_clause 0x4
	buffer_load_dword v110, off, s[0:3], 0 offset:588
	buffer_load_dword v125, off, s[0:3], 0 offset:600
	;; [unrolled: 1-line block ×5, first 2 shown]
	ds_read_b128 v[97:100], v1 offset:1024
	s_waitcnt vmcnt(57) lgkmcnt(1)
	v_mul_f64 v[171:172], v[93:94], v[127:128]
	v_mul_f64 v[127:128], v[95:96], v[127:128]
	s_waitcnt vmcnt(56)
	v_fma_f64 v[121:122], v[89:90], v[123:124], -v[121:122]
	v_fma_f64 v[117:118], v[91:92], v[123:124], v[117:118]
	v_add_f64 v[105:106], v[105:106], v[119:120]
	v_add_f64 v[2:3], v[2:3], v[111:112]
	s_clause 0x2
	buffer_load_dword v126, off, s[0:3], 0 offset:604
	buffer_load_dword v112, off, s[0:3], 0 offset:580
	;; [unrolled: 1-line block ×3, first 2 shown]
	s_waitcnt vmcnt(58) lgkmcnt(0)
	v_mul_f64 v[123:124], v[99:100], v[129:130]
	ds_read_b128 v[89:92], v1 offset:1040
	s_waitcnt vmcnt(56)
	v_fma_f64 v[127:128], v[93:94], v[133:134], -v[127:128]
	v_mul_f64 v[119:120], v[97:98], v[129:130]
	v_add_f64 v[105:106], v[105:106], v[121:122]
	v_fma_f64 v[121:122], v[95:96], v[133:134], v[171:172]
	v_add_f64 v[2:3], v[2:3], v[117:118]
	s_clause 0x4
	buffer_load_dword v118, off, s[0:3], 0 offset:620
	buffer_load_dword v129, off, s[0:3], 0 offset:632
	;; [unrolled: 1-line block ×5, first 2 shown]
	s_waitcnt vmcnt(57) lgkmcnt(0)
	v_mul_f64 v[177:178], v[89:90], v[135:136]
	v_mul_f64 v[134:135], v[91:92], v[135:136]
	s_waitcnt vmcnt(56)
	v_fma_f64 v[123:124], v[97:98], v[131:132], -v[123:124]
	ds_read_b128 v[93:96], v1 offset:1056
	v_fma_f64 v[119:120], v[99:100], v[131:132], v[119:120]
	v_add_f64 v[105:106], v[105:106], v[127:128]
	v_add_f64 v[2:3], v[2:3], v[121:122]
	s_clause 0x2
	buffer_load_dword v130, off, s[0:3], 0 offset:636
	buffer_load_dword v122, off, s[0:3], 0 offset:612
	;; [unrolled: 1-line block ×3, first 2 shown]
	ds_read_b128 v[97:100], v1 offset:1072
	s_waitcnt vmcnt(58) lgkmcnt(1)
	v_mul_f64 v[131:132], v[95:96], v[137:138]
	s_waitcnt vmcnt(56)
	v_fma_f64 v[135:136], v[89:90], v[141:142], -v[134:135]
	v_mul_f64 v[127:128], v[93:94], v[137:138]
	v_add_f64 v[105:106], v[105:106], v[123:124]
	v_fma_f64 v[123:124], v[91:92], v[141:142], v[177:178]
	v_add_f64 v[2:3], v[2:3], v[119:120]
	s_clause 0x4
	buffer_load_dword v120, off, s[0:3], 0 offset:652
	buffer_load_dword v137, off, s[0:3], 0 offset:664
	;; [unrolled: 1-line block ×5, first 2 shown]
	s_waitcnt vmcnt(57) lgkmcnt(0)
	v_mul_f64 v[177:178], v[97:98], v[143:144]
	v_mul_f64 v[142:143], v[99:100], v[143:144]
	s_waitcnt vmcnt(56)
	v_fma_f64 v[131:132], v[93:94], v[139:140], -v[131:132]
	ds_read_b128 v[89:92], v1 offset:1088
	v_fma_f64 v[127:128], v[95:96], v[139:140], v[127:128]
	v_add_f64 v[105:106], v[105:106], v[135:136]
	v_add_f64 v[2:3], v[2:3], v[123:124]
	s_clause 0x2
	buffer_load_dword v138, off, s[0:3], 0 offset:668
	buffer_load_dword v124, off, s[0:3], 0 offset:644
	;; [unrolled: 1-line block ×3, first 2 shown]
	ds_read_b128 v[93:96], v1 offset:1104
	s_waitcnt vmcnt(58) lgkmcnt(1)
	v_mul_f64 v[139:140], v[91:92], v[146:147]
	s_waitcnt vmcnt(56)
	v_fma_f64 v[143:144], v[97:98], v[150:151], -v[142:143]
	v_mul_f64 v[135:136], v[89:90], v[146:147]
	v_add_f64 v[105:106], v[105:106], v[131:132]
	v_fma_f64 v[131:132], v[99:100], v[150:151], v[177:178]
	v_add_f64 v[2:3], v[2:3], v[127:128]
	s_clause 0x2
	buffer_load_dword v128, off, s[0:3], 0 offset:684
	buffer_load_dword v127, off, s[0:3], 0 offset:680
	;; [unrolled: 1-line block ×3, first 2 shown]
	s_waitcnt vmcnt(55) lgkmcnt(0)
	v_mul_f64 v[150:151], v[95:96], v[152:153]
	s_waitcnt vmcnt(54)
	v_fma_f64 v[139:140], v[89:90], v[148:149], -v[139:140]
	ds_read_b128 v[97:100], v1 offset:1120
	v_mul_f64 v[146:147], v[93:94], v[152:153]
	v_fma_f64 v[135:136], v[91:92], v[148:149], v[135:136]
	v_add_f64 v[105:106], v[105:106], v[143:144]
	v_add_f64 v[2:3], v[2:3], v[131:132]
	s_clause 0x1
	buffer_load_dword v132, off, s[0:3], 0 offset:676
	buffer_load_dword v131, off, s[0:3], 0 offset:672
	s_waitcnt vmcnt(55) lgkmcnt(0)
	v_mul_f64 v[148:149], v[99:100], v[154:155]
	s_waitcnt vmcnt(53)
	v_fma_f64 v[150:151], v[93:94], v[158:159], -v[150:151]
	ds_read_b128 v[89:92], v1 offset:1136
	v_mul_f64 v[143:144], v[97:98], v[154:155]
	v_add_f64 v[105:106], v[105:106], v[139:140]
	v_fma_f64 v[139:140], v[95:96], v[158:159], v[146:147]
	v_add_f64 v[2:3], v[2:3], v[135:136]
	ds_read_b128 v[93:96], v1 offset:1152
	s_waitcnt vmcnt(49) lgkmcnt(1)
	v_mul_f64 v[146:147], v[91:92], v[162:163]
	s_waitcnt vmcnt(48)
	v_fma_f64 v[148:149], v[97:98], v[156:157], -v[148:149]
	v_mul_f64 v[135:136], v[89:90], v[162:163]
	v_fma_f64 v[143:144], v[99:100], v[156:157], v[143:144]
	v_add_f64 v[105:106], v[105:106], v[150:151]
	v_add_f64 v[2:3], v[2:3], v[139:140]
	s_clause 0x3
	buffer_load_dword v139, off, s[0:3], 0 offset:224
	buffer_load_dword v140, off, s[0:3], 0 offset:228
	;; [unrolled: 1-line block ×4, first 2 shown]
	ds_read_b128 v[97:100], v1 offset:1168
	s_waitcnt vmcnt(51) lgkmcnt(1)
	v_mul_f64 v[154:155], v[95:96], v[164:165]
	v_mul_f64 v[152:153], v[93:94], v[164:165]
	s_waitcnt vmcnt(49)
	v_fma_f64 v[146:147], v[89:90], v[103:104], -v[146:147]
	v_fma_f64 v[103:104], v[91:92], v[103:104], v[135:136]
	ds_read_b128 v[89:92], v1 offset:1184
	v_add_f64 v[105:106], v[105:106], v[148:149]
	v_add_f64 v[2:3], v[2:3], v[143:144]
	s_waitcnt vmcnt(45) lgkmcnt(1)
	v_mul_f64 v[135:136], v[97:98], v[107:108]
	v_mul_f64 v[107:108], v[99:100], v[107:108]
	s_waitcnt vmcnt(44)
	v_fma_f64 v[143:144], v[93:94], v[166:167], -v[154:155]
	v_add_f64 v[105:106], v[105:106], v[146:147]
	v_fma_f64 v[146:147], v[95:96], v[166:167], v[152:153]
	v_add_f64 v[2:3], v[2:3], v[103:104]
	ds_read_b128 v[93:96], v1 offset:1200
	s_waitcnt vmcnt(43) lgkmcnt(1)
	v_mul_f64 v[148:149], v[91:92], v[168:169]
	v_mul_f64 v[103:104], v[89:90], v[168:169]
	s_waitcnt vmcnt(41)
	v_fma_f64 v[107:108], v[97:98], v[101:102], -v[107:108]
	v_fma_f64 v[101:102], v[99:100], v[101:102], v[135:136]
	ds_read_b128 v[97:100], v1 offset:1216
	v_add_f64 v[105:106], v[105:106], v[143:144]
	v_add_f64 v[2:3], v[2:3], v[146:147]
	s_waitcnt vmcnt(37) lgkmcnt(1)
	v_mul_f64 v[135:136], v[93:94], v[115:116]
	v_mul_f64 v[115:116], v[95:96], v[115:116]
	s_waitcnt vmcnt(36)
	v_fma_f64 v[143:144], v[89:90], v[173:174], -v[148:149]
	v_fma_f64 v[103:104], v[91:92], v[173:174], v[103:104]
	ds_read_b128 v[89:92], v1 offset:1232
	v_add_f64 v[105:106], v[105:106], v[107:108]
	v_add_f64 v[2:3], v[2:3], v[101:102]
	;; [unrolled: 9-line block ×5, first 2 shown]
	s_waitcnt vmcnt(21) lgkmcnt(1)
	v_mul_f64 v[107:108], v[99:100], v[117:118]
	s_waitcnt vmcnt(20)
	v_fma_f64 v[111:112], v[93:94], v[170:171], -v[115:116]
	v_mul_f64 v[101:102], v[97:98], v[117:118]
	v_add_f64 v[105:106], v[105:106], v[109:110]
	v_fma_f64 v[109:110], v[95:96], v[170:171], v[113:114]
	v_add_f64 v[2:3], v[2:3], v[103:104]
	ds_read_b128 v[93:96], v1 offset:1296
	s_waitcnt vmcnt(19) lgkmcnt(1)
	v_mul_f64 v[113:114], v[91:92], v[129:130]
	v_mul_f64 v[103:104], v[89:90], v[129:130]
	s_waitcnt vmcnt(17)
	v_fma_f64 v[107:108], v[97:98], v[121:122], -v[107:108]
	v_fma_f64 v[101:102], v[99:100], v[121:122], v[101:102]
	ds_read_b128 v[97:100], v1 offset:1312
	v_add_f64 v[105:106], v[105:106], v[111:112]
	v_add_f64 v[2:3], v[2:3], v[109:110]
	s_waitcnt vmcnt(13) lgkmcnt(1)
	v_mul_f64 v[111:112], v[95:96], v[119:120]
	s_waitcnt vmcnt(12)
	v_fma_f64 v[89:90], v[89:90], v[133:134], -v[113:114]
	v_mul_f64 v[109:110], v[93:94], v[119:120]
	v_fma_f64 v[91:92], v[91:92], v[133:134], v[103:104]
	v_add_f64 v[105:106], v[105:106], v[107:108]
	v_add_f64 v[101:102], v[2:3], v[101:102]
	ds_read_b128 v[1:4], v1 offset:1328
	s_waitcnt vmcnt(11) lgkmcnt(1)
	v_mul_f64 v[107:108], v[99:100], v[137:138]
	v_mul_f64 v[103:104], v[97:98], v[137:138]
	s_waitcnt vmcnt(9)
	v_fma_f64 v[93:94], v[93:94], v[123:124], -v[111:112]
	v_fma_f64 v[95:96], v[95:96], v[123:124], v[109:110]
	v_add_f64 v[89:90], v[105:106], v[89:90]
	v_add_f64 v[91:92], v[101:102], v[91:92]
	s_waitcnt vmcnt(7) lgkmcnt(0)
	v_mul_f64 v[105:106], v[3:4], v[127:128]
	s_waitcnt vmcnt(6)
	v_fma_f64 v[97:98], v[97:98], v[141:142], -v[107:108]
	v_mul_f64 v[101:102], v[1:2], v[127:128]
	v_add_f64 v[89:90], v[89:90], v[93:94]
	v_fma_f64 v[93:94], v[99:100], v[141:142], v[103:104]
	v_add_f64 v[91:92], v[91:92], v[95:96]
	s_waitcnt vmcnt(4)
	v_fma_f64 v[1:2], v[1:2], v[131:132], -v[105:106]
	v_fma_f64 v[3:4], v[3:4], v[131:132], v[101:102]
	v_add_f64 v[89:90], v[89:90], v[97:98]
	v_add_f64 v[91:92], v[91:92], v[93:94]
	;; [unrolled: 1-line block ×4, first 2 shown]
	s_waitcnt vmcnt(2)
	v_add_f64 v[1:2], v[139:140], -v[1:2]
	s_waitcnt vmcnt(0)
	v_add_f64 v[3:4], v[150:151], -v[3:4]
	buffer_store_dword v2, off, s[0:3], 0 offset:228
	buffer_store_dword v1, off, s[0:3], 0 offset:224
	;; [unrolled: 1-line block ×4, first 2 shown]
	v_cmpx_lt_u32_e32 12, v0
	s_cbranch_execz .LBB105_241
; %bb.240:
	v_mov_b32_e32 v4, s42
	v_mov_b32_e32 v89, 0
	s_clause 0x3
	buffer_load_dword v1, v4, s[0:3], 0 offen
	buffer_load_dword v2, v4, s[0:3], 0 offen offset:4
	buffer_load_dword v3, v4, s[0:3], 0 offen offset:8
	;; [unrolled: 1-line block ×3, first 2 shown]
	buffer_store_dword v89, off, s[0:3], 0 offset:208
	buffer_store_dword v89, off, s[0:3], 0 offset:212
	;; [unrolled: 1-line block ×4, first 2 shown]
	s_waitcnt vmcnt(0)
	ds_write_b128 v145, v[1:4]
.LBB105_241:
	s_or_b32 exec_lo, exec_lo, s4
	s_waitcnt lgkmcnt(0)
	s_waitcnt_vscnt null, 0x0
	s_barrier
	buffer_gl0_inv
	s_clause 0x37
	buffer_load_dword v93, off, s[0:3], 0 offset:232
	buffer_load_dword v94, off, s[0:3], 0 offset:236
	;; [unrolled: 1-line block ×56, first 2 shown]
	v_mov_b32_e32 v95, 0
	s_mov_b32 s4, exec_lo
	ds_read_b128 v[89:92], v95 offset:880
	s_clause 0x2
	buffer_load_dword v155, off, s[0:3], 0 offset:460
	buffer_load_dword v159, off, s[0:3], 0 offset:436
	;; [unrolled: 1-line block ×3, first 2 shown]
	ds_read_b128 v[96:99], v95 offset:896
	s_clause 0x4
	buffer_load_dword v163, off, s[0:3], 0 offset:476
	buffer_load_dword v164, off, s[0:3], 0 offset:488
	;; [unrolled: 1-line block ×5, first 2 shown]
	ds_read_b128 v[100:103], v95 offset:912
	s_waitcnt vmcnt(62) lgkmcnt(2)
	v_mul_f64 v[160:161], v[91:92], v[93:94]
	v_mul_f64 v[93:94], v[89:90], v[93:94]
	s_waitcnt vmcnt(60) lgkmcnt(1)
	v_mul_f64 v[167:168], v[98:99], v[104:105]
	v_mul_f64 v[104:105], v[96:97], v[104:105]
	;; [unrolled: 3-line block ×3, first 2 shown]
	v_fma_f64 v[160:161], v[89:90], v[106:107], -v[160:161]
	v_fma_f64 v[93:94], v[91:92], v[106:107], v[93:94]
	s_clause 0x2
	buffer_load_dword v165, off, s[0:3], 0 offset:492
	buffer_load_dword v107, off, s[0:3], 0 offset:468
	;; [unrolled: 1-line block ×3, first 2 shown]
	s_waitcnt vmcnt(57)
	v_fma_f64 v[96:97], v[96:97], v[1:2], -v[167:168]
	ds_read_b128 v[89:92], v95 offset:928
	v_fma_f64 v[98:99], v[98:99], v[1:2], v[104:105]
	s_clause 0x4
	buffer_load_dword v105, off, s[0:3], 0 offset:508
	buffer_load_dword v168, off, s[0:3], 0 offset:520
	;; [unrolled: 1-line block ×5, first 2 shown]
	s_waitcnt vmcnt(56)
	v_fma_f64 v[100:101], v[100:101], v[114:115], -v[171:172]
	ds_read_b128 v[1:4], v95 offset:944
	v_fma_f64 v[102:103], v[102:103], v[114:115], v[169:170]
	s_clause 0x2
	buffer_load_dword v169, off, s[0:3], 0 offset:524
	buffer_load_dword v115, off, s[0:3], 0 offset:500
	;; [unrolled: 1-line block ×3, first 2 shown]
	v_add_f64 v[160:161], v[160:161], 0
	v_add_f64 v[93:94], v[93:94], 0
	s_waitcnt lgkmcnt(1)
	v_mul_f64 v[174:175], v[89:90], v[108:109]
	v_mul_f64 v[108:109], v[91:92], v[108:109]
	s_waitcnt vmcnt(58) lgkmcnt(0)
	v_mul_f64 v[170:171], v[1:2], v[110:111]
	v_mul_f64 v[110:111], v[3:4], v[110:111]
	v_add_f64 v[160:161], v[160:161], v[96:97]
	v_add_f64 v[93:94], v[93:94], v[98:99]
	ds_read_b128 v[96:99], v95 offset:960
	s_waitcnt vmcnt(56)
	v_fma_f64 v[108:109], v[89:90], v[116:117], -v[108:109]
	v_fma_f64 v[116:117], v[91:92], v[116:117], v[174:175]
	s_waitcnt vmcnt(51)
	v_fma_f64 v[110:111], v[1:2], v[112:113], -v[110:111]
	s_waitcnt lgkmcnt(0)
	v_mul_f64 v[176:177], v[96:97], v[118:119]
	v_add_f64 v[100:101], v[160:161], v[100:101]
	v_add_f64 v[93:94], v[93:94], v[102:103]
	s_clause 0x4
	buffer_load_dword v103, off, s[0:3], 0 offset:540
	buffer_load_dword v160, off, s[0:3], 0 offset:552
	;; [unrolled: 1-line block ×5, first 2 shown]
	v_mul_f64 v[118:119], v[98:99], v[118:119]
	ds_read_b128 v[89:92], v95 offset:976
	v_add_f64 v[100:101], v[100:101], v[108:109]
	v_fma_f64 v[108:109], v[3:4], v[112:113], v[170:171]
	v_add_f64 v[93:94], v[93:94], v[116:117]
	s_clause 0x2
	buffer_load_dword v161, off, s[0:3], 0 offset:556
	buffer_load_dword v113, off, s[0:3], 0 offset:532
	;; [unrolled: 1-line block ×3, first 2 shown]
	s_waitcnt vmcnt(58) lgkmcnt(0)
	v_mul_f64 v[116:117], v[89:90], v[120:121]
	v_mul_f64 v[120:121], v[91:92], v[120:121]
	s_waitcnt vmcnt(56)
	v_fma_f64 v[118:119], v[96:97], v[124:125], -v[118:119]
	ds_read_b128 v[1:4], v95 offset:992
	v_add_f64 v[100:101], v[100:101], v[110:111]
	v_fma_f64 v[110:111], v[98:99], v[124:125], v[176:177]
	v_add_f64 v[93:94], v[93:94], v[108:109]
	s_clause 0x4
	buffer_load_dword v109, off, s[0:3], 0 offset:572
	buffer_load_dword v124, off, s[0:3], 0 offset:584
	;; [unrolled: 1-line block ×5, first 2 shown]
	ds_read_b128 v[96:99], v95 offset:1008
	s_waitcnt vmcnt(57) lgkmcnt(1)
	v_mul_f64 v[171:172], v[1:2], v[126:127]
	v_mul_f64 v[126:127], v[3:4], v[126:127]
	s_waitcnt vmcnt(56)
	v_fma_f64 v[120:121], v[89:90], v[122:123], -v[120:121]
	v_fma_f64 v[116:117], v[91:92], v[122:123], v[116:117]
	v_add_f64 v[100:101], v[100:101], v[118:119]
	v_add_f64 v[93:94], v[93:94], v[110:111]
	s_clause 0x2
	buffer_load_dword v125, off, s[0:3], 0 offset:588
	buffer_load_dword v111, off, s[0:3], 0 offset:564
	;; [unrolled: 1-line block ×3, first 2 shown]
	s_waitcnt vmcnt(58) lgkmcnt(0)
	v_mul_f64 v[122:123], v[98:99], v[128:129]
	ds_read_b128 v[89:92], v95 offset:1024
	s_waitcnt vmcnt(56)
	v_fma_f64 v[126:127], v[1:2], v[132:133], -v[126:127]
	v_mul_f64 v[118:119], v[96:97], v[128:129]
	v_add_f64 v[100:101], v[100:101], v[120:121]
	v_fma_f64 v[120:121], v[3:4], v[132:133], v[171:172]
	v_add_f64 v[93:94], v[93:94], v[116:117]
	s_clause 0x4
	buffer_load_dword v117, off, s[0:3], 0 offset:604
	buffer_load_dword v128, off, s[0:3], 0 offset:616
	buffer_load_dword v132, off, s[0:3], 0 offset:608
	buffer_load_dword v116, off, s[0:3], 0 offset:600
	buffer_load_dword v171, off, s[0:3], 0 offset:580
	s_waitcnt vmcnt(57) lgkmcnt(0)
	v_mul_f64 v[177:178], v[89:90], v[134:135]
	v_mul_f64 v[133:134], v[91:92], v[134:135]
	s_waitcnt vmcnt(56)
	v_fma_f64 v[122:123], v[96:97], v[130:131], -v[122:123]
	ds_read_b128 v[1:4], v95 offset:1040
	v_fma_f64 v[118:119], v[98:99], v[130:131], v[118:119]
	v_add_f64 v[100:101], v[100:101], v[126:127]
	v_add_f64 v[93:94], v[93:94], v[120:121]
	s_clause 0x2
	buffer_load_dword v129, off, s[0:3], 0 offset:620
	buffer_load_dword v121, off, s[0:3], 0 offset:596
	buffer_load_dword v120, off, s[0:3], 0 offset:592
	ds_read_b128 v[96:99], v95 offset:1056
	s_waitcnt vmcnt(58) lgkmcnt(1)
	v_mul_f64 v[130:131], v[3:4], v[136:137]
	s_waitcnt vmcnt(56)
	v_fma_f64 v[134:135], v[89:90], v[140:141], -v[133:134]
	v_mul_f64 v[126:127], v[1:2], v[136:137]
	v_add_f64 v[100:101], v[100:101], v[122:123]
	v_fma_f64 v[122:123], v[91:92], v[140:141], v[177:178]
	v_add_f64 v[93:94], v[93:94], v[118:119]
	s_clause 0x4
	buffer_load_dword v119, off, s[0:3], 0 offset:636
	buffer_load_dword v136, off, s[0:3], 0 offset:648
	buffer_load_dword v140, off, s[0:3], 0 offset:640
	buffer_load_dword v118, off, s[0:3], 0 offset:632
	buffer_load_dword v133, off, s[0:3], 0 offset:612
	s_waitcnt vmcnt(57) lgkmcnt(0)
	v_mul_f64 v[177:178], v[96:97], v[142:143]
	v_mul_f64 v[141:142], v[98:99], v[142:143]
	s_waitcnt vmcnt(56)
	v_fma_f64 v[130:131], v[1:2], v[138:139], -v[130:131]
	ds_read_b128 v[89:92], v95 offset:1072
	v_fma_f64 v[126:127], v[3:4], v[138:139], v[126:127]
	v_add_f64 v[100:101], v[100:101], v[134:135]
	v_add_f64 v[93:94], v[93:94], v[122:123]
	s_clause 0x2
	buffer_load_dword v137, off, s[0:3], 0 offset:652
	buffer_load_dword v123, off, s[0:3], 0 offset:628
	buffer_load_dword v122, off, s[0:3], 0 offset:624
	ds_read_b128 v[1:4], v95 offset:1088
	s_waitcnt vmcnt(58) lgkmcnt(1)
	v_mul_f64 v[138:139], v[91:92], v[146:147]
	;; [unrolled: 28-line block ×3, first 2 shown]
	s_waitcnt vmcnt(56)
	v_fma_f64 v[152:153], v[1:2], v[158:159], -v[151:152]
	v_mul_f64 v[142:143], v[96:97], v[154:155]
	buffer_load_dword v151, off, s[0:3], 0 offset:676
	v_add_f64 v[100:101], v[100:101], v[138:139]
	v_fma_f64 v[138:139], v[3:4], v[158:159], v[177:178]
	v_add_f64 v[93:94], v[93:94], v[134:135]
	ds_read_b128 v[1:4], v95 offset:1136
	s_waitcnt vmcnt(53) lgkmcnt(1)
	v_mul_f64 v[154:155], v[91:92], v[162:163]
	s_waitcnt vmcnt(52)
	v_fma_f64 v[148:149], v[96:97], v[156:157], -v[148:149]
	v_mul_f64 v[134:135], v[89:90], v[162:163]
	v_fma_f64 v[142:143], v[98:99], v[156:157], v[142:143]
	ds_read_b128 v[96:99], v95 offset:1152
	v_add_f64 v[100:101], v[100:101], v[152:153]
	v_add_f64 v[93:94], v[93:94], v[138:139]
	s_waitcnt vmcnt(51) lgkmcnt(1)
	v_mul_f64 v[152:153], v[3:4], v[164:165]
	v_mul_f64 v[138:139], v[1:2], v[164:165]
	s_waitcnt vmcnt(49)
	v_fma_f64 v[154:155], v[89:90], v[106:107], -v[154:155]
	v_fma_f64 v[106:107], v[91:92], v[106:107], v[134:135]
	v_add_f64 v[100:101], v[100:101], v[148:149]
	s_waitcnt vmcnt(45) lgkmcnt(0)
	v_mul_f64 v[148:149], v[96:97], v[104:105]
	v_add_f64 v[93:94], v[93:94], v[142:143]
	s_clause 0x3
	buffer_load_dword v134, off, s[0:3], 0 offset:208
	buffer_load_dword v135, off, s[0:3], 0 offset:212
	;; [unrolled: 1-line block ×4, first 2 shown]
	v_mul_f64 v[104:105], v[98:99], v[104:105]
	ds_read_b128 v[89:92], v95 offset:1168
	s_waitcnt vmcnt(48)
	v_fma_f64 v[152:153], v[1:2], v[166:167], -v[152:153]
	v_fma_f64 v[138:139], v[3:4], v[166:167], v[138:139]
	ds_read_b128 v[1:4], v95 offset:1184
	v_add_f64 v[100:101], v[100:101], v[154:155]
	v_add_f64 v[93:94], v[93:94], v[106:107]
	s_waitcnt vmcnt(47) lgkmcnt(1)
	v_mul_f64 v[154:155], v[91:92], v[168:169]
	s_waitcnt vmcnt(45)
	v_fma_f64 v[104:105], v[96:97], v[114:115], -v[104:105]
	v_mul_f64 v[106:107], v[89:90], v[168:169]
	v_fma_f64 v[114:115], v[98:99], v[114:115], v[148:149]
	ds_read_b128 v[96:99], v95 offset:1200
	v_add_f64 v[100:101], v[100:101], v[152:153]
	v_add_f64 v[93:94], v[93:94], v[138:139]
	s_waitcnt vmcnt(41) lgkmcnt(1)
	v_mul_f64 v[138:139], v[1:2], v[102:103]
	v_mul_f64 v[102:103], v[3:4], v[102:103]
	s_waitcnt vmcnt(40)
	v_fma_f64 v[148:149], v[89:90], v[173:174], -v[154:155]
	v_add_f64 v[100:101], v[100:101], v[104:105]
	v_fma_f64 v[104:105], v[91:92], v[173:174], v[106:107]
	v_add_f64 v[93:94], v[93:94], v[114:115]
	ds_read_b128 v[89:92], v95 offset:1216
	s_waitcnt vmcnt(39) lgkmcnt(1)
	v_mul_f64 v[114:115], v[98:99], v[160:161]
	v_mul_f64 v[106:107], v[96:97], v[160:161]
	s_waitcnt vmcnt(37)
	v_fma_f64 v[102:103], v[1:2], v[112:113], -v[102:103]
	v_fma_f64 v[112:113], v[3:4], v[112:113], v[138:139]
	ds_read_b128 v[1:4], v95 offset:1232
	v_add_f64 v[100:101], v[100:101], v[148:149]
	v_add_f64 v[93:94], v[93:94], v[104:105]
	s_waitcnt vmcnt(33) lgkmcnt(1)
	v_mul_f64 v[104:105], v[89:90], v[108:109]
	v_mul_f64 v[108:109], v[91:92], v[108:109]
	s_waitcnt vmcnt(32)
	v_fma_f64 v[114:115], v[96:97], v[175:176], -v[114:115]
	v_add_f64 v[100:101], v[100:101], v[102:103]
	v_fma_f64 v[102:103], v[98:99], v[175:176], v[106:107]
	v_add_f64 v[93:94], v[93:94], v[112:113]
	ds_read_b128 v[96:99], v95 offset:1248
	s_waitcnt vmcnt(31) lgkmcnt(1)
	v_mul_f64 v[112:113], v[3:4], v[124:125]
	v_mul_f64 v[106:107], v[1:2], v[124:125]
	s_waitcnt vmcnt(29)
	v_fma_f64 v[108:109], v[89:90], v[110:111], -v[108:109]
	v_fma_f64 v[104:105], v[91:92], v[110:111], v[104:105]
	ds_read_b128 v[89:92], v95 offset:1264
	v_add_f64 v[100:101], v[100:101], v[114:115]
	v_add_f64 v[93:94], v[93:94], v[102:103]
	s_waitcnt vmcnt(25) lgkmcnt(1)
	v_mul_f64 v[110:111], v[98:99], v[116:117]
	s_waitcnt vmcnt(24)
	v_fma_f64 v[112:113], v[1:2], v[170:171], -v[112:113]
	v_mul_f64 v[102:103], v[96:97], v[116:117]
	v_fma_f64 v[106:107], v[3:4], v[170:171], v[106:107]
	ds_read_b128 v[1:4], v95 offset:1280
	v_add_f64 v[100:101], v[100:101], v[108:109]
	v_add_f64 v[93:94], v[93:94], v[104:105]
	s_waitcnt vmcnt(23) lgkmcnt(1)
	v_mul_f64 v[108:109], v[91:92], v[128:129]
	v_mul_f64 v[104:105], v[89:90], v[128:129]
	s_waitcnt vmcnt(21)
	v_fma_f64 v[110:111], v[96:97], v[120:121], -v[110:111]
	v_fma_f64 v[102:103], v[98:99], v[120:121], v[102:103]
	ds_read_b128 v[96:99], v95 offset:1296
	v_add_f64 v[100:101], v[100:101], v[112:113]
	v_add_f64 v[93:94], v[93:94], v[106:107]
	s_waitcnt vmcnt(17) lgkmcnt(1)
	v_mul_f64 v[112:113], v[3:4], v[118:119]
	s_waitcnt vmcnt(16)
	v_fma_f64 v[108:109], v[89:90], v[132:133], -v[108:109]
	v_mul_f64 v[106:107], v[1:2], v[118:119]
	v_fma_f64 v[104:105], v[91:92], v[132:133], v[104:105]
	ds_read_b128 v[89:92], v95 offset:1312
	v_add_f64 v[100:101], v[100:101], v[110:111]
	v_add_f64 v[93:94], v[93:94], v[102:103]
	s_waitcnt vmcnt(15) lgkmcnt(1)
	v_mul_f64 v[110:111], v[98:99], v[136:137]
	v_mul_f64 v[102:103], v[96:97], v[136:137]
	s_waitcnt vmcnt(13)
	v_fma_f64 v[112:113], v[1:2], v[122:123], -v[112:113]
	v_fma_f64 v[106:107], v[3:4], v[122:123], v[106:107]
	ds_read_b128 v[1:4], v95 offset:1328
	v_add_f64 v[100:101], v[100:101], v[108:109]
	v_add_f64 v[93:94], v[93:94], v[104:105]
	s_waitcnt vmcnt(9) lgkmcnt(1)
	v_mul_f64 v[108:109], v[91:92], v[126:127]
	s_waitcnt vmcnt(8)
	v_fma_f64 v[96:97], v[96:97], v[140:141], -v[110:111]
	v_mul_f64 v[104:105], v[89:90], v[126:127]
	v_fma_f64 v[98:99], v[98:99], v[140:141], v[102:103]
	v_add_f64 v[100:101], v[100:101], v[112:113]
	v_add_f64 v[93:94], v[93:94], v[106:107]
	s_waitcnt vmcnt(7) lgkmcnt(0)
	v_mul_f64 v[106:107], v[3:4], v[146:147]
	v_mul_f64 v[102:103], v[1:2], v[146:147]
	s_waitcnt vmcnt(5)
	v_fma_f64 v[89:90], v[89:90], v[130:131], -v[108:109]
	v_fma_f64 v[91:92], v[91:92], v[130:131], v[104:105]
	v_add_f64 v[96:97], v[100:101], v[96:97]
	v_add_f64 v[93:94], v[93:94], v[98:99]
	s_waitcnt vmcnt(4)
	v_fma_f64 v[1:2], v[1:2], v[150:151], -v[106:107]
	v_fma_f64 v[3:4], v[3:4], v[150:151], v[102:103]
	v_add_f64 v[89:90], v[96:97], v[89:90]
	v_add_f64 v[91:92], v[93:94], v[91:92]
	;; [unrolled: 1-line block ×4, first 2 shown]
	s_waitcnt vmcnt(2)
	v_add_f64 v[1:2], v[134:135], -v[1:2]
	s_waitcnt vmcnt(0)
	v_add_f64 v[3:4], v[142:143], -v[3:4]
	buffer_store_dword v2, off, s[0:3], 0 offset:212
	buffer_store_dword v1, off, s[0:3], 0 offset:208
	;; [unrolled: 1-line block ×4, first 2 shown]
	v_cmpx_lt_u32_e32 11, v0
	s_cbranch_execz .LBB105_243
; %bb.242:
	v_mov_b32_e32 v4, s43
	s_clause 0x3
	buffer_load_dword v1, v4, s[0:3], 0 offen
	buffer_load_dword v2, v4, s[0:3], 0 offen offset:4
	buffer_load_dword v3, v4, s[0:3], 0 offen offset:8
	buffer_load_dword v4, v4, s[0:3], 0 offen offset:12
	buffer_store_dword v95, off, s[0:3], 0 offset:192
	buffer_store_dword v95, off, s[0:3], 0 offset:196
	;; [unrolled: 1-line block ×4, first 2 shown]
	s_waitcnt vmcnt(0)
	ds_write_b128 v145, v[1:4]
.LBB105_243:
	s_or_b32 exec_lo, exec_lo, s4
	s_waitcnt lgkmcnt(0)
	s_waitcnt_vscnt null, 0x0
	s_barrier
	buffer_gl0_inv
	s_clause 0x37
	buffer_load_dword v93, off, s[0:3], 0 offset:216
	buffer_load_dword v94, off, s[0:3], 0 offset:220
	;; [unrolled: 1-line block ×56, first 2 shown]
	ds_read_b128 v[96:99], v95 offset:864
	s_clause 0x2
	buffer_load_dword v155, off, s[0:3], 0 offset:444
	buffer_load_dword v159, off, s[0:3], 0 offset:420
	;; [unrolled: 1-line block ×3, first 2 shown]
	ds_read_b128 v[100:103], v95 offset:880
	s_clause 0x4
	buffer_load_dword v163, off, s[0:3], 0 offset:460
	buffer_load_dword v164, off, s[0:3], 0 offset:472
	buffer_load_dword v166, off, s[0:3], 0 offset:464
	buffer_load_dword v162, off, s[0:3], 0 offset:456
	buffer_load_dword v157, off, s[0:3], 0 offset:436
	ds_read_b128 v[104:107], v95 offset:896
	s_clause 0x2
	buffer_load_dword v165, off, s[0:3], 0 offset:476
	buffer_load_dword v170, off, s[0:3], 0 offset:452
	;; [unrolled: 1-line block ×3, first 2 shown]
	s_mov_b32 s4, exec_lo
	s_waitcnt vmcnt(62) lgkmcnt(2)
	v_mul_f64 v[160:161], v[98:99], v[93:94]
	v_mul_f64 v[93:94], v[96:97], v[93:94]
	s_waitcnt lgkmcnt(1)
	v_mul_f64 v[167:168], v[102:103], v[89:90]
	s_waitcnt vmcnt(59) lgkmcnt(0)
	v_mul_f64 v[171:172], v[106:107], v[3:4]
	v_fma_f64 v[96:97], v[96:97], v[91:92], -v[160:161]
	v_mul_f64 v[160:161], v[100:101], v[89:90]
	v_fma_f64 v[93:94], v[98:99], v[91:92], v[93:94]
	s_waitcnt vmcnt(57)
	v_fma_f64 v[100:101], v[100:101], v[1:2], -v[167:168]
	ds_read_b128 v[89:92], v95 offset:912
	v_mul_f64 v[98:99], v[104:105], v[3:4]
	s_waitcnt vmcnt(51)
	v_fma_f64 v[104:105], v[104:105], v[114:115], -v[171:172]
	v_add_f64 v[96:97], v[96:97], 0
	v_fma_f64 v[102:103], v[102:103], v[1:2], v[160:161]
	v_add_f64 v[93:94], v[93:94], 0
	s_clause 0x4
	buffer_load_dword v161, off, s[0:3], 0 offset:492
	buffer_load_dword v173, off, s[0:3], 0 offset:504
	;; [unrolled: 1-line block ×5, first 2 shown]
	s_waitcnt lgkmcnt(0)
	v_mul_f64 v[176:177], v[89:90], v[108:109]
	v_mul_f64 v[108:109], v[91:92], v[108:109]
	ds_read_b128 v[1:4], v95 offset:928
	v_fma_f64 v[106:107], v[106:107], v[114:115], v[98:99]
	v_add_f64 v[100:101], v[96:97], v[100:101]
	v_add_f64 v[93:94], v[93:94], v[102:103]
	s_clause 0x2
	buffer_load_dword v174, off, s[0:3], 0 offset:508
	buffer_load_dword v103, off, s[0:3], 0 offset:484
	;; [unrolled: 1-line block ×3, first 2 shown]
	s_waitcnt vmcnt(58) lgkmcnt(0)
	v_mul_f64 v[114:115], v[1:2], v[110:111]
	v_mul_f64 v[110:111], v[3:4], v[110:111]
	s_waitcnt vmcnt(56)
	v_fma_f64 v[108:109], v[89:90], v[116:117], -v[108:109]
	ds_read_b128 v[96:99], v95 offset:944
	v_add_f64 v[100:101], v[100:101], v[104:105]
	v_fma_f64 v[104:105], v[91:92], v[116:117], v[176:177]
	v_add_f64 v[93:94], v[93:94], v[106:107]
	s_clause 0x4
	buffer_load_dword v107, off, s[0:3], 0 offset:524
	buffer_load_dword v116, off, s[0:3], 0 offset:536
	;; [unrolled: 1-line block ×5, first 2 shown]
	ds_read_b128 v[89:92], v95 offset:960
	s_waitcnt vmcnt(57) lgkmcnt(1)
	v_mul_f64 v[177:178], v[96:97], v[118:119]
	v_mul_f64 v[118:119], v[98:99], v[118:119]
	s_waitcnt vmcnt(56)
	v_fma_f64 v[110:111], v[1:2], v[112:113], -v[110:111]
	v_add_f64 v[100:101], v[100:101], v[108:109]
	v_fma_f64 v[108:109], v[3:4], v[112:113], v[114:115]
	v_add_f64 v[93:94], v[93:94], v[104:105]
	s_clause 0x2
	buffer_load_dword v117, off, s[0:3], 0 offset:540
	buffer_load_dword v105, off, s[0:3], 0 offset:516
	;; [unrolled: 1-line block ×3, first 2 shown]
	s_waitcnt vmcnt(58) lgkmcnt(0)
	v_mul_f64 v[114:115], v[91:92], v[120:121]
	ds_read_b128 v[1:4], v95 offset:976
	s_waitcnt vmcnt(56)
	v_fma_f64 v[118:119], v[96:97], v[124:125], -v[118:119]
	v_mul_f64 v[112:113], v[89:90], v[120:121]
	v_add_f64 v[100:101], v[100:101], v[110:111]
	v_fma_f64 v[110:111], v[98:99], v[124:125], v[177:178]
	v_add_f64 v[93:94], v[93:94], v[108:109]
	s_clause 0x4
	buffer_load_dword v109, off, s[0:3], 0 offset:556
	buffer_load_dword v120, off, s[0:3], 0 offset:568
	buffer_load_dword v124, off, s[0:3], 0 offset:560
	buffer_load_dword v108, off, s[0:3], 0 offset:552
	buffer_load_dword v172, off, s[0:3], 0 offset:532
	s_waitcnt vmcnt(57) lgkmcnt(0)
	v_mul_f64 v[177:178], v[1:2], v[126:127]
	v_mul_f64 v[125:126], v[3:4], v[126:127]
	s_waitcnt vmcnt(56)
	v_fma_f64 v[114:115], v[89:90], v[122:123], -v[114:115]
	ds_read_b128 v[96:99], v95 offset:992
	v_fma_f64 v[112:113], v[91:92], v[122:123], v[112:113]
	v_add_f64 v[100:101], v[100:101], v[118:119]
	v_add_f64 v[93:94], v[93:94], v[110:111]
	s_clause 0x2
	buffer_load_dword v121, off, s[0:3], 0 offset:572
	buffer_load_dword v111, off, s[0:3], 0 offset:548
	buffer_load_dword v110, off, s[0:3], 0 offset:544
	ds_read_b128 v[89:92], v95 offset:1008
	s_waitcnt vmcnt(58) lgkmcnt(1)
	v_mul_f64 v[122:123], v[98:99], v[128:129]
	s_waitcnt vmcnt(56)
	v_fma_f64 v[126:127], v[1:2], v[132:133], -v[125:126]
	v_mul_f64 v[118:119], v[96:97], v[128:129]
	v_add_f64 v[100:101], v[100:101], v[114:115]
	v_fma_f64 v[114:115], v[3:4], v[132:133], v[177:178]
	v_add_f64 v[93:94], v[93:94], v[112:113]
	s_clause 0x4
	buffer_load_dword v113, off, s[0:3], 0 offset:588
	buffer_load_dword v128, off, s[0:3], 0 offset:600
	buffer_load_dword v132, off, s[0:3], 0 offset:592
	buffer_load_dword v112, off, s[0:3], 0 offset:584
	buffer_load_dword v125, off, s[0:3], 0 offset:564
	s_waitcnt vmcnt(57) lgkmcnt(0)
	v_mul_f64 v[177:178], v[89:90], v[134:135]
	v_mul_f64 v[133:134], v[91:92], v[134:135]
	s_waitcnt vmcnt(56)
	v_fma_f64 v[122:123], v[96:97], v[130:131], -v[122:123]
	ds_read_b128 v[1:4], v95 offset:1024
	v_fma_f64 v[118:119], v[98:99], v[130:131], v[118:119]
	v_add_f64 v[100:101], v[100:101], v[126:127]
	v_add_f64 v[93:94], v[93:94], v[114:115]
	s_clause 0x2
	buffer_load_dword v129, off, s[0:3], 0 offset:604
	buffer_load_dword v115, off, s[0:3], 0 offset:580
	buffer_load_dword v114, off, s[0:3], 0 offset:576
	ds_read_b128 v[96:99], v95 offset:1040
	s_waitcnt vmcnt(58) lgkmcnt(1)
	v_mul_f64 v[130:131], v[3:4], v[136:137]
	;; [unrolled: 28-line block ×4, first 2 shown]
	s_waitcnt vmcnt(56)
	v_fma_f64 v[152:153], v[1:2], v[158:159], -v[151:152]
	v_mul_f64 v[142:143], v[96:97], v[154:155]
	v_add_f64 v[100:101], v[100:101], v[138:139]
	v_fma_f64 v[138:139], v[3:4], v[158:159], v[177:178]
	v_add_f64 v[93:94], v[93:94], v[134:135]
	s_clause 0x2
	buffer_load_dword v135, off, s[0:3], 0 offset:684
	buffer_load_dword v134, off, s[0:3], 0 offset:680
	buffer_load_dword v151, off, s[0:3], 0 offset:660
	s_waitcnt vmcnt(55) lgkmcnt(0)
	v_mul_f64 v[158:159], v[91:92], v[162:163]
	s_waitcnt vmcnt(54)
	v_fma_f64 v[148:149], v[96:97], v[156:157], -v[148:149]
	ds_read_b128 v[1:4], v95 offset:1120
	v_mul_f64 v[154:155], v[89:90], v[162:163]
	v_fma_f64 v[142:143], v[98:99], v[156:157], v[142:143]
	v_add_f64 v[100:101], v[100:101], v[152:153]
	v_add_f64 v[93:94], v[93:94], v[138:139]
	s_clause 0x1
	buffer_load_dword v139, off, s[0:3], 0 offset:676
	buffer_load_dword v138, off, s[0:3], 0 offset:672
	s_waitcnt vmcnt(55) lgkmcnt(0)
	v_mul_f64 v[156:157], v[3:4], v[164:165]
	s_waitcnt vmcnt(53)
	v_fma_f64 v[158:159], v[89:90], v[169:170], -v[158:159]
	ds_read_b128 v[96:99], v95 offset:1136
	v_mul_f64 v[152:153], v[1:2], v[164:165]
	v_add_f64 v[100:101], v[100:101], v[148:149]
	v_fma_f64 v[148:149], v[91:92], v[169:170], v[154:155]
	v_add_f64 v[93:94], v[93:94], v[142:143]
	ds_read_b128 v[89:92], v95 offset:1152
	s_waitcnt vmcnt(49) lgkmcnt(1)
	v_mul_f64 v[154:155], v[98:99], v[160:161]
	s_waitcnt vmcnt(48)
	v_fma_f64 v[156:157], v[1:2], v[166:167], -v[156:157]
	v_mul_f64 v[142:143], v[96:97], v[160:161]
	v_fma_f64 v[152:153], v[3:4], v[166:167], v[152:153]
	v_add_f64 v[100:101], v[100:101], v[158:159]
	v_add_f64 v[93:94], v[93:94], v[148:149]
	s_clause 0x3
	buffer_load_dword v148, off, s[0:3], 0 offset:192
	buffer_load_dword v149, off, s[0:3], 0 offset:196
	;; [unrolled: 1-line block ×4, first 2 shown]
	ds_read_b128 v[1:4], v95 offset:1168
	s_waitcnt vmcnt(51) lgkmcnt(1)
	v_mul_f64 v[162:163], v[91:92], v[173:174]
	v_mul_f64 v[160:161], v[89:90], v[173:174]
	s_waitcnt vmcnt(49)
	v_fma_f64 v[154:155], v[96:97], v[102:103], -v[154:155]
	v_fma_f64 v[102:103], v[98:99], v[102:103], v[142:143]
	ds_read_b128 v[96:99], v95 offset:1184
	v_add_f64 v[100:101], v[100:101], v[156:157]
	v_add_f64 v[93:94], v[93:94], v[152:153]
	s_waitcnt vmcnt(45) lgkmcnt(1)
	v_mul_f64 v[142:143], v[1:2], v[106:107]
	v_mul_f64 v[106:107], v[3:4], v[106:107]
	s_waitcnt vmcnt(44)
	v_fma_f64 v[152:153], v[89:90], v[175:176], -v[162:163]
	v_add_f64 v[100:101], v[100:101], v[154:155]
	v_fma_f64 v[154:155], v[91:92], v[175:176], v[160:161]
	v_add_f64 v[93:94], v[93:94], v[102:103]
	ds_read_b128 v[89:92], v95 offset:1200
	s_waitcnt vmcnt(43) lgkmcnt(1)
	v_mul_f64 v[102:103], v[96:97], v[116:117]
	v_mul_f64 v[116:117], v[98:99], v[116:117]
	s_waitcnt vmcnt(41)
	v_fma_f64 v[106:107], v[1:2], v[104:105], -v[106:107]
	v_fma_f64 v[104:105], v[3:4], v[104:105], v[142:143]
	ds_read_b128 v[1:4], v95 offset:1216
	v_add_f64 v[100:101], v[100:101], v[152:153]
	v_add_f64 v[93:94], v[93:94], v[154:155]
	s_waitcnt vmcnt(37) lgkmcnt(1)
	v_mul_f64 v[142:143], v[89:90], v[108:109]
	v_mul_f64 v[108:109], v[91:92], v[108:109]
	s_waitcnt vmcnt(36)
	v_fma_f64 v[116:117], v[96:97], v[171:172], -v[116:117]
	v_fma_f64 v[102:103], v[98:99], v[171:172], v[102:103]
	ds_read_b128 v[96:99], v95 offset:1232
	v_add_f64 v[100:101], v[100:101], v[106:107]
	v_add_f64 v[93:94], v[93:94], v[104:105]
	;; [unrolled: 9-line block ×5, first 2 shown]
	s_waitcnt vmcnt(21) lgkmcnt(1)
	v_mul_f64 v[106:107], v[3:4], v[118:119]
	s_waitcnt vmcnt(20)
	v_fma_f64 v[110:111], v[89:90], v[132:133], -v[110:111]
	v_mul_f64 v[104:105], v[1:2], v[118:119]
	v_fma_f64 v[108:109], v[91:92], v[132:133], v[108:109]
	ds_read_b128 v[89:92], v95 offset:1296
	v_add_f64 v[100:101], v[100:101], v[112:113]
	v_add_f64 v[93:94], v[93:94], v[102:103]
	s_waitcnt vmcnt(19) lgkmcnt(1)
	v_mul_f64 v[112:113], v[98:99], v[136:137]
	v_mul_f64 v[102:103], v[96:97], v[136:137]
	s_waitcnt vmcnt(17)
	v_fma_f64 v[106:107], v[1:2], v[122:123], -v[106:107]
	v_fma_f64 v[104:105], v[3:4], v[122:123], v[104:105]
	ds_read_b128 v[1:4], v95 offset:1312
	v_add_f64 v[100:101], v[100:101], v[110:111]
	v_add_f64 v[93:94], v[93:94], v[108:109]
	s_waitcnt vmcnt(13) lgkmcnt(1)
	v_mul_f64 v[110:111], v[91:92], v[126:127]
	s_waitcnt vmcnt(12)
	v_fma_f64 v[112:113], v[96:97], v[140:141], -v[112:113]
	v_mul_f64 v[108:109], v[89:90], v[126:127]
	v_fma_f64 v[97:98], v[98:99], v[140:141], v[102:103]
	v_add_f64 v[100:101], v[100:101], v[106:107]
	v_add_f64 v[102:103], v[93:94], v[104:105]
	ds_read_b128 v[93:96], v95 offset:1328
	s_waitcnt vmcnt(11) lgkmcnt(1)
	v_mul_f64 v[106:107], v[3:4], v[146:147]
	v_mul_f64 v[104:105], v[1:2], v[146:147]
	s_waitcnt vmcnt(9)
	v_fma_f64 v[89:90], v[89:90], v[130:131], -v[110:111]
	v_fma_f64 v[91:92], v[91:92], v[130:131], v[108:109]
	v_add_f64 v[99:100], v[100:101], v[112:113]
	v_add_f64 v[97:98], v[102:103], v[97:98]
	s_waitcnt vmcnt(7) lgkmcnt(0)
	v_mul_f64 v[108:109], v[95:96], v[134:135]
	s_waitcnt vmcnt(6)
	v_fma_f64 v[1:2], v[1:2], v[150:151], -v[106:107]
	v_mul_f64 v[101:102], v[93:94], v[134:135]
	v_fma_f64 v[3:4], v[3:4], v[150:151], v[104:105]
	v_add_f64 v[89:90], v[99:100], v[89:90]
	v_add_f64 v[91:92], v[97:98], v[91:92]
	s_waitcnt vmcnt(4)
	v_fma_f64 v[93:94], v[93:94], v[138:139], -v[108:109]
	v_add_f64 v[1:2], v[89:90], v[1:2]
	v_fma_f64 v[89:90], v[95:96], v[138:139], v[101:102]
	v_add_f64 v[3:4], v[91:92], v[3:4]
	v_add_f64 v[1:2], v[1:2], v[93:94]
	;; [unrolled: 1-line block ×3, first 2 shown]
	s_waitcnt vmcnt(2)
	v_add_f64 v[1:2], v[148:149], -v[1:2]
	s_waitcnt vmcnt(0)
	v_add_f64 v[3:4], v[158:159], -v[3:4]
	buffer_store_dword v2, off, s[0:3], 0 offset:196
	buffer_store_dword v1, off, s[0:3], 0 offset:192
	;; [unrolled: 1-line block ×4, first 2 shown]
	v_cmpx_lt_u32_e32 10, v0
	s_cbranch_execz .LBB105_245
; %bb.244:
	v_mov_b32_e32 v4, s44
	v_mov_b32_e32 v89, 0
	s_clause 0x3
	buffer_load_dword v1, v4, s[0:3], 0 offen
	buffer_load_dword v2, v4, s[0:3], 0 offen offset:4
	buffer_load_dword v3, v4, s[0:3], 0 offen offset:8
	;; [unrolled: 1-line block ×3, first 2 shown]
	buffer_store_dword v89, off, s[0:3], 0 offset:176
	buffer_store_dword v89, off, s[0:3], 0 offset:180
	;; [unrolled: 1-line block ×4, first 2 shown]
	s_waitcnt vmcnt(0)
	ds_write_b128 v145, v[1:4]
.LBB105_245:
	s_or_b32 exec_lo, exec_lo, s4
	s_waitcnt lgkmcnt(0)
	s_waitcnt_vscnt null, 0x0
	s_barrier
	buffer_gl0_inv
	s_clause 0x37
	buffer_load_dword v93, off, s[0:3], 0 offset:200
	buffer_load_dword v94, off, s[0:3], 0 offset:204
	;; [unrolled: 1-line block ×56, first 2 shown]
	v_mov_b32_e32 v113, 0
	s_mov_b32 s4, exec_lo
	ds_read_b128 v[101:104], v113 offset:848
	s_clause 0x2
	buffer_load_dword v155, off, s[0:3], 0 offset:428
	buffer_load_dword v159, off, s[0:3], 0 offset:404
	;; [unrolled: 1-line block ×3, first 2 shown]
	ds_read_b128 v[105:108], v113 offset:864
	s_clause 0x4
	buffer_load_dword v163, off, s[0:3], 0 offset:444
	buffer_load_dword v164, off, s[0:3], 0 offset:456
	buffer_load_dword v166, off, s[0:3], 0 offset:448
	buffer_load_dword v162, off, s[0:3], 0 offset:440
	buffer_load_dword v157, off, s[0:3], 0 offset:420
	ds_read_b128 v[109:112], v113 offset:880
	s_clause 0x2
	buffer_load_dword v165, off, s[0:3], 0 offset:460
	buffer_load_dword v170, off, s[0:3], 0 offset:436
	;; [unrolled: 1-line block ×3, first 2 shown]
	s_waitcnt vmcnt(62) lgkmcnt(2)
	v_mul_f64 v[160:161], v[103:104], v[93:94]
	v_mul_f64 v[93:94], v[101:102], v[93:94]
	s_waitcnt lgkmcnt(1)
	v_mul_f64 v[167:168], v[107:108], v[89:90]
	s_waitcnt vmcnt(59) lgkmcnt(0)
	v_mul_f64 v[171:172], v[111:112], v[3:4]
	v_fma_f64 v[101:102], v[101:102], v[91:92], -v[160:161]
	v_mul_f64 v[160:161], v[105:106], v[89:90]
	v_fma_f64 v[93:94], v[103:104], v[91:92], v[93:94]
	s_waitcnt vmcnt(57)
	v_fma_f64 v[105:106], v[105:106], v[1:2], -v[167:168]
	ds_read_b128 v[89:92], v113 offset:896
	v_mul_f64 v[103:104], v[109:110], v[3:4]
	s_waitcnt vmcnt(51)
	v_fma_f64 v[109:110], v[109:110], v[116:117], -v[171:172]
	v_add_f64 v[101:102], v[101:102], 0
	v_fma_f64 v[107:108], v[107:108], v[1:2], v[160:161]
	v_add_f64 v[93:94], v[93:94], 0
	s_clause 0x4
	buffer_load_dword v161, off, s[0:3], 0 offset:476
	buffer_load_dword v173, off, s[0:3], 0 offset:488
	;; [unrolled: 1-line block ×5, first 2 shown]
	s_waitcnt lgkmcnt(0)
	v_mul_f64 v[176:177], v[89:90], v[97:98]
	v_mul_f64 v[97:98], v[91:92], v[97:98]
	ds_read_b128 v[1:4], v113 offset:912
	v_fma_f64 v[111:112], v[111:112], v[116:117], v[103:104]
	v_add_f64 v[105:106], v[101:102], v[105:106]
	v_add_f64 v[93:94], v[93:94], v[107:108]
	s_clause 0x2
	buffer_load_dword v174, off, s[0:3], 0 offset:492
	buffer_load_dword v108, off, s[0:3], 0 offset:468
	;; [unrolled: 1-line block ×3, first 2 shown]
	s_waitcnt vmcnt(58) lgkmcnt(0)
	v_mul_f64 v[116:117], v[1:2], v[114:115]
	v_mul_f64 v[114:115], v[3:4], v[114:115]
	s_waitcnt vmcnt(56)
	v_fma_f64 v[97:98], v[89:90], v[118:119], -v[97:98]
	ds_read_b128 v[101:104], v113 offset:928
	v_add_f64 v[105:106], v[105:106], v[109:110]
	v_fma_f64 v[109:110], v[91:92], v[118:119], v[176:177]
	v_add_f64 v[93:94], v[93:94], v[111:112]
	s_clause 0x4
	buffer_load_dword v112, off, s[0:3], 0 offset:508
	buffer_load_dword v118, off, s[0:3], 0 offset:520
	;; [unrolled: 1-line block ×5, first 2 shown]
	ds_read_b128 v[89:92], v113 offset:944
	s_waitcnt vmcnt(57) lgkmcnt(1)
	v_mul_f64 v[177:178], v[101:102], v[120:121]
	v_mul_f64 v[120:121], v[103:104], v[120:121]
	s_waitcnt vmcnt(56)
	v_fma_f64 v[114:115], v[1:2], v[95:96], -v[114:115]
	v_fma_f64 v[95:96], v[3:4], v[95:96], v[116:117]
	v_add_f64 v[97:98], v[105:106], v[97:98]
	s_clause 0x2
	buffer_load_dword v119, off, s[0:3], 0 offset:524
	buffer_load_dword v106, off, s[0:3], 0 offset:500
	;; [unrolled: 1-line block ×3, first 2 shown]
	v_add_f64 v[93:94], v[93:94], v[109:110]
	s_waitcnt vmcnt(58) lgkmcnt(0)
	v_mul_f64 v[116:117], v[91:92], v[122:123]
	ds_read_b128 v[1:4], v113 offset:960
	v_mul_f64 v[109:110], v[89:90], v[122:123]
	s_waitcnt vmcnt(56)
	v_fma_f64 v[101:102], v[101:102], v[124:125], -v[120:121]
	v_fma_f64 v[103:104], v[103:104], v[124:125], v[177:178]
	s_clause 0x4
	buffer_load_dword v121, off, s[0:3], 0 offset:540
	buffer_load_dword v122, off, s[0:3], 0 offset:552
	;; [unrolled: 1-line block ×5, first 2 shown]
	v_add_f64 v[97:98], v[97:98], v[114:115]
	v_add_f64 v[114:115], v[93:94], v[95:96]
	s_waitcnt vmcnt(57) lgkmcnt(0)
	v_mul_f64 v[177:178], v[1:2], v[126:127]
	v_mul_f64 v[125:126], v[3:4], v[126:127]
	s_waitcnt vmcnt(56)
	v_fma_f64 v[116:117], v[89:90], v[99:100], -v[116:117]
	ds_read_b128 v[93:96], v113 offset:976
	v_fma_f64 v[99:100], v[91:92], v[99:100], v[109:110]
	v_add_f64 v[97:98], v[97:98], v[101:102]
	v_add_f64 v[101:102], v[114:115], v[103:104]
	s_clause 0x2
	buffer_load_dword v123, off, s[0:3], 0 offset:556
	buffer_load_dword v104, off, s[0:3], 0 offset:532
	;; [unrolled: 1-line block ×3, first 2 shown]
	s_waitcnt vmcnt(58) lgkmcnt(0)
	v_mul_f64 v[114:115], v[95:96], v[128:129]
	s_waitcnt vmcnt(56)
	v_fma_f64 v[126:127], v[1:2], v[132:133], -v[125:126]
	ds_read_b128 v[89:92], v113 offset:992
	v_mul_f64 v[109:110], v[93:94], v[128:129]
	v_add_f64 v[97:98], v[97:98], v[116:117]
	v_fma_f64 v[116:117], v[3:4], v[132:133], v[177:178]
	v_add_f64 v[99:100], v[101:102], v[99:100]
	s_clause 0x4
	buffer_load_dword v102, off, s[0:3], 0 offset:572
	buffer_load_dword v128, off, s[0:3], 0 offset:584
	buffer_load_dword v132, off, s[0:3], 0 offset:576
	buffer_load_dword v101, off, s[0:3], 0 offset:568
	buffer_load_dword v125, off, s[0:3], 0 offset:548
	s_waitcnt vmcnt(57) lgkmcnt(0)
	v_mul_f64 v[177:178], v[89:90], v[134:135]
	v_mul_f64 v[133:134], v[91:92], v[134:135]
	s_waitcnt vmcnt(56)
	v_fma_f64 v[114:115], v[93:94], v[130:131], -v[114:115]
	ds_read_b128 v[1:4], v113 offset:1008
	v_fma_f64 v[109:110], v[95:96], v[130:131], v[109:110]
	v_add_f64 v[97:98], v[97:98], v[126:127]
	v_add_f64 v[99:100], v[99:100], v[116:117]
	s_clause 0x2
	buffer_load_dword v129, off, s[0:3], 0 offset:588
	buffer_load_dword v117, off, s[0:3], 0 offset:564
	buffer_load_dword v116, off, s[0:3], 0 offset:560
	ds_read_b128 v[93:96], v113 offset:1024
	s_waitcnt vmcnt(58) lgkmcnt(1)
	v_mul_f64 v[130:131], v[3:4], v[136:137]
	s_waitcnt vmcnt(56)
	v_fma_f64 v[134:135], v[89:90], v[140:141], -v[133:134]
	v_mul_f64 v[126:127], v[1:2], v[136:137]
	v_add_f64 v[97:98], v[97:98], v[114:115]
	v_fma_f64 v[114:115], v[91:92], v[140:141], v[177:178]
	v_add_f64 v[99:100], v[99:100], v[109:110]
	s_clause 0x4
	buffer_load_dword v110, off, s[0:3], 0 offset:604
	buffer_load_dword v136, off, s[0:3], 0 offset:616
	buffer_load_dword v140, off, s[0:3], 0 offset:608
	buffer_load_dword v109, off, s[0:3], 0 offset:600
	buffer_load_dword v133, off, s[0:3], 0 offset:580
	s_waitcnt vmcnt(57) lgkmcnt(0)
	v_mul_f64 v[177:178], v[93:94], v[142:143]
	v_mul_f64 v[141:142], v[95:96], v[142:143]
	s_waitcnt vmcnt(56)
	v_fma_f64 v[130:131], v[1:2], v[138:139], -v[130:131]
	ds_read_b128 v[89:92], v113 offset:1040
	v_fma_f64 v[126:127], v[3:4], v[138:139], v[126:127]
	v_add_f64 v[97:98], v[97:98], v[134:135]
	v_add_f64 v[99:100], v[99:100], v[114:115]
	s_clause 0x2
	buffer_load_dword v137, off, s[0:3], 0 offset:620
	buffer_load_dword v115, off, s[0:3], 0 offset:596
	buffer_load_dword v114, off, s[0:3], 0 offset:592
	ds_read_b128 v[1:4], v113 offset:1056
	s_waitcnt vmcnt(58) lgkmcnt(1)
	v_mul_f64 v[138:139], v[91:92], v[146:147]
	s_waitcnt vmcnt(56)
	v_fma_f64 v[142:143], v[93:94], v[150:151], -v[141:142]
	;; [unrolled: 28-line block ×4, first 2 shown]
	v_mul_f64 v[152:153], v[1:2], v[164:165]
	buffer_load_dword v159, off, s[0:3], 0 offset:676
	v_add_f64 v[97:98], v[97:98], v[148:149]
	v_fma_f64 v[148:149], v[91:92], v[169:170], v[177:178]
	v_add_f64 v[99:100], v[99:100], v[142:143]
	ds_read_b128 v[89:92], v113 offset:1136
	s_waitcnt vmcnt(53) lgkmcnt(1)
	v_mul_f64 v[142:143], v[93:94], v[160:161]
	v_mul_f64 v[160:161], v[95:96], v[160:161]
	s_waitcnt vmcnt(52)
	v_fma_f64 v[156:157], v[1:2], v[166:167], -v[156:157]
	v_fma_f64 v[152:153], v[3:4], v[166:167], v[152:153]
	ds_read_b128 v[1:4], v113 offset:1152
	v_add_f64 v[97:98], v[97:98], v[162:163]
	v_add_f64 v[99:100], v[99:100], v[148:149]
	s_waitcnt vmcnt(51) lgkmcnt(1)
	v_mul_f64 v[162:163], v[91:92], v[173:174]
	v_mul_f64 v[148:149], v[89:90], v[173:174]
	s_waitcnt vmcnt(49)
	v_fma_f64 v[160:161], v[93:94], v[107:108], -v[160:161]
	v_fma_f64 v[107:108], v[95:96], v[107:108], v[142:143]
	v_add_f64 v[97:98], v[97:98], v[156:157]
	v_add_f64 v[99:100], v[99:100], v[152:153]
	s_clause 0x3
	buffer_load_dword v142, off, s[0:3], 0 offset:176
	buffer_load_dword v143, off, s[0:3], 0 offset:180
	;; [unrolled: 1-line block ×4, first 2 shown]
	ds_read_b128 v[93:96], v113 offset:1168
	s_waitcnt vmcnt(49) lgkmcnt(1)
	v_mul_f64 v[156:157], v[1:2], v[111:112]
	v_mul_f64 v[111:112], v[3:4], v[111:112]
	s_waitcnt vmcnt(48)
	v_fma_f64 v[162:163], v[89:90], v[175:176], -v[162:163]
	v_fma_f64 v[148:149], v[91:92], v[175:176], v[148:149]
	ds_read_b128 v[89:92], v113 offset:1184
	v_add_f64 v[97:98], v[97:98], v[160:161]
	v_add_f64 v[99:100], v[99:100], v[107:108]
	s_waitcnt vmcnt(47) lgkmcnt(1)
	v_mul_f64 v[107:108], v[93:94], v[118:119]
	v_mul_f64 v[118:119], v[95:96], v[118:119]
	s_waitcnt vmcnt(45)
	v_fma_f64 v[111:112], v[1:2], v[105:106], -v[111:112]
	v_fma_f64 v[105:106], v[3:4], v[105:106], v[156:157]
	ds_read_b128 v[1:4], v113 offset:1200
	v_add_f64 v[97:98], v[97:98], v[162:163]
	v_add_f64 v[99:100], v[99:100], v[148:149]
	s_waitcnt vmcnt(41) lgkmcnt(1)
	v_mul_f64 v[148:149], v[89:90], v[120:121]
	v_mul_f64 v[120:121], v[91:92], v[120:121]
	s_waitcnt vmcnt(40)
	v_fma_f64 v[107:108], v[95:96], v[171:172], v[107:108]
	v_fma_f64 v[118:119], v[93:94], v[171:172], -v[118:119]
	ds_read_b128 v[93:96], v113 offset:1216
	v_add_f64 v[97:98], v[97:98], v[111:112]
	v_add_f64 v[99:100], v[99:100], v[105:106]
	s_waitcnt vmcnt(39) lgkmcnt(1)
	v_mul_f64 v[111:112], v[3:4], v[122:123]
	v_mul_f64 v[105:106], v[1:2], v[122:123]
	s_waitcnt vmcnt(37)
	v_fma_f64 v[120:121], v[89:90], v[103:104], -v[120:121]
	v_fma_f64 v[103:104], v[91:92], v[103:104], v[148:149]
	ds_read_b128 v[89:92], v113 offset:1232
	v_add_f64 v[97:98], v[97:98], v[118:119]
	v_add_f64 v[99:100], v[99:100], v[107:108]
	s_waitcnt vmcnt(33) lgkmcnt(1)
	v_mul_f64 v[107:108], v[93:94], v[101:102]
	v_mul_f64 v[101:102], v[95:96], v[101:102]
	s_waitcnt vmcnt(32)
	v_fma_f64 v[111:112], v[1:2], v[124:125], -v[111:112]
	v_fma_f64 v[105:106], v[3:4], v[124:125], v[105:106]
	;; [unrolled: 9-line block ×3, first 2 shown]
	ds_read_b128 v[93:96], v113 offset:1264
	v_add_f64 v[97:98], v[97:98], v[111:112]
	v_add_f64 v[99:100], v[99:100], v[105:106]
	s_waitcnt vmcnt(25) lgkmcnt(1)
	v_mul_f64 v[105:106], v[1:2], v[109:110]
	v_mul_f64 v[109:110], v[3:4], v[109:110]
	s_waitcnt vmcnt(24)
	v_fma_f64 v[111:112], v[89:90], v[132:133], -v[118:119]
	v_add_f64 v[97:98], v[97:98], v[101:102]
	v_fma_f64 v[101:102], v[91:92], v[132:133], v[103:104]
	v_add_f64 v[99:100], v[99:100], v[107:108]
	ds_read_b128 v[89:92], v113 offset:1280
	s_waitcnt vmcnt(23) lgkmcnt(1)
	v_mul_f64 v[107:108], v[95:96], v[136:137]
	v_mul_f64 v[103:104], v[93:94], v[136:137]
	s_waitcnt vmcnt(21)
	v_fma_f64 v[109:110], v[1:2], v[114:115], -v[109:110]
	v_fma_f64 v[105:106], v[3:4], v[114:115], v[105:106]
	ds_read_b128 v[1:4], v113 offset:1296
	v_add_f64 v[97:98], v[97:98], v[111:112]
	v_add_f64 v[99:100], v[99:100], v[101:102]
	s_waitcnt vmcnt(17) lgkmcnt(1)
	v_mul_f64 v[111:112], v[91:92], v[126:127]
	s_waitcnt vmcnt(16)
	v_fma_f64 v[107:108], v[93:94], v[140:141], -v[107:108]
	v_mul_f64 v[101:102], v[89:90], v[126:127]
	v_fma_f64 v[103:104], v[95:96], v[140:141], v[103:104]
	ds_read_b128 v[93:96], v113 offset:1312
	v_add_f64 v[97:98], v[97:98], v[109:110]
	v_add_f64 v[99:100], v[99:100], v[105:106]
	s_waitcnt vmcnt(15) lgkmcnt(1)
	v_mul_f64 v[109:110], v[3:4], v[146:147]
	v_mul_f64 v[105:106], v[1:2], v[146:147]
	s_waitcnt vmcnt(13)
	v_fma_f64 v[111:112], v[89:90], v[130:131], -v[111:112]
	v_fma_f64 v[101:102], v[91:92], v[130:131], v[101:102]
	ds_read_b128 v[89:92], v113 offset:1328
	v_add_f64 v[97:98], v[97:98], v[107:108]
	v_add_f64 v[99:100], v[99:100], v[103:104]
	s_waitcnt vmcnt(9) lgkmcnt(1)
	v_mul_f64 v[107:108], v[95:96], v[134:135]
	s_waitcnt vmcnt(8)
	v_fma_f64 v[1:2], v[1:2], v[150:151], -v[109:110]
	v_mul_f64 v[103:104], v[93:94], v[134:135]
	v_fma_f64 v[3:4], v[3:4], v[150:151], v[105:106]
	v_add_f64 v[97:98], v[97:98], v[111:112]
	v_add_f64 v[99:100], v[99:100], v[101:102]
	s_waitcnt vmcnt(7) lgkmcnt(0)
	v_mul_f64 v[105:106], v[91:92], v[154:155]
	v_mul_f64 v[101:102], v[89:90], v[154:155]
	s_waitcnt vmcnt(5)
	v_fma_f64 v[93:94], v[93:94], v[138:139], -v[107:108]
	v_fma_f64 v[95:96], v[95:96], v[138:139], v[103:104]
	v_add_f64 v[1:2], v[97:98], v[1:2]
	v_add_f64 v[3:4], v[99:100], v[3:4]
	s_waitcnt vmcnt(4)
	v_fma_f64 v[89:90], v[89:90], v[158:159], -v[105:106]
	v_fma_f64 v[91:92], v[91:92], v[158:159], v[101:102]
	v_add_f64 v[1:2], v[1:2], v[93:94]
	v_add_f64 v[3:4], v[3:4], v[95:96]
	;; [unrolled: 1-line block ×4, first 2 shown]
	s_waitcnt vmcnt(2)
	v_add_f64 v[1:2], v[142:143], -v[1:2]
	s_waitcnt vmcnt(0)
	v_add_f64 v[3:4], v[152:153], -v[3:4]
	buffer_store_dword v2, off, s[0:3], 0 offset:180
	buffer_store_dword v1, off, s[0:3], 0 offset:176
	buffer_store_dword v4, off, s[0:3], 0 offset:188
	buffer_store_dword v3, off, s[0:3], 0 offset:184
	v_cmpx_lt_u32_e32 9, v0
	s_cbranch_execz .LBB105_247
; %bb.246:
	v_mov_b32_e32 v4, s45
	s_clause 0x3
	buffer_load_dword v1, v4, s[0:3], 0 offen
	buffer_load_dword v2, v4, s[0:3], 0 offen offset:4
	buffer_load_dword v3, v4, s[0:3], 0 offen offset:8
	;; [unrolled: 1-line block ×3, first 2 shown]
	buffer_store_dword v113, off, s[0:3], 0 offset:160
	buffer_store_dword v113, off, s[0:3], 0 offset:164
	;; [unrolled: 1-line block ×4, first 2 shown]
	s_waitcnt vmcnt(0)
	ds_write_b128 v145, v[1:4]
.LBB105_247:
	s_or_b32 exec_lo, exec_lo, s4
	s_waitcnt lgkmcnt(0)
	s_waitcnt_vscnt null, 0x0
	s_barrier
	buffer_gl0_inv
	s_clause 0x37
	buffer_load_dword v93, off, s[0:3], 0 offset:184
	buffer_load_dword v94, off, s[0:3], 0 offset:188
	;; [unrolled: 1-line block ×56, first 2 shown]
	ds_read_b128 v[114:117], v113 offset:832
	s_clause 0x2
	buffer_load_dword v155, off, s[0:3], 0 offset:412
	buffer_load_dword v159, off, s[0:3], 0 offset:388
	;; [unrolled: 1-line block ×3, first 2 shown]
	ds_read_b128 v[118:121], v113 offset:848
	s_clause 0x4
	buffer_load_dword v163, off, s[0:3], 0 offset:428
	buffer_load_dword v164, off, s[0:3], 0 offset:440
	;; [unrolled: 1-line block ×5, first 2 shown]
	ds_read_b128 v[122:125], v113 offset:864
	s_clause 0x2
	buffer_load_dword v165, off, s[0:3], 0 offset:444
	buffer_load_dword v170, off, s[0:3], 0 offset:420
	;; [unrolled: 1-line block ×3, first 2 shown]
	s_mov_b32 s4, exec_lo
	s_waitcnt vmcnt(62) lgkmcnt(2)
	v_mul_f64 v[160:161], v[116:117], v[93:94]
	v_mul_f64 v[93:94], v[114:115], v[93:94]
	s_waitcnt lgkmcnt(1)
	v_mul_f64 v[167:168], v[120:121], v[89:90]
	s_waitcnt vmcnt(59) lgkmcnt(0)
	v_mul_f64 v[171:172], v[124:125], v[3:4]
	v_fma_f64 v[114:115], v[114:115], v[91:92], -v[160:161]
	v_mul_f64 v[160:161], v[118:119], v[89:90]
	v_fma_f64 v[93:94], v[116:117], v[91:92], v[93:94]
	s_waitcnt vmcnt(57)
	v_fma_f64 v[118:119], v[118:119], v[1:2], -v[167:168]
	ds_read_b128 v[89:92], v113 offset:880
	v_mul_f64 v[116:117], v[122:123], v[3:4]
	s_waitcnt vmcnt(51)
	v_fma_f64 v[122:123], v[122:123], v[109:110], -v[171:172]
	v_add_f64 v[114:115], v[114:115], 0
	v_fma_f64 v[120:121], v[120:121], v[1:2], v[160:161]
	v_add_f64 v[93:94], v[93:94], 0
	s_clause 0x4
	buffer_load_dword v161, off, s[0:3], 0 offset:460
	buffer_load_dword v173, off, s[0:3], 0 offset:472
	;; [unrolled: 1-line block ×5, first 2 shown]
	s_waitcnt lgkmcnt(0)
	v_mul_f64 v[176:177], v[89:90], v[97:98]
	v_mul_f64 v[97:98], v[91:92], v[97:98]
	ds_read_b128 v[1:4], v113 offset:896
	v_fma_f64 v[109:110], v[124:125], v[109:110], v[116:117]
	v_add_f64 v[118:119], v[114:115], v[118:119]
	v_add_f64 v[93:94], v[93:94], v[120:121]
	s_clause 0x2
	buffer_load_dword v174, off, s[0:3], 0 offset:476
	buffer_load_dword v121, off, s[0:3], 0 offset:452
	buffer_load_dword v120, off, s[0:3], 0 offset:448
	s_waitcnt vmcnt(58) lgkmcnt(0)
	v_mul_f64 v[124:125], v[1:2], v[101:102]
	v_mul_f64 v[101:102], v[3:4], v[101:102]
	s_waitcnt vmcnt(56)
	v_fma_f64 v[97:98], v[89:90], v[103:104], -v[97:98]
	ds_read_b128 v[114:117], v113 offset:912
	v_fma_f64 v[103:104], v[91:92], v[103:104], v[176:177]
	v_add_f64 v[118:119], v[118:119], v[122:123]
	v_add_f64 v[93:94], v[93:94], v[109:110]
	s_clause 0x4
	buffer_load_dword v110, off, s[0:3], 0 offset:492
	buffer_load_dword v122, off, s[0:3], 0 offset:504
	;; [unrolled: 1-line block ×5, first 2 shown]
	ds_read_b128 v[89:92], v113 offset:928
	s_waitcnt vmcnt(57) lgkmcnt(1)
	v_mul_f64 v[177:178], v[114:115], v[105:106]
	v_mul_f64 v[105:106], v[116:117], v[105:106]
	s_waitcnt vmcnt(56)
	v_fma_f64 v[101:102], v[1:2], v[95:96], -v[101:102]
	v_fma_f64 v[95:96], v[3:4], v[95:96], v[124:125]
	v_add_f64 v[97:98], v[118:119], v[97:98]
	v_add_f64 v[93:94], v[93:94], v[103:104]
	s_clause 0x2
	buffer_load_dword v123, off, s[0:3], 0 offset:508
	buffer_load_dword v104, off, s[0:3], 0 offset:484
	;; [unrolled: 1-line block ×3, first 2 shown]
	s_waitcnt vmcnt(58) lgkmcnt(0)
	v_mul_f64 v[118:119], v[89:90], v[111:112]
	v_mul_f64 v[111:112], v[91:92], v[111:112]
	s_waitcnt vmcnt(56)
	v_fma_f64 v[105:106], v[114:115], v[126:127], -v[105:106]
	ds_read_b128 v[1:4], v113 offset:944
	v_add_f64 v[97:98], v[97:98], v[101:102]
	v_fma_f64 v[101:102], v[116:117], v[126:127], v[177:178]
	v_add_f64 v[114:115], v[93:94], v[95:96]
	s_clause 0x4
	buffer_load_dword v117, off, s[0:3], 0 offset:524
	buffer_load_dword v124, off, s[0:3], 0 offset:536
	buffer_load_dword v126, off, s[0:3], 0 offset:528
	buffer_load_dword v116, off, s[0:3], 0 offset:520
	buffer_load_dword v172, off, s[0:3], 0 offset:500
	ds_read_b128 v[93:96], v113 offset:960
	s_waitcnt vmcnt(57) lgkmcnt(1)
	v_mul_f64 v[177:178], v[1:2], v[128:129]
	v_mul_f64 v[127:128], v[3:4], v[128:129]
	s_waitcnt vmcnt(56)
	v_fma_f64 v[111:112], v[89:90], v[99:100], -v[111:112]
	v_fma_f64 v[99:100], v[91:92], v[99:100], v[118:119]
	v_add_f64 v[97:98], v[97:98], v[105:106]
	s_clause 0x2
	buffer_load_dword v125, off, s[0:3], 0 offset:540
	buffer_load_dword v106, off, s[0:3], 0 offset:516
	;; [unrolled: 1-line block ×3, first 2 shown]
	v_add_f64 v[101:102], v[114:115], v[101:102]
	s_waitcnt vmcnt(58) lgkmcnt(0)
	v_mul_f64 v[118:119], v[95:96], v[130:131]
	ds_read_b128 v[89:92], v113 offset:976
	v_mul_f64 v[114:115], v[93:94], v[130:131]
	s_waitcnt vmcnt(56)
	v_fma_f64 v[128:129], v[1:2], v[132:133], -v[127:128]
	v_add_f64 v[97:98], v[97:98], v[111:112]
	v_fma_f64 v[111:112], v[3:4], v[132:133], v[177:178]
	v_add_f64 v[99:100], v[101:102], v[99:100]
	s_clause 0x4
	buffer_load_dword v102, off, s[0:3], 0 offset:556
	buffer_load_dword v130, off, s[0:3], 0 offset:568
	buffer_load_dword v132, off, s[0:3], 0 offset:560
	buffer_load_dword v101, off, s[0:3], 0 offset:552
	buffer_load_dword v127, off, s[0:3], 0 offset:532
	s_waitcnt vmcnt(57) lgkmcnt(0)
	v_mul_f64 v[177:178], v[89:90], v[134:135]
	v_mul_f64 v[133:134], v[91:92], v[134:135]
	s_waitcnt vmcnt(56)
	v_fma_f64 v[118:119], v[93:94], v[107:108], -v[118:119]
	ds_read_b128 v[1:4], v113 offset:992
	v_fma_f64 v[107:108], v[95:96], v[107:108], v[114:115]
	v_add_f64 v[97:98], v[97:98], v[128:129]
	v_add_f64 v[99:100], v[99:100], v[111:112]
	s_clause 0x2
	buffer_load_dword v131, off, s[0:3], 0 offset:572
	buffer_load_dword v112, off, s[0:3], 0 offset:548
	buffer_load_dword v111, off, s[0:3], 0 offset:544
	ds_read_b128 v[93:96], v113 offset:1008
	s_waitcnt vmcnt(58) lgkmcnt(1)
	v_mul_f64 v[128:129], v[3:4], v[136:137]
	s_waitcnt vmcnt(56)
	v_fma_f64 v[134:135], v[89:90], v[140:141], -v[133:134]
	v_mul_f64 v[114:115], v[1:2], v[136:137]
	v_add_f64 v[97:98], v[97:98], v[118:119]
	v_fma_f64 v[118:119], v[91:92], v[140:141], v[177:178]
	v_add_f64 v[99:100], v[99:100], v[107:108]
	s_clause 0x4
	buffer_load_dword v108, off, s[0:3], 0 offset:588
	buffer_load_dword v136, off, s[0:3], 0 offset:600
	buffer_load_dword v140, off, s[0:3], 0 offset:592
	buffer_load_dword v107, off, s[0:3], 0 offset:584
	buffer_load_dword v133, off, s[0:3], 0 offset:564
	s_waitcnt vmcnt(57) lgkmcnt(0)
	v_mul_f64 v[177:178], v[93:94], v[142:143]
	v_mul_f64 v[141:142], v[95:96], v[142:143]
	s_waitcnt vmcnt(56)
	v_fma_f64 v[128:129], v[1:2], v[138:139], -v[128:129]
	ds_read_b128 v[89:92], v113 offset:1024
	v_fma_f64 v[114:115], v[3:4], v[138:139], v[114:115]
	v_add_f64 v[97:98], v[97:98], v[134:135]
	v_add_f64 v[99:100], v[99:100], v[118:119]
	s_clause 0x2
	buffer_load_dword v137, off, s[0:3], 0 offset:604
	buffer_load_dword v119, off, s[0:3], 0 offset:580
	buffer_load_dword v118, off, s[0:3], 0 offset:576
	ds_read_b128 v[1:4], v113 offset:1040
	s_waitcnt vmcnt(58) lgkmcnt(1)
	v_mul_f64 v[138:139], v[91:92], v[146:147]
	s_waitcnt vmcnt(56)
	v_fma_f64 v[142:143], v[93:94], v[150:151], -v[141:142]
	v_mul_f64 v[134:135], v[89:90], v[146:147]
	;; [unrolled: 28-line block ×4, first 2 shown]
	v_add_f64 v[97:98], v[97:98], v[148:149]
	v_fma_f64 v[148:149], v[91:92], v[169:170], v[177:178]
	v_add_f64 v[99:100], v[99:100], v[142:143]
	s_clause 0x2
	buffer_load_dword v143, off, s[0:3], 0 offset:684
	buffer_load_dword v142, off, s[0:3], 0 offset:680
	;; [unrolled: 1-line block ×3, first 2 shown]
	ds_read_b128 v[89:92], v113 offset:1120
	s_waitcnt vmcnt(55) lgkmcnt(1)
	v_mul_f64 v[164:165], v[93:94], v[160:161]
	v_mul_f64 v[160:161], v[95:96], v[160:161]
	s_waitcnt vmcnt(54)
	v_fma_f64 v[156:157], v[1:2], v[166:167], -v[156:157]
	v_fma_f64 v[152:153], v[3:4], v[166:167], v[152:153]
	v_add_f64 v[97:98], v[97:98], v[162:163]
	v_add_f64 v[99:100], v[99:100], v[148:149]
	s_clause 0x1
	buffer_load_dword v149, off, s[0:3], 0 offset:676
	buffer_load_dword v148, off, s[0:3], 0 offset:672
	ds_read_b128 v[1:4], v113 offset:1136
	s_waitcnt vmcnt(55) lgkmcnt(1)
	v_mul_f64 v[166:167], v[91:92], v[173:174]
	v_mul_f64 v[162:163], v[89:90], v[173:174]
	s_waitcnt vmcnt(53)
	v_fma_f64 v[160:161], v[93:94], v[120:121], -v[160:161]
	v_fma_f64 v[120:121], v[95:96], v[120:121], v[164:165]
	ds_read_b128 v[93:96], v113 offset:1152
	v_add_f64 v[97:98], v[97:98], v[156:157]
	v_add_f64 v[99:100], v[99:100], v[152:153]
	s_waitcnt vmcnt(49) lgkmcnt(1)
	v_mul_f64 v[152:153], v[1:2], v[109:110]
	v_mul_f64 v[109:110], v[3:4], v[109:110]
	s_waitcnt vmcnt(48)
	v_fma_f64 v[156:157], v[89:90], v[175:176], -v[166:167]
	v_add_f64 v[97:98], v[97:98], v[160:161]
	v_fma_f64 v[160:161], v[91:92], v[175:176], v[162:163]
	v_add_f64 v[99:100], v[99:100], v[120:121]
	s_clause 0x3
	buffer_load_dword v120, off, s[0:3], 0 offset:160
	buffer_load_dword v121, off, s[0:3], 0 offset:164
	;; [unrolled: 1-line block ×4, first 2 shown]
	ds_read_b128 v[89:92], v113 offset:1168
	s_waitcnt vmcnt(51) lgkmcnt(1)
	v_mul_f64 v[164:165], v[93:94], v[122:123]
	v_mul_f64 v[122:123], v[95:96], v[122:123]
	s_waitcnt vmcnt(49)
	v_fma_f64 v[109:110], v[1:2], v[103:104], -v[109:110]
	v_fma_f64 v[103:104], v[3:4], v[103:104], v[152:153]
	ds_read_b128 v[1:4], v113 offset:1184
	v_add_f64 v[97:98], v[97:98], v[156:157]
	v_add_f64 v[99:100], v[99:100], v[160:161]
	s_waitcnt vmcnt(45) lgkmcnt(1)
	v_mul_f64 v[152:153], v[89:90], v[116:117]
	v_mul_f64 v[116:117], v[91:92], v[116:117]
	s_waitcnt vmcnt(44)
	v_fma_f64 v[122:123], v[93:94], v[171:172], -v[122:123]
	v_add_f64 v[97:98], v[97:98], v[109:110]
	v_fma_f64 v[109:110], v[95:96], v[171:172], v[164:165]
	v_add_f64 v[99:100], v[99:100], v[103:104]
	ds_read_b128 v[93:96], v113 offset:1200
	s_waitcnt vmcnt(43) lgkmcnt(1)
	v_mul_f64 v[103:104], v[1:2], v[124:125]
	v_mul_f64 v[124:125], v[3:4], v[124:125]
	s_waitcnt vmcnt(41)
	v_fma_f64 v[116:117], v[89:90], v[105:106], -v[116:117]
	v_fma_f64 v[105:106], v[91:92], v[105:106], v[152:153]
	ds_read_b128 v[89:92], v113 offset:1216
	v_add_f64 v[97:98], v[97:98], v[122:123]
	v_add_f64 v[99:100], v[99:100], v[109:110]
	s_waitcnt vmcnt(37) lgkmcnt(1)
	v_mul_f64 v[109:110], v[93:94], v[101:102]
	v_mul_f64 v[101:102], v[95:96], v[101:102]
	s_waitcnt vmcnt(36)
	v_fma_f64 v[122:123], v[1:2], v[126:127], -v[124:125]
	v_fma_f64 v[103:104], v[3:4], v[126:127], v[103:104]
	ds_read_b128 v[1:4], v113 offset:1232
	v_add_f64 v[97:98], v[97:98], v[116:117]
	v_add_f64 v[99:100], v[99:100], v[105:106]
	;; [unrolled: 9-line block ×3, first 2 shown]
	s_waitcnt vmcnt(29) lgkmcnt(1)
	v_mul_f64 v[103:104], v[1:2], v[107:108]
	v_mul_f64 v[107:108], v[3:4], v[107:108]
	s_waitcnt vmcnt(28)
	v_fma_f64 v[111:112], v[89:90], v[132:133], -v[116:117]
	v_add_f64 v[97:98], v[97:98], v[101:102]
	v_fma_f64 v[101:102], v[91:92], v[132:133], v[105:106]
	v_add_f64 v[99:100], v[99:100], v[109:110]
	ds_read_b128 v[89:92], v113 offset:1264
	s_waitcnt vmcnt(27) lgkmcnt(1)
	v_mul_f64 v[109:110], v[95:96], v[136:137]
	v_mul_f64 v[105:106], v[93:94], v[136:137]
	s_waitcnt vmcnt(25)
	v_fma_f64 v[107:108], v[1:2], v[118:119], -v[107:108]
	v_fma_f64 v[103:104], v[3:4], v[118:119], v[103:104]
	ds_read_b128 v[1:4], v113 offset:1280
	v_add_f64 v[97:98], v[97:98], v[111:112]
	v_add_f64 v[99:100], v[99:100], v[101:102]
	s_waitcnt vmcnt(21) lgkmcnt(1)
	v_mul_f64 v[111:112], v[91:92], v[114:115]
	s_waitcnt vmcnt(20)
	v_fma_f64 v[109:110], v[93:94], v[140:141], -v[109:110]
	v_mul_f64 v[101:102], v[89:90], v[114:115]
	v_fma_f64 v[105:106], v[95:96], v[140:141], v[105:106]
	ds_read_b128 v[93:96], v113 offset:1296
	v_add_f64 v[97:98], v[97:98], v[107:108]
	v_add_f64 v[99:100], v[99:100], v[103:104]
	s_waitcnt vmcnt(19) lgkmcnt(1)
	v_mul_f64 v[107:108], v[3:4], v[146:147]
	v_mul_f64 v[103:104], v[1:2], v[146:147]
	s_waitcnt vmcnt(17)
	v_fma_f64 v[111:112], v[89:90], v[128:129], -v[111:112]
	v_fma_f64 v[101:102], v[91:92], v[128:129], v[101:102]
	ds_read_b128 v[89:92], v113 offset:1312
	v_add_f64 v[97:98], v[97:98], v[109:110]
	v_add_f64 v[99:100], v[99:100], v[105:106]
	s_waitcnt vmcnt(13) lgkmcnt(1)
	v_mul_f64 v[109:110], v[95:96], v[134:135]
	s_waitcnt vmcnt(12)
	v_fma_f64 v[107:108], v[1:2], v[150:151], -v[107:108]
	v_mul_f64 v[105:106], v[93:94], v[134:135]
	v_fma_f64 v[103:104], v[3:4], v[150:151], v[103:104]
	ds_read_b128 v[1:4], v113 offset:1328
	v_add_f64 v[97:98], v[97:98], v[111:112]
	v_add_f64 v[99:100], v[99:100], v[101:102]
	s_waitcnt vmcnt(11) lgkmcnt(1)
	v_mul_f64 v[111:112], v[91:92], v[154:155]
	v_mul_f64 v[101:102], v[89:90], v[154:155]
	s_waitcnt vmcnt(9)
	v_fma_f64 v[93:94], v[93:94], v[138:139], -v[109:110]
	v_fma_f64 v[95:96], v[95:96], v[138:139], v[105:106]
	v_add_f64 v[97:98], v[97:98], v[107:108]
	v_add_f64 v[99:100], v[99:100], v[103:104]
	s_waitcnt vmcnt(7) lgkmcnt(0)
	v_mul_f64 v[105:106], v[3:4], v[142:143]
	s_waitcnt vmcnt(6)
	v_fma_f64 v[89:90], v[89:90], v[158:159], -v[111:112]
	v_mul_f64 v[103:104], v[1:2], v[142:143]
	v_fma_f64 v[91:92], v[91:92], v[158:159], v[101:102]
	v_add_f64 v[93:94], v[97:98], v[93:94]
	v_add_f64 v[95:96], v[99:100], v[95:96]
	s_waitcnt vmcnt(4)
	v_fma_f64 v[1:2], v[1:2], v[148:149], -v[105:106]
	v_fma_f64 v[3:4], v[3:4], v[148:149], v[103:104]
	v_add_f64 v[89:90], v[93:94], v[89:90]
	v_add_f64 v[91:92], v[95:96], v[91:92]
	;; [unrolled: 1-line block ×4, first 2 shown]
	s_waitcnt vmcnt(2)
	v_add_f64 v[1:2], v[120:121], -v[1:2]
	s_waitcnt vmcnt(0)
	v_add_f64 v[3:4], v[162:163], -v[3:4]
	buffer_store_dword v2, off, s[0:3], 0 offset:164
	buffer_store_dword v1, off, s[0:3], 0 offset:160
	;; [unrolled: 1-line block ×4, first 2 shown]
	v_cmpx_lt_u32_e32 8, v0
	s_cbranch_execz .LBB105_249
; %bb.248:
	v_mov_b32_e32 v4, s46
	v_mov_b32_e32 v89, 0
	s_clause 0x3
	buffer_load_dword v1, v4, s[0:3], 0 offen
	buffer_load_dword v2, v4, s[0:3], 0 offen offset:4
	buffer_load_dword v3, v4, s[0:3], 0 offen offset:8
	;; [unrolled: 1-line block ×3, first 2 shown]
	buffer_store_dword v89, off, s[0:3], 0 offset:144
	buffer_store_dword v89, off, s[0:3], 0 offset:148
	;; [unrolled: 1-line block ×4, first 2 shown]
	s_waitcnt vmcnt(0)
	ds_write_b128 v145, v[1:4]
.LBB105_249:
	s_or_b32 exec_lo, exec_lo, s4
	s_waitcnt lgkmcnt(0)
	s_waitcnt_vscnt null, 0x0
	s_barrier
	buffer_gl0_inv
	s_clause 0x37
	buffer_load_dword v93, off, s[0:3], 0 offset:168
	buffer_load_dword v94, off, s[0:3], 0 offset:172
	;; [unrolled: 1-line block ×56, first 2 shown]
	v_mov_b32_e32 v135, 0
	s_mov_b32 s4, exec_lo
	ds_read_b128 v[123:126], v135 offset:816
	s_clause 0x2
	buffer_load_dword v155, off, s[0:3], 0 offset:396
	buffer_load_dword v159, off, s[0:3], 0 offset:372
	;; [unrolled: 1-line block ×3, first 2 shown]
	ds_read_b128 v[127:130], v135 offset:832
	s_clause 0x4
	buffer_load_dword v163, off, s[0:3], 0 offset:412
	buffer_load_dword v164, off, s[0:3], 0 offset:424
	;; [unrolled: 1-line block ×5, first 2 shown]
	ds_read_b128 v[131:134], v135 offset:848
	s_clause 0x2
	buffer_load_dword v165, off, s[0:3], 0 offset:428
	buffer_load_dword v170, off, s[0:3], 0 offset:404
	;; [unrolled: 1-line block ×3, first 2 shown]
	s_waitcnt vmcnt(62) lgkmcnt(2)
	v_mul_f64 v[160:161], v[125:126], v[93:94]
	v_mul_f64 v[93:94], v[123:124], v[93:94]
	s_waitcnt lgkmcnt(1)
	v_mul_f64 v[167:168], v[129:130], v[89:90]
	s_waitcnt vmcnt(59) lgkmcnt(0)
	v_mul_f64 v[171:172], v[133:134], v[3:4]
	v_fma_f64 v[123:124], v[123:124], v[91:92], -v[160:161]
	v_mul_f64 v[160:161], v[127:128], v[89:90]
	v_fma_f64 v[93:94], v[125:126], v[91:92], v[93:94]
	s_waitcnt vmcnt(57)
	v_fma_f64 v[127:128], v[127:128], v[1:2], -v[167:168]
	ds_read_b128 v[89:92], v135 offset:864
	v_mul_f64 v[125:126], v[131:132], v[3:4]
	s_waitcnt vmcnt(51)
	v_fma_f64 v[131:132], v[131:132], v[109:110], -v[171:172]
	v_add_f64 v[123:124], v[123:124], 0
	v_fma_f64 v[129:130], v[129:130], v[1:2], v[160:161]
	v_add_f64 v[93:94], v[93:94], 0
	s_clause 0x4
	buffer_load_dword v161, off, s[0:3], 0 offset:444
	buffer_load_dword v173, off, s[0:3], 0 offset:456
	;; [unrolled: 1-line block ×5, first 2 shown]
	s_waitcnt lgkmcnt(0)
	v_mul_f64 v[176:177], v[89:90], v[97:98]
	v_mul_f64 v[97:98], v[91:92], v[97:98]
	ds_read_b128 v[1:4], v135 offset:880
	v_fma_f64 v[109:110], v[133:134], v[109:110], v[125:126]
	v_add_f64 v[127:128], v[123:124], v[127:128]
	v_add_f64 v[93:94], v[93:94], v[129:130]
	s_clause 0x2
	buffer_load_dword v174, off, s[0:3], 0 offset:460
	buffer_load_dword v130, off, s[0:3], 0 offset:436
	;; [unrolled: 1-line block ×3, first 2 shown]
	s_waitcnt vmcnt(58) lgkmcnt(0)
	v_mul_f64 v[133:134], v[1:2], v[101:102]
	v_mul_f64 v[101:102], v[3:4], v[101:102]
	s_waitcnt vmcnt(56)
	v_fma_f64 v[97:98], v[89:90], v[103:104], -v[97:98]
	ds_read_b128 v[123:126], v135 offset:896
	v_fma_f64 v[103:104], v[91:92], v[103:104], v[176:177]
	v_add_f64 v[127:128], v[127:128], v[131:132]
	v_add_f64 v[93:94], v[93:94], v[109:110]
	s_clause 0x4
	buffer_load_dword v110, off, s[0:3], 0 offset:476
	buffer_load_dword v131, off, s[0:3], 0 offset:488
	;; [unrolled: 1-line block ×5, first 2 shown]
	ds_read_b128 v[89:92], v135 offset:912
	s_waitcnt vmcnt(57) lgkmcnt(1)
	v_mul_f64 v[177:178], v[123:124], v[105:106]
	v_mul_f64 v[105:106], v[125:126], v[105:106]
	s_waitcnt vmcnt(56)
	v_fma_f64 v[101:102], v[1:2], v[95:96], -v[101:102]
	v_fma_f64 v[95:96], v[3:4], v[95:96], v[133:134]
	v_add_f64 v[97:98], v[127:128], v[97:98]
	v_add_f64 v[93:94], v[93:94], v[103:104]
	s_clause 0x2
	buffer_load_dword v132, off, s[0:3], 0 offset:492
	buffer_load_dword v104, off, s[0:3], 0 offset:468
	;; [unrolled: 1-line block ×3, first 2 shown]
	s_waitcnt vmcnt(58) lgkmcnt(0)
	v_mul_f64 v[127:128], v[89:90], v[111:112]
	v_mul_f64 v[111:112], v[91:92], v[111:112]
	s_waitcnt vmcnt(56)
	v_fma_f64 v[105:106], v[123:124], v[113:114], -v[105:106]
	ds_read_b128 v[1:4], v135 offset:928
	v_add_f64 v[97:98], v[97:98], v[101:102]
	v_fma_f64 v[101:102], v[125:126], v[113:114], v[177:178]
	v_add_f64 v[113:114], v[93:94], v[95:96]
	s_clause 0x4
	buffer_load_dword v124, off, s[0:3], 0 offset:508
	buffer_load_dword v125, off, s[0:3], 0 offset:520
	;; [unrolled: 1-line block ×5, first 2 shown]
	ds_read_b128 v[93:96], v135 offset:944
	s_waitcnt vmcnt(57) lgkmcnt(1)
	v_mul_f64 v[177:178], v[1:2], v[115:116]
	v_mul_f64 v[115:116], v[3:4], v[115:116]
	s_waitcnt vmcnt(56)
	v_fma_f64 v[111:112], v[89:90], v[99:100], -v[111:112]
	v_fma_f64 v[99:100], v[91:92], v[99:100], v[127:128]
	v_add_f64 v[97:98], v[97:98], v[105:106]
	s_clause 0x2
	buffer_load_dword v126, off, s[0:3], 0 offset:524
	buffer_load_dword v106, off, s[0:3], 0 offset:500
	;; [unrolled: 1-line block ×3, first 2 shown]
	v_add_f64 v[101:102], v[113:114], v[101:102]
	s_waitcnt vmcnt(58) lgkmcnt(0)
	v_mul_f64 v[113:114], v[93:94], v[119:120]
	v_mul_f64 v[119:120], v[95:96], v[119:120]
	ds_read_b128 v[89:92], v135 offset:960
	s_waitcnt vmcnt(56)
	v_fma_f64 v[115:116], v[1:2], v[121:122], -v[115:116]
	v_add_f64 v[97:98], v[97:98], v[111:112]
	v_fma_f64 v[111:112], v[3:4], v[121:122], v[177:178]
	v_add_f64 v[99:100], v[101:102], v[99:100]
	s_clause 0x4
	buffer_load_dword v102, off, s[0:3], 0 offset:540
	buffer_load_dword v121, off, s[0:3], 0 offset:552
	;; [unrolled: 1-line block ×5, first 2 shown]
	s_waitcnt vmcnt(57) lgkmcnt(0)
	v_mul_f64 v[177:178], v[89:90], v[136:137]
	v_mul_f64 v[136:137], v[91:92], v[136:137]
	s_waitcnt vmcnt(56)
	v_fma_f64 v[119:120], v[93:94], v[107:108], -v[119:120]
	ds_read_b128 v[1:4], v135 offset:976
	v_fma_f64 v[107:108], v[95:96], v[107:108], v[113:114]
	v_add_f64 v[97:98], v[97:98], v[115:116]
	v_add_f64 v[99:100], v[99:100], v[111:112]
	s_clause 0x2
	buffer_load_dword v122, off, s[0:3], 0 offset:556
	buffer_load_dword v112, off, s[0:3], 0 offset:532
	;; [unrolled: 1-line block ×3, first 2 shown]
	ds_read_b128 v[93:96], v135 offset:992
	s_waitcnt vmcnt(58) lgkmcnt(1)
	v_mul_f64 v[115:116], v[3:4], v[138:139]
	s_waitcnt vmcnt(56)
	v_fma_f64 v[136:137], v[89:90], v[140:141], -v[136:137]
	v_mul_f64 v[113:114], v[1:2], v[138:139]
	v_add_f64 v[97:98], v[97:98], v[119:120]
	v_fma_f64 v[119:120], v[91:92], v[140:141], v[177:178]
	v_add_f64 v[99:100], v[99:100], v[107:108]
	s_clause 0x4
	buffer_load_dword v108, off, s[0:3], 0 offset:572
	buffer_load_dword v138, off, s[0:3], 0 offset:584
	;; [unrolled: 1-line block ×5, first 2 shown]
	s_waitcnt vmcnt(57) lgkmcnt(0)
	v_mul_f64 v[177:178], v[93:94], v[142:143]
	v_mul_f64 v[141:142], v[95:96], v[142:143]
	s_waitcnt vmcnt(56)
	v_fma_f64 v[115:116], v[1:2], v[117:118], -v[115:116]
	ds_read_b128 v[89:92], v135 offset:1008
	v_fma_f64 v[113:114], v[3:4], v[117:118], v[113:114]
	s_clause 0x2
	buffer_load_dword v139, off, s[0:3], 0 offset:588
	buffer_load_dword v118, off, s[0:3], 0 offset:564
	;; [unrolled: 1-line block ×3, first 2 shown]
	ds_read_b128 v[1:4], v135 offset:1024
	v_add_f64 v[97:98], v[97:98], v[136:137]
	v_add_f64 v[99:100], v[99:100], v[119:120]
	s_waitcnt vmcnt(58) lgkmcnt(1)
	v_mul_f64 v[136:137], v[91:92], v[146:147]
	s_waitcnt vmcnt(56)
	v_fma_f64 v[142:143], v[93:94], v[150:151], -v[141:142]
	v_mul_f64 v[119:120], v[89:90], v[146:147]
	v_add_f64 v[97:98], v[97:98], v[115:116]
	v_fma_f64 v[115:116], v[95:96], v[150:151], v[177:178]
	v_add_f64 v[99:100], v[99:100], v[113:114]
	s_clause 0x4
	buffer_load_dword v114, off, s[0:3], 0 offset:604
	buffer_load_dword v146, off, s[0:3], 0 offset:616
	;; [unrolled: 1-line block ×5, first 2 shown]
	s_waitcnt vmcnt(57) lgkmcnt(0)
	v_mul_f64 v[177:178], v[1:2], v[152:153]
	v_mul_f64 v[151:152], v[3:4], v[152:153]
	s_waitcnt vmcnt(56)
	v_fma_f64 v[136:137], v[89:90], v[148:149], -v[136:137]
	ds_read_b128 v[93:96], v135 offset:1040
	v_fma_f64 v[119:120], v[91:92], v[148:149], v[119:120]
	v_add_f64 v[97:98], v[97:98], v[142:143]
	v_add_f64 v[99:100], v[99:100], v[115:116]
	s_clause 0x2
	buffer_load_dword v147, off, s[0:3], 0 offset:620
	buffer_load_dword v116, off, s[0:3], 0 offset:596
	;; [unrolled: 1-line block ×3, first 2 shown]
	ds_read_b128 v[89:92], v135 offset:1056
	s_waitcnt vmcnt(58) lgkmcnt(1)
	v_mul_f64 v[148:149], v[95:96], v[154:155]
	s_waitcnt vmcnt(56)
	v_fma_f64 v[152:153], v[1:2], v[158:159], -v[151:152]
	v_mul_f64 v[142:143], v[93:94], v[154:155]
	v_add_f64 v[97:98], v[97:98], v[136:137]
	v_fma_f64 v[136:137], v[3:4], v[158:159], v[177:178]
	v_add_f64 v[99:100], v[99:100], v[119:120]
	s_clause 0x4
	buffer_load_dword v120, off, s[0:3], 0 offset:636
	buffer_load_dword v154, off, s[0:3], 0 offset:648
	;; [unrolled: 1-line block ×5, first 2 shown]
	s_waitcnt vmcnt(57) lgkmcnt(0)
	v_mul_f64 v[177:178], v[89:90], v[162:163]
	v_mul_f64 v[162:163], v[91:92], v[162:163]
	s_waitcnt vmcnt(56)
	v_fma_f64 v[148:149], v[93:94], v[156:157], -v[148:149]
	ds_read_b128 v[1:4], v135 offset:1072
	v_fma_f64 v[142:143], v[95:96], v[156:157], v[142:143]
	v_add_f64 v[97:98], v[97:98], v[152:153]
	v_add_f64 v[99:100], v[99:100], v[136:137]
	s_clause 0x2
	buffer_load_dword v155, off, s[0:3], 0 offset:652
	buffer_load_dword v137, off, s[0:3], 0 offset:628
	;; [unrolled: 1-line block ×3, first 2 shown]
	ds_read_b128 v[93:96], v135 offset:1088
	s_waitcnt vmcnt(58) lgkmcnt(1)
	v_mul_f64 v[156:157], v[3:4], v[164:165]
	s_waitcnt vmcnt(56)
	v_fma_f64 v[162:163], v[89:90], v[169:170], -v[162:163]
	v_mul_f64 v[152:153], v[1:2], v[164:165]
	v_add_f64 v[97:98], v[97:98], v[148:149]
	v_fma_f64 v[148:149], v[91:92], v[169:170], v[177:178]
	v_add_f64 v[99:100], v[99:100], v[142:143]
	s_clause 0x4
	buffer_load_dword v143, off, s[0:3], 0 offset:668
	buffer_load_dword v164, off, s[0:3], 0 offset:680
	;; [unrolled: 1-line block ×5, first 2 shown]
	ds_read_b128 v[89:92], v135 offset:1104
	s_waitcnt vmcnt(57) lgkmcnt(1)
	v_mul_f64 v[169:170], v[93:94], v[160:161]
	v_mul_f64 v[160:161], v[95:96], v[160:161]
	s_waitcnt vmcnt(56)
	v_fma_f64 v[156:157], v[1:2], v[166:167], -v[156:157]
	v_fma_f64 v[152:153], v[3:4], v[166:167], v[152:153]
	v_add_f64 v[97:98], v[97:98], v[162:163]
	v_add_f64 v[99:100], v[99:100], v[148:149]
	s_clause 0x2
	buffer_load_dword v165, off, s[0:3], 0 offset:684
	buffer_load_dword v149, off, s[0:3], 0 offset:660
	buffer_load_dword v148, off, s[0:3], 0 offset:656
	ds_read_b128 v[1:4], v135 offset:1120
	s_waitcnt vmcnt(58) lgkmcnt(1)
	v_mul_f64 v[166:167], v[91:92], v[173:174]
	v_mul_f64 v[162:163], v[89:90], v[173:174]
	s_waitcnt vmcnt(56)
	v_fma_f64 v[160:161], v[93:94], v[129:130], -v[160:161]
	v_fma_f64 v[129:130], v[95:96], v[129:130], v[169:170]
	buffer_load_dword v169, off, s[0:3], 0 offset:676
	ds_read_b128 v[93:96], v135 offset:1136
	v_add_f64 v[97:98], v[97:98], v[156:157]
	v_add_f64 v[99:100], v[99:100], v[152:153]
	s_waitcnt vmcnt(53) lgkmcnt(1)
	v_mul_f64 v[152:153], v[1:2], v[109:110]
	v_mul_f64 v[109:110], v[3:4], v[109:110]
	s_waitcnt vmcnt(52)
	v_fma_f64 v[156:157], v[89:90], v[175:176], -v[166:167]
	v_add_f64 v[97:98], v[97:98], v[160:161]
	v_fma_f64 v[160:161], v[91:92], v[175:176], v[162:163]
	v_add_f64 v[99:100], v[99:100], v[129:130]
	ds_read_b128 v[89:92], v135 offset:1152
	s_waitcnt vmcnt(51) lgkmcnt(1)
	v_mul_f64 v[129:130], v[93:94], v[131:132]
	v_mul_f64 v[131:132], v[95:96], v[131:132]
	s_waitcnt vmcnt(49)
	v_fma_f64 v[109:110], v[1:2], v[103:104], -v[109:110]
	v_fma_f64 v[103:104], v[3:4], v[103:104], v[152:153]
	v_add_f64 v[97:98], v[97:98], v[156:157]
	s_clause 0x3
	buffer_load_dword v152, off, s[0:3], 0 offset:144
	buffer_load_dword v153, off, s[0:3], 0 offset:148
	;; [unrolled: 1-line block ×4, first 2 shown]
	v_add_f64 v[99:100], v[99:100], v[160:161]
	ds_read_b128 v[1:4], v135 offset:1168
	s_waitcnt vmcnt(49) lgkmcnt(1)
	v_mul_f64 v[160:161], v[89:90], v[123:124]
	v_mul_f64 v[123:124], v[91:92], v[123:124]
	s_waitcnt vmcnt(48)
	v_fma_f64 v[131:132], v[93:94], v[171:172], -v[131:132]
	v_add_f64 v[97:98], v[97:98], v[109:110]
	v_fma_f64 v[109:110], v[95:96], v[171:172], v[129:130]
	v_add_f64 v[99:100], v[99:100], v[103:104]
	ds_read_b128 v[93:96], v135 offset:1184
	s_waitcnt vmcnt(47) lgkmcnt(1)
	v_mul_f64 v[103:104], v[1:2], v[125:126]
	v_mul_f64 v[125:126], v[3:4], v[125:126]
	s_waitcnt vmcnt(45)
	v_fma_f64 v[123:124], v[89:90], v[105:106], -v[123:124]
	v_fma_f64 v[105:106], v[91:92], v[105:106], v[160:161]
	ds_read_b128 v[89:92], v135 offset:1200
	v_add_f64 v[97:98], v[97:98], v[131:132]
	v_add_f64 v[99:100], v[99:100], v[109:110]
	s_waitcnt vmcnt(41) lgkmcnt(1)
	v_mul_f64 v[109:110], v[93:94], v[101:102]
	v_mul_f64 v[101:102], v[95:96], v[101:102]
	s_waitcnt vmcnt(40)
	v_fma_f64 v[125:126], v[1:2], v[133:134], -v[125:126]
	v_fma_f64 v[103:104], v[3:4], v[133:134], v[103:104]
	ds_read_b128 v[1:4], v135 offset:1216
	v_add_f64 v[97:98], v[97:98], v[123:124]
	v_add_f64 v[99:100], v[99:100], v[105:106]
	s_waitcnt vmcnt(39) lgkmcnt(1)
	v_mul_f64 v[105:106], v[89:90], v[121:122]
	v_mul_f64 v[121:122], v[91:92], v[121:122]
	s_waitcnt vmcnt(37)
	v_fma_f64 v[101:102], v[93:94], v[111:112], -v[101:102]
	v_fma_f64 v[109:110], v[95:96], v[111:112], v[109:110]
	ds_read_b128 v[93:96], v135 offset:1232
	v_add_f64 v[97:98], v[97:98], v[125:126]
	v_add_f64 v[99:100], v[99:100], v[103:104]
	s_waitcnt vmcnt(33) lgkmcnt(1)
	v_mul_f64 v[103:104], v[1:2], v[107:108]
	v_mul_f64 v[107:108], v[3:4], v[107:108]
	s_waitcnt vmcnt(32)
	v_fma_f64 v[111:112], v[89:90], v[127:128], -v[121:122]
	v_add_f64 v[97:98], v[97:98], v[101:102]
	v_fma_f64 v[101:102], v[91:92], v[127:128], v[105:106]
	v_add_f64 v[99:100], v[99:100], v[109:110]
	ds_read_b128 v[89:92], v135 offset:1248
	s_waitcnt vmcnt(31) lgkmcnt(1)
	v_mul_f64 v[109:110], v[95:96], v[138:139]
	v_mul_f64 v[105:106], v[93:94], v[138:139]
	s_waitcnt vmcnt(29)
	v_fma_f64 v[103:104], v[3:4], v[117:118], v[103:104]
	v_fma_f64 v[107:108], v[1:2], v[117:118], -v[107:108]
	ds_read_b128 v[1:4], v135 offset:1264
	v_add_f64 v[97:98], v[97:98], v[111:112]
	v_add_f64 v[99:100], v[99:100], v[101:102]
	s_waitcnt vmcnt(25) lgkmcnt(1)
	v_mul_f64 v[111:112], v[91:92], v[113:114]
	s_waitcnt vmcnt(24)
	v_fma_f64 v[109:110], v[93:94], v[140:141], -v[109:110]
	v_mul_f64 v[101:102], v[89:90], v[113:114]
	v_fma_f64 v[105:106], v[95:96], v[140:141], v[105:106]
	ds_read_b128 v[93:96], v135 offset:1280
	v_add_f64 v[97:98], v[97:98], v[107:108]
	v_add_f64 v[99:100], v[99:100], v[103:104]
	s_waitcnt vmcnt(23) lgkmcnt(1)
	v_mul_f64 v[107:108], v[3:4], v[146:147]
	v_mul_f64 v[103:104], v[1:2], v[146:147]
	s_waitcnt vmcnt(21)
	v_fma_f64 v[111:112], v[89:90], v[115:116], -v[111:112]
	v_fma_f64 v[101:102], v[91:92], v[115:116], v[101:102]
	ds_read_b128 v[89:92], v135 offset:1296
	v_add_f64 v[97:98], v[97:98], v[109:110]
	v_add_f64 v[99:100], v[99:100], v[105:106]
	s_waitcnt vmcnt(17) lgkmcnt(1)
	v_mul_f64 v[109:110], v[95:96], v[119:120]
	s_waitcnt vmcnt(16)
	v_fma_f64 v[107:108], v[1:2], v[150:151], -v[107:108]
	v_mul_f64 v[105:106], v[93:94], v[119:120]
	v_fma_f64 v[103:104], v[3:4], v[150:151], v[103:104]
	ds_read_b128 v[1:4], v135 offset:1312
	v_add_f64 v[97:98], v[97:98], v[111:112]
	v_add_f64 v[99:100], v[99:100], v[101:102]
	s_waitcnt vmcnt(15) lgkmcnt(1)
	v_mul_f64 v[111:112], v[91:92], v[154:155]
	v_mul_f64 v[101:102], v[89:90], v[154:155]
	s_waitcnt vmcnt(13)
	v_fma_f64 v[109:110], v[93:94], v[136:137], -v[109:110]
	v_fma_f64 v[105:106], v[95:96], v[136:137], v[105:106]
	ds_read_b128 v[93:96], v135 offset:1328
	v_add_f64 v[97:98], v[97:98], v[107:108]
	v_add_f64 v[99:100], v[99:100], v[103:104]
	s_waitcnt vmcnt(9) lgkmcnt(1)
	v_mul_f64 v[107:108], v[3:4], v[142:143]
	s_waitcnt vmcnt(8)
	v_fma_f64 v[89:90], v[89:90], v[158:159], -v[111:112]
	v_mul_f64 v[103:104], v[1:2], v[142:143]
	v_fma_f64 v[91:92], v[91:92], v[158:159], v[101:102]
	v_add_f64 v[97:98], v[97:98], v[109:110]
	v_add_f64 v[99:100], v[99:100], v[105:106]
	s_waitcnt vmcnt(7) lgkmcnt(0)
	v_mul_f64 v[105:106], v[95:96], v[164:165]
	v_mul_f64 v[101:102], v[93:94], v[164:165]
	s_waitcnt vmcnt(5)
	v_fma_f64 v[1:2], v[1:2], v[148:149], -v[107:108]
	v_fma_f64 v[3:4], v[3:4], v[148:149], v[103:104]
	v_add_f64 v[89:90], v[97:98], v[89:90]
	v_add_f64 v[91:92], v[99:100], v[91:92]
	s_waitcnt vmcnt(4)
	v_fma_f64 v[93:94], v[93:94], v[168:169], -v[105:106]
	v_add_f64 v[1:2], v[89:90], v[1:2]
	v_fma_f64 v[89:90], v[95:96], v[168:169], v[101:102]
	v_add_f64 v[3:4], v[91:92], v[3:4]
	v_add_f64 v[1:2], v[1:2], v[93:94]
	;; [unrolled: 1-line block ×3, first 2 shown]
	s_waitcnt vmcnt(2)
	v_add_f64 v[1:2], v[152:153], -v[1:2]
	s_waitcnt vmcnt(0)
	v_add_f64 v[3:4], v[156:157], -v[3:4]
	buffer_store_dword v2, off, s[0:3], 0 offset:148
	buffer_store_dword v1, off, s[0:3], 0 offset:144
	;; [unrolled: 1-line block ×4, first 2 shown]
	v_cmpx_lt_u32_e32 7, v0
	s_cbranch_execz .LBB105_251
; %bb.250:
	v_mov_b32_e32 v4, s47
	s_clause 0x3
	buffer_load_dword v1, v4, s[0:3], 0 offen
	buffer_load_dword v2, v4, s[0:3], 0 offen offset:4
	buffer_load_dword v3, v4, s[0:3], 0 offen offset:8
	;; [unrolled: 1-line block ×3, first 2 shown]
	buffer_store_dword v135, off, s[0:3], 0 offset:128
	buffer_store_dword v135, off, s[0:3], 0 offset:132
	;; [unrolled: 1-line block ×4, first 2 shown]
	s_waitcnt vmcnt(0)
	ds_write_b128 v145, v[1:4]
.LBB105_251:
	s_or_b32 exec_lo, exec_lo, s4
	s_waitcnt lgkmcnt(0)
	s_waitcnt_vscnt null, 0x0
	s_barrier
	buffer_gl0_inv
	s_clause 0x37
	buffer_load_dword v93, off, s[0:3], 0 offset:152
	buffer_load_dword v94, off, s[0:3], 0 offset:156
	;; [unrolled: 1-line block ×56, first 2 shown]
	ds_read_b128 v[136:139], v135 offset:800
	s_clause 0x2
	buffer_load_dword v157, off, s[0:3], 0 offset:380
	buffer_load_dword v159, off, s[0:3], 0 offset:356
	;; [unrolled: 1-line block ×3, first 2 shown]
	ds_read_b128 v[140:143], v135 offset:816
	s_clause 0x4
	buffer_load_dword v163, off, s[0:3], 0 offset:396
	buffer_load_dword v164, off, s[0:3], 0 offset:408
	;; [unrolled: 1-line block ×5, first 2 shown]
	ds_read_b128 v[146:149], v135 offset:832
	s_clause 0x2
	buffer_load_dword v165, off, s[0:3], 0 offset:412
	buffer_load_dword v170, off, s[0:3], 0 offset:388
	;; [unrolled: 1-line block ×3, first 2 shown]
	s_mov_b32 s4, exec_lo
	s_waitcnt vmcnt(62) lgkmcnt(2)
	v_mul_f64 v[160:161], v[138:139], v[93:94]
	v_mul_f64 v[93:94], v[136:137], v[93:94]
	s_waitcnt lgkmcnt(1)
	v_mul_f64 v[167:168], v[142:143], v[89:90]
	s_waitcnt vmcnt(59) lgkmcnt(0)
	v_mul_f64 v[171:172], v[148:149], v[3:4]
	v_fma_f64 v[136:137], v[136:137], v[91:92], -v[160:161]
	v_mul_f64 v[160:161], v[140:141], v[89:90]
	v_fma_f64 v[93:94], v[138:139], v[91:92], v[93:94]
	s_waitcnt vmcnt(57)
	v_fma_f64 v[140:141], v[140:141], v[1:2], -v[167:168]
	ds_read_b128 v[89:92], v135 offset:848
	v_mul_f64 v[138:139], v[146:147], v[3:4]
	s_waitcnt vmcnt(51)
	v_fma_f64 v[146:147], v[146:147], v[109:110], -v[171:172]
	v_add_f64 v[136:137], v[136:137], 0
	v_fma_f64 v[142:143], v[142:143], v[1:2], v[160:161]
	v_add_f64 v[93:94], v[93:94], 0
	s_clause 0x4
	buffer_load_dword v161, off, s[0:3], 0 offset:428
	buffer_load_dword v173, off, s[0:3], 0 offset:440
	;; [unrolled: 1-line block ×5, first 2 shown]
	s_waitcnt lgkmcnt(0)
	v_mul_f64 v[176:177], v[89:90], v[97:98]
	v_mul_f64 v[97:98], v[91:92], v[97:98]
	ds_read_b128 v[1:4], v135 offset:864
	v_fma_f64 v[109:110], v[148:149], v[109:110], v[138:139]
	v_add_f64 v[140:141], v[136:137], v[140:141]
	v_add_f64 v[93:94], v[93:94], v[142:143]
	s_clause 0x2
	buffer_load_dword v174, off, s[0:3], 0 offset:444
	buffer_load_dword v143, off, s[0:3], 0 offset:420
	buffer_load_dword v142, off, s[0:3], 0 offset:416
	s_waitcnt vmcnt(58) lgkmcnt(0)
	v_mul_f64 v[148:149], v[1:2], v[101:102]
	v_mul_f64 v[101:102], v[3:4], v[101:102]
	s_waitcnt vmcnt(56)
	v_fma_f64 v[97:98], v[89:90], v[103:104], -v[97:98]
	ds_read_b128 v[136:139], v135 offset:880
	v_fma_f64 v[103:104], v[91:92], v[103:104], v[176:177]
	v_add_f64 v[140:141], v[140:141], v[146:147]
	v_add_f64 v[93:94], v[93:94], v[109:110]
	s_clause 0x4
	buffer_load_dword v110, off, s[0:3], 0 offset:460
	buffer_load_dword v146, off, s[0:3], 0 offset:472
	;; [unrolled: 1-line block ×5, first 2 shown]
	ds_read_b128 v[89:92], v135 offset:896
	s_waitcnt vmcnt(57) lgkmcnt(1)
	v_mul_f64 v[177:178], v[136:137], v[105:106]
	v_mul_f64 v[105:106], v[138:139], v[105:106]
	s_waitcnt vmcnt(56)
	v_fma_f64 v[101:102], v[1:2], v[95:96], -v[101:102]
	v_fma_f64 v[95:96], v[3:4], v[95:96], v[148:149]
	v_add_f64 v[97:98], v[140:141], v[97:98]
	v_add_f64 v[93:94], v[93:94], v[103:104]
	s_clause 0x2
	buffer_load_dword v147, off, s[0:3], 0 offset:476
	buffer_load_dword v104, off, s[0:3], 0 offset:452
	;; [unrolled: 1-line block ×3, first 2 shown]
	s_waitcnt vmcnt(58) lgkmcnt(0)
	v_mul_f64 v[140:141], v[89:90], v[111:112]
	v_mul_f64 v[111:112], v[91:92], v[111:112]
	s_waitcnt vmcnt(56)
	v_fma_f64 v[105:106], v[136:137], v[113:114], -v[105:106]
	ds_read_b128 v[1:4], v135 offset:912
	v_add_f64 v[97:98], v[97:98], v[101:102]
	v_fma_f64 v[101:102], v[138:139], v[113:114], v[177:178]
	v_add_f64 v[113:114], v[93:94], v[95:96]
	s_clause 0x4
	buffer_load_dword v137, off, s[0:3], 0 offset:492
	buffer_load_dword v138, off, s[0:3], 0 offset:504
	buffer_load_dword v148, off, s[0:3], 0 offset:496
	buffer_load_dword v136, off, s[0:3], 0 offset:488
	buffer_load_dword v172, off, s[0:3], 0 offset:468
	ds_read_b128 v[93:96], v135 offset:928
	s_waitcnt vmcnt(57) lgkmcnt(1)
	v_mul_f64 v[177:178], v[1:2], v[115:116]
	v_mul_f64 v[115:116], v[3:4], v[115:116]
	s_waitcnt vmcnt(56)
	v_fma_f64 v[111:112], v[89:90], v[99:100], -v[111:112]
	v_fma_f64 v[99:100], v[91:92], v[99:100], v[140:141]
	v_add_f64 v[97:98], v[97:98], v[105:106]
	s_clause 0x2
	buffer_load_dword v139, off, s[0:3], 0 offset:508
	buffer_load_dword v106, off, s[0:3], 0 offset:484
	;; [unrolled: 1-line block ×3, first 2 shown]
	v_add_f64 v[101:102], v[113:114], v[101:102]
	s_waitcnt vmcnt(58) lgkmcnt(0)
	v_mul_f64 v[113:114], v[93:94], v[119:120]
	v_mul_f64 v[119:120], v[95:96], v[119:120]
	ds_read_b128 v[89:92], v135 offset:944
	s_waitcnt vmcnt(56)
	v_fma_f64 v[115:116], v[1:2], v[121:122], -v[115:116]
	v_add_f64 v[97:98], v[97:98], v[111:112]
	v_fma_f64 v[111:112], v[3:4], v[121:122], v[177:178]
	v_add_f64 v[99:100], v[101:102], v[99:100]
	s_clause 0x4
	buffer_load_dword v102, off, s[0:3], 0 offset:524
	buffer_load_dword v121, off, s[0:3], 0 offset:536
	;; [unrolled: 1-line block ×5, first 2 shown]
	s_waitcnt vmcnt(57) lgkmcnt(0)
	v_mul_f64 v[177:178], v[89:90], v[123:124]
	v_mul_f64 v[123:124], v[91:92], v[123:124]
	s_waitcnt vmcnt(56)
	v_fma_f64 v[119:120], v[93:94], v[107:108], -v[119:120]
	ds_read_b128 v[1:4], v135 offset:960
	v_fma_f64 v[107:108], v[95:96], v[107:108], v[113:114]
	v_add_f64 v[97:98], v[97:98], v[115:116]
	v_add_f64 v[99:100], v[99:100], v[111:112]
	s_clause 0x2
	buffer_load_dword v122, off, s[0:3], 0 offset:540
	buffer_load_dword v112, off, s[0:3], 0 offset:516
	;; [unrolled: 1-line block ×3, first 2 shown]
	ds_read_b128 v[93:96], v135 offset:976
	s_waitcnt vmcnt(58) lgkmcnt(1)
	v_mul_f64 v[115:116], v[3:4], v[127:128]
	s_waitcnt vmcnt(56)
	v_fma_f64 v[123:124], v[89:90], v[129:130], -v[123:124]
	v_mul_f64 v[113:114], v[1:2], v[127:128]
	v_add_f64 v[97:98], v[97:98], v[119:120]
	v_fma_f64 v[119:120], v[91:92], v[129:130], v[177:178]
	v_add_f64 v[99:100], v[99:100], v[107:108]
	s_clause 0x4
	buffer_load_dword v108, off, s[0:3], 0 offset:556
	buffer_load_dword v127, off, s[0:3], 0 offset:568
	;; [unrolled: 1-line block ×5, first 2 shown]
	s_waitcnt vmcnt(57) lgkmcnt(0)
	v_mul_f64 v[177:178], v[93:94], v[131:132]
	v_mul_f64 v[130:131], v[95:96], v[131:132]
	s_waitcnt vmcnt(56)
	v_fma_f64 v[115:116], v[1:2], v[117:118], -v[115:116]
	ds_read_b128 v[89:92], v135 offset:992
	v_fma_f64 v[113:114], v[3:4], v[117:118], v[113:114]
	s_clause 0x2
	buffer_load_dword v128, off, s[0:3], 0 offset:572
	buffer_load_dword v118, off, s[0:3], 0 offset:548
	;; [unrolled: 1-line block ×3, first 2 shown]
	ds_read_b128 v[1:4], v135 offset:1008
	v_add_f64 v[97:98], v[97:98], v[123:124]
	v_add_f64 v[99:100], v[99:100], v[119:120]
	s_waitcnt vmcnt(58) lgkmcnt(1)
	v_mul_f64 v[123:124], v[91:92], v[150:151]
	s_waitcnt vmcnt(56)
	v_fma_f64 v[131:132], v[93:94], v[152:153], -v[130:131]
	v_mul_f64 v[119:120], v[89:90], v[150:151]
	v_add_f64 v[97:98], v[97:98], v[115:116]
	v_fma_f64 v[115:116], v[95:96], v[152:153], v[177:178]
	v_add_f64 v[99:100], v[99:100], v[113:114]
	s_clause 0x4
	buffer_load_dword v114, off, s[0:3], 0 offset:588
	buffer_load_dword v150, off, s[0:3], 0 offset:600
	;; [unrolled: 1-line block ×5, first 2 shown]
	s_waitcnt vmcnt(57) lgkmcnt(0)
	v_mul_f64 v[177:178], v[1:2], v[154:155]
	v_mul_f64 v[153:154], v[3:4], v[154:155]
	s_waitcnt vmcnt(56)
	v_fma_f64 v[123:124], v[89:90], v[125:126], -v[123:124]
	ds_read_b128 v[93:96], v135 offset:1024
	v_fma_f64 v[119:120], v[91:92], v[125:126], v[119:120]
	v_add_f64 v[97:98], v[97:98], v[131:132]
	v_add_f64 v[99:100], v[99:100], v[115:116]
	s_clause 0x2
	buffer_load_dword v151, off, s[0:3], 0 offset:604
	buffer_load_dword v116, off, s[0:3], 0 offset:580
	;; [unrolled: 1-line block ×3, first 2 shown]
	ds_read_b128 v[89:92], v135 offset:1040
	s_waitcnt vmcnt(58) lgkmcnt(1)
	v_mul_f64 v[131:132], v[95:96], v[156:157]
	s_waitcnt vmcnt(56)
	v_fma_f64 v[154:155], v[1:2], v[158:159], -v[153:154]
	v_mul_f64 v[125:126], v[93:94], v[156:157]
	v_add_f64 v[97:98], v[97:98], v[123:124]
	v_fma_f64 v[123:124], v[3:4], v[158:159], v[177:178]
	v_add_f64 v[99:100], v[99:100], v[119:120]
	s_clause 0x4
	buffer_load_dword v120, off, s[0:3], 0 offset:620
	buffer_load_dword v156, off, s[0:3], 0 offset:632
	;; [unrolled: 1-line block ×5, first 2 shown]
	s_waitcnt vmcnt(57) lgkmcnt(0)
	v_mul_f64 v[177:178], v[89:90], v[162:163]
	v_mul_f64 v[162:163], v[91:92], v[162:163]
	s_waitcnt vmcnt(56)
	v_fma_f64 v[131:132], v[93:94], v[133:134], -v[131:132]
	ds_read_b128 v[1:4], v135 offset:1056
	v_fma_f64 v[125:126], v[95:96], v[133:134], v[125:126]
	v_add_f64 v[97:98], v[97:98], v[154:155]
	v_add_f64 v[99:100], v[99:100], v[123:124]
	s_clause 0x2
	buffer_load_dword v157, off, s[0:3], 0 offset:636
	buffer_load_dword v124, off, s[0:3], 0 offset:612
	;; [unrolled: 1-line block ×3, first 2 shown]
	ds_read_b128 v[93:96], v135 offset:1072
	s_waitcnt vmcnt(58) lgkmcnt(1)
	v_mul_f64 v[154:155], v[3:4], v[164:165]
	s_waitcnt vmcnt(56)
	v_fma_f64 v[162:163], v[89:90], v[169:170], -v[162:163]
	v_mul_f64 v[133:134], v[1:2], v[164:165]
	v_add_f64 v[97:98], v[97:98], v[131:132]
	v_fma_f64 v[131:132], v[91:92], v[169:170], v[177:178]
	v_add_f64 v[99:100], v[99:100], v[125:126]
	s_clause 0x4
	buffer_load_dword v126, off, s[0:3], 0 offset:652
	buffer_load_dword v164, off, s[0:3], 0 offset:664
	;; [unrolled: 1-line block ×5, first 2 shown]
	ds_read_b128 v[89:92], v135 offset:1088
	s_waitcnt vmcnt(57) lgkmcnt(1)
	v_mul_f64 v[169:170], v[93:94], v[160:161]
	v_mul_f64 v[160:161], v[95:96], v[160:161]
	s_waitcnt vmcnt(56)
	v_fma_f64 v[154:155], v[1:2], v[166:167], -v[154:155]
	v_fma_f64 v[133:134], v[3:4], v[166:167], v[133:134]
	v_add_f64 v[97:98], v[97:98], v[162:163]
	v_add_f64 v[99:100], v[99:100], v[131:132]
	s_clause 0x2
	buffer_load_dword v165, off, s[0:3], 0 offset:668
	buffer_load_dword v132, off, s[0:3], 0 offset:644
	;; [unrolled: 1-line block ×3, first 2 shown]
	ds_read_b128 v[1:4], v135 offset:1104
	s_waitcnt vmcnt(58) lgkmcnt(1)
	v_mul_f64 v[166:167], v[91:92], v[173:174]
	v_mul_f64 v[162:163], v[89:90], v[173:174]
	s_waitcnt vmcnt(56)
	v_fma_f64 v[160:161], v[93:94], v[142:143], -v[160:161]
	v_fma_f64 v[142:143], v[95:96], v[142:143], v[169:170]
	v_add_f64 v[97:98], v[97:98], v[154:155]
	v_add_f64 v[99:100], v[99:100], v[133:134]
	s_clause 0x2
	buffer_load_dword v134, off, s[0:3], 0 offset:684
	buffer_load_dword v133, off, s[0:3], 0 offset:680
	;; [unrolled: 1-line block ×3, first 2 shown]
	ds_read_b128 v[93:96], v135 offset:1120
	s_waitcnt vmcnt(55) lgkmcnt(1)
	v_mul_f64 v[154:155], v[1:2], v[109:110]
	v_mul_f64 v[109:110], v[3:4], v[109:110]
	s_waitcnt vmcnt(54)
	v_fma_f64 v[166:167], v[89:90], v[175:176], -v[166:167]
	v_add_f64 v[97:98], v[97:98], v[160:161]
	v_fma_f64 v[160:161], v[91:92], v[175:176], v[162:163]
	v_add_f64 v[99:100], v[99:100], v[142:143]
	s_clause 0x1
	buffer_load_dword v143, off, s[0:3], 0 offset:676
	buffer_load_dword v142, off, s[0:3], 0 offset:672
	ds_read_b128 v[89:92], v135 offset:1136
	s_waitcnt vmcnt(55) lgkmcnt(1)
	v_mul_f64 v[162:163], v[93:94], v[146:147]
	v_mul_f64 v[146:147], v[95:96], v[146:147]
	s_waitcnt vmcnt(53)
	v_fma_f64 v[109:110], v[1:2], v[103:104], -v[109:110]
	v_fma_f64 v[103:104], v[3:4], v[103:104], v[154:155]
	ds_read_b128 v[1:4], v135 offset:1152
	v_add_f64 v[97:98], v[97:98], v[166:167]
	v_add_f64 v[99:100], v[99:100], v[160:161]
	s_waitcnt vmcnt(49) lgkmcnt(1)
	v_mul_f64 v[154:155], v[89:90], v[136:137]
	v_mul_f64 v[136:137], v[91:92], v[136:137]
	s_waitcnt vmcnt(48)
	v_fma_f64 v[146:147], v[93:94], v[171:172], -v[146:147]
	v_add_f64 v[97:98], v[97:98], v[109:110]
	v_fma_f64 v[109:110], v[95:96], v[171:172], v[162:163]
	v_add_f64 v[99:100], v[99:100], v[103:104]
	s_clause 0x3
	buffer_load_dword v103, off, s[0:3], 0 offset:128
	buffer_load_dword v104, off, s[0:3], 0 offset:132
	;; [unrolled: 1-line block ×4, first 2 shown]
	ds_read_b128 v[93:96], v135 offset:1168
	s_waitcnt vmcnt(51) lgkmcnt(1)
	v_mul_f64 v[162:163], v[1:2], v[138:139]
	v_mul_f64 v[138:139], v[3:4], v[138:139]
	s_waitcnt vmcnt(49)
	v_fma_f64 v[136:137], v[89:90], v[105:106], -v[136:137]
	v_fma_f64 v[105:106], v[91:92], v[105:106], v[154:155]
	ds_read_b128 v[89:92], v135 offset:1184
	v_add_f64 v[97:98], v[97:98], v[146:147]
	v_add_f64 v[99:100], v[99:100], v[109:110]
	s_waitcnt vmcnt(45) lgkmcnt(1)
	v_mul_f64 v[109:110], v[93:94], v[101:102]
	v_mul_f64 v[101:102], v[95:96], v[101:102]
	s_waitcnt vmcnt(44)
	v_fma_f64 v[138:139], v[1:2], v[148:149], -v[138:139]
	v_add_f64 v[97:98], v[97:98], v[136:137]
	v_fma_f64 v[136:137], v[3:4], v[148:149], v[162:163]
	v_add_f64 v[99:100], v[99:100], v[105:106]
	ds_read_b128 v[1:4], v135 offset:1200
	s_waitcnt vmcnt(43) lgkmcnt(1)
	v_mul_f64 v[105:106], v[89:90], v[121:122]
	v_mul_f64 v[121:122], v[91:92], v[121:122]
	s_waitcnt vmcnt(41)
	v_fma_f64 v[101:102], v[93:94], v[111:112], -v[101:102]
	v_fma_f64 v[109:110], v[95:96], v[111:112], v[109:110]
	ds_read_b128 v[93:96], v135 offset:1216
	v_add_f64 v[97:98], v[97:98], v[138:139]
	v_add_f64 v[99:100], v[99:100], v[136:137]
	s_waitcnt vmcnt(37) lgkmcnt(1)
	v_mul_f64 v[111:112], v[1:2], v[107:108]
	v_mul_f64 v[107:108], v[3:4], v[107:108]
	s_waitcnt vmcnt(36)
	v_fma_f64 v[121:122], v[89:90], v[140:141], -v[121:122]
	v_add_f64 v[97:98], v[97:98], v[101:102]
	v_fma_f64 v[101:102], v[91:92], v[140:141], v[105:106]
	v_add_f64 v[99:100], v[99:100], v[109:110]
	s_waitcnt vmcnt(35) lgkmcnt(0)
	v_mul_f64 v[109:110], v[95:96], v[127:128]
	ds_read_b128 v[89:92], v135 offset:1232
	v_mul_f64 v[105:106], v[93:94], v[127:128]
	s_waitcnt vmcnt(33)
	v_fma_f64 v[111:112], v[3:4], v[117:118], v[111:112]
	v_fma_f64 v[107:108], v[1:2], v[117:118], -v[107:108]
	ds_read_b128 v[1:4], v135 offset:1248
	v_add_f64 v[97:98], v[97:98], v[121:122]
	v_add_f64 v[99:100], v[99:100], v[101:102]
	s_waitcnt vmcnt(29) lgkmcnt(1)
	v_mul_f64 v[101:102], v[89:90], v[113:114]
	v_mul_f64 v[113:114], v[91:92], v[113:114]
	s_waitcnt vmcnt(28)
	v_fma_f64 v[109:110], v[93:94], v[129:130], -v[109:110]
	v_fma_f64 v[105:106], v[95:96], v[129:130], v[105:106]
	ds_read_b128 v[93:96], v135 offset:1264
	v_add_f64 v[97:98], v[97:98], v[107:108]
	v_add_f64 v[99:100], v[99:100], v[111:112]
	s_waitcnt vmcnt(27) lgkmcnt(1)
	v_mul_f64 v[111:112], v[3:4], v[150:151]
	v_mul_f64 v[107:108], v[1:2], v[150:151]
	s_waitcnt vmcnt(25)
	v_fma_f64 v[113:114], v[89:90], v[115:116], -v[113:114]
	v_fma_f64 v[101:102], v[91:92], v[115:116], v[101:102]
	ds_read_b128 v[89:92], v135 offset:1280
	v_add_f64 v[97:98], v[97:98], v[109:110]
	v_add_f64 v[99:100], v[99:100], v[105:106]
	s_waitcnt vmcnt(21) lgkmcnt(1)
	v_mul_f64 v[109:110], v[95:96], v[119:120]
	s_waitcnt vmcnt(20)
	v_fma_f64 v[111:112], v[1:2], v[152:153], -v[111:112]
	v_mul_f64 v[105:106], v[93:94], v[119:120]
	v_fma_f64 v[107:108], v[3:4], v[152:153], v[107:108]
	ds_read_b128 v[1:4], v135 offset:1296
	v_add_f64 v[97:98], v[97:98], v[113:114]
	v_add_f64 v[99:100], v[99:100], v[101:102]
	s_waitcnt vmcnt(19) lgkmcnt(1)
	v_mul_f64 v[113:114], v[91:92], v[156:157]
	v_mul_f64 v[101:102], v[89:90], v[156:157]
	s_waitcnt vmcnt(17)
	v_fma_f64 v[109:110], v[93:94], v[123:124], -v[109:110]
	v_fma_f64 v[105:106], v[95:96], v[123:124], v[105:106]
	ds_read_b128 v[93:96], v135 offset:1312
	v_add_f64 v[97:98], v[97:98], v[111:112]
	v_add_f64 v[99:100], v[99:100], v[107:108]
	s_waitcnt vmcnt(13) lgkmcnt(1)
	v_mul_f64 v[111:112], v[3:4], v[125:126]
	s_waitcnt vmcnt(12)
	v_fma_f64 v[113:114], v[89:90], v[158:159], -v[113:114]
	v_mul_f64 v[107:108], v[1:2], v[125:126]
	v_fma_f64 v[101:102], v[91:92], v[158:159], v[101:102]
	ds_read_b128 v[89:92], v135 offset:1328
	v_add_f64 v[97:98], v[97:98], v[109:110]
	v_add_f64 v[99:100], v[99:100], v[105:106]
	s_waitcnt vmcnt(11) lgkmcnt(1)
	v_mul_f64 v[109:110], v[95:96], v[164:165]
	v_mul_f64 v[105:106], v[93:94], v[164:165]
	s_waitcnt vmcnt(9)
	v_fma_f64 v[1:2], v[1:2], v[131:132], -v[111:112]
	v_fma_f64 v[3:4], v[3:4], v[131:132], v[107:108]
	v_add_f64 v[97:98], v[97:98], v[113:114]
	v_add_f64 v[99:100], v[99:100], v[101:102]
	s_waitcnt vmcnt(7) lgkmcnt(0)
	v_mul_f64 v[107:108], v[91:92], v[133:134]
	s_waitcnt vmcnt(6)
	v_fma_f64 v[93:94], v[93:94], v[168:169], -v[109:110]
	v_mul_f64 v[101:102], v[89:90], v[133:134]
	v_fma_f64 v[95:96], v[95:96], v[168:169], v[105:106]
	v_add_f64 v[1:2], v[97:98], v[1:2]
	v_add_f64 v[3:4], v[99:100], v[3:4]
	s_waitcnt vmcnt(4)
	v_fma_f64 v[89:90], v[89:90], v[142:143], -v[107:108]
	v_fma_f64 v[91:92], v[91:92], v[142:143], v[101:102]
	v_add_f64 v[1:2], v[1:2], v[93:94]
	v_add_f64 v[3:4], v[3:4], v[95:96]
	;; [unrolled: 1-line block ×4, first 2 shown]
	s_waitcnt vmcnt(2)
	v_add_f64 v[1:2], v[103:104], -v[1:2]
	s_waitcnt vmcnt(0)
	v_add_f64 v[3:4], v[160:161], -v[3:4]
	buffer_store_dword v2, off, s[0:3], 0 offset:132
	buffer_store_dword v1, off, s[0:3], 0 offset:128
	;; [unrolled: 1-line block ×4, first 2 shown]
	v_cmpx_lt_u32_e32 6, v0
	s_cbranch_execz .LBB105_253
; %bb.252:
	v_mov_b32_e32 v4, s48
	v_mov_b32_e32 v89, 0
	s_clause 0x3
	buffer_load_dword v1, v4, s[0:3], 0 offen
	buffer_load_dword v2, v4, s[0:3], 0 offen offset:4
	buffer_load_dword v3, v4, s[0:3], 0 offen offset:8
	;; [unrolled: 1-line block ×3, first 2 shown]
	buffer_store_dword v89, off, s[0:3], 0 offset:112
	buffer_store_dword v89, off, s[0:3], 0 offset:116
	;; [unrolled: 1-line block ×4, first 2 shown]
	s_waitcnt vmcnt(0)
	ds_write_b128 v145, v[1:4]
.LBB105_253:
	s_or_b32 exec_lo, exec_lo, s4
	s_waitcnt lgkmcnt(0)
	s_waitcnt_vscnt null, 0x0
	s_barrier
	buffer_gl0_inv
	s_clause 0x37
	buffer_load_dword v93, off, s[0:3], 0 offset:136
	buffer_load_dword v94, off, s[0:3], 0 offset:140
	;; [unrolled: 1-line block ×56, first 2 shown]
	v_mov_b32_e32 v146, 0
	s_mov_b32 s4, exec_lo
	ds_read_b128 v[147:150], v146 offset:784
	s_clause 0x2
	buffer_load_dword v142, off, s[0:3], 0 offset:364
	buffer_load_dword v144, off, s[0:3], 0 offset:340
	;; [unrolled: 1-line block ×3, first 2 shown]
	ds_read_b128 v[151:154], v146 offset:800
	s_clause 0x4
	buffer_load_dword v162, off, s[0:3], 0 offset:380
	buffer_load_dword v163, off, s[0:3], 0 offset:392
	;; [unrolled: 1-line block ×5, first 2 shown]
	ds_read_b128 v[155:158], v146 offset:816
	s_clause 0x2
	buffer_load_dword v164, off, s[0:3], 0 offset:396
	buffer_load_dword v169, off, s[0:3], 0 offset:372
	;; [unrolled: 1-line block ×3, first 2 shown]
	s_waitcnt vmcnt(62) lgkmcnt(2)
	v_mul_f64 v[159:160], v[149:150], v[93:94]
	v_mul_f64 v[93:94], v[147:148], v[93:94]
	s_waitcnt lgkmcnt(1)
	v_mul_f64 v[166:167], v[153:154], v[89:90]
	s_waitcnt vmcnt(59) lgkmcnt(0)
	v_mul_f64 v[170:171], v[157:158], v[3:4]
	v_fma_f64 v[147:148], v[147:148], v[91:92], -v[159:160]
	v_mul_f64 v[159:160], v[151:152], v[89:90]
	v_fma_f64 v[93:94], v[149:150], v[91:92], v[93:94]
	s_waitcnt vmcnt(57)
	v_fma_f64 v[151:152], v[151:152], v[1:2], -v[166:167]
	ds_read_b128 v[89:92], v146 offset:832
	v_mul_f64 v[149:150], v[155:156], v[3:4]
	s_waitcnt vmcnt(51)
	v_fma_f64 v[155:156], v[155:156], v[109:110], -v[170:171]
	v_add_f64 v[147:148], v[147:148], 0
	v_fma_f64 v[153:154], v[153:154], v[1:2], v[159:160]
	v_add_f64 v[93:94], v[93:94], 0
	s_clause 0x4
	buffer_load_dword v160, off, s[0:3], 0 offset:412
	buffer_load_dword v172, off, s[0:3], 0 offset:424
	;; [unrolled: 1-line block ×5, first 2 shown]
	s_waitcnt lgkmcnt(0)
	v_mul_f64 v[175:176], v[89:90], v[97:98]
	v_mul_f64 v[97:98], v[91:92], v[97:98]
	ds_read_b128 v[1:4], v146 offset:848
	v_fma_f64 v[109:110], v[157:158], v[109:110], v[149:150]
	v_add_f64 v[151:152], v[147:148], v[151:152]
	v_add_f64 v[93:94], v[93:94], v[153:154]
	s_clause 0x2
	buffer_load_dword v173, off, s[0:3], 0 offset:428
	buffer_load_dword v154, off, s[0:3], 0 offset:404
	;; [unrolled: 1-line block ×3, first 2 shown]
	s_waitcnt vmcnt(58) lgkmcnt(0)
	v_mul_f64 v[157:158], v[1:2], v[101:102]
	v_mul_f64 v[101:102], v[3:4], v[101:102]
	s_waitcnt vmcnt(56)
	v_fma_f64 v[97:98], v[89:90], v[103:104], -v[97:98]
	ds_read_b128 v[147:150], v146 offset:864
	v_fma_f64 v[103:104], v[91:92], v[103:104], v[175:176]
	v_add_f64 v[151:152], v[151:152], v[155:156]
	v_add_f64 v[93:94], v[93:94], v[109:110]
	s_clause 0x4
	buffer_load_dword v110, off, s[0:3], 0 offset:444
	buffer_load_dword v155, off, s[0:3], 0 offset:456
	;; [unrolled: 1-line block ×5, first 2 shown]
	ds_read_b128 v[89:92], v146 offset:880
	s_waitcnt vmcnt(57) lgkmcnt(1)
	v_mul_f64 v[176:177], v[147:148], v[105:106]
	v_mul_f64 v[105:106], v[149:150], v[105:106]
	s_waitcnt vmcnt(56)
	v_fma_f64 v[101:102], v[1:2], v[95:96], -v[101:102]
	v_fma_f64 v[95:96], v[3:4], v[95:96], v[157:158]
	v_add_f64 v[97:98], v[151:152], v[97:98]
	v_add_f64 v[93:94], v[93:94], v[103:104]
	s_clause 0x2
	buffer_load_dword v156, off, s[0:3], 0 offset:460
	buffer_load_dword v104, off, s[0:3], 0 offset:436
	;; [unrolled: 1-line block ×3, first 2 shown]
	s_waitcnt vmcnt(58) lgkmcnt(0)
	v_mul_f64 v[151:152], v[89:90], v[111:112]
	v_mul_f64 v[111:112], v[91:92], v[111:112]
	s_waitcnt vmcnt(56)
	v_fma_f64 v[105:106], v[147:148], v[113:114], -v[105:106]
	ds_read_b128 v[1:4], v146 offset:896
	v_add_f64 v[97:98], v[97:98], v[101:102]
	v_fma_f64 v[101:102], v[149:150], v[113:114], v[176:177]
	v_add_f64 v[113:114], v[93:94], v[95:96]
	s_clause 0x4
	buffer_load_dword v148, off, s[0:3], 0 offset:476
	buffer_load_dword v149, off, s[0:3], 0 offset:488
	;; [unrolled: 1-line block ×5, first 2 shown]
	ds_read_b128 v[93:96], v146 offset:912
	s_waitcnt vmcnt(57) lgkmcnt(1)
	v_mul_f64 v[176:177], v[1:2], v[115:116]
	v_mul_f64 v[115:116], v[3:4], v[115:116]
	s_waitcnt vmcnt(56)
	v_fma_f64 v[111:112], v[89:90], v[99:100], -v[111:112]
	v_fma_f64 v[99:100], v[91:92], v[99:100], v[151:152]
	v_add_f64 v[97:98], v[97:98], v[105:106]
	s_clause 0x2
	buffer_load_dword v150, off, s[0:3], 0 offset:492
	buffer_load_dword v106, off, s[0:3], 0 offset:468
	;; [unrolled: 1-line block ×3, first 2 shown]
	v_add_f64 v[101:102], v[113:114], v[101:102]
	s_waitcnt vmcnt(58) lgkmcnt(0)
	v_mul_f64 v[113:114], v[93:94], v[119:120]
	v_mul_f64 v[119:120], v[95:96], v[119:120]
	ds_read_b128 v[89:92], v146 offset:928
	s_waitcnt vmcnt(56)
	v_fma_f64 v[115:116], v[1:2], v[121:122], -v[115:116]
	v_add_f64 v[97:98], v[97:98], v[111:112]
	v_fma_f64 v[111:112], v[3:4], v[121:122], v[176:177]
	v_add_f64 v[99:100], v[101:102], v[99:100]
	s_clause 0x4
	buffer_load_dword v102, off, s[0:3], 0 offset:508
	buffer_load_dword v121, off, s[0:3], 0 offset:520
	;; [unrolled: 1-line block ×5, first 2 shown]
	s_waitcnt vmcnt(57) lgkmcnt(0)
	v_mul_f64 v[176:177], v[89:90], v[123:124]
	v_mul_f64 v[123:124], v[91:92], v[123:124]
	s_waitcnt vmcnt(56)
	v_fma_f64 v[119:120], v[93:94], v[107:108], -v[119:120]
	ds_read_b128 v[1:4], v146 offset:944
	v_fma_f64 v[107:108], v[95:96], v[107:108], v[113:114]
	v_add_f64 v[97:98], v[97:98], v[115:116]
	v_add_f64 v[99:100], v[99:100], v[111:112]
	s_clause 0x2
	buffer_load_dword v122, off, s[0:3], 0 offset:524
	buffer_load_dword v112, off, s[0:3], 0 offset:500
	;; [unrolled: 1-line block ×3, first 2 shown]
	ds_read_b128 v[93:96], v146 offset:960
	s_waitcnt vmcnt(58) lgkmcnt(1)
	v_mul_f64 v[115:116], v[3:4], v[127:128]
	s_waitcnt vmcnt(56)
	v_fma_f64 v[123:124], v[89:90], v[129:130], -v[123:124]
	v_mul_f64 v[113:114], v[1:2], v[127:128]
	v_add_f64 v[97:98], v[97:98], v[119:120]
	v_fma_f64 v[119:120], v[91:92], v[129:130], v[176:177]
	v_add_f64 v[99:100], v[99:100], v[107:108]
	s_clause 0x4
	buffer_load_dword v108, off, s[0:3], 0 offset:540
	buffer_load_dword v127, off, s[0:3], 0 offset:552
	;; [unrolled: 1-line block ×5, first 2 shown]
	s_waitcnt vmcnt(57) lgkmcnt(0)
	v_mul_f64 v[176:177], v[93:94], v[131:132]
	v_mul_f64 v[130:131], v[95:96], v[131:132]
	s_waitcnt vmcnt(56)
	v_fma_f64 v[115:116], v[1:2], v[117:118], -v[115:116]
	ds_read_b128 v[89:92], v146 offset:976
	v_fma_f64 v[113:114], v[3:4], v[117:118], v[113:114]
	s_clause 0x2
	buffer_load_dword v128, off, s[0:3], 0 offset:556
	buffer_load_dword v118, off, s[0:3], 0 offset:532
	;; [unrolled: 1-line block ×3, first 2 shown]
	ds_read_b128 v[1:4], v146 offset:992
	v_add_f64 v[97:98], v[97:98], v[123:124]
	v_add_f64 v[99:100], v[99:100], v[119:120]
	s_waitcnt vmcnt(58) lgkmcnt(1)
	v_mul_f64 v[123:124], v[91:92], v[135:136]
	s_waitcnt vmcnt(56)
	v_fma_f64 v[131:132], v[93:94], v[137:138], -v[130:131]
	v_mul_f64 v[119:120], v[89:90], v[135:136]
	v_add_f64 v[97:98], v[97:98], v[115:116]
	v_fma_f64 v[115:116], v[95:96], v[137:138], v[176:177]
	v_add_f64 v[99:100], v[99:100], v[113:114]
	s_clause 0x4
	buffer_load_dword v114, off, s[0:3], 0 offset:572
	buffer_load_dword v135, off, s[0:3], 0 offset:584
	;; [unrolled: 1-line block ×5, first 2 shown]
	s_waitcnt vmcnt(57) lgkmcnt(0)
	v_mul_f64 v[176:177], v[1:2], v[139:140]
	v_mul_f64 v[138:139], v[3:4], v[139:140]
	s_waitcnt vmcnt(56)
	v_fma_f64 v[123:124], v[89:90], v[125:126], -v[123:124]
	ds_read_b128 v[93:96], v146 offset:1008
	v_fma_f64 v[119:120], v[91:92], v[125:126], v[119:120]
	v_add_f64 v[97:98], v[97:98], v[131:132]
	v_add_f64 v[99:100], v[99:100], v[115:116]
	s_clause 0x2
	buffer_load_dword v136, off, s[0:3], 0 offset:588
	buffer_load_dword v116, off, s[0:3], 0 offset:564
	;; [unrolled: 1-line block ×3, first 2 shown]
	ds_read_b128 v[89:92], v146 offset:1024
	s_waitcnt vmcnt(58) lgkmcnt(1)
	v_mul_f64 v[131:132], v[95:96], v[141:142]
	s_waitcnt vmcnt(56)
	v_fma_f64 v[139:140], v[1:2], v[143:144], -v[138:139]
	v_mul_f64 v[125:126], v[93:94], v[141:142]
	v_add_f64 v[97:98], v[97:98], v[123:124]
	v_fma_f64 v[123:124], v[3:4], v[143:144], v[176:177]
	v_add_f64 v[99:100], v[99:100], v[119:120]
	s_clause 0x4
	buffer_load_dword v120, off, s[0:3], 0 offset:604
	buffer_load_dword v141, off, s[0:3], 0 offset:616
	;; [unrolled: 1-line block ×5, first 2 shown]
	s_waitcnt vmcnt(57) lgkmcnt(0)
	v_mul_f64 v[176:177], v[89:90], v[161:162]
	v_mul_f64 v[161:162], v[91:92], v[161:162]
	s_waitcnt vmcnt(56)
	v_fma_f64 v[131:132], v[93:94], v[133:134], -v[131:132]
	ds_read_b128 v[1:4], v146 offset:1040
	v_fma_f64 v[125:126], v[95:96], v[133:134], v[125:126]
	v_add_f64 v[97:98], v[97:98], v[139:140]
	v_add_f64 v[99:100], v[99:100], v[123:124]
	s_clause 0x2
	buffer_load_dword v142, off, s[0:3], 0 offset:620
	buffer_load_dword v124, off, s[0:3], 0 offset:596
	;; [unrolled: 1-line block ×3, first 2 shown]
	ds_read_b128 v[93:96], v146 offset:1056
	s_waitcnt vmcnt(58) lgkmcnt(1)
	v_mul_f64 v[139:140], v[3:4], v[163:164]
	s_waitcnt vmcnt(56)
	v_fma_f64 v[161:162], v[89:90], v[168:169], -v[161:162]
	v_mul_f64 v[133:134], v[1:2], v[163:164]
	v_add_f64 v[97:98], v[97:98], v[131:132]
	v_fma_f64 v[131:132], v[91:92], v[168:169], v[176:177]
	v_add_f64 v[99:100], v[99:100], v[125:126]
	s_clause 0x4
	buffer_load_dword v126, off, s[0:3], 0 offset:636
	buffer_load_dword v163, off, s[0:3], 0 offset:648
	;; [unrolled: 1-line block ×5, first 2 shown]
	ds_read_b128 v[89:92], v146 offset:1072
	s_waitcnt vmcnt(57) lgkmcnt(1)
	v_mul_f64 v[168:169], v[93:94], v[159:160]
	v_mul_f64 v[159:160], v[95:96], v[159:160]
	s_waitcnt vmcnt(56)
	v_fma_f64 v[139:140], v[1:2], v[165:166], -v[139:140]
	v_fma_f64 v[133:134], v[3:4], v[165:166], v[133:134]
	v_add_f64 v[97:98], v[97:98], v[161:162]
	v_add_f64 v[99:100], v[99:100], v[131:132]
	s_clause 0x2
	buffer_load_dword v164, off, s[0:3], 0 offset:652
	buffer_load_dword v132, off, s[0:3], 0 offset:628
	buffer_load_dword v131, off, s[0:3], 0 offset:624
	ds_read_b128 v[1:4], v146 offset:1088
	s_waitcnt vmcnt(58) lgkmcnt(1)
	v_mul_f64 v[165:166], v[91:92], v[172:173]
	v_mul_f64 v[161:162], v[89:90], v[172:173]
	s_waitcnt vmcnt(56)
	v_fma_f64 v[159:160], v[93:94], v[153:154], -v[159:160]
	v_add_f64 v[97:98], v[97:98], v[139:140]
	v_fma_f64 v[139:140], v[95:96], v[153:154], v[168:169]
	v_add_f64 v[99:100], v[99:100], v[133:134]
	s_clause 0x4
	buffer_load_dword v134, off, s[0:3], 0 offset:668
	buffer_load_dword v153, off, s[0:3], 0 offset:680
	;; [unrolled: 1-line block ×5, first 2 shown]
	ds_read_b128 v[93:96], v146 offset:1104
	s_waitcnt vmcnt(57) lgkmcnt(1)
	v_mul_f64 v[176:177], v[1:2], v[109:110]
	v_mul_f64 v[109:110], v[3:4], v[109:110]
	s_waitcnt vmcnt(56)
	v_fma_f64 v[165:166], v[89:90], v[174:175], -v[165:166]
	v_add_f64 v[97:98], v[97:98], v[159:160]
	v_fma_f64 v[159:160], v[91:92], v[174:175], v[161:162]
	v_add_f64 v[99:100], v[99:100], v[139:140]
	s_clause 0x2
	buffer_load_dword v154, off, s[0:3], 0 offset:684
	buffer_load_dword v140, off, s[0:3], 0 offset:660
	;; [unrolled: 1-line block ×3, first 2 shown]
	ds_read_b128 v[89:92], v146 offset:1120
	buffer_load_dword v173, off, s[0:3], 0 offset:676
	s_waitcnt vmcnt(59) lgkmcnt(1)
	v_mul_f64 v[161:162], v[93:94], v[155:156]
	v_mul_f64 v[155:156], v[95:96], v[155:156]
	s_waitcnt vmcnt(57)
	v_fma_f64 v[109:110], v[1:2], v[103:104], -v[109:110]
	v_fma_f64 v[103:104], v[3:4], v[103:104], v[176:177]
	ds_read_b128 v[1:4], v146 offset:1136
	v_add_f64 v[97:98], v[97:98], v[165:166]
	v_add_f64 v[99:100], v[99:100], v[159:160]
	s_waitcnt vmcnt(53) lgkmcnt(1)
	v_mul_f64 v[159:160], v[89:90], v[147:148]
	v_mul_f64 v[147:148], v[91:92], v[147:148]
	s_waitcnt vmcnt(52)
	v_fma_f64 v[155:156], v[93:94], v[170:171], -v[155:156]
	v_add_f64 v[97:98], v[97:98], v[109:110]
	v_fma_f64 v[109:110], v[95:96], v[170:171], v[161:162]
	v_add_f64 v[99:100], v[99:100], v[103:104]
	ds_read_b128 v[93:96], v146 offset:1152
	s_waitcnt vmcnt(51) lgkmcnt(1)
	v_mul_f64 v[103:104], v[1:2], v[149:150]
	v_mul_f64 v[149:150], v[3:4], v[149:150]
	s_waitcnt vmcnt(49)
	v_fma_f64 v[147:148], v[89:90], v[105:106], -v[147:148]
	v_fma_f64 v[105:106], v[91:92], v[105:106], v[159:160]
	v_add_f64 v[97:98], v[97:98], v[155:156]
	v_add_f64 v[99:100], v[99:100], v[109:110]
	s_clause 0x3
	buffer_load_dword v109, off, s[0:3], 0 offset:112
	buffer_load_dword v110, off, s[0:3], 0 offset:116
	;; [unrolled: 1-line block ×4, first 2 shown]
	ds_read_b128 v[89:92], v146 offset:1168
	s_waitcnt vmcnt(49) lgkmcnt(1)
	v_mul_f64 v[159:160], v[93:94], v[101:102]
	v_mul_f64 v[101:102], v[95:96], v[101:102]
	s_waitcnt vmcnt(48)
	v_fma_f64 v[149:150], v[1:2], v[157:158], -v[149:150]
	v_fma_f64 v[103:104], v[3:4], v[157:158], v[103:104]
	ds_read_b128 v[1:4], v146 offset:1184
	v_add_f64 v[97:98], v[97:98], v[147:148]
	v_add_f64 v[99:100], v[99:100], v[105:106]
	s_waitcnt vmcnt(47) lgkmcnt(1)
	v_mul_f64 v[105:106], v[89:90], v[121:122]
	v_mul_f64 v[121:122], v[91:92], v[121:122]
	s_waitcnt vmcnt(45)
	v_fma_f64 v[101:102], v[93:94], v[111:112], -v[101:102]
	v_fma_f64 v[111:112], v[95:96], v[111:112], v[159:160]
	ds_read_b128 v[93:96], v146 offset:1200
	v_add_f64 v[97:98], v[97:98], v[149:150]
	v_add_f64 v[99:100], v[99:100], v[103:104]
	s_waitcnt vmcnt(41) lgkmcnt(1)
	v_mul_f64 v[103:104], v[1:2], v[107:108]
	v_mul_f64 v[107:108], v[3:4], v[107:108]
	s_waitcnt vmcnt(40)
	v_fma_f64 v[121:122], v[89:90], v[151:152], -v[121:122]
	v_add_f64 v[97:98], v[97:98], v[101:102]
	v_fma_f64 v[101:102], v[91:92], v[151:152], v[105:106]
	v_add_f64 v[99:100], v[99:100], v[111:112]
	ds_read_b128 v[89:92], v146 offset:1216
	s_waitcnt vmcnt(39) lgkmcnt(1)
	v_mul_f64 v[111:112], v[95:96], v[127:128]
	v_mul_f64 v[105:106], v[93:94], v[127:128]
	s_waitcnt vmcnt(37)
	v_fma_f64 v[103:104], v[3:4], v[117:118], v[103:104]
	v_fma_f64 v[107:108], v[1:2], v[117:118], -v[107:108]
	ds_read_b128 v[1:4], v146 offset:1232
	v_add_f64 v[97:98], v[97:98], v[121:122]
	v_add_f64 v[99:100], v[99:100], v[101:102]
	s_waitcnt vmcnt(33) lgkmcnt(1)
	v_mul_f64 v[101:102], v[89:90], v[113:114]
	v_mul_f64 v[113:114], v[91:92], v[113:114]
	s_waitcnt vmcnt(32)
	v_fma_f64 v[111:112], v[93:94], v[129:130], -v[111:112]
	v_fma_f64 v[105:106], v[95:96], v[129:130], v[105:106]
	ds_read_b128 v[93:96], v146 offset:1248
	v_add_f64 v[97:98], v[97:98], v[107:108]
	v_add_f64 v[99:100], v[99:100], v[103:104]
	s_waitcnt vmcnt(31) lgkmcnt(1)
	v_mul_f64 v[107:108], v[3:4], v[135:136]
	v_mul_f64 v[103:104], v[1:2], v[135:136]
	s_waitcnt vmcnt(29)
	v_fma_f64 v[113:114], v[89:90], v[115:116], -v[113:114]
	v_fma_f64 v[101:102], v[91:92], v[115:116], v[101:102]
	ds_read_b128 v[89:92], v146 offset:1264
	v_add_f64 v[97:98], v[97:98], v[111:112]
	v_add_f64 v[99:100], v[99:100], v[105:106]
	s_waitcnt vmcnt(25) lgkmcnt(1)
	v_mul_f64 v[111:112], v[95:96], v[119:120]
	s_waitcnt vmcnt(24)
	v_fma_f64 v[107:108], v[1:2], v[137:138], -v[107:108]
	v_mul_f64 v[105:106], v[93:94], v[119:120]
	v_fma_f64 v[103:104], v[3:4], v[137:138], v[103:104]
	ds_read_b128 v[1:4], v146 offset:1280
	v_add_f64 v[97:98], v[97:98], v[113:114]
	v_add_f64 v[99:100], v[99:100], v[101:102]
	s_waitcnt vmcnt(23) lgkmcnt(1)
	v_mul_f64 v[113:114], v[91:92], v[141:142]
	v_mul_f64 v[101:102], v[89:90], v[141:142]
	s_waitcnt vmcnt(21)
	v_fma_f64 v[111:112], v[93:94], v[123:124], -v[111:112]
	v_fma_f64 v[105:106], v[95:96], v[123:124], v[105:106]
	ds_read_b128 v[93:96], v146 offset:1296
	v_add_f64 v[97:98], v[97:98], v[107:108]
	v_add_f64 v[99:100], v[99:100], v[103:104]
	s_waitcnt vmcnt(17) lgkmcnt(1)
	v_mul_f64 v[107:108], v[3:4], v[125:126]
	s_waitcnt vmcnt(16)
	v_fma_f64 v[113:114], v[89:90], v[143:144], -v[113:114]
	v_mul_f64 v[103:104], v[1:2], v[125:126]
	;; [unrolled: 18-line block ×3, first 2 shown]
	v_fma_f64 v[95:96], v[95:96], v[167:168], v[105:106]
	v_add_f64 v[97:98], v[97:98], v[107:108]
	v_add_f64 v[99:100], v[99:100], v[103:104]
	s_waitcnt vmcnt(7) lgkmcnt(0)
	v_mul_f64 v[105:106], v[3:4], v[153:154]
	v_mul_f64 v[103:104], v[1:2], v[153:154]
	s_waitcnt vmcnt(5)
	v_fma_f64 v[89:90], v[89:90], v[139:140], -v[113:114]
	v_fma_f64 v[91:92], v[91:92], v[139:140], v[101:102]
	v_add_f64 v[93:94], v[97:98], v[93:94]
	v_add_f64 v[95:96], v[99:100], v[95:96]
	s_waitcnt vmcnt(4)
	v_fma_f64 v[1:2], v[1:2], v[172:173], -v[105:106]
	v_fma_f64 v[3:4], v[3:4], v[172:173], v[103:104]
	v_add_f64 v[89:90], v[93:94], v[89:90]
	v_add_f64 v[91:92], v[95:96], v[91:92]
	;; [unrolled: 1-line block ×4, first 2 shown]
	s_waitcnt vmcnt(2)
	v_add_f64 v[1:2], v[109:110], -v[1:2]
	s_waitcnt vmcnt(0)
	v_add_f64 v[3:4], v[155:156], -v[3:4]
	buffer_store_dword v2, off, s[0:3], 0 offset:116
	buffer_store_dword v1, off, s[0:3], 0 offset:112
	;; [unrolled: 1-line block ×4, first 2 shown]
	v_cmpx_lt_u32_e32 5, v0
	s_cbranch_execz .LBB105_255
; %bb.254:
	v_mov_b32_e32 v4, s49
	s_clause 0x3
	buffer_load_dword v1, v4, s[0:3], 0 offen
	buffer_load_dword v2, v4, s[0:3], 0 offen offset:4
	buffer_load_dword v3, v4, s[0:3], 0 offen offset:8
	;; [unrolled: 1-line block ×3, first 2 shown]
	buffer_store_dword v146, off, s[0:3], 0 offset:96
	buffer_store_dword v146, off, s[0:3], 0 offset:100
	;; [unrolled: 1-line block ×4, first 2 shown]
	s_waitcnt vmcnt(0)
	ds_write_b128 v145, v[1:4]
.LBB105_255:
	s_or_b32 exec_lo, exec_lo, s4
	s_waitcnt lgkmcnt(0)
	s_waitcnt_vscnt null, 0x0
	s_barrier
	buffer_gl0_inv
	s_clause 0x37
	buffer_load_dword v93, off, s[0:3], 0 offset:120
	buffer_load_dword v94, off, s[0:3], 0 offset:124
	;; [unrolled: 1-line block ×56, first 2 shown]
	ds_read_b128 v[147:150], v146 offset:768
	s_clause 0x2
	buffer_load_dword v142, off, s[0:3], 0 offset:348
	buffer_load_dword v144, off, s[0:3], 0 offset:324
	buffer_load_dword v143, off, s[0:3], 0 offset:320
	ds_read_b128 v[151:154], v146 offset:784
	s_clause 0x4
	buffer_load_dword v162, off, s[0:3], 0 offset:364
	buffer_load_dword v163, off, s[0:3], 0 offset:376
	buffer_load_dword v165, off, s[0:3], 0 offset:368
	buffer_load_dword v161, off, s[0:3], 0 offset:360
	buffer_load_dword v134, off, s[0:3], 0 offset:340
	ds_read_b128 v[155:158], v146 offset:800
	s_clause 0x2
	buffer_load_dword v164, off, s[0:3], 0 offset:380
	buffer_load_dword v169, off, s[0:3], 0 offset:356
	;; [unrolled: 1-line block ×3, first 2 shown]
	s_mov_b32 s4, exec_lo
	s_waitcnt vmcnt(62) lgkmcnt(2)
	v_mul_f64 v[159:160], v[149:150], v[93:94]
	v_mul_f64 v[93:94], v[147:148], v[93:94]
	s_waitcnt lgkmcnt(1)
	v_mul_f64 v[166:167], v[153:154], v[89:90]
	s_waitcnt vmcnt(59) lgkmcnt(0)
	v_mul_f64 v[170:171], v[157:158], v[3:4]
	v_fma_f64 v[147:148], v[147:148], v[91:92], -v[159:160]
	v_mul_f64 v[159:160], v[151:152], v[89:90]
	v_fma_f64 v[93:94], v[149:150], v[91:92], v[93:94]
	s_waitcnt vmcnt(57)
	v_fma_f64 v[151:152], v[151:152], v[1:2], -v[166:167]
	ds_read_b128 v[89:92], v146 offset:816
	v_mul_f64 v[149:150], v[155:156], v[3:4]
	s_waitcnt vmcnt(51)
	v_fma_f64 v[155:156], v[155:156], v[109:110], -v[170:171]
	v_add_f64 v[147:148], v[147:148], 0
	v_fma_f64 v[153:154], v[153:154], v[1:2], v[159:160]
	v_add_f64 v[93:94], v[93:94], 0
	s_clause 0x4
	buffer_load_dword v160, off, s[0:3], 0 offset:396
	buffer_load_dword v172, off, s[0:3], 0 offset:408
	;; [unrolled: 1-line block ×5, first 2 shown]
	s_waitcnt lgkmcnt(0)
	v_mul_f64 v[175:176], v[89:90], v[97:98]
	v_mul_f64 v[97:98], v[91:92], v[97:98]
	ds_read_b128 v[1:4], v146 offset:832
	v_fma_f64 v[109:110], v[157:158], v[109:110], v[149:150]
	v_add_f64 v[151:152], v[147:148], v[151:152]
	v_add_f64 v[93:94], v[93:94], v[153:154]
	s_clause 0x2
	buffer_load_dword v173, off, s[0:3], 0 offset:412
	buffer_load_dword v154, off, s[0:3], 0 offset:388
	;; [unrolled: 1-line block ×3, first 2 shown]
	s_waitcnt vmcnt(58) lgkmcnt(0)
	v_mul_f64 v[157:158], v[1:2], v[101:102]
	v_mul_f64 v[101:102], v[3:4], v[101:102]
	s_waitcnt vmcnt(56)
	v_fma_f64 v[97:98], v[89:90], v[103:104], -v[97:98]
	ds_read_b128 v[147:150], v146 offset:848
	v_fma_f64 v[103:104], v[91:92], v[103:104], v[175:176]
	v_add_f64 v[151:152], v[151:152], v[155:156]
	v_add_f64 v[93:94], v[93:94], v[109:110]
	s_clause 0x4
	buffer_load_dword v110, off, s[0:3], 0 offset:428
	buffer_load_dword v155, off, s[0:3], 0 offset:440
	;; [unrolled: 1-line block ×5, first 2 shown]
	ds_read_b128 v[89:92], v146 offset:864
	s_waitcnt vmcnt(57) lgkmcnt(1)
	v_mul_f64 v[176:177], v[147:148], v[105:106]
	v_mul_f64 v[105:106], v[149:150], v[105:106]
	s_waitcnt vmcnt(56)
	v_fma_f64 v[101:102], v[1:2], v[95:96], -v[101:102]
	v_fma_f64 v[95:96], v[3:4], v[95:96], v[157:158]
	v_add_f64 v[97:98], v[151:152], v[97:98]
	v_add_f64 v[93:94], v[93:94], v[103:104]
	s_clause 0x2
	buffer_load_dword v156, off, s[0:3], 0 offset:444
	buffer_load_dword v104, off, s[0:3], 0 offset:420
	;; [unrolled: 1-line block ×3, first 2 shown]
	s_waitcnt vmcnt(58) lgkmcnt(0)
	v_mul_f64 v[151:152], v[89:90], v[111:112]
	v_mul_f64 v[111:112], v[91:92], v[111:112]
	s_waitcnt vmcnt(56)
	v_fma_f64 v[105:106], v[147:148], v[113:114], -v[105:106]
	ds_read_b128 v[1:4], v146 offset:880
	v_add_f64 v[97:98], v[97:98], v[101:102]
	v_fma_f64 v[101:102], v[149:150], v[113:114], v[176:177]
	v_add_f64 v[113:114], v[93:94], v[95:96]
	s_clause 0x4
	buffer_load_dword v148, off, s[0:3], 0 offset:460
	buffer_load_dword v149, off, s[0:3], 0 offset:472
	;; [unrolled: 1-line block ×5, first 2 shown]
	ds_read_b128 v[93:96], v146 offset:896
	s_waitcnt vmcnt(57) lgkmcnt(1)
	v_mul_f64 v[176:177], v[1:2], v[115:116]
	v_mul_f64 v[115:116], v[3:4], v[115:116]
	s_waitcnt vmcnt(56)
	v_fma_f64 v[111:112], v[89:90], v[99:100], -v[111:112]
	v_fma_f64 v[99:100], v[91:92], v[99:100], v[151:152]
	v_add_f64 v[97:98], v[97:98], v[105:106]
	s_clause 0x2
	buffer_load_dword v150, off, s[0:3], 0 offset:476
	buffer_load_dword v106, off, s[0:3], 0 offset:452
	;; [unrolled: 1-line block ×3, first 2 shown]
	v_add_f64 v[101:102], v[113:114], v[101:102]
	s_waitcnt vmcnt(58) lgkmcnt(0)
	v_mul_f64 v[113:114], v[93:94], v[119:120]
	v_mul_f64 v[119:120], v[95:96], v[119:120]
	ds_read_b128 v[89:92], v146 offset:912
	s_waitcnt vmcnt(56)
	v_fma_f64 v[115:116], v[1:2], v[121:122], -v[115:116]
	v_add_f64 v[97:98], v[97:98], v[111:112]
	v_fma_f64 v[111:112], v[3:4], v[121:122], v[176:177]
	v_add_f64 v[99:100], v[101:102], v[99:100]
	s_clause 0x4
	buffer_load_dword v102, off, s[0:3], 0 offset:492
	buffer_load_dword v121, off, s[0:3], 0 offset:504
	;; [unrolled: 1-line block ×5, first 2 shown]
	s_waitcnt vmcnt(57) lgkmcnt(0)
	v_mul_f64 v[176:177], v[89:90], v[123:124]
	v_mul_f64 v[123:124], v[91:92], v[123:124]
	s_waitcnt vmcnt(56)
	v_fma_f64 v[119:120], v[93:94], v[107:108], -v[119:120]
	ds_read_b128 v[1:4], v146 offset:928
	v_fma_f64 v[107:108], v[95:96], v[107:108], v[113:114]
	v_add_f64 v[97:98], v[97:98], v[115:116]
	v_add_f64 v[99:100], v[99:100], v[111:112]
	s_clause 0x2
	buffer_load_dword v122, off, s[0:3], 0 offset:508
	buffer_load_dword v112, off, s[0:3], 0 offset:484
	;; [unrolled: 1-line block ×3, first 2 shown]
	ds_read_b128 v[93:96], v146 offset:944
	s_waitcnt vmcnt(58) lgkmcnt(1)
	v_mul_f64 v[115:116], v[3:4], v[127:128]
	s_waitcnt vmcnt(56)
	v_fma_f64 v[123:124], v[89:90], v[129:130], -v[123:124]
	v_mul_f64 v[113:114], v[1:2], v[127:128]
	v_add_f64 v[97:98], v[97:98], v[119:120]
	v_fma_f64 v[119:120], v[91:92], v[129:130], v[176:177]
	v_add_f64 v[99:100], v[99:100], v[107:108]
	s_clause 0x4
	buffer_load_dword v108, off, s[0:3], 0 offset:524
	buffer_load_dword v127, off, s[0:3], 0 offset:536
	;; [unrolled: 1-line block ×5, first 2 shown]
	s_waitcnt vmcnt(57) lgkmcnt(0)
	v_mul_f64 v[176:177], v[93:94], v[131:132]
	v_mul_f64 v[130:131], v[95:96], v[131:132]
	s_waitcnt vmcnt(56)
	v_fma_f64 v[115:116], v[1:2], v[117:118], -v[115:116]
	ds_read_b128 v[89:92], v146 offset:960
	v_fma_f64 v[113:114], v[3:4], v[117:118], v[113:114]
	s_clause 0x2
	buffer_load_dword v128, off, s[0:3], 0 offset:540
	buffer_load_dword v118, off, s[0:3], 0 offset:516
	;; [unrolled: 1-line block ×3, first 2 shown]
	ds_read_b128 v[1:4], v146 offset:976
	v_add_f64 v[97:98], v[97:98], v[123:124]
	v_add_f64 v[99:100], v[99:100], v[119:120]
	s_waitcnt vmcnt(58) lgkmcnt(1)
	v_mul_f64 v[123:124], v[91:92], v[135:136]
	s_waitcnt vmcnt(56)
	v_fma_f64 v[131:132], v[93:94], v[137:138], -v[130:131]
	v_mul_f64 v[119:120], v[89:90], v[135:136]
	v_add_f64 v[97:98], v[97:98], v[115:116]
	v_fma_f64 v[115:116], v[95:96], v[137:138], v[176:177]
	v_add_f64 v[99:100], v[99:100], v[113:114]
	s_clause 0x4
	buffer_load_dword v114, off, s[0:3], 0 offset:556
	buffer_load_dword v135, off, s[0:3], 0 offset:568
	;; [unrolled: 1-line block ×5, first 2 shown]
	s_waitcnt vmcnt(57) lgkmcnt(0)
	v_mul_f64 v[176:177], v[1:2], v[139:140]
	v_mul_f64 v[138:139], v[3:4], v[139:140]
	s_waitcnt vmcnt(56)
	v_fma_f64 v[123:124], v[89:90], v[125:126], -v[123:124]
	ds_read_b128 v[93:96], v146 offset:992
	v_fma_f64 v[119:120], v[91:92], v[125:126], v[119:120]
	v_add_f64 v[97:98], v[97:98], v[131:132]
	v_add_f64 v[99:100], v[99:100], v[115:116]
	s_clause 0x2
	buffer_load_dword v136, off, s[0:3], 0 offset:572
	buffer_load_dword v116, off, s[0:3], 0 offset:548
	;; [unrolled: 1-line block ×3, first 2 shown]
	ds_read_b128 v[89:92], v146 offset:1008
	s_waitcnt vmcnt(58) lgkmcnt(1)
	v_mul_f64 v[131:132], v[95:96], v[141:142]
	s_waitcnt vmcnt(56)
	v_fma_f64 v[139:140], v[1:2], v[143:144], -v[138:139]
	v_mul_f64 v[125:126], v[93:94], v[141:142]
	v_add_f64 v[97:98], v[97:98], v[123:124]
	v_fma_f64 v[123:124], v[3:4], v[143:144], v[176:177]
	v_add_f64 v[99:100], v[99:100], v[119:120]
	s_clause 0x4
	buffer_load_dword v120, off, s[0:3], 0 offset:588
	buffer_load_dword v141, off, s[0:3], 0 offset:600
	buffer_load_dword v143, off, s[0:3], 0 offset:592
	buffer_load_dword v119, off, s[0:3], 0 offset:584
	buffer_load_dword v138, off, s[0:3], 0 offset:564
	s_waitcnt vmcnt(57) lgkmcnt(0)
	v_mul_f64 v[176:177], v[89:90], v[161:162]
	v_mul_f64 v[161:162], v[91:92], v[161:162]
	s_waitcnt vmcnt(56)
	v_fma_f64 v[131:132], v[93:94], v[133:134], -v[131:132]
	ds_read_b128 v[1:4], v146 offset:1024
	v_fma_f64 v[125:126], v[95:96], v[133:134], v[125:126]
	v_add_f64 v[97:98], v[97:98], v[139:140]
	v_add_f64 v[99:100], v[99:100], v[123:124]
	s_clause 0x2
	buffer_load_dword v142, off, s[0:3], 0 offset:604
	buffer_load_dword v124, off, s[0:3], 0 offset:580
	;; [unrolled: 1-line block ×3, first 2 shown]
	ds_read_b128 v[93:96], v146 offset:1040
	s_waitcnt vmcnt(58) lgkmcnt(1)
	v_mul_f64 v[139:140], v[3:4], v[163:164]
	s_waitcnt vmcnt(56)
	v_fma_f64 v[161:162], v[89:90], v[168:169], -v[161:162]
	v_mul_f64 v[133:134], v[1:2], v[163:164]
	v_add_f64 v[97:98], v[97:98], v[131:132]
	v_fma_f64 v[131:132], v[91:92], v[168:169], v[176:177]
	v_add_f64 v[99:100], v[99:100], v[125:126]
	s_clause 0x4
	buffer_load_dword v126, off, s[0:3], 0 offset:620
	buffer_load_dword v163, off, s[0:3], 0 offset:632
	;; [unrolled: 1-line block ×5, first 2 shown]
	ds_read_b128 v[89:92], v146 offset:1056
	s_waitcnt vmcnt(57) lgkmcnt(1)
	v_mul_f64 v[168:169], v[93:94], v[159:160]
	v_mul_f64 v[159:160], v[95:96], v[159:160]
	s_waitcnt vmcnt(56)
	v_fma_f64 v[139:140], v[1:2], v[165:166], -v[139:140]
	v_fma_f64 v[133:134], v[3:4], v[165:166], v[133:134]
	v_add_f64 v[97:98], v[97:98], v[161:162]
	v_add_f64 v[99:100], v[99:100], v[131:132]
	s_clause 0x2
	buffer_load_dword v164, off, s[0:3], 0 offset:636
	buffer_load_dword v132, off, s[0:3], 0 offset:612
	;; [unrolled: 1-line block ×3, first 2 shown]
	ds_read_b128 v[1:4], v146 offset:1072
	s_waitcnt vmcnt(58) lgkmcnt(1)
	v_mul_f64 v[165:166], v[91:92], v[172:173]
	v_mul_f64 v[161:162], v[89:90], v[172:173]
	s_waitcnt vmcnt(56)
	v_fma_f64 v[159:160], v[93:94], v[153:154], -v[159:160]
	v_add_f64 v[97:98], v[97:98], v[139:140]
	v_fma_f64 v[139:140], v[95:96], v[153:154], v[168:169]
	v_add_f64 v[99:100], v[99:100], v[133:134]
	s_clause 0x4
	buffer_load_dword v134, off, s[0:3], 0 offset:652
	buffer_load_dword v153, off, s[0:3], 0 offset:664
	;; [unrolled: 1-line block ×5, first 2 shown]
	ds_read_b128 v[93:96], v146 offset:1088
	s_waitcnt vmcnt(57) lgkmcnt(1)
	v_mul_f64 v[176:177], v[1:2], v[109:110]
	v_mul_f64 v[109:110], v[3:4], v[109:110]
	s_waitcnt vmcnt(56)
	v_fma_f64 v[165:166], v[89:90], v[174:175], -v[165:166]
	v_add_f64 v[97:98], v[97:98], v[159:160]
	v_fma_f64 v[159:160], v[91:92], v[174:175], v[161:162]
	v_add_f64 v[99:100], v[99:100], v[139:140]
	s_clause 0x2
	buffer_load_dword v154, off, s[0:3], 0 offset:668
	buffer_load_dword v140, off, s[0:3], 0 offset:644
	buffer_load_dword v139, off, s[0:3], 0 offset:640
	ds_read_b128 v[89:92], v146 offset:1104
	s_waitcnt vmcnt(58) lgkmcnt(1)
	v_mul_f64 v[161:162], v[93:94], v[155:156]
	v_mul_f64 v[155:156], v[95:96], v[155:156]
	s_waitcnt vmcnt(56)
	v_fma_f64 v[109:110], v[1:2], v[103:104], -v[109:110]
	v_fma_f64 v[103:104], v[3:4], v[103:104], v[176:177]
	v_add_f64 v[97:98], v[97:98], v[165:166]
	v_add_f64 v[99:100], v[99:100], v[159:160]
	s_clause 0x2
	buffer_load_dword v160, off, s[0:3], 0 offset:684
	buffer_load_dword v159, off, s[0:3], 0 offset:680
	;; [unrolled: 1-line block ×3, first 2 shown]
	ds_read_b128 v[1:4], v146 offset:1120
	s_waitcnt vmcnt(55) lgkmcnt(1)
	v_mul_f64 v[165:166], v[89:90], v[147:148]
	v_mul_f64 v[147:148], v[91:92], v[147:148]
	s_waitcnt vmcnt(54)
	v_fma_f64 v[155:156], v[93:94], v[170:171], -v[155:156]
	v_add_f64 v[97:98], v[97:98], v[109:110]
	v_fma_f64 v[109:110], v[95:96], v[170:171], v[161:162]
	v_add_f64 v[99:100], v[99:100], v[103:104]
	s_clause 0x1
	buffer_load_dword v104, off, s[0:3], 0 offset:676
	buffer_load_dword v103, off, s[0:3], 0 offset:672
	ds_read_b128 v[93:96], v146 offset:1136
	s_waitcnt vmcnt(55) lgkmcnt(1)
	v_mul_f64 v[161:162], v[1:2], v[149:150]
	v_mul_f64 v[149:150], v[3:4], v[149:150]
	s_waitcnt vmcnt(53)
	v_fma_f64 v[147:148], v[89:90], v[105:106], -v[147:148]
	v_fma_f64 v[105:106], v[91:92], v[105:106], v[165:166]
	ds_read_b128 v[89:92], v146 offset:1152
	v_add_f64 v[97:98], v[97:98], v[155:156]
	v_add_f64 v[99:100], v[99:100], v[109:110]
	s_waitcnt vmcnt(49) lgkmcnt(1)
	v_mul_f64 v[109:110], v[93:94], v[101:102]
	v_mul_f64 v[101:102], v[95:96], v[101:102]
	s_waitcnt vmcnt(48)
	v_fma_f64 v[149:150], v[1:2], v[157:158], -v[149:150]
	v_add_f64 v[97:98], v[97:98], v[147:148]
	v_fma_f64 v[147:148], v[3:4], v[157:158], v[161:162]
	v_add_f64 v[99:100], v[99:100], v[105:106]
	s_clause 0x3
	buffer_load_dword v105, off, s[0:3], 0 offset:96
	buffer_load_dword v106, off, s[0:3], 0 offset:100
	;; [unrolled: 1-line block ×4, first 2 shown]
	ds_read_b128 v[1:4], v146 offset:1168
	s_waitcnt vmcnt(51) lgkmcnt(1)
	v_mul_f64 v[157:158], v[89:90], v[121:122]
	v_mul_f64 v[121:122], v[91:92], v[121:122]
	s_waitcnt vmcnt(49)
	v_fma_f64 v[101:102], v[93:94], v[111:112], -v[101:102]
	v_fma_f64 v[109:110], v[95:96], v[111:112], v[109:110]
	ds_read_b128 v[93:96], v146 offset:1184
	v_add_f64 v[97:98], v[97:98], v[149:150]
	v_add_f64 v[99:100], v[99:100], v[147:148]
	s_waitcnt vmcnt(45) lgkmcnt(1)
	v_mul_f64 v[111:112], v[1:2], v[107:108]
	v_mul_f64 v[107:108], v[3:4], v[107:108]
	s_waitcnt vmcnt(44)
	v_fma_f64 v[121:122], v[89:90], v[151:152], -v[121:122]
	v_add_f64 v[97:98], v[97:98], v[101:102]
	v_fma_f64 v[101:102], v[91:92], v[151:152], v[157:158]
	v_add_f64 v[99:100], v[99:100], v[109:110]
	s_waitcnt vmcnt(43) lgkmcnt(0)
	v_mul_f64 v[109:110], v[93:94], v[127:128]
	v_mul_f64 v[127:128], v[95:96], v[127:128]
	ds_read_b128 v[89:92], v146 offset:1200
	s_waitcnt vmcnt(41)
	v_fma_f64 v[111:112], v[3:4], v[117:118], v[111:112]
	v_fma_f64 v[107:108], v[1:2], v[117:118], -v[107:108]
	ds_read_b128 v[1:4], v146 offset:1216
	v_add_f64 v[97:98], v[97:98], v[121:122]
	v_add_f64 v[99:100], v[99:100], v[101:102]
	s_waitcnt vmcnt(37) lgkmcnt(1)
	v_mul_f64 v[101:102], v[89:90], v[113:114]
	v_mul_f64 v[113:114], v[91:92], v[113:114]
	s_waitcnt vmcnt(36)
	v_fma_f64 v[117:118], v[93:94], v[129:130], -v[127:128]
	v_add_f64 v[97:98], v[97:98], v[107:108]
	v_fma_f64 v[107:108], v[95:96], v[129:130], v[109:110]
	v_add_f64 v[99:100], v[99:100], v[111:112]
	ds_read_b128 v[93:96], v146 offset:1232
	s_waitcnt vmcnt(35) lgkmcnt(1)
	v_mul_f64 v[111:112], v[3:4], v[135:136]
	v_mul_f64 v[109:110], v[1:2], v[135:136]
	s_waitcnt vmcnt(33)
	v_fma_f64 v[113:114], v[89:90], v[115:116], -v[113:114]
	v_fma_f64 v[101:102], v[91:92], v[115:116], v[101:102]
	ds_read_b128 v[89:92], v146 offset:1248
	v_add_f64 v[97:98], v[97:98], v[117:118]
	v_add_f64 v[99:100], v[99:100], v[107:108]
	s_waitcnt vmcnt(29) lgkmcnt(1)
	v_mul_f64 v[115:116], v[95:96], v[119:120]
	s_waitcnt vmcnt(28)
	v_fma_f64 v[111:112], v[1:2], v[137:138], -v[111:112]
	v_mul_f64 v[107:108], v[93:94], v[119:120]
	v_fma_f64 v[109:110], v[3:4], v[137:138], v[109:110]
	ds_read_b128 v[1:4], v146 offset:1264
	v_add_f64 v[97:98], v[97:98], v[113:114]
	v_add_f64 v[99:100], v[99:100], v[101:102]
	s_waitcnt vmcnt(27) lgkmcnt(1)
	v_mul_f64 v[113:114], v[91:92], v[141:142]
	v_mul_f64 v[101:102], v[89:90], v[141:142]
	s_waitcnt vmcnt(25)
	v_fma_f64 v[115:116], v[93:94], v[123:124], -v[115:116]
	v_fma_f64 v[107:108], v[95:96], v[123:124], v[107:108]
	ds_read_b128 v[93:96], v146 offset:1280
	v_add_f64 v[97:98], v[97:98], v[111:112]
	v_add_f64 v[99:100], v[99:100], v[109:110]
	s_waitcnt vmcnt(21) lgkmcnt(1)
	v_mul_f64 v[111:112], v[3:4], v[125:126]
	s_waitcnt vmcnt(20)
	v_fma_f64 v[113:114], v[89:90], v[143:144], -v[113:114]
	v_mul_f64 v[109:110], v[1:2], v[125:126]
	v_fma_f64 v[101:102], v[91:92], v[143:144], v[101:102]
	ds_read_b128 v[89:92], v146 offset:1296
	v_add_f64 v[97:98], v[97:98], v[115:116]
	v_add_f64 v[99:100], v[99:100], v[107:108]
	;; [unrolled: 18-line block ×3, first 2 shown]
	s_waitcnt vmcnt(11) lgkmcnt(1)
	v_mul_f64 v[111:112], v[3:4], v[153:154]
	v_mul_f64 v[109:110], v[1:2], v[153:154]
	s_waitcnt vmcnt(9)
	v_fma_f64 v[89:90], v[89:90], v[139:140], -v[113:114]
	v_fma_f64 v[91:92], v[91:92], v[139:140], v[101:102]
	v_add_f64 v[97:98], v[97:98], v[115:116]
	v_add_f64 v[99:100], v[99:100], v[107:108]
	s_waitcnt vmcnt(7) lgkmcnt(0)
	v_mul_f64 v[107:108], v[95:96], v[159:160]
	s_waitcnt vmcnt(6)
	v_fma_f64 v[1:2], v[1:2], v[172:173], -v[111:112]
	v_mul_f64 v[101:102], v[93:94], v[159:160]
	v_fma_f64 v[3:4], v[3:4], v[172:173], v[109:110]
	v_add_f64 v[89:90], v[97:98], v[89:90]
	v_add_f64 v[91:92], v[99:100], v[91:92]
	s_waitcnt vmcnt(4)
	v_fma_f64 v[93:94], v[93:94], v[103:104], -v[107:108]
	v_add_f64 v[1:2], v[89:90], v[1:2]
	v_fma_f64 v[89:90], v[95:96], v[103:104], v[101:102]
	v_add_f64 v[3:4], v[91:92], v[3:4]
	v_add_f64 v[1:2], v[1:2], v[93:94]
	;; [unrolled: 1-line block ×3, first 2 shown]
	s_waitcnt vmcnt(2)
	v_add_f64 v[1:2], v[105:106], -v[1:2]
	s_waitcnt vmcnt(0)
	v_add_f64 v[3:4], v[155:156], -v[3:4]
	buffer_store_dword v2, off, s[0:3], 0 offset:100
	buffer_store_dword v1, off, s[0:3], 0 offset:96
	buffer_store_dword v4, off, s[0:3], 0 offset:108
	buffer_store_dword v3, off, s[0:3], 0 offset:104
	v_cmpx_lt_u32_e32 4, v0
	s_cbranch_execz .LBB105_257
; %bb.256:
	v_mov_b32_e32 v4, s50
	v_mov_b32_e32 v89, 0
	s_clause 0x3
	buffer_load_dword v1, v4, s[0:3], 0 offen
	buffer_load_dword v2, v4, s[0:3], 0 offen offset:4
	buffer_load_dword v3, v4, s[0:3], 0 offen offset:8
	buffer_load_dword v4, v4, s[0:3], 0 offen offset:12
	buffer_store_dword v89, off, s[0:3], 0 offset:80
	buffer_store_dword v89, off, s[0:3], 0 offset:84
	;; [unrolled: 1-line block ×4, first 2 shown]
	s_waitcnt vmcnt(0)
	ds_write_b128 v145, v[1:4]
.LBB105_257:
	s_or_b32 exec_lo, exec_lo, s4
	s_waitcnt lgkmcnt(0)
	s_waitcnt_vscnt null, 0x0
	s_barrier
	buffer_gl0_inv
	s_clause 0x37
	buffer_load_dword v93, off, s[0:3], 0 offset:104
	buffer_load_dword v94, off, s[0:3], 0 offset:108
	;; [unrolled: 1-line block ×56, first 2 shown]
	v_mov_b32_e32 v146, 0
	s_mov_b32 s4, exec_lo
	ds_read_b128 v[147:150], v146 offset:752
	s_clause 0x2
	buffer_load_dword v142, off, s[0:3], 0 offset:332
	buffer_load_dword v144, off, s[0:3], 0 offset:308
	;; [unrolled: 1-line block ×3, first 2 shown]
	ds_read_b128 v[151:154], v146 offset:768
	s_clause 0x4
	buffer_load_dword v162, off, s[0:3], 0 offset:348
	buffer_load_dword v163, off, s[0:3], 0 offset:360
	;; [unrolled: 1-line block ×5, first 2 shown]
	ds_read_b128 v[155:158], v146 offset:784
	s_clause 0x2
	buffer_load_dword v164, off, s[0:3], 0 offset:364
	buffer_load_dword v169, off, s[0:3], 0 offset:340
	;; [unrolled: 1-line block ×3, first 2 shown]
	s_waitcnt vmcnt(62) lgkmcnt(2)
	v_mul_f64 v[159:160], v[149:150], v[93:94]
	v_mul_f64 v[93:94], v[147:148], v[93:94]
	s_waitcnt lgkmcnt(1)
	v_mul_f64 v[166:167], v[153:154], v[89:90]
	s_waitcnt vmcnt(59) lgkmcnt(0)
	v_mul_f64 v[170:171], v[157:158], v[3:4]
	v_fma_f64 v[147:148], v[147:148], v[91:92], -v[159:160]
	v_mul_f64 v[159:160], v[151:152], v[89:90]
	v_fma_f64 v[93:94], v[149:150], v[91:92], v[93:94]
	s_waitcnt vmcnt(57)
	v_fma_f64 v[151:152], v[151:152], v[1:2], -v[166:167]
	ds_read_b128 v[89:92], v146 offset:800
	v_mul_f64 v[149:150], v[155:156], v[3:4]
	s_waitcnt vmcnt(51)
	v_fma_f64 v[155:156], v[155:156], v[109:110], -v[170:171]
	v_add_f64 v[147:148], v[147:148], 0
	v_fma_f64 v[153:154], v[153:154], v[1:2], v[159:160]
	v_add_f64 v[93:94], v[93:94], 0
	s_clause 0x4
	buffer_load_dword v160, off, s[0:3], 0 offset:380
	buffer_load_dword v172, off, s[0:3], 0 offset:392
	;; [unrolled: 1-line block ×5, first 2 shown]
	s_waitcnt lgkmcnt(0)
	v_mul_f64 v[175:176], v[89:90], v[97:98]
	v_mul_f64 v[97:98], v[91:92], v[97:98]
	ds_read_b128 v[1:4], v146 offset:816
	v_fma_f64 v[109:110], v[157:158], v[109:110], v[149:150]
	v_add_f64 v[151:152], v[147:148], v[151:152]
	v_add_f64 v[93:94], v[93:94], v[153:154]
	s_clause 0x2
	buffer_load_dword v173, off, s[0:3], 0 offset:396
	buffer_load_dword v154, off, s[0:3], 0 offset:372
	;; [unrolled: 1-line block ×3, first 2 shown]
	s_waitcnt vmcnt(58) lgkmcnt(0)
	v_mul_f64 v[157:158], v[1:2], v[101:102]
	v_mul_f64 v[101:102], v[3:4], v[101:102]
	s_waitcnt vmcnt(56)
	v_fma_f64 v[97:98], v[89:90], v[103:104], -v[97:98]
	ds_read_b128 v[147:150], v146 offset:832
	v_fma_f64 v[103:104], v[91:92], v[103:104], v[175:176]
	v_add_f64 v[151:152], v[151:152], v[155:156]
	v_add_f64 v[93:94], v[93:94], v[109:110]
	s_clause 0x4
	buffer_load_dword v110, off, s[0:3], 0 offset:412
	buffer_load_dword v155, off, s[0:3], 0 offset:424
	;; [unrolled: 1-line block ×5, first 2 shown]
	ds_read_b128 v[89:92], v146 offset:848
	s_waitcnt vmcnt(57) lgkmcnt(1)
	v_mul_f64 v[176:177], v[147:148], v[105:106]
	v_mul_f64 v[105:106], v[149:150], v[105:106]
	s_waitcnt vmcnt(56)
	v_fma_f64 v[101:102], v[1:2], v[95:96], -v[101:102]
	v_fma_f64 v[95:96], v[3:4], v[95:96], v[157:158]
	v_add_f64 v[97:98], v[151:152], v[97:98]
	v_add_f64 v[93:94], v[93:94], v[103:104]
	s_clause 0x2
	buffer_load_dword v156, off, s[0:3], 0 offset:428
	buffer_load_dword v104, off, s[0:3], 0 offset:404
	;; [unrolled: 1-line block ×3, first 2 shown]
	s_waitcnt vmcnt(58) lgkmcnt(0)
	v_mul_f64 v[151:152], v[89:90], v[111:112]
	v_mul_f64 v[111:112], v[91:92], v[111:112]
	s_waitcnt vmcnt(56)
	v_fma_f64 v[105:106], v[147:148], v[113:114], -v[105:106]
	ds_read_b128 v[1:4], v146 offset:864
	v_add_f64 v[97:98], v[97:98], v[101:102]
	v_fma_f64 v[101:102], v[149:150], v[113:114], v[176:177]
	v_add_f64 v[113:114], v[93:94], v[95:96]
	s_clause 0x4
	buffer_load_dword v148, off, s[0:3], 0 offset:444
	buffer_load_dword v149, off, s[0:3], 0 offset:456
	;; [unrolled: 1-line block ×5, first 2 shown]
	ds_read_b128 v[93:96], v146 offset:880
	s_waitcnt vmcnt(57) lgkmcnt(1)
	v_mul_f64 v[176:177], v[1:2], v[115:116]
	v_mul_f64 v[115:116], v[3:4], v[115:116]
	s_waitcnt vmcnt(56)
	v_fma_f64 v[111:112], v[89:90], v[99:100], -v[111:112]
	v_fma_f64 v[99:100], v[91:92], v[99:100], v[151:152]
	v_add_f64 v[97:98], v[97:98], v[105:106]
	s_clause 0x2
	buffer_load_dword v150, off, s[0:3], 0 offset:460
	buffer_load_dword v106, off, s[0:3], 0 offset:436
	;; [unrolled: 1-line block ×3, first 2 shown]
	v_add_f64 v[101:102], v[113:114], v[101:102]
	s_waitcnt vmcnt(58) lgkmcnt(0)
	v_mul_f64 v[113:114], v[93:94], v[119:120]
	v_mul_f64 v[119:120], v[95:96], v[119:120]
	ds_read_b128 v[89:92], v146 offset:896
	s_waitcnt vmcnt(56)
	v_fma_f64 v[115:116], v[1:2], v[121:122], -v[115:116]
	v_add_f64 v[97:98], v[97:98], v[111:112]
	v_fma_f64 v[111:112], v[3:4], v[121:122], v[176:177]
	v_add_f64 v[99:100], v[101:102], v[99:100]
	s_clause 0x4
	buffer_load_dword v102, off, s[0:3], 0 offset:476
	buffer_load_dword v121, off, s[0:3], 0 offset:488
	;; [unrolled: 1-line block ×5, first 2 shown]
	s_waitcnt vmcnt(57) lgkmcnt(0)
	v_mul_f64 v[176:177], v[89:90], v[123:124]
	v_mul_f64 v[123:124], v[91:92], v[123:124]
	s_waitcnt vmcnt(56)
	v_fma_f64 v[119:120], v[93:94], v[107:108], -v[119:120]
	ds_read_b128 v[1:4], v146 offset:912
	v_fma_f64 v[107:108], v[95:96], v[107:108], v[113:114]
	v_add_f64 v[97:98], v[97:98], v[115:116]
	v_add_f64 v[99:100], v[99:100], v[111:112]
	s_clause 0x2
	buffer_load_dword v122, off, s[0:3], 0 offset:492
	buffer_load_dword v112, off, s[0:3], 0 offset:468
	;; [unrolled: 1-line block ×3, first 2 shown]
	ds_read_b128 v[93:96], v146 offset:928
	s_waitcnt vmcnt(58) lgkmcnt(1)
	v_mul_f64 v[115:116], v[3:4], v[127:128]
	s_waitcnt vmcnt(56)
	v_fma_f64 v[123:124], v[89:90], v[129:130], -v[123:124]
	v_mul_f64 v[113:114], v[1:2], v[127:128]
	v_add_f64 v[97:98], v[97:98], v[119:120]
	v_fma_f64 v[119:120], v[91:92], v[129:130], v[176:177]
	v_add_f64 v[99:100], v[99:100], v[107:108]
	s_clause 0x4
	buffer_load_dword v108, off, s[0:3], 0 offset:508
	buffer_load_dword v127, off, s[0:3], 0 offset:520
	;; [unrolled: 1-line block ×5, first 2 shown]
	s_waitcnt vmcnt(57) lgkmcnt(0)
	v_mul_f64 v[176:177], v[93:94], v[131:132]
	v_mul_f64 v[130:131], v[95:96], v[131:132]
	s_waitcnt vmcnt(56)
	v_fma_f64 v[115:116], v[1:2], v[117:118], -v[115:116]
	ds_read_b128 v[89:92], v146 offset:944
	v_fma_f64 v[113:114], v[3:4], v[117:118], v[113:114]
	s_clause 0x2
	buffer_load_dword v128, off, s[0:3], 0 offset:524
	buffer_load_dword v118, off, s[0:3], 0 offset:500
	;; [unrolled: 1-line block ×3, first 2 shown]
	ds_read_b128 v[1:4], v146 offset:960
	v_add_f64 v[97:98], v[97:98], v[123:124]
	v_add_f64 v[99:100], v[99:100], v[119:120]
	s_waitcnt vmcnt(58) lgkmcnt(1)
	v_mul_f64 v[123:124], v[91:92], v[135:136]
	s_waitcnt vmcnt(56)
	v_fma_f64 v[131:132], v[93:94], v[137:138], -v[130:131]
	v_mul_f64 v[119:120], v[89:90], v[135:136]
	v_add_f64 v[97:98], v[97:98], v[115:116]
	v_fma_f64 v[115:116], v[95:96], v[137:138], v[176:177]
	v_add_f64 v[99:100], v[99:100], v[113:114]
	s_clause 0x4
	buffer_load_dword v114, off, s[0:3], 0 offset:540
	buffer_load_dword v135, off, s[0:3], 0 offset:552
	;; [unrolled: 1-line block ×5, first 2 shown]
	s_waitcnt vmcnt(57) lgkmcnt(0)
	v_mul_f64 v[176:177], v[1:2], v[139:140]
	v_mul_f64 v[138:139], v[3:4], v[139:140]
	s_waitcnt vmcnt(56)
	v_fma_f64 v[123:124], v[89:90], v[125:126], -v[123:124]
	ds_read_b128 v[93:96], v146 offset:976
	v_fma_f64 v[119:120], v[91:92], v[125:126], v[119:120]
	v_add_f64 v[97:98], v[97:98], v[131:132]
	v_add_f64 v[99:100], v[99:100], v[115:116]
	s_clause 0x2
	buffer_load_dword v136, off, s[0:3], 0 offset:556
	buffer_load_dword v116, off, s[0:3], 0 offset:532
	;; [unrolled: 1-line block ×3, first 2 shown]
	ds_read_b128 v[89:92], v146 offset:992
	s_waitcnt vmcnt(58) lgkmcnt(1)
	v_mul_f64 v[131:132], v[95:96], v[141:142]
	s_waitcnt vmcnt(56)
	v_fma_f64 v[139:140], v[1:2], v[143:144], -v[138:139]
	v_mul_f64 v[125:126], v[93:94], v[141:142]
	v_add_f64 v[97:98], v[97:98], v[123:124]
	v_fma_f64 v[123:124], v[3:4], v[143:144], v[176:177]
	v_add_f64 v[99:100], v[99:100], v[119:120]
	s_clause 0x4
	buffer_load_dword v120, off, s[0:3], 0 offset:572
	buffer_load_dword v141, off, s[0:3], 0 offset:584
	;; [unrolled: 1-line block ×5, first 2 shown]
	s_waitcnt vmcnt(57) lgkmcnt(0)
	v_mul_f64 v[176:177], v[89:90], v[161:162]
	v_mul_f64 v[161:162], v[91:92], v[161:162]
	s_waitcnt vmcnt(56)
	v_fma_f64 v[131:132], v[93:94], v[133:134], -v[131:132]
	ds_read_b128 v[1:4], v146 offset:1008
	v_fma_f64 v[125:126], v[95:96], v[133:134], v[125:126]
	v_add_f64 v[97:98], v[97:98], v[139:140]
	v_add_f64 v[99:100], v[99:100], v[123:124]
	s_clause 0x2
	buffer_load_dword v142, off, s[0:3], 0 offset:588
	buffer_load_dword v124, off, s[0:3], 0 offset:564
	;; [unrolled: 1-line block ×3, first 2 shown]
	ds_read_b128 v[93:96], v146 offset:1024
	s_waitcnt vmcnt(58) lgkmcnt(1)
	v_mul_f64 v[139:140], v[3:4], v[163:164]
	s_waitcnt vmcnt(56)
	v_fma_f64 v[161:162], v[89:90], v[168:169], -v[161:162]
	v_mul_f64 v[133:134], v[1:2], v[163:164]
	v_add_f64 v[97:98], v[97:98], v[131:132]
	v_fma_f64 v[131:132], v[91:92], v[168:169], v[176:177]
	v_add_f64 v[99:100], v[99:100], v[125:126]
	s_clause 0x4
	buffer_load_dword v126, off, s[0:3], 0 offset:604
	buffer_load_dword v163, off, s[0:3], 0 offset:616
	buffer_load_dword v167, off, s[0:3], 0 offset:608
	buffer_load_dword v125, off, s[0:3], 0 offset:600
	buffer_load_dword v144, off, s[0:3], 0 offset:580
	ds_read_b128 v[89:92], v146 offset:1040
	s_waitcnt vmcnt(57) lgkmcnt(1)
	v_mul_f64 v[168:169], v[93:94], v[159:160]
	v_mul_f64 v[159:160], v[95:96], v[159:160]
	s_waitcnt vmcnt(56)
	v_fma_f64 v[139:140], v[1:2], v[165:166], -v[139:140]
	v_fma_f64 v[133:134], v[3:4], v[165:166], v[133:134]
	v_add_f64 v[97:98], v[97:98], v[161:162]
	v_add_f64 v[99:100], v[99:100], v[131:132]
	s_clause 0x2
	buffer_load_dword v164, off, s[0:3], 0 offset:620
	buffer_load_dword v132, off, s[0:3], 0 offset:596
	;; [unrolled: 1-line block ×3, first 2 shown]
	ds_read_b128 v[1:4], v146 offset:1056
	s_waitcnt vmcnt(58) lgkmcnt(1)
	v_mul_f64 v[165:166], v[91:92], v[172:173]
	v_mul_f64 v[161:162], v[89:90], v[172:173]
	s_waitcnt vmcnt(56)
	v_fma_f64 v[159:160], v[93:94], v[153:154], -v[159:160]
	v_add_f64 v[97:98], v[97:98], v[139:140]
	v_fma_f64 v[139:140], v[95:96], v[153:154], v[168:169]
	v_add_f64 v[99:100], v[99:100], v[133:134]
	s_clause 0x4
	buffer_load_dword v134, off, s[0:3], 0 offset:636
	buffer_load_dword v153, off, s[0:3], 0 offset:648
	;; [unrolled: 1-line block ×5, first 2 shown]
	ds_read_b128 v[93:96], v146 offset:1072
	s_waitcnt vmcnt(57) lgkmcnt(1)
	v_mul_f64 v[176:177], v[1:2], v[109:110]
	v_mul_f64 v[109:110], v[3:4], v[109:110]
	s_waitcnt vmcnt(56)
	v_fma_f64 v[165:166], v[89:90], v[174:175], -v[165:166]
	v_add_f64 v[97:98], v[97:98], v[159:160]
	v_fma_f64 v[159:160], v[91:92], v[174:175], v[161:162]
	v_add_f64 v[99:100], v[99:100], v[139:140]
	s_clause 0x2
	buffer_load_dword v154, off, s[0:3], 0 offset:652
	buffer_load_dword v140, off, s[0:3], 0 offset:628
	;; [unrolled: 1-line block ×3, first 2 shown]
	ds_read_b128 v[89:92], v146 offset:1088
	s_waitcnt vmcnt(58) lgkmcnt(1)
	v_mul_f64 v[161:162], v[93:94], v[155:156]
	v_mul_f64 v[155:156], v[95:96], v[155:156]
	s_waitcnt vmcnt(56)
	v_fma_f64 v[109:110], v[1:2], v[103:104], -v[109:110]
	v_fma_f64 v[103:104], v[3:4], v[103:104], v[176:177]
	v_add_f64 v[97:98], v[97:98], v[165:166]
	v_add_f64 v[99:100], v[99:100], v[159:160]
	s_clause 0x4
	buffer_load_dword v160, off, s[0:3], 0 offset:668
	buffer_load_dword v165, off, s[0:3], 0 offset:680
	;; [unrolled: 1-line block ×5, first 2 shown]
	ds_read_b128 v[1:4], v146 offset:1104
	s_waitcnt vmcnt(57) lgkmcnt(1)
	v_mul_f64 v[174:175], v[89:90], v[147:148]
	v_mul_f64 v[147:148], v[91:92], v[147:148]
	s_waitcnt vmcnt(56)
	v_fma_f64 v[155:156], v[93:94], v[170:171], -v[155:156]
	v_add_f64 v[97:98], v[97:98], v[109:110]
	v_fma_f64 v[109:110], v[95:96], v[170:171], v[161:162]
	v_add_f64 v[99:100], v[99:100], v[103:104]
	s_clause 0x2
	buffer_load_dword v166, off, s[0:3], 0 offset:684
	buffer_load_dword v104, off, s[0:3], 0 offset:660
	;; [unrolled: 1-line block ×3, first 2 shown]
	ds_read_b128 v[93:96], v146 offset:1120
	buffer_load_dword v170, off, s[0:3], 0 offset:676
	s_waitcnt vmcnt(59) lgkmcnt(1)
	v_mul_f64 v[161:162], v[1:2], v[149:150]
	v_mul_f64 v[149:150], v[3:4], v[149:150]
	s_waitcnt vmcnt(57)
	v_fma_f64 v[147:148], v[89:90], v[105:106], -v[147:148]
	v_fma_f64 v[105:106], v[91:92], v[105:106], v[174:175]
	ds_read_b128 v[89:92], v146 offset:1136
	v_add_f64 v[97:98], v[97:98], v[155:156]
	v_add_f64 v[99:100], v[99:100], v[109:110]
	s_waitcnt vmcnt(53) lgkmcnt(1)
	v_mul_f64 v[109:110], v[93:94], v[101:102]
	v_mul_f64 v[101:102], v[95:96], v[101:102]
	s_waitcnt vmcnt(52)
	v_fma_f64 v[149:150], v[1:2], v[157:158], -v[149:150]
	v_add_f64 v[97:98], v[97:98], v[147:148]
	v_fma_f64 v[147:148], v[3:4], v[157:158], v[161:162]
	v_add_f64 v[99:100], v[99:100], v[105:106]
	ds_read_b128 v[1:4], v146 offset:1152
	s_waitcnt vmcnt(51) lgkmcnt(1)
	v_mul_f64 v[105:106], v[89:90], v[121:122]
	v_mul_f64 v[121:122], v[91:92], v[121:122]
	s_waitcnt vmcnt(49)
	v_fma_f64 v[101:102], v[93:94], v[111:112], -v[101:102]
	v_fma_f64 v[109:110], v[95:96], v[111:112], v[109:110]
	v_add_f64 v[97:98], v[97:98], v[149:150]
	v_add_f64 v[99:100], v[99:100], v[147:148]
	s_clause 0x3
	buffer_load_dword v111, off, s[0:3], 0 offset:80
	buffer_load_dword v112, off, s[0:3], 0 offset:84
	;; [unrolled: 1-line block ×4, first 2 shown]
	ds_read_b128 v[93:96], v146 offset:1168
	s_waitcnt vmcnt(49) lgkmcnt(1)
	v_mul_f64 v[149:150], v[1:2], v[107:108]
	v_mul_f64 v[107:108], v[3:4], v[107:108]
	s_waitcnt vmcnt(48)
	v_fma_f64 v[121:122], v[89:90], v[151:152], -v[121:122]
	v_add_f64 v[97:98], v[97:98], v[101:102]
	v_fma_f64 v[101:102], v[91:92], v[151:152], v[105:106]
	v_add_f64 v[99:100], v[99:100], v[109:110]
	ds_read_b128 v[89:92], v146 offset:1184
	s_waitcnt vmcnt(47) lgkmcnt(1)
	v_mul_f64 v[109:110], v[95:96], v[127:128]
	v_mul_f64 v[105:106], v[93:94], v[127:128]
	s_waitcnt vmcnt(45)
	v_fma_f64 v[107:108], v[1:2], v[117:118], -v[107:108]
	v_fma_f64 v[117:118], v[3:4], v[117:118], v[149:150]
	ds_read_b128 v[1:4], v146 offset:1200
	v_add_f64 v[97:98], v[97:98], v[121:122]
	v_add_f64 v[99:100], v[99:100], v[101:102]
	s_waitcnt vmcnt(41) lgkmcnt(1)
	v_mul_f64 v[101:102], v[89:90], v[113:114]
	v_mul_f64 v[113:114], v[91:92], v[113:114]
	s_waitcnt vmcnt(40)
	v_fma_f64 v[109:110], v[93:94], v[129:130], -v[109:110]
	v_fma_f64 v[105:106], v[95:96], v[129:130], v[105:106]
	ds_read_b128 v[93:96], v146 offset:1216
	v_add_f64 v[97:98], v[97:98], v[107:108]
	v_add_f64 v[99:100], v[99:100], v[117:118]
	;; [unrolled: 9-line block ×3, first 2 shown]
	s_waitcnt vmcnt(33) lgkmcnt(1)
	v_mul_f64 v[109:110], v[95:96], v[119:120]
	s_waitcnt vmcnt(32)
	v_fma_f64 v[115:116], v[1:2], v[137:138], -v[117:118]
	v_mul_f64 v[105:106], v[93:94], v[119:120]
	v_fma_f64 v[107:108], v[3:4], v[137:138], v[107:108]
	ds_read_b128 v[1:4], v146 offset:1248
	v_add_f64 v[97:98], v[97:98], v[113:114]
	v_add_f64 v[99:100], v[99:100], v[101:102]
	s_waitcnt vmcnt(31) lgkmcnt(1)
	v_mul_f64 v[113:114], v[91:92], v[141:142]
	v_mul_f64 v[101:102], v[89:90], v[141:142]
	s_waitcnt vmcnt(29)
	v_fma_f64 v[109:110], v[93:94], v[123:124], -v[109:110]
	v_fma_f64 v[105:106], v[95:96], v[123:124], v[105:106]
	ds_read_b128 v[93:96], v146 offset:1264
	v_add_f64 v[97:98], v[97:98], v[115:116]
	v_add_f64 v[99:100], v[99:100], v[107:108]
	s_waitcnt vmcnt(25) lgkmcnt(1)
	v_mul_f64 v[115:116], v[3:4], v[125:126]
	s_waitcnt vmcnt(24)
	v_fma_f64 v[113:114], v[89:90], v[143:144], -v[113:114]
	v_mul_f64 v[107:108], v[1:2], v[125:126]
	v_fma_f64 v[101:102], v[91:92], v[143:144], v[101:102]
	ds_read_b128 v[89:92], v146 offset:1280
	v_add_f64 v[97:98], v[97:98], v[109:110]
	v_add_f64 v[99:100], v[99:100], v[105:106]
	s_waitcnt vmcnt(23) lgkmcnt(1)
	v_mul_f64 v[109:110], v[95:96], v[163:164]
	v_mul_f64 v[105:106], v[93:94], v[163:164]
	s_waitcnt vmcnt(21)
	v_fma_f64 v[115:116], v[1:2], v[131:132], -v[115:116]
	v_fma_f64 v[107:108], v[3:4], v[131:132], v[107:108]
	ds_read_b128 v[1:4], v146 offset:1296
	v_add_f64 v[97:98], v[97:98], v[113:114]
	v_add_f64 v[99:100], v[99:100], v[101:102]
	;; [unrolled: 18-line block ×3, first 2 shown]
	s_waitcnt vmcnt(9) lgkmcnt(1)
	v_mul_f64 v[109:110], v[95:96], v[159:160]
	s_waitcnt vmcnt(8)
	v_fma_f64 v[1:2], v[1:2], v[172:173], -v[115:116]
	v_mul_f64 v[105:106], v[93:94], v[159:160]
	v_fma_f64 v[3:4], v[3:4], v[172:173], v[107:108]
	v_add_f64 v[97:98], v[97:98], v[113:114]
	v_add_f64 v[99:100], v[99:100], v[101:102]
	s_waitcnt vmcnt(7) lgkmcnt(0)
	v_mul_f64 v[107:108], v[91:92], v[165:166]
	v_mul_f64 v[101:102], v[89:90], v[165:166]
	s_waitcnt vmcnt(5)
	v_fma_f64 v[93:94], v[93:94], v[103:104], -v[109:110]
	v_fma_f64 v[95:96], v[95:96], v[103:104], v[105:106]
	v_add_f64 v[1:2], v[97:98], v[1:2]
	v_add_f64 v[3:4], v[99:100], v[3:4]
	s_waitcnt vmcnt(4)
	v_fma_f64 v[89:90], v[89:90], v[169:170], -v[107:108]
	v_fma_f64 v[91:92], v[91:92], v[169:170], v[101:102]
	v_add_f64 v[1:2], v[1:2], v[93:94]
	v_add_f64 v[3:4], v[3:4], v[95:96]
	;; [unrolled: 1-line block ×4, first 2 shown]
	s_waitcnt vmcnt(2)
	v_add_f64 v[1:2], v[111:112], -v[1:2]
	s_waitcnt vmcnt(0)
	v_add_f64 v[3:4], v[147:148], -v[3:4]
	buffer_store_dword v2, off, s[0:3], 0 offset:84
	buffer_store_dword v1, off, s[0:3], 0 offset:80
	buffer_store_dword v4, off, s[0:3], 0 offset:92
	buffer_store_dword v3, off, s[0:3], 0 offset:88
	v_cmpx_lt_u32_e32 3, v0
	s_cbranch_execz .LBB105_259
; %bb.258:
	v_mov_b32_e32 v4, s51
	s_clause 0x3
	buffer_load_dword v1, v4, s[0:3], 0 offen
	buffer_load_dword v2, v4, s[0:3], 0 offen offset:4
	buffer_load_dword v3, v4, s[0:3], 0 offen offset:8
	;; [unrolled: 1-line block ×3, first 2 shown]
	buffer_store_dword v146, off, s[0:3], 0 offset:64
	buffer_store_dword v146, off, s[0:3], 0 offset:68
	;; [unrolled: 1-line block ×4, first 2 shown]
	s_waitcnt vmcnt(0)
	ds_write_b128 v145, v[1:4]
.LBB105_259:
	s_or_b32 exec_lo, exec_lo, s4
	s_waitcnt lgkmcnt(0)
	s_waitcnt_vscnt null, 0x0
	s_barrier
	buffer_gl0_inv
	s_clause 0x37
	buffer_load_dword v93, off, s[0:3], 0 offset:88
	buffer_load_dword v94, off, s[0:3], 0 offset:92
	;; [unrolled: 1-line block ×56, first 2 shown]
	ds_read_b128 v[147:150], v146 offset:736
	s_clause 0x2
	buffer_load_dword v142, off, s[0:3], 0 offset:316
	buffer_load_dword v144, off, s[0:3], 0 offset:292
	;; [unrolled: 1-line block ×3, first 2 shown]
	ds_read_b128 v[151:154], v146 offset:752
	s_clause 0x4
	buffer_load_dword v162, off, s[0:3], 0 offset:332
	buffer_load_dword v163, off, s[0:3], 0 offset:344
	;; [unrolled: 1-line block ×5, first 2 shown]
	ds_read_b128 v[155:158], v146 offset:768
	s_clause 0x2
	buffer_load_dword v164, off, s[0:3], 0 offset:348
	buffer_load_dword v169, off, s[0:3], 0 offset:324
	;; [unrolled: 1-line block ×3, first 2 shown]
	s_mov_b32 s4, exec_lo
	s_waitcnt vmcnt(62) lgkmcnt(2)
	v_mul_f64 v[159:160], v[149:150], v[93:94]
	v_mul_f64 v[93:94], v[147:148], v[93:94]
	s_waitcnt lgkmcnt(1)
	v_mul_f64 v[166:167], v[153:154], v[89:90]
	s_waitcnt vmcnt(59) lgkmcnt(0)
	v_mul_f64 v[170:171], v[157:158], v[3:4]
	v_fma_f64 v[147:148], v[147:148], v[91:92], -v[159:160]
	v_mul_f64 v[159:160], v[151:152], v[89:90]
	v_fma_f64 v[93:94], v[149:150], v[91:92], v[93:94]
	s_waitcnt vmcnt(57)
	v_fma_f64 v[151:152], v[151:152], v[1:2], -v[166:167]
	ds_read_b128 v[89:92], v146 offset:784
	v_mul_f64 v[149:150], v[155:156], v[3:4]
	s_waitcnt vmcnt(51)
	v_fma_f64 v[155:156], v[155:156], v[109:110], -v[170:171]
	v_add_f64 v[147:148], v[147:148], 0
	v_fma_f64 v[153:154], v[153:154], v[1:2], v[159:160]
	v_add_f64 v[93:94], v[93:94], 0
	s_clause 0x4
	buffer_load_dword v160, off, s[0:3], 0 offset:364
	buffer_load_dword v172, off, s[0:3], 0 offset:376
	buffer_load_dword v174, off, s[0:3], 0 offset:368
	buffer_load_dword v159, off, s[0:3], 0 offset:360
	buffer_load_dword v166, off, s[0:3], 0 offset:340
	s_waitcnt lgkmcnt(0)
	v_mul_f64 v[175:176], v[89:90], v[97:98]
	v_mul_f64 v[97:98], v[91:92], v[97:98]
	ds_read_b128 v[1:4], v146 offset:800
	v_fma_f64 v[109:110], v[157:158], v[109:110], v[149:150]
	v_add_f64 v[151:152], v[147:148], v[151:152]
	v_add_f64 v[93:94], v[93:94], v[153:154]
	s_clause 0x2
	buffer_load_dword v173, off, s[0:3], 0 offset:380
	buffer_load_dword v154, off, s[0:3], 0 offset:356
	;; [unrolled: 1-line block ×3, first 2 shown]
	s_waitcnt vmcnt(58) lgkmcnt(0)
	v_mul_f64 v[157:158], v[1:2], v[101:102]
	v_mul_f64 v[101:102], v[3:4], v[101:102]
	s_waitcnt vmcnt(56)
	v_fma_f64 v[97:98], v[89:90], v[103:104], -v[97:98]
	ds_read_b128 v[147:150], v146 offset:816
	v_fma_f64 v[103:104], v[91:92], v[103:104], v[175:176]
	v_add_f64 v[151:152], v[151:152], v[155:156]
	v_add_f64 v[93:94], v[93:94], v[109:110]
	s_clause 0x4
	buffer_load_dword v110, off, s[0:3], 0 offset:396
	buffer_load_dword v155, off, s[0:3], 0 offset:408
	;; [unrolled: 1-line block ×5, first 2 shown]
	ds_read_b128 v[89:92], v146 offset:832
	s_waitcnt vmcnt(57) lgkmcnt(1)
	v_mul_f64 v[176:177], v[147:148], v[105:106]
	v_mul_f64 v[105:106], v[149:150], v[105:106]
	s_waitcnt vmcnt(56)
	v_fma_f64 v[101:102], v[1:2], v[95:96], -v[101:102]
	v_fma_f64 v[95:96], v[3:4], v[95:96], v[157:158]
	v_add_f64 v[97:98], v[151:152], v[97:98]
	v_add_f64 v[93:94], v[93:94], v[103:104]
	s_clause 0x2
	buffer_load_dword v156, off, s[0:3], 0 offset:412
	buffer_load_dword v104, off, s[0:3], 0 offset:388
	;; [unrolled: 1-line block ×3, first 2 shown]
	s_waitcnt vmcnt(58) lgkmcnt(0)
	v_mul_f64 v[151:152], v[89:90], v[111:112]
	v_mul_f64 v[111:112], v[91:92], v[111:112]
	s_waitcnt vmcnt(56)
	v_fma_f64 v[105:106], v[147:148], v[113:114], -v[105:106]
	ds_read_b128 v[1:4], v146 offset:848
	v_add_f64 v[97:98], v[97:98], v[101:102]
	v_fma_f64 v[101:102], v[149:150], v[113:114], v[176:177]
	v_add_f64 v[113:114], v[93:94], v[95:96]
	s_clause 0x4
	buffer_load_dword v148, off, s[0:3], 0 offset:428
	buffer_load_dword v149, off, s[0:3], 0 offset:440
	;; [unrolled: 1-line block ×5, first 2 shown]
	ds_read_b128 v[93:96], v146 offset:864
	s_waitcnt vmcnt(57) lgkmcnt(1)
	v_mul_f64 v[176:177], v[1:2], v[115:116]
	v_mul_f64 v[115:116], v[3:4], v[115:116]
	s_waitcnt vmcnt(56)
	v_fma_f64 v[111:112], v[89:90], v[99:100], -v[111:112]
	v_fma_f64 v[99:100], v[91:92], v[99:100], v[151:152]
	v_add_f64 v[97:98], v[97:98], v[105:106]
	s_clause 0x2
	buffer_load_dword v150, off, s[0:3], 0 offset:444
	buffer_load_dword v106, off, s[0:3], 0 offset:420
	;; [unrolled: 1-line block ×3, first 2 shown]
	v_add_f64 v[101:102], v[113:114], v[101:102]
	s_waitcnt vmcnt(58) lgkmcnt(0)
	v_mul_f64 v[113:114], v[93:94], v[119:120]
	v_mul_f64 v[119:120], v[95:96], v[119:120]
	ds_read_b128 v[89:92], v146 offset:880
	s_waitcnt vmcnt(56)
	v_fma_f64 v[115:116], v[1:2], v[121:122], -v[115:116]
	v_add_f64 v[97:98], v[97:98], v[111:112]
	v_fma_f64 v[111:112], v[3:4], v[121:122], v[176:177]
	v_add_f64 v[99:100], v[101:102], v[99:100]
	s_clause 0x4
	buffer_load_dword v102, off, s[0:3], 0 offset:460
	buffer_load_dword v121, off, s[0:3], 0 offset:472
	;; [unrolled: 1-line block ×5, first 2 shown]
	s_waitcnt vmcnt(57) lgkmcnt(0)
	v_mul_f64 v[176:177], v[89:90], v[123:124]
	v_mul_f64 v[123:124], v[91:92], v[123:124]
	s_waitcnt vmcnt(56)
	v_fma_f64 v[119:120], v[93:94], v[107:108], -v[119:120]
	ds_read_b128 v[1:4], v146 offset:896
	v_fma_f64 v[107:108], v[95:96], v[107:108], v[113:114]
	v_add_f64 v[97:98], v[97:98], v[115:116]
	v_add_f64 v[99:100], v[99:100], v[111:112]
	s_clause 0x2
	buffer_load_dword v122, off, s[0:3], 0 offset:476
	buffer_load_dword v112, off, s[0:3], 0 offset:452
	buffer_load_dword v111, off, s[0:3], 0 offset:448
	ds_read_b128 v[93:96], v146 offset:912
	s_waitcnt vmcnt(58) lgkmcnt(1)
	v_mul_f64 v[115:116], v[3:4], v[127:128]
	s_waitcnt vmcnt(56)
	v_fma_f64 v[123:124], v[89:90], v[129:130], -v[123:124]
	v_mul_f64 v[113:114], v[1:2], v[127:128]
	v_add_f64 v[97:98], v[97:98], v[119:120]
	v_fma_f64 v[119:120], v[91:92], v[129:130], v[176:177]
	v_add_f64 v[99:100], v[99:100], v[107:108]
	s_clause 0x4
	buffer_load_dword v108, off, s[0:3], 0 offset:492
	buffer_load_dword v127, off, s[0:3], 0 offset:504
	;; [unrolled: 1-line block ×5, first 2 shown]
	s_waitcnt vmcnt(57) lgkmcnt(0)
	v_mul_f64 v[176:177], v[93:94], v[131:132]
	v_mul_f64 v[130:131], v[95:96], v[131:132]
	s_waitcnt vmcnt(56)
	v_fma_f64 v[115:116], v[1:2], v[117:118], -v[115:116]
	ds_read_b128 v[89:92], v146 offset:928
	v_fma_f64 v[113:114], v[3:4], v[117:118], v[113:114]
	s_clause 0x2
	buffer_load_dword v128, off, s[0:3], 0 offset:508
	buffer_load_dword v118, off, s[0:3], 0 offset:484
	buffer_load_dword v117, off, s[0:3], 0 offset:480
	ds_read_b128 v[1:4], v146 offset:944
	v_add_f64 v[97:98], v[97:98], v[123:124]
	v_add_f64 v[99:100], v[99:100], v[119:120]
	s_waitcnt vmcnt(58) lgkmcnt(1)
	v_mul_f64 v[123:124], v[91:92], v[135:136]
	s_waitcnt vmcnt(56)
	v_fma_f64 v[131:132], v[93:94], v[137:138], -v[130:131]
	v_mul_f64 v[119:120], v[89:90], v[135:136]
	v_add_f64 v[97:98], v[97:98], v[115:116]
	v_fma_f64 v[115:116], v[95:96], v[137:138], v[176:177]
	v_add_f64 v[99:100], v[99:100], v[113:114]
	s_clause 0x4
	buffer_load_dword v114, off, s[0:3], 0 offset:524
	buffer_load_dword v135, off, s[0:3], 0 offset:536
	;; [unrolled: 1-line block ×5, first 2 shown]
	s_waitcnt vmcnt(57) lgkmcnt(0)
	v_mul_f64 v[176:177], v[1:2], v[139:140]
	v_mul_f64 v[138:139], v[3:4], v[139:140]
	s_waitcnt vmcnt(56)
	v_fma_f64 v[123:124], v[89:90], v[125:126], -v[123:124]
	ds_read_b128 v[93:96], v146 offset:960
	v_fma_f64 v[119:120], v[91:92], v[125:126], v[119:120]
	v_add_f64 v[97:98], v[97:98], v[131:132]
	v_add_f64 v[99:100], v[99:100], v[115:116]
	s_clause 0x2
	buffer_load_dword v136, off, s[0:3], 0 offset:540
	buffer_load_dword v116, off, s[0:3], 0 offset:516
	;; [unrolled: 1-line block ×3, first 2 shown]
	ds_read_b128 v[89:92], v146 offset:976
	s_waitcnt vmcnt(58) lgkmcnt(1)
	v_mul_f64 v[131:132], v[95:96], v[141:142]
	s_waitcnt vmcnt(56)
	v_fma_f64 v[139:140], v[1:2], v[143:144], -v[138:139]
	v_mul_f64 v[125:126], v[93:94], v[141:142]
	v_add_f64 v[97:98], v[97:98], v[123:124]
	v_fma_f64 v[123:124], v[3:4], v[143:144], v[176:177]
	v_add_f64 v[99:100], v[99:100], v[119:120]
	s_clause 0x4
	buffer_load_dword v120, off, s[0:3], 0 offset:556
	buffer_load_dword v141, off, s[0:3], 0 offset:568
	;; [unrolled: 1-line block ×5, first 2 shown]
	s_waitcnt vmcnt(57) lgkmcnt(0)
	v_mul_f64 v[176:177], v[89:90], v[161:162]
	v_mul_f64 v[161:162], v[91:92], v[161:162]
	s_waitcnt vmcnt(56)
	v_fma_f64 v[131:132], v[93:94], v[133:134], -v[131:132]
	ds_read_b128 v[1:4], v146 offset:992
	v_fma_f64 v[125:126], v[95:96], v[133:134], v[125:126]
	v_add_f64 v[97:98], v[97:98], v[139:140]
	v_add_f64 v[99:100], v[99:100], v[123:124]
	s_clause 0x2
	buffer_load_dword v142, off, s[0:3], 0 offset:572
	buffer_load_dword v124, off, s[0:3], 0 offset:548
	;; [unrolled: 1-line block ×3, first 2 shown]
	ds_read_b128 v[93:96], v146 offset:1008
	s_waitcnt vmcnt(58) lgkmcnt(1)
	v_mul_f64 v[139:140], v[3:4], v[163:164]
	s_waitcnt vmcnt(56)
	v_fma_f64 v[161:162], v[89:90], v[168:169], -v[161:162]
	v_mul_f64 v[133:134], v[1:2], v[163:164]
	v_add_f64 v[97:98], v[97:98], v[131:132]
	v_fma_f64 v[131:132], v[91:92], v[168:169], v[176:177]
	v_add_f64 v[99:100], v[99:100], v[125:126]
	s_clause 0x4
	buffer_load_dword v126, off, s[0:3], 0 offset:588
	buffer_load_dword v163, off, s[0:3], 0 offset:600
	;; [unrolled: 1-line block ×5, first 2 shown]
	ds_read_b128 v[89:92], v146 offset:1024
	s_waitcnt vmcnt(57) lgkmcnt(1)
	v_mul_f64 v[168:169], v[93:94], v[159:160]
	v_mul_f64 v[159:160], v[95:96], v[159:160]
	s_waitcnt vmcnt(56)
	v_fma_f64 v[139:140], v[1:2], v[165:166], -v[139:140]
	v_fma_f64 v[133:134], v[3:4], v[165:166], v[133:134]
	v_add_f64 v[97:98], v[97:98], v[161:162]
	v_add_f64 v[99:100], v[99:100], v[131:132]
	s_clause 0x2
	buffer_load_dword v164, off, s[0:3], 0 offset:604
	buffer_load_dword v132, off, s[0:3], 0 offset:580
	buffer_load_dword v131, off, s[0:3], 0 offset:576
	ds_read_b128 v[1:4], v146 offset:1040
	s_waitcnt vmcnt(58) lgkmcnt(1)
	v_mul_f64 v[165:166], v[91:92], v[172:173]
	v_mul_f64 v[161:162], v[89:90], v[172:173]
	s_waitcnt vmcnt(56)
	v_fma_f64 v[159:160], v[93:94], v[153:154], -v[159:160]
	v_add_f64 v[97:98], v[97:98], v[139:140]
	v_fma_f64 v[139:140], v[95:96], v[153:154], v[168:169]
	v_add_f64 v[99:100], v[99:100], v[133:134]
	s_clause 0x4
	buffer_load_dword v134, off, s[0:3], 0 offset:620
	buffer_load_dword v153, off, s[0:3], 0 offset:632
	;; [unrolled: 1-line block ×5, first 2 shown]
	ds_read_b128 v[93:96], v146 offset:1056
	s_waitcnt vmcnt(57) lgkmcnt(1)
	v_mul_f64 v[176:177], v[1:2], v[109:110]
	v_mul_f64 v[109:110], v[3:4], v[109:110]
	s_waitcnt vmcnt(56)
	v_fma_f64 v[165:166], v[89:90], v[174:175], -v[165:166]
	v_add_f64 v[97:98], v[97:98], v[159:160]
	v_fma_f64 v[159:160], v[91:92], v[174:175], v[161:162]
	v_add_f64 v[99:100], v[99:100], v[139:140]
	s_clause 0x2
	buffer_load_dword v154, off, s[0:3], 0 offset:636
	buffer_load_dword v140, off, s[0:3], 0 offset:612
	;; [unrolled: 1-line block ×3, first 2 shown]
	ds_read_b128 v[89:92], v146 offset:1072
	s_waitcnt vmcnt(58) lgkmcnt(1)
	v_mul_f64 v[161:162], v[93:94], v[155:156]
	v_mul_f64 v[155:156], v[95:96], v[155:156]
	s_waitcnt vmcnt(56)
	v_fma_f64 v[109:110], v[1:2], v[103:104], -v[109:110]
	v_fma_f64 v[103:104], v[3:4], v[103:104], v[176:177]
	v_add_f64 v[97:98], v[97:98], v[165:166]
	v_add_f64 v[99:100], v[99:100], v[159:160]
	s_clause 0x4
	buffer_load_dword v160, off, s[0:3], 0 offset:652
	buffer_load_dword v165, off, s[0:3], 0 offset:664
	;; [unrolled: 1-line block ×5, first 2 shown]
	ds_read_b128 v[1:4], v146 offset:1088
	s_waitcnt vmcnt(57) lgkmcnt(1)
	v_mul_f64 v[174:175], v[89:90], v[147:148]
	v_mul_f64 v[147:148], v[91:92], v[147:148]
	s_waitcnt vmcnt(56)
	v_fma_f64 v[155:156], v[93:94], v[170:171], -v[155:156]
	v_add_f64 v[97:98], v[97:98], v[109:110]
	v_fma_f64 v[109:110], v[95:96], v[170:171], v[161:162]
	v_add_f64 v[99:100], v[99:100], v[103:104]
	s_clause 0x2
	buffer_load_dword v166, off, s[0:3], 0 offset:668
	buffer_load_dword v104, off, s[0:3], 0 offset:644
	;; [unrolled: 1-line block ×3, first 2 shown]
	ds_read_b128 v[93:96], v146 offset:1104
	s_waitcnt vmcnt(58) lgkmcnt(1)
	v_mul_f64 v[161:162], v[1:2], v[149:150]
	v_mul_f64 v[149:150], v[3:4], v[149:150]
	s_waitcnt vmcnt(56)
	v_fma_f64 v[147:148], v[89:90], v[105:106], -v[147:148]
	v_fma_f64 v[105:106], v[91:92], v[105:106], v[174:175]
	v_add_f64 v[97:98], v[97:98], v[155:156]
	v_add_f64 v[99:100], v[99:100], v[109:110]
	s_clause 0x2
	buffer_load_dword v110, off, s[0:3], 0 offset:684
	buffer_load_dword v109, off, s[0:3], 0 offset:680
	;; [unrolled: 1-line block ×3, first 2 shown]
	ds_read_b128 v[89:92], v146 offset:1120
	s_waitcnt vmcnt(55) lgkmcnt(1)
	v_mul_f64 v[155:156], v[93:94], v[101:102]
	v_mul_f64 v[101:102], v[95:96], v[101:102]
	s_waitcnt vmcnt(54)
	v_fma_f64 v[149:150], v[1:2], v[157:158], -v[149:150]
	v_add_f64 v[97:98], v[97:98], v[147:148]
	v_fma_f64 v[147:148], v[3:4], v[157:158], v[161:162]
	v_add_f64 v[99:100], v[99:100], v[105:106]
	s_clause 0x1
	buffer_load_dword v106, off, s[0:3], 0 offset:676
	buffer_load_dword v105, off, s[0:3], 0 offset:672
	ds_read_b128 v[1:4], v146 offset:1136
	s_waitcnt vmcnt(55) lgkmcnt(1)
	v_mul_f64 v[157:158], v[89:90], v[121:122]
	v_mul_f64 v[121:122], v[91:92], v[121:122]
	s_waitcnt vmcnt(53)
	v_fma_f64 v[101:102], v[93:94], v[111:112], -v[101:102]
	v_fma_f64 v[111:112], v[95:96], v[111:112], v[155:156]
	ds_read_b128 v[93:96], v146 offset:1152
	v_add_f64 v[97:98], v[97:98], v[149:150]
	v_add_f64 v[99:100], v[99:100], v[147:148]
	s_waitcnt vmcnt(49) lgkmcnt(1)
	v_mul_f64 v[147:148], v[1:2], v[107:108]
	v_mul_f64 v[107:108], v[3:4], v[107:108]
	s_waitcnt vmcnt(48)
	v_fma_f64 v[121:122], v[89:90], v[151:152], -v[121:122]
	v_add_f64 v[97:98], v[97:98], v[101:102]
	v_fma_f64 v[101:102], v[91:92], v[151:152], v[157:158]
	v_add_f64 v[99:100], v[99:100], v[111:112]
	s_clause 0x3
	buffer_load_dword v111, off, s[0:3], 0 offset:64
	buffer_load_dword v112, off, s[0:3], 0 offset:68
	;; [unrolled: 1-line block ×4, first 2 shown]
	s_waitcnt vmcnt(51) lgkmcnt(0)
	v_mul_f64 v[151:152], v[93:94], v[127:128]
	v_mul_f64 v[127:128], v[95:96], v[127:128]
	ds_read_b128 v[89:92], v146 offset:1168
	s_waitcnt vmcnt(49)
	v_fma_f64 v[107:108], v[1:2], v[117:118], -v[107:108]
	v_fma_f64 v[117:118], v[3:4], v[117:118], v[147:148]
	ds_read_b128 v[1:4], v146 offset:1184
	v_add_f64 v[97:98], v[97:98], v[121:122]
	v_add_f64 v[99:100], v[99:100], v[101:102]
	s_waitcnt vmcnt(45) lgkmcnt(1)
	v_mul_f64 v[101:102], v[89:90], v[113:114]
	v_mul_f64 v[113:114], v[91:92], v[113:114]
	s_waitcnt vmcnt(44)
	v_fma_f64 v[121:122], v[93:94], v[129:130], -v[127:128]
	v_add_f64 v[97:98], v[97:98], v[107:108]
	v_fma_f64 v[107:108], v[95:96], v[129:130], v[151:152]
	v_add_f64 v[99:100], v[99:100], v[117:118]
	ds_read_b128 v[93:96], v146 offset:1200
	s_waitcnt vmcnt(43) lgkmcnt(1)
	v_mul_f64 v[127:128], v[3:4], v[135:136]
	v_mul_f64 v[117:118], v[1:2], v[135:136]
	s_waitcnt vmcnt(41)
	v_fma_f64 v[113:114], v[89:90], v[115:116], -v[113:114]
	v_fma_f64 v[101:102], v[91:92], v[115:116], v[101:102]
	ds_read_b128 v[89:92], v146 offset:1216
	v_add_f64 v[97:98], v[97:98], v[121:122]
	v_add_f64 v[99:100], v[99:100], v[107:108]
	s_waitcnt vmcnt(37) lgkmcnt(1)
	v_mul_f64 v[107:108], v[93:94], v[119:120]
	v_mul_f64 v[115:116], v[95:96], v[119:120]
	s_waitcnt vmcnt(36)
	v_fma_f64 v[119:120], v[1:2], v[137:138], -v[127:128]
	v_add_f64 v[97:98], v[97:98], v[113:114]
	v_fma_f64 v[113:114], v[3:4], v[137:138], v[117:118]
	v_add_f64 v[99:100], v[99:100], v[101:102]
	ds_read_b128 v[1:4], v146 offset:1232
	s_waitcnt vmcnt(35) lgkmcnt(1)
	v_mul_f64 v[117:118], v[91:92], v[141:142]
	v_mul_f64 v[101:102], v[89:90], v[141:142]
	s_waitcnt vmcnt(33)
	v_fma_f64 v[115:116], v[93:94], v[123:124], -v[115:116]
	v_fma_f64 v[107:108], v[95:96], v[123:124], v[107:108]
	ds_read_b128 v[93:96], v146 offset:1248
	v_add_f64 v[97:98], v[97:98], v[119:120]
	v_add_f64 v[99:100], v[99:100], v[113:114]
	s_waitcnt vmcnt(29) lgkmcnt(1)
	v_mul_f64 v[119:120], v[3:4], v[125:126]
	s_waitcnt vmcnt(28)
	v_fma_f64 v[117:118], v[89:90], v[143:144], -v[117:118]
	v_mul_f64 v[113:114], v[1:2], v[125:126]
	v_fma_f64 v[101:102], v[91:92], v[143:144], v[101:102]
	ds_read_b128 v[89:92], v146 offset:1264
	v_add_f64 v[97:98], v[97:98], v[115:116]
	v_add_f64 v[99:100], v[99:100], v[107:108]
	s_waitcnt vmcnt(27) lgkmcnt(1)
	v_mul_f64 v[115:116], v[95:96], v[163:164]
	v_mul_f64 v[107:108], v[93:94], v[163:164]
	s_waitcnt vmcnt(25)
	v_fma_f64 v[119:120], v[1:2], v[131:132], -v[119:120]
	v_fma_f64 v[113:114], v[3:4], v[131:132], v[113:114]
	ds_read_b128 v[1:4], v146 offset:1280
	v_add_f64 v[97:98], v[97:98], v[117:118]
	v_add_f64 v[99:100], v[99:100], v[101:102]
	s_waitcnt vmcnt(21) lgkmcnt(1)
	v_mul_f64 v[117:118], v[91:92], v[133:134]
	s_waitcnt vmcnt(20)
	v_fma_f64 v[115:116], v[93:94], v[167:168], -v[115:116]
	v_mul_f64 v[101:102], v[89:90], v[133:134]
	v_fma_f64 v[107:108], v[95:96], v[167:168], v[107:108]
	ds_read_b128 v[93:96], v146 offset:1296
	v_add_f64 v[97:98], v[97:98], v[119:120]
	v_add_f64 v[99:100], v[99:100], v[113:114]
	s_waitcnt vmcnt(19) lgkmcnt(1)
	v_mul_f64 v[119:120], v[3:4], v[153:154]
	v_mul_f64 v[113:114], v[1:2], v[153:154]
	s_waitcnt vmcnt(17)
	v_fma_f64 v[117:118], v[89:90], v[139:140], -v[117:118]
	v_fma_f64 v[101:102], v[91:92], v[139:140], v[101:102]
	ds_read_b128 v[89:92], v146 offset:1312
	v_add_f64 v[97:98], v[97:98], v[115:116]
	v_add_f64 v[99:100], v[99:100], v[107:108]
	s_waitcnt vmcnt(13) lgkmcnt(1)
	v_mul_f64 v[115:116], v[95:96], v[159:160]
	s_waitcnt vmcnt(12)
	v_fma_f64 v[119:120], v[1:2], v[172:173], -v[119:120]
	v_mul_f64 v[107:108], v[93:94], v[159:160]
	v_fma_f64 v[113:114], v[3:4], v[172:173], v[113:114]
	ds_read_b128 v[1:4], v146 offset:1328
	v_add_f64 v[97:98], v[97:98], v[117:118]
	v_add_f64 v[99:100], v[99:100], v[101:102]
	s_waitcnt vmcnt(11) lgkmcnt(1)
	v_mul_f64 v[117:118], v[91:92], v[165:166]
	v_mul_f64 v[101:102], v[89:90], v[165:166]
	s_waitcnt vmcnt(9)
	v_fma_f64 v[93:94], v[93:94], v[103:104], -v[115:116]
	v_fma_f64 v[95:96], v[95:96], v[103:104], v[107:108]
	v_add_f64 v[97:98], v[97:98], v[119:120]
	v_add_f64 v[99:100], v[99:100], v[113:114]
	s_waitcnt vmcnt(7) lgkmcnt(0)
	v_mul_f64 v[107:108], v[3:4], v[109:110]
	s_waitcnt vmcnt(6)
	v_fma_f64 v[89:90], v[89:90], v[169:170], -v[117:118]
	v_mul_f64 v[103:104], v[1:2], v[109:110]
	v_fma_f64 v[91:92], v[91:92], v[169:170], v[101:102]
	v_add_f64 v[93:94], v[97:98], v[93:94]
	v_add_f64 v[95:96], v[99:100], v[95:96]
	s_waitcnt vmcnt(4)
	v_fma_f64 v[1:2], v[1:2], v[105:106], -v[107:108]
	v_fma_f64 v[3:4], v[3:4], v[105:106], v[103:104]
	v_add_f64 v[89:90], v[93:94], v[89:90]
	v_add_f64 v[91:92], v[95:96], v[91:92]
	;; [unrolled: 1-line block ×4, first 2 shown]
	s_waitcnt vmcnt(2)
	v_add_f64 v[1:2], v[111:112], -v[1:2]
	s_waitcnt vmcnt(0)
	v_add_f64 v[3:4], v[149:150], -v[3:4]
	buffer_store_dword v2, off, s[0:3], 0 offset:68
	buffer_store_dword v1, off, s[0:3], 0 offset:64
	;; [unrolled: 1-line block ×4, first 2 shown]
	v_cmpx_lt_u32_e32 2, v0
	s_cbranch_execz .LBB105_261
; %bb.260:
	v_mov_b32_e32 v4, s52
	v_mov_b32_e32 v89, 0
	s_clause 0x3
	buffer_load_dword v1, v4, s[0:3], 0 offen
	buffer_load_dword v2, v4, s[0:3], 0 offen offset:4
	buffer_load_dword v3, v4, s[0:3], 0 offen offset:8
	;; [unrolled: 1-line block ×3, first 2 shown]
	buffer_store_dword v89, off, s[0:3], 0 offset:48
	buffer_store_dword v89, off, s[0:3], 0 offset:52
	;; [unrolled: 1-line block ×4, first 2 shown]
	s_waitcnt vmcnt(0)
	ds_write_b128 v145, v[1:4]
.LBB105_261:
	s_or_b32 exec_lo, exec_lo, s4
	s_waitcnt lgkmcnt(0)
	s_waitcnt_vscnt null, 0x0
	s_barrier
	buffer_gl0_inv
	s_clause 0x37
	buffer_load_dword v93, off, s[0:3], 0 offset:72
	buffer_load_dword v94, off, s[0:3], 0 offset:76
	;; [unrolled: 1-line block ×56, first 2 shown]
	v_mov_b32_e32 v146, 0
	s_mov_b32 s4, exec_lo
	ds_read_b128 v[147:150], v146 offset:720
	s_clause 0x2
	buffer_load_dword v142, off, s[0:3], 0 offset:300
	buffer_load_dword v144, off, s[0:3], 0 offset:276
	;; [unrolled: 1-line block ×3, first 2 shown]
	ds_read_b128 v[151:154], v146 offset:736
	s_clause 0x4
	buffer_load_dword v162, off, s[0:3], 0 offset:316
	buffer_load_dword v163, off, s[0:3], 0 offset:328
	;; [unrolled: 1-line block ×5, first 2 shown]
	ds_read_b128 v[155:158], v146 offset:752
	s_clause 0x2
	buffer_load_dword v164, off, s[0:3], 0 offset:332
	buffer_load_dword v169, off, s[0:3], 0 offset:308
	;; [unrolled: 1-line block ×3, first 2 shown]
	s_waitcnt vmcnt(62) lgkmcnt(2)
	v_mul_f64 v[159:160], v[149:150], v[93:94]
	v_mul_f64 v[93:94], v[147:148], v[93:94]
	s_waitcnt lgkmcnt(1)
	v_mul_f64 v[166:167], v[153:154], v[89:90]
	s_waitcnt vmcnt(59) lgkmcnt(0)
	v_mul_f64 v[170:171], v[157:158], v[3:4]
	v_fma_f64 v[147:148], v[147:148], v[91:92], -v[159:160]
	v_mul_f64 v[159:160], v[151:152], v[89:90]
	v_fma_f64 v[93:94], v[149:150], v[91:92], v[93:94]
	s_waitcnt vmcnt(57)
	v_fma_f64 v[151:152], v[151:152], v[1:2], -v[166:167]
	ds_read_b128 v[89:92], v146 offset:768
	v_mul_f64 v[149:150], v[155:156], v[3:4]
	s_waitcnt vmcnt(51)
	v_fma_f64 v[155:156], v[155:156], v[109:110], -v[170:171]
	v_add_f64 v[147:148], v[147:148], 0
	v_fma_f64 v[153:154], v[153:154], v[1:2], v[159:160]
	v_add_f64 v[93:94], v[93:94], 0
	s_clause 0x4
	buffer_load_dword v160, off, s[0:3], 0 offset:348
	buffer_load_dword v172, off, s[0:3], 0 offset:360
	;; [unrolled: 1-line block ×5, first 2 shown]
	s_waitcnt lgkmcnt(0)
	v_mul_f64 v[175:176], v[89:90], v[97:98]
	v_mul_f64 v[97:98], v[91:92], v[97:98]
	ds_read_b128 v[1:4], v146 offset:784
	v_fma_f64 v[109:110], v[157:158], v[109:110], v[149:150]
	v_add_f64 v[151:152], v[147:148], v[151:152]
	v_add_f64 v[93:94], v[93:94], v[153:154]
	s_clause 0x2
	buffer_load_dword v173, off, s[0:3], 0 offset:364
	buffer_load_dword v154, off, s[0:3], 0 offset:340
	;; [unrolled: 1-line block ×3, first 2 shown]
	s_waitcnt vmcnt(58) lgkmcnt(0)
	v_mul_f64 v[157:158], v[1:2], v[101:102]
	v_mul_f64 v[101:102], v[3:4], v[101:102]
	s_waitcnt vmcnt(56)
	v_fma_f64 v[97:98], v[89:90], v[103:104], -v[97:98]
	ds_read_b128 v[147:150], v146 offset:800
	v_fma_f64 v[103:104], v[91:92], v[103:104], v[175:176]
	v_add_f64 v[151:152], v[151:152], v[155:156]
	v_add_f64 v[93:94], v[93:94], v[109:110]
	s_clause 0x4
	buffer_load_dword v110, off, s[0:3], 0 offset:380
	buffer_load_dword v155, off, s[0:3], 0 offset:392
	;; [unrolled: 1-line block ×5, first 2 shown]
	ds_read_b128 v[89:92], v146 offset:816
	s_waitcnt vmcnt(57) lgkmcnt(1)
	v_mul_f64 v[176:177], v[147:148], v[105:106]
	v_mul_f64 v[105:106], v[149:150], v[105:106]
	s_waitcnt vmcnt(56)
	v_fma_f64 v[101:102], v[1:2], v[95:96], -v[101:102]
	v_fma_f64 v[95:96], v[3:4], v[95:96], v[157:158]
	v_add_f64 v[97:98], v[151:152], v[97:98]
	v_add_f64 v[93:94], v[93:94], v[103:104]
	s_clause 0x2
	buffer_load_dword v156, off, s[0:3], 0 offset:396
	buffer_load_dword v104, off, s[0:3], 0 offset:372
	;; [unrolled: 1-line block ×3, first 2 shown]
	s_waitcnt vmcnt(58) lgkmcnt(0)
	v_mul_f64 v[151:152], v[89:90], v[111:112]
	v_mul_f64 v[111:112], v[91:92], v[111:112]
	s_waitcnt vmcnt(56)
	v_fma_f64 v[105:106], v[147:148], v[113:114], -v[105:106]
	ds_read_b128 v[1:4], v146 offset:832
	v_add_f64 v[97:98], v[97:98], v[101:102]
	v_fma_f64 v[101:102], v[149:150], v[113:114], v[176:177]
	v_add_f64 v[113:114], v[93:94], v[95:96]
	s_clause 0x4
	buffer_load_dword v148, off, s[0:3], 0 offset:412
	buffer_load_dword v149, off, s[0:3], 0 offset:424
	;; [unrolled: 1-line block ×5, first 2 shown]
	ds_read_b128 v[93:96], v146 offset:848
	s_waitcnt vmcnt(57) lgkmcnt(1)
	v_mul_f64 v[176:177], v[1:2], v[115:116]
	v_mul_f64 v[115:116], v[3:4], v[115:116]
	s_waitcnt vmcnt(56)
	v_fma_f64 v[111:112], v[89:90], v[99:100], -v[111:112]
	v_fma_f64 v[99:100], v[91:92], v[99:100], v[151:152]
	v_add_f64 v[97:98], v[97:98], v[105:106]
	s_clause 0x2
	buffer_load_dword v150, off, s[0:3], 0 offset:428
	buffer_load_dword v106, off, s[0:3], 0 offset:404
	;; [unrolled: 1-line block ×3, first 2 shown]
	v_add_f64 v[101:102], v[113:114], v[101:102]
	s_waitcnt vmcnt(58) lgkmcnt(0)
	v_mul_f64 v[113:114], v[93:94], v[119:120]
	v_mul_f64 v[119:120], v[95:96], v[119:120]
	ds_read_b128 v[89:92], v146 offset:864
	s_waitcnt vmcnt(56)
	v_fma_f64 v[115:116], v[1:2], v[121:122], -v[115:116]
	v_add_f64 v[97:98], v[97:98], v[111:112]
	v_fma_f64 v[111:112], v[3:4], v[121:122], v[176:177]
	v_add_f64 v[99:100], v[101:102], v[99:100]
	s_clause 0x4
	buffer_load_dword v102, off, s[0:3], 0 offset:444
	buffer_load_dword v121, off, s[0:3], 0 offset:456
	;; [unrolled: 1-line block ×5, first 2 shown]
	s_waitcnt vmcnt(57) lgkmcnt(0)
	v_mul_f64 v[176:177], v[89:90], v[123:124]
	v_mul_f64 v[123:124], v[91:92], v[123:124]
	s_waitcnt vmcnt(56)
	v_fma_f64 v[119:120], v[93:94], v[107:108], -v[119:120]
	ds_read_b128 v[1:4], v146 offset:880
	v_fma_f64 v[107:108], v[95:96], v[107:108], v[113:114]
	v_add_f64 v[97:98], v[97:98], v[115:116]
	v_add_f64 v[99:100], v[99:100], v[111:112]
	s_clause 0x2
	buffer_load_dword v122, off, s[0:3], 0 offset:460
	buffer_load_dword v112, off, s[0:3], 0 offset:436
	;; [unrolled: 1-line block ×3, first 2 shown]
	ds_read_b128 v[93:96], v146 offset:896
	s_waitcnt vmcnt(58) lgkmcnt(1)
	v_mul_f64 v[115:116], v[3:4], v[127:128]
	s_waitcnt vmcnt(56)
	v_fma_f64 v[123:124], v[89:90], v[129:130], -v[123:124]
	v_mul_f64 v[113:114], v[1:2], v[127:128]
	v_add_f64 v[97:98], v[97:98], v[119:120]
	v_fma_f64 v[119:120], v[91:92], v[129:130], v[176:177]
	v_add_f64 v[99:100], v[99:100], v[107:108]
	s_clause 0x4
	buffer_load_dword v108, off, s[0:3], 0 offset:476
	buffer_load_dword v127, off, s[0:3], 0 offset:488
	;; [unrolled: 1-line block ×5, first 2 shown]
	s_waitcnt vmcnt(57) lgkmcnt(0)
	v_mul_f64 v[176:177], v[93:94], v[131:132]
	v_mul_f64 v[130:131], v[95:96], v[131:132]
	s_waitcnt vmcnt(56)
	v_fma_f64 v[115:116], v[1:2], v[117:118], -v[115:116]
	ds_read_b128 v[89:92], v146 offset:912
	v_fma_f64 v[113:114], v[3:4], v[117:118], v[113:114]
	s_clause 0x2
	buffer_load_dword v128, off, s[0:3], 0 offset:492
	buffer_load_dword v118, off, s[0:3], 0 offset:468
	;; [unrolled: 1-line block ×3, first 2 shown]
	ds_read_b128 v[1:4], v146 offset:928
	v_add_f64 v[97:98], v[97:98], v[123:124]
	v_add_f64 v[99:100], v[99:100], v[119:120]
	s_waitcnt vmcnt(58) lgkmcnt(1)
	v_mul_f64 v[123:124], v[91:92], v[135:136]
	s_waitcnt vmcnt(56)
	v_fma_f64 v[131:132], v[93:94], v[137:138], -v[130:131]
	v_mul_f64 v[119:120], v[89:90], v[135:136]
	v_add_f64 v[97:98], v[97:98], v[115:116]
	v_fma_f64 v[115:116], v[95:96], v[137:138], v[176:177]
	v_add_f64 v[99:100], v[99:100], v[113:114]
	s_clause 0x4
	buffer_load_dword v114, off, s[0:3], 0 offset:508
	buffer_load_dword v135, off, s[0:3], 0 offset:520
	;; [unrolled: 1-line block ×5, first 2 shown]
	s_waitcnt vmcnt(57) lgkmcnt(0)
	v_mul_f64 v[176:177], v[1:2], v[139:140]
	v_mul_f64 v[138:139], v[3:4], v[139:140]
	s_waitcnt vmcnt(56)
	v_fma_f64 v[123:124], v[89:90], v[125:126], -v[123:124]
	ds_read_b128 v[93:96], v146 offset:944
	v_fma_f64 v[119:120], v[91:92], v[125:126], v[119:120]
	v_add_f64 v[97:98], v[97:98], v[131:132]
	v_add_f64 v[99:100], v[99:100], v[115:116]
	s_clause 0x2
	buffer_load_dword v136, off, s[0:3], 0 offset:524
	buffer_load_dword v116, off, s[0:3], 0 offset:500
	;; [unrolled: 1-line block ×3, first 2 shown]
	ds_read_b128 v[89:92], v146 offset:960
	s_waitcnt vmcnt(58) lgkmcnt(1)
	v_mul_f64 v[131:132], v[95:96], v[141:142]
	s_waitcnt vmcnt(56)
	v_fma_f64 v[139:140], v[1:2], v[143:144], -v[138:139]
	v_mul_f64 v[125:126], v[93:94], v[141:142]
	v_add_f64 v[97:98], v[97:98], v[123:124]
	v_fma_f64 v[123:124], v[3:4], v[143:144], v[176:177]
	v_add_f64 v[99:100], v[99:100], v[119:120]
	s_clause 0x4
	buffer_load_dword v120, off, s[0:3], 0 offset:540
	buffer_load_dword v141, off, s[0:3], 0 offset:552
	;; [unrolled: 1-line block ×5, first 2 shown]
	s_waitcnt vmcnt(57) lgkmcnt(0)
	v_mul_f64 v[176:177], v[89:90], v[161:162]
	v_mul_f64 v[161:162], v[91:92], v[161:162]
	s_waitcnt vmcnt(56)
	v_fma_f64 v[131:132], v[93:94], v[133:134], -v[131:132]
	ds_read_b128 v[1:4], v146 offset:976
	v_fma_f64 v[125:126], v[95:96], v[133:134], v[125:126]
	v_add_f64 v[97:98], v[97:98], v[139:140]
	v_add_f64 v[99:100], v[99:100], v[123:124]
	s_clause 0x2
	buffer_load_dword v142, off, s[0:3], 0 offset:556
	buffer_load_dword v124, off, s[0:3], 0 offset:532
	;; [unrolled: 1-line block ×3, first 2 shown]
	ds_read_b128 v[93:96], v146 offset:992
	s_waitcnt vmcnt(58) lgkmcnt(1)
	v_mul_f64 v[139:140], v[3:4], v[163:164]
	s_waitcnt vmcnt(56)
	v_fma_f64 v[161:162], v[89:90], v[168:169], -v[161:162]
	v_mul_f64 v[133:134], v[1:2], v[163:164]
	v_add_f64 v[97:98], v[97:98], v[131:132]
	v_fma_f64 v[131:132], v[91:92], v[168:169], v[176:177]
	v_add_f64 v[99:100], v[99:100], v[125:126]
	s_clause 0x4
	buffer_load_dword v126, off, s[0:3], 0 offset:572
	buffer_load_dword v163, off, s[0:3], 0 offset:584
	;; [unrolled: 1-line block ×5, first 2 shown]
	ds_read_b128 v[89:92], v146 offset:1008
	s_waitcnt vmcnt(57) lgkmcnt(1)
	v_mul_f64 v[168:169], v[93:94], v[159:160]
	v_mul_f64 v[159:160], v[95:96], v[159:160]
	s_waitcnt vmcnt(56)
	v_fma_f64 v[139:140], v[1:2], v[165:166], -v[139:140]
	v_fma_f64 v[133:134], v[3:4], v[165:166], v[133:134]
	v_add_f64 v[97:98], v[97:98], v[161:162]
	v_add_f64 v[99:100], v[99:100], v[131:132]
	s_clause 0x2
	buffer_load_dword v164, off, s[0:3], 0 offset:588
	buffer_load_dword v132, off, s[0:3], 0 offset:564
	;; [unrolled: 1-line block ×3, first 2 shown]
	ds_read_b128 v[1:4], v146 offset:1024
	s_waitcnt vmcnt(58) lgkmcnt(1)
	v_mul_f64 v[165:166], v[91:92], v[172:173]
	v_mul_f64 v[161:162], v[89:90], v[172:173]
	s_waitcnt vmcnt(56)
	v_fma_f64 v[159:160], v[93:94], v[153:154], -v[159:160]
	v_add_f64 v[97:98], v[97:98], v[139:140]
	v_fma_f64 v[139:140], v[95:96], v[153:154], v[168:169]
	v_add_f64 v[99:100], v[99:100], v[133:134]
	s_clause 0x4
	buffer_load_dword v134, off, s[0:3], 0 offset:604
	buffer_load_dword v153, off, s[0:3], 0 offset:616
	;; [unrolled: 1-line block ×5, first 2 shown]
	ds_read_b128 v[93:96], v146 offset:1040
	s_waitcnt vmcnt(57) lgkmcnt(1)
	v_mul_f64 v[176:177], v[1:2], v[109:110]
	v_mul_f64 v[109:110], v[3:4], v[109:110]
	s_waitcnt vmcnt(56)
	v_fma_f64 v[165:166], v[89:90], v[174:175], -v[165:166]
	v_add_f64 v[97:98], v[97:98], v[159:160]
	v_fma_f64 v[159:160], v[91:92], v[174:175], v[161:162]
	v_add_f64 v[99:100], v[99:100], v[139:140]
	s_clause 0x2
	buffer_load_dword v154, off, s[0:3], 0 offset:620
	buffer_load_dword v140, off, s[0:3], 0 offset:596
	;; [unrolled: 1-line block ×3, first 2 shown]
	ds_read_b128 v[89:92], v146 offset:1056
	s_waitcnt vmcnt(58) lgkmcnt(1)
	v_mul_f64 v[161:162], v[93:94], v[155:156]
	v_mul_f64 v[155:156], v[95:96], v[155:156]
	s_waitcnt vmcnt(56)
	v_fma_f64 v[109:110], v[1:2], v[103:104], -v[109:110]
	v_fma_f64 v[103:104], v[3:4], v[103:104], v[176:177]
	v_add_f64 v[97:98], v[97:98], v[165:166]
	v_add_f64 v[99:100], v[99:100], v[159:160]
	s_clause 0x4
	buffer_load_dword v160, off, s[0:3], 0 offset:636
	buffer_load_dword v165, off, s[0:3], 0 offset:648
	;; [unrolled: 1-line block ×5, first 2 shown]
	ds_read_b128 v[1:4], v146 offset:1072
	s_waitcnt vmcnt(57) lgkmcnt(1)
	v_mul_f64 v[174:175], v[89:90], v[147:148]
	v_mul_f64 v[147:148], v[91:92], v[147:148]
	s_waitcnt vmcnt(56)
	v_fma_f64 v[155:156], v[93:94], v[170:171], -v[155:156]
	v_add_f64 v[97:98], v[97:98], v[109:110]
	v_fma_f64 v[109:110], v[95:96], v[170:171], v[161:162]
	v_add_f64 v[99:100], v[99:100], v[103:104]
	s_clause 0x2
	buffer_load_dword v166, off, s[0:3], 0 offset:652
	buffer_load_dword v104, off, s[0:3], 0 offset:628
	;; [unrolled: 1-line block ×3, first 2 shown]
	ds_read_b128 v[93:96], v146 offset:1088
	s_waitcnt vmcnt(58) lgkmcnt(1)
	v_mul_f64 v[161:162], v[1:2], v[149:150]
	v_mul_f64 v[149:150], v[3:4], v[149:150]
	s_waitcnt vmcnt(56)
	v_fma_f64 v[147:148], v[89:90], v[105:106], -v[147:148]
	v_fma_f64 v[105:106], v[91:92], v[105:106], v[174:175]
	v_add_f64 v[97:98], v[97:98], v[155:156]
	v_add_f64 v[99:100], v[99:100], v[109:110]
	s_clause 0x4
	buffer_load_dword v110, off, s[0:3], 0 offset:668
	buffer_load_dword v155, off, s[0:3], 0 offset:680
	;; [unrolled: 1-line block ×5, first 2 shown]
	ds_read_b128 v[89:92], v146 offset:1104
	s_waitcnt vmcnt(57) lgkmcnt(1)
	v_mul_f64 v[175:176], v[93:94], v[101:102]
	v_mul_f64 v[101:102], v[95:96], v[101:102]
	s_waitcnt vmcnt(56)
	v_fma_f64 v[149:150], v[1:2], v[157:158], -v[149:150]
	v_add_f64 v[97:98], v[97:98], v[147:148]
	v_fma_f64 v[147:148], v[3:4], v[157:158], v[161:162]
	v_add_f64 v[99:100], v[99:100], v[105:106]
	s_clause 0x2
	buffer_load_dword v156, off, s[0:3], 0 offset:684
	buffer_load_dword v106, off, s[0:3], 0 offset:660
	;; [unrolled: 1-line block ×3, first 2 shown]
	ds_read_b128 v[1:4], v146 offset:1120
	s_waitcnt vmcnt(58) lgkmcnt(1)
	v_mul_f64 v[157:158], v[89:90], v[121:122]
	v_mul_f64 v[121:122], v[91:92], v[121:122]
	s_waitcnt vmcnt(56)
	v_fma_f64 v[101:102], v[93:94], v[111:112], -v[101:102]
	v_fma_f64 v[111:112], v[95:96], v[111:112], v[175:176]
	buffer_load_dword v175, off, s[0:3], 0 offset:676
	ds_read_b128 v[93:96], v146 offset:1136
	v_add_f64 v[97:98], v[97:98], v[149:150]
	v_add_f64 v[99:100], v[99:100], v[147:148]
	s_waitcnt vmcnt(53) lgkmcnt(1)
	v_mul_f64 v[147:148], v[1:2], v[107:108]
	v_mul_f64 v[107:108], v[3:4], v[107:108]
	s_waitcnt vmcnt(52)
	v_fma_f64 v[121:122], v[89:90], v[151:152], -v[121:122]
	v_add_f64 v[97:98], v[97:98], v[101:102]
	v_fma_f64 v[101:102], v[91:92], v[151:152], v[157:158]
	v_add_f64 v[99:100], v[99:100], v[111:112]
	s_waitcnt vmcnt(51) lgkmcnt(0)
	v_mul_f64 v[111:112], v[93:94], v[127:128]
	v_mul_f64 v[127:128], v[95:96], v[127:128]
	ds_read_b128 v[89:92], v146 offset:1152
	s_waitcnt vmcnt(49)
	v_fma_f64 v[107:108], v[1:2], v[117:118], -v[107:108]
	v_fma_f64 v[117:118], v[3:4], v[117:118], v[147:148]
	v_add_f64 v[97:98], v[97:98], v[121:122]
	v_add_f64 v[99:100], v[99:100], v[101:102]
	s_clause 0x3
	buffer_load_dword v101, off, s[0:3], 0 offset:48
	buffer_load_dword v102, off, s[0:3], 0 offset:52
	;; [unrolled: 1-line block ×4, first 2 shown]
	ds_read_b128 v[1:4], v146 offset:1168
	s_waitcnt vmcnt(49) lgkmcnt(1)
	v_mul_f64 v[147:148], v[89:90], v[113:114]
	v_mul_f64 v[113:114], v[91:92], v[113:114]
	s_waitcnt vmcnt(48)
	v_fma_f64 v[127:128], v[93:94], v[129:130], -v[127:128]
	v_add_f64 v[97:98], v[97:98], v[107:108]
	v_fma_f64 v[107:108], v[95:96], v[129:130], v[111:112]
	v_add_f64 v[99:100], v[99:100], v[117:118]
	ds_read_b128 v[93:96], v146 offset:1184
	s_waitcnt vmcnt(47) lgkmcnt(1)
	v_mul_f64 v[117:118], v[3:4], v[135:136]
	v_mul_f64 v[111:112], v[1:2], v[135:136]
	s_waitcnt vmcnt(45)
	v_fma_f64 v[113:114], v[89:90], v[115:116], -v[113:114]
	v_fma_f64 v[115:116], v[91:92], v[115:116], v[147:148]
	ds_read_b128 v[89:92], v146 offset:1200
	v_add_f64 v[97:98], v[97:98], v[127:128]
	v_add_f64 v[99:100], v[99:100], v[107:108]
	s_waitcnt vmcnt(41) lgkmcnt(1)
	v_mul_f64 v[107:108], v[93:94], v[119:120]
	v_mul_f64 v[119:120], v[95:96], v[119:120]
	s_waitcnt vmcnt(40)
	v_fma_f64 v[117:118], v[1:2], v[137:138], -v[117:118]
	v_fma_f64 v[111:112], v[3:4], v[137:138], v[111:112]
	ds_read_b128 v[1:4], v146 offset:1216
	v_add_f64 v[97:98], v[97:98], v[113:114]
	v_add_f64 v[99:100], v[99:100], v[115:116]
	;; [unrolled: 9-line block ×3, first 2 shown]
	s_waitcnt vmcnt(33) lgkmcnt(1)
	v_mul_f64 v[117:118], v[3:4], v[125:126]
	s_waitcnt vmcnt(32)
	v_fma_f64 v[115:116], v[89:90], v[143:144], -v[115:116]
	v_mul_f64 v[111:112], v[1:2], v[125:126]
	v_fma_f64 v[113:114], v[91:92], v[143:144], v[113:114]
	ds_read_b128 v[89:92], v146 offset:1248
	v_add_f64 v[97:98], v[97:98], v[119:120]
	v_add_f64 v[99:100], v[99:100], v[107:108]
	s_waitcnt vmcnt(31) lgkmcnt(1)
	v_mul_f64 v[119:120], v[95:96], v[163:164]
	v_mul_f64 v[107:108], v[93:94], v[163:164]
	s_waitcnt vmcnt(29)
	v_fma_f64 v[117:118], v[1:2], v[131:132], -v[117:118]
	v_fma_f64 v[111:112], v[3:4], v[131:132], v[111:112]
	ds_read_b128 v[1:4], v146 offset:1264
	v_add_f64 v[97:98], v[97:98], v[115:116]
	v_add_f64 v[99:100], v[99:100], v[113:114]
	s_waitcnt vmcnt(25) lgkmcnt(1)
	v_mul_f64 v[115:116], v[91:92], v[133:134]
	s_waitcnt vmcnt(24)
	v_fma_f64 v[119:120], v[93:94], v[167:168], -v[119:120]
	v_mul_f64 v[113:114], v[89:90], v[133:134]
	v_fma_f64 v[107:108], v[95:96], v[167:168], v[107:108]
	ds_read_b128 v[93:96], v146 offset:1280
	v_add_f64 v[97:98], v[97:98], v[117:118]
	v_add_f64 v[99:100], v[99:100], v[111:112]
	s_waitcnt vmcnt(23) lgkmcnt(1)
	v_mul_f64 v[117:118], v[3:4], v[153:154]
	v_mul_f64 v[111:112], v[1:2], v[153:154]
	s_waitcnt vmcnt(21)
	v_fma_f64 v[115:116], v[89:90], v[139:140], -v[115:116]
	v_fma_f64 v[113:114], v[91:92], v[139:140], v[113:114]
	ds_read_b128 v[89:92], v146 offset:1296
	v_add_f64 v[97:98], v[97:98], v[119:120]
	v_add_f64 v[99:100], v[99:100], v[107:108]
	;; [unrolled: 18-line block ×3, first 2 shown]
	s_waitcnt vmcnt(9) lgkmcnt(1)
	v_mul_f64 v[107:108], v[1:2], v[109:110]
	v_mul_f64 v[109:110], v[3:4], v[109:110]
	s_waitcnt vmcnt(8)
	v_fma_f64 v[89:90], v[89:90], v[169:170], -v[115:116]
	v_fma_f64 v[91:92], v[91:92], v[169:170], v[113:114]
	v_add_f64 v[97:98], v[97:98], v[119:120]
	v_add_f64 v[99:100], v[99:100], v[103:104]
	s_waitcnt vmcnt(7) lgkmcnt(0)
	v_mul_f64 v[111:112], v[95:96], v[155:156]
	v_mul_f64 v[103:104], v[93:94], v[155:156]
	s_waitcnt vmcnt(5)
	v_fma_f64 v[1:2], v[1:2], v[105:106], -v[109:110]
	v_fma_f64 v[3:4], v[3:4], v[105:106], v[107:108]
	v_add_f64 v[89:90], v[97:98], v[89:90]
	v_add_f64 v[91:92], v[99:100], v[91:92]
	s_waitcnt vmcnt(4)
	v_fma_f64 v[93:94], v[93:94], v[174:175], -v[111:112]
	v_add_f64 v[1:2], v[89:90], v[1:2]
	v_fma_f64 v[89:90], v[95:96], v[174:175], v[103:104]
	v_add_f64 v[3:4], v[91:92], v[3:4]
	v_add_f64 v[1:2], v[1:2], v[93:94]
	;; [unrolled: 1-line block ×3, first 2 shown]
	s_waitcnt vmcnt(2)
	v_add_f64 v[1:2], v[101:102], -v[1:2]
	s_waitcnt vmcnt(0)
	v_add_f64 v[3:4], v[121:122], -v[3:4]
	buffer_store_dword v2, off, s[0:3], 0 offset:52
	buffer_store_dword v1, off, s[0:3], 0 offset:48
	;; [unrolled: 1-line block ×4, first 2 shown]
	v_cmpx_lt_u32_e32 1, v0
	s_cbranch_execz .LBB105_263
; %bb.262:
	v_mov_b32_e32 v4, s53
	s_clause 0x3
	buffer_load_dword v1, v4, s[0:3], 0 offen
	buffer_load_dword v2, v4, s[0:3], 0 offen offset:4
	buffer_load_dword v3, v4, s[0:3], 0 offen offset:8
	;; [unrolled: 1-line block ×3, first 2 shown]
	buffer_store_dword v146, off, s[0:3], 0 offset:32
	buffer_store_dword v146, off, s[0:3], 0 offset:36
	;; [unrolled: 1-line block ×4, first 2 shown]
	s_waitcnt vmcnt(0)
	ds_write_b128 v145, v[1:4]
.LBB105_263:
	s_or_b32 exec_lo, exec_lo, s4
	s_waitcnt lgkmcnt(0)
	s_waitcnt_vscnt null, 0x0
	s_barrier
	buffer_gl0_inv
	s_clause 0x37
	buffer_load_dword v93, off, s[0:3], 0 offset:56
	buffer_load_dword v94, off, s[0:3], 0 offset:60
	;; [unrolled: 1-line block ×56, first 2 shown]
	ds_read_b128 v[147:150], v146 offset:704
	s_clause 0x2
	buffer_load_dword v142, off, s[0:3], 0 offset:284
	buffer_load_dword v144, off, s[0:3], 0 offset:260
	;; [unrolled: 1-line block ×3, first 2 shown]
	ds_read_b128 v[151:154], v146 offset:720
	s_clause 0x4
	buffer_load_dword v162, off, s[0:3], 0 offset:300
	buffer_load_dword v163, off, s[0:3], 0 offset:312
	;; [unrolled: 1-line block ×5, first 2 shown]
	ds_read_b128 v[155:158], v146 offset:736
	s_clause 0x2
	buffer_load_dword v164, off, s[0:3], 0 offset:316
	buffer_load_dword v169, off, s[0:3], 0 offset:292
	;; [unrolled: 1-line block ×3, first 2 shown]
	s_mov_b32 s4, exec_lo
	s_waitcnt vmcnt(62) lgkmcnt(2)
	v_mul_f64 v[159:160], v[149:150], v[93:94]
	v_mul_f64 v[93:94], v[147:148], v[93:94]
	s_waitcnt lgkmcnt(1)
	v_mul_f64 v[166:167], v[153:154], v[89:90]
	s_waitcnt vmcnt(59) lgkmcnt(0)
	v_mul_f64 v[170:171], v[157:158], v[3:4]
	v_fma_f64 v[147:148], v[147:148], v[91:92], -v[159:160]
	v_mul_f64 v[159:160], v[151:152], v[89:90]
	v_fma_f64 v[93:94], v[149:150], v[91:92], v[93:94]
	s_waitcnt vmcnt(57)
	v_fma_f64 v[151:152], v[151:152], v[1:2], -v[166:167]
	ds_read_b128 v[89:92], v146 offset:752
	v_mul_f64 v[149:150], v[155:156], v[3:4]
	s_waitcnt vmcnt(51)
	v_fma_f64 v[155:156], v[155:156], v[109:110], -v[170:171]
	v_add_f64 v[147:148], v[147:148], 0
	v_fma_f64 v[153:154], v[153:154], v[1:2], v[159:160]
	v_add_f64 v[93:94], v[93:94], 0
	s_clause 0x4
	buffer_load_dword v160, off, s[0:3], 0 offset:332
	buffer_load_dword v172, off, s[0:3], 0 offset:344
	;; [unrolled: 1-line block ×5, first 2 shown]
	s_waitcnt lgkmcnt(0)
	v_mul_f64 v[175:176], v[89:90], v[97:98]
	v_mul_f64 v[97:98], v[91:92], v[97:98]
	ds_read_b128 v[1:4], v146 offset:768
	v_fma_f64 v[109:110], v[157:158], v[109:110], v[149:150]
	v_add_f64 v[151:152], v[147:148], v[151:152]
	v_add_f64 v[93:94], v[93:94], v[153:154]
	s_clause 0x2
	buffer_load_dword v173, off, s[0:3], 0 offset:348
	buffer_load_dword v154, off, s[0:3], 0 offset:324
	;; [unrolled: 1-line block ×3, first 2 shown]
	s_waitcnt vmcnt(58) lgkmcnt(0)
	v_mul_f64 v[157:158], v[1:2], v[101:102]
	v_mul_f64 v[101:102], v[3:4], v[101:102]
	s_waitcnt vmcnt(56)
	v_fma_f64 v[97:98], v[89:90], v[103:104], -v[97:98]
	ds_read_b128 v[147:150], v146 offset:784
	v_fma_f64 v[103:104], v[91:92], v[103:104], v[175:176]
	v_add_f64 v[151:152], v[151:152], v[155:156]
	v_add_f64 v[93:94], v[93:94], v[109:110]
	s_clause 0x4
	buffer_load_dword v110, off, s[0:3], 0 offset:364
	buffer_load_dword v155, off, s[0:3], 0 offset:376
	;; [unrolled: 1-line block ×5, first 2 shown]
	ds_read_b128 v[89:92], v146 offset:800
	s_waitcnt vmcnt(57) lgkmcnt(1)
	v_mul_f64 v[176:177], v[147:148], v[105:106]
	v_mul_f64 v[105:106], v[149:150], v[105:106]
	s_waitcnt vmcnt(56)
	v_fma_f64 v[101:102], v[1:2], v[95:96], -v[101:102]
	v_fma_f64 v[95:96], v[3:4], v[95:96], v[157:158]
	v_add_f64 v[97:98], v[151:152], v[97:98]
	v_add_f64 v[93:94], v[93:94], v[103:104]
	s_clause 0x2
	buffer_load_dword v156, off, s[0:3], 0 offset:380
	buffer_load_dword v104, off, s[0:3], 0 offset:356
	;; [unrolled: 1-line block ×3, first 2 shown]
	s_waitcnt vmcnt(58) lgkmcnt(0)
	v_mul_f64 v[151:152], v[89:90], v[111:112]
	v_mul_f64 v[111:112], v[91:92], v[111:112]
	s_waitcnt vmcnt(56)
	v_fma_f64 v[105:106], v[147:148], v[113:114], -v[105:106]
	ds_read_b128 v[1:4], v146 offset:816
	v_add_f64 v[97:98], v[97:98], v[101:102]
	v_fma_f64 v[101:102], v[149:150], v[113:114], v[176:177]
	v_add_f64 v[113:114], v[93:94], v[95:96]
	s_clause 0x4
	buffer_load_dword v148, off, s[0:3], 0 offset:396
	buffer_load_dword v149, off, s[0:3], 0 offset:408
	;; [unrolled: 1-line block ×5, first 2 shown]
	ds_read_b128 v[93:96], v146 offset:832
	s_waitcnt vmcnt(57) lgkmcnt(1)
	v_mul_f64 v[176:177], v[1:2], v[115:116]
	v_mul_f64 v[115:116], v[3:4], v[115:116]
	s_waitcnt vmcnt(56)
	v_fma_f64 v[111:112], v[89:90], v[99:100], -v[111:112]
	v_fma_f64 v[99:100], v[91:92], v[99:100], v[151:152]
	v_add_f64 v[97:98], v[97:98], v[105:106]
	s_clause 0x2
	buffer_load_dword v150, off, s[0:3], 0 offset:412
	buffer_load_dword v106, off, s[0:3], 0 offset:388
	buffer_load_dword v105, off, s[0:3], 0 offset:384
	v_add_f64 v[101:102], v[113:114], v[101:102]
	s_waitcnt vmcnt(58) lgkmcnt(0)
	v_mul_f64 v[113:114], v[93:94], v[119:120]
	v_mul_f64 v[119:120], v[95:96], v[119:120]
	ds_read_b128 v[89:92], v146 offset:848
	s_waitcnt vmcnt(56)
	v_fma_f64 v[115:116], v[1:2], v[121:122], -v[115:116]
	v_add_f64 v[97:98], v[97:98], v[111:112]
	v_fma_f64 v[111:112], v[3:4], v[121:122], v[176:177]
	v_add_f64 v[99:100], v[101:102], v[99:100]
	s_clause 0x4
	buffer_load_dword v102, off, s[0:3], 0 offset:428
	buffer_load_dword v121, off, s[0:3], 0 offset:440
	;; [unrolled: 1-line block ×5, first 2 shown]
	s_waitcnt vmcnt(57) lgkmcnt(0)
	v_mul_f64 v[176:177], v[89:90], v[123:124]
	v_mul_f64 v[123:124], v[91:92], v[123:124]
	s_waitcnt vmcnt(56)
	v_fma_f64 v[119:120], v[93:94], v[107:108], -v[119:120]
	ds_read_b128 v[1:4], v146 offset:864
	v_fma_f64 v[107:108], v[95:96], v[107:108], v[113:114]
	v_add_f64 v[97:98], v[97:98], v[115:116]
	v_add_f64 v[99:100], v[99:100], v[111:112]
	s_clause 0x2
	buffer_load_dword v122, off, s[0:3], 0 offset:444
	buffer_load_dword v112, off, s[0:3], 0 offset:420
	;; [unrolled: 1-line block ×3, first 2 shown]
	ds_read_b128 v[93:96], v146 offset:880
	s_waitcnt vmcnt(58) lgkmcnt(1)
	v_mul_f64 v[115:116], v[3:4], v[127:128]
	s_waitcnt vmcnt(56)
	v_fma_f64 v[123:124], v[89:90], v[129:130], -v[123:124]
	v_mul_f64 v[113:114], v[1:2], v[127:128]
	v_add_f64 v[97:98], v[97:98], v[119:120]
	v_fma_f64 v[119:120], v[91:92], v[129:130], v[176:177]
	v_add_f64 v[99:100], v[99:100], v[107:108]
	s_clause 0x4
	buffer_load_dword v108, off, s[0:3], 0 offset:460
	buffer_load_dword v127, off, s[0:3], 0 offset:472
	;; [unrolled: 1-line block ×5, first 2 shown]
	s_waitcnt vmcnt(57) lgkmcnt(0)
	v_mul_f64 v[176:177], v[93:94], v[131:132]
	v_mul_f64 v[130:131], v[95:96], v[131:132]
	s_waitcnt vmcnt(56)
	v_fma_f64 v[115:116], v[1:2], v[117:118], -v[115:116]
	ds_read_b128 v[89:92], v146 offset:896
	v_fma_f64 v[113:114], v[3:4], v[117:118], v[113:114]
	s_clause 0x2
	buffer_load_dword v128, off, s[0:3], 0 offset:476
	buffer_load_dword v118, off, s[0:3], 0 offset:452
	;; [unrolled: 1-line block ×3, first 2 shown]
	ds_read_b128 v[1:4], v146 offset:912
	v_add_f64 v[97:98], v[97:98], v[123:124]
	v_add_f64 v[99:100], v[99:100], v[119:120]
	s_waitcnt vmcnt(58) lgkmcnt(1)
	v_mul_f64 v[123:124], v[91:92], v[135:136]
	s_waitcnt vmcnt(56)
	v_fma_f64 v[131:132], v[93:94], v[137:138], -v[130:131]
	v_mul_f64 v[119:120], v[89:90], v[135:136]
	v_add_f64 v[97:98], v[97:98], v[115:116]
	v_fma_f64 v[115:116], v[95:96], v[137:138], v[176:177]
	v_add_f64 v[99:100], v[99:100], v[113:114]
	s_clause 0x4
	buffer_load_dword v114, off, s[0:3], 0 offset:492
	buffer_load_dword v135, off, s[0:3], 0 offset:504
	;; [unrolled: 1-line block ×5, first 2 shown]
	s_waitcnt vmcnt(57) lgkmcnt(0)
	v_mul_f64 v[176:177], v[1:2], v[139:140]
	v_mul_f64 v[138:139], v[3:4], v[139:140]
	s_waitcnt vmcnt(56)
	v_fma_f64 v[123:124], v[89:90], v[125:126], -v[123:124]
	ds_read_b128 v[93:96], v146 offset:928
	v_fma_f64 v[119:120], v[91:92], v[125:126], v[119:120]
	v_add_f64 v[97:98], v[97:98], v[131:132]
	v_add_f64 v[99:100], v[99:100], v[115:116]
	s_clause 0x2
	buffer_load_dword v136, off, s[0:3], 0 offset:508
	buffer_load_dword v116, off, s[0:3], 0 offset:484
	;; [unrolled: 1-line block ×3, first 2 shown]
	ds_read_b128 v[89:92], v146 offset:944
	s_waitcnt vmcnt(58) lgkmcnt(1)
	v_mul_f64 v[131:132], v[95:96], v[141:142]
	s_waitcnt vmcnt(56)
	v_fma_f64 v[139:140], v[1:2], v[143:144], -v[138:139]
	v_mul_f64 v[125:126], v[93:94], v[141:142]
	v_add_f64 v[97:98], v[97:98], v[123:124]
	v_fma_f64 v[123:124], v[3:4], v[143:144], v[176:177]
	v_add_f64 v[99:100], v[99:100], v[119:120]
	s_clause 0x4
	buffer_load_dword v120, off, s[0:3], 0 offset:524
	buffer_load_dword v141, off, s[0:3], 0 offset:536
	;; [unrolled: 1-line block ×5, first 2 shown]
	s_waitcnt vmcnt(57) lgkmcnt(0)
	v_mul_f64 v[176:177], v[89:90], v[161:162]
	v_mul_f64 v[161:162], v[91:92], v[161:162]
	s_waitcnt vmcnt(56)
	v_fma_f64 v[131:132], v[93:94], v[133:134], -v[131:132]
	ds_read_b128 v[1:4], v146 offset:960
	v_fma_f64 v[125:126], v[95:96], v[133:134], v[125:126]
	v_add_f64 v[97:98], v[97:98], v[139:140]
	v_add_f64 v[99:100], v[99:100], v[123:124]
	s_clause 0x2
	buffer_load_dword v142, off, s[0:3], 0 offset:540
	buffer_load_dword v124, off, s[0:3], 0 offset:516
	;; [unrolled: 1-line block ×3, first 2 shown]
	ds_read_b128 v[93:96], v146 offset:976
	s_waitcnt vmcnt(58) lgkmcnt(1)
	v_mul_f64 v[139:140], v[3:4], v[163:164]
	s_waitcnt vmcnt(56)
	v_fma_f64 v[161:162], v[89:90], v[168:169], -v[161:162]
	v_mul_f64 v[133:134], v[1:2], v[163:164]
	v_add_f64 v[97:98], v[97:98], v[131:132]
	v_fma_f64 v[131:132], v[91:92], v[168:169], v[176:177]
	v_add_f64 v[99:100], v[99:100], v[125:126]
	s_clause 0x4
	buffer_load_dword v126, off, s[0:3], 0 offset:556
	buffer_load_dword v163, off, s[0:3], 0 offset:568
	;; [unrolled: 1-line block ×5, first 2 shown]
	ds_read_b128 v[89:92], v146 offset:992
	s_waitcnt vmcnt(57) lgkmcnt(1)
	v_mul_f64 v[168:169], v[93:94], v[159:160]
	v_mul_f64 v[159:160], v[95:96], v[159:160]
	s_waitcnt vmcnt(56)
	v_fma_f64 v[139:140], v[1:2], v[165:166], -v[139:140]
	v_fma_f64 v[133:134], v[3:4], v[165:166], v[133:134]
	v_add_f64 v[97:98], v[97:98], v[161:162]
	v_add_f64 v[99:100], v[99:100], v[131:132]
	s_clause 0x2
	buffer_load_dword v164, off, s[0:3], 0 offset:572
	buffer_load_dword v132, off, s[0:3], 0 offset:548
	;; [unrolled: 1-line block ×3, first 2 shown]
	ds_read_b128 v[1:4], v146 offset:1008
	s_waitcnt vmcnt(58) lgkmcnt(1)
	v_mul_f64 v[165:166], v[91:92], v[172:173]
	v_mul_f64 v[161:162], v[89:90], v[172:173]
	s_waitcnt vmcnt(56)
	v_fma_f64 v[159:160], v[93:94], v[153:154], -v[159:160]
	v_add_f64 v[97:98], v[97:98], v[139:140]
	v_fma_f64 v[139:140], v[95:96], v[153:154], v[168:169]
	v_add_f64 v[99:100], v[99:100], v[133:134]
	s_clause 0x4
	buffer_load_dword v134, off, s[0:3], 0 offset:588
	buffer_load_dword v153, off, s[0:3], 0 offset:600
	buffer_load_dword v172, off, s[0:3], 0 offset:592
	buffer_load_dword v133, off, s[0:3], 0 offset:584
	buffer_load_dword v168, off, s[0:3], 0 offset:564
	ds_read_b128 v[93:96], v146 offset:1024
	s_waitcnt vmcnt(57) lgkmcnt(1)
	v_mul_f64 v[176:177], v[1:2], v[109:110]
	v_mul_f64 v[109:110], v[3:4], v[109:110]
	s_waitcnt vmcnt(56)
	v_fma_f64 v[165:166], v[89:90], v[174:175], -v[165:166]
	v_add_f64 v[97:98], v[97:98], v[159:160]
	v_fma_f64 v[159:160], v[91:92], v[174:175], v[161:162]
	v_add_f64 v[99:100], v[99:100], v[139:140]
	s_clause 0x2
	buffer_load_dword v154, off, s[0:3], 0 offset:604
	buffer_load_dword v140, off, s[0:3], 0 offset:580
	buffer_load_dword v139, off, s[0:3], 0 offset:576
	ds_read_b128 v[89:92], v146 offset:1040
	s_waitcnt vmcnt(58) lgkmcnt(1)
	v_mul_f64 v[161:162], v[93:94], v[155:156]
	v_mul_f64 v[155:156], v[95:96], v[155:156]
	s_waitcnt vmcnt(56)
	v_fma_f64 v[109:110], v[1:2], v[103:104], -v[109:110]
	v_fma_f64 v[103:104], v[3:4], v[103:104], v[176:177]
	v_add_f64 v[97:98], v[97:98], v[165:166]
	v_add_f64 v[99:100], v[99:100], v[159:160]
	s_clause 0x4
	buffer_load_dword v160, off, s[0:3], 0 offset:620
	buffer_load_dword v165, off, s[0:3], 0 offset:632
	buffer_load_dword v169, off, s[0:3], 0 offset:624
	buffer_load_dword v159, off, s[0:3], 0 offset:616
	buffer_load_dword v173, off, s[0:3], 0 offset:596
	ds_read_b128 v[1:4], v146 offset:1056
	s_waitcnt vmcnt(57) lgkmcnt(1)
	v_mul_f64 v[174:175], v[89:90], v[147:148]
	v_mul_f64 v[147:148], v[91:92], v[147:148]
	s_waitcnt vmcnt(56)
	v_fma_f64 v[155:156], v[93:94], v[170:171], -v[155:156]
	v_add_f64 v[97:98], v[97:98], v[109:110]
	v_fma_f64 v[109:110], v[95:96], v[170:171], v[161:162]
	v_add_f64 v[99:100], v[99:100], v[103:104]
	s_clause 0x2
	buffer_load_dword v166, off, s[0:3], 0 offset:636
	buffer_load_dword v104, off, s[0:3], 0 offset:612
	buffer_load_dword v103, off, s[0:3], 0 offset:608
	ds_read_b128 v[93:96], v146 offset:1072
	s_waitcnt vmcnt(58) lgkmcnt(1)
	v_mul_f64 v[161:162], v[1:2], v[149:150]
	v_mul_f64 v[149:150], v[3:4], v[149:150]
	s_waitcnt vmcnt(56)
	v_fma_f64 v[147:148], v[89:90], v[105:106], -v[147:148]
	v_fma_f64 v[105:106], v[91:92], v[105:106], v[174:175]
	v_add_f64 v[97:98], v[97:98], v[155:156]
	;; [unrolled: 28-line block ×3, first 2 shown]
	v_add_f64 v[99:100], v[99:100], v[147:148]
	s_clause 0x2
	buffer_load_dword v148, off, s[0:3], 0 offset:684
	buffer_load_dword v147, off, s[0:3], 0 offset:680
	;; [unrolled: 1-line block ×3, first 2 shown]
	ds_read_b128 v[93:96], v146 offset:1120
	s_waitcnt vmcnt(55) lgkmcnt(1)
	v_mul_f64 v[149:150], v[1:2], v[107:108]
	v_mul_f64 v[107:108], v[3:4], v[107:108]
	s_waitcnt vmcnt(54)
	v_fma_f64 v[121:122], v[89:90], v[151:152], -v[121:122]
	v_add_f64 v[97:98], v[97:98], v[101:102]
	v_fma_f64 v[101:102], v[91:92], v[151:152], v[157:158]
	v_add_f64 v[99:100], v[99:100], v[111:112]
	s_clause 0x1
	buffer_load_dword v112, off, s[0:3], 0 offset:676
	buffer_load_dword v111, off, s[0:3], 0 offset:672
	s_waitcnt vmcnt(55) lgkmcnt(0)
	v_mul_f64 v[151:152], v[93:94], v[127:128]
	v_mul_f64 v[127:128], v[95:96], v[127:128]
	ds_read_b128 v[89:92], v146 offset:1136
	s_waitcnt vmcnt(53)
	v_fma_f64 v[107:108], v[1:2], v[117:118], -v[107:108]
	v_fma_f64 v[117:118], v[3:4], v[117:118], v[149:150]
	ds_read_b128 v[1:4], v146 offset:1152
	v_add_f64 v[97:98], v[97:98], v[121:122]
	v_add_f64 v[99:100], v[99:100], v[101:102]
	s_waitcnt vmcnt(49) lgkmcnt(1)
	v_mul_f64 v[101:102], v[89:90], v[113:114]
	v_mul_f64 v[113:114], v[91:92], v[113:114]
	s_waitcnt vmcnt(48)
	v_fma_f64 v[121:122], v[93:94], v[129:130], -v[127:128]
	v_add_f64 v[97:98], v[97:98], v[107:108]
	v_fma_f64 v[107:108], v[95:96], v[129:130], v[151:152]
	v_add_f64 v[99:100], v[99:100], v[117:118]
	s_clause 0x3
	buffer_load_dword v117, off, s[0:3], 0 offset:32
	buffer_load_dword v118, off, s[0:3], 0 offset:36
	;; [unrolled: 1-line block ×4, first 2 shown]
	ds_read_b128 v[93:96], v146 offset:1168
	s_waitcnt vmcnt(51) lgkmcnt(1)
	v_mul_f64 v[129:130], v[1:2], v[135:136]
	v_mul_f64 v[135:136], v[3:4], v[135:136]
	s_waitcnt vmcnt(49)
	v_fma_f64 v[113:114], v[89:90], v[115:116], -v[113:114]
	v_fma_f64 v[101:102], v[91:92], v[115:116], v[101:102]
	ds_read_b128 v[89:92], v146 offset:1184
	v_add_f64 v[97:98], v[97:98], v[121:122]
	v_add_f64 v[99:100], v[99:100], v[107:108]
	s_waitcnt vmcnt(45) lgkmcnt(1)
	v_mul_f64 v[107:108], v[93:94], v[119:120]
	v_mul_f64 v[115:116], v[95:96], v[119:120]
	s_waitcnt vmcnt(44)
	v_fma_f64 v[119:120], v[1:2], v[137:138], -v[135:136]
	v_add_f64 v[97:98], v[97:98], v[113:114]
	v_fma_f64 v[113:114], v[3:4], v[137:138], v[129:130]
	v_add_f64 v[99:100], v[99:100], v[101:102]
	ds_read_b128 v[1:4], v146 offset:1200
	s_waitcnt vmcnt(43) lgkmcnt(1)
	v_mul_f64 v[121:122], v[91:92], v[141:142]
	v_mul_f64 v[101:102], v[89:90], v[141:142]
	s_waitcnt vmcnt(41)
	v_fma_f64 v[115:116], v[93:94], v[123:124], -v[115:116]
	v_fma_f64 v[107:108], v[95:96], v[123:124], v[107:108]
	ds_read_b128 v[93:96], v146 offset:1216
	v_add_f64 v[97:98], v[97:98], v[119:120]
	v_add_f64 v[99:100], v[99:100], v[113:114]
	s_waitcnt vmcnt(37) lgkmcnt(1)
	v_mul_f64 v[119:120], v[3:4], v[125:126]
	s_waitcnt vmcnt(36)
	v_fma_f64 v[121:122], v[89:90], v[143:144], -v[121:122]
	v_mul_f64 v[113:114], v[1:2], v[125:126]
	v_fma_f64 v[101:102], v[91:92], v[143:144], v[101:102]
	ds_read_b128 v[89:92], v146 offset:1232
	v_add_f64 v[97:98], v[97:98], v[115:116]
	v_add_f64 v[99:100], v[99:100], v[107:108]
	s_waitcnt vmcnt(35) lgkmcnt(1)
	v_mul_f64 v[115:116], v[95:96], v[163:164]
	v_mul_f64 v[107:108], v[93:94], v[163:164]
	s_waitcnt vmcnt(33)
	v_fma_f64 v[119:120], v[1:2], v[131:132], -v[119:120]
	v_fma_f64 v[113:114], v[3:4], v[131:132], v[113:114]
	ds_read_b128 v[1:4], v146 offset:1248
	v_add_f64 v[97:98], v[97:98], v[121:122]
	v_add_f64 v[99:100], v[99:100], v[101:102]
	s_waitcnt vmcnt(29) lgkmcnt(1)
	v_mul_f64 v[121:122], v[91:92], v[133:134]
	s_waitcnt vmcnt(28)
	v_fma_f64 v[115:116], v[93:94], v[167:168], -v[115:116]
	v_mul_f64 v[101:102], v[89:90], v[133:134]
	v_fma_f64 v[107:108], v[95:96], v[167:168], v[107:108]
	ds_read_b128 v[93:96], v146 offset:1264
	v_add_f64 v[97:98], v[97:98], v[119:120]
	v_add_f64 v[99:100], v[99:100], v[113:114]
	;; [unrolled: 18-line block ×3, first 2 shown]
	s_waitcnt vmcnt(19) lgkmcnt(1)
	v_mul_f64 v[121:122], v[91:92], v[165:166]
	v_mul_f64 v[101:102], v[89:90], v[165:166]
	s_waitcnt vmcnt(17)
	v_fma_f64 v[115:116], v[93:94], v[103:104], -v[115:116]
	v_fma_f64 v[103:104], v[95:96], v[103:104], v[107:108]
	ds_read_b128 v[93:96], v146 offset:1312
	v_add_f64 v[97:98], v[97:98], v[119:120]
	v_add_f64 v[99:100], v[99:100], v[113:114]
	s_waitcnt vmcnt(13) lgkmcnt(1)
	v_mul_f64 v[107:108], v[1:2], v[109:110]
	v_mul_f64 v[109:110], v[3:4], v[109:110]
	s_waitcnt vmcnt(12)
	v_fma_f64 v[113:114], v[89:90], v[169:170], -v[121:122]
	v_fma_f64 v[101:102], v[91:92], v[169:170], v[101:102]
	ds_read_b128 v[89:92], v146 offset:1328
	v_add_f64 v[97:98], v[97:98], v[115:116]
	v_add_f64 v[99:100], v[99:100], v[103:104]
	s_waitcnt vmcnt(11) lgkmcnt(1)
	v_mul_f64 v[115:116], v[95:96], v[155:156]
	v_mul_f64 v[103:104], v[93:94], v[155:156]
	s_waitcnt vmcnt(9)
	v_fma_f64 v[1:2], v[1:2], v[105:106], -v[109:110]
	v_fma_f64 v[3:4], v[3:4], v[105:106], v[107:108]
	v_add_f64 v[97:98], v[97:98], v[113:114]
	v_add_f64 v[99:100], v[99:100], v[101:102]
	s_waitcnt vmcnt(7) lgkmcnt(0)
	v_mul_f64 v[105:106], v[91:92], v[147:148]
	s_waitcnt vmcnt(6)
	v_fma_f64 v[93:94], v[93:94], v[174:175], -v[115:116]
	v_mul_f64 v[101:102], v[89:90], v[147:148]
	v_fma_f64 v[95:96], v[95:96], v[174:175], v[103:104]
	v_add_f64 v[1:2], v[97:98], v[1:2]
	v_add_f64 v[3:4], v[99:100], v[3:4]
	s_waitcnt vmcnt(4)
	v_fma_f64 v[89:90], v[89:90], v[111:112], -v[105:106]
	v_fma_f64 v[91:92], v[91:92], v[111:112], v[101:102]
	v_add_f64 v[1:2], v[1:2], v[93:94]
	v_add_f64 v[3:4], v[3:4], v[95:96]
	;; [unrolled: 1-line block ×4, first 2 shown]
	s_waitcnt vmcnt(2)
	v_add_f64 v[1:2], v[117:118], -v[1:2]
	s_waitcnt vmcnt(0)
	v_add_f64 v[3:4], v[127:128], -v[3:4]
	buffer_store_dword v2, off, s[0:3], 0 offset:36
	buffer_store_dword v1, off, s[0:3], 0 offset:32
	;; [unrolled: 1-line block ×4, first 2 shown]
	v_cmpx_ne_u32_e32 0, v0
	s_cbranch_execz .LBB105_265
; %bb.264:
	s_clause 0x3
	buffer_load_dword v0, off, s[0:3], 0 offset:16
	buffer_load_dword v1, off, s[0:3], 0 offset:20
	buffer_load_dword v2, off, s[0:3], 0 offset:24
	buffer_load_dword v3, off, s[0:3], 0 offset:28
	v_mov_b32_e32 v4, 0
	buffer_store_dword v4, off, s[0:3], 0 offset:16
	buffer_store_dword v4, off, s[0:3], 0 offset:20
	;; [unrolled: 1-line block ×4, first 2 shown]
	s_waitcnt vmcnt(0)
	ds_write_b128 v145, v[0:3]
.LBB105_265:
	s_or_b32 exec_lo, exec_lo, s4
	s_waitcnt lgkmcnt(0)
	s_waitcnt_vscnt null, 0x0
	s_barrier
	buffer_gl0_inv
	s_clause 0x37
	buffer_load_dword v93, off, s[0:3], 0 offset:40
	buffer_load_dword v94, off, s[0:3], 0 offset:44
	;; [unrolled: 1-line block ×56, first 2 shown]
	v_mov_b32_e32 v4, 0
	s_and_b32 vcc_lo, exec_lo, s54
	ds_read_b128 v[145:148], v4 offset:688
	s_clause 0x2
	buffer_load_dword v142, off, s[0:3], 0 offset:268
	buffer_load_dword v144, off, s[0:3], 0 offset:244
	;; [unrolled: 1-line block ×3, first 2 shown]
	ds_read_b128 v[149:152], v4 offset:704
	s_clause 0x4
	buffer_load_dword v160, off, s[0:3], 0 offset:284
	buffer_load_dword v161, off, s[0:3], 0 offset:296
	;; [unrolled: 1-line block ×5, first 2 shown]
	ds_read_b128 v[153:156], v4 offset:720
	s_clause 0x2
	buffer_load_dword v162, off, s[0:3], 0 offset:300
	buffer_load_dword v167, off, s[0:3], 0 offset:276
	;; [unrolled: 1-line block ×3, first 2 shown]
	s_waitcnt vmcnt(62) lgkmcnt(2)
	v_mul_f64 v[157:158], v[147:148], v[93:94]
	v_mul_f64 v[93:94], v[145:146], v[93:94]
	s_waitcnt lgkmcnt(1)
	v_mul_f64 v[164:165], v[151:152], v[89:90]
	s_waitcnt vmcnt(59) lgkmcnt(0)
	v_mul_f64 v[168:169], v[155:156], v[2:3]
	v_fma_f64 v[145:146], v[145:146], v[91:92], -v[157:158]
	v_mul_f64 v[157:158], v[149:150], v[89:90]
	v_fma_f64 v[93:94], v[147:148], v[91:92], v[93:94]
	s_waitcnt vmcnt(57)
	v_fma_f64 v[149:150], v[149:150], v[0:1], -v[164:165]
	ds_read_b128 v[89:92], v4 offset:736
	v_mul_f64 v[147:148], v[153:154], v[2:3]
	s_waitcnt vmcnt(51)
	v_fma_f64 v[153:154], v[153:154], v[109:110], -v[168:169]
	v_add_f64 v[145:146], v[145:146], 0
	v_fma_f64 v[151:152], v[151:152], v[0:1], v[157:158]
	v_add_f64 v[93:94], v[93:94], 0
	s_clause 0x4
	buffer_load_dword v158, off, s[0:3], 0 offset:316
	buffer_load_dword v170, off, s[0:3], 0 offset:328
	;; [unrolled: 1-line block ×5, first 2 shown]
	s_waitcnt lgkmcnt(0)
	v_mul_f64 v[173:174], v[89:90], v[97:98]
	v_mul_f64 v[97:98], v[91:92], v[97:98]
	ds_read_b128 v[0:3], v4 offset:752
	v_fma_f64 v[109:110], v[155:156], v[109:110], v[147:148]
	v_add_f64 v[149:150], v[145:146], v[149:150]
	v_add_f64 v[93:94], v[93:94], v[151:152]
	s_clause 0x2
	buffer_load_dword v171, off, s[0:3], 0 offset:332
	buffer_load_dword v152, off, s[0:3], 0 offset:308
	;; [unrolled: 1-line block ×3, first 2 shown]
	s_waitcnt vmcnt(58) lgkmcnt(0)
	v_mul_f64 v[155:156], v[0:1], v[101:102]
	v_mul_f64 v[101:102], v[2:3], v[101:102]
	s_waitcnt vmcnt(56)
	v_fma_f64 v[97:98], v[89:90], v[103:104], -v[97:98]
	ds_read_b128 v[145:148], v4 offset:768
	v_fma_f64 v[103:104], v[91:92], v[103:104], v[173:174]
	v_add_f64 v[149:150], v[149:150], v[153:154]
	v_add_f64 v[93:94], v[93:94], v[109:110]
	s_clause 0x4
	buffer_load_dword v110, off, s[0:3], 0 offset:348
	buffer_load_dword v153, off, s[0:3], 0 offset:360
	;; [unrolled: 1-line block ×5, first 2 shown]
	ds_read_b128 v[89:92], v4 offset:784
	s_waitcnt vmcnt(57) lgkmcnt(1)
	v_mul_f64 v[174:175], v[145:146], v[105:106]
	v_mul_f64 v[105:106], v[147:148], v[105:106]
	s_waitcnt vmcnt(56)
	v_fma_f64 v[101:102], v[0:1], v[95:96], -v[101:102]
	v_fma_f64 v[95:96], v[2:3], v[95:96], v[155:156]
	v_add_f64 v[97:98], v[149:150], v[97:98]
	v_add_f64 v[93:94], v[93:94], v[103:104]
	s_clause 0x2
	buffer_load_dword v154, off, s[0:3], 0 offset:364
	buffer_load_dword v104, off, s[0:3], 0 offset:340
	;; [unrolled: 1-line block ×3, first 2 shown]
	s_waitcnt vmcnt(58) lgkmcnt(0)
	v_mul_f64 v[149:150], v[89:90], v[111:112]
	v_mul_f64 v[111:112], v[91:92], v[111:112]
	s_waitcnt vmcnt(56)
	v_fma_f64 v[105:106], v[145:146], v[113:114], -v[105:106]
	ds_read_b128 v[0:3], v4 offset:800
	v_add_f64 v[97:98], v[97:98], v[101:102]
	v_fma_f64 v[101:102], v[147:148], v[113:114], v[174:175]
	v_add_f64 v[113:114], v[93:94], v[95:96]
	s_clause 0x4
	buffer_load_dword v146, off, s[0:3], 0 offset:380
	buffer_load_dword v147, off, s[0:3], 0 offset:392
	;; [unrolled: 1-line block ×5, first 2 shown]
	ds_read_b128 v[93:96], v4 offset:816
	s_waitcnt vmcnt(57) lgkmcnt(1)
	v_mul_f64 v[174:175], v[0:1], v[115:116]
	v_mul_f64 v[115:116], v[2:3], v[115:116]
	s_waitcnt vmcnt(56)
	v_fma_f64 v[111:112], v[89:90], v[99:100], -v[111:112]
	v_fma_f64 v[99:100], v[91:92], v[99:100], v[149:150]
	v_add_f64 v[97:98], v[97:98], v[105:106]
	s_clause 0x2
	buffer_load_dword v148, off, s[0:3], 0 offset:396
	buffer_load_dword v106, off, s[0:3], 0 offset:372
	;; [unrolled: 1-line block ×3, first 2 shown]
	v_add_f64 v[101:102], v[113:114], v[101:102]
	s_waitcnt vmcnt(58) lgkmcnt(0)
	v_mul_f64 v[113:114], v[93:94], v[119:120]
	v_mul_f64 v[119:120], v[95:96], v[119:120]
	ds_read_b128 v[89:92], v4 offset:832
	s_waitcnt vmcnt(56)
	v_fma_f64 v[115:116], v[0:1], v[121:122], -v[115:116]
	v_add_f64 v[97:98], v[97:98], v[111:112]
	v_fma_f64 v[111:112], v[2:3], v[121:122], v[174:175]
	v_add_f64 v[99:100], v[101:102], v[99:100]
	s_clause 0x4
	buffer_load_dword v102, off, s[0:3], 0 offset:412
	buffer_load_dword v121, off, s[0:3], 0 offset:424
	;; [unrolled: 1-line block ×5, first 2 shown]
	s_waitcnt vmcnt(57) lgkmcnt(0)
	v_mul_f64 v[174:175], v[89:90], v[123:124]
	v_mul_f64 v[123:124], v[91:92], v[123:124]
	s_waitcnt vmcnt(56)
	v_fma_f64 v[119:120], v[93:94], v[107:108], -v[119:120]
	ds_read_b128 v[0:3], v4 offset:848
	v_fma_f64 v[107:108], v[95:96], v[107:108], v[113:114]
	v_add_f64 v[97:98], v[97:98], v[115:116]
	v_add_f64 v[99:100], v[99:100], v[111:112]
	s_clause 0x2
	buffer_load_dword v122, off, s[0:3], 0 offset:428
	buffer_load_dword v112, off, s[0:3], 0 offset:404
	;; [unrolled: 1-line block ×3, first 2 shown]
	ds_read_b128 v[93:96], v4 offset:864
	s_waitcnt vmcnt(58) lgkmcnt(1)
	v_mul_f64 v[115:116], v[2:3], v[127:128]
	s_waitcnt vmcnt(56)
	v_fma_f64 v[123:124], v[89:90], v[129:130], -v[123:124]
	v_mul_f64 v[113:114], v[0:1], v[127:128]
	v_add_f64 v[97:98], v[97:98], v[119:120]
	v_fma_f64 v[119:120], v[91:92], v[129:130], v[174:175]
	v_add_f64 v[99:100], v[99:100], v[107:108]
	s_clause 0x4
	buffer_load_dword v108, off, s[0:3], 0 offset:444
	buffer_load_dword v127, off, s[0:3], 0 offset:456
	;; [unrolled: 1-line block ×5, first 2 shown]
	s_waitcnt vmcnt(57) lgkmcnt(0)
	v_mul_f64 v[174:175], v[93:94], v[131:132]
	v_mul_f64 v[130:131], v[95:96], v[131:132]
	s_waitcnt vmcnt(56)
	v_fma_f64 v[115:116], v[0:1], v[117:118], -v[115:116]
	ds_read_b128 v[89:92], v4 offset:880
	v_fma_f64 v[113:114], v[2:3], v[117:118], v[113:114]
	s_clause 0x2
	buffer_load_dword v128, off, s[0:3], 0 offset:460
	buffer_load_dword v118, off, s[0:3], 0 offset:436
	;; [unrolled: 1-line block ×3, first 2 shown]
	ds_read_b128 v[0:3], v4 offset:896
	v_add_f64 v[97:98], v[97:98], v[123:124]
	v_add_f64 v[99:100], v[99:100], v[119:120]
	s_waitcnt vmcnt(58) lgkmcnt(1)
	v_mul_f64 v[123:124], v[91:92], v[135:136]
	s_waitcnt vmcnt(56)
	v_fma_f64 v[131:132], v[93:94], v[137:138], -v[130:131]
	v_mul_f64 v[119:120], v[89:90], v[135:136]
	v_add_f64 v[97:98], v[97:98], v[115:116]
	v_fma_f64 v[115:116], v[95:96], v[137:138], v[174:175]
	v_add_f64 v[99:100], v[99:100], v[113:114]
	s_clause 0x4
	buffer_load_dword v114, off, s[0:3], 0 offset:476
	buffer_load_dword v135, off, s[0:3], 0 offset:488
	;; [unrolled: 1-line block ×5, first 2 shown]
	s_waitcnt vmcnt(57) lgkmcnt(0)
	v_mul_f64 v[174:175], v[0:1], v[139:140]
	v_mul_f64 v[138:139], v[2:3], v[139:140]
	s_waitcnt vmcnt(56)
	v_fma_f64 v[123:124], v[89:90], v[125:126], -v[123:124]
	ds_read_b128 v[93:96], v4 offset:912
	v_fma_f64 v[119:120], v[91:92], v[125:126], v[119:120]
	v_add_f64 v[97:98], v[97:98], v[131:132]
	v_add_f64 v[99:100], v[99:100], v[115:116]
	s_clause 0x2
	buffer_load_dword v136, off, s[0:3], 0 offset:492
	buffer_load_dword v116, off, s[0:3], 0 offset:468
	;; [unrolled: 1-line block ×3, first 2 shown]
	ds_read_b128 v[89:92], v4 offset:928
	s_waitcnt vmcnt(58) lgkmcnt(1)
	v_mul_f64 v[131:132], v[95:96], v[141:142]
	s_waitcnt vmcnt(56)
	v_fma_f64 v[139:140], v[0:1], v[143:144], -v[138:139]
	v_mul_f64 v[125:126], v[93:94], v[141:142]
	v_add_f64 v[97:98], v[97:98], v[123:124]
	v_fma_f64 v[123:124], v[2:3], v[143:144], v[174:175]
	v_add_f64 v[99:100], v[99:100], v[119:120]
	s_clause 0x4
	buffer_load_dword v120, off, s[0:3], 0 offset:508
	buffer_load_dword v141, off, s[0:3], 0 offset:520
	;; [unrolled: 1-line block ×5, first 2 shown]
	s_waitcnt vmcnt(57) lgkmcnt(0)
	v_mul_f64 v[174:175], v[89:90], v[159:160]
	v_mul_f64 v[159:160], v[91:92], v[159:160]
	s_waitcnt vmcnt(56)
	v_fma_f64 v[131:132], v[93:94], v[133:134], -v[131:132]
	ds_read_b128 v[0:3], v4 offset:944
	v_fma_f64 v[125:126], v[95:96], v[133:134], v[125:126]
	v_add_f64 v[97:98], v[97:98], v[139:140]
	v_add_f64 v[99:100], v[99:100], v[123:124]
	s_clause 0x2
	buffer_load_dword v142, off, s[0:3], 0 offset:524
	buffer_load_dword v124, off, s[0:3], 0 offset:500
	;; [unrolled: 1-line block ×3, first 2 shown]
	ds_read_b128 v[93:96], v4 offset:960
	s_waitcnt vmcnt(58) lgkmcnt(1)
	v_mul_f64 v[139:140], v[2:3], v[161:162]
	s_waitcnt vmcnt(56)
	v_fma_f64 v[159:160], v[89:90], v[166:167], -v[159:160]
	v_mul_f64 v[133:134], v[0:1], v[161:162]
	v_add_f64 v[97:98], v[97:98], v[131:132]
	v_fma_f64 v[131:132], v[91:92], v[166:167], v[174:175]
	v_add_f64 v[99:100], v[99:100], v[125:126]
	s_clause 0x4
	buffer_load_dword v126, off, s[0:3], 0 offset:540
	buffer_load_dword v161, off, s[0:3], 0 offset:552
	;; [unrolled: 1-line block ×5, first 2 shown]
	ds_read_b128 v[89:92], v4 offset:976
	s_waitcnt vmcnt(57) lgkmcnt(1)
	v_mul_f64 v[166:167], v[93:94], v[157:158]
	v_mul_f64 v[157:158], v[95:96], v[157:158]
	s_waitcnt vmcnt(56)
	v_fma_f64 v[139:140], v[0:1], v[163:164], -v[139:140]
	v_fma_f64 v[133:134], v[2:3], v[163:164], v[133:134]
	v_add_f64 v[97:98], v[97:98], v[159:160]
	v_add_f64 v[99:100], v[99:100], v[131:132]
	s_clause 0x2
	buffer_load_dword v162, off, s[0:3], 0 offset:556
	buffer_load_dword v132, off, s[0:3], 0 offset:532
	;; [unrolled: 1-line block ×3, first 2 shown]
	ds_read_b128 v[0:3], v4 offset:992
	s_waitcnt vmcnt(58) lgkmcnt(1)
	v_mul_f64 v[163:164], v[91:92], v[170:171]
	v_mul_f64 v[159:160], v[89:90], v[170:171]
	s_waitcnt vmcnt(56)
	v_fma_f64 v[157:158], v[93:94], v[151:152], -v[157:158]
	v_add_f64 v[97:98], v[97:98], v[139:140]
	v_fma_f64 v[139:140], v[95:96], v[151:152], v[166:167]
	v_add_f64 v[99:100], v[99:100], v[133:134]
	s_clause 0x4
	buffer_load_dword v134, off, s[0:3], 0 offset:572
	buffer_load_dword v151, off, s[0:3], 0 offset:584
	buffer_load_dword v170, off, s[0:3], 0 offset:576
	buffer_load_dword v133, off, s[0:3], 0 offset:568
	buffer_load_dword v166, off, s[0:3], 0 offset:548
	ds_read_b128 v[93:96], v4 offset:1008
	s_waitcnt vmcnt(57) lgkmcnt(1)
	v_mul_f64 v[174:175], v[0:1], v[109:110]
	v_mul_f64 v[109:110], v[2:3], v[109:110]
	s_waitcnt vmcnt(56)
	v_fma_f64 v[163:164], v[89:90], v[172:173], -v[163:164]
	v_add_f64 v[97:98], v[97:98], v[157:158]
	v_fma_f64 v[157:158], v[91:92], v[172:173], v[159:160]
	v_add_f64 v[99:100], v[99:100], v[139:140]
	s_clause 0x2
	buffer_load_dword v152, off, s[0:3], 0 offset:588
	buffer_load_dword v140, off, s[0:3], 0 offset:564
	buffer_load_dword v139, off, s[0:3], 0 offset:560
	ds_read_b128 v[89:92], v4 offset:1024
	s_waitcnt vmcnt(58) lgkmcnt(1)
	v_mul_f64 v[159:160], v[93:94], v[153:154]
	v_mul_f64 v[153:154], v[95:96], v[153:154]
	s_waitcnt vmcnt(56)
	v_fma_f64 v[109:110], v[0:1], v[103:104], -v[109:110]
	v_fma_f64 v[103:104], v[2:3], v[103:104], v[174:175]
	v_add_f64 v[97:98], v[97:98], v[163:164]
	v_add_f64 v[99:100], v[99:100], v[157:158]
	s_clause 0x4
	buffer_load_dword v158, off, s[0:3], 0 offset:604
	buffer_load_dword v163, off, s[0:3], 0 offset:616
	buffer_load_dword v167, off, s[0:3], 0 offset:608
	buffer_load_dword v157, off, s[0:3], 0 offset:600
	buffer_load_dword v171, off, s[0:3], 0 offset:580
	ds_read_b128 v[0:3], v4 offset:1040
	s_waitcnt vmcnt(57) lgkmcnt(1)
	v_mul_f64 v[172:173], v[89:90], v[145:146]
	v_mul_f64 v[145:146], v[91:92], v[145:146]
	s_waitcnt vmcnt(56)
	v_fma_f64 v[153:154], v[93:94], v[168:169], -v[153:154]
	v_add_f64 v[97:98], v[97:98], v[109:110]
	v_fma_f64 v[109:110], v[95:96], v[168:169], v[159:160]
	v_add_f64 v[99:100], v[99:100], v[103:104]
	s_clause 0x2
	buffer_load_dword v164, off, s[0:3], 0 offset:620
	buffer_load_dword v104, off, s[0:3], 0 offset:596
	buffer_load_dword v103, off, s[0:3], 0 offset:592
	ds_read_b128 v[93:96], v4 offset:1056
	s_waitcnt vmcnt(58) lgkmcnt(1)
	v_mul_f64 v[159:160], v[0:1], v[147:148]
	v_mul_f64 v[147:148], v[2:3], v[147:148]
	s_waitcnt vmcnt(56)
	v_fma_f64 v[145:146], v[89:90], v[105:106], -v[145:146]
	v_fma_f64 v[105:106], v[91:92], v[105:106], v[172:173]
	v_add_f64 v[97:98], v[97:98], v[153:154]
	;; [unrolled: 28-line block ×3, first 2 shown]
	v_add_f64 v[99:100], v[99:100], v[145:146]
	s_clause 0x4
	buffer_load_dword v146, off, s[0:3], 0 offset:668
	buffer_load_dword v147, off, s[0:3], 0 offset:680
	;; [unrolled: 1-line block ×5, first 2 shown]
	ds_read_b128 v[93:96], v4 offset:1104
	s_waitcnt vmcnt(57) lgkmcnt(1)
	v_mul_f64 v[174:175], v[0:1], v[107:108]
	v_mul_f64 v[107:108], v[2:3], v[107:108]
	s_waitcnt vmcnt(56)
	v_fma_f64 v[121:122], v[89:90], v[149:150], -v[121:122]
	v_add_f64 v[97:98], v[97:98], v[101:102]
	v_fma_f64 v[101:102], v[91:92], v[149:150], v[155:156]
	v_add_f64 v[99:100], v[99:100], v[111:112]
	s_clause 0x2
	buffer_load_dword v148, off, s[0:3], 0 offset:684
	buffer_load_dword v112, off, s[0:3], 0 offset:660
	;; [unrolled: 1-line block ×3, first 2 shown]
	s_waitcnt vmcnt(58) lgkmcnt(0)
	v_mul_f64 v[149:150], v[93:94], v[127:128]
	v_mul_f64 v[127:128], v[95:96], v[127:128]
	ds_read_b128 v[89:92], v4 offset:1120
	buffer_load_dword v160, off, s[0:3], 0 offset:676
	s_waitcnt vmcnt(57)
	v_fma_f64 v[107:108], v[0:1], v[117:118], -v[107:108]
	v_fma_f64 v[117:118], v[2:3], v[117:118], v[174:175]
	ds_read_b128 v[0:3], v4 offset:1136
	v_add_f64 v[97:98], v[97:98], v[121:122]
	v_add_f64 v[99:100], v[99:100], v[101:102]
	s_waitcnt vmcnt(53) lgkmcnt(1)
	v_mul_f64 v[101:102], v[89:90], v[113:114]
	v_mul_f64 v[113:114], v[91:92], v[113:114]
	s_waitcnt vmcnt(52)
	v_fma_f64 v[121:122], v[93:94], v[129:130], -v[127:128]
	v_add_f64 v[97:98], v[97:98], v[107:108]
	v_fma_f64 v[107:108], v[95:96], v[129:130], v[149:150]
	v_add_f64 v[99:100], v[99:100], v[117:118]
	ds_read_b128 v[93:96], v4 offset:1152
	s_waitcnt vmcnt(51) lgkmcnt(1)
	v_mul_f64 v[127:128], v[2:3], v[135:136]
	v_mul_f64 v[117:118], v[0:1], v[135:136]
	s_waitcnt vmcnt(49)
	v_fma_f64 v[113:114], v[89:90], v[115:116], -v[113:114]
	v_fma_f64 v[101:102], v[91:92], v[115:116], v[101:102]
	v_add_f64 v[97:98], v[97:98], v[121:122]
	v_add_f64 v[99:100], v[99:100], v[107:108]
	s_clause 0x3
	buffer_load_dword v107, off, s[0:3], 0 offset:16
	buffer_load_dword v108, off, s[0:3], 0 offset:20
	;; [unrolled: 1-line block ×4, first 2 shown]
	ds_read_b128 v[89:92], v4 offset:1168
	s_waitcnt vmcnt(49) lgkmcnt(1)
	v_mul_f64 v[121:122], v[93:94], v[119:120]
	v_mul_f64 v[119:120], v[95:96], v[119:120]
	s_waitcnt vmcnt(48)
	v_fma_f64 v[127:128], v[0:1], v[137:138], -v[127:128]
	v_add_f64 v[97:98], v[97:98], v[113:114]
	v_fma_f64 v[113:114], v[2:3], v[137:138], v[117:118]
	v_add_f64 v[99:100], v[99:100], v[101:102]
	ds_read_b128 v[0:3], v4 offset:1184
	s_waitcnt vmcnt(47) lgkmcnt(1)
	v_mul_f64 v[117:118], v[91:92], v[141:142]
	v_mul_f64 v[101:102], v[89:90], v[141:142]
	s_waitcnt vmcnt(45)
	v_fma_f64 v[119:120], v[93:94], v[123:124], -v[119:120]
	v_fma_f64 v[121:122], v[95:96], v[123:124], v[121:122]
	ds_read_b128 v[93:96], v4 offset:1200
	v_add_f64 v[97:98], v[97:98], v[127:128]
	v_add_f64 v[99:100], v[99:100], v[113:114]
	s_waitcnt vmcnt(41) lgkmcnt(1)
	v_mul_f64 v[123:124], v[2:3], v[125:126]
	s_waitcnt vmcnt(40)
	v_fma_f64 v[117:118], v[89:90], v[143:144], -v[117:118]
	v_mul_f64 v[113:114], v[0:1], v[125:126]
	v_fma_f64 v[101:102], v[91:92], v[143:144], v[101:102]
	ds_read_b128 v[89:92], v4 offset:1216
	v_add_f64 v[97:98], v[97:98], v[119:120]
	v_add_f64 v[99:100], v[99:100], v[121:122]
	s_waitcnt vmcnt(39) lgkmcnt(1)
	v_mul_f64 v[121:122], v[95:96], v[161:162]
	v_mul_f64 v[119:120], v[93:94], v[161:162]
	s_waitcnt vmcnt(37)
	v_fma_f64 v[123:124], v[0:1], v[131:132], -v[123:124]
	v_fma_f64 v[113:114], v[2:3], v[131:132], v[113:114]
	ds_read_b128 v[0:3], v4 offset:1232
	v_add_f64 v[97:98], v[97:98], v[117:118]
	v_add_f64 v[99:100], v[99:100], v[101:102]
	s_waitcnt vmcnt(33) lgkmcnt(1)
	v_mul_f64 v[117:118], v[91:92], v[133:134]
	s_waitcnt vmcnt(32)
	v_fma_f64 v[121:122], v[93:94], v[165:166], -v[121:122]
	v_mul_f64 v[101:102], v[89:90], v[133:134]
	v_fma_f64 v[119:120], v[95:96], v[165:166], v[119:120]
	ds_read_b128 v[93:96], v4 offset:1248
	v_add_f64 v[97:98], v[97:98], v[123:124]
	v_add_f64 v[99:100], v[99:100], v[113:114]
	;; [unrolled: 18-line block ×3, first 2 shown]
	s_waitcnt vmcnt(23) lgkmcnt(1)
	v_mul_f64 v[117:118], v[91:92], v[163:164]
	v_mul_f64 v[101:102], v[89:90], v[163:164]
	s_waitcnt vmcnt(21)
	v_fma_f64 v[121:122], v[93:94], v[103:104], -v[121:122]
	v_fma_f64 v[103:104], v[95:96], v[103:104], v[119:120]
	ds_read_b128 v[93:96], v4 offset:1296
	v_add_f64 v[97:98], v[97:98], v[123:124]
	v_add_f64 v[99:100], v[99:100], v[113:114]
	s_waitcnt vmcnt(17) lgkmcnt(1)
	v_mul_f64 v[113:114], v[0:1], v[109:110]
	v_mul_f64 v[109:110], v[2:3], v[109:110]
	s_waitcnt vmcnt(16)
	v_fma_f64 v[117:118], v[89:90], v[167:168], -v[117:118]
	v_fma_f64 v[101:102], v[91:92], v[167:168], v[101:102]
	ds_read_b128 v[89:92], v4 offset:1312
	v_add_f64 v[97:98], v[97:98], v[121:122]
	v_add_f64 v[99:100], v[99:100], v[103:104]
	;; [unrolled: 9-line block ×3, first 2 shown]
	s_waitcnt vmcnt(9) lgkmcnt(1)
	v_mul_f64 v[113:114], v[91:92], v[145:146]
	s_waitcnt vmcnt(8)
	v_fma_f64 v[93:94], v[93:94], v[172:173], -v[119:120]
	v_mul_f64 v[101:102], v[89:90], v[145:146]
	v_fma_f64 v[95:96], v[95:96], v[172:173], v[103:104]
	v_add_f64 v[97:98], v[97:98], v[109:110]
	v_add_f64 v[99:100], v[99:100], v[105:106]
	s_waitcnt vmcnt(7) lgkmcnt(0)
	v_mul_f64 v[105:106], v[2:3], v[147:148]
	v_mul_f64 v[103:104], v[0:1], v[147:148]
	s_waitcnt vmcnt(5)
	v_fma_f64 v[89:90], v[89:90], v[111:112], -v[113:114]
	v_fma_f64 v[91:92], v[91:92], v[111:112], v[101:102]
	v_add_f64 v[93:94], v[97:98], v[93:94]
	v_add_f64 v[95:96], v[99:100], v[95:96]
	s_waitcnt vmcnt(4)
	v_fma_f64 v[0:1], v[0:1], v[159:160], -v[105:106]
	v_fma_f64 v[2:3], v[2:3], v[159:160], v[103:104]
	v_add_f64 v[89:90], v[93:94], v[89:90]
	v_add_f64 v[91:92], v[95:96], v[91:92]
	;; [unrolled: 1-line block ×4, first 2 shown]
	s_waitcnt vmcnt(2)
	v_add_f64 v[0:1], v[107:108], -v[0:1]
	s_waitcnt vmcnt(0)
	v_add_f64 v[2:3], v[115:116], -v[2:3]
	buffer_store_dword v1, off, s[0:3], 0 offset:20
	buffer_store_dword v0, off, s[0:3], 0 offset:16
	;; [unrolled: 1-line block ×4, first 2 shown]
	s_cbranch_vccz .LBB105_348
; %bb.266:
	global_load_dword v0, v4, s[12:13] offset:160
	s_waitcnt vmcnt(0)
	v_add_nc_u32_e32 v0, -1, v0
	v_cmp_ne_u32_e32 vcc_lo, 40, v0
	s_cbranch_vccz .LBB105_268
; %bb.267:
	v_lshlrev_b32_e32 v0, 4, v0
	v_mov_b32_e32 v1, s9
	v_add_nc_u32_e32 v0, 16, v0
	s_clause 0x7
	buffer_load_dword v2, v0, s[0:3], 0 offen
	buffer_load_dword v3, v0, s[0:3], 0 offen offset:4
	buffer_load_dword v4, v0, s[0:3], 0 offen offset:8
	;; [unrolled: 1-line block ×6, first 2 shown]
	buffer_load_dword v93, v1, s[0:3], 0 offen
	s_waitcnt vmcnt(7)
	buffer_store_dword v2, v1, s[0:3], 0 offen
	s_waitcnt vmcnt(6)
	buffer_store_dword v3, v1, s[0:3], 0 offen offset:4
	s_waitcnt vmcnt(5)
	buffer_store_dword v4, v1, s[0:3], 0 offen offset:8
	;; [unrolled: 2-line block ×6, first 2 shown]
	s_waitcnt vmcnt(0)
	buffer_store_dword v93, v0, s[0:3], 0 offen
.LBB105_268:
	v_mov_b32_e32 v0, 0
	global_load_dword v1, v0, s[12:13] offset:156
	s_waitcnt vmcnt(0)
	v_add_nc_u32_e32 v1, -1, v1
	v_cmp_eq_u32_e32 vcc_lo, 39, v1
	s_cbranch_vccnz .LBB105_270
; %bb.269:
	v_lshlrev_b32_e32 v1, 4, v1
	v_mov_b32_e32 v2, s14
	v_add_nc_u32_e32 v1, 16, v1
	s_clause 0x7
	buffer_load_dword v3, v1, s[0:3], 0 offen
	buffer_load_dword v4, v1, s[0:3], 0 offen offset:4
	buffer_load_dword v89, v1, s[0:3], 0 offen offset:8
	;; [unrolled: 1-line block ×6, first 2 shown]
	buffer_load_dword v94, v2, s[0:3], 0 offen
	s_waitcnt vmcnt(7)
	buffer_store_dword v3, v2, s[0:3], 0 offen
	s_waitcnt vmcnt(6)
	buffer_store_dword v4, v2, s[0:3], 0 offen offset:4
	s_waitcnt vmcnt(5)
	buffer_store_dword v89, v2, s[0:3], 0 offen offset:8
	;; [unrolled: 2-line block ×6, first 2 shown]
	s_waitcnt vmcnt(0)
	buffer_store_dword v94, v1, s[0:3], 0 offen
.LBB105_270:
	global_load_dword v0, v0, s[12:13] offset:152
	s_waitcnt vmcnt(0)
	v_add_nc_u32_e32 v0, -1, v0
	v_cmp_eq_u32_e32 vcc_lo, 38, v0
	s_cbranch_vccnz .LBB105_272
; %bb.271:
	v_lshlrev_b32_e32 v0, 4, v0
	v_mov_b32_e32 v1, s15
	v_add_nc_u32_e32 v0, 16, v0
	s_clause 0x7
	buffer_load_dword v2, v0, s[0:3], 0 offen
	buffer_load_dword v3, v0, s[0:3], 0 offen offset:4
	buffer_load_dword v4, v0, s[0:3], 0 offen offset:8
	;; [unrolled: 1-line block ×6, first 2 shown]
	buffer_load_dword v93, v1, s[0:3], 0 offen
	s_waitcnt vmcnt(7)
	buffer_store_dword v2, v1, s[0:3], 0 offen
	s_waitcnt vmcnt(6)
	buffer_store_dword v3, v1, s[0:3], 0 offen offset:4
	s_waitcnt vmcnt(5)
	buffer_store_dword v4, v1, s[0:3], 0 offen offset:8
	;; [unrolled: 2-line block ×6, first 2 shown]
	s_waitcnt vmcnt(0)
	buffer_store_dword v93, v0, s[0:3], 0 offen
.LBB105_272:
	v_mov_b32_e32 v0, 0
	global_load_dword v1, v0, s[12:13] offset:148
	s_waitcnt vmcnt(0)
	v_add_nc_u32_e32 v1, -1, v1
	v_cmp_eq_u32_e32 vcc_lo, 37, v1
	s_cbranch_vccnz .LBB105_274
; %bb.273:
	v_lshlrev_b32_e32 v1, 4, v1
	v_mov_b32_e32 v2, s16
	v_add_nc_u32_e32 v1, 16, v1
	s_clause 0x7
	buffer_load_dword v3, v1, s[0:3], 0 offen
	buffer_load_dword v4, v1, s[0:3], 0 offen offset:4
	buffer_load_dword v89, v1, s[0:3], 0 offen offset:8
	;; [unrolled: 1-line block ×6, first 2 shown]
	buffer_load_dword v94, v2, s[0:3], 0 offen
	s_waitcnt vmcnt(7)
	buffer_store_dword v3, v2, s[0:3], 0 offen
	s_waitcnt vmcnt(6)
	buffer_store_dword v4, v2, s[0:3], 0 offen offset:4
	s_waitcnt vmcnt(5)
	buffer_store_dword v89, v2, s[0:3], 0 offen offset:8
	;; [unrolled: 2-line block ×6, first 2 shown]
	s_waitcnt vmcnt(0)
	buffer_store_dword v94, v1, s[0:3], 0 offen
.LBB105_274:
	global_load_dword v0, v0, s[12:13] offset:144
	s_waitcnt vmcnt(0)
	v_add_nc_u32_e32 v0, -1, v0
	v_cmp_eq_u32_e32 vcc_lo, 36, v0
	s_cbranch_vccnz .LBB105_276
; %bb.275:
	v_lshlrev_b32_e32 v0, 4, v0
	v_mov_b32_e32 v1, s17
	v_add_nc_u32_e32 v0, 16, v0
	s_clause 0x7
	buffer_load_dword v2, v0, s[0:3], 0 offen
	buffer_load_dword v3, v0, s[0:3], 0 offen offset:4
	buffer_load_dword v4, v0, s[0:3], 0 offen offset:8
	;; [unrolled: 1-line block ×6, first 2 shown]
	buffer_load_dword v93, v1, s[0:3], 0 offen
	s_waitcnt vmcnt(7)
	buffer_store_dword v2, v1, s[0:3], 0 offen
	s_waitcnt vmcnt(6)
	buffer_store_dword v3, v1, s[0:3], 0 offen offset:4
	s_waitcnt vmcnt(5)
	buffer_store_dword v4, v1, s[0:3], 0 offen offset:8
	;; [unrolled: 2-line block ×6, first 2 shown]
	s_waitcnt vmcnt(0)
	buffer_store_dword v93, v0, s[0:3], 0 offen
.LBB105_276:
	v_mov_b32_e32 v0, 0
	global_load_dword v1, v0, s[12:13] offset:140
	s_waitcnt vmcnt(0)
	v_add_nc_u32_e32 v1, -1, v1
	v_cmp_eq_u32_e32 vcc_lo, 35, v1
	s_cbranch_vccnz .LBB105_278
; %bb.277:
	v_lshlrev_b32_e32 v1, 4, v1
	v_mov_b32_e32 v2, s18
	v_add_nc_u32_e32 v1, 16, v1
	s_clause 0x7
	buffer_load_dword v3, v1, s[0:3], 0 offen
	buffer_load_dword v4, v1, s[0:3], 0 offen offset:4
	buffer_load_dword v89, v1, s[0:3], 0 offen offset:8
	;; [unrolled: 1-line block ×6, first 2 shown]
	buffer_load_dword v94, v2, s[0:3], 0 offen
	s_waitcnt vmcnt(7)
	buffer_store_dword v3, v2, s[0:3], 0 offen
	s_waitcnt vmcnt(6)
	buffer_store_dword v4, v2, s[0:3], 0 offen offset:4
	s_waitcnt vmcnt(5)
	buffer_store_dword v89, v2, s[0:3], 0 offen offset:8
	;; [unrolled: 2-line block ×6, first 2 shown]
	s_waitcnt vmcnt(0)
	buffer_store_dword v94, v1, s[0:3], 0 offen
.LBB105_278:
	global_load_dword v0, v0, s[12:13] offset:136
	s_waitcnt vmcnt(0)
	v_add_nc_u32_e32 v0, -1, v0
	v_cmp_eq_u32_e32 vcc_lo, 34, v0
	s_cbranch_vccnz .LBB105_280
; %bb.279:
	v_lshlrev_b32_e32 v0, 4, v0
	v_mov_b32_e32 v1, s19
	v_add_nc_u32_e32 v0, 16, v0
	s_clause 0x7
	buffer_load_dword v2, v0, s[0:3], 0 offen
	buffer_load_dword v3, v0, s[0:3], 0 offen offset:4
	buffer_load_dword v4, v0, s[0:3], 0 offen offset:8
	;; [unrolled: 1-line block ×6, first 2 shown]
	buffer_load_dword v93, v1, s[0:3], 0 offen
	s_waitcnt vmcnt(7)
	buffer_store_dword v2, v1, s[0:3], 0 offen
	s_waitcnt vmcnt(6)
	buffer_store_dword v3, v1, s[0:3], 0 offen offset:4
	s_waitcnt vmcnt(5)
	buffer_store_dword v4, v1, s[0:3], 0 offen offset:8
	;; [unrolled: 2-line block ×6, first 2 shown]
	s_waitcnt vmcnt(0)
	buffer_store_dword v93, v0, s[0:3], 0 offen
.LBB105_280:
	v_mov_b32_e32 v0, 0
	global_load_dword v1, v0, s[12:13] offset:132
	s_waitcnt vmcnt(0)
	v_add_nc_u32_e32 v1, -1, v1
	v_cmp_eq_u32_e32 vcc_lo, 33, v1
	s_cbranch_vccnz .LBB105_282
; %bb.281:
	v_lshlrev_b32_e32 v1, 4, v1
	v_mov_b32_e32 v2, s20
	v_add_nc_u32_e32 v1, 16, v1
	s_clause 0x7
	buffer_load_dword v3, v1, s[0:3], 0 offen
	buffer_load_dword v4, v1, s[0:3], 0 offen offset:4
	buffer_load_dword v89, v1, s[0:3], 0 offen offset:8
	;; [unrolled: 1-line block ×6, first 2 shown]
	buffer_load_dword v94, v2, s[0:3], 0 offen
	s_waitcnt vmcnt(7)
	buffer_store_dword v3, v2, s[0:3], 0 offen
	s_waitcnt vmcnt(6)
	buffer_store_dword v4, v2, s[0:3], 0 offen offset:4
	s_waitcnt vmcnt(5)
	buffer_store_dword v89, v2, s[0:3], 0 offen offset:8
	;; [unrolled: 2-line block ×6, first 2 shown]
	s_waitcnt vmcnt(0)
	buffer_store_dword v94, v1, s[0:3], 0 offen
.LBB105_282:
	global_load_dword v0, v0, s[12:13] offset:128
	s_waitcnt vmcnt(0)
	v_add_nc_u32_e32 v0, -1, v0
	v_cmp_eq_u32_e32 vcc_lo, 32, v0
	s_cbranch_vccnz .LBB105_284
; %bb.283:
	v_lshlrev_b32_e32 v0, 4, v0
	v_mov_b32_e32 v1, s21
	v_add_nc_u32_e32 v0, 16, v0
	s_clause 0x7
	buffer_load_dword v2, v0, s[0:3], 0 offen
	buffer_load_dword v3, v0, s[0:3], 0 offen offset:4
	buffer_load_dword v4, v0, s[0:3], 0 offen offset:8
	;; [unrolled: 1-line block ×6, first 2 shown]
	buffer_load_dword v93, v1, s[0:3], 0 offen
	s_waitcnt vmcnt(7)
	buffer_store_dword v2, v1, s[0:3], 0 offen
	s_waitcnt vmcnt(6)
	buffer_store_dword v3, v1, s[0:3], 0 offen offset:4
	s_waitcnt vmcnt(5)
	buffer_store_dword v4, v1, s[0:3], 0 offen offset:8
	;; [unrolled: 2-line block ×6, first 2 shown]
	s_waitcnt vmcnt(0)
	buffer_store_dword v93, v0, s[0:3], 0 offen
.LBB105_284:
	v_mov_b32_e32 v0, 0
	global_load_dword v1, v0, s[12:13] offset:124
	s_waitcnt vmcnt(0)
	v_add_nc_u32_e32 v1, -1, v1
	v_cmp_eq_u32_e32 vcc_lo, 31, v1
	s_cbranch_vccnz .LBB105_286
; %bb.285:
	v_lshlrev_b32_e32 v1, 4, v1
	v_mov_b32_e32 v2, s22
	v_add_nc_u32_e32 v1, 16, v1
	s_clause 0x7
	buffer_load_dword v3, v1, s[0:3], 0 offen
	buffer_load_dword v4, v1, s[0:3], 0 offen offset:4
	buffer_load_dword v89, v1, s[0:3], 0 offen offset:8
	;; [unrolled: 1-line block ×6, first 2 shown]
	buffer_load_dword v94, v2, s[0:3], 0 offen
	s_waitcnt vmcnt(7)
	buffer_store_dword v3, v2, s[0:3], 0 offen
	s_waitcnt vmcnt(6)
	buffer_store_dword v4, v2, s[0:3], 0 offen offset:4
	s_waitcnt vmcnt(5)
	buffer_store_dword v89, v2, s[0:3], 0 offen offset:8
	;; [unrolled: 2-line block ×6, first 2 shown]
	s_waitcnt vmcnt(0)
	buffer_store_dword v94, v1, s[0:3], 0 offen
.LBB105_286:
	global_load_dword v0, v0, s[12:13] offset:120
	s_waitcnt vmcnt(0)
	v_add_nc_u32_e32 v0, -1, v0
	v_cmp_eq_u32_e32 vcc_lo, 30, v0
	s_cbranch_vccnz .LBB105_288
; %bb.287:
	v_lshlrev_b32_e32 v0, 4, v0
	v_mov_b32_e32 v1, s23
	v_add_nc_u32_e32 v0, 16, v0
	s_clause 0x7
	buffer_load_dword v2, v0, s[0:3], 0 offen
	buffer_load_dword v3, v0, s[0:3], 0 offen offset:4
	buffer_load_dword v4, v0, s[0:3], 0 offen offset:8
	;; [unrolled: 1-line block ×6, first 2 shown]
	buffer_load_dword v93, v1, s[0:3], 0 offen
	s_waitcnt vmcnt(7)
	buffer_store_dword v2, v1, s[0:3], 0 offen
	s_waitcnt vmcnt(6)
	buffer_store_dword v3, v1, s[0:3], 0 offen offset:4
	s_waitcnt vmcnt(5)
	buffer_store_dword v4, v1, s[0:3], 0 offen offset:8
	;; [unrolled: 2-line block ×6, first 2 shown]
	s_waitcnt vmcnt(0)
	buffer_store_dword v93, v0, s[0:3], 0 offen
.LBB105_288:
	v_mov_b32_e32 v0, 0
	global_load_dword v1, v0, s[12:13] offset:116
	s_waitcnt vmcnt(0)
	v_add_nc_u32_e32 v1, -1, v1
	v_cmp_eq_u32_e32 vcc_lo, 29, v1
	s_cbranch_vccnz .LBB105_290
; %bb.289:
	v_lshlrev_b32_e32 v1, 4, v1
	v_mov_b32_e32 v2, s24
	v_add_nc_u32_e32 v1, 16, v1
	s_clause 0x7
	buffer_load_dword v3, v1, s[0:3], 0 offen
	buffer_load_dword v4, v1, s[0:3], 0 offen offset:4
	buffer_load_dword v89, v1, s[0:3], 0 offen offset:8
	;; [unrolled: 1-line block ×6, first 2 shown]
	buffer_load_dword v94, v2, s[0:3], 0 offen
	s_waitcnt vmcnt(7)
	buffer_store_dword v3, v2, s[0:3], 0 offen
	s_waitcnt vmcnt(6)
	buffer_store_dword v4, v2, s[0:3], 0 offen offset:4
	s_waitcnt vmcnt(5)
	buffer_store_dword v89, v2, s[0:3], 0 offen offset:8
	;; [unrolled: 2-line block ×6, first 2 shown]
	s_waitcnt vmcnt(0)
	buffer_store_dword v94, v1, s[0:3], 0 offen
.LBB105_290:
	global_load_dword v0, v0, s[12:13] offset:112
	s_waitcnt vmcnt(0)
	v_add_nc_u32_e32 v0, -1, v0
	v_cmp_eq_u32_e32 vcc_lo, 28, v0
	s_cbranch_vccnz .LBB105_292
; %bb.291:
	v_lshlrev_b32_e32 v0, 4, v0
	v_mov_b32_e32 v1, s25
	v_add_nc_u32_e32 v0, 16, v0
	s_clause 0x7
	buffer_load_dword v2, v0, s[0:3], 0 offen
	buffer_load_dword v3, v0, s[0:3], 0 offen offset:4
	buffer_load_dword v4, v0, s[0:3], 0 offen offset:8
	;; [unrolled: 1-line block ×6, first 2 shown]
	buffer_load_dword v93, v1, s[0:3], 0 offen
	s_waitcnt vmcnt(7)
	buffer_store_dword v2, v1, s[0:3], 0 offen
	s_waitcnt vmcnt(6)
	buffer_store_dword v3, v1, s[0:3], 0 offen offset:4
	s_waitcnt vmcnt(5)
	buffer_store_dword v4, v1, s[0:3], 0 offen offset:8
	;; [unrolled: 2-line block ×6, first 2 shown]
	s_waitcnt vmcnt(0)
	buffer_store_dword v93, v0, s[0:3], 0 offen
.LBB105_292:
	v_mov_b32_e32 v0, 0
	global_load_dword v1, v0, s[12:13] offset:108
	s_waitcnt vmcnt(0)
	v_add_nc_u32_e32 v1, -1, v1
	v_cmp_eq_u32_e32 vcc_lo, 27, v1
	s_cbranch_vccnz .LBB105_294
; %bb.293:
	v_lshlrev_b32_e32 v1, 4, v1
	v_mov_b32_e32 v2, s26
	v_add_nc_u32_e32 v1, 16, v1
	s_clause 0x7
	buffer_load_dword v3, v1, s[0:3], 0 offen
	buffer_load_dword v4, v1, s[0:3], 0 offen offset:4
	buffer_load_dword v89, v1, s[0:3], 0 offen offset:8
	;; [unrolled: 1-line block ×6, first 2 shown]
	buffer_load_dword v94, v2, s[0:3], 0 offen
	s_waitcnt vmcnt(7)
	buffer_store_dword v3, v2, s[0:3], 0 offen
	s_waitcnt vmcnt(6)
	buffer_store_dword v4, v2, s[0:3], 0 offen offset:4
	s_waitcnt vmcnt(5)
	buffer_store_dword v89, v2, s[0:3], 0 offen offset:8
	;; [unrolled: 2-line block ×6, first 2 shown]
	s_waitcnt vmcnt(0)
	buffer_store_dword v94, v1, s[0:3], 0 offen
.LBB105_294:
	global_load_dword v0, v0, s[12:13] offset:104
	s_waitcnt vmcnt(0)
	v_add_nc_u32_e32 v0, -1, v0
	v_cmp_eq_u32_e32 vcc_lo, 26, v0
	s_cbranch_vccnz .LBB105_296
; %bb.295:
	v_lshlrev_b32_e32 v0, 4, v0
	v_mov_b32_e32 v1, s27
	v_add_nc_u32_e32 v0, 16, v0
	s_clause 0x7
	buffer_load_dword v2, v0, s[0:3], 0 offen
	buffer_load_dword v3, v0, s[0:3], 0 offen offset:4
	buffer_load_dword v4, v0, s[0:3], 0 offen offset:8
	;; [unrolled: 1-line block ×6, first 2 shown]
	buffer_load_dword v93, v1, s[0:3], 0 offen
	s_waitcnt vmcnt(7)
	buffer_store_dword v2, v1, s[0:3], 0 offen
	s_waitcnt vmcnt(6)
	buffer_store_dword v3, v1, s[0:3], 0 offen offset:4
	s_waitcnt vmcnt(5)
	buffer_store_dword v4, v1, s[0:3], 0 offen offset:8
	;; [unrolled: 2-line block ×6, first 2 shown]
	s_waitcnt vmcnt(0)
	buffer_store_dword v93, v0, s[0:3], 0 offen
.LBB105_296:
	v_mov_b32_e32 v0, 0
	global_load_dword v1, v0, s[12:13] offset:100
	s_waitcnt vmcnt(0)
	v_add_nc_u32_e32 v1, -1, v1
	v_cmp_eq_u32_e32 vcc_lo, 25, v1
	s_cbranch_vccnz .LBB105_298
; %bb.297:
	v_lshlrev_b32_e32 v1, 4, v1
	v_mov_b32_e32 v2, s28
	v_add_nc_u32_e32 v1, 16, v1
	s_clause 0x7
	buffer_load_dword v3, v1, s[0:3], 0 offen
	buffer_load_dword v4, v1, s[0:3], 0 offen offset:4
	buffer_load_dword v89, v1, s[0:3], 0 offen offset:8
	;; [unrolled: 1-line block ×6, first 2 shown]
	buffer_load_dword v94, v2, s[0:3], 0 offen
	s_waitcnt vmcnt(7)
	buffer_store_dword v3, v2, s[0:3], 0 offen
	s_waitcnt vmcnt(6)
	buffer_store_dword v4, v2, s[0:3], 0 offen offset:4
	s_waitcnt vmcnt(5)
	buffer_store_dword v89, v2, s[0:3], 0 offen offset:8
	;; [unrolled: 2-line block ×6, first 2 shown]
	s_waitcnt vmcnt(0)
	buffer_store_dword v94, v1, s[0:3], 0 offen
.LBB105_298:
	global_load_dword v0, v0, s[12:13] offset:96
	s_waitcnt vmcnt(0)
	v_add_nc_u32_e32 v0, -1, v0
	v_cmp_eq_u32_e32 vcc_lo, 24, v0
	s_cbranch_vccnz .LBB105_300
; %bb.299:
	v_lshlrev_b32_e32 v0, 4, v0
	v_mov_b32_e32 v1, s29
	v_add_nc_u32_e32 v0, 16, v0
	s_clause 0x7
	buffer_load_dword v2, v0, s[0:3], 0 offen
	buffer_load_dword v3, v0, s[0:3], 0 offen offset:4
	buffer_load_dword v4, v0, s[0:3], 0 offen offset:8
	;; [unrolled: 1-line block ×6, first 2 shown]
	buffer_load_dword v93, v1, s[0:3], 0 offen
	s_waitcnt vmcnt(7)
	buffer_store_dword v2, v1, s[0:3], 0 offen
	s_waitcnt vmcnt(6)
	buffer_store_dword v3, v1, s[0:3], 0 offen offset:4
	s_waitcnt vmcnt(5)
	buffer_store_dword v4, v1, s[0:3], 0 offen offset:8
	;; [unrolled: 2-line block ×6, first 2 shown]
	s_waitcnt vmcnt(0)
	buffer_store_dword v93, v0, s[0:3], 0 offen
.LBB105_300:
	v_mov_b32_e32 v0, 0
	global_load_dword v1, v0, s[12:13] offset:92
	s_waitcnt vmcnt(0)
	v_add_nc_u32_e32 v1, -1, v1
	v_cmp_eq_u32_e32 vcc_lo, 23, v1
	s_cbranch_vccnz .LBB105_302
; %bb.301:
	v_lshlrev_b32_e32 v1, 4, v1
	v_mov_b32_e32 v2, s30
	v_add_nc_u32_e32 v1, 16, v1
	s_clause 0x7
	buffer_load_dword v3, v1, s[0:3], 0 offen
	buffer_load_dword v4, v1, s[0:3], 0 offen offset:4
	buffer_load_dword v89, v1, s[0:3], 0 offen offset:8
	;; [unrolled: 1-line block ×6, first 2 shown]
	buffer_load_dword v94, v2, s[0:3], 0 offen
	s_waitcnt vmcnt(7)
	buffer_store_dword v3, v2, s[0:3], 0 offen
	s_waitcnt vmcnt(6)
	buffer_store_dword v4, v2, s[0:3], 0 offen offset:4
	s_waitcnt vmcnt(5)
	buffer_store_dword v89, v2, s[0:3], 0 offen offset:8
	;; [unrolled: 2-line block ×6, first 2 shown]
	s_waitcnt vmcnt(0)
	buffer_store_dword v94, v1, s[0:3], 0 offen
.LBB105_302:
	global_load_dword v0, v0, s[12:13] offset:88
	s_waitcnt vmcnt(0)
	v_add_nc_u32_e32 v0, -1, v0
	v_cmp_eq_u32_e32 vcc_lo, 22, v0
	s_cbranch_vccnz .LBB105_304
; %bb.303:
	v_lshlrev_b32_e32 v0, 4, v0
	v_mov_b32_e32 v1, s31
	v_add_nc_u32_e32 v0, 16, v0
	s_clause 0x7
	buffer_load_dword v2, v0, s[0:3], 0 offen
	buffer_load_dword v3, v0, s[0:3], 0 offen offset:4
	buffer_load_dword v4, v0, s[0:3], 0 offen offset:8
	;; [unrolled: 1-line block ×6, first 2 shown]
	buffer_load_dword v93, v1, s[0:3], 0 offen
	s_waitcnt vmcnt(7)
	buffer_store_dword v2, v1, s[0:3], 0 offen
	s_waitcnt vmcnt(6)
	buffer_store_dword v3, v1, s[0:3], 0 offen offset:4
	s_waitcnt vmcnt(5)
	buffer_store_dword v4, v1, s[0:3], 0 offen offset:8
	;; [unrolled: 2-line block ×6, first 2 shown]
	s_waitcnt vmcnt(0)
	buffer_store_dword v93, v0, s[0:3], 0 offen
.LBB105_304:
	v_mov_b32_e32 v0, 0
	global_load_dword v1, v0, s[12:13] offset:84
	s_waitcnt vmcnt(0)
	v_add_nc_u32_e32 v1, -1, v1
	v_cmp_eq_u32_e32 vcc_lo, 21, v1
	s_cbranch_vccnz .LBB105_306
; %bb.305:
	v_lshlrev_b32_e32 v1, 4, v1
	v_mov_b32_e32 v2, s33
	v_add_nc_u32_e32 v1, 16, v1
	s_clause 0x7
	buffer_load_dword v3, v1, s[0:3], 0 offen
	buffer_load_dword v4, v1, s[0:3], 0 offen offset:4
	buffer_load_dword v89, v1, s[0:3], 0 offen offset:8
	;; [unrolled: 1-line block ×6, first 2 shown]
	buffer_load_dword v94, v2, s[0:3], 0 offen
	s_waitcnt vmcnt(7)
	buffer_store_dword v3, v2, s[0:3], 0 offen
	s_waitcnt vmcnt(6)
	buffer_store_dword v4, v2, s[0:3], 0 offen offset:4
	s_waitcnt vmcnt(5)
	buffer_store_dword v89, v2, s[0:3], 0 offen offset:8
	;; [unrolled: 2-line block ×6, first 2 shown]
	s_waitcnt vmcnt(0)
	buffer_store_dword v94, v1, s[0:3], 0 offen
.LBB105_306:
	global_load_dword v0, v0, s[12:13] offset:80
	s_waitcnt vmcnt(0)
	v_add_nc_u32_e32 v0, -1, v0
	v_cmp_eq_u32_e32 vcc_lo, 20, v0
	s_cbranch_vccnz .LBB105_308
; %bb.307:
	v_lshlrev_b32_e32 v0, 4, v0
	v_mov_b32_e32 v1, s34
	v_add_nc_u32_e32 v0, 16, v0
	s_clause 0x7
	buffer_load_dword v2, v0, s[0:3], 0 offen
	buffer_load_dword v3, v0, s[0:3], 0 offen offset:4
	buffer_load_dword v4, v0, s[0:3], 0 offen offset:8
	;; [unrolled: 1-line block ×6, first 2 shown]
	buffer_load_dword v93, v1, s[0:3], 0 offen
	s_waitcnt vmcnt(7)
	buffer_store_dword v2, v1, s[0:3], 0 offen
	s_waitcnt vmcnt(6)
	buffer_store_dword v3, v1, s[0:3], 0 offen offset:4
	s_waitcnt vmcnt(5)
	buffer_store_dword v4, v1, s[0:3], 0 offen offset:8
	;; [unrolled: 2-line block ×6, first 2 shown]
	s_waitcnt vmcnt(0)
	buffer_store_dword v93, v0, s[0:3], 0 offen
.LBB105_308:
	v_mov_b32_e32 v0, 0
	global_load_dword v1, v0, s[12:13] offset:76
	s_waitcnt vmcnt(0)
	v_add_nc_u32_e32 v1, -1, v1
	v_cmp_eq_u32_e32 vcc_lo, 19, v1
	s_cbranch_vccnz .LBB105_310
; %bb.309:
	v_lshlrev_b32_e32 v1, 4, v1
	v_mov_b32_e32 v2, s35
	v_add_nc_u32_e32 v1, 16, v1
	s_clause 0x7
	buffer_load_dword v3, v1, s[0:3], 0 offen
	buffer_load_dword v4, v1, s[0:3], 0 offen offset:4
	buffer_load_dword v89, v1, s[0:3], 0 offen offset:8
	buffer_load_dword v90, v1, s[0:3], 0 offen offset:12
	buffer_load_dword v91, v2, s[0:3], 0 offen offset:12
	buffer_load_dword v92, v2, s[0:3], 0 offen offset:8
	buffer_load_dword v93, v2, s[0:3], 0 offen offset:4
	buffer_load_dword v94, v2, s[0:3], 0 offen
	s_waitcnt vmcnt(7)
	buffer_store_dword v3, v2, s[0:3], 0 offen
	s_waitcnt vmcnt(6)
	buffer_store_dword v4, v2, s[0:3], 0 offen offset:4
	s_waitcnt vmcnt(5)
	buffer_store_dword v89, v2, s[0:3], 0 offen offset:8
	;; [unrolled: 2-line block ×6, first 2 shown]
	s_waitcnt vmcnt(0)
	buffer_store_dword v94, v1, s[0:3], 0 offen
.LBB105_310:
	global_load_dword v0, v0, s[12:13] offset:72
	s_waitcnt vmcnt(0)
	v_add_nc_u32_e32 v0, -1, v0
	v_cmp_eq_u32_e32 vcc_lo, 18, v0
	s_cbranch_vccnz .LBB105_312
; %bb.311:
	v_lshlrev_b32_e32 v0, 4, v0
	v_mov_b32_e32 v1, s36
	v_add_nc_u32_e32 v0, 16, v0
	s_clause 0x7
	buffer_load_dword v2, v0, s[0:3], 0 offen
	buffer_load_dword v3, v0, s[0:3], 0 offen offset:4
	buffer_load_dword v4, v0, s[0:3], 0 offen offset:8
	;; [unrolled: 1-line block ×6, first 2 shown]
	buffer_load_dword v93, v1, s[0:3], 0 offen
	s_waitcnt vmcnt(7)
	buffer_store_dword v2, v1, s[0:3], 0 offen
	s_waitcnt vmcnt(6)
	buffer_store_dword v3, v1, s[0:3], 0 offen offset:4
	s_waitcnt vmcnt(5)
	buffer_store_dword v4, v1, s[0:3], 0 offen offset:8
	;; [unrolled: 2-line block ×6, first 2 shown]
	s_waitcnt vmcnt(0)
	buffer_store_dword v93, v0, s[0:3], 0 offen
.LBB105_312:
	v_mov_b32_e32 v0, 0
	global_load_dword v1, v0, s[12:13] offset:68
	s_waitcnt vmcnt(0)
	v_add_nc_u32_e32 v1, -1, v1
	v_cmp_eq_u32_e32 vcc_lo, 17, v1
	s_cbranch_vccnz .LBB105_314
; %bb.313:
	v_lshlrev_b32_e32 v1, 4, v1
	v_mov_b32_e32 v2, s37
	v_add_nc_u32_e32 v1, 16, v1
	s_clause 0x7
	buffer_load_dword v3, v1, s[0:3], 0 offen
	buffer_load_dword v4, v1, s[0:3], 0 offen offset:4
	buffer_load_dword v89, v1, s[0:3], 0 offen offset:8
	;; [unrolled: 1-line block ×6, first 2 shown]
	buffer_load_dword v94, v2, s[0:3], 0 offen
	s_waitcnt vmcnt(7)
	buffer_store_dword v3, v2, s[0:3], 0 offen
	s_waitcnt vmcnt(6)
	buffer_store_dword v4, v2, s[0:3], 0 offen offset:4
	s_waitcnt vmcnt(5)
	buffer_store_dword v89, v2, s[0:3], 0 offen offset:8
	s_waitcnt vmcnt(4)
	buffer_store_dword v90, v2, s[0:3], 0 offen offset:12
	s_waitcnt vmcnt(3)
	buffer_store_dword v91, v1, s[0:3], 0 offen offset:12
	s_waitcnt vmcnt(2)
	buffer_store_dword v92, v1, s[0:3], 0 offen offset:8
	s_waitcnt vmcnt(1)
	buffer_store_dword v93, v1, s[0:3], 0 offen offset:4
	s_waitcnt vmcnt(0)
	buffer_store_dword v94, v1, s[0:3], 0 offen
.LBB105_314:
	global_load_dword v0, v0, s[12:13] offset:64
	s_waitcnt vmcnt(0)
	v_add_nc_u32_e32 v0, -1, v0
	v_cmp_eq_u32_e32 vcc_lo, 16, v0
	s_cbranch_vccnz .LBB105_316
; %bb.315:
	v_lshlrev_b32_e32 v0, 4, v0
	v_mov_b32_e32 v1, s38
	v_add_nc_u32_e32 v0, 16, v0
	s_clause 0x7
	buffer_load_dword v2, v0, s[0:3], 0 offen
	buffer_load_dword v3, v0, s[0:3], 0 offen offset:4
	buffer_load_dword v4, v0, s[0:3], 0 offen offset:8
	;; [unrolled: 1-line block ×6, first 2 shown]
	buffer_load_dword v93, v1, s[0:3], 0 offen
	s_waitcnt vmcnt(7)
	buffer_store_dword v2, v1, s[0:3], 0 offen
	s_waitcnt vmcnt(6)
	buffer_store_dword v3, v1, s[0:3], 0 offen offset:4
	s_waitcnt vmcnt(5)
	buffer_store_dword v4, v1, s[0:3], 0 offen offset:8
	;; [unrolled: 2-line block ×6, first 2 shown]
	s_waitcnt vmcnt(0)
	buffer_store_dword v93, v0, s[0:3], 0 offen
.LBB105_316:
	v_mov_b32_e32 v0, 0
	global_load_dword v1, v0, s[12:13] offset:60
	s_waitcnt vmcnt(0)
	v_add_nc_u32_e32 v1, -1, v1
	v_cmp_eq_u32_e32 vcc_lo, 15, v1
	s_cbranch_vccnz .LBB105_318
; %bb.317:
	v_lshlrev_b32_e32 v1, 4, v1
	v_mov_b32_e32 v2, s39
	v_add_nc_u32_e32 v1, 16, v1
	s_clause 0x7
	buffer_load_dword v3, v1, s[0:3], 0 offen
	buffer_load_dword v4, v1, s[0:3], 0 offen offset:4
	buffer_load_dword v89, v1, s[0:3], 0 offen offset:8
	;; [unrolled: 1-line block ×6, first 2 shown]
	buffer_load_dword v94, v2, s[0:3], 0 offen
	s_waitcnt vmcnt(7)
	buffer_store_dword v3, v2, s[0:3], 0 offen
	s_waitcnt vmcnt(6)
	buffer_store_dword v4, v2, s[0:3], 0 offen offset:4
	s_waitcnt vmcnt(5)
	buffer_store_dword v89, v2, s[0:3], 0 offen offset:8
	;; [unrolled: 2-line block ×6, first 2 shown]
	s_waitcnt vmcnt(0)
	buffer_store_dword v94, v1, s[0:3], 0 offen
.LBB105_318:
	global_load_dword v0, v0, s[12:13] offset:56
	s_waitcnt vmcnt(0)
	v_add_nc_u32_e32 v0, -1, v0
	v_cmp_eq_u32_e32 vcc_lo, 14, v0
	s_cbranch_vccnz .LBB105_320
; %bb.319:
	v_lshlrev_b32_e32 v0, 4, v0
	v_mov_b32_e32 v1, s40
	v_add_nc_u32_e32 v0, 16, v0
	s_clause 0x7
	buffer_load_dword v2, v0, s[0:3], 0 offen
	buffer_load_dword v3, v0, s[0:3], 0 offen offset:4
	buffer_load_dword v4, v0, s[0:3], 0 offen offset:8
	;; [unrolled: 1-line block ×6, first 2 shown]
	buffer_load_dword v93, v1, s[0:3], 0 offen
	s_waitcnt vmcnt(7)
	buffer_store_dword v2, v1, s[0:3], 0 offen
	s_waitcnt vmcnt(6)
	buffer_store_dword v3, v1, s[0:3], 0 offen offset:4
	s_waitcnt vmcnt(5)
	buffer_store_dword v4, v1, s[0:3], 0 offen offset:8
	;; [unrolled: 2-line block ×6, first 2 shown]
	s_waitcnt vmcnt(0)
	buffer_store_dword v93, v0, s[0:3], 0 offen
.LBB105_320:
	v_mov_b32_e32 v0, 0
	global_load_dword v1, v0, s[12:13] offset:52
	s_waitcnt vmcnt(0)
	v_add_nc_u32_e32 v1, -1, v1
	v_cmp_eq_u32_e32 vcc_lo, 13, v1
	s_cbranch_vccnz .LBB105_322
; %bb.321:
	v_lshlrev_b32_e32 v1, 4, v1
	v_mov_b32_e32 v2, s41
	v_add_nc_u32_e32 v1, 16, v1
	s_clause 0x7
	buffer_load_dword v3, v1, s[0:3], 0 offen
	buffer_load_dword v4, v1, s[0:3], 0 offen offset:4
	buffer_load_dword v89, v1, s[0:3], 0 offen offset:8
	;; [unrolled: 1-line block ×6, first 2 shown]
	buffer_load_dword v94, v2, s[0:3], 0 offen
	s_waitcnt vmcnt(7)
	buffer_store_dword v3, v2, s[0:3], 0 offen
	s_waitcnt vmcnt(6)
	buffer_store_dword v4, v2, s[0:3], 0 offen offset:4
	s_waitcnt vmcnt(5)
	buffer_store_dword v89, v2, s[0:3], 0 offen offset:8
	;; [unrolled: 2-line block ×6, first 2 shown]
	s_waitcnt vmcnt(0)
	buffer_store_dword v94, v1, s[0:3], 0 offen
.LBB105_322:
	global_load_dword v0, v0, s[12:13] offset:48
	s_waitcnt vmcnt(0)
	v_add_nc_u32_e32 v0, -1, v0
	v_cmp_eq_u32_e32 vcc_lo, 12, v0
	s_cbranch_vccnz .LBB105_324
; %bb.323:
	v_lshlrev_b32_e32 v0, 4, v0
	v_mov_b32_e32 v1, s42
	v_add_nc_u32_e32 v0, 16, v0
	s_clause 0x7
	buffer_load_dword v2, v0, s[0:3], 0 offen
	buffer_load_dword v3, v0, s[0:3], 0 offen offset:4
	buffer_load_dword v4, v0, s[0:3], 0 offen offset:8
	;; [unrolled: 1-line block ×6, first 2 shown]
	buffer_load_dword v93, v1, s[0:3], 0 offen
	s_waitcnt vmcnt(7)
	buffer_store_dword v2, v1, s[0:3], 0 offen
	s_waitcnt vmcnt(6)
	buffer_store_dword v3, v1, s[0:3], 0 offen offset:4
	s_waitcnt vmcnt(5)
	buffer_store_dword v4, v1, s[0:3], 0 offen offset:8
	;; [unrolled: 2-line block ×6, first 2 shown]
	s_waitcnt vmcnt(0)
	buffer_store_dword v93, v0, s[0:3], 0 offen
.LBB105_324:
	v_mov_b32_e32 v0, 0
	global_load_dword v1, v0, s[12:13] offset:44
	s_waitcnt vmcnt(0)
	v_add_nc_u32_e32 v1, -1, v1
	v_cmp_eq_u32_e32 vcc_lo, 11, v1
	s_cbranch_vccnz .LBB105_326
; %bb.325:
	v_lshlrev_b32_e32 v1, 4, v1
	v_mov_b32_e32 v2, s43
	v_add_nc_u32_e32 v1, 16, v1
	s_clause 0x7
	buffer_load_dword v3, v1, s[0:3], 0 offen
	buffer_load_dword v4, v1, s[0:3], 0 offen offset:4
	buffer_load_dword v89, v1, s[0:3], 0 offen offset:8
	;; [unrolled: 1-line block ×6, first 2 shown]
	buffer_load_dword v94, v2, s[0:3], 0 offen
	s_waitcnt vmcnt(7)
	buffer_store_dword v3, v2, s[0:3], 0 offen
	s_waitcnt vmcnt(6)
	buffer_store_dword v4, v2, s[0:3], 0 offen offset:4
	s_waitcnt vmcnt(5)
	buffer_store_dword v89, v2, s[0:3], 0 offen offset:8
	;; [unrolled: 2-line block ×6, first 2 shown]
	s_waitcnt vmcnt(0)
	buffer_store_dword v94, v1, s[0:3], 0 offen
.LBB105_326:
	global_load_dword v0, v0, s[12:13] offset:40
	s_waitcnt vmcnt(0)
	v_add_nc_u32_e32 v0, -1, v0
	v_cmp_eq_u32_e32 vcc_lo, 10, v0
	s_cbranch_vccnz .LBB105_328
; %bb.327:
	v_lshlrev_b32_e32 v0, 4, v0
	v_mov_b32_e32 v1, s44
	v_add_nc_u32_e32 v0, 16, v0
	s_clause 0x7
	buffer_load_dword v2, v0, s[0:3], 0 offen
	buffer_load_dword v3, v0, s[0:3], 0 offen offset:4
	buffer_load_dword v4, v0, s[0:3], 0 offen offset:8
	;; [unrolled: 1-line block ×6, first 2 shown]
	buffer_load_dword v93, v1, s[0:3], 0 offen
	s_waitcnt vmcnt(7)
	buffer_store_dword v2, v1, s[0:3], 0 offen
	s_waitcnt vmcnt(6)
	buffer_store_dword v3, v1, s[0:3], 0 offen offset:4
	s_waitcnt vmcnt(5)
	buffer_store_dword v4, v1, s[0:3], 0 offen offset:8
	;; [unrolled: 2-line block ×6, first 2 shown]
	s_waitcnt vmcnt(0)
	buffer_store_dword v93, v0, s[0:3], 0 offen
.LBB105_328:
	v_mov_b32_e32 v0, 0
	global_load_dword v1, v0, s[12:13] offset:36
	s_waitcnt vmcnt(0)
	v_add_nc_u32_e32 v1, -1, v1
	v_cmp_eq_u32_e32 vcc_lo, 9, v1
	s_cbranch_vccnz .LBB105_330
; %bb.329:
	v_lshlrev_b32_e32 v1, 4, v1
	v_mov_b32_e32 v2, s45
	v_add_nc_u32_e32 v1, 16, v1
	s_clause 0x7
	buffer_load_dword v3, v1, s[0:3], 0 offen
	buffer_load_dword v4, v1, s[0:3], 0 offen offset:4
	buffer_load_dword v89, v1, s[0:3], 0 offen offset:8
	;; [unrolled: 1-line block ×6, first 2 shown]
	buffer_load_dword v94, v2, s[0:3], 0 offen
	s_waitcnt vmcnt(7)
	buffer_store_dword v3, v2, s[0:3], 0 offen
	s_waitcnt vmcnt(6)
	buffer_store_dword v4, v2, s[0:3], 0 offen offset:4
	s_waitcnt vmcnt(5)
	buffer_store_dword v89, v2, s[0:3], 0 offen offset:8
	;; [unrolled: 2-line block ×6, first 2 shown]
	s_waitcnt vmcnt(0)
	buffer_store_dword v94, v1, s[0:3], 0 offen
.LBB105_330:
	global_load_dword v0, v0, s[12:13] offset:32
	s_waitcnt vmcnt(0)
	v_add_nc_u32_e32 v0, -1, v0
	v_cmp_eq_u32_e32 vcc_lo, 8, v0
	s_cbranch_vccnz .LBB105_332
; %bb.331:
	v_lshlrev_b32_e32 v0, 4, v0
	v_mov_b32_e32 v1, s46
	v_add_nc_u32_e32 v0, 16, v0
	s_clause 0x7
	buffer_load_dword v2, v0, s[0:3], 0 offen
	buffer_load_dword v3, v0, s[0:3], 0 offen offset:4
	buffer_load_dword v4, v0, s[0:3], 0 offen offset:8
	;; [unrolled: 1-line block ×6, first 2 shown]
	buffer_load_dword v93, v1, s[0:3], 0 offen
	s_waitcnt vmcnt(7)
	buffer_store_dword v2, v1, s[0:3], 0 offen
	s_waitcnt vmcnt(6)
	buffer_store_dword v3, v1, s[0:3], 0 offen offset:4
	s_waitcnt vmcnt(5)
	buffer_store_dword v4, v1, s[0:3], 0 offen offset:8
	;; [unrolled: 2-line block ×6, first 2 shown]
	s_waitcnt vmcnt(0)
	buffer_store_dword v93, v0, s[0:3], 0 offen
.LBB105_332:
	v_mov_b32_e32 v0, 0
	global_load_dword v1, v0, s[12:13] offset:28
	s_waitcnt vmcnt(0)
	v_add_nc_u32_e32 v1, -1, v1
	v_cmp_eq_u32_e32 vcc_lo, 7, v1
	s_cbranch_vccnz .LBB105_334
; %bb.333:
	v_lshlrev_b32_e32 v1, 4, v1
	v_mov_b32_e32 v2, s47
	v_add_nc_u32_e32 v1, 16, v1
	s_clause 0x7
	buffer_load_dword v3, v1, s[0:3], 0 offen
	buffer_load_dword v4, v1, s[0:3], 0 offen offset:4
	buffer_load_dword v89, v1, s[0:3], 0 offen offset:8
	;; [unrolled: 1-line block ×6, first 2 shown]
	buffer_load_dword v94, v2, s[0:3], 0 offen
	s_waitcnt vmcnt(7)
	buffer_store_dword v3, v2, s[0:3], 0 offen
	s_waitcnt vmcnt(6)
	buffer_store_dword v4, v2, s[0:3], 0 offen offset:4
	s_waitcnt vmcnt(5)
	buffer_store_dword v89, v2, s[0:3], 0 offen offset:8
	;; [unrolled: 2-line block ×6, first 2 shown]
	s_waitcnt vmcnt(0)
	buffer_store_dword v94, v1, s[0:3], 0 offen
.LBB105_334:
	global_load_dword v0, v0, s[12:13] offset:24
	s_waitcnt vmcnt(0)
	v_add_nc_u32_e32 v0, -1, v0
	v_cmp_eq_u32_e32 vcc_lo, 6, v0
	s_cbranch_vccnz .LBB105_336
; %bb.335:
	v_lshlrev_b32_e32 v0, 4, v0
	v_mov_b32_e32 v1, s48
	v_add_nc_u32_e32 v0, 16, v0
	s_clause 0x7
	buffer_load_dword v2, v0, s[0:3], 0 offen
	buffer_load_dword v3, v0, s[0:3], 0 offen offset:4
	buffer_load_dword v4, v0, s[0:3], 0 offen offset:8
	;; [unrolled: 1-line block ×6, first 2 shown]
	buffer_load_dword v93, v1, s[0:3], 0 offen
	s_waitcnt vmcnt(7)
	buffer_store_dword v2, v1, s[0:3], 0 offen
	s_waitcnt vmcnt(6)
	buffer_store_dword v3, v1, s[0:3], 0 offen offset:4
	s_waitcnt vmcnt(5)
	buffer_store_dword v4, v1, s[0:3], 0 offen offset:8
	;; [unrolled: 2-line block ×6, first 2 shown]
	s_waitcnt vmcnt(0)
	buffer_store_dword v93, v0, s[0:3], 0 offen
.LBB105_336:
	v_mov_b32_e32 v0, 0
	global_load_dword v1, v0, s[12:13] offset:20
	s_waitcnt vmcnt(0)
	v_add_nc_u32_e32 v1, -1, v1
	v_cmp_eq_u32_e32 vcc_lo, 5, v1
	s_cbranch_vccnz .LBB105_338
; %bb.337:
	v_lshlrev_b32_e32 v1, 4, v1
	v_mov_b32_e32 v2, s49
	v_add_nc_u32_e32 v1, 16, v1
	s_clause 0x7
	buffer_load_dword v3, v1, s[0:3], 0 offen
	buffer_load_dword v4, v1, s[0:3], 0 offen offset:4
	buffer_load_dword v89, v1, s[0:3], 0 offen offset:8
	;; [unrolled: 1-line block ×6, first 2 shown]
	buffer_load_dword v94, v2, s[0:3], 0 offen
	s_waitcnt vmcnt(7)
	buffer_store_dword v3, v2, s[0:3], 0 offen
	s_waitcnt vmcnt(6)
	buffer_store_dword v4, v2, s[0:3], 0 offen offset:4
	s_waitcnt vmcnt(5)
	buffer_store_dword v89, v2, s[0:3], 0 offen offset:8
	;; [unrolled: 2-line block ×6, first 2 shown]
	s_waitcnt vmcnt(0)
	buffer_store_dword v94, v1, s[0:3], 0 offen
.LBB105_338:
	global_load_dword v0, v0, s[12:13] offset:16
	s_waitcnt vmcnt(0)
	v_add_nc_u32_e32 v0, -1, v0
	v_cmp_eq_u32_e32 vcc_lo, 4, v0
	s_cbranch_vccnz .LBB105_340
; %bb.339:
	v_lshlrev_b32_e32 v0, 4, v0
	v_mov_b32_e32 v1, s50
	v_add_nc_u32_e32 v0, 16, v0
	s_clause 0x7
	buffer_load_dword v2, v0, s[0:3], 0 offen
	buffer_load_dword v3, v0, s[0:3], 0 offen offset:4
	buffer_load_dword v4, v0, s[0:3], 0 offen offset:8
	;; [unrolled: 1-line block ×6, first 2 shown]
	buffer_load_dword v93, v1, s[0:3], 0 offen
	s_waitcnt vmcnt(7)
	buffer_store_dword v2, v1, s[0:3], 0 offen
	s_waitcnt vmcnt(6)
	buffer_store_dword v3, v1, s[0:3], 0 offen offset:4
	s_waitcnt vmcnt(5)
	buffer_store_dword v4, v1, s[0:3], 0 offen offset:8
	;; [unrolled: 2-line block ×6, first 2 shown]
	s_waitcnt vmcnt(0)
	buffer_store_dword v93, v0, s[0:3], 0 offen
.LBB105_340:
	v_mov_b32_e32 v0, 0
	global_load_dword v1, v0, s[12:13] offset:12
	s_waitcnt vmcnt(0)
	v_add_nc_u32_e32 v1, -1, v1
	v_cmp_eq_u32_e32 vcc_lo, 3, v1
	s_cbranch_vccnz .LBB105_342
; %bb.341:
	v_lshlrev_b32_e32 v1, 4, v1
	v_mov_b32_e32 v2, s51
	v_add_nc_u32_e32 v1, 16, v1
	s_clause 0x7
	buffer_load_dword v3, v1, s[0:3], 0 offen
	buffer_load_dword v4, v1, s[0:3], 0 offen offset:4
	buffer_load_dword v89, v1, s[0:3], 0 offen offset:8
	;; [unrolled: 1-line block ×6, first 2 shown]
	buffer_load_dword v94, v2, s[0:3], 0 offen
	s_waitcnt vmcnt(7)
	buffer_store_dword v3, v2, s[0:3], 0 offen
	s_waitcnt vmcnt(6)
	buffer_store_dword v4, v2, s[0:3], 0 offen offset:4
	s_waitcnt vmcnt(5)
	buffer_store_dword v89, v2, s[0:3], 0 offen offset:8
	;; [unrolled: 2-line block ×6, first 2 shown]
	s_waitcnt vmcnt(0)
	buffer_store_dword v94, v1, s[0:3], 0 offen
.LBB105_342:
	global_load_dword v0, v0, s[12:13] offset:8
	s_waitcnt vmcnt(0)
	v_add_nc_u32_e32 v0, -1, v0
	v_cmp_eq_u32_e32 vcc_lo, 2, v0
	s_cbranch_vccnz .LBB105_344
; %bb.343:
	v_lshlrev_b32_e32 v0, 4, v0
	v_mov_b32_e32 v1, s52
	v_add_nc_u32_e32 v0, 16, v0
	s_clause 0x7
	buffer_load_dword v2, v0, s[0:3], 0 offen
	buffer_load_dword v3, v0, s[0:3], 0 offen offset:4
	buffer_load_dword v4, v0, s[0:3], 0 offen offset:8
	;; [unrolled: 1-line block ×6, first 2 shown]
	buffer_load_dword v93, v1, s[0:3], 0 offen
	s_waitcnt vmcnt(7)
	buffer_store_dword v2, v1, s[0:3], 0 offen
	s_waitcnt vmcnt(6)
	buffer_store_dword v3, v1, s[0:3], 0 offen offset:4
	s_waitcnt vmcnt(5)
	buffer_store_dword v4, v1, s[0:3], 0 offen offset:8
	s_waitcnt vmcnt(4)
	buffer_store_dword v89, v1, s[0:3], 0 offen offset:12
	s_waitcnt vmcnt(3)
	buffer_store_dword v90, v0, s[0:3], 0 offen offset:12
	s_waitcnt vmcnt(2)
	buffer_store_dword v91, v0, s[0:3], 0 offen offset:8
	s_waitcnt vmcnt(1)
	buffer_store_dword v92, v0, s[0:3], 0 offen offset:4
	s_waitcnt vmcnt(0)
	buffer_store_dword v93, v0, s[0:3], 0 offen
.LBB105_344:
	v_mov_b32_e32 v0, 0
	global_load_dword v1, v0, s[12:13] offset:4
	s_waitcnt vmcnt(0)
	v_add_nc_u32_e32 v1, -1, v1
	v_cmp_eq_u32_e32 vcc_lo, 1, v1
	s_cbranch_vccnz .LBB105_346
; %bb.345:
	v_lshlrev_b32_e32 v1, 4, v1
	v_mov_b32_e32 v2, s53
	v_add_nc_u32_e32 v1, 16, v1
	s_clause 0x7
	buffer_load_dword v3, v1, s[0:3], 0 offen
	buffer_load_dword v4, v1, s[0:3], 0 offen offset:4
	buffer_load_dword v89, v1, s[0:3], 0 offen offset:8
	;; [unrolled: 1-line block ×6, first 2 shown]
	buffer_load_dword v94, v2, s[0:3], 0 offen
	s_waitcnt vmcnt(7)
	buffer_store_dword v3, v2, s[0:3], 0 offen
	s_waitcnt vmcnt(6)
	buffer_store_dword v4, v2, s[0:3], 0 offen offset:4
	s_waitcnt vmcnt(5)
	buffer_store_dword v89, v2, s[0:3], 0 offen offset:8
	;; [unrolled: 2-line block ×6, first 2 shown]
	s_waitcnt vmcnt(0)
	buffer_store_dword v94, v1, s[0:3], 0 offen
.LBB105_346:
	global_load_dword v0, v0, s[12:13]
	s_waitcnt vmcnt(0)
	v_add_nc_u32_e32 v0, -1, v0
	v_cmp_eq_u32_e32 vcc_lo, 0, v0
	s_cbranch_vccnz .LBB105_348
; %bb.347:
	v_lshlrev_b32_e32 v0, 4, v0
	v_add_nc_u32_e32 v0, 16, v0
	s_clause 0x7
	buffer_load_dword v1, v0, s[0:3], 0 offen
	buffer_load_dword v2, v0, s[0:3], 0 offen offset:4
	buffer_load_dword v3, v0, s[0:3], 0 offen offset:8
	buffer_load_dword v4, v0, s[0:3], 0 offen offset:12
	buffer_load_dword v89, off, s[0:3], 0 offset:28
	buffer_load_dword v90, off, s[0:3], 0 offset:24
	;; [unrolled: 1-line block ×4, first 2 shown]
	s_waitcnt vmcnt(7)
	buffer_store_dword v1, off, s[0:3], 0 offset:16
	s_waitcnt vmcnt(6)
	buffer_store_dword v2, off, s[0:3], 0 offset:20
	;; [unrolled: 2-line block ×4, first 2 shown]
	s_waitcnt vmcnt(3)
	buffer_store_dword v89, v0, s[0:3], 0 offen offset:12
	s_waitcnt vmcnt(2)
	buffer_store_dword v90, v0, s[0:3], 0 offen offset:8
	;; [unrolled: 2-line block ×3, first 2 shown]
	s_waitcnt vmcnt(0)
	buffer_store_dword v92, v0, s[0:3], 0 offen
.LBB105_348:
	s_clause 0x3
	buffer_load_dword v0, off, s[0:3], 0 offset:16
	buffer_load_dword v1, off, s[0:3], 0 offset:20
	;; [unrolled: 1-line block ×4, first 2 shown]
	v_mov_b32_e32 v4, s53
	s_waitcnt vmcnt(0)
	flat_store_dwordx4 v[5:6], v[0:3]
	s_clause 0x3
	buffer_load_dword v0, v4, s[0:3], 0 offen
	buffer_load_dword v1, v4, s[0:3], 0 offen offset:4
	buffer_load_dword v2, v4, s[0:3], 0 offen offset:8
	buffer_load_dword v3, v4, s[0:3], 0 offen offset:12
	v_mov_b32_e32 v4, s52
	s_waitcnt vmcnt(0)
	flat_store_dwordx4 v[59:60], v[0:3]
	s_clause 0x3
	buffer_load_dword v0, v4, s[0:3], 0 offen
	buffer_load_dword v1, v4, s[0:3], 0 offen offset:4
	buffer_load_dword v2, v4, s[0:3], 0 offen offset:8
	buffer_load_dword v3, v4, s[0:3], 0 offen offset:12
	;; [unrolled: 8-line block ×41, first 2 shown]
	s_waitcnt vmcnt(0)
	flat_store_dwordx4 v[87:88], v[0:3]
	s_endpgm
	.section	.rodata,"a",@progbits
	.p2align	6, 0x0
	.amdhsa_kernel _ZN9rocsolver6v33100L18getri_kernel_smallILi42E19rocblas_complex_numIdEPKPS3_EEvT1_iilPiilS8_bb
		.amdhsa_group_segment_fixed_size 1352
		.amdhsa_private_segment_fixed_size 704
		.amdhsa_kernarg_size 60
		.amdhsa_user_sgpr_count 6
		.amdhsa_user_sgpr_private_segment_buffer 1
		.amdhsa_user_sgpr_dispatch_ptr 0
		.amdhsa_user_sgpr_queue_ptr 0
		.amdhsa_user_sgpr_kernarg_segment_ptr 1
		.amdhsa_user_sgpr_dispatch_id 0
		.amdhsa_user_sgpr_flat_scratch_init 0
		.amdhsa_user_sgpr_private_segment_size 0
		.amdhsa_wavefront_size32 1
		.amdhsa_uses_dynamic_stack 0
		.amdhsa_system_sgpr_private_segment_wavefront_offset 1
		.amdhsa_system_sgpr_workgroup_id_x 1
		.amdhsa_system_sgpr_workgroup_id_y 0
		.amdhsa_system_sgpr_workgroup_id_z 0
		.amdhsa_system_sgpr_workgroup_info 0
		.amdhsa_system_vgpr_workitem_id 0
		.amdhsa_next_free_vgpr 179
		.amdhsa_next_free_sgpr 74
		.amdhsa_reserve_vcc 1
		.amdhsa_reserve_flat_scratch 0
		.amdhsa_float_round_mode_32 0
		.amdhsa_float_round_mode_16_64 0
		.amdhsa_float_denorm_mode_32 3
		.amdhsa_float_denorm_mode_16_64 3
		.amdhsa_dx10_clamp 1
		.amdhsa_ieee_mode 1
		.amdhsa_fp16_overflow 0
		.amdhsa_workgroup_processor_mode 1
		.amdhsa_memory_ordered 1
		.amdhsa_forward_progress 1
		.amdhsa_shared_vgpr_count 0
		.amdhsa_exception_fp_ieee_invalid_op 0
		.amdhsa_exception_fp_denorm_src 0
		.amdhsa_exception_fp_ieee_div_zero 0
		.amdhsa_exception_fp_ieee_overflow 0
		.amdhsa_exception_fp_ieee_underflow 0
		.amdhsa_exception_fp_ieee_inexact 0
		.amdhsa_exception_int_div_zero 0
	.end_amdhsa_kernel
	.section	.text._ZN9rocsolver6v33100L18getri_kernel_smallILi42E19rocblas_complex_numIdEPKPS3_EEvT1_iilPiilS8_bb,"axG",@progbits,_ZN9rocsolver6v33100L18getri_kernel_smallILi42E19rocblas_complex_numIdEPKPS3_EEvT1_iilPiilS8_bb,comdat
.Lfunc_end105:
	.size	_ZN9rocsolver6v33100L18getri_kernel_smallILi42E19rocblas_complex_numIdEPKPS3_EEvT1_iilPiilS8_bb, .Lfunc_end105-_ZN9rocsolver6v33100L18getri_kernel_smallILi42E19rocblas_complex_numIdEPKPS3_EEvT1_iilPiilS8_bb
                                        ; -- End function
	.set _ZN9rocsolver6v33100L18getri_kernel_smallILi42E19rocblas_complex_numIdEPKPS3_EEvT1_iilPiilS8_bb.num_vgpr, 179
	.set _ZN9rocsolver6v33100L18getri_kernel_smallILi42E19rocblas_complex_numIdEPKPS3_EEvT1_iilPiilS8_bb.num_agpr, 0
	.set _ZN9rocsolver6v33100L18getri_kernel_smallILi42E19rocblas_complex_numIdEPKPS3_EEvT1_iilPiilS8_bb.numbered_sgpr, 74
	.set _ZN9rocsolver6v33100L18getri_kernel_smallILi42E19rocblas_complex_numIdEPKPS3_EEvT1_iilPiilS8_bb.num_named_barrier, 0
	.set _ZN9rocsolver6v33100L18getri_kernel_smallILi42E19rocblas_complex_numIdEPKPS3_EEvT1_iilPiilS8_bb.private_seg_size, 704
	.set _ZN9rocsolver6v33100L18getri_kernel_smallILi42E19rocblas_complex_numIdEPKPS3_EEvT1_iilPiilS8_bb.uses_vcc, 1
	.set _ZN9rocsolver6v33100L18getri_kernel_smallILi42E19rocblas_complex_numIdEPKPS3_EEvT1_iilPiilS8_bb.uses_flat_scratch, 0
	.set _ZN9rocsolver6v33100L18getri_kernel_smallILi42E19rocblas_complex_numIdEPKPS3_EEvT1_iilPiilS8_bb.has_dyn_sized_stack, 0
	.set _ZN9rocsolver6v33100L18getri_kernel_smallILi42E19rocblas_complex_numIdEPKPS3_EEvT1_iilPiilS8_bb.has_recursion, 0
	.set _ZN9rocsolver6v33100L18getri_kernel_smallILi42E19rocblas_complex_numIdEPKPS3_EEvT1_iilPiilS8_bb.has_indirect_call, 0
	.section	.AMDGPU.csdata,"",@progbits
; Kernel info:
; codeLenInByte = 123824
; TotalNumSgprs: 76
; NumVgprs: 179
; ScratchSize: 704
; MemoryBound: 0
; FloatMode: 240
; IeeeMode: 1
; LDSByteSize: 1352 bytes/workgroup (compile time only)
; SGPRBlocks: 0
; VGPRBlocks: 22
; NumSGPRsForWavesPerEU: 76
; NumVGPRsForWavesPerEU: 179
; Occupancy: 5
; WaveLimiterHint : 1
; COMPUTE_PGM_RSRC2:SCRATCH_EN: 1
; COMPUTE_PGM_RSRC2:USER_SGPR: 6
; COMPUTE_PGM_RSRC2:TRAP_HANDLER: 0
; COMPUTE_PGM_RSRC2:TGID_X_EN: 1
; COMPUTE_PGM_RSRC2:TGID_Y_EN: 0
; COMPUTE_PGM_RSRC2:TGID_Z_EN: 0
; COMPUTE_PGM_RSRC2:TIDIG_COMP_CNT: 0
	.section	.text._ZN9rocsolver6v33100L18getri_kernel_smallILi43E19rocblas_complex_numIdEPKPS3_EEvT1_iilPiilS8_bb,"axG",@progbits,_ZN9rocsolver6v33100L18getri_kernel_smallILi43E19rocblas_complex_numIdEPKPS3_EEvT1_iilPiilS8_bb,comdat
	.globl	_ZN9rocsolver6v33100L18getri_kernel_smallILi43E19rocblas_complex_numIdEPKPS3_EEvT1_iilPiilS8_bb ; -- Begin function _ZN9rocsolver6v33100L18getri_kernel_smallILi43E19rocblas_complex_numIdEPKPS3_EEvT1_iilPiilS8_bb
	.p2align	8
	.type	_ZN9rocsolver6v33100L18getri_kernel_smallILi43E19rocblas_complex_numIdEPKPS3_EEvT1_iilPiilS8_bb,@function
_ZN9rocsolver6v33100L18getri_kernel_smallILi43E19rocblas_complex_numIdEPKPS3_EEvT1_iilPiilS8_bb: ; @_ZN9rocsolver6v33100L18getri_kernel_smallILi43E19rocblas_complex_numIdEPKPS3_EEvT1_iilPiilS8_bb
; %bb.0:
	s_add_u32 s0, s0, s7
	s_addc_u32 s1, s1, 0
	s_mov_b32 s7, exec_lo
	v_cmpx_gt_u32_e32 43, v0
	s_cbranch_execz .LBB106_186
; %bb.1:
	s_clause 0x2
	s_load_dword s16, s[4:5], 0x38
	s_load_dwordx2 s[12:13], s[4:5], 0x0
	s_load_dwordx4 s[8:11], s[4:5], 0x28
	s_waitcnt lgkmcnt(0)
	s_bitcmp1_b32 s16, 8
	s_cselect_b32 s55, -1, 0
	s_ashr_i32 s7, s6, 31
	s_lshl_b64 s[14:15], s[6:7], 3
	s_add_u32 s12, s12, s14
	s_addc_u32 s13, s13, s15
	s_load_dwordx2 s[14:15], s[12:13], 0x0
	s_bfe_u32 s12, s16, 0x10008
	s_cmp_eq_u32 s12, 0
                                        ; implicit-def: $sgpr12_sgpr13
	s_cbranch_scc1 .LBB106_3
; %bb.2:
	s_clause 0x1
	s_load_dword s12, s[4:5], 0x20
	s_load_dwordx2 s[16:17], s[4:5], 0x18
	s_mul_i32 s13, s8, s7
	s_mul_hi_u32 s18, s8, s6
	s_mul_i32 s9, s9, s6
	s_add_i32 s13, s18, s13
	s_mul_i32 s8, s8, s6
	s_add_i32 s9, s13, s9
	s_lshl_b64 s[8:9], s[8:9], 2
	s_waitcnt lgkmcnt(0)
	s_ashr_i32 s13, s12, 31
	s_add_u32 s16, s16, s8
	s_addc_u32 s17, s17, s9
	s_lshl_b64 s[8:9], s[12:13], 2
	s_add_u32 s12, s16, s8
	s_addc_u32 s13, s17, s9
.LBB106_3:
	s_clause 0x1
	s_load_dwordx2 s[8:9], s[4:5], 0x8
	s_load_dword s56, s[4:5], 0x38
	v_lshlrev_b32_e32 v97, 4, v0
	s_movk_i32 s16, 0xa0
	s_movk_i32 s17, 0xb0
	;; [unrolled: 1-line block ×17, first 2 shown]
	s_waitcnt lgkmcnt(0)
	s_ashr_i32 s5, s8, 31
	s_mov_b32 s4, s8
	v_add3_u32 v7, s9, s9, v0
	s_lshl_b64 s[4:5], s[4:5], 4
	s_movk_i32 s59, 0x1b0
	s_add_u32 s8, s14, s4
	s_addc_u32 s14, s15, s5
	v_add_co_u32 v5, s4, s8, v97
	v_add_co_ci_u32_e64 v6, null, s14, 0, s4
	s_mov_b32 s4, s9
	s_ashr_i32 s5, s9, 31
	v_ashrrev_i32_e32 v8, 31, v7
	flat_load_dwordx4 v[1:4], v[5:6]
	s_lshl_b64 s[4:5], s[4:5], 4
	s_movk_i32 s15, 0x90
	v_add_co_u32 v59, vcc_lo, v5, s4
	v_add_co_ci_u32_e64 v60, null, s5, v6, vcc_lo
	v_lshlrev_b64 v[8:9], 4, v[7:8]
	v_add_nc_u32_e32 v7, s9, v7
	s_movk_i32 s4, 0x50
	s_movk_i32 s60, 0x1c0
	;; [unrolled: 1-line block ×4, first 2 shown]
	v_add_co_u32 v57, vcc_lo, s8, v8
	v_add_co_ci_u32_e64 v58, null, s14, v9, vcc_lo
	v_ashrrev_i32_e32 v8, 31, v7
	s_movk_i32 s63, 0x1f0
	s_movk_i32 s64, 0x200
	;; [unrolled: 1-line block ×4, first 2 shown]
	v_lshlrev_b64 v[8:9], 4, v[7:8]
	v_add_nc_u32_e32 v7, s9, v7
	s_movk_i32 s67, 0x230
	s_movk_i32 s68, 0x240
	;; [unrolled: 1-line block ×4, first 2 shown]
	v_add_co_u32 v53, vcc_lo, s8, v8
	v_add_co_ci_u32_e64 v54, null, s14, v9, vcc_lo
	v_ashrrev_i32_e32 v8, 31, v7
	s_movk_i32 s71, 0x270
	s_movk_i32 s72, 0x280
	;; [unrolled: 1-line block ×4, first 2 shown]
	v_lshlrev_b64 v[8:9], 4, v[7:8]
	v_add_nc_u32_e32 v7, s9, v7
	s_add_i32 s50, s4, 16
	s_add_i32 s46, s15, 16
	s_add_i32 s45, s16, 16
	s_add_i32 s44, s17, 16
	v_add_co_u32 v51, vcc_lo, s8, v8
	v_add_co_ci_u32_e64 v52, null, s14, v9, vcc_lo
	v_ashrrev_i32_e32 v8, 31, v7
	s_add_i32 s43, s18, 16
	s_add_i32 s42, s19, 16
	s_add_i32 s41, s20, 16
	s_add_i32 s40, s21, 16
	v_lshlrev_b64 v[8:9], 4, v[7:8]
	v_add_nc_u32_e32 v7, s9, v7
	s_add_i32 s39, s22, 16
	s_add_i32 s38, s23, 16
	s_add_i32 s37, s24, 16
	s_add_i32 s36, s25, 16
	v_add_co_u32 v49, vcc_lo, s8, v8
	v_add_co_ci_u32_e64 v50, null, s14, v9, vcc_lo
	v_ashrrev_i32_e32 v8, 31, v7
	s_add_i32 s35, s26, 16
	s_add_i32 s34, s27, 16
	s_add_i32 s33, s28, 16
	s_add_i32 s31, s29, 16
	;; [unrolled: 13-line block ×4, first 2 shown]
	v_lshlrev_b64 v[8:9], 4, v[7:8]
	v_add_nc_u32_e32 v7, s9, v7
	s_mov_b32 s5, -1
	s_mov_b32 s54, 32
	s_mov_b32 s53, 48
	;; [unrolled: 1-line block ×3, first 2 shown]
	v_add_co_u32 v43, vcc_lo, s8, v8
	v_add_co_ci_u32_e64 v44, null, s14, v9, vcc_lo
	v_ashrrev_i32_e32 v8, 31, v7
	s_movk_i32 s51, 0x50
	s_waitcnt vmcnt(0) lgkmcnt(0)
	buffer_store_dword v4, off, s[0:3], 0 offset:28
	buffer_store_dword v3, off, s[0:3], 0 offset:24
	buffer_store_dword v2, off, s[0:3], 0 offset:20
	buffer_store_dword v1, off, s[0:3], 0 offset:16
	flat_load_dwordx4 v[1:4], v[59:60]
	v_lshlrev_b64 v[8:9], 4, v[7:8]
	v_add_nc_u32_e32 v7, s9, v7
	s_waitcnt vmcnt(0) lgkmcnt(0)
	buffer_store_dword v4, off, s[0:3], 0 offset:44
	buffer_store_dword v3, off, s[0:3], 0 offset:40
	buffer_store_dword v2, off, s[0:3], 0 offset:36
	buffer_store_dword v1, off, s[0:3], 0 offset:32
	flat_load_dwordx4 v[1:4], v[57:58]
	v_add_co_u32 v41, vcc_lo, s8, v8
	v_add_co_ci_u32_e64 v42, null, s14, v9, vcc_lo
	v_ashrrev_i32_e32 v8, 31, v7
	s_waitcnt vmcnt(0) lgkmcnt(0)
	buffer_store_dword v4, off, s[0:3], 0 offset:60
	buffer_store_dword v3, off, s[0:3], 0 offset:56
	buffer_store_dword v2, off, s[0:3], 0 offset:52
	buffer_store_dword v1, off, s[0:3], 0 offset:48
	flat_load_dwordx4 v[1:4], v[53:54]
	v_lshlrev_b64 v[8:9], 4, v[7:8]
	v_add_nc_u32_e32 v7, s9, v7
	s_waitcnt vmcnt(0) lgkmcnt(0)
	buffer_store_dword v4, off, s[0:3], 0 offset:76
	buffer_store_dword v3, off, s[0:3], 0 offset:72
	buffer_store_dword v2, off, s[0:3], 0 offset:68
	buffer_store_dword v1, off, s[0:3], 0 offset:64
	flat_load_dwordx4 v[1:4], v[51:52]
	v_add_co_u32 v39, vcc_lo, s8, v8
	v_add_co_ci_u32_e64 v40, null, s14, v9, vcc_lo
	v_ashrrev_i32_e32 v8, 31, v7
	s_waitcnt vmcnt(0) lgkmcnt(0)
	buffer_store_dword v4, off, s[0:3], 0 offset:92
	buffer_store_dword v3, off, s[0:3], 0 offset:88
	buffer_store_dword v2, off, s[0:3], 0 offset:84
	buffer_store_dword v1, off, s[0:3], 0 offset:80
	flat_load_dwordx4 v[1:4], v[49:50]
	v_lshlrev_b64 v[8:9], 4, v[7:8]
	v_add_nc_u32_e32 v7, s9, v7
	s_waitcnt vmcnt(0) lgkmcnt(0)
	buffer_store_dword v4, off, s[0:3], 0 offset:108
	buffer_store_dword v3, off, s[0:3], 0 offset:104
	buffer_store_dword v2, off, s[0:3], 0 offset:100
	buffer_store_dword v1, off, s[0:3], 0 offset:96
	flat_load_dwordx4 v[1:4], v[47:48]
	v_add_co_u32 v37, vcc_lo, s8, v8
	v_add_co_ci_u32_e64 v38, null, s14, v9, vcc_lo
	v_ashrrev_i32_e32 v8, 31, v7
	s_waitcnt vmcnt(0) lgkmcnt(0)
	buffer_store_dword v4, off, s[0:3], 0 offset:124
	buffer_store_dword v3, off, s[0:3], 0 offset:120
	buffer_store_dword v2, off, s[0:3], 0 offset:116
	buffer_store_dword v1, off, s[0:3], 0 offset:112
	flat_load_dwordx4 v[1:4], v[45:46]
	v_lshlrev_b64 v[8:9], 4, v[7:8]
	v_add_nc_u32_e32 v7, s9, v7
	s_waitcnt vmcnt(0) lgkmcnt(0)
	buffer_store_dword v4, off, s[0:3], 0 offset:140
	buffer_store_dword v3, off, s[0:3], 0 offset:136
	buffer_store_dword v2, off, s[0:3], 0 offset:132
	buffer_store_dword v1, off, s[0:3], 0 offset:128
	flat_load_dwordx4 v[1:4], v[43:44]
	v_add_co_u32 v33, vcc_lo, s8, v8
	v_add_co_ci_u32_e64 v34, null, s14, v9, vcc_lo
	v_ashrrev_i32_e32 v8, 31, v7
	s_waitcnt vmcnt(0) lgkmcnt(0)
	buffer_store_dword v4, off, s[0:3], 0 offset:156
	buffer_store_dword v3, off, s[0:3], 0 offset:152
	buffer_store_dword v2, off, s[0:3], 0 offset:148
	buffer_store_dword v1, off, s[0:3], 0 offset:144
	flat_load_dwordx4 v[1:4], v[41:42]
	v_lshlrev_b64 v[8:9], 4, v[7:8]
	v_add_nc_u32_e32 v7, s9, v7
	s_waitcnt vmcnt(0) lgkmcnt(0)
	buffer_store_dword v4, off, s[0:3], 0 offset:172
	buffer_store_dword v3, off, s[0:3], 0 offset:168
	buffer_store_dword v2, off, s[0:3], 0 offset:164
	buffer_store_dword v1, off, s[0:3], 0 offset:160
	flat_load_dwordx4 v[1:4], v[39:40]
	v_add_co_u32 v31, vcc_lo, s8, v8
	v_add_co_ci_u32_e64 v32, null, s14, v9, vcc_lo
	v_ashrrev_i32_e32 v8, 31, v7
	s_waitcnt vmcnt(0) lgkmcnt(0)
	buffer_store_dword v4, off, s[0:3], 0 offset:188
	buffer_store_dword v3, off, s[0:3], 0 offset:184
	buffer_store_dword v2, off, s[0:3], 0 offset:180
	buffer_store_dword v1, off, s[0:3], 0 offset:176
	flat_load_dwordx4 v[1:4], v[37:38]
	v_lshlrev_b64 v[8:9], 4, v[7:8]
	v_add_nc_u32_e32 v7, s9, v7
	s_waitcnt vmcnt(0) lgkmcnt(0)
	buffer_store_dword v4, off, s[0:3], 0 offset:204
	buffer_store_dword v3, off, s[0:3], 0 offset:200
	buffer_store_dword v2, off, s[0:3], 0 offset:196
	buffer_store_dword v1, off, s[0:3], 0 offset:192
	flat_load_dwordx4 v[1:4], v[33:34]
	v_add_co_u32 v29, vcc_lo, s8, v8
	v_add_co_ci_u32_e64 v30, null, s14, v9, vcc_lo
	v_ashrrev_i32_e32 v8, 31, v7
	s_waitcnt vmcnt(0) lgkmcnt(0)
	buffer_store_dword v4, off, s[0:3], 0 offset:220
	buffer_store_dword v3, off, s[0:3], 0 offset:216
	buffer_store_dword v2, off, s[0:3], 0 offset:212
	buffer_store_dword v1, off, s[0:3], 0 offset:208
	flat_load_dwordx4 v[1:4], v[31:32]
	v_lshlrev_b64 v[8:9], 4, v[7:8]
	v_add_nc_u32_e32 v7, s9, v7
	s_waitcnt vmcnt(0) lgkmcnt(0)
	buffer_store_dword v4, off, s[0:3], 0 offset:236
	buffer_store_dword v3, off, s[0:3], 0 offset:232
	buffer_store_dword v2, off, s[0:3], 0 offset:228
	buffer_store_dword v1, off, s[0:3], 0 offset:224
	flat_load_dwordx4 v[1:4], v[29:30]
	v_add_co_u32 v27, vcc_lo, s8, v8
	v_add_co_ci_u32_e64 v28, null, s14, v9, vcc_lo
	v_ashrrev_i32_e32 v8, 31, v7
	s_waitcnt vmcnt(0) lgkmcnt(0)
	buffer_store_dword v4, off, s[0:3], 0 offset:252
	buffer_store_dword v3, off, s[0:3], 0 offset:248
	;; [unrolled: 1-line block ×4, first 2 shown]
	flat_load_dwordx4 v[1:4], v[27:28]
	v_lshlrev_b64 v[8:9], 4, v[7:8]
	v_add_nc_u32_e32 v7, s9, v7
	s_waitcnt vmcnt(0) lgkmcnt(0)
	buffer_store_dword v4, off, s[0:3], 0 offset:268
	buffer_store_dword v3, off, s[0:3], 0 offset:264
	;; [unrolled: 1-line block ×4, first 2 shown]
	v_add_co_u32 v25, vcc_lo, s8, v8
	v_add_co_ci_u32_e64 v26, null, s14, v9, vcc_lo
	v_ashrrev_i32_e32 v8, 31, v7
	flat_load_dwordx4 v[1:4], v[25:26]
	s_waitcnt vmcnt(0) lgkmcnt(0)
	buffer_store_dword v4, off, s[0:3], 0 offset:284
	buffer_store_dword v3, off, s[0:3], 0 offset:280
	buffer_store_dword v2, off, s[0:3], 0 offset:276
	buffer_store_dword v1, off, s[0:3], 0 offset:272
	v_lshlrev_b64 v[8:9], 4, v[7:8]
	v_add_nc_u32_e32 v7, s9, v7
	v_add_co_u32 v23, vcc_lo, s8, v8
	v_add_co_ci_u32_e64 v24, null, s14, v9, vcc_lo
	v_ashrrev_i32_e32 v8, 31, v7
	flat_load_dwordx4 v[1:4], v[23:24]
	s_waitcnt vmcnt(0) lgkmcnt(0)
	buffer_store_dword v4, off, s[0:3], 0 offset:300
	buffer_store_dword v3, off, s[0:3], 0 offset:296
	buffer_store_dword v2, off, s[0:3], 0 offset:292
	buffer_store_dword v1, off, s[0:3], 0 offset:288
	v_lshlrev_b64 v[8:9], 4, v[7:8]
	v_add_nc_u32_e32 v7, s9, v7
	v_add_co_u32 v21, vcc_lo, s8, v8
	v_add_co_ci_u32_e64 v22, null, s14, v9, vcc_lo
	v_ashrrev_i32_e32 v8, 31, v7
	flat_load_dwordx4 v[1:4], v[21:22]
	s_waitcnt vmcnt(0) lgkmcnt(0)
	buffer_store_dword v4, off, s[0:3], 0 offset:316
	buffer_store_dword v3, off, s[0:3], 0 offset:312
	buffer_store_dword v2, off, s[0:3], 0 offset:308
	buffer_store_dword v1, off, s[0:3], 0 offset:304
	v_lshlrev_b64 v[8:9], 4, v[7:8]
	v_add_nc_u32_e32 v7, s9, v7
	v_add_co_u32 v19, vcc_lo, s8, v8
	v_add_co_ci_u32_e64 v20, null, s14, v9, vcc_lo
	v_ashrrev_i32_e32 v8, 31, v7
	flat_load_dwordx4 v[1:4], v[19:20]
	s_waitcnt vmcnt(0) lgkmcnt(0)
	buffer_store_dword v4, off, s[0:3], 0 offset:332
	buffer_store_dword v3, off, s[0:3], 0 offset:328
	buffer_store_dword v2, off, s[0:3], 0 offset:324
	buffer_store_dword v1, off, s[0:3], 0 offset:320
	v_lshlrev_b64 v[8:9], 4, v[7:8]
	v_add_nc_u32_e32 v7, s9, v7
	v_add_co_u32 v17, vcc_lo, s8, v8
	v_add_co_ci_u32_e64 v18, null, s14, v9, vcc_lo
	v_ashrrev_i32_e32 v8, 31, v7
	flat_load_dwordx4 v[1:4], v[17:18]
	s_waitcnt vmcnt(0) lgkmcnt(0)
	buffer_store_dword v4, off, s[0:3], 0 offset:348
	buffer_store_dword v3, off, s[0:3], 0 offset:344
	buffer_store_dword v2, off, s[0:3], 0 offset:340
	buffer_store_dword v1, off, s[0:3], 0 offset:336
	v_lshlrev_b64 v[8:9], 4, v[7:8]
	v_add_nc_u32_e32 v7, s9, v7
	v_add_co_u32 v15, vcc_lo, s8, v8
	v_add_co_ci_u32_e64 v16, null, s14, v9, vcc_lo
	v_ashrrev_i32_e32 v8, 31, v7
	flat_load_dwordx4 v[1:4], v[15:16]
	s_waitcnt vmcnt(0) lgkmcnt(0)
	buffer_store_dword v4, off, s[0:3], 0 offset:364
	buffer_store_dword v3, off, s[0:3], 0 offset:360
	buffer_store_dword v2, off, s[0:3], 0 offset:356
	buffer_store_dword v1, off, s[0:3], 0 offset:352
	v_lshlrev_b64 v[8:9], 4, v[7:8]
	v_add_nc_u32_e32 v7, s9, v7
	v_add_co_u32 v13, vcc_lo, s8, v8
	v_add_co_ci_u32_e64 v14, null, s14, v9, vcc_lo
	v_ashrrev_i32_e32 v8, 31, v7
	flat_load_dwordx4 v[1:4], v[13:14]
	s_waitcnt vmcnt(0) lgkmcnt(0)
	buffer_store_dword v4, off, s[0:3], 0 offset:380
	buffer_store_dword v3, off, s[0:3], 0 offset:376
	buffer_store_dword v2, off, s[0:3], 0 offset:372
	buffer_store_dword v1, off, s[0:3], 0 offset:368
	v_lshlrev_b64 v[8:9], 4, v[7:8]
	v_add_nc_u32_e32 v7, s9, v7
	v_add_co_u32 v11, vcc_lo, s8, v8
	v_add_co_ci_u32_e64 v12, null, s14, v9, vcc_lo
	v_ashrrev_i32_e32 v8, 31, v7
	v_add_nc_u32_e32 v35, s9, v7
	flat_load_dwordx4 v[1:4], v[11:12]
	s_waitcnt vmcnt(0) lgkmcnt(0)
	buffer_store_dword v4, off, s[0:3], 0 offset:396
	buffer_store_dword v3, off, s[0:3], 0 offset:392
	;; [unrolled: 1-line block ×4, first 2 shown]
	v_lshlrev_b64 v[9:10], 4, v[7:8]
	v_ashrrev_i32_e32 v36, 31, v35
	v_add_nc_u32_e32 v55, s9, v35
	v_add_co_u32 v9, vcc_lo, s8, v9
	v_add_co_ci_u32_e64 v10, null, s14, v10, vcc_lo
	v_lshlrev_b64 v[7:8], 4, v[35:36]
	v_ashrrev_i32_e32 v56, 31, v55
	v_add_nc_u32_e32 v61, s9, v55
	flat_load_dwordx4 v[1:4], v[9:10]
	s_waitcnt vmcnt(0) lgkmcnt(0)
	buffer_store_dword v4, off, s[0:3], 0 offset:412
	buffer_store_dword v3, off, s[0:3], 0 offset:408
	buffer_store_dword v2, off, s[0:3], 0 offset:404
	buffer_store_dword v1, off, s[0:3], 0 offset:400
	v_add_co_u32 v7, vcc_lo, s8, v7
	v_add_co_ci_u32_e64 v8, null, s14, v8, vcc_lo
	v_lshlrev_b64 v[35:36], 4, v[55:56]
	v_ashrrev_i32_e32 v62, 31, v61
	v_add_nc_u32_e32 v63, s9, v61
	flat_load_dwordx4 v[1:4], v[7:8]
	s_waitcnt vmcnt(0) lgkmcnt(0)
	buffer_store_dword v4, off, s[0:3], 0 offset:428
	buffer_store_dword v3, off, s[0:3], 0 offset:424
	buffer_store_dword v2, off, s[0:3], 0 offset:420
	buffer_store_dword v1, off, s[0:3], 0 offset:416
	;; [unrolled: 11-line block ×15, first 2 shown]
	v_add_co_u32 v83, vcc_lo, s8, v83
	v_add_co_ci_u32_e64 v84, null, s14, v84, vcc_lo
	v_lshlrev_b64 v[85:86], 4, v[87:88]
	v_ashrrev_i32_e32 v90, 31, v89
	flat_load_dwordx4 v[1:4], v[83:84]
	s_waitcnt vmcnt(0) lgkmcnt(0)
	buffer_store_dword v4, off, s[0:3], 0 offset:652
	buffer_store_dword v3, off, s[0:3], 0 offset:648
	;; [unrolled: 1-line block ×4, first 2 shown]
	v_add_co_u32 v85, vcc_lo, s8, v85
	v_add_co_ci_u32_e64 v86, null, s14, v86, vcc_lo
	v_lshlrev_b64 v[87:88], 4, v[89:90]
	v_add_nc_u32_e32 v89, s9, v89
	s_movk_i32 s9, 0x70
	flat_load_dwordx4 v[1:4], v[85:86]
	s_add_i32 s48, s9, 16
	s_add_i32 s9, s73, 16
	v_add_co_u32 v87, vcc_lo, s8, v87
	v_add_co_ci_u32_e64 v88, null, s14, v88, vcc_lo
	v_ashrrev_i32_e32 v90, 31, v89
	s_waitcnt vmcnt(0) lgkmcnt(0)
	buffer_store_dword v4, off, s[0:3], 0 offset:668
	buffer_store_dword v3, off, s[0:3], 0 offset:664
	buffer_store_dword v2, off, s[0:3], 0 offset:660
	buffer_store_dword v1, off, s[0:3], 0 offset:656
	flat_load_dwordx4 v[1:4], v[87:88]
	v_lshlrev_b64 v[89:90], 4, v[89:90]
	s_waitcnt vmcnt(0) lgkmcnt(0)
	buffer_store_dword v4, off, s[0:3], 0 offset:684
	buffer_store_dword v3, off, s[0:3], 0 offset:680
	;; [unrolled: 1-line block ×4, first 2 shown]
	v_add_co_u32 v89, vcc_lo, s8, v89
	v_add_co_ci_u32_e64 v90, null, s14, v90, vcc_lo
	s_movk_i32 s8, 0x60
	s_movk_i32 s14, 0x80
	s_add_i32 s49, s8, 16
	flat_load_dwordx4 v[1:4], v[89:90]
	s_add_i32 s47, s14, 16
	s_add_i32 s14, s72, 16
	;; [unrolled: 1-line block ×3, first 2 shown]
	s_bitcmp0_b32 s56, 0
	s_waitcnt vmcnt(0) lgkmcnt(0)
	buffer_store_dword v4, off, s[0:3], 0 offset:700
	buffer_store_dword v3, off, s[0:3], 0 offset:696
	buffer_store_dword v2, off, s[0:3], 0 offset:692
	buffer_store_dword v1, off, s[0:3], 0 offset:688
	s_cbranch_scc1 .LBB106_184
; %bb.4:
	v_cmp_eq_u32_e64 s4, 0, v0
	s_and_saveexec_b32 s5, s4
; %bb.5:
	v_mov_b32_e32 v1, 0
	ds_write_b32 v1, v1 offset:1376
; %bb.6:
	s_or_b32 exec_lo, exec_lo, s5
	v_lshl_add_u32 v98, v0, 4, 16
	s_waitcnt lgkmcnt(0)
	s_waitcnt_vscnt null, 0x0
	s_barrier
	buffer_gl0_inv
	s_clause 0x3
	buffer_load_dword v1, v98, s[0:3], 0 offen
	buffer_load_dword v2, v98, s[0:3], 0 offen offset:4
	buffer_load_dword v3, v98, s[0:3], 0 offen offset:8
	;; [unrolled: 1-line block ×3, first 2 shown]
	s_waitcnt vmcnt(2)
	v_cmp_eq_f64_e32 vcc_lo, 0, v[1:2]
	s_waitcnt vmcnt(0)
	v_cmp_eq_f64_e64 s5, 0, v[3:4]
	s_and_b32 s5, vcc_lo, s5
	s_and_saveexec_b32 s56, s5
	s_cbranch_execz .LBB106_10
; %bb.7:
	v_mov_b32_e32 v1, 0
	s_mov_b32 s57, 0
	ds_read_b32 v2, v1 offset:1376
	s_waitcnt lgkmcnt(0)
	v_readfirstlane_b32 s5, v2
	v_add_nc_u32_e32 v2, 1, v0
	s_cmp_eq_u32 s5, 0
	v_cmp_gt_i32_e32 vcc_lo, s5, v2
	s_cselect_b32 s58, -1, 0
	s_or_b32 s58, s58, vcc_lo
	s_and_b32 exec_lo, exec_lo, s58
	s_cbranch_execz .LBB106_10
; %bb.8:
	v_mov_b32_e32 v3, s5
.LBB106_9:                              ; =>This Inner Loop Header: Depth=1
	ds_cmpst_rtn_b32 v3, v1, v3, v2 offset:1376
	s_waitcnt lgkmcnt(0)
	v_cmp_ne_u32_e32 vcc_lo, 0, v3
	v_cmp_le_i32_e64 s5, v3, v2
	s_and_b32 s5, vcc_lo, s5
	s_and_b32 s5, exec_lo, s5
	s_or_b32 s57, s5, s57
	s_andn2_b32 exec_lo, exec_lo, s57
	s_cbranch_execnz .LBB106_9
.LBB106_10:
	s_or_b32 exec_lo, exec_lo, s56
	v_mov_b32_e32 v1, 0
	s_barrier
	buffer_gl0_inv
	ds_read_b32 v2, v1 offset:1376
	s_and_saveexec_b32 s5, s4
	s_cbranch_execz .LBB106_12
; %bb.11:
	s_lshl_b64 s[56:57], s[6:7], 2
	s_add_u32 s56, s10, s56
	s_addc_u32 s57, s11, s57
	s_waitcnt lgkmcnt(0)
	global_store_dword v1, v2, s[56:57]
.LBB106_12:
	s_or_b32 exec_lo, exec_lo, s5
	s_waitcnt lgkmcnt(0)
	v_cmp_ne_u32_e32 vcc_lo, 0, v2
	s_mov_b32 s5, 0
	s_cbranch_vccnz .LBB106_184
; %bb.13:
	s_clause 0x3
	buffer_load_dword v93, v98, s[0:3], 0 offen
	buffer_load_dword v94, v98, s[0:3], 0 offen offset:4
	buffer_load_dword v95, v98, s[0:3], 0 offen offset:8
	;; [unrolled: 1-line block ×3, first 2 shown]
                                        ; implicit-def: $vgpr91_vgpr92
                                        ; implicit-def: $vgpr3_vgpr4
	s_waitcnt vmcnt(0)
	v_cmp_ngt_f64_e64 s5, |v[93:94]|, |v[95:96]|
	s_and_saveexec_b32 s56, s5
	s_xor_b32 s5, exec_lo, s56
	s_cbranch_execz .LBB106_15
; %bb.14:
	v_div_scale_f64 v[1:2], null, v[95:96], v[95:96], v[93:94]
	v_div_scale_f64 v[99:100], vcc_lo, v[93:94], v[95:96], v[93:94]
	v_rcp_f64_e32 v[3:4], v[1:2]
	v_fma_f64 v[91:92], -v[1:2], v[3:4], 1.0
	v_fma_f64 v[3:4], v[3:4], v[91:92], v[3:4]
	v_fma_f64 v[91:92], -v[1:2], v[3:4], 1.0
	v_fma_f64 v[3:4], v[3:4], v[91:92], v[3:4]
	v_mul_f64 v[91:92], v[99:100], v[3:4]
	v_fma_f64 v[1:2], -v[1:2], v[91:92], v[99:100]
	v_div_fmas_f64 v[1:2], v[1:2], v[3:4], v[91:92]
	v_div_fixup_f64 v[1:2], v[1:2], v[95:96], v[93:94]
	v_fma_f64 v[3:4], v[93:94], v[1:2], v[95:96]
	v_div_scale_f64 v[91:92], null, v[3:4], v[3:4], 1.0
	v_div_scale_f64 v[99:100], vcc_lo, 1.0, v[3:4], 1.0
	v_rcp_f64_e32 v[93:94], v[91:92]
	v_fma_f64 v[95:96], -v[91:92], v[93:94], 1.0
	v_fma_f64 v[93:94], v[93:94], v[95:96], v[93:94]
	v_fma_f64 v[95:96], -v[91:92], v[93:94], 1.0
	v_fma_f64 v[93:94], v[93:94], v[95:96], v[93:94]
	v_mul_f64 v[95:96], v[99:100], v[93:94]
	v_fma_f64 v[91:92], -v[91:92], v[95:96], v[99:100]
	v_div_fmas_f64 v[91:92], v[91:92], v[93:94], v[95:96]
                                        ; implicit-def: $vgpr93_vgpr94
                                        ; implicit-def: $vgpr95_vgpr96
	v_div_fixup_f64 v[3:4], v[91:92], v[3:4], 1.0
	v_mul_f64 v[91:92], v[1:2], v[3:4]
	v_xor_b32_e32 v4, 0x80000000, v4
	v_xor_b32_e32 v2, 0x80000000, v92
	v_mov_b32_e32 v1, v91
.LBB106_15:
	s_andn2_saveexec_b32 s5, s5
	s_cbranch_execz .LBB106_17
; %bb.16:
	v_div_scale_f64 v[1:2], null, v[93:94], v[93:94], v[95:96]
	v_div_scale_f64 v[99:100], vcc_lo, v[95:96], v[93:94], v[95:96]
	v_rcp_f64_e32 v[3:4], v[1:2]
	v_fma_f64 v[91:92], -v[1:2], v[3:4], 1.0
	v_fma_f64 v[3:4], v[3:4], v[91:92], v[3:4]
	v_fma_f64 v[91:92], -v[1:2], v[3:4], 1.0
	v_fma_f64 v[3:4], v[3:4], v[91:92], v[3:4]
	v_mul_f64 v[91:92], v[99:100], v[3:4]
	v_fma_f64 v[1:2], -v[1:2], v[91:92], v[99:100]
	v_div_fmas_f64 v[1:2], v[1:2], v[3:4], v[91:92]
	v_div_fixup_f64 v[1:2], v[1:2], v[93:94], v[95:96]
	v_fma_f64 v[3:4], v[95:96], v[1:2], v[93:94]
	v_div_scale_f64 v[91:92], null, v[3:4], v[3:4], 1.0
	v_rcp_f64_e32 v[93:94], v[91:92]
	v_fma_f64 v[95:96], -v[91:92], v[93:94], 1.0
	v_fma_f64 v[93:94], v[93:94], v[95:96], v[93:94]
	v_fma_f64 v[95:96], -v[91:92], v[93:94], 1.0
	v_fma_f64 v[93:94], v[93:94], v[95:96], v[93:94]
	v_div_scale_f64 v[95:96], vcc_lo, 1.0, v[3:4], 1.0
	v_mul_f64 v[99:100], v[95:96], v[93:94]
	v_fma_f64 v[91:92], -v[91:92], v[99:100], v[95:96]
	v_div_fmas_f64 v[91:92], v[91:92], v[93:94], v[99:100]
	v_div_fixup_f64 v[91:92], v[91:92], v[3:4], 1.0
	v_mul_f64 v[3:4], v[1:2], -v[91:92]
	v_xor_b32_e32 v2, 0x80000000, v92
	v_mov_b32_e32 v1, v91
.LBB106_17:
	s_or_b32 exec_lo, exec_lo, s5
	v_mov_b32_e32 v96, s54
	buffer_store_dword v92, v98, s[0:3], 0 offen offset:4
	buffer_store_dword v91, v98, s[0:3], 0 offen
	buffer_store_dword v4, v98, s[0:3], 0 offen offset:12
	buffer_store_dword v3, v98, s[0:3], 0 offen offset:8
	v_xor_b32_e32 v4, 0x80000000, v4
	v_add_nc_u32_e32 v91, 0x2b0, v97
	s_clause 0x3
	buffer_load_dword v95, v96, s[0:3], 0 offen offset:12
	buffer_load_dword v94, v96, s[0:3], 0 offen offset:8
	;; [unrolled: 1-line block ×3, first 2 shown]
	buffer_load_dword v92, v96, s[0:3], 0 offen
	ds_write_b128 v97, v[1:4]
	s_waitcnt vmcnt(0)
	ds_write_b128 v97, v[92:95] offset:688
	s_waitcnt lgkmcnt(0)
	s_waitcnt_vscnt null, 0x0
	s_barrier
	buffer_gl0_inv
	s_and_saveexec_b32 s5, s4
	s_cbranch_execz .LBB106_19
; %bb.18:
	s_clause 0x3
	buffer_load_dword v99, v98, s[0:3], 0 offen offset:8
	buffer_load_dword v100, v98, s[0:3], 0 offen offset:12
	buffer_load_dword v101, v98, s[0:3], 0 offen
	buffer_load_dword v102, v98, s[0:3], 0 offen offset:4
	ds_read_b128 v[1:4], v91
	v_mov_b32_e32 v92, 0
	ds_read_b128 v[92:95], v92 offset:16
	s_waitcnt vmcnt(2) lgkmcnt(1)
	v_mul_f64 v[103:104], v[1:2], v[99:100]
	v_mul_f64 v[99:100], v[3:4], v[99:100]
	s_waitcnt vmcnt(0)
	v_fma_f64 v[3:4], v[3:4], v[101:102], v[103:104]
	v_fma_f64 v[1:2], v[1:2], v[101:102], -v[99:100]
	v_add_f64 v[3:4], v[3:4], 0
	v_add_f64 v[1:2], v[1:2], 0
	s_waitcnt lgkmcnt(0)
	v_mul_f64 v[99:100], v[3:4], v[94:95]
	v_mul_f64 v[94:95], v[1:2], v[94:95]
	v_fma_f64 v[1:2], v[1:2], v[92:93], -v[99:100]
	v_fma_f64 v[3:4], v[3:4], v[92:93], v[94:95]
	buffer_store_dword v1, off, s[0:3], 0 offset:32
	buffer_store_dword v2, off, s[0:3], 0 offset:36
	;; [unrolled: 1-line block ×4, first 2 shown]
.LBB106_19:
	s_or_b32 exec_lo, exec_lo, s5
	v_mov_b32_e32 v4, s53
	s_waitcnt_vscnt null, 0x0
	s_barrier
	buffer_gl0_inv
	s_mov_b32 s5, exec_lo
	s_clause 0x3
	buffer_load_dword v1, v4, s[0:3], 0 offen
	buffer_load_dword v2, v4, s[0:3], 0 offen offset:4
	buffer_load_dword v3, v4, s[0:3], 0 offen offset:8
	;; [unrolled: 1-line block ×3, first 2 shown]
	s_waitcnt vmcnt(0)
	ds_write_b128 v91, v[1:4]
	s_waitcnt lgkmcnt(0)
	s_barrier
	buffer_gl0_inv
	v_cmpx_gt_u32_e32 2, v0
	s_cbranch_execz .LBB106_23
; %bb.20:
	s_clause 0x3
	buffer_load_dword v92, v98, s[0:3], 0 offen offset:8
	buffer_load_dword v93, v98, s[0:3], 0 offen offset:12
	buffer_load_dword v94, v98, s[0:3], 0 offen
	buffer_load_dword v95, v98, s[0:3], 0 offen offset:4
	ds_read_b128 v[1:4], v91
	s_waitcnt vmcnt(2) lgkmcnt(0)
	v_mul_f64 v[98:99], v[3:4], v[92:93]
	v_mul_f64 v[92:93], v[1:2], v[92:93]
	s_waitcnt vmcnt(0)
	v_fma_f64 v[1:2], v[1:2], v[94:95], -v[98:99]
	v_fma_f64 v[3:4], v[3:4], v[94:95], v[92:93]
	v_add_f64 v[1:2], v[1:2], 0
	v_add_f64 v[3:4], v[3:4], 0
	s_and_saveexec_b32 s56, s4
	s_cbranch_execz .LBB106_22
; %bb.21:
	s_clause 0x3
	buffer_load_dword v98, off, s[0:3], 0 offset:40
	buffer_load_dword v99, off, s[0:3], 0 offset:44
	;; [unrolled: 1-line block ×4, first 2 shown]
	v_mov_b32_e32 v92, 0
	ds_read_b128 v[92:95], v92 offset:704
	s_waitcnt vmcnt(2) lgkmcnt(0)
	v_mul_f64 v[102:103], v[92:93], v[98:99]
	v_mul_f64 v[98:99], v[94:95], v[98:99]
	s_waitcnt vmcnt(0)
	v_fma_f64 v[94:95], v[94:95], v[100:101], v[102:103]
	v_fma_f64 v[92:93], v[92:93], v[100:101], -v[98:99]
	v_add_f64 v[3:4], v[3:4], v[94:95]
	v_add_f64 v[1:2], v[1:2], v[92:93]
.LBB106_22:
	s_or_b32 exec_lo, exec_lo, s56
	v_mov_b32_e32 v92, 0
	ds_read_b128 v[92:95], v92 offset:32
	s_waitcnt lgkmcnt(0)
	v_mul_f64 v[98:99], v[3:4], v[94:95]
	v_mul_f64 v[94:95], v[1:2], v[94:95]
	v_fma_f64 v[1:2], v[1:2], v[92:93], -v[98:99]
	v_fma_f64 v[3:4], v[3:4], v[92:93], v[94:95]
	buffer_store_dword v2, off, s[0:3], 0 offset:52
	buffer_store_dword v1, off, s[0:3], 0 offset:48
	;; [unrolled: 1-line block ×4, first 2 shown]
.LBB106_23:
	s_or_b32 exec_lo, exec_lo, s5
	v_mov_b32_e32 v4, s52
	s_waitcnt_vscnt null, 0x0
	s_barrier
	buffer_gl0_inv
	v_add_nc_u32_e32 v92, -1, v0
	s_clause 0x3
	buffer_load_dword v1, v4, s[0:3], 0 offen
	buffer_load_dword v2, v4, s[0:3], 0 offen offset:4
	buffer_load_dword v3, v4, s[0:3], 0 offen offset:8
	;; [unrolled: 1-line block ×3, first 2 shown]
	s_mov_b32 s4, exec_lo
	s_waitcnt vmcnt(0)
	ds_write_b128 v91, v[1:4]
	s_waitcnt lgkmcnt(0)
	s_barrier
	buffer_gl0_inv
	v_cmpx_gt_u32_e32 3, v0
	s_cbranch_execz .LBB106_27
; %bb.24:
	v_mov_b32_e32 v1, 0
	v_mov_b32_e32 v3, 0
	v_add_nc_u32_e32 v93, -1, v0
	v_add_nc_u32_e32 v94, 0x2b0, v97
	v_mov_b32_e32 v2, 0
	v_mov_b32_e32 v4, 0
	v_add_nc_u32_e32 v95, 16, v97
	s_mov_b32 s5, 0
	.p2align	6
.LBB106_25:                             ; =>This Inner Loop Header: Depth=1
	s_clause 0x3
	buffer_load_dword v102, v95, s[0:3], 0 offen offset:8
	buffer_load_dword v103, v95, s[0:3], 0 offen offset:12
	buffer_load_dword v104, v95, s[0:3], 0 offen
	buffer_load_dword v105, v95, s[0:3], 0 offen offset:4
	ds_read_b128 v[98:101], v94
	v_add_nc_u32_e32 v93, 1, v93
	v_add_nc_u32_e32 v94, 16, v94
	;; [unrolled: 1-line block ×3, first 2 shown]
	v_cmp_lt_u32_e32 vcc_lo, 1, v93
	s_or_b32 s5, vcc_lo, s5
	s_waitcnt vmcnt(2) lgkmcnt(0)
	v_mul_f64 v[106:107], v[100:101], v[102:103]
	v_mul_f64 v[102:103], v[98:99], v[102:103]
	s_waitcnt vmcnt(0)
	v_fma_f64 v[98:99], v[98:99], v[104:105], -v[106:107]
	v_fma_f64 v[100:101], v[100:101], v[104:105], v[102:103]
	v_add_f64 v[3:4], v[3:4], v[98:99]
	v_add_f64 v[1:2], v[1:2], v[100:101]
	s_andn2_b32 exec_lo, exec_lo, s5
	s_cbranch_execnz .LBB106_25
; %bb.26:
	s_or_b32 exec_lo, exec_lo, s5
	v_mov_b32_e32 v93, 0
	ds_read_b128 v[93:96], v93 offset:48
	s_waitcnt lgkmcnt(0)
	v_mul_f64 v[98:99], v[1:2], v[95:96]
	v_mul_f64 v[95:96], v[3:4], v[95:96]
	v_fma_f64 v[3:4], v[3:4], v[93:94], -v[98:99]
	v_fma_f64 v[1:2], v[1:2], v[93:94], v[95:96]
	buffer_store_dword v4, off, s[0:3], 0 offset:68
	buffer_store_dword v3, off, s[0:3], 0 offset:64
	;; [unrolled: 1-line block ×4, first 2 shown]
.LBB106_27:
	s_or_b32 exec_lo, exec_lo, s4
	v_mov_b32_e32 v4, s51
	s_waitcnt_vscnt null, 0x0
	s_barrier
	buffer_gl0_inv
	s_mov_b32 s4, exec_lo
	s_clause 0x3
	buffer_load_dword v1, v4, s[0:3], 0 offen
	buffer_load_dword v2, v4, s[0:3], 0 offen offset:4
	buffer_load_dword v3, v4, s[0:3], 0 offen offset:8
	;; [unrolled: 1-line block ×3, first 2 shown]
	s_waitcnt vmcnt(0)
	ds_write_b128 v91, v[1:4]
	s_waitcnt lgkmcnt(0)
	s_barrier
	buffer_gl0_inv
	v_cmpx_gt_u32_e32 4, v0
	s_cbranch_execz .LBB106_31
; %bb.28:
	v_mov_b32_e32 v1, 0
	v_mov_b32_e32 v3, 0
	v_add_nc_u32_e32 v93, -1, v0
	v_add_nc_u32_e32 v94, 0x2b0, v97
	v_mov_b32_e32 v2, 0
	v_mov_b32_e32 v4, 0
	v_add_nc_u32_e32 v95, 16, v97
	s_mov_b32 s5, 0
	.p2align	6
.LBB106_29:                             ; =>This Inner Loop Header: Depth=1
	s_clause 0x3
	buffer_load_dword v102, v95, s[0:3], 0 offen offset:8
	buffer_load_dword v103, v95, s[0:3], 0 offen offset:12
	buffer_load_dword v104, v95, s[0:3], 0 offen
	buffer_load_dword v105, v95, s[0:3], 0 offen offset:4
	ds_read_b128 v[98:101], v94
	v_add_nc_u32_e32 v93, 1, v93
	v_add_nc_u32_e32 v94, 16, v94
	;; [unrolled: 1-line block ×3, first 2 shown]
	v_cmp_lt_u32_e32 vcc_lo, 2, v93
	s_or_b32 s5, vcc_lo, s5
	s_waitcnt vmcnt(2) lgkmcnt(0)
	v_mul_f64 v[106:107], v[100:101], v[102:103]
	v_mul_f64 v[102:103], v[98:99], v[102:103]
	s_waitcnt vmcnt(0)
	v_fma_f64 v[98:99], v[98:99], v[104:105], -v[106:107]
	v_fma_f64 v[100:101], v[100:101], v[104:105], v[102:103]
	v_add_f64 v[3:4], v[3:4], v[98:99]
	v_add_f64 v[1:2], v[1:2], v[100:101]
	s_andn2_b32 exec_lo, exec_lo, s5
	s_cbranch_execnz .LBB106_29
; %bb.30:
	s_or_b32 exec_lo, exec_lo, s5
	v_mov_b32_e32 v93, 0
	ds_read_b128 v[93:96], v93 offset:64
	s_waitcnt lgkmcnt(0)
	v_mul_f64 v[98:99], v[1:2], v[95:96]
	v_mul_f64 v[95:96], v[3:4], v[95:96]
	v_fma_f64 v[3:4], v[3:4], v[93:94], -v[98:99]
	v_fma_f64 v[1:2], v[1:2], v[93:94], v[95:96]
	buffer_store_dword v4, off, s[0:3], 0 offset:84
	buffer_store_dword v3, off, s[0:3], 0 offset:80
	;; [unrolled: 1-line block ×4, first 2 shown]
.LBB106_31:
	s_or_b32 exec_lo, exec_lo, s4
	v_mov_b32_e32 v4, s50
	s_waitcnt_vscnt null, 0x0
	s_barrier
	buffer_gl0_inv
	s_mov_b32 s4, exec_lo
	s_clause 0x3
	buffer_load_dword v1, v4, s[0:3], 0 offen
	buffer_load_dword v2, v4, s[0:3], 0 offen offset:4
	buffer_load_dword v3, v4, s[0:3], 0 offen offset:8
	;; [unrolled: 1-line block ×3, first 2 shown]
	s_waitcnt vmcnt(0)
	ds_write_b128 v91, v[1:4]
	s_waitcnt lgkmcnt(0)
	s_barrier
	buffer_gl0_inv
	v_cmpx_gt_u32_e32 5, v0
	s_cbranch_execz .LBB106_35
; %bb.32:
	v_mov_b32_e32 v1, 0
	v_mov_b32_e32 v3, 0
	v_add_nc_u32_e32 v93, -1, v0
	v_add_nc_u32_e32 v94, 0x2b0, v97
	v_mov_b32_e32 v2, 0
	v_mov_b32_e32 v4, 0
	v_add_nc_u32_e32 v95, 16, v97
	s_mov_b32 s5, 0
	.p2align	6
.LBB106_33:                             ; =>This Inner Loop Header: Depth=1
	s_clause 0x3
	buffer_load_dword v102, v95, s[0:3], 0 offen offset:8
	buffer_load_dword v103, v95, s[0:3], 0 offen offset:12
	buffer_load_dword v104, v95, s[0:3], 0 offen
	buffer_load_dword v105, v95, s[0:3], 0 offen offset:4
	ds_read_b128 v[98:101], v94
	v_add_nc_u32_e32 v93, 1, v93
	v_add_nc_u32_e32 v94, 16, v94
	;; [unrolled: 1-line block ×3, first 2 shown]
	v_cmp_lt_u32_e32 vcc_lo, 3, v93
	s_or_b32 s5, vcc_lo, s5
	s_waitcnt vmcnt(2) lgkmcnt(0)
	v_mul_f64 v[106:107], v[100:101], v[102:103]
	v_mul_f64 v[102:103], v[98:99], v[102:103]
	s_waitcnt vmcnt(0)
	v_fma_f64 v[98:99], v[98:99], v[104:105], -v[106:107]
	v_fma_f64 v[100:101], v[100:101], v[104:105], v[102:103]
	v_add_f64 v[3:4], v[3:4], v[98:99]
	v_add_f64 v[1:2], v[1:2], v[100:101]
	s_andn2_b32 exec_lo, exec_lo, s5
	s_cbranch_execnz .LBB106_33
; %bb.34:
	s_or_b32 exec_lo, exec_lo, s5
	v_mov_b32_e32 v93, 0
	ds_read_b128 v[93:96], v93 offset:80
	s_waitcnt lgkmcnt(0)
	v_mul_f64 v[98:99], v[1:2], v[95:96]
	v_mul_f64 v[95:96], v[3:4], v[95:96]
	v_fma_f64 v[3:4], v[3:4], v[93:94], -v[98:99]
	v_fma_f64 v[1:2], v[1:2], v[93:94], v[95:96]
	buffer_store_dword v4, off, s[0:3], 0 offset:100
	buffer_store_dword v3, off, s[0:3], 0 offset:96
	;; [unrolled: 1-line block ×4, first 2 shown]
.LBB106_35:
	s_or_b32 exec_lo, exec_lo, s4
	v_mov_b32_e32 v4, s49
	s_waitcnt_vscnt null, 0x0
	s_barrier
	buffer_gl0_inv
	s_mov_b32 s4, exec_lo
	s_clause 0x3
	buffer_load_dword v1, v4, s[0:3], 0 offen
	buffer_load_dword v2, v4, s[0:3], 0 offen offset:4
	buffer_load_dword v3, v4, s[0:3], 0 offen offset:8
	;; [unrolled: 1-line block ×3, first 2 shown]
	s_waitcnt vmcnt(0)
	ds_write_b128 v91, v[1:4]
	s_waitcnt lgkmcnt(0)
	s_barrier
	buffer_gl0_inv
	v_cmpx_gt_u32_e32 6, v0
	s_cbranch_execz .LBB106_39
; %bb.36:
	v_mov_b32_e32 v1, 0
	v_mov_b32_e32 v3, 0
	v_add_nc_u32_e32 v93, -1, v0
	v_add_nc_u32_e32 v94, 0x2b0, v97
	v_mov_b32_e32 v2, 0
	v_mov_b32_e32 v4, 0
	v_add_nc_u32_e32 v95, 16, v97
	s_mov_b32 s5, 0
	.p2align	6
.LBB106_37:                             ; =>This Inner Loop Header: Depth=1
	s_clause 0x3
	buffer_load_dword v102, v95, s[0:3], 0 offen offset:8
	buffer_load_dword v103, v95, s[0:3], 0 offen offset:12
	buffer_load_dword v104, v95, s[0:3], 0 offen
	buffer_load_dword v105, v95, s[0:3], 0 offen offset:4
	ds_read_b128 v[98:101], v94
	v_add_nc_u32_e32 v93, 1, v93
	v_add_nc_u32_e32 v94, 16, v94
	;; [unrolled: 1-line block ×3, first 2 shown]
	v_cmp_lt_u32_e32 vcc_lo, 4, v93
	s_or_b32 s5, vcc_lo, s5
	s_waitcnt vmcnt(2) lgkmcnt(0)
	v_mul_f64 v[106:107], v[100:101], v[102:103]
	v_mul_f64 v[102:103], v[98:99], v[102:103]
	s_waitcnt vmcnt(0)
	v_fma_f64 v[98:99], v[98:99], v[104:105], -v[106:107]
	v_fma_f64 v[100:101], v[100:101], v[104:105], v[102:103]
	v_add_f64 v[3:4], v[3:4], v[98:99]
	v_add_f64 v[1:2], v[1:2], v[100:101]
	s_andn2_b32 exec_lo, exec_lo, s5
	s_cbranch_execnz .LBB106_37
; %bb.38:
	s_or_b32 exec_lo, exec_lo, s5
	v_mov_b32_e32 v93, 0
	ds_read_b128 v[93:96], v93 offset:96
	s_waitcnt lgkmcnt(0)
	v_mul_f64 v[98:99], v[1:2], v[95:96]
	v_mul_f64 v[95:96], v[3:4], v[95:96]
	v_fma_f64 v[3:4], v[3:4], v[93:94], -v[98:99]
	v_fma_f64 v[1:2], v[1:2], v[93:94], v[95:96]
	buffer_store_dword v4, off, s[0:3], 0 offset:116
	buffer_store_dword v3, off, s[0:3], 0 offset:112
	;; [unrolled: 1-line block ×4, first 2 shown]
.LBB106_39:
	s_or_b32 exec_lo, exec_lo, s4
	v_mov_b32_e32 v4, s48
	s_waitcnt_vscnt null, 0x0
	s_barrier
	buffer_gl0_inv
	s_mov_b32 s4, exec_lo
	s_clause 0x3
	buffer_load_dword v1, v4, s[0:3], 0 offen
	buffer_load_dword v2, v4, s[0:3], 0 offen offset:4
	buffer_load_dword v3, v4, s[0:3], 0 offen offset:8
	buffer_load_dword v4, v4, s[0:3], 0 offen offset:12
	s_waitcnt vmcnt(0)
	ds_write_b128 v91, v[1:4]
	s_waitcnt lgkmcnt(0)
	s_barrier
	buffer_gl0_inv
	v_cmpx_gt_u32_e32 7, v0
	s_cbranch_execz .LBB106_43
; %bb.40:
	v_mov_b32_e32 v1, 0
	v_mov_b32_e32 v3, 0
	v_add_nc_u32_e32 v93, -1, v0
	v_add_nc_u32_e32 v94, 0x2b0, v97
	v_mov_b32_e32 v2, 0
	v_mov_b32_e32 v4, 0
	v_add_nc_u32_e32 v95, 16, v97
	s_mov_b32 s5, 0
	.p2align	6
.LBB106_41:                             ; =>This Inner Loop Header: Depth=1
	s_clause 0x3
	buffer_load_dword v102, v95, s[0:3], 0 offen offset:8
	buffer_load_dword v103, v95, s[0:3], 0 offen offset:12
	buffer_load_dword v104, v95, s[0:3], 0 offen
	buffer_load_dword v105, v95, s[0:3], 0 offen offset:4
	ds_read_b128 v[98:101], v94
	v_add_nc_u32_e32 v93, 1, v93
	v_add_nc_u32_e32 v94, 16, v94
	;; [unrolled: 1-line block ×3, first 2 shown]
	v_cmp_lt_u32_e32 vcc_lo, 5, v93
	s_or_b32 s5, vcc_lo, s5
	s_waitcnt vmcnt(2) lgkmcnt(0)
	v_mul_f64 v[106:107], v[100:101], v[102:103]
	v_mul_f64 v[102:103], v[98:99], v[102:103]
	s_waitcnt vmcnt(0)
	v_fma_f64 v[98:99], v[98:99], v[104:105], -v[106:107]
	v_fma_f64 v[100:101], v[100:101], v[104:105], v[102:103]
	v_add_f64 v[3:4], v[3:4], v[98:99]
	v_add_f64 v[1:2], v[1:2], v[100:101]
	s_andn2_b32 exec_lo, exec_lo, s5
	s_cbranch_execnz .LBB106_41
; %bb.42:
	s_or_b32 exec_lo, exec_lo, s5
	v_mov_b32_e32 v93, 0
	ds_read_b128 v[93:96], v93 offset:112
	s_waitcnt lgkmcnt(0)
	v_mul_f64 v[98:99], v[1:2], v[95:96]
	v_mul_f64 v[95:96], v[3:4], v[95:96]
	v_fma_f64 v[3:4], v[3:4], v[93:94], -v[98:99]
	v_fma_f64 v[1:2], v[1:2], v[93:94], v[95:96]
	buffer_store_dword v4, off, s[0:3], 0 offset:132
	buffer_store_dword v3, off, s[0:3], 0 offset:128
	;; [unrolled: 1-line block ×4, first 2 shown]
.LBB106_43:
	s_or_b32 exec_lo, exec_lo, s4
	v_mov_b32_e32 v4, s47
	s_waitcnt_vscnt null, 0x0
	s_barrier
	buffer_gl0_inv
	s_mov_b32 s4, exec_lo
	s_clause 0x3
	buffer_load_dword v1, v4, s[0:3], 0 offen
	buffer_load_dword v2, v4, s[0:3], 0 offen offset:4
	buffer_load_dword v3, v4, s[0:3], 0 offen offset:8
	;; [unrolled: 1-line block ×3, first 2 shown]
	s_waitcnt vmcnt(0)
	ds_write_b128 v91, v[1:4]
	s_waitcnt lgkmcnt(0)
	s_barrier
	buffer_gl0_inv
	v_cmpx_gt_u32_e32 8, v0
	s_cbranch_execz .LBB106_47
; %bb.44:
	v_mov_b32_e32 v1, 0
	v_mov_b32_e32 v3, 0
	v_add_nc_u32_e32 v93, -1, v0
	v_add_nc_u32_e32 v94, 0x2b0, v97
	v_mov_b32_e32 v2, 0
	v_mov_b32_e32 v4, 0
	v_add_nc_u32_e32 v95, 16, v97
	s_mov_b32 s5, 0
	.p2align	6
.LBB106_45:                             ; =>This Inner Loop Header: Depth=1
	s_clause 0x3
	buffer_load_dword v102, v95, s[0:3], 0 offen offset:8
	buffer_load_dword v103, v95, s[0:3], 0 offen offset:12
	buffer_load_dword v104, v95, s[0:3], 0 offen
	buffer_load_dword v105, v95, s[0:3], 0 offen offset:4
	ds_read_b128 v[98:101], v94
	v_add_nc_u32_e32 v93, 1, v93
	v_add_nc_u32_e32 v94, 16, v94
	;; [unrolled: 1-line block ×3, first 2 shown]
	v_cmp_lt_u32_e32 vcc_lo, 6, v93
	s_or_b32 s5, vcc_lo, s5
	s_waitcnt vmcnt(2) lgkmcnt(0)
	v_mul_f64 v[106:107], v[100:101], v[102:103]
	v_mul_f64 v[102:103], v[98:99], v[102:103]
	s_waitcnt vmcnt(0)
	v_fma_f64 v[98:99], v[98:99], v[104:105], -v[106:107]
	v_fma_f64 v[100:101], v[100:101], v[104:105], v[102:103]
	v_add_f64 v[3:4], v[3:4], v[98:99]
	v_add_f64 v[1:2], v[1:2], v[100:101]
	s_andn2_b32 exec_lo, exec_lo, s5
	s_cbranch_execnz .LBB106_45
; %bb.46:
	s_or_b32 exec_lo, exec_lo, s5
	v_mov_b32_e32 v93, 0
	ds_read_b128 v[93:96], v93 offset:128
	s_waitcnt lgkmcnt(0)
	v_mul_f64 v[98:99], v[1:2], v[95:96]
	v_mul_f64 v[95:96], v[3:4], v[95:96]
	v_fma_f64 v[3:4], v[3:4], v[93:94], -v[98:99]
	v_fma_f64 v[1:2], v[1:2], v[93:94], v[95:96]
	buffer_store_dword v4, off, s[0:3], 0 offset:148
	buffer_store_dword v3, off, s[0:3], 0 offset:144
	;; [unrolled: 1-line block ×4, first 2 shown]
.LBB106_47:
	s_or_b32 exec_lo, exec_lo, s4
	v_mov_b32_e32 v4, s46
	s_waitcnt_vscnt null, 0x0
	s_barrier
	buffer_gl0_inv
	s_mov_b32 s4, exec_lo
	s_clause 0x3
	buffer_load_dword v1, v4, s[0:3], 0 offen
	buffer_load_dword v2, v4, s[0:3], 0 offen offset:4
	buffer_load_dword v3, v4, s[0:3], 0 offen offset:8
	;; [unrolled: 1-line block ×3, first 2 shown]
	s_waitcnt vmcnt(0)
	ds_write_b128 v91, v[1:4]
	s_waitcnt lgkmcnt(0)
	s_barrier
	buffer_gl0_inv
	v_cmpx_gt_u32_e32 9, v0
	s_cbranch_execz .LBB106_51
; %bb.48:
	v_mov_b32_e32 v1, 0
	v_mov_b32_e32 v3, 0
	v_add_nc_u32_e32 v93, -1, v0
	v_add_nc_u32_e32 v94, 0x2b0, v97
	v_mov_b32_e32 v2, 0
	v_mov_b32_e32 v4, 0
	v_add_nc_u32_e32 v95, 16, v97
	s_mov_b32 s5, 0
	.p2align	6
.LBB106_49:                             ; =>This Inner Loop Header: Depth=1
	s_clause 0x3
	buffer_load_dword v102, v95, s[0:3], 0 offen offset:8
	buffer_load_dword v103, v95, s[0:3], 0 offen offset:12
	buffer_load_dword v104, v95, s[0:3], 0 offen
	buffer_load_dword v105, v95, s[0:3], 0 offen offset:4
	ds_read_b128 v[98:101], v94
	v_add_nc_u32_e32 v93, 1, v93
	v_add_nc_u32_e32 v94, 16, v94
	;; [unrolled: 1-line block ×3, first 2 shown]
	v_cmp_lt_u32_e32 vcc_lo, 7, v93
	s_or_b32 s5, vcc_lo, s5
	s_waitcnt vmcnt(2) lgkmcnt(0)
	v_mul_f64 v[106:107], v[100:101], v[102:103]
	v_mul_f64 v[102:103], v[98:99], v[102:103]
	s_waitcnt vmcnt(0)
	v_fma_f64 v[98:99], v[98:99], v[104:105], -v[106:107]
	v_fma_f64 v[100:101], v[100:101], v[104:105], v[102:103]
	v_add_f64 v[3:4], v[3:4], v[98:99]
	v_add_f64 v[1:2], v[1:2], v[100:101]
	s_andn2_b32 exec_lo, exec_lo, s5
	s_cbranch_execnz .LBB106_49
; %bb.50:
	s_or_b32 exec_lo, exec_lo, s5
	v_mov_b32_e32 v93, 0
	ds_read_b128 v[93:96], v93 offset:144
	s_waitcnt lgkmcnt(0)
	v_mul_f64 v[98:99], v[1:2], v[95:96]
	v_mul_f64 v[95:96], v[3:4], v[95:96]
	v_fma_f64 v[3:4], v[3:4], v[93:94], -v[98:99]
	v_fma_f64 v[1:2], v[1:2], v[93:94], v[95:96]
	buffer_store_dword v4, off, s[0:3], 0 offset:164
	buffer_store_dword v3, off, s[0:3], 0 offset:160
	;; [unrolled: 1-line block ×4, first 2 shown]
.LBB106_51:
	s_or_b32 exec_lo, exec_lo, s4
	v_mov_b32_e32 v4, s45
	s_waitcnt_vscnt null, 0x0
	s_barrier
	buffer_gl0_inv
	s_mov_b32 s4, exec_lo
	s_clause 0x3
	buffer_load_dword v1, v4, s[0:3], 0 offen
	buffer_load_dword v2, v4, s[0:3], 0 offen offset:4
	buffer_load_dword v3, v4, s[0:3], 0 offen offset:8
	;; [unrolled: 1-line block ×3, first 2 shown]
	s_waitcnt vmcnt(0)
	ds_write_b128 v91, v[1:4]
	s_waitcnt lgkmcnt(0)
	s_barrier
	buffer_gl0_inv
	v_cmpx_gt_u32_e32 10, v0
	s_cbranch_execz .LBB106_55
; %bb.52:
	v_mov_b32_e32 v1, 0
	v_mov_b32_e32 v3, 0
	v_add_nc_u32_e32 v93, -1, v0
	v_add_nc_u32_e32 v94, 0x2b0, v97
	v_mov_b32_e32 v2, 0
	v_mov_b32_e32 v4, 0
	v_add_nc_u32_e32 v95, 16, v97
	s_mov_b32 s5, 0
	.p2align	6
.LBB106_53:                             ; =>This Inner Loop Header: Depth=1
	s_clause 0x3
	buffer_load_dword v102, v95, s[0:3], 0 offen offset:8
	buffer_load_dword v103, v95, s[0:3], 0 offen offset:12
	buffer_load_dword v104, v95, s[0:3], 0 offen
	buffer_load_dword v105, v95, s[0:3], 0 offen offset:4
	ds_read_b128 v[98:101], v94
	v_add_nc_u32_e32 v93, 1, v93
	v_add_nc_u32_e32 v94, 16, v94
	;; [unrolled: 1-line block ×3, first 2 shown]
	v_cmp_lt_u32_e32 vcc_lo, 8, v93
	s_or_b32 s5, vcc_lo, s5
	s_waitcnt vmcnt(2) lgkmcnt(0)
	v_mul_f64 v[106:107], v[100:101], v[102:103]
	v_mul_f64 v[102:103], v[98:99], v[102:103]
	s_waitcnt vmcnt(0)
	v_fma_f64 v[98:99], v[98:99], v[104:105], -v[106:107]
	v_fma_f64 v[100:101], v[100:101], v[104:105], v[102:103]
	v_add_f64 v[3:4], v[3:4], v[98:99]
	v_add_f64 v[1:2], v[1:2], v[100:101]
	s_andn2_b32 exec_lo, exec_lo, s5
	s_cbranch_execnz .LBB106_53
; %bb.54:
	s_or_b32 exec_lo, exec_lo, s5
	v_mov_b32_e32 v93, 0
	ds_read_b128 v[93:96], v93 offset:160
	s_waitcnt lgkmcnt(0)
	v_mul_f64 v[98:99], v[1:2], v[95:96]
	v_mul_f64 v[95:96], v[3:4], v[95:96]
	v_fma_f64 v[3:4], v[3:4], v[93:94], -v[98:99]
	v_fma_f64 v[1:2], v[1:2], v[93:94], v[95:96]
	buffer_store_dword v4, off, s[0:3], 0 offset:180
	buffer_store_dword v3, off, s[0:3], 0 offset:176
	;; [unrolled: 1-line block ×4, first 2 shown]
.LBB106_55:
	s_or_b32 exec_lo, exec_lo, s4
	v_mov_b32_e32 v4, s44
	s_waitcnt_vscnt null, 0x0
	s_barrier
	buffer_gl0_inv
	s_mov_b32 s4, exec_lo
	s_clause 0x3
	buffer_load_dword v1, v4, s[0:3], 0 offen
	buffer_load_dword v2, v4, s[0:3], 0 offen offset:4
	buffer_load_dword v3, v4, s[0:3], 0 offen offset:8
	;; [unrolled: 1-line block ×3, first 2 shown]
	s_waitcnt vmcnt(0)
	ds_write_b128 v91, v[1:4]
	s_waitcnt lgkmcnt(0)
	s_barrier
	buffer_gl0_inv
	v_cmpx_gt_u32_e32 11, v0
	s_cbranch_execz .LBB106_59
; %bb.56:
	v_mov_b32_e32 v1, 0
	v_mov_b32_e32 v3, 0
	v_add_nc_u32_e32 v93, -1, v0
	v_add_nc_u32_e32 v94, 0x2b0, v97
	v_mov_b32_e32 v2, 0
	v_mov_b32_e32 v4, 0
	v_add_nc_u32_e32 v95, 16, v97
	s_mov_b32 s5, 0
	.p2align	6
.LBB106_57:                             ; =>This Inner Loop Header: Depth=1
	s_clause 0x3
	buffer_load_dword v102, v95, s[0:3], 0 offen offset:8
	buffer_load_dword v103, v95, s[0:3], 0 offen offset:12
	buffer_load_dword v104, v95, s[0:3], 0 offen
	buffer_load_dword v105, v95, s[0:3], 0 offen offset:4
	ds_read_b128 v[98:101], v94
	v_add_nc_u32_e32 v93, 1, v93
	v_add_nc_u32_e32 v94, 16, v94
	v_add_nc_u32_e32 v95, 16, v95
	v_cmp_lt_u32_e32 vcc_lo, 9, v93
	s_or_b32 s5, vcc_lo, s5
	s_waitcnt vmcnt(2) lgkmcnt(0)
	v_mul_f64 v[106:107], v[100:101], v[102:103]
	v_mul_f64 v[102:103], v[98:99], v[102:103]
	s_waitcnt vmcnt(0)
	v_fma_f64 v[98:99], v[98:99], v[104:105], -v[106:107]
	v_fma_f64 v[100:101], v[100:101], v[104:105], v[102:103]
	v_add_f64 v[3:4], v[3:4], v[98:99]
	v_add_f64 v[1:2], v[1:2], v[100:101]
	s_andn2_b32 exec_lo, exec_lo, s5
	s_cbranch_execnz .LBB106_57
; %bb.58:
	s_or_b32 exec_lo, exec_lo, s5
	v_mov_b32_e32 v93, 0
	ds_read_b128 v[93:96], v93 offset:176
	s_waitcnt lgkmcnt(0)
	v_mul_f64 v[98:99], v[1:2], v[95:96]
	v_mul_f64 v[95:96], v[3:4], v[95:96]
	v_fma_f64 v[3:4], v[3:4], v[93:94], -v[98:99]
	v_fma_f64 v[1:2], v[1:2], v[93:94], v[95:96]
	buffer_store_dword v4, off, s[0:3], 0 offset:196
	buffer_store_dword v3, off, s[0:3], 0 offset:192
	;; [unrolled: 1-line block ×4, first 2 shown]
.LBB106_59:
	s_or_b32 exec_lo, exec_lo, s4
	v_mov_b32_e32 v4, s43
	s_waitcnt_vscnt null, 0x0
	s_barrier
	buffer_gl0_inv
	s_mov_b32 s4, exec_lo
	s_clause 0x3
	buffer_load_dword v1, v4, s[0:3], 0 offen
	buffer_load_dword v2, v4, s[0:3], 0 offen offset:4
	buffer_load_dword v3, v4, s[0:3], 0 offen offset:8
	;; [unrolled: 1-line block ×3, first 2 shown]
	s_waitcnt vmcnt(0)
	ds_write_b128 v91, v[1:4]
	s_waitcnt lgkmcnt(0)
	s_barrier
	buffer_gl0_inv
	v_cmpx_gt_u32_e32 12, v0
	s_cbranch_execz .LBB106_63
; %bb.60:
	v_mov_b32_e32 v1, 0
	v_mov_b32_e32 v3, 0
	v_add_nc_u32_e32 v93, -1, v0
	v_add_nc_u32_e32 v94, 0x2b0, v97
	v_mov_b32_e32 v2, 0
	v_mov_b32_e32 v4, 0
	v_add_nc_u32_e32 v95, 16, v97
	s_mov_b32 s5, 0
	.p2align	6
.LBB106_61:                             ; =>This Inner Loop Header: Depth=1
	s_clause 0x3
	buffer_load_dword v102, v95, s[0:3], 0 offen offset:8
	buffer_load_dword v103, v95, s[0:3], 0 offen offset:12
	buffer_load_dword v104, v95, s[0:3], 0 offen
	buffer_load_dword v105, v95, s[0:3], 0 offen offset:4
	ds_read_b128 v[98:101], v94
	v_add_nc_u32_e32 v93, 1, v93
	v_add_nc_u32_e32 v94, 16, v94
	;; [unrolled: 1-line block ×3, first 2 shown]
	v_cmp_lt_u32_e32 vcc_lo, 10, v93
	s_or_b32 s5, vcc_lo, s5
	s_waitcnt vmcnt(2) lgkmcnt(0)
	v_mul_f64 v[106:107], v[100:101], v[102:103]
	v_mul_f64 v[102:103], v[98:99], v[102:103]
	s_waitcnt vmcnt(0)
	v_fma_f64 v[98:99], v[98:99], v[104:105], -v[106:107]
	v_fma_f64 v[100:101], v[100:101], v[104:105], v[102:103]
	v_add_f64 v[3:4], v[3:4], v[98:99]
	v_add_f64 v[1:2], v[1:2], v[100:101]
	s_andn2_b32 exec_lo, exec_lo, s5
	s_cbranch_execnz .LBB106_61
; %bb.62:
	s_or_b32 exec_lo, exec_lo, s5
	v_mov_b32_e32 v93, 0
	ds_read_b128 v[93:96], v93 offset:192
	s_waitcnt lgkmcnt(0)
	v_mul_f64 v[98:99], v[1:2], v[95:96]
	v_mul_f64 v[95:96], v[3:4], v[95:96]
	v_fma_f64 v[3:4], v[3:4], v[93:94], -v[98:99]
	v_fma_f64 v[1:2], v[1:2], v[93:94], v[95:96]
	buffer_store_dword v4, off, s[0:3], 0 offset:212
	buffer_store_dword v3, off, s[0:3], 0 offset:208
	;; [unrolled: 1-line block ×4, first 2 shown]
.LBB106_63:
	s_or_b32 exec_lo, exec_lo, s4
	v_mov_b32_e32 v4, s42
	s_waitcnt_vscnt null, 0x0
	s_barrier
	buffer_gl0_inv
	s_mov_b32 s4, exec_lo
	s_clause 0x3
	buffer_load_dword v1, v4, s[0:3], 0 offen
	buffer_load_dword v2, v4, s[0:3], 0 offen offset:4
	buffer_load_dword v3, v4, s[0:3], 0 offen offset:8
	;; [unrolled: 1-line block ×3, first 2 shown]
	s_waitcnt vmcnt(0)
	ds_write_b128 v91, v[1:4]
	s_waitcnt lgkmcnt(0)
	s_barrier
	buffer_gl0_inv
	v_cmpx_gt_u32_e32 13, v0
	s_cbranch_execz .LBB106_67
; %bb.64:
	v_mov_b32_e32 v1, 0
	v_mov_b32_e32 v3, 0
	v_add_nc_u32_e32 v93, -1, v0
	v_add_nc_u32_e32 v94, 0x2b0, v97
	v_mov_b32_e32 v2, 0
	v_mov_b32_e32 v4, 0
	v_add_nc_u32_e32 v95, 16, v97
	s_mov_b32 s5, 0
	.p2align	6
.LBB106_65:                             ; =>This Inner Loop Header: Depth=1
	s_clause 0x3
	buffer_load_dword v102, v95, s[0:3], 0 offen offset:8
	buffer_load_dword v103, v95, s[0:3], 0 offen offset:12
	buffer_load_dword v104, v95, s[0:3], 0 offen
	buffer_load_dword v105, v95, s[0:3], 0 offen offset:4
	ds_read_b128 v[98:101], v94
	v_add_nc_u32_e32 v93, 1, v93
	v_add_nc_u32_e32 v94, 16, v94
	;; [unrolled: 1-line block ×3, first 2 shown]
	v_cmp_lt_u32_e32 vcc_lo, 11, v93
	s_or_b32 s5, vcc_lo, s5
	s_waitcnt vmcnt(2) lgkmcnt(0)
	v_mul_f64 v[106:107], v[100:101], v[102:103]
	v_mul_f64 v[102:103], v[98:99], v[102:103]
	s_waitcnt vmcnt(0)
	v_fma_f64 v[98:99], v[98:99], v[104:105], -v[106:107]
	v_fma_f64 v[100:101], v[100:101], v[104:105], v[102:103]
	v_add_f64 v[3:4], v[3:4], v[98:99]
	v_add_f64 v[1:2], v[1:2], v[100:101]
	s_andn2_b32 exec_lo, exec_lo, s5
	s_cbranch_execnz .LBB106_65
; %bb.66:
	s_or_b32 exec_lo, exec_lo, s5
	v_mov_b32_e32 v93, 0
	ds_read_b128 v[93:96], v93 offset:208
	s_waitcnt lgkmcnt(0)
	v_mul_f64 v[98:99], v[1:2], v[95:96]
	v_mul_f64 v[95:96], v[3:4], v[95:96]
	v_fma_f64 v[3:4], v[3:4], v[93:94], -v[98:99]
	v_fma_f64 v[1:2], v[1:2], v[93:94], v[95:96]
	buffer_store_dword v4, off, s[0:3], 0 offset:228
	buffer_store_dword v3, off, s[0:3], 0 offset:224
	buffer_store_dword v2, off, s[0:3], 0 offset:236
	buffer_store_dword v1, off, s[0:3], 0 offset:232
.LBB106_67:
	s_or_b32 exec_lo, exec_lo, s4
	v_mov_b32_e32 v4, s41
	s_waitcnt_vscnt null, 0x0
	s_barrier
	buffer_gl0_inv
	s_mov_b32 s4, exec_lo
	s_clause 0x3
	buffer_load_dword v1, v4, s[0:3], 0 offen
	buffer_load_dword v2, v4, s[0:3], 0 offen offset:4
	buffer_load_dword v3, v4, s[0:3], 0 offen offset:8
	;; [unrolled: 1-line block ×3, first 2 shown]
	s_waitcnt vmcnt(0)
	ds_write_b128 v91, v[1:4]
	s_waitcnt lgkmcnt(0)
	s_barrier
	buffer_gl0_inv
	v_cmpx_gt_u32_e32 14, v0
	s_cbranch_execz .LBB106_71
; %bb.68:
	v_mov_b32_e32 v1, 0
	v_mov_b32_e32 v3, 0
	v_add_nc_u32_e32 v93, -1, v0
	v_add_nc_u32_e32 v94, 0x2b0, v97
	v_mov_b32_e32 v2, 0
	v_mov_b32_e32 v4, 0
	v_add_nc_u32_e32 v95, 16, v97
	s_mov_b32 s5, 0
	.p2align	6
.LBB106_69:                             ; =>This Inner Loop Header: Depth=1
	s_clause 0x3
	buffer_load_dword v102, v95, s[0:3], 0 offen offset:8
	buffer_load_dword v103, v95, s[0:3], 0 offen offset:12
	buffer_load_dword v104, v95, s[0:3], 0 offen
	buffer_load_dword v105, v95, s[0:3], 0 offen offset:4
	ds_read_b128 v[98:101], v94
	v_add_nc_u32_e32 v93, 1, v93
	v_add_nc_u32_e32 v94, 16, v94
	;; [unrolled: 1-line block ×3, first 2 shown]
	v_cmp_lt_u32_e32 vcc_lo, 12, v93
	s_or_b32 s5, vcc_lo, s5
	s_waitcnt vmcnt(2) lgkmcnt(0)
	v_mul_f64 v[106:107], v[100:101], v[102:103]
	v_mul_f64 v[102:103], v[98:99], v[102:103]
	s_waitcnt vmcnt(0)
	v_fma_f64 v[98:99], v[98:99], v[104:105], -v[106:107]
	v_fma_f64 v[100:101], v[100:101], v[104:105], v[102:103]
	v_add_f64 v[3:4], v[3:4], v[98:99]
	v_add_f64 v[1:2], v[1:2], v[100:101]
	s_andn2_b32 exec_lo, exec_lo, s5
	s_cbranch_execnz .LBB106_69
; %bb.70:
	s_or_b32 exec_lo, exec_lo, s5
	v_mov_b32_e32 v93, 0
	ds_read_b128 v[93:96], v93 offset:224
	s_waitcnt lgkmcnt(0)
	v_mul_f64 v[98:99], v[1:2], v[95:96]
	v_mul_f64 v[95:96], v[3:4], v[95:96]
	v_fma_f64 v[3:4], v[3:4], v[93:94], -v[98:99]
	v_fma_f64 v[1:2], v[1:2], v[93:94], v[95:96]
	buffer_store_dword v4, off, s[0:3], 0 offset:244
	buffer_store_dword v3, off, s[0:3], 0 offset:240
	;; [unrolled: 1-line block ×4, first 2 shown]
.LBB106_71:
	s_or_b32 exec_lo, exec_lo, s4
	v_mov_b32_e32 v4, s40
	s_waitcnt_vscnt null, 0x0
	s_barrier
	buffer_gl0_inv
	s_mov_b32 s4, exec_lo
	s_clause 0x3
	buffer_load_dword v1, v4, s[0:3], 0 offen
	buffer_load_dword v2, v4, s[0:3], 0 offen offset:4
	buffer_load_dword v3, v4, s[0:3], 0 offen offset:8
	;; [unrolled: 1-line block ×3, first 2 shown]
	s_waitcnt vmcnt(0)
	ds_write_b128 v91, v[1:4]
	s_waitcnt lgkmcnt(0)
	s_barrier
	buffer_gl0_inv
	v_cmpx_gt_u32_e32 15, v0
	s_cbranch_execz .LBB106_75
; %bb.72:
	v_mov_b32_e32 v1, 0
	v_mov_b32_e32 v3, 0
	v_add_nc_u32_e32 v93, -1, v0
	v_add_nc_u32_e32 v94, 0x2b0, v97
	v_mov_b32_e32 v2, 0
	v_mov_b32_e32 v4, 0
	v_add_nc_u32_e32 v95, 16, v97
	s_mov_b32 s5, 0
	.p2align	6
.LBB106_73:                             ; =>This Inner Loop Header: Depth=1
	s_clause 0x3
	buffer_load_dword v102, v95, s[0:3], 0 offen offset:8
	buffer_load_dword v103, v95, s[0:3], 0 offen offset:12
	buffer_load_dword v104, v95, s[0:3], 0 offen
	buffer_load_dword v105, v95, s[0:3], 0 offen offset:4
	ds_read_b128 v[98:101], v94
	v_add_nc_u32_e32 v93, 1, v93
	v_add_nc_u32_e32 v94, 16, v94
	;; [unrolled: 1-line block ×3, first 2 shown]
	v_cmp_lt_u32_e32 vcc_lo, 13, v93
	s_or_b32 s5, vcc_lo, s5
	s_waitcnt vmcnt(2) lgkmcnt(0)
	v_mul_f64 v[106:107], v[100:101], v[102:103]
	v_mul_f64 v[102:103], v[98:99], v[102:103]
	s_waitcnt vmcnt(0)
	v_fma_f64 v[98:99], v[98:99], v[104:105], -v[106:107]
	v_fma_f64 v[100:101], v[100:101], v[104:105], v[102:103]
	v_add_f64 v[3:4], v[3:4], v[98:99]
	v_add_f64 v[1:2], v[1:2], v[100:101]
	s_andn2_b32 exec_lo, exec_lo, s5
	s_cbranch_execnz .LBB106_73
; %bb.74:
	s_or_b32 exec_lo, exec_lo, s5
	v_mov_b32_e32 v93, 0
	ds_read_b128 v[93:96], v93 offset:240
	s_waitcnt lgkmcnt(0)
	v_mul_f64 v[98:99], v[1:2], v[95:96]
	v_mul_f64 v[95:96], v[3:4], v[95:96]
	v_fma_f64 v[3:4], v[3:4], v[93:94], -v[98:99]
	v_fma_f64 v[1:2], v[1:2], v[93:94], v[95:96]
	buffer_store_dword v4, off, s[0:3], 0 offset:260
	buffer_store_dword v3, off, s[0:3], 0 offset:256
	;; [unrolled: 1-line block ×4, first 2 shown]
.LBB106_75:
	s_or_b32 exec_lo, exec_lo, s4
	v_mov_b32_e32 v4, s39
	s_waitcnt_vscnt null, 0x0
	s_barrier
	buffer_gl0_inv
	s_mov_b32 s4, exec_lo
	s_clause 0x3
	buffer_load_dword v1, v4, s[0:3], 0 offen
	buffer_load_dword v2, v4, s[0:3], 0 offen offset:4
	buffer_load_dword v3, v4, s[0:3], 0 offen offset:8
	;; [unrolled: 1-line block ×3, first 2 shown]
	s_waitcnt vmcnt(0)
	ds_write_b128 v91, v[1:4]
	s_waitcnt lgkmcnt(0)
	s_barrier
	buffer_gl0_inv
	v_cmpx_gt_u32_e32 16, v0
	s_cbranch_execz .LBB106_79
; %bb.76:
	v_mov_b32_e32 v1, 0
	v_mov_b32_e32 v3, 0
	v_add_nc_u32_e32 v93, -1, v0
	v_add_nc_u32_e32 v94, 0x2b0, v97
	v_mov_b32_e32 v2, 0
	v_mov_b32_e32 v4, 0
	v_add_nc_u32_e32 v95, 16, v97
	s_mov_b32 s5, 0
	.p2align	6
.LBB106_77:                             ; =>This Inner Loop Header: Depth=1
	s_clause 0x3
	buffer_load_dword v102, v95, s[0:3], 0 offen offset:8
	buffer_load_dword v103, v95, s[0:3], 0 offen offset:12
	buffer_load_dword v104, v95, s[0:3], 0 offen
	buffer_load_dword v105, v95, s[0:3], 0 offen offset:4
	ds_read_b128 v[98:101], v94
	v_add_nc_u32_e32 v93, 1, v93
	v_add_nc_u32_e32 v94, 16, v94
	v_add_nc_u32_e32 v95, 16, v95
	v_cmp_lt_u32_e32 vcc_lo, 14, v93
	s_or_b32 s5, vcc_lo, s5
	s_waitcnt vmcnt(2) lgkmcnt(0)
	v_mul_f64 v[106:107], v[100:101], v[102:103]
	v_mul_f64 v[102:103], v[98:99], v[102:103]
	s_waitcnt vmcnt(0)
	v_fma_f64 v[98:99], v[98:99], v[104:105], -v[106:107]
	v_fma_f64 v[100:101], v[100:101], v[104:105], v[102:103]
	v_add_f64 v[3:4], v[3:4], v[98:99]
	v_add_f64 v[1:2], v[1:2], v[100:101]
	s_andn2_b32 exec_lo, exec_lo, s5
	s_cbranch_execnz .LBB106_77
; %bb.78:
	s_or_b32 exec_lo, exec_lo, s5
	v_mov_b32_e32 v93, 0
	ds_read_b128 v[93:96], v93 offset:256
	s_waitcnt lgkmcnt(0)
	v_mul_f64 v[98:99], v[1:2], v[95:96]
	v_mul_f64 v[95:96], v[3:4], v[95:96]
	v_fma_f64 v[3:4], v[3:4], v[93:94], -v[98:99]
	v_fma_f64 v[1:2], v[1:2], v[93:94], v[95:96]
	buffer_store_dword v4, off, s[0:3], 0 offset:276
	buffer_store_dword v3, off, s[0:3], 0 offset:272
	;; [unrolled: 1-line block ×4, first 2 shown]
.LBB106_79:
	s_or_b32 exec_lo, exec_lo, s4
	v_mov_b32_e32 v4, s38
	s_waitcnt_vscnt null, 0x0
	s_barrier
	buffer_gl0_inv
	s_mov_b32 s4, exec_lo
	s_clause 0x3
	buffer_load_dword v1, v4, s[0:3], 0 offen
	buffer_load_dword v2, v4, s[0:3], 0 offen offset:4
	buffer_load_dword v3, v4, s[0:3], 0 offen offset:8
	;; [unrolled: 1-line block ×3, first 2 shown]
	s_waitcnt vmcnt(0)
	ds_write_b128 v91, v[1:4]
	s_waitcnt lgkmcnt(0)
	s_barrier
	buffer_gl0_inv
	v_cmpx_gt_u32_e32 17, v0
	s_cbranch_execz .LBB106_83
; %bb.80:
	v_mov_b32_e32 v1, 0
	v_mov_b32_e32 v3, 0
	v_add_nc_u32_e32 v93, -1, v0
	v_add_nc_u32_e32 v94, 0x2b0, v97
	v_mov_b32_e32 v2, 0
	v_mov_b32_e32 v4, 0
	v_add_nc_u32_e32 v95, 16, v97
	s_mov_b32 s5, 0
	.p2align	6
.LBB106_81:                             ; =>This Inner Loop Header: Depth=1
	s_clause 0x3
	buffer_load_dword v102, v95, s[0:3], 0 offen offset:8
	buffer_load_dword v103, v95, s[0:3], 0 offen offset:12
	buffer_load_dword v104, v95, s[0:3], 0 offen
	buffer_load_dword v105, v95, s[0:3], 0 offen offset:4
	ds_read_b128 v[98:101], v94
	v_add_nc_u32_e32 v93, 1, v93
	v_add_nc_u32_e32 v94, 16, v94
	;; [unrolled: 1-line block ×3, first 2 shown]
	v_cmp_lt_u32_e32 vcc_lo, 15, v93
	s_or_b32 s5, vcc_lo, s5
	s_waitcnt vmcnt(2) lgkmcnt(0)
	v_mul_f64 v[106:107], v[100:101], v[102:103]
	v_mul_f64 v[102:103], v[98:99], v[102:103]
	s_waitcnt vmcnt(0)
	v_fma_f64 v[98:99], v[98:99], v[104:105], -v[106:107]
	v_fma_f64 v[100:101], v[100:101], v[104:105], v[102:103]
	v_add_f64 v[3:4], v[3:4], v[98:99]
	v_add_f64 v[1:2], v[1:2], v[100:101]
	s_andn2_b32 exec_lo, exec_lo, s5
	s_cbranch_execnz .LBB106_81
; %bb.82:
	s_or_b32 exec_lo, exec_lo, s5
	v_mov_b32_e32 v93, 0
	ds_read_b128 v[93:96], v93 offset:272
	s_waitcnt lgkmcnt(0)
	v_mul_f64 v[98:99], v[1:2], v[95:96]
	v_mul_f64 v[95:96], v[3:4], v[95:96]
	v_fma_f64 v[3:4], v[3:4], v[93:94], -v[98:99]
	v_fma_f64 v[1:2], v[1:2], v[93:94], v[95:96]
	buffer_store_dword v4, off, s[0:3], 0 offset:292
	buffer_store_dword v3, off, s[0:3], 0 offset:288
	;; [unrolled: 1-line block ×4, first 2 shown]
.LBB106_83:
	s_or_b32 exec_lo, exec_lo, s4
	v_mov_b32_e32 v4, s37
	s_waitcnt_vscnt null, 0x0
	s_barrier
	buffer_gl0_inv
	s_mov_b32 s4, exec_lo
	s_clause 0x3
	buffer_load_dword v1, v4, s[0:3], 0 offen
	buffer_load_dword v2, v4, s[0:3], 0 offen offset:4
	buffer_load_dword v3, v4, s[0:3], 0 offen offset:8
	;; [unrolled: 1-line block ×3, first 2 shown]
	s_waitcnt vmcnt(0)
	ds_write_b128 v91, v[1:4]
	s_waitcnt lgkmcnt(0)
	s_barrier
	buffer_gl0_inv
	v_cmpx_gt_u32_e32 18, v0
	s_cbranch_execz .LBB106_87
; %bb.84:
	v_mov_b32_e32 v1, 0
	v_mov_b32_e32 v3, 0
	v_add_nc_u32_e32 v93, -1, v0
	v_add_nc_u32_e32 v94, 0x2b0, v97
	v_mov_b32_e32 v2, 0
	v_mov_b32_e32 v4, 0
	v_add_nc_u32_e32 v95, 16, v97
	s_mov_b32 s5, 0
	.p2align	6
.LBB106_85:                             ; =>This Inner Loop Header: Depth=1
	s_clause 0x3
	buffer_load_dword v102, v95, s[0:3], 0 offen offset:8
	buffer_load_dword v103, v95, s[0:3], 0 offen offset:12
	buffer_load_dword v104, v95, s[0:3], 0 offen
	buffer_load_dword v105, v95, s[0:3], 0 offen offset:4
	ds_read_b128 v[98:101], v94
	v_add_nc_u32_e32 v93, 1, v93
	v_add_nc_u32_e32 v94, 16, v94
	;; [unrolled: 1-line block ×3, first 2 shown]
	v_cmp_lt_u32_e32 vcc_lo, 16, v93
	s_or_b32 s5, vcc_lo, s5
	s_waitcnt vmcnt(2) lgkmcnt(0)
	v_mul_f64 v[106:107], v[100:101], v[102:103]
	v_mul_f64 v[102:103], v[98:99], v[102:103]
	s_waitcnt vmcnt(0)
	v_fma_f64 v[98:99], v[98:99], v[104:105], -v[106:107]
	v_fma_f64 v[100:101], v[100:101], v[104:105], v[102:103]
	v_add_f64 v[3:4], v[3:4], v[98:99]
	v_add_f64 v[1:2], v[1:2], v[100:101]
	s_andn2_b32 exec_lo, exec_lo, s5
	s_cbranch_execnz .LBB106_85
; %bb.86:
	s_or_b32 exec_lo, exec_lo, s5
	v_mov_b32_e32 v93, 0
	ds_read_b128 v[93:96], v93 offset:288
	s_waitcnt lgkmcnt(0)
	v_mul_f64 v[98:99], v[1:2], v[95:96]
	v_mul_f64 v[95:96], v[3:4], v[95:96]
	v_fma_f64 v[3:4], v[3:4], v[93:94], -v[98:99]
	v_fma_f64 v[1:2], v[1:2], v[93:94], v[95:96]
	buffer_store_dword v4, off, s[0:3], 0 offset:308
	buffer_store_dword v3, off, s[0:3], 0 offset:304
	;; [unrolled: 1-line block ×4, first 2 shown]
.LBB106_87:
	s_or_b32 exec_lo, exec_lo, s4
	v_mov_b32_e32 v4, s36
	s_waitcnt_vscnt null, 0x0
	s_barrier
	buffer_gl0_inv
	s_mov_b32 s4, exec_lo
	s_clause 0x3
	buffer_load_dword v1, v4, s[0:3], 0 offen
	buffer_load_dword v2, v4, s[0:3], 0 offen offset:4
	buffer_load_dword v3, v4, s[0:3], 0 offen offset:8
	;; [unrolled: 1-line block ×3, first 2 shown]
	s_waitcnt vmcnt(0)
	ds_write_b128 v91, v[1:4]
	s_waitcnt lgkmcnt(0)
	s_barrier
	buffer_gl0_inv
	v_cmpx_gt_u32_e32 19, v0
	s_cbranch_execz .LBB106_91
; %bb.88:
	v_mov_b32_e32 v1, 0
	v_mov_b32_e32 v3, 0
	v_add_nc_u32_e32 v93, -1, v0
	v_add_nc_u32_e32 v94, 0x2b0, v97
	v_mov_b32_e32 v2, 0
	v_mov_b32_e32 v4, 0
	v_add_nc_u32_e32 v95, 16, v97
	s_mov_b32 s5, 0
	.p2align	6
.LBB106_89:                             ; =>This Inner Loop Header: Depth=1
	s_clause 0x3
	buffer_load_dword v102, v95, s[0:3], 0 offen offset:8
	buffer_load_dword v103, v95, s[0:3], 0 offen offset:12
	buffer_load_dword v104, v95, s[0:3], 0 offen
	buffer_load_dword v105, v95, s[0:3], 0 offen offset:4
	ds_read_b128 v[98:101], v94
	v_add_nc_u32_e32 v93, 1, v93
	v_add_nc_u32_e32 v94, 16, v94
	;; [unrolled: 1-line block ×3, first 2 shown]
	v_cmp_lt_u32_e32 vcc_lo, 17, v93
	s_or_b32 s5, vcc_lo, s5
	s_waitcnt vmcnt(2) lgkmcnt(0)
	v_mul_f64 v[106:107], v[100:101], v[102:103]
	v_mul_f64 v[102:103], v[98:99], v[102:103]
	s_waitcnt vmcnt(0)
	v_fma_f64 v[98:99], v[98:99], v[104:105], -v[106:107]
	v_fma_f64 v[100:101], v[100:101], v[104:105], v[102:103]
	v_add_f64 v[3:4], v[3:4], v[98:99]
	v_add_f64 v[1:2], v[1:2], v[100:101]
	s_andn2_b32 exec_lo, exec_lo, s5
	s_cbranch_execnz .LBB106_89
; %bb.90:
	s_or_b32 exec_lo, exec_lo, s5
	v_mov_b32_e32 v93, 0
	ds_read_b128 v[93:96], v93 offset:304
	s_waitcnt lgkmcnt(0)
	v_mul_f64 v[98:99], v[1:2], v[95:96]
	v_mul_f64 v[95:96], v[3:4], v[95:96]
	v_fma_f64 v[3:4], v[3:4], v[93:94], -v[98:99]
	v_fma_f64 v[1:2], v[1:2], v[93:94], v[95:96]
	buffer_store_dword v4, off, s[0:3], 0 offset:324
	buffer_store_dword v3, off, s[0:3], 0 offset:320
	;; [unrolled: 1-line block ×4, first 2 shown]
.LBB106_91:
	s_or_b32 exec_lo, exec_lo, s4
	v_mov_b32_e32 v4, s35
	s_waitcnt_vscnt null, 0x0
	s_barrier
	buffer_gl0_inv
	s_mov_b32 s4, exec_lo
	s_clause 0x3
	buffer_load_dword v1, v4, s[0:3], 0 offen
	buffer_load_dword v2, v4, s[0:3], 0 offen offset:4
	buffer_load_dword v3, v4, s[0:3], 0 offen offset:8
	buffer_load_dword v4, v4, s[0:3], 0 offen offset:12
	s_waitcnt vmcnt(0)
	ds_write_b128 v91, v[1:4]
	s_waitcnt lgkmcnt(0)
	s_barrier
	buffer_gl0_inv
	v_cmpx_gt_u32_e32 20, v0
	s_cbranch_execz .LBB106_95
; %bb.92:
	v_mov_b32_e32 v1, 0
	v_mov_b32_e32 v3, 0
	v_add_nc_u32_e32 v93, -1, v0
	v_add_nc_u32_e32 v94, 0x2b0, v97
	v_mov_b32_e32 v2, 0
	v_mov_b32_e32 v4, 0
	v_add_nc_u32_e32 v95, 16, v97
	s_mov_b32 s5, 0
	.p2align	6
.LBB106_93:                             ; =>This Inner Loop Header: Depth=1
	s_clause 0x3
	buffer_load_dword v102, v95, s[0:3], 0 offen offset:8
	buffer_load_dword v103, v95, s[0:3], 0 offen offset:12
	buffer_load_dword v104, v95, s[0:3], 0 offen
	buffer_load_dword v105, v95, s[0:3], 0 offen offset:4
	ds_read_b128 v[98:101], v94
	v_add_nc_u32_e32 v93, 1, v93
	v_add_nc_u32_e32 v94, 16, v94
	;; [unrolled: 1-line block ×3, first 2 shown]
	v_cmp_lt_u32_e32 vcc_lo, 18, v93
	s_or_b32 s5, vcc_lo, s5
	s_waitcnt vmcnt(2) lgkmcnt(0)
	v_mul_f64 v[106:107], v[100:101], v[102:103]
	v_mul_f64 v[102:103], v[98:99], v[102:103]
	s_waitcnt vmcnt(0)
	v_fma_f64 v[98:99], v[98:99], v[104:105], -v[106:107]
	v_fma_f64 v[100:101], v[100:101], v[104:105], v[102:103]
	v_add_f64 v[3:4], v[3:4], v[98:99]
	v_add_f64 v[1:2], v[1:2], v[100:101]
	s_andn2_b32 exec_lo, exec_lo, s5
	s_cbranch_execnz .LBB106_93
; %bb.94:
	s_or_b32 exec_lo, exec_lo, s5
	v_mov_b32_e32 v93, 0
	ds_read_b128 v[93:96], v93 offset:320
	s_waitcnt lgkmcnt(0)
	v_mul_f64 v[98:99], v[1:2], v[95:96]
	v_mul_f64 v[95:96], v[3:4], v[95:96]
	v_fma_f64 v[3:4], v[3:4], v[93:94], -v[98:99]
	v_fma_f64 v[1:2], v[1:2], v[93:94], v[95:96]
	buffer_store_dword v4, off, s[0:3], 0 offset:340
	buffer_store_dword v3, off, s[0:3], 0 offset:336
	buffer_store_dword v2, off, s[0:3], 0 offset:348
	buffer_store_dword v1, off, s[0:3], 0 offset:344
.LBB106_95:
	s_or_b32 exec_lo, exec_lo, s4
	v_mov_b32_e32 v4, s34
	s_waitcnt_vscnt null, 0x0
	s_barrier
	buffer_gl0_inv
	s_mov_b32 s4, exec_lo
	s_clause 0x3
	buffer_load_dword v1, v4, s[0:3], 0 offen
	buffer_load_dword v2, v4, s[0:3], 0 offen offset:4
	buffer_load_dword v3, v4, s[0:3], 0 offen offset:8
	;; [unrolled: 1-line block ×3, first 2 shown]
	s_waitcnt vmcnt(0)
	ds_write_b128 v91, v[1:4]
	s_waitcnt lgkmcnt(0)
	s_barrier
	buffer_gl0_inv
	v_cmpx_gt_u32_e32 21, v0
	s_cbranch_execz .LBB106_99
; %bb.96:
	v_mov_b32_e32 v1, 0
	v_mov_b32_e32 v3, 0
	v_add_nc_u32_e32 v93, -1, v0
	v_add_nc_u32_e32 v94, 0x2b0, v97
	v_mov_b32_e32 v2, 0
	v_mov_b32_e32 v4, 0
	v_add_nc_u32_e32 v95, 16, v97
	s_mov_b32 s5, 0
	.p2align	6
.LBB106_97:                             ; =>This Inner Loop Header: Depth=1
	s_clause 0x3
	buffer_load_dword v102, v95, s[0:3], 0 offen offset:8
	buffer_load_dword v103, v95, s[0:3], 0 offen offset:12
	buffer_load_dword v104, v95, s[0:3], 0 offen
	buffer_load_dword v105, v95, s[0:3], 0 offen offset:4
	ds_read_b128 v[98:101], v94
	v_add_nc_u32_e32 v93, 1, v93
	v_add_nc_u32_e32 v94, 16, v94
	;; [unrolled: 1-line block ×3, first 2 shown]
	v_cmp_lt_u32_e32 vcc_lo, 19, v93
	s_or_b32 s5, vcc_lo, s5
	s_waitcnt vmcnt(2) lgkmcnt(0)
	v_mul_f64 v[106:107], v[100:101], v[102:103]
	v_mul_f64 v[102:103], v[98:99], v[102:103]
	s_waitcnt vmcnt(0)
	v_fma_f64 v[98:99], v[98:99], v[104:105], -v[106:107]
	v_fma_f64 v[100:101], v[100:101], v[104:105], v[102:103]
	v_add_f64 v[3:4], v[3:4], v[98:99]
	v_add_f64 v[1:2], v[1:2], v[100:101]
	s_andn2_b32 exec_lo, exec_lo, s5
	s_cbranch_execnz .LBB106_97
; %bb.98:
	s_or_b32 exec_lo, exec_lo, s5
	v_mov_b32_e32 v93, 0
	ds_read_b128 v[93:96], v93 offset:336
	s_waitcnt lgkmcnt(0)
	v_mul_f64 v[98:99], v[1:2], v[95:96]
	v_mul_f64 v[95:96], v[3:4], v[95:96]
	v_fma_f64 v[3:4], v[3:4], v[93:94], -v[98:99]
	v_fma_f64 v[1:2], v[1:2], v[93:94], v[95:96]
	buffer_store_dword v4, off, s[0:3], 0 offset:356
	buffer_store_dword v3, off, s[0:3], 0 offset:352
	;; [unrolled: 1-line block ×4, first 2 shown]
.LBB106_99:
	s_or_b32 exec_lo, exec_lo, s4
	v_mov_b32_e32 v4, s33
	s_waitcnt_vscnt null, 0x0
	s_barrier
	buffer_gl0_inv
	s_mov_b32 s4, exec_lo
	s_clause 0x3
	buffer_load_dword v1, v4, s[0:3], 0 offen
	buffer_load_dword v2, v4, s[0:3], 0 offen offset:4
	buffer_load_dword v3, v4, s[0:3], 0 offen offset:8
	;; [unrolled: 1-line block ×3, first 2 shown]
	s_waitcnt vmcnt(0)
	ds_write_b128 v91, v[1:4]
	s_waitcnt lgkmcnt(0)
	s_barrier
	buffer_gl0_inv
	v_cmpx_gt_u32_e32 22, v0
	s_cbranch_execz .LBB106_103
; %bb.100:
	v_mov_b32_e32 v1, 0
	v_mov_b32_e32 v3, 0
	v_add_nc_u32_e32 v93, -1, v0
	v_add_nc_u32_e32 v94, 0x2b0, v97
	v_mov_b32_e32 v2, 0
	v_mov_b32_e32 v4, 0
	v_add_nc_u32_e32 v95, 16, v97
	s_mov_b32 s5, 0
	.p2align	6
.LBB106_101:                            ; =>This Inner Loop Header: Depth=1
	s_clause 0x3
	buffer_load_dword v102, v95, s[0:3], 0 offen offset:8
	buffer_load_dword v103, v95, s[0:3], 0 offen offset:12
	buffer_load_dword v104, v95, s[0:3], 0 offen
	buffer_load_dword v105, v95, s[0:3], 0 offen offset:4
	ds_read_b128 v[98:101], v94
	v_add_nc_u32_e32 v93, 1, v93
	v_add_nc_u32_e32 v94, 16, v94
	;; [unrolled: 1-line block ×3, first 2 shown]
	v_cmp_lt_u32_e32 vcc_lo, 20, v93
	s_or_b32 s5, vcc_lo, s5
	s_waitcnt vmcnt(2) lgkmcnt(0)
	v_mul_f64 v[106:107], v[100:101], v[102:103]
	v_mul_f64 v[102:103], v[98:99], v[102:103]
	s_waitcnt vmcnt(0)
	v_fma_f64 v[98:99], v[98:99], v[104:105], -v[106:107]
	v_fma_f64 v[100:101], v[100:101], v[104:105], v[102:103]
	v_add_f64 v[3:4], v[3:4], v[98:99]
	v_add_f64 v[1:2], v[1:2], v[100:101]
	s_andn2_b32 exec_lo, exec_lo, s5
	s_cbranch_execnz .LBB106_101
; %bb.102:
	s_or_b32 exec_lo, exec_lo, s5
	v_mov_b32_e32 v93, 0
	ds_read_b128 v[93:96], v93 offset:352
	s_waitcnt lgkmcnt(0)
	v_mul_f64 v[98:99], v[1:2], v[95:96]
	v_mul_f64 v[95:96], v[3:4], v[95:96]
	v_fma_f64 v[3:4], v[3:4], v[93:94], -v[98:99]
	v_fma_f64 v[1:2], v[1:2], v[93:94], v[95:96]
	buffer_store_dword v4, off, s[0:3], 0 offset:372
	buffer_store_dword v3, off, s[0:3], 0 offset:368
	;; [unrolled: 1-line block ×4, first 2 shown]
.LBB106_103:
	s_or_b32 exec_lo, exec_lo, s4
	v_mov_b32_e32 v4, s31
	s_waitcnt_vscnt null, 0x0
	s_barrier
	buffer_gl0_inv
	s_mov_b32 s4, exec_lo
	s_clause 0x3
	buffer_load_dword v1, v4, s[0:3], 0 offen
	buffer_load_dword v2, v4, s[0:3], 0 offen offset:4
	buffer_load_dword v3, v4, s[0:3], 0 offen offset:8
	;; [unrolled: 1-line block ×3, first 2 shown]
	s_waitcnt vmcnt(0)
	ds_write_b128 v91, v[1:4]
	s_waitcnt lgkmcnt(0)
	s_barrier
	buffer_gl0_inv
	v_cmpx_gt_u32_e32 23, v0
	s_cbranch_execz .LBB106_107
; %bb.104:
	v_mov_b32_e32 v1, 0
	v_mov_b32_e32 v3, 0
	v_add_nc_u32_e32 v93, -1, v0
	v_add_nc_u32_e32 v94, 0x2b0, v97
	v_mov_b32_e32 v2, 0
	v_mov_b32_e32 v4, 0
	v_add_nc_u32_e32 v95, 16, v97
	s_mov_b32 s5, 0
	.p2align	6
.LBB106_105:                            ; =>This Inner Loop Header: Depth=1
	s_clause 0x3
	buffer_load_dword v102, v95, s[0:3], 0 offen offset:8
	buffer_load_dword v103, v95, s[0:3], 0 offen offset:12
	buffer_load_dword v104, v95, s[0:3], 0 offen
	buffer_load_dword v105, v95, s[0:3], 0 offen offset:4
	ds_read_b128 v[98:101], v94
	v_add_nc_u32_e32 v93, 1, v93
	v_add_nc_u32_e32 v94, 16, v94
	;; [unrolled: 1-line block ×3, first 2 shown]
	v_cmp_lt_u32_e32 vcc_lo, 21, v93
	s_or_b32 s5, vcc_lo, s5
	s_waitcnt vmcnt(2) lgkmcnt(0)
	v_mul_f64 v[106:107], v[100:101], v[102:103]
	v_mul_f64 v[102:103], v[98:99], v[102:103]
	s_waitcnt vmcnt(0)
	v_fma_f64 v[98:99], v[98:99], v[104:105], -v[106:107]
	v_fma_f64 v[100:101], v[100:101], v[104:105], v[102:103]
	v_add_f64 v[3:4], v[3:4], v[98:99]
	v_add_f64 v[1:2], v[1:2], v[100:101]
	s_andn2_b32 exec_lo, exec_lo, s5
	s_cbranch_execnz .LBB106_105
; %bb.106:
	s_or_b32 exec_lo, exec_lo, s5
	v_mov_b32_e32 v93, 0
	ds_read_b128 v[93:96], v93 offset:368
	s_waitcnt lgkmcnt(0)
	v_mul_f64 v[98:99], v[1:2], v[95:96]
	v_mul_f64 v[95:96], v[3:4], v[95:96]
	v_fma_f64 v[3:4], v[3:4], v[93:94], -v[98:99]
	v_fma_f64 v[1:2], v[1:2], v[93:94], v[95:96]
	buffer_store_dword v4, off, s[0:3], 0 offset:388
	buffer_store_dword v3, off, s[0:3], 0 offset:384
	;; [unrolled: 1-line block ×4, first 2 shown]
.LBB106_107:
	s_or_b32 exec_lo, exec_lo, s4
	v_mov_b32_e32 v4, s30
	s_waitcnt_vscnt null, 0x0
	s_barrier
	buffer_gl0_inv
	s_mov_b32 s4, exec_lo
	s_clause 0x3
	buffer_load_dword v1, v4, s[0:3], 0 offen
	buffer_load_dword v2, v4, s[0:3], 0 offen offset:4
	buffer_load_dword v3, v4, s[0:3], 0 offen offset:8
	;; [unrolled: 1-line block ×3, first 2 shown]
	s_waitcnt vmcnt(0)
	ds_write_b128 v91, v[1:4]
	s_waitcnt lgkmcnt(0)
	s_barrier
	buffer_gl0_inv
	v_cmpx_gt_u32_e32 24, v0
	s_cbranch_execz .LBB106_111
; %bb.108:
	v_mov_b32_e32 v1, 0
	v_mov_b32_e32 v3, 0
	v_add_nc_u32_e32 v93, -1, v0
	v_add_nc_u32_e32 v94, 0x2b0, v97
	v_mov_b32_e32 v2, 0
	v_mov_b32_e32 v4, 0
	v_add_nc_u32_e32 v95, 16, v97
	s_mov_b32 s5, 0
	.p2align	6
.LBB106_109:                            ; =>This Inner Loop Header: Depth=1
	s_clause 0x3
	buffer_load_dword v102, v95, s[0:3], 0 offen offset:8
	buffer_load_dword v103, v95, s[0:3], 0 offen offset:12
	buffer_load_dword v104, v95, s[0:3], 0 offen
	buffer_load_dword v105, v95, s[0:3], 0 offen offset:4
	ds_read_b128 v[98:101], v94
	v_add_nc_u32_e32 v93, 1, v93
	v_add_nc_u32_e32 v94, 16, v94
	;; [unrolled: 1-line block ×3, first 2 shown]
	v_cmp_lt_u32_e32 vcc_lo, 22, v93
	s_or_b32 s5, vcc_lo, s5
	s_waitcnt vmcnt(2) lgkmcnt(0)
	v_mul_f64 v[106:107], v[100:101], v[102:103]
	v_mul_f64 v[102:103], v[98:99], v[102:103]
	s_waitcnt vmcnt(0)
	v_fma_f64 v[98:99], v[98:99], v[104:105], -v[106:107]
	v_fma_f64 v[100:101], v[100:101], v[104:105], v[102:103]
	v_add_f64 v[3:4], v[3:4], v[98:99]
	v_add_f64 v[1:2], v[1:2], v[100:101]
	s_andn2_b32 exec_lo, exec_lo, s5
	s_cbranch_execnz .LBB106_109
; %bb.110:
	s_or_b32 exec_lo, exec_lo, s5
	v_mov_b32_e32 v93, 0
	ds_read_b128 v[93:96], v93 offset:384
	s_waitcnt lgkmcnt(0)
	v_mul_f64 v[98:99], v[1:2], v[95:96]
	v_mul_f64 v[95:96], v[3:4], v[95:96]
	v_fma_f64 v[3:4], v[3:4], v[93:94], -v[98:99]
	v_fma_f64 v[1:2], v[1:2], v[93:94], v[95:96]
	buffer_store_dword v4, off, s[0:3], 0 offset:404
	buffer_store_dword v3, off, s[0:3], 0 offset:400
	;; [unrolled: 1-line block ×4, first 2 shown]
.LBB106_111:
	s_or_b32 exec_lo, exec_lo, s4
	v_mov_b32_e32 v4, s29
	s_waitcnt_vscnt null, 0x0
	s_barrier
	buffer_gl0_inv
	s_mov_b32 s4, exec_lo
	s_clause 0x3
	buffer_load_dword v1, v4, s[0:3], 0 offen
	buffer_load_dword v2, v4, s[0:3], 0 offen offset:4
	buffer_load_dword v3, v4, s[0:3], 0 offen offset:8
	;; [unrolled: 1-line block ×3, first 2 shown]
	s_waitcnt vmcnt(0)
	ds_write_b128 v91, v[1:4]
	s_waitcnt lgkmcnt(0)
	s_barrier
	buffer_gl0_inv
	v_cmpx_gt_u32_e32 25, v0
	s_cbranch_execz .LBB106_115
; %bb.112:
	v_mov_b32_e32 v1, 0
	v_mov_b32_e32 v3, 0
	v_add_nc_u32_e32 v93, -1, v0
	v_add_nc_u32_e32 v94, 0x2b0, v97
	v_mov_b32_e32 v2, 0
	v_mov_b32_e32 v4, 0
	v_add_nc_u32_e32 v95, 16, v97
	s_mov_b32 s5, 0
	.p2align	6
.LBB106_113:                            ; =>This Inner Loop Header: Depth=1
	s_clause 0x3
	buffer_load_dword v102, v95, s[0:3], 0 offen offset:8
	buffer_load_dword v103, v95, s[0:3], 0 offen offset:12
	buffer_load_dword v104, v95, s[0:3], 0 offen
	buffer_load_dword v105, v95, s[0:3], 0 offen offset:4
	ds_read_b128 v[98:101], v94
	v_add_nc_u32_e32 v93, 1, v93
	v_add_nc_u32_e32 v94, 16, v94
	;; [unrolled: 1-line block ×3, first 2 shown]
	v_cmp_lt_u32_e32 vcc_lo, 23, v93
	s_or_b32 s5, vcc_lo, s5
	s_waitcnt vmcnt(2) lgkmcnt(0)
	v_mul_f64 v[106:107], v[100:101], v[102:103]
	v_mul_f64 v[102:103], v[98:99], v[102:103]
	s_waitcnt vmcnt(0)
	v_fma_f64 v[98:99], v[98:99], v[104:105], -v[106:107]
	v_fma_f64 v[100:101], v[100:101], v[104:105], v[102:103]
	v_add_f64 v[3:4], v[3:4], v[98:99]
	v_add_f64 v[1:2], v[1:2], v[100:101]
	s_andn2_b32 exec_lo, exec_lo, s5
	s_cbranch_execnz .LBB106_113
; %bb.114:
	s_or_b32 exec_lo, exec_lo, s5
	v_mov_b32_e32 v93, 0
	ds_read_b128 v[93:96], v93 offset:400
	s_waitcnt lgkmcnt(0)
	v_mul_f64 v[98:99], v[1:2], v[95:96]
	v_mul_f64 v[95:96], v[3:4], v[95:96]
	v_fma_f64 v[3:4], v[3:4], v[93:94], -v[98:99]
	v_fma_f64 v[1:2], v[1:2], v[93:94], v[95:96]
	buffer_store_dword v4, off, s[0:3], 0 offset:420
	buffer_store_dword v3, off, s[0:3], 0 offset:416
	;; [unrolled: 1-line block ×4, first 2 shown]
.LBB106_115:
	s_or_b32 exec_lo, exec_lo, s4
	v_mov_b32_e32 v4, s28
	s_waitcnt_vscnt null, 0x0
	s_barrier
	buffer_gl0_inv
	s_mov_b32 s4, exec_lo
	s_clause 0x3
	buffer_load_dword v1, v4, s[0:3], 0 offen
	buffer_load_dword v2, v4, s[0:3], 0 offen offset:4
	buffer_load_dword v3, v4, s[0:3], 0 offen offset:8
	;; [unrolled: 1-line block ×3, first 2 shown]
	s_waitcnt vmcnt(0)
	ds_write_b128 v91, v[1:4]
	s_waitcnt lgkmcnt(0)
	s_barrier
	buffer_gl0_inv
	v_cmpx_gt_u32_e32 26, v0
	s_cbranch_execz .LBB106_119
; %bb.116:
	v_mov_b32_e32 v1, 0
	v_mov_b32_e32 v3, 0
	v_add_nc_u32_e32 v93, -1, v0
	v_add_nc_u32_e32 v94, 0x2b0, v97
	v_mov_b32_e32 v2, 0
	v_mov_b32_e32 v4, 0
	v_add_nc_u32_e32 v95, 16, v97
	s_mov_b32 s5, 0
	.p2align	6
.LBB106_117:                            ; =>This Inner Loop Header: Depth=1
	s_clause 0x3
	buffer_load_dword v102, v95, s[0:3], 0 offen offset:8
	buffer_load_dword v103, v95, s[0:3], 0 offen offset:12
	buffer_load_dword v104, v95, s[0:3], 0 offen
	buffer_load_dword v105, v95, s[0:3], 0 offen offset:4
	ds_read_b128 v[98:101], v94
	v_add_nc_u32_e32 v93, 1, v93
	v_add_nc_u32_e32 v94, 16, v94
	;; [unrolled: 1-line block ×3, first 2 shown]
	v_cmp_lt_u32_e32 vcc_lo, 24, v93
	s_or_b32 s5, vcc_lo, s5
	s_waitcnt vmcnt(2) lgkmcnt(0)
	v_mul_f64 v[106:107], v[100:101], v[102:103]
	v_mul_f64 v[102:103], v[98:99], v[102:103]
	s_waitcnt vmcnt(0)
	v_fma_f64 v[98:99], v[98:99], v[104:105], -v[106:107]
	v_fma_f64 v[100:101], v[100:101], v[104:105], v[102:103]
	v_add_f64 v[3:4], v[3:4], v[98:99]
	v_add_f64 v[1:2], v[1:2], v[100:101]
	s_andn2_b32 exec_lo, exec_lo, s5
	s_cbranch_execnz .LBB106_117
; %bb.118:
	s_or_b32 exec_lo, exec_lo, s5
	v_mov_b32_e32 v93, 0
	ds_read_b128 v[93:96], v93 offset:416
	s_waitcnt lgkmcnt(0)
	v_mul_f64 v[98:99], v[1:2], v[95:96]
	v_mul_f64 v[95:96], v[3:4], v[95:96]
	v_fma_f64 v[3:4], v[3:4], v[93:94], -v[98:99]
	v_fma_f64 v[1:2], v[1:2], v[93:94], v[95:96]
	buffer_store_dword v4, off, s[0:3], 0 offset:436
	buffer_store_dword v3, off, s[0:3], 0 offset:432
	;; [unrolled: 1-line block ×4, first 2 shown]
.LBB106_119:
	s_or_b32 exec_lo, exec_lo, s4
	v_mov_b32_e32 v4, s27
	s_waitcnt_vscnt null, 0x0
	s_barrier
	buffer_gl0_inv
	s_mov_b32 s4, exec_lo
	s_clause 0x3
	buffer_load_dword v1, v4, s[0:3], 0 offen
	buffer_load_dword v2, v4, s[0:3], 0 offen offset:4
	buffer_load_dword v3, v4, s[0:3], 0 offen offset:8
	;; [unrolled: 1-line block ×3, first 2 shown]
	s_waitcnt vmcnt(0)
	ds_write_b128 v91, v[1:4]
	s_waitcnt lgkmcnt(0)
	s_barrier
	buffer_gl0_inv
	v_cmpx_gt_u32_e32 27, v0
	s_cbranch_execz .LBB106_123
; %bb.120:
	v_mov_b32_e32 v1, 0
	v_mov_b32_e32 v3, 0
	v_add_nc_u32_e32 v93, -1, v0
	v_add_nc_u32_e32 v94, 0x2b0, v97
	v_mov_b32_e32 v2, 0
	v_mov_b32_e32 v4, 0
	v_add_nc_u32_e32 v95, 16, v97
	s_mov_b32 s5, 0
	.p2align	6
.LBB106_121:                            ; =>This Inner Loop Header: Depth=1
	s_clause 0x3
	buffer_load_dword v102, v95, s[0:3], 0 offen offset:8
	buffer_load_dword v103, v95, s[0:3], 0 offen offset:12
	buffer_load_dword v104, v95, s[0:3], 0 offen
	buffer_load_dword v105, v95, s[0:3], 0 offen offset:4
	ds_read_b128 v[98:101], v94
	v_add_nc_u32_e32 v93, 1, v93
	v_add_nc_u32_e32 v94, 16, v94
	;; [unrolled: 1-line block ×3, first 2 shown]
	v_cmp_lt_u32_e32 vcc_lo, 25, v93
	s_or_b32 s5, vcc_lo, s5
	s_waitcnt vmcnt(2) lgkmcnt(0)
	v_mul_f64 v[106:107], v[100:101], v[102:103]
	v_mul_f64 v[102:103], v[98:99], v[102:103]
	s_waitcnt vmcnt(0)
	v_fma_f64 v[98:99], v[98:99], v[104:105], -v[106:107]
	v_fma_f64 v[100:101], v[100:101], v[104:105], v[102:103]
	v_add_f64 v[3:4], v[3:4], v[98:99]
	v_add_f64 v[1:2], v[1:2], v[100:101]
	s_andn2_b32 exec_lo, exec_lo, s5
	s_cbranch_execnz .LBB106_121
; %bb.122:
	s_or_b32 exec_lo, exec_lo, s5
	v_mov_b32_e32 v93, 0
	ds_read_b128 v[93:96], v93 offset:432
	s_waitcnt lgkmcnt(0)
	v_mul_f64 v[98:99], v[1:2], v[95:96]
	v_mul_f64 v[95:96], v[3:4], v[95:96]
	v_fma_f64 v[3:4], v[3:4], v[93:94], -v[98:99]
	v_fma_f64 v[1:2], v[1:2], v[93:94], v[95:96]
	buffer_store_dword v4, off, s[0:3], 0 offset:452
	buffer_store_dword v3, off, s[0:3], 0 offset:448
	;; [unrolled: 1-line block ×4, first 2 shown]
.LBB106_123:
	s_or_b32 exec_lo, exec_lo, s4
	v_mov_b32_e32 v4, s26
	s_waitcnt_vscnt null, 0x0
	s_barrier
	buffer_gl0_inv
	s_mov_b32 s4, exec_lo
	s_clause 0x3
	buffer_load_dword v1, v4, s[0:3], 0 offen
	buffer_load_dword v2, v4, s[0:3], 0 offen offset:4
	buffer_load_dword v3, v4, s[0:3], 0 offen offset:8
	;; [unrolled: 1-line block ×3, first 2 shown]
	s_waitcnt vmcnt(0)
	ds_write_b128 v91, v[1:4]
	s_waitcnt lgkmcnt(0)
	s_barrier
	buffer_gl0_inv
	v_cmpx_gt_u32_e32 28, v0
	s_cbranch_execz .LBB106_127
; %bb.124:
	v_mov_b32_e32 v1, 0
	v_mov_b32_e32 v3, 0
	v_add_nc_u32_e32 v93, -1, v0
	v_add_nc_u32_e32 v94, 0x2b0, v97
	v_mov_b32_e32 v2, 0
	v_mov_b32_e32 v4, 0
	v_add_nc_u32_e32 v95, 16, v97
	s_mov_b32 s5, 0
	.p2align	6
.LBB106_125:                            ; =>This Inner Loop Header: Depth=1
	s_clause 0x3
	buffer_load_dword v102, v95, s[0:3], 0 offen offset:8
	buffer_load_dword v103, v95, s[0:3], 0 offen offset:12
	buffer_load_dword v104, v95, s[0:3], 0 offen
	buffer_load_dword v105, v95, s[0:3], 0 offen offset:4
	ds_read_b128 v[98:101], v94
	v_add_nc_u32_e32 v93, 1, v93
	v_add_nc_u32_e32 v94, 16, v94
	;; [unrolled: 1-line block ×3, first 2 shown]
	v_cmp_lt_u32_e32 vcc_lo, 26, v93
	s_or_b32 s5, vcc_lo, s5
	s_waitcnt vmcnt(2) lgkmcnt(0)
	v_mul_f64 v[106:107], v[100:101], v[102:103]
	v_mul_f64 v[102:103], v[98:99], v[102:103]
	s_waitcnt vmcnt(0)
	v_fma_f64 v[98:99], v[98:99], v[104:105], -v[106:107]
	v_fma_f64 v[100:101], v[100:101], v[104:105], v[102:103]
	v_add_f64 v[3:4], v[3:4], v[98:99]
	v_add_f64 v[1:2], v[1:2], v[100:101]
	s_andn2_b32 exec_lo, exec_lo, s5
	s_cbranch_execnz .LBB106_125
; %bb.126:
	s_or_b32 exec_lo, exec_lo, s5
	v_mov_b32_e32 v93, 0
	ds_read_b128 v[93:96], v93 offset:448
	s_waitcnt lgkmcnt(0)
	v_mul_f64 v[98:99], v[1:2], v[95:96]
	v_mul_f64 v[95:96], v[3:4], v[95:96]
	v_fma_f64 v[3:4], v[3:4], v[93:94], -v[98:99]
	v_fma_f64 v[1:2], v[1:2], v[93:94], v[95:96]
	buffer_store_dword v4, off, s[0:3], 0 offset:468
	buffer_store_dword v3, off, s[0:3], 0 offset:464
	;; [unrolled: 1-line block ×4, first 2 shown]
.LBB106_127:
	s_or_b32 exec_lo, exec_lo, s4
	v_mov_b32_e32 v4, s25
	s_waitcnt_vscnt null, 0x0
	s_barrier
	buffer_gl0_inv
	s_mov_b32 s4, exec_lo
	s_clause 0x3
	buffer_load_dword v1, v4, s[0:3], 0 offen
	buffer_load_dword v2, v4, s[0:3], 0 offen offset:4
	buffer_load_dword v3, v4, s[0:3], 0 offen offset:8
	;; [unrolled: 1-line block ×3, first 2 shown]
	s_waitcnt vmcnt(0)
	ds_write_b128 v91, v[1:4]
	s_waitcnt lgkmcnt(0)
	s_barrier
	buffer_gl0_inv
	v_cmpx_gt_u32_e32 29, v0
	s_cbranch_execz .LBB106_131
; %bb.128:
	v_mov_b32_e32 v1, 0
	v_mov_b32_e32 v3, 0
	v_add_nc_u32_e32 v93, -1, v0
	v_add_nc_u32_e32 v94, 0x2b0, v97
	v_mov_b32_e32 v2, 0
	v_mov_b32_e32 v4, 0
	v_add_nc_u32_e32 v95, 16, v97
	s_mov_b32 s5, 0
	.p2align	6
.LBB106_129:                            ; =>This Inner Loop Header: Depth=1
	s_clause 0x3
	buffer_load_dword v102, v95, s[0:3], 0 offen offset:8
	buffer_load_dword v103, v95, s[0:3], 0 offen offset:12
	buffer_load_dword v104, v95, s[0:3], 0 offen
	buffer_load_dword v105, v95, s[0:3], 0 offen offset:4
	ds_read_b128 v[98:101], v94
	v_add_nc_u32_e32 v93, 1, v93
	v_add_nc_u32_e32 v94, 16, v94
	;; [unrolled: 1-line block ×3, first 2 shown]
	v_cmp_lt_u32_e32 vcc_lo, 27, v93
	s_or_b32 s5, vcc_lo, s5
	s_waitcnt vmcnt(2) lgkmcnt(0)
	v_mul_f64 v[106:107], v[100:101], v[102:103]
	v_mul_f64 v[102:103], v[98:99], v[102:103]
	s_waitcnt vmcnt(0)
	v_fma_f64 v[98:99], v[98:99], v[104:105], -v[106:107]
	v_fma_f64 v[100:101], v[100:101], v[104:105], v[102:103]
	v_add_f64 v[3:4], v[3:4], v[98:99]
	v_add_f64 v[1:2], v[1:2], v[100:101]
	s_andn2_b32 exec_lo, exec_lo, s5
	s_cbranch_execnz .LBB106_129
; %bb.130:
	s_or_b32 exec_lo, exec_lo, s5
	v_mov_b32_e32 v93, 0
	ds_read_b128 v[93:96], v93 offset:464
	s_waitcnt lgkmcnt(0)
	v_mul_f64 v[98:99], v[1:2], v[95:96]
	v_mul_f64 v[95:96], v[3:4], v[95:96]
	v_fma_f64 v[3:4], v[3:4], v[93:94], -v[98:99]
	v_fma_f64 v[1:2], v[1:2], v[93:94], v[95:96]
	buffer_store_dword v4, off, s[0:3], 0 offset:484
	buffer_store_dword v3, off, s[0:3], 0 offset:480
	;; [unrolled: 1-line block ×4, first 2 shown]
.LBB106_131:
	s_or_b32 exec_lo, exec_lo, s4
	v_mov_b32_e32 v4, s24
	s_waitcnt_vscnt null, 0x0
	s_barrier
	buffer_gl0_inv
	s_mov_b32 s4, exec_lo
	s_clause 0x3
	buffer_load_dword v1, v4, s[0:3], 0 offen
	buffer_load_dword v2, v4, s[0:3], 0 offen offset:4
	buffer_load_dword v3, v4, s[0:3], 0 offen offset:8
	;; [unrolled: 1-line block ×3, first 2 shown]
	s_waitcnt vmcnt(0)
	ds_write_b128 v91, v[1:4]
	s_waitcnt lgkmcnt(0)
	s_barrier
	buffer_gl0_inv
	v_cmpx_gt_u32_e32 30, v0
	s_cbranch_execz .LBB106_135
; %bb.132:
	v_mov_b32_e32 v1, 0
	v_mov_b32_e32 v3, 0
	v_add_nc_u32_e32 v93, -1, v0
	v_add_nc_u32_e32 v94, 0x2b0, v97
	v_mov_b32_e32 v2, 0
	v_mov_b32_e32 v4, 0
	v_add_nc_u32_e32 v95, 16, v97
	s_mov_b32 s5, 0
	.p2align	6
.LBB106_133:                            ; =>This Inner Loop Header: Depth=1
	s_clause 0x3
	buffer_load_dword v102, v95, s[0:3], 0 offen offset:8
	buffer_load_dword v103, v95, s[0:3], 0 offen offset:12
	buffer_load_dword v104, v95, s[0:3], 0 offen
	buffer_load_dword v105, v95, s[0:3], 0 offen offset:4
	ds_read_b128 v[98:101], v94
	v_add_nc_u32_e32 v93, 1, v93
	v_add_nc_u32_e32 v94, 16, v94
	;; [unrolled: 1-line block ×3, first 2 shown]
	v_cmp_lt_u32_e32 vcc_lo, 28, v93
	s_or_b32 s5, vcc_lo, s5
	s_waitcnt vmcnt(2) lgkmcnt(0)
	v_mul_f64 v[106:107], v[100:101], v[102:103]
	v_mul_f64 v[102:103], v[98:99], v[102:103]
	s_waitcnt vmcnt(0)
	v_fma_f64 v[98:99], v[98:99], v[104:105], -v[106:107]
	v_fma_f64 v[100:101], v[100:101], v[104:105], v[102:103]
	v_add_f64 v[3:4], v[3:4], v[98:99]
	v_add_f64 v[1:2], v[1:2], v[100:101]
	s_andn2_b32 exec_lo, exec_lo, s5
	s_cbranch_execnz .LBB106_133
; %bb.134:
	s_or_b32 exec_lo, exec_lo, s5
	v_mov_b32_e32 v93, 0
	ds_read_b128 v[93:96], v93 offset:480
	s_waitcnt lgkmcnt(0)
	v_mul_f64 v[98:99], v[1:2], v[95:96]
	v_mul_f64 v[95:96], v[3:4], v[95:96]
	v_fma_f64 v[3:4], v[3:4], v[93:94], -v[98:99]
	v_fma_f64 v[1:2], v[1:2], v[93:94], v[95:96]
	buffer_store_dword v4, off, s[0:3], 0 offset:500
	buffer_store_dword v3, off, s[0:3], 0 offset:496
	;; [unrolled: 1-line block ×4, first 2 shown]
.LBB106_135:
	s_or_b32 exec_lo, exec_lo, s4
	v_mov_b32_e32 v4, s23
	s_waitcnt_vscnt null, 0x0
	s_barrier
	buffer_gl0_inv
	s_mov_b32 s4, exec_lo
	s_clause 0x3
	buffer_load_dword v1, v4, s[0:3], 0 offen
	buffer_load_dword v2, v4, s[0:3], 0 offen offset:4
	buffer_load_dword v3, v4, s[0:3], 0 offen offset:8
	;; [unrolled: 1-line block ×3, first 2 shown]
	s_waitcnt vmcnt(0)
	ds_write_b128 v91, v[1:4]
	s_waitcnt lgkmcnt(0)
	s_barrier
	buffer_gl0_inv
	v_cmpx_gt_u32_e32 31, v0
	s_cbranch_execz .LBB106_139
; %bb.136:
	v_mov_b32_e32 v1, 0
	v_mov_b32_e32 v3, 0
	v_add_nc_u32_e32 v93, -1, v0
	v_add_nc_u32_e32 v94, 0x2b0, v97
	v_mov_b32_e32 v2, 0
	v_mov_b32_e32 v4, 0
	v_add_nc_u32_e32 v95, 16, v97
	s_mov_b32 s5, 0
	.p2align	6
.LBB106_137:                            ; =>This Inner Loop Header: Depth=1
	s_clause 0x3
	buffer_load_dword v102, v95, s[0:3], 0 offen offset:8
	buffer_load_dword v103, v95, s[0:3], 0 offen offset:12
	buffer_load_dword v104, v95, s[0:3], 0 offen
	buffer_load_dword v105, v95, s[0:3], 0 offen offset:4
	ds_read_b128 v[98:101], v94
	v_add_nc_u32_e32 v93, 1, v93
	v_add_nc_u32_e32 v94, 16, v94
	;; [unrolled: 1-line block ×3, first 2 shown]
	v_cmp_lt_u32_e32 vcc_lo, 29, v93
	s_or_b32 s5, vcc_lo, s5
	s_waitcnt vmcnt(2) lgkmcnt(0)
	v_mul_f64 v[106:107], v[100:101], v[102:103]
	v_mul_f64 v[102:103], v[98:99], v[102:103]
	s_waitcnt vmcnt(0)
	v_fma_f64 v[98:99], v[98:99], v[104:105], -v[106:107]
	v_fma_f64 v[100:101], v[100:101], v[104:105], v[102:103]
	v_add_f64 v[3:4], v[3:4], v[98:99]
	v_add_f64 v[1:2], v[1:2], v[100:101]
	s_andn2_b32 exec_lo, exec_lo, s5
	s_cbranch_execnz .LBB106_137
; %bb.138:
	s_or_b32 exec_lo, exec_lo, s5
	v_mov_b32_e32 v93, 0
	ds_read_b128 v[93:96], v93 offset:496
	s_waitcnt lgkmcnt(0)
	v_mul_f64 v[98:99], v[1:2], v[95:96]
	v_mul_f64 v[95:96], v[3:4], v[95:96]
	v_fma_f64 v[3:4], v[3:4], v[93:94], -v[98:99]
	v_fma_f64 v[1:2], v[1:2], v[93:94], v[95:96]
	buffer_store_dword v4, off, s[0:3], 0 offset:516
	buffer_store_dword v3, off, s[0:3], 0 offset:512
	;; [unrolled: 1-line block ×4, first 2 shown]
.LBB106_139:
	s_or_b32 exec_lo, exec_lo, s4
	v_mov_b32_e32 v4, s22
	s_waitcnt_vscnt null, 0x0
	s_barrier
	buffer_gl0_inv
	s_mov_b32 s4, exec_lo
	s_clause 0x3
	buffer_load_dword v1, v4, s[0:3], 0 offen
	buffer_load_dword v2, v4, s[0:3], 0 offen offset:4
	buffer_load_dword v3, v4, s[0:3], 0 offen offset:8
	;; [unrolled: 1-line block ×3, first 2 shown]
	s_waitcnt vmcnt(0)
	ds_write_b128 v91, v[1:4]
	s_waitcnt lgkmcnt(0)
	s_barrier
	buffer_gl0_inv
	v_cmpx_gt_u32_e32 32, v0
	s_cbranch_execz .LBB106_143
; %bb.140:
	v_mov_b32_e32 v1, 0
	v_mov_b32_e32 v3, 0
	v_add_nc_u32_e32 v93, -1, v0
	v_add_nc_u32_e32 v94, 0x2b0, v97
	v_mov_b32_e32 v2, 0
	v_mov_b32_e32 v4, 0
	v_add_nc_u32_e32 v95, 16, v97
	s_mov_b32 s5, 0
	.p2align	6
.LBB106_141:                            ; =>This Inner Loop Header: Depth=1
	s_clause 0x3
	buffer_load_dword v102, v95, s[0:3], 0 offen offset:8
	buffer_load_dword v103, v95, s[0:3], 0 offen offset:12
	buffer_load_dword v104, v95, s[0:3], 0 offen
	buffer_load_dword v105, v95, s[0:3], 0 offen offset:4
	ds_read_b128 v[98:101], v94
	v_add_nc_u32_e32 v93, 1, v93
	v_add_nc_u32_e32 v94, 16, v94
	;; [unrolled: 1-line block ×3, first 2 shown]
	v_cmp_lt_u32_e32 vcc_lo, 30, v93
	s_or_b32 s5, vcc_lo, s5
	s_waitcnt vmcnt(2) lgkmcnt(0)
	v_mul_f64 v[106:107], v[100:101], v[102:103]
	v_mul_f64 v[102:103], v[98:99], v[102:103]
	s_waitcnt vmcnt(0)
	v_fma_f64 v[98:99], v[98:99], v[104:105], -v[106:107]
	v_fma_f64 v[100:101], v[100:101], v[104:105], v[102:103]
	v_add_f64 v[3:4], v[3:4], v[98:99]
	v_add_f64 v[1:2], v[1:2], v[100:101]
	s_andn2_b32 exec_lo, exec_lo, s5
	s_cbranch_execnz .LBB106_141
; %bb.142:
	s_or_b32 exec_lo, exec_lo, s5
	v_mov_b32_e32 v93, 0
	ds_read_b128 v[93:96], v93 offset:512
	s_waitcnt lgkmcnt(0)
	v_mul_f64 v[98:99], v[1:2], v[95:96]
	v_mul_f64 v[95:96], v[3:4], v[95:96]
	v_fma_f64 v[3:4], v[3:4], v[93:94], -v[98:99]
	v_fma_f64 v[1:2], v[1:2], v[93:94], v[95:96]
	buffer_store_dword v4, off, s[0:3], 0 offset:532
	buffer_store_dword v3, off, s[0:3], 0 offset:528
	;; [unrolled: 1-line block ×4, first 2 shown]
.LBB106_143:
	s_or_b32 exec_lo, exec_lo, s4
	v_mov_b32_e32 v4, s21
	s_waitcnt_vscnt null, 0x0
	s_barrier
	buffer_gl0_inv
	s_mov_b32 s4, exec_lo
	s_clause 0x3
	buffer_load_dword v1, v4, s[0:3], 0 offen
	buffer_load_dword v2, v4, s[0:3], 0 offen offset:4
	buffer_load_dword v3, v4, s[0:3], 0 offen offset:8
	;; [unrolled: 1-line block ×3, first 2 shown]
	s_waitcnt vmcnt(0)
	ds_write_b128 v91, v[1:4]
	s_waitcnt lgkmcnt(0)
	s_barrier
	buffer_gl0_inv
	v_cmpx_gt_u32_e32 33, v0
	s_cbranch_execz .LBB106_147
; %bb.144:
	v_mov_b32_e32 v1, 0
	v_mov_b32_e32 v3, 0
	v_add_nc_u32_e32 v93, -1, v0
	v_add_nc_u32_e32 v94, 0x2b0, v97
	v_mov_b32_e32 v2, 0
	v_mov_b32_e32 v4, 0
	v_add_nc_u32_e32 v95, 16, v97
	s_mov_b32 s5, 0
	.p2align	6
.LBB106_145:                            ; =>This Inner Loop Header: Depth=1
	s_clause 0x3
	buffer_load_dword v102, v95, s[0:3], 0 offen offset:8
	buffer_load_dword v103, v95, s[0:3], 0 offen offset:12
	buffer_load_dword v104, v95, s[0:3], 0 offen
	buffer_load_dword v105, v95, s[0:3], 0 offen offset:4
	ds_read_b128 v[98:101], v94
	v_add_nc_u32_e32 v93, 1, v93
	v_add_nc_u32_e32 v94, 16, v94
	;; [unrolled: 1-line block ×3, first 2 shown]
	v_cmp_lt_u32_e32 vcc_lo, 31, v93
	s_or_b32 s5, vcc_lo, s5
	s_waitcnt vmcnt(2) lgkmcnt(0)
	v_mul_f64 v[106:107], v[100:101], v[102:103]
	v_mul_f64 v[102:103], v[98:99], v[102:103]
	s_waitcnt vmcnt(0)
	v_fma_f64 v[98:99], v[98:99], v[104:105], -v[106:107]
	v_fma_f64 v[100:101], v[100:101], v[104:105], v[102:103]
	v_add_f64 v[3:4], v[3:4], v[98:99]
	v_add_f64 v[1:2], v[1:2], v[100:101]
	s_andn2_b32 exec_lo, exec_lo, s5
	s_cbranch_execnz .LBB106_145
; %bb.146:
	s_or_b32 exec_lo, exec_lo, s5
	v_mov_b32_e32 v93, 0
	ds_read_b128 v[93:96], v93 offset:528
	s_waitcnt lgkmcnt(0)
	v_mul_f64 v[98:99], v[1:2], v[95:96]
	v_mul_f64 v[95:96], v[3:4], v[95:96]
	v_fma_f64 v[3:4], v[3:4], v[93:94], -v[98:99]
	v_fma_f64 v[1:2], v[1:2], v[93:94], v[95:96]
	buffer_store_dword v4, off, s[0:3], 0 offset:548
	buffer_store_dword v3, off, s[0:3], 0 offset:544
	;; [unrolled: 1-line block ×4, first 2 shown]
.LBB106_147:
	s_or_b32 exec_lo, exec_lo, s4
	v_mov_b32_e32 v4, s20
	s_waitcnt_vscnt null, 0x0
	s_barrier
	buffer_gl0_inv
	s_mov_b32 s4, exec_lo
	s_clause 0x3
	buffer_load_dword v1, v4, s[0:3], 0 offen
	buffer_load_dword v2, v4, s[0:3], 0 offen offset:4
	buffer_load_dword v3, v4, s[0:3], 0 offen offset:8
	;; [unrolled: 1-line block ×3, first 2 shown]
	s_waitcnt vmcnt(0)
	ds_write_b128 v91, v[1:4]
	s_waitcnt lgkmcnt(0)
	s_barrier
	buffer_gl0_inv
	v_cmpx_gt_u32_e32 34, v0
	s_cbranch_execz .LBB106_151
; %bb.148:
	v_mov_b32_e32 v1, 0
	v_mov_b32_e32 v3, 0
	v_add_nc_u32_e32 v93, -1, v0
	v_add_nc_u32_e32 v94, 0x2b0, v97
	v_mov_b32_e32 v2, 0
	v_mov_b32_e32 v4, 0
	v_add_nc_u32_e32 v95, 16, v97
	s_mov_b32 s5, 0
	.p2align	6
.LBB106_149:                            ; =>This Inner Loop Header: Depth=1
	s_clause 0x3
	buffer_load_dword v102, v95, s[0:3], 0 offen offset:8
	buffer_load_dword v103, v95, s[0:3], 0 offen offset:12
	buffer_load_dword v104, v95, s[0:3], 0 offen
	buffer_load_dword v105, v95, s[0:3], 0 offen offset:4
	ds_read_b128 v[98:101], v94
	v_add_nc_u32_e32 v93, 1, v93
	v_add_nc_u32_e32 v94, 16, v94
	;; [unrolled: 1-line block ×3, first 2 shown]
	v_cmp_lt_u32_e32 vcc_lo, 32, v93
	s_or_b32 s5, vcc_lo, s5
	s_waitcnt vmcnt(2) lgkmcnt(0)
	v_mul_f64 v[106:107], v[100:101], v[102:103]
	v_mul_f64 v[102:103], v[98:99], v[102:103]
	s_waitcnt vmcnt(0)
	v_fma_f64 v[98:99], v[98:99], v[104:105], -v[106:107]
	v_fma_f64 v[100:101], v[100:101], v[104:105], v[102:103]
	v_add_f64 v[3:4], v[3:4], v[98:99]
	v_add_f64 v[1:2], v[1:2], v[100:101]
	s_andn2_b32 exec_lo, exec_lo, s5
	s_cbranch_execnz .LBB106_149
; %bb.150:
	s_or_b32 exec_lo, exec_lo, s5
	v_mov_b32_e32 v93, 0
	ds_read_b128 v[93:96], v93 offset:544
	s_waitcnt lgkmcnt(0)
	v_mul_f64 v[98:99], v[1:2], v[95:96]
	v_mul_f64 v[95:96], v[3:4], v[95:96]
	v_fma_f64 v[3:4], v[3:4], v[93:94], -v[98:99]
	v_fma_f64 v[1:2], v[1:2], v[93:94], v[95:96]
	buffer_store_dword v4, off, s[0:3], 0 offset:564
	buffer_store_dword v3, off, s[0:3], 0 offset:560
	;; [unrolled: 1-line block ×4, first 2 shown]
.LBB106_151:
	s_or_b32 exec_lo, exec_lo, s4
	v_mov_b32_e32 v4, s19
	s_waitcnt_vscnt null, 0x0
	s_barrier
	buffer_gl0_inv
	s_mov_b32 s4, exec_lo
	s_clause 0x3
	buffer_load_dword v1, v4, s[0:3], 0 offen
	buffer_load_dword v2, v4, s[0:3], 0 offen offset:4
	buffer_load_dword v3, v4, s[0:3], 0 offen offset:8
	;; [unrolled: 1-line block ×3, first 2 shown]
	s_waitcnt vmcnt(0)
	ds_write_b128 v91, v[1:4]
	s_waitcnt lgkmcnt(0)
	s_barrier
	buffer_gl0_inv
	v_cmpx_gt_u32_e32 35, v0
	s_cbranch_execz .LBB106_155
; %bb.152:
	v_mov_b32_e32 v1, 0
	v_mov_b32_e32 v3, 0
	v_add_nc_u32_e32 v93, -1, v0
	v_add_nc_u32_e32 v94, 0x2b0, v97
	v_mov_b32_e32 v2, 0
	v_mov_b32_e32 v4, 0
	v_add_nc_u32_e32 v95, 16, v97
	s_mov_b32 s5, 0
	.p2align	6
.LBB106_153:                            ; =>This Inner Loop Header: Depth=1
	s_clause 0x3
	buffer_load_dword v102, v95, s[0:3], 0 offen offset:8
	buffer_load_dword v103, v95, s[0:3], 0 offen offset:12
	buffer_load_dword v104, v95, s[0:3], 0 offen
	buffer_load_dword v105, v95, s[0:3], 0 offen offset:4
	ds_read_b128 v[98:101], v94
	v_add_nc_u32_e32 v93, 1, v93
	v_add_nc_u32_e32 v94, 16, v94
	;; [unrolled: 1-line block ×3, first 2 shown]
	v_cmp_lt_u32_e32 vcc_lo, 33, v93
	s_or_b32 s5, vcc_lo, s5
	s_waitcnt vmcnt(2) lgkmcnt(0)
	v_mul_f64 v[106:107], v[100:101], v[102:103]
	v_mul_f64 v[102:103], v[98:99], v[102:103]
	s_waitcnt vmcnt(0)
	v_fma_f64 v[98:99], v[98:99], v[104:105], -v[106:107]
	v_fma_f64 v[100:101], v[100:101], v[104:105], v[102:103]
	v_add_f64 v[3:4], v[3:4], v[98:99]
	v_add_f64 v[1:2], v[1:2], v[100:101]
	s_andn2_b32 exec_lo, exec_lo, s5
	s_cbranch_execnz .LBB106_153
; %bb.154:
	s_or_b32 exec_lo, exec_lo, s5
	v_mov_b32_e32 v93, 0
	ds_read_b128 v[93:96], v93 offset:560
	s_waitcnt lgkmcnt(0)
	v_mul_f64 v[98:99], v[1:2], v[95:96]
	v_mul_f64 v[95:96], v[3:4], v[95:96]
	v_fma_f64 v[3:4], v[3:4], v[93:94], -v[98:99]
	v_fma_f64 v[1:2], v[1:2], v[93:94], v[95:96]
	buffer_store_dword v4, off, s[0:3], 0 offset:580
	buffer_store_dword v3, off, s[0:3], 0 offset:576
	;; [unrolled: 1-line block ×4, first 2 shown]
.LBB106_155:
	s_or_b32 exec_lo, exec_lo, s4
	v_mov_b32_e32 v4, s18
	s_waitcnt_vscnt null, 0x0
	s_barrier
	buffer_gl0_inv
	s_mov_b32 s4, exec_lo
	s_clause 0x3
	buffer_load_dword v1, v4, s[0:3], 0 offen
	buffer_load_dword v2, v4, s[0:3], 0 offen offset:4
	buffer_load_dword v3, v4, s[0:3], 0 offen offset:8
	;; [unrolled: 1-line block ×3, first 2 shown]
	s_waitcnt vmcnt(0)
	ds_write_b128 v91, v[1:4]
	s_waitcnt lgkmcnt(0)
	s_barrier
	buffer_gl0_inv
	v_cmpx_gt_u32_e32 36, v0
	s_cbranch_execz .LBB106_159
; %bb.156:
	v_mov_b32_e32 v1, 0
	v_mov_b32_e32 v3, 0
	v_add_nc_u32_e32 v93, -1, v0
	v_add_nc_u32_e32 v94, 0x2b0, v97
	v_mov_b32_e32 v2, 0
	v_mov_b32_e32 v4, 0
	v_add_nc_u32_e32 v95, 16, v97
	s_mov_b32 s5, 0
	.p2align	6
.LBB106_157:                            ; =>This Inner Loop Header: Depth=1
	s_clause 0x3
	buffer_load_dword v102, v95, s[0:3], 0 offen offset:8
	buffer_load_dword v103, v95, s[0:3], 0 offen offset:12
	buffer_load_dword v104, v95, s[0:3], 0 offen
	buffer_load_dword v105, v95, s[0:3], 0 offen offset:4
	ds_read_b128 v[98:101], v94
	v_add_nc_u32_e32 v93, 1, v93
	v_add_nc_u32_e32 v94, 16, v94
	;; [unrolled: 1-line block ×3, first 2 shown]
	v_cmp_lt_u32_e32 vcc_lo, 34, v93
	s_or_b32 s5, vcc_lo, s5
	s_waitcnt vmcnt(2) lgkmcnt(0)
	v_mul_f64 v[106:107], v[100:101], v[102:103]
	v_mul_f64 v[102:103], v[98:99], v[102:103]
	s_waitcnt vmcnt(0)
	v_fma_f64 v[98:99], v[98:99], v[104:105], -v[106:107]
	v_fma_f64 v[100:101], v[100:101], v[104:105], v[102:103]
	v_add_f64 v[3:4], v[3:4], v[98:99]
	v_add_f64 v[1:2], v[1:2], v[100:101]
	s_andn2_b32 exec_lo, exec_lo, s5
	s_cbranch_execnz .LBB106_157
; %bb.158:
	s_or_b32 exec_lo, exec_lo, s5
	v_mov_b32_e32 v93, 0
	ds_read_b128 v[93:96], v93 offset:576
	s_waitcnt lgkmcnt(0)
	v_mul_f64 v[98:99], v[1:2], v[95:96]
	v_mul_f64 v[95:96], v[3:4], v[95:96]
	v_fma_f64 v[3:4], v[3:4], v[93:94], -v[98:99]
	v_fma_f64 v[1:2], v[1:2], v[93:94], v[95:96]
	buffer_store_dword v4, off, s[0:3], 0 offset:596
	buffer_store_dword v3, off, s[0:3], 0 offset:592
	;; [unrolled: 1-line block ×4, first 2 shown]
.LBB106_159:
	s_or_b32 exec_lo, exec_lo, s4
	v_mov_b32_e32 v4, s17
	s_waitcnt_vscnt null, 0x0
	s_barrier
	buffer_gl0_inv
	s_mov_b32 s4, exec_lo
	s_clause 0x3
	buffer_load_dword v1, v4, s[0:3], 0 offen
	buffer_load_dword v2, v4, s[0:3], 0 offen offset:4
	buffer_load_dword v3, v4, s[0:3], 0 offen offset:8
	;; [unrolled: 1-line block ×3, first 2 shown]
	s_waitcnt vmcnt(0)
	ds_write_b128 v91, v[1:4]
	s_waitcnt lgkmcnt(0)
	s_barrier
	buffer_gl0_inv
	v_cmpx_gt_u32_e32 37, v0
	s_cbranch_execz .LBB106_163
; %bb.160:
	v_mov_b32_e32 v1, 0
	v_mov_b32_e32 v3, 0
	v_add_nc_u32_e32 v93, -1, v0
	v_add_nc_u32_e32 v94, 0x2b0, v97
	v_mov_b32_e32 v2, 0
	v_mov_b32_e32 v4, 0
	v_add_nc_u32_e32 v95, 16, v97
	s_mov_b32 s5, 0
	.p2align	6
.LBB106_161:                            ; =>This Inner Loop Header: Depth=1
	s_clause 0x3
	buffer_load_dword v102, v95, s[0:3], 0 offen offset:8
	buffer_load_dword v103, v95, s[0:3], 0 offen offset:12
	buffer_load_dword v104, v95, s[0:3], 0 offen
	buffer_load_dword v105, v95, s[0:3], 0 offen offset:4
	ds_read_b128 v[98:101], v94
	v_add_nc_u32_e32 v93, 1, v93
	v_add_nc_u32_e32 v94, 16, v94
	v_add_nc_u32_e32 v95, 16, v95
	v_cmp_lt_u32_e32 vcc_lo, 35, v93
	s_or_b32 s5, vcc_lo, s5
	s_waitcnt vmcnt(2) lgkmcnt(0)
	v_mul_f64 v[106:107], v[100:101], v[102:103]
	v_mul_f64 v[102:103], v[98:99], v[102:103]
	s_waitcnt vmcnt(0)
	v_fma_f64 v[98:99], v[98:99], v[104:105], -v[106:107]
	v_fma_f64 v[100:101], v[100:101], v[104:105], v[102:103]
	v_add_f64 v[3:4], v[3:4], v[98:99]
	v_add_f64 v[1:2], v[1:2], v[100:101]
	s_andn2_b32 exec_lo, exec_lo, s5
	s_cbranch_execnz .LBB106_161
; %bb.162:
	s_or_b32 exec_lo, exec_lo, s5
	v_mov_b32_e32 v93, 0
	ds_read_b128 v[93:96], v93 offset:592
	s_waitcnt lgkmcnt(0)
	v_mul_f64 v[98:99], v[1:2], v[95:96]
	v_mul_f64 v[95:96], v[3:4], v[95:96]
	v_fma_f64 v[3:4], v[3:4], v[93:94], -v[98:99]
	v_fma_f64 v[1:2], v[1:2], v[93:94], v[95:96]
	buffer_store_dword v4, off, s[0:3], 0 offset:612
	buffer_store_dword v3, off, s[0:3], 0 offset:608
	;; [unrolled: 1-line block ×4, first 2 shown]
.LBB106_163:
	s_or_b32 exec_lo, exec_lo, s4
	v_mov_b32_e32 v4, s16
	s_waitcnt_vscnt null, 0x0
	s_barrier
	buffer_gl0_inv
	s_mov_b32 s4, exec_lo
	s_clause 0x3
	buffer_load_dword v1, v4, s[0:3], 0 offen
	buffer_load_dword v2, v4, s[0:3], 0 offen offset:4
	buffer_load_dword v3, v4, s[0:3], 0 offen offset:8
	buffer_load_dword v4, v4, s[0:3], 0 offen offset:12
	s_waitcnt vmcnt(0)
	ds_write_b128 v91, v[1:4]
	s_waitcnt lgkmcnt(0)
	s_barrier
	buffer_gl0_inv
	v_cmpx_gt_u32_e32 38, v0
	s_cbranch_execz .LBB106_167
; %bb.164:
	v_mov_b32_e32 v1, 0
	v_mov_b32_e32 v3, 0
	v_add_nc_u32_e32 v93, -1, v0
	v_add_nc_u32_e32 v94, 0x2b0, v97
	v_mov_b32_e32 v2, 0
	v_mov_b32_e32 v4, 0
	v_add_nc_u32_e32 v95, 16, v97
	s_mov_b32 s5, 0
	.p2align	6
.LBB106_165:                            ; =>This Inner Loop Header: Depth=1
	s_clause 0x3
	buffer_load_dword v102, v95, s[0:3], 0 offen offset:8
	buffer_load_dword v103, v95, s[0:3], 0 offen offset:12
	buffer_load_dword v104, v95, s[0:3], 0 offen
	buffer_load_dword v105, v95, s[0:3], 0 offen offset:4
	ds_read_b128 v[98:101], v94
	v_add_nc_u32_e32 v93, 1, v93
	v_add_nc_u32_e32 v94, 16, v94
	;; [unrolled: 1-line block ×3, first 2 shown]
	v_cmp_lt_u32_e32 vcc_lo, 36, v93
	s_or_b32 s5, vcc_lo, s5
	s_waitcnt vmcnt(2) lgkmcnt(0)
	v_mul_f64 v[106:107], v[100:101], v[102:103]
	v_mul_f64 v[102:103], v[98:99], v[102:103]
	s_waitcnt vmcnt(0)
	v_fma_f64 v[98:99], v[98:99], v[104:105], -v[106:107]
	v_fma_f64 v[100:101], v[100:101], v[104:105], v[102:103]
	v_add_f64 v[3:4], v[3:4], v[98:99]
	v_add_f64 v[1:2], v[1:2], v[100:101]
	s_andn2_b32 exec_lo, exec_lo, s5
	s_cbranch_execnz .LBB106_165
; %bb.166:
	s_or_b32 exec_lo, exec_lo, s5
	v_mov_b32_e32 v93, 0
	ds_read_b128 v[93:96], v93 offset:608
	s_waitcnt lgkmcnt(0)
	v_mul_f64 v[98:99], v[1:2], v[95:96]
	v_mul_f64 v[95:96], v[3:4], v[95:96]
	v_fma_f64 v[3:4], v[3:4], v[93:94], -v[98:99]
	v_fma_f64 v[1:2], v[1:2], v[93:94], v[95:96]
	buffer_store_dword v4, off, s[0:3], 0 offset:628
	buffer_store_dword v3, off, s[0:3], 0 offset:624
	;; [unrolled: 1-line block ×4, first 2 shown]
.LBB106_167:
	s_or_b32 exec_lo, exec_lo, s4
	v_mov_b32_e32 v4, s15
	s_waitcnt_vscnt null, 0x0
	s_barrier
	buffer_gl0_inv
	s_mov_b32 s4, exec_lo
	s_clause 0x3
	buffer_load_dword v1, v4, s[0:3], 0 offen
	buffer_load_dword v2, v4, s[0:3], 0 offen offset:4
	buffer_load_dword v3, v4, s[0:3], 0 offen offset:8
	;; [unrolled: 1-line block ×3, first 2 shown]
	s_waitcnt vmcnt(0)
	ds_write_b128 v91, v[1:4]
	s_waitcnt lgkmcnt(0)
	s_barrier
	buffer_gl0_inv
	v_cmpx_gt_u32_e32 39, v0
	s_cbranch_execz .LBB106_171
; %bb.168:
	v_mov_b32_e32 v1, 0
	v_mov_b32_e32 v3, 0
	v_add_nc_u32_e32 v93, -1, v0
	v_add_nc_u32_e32 v94, 0x2b0, v97
	v_mov_b32_e32 v2, 0
	v_mov_b32_e32 v4, 0
	v_add_nc_u32_e32 v95, 16, v97
	s_mov_b32 s5, 0
	.p2align	6
.LBB106_169:                            ; =>This Inner Loop Header: Depth=1
	s_clause 0x3
	buffer_load_dword v102, v95, s[0:3], 0 offen offset:8
	buffer_load_dword v103, v95, s[0:3], 0 offen offset:12
	buffer_load_dword v104, v95, s[0:3], 0 offen
	buffer_load_dword v105, v95, s[0:3], 0 offen offset:4
	ds_read_b128 v[98:101], v94
	v_add_nc_u32_e32 v93, 1, v93
	v_add_nc_u32_e32 v94, 16, v94
	;; [unrolled: 1-line block ×3, first 2 shown]
	v_cmp_lt_u32_e32 vcc_lo, 37, v93
	s_or_b32 s5, vcc_lo, s5
	s_waitcnt vmcnt(2) lgkmcnt(0)
	v_mul_f64 v[106:107], v[100:101], v[102:103]
	v_mul_f64 v[102:103], v[98:99], v[102:103]
	s_waitcnt vmcnt(0)
	v_fma_f64 v[98:99], v[98:99], v[104:105], -v[106:107]
	v_fma_f64 v[100:101], v[100:101], v[104:105], v[102:103]
	v_add_f64 v[3:4], v[3:4], v[98:99]
	v_add_f64 v[1:2], v[1:2], v[100:101]
	s_andn2_b32 exec_lo, exec_lo, s5
	s_cbranch_execnz .LBB106_169
; %bb.170:
	s_or_b32 exec_lo, exec_lo, s5
	v_mov_b32_e32 v93, 0
	ds_read_b128 v[93:96], v93 offset:624
	s_waitcnt lgkmcnt(0)
	v_mul_f64 v[98:99], v[1:2], v[95:96]
	v_mul_f64 v[95:96], v[3:4], v[95:96]
	v_fma_f64 v[3:4], v[3:4], v[93:94], -v[98:99]
	v_fma_f64 v[1:2], v[1:2], v[93:94], v[95:96]
	buffer_store_dword v4, off, s[0:3], 0 offset:644
	buffer_store_dword v3, off, s[0:3], 0 offset:640
	;; [unrolled: 1-line block ×4, first 2 shown]
.LBB106_171:
	s_or_b32 exec_lo, exec_lo, s4
	v_mov_b32_e32 v4, s14
	s_waitcnt_vscnt null, 0x0
	s_barrier
	buffer_gl0_inv
	s_mov_b32 s4, exec_lo
	s_clause 0x3
	buffer_load_dword v1, v4, s[0:3], 0 offen
	buffer_load_dword v2, v4, s[0:3], 0 offen offset:4
	buffer_load_dword v3, v4, s[0:3], 0 offen offset:8
	;; [unrolled: 1-line block ×3, first 2 shown]
	s_waitcnt vmcnt(0)
	ds_write_b128 v91, v[1:4]
	s_waitcnt lgkmcnt(0)
	s_barrier
	buffer_gl0_inv
	v_cmpx_gt_u32_e32 40, v0
	s_cbranch_execz .LBB106_175
; %bb.172:
	v_mov_b32_e32 v1, 0
	v_mov_b32_e32 v3, 0
	v_add_nc_u32_e32 v93, -1, v0
	v_add_nc_u32_e32 v94, 0x2b0, v97
	v_mov_b32_e32 v2, 0
	v_mov_b32_e32 v4, 0
	v_add_nc_u32_e32 v95, 16, v97
	s_mov_b32 s5, 0
	.p2align	6
.LBB106_173:                            ; =>This Inner Loop Header: Depth=1
	s_clause 0x3
	buffer_load_dword v102, v95, s[0:3], 0 offen offset:8
	buffer_load_dword v103, v95, s[0:3], 0 offen offset:12
	buffer_load_dword v104, v95, s[0:3], 0 offen
	buffer_load_dword v105, v95, s[0:3], 0 offen offset:4
	ds_read_b128 v[98:101], v94
	v_add_nc_u32_e32 v93, 1, v93
	v_add_nc_u32_e32 v94, 16, v94
	;; [unrolled: 1-line block ×3, first 2 shown]
	v_cmp_lt_u32_e32 vcc_lo, 38, v93
	s_or_b32 s5, vcc_lo, s5
	s_waitcnt vmcnt(2) lgkmcnt(0)
	v_mul_f64 v[106:107], v[100:101], v[102:103]
	v_mul_f64 v[102:103], v[98:99], v[102:103]
	s_waitcnt vmcnt(0)
	v_fma_f64 v[98:99], v[98:99], v[104:105], -v[106:107]
	v_fma_f64 v[100:101], v[100:101], v[104:105], v[102:103]
	v_add_f64 v[3:4], v[3:4], v[98:99]
	v_add_f64 v[1:2], v[1:2], v[100:101]
	s_andn2_b32 exec_lo, exec_lo, s5
	s_cbranch_execnz .LBB106_173
; %bb.174:
	s_or_b32 exec_lo, exec_lo, s5
	v_mov_b32_e32 v93, 0
	ds_read_b128 v[93:96], v93 offset:640
	s_waitcnt lgkmcnt(0)
	v_mul_f64 v[98:99], v[1:2], v[95:96]
	v_mul_f64 v[95:96], v[3:4], v[95:96]
	v_fma_f64 v[3:4], v[3:4], v[93:94], -v[98:99]
	v_fma_f64 v[1:2], v[1:2], v[93:94], v[95:96]
	buffer_store_dword v4, off, s[0:3], 0 offset:660
	buffer_store_dword v3, off, s[0:3], 0 offset:656
	;; [unrolled: 1-line block ×4, first 2 shown]
.LBB106_175:
	s_or_b32 exec_lo, exec_lo, s4
	v_mov_b32_e32 v4, s9
	s_waitcnt_vscnt null, 0x0
	s_barrier
	buffer_gl0_inv
	s_mov_b32 s4, exec_lo
	s_clause 0x3
	buffer_load_dword v1, v4, s[0:3], 0 offen
	buffer_load_dword v2, v4, s[0:3], 0 offen offset:4
	buffer_load_dword v3, v4, s[0:3], 0 offen offset:8
	;; [unrolled: 1-line block ×3, first 2 shown]
	s_waitcnt vmcnt(0)
	ds_write_b128 v91, v[1:4]
	s_waitcnt lgkmcnt(0)
	s_barrier
	buffer_gl0_inv
	v_cmpx_gt_u32_e32 41, v0
	s_cbranch_execz .LBB106_179
; %bb.176:
	v_mov_b32_e32 v1, 0
	v_mov_b32_e32 v3, 0
	v_add_nc_u32_e32 v93, -1, v0
	v_add_nc_u32_e32 v94, 0x2b0, v97
	v_mov_b32_e32 v2, 0
	v_mov_b32_e32 v4, 0
	v_add_nc_u32_e32 v95, 16, v97
	s_mov_b32 s5, 0
	.p2align	6
.LBB106_177:                            ; =>This Inner Loop Header: Depth=1
	s_clause 0x3
	buffer_load_dword v102, v95, s[0:3], 0 offen offset:8
	buffer_load_dword v103, v95, s[0:3], 0 offen offset:12
	buffer_load_dword v104, v95, s[0:3], 0 offen
	buffer_load_dword v105, v95, s[0:3], 0 offen offset:4
	ds_read_b128 v[98:101], v94
	v_add_nc_u32_e32 v93, 1, v93
	v_add_nc_u32_e32 v94, 16, v94
	;; [unrolled: 1-line block ×3, first 2 shown]
	v_cmp_lt_u32_e32 vcc_lo, 39, v93
	s_or_b32 s5, vcc_lo, s5
	s_waitcnt vmcnt(2) lgkmcnt(0)
	v_mul_f64 v[106:107], v[100:101], v[102:103]
	v_mul_f64 v[102:103], v[98:99], v[102:103]
	s_waitcnt vmcnt(0)
	v_fma_f64 v[98:99], v[98:99], v[104:105], -v[106:107]
	v_fma_f64 v[100:101], v[100:101], v[104:105], v[102:103]
	v_add_f64 v[3:4], v[3:4], v[98:99]
	v_add_f64 v[1:2], v[1:2], v[100:101]
	s_andn2_b32 exec_lo, exec_lo, s5
	s_cbranch_execnz .LBB106_177
; %bb.178:
	s_or_b32 exec_lo, exec_lo, s5
	v_mov_b32_e32 v93, 0
	ds_read_b128 v[93:96], v93 offset:656
	s_waitcnt lgkmcnt(0)
	v_mul_f64 v[98:99], v[1:2], v[95:96]
	v_mul_f64 v[95:96], v[3:4], v[95:96]
	v_fma_f64 v[3:4], v[3:4], v[93:94], -v[98:99]
	v_fma_f64 v[1:2], v[1:2], v[93:94], v[95:96]
	buffer_store_dword v4, off, s[0:3], 0 offset:676
	buffer_store_dword v3, off, s[0:3], 0 offset:672
	;; [unrolled: 1-line block ×4, first 2 shown]
.LBB106_179:
	s_or_b32 exec_lo, exec_lo, s4
	v_mov_b32_e32 v4, s8
	s_waitcnt_vscnt null, 0x0
	s_barrier
	buffer_gl0_inv
	s_mov_b32 s4, exec_lo
	s_clause 0x3
	buffer_load_dword v1, v4, s[0:3], 0 offen
	buffer_load_dword v2, v4, s[0:3], 0 offen offset:4
	buffer_load_dword v3, v4, s[0:3], 0 offen offset:8
	;; [unrolled: 1-line block ×3, first 2 shown]
	s_waitcnt vmcnt(0)
	ds_write_b128 v91, v[1:4]
	s_waitcnt lgkmcnt(0)
	s_barrier
	buffer_gl0_inv
	v_cmpx_ne_u32_e32 42, v0
	s_cbranch_execz .LBB106_183
; %bb.180:
	v_mov_b32_e32 v1, 0
	v_mov_b32_e32 v3, 0
	;; [unrolled: 1-line block ×4, first 2 shown]
	v_add_nc_u32_e32 v93, 16, v97
	s_mov_b32 s5, 0
	.p2align	6
.LBB106_181:                            ; =>This Inner Loop Header: Depth=1
	s_clause 0x3
	buffer_load_dword v98, v93, s[0:3], 0 offen offset:8
	buffer_load_dword v99, v93, s[0:3], 0 offen offset:12
	buffer_load_dword v100, v93, s[0:3], 0 offen
	buffer_load_dword v101, v93, s[0:3], 0 offen offset:4
	ds_read_b128 v[94:97], v91
	v_add_nc_u32_e32 v92, 1, v92
	v_add_nc_u32_e32 v91, 16, v91
	;; [unrolled: 1-line block ×3, first 2 shown]
	v_cmp_lt_u32_e32 vcc_lo, 40, v92
	s_or_b32 s5, vcc_lo, s5
	s_waitcnt vmcnt(2) lgkmcnt(0)
	v_mul_f64 v[102:103], v[96:97], v[98:99]
	v_mul_f64 v[98:99], v[94:95], v[98:99]
	s_waitcnt vmcnt(0)
	v_fma_f64 v[94:95], v[94:95], v[100:101], -v[102:103]
	v_fma_f64 v[96:97], v[96:97], v[100:101], v[98:99]
	v_add_f64 v[3:4], v[3:4], v[94:95]
	v_add_f64 v[1:2], v[1:2], v[96:97]
	s_andn2_b32 exec_lo, exec_lo, s5
	s_cbranch_execnz .LBB106_181
; %bb.182:
	s_or_b32 exec_lo, exec_lo, s5
	v_mov_b32_e32 v91, 0
	ds_read_b128 v[91:94], v91 offset:672
	s_waitcnt lgkmcnt(0)
	v_mul_f64 v[95:96], v[1:2], v[93:94]
	v_mul_f64 v[93:94], v[3:4], v[93:94]
	v_fma_f64 v[3:4], v[3:4], v[91:92], -v[95:96]
	v_fma_f64 v[1:2], v[1:2], v[91:92], v[93:94]
	buffer_store_dword v4, off, s[0:3], 0 offset:692
	buffer_store_dword v3, off, s[0:3], 0 offset:688
	;; [unrolled: 1-line block ×4, first 2 shown]
.LBB106_183:
	s_or_b32 exec_lo, exec_lo, s4
	s_mov_b32 s5, -1
	s_waitcnt_vscnt null, 0x0
	s_barrier
	buffer_gl0_inv
.LBB106_184:
	s_and_b32 vcc_lo, exec_lo, s5
	s_cbranch_vccz .LBB106_186
; %bb.185:
	s_lshl_b64 s[4:5], s[6:7], 2
	v_mov_b32_e32 v1, 0
	s_add_u32 s4, s10, s4
	s_addc_u32 s5, s11, s5
	global_load_dword v1, v1, s[4:5]
	s_waitcnt vmcnt(0)
	v_cmp_ne_u32_e32 vcc_lo, 0, v1
	s_cbranch_vccz .LBB106_187
.LBB106_186:
	s_endpgm
.LBB106_187:
	v_lshl_add_u32 v147, v0, 4, 0x2b0
	s_mov_b32 s4, exec_lo
	v_cmpx_eq_u32_e32 42, v0
	s_cbranch_execz .LBB106_189
; %bb.188:
	v_mov_b32_e32 v4, s9
	v_mov_b32_e32 v91, 0
	s_clause 0x3
	buffer_load_dword v1, v4, s[0:3], 0 offen
	buffer_load_dword v2, v4, s[0:3], 0 offen offset:4
	buffer_load_dword v3, v4, s[0:3], 0 offen offset:8
	buffer_load_dword v4, v4, s[0:3], 0 offen offset:12
	buffer_store_dword v91, off, s[0:3], 0 offset:672
	buffer_store_dword v91, off, s[0:3], 0 offset:676
	;; [unrolled: 1-line block ×4, first 2 shown]
	s_waitcnt vmcnt(0)
	ds_write_b128 v147, v[1:4]
.LBB106_189:
	s_or_b32 exec_lo, exec_lo, s4
	s_waitcnt lgkmcnt(0)
	s_waitcnt_vscnt null, 0x0
	s_barrier
	buffer_gl0_inv
	s_clause 0x7
	buffer_load_dword v2, off, s[0:3], 0 offset:696
	buffer_load_dword v3, off, s[0:3], 0 offset:700
	;; [unrolled: 1-line block ×8, first 2 shown]
	v_mov_b32_e32 v1, 0
	s_mov_b32 s4, exec_lo
	ds_read_b128 v[91:94], v1 offset:1360
	s_waitcnt vmcnt(6) lgkmcnt(0)
	v_mul_f64 v[101:102], v[93:94], v[2:3]
	v_mul_f64 v[2:3], v[91:92], v[2:3]
	s_waitcnt vmcnt(4)
	v_fma_f64 v[91:92], v[91:92], v[95:96], -v[101:102]
	v_fma_f64 v[2:3], v[93:94], v[95:96], v[2:3]
	v_add_f64 v[91:92], v[91:92], 0
	v_add_f64 v[2:3], v[2:3], 0
	s_waitcnt vmcnt(2)
	v_add_f64 v[91:92], v[97:98], -v[91:92]
	s_waitcnt vmcnt(0)
	v_add_f64 v[2:3], v[99:100], -v[2:3]
	buffer_store_dword v91, off, s[0:3], 0 offset:672
	buffer_store_dword v92, off, s[0:3], 0 offset:676
	;; [unrolled: 1-line block ×4, first 2 shown]
	v_cmpx_lt_u32_e32 40, v0
	s_cbranch_execz .LBB106_191
; %bb.190:
	v_mov_b32_e32 v2, s14
	s_clause 0x3
	buffer_load_dword v91, v2, s[0:3], 0 offen
	buffer_load_dword v92, v2, s[0:3], 0 offen offset:4
	buffer_load_dword v93, v2, s[0:3], 0 offen offset:8
	;; [unrolled: 1-line block ×3, first 2 shown]
	buffer_store_dword v1, off, s[0:3], 0 offset:656
	buffer_store_dword v1, off, s[0:3], 0 offset:660
	;; [unrolled: 1-line block ×4, first 2 shown]
	s_waitcnt vmcnt(0)
	ds_write_b128 v147, v[91:94]
.LBB106_191:
	s_or_b32 exec_lo, exec_lo, s4
	s_waitcnt lgkmcnt(0)
	s_waitcnt_vscnt null, 0x0
	s_barrier
	buffer_gl0_inv
	s_clause 0xb
	buffer_load_dword v95, off, s[0:3], 0 offset:680
	buffer_load_dword v96, off, s[0:3], 0 offset:684
	;; [unrolled: 1-line block ×12, first 2 shown]
	ds_read_b128 v[91:94], v1 offset:1344
	ds_read_b128 v[1:4], v1 offset:1360
	s_mov_b32 s4, exec_lo
	s_waitcnt vmcnt(10) lgkmcnt(1)
	v_mul_f64 v[107:108], v[93:94], v[95:96]
	v_mul_f64 v[95:96], v[91:92], v[95:96]
	s_waitcnt vmcnt(8) lgkmcnt(0)
	v_mul_f64 v[109:110], v[3:4], v[97:98]
	v_mul_f64 v[97:98], v[1:2], v[97:98]
	s_waitcnt vmcnt(6)
	v_fma_f64 v[91:92], v[91:92], v[99:100], -v[107:108]
	v_fma_f64 v[93:94], v[93:94], v[99:100], v[95:96]
	s_waitcnt vmcnt(4)
	v_fma_f64 v[1:2], v[1:2], v[101:102], -v[109:110]
	v_fma_f64 v[3:4], v[3:4], v[101:102], v[97:98]
	v_add_f64 v[91:92], v[91:92], 0
	v_add_f64 v[93:94], v[93:94], 0
	;; [unrolled: 1-line block ×4, first 2 shown]
	s_waitcnt vmcnt(2)
	v_add_f64 v[1:2], v[103:104], -v[1:2]
	s_waitcnt vmcnt(0)
	v_add_f64 v[3:4], v[105:106], -v[3:4]
	buffer_store_dword v1, off, s[0:3], 0 offset:656
	buffer_store_dword v2, off, s[0:3], 0 offset:660
	;; [unrolled: 1-line block ×4, first 2 shown]
	v_cmpx_lt_u32_e32 39, v0
	s_cbranch_execz .LBB106_193
; %bb.192:
	v_mov_b32_e32 v4, s15
	v_mov_b32_e32 v91, 0
	s_clause 0x3
	buffer_load_dword v1, v4, s[0:3], 0 offen
	buffer_load_dword v2, v4, s[0:3], 0 offen offset:4
	buffer_load_dword v3, v4, s[0:3], 0 offen offset:8
	;; [unrolled: 1-line block ×3, first 2 shown]
	buffer_store_dword v91, off, s[0:3], 0 offset:640
	buffer_store_dword v91, off, s[0:3], 0 offset:644
	;; [unrolled: 1-line block ×4, first 2 shown]
	s_waitcnt vmcnt(0)
	ds_write_b128 v147, v[1:4]
.LBB106_193:
	s_or_b32 exec_lo, exec_lo, s4
	s_waitcnt lgkmcnt(0)
	s_waitcnt_vscnt null, 0x0
	s_barrier
	buffer_gl0_inv
	s_clause 0xf
	buffer_load_dword v2, off, s[0:3], 0 offset:664
	buffer_load_dword v3, off, s[0:3], 0 offset:668
	buffer_load_dword v103, off, s[0:3], 0 offset:680
	buffer_load_dword v104, off, s[0:3], 0 offset:684
	buffer_load_dword v105, off, s[0:3], 0 offset:656
	buffer_load_dword v106, off, s[0:3], 0 offset:660
	buffer_load_dword v107, off, s[0:3], 0 offset:696
	buffer_load_dword v108, off, s[0:3], 0 offset:700
	buffer_load_dword v109, off, s[0:3], 0 offset:672
	buffer_load_dword v110, off, s[0:3], 0 offset:676
	buffer_load_dword v111, off, s[0:3], 0 offset:688
	buffer_load_dword v112, off, s[0:3], 0 offset:692
	buffer_load_dword v113, off, s[0:3], 0 offset:640
	buffer_load_dword v114, off, s[0:3], 0 offset:644
	buffer_load_dword v115, off, s[0:3], 0 offset:648
	buffer_load_dword v116, off, s[0:3], 0 offset:652
	v_mov_b32_e32 v1, 0
	ds_read_b128 v[91:94], v1 offset:1328
	ds_read_b128 v[95:98], v1 offset:1344
	;; [unrolled: 1-line block ×3, first 2 shown]
	s_mov_b32 s4, exec_lo
	s_waitcnt vmcnt(14) lgkmcnt(2)
	v_mul_f64 v[117:118], v[93:94], v[2:3]
	v_mul_f64 v[2:3], v[91:92], v[2:3]
	s_waitcnt vmcnt(12) lgkmcnt(1)
	v_mul_f64 v[119:120], v[97:98], v[103:104]
	v_mul_f64 v[103:104], v[95:96], v[103:104]
	s_waitcnt vmcnt(10)
	v_fma_f64 v[91:92], v[91:92], v[105:106], -v[117:118]
	v_fma_f64 v[2:3], v[93:94], v[105:106], v[2:3]
	s_waitcnt vmcnt(8) lgkmcnt(0)
	v_mul_f64 v[105:106], v[101:102], v[107:108]
	s_waitcnt vmcnt(6)
	v_fma_f64 v[95:96], v[95:96], v[109:110], -v[119:120]
	v_mul_f64 v[93:94], v[99:100], v[107:108]
	v_fma_f64 v[97:98], v[97:98], v[109:110], v[103:104]
	v_add_f64 v[91:92], v[91:92], 0
	v_add_f64 v[2:3], v[2:3], 0
	s_waitcnt vmcnt(4)
	v_fma_f64 v[99:100], v[99:100], v[111:112], -v[105:106]
	v_fma_f64 v[93:94], v[101:102], v[111:112], v[93:94]
	v_add_f64 v[91:92], v[91:92], v[95:96]
	v_add_f64 v[2:3], v[2:3], v[97:98]
	;; [unrolled: 1-line block ×4, first 2 shown]
	s_waitcnt vmcnt(2)
	v_add_f64 v[91:92], v[113:114], -v[91:92]
	s_waitcnt vmcnt(0)
	v_add_f64 v[2:3], v[115:116], -v[2:3]
	buffer_store_dword v91, off, s[0:3], 0 offset:640
	buffer_store_dword v92, off, s[0:3], 0 offset:644
	;; [unrolled: 1-line block ×4, first 2 shown]
	v_cmpx_lt_u32_e32 38, v0
	s_cbranch_execz .LBB106_195
; %bb.194:
	v_mov_b32_e32 v2, s16
	s_clause 0x3
	buffer_load_dword v91, v2, s[0:3], 0 offen
	buffer_load_dword v92, v2, s[0:3], 0 offen offset:4
	buffer_load_dword v93, v2, s[0:3], 0 offen offset:8
	;; [unrolled: 1-line block ×3, first 2 shown]
	buffer_store_dword v1, off, s[0:3], 0 offset:624
	buffer_store_dword v1, off, s[0:3], 0 offset:628
	buffer_store_dword v1, off, s[0:3], 0 offset:632
	buffer_store_dword v1, off, s[0:3], 0 offset:636
	s_waitcnt vmcnt(0)
	ds_write_b128 v147, v[91:94]
.LBB106_195:
	s_or_b32 exec_lo, exec_lo, s4
	s_waitcnt lgkmcnt(0)
	s_waitcnt_vscnt null, 0x0
	s_barrier
	buffer_gl0_inv
	s_clause 0x13
	buffer_load_dword v2, off, s[0:3], 0 offset:648
	buffer_load_dword v3, off, s[0:3], 0 offset:652
	;; [unrolled: 1-line block ×20, first 2 shown]
	ds_read_b128 v[91:94], v1 offset:1312
	ds_read_b128 v[95:98], v1 offset:1328
	;; [unrolled: 1-line block ×3, first 2 shown]
	s_mov_b32 s4, exec_lo
	s_waitcnt vmcnt(18) lgkmcnt(2)
	v_mul_f64 v[121:122], v[93:94], v[2:3]
	v_mul_f64 v[2:3], v[91:92], v[2:3]
	s_waitcnt vmcnt(16) lgkmcnt(1)
	v_mul_f64 v[123:124], v[97:98], v[103:104]
	v_mul_f64 v[103:104], v[95:96], v[103:104]
	s_waitcnt vmcnt(14)
	v_fma_f64 v[91:92], v[91:92], v[105:106], -v[121:122]
	v_fma_f64 v[93:94], v[93:94], v[105:106], v[2:3]
	s_waitcnt vmcnt(12) lgkmcnt(0)
	v_mul_f64 v[105:106], v[99:100], v[107:108]
	v_mul_f64 v[107:108], v[101:102], v[107:108]
	s_waitcnt vmcnt(10)
	v_fma_f64 v[95:96], v[95:96], v[109:110], -v[123:124]
	ds_read_b128 v[1:4], v1 offset:1360
	v_fma_f64 v[97:98], v[97:98], v[109:110], v[103:104]
	v_add_f64 v[91:92], v[91:92], 0
	v_add_f64 v[93:94], v[93:94], 0
	s_waitcnt vmcnt(8) lgkmcnt(0)
	v_mul_f64 v[109:110], v[3:4], v[111:112]
	s_waitcnt vmcnt(6)
	v_fma_f64 v[99:100], v[99:100], v[113:114], -v[107:108]
	v_mul_f64 v[103:104], v[1:2], v[111:112]
	v_add_f64 v[91:92], v[91:92], v[95:96]
	v_fma_f64 v[95:96], v[101:102], v[113:114], v[105:106]
	v_add_f64 v[93:94], v[93:94], v[97:98]
	s_waitcnt vmcnt(4)
	v_fma_f64 v[1:2], v[1:2], v[115:116], -v[109:110]
	v_fma_f64 v[3:4], v[3:4], v[115:116], v[103:104]
	v_add_f64 v[91:92], v[91:92], v[99:100]
	v_add_f64 v[93:94], v[93:94], v[95:96]
	;; [unrolled: 1-line block ×4, first 2 shown]
	s_waitcnt vmcnt(2)
	v_add_f64 v[1:2], v[117:118], -v[1:2]
	s_waitcnt vmcnt(0)
	v_add_f64 v[3:4], v[119:120], -v[3:4]
	buffer_store_dword v1, off, s[0:3], 0 offset:624
	buffer_store_dword v2, off, s[0:3], 0 offset:628
	;; [unrolled: 1-line block ×4, first 2 shown]
	v_cmpx_lt_u32_e32 37, v0
	s_cbranch_execz .LBB106_197
; %bb.196:
	v_mov_b32_e32 v4, s17
	v_mov_b32_e32 v91, 0
	s_clause 0x3
	buffer_load_dword v1, v4, s[0:3], 0 offen
	buffer_load_dword v2, v4, s[0:3], 0 offen offset:4
	buffer_load_dword v3, v4, s[0:3], 0 offen offset:8
	;; [unrolled: 1-line block ×3, first 2 shown]
	buffer_store_dword v91, off, s[0:3], 0 offset:608
	buffer_store_dword v91, off, s[0:3], 0 offset:612
	;; [unrolled: 1-line block ×4, first 2 shown]
	s_waitcnt vmcnt(0)
	ds_write_b128 v147, v[1:4]
.LBB106_197:
	s_or_b32 exec_lo, exec_lo, s4
	s_waitcnt lgkmcnt(0)
	s_waitcnt_vscnt null, 0x0
	s_barrier
	buffer_gl0_inv
	s_clause 0x17
	buffer_load_dword v2, off, s[0:3], 0 offset:632
	buffer_load_dword v3, off, s[0:3], 0 offset:636
	;; [unrolled: 1-line block ×24, first 2 shown]
	v_mov_b32_e32 v1, 0
	ds_read_b128 v[91:94], v1 offset:1296
	ds_read_b128 v[95:98], v1 offset:1312
	ds_read_b128 v[99:102], v1 offset:1328
	s_mov_b32 s4, exec_lo
	s_waitcnt vmcnt(22) lgkmcnt(2)
	v_mul_f64 v[125:126], v[93:94], v[2:3]
	v_mul_f64 v[2:3], v[91:92], v[2:3]
	s_waitcnt vmcnt(20) lgkmcnt(1)
	v_mul_f64 v[127:128], v[97:98], v[103:104]
	v_mul_f64 v[103:104], v[95:96], v[103:104]
	s_waitcnt vmcnt(18)
	v_fma_f64 v[125:126], v[91:92], v[105:106], -v[125:126]
	v_fma_f64 v[2:3], v[93:94], v[105:106], v[2:3]
	ds_read_b128 v[91:94], v1 offset:1344
	s_waitcnt vmcnt(16) lgkmcnt(1)
	v_mul_f64 v[105:106], v[99:100], v[107:108]
	v_mul_f64 v[107:108], v[101:102], v[107:108]
	s_waitcnt vmcnt(14)
	v_fma_f64 v[127:128], v[95:96], v[109:110], -v[127:128]
	v_fma_f64 v[103:104], v[97:98], v[109:110], v[103:104]
	ds_read_b128 v[95:98], v1 offset:1360
	s_waitcnt vmcnt(10) lgkmcnt(1)
	v_mul_f64 v[109:110], v[91:92], v[111:112]
	v_add_f64 v[125:126], v[125:126], 0
	v_add_f64 v[2:3], v[2:3], 0
	v_mul_f64 v[111:112], v[93:94], v[111:112]
	s_waitcnt vmcnt(8)
	v_fma_f64 v[99:100], v[99:100], v[117:118], -v[107:108]
	v_fma_f64 v[101:102], v[101:102], v[117:118], v[105:106]
	s_waitcnt vmcnt(7) lgkmcnt(0)
	v_mul_f64 v[105:106], v[97:98], v[113:114]
	s_waitcnt vmcnt(5)
	v_fma_f64 v[93:94], v[93:94], v[119:120], v[109:110]
	v_add_f64 v[107:108], v[125:126], v[127:128]
	v_add_f64 v[2:3], v[2:3], v[103:104]
	v_fma_f64 v[91:92], v[91:92], v[119:120], -v[111:112]
	v_mul_f64 v[103:104], v[95:96], v[113:114]
	s_waitcnt vmcnt(4)
	v_fma_f64 v[95:96], v[95:96], v[115:116], -v[105:106]
	v_add_f64 v[99:100], v[107:108], v[99:100]
	v_add_f64 v[2:3], v[2:3], v[101:102]
	v_fma_f64 v[97:98], v[97:98], v[115:116], v[103:104]
	v_add_f64 v[91:92], v[99:100], v[91:92]
	v_add_f64 v[2:3], v[2:3], v[93:94]
	;; [unrolled: 1-line block ×4, first 2 shown]
	s_waitcnt vmcnt(2)
	v_add_f64 v[91:92], v[121:122], -v[91:92]
	s_waitcnt vmcnt(0)
	v_add_f64 v[2:3], v[123:124], -v[2:3]
	buffer_store_dword v92, off, s[0:3], 0 offset:612
	buffer_store_dword v91, off, s[0:3], 0 offset:608
	;; [unrolled: 1-line block ×4, first 2 shown]
	v_cmpx_lt_u32_e32 36, v0
	s_cbranch_execz .LBB106_199
; %bb.198:
	v_mov_b32_e32 v2, s18
	s_clause 0x3
	buffer_load_dword v91, v2, s[0:3], 0 offen
	buffer_load_dword v92, v2, s[0:3], 0 offen offset:4
	buffer_load_dword v93, v2, s[0:3], 0 offen offset:8
	;; [unrolled: 1-line block ×3, first 2 shown]
	buffer_store_dword v1, off, s[0:3], 0 offset:592
	buffer_store_dword v1, off, s[0:3], 0 offset:596
	buffer_store_dword v1, off, s[0:3], 0 offset:600
	buffer_store_dword v1, off, s[0:3], 0 offset:604
	s_waitcnt vmcnt(0)
	ds_write_b128 v147, v[91:94]
.LBB106_199:
	s_or_b32 exec_lo, exec_lo, s4
	s_waitcnt lgkmcnt(0)
	s_waitcnt_vscnt null, 0x0
	s_barrier
	buffer_gl0_inv
	s_clause 0x1b
	buffer_load_dword v2, off, s[0:3], 0 offset:616
	buffer_load_dword v3, off, s[0:3], 0 offset:620
	;; [unrolled: 1-line block ×28, first 2 shown]
	ds_read_b128 v[91:94], v1 offset:1280
	ds_read_b128 v[95:98], v1 offset:1296
	;; [unrolled: 1-line block ×3, first 2 shown]
	s_mov_b32 s4, exec_lo
	s_waitcnt vmcnt(26) lgkmcnt(2)
	v_mul_f64 v[129:130], v[93:94], v[2:3]
	v_mul_f64 v[2:3], v[91:92], v[2:3]
	s_waitcnt vmcnt(24) lgkmcnt(1)
	v_mul_f64 v[131:132], v[97:98], v[103:104]
	v_mul_f64 v[103:104], v[95:96], v[103:104]
	s_waitcnt vmcnt(22)
	v_fma_f64 v[129:130], v[91:92], v[105:106], -v[129:130]
	v_fma_f64 v[2:3], v[93:94], v[105:106], v[2:3]
	ds_read_b128 v[91:94], v1 offset:1328
	s_waitcnt vmcnt(20) lgkmcnt(1)
	v_mul_f64 v[105:106], v[99:100], v[107:108]
	v_mul_f64 v[107:108], v[101:102], v[107:108]
	s_waitcnt vmcnt(18)
	v_fma_f64 v[131:132], v[95:96], v[109:110], -v[131:132]
	v_fma_f64 v[103:104], v[97:98], v[109:110], v[103:104]
	ds_read_b128 v[95:98], v1 offset:1344
	s_waitcnt vmcnt(14) lgkmcnt(1)
	v_mul_f64 v[109:110], v[91:92], v[111:112]
	v_add_f64 v[129:130], v[129:130], 0
	v_add_f64 v[2:3], v[2:3], 0
	v_mul_f64 v[111:112], v[93:94], v[111:112]
	s_waitcnt vmcnt(12)
	v_fma_f64 v[99:100], v[99:100], v[117:118], -v[107:108]
	v_fma_f64 v[101:102], v[101:102], v[117:118], v[105:106]
	s_waitcnt vmcnt(11) lgkmcnt(0)
	v_mul_f64 v[105:106], v[95:96], v[113:114]
	v_mul_f64 v[113:114], v[97:98], v[113:114]
	s_waitcnt vmcnt(9)
	v_fma_f64 v[93:94], v[93:94], v[119:120], v[109:110]
	v_add_f64 v[107:108], v[129:130], v[131:132]
	v_add_f64 v[103:104], v[2:3], v[103:104]
	v_fma_f64 v[91:92], v[91:92], v[119:120], -v[111:112]
	ds_read_b128 v[1:4], v1 offset:1360
	s_waitcnt vmcnt(6)
	v_fma_f64 v[97:98], v[97:98], v[115:116], v[105:106]
	v_fma_f64 v[95:96], v[95:96], v[115:116], -v[113:114]
	v_add_f64 v[99:100], v[107:108], v[99:100]
	v_add_f64 v[101:102], v[103:104], v[101:102]
	s_waitcnt lgkmcnt(0)
	v_mul_f64 v[107:108], v[3:4], v[121:122]
	v_mul_f64 v[103:104], v[1:2], v[121:122]
	v_add_f64 v[91:92], v[99:100], v[91:92]
	v_add_f64 v[93:94], v[101:102], v[93:94]
	s_waitcnt vmcnt(4)
	v_fma_f64 v[1:2], v[1:2], v[123:124], -v[107:108]
	v_fma_f64 v[3:4], v[3:4], v[123:124], v[103:104]
	v_add_f64 v[91:92], v[91:92], v[95:96]
	v_add_f64 v[93:94], v[93:94], v[97:98]
	;; [unrolled: 1-line block ×4, first 2 shown]
	s_waitcnt vmcnt(2)
	v_add_f64 v[1:2], v[125:126], -v[1:2]
	s_waitcnt vmcnt(0)
	v_add_f64 v[3:4], v[127:128], -v[3:4]
	buffer_store_dword v2, off, s[0:3], 0 offset:596
	buffer_store_dword v1, off, s[0:3], 0 offset:592
	;; [unrolled: 1-line block ×4, first 2 shown]
	v_cmpx_lt_u32_e32 35, v0
	s_cbranch_execz .LBB106_201
; %bb.200:
	v_mov_b32_e32 v4, s19
	v_mov_b32_e32 v91, 0
	s_clause 0x3
	buffer_load_dword v1, v4, s[0:3], 0 offen
	buffer_load_dword v2, v4, s[0:3], 0 offen offset:4
	buffer_load_dword v3, v4, s[0:3], 0 offen offset:8
	;; [unrolled: 1-line block ×3, first 2 shown]
	buffer_store_dword v91, off, s[0:3], 0 offset:576
	buffer_store_dword v91, off, s[0:3], 0 offset:580
	;; [unrolled: 1-line block ×4, first 2 shown]
	s_waitcnt vmcnt(0)
	ds_write_b128 v147, v[1:4]
.LBB106_201:
	s_or_b32 exec_lo, exec_lo, s4
	s_waitcnt lgkmcnt(0)
	s_waitcnt_vscnt null, 0x0
	s_barrier
	buffer_gl0_inv
	s_clause 0x1f
	buffer_load_dword v2, off, s[0:3], 0 offset:600
	buffer_load_dword v3, off, s[0:3], 0 offset:604
	;; [unrolled: 1-line block ×32, first 2 shown]
	v_mov_b32_e32 v1, 0
	ds_read_b128 v[91:94], v1 offset:1264
	ds_read_b128 v[95:98], v1 offset:1280
	;; [unrolled: 1-line block ×3, first 2 shown]
	s_mov_b32 s4, exec_lo
	s_waitcnt vmcnt(30) lgkmcnt(2)
	v_mul_f64 v[133:134], v[93:94], v[2:3]
	v_mul_f64 v[2:3], v[91:92], v[2:3]
	s_waitcnt vmcnt(28) lgkmcnt(1)
	v_mul_f64 v[135:136], v[97:98], v[103:104]
	v_mul_f64 v[103:104], v[95:96], v[103:104]
	s_waitcnt vmcnt(26)
	v_fma_f64 v[133:134], v[91:92], v[105:106], -v[133:134]
	v_fma_f64 v[2:3], v[93:94], v[105:106], v[2:3]
	ds_read_b128 v[91:94], v1 offset:1312
	s_waitcnt vmcnt(24) lgkmcnt(1)
	v_mul_f64 v[105:106], v[99:100], v[107:108]
	v_mul_f64 v[107:108], v[101:102], v[107:108]
	s_waitcnt vmcnt(22)
	v_fma_f64 v[135:136], v[95:96], v[109:110], -v[135:136]
	v_fma_f64 v[103:104], v[97:98], v[109:110], v[103:104]
	ds_read_b128 v[95:98], v1 offset:1328
	s_waitcnt vmcnt(18) lgkmcnt(1)
	v_mul_f64 v[109:110], v[91:92], v[111:112]
	v_add_f64 v[133:134], v[133:134], 0
	v_add_f64 v[2:3], v[2:3], 0
	v_mul_f64 v[111:112], v[93:94], v[111:112]
	s_waitcnt vmcnt(16)
	v_fma_f64 v[107:108], v[99:100], v[117:118], -v[107:108]
	v_fma_f64 v[105:106], v[101:102], v[117:118], v[105:106]
	ds_read_b128 v[99:102], v1 offset:1344
	s_waitcnt vmcnt(13)
	v_fma_f64 v[109:110], v[93:94], v[119:120], v[109:110]
	v_add_f64 v[133:134], v[133:134], v[135:136]
	v_add_f64 v[2:3], v[2:3], v[103:104]
	s_waitcnt lgkmcnt(1)
	v_mul_f64 v[103:104], v[95:96], v[113:114]
	v_mul_f64 v[113:114], v[97:98], v[113:114]
	v_fma_f64 v[111:112], v[91:92], v[119:120], -v[111:112]
	s_waitcnt vmcnt(9) lgkmcnt(0)
	v_mul_f64 v[117:118], v[101:102], v[121:122]
	ds_read_b128 v[91:94], v1 offset:1360
	v_add_f64 v[107:108], v[133:134], v[107:108]
	v_add_f64 v[2:3], v[2:3], v[105:106]
	v_mul_f64 v[105:106], v[99:100], v[121:122]
	s_waitcnt vmcnt(8)
	v_fma_f64 v[95:96], v[95:96], v[115:116], -v[113:114]
	v_fma_f64 v[97:98], v[97:98], v[115:116], v[103:104]
	s_waitcnt vmcnt(5)
	v_fma_f64 v[99:100], v[99:100], v[127:128], -v[117:118]
	s_waitcnt lgkmcnt(0)
	v_mul_f64 v[103:104], v[91:92], v[123:124]
	v_add_f64 v[107:108], v[107:108], v[111:112]
	v_add_f64 v[2:3], v[2:3], v[109:110]
	v_mul_f64 v[109:110], v[93:94], v[123:124]
	v_fma_f64 v[101:102], v[101:102], v[127:128], v[105:106]
	s_waitcnt vmcnt(4)
	v_fma_f64 v[93:94], v[93:94], v[125:126], v[103:104]
	v_add_f64 v[95:96], v[107:108], v[95:96]
	v_add_f64 v[2:3], v[2:3], v[97:98]
	v_fma_f64 v[91:92], v[91:92], v[125:126], -v[109:110]
	v_add_f64 v[95:96], v[95:96], v[99:100]
	v_add_f64 v[2:3], v[2:3], v[101:102]
	;; [unrolled: 1-line block ×4, first 2 shown]
	s_waitcnt vmcnt(2)
	v_add_f64 v[91:92], v[129:130], -v[91:92]
	s_waitcnt vmcnt(0)
	v_add_f64 v[2:3], v[131:132], -v[2:3]
	buffer_store_dword v92, off, s[0:3], 0 offset:580
	buffer_store_dword v91, off, s[0:3], 0 offset:576
	;; [unrolled: 1-line block ×4, first 2 shown]
	v_cmpx_lt_u32_e32 34, v0
	s_cbranch_execz .LBB106_203
; %bb.202:
	v_mov_b32_e32 v2, s20
	s_clause 0x3
	buffer_load_dword v91, v2, s[0:3], 0 offen
	buffer_load_dword v92, v2, s[0:3], 0 offen offset:4
	buffer_load_dword v93, v2, s[0:3], 0 offen offset:8
	;; [unrolled: 1-line block ×3, first 2 shown]
	buffer_store_dword v1, off, s[0:3], 0 offset:560
	buffer_store_dword v1, off, s[0:3], 0 offset:564
	;; [unrolled: 1-line block ×4, first 2 shown]
	s_waitcnt vmcnt(0)
	ds_write_b128 v147, v[91:94]
.LBB106_203:
	s_or_b32 exec_lo, exec_lo, s4
	s_waitcnt lgkmcnt(0)
	s_waitcnt_vscnt null, 0x0
	s_barrier
	buffer_gl0_inv
	s_clause 0x23
	buffer_load_dword v2, off, s[0:3], 0 offset:584
	buffer_load_dword v3, off, s[0:3], 0 offset:588
	;; [unrolled: 1-line block ×36, first 2 shown]
	ds_read_b128 v[91:94], v1 offset:1248
	ds_read_b128 v[95:98], v1 offset:1264
	;; [unrolled: 1-line block ×3, first 2 shown]
	s_mov_b32 s4, exec_lo
	s_waitcnt vmcnt(34) lgkmcnt(2)
	v_mul_f64 v[137:138], v[93:94], v[2:3]
	v_mul_f64 v[2:3], v[91:92], v[2:3]
	s_waitcnt vmcnt(32) lgkmcnt(1)
	v_mul_f64 v[139:140], v[97:98], v[103:104]
	v_mul_f64 v[103:104], v[95:96], v[103:104]
	s_waitcnt vmcnt(30)
	v_fma_f64 v[137:138], v[91:92], v[105:106], -v[137:138]
	v_fma_f64 v[2:3], v[93:94], v[105:106], v[2:3]
	ds_read_b128 v[91:94], v1 offset:1296
	s_waitcnt vmcnt(28) lgkmcnt(1)
	v_mul_f64 v[105:106], v[99:100], v[107:108]
	v_mul_f64 v[107:108], v[101:102], v[107:108]
	s_waitcnt vmcnt(26)
	v_fma_f64 v[139:140], v[95:96], v[109:110], -v[139:140]
	v_fma_f64 v[103:104], v[97:98], v[109:110], v[103:104]
	ds_read_b128 v[95:98], v1 offset:1312
	s_waitcnt vmcnt(22) lgkmcnt(1)
	v_mul_f64 v[109:110], v[91:92], v[111:112]
	v_add_f64 v[137:138], v[137:138], 0
	v_add_f64 v[2:3], v[2:3], 0
	v_mul_f64 v[111:112], v[93:94], v[111:112]
	s_waitcnt vmcnt(20)
	v_fma_f64 v[107:108], v[99:100], v[117:118], -v[107:108]
	v_fma_f64 v[105:106], v[101:102], v[117:118], v[105:106]
	ds_read_b128 v[99:102], v1 offset:1328
	s_waitcnt vmcnt(17)
	v_fma_f64 v[109:110], v[93:94], v[119:120], v[109:110]
	v_add_f64 v[137:138], v[137:138], v[139:140]
	v_add_f64 v[2:3], v[2:3], v[103:104]
	s_waitcnt lgkmcnt(1)
	v_mul_f64 v[103:104], v[95:96], v[113:114]
	v_mul_f64 v[113:114], v[97:98], v[113:114]
	v_fma_f64 v[111:112], v[91:92], v[119:120], -v[111:112]
	s_waitcnt vmcnt(13) lgkmcnt(0)
	v_mul_f64 v[117:118], v[101:102], v[121:122]
	ds_read_b128 v[91:94], v1 offset:1344
	v_add_f64 v[107:108], v[137:138], v[107:108]
	v_add_f64 v[2:3], v[2:3], v[105:106]
	v_mul_f64 v[105:106], v[99:100], v[121:122]
	s_waitcnt vmcnt(12)
	v_fma_f64 v[95:96], v[95:96], v[115:116], -v[113:114]
	v_fma_f64 v[97:98], v[97:98], v[115:116], v[103:104]
	s_waitcnt vmcnt(9)
	v_fma_f64 v[99:100], v[99:100], v[127:128], -v[117:118]
	v_add_f64 v[107:108], v[107:108], v[111:112]
	v_add_f64 v[103:104], v[2:3], v[109:110]
	s_waitcnt lgkmcnt(0)
	v_mul_f64 v[111:112], v[93:94], v[123:124]
	ds_read_b128 v[1:4], v1 offset:1360
	v_mul_f64 v[109:110], v[91:92], v[123:124]
	v_fma_f64 v[101:102], v[101:102], v[127:128], v[105:106]
	v_add_f64 v[95:96], v[107:108], v[95:96]
	v_add_f64 v[97:98], v[103:104], v[97:98]
	s_waitcnt vmcnt(7) lgkmcnt(0)
	v_mul_f64 v[105:106], v[3:4], v[129:130]
	s_waitcnt vmcnt(6)
	v_fma_f64 v[91:92], v[91:92], v[125:126], -v[111:112]
	v_mul_f64 v[103:104], v[1:2], v[129:130]
	v_fma_f64 v[93:94], v[93:94], v[125:126], v[109:110]
	v_add_f64 v[95:96], v[95:96], v[99:100]
	v_add_f64 v[97:98], v[97:98], v[101:102]
	s_waitcnt vmcnt(4)
	v_fma_f64 v[1:2], v[1:2], v[131:132], -v[105:106]
	v_fma_f64 v[3:4], v[3:4], v[131:132], v[103:104]
	v_add_f64 v[91:92], v[95:96], v[91:92]
	v_add_f64 v[93:94], v[97:98], v[93:94]
	;; [unrolled: 1-line block ×4, first 2 shown]
	s_waitcnt vmcnt(2)
	v_add_f64 v[1:2], v[133:134], -v[1:2]
	s_waitcnt vmcnt(0)
	v_add_f64 v[3:4], v[135:136], -v[3:4]
	buffer_store_dword v2, off, s[0:3], 0 offset:564
	buffer_store_dword v1, off, s[0:3], 0 offset:560
	;; [unrolled: 1-line block ×4, first 2 shown]
	v_cmpx_lt_u32_e32 33, v0
	s_cbranch_execz .LBB106_205
; %bb.204:
	v_mov_b32_e32 v4, s21
	v_mov_b32_e32 v91, 0
	s_clause 0x3
	buffer_load_dword v1, v4, s[0:3], 0 offen
	buffer_load_dword v2, v4, s[0:3], 0 offen offset:4
	buffer_load_dword v3, v4, s[0:3], 0 offen offset:8
	;; [unrolled: 1-line block ×3, first 2 shown]
	buffer_store_dword v91, off, s[0:3], 0 offset:544
	buffer_store_dword v91, off, s[0:3], 0 offset:548
	;; [unrolled: 1-line block ×4, first 2 shown]
	s_waitcnt vmcnt(0)
	ds_write_b128 v147, v[1:4]
.LBB106_205:
	s_or_b32 exec_lo, exec_lo, s4
	s_waitcnt lgkmcnt(0)
	s_waitcnt_vscnt null, 0x0
	s_barrier
	buffer_gl0_inv
	s_clause 0x27
	buffer_load_dword v2, off, s[0:3], 0 offset:568
	buffer_load_dword v3, off, s[0:3], 0 offset:572
	;; [unrolled: 1-line block ×40, first 2 shown]
	v_mov_b32_e32 v1, 0
	ds_read_b128 v[91:94], v1 offset:1232
	ds_read_b128 v[95:98], v1 offset:1248
	;; [unrolled: 1-line block ×3, first 2 shown]
	s_mov_b32 s4, exec_lo
	s_waitcnt vmcnt(38) lgkmcnt(2)
	v_mul_f64 v[141:142], v[93:94], v[2:3]
	v_mul_f64 v[2:3], v[91:92], v[2:3]
	s_waitcnt vmcnt(36) lgkmcnt(1)
	v_mul_f64 v[143:144], v[97:98], v[103:104]
	v_mul_f64 v[103:104], v[95:96], v[103:104]
	s_waitcnt vmcnt(34)
	v_fma_f64 v[141:142], v[91:92], v[105:106], -v[141:142]
	v_fma_f64 v[2:3], v[93:94], v[105:106], v[2:3]
	ds_read_b128 v[91:94], v1 offset:1280
	s_waitcnt vmcnt(32) lgkmcnt(1)
	v_mul_f64 v[105:106], v[99:100], v[107:108]
	v_mul_f64 v[107:108], v[101:102], v[107:108]
	s_waitcnt vmcnt(30)
	v_fma_f64 v[143:144], v[95:96], v[109:110], -v[143:144]
	v_fma_f64 v[103:104], v[97:98], v[109:110], v[103:104]
	ds_read_b128 v[95:98], v1 offset:1296
	s_waitcnt vmcnt(26) lgkmcnt(1)
	v_mul_f64 v[109:110], v[91:92], v[111:112]
	v_add_f64 v[141:142], v[141:142], 0
	v_add_f64 v[2:3], v[2:3], 0
	v_mul_f64 v[111:112], v[93:94], v[111:112]
	s_waitcnt vmcnt(24)
	v_fma_f64 v[107:108], v[99:100], v[117:118], -v[107:108]
	v_fma_f64 v[105:106], v[101:102], v[117:118], v[105:106]
	ds_read_b128 v[99:102], v1 offset:1312
	s_waitcnt vmcnt(21)
	v_fma_f64 v[109:110], v[93:94], v[119:120], v[109:110]
	v_add_f64 v[141:142], v[141:142], v[143:144]
	v_add_f64 v[2:3], v[2:3], v[103:104]
	s_waitcnt lgkmcnt(1)
	v_mul_f64 v[103:104], v[95:96], v[113:114]
	v_mul_f64 v[113:114], v[97:98], v[113:114]
	v_fma_f64 v[111:112], v[91:92], v[119:120], -v[111:112]
	s_waitcnt vmcnt(17) lgkmcnt(0)
	v_mul_f64 v[117:118], v[101:102], v[121:122]
	ds_read_b128 v[91:94], v1 offset:1328
	v_add_f64 v[107:108], v[141:142], v[107:108]
	v_add_f64 v[2:3], v[2:3], v[105:106]
	v_mul_f64 v[105:106], v[99:100], v[121:122]
	s_waitcnt vmcnt(16)
	v_fma_f64 v[113:114], v[95:96], v[115:116], -v[113:114]
	v_fma_f64 v[103:104], v[97:98], v[115:116], v[103:104]
	ds_read_b128 v[95:98], v1 offset:1344
	s_waitcnt vmcnt(13)
	v_fma_f64 v[115:116], v[99:100], v[127:128], -v[117:118]
	v_add_f64 v[107:108], v[107:108], v[111:112]
	v_add_f64 v[2:3], v[2:3], v[109:110]
	s_waitcnt lgkmcnt(1)
	v_mul_f64 v[111:112], v[93:94], v[123:124]
	v_mul_f64 v[109:110], v[91:92], v[123:124]
	v_fma_f64 v[105:106], v[101:102], v[127:128], v[105:106]
	ds_read_b128 v[99:102], v1 offset:1360
	v_add_f64 v[107:108], v[107:108], v[113:114]
	v_add_f64 v[2:3], v[2:3], v[103:104]
	s_waitcnt vmcnt(9) lgkmcnt(1)
	v_mul_f64 v[113:114], v[97:98], v[129:130]
	s_waitcnt vmcnt(8)
	v_fma_f64 v[91:92], v[91:92], v[125:126], -v[111:112]
	v_mul_f64 v[103:104], v[95:96], v[129:130]
	v_fma_f64 v[93:94], v[93:94], v[125:126], v[109:110]
	s_waitcnt vmcnt(7) lgkmcnt(0)
	v_mul_f64 v[109:110], v[101:102], v[131:132]
	v_add_f64 v[107:108], v[107:108], v[115:116]
	v_add_f64 v[2:3], v[2:3], v[105:106]
	s_waitcnt vmcnt(5)
	v_fma_f64 v[95:96], v[95:96], v[135:136], -v[113:114]
	v_mul_f64 v[105:106], v[99:100], v[131:132]
	v_fma_f64 v[97:98], v[97:98], v[135:136], v[103:104]
	v_add_f64 v[91:92], v[107:108], v[91:92]
	v_add_f64 v[2:3], v[2:3], v[93:94]
	s_waitcnt vmcnt(4)
	v_fma_f64 v[93:94], v[99:100], v[133:134], -v[109:110]
	v_add_f64 v[91:92], v[91:92], v[95:96]
	v_fma_f64 v[95:96], v[101:102], v[133:134], v[105:106]
	v_add_f64 v[2:3], v[2:3], v[97:98]
	v_add_f64 v[91:92], v[91:92], v[93:94]
	;; [unrolled: 1-line block ×3, first 2 shown]
	s_waitcnt vmcnt(2)
	v_add_f64 v[91:92], v[137:138], -v[91:92]
	s_waitcnt vmcnt(0)
	v_add_f64 v[2:3], v[139:140], -v[2:3]
	buffer_store_dword v92, off, s[0:3], 0 offset:548
	buffer_store_dword v91, off, s[0:3], 0 offset:544
	;; [unrolled: 1-line block ×4, first 2 shown]
	v_cmpx_lt_u32_e32 32, v0
	s_cbranch_execz .LBB106_207
; %bb.206:
	v_mov_b32_e32 v2, s22
	s_clause 0x3
	buffer_load_dword v91, v2, s[0:3], 0 offen
	buffer_load_dword v92, v2, s[0:3], 0 offen offset:4
	buffer_load_dword v93, v2, s[0:3], 0 offen offset:8
	;; [unrolled: 1-line block ×3, first 2 shown]
	buffer_store_dword v1, off, s[0:3], 0 offset:528
	buffer_store_dword v1, off, s[0:3], 0 offset:532
	;; [unrolled: 1-line block ×4, first 2 shown]
	s_waitcnt vmcnt(0)
	ds_write_b128 v147, v[91:94]
.LBB106_207:
	s_or_b32 exec_lo, exec_lo, s4
	s_waitcnt lgkmcnt(0)
	s_waitcnt_vscnt null, 0x0
	s_barrier
	buffer_gl0_inv
	s_clause 0x2b
	buffer_load_dword v2, off, s[0:3], 0 offset:552
	buffer_load_dword v3, off, s[0:3], 0 offset:556
	;; [unrolled: 1-line block ×44, first 2 shown]
	ds_read_b128 v[91:94], v1 offset:1216
	ds_read_b128 v[95:98], v1 offset:1232
	;; [unrolled: 1-line block ×3, first 2 shown]
	s_mov_b32 s4, exec_lo
	s_waitcnt vmcnt(42) lgkmcnt(2)
	v_mul_f64 v[145:146], v[93:94], v[2:3]
	v_mul_f64 v[2:3], v[91:92], v[2:3]
	s_waitcnt vmcnt(40) lgkmcnt(1)
	v_mul_f64 v[148:149], v[97:98], v[103:104]
	v_mul_f64 v[103:104], v[95:96], v[103:104]
	s_waitcnt vmcnt(38)
	v_fma_f64 v[145:146], v[91:92], v[105:106], -v[145:146]
	v_fma_f64 v[2:3], v[93:94], v[105:106], v[2:3]
	ds_read_b128 v[91:94], v1 offset:1264
	s_waitcnt vmcnt(36) lgkmcnt(1)
	v_mul_f64 v[105:106], v[99:100], v[107:108]
	v_mul_f64 v[107:108], v[101:102], v[107:108]
	s_waitcnt vmcnt(34)
	v_fma_f64 v[148:149], v[95:96], v[109:110], -v[148:149]
	v_fma_f64 v[103:104], v[97:98], v[109:110], v[103:104]
	ds_read_b128 v[95:98], v1 offset:1280
	s_waitcnt vmcnt(30) lgkmcnt(1)
	v_mul_f64 v[109:110], v[91:92], v[111:112]
	v_add_f64 v[145:146], v[145:146], 0
	v_add_f64 v[2:3], v[2:3], 0
	v_mul_f64 v[111:112], v[93:94], v[111:112]
	s_waitcnt vmcnt(28)
	v_fma_f64 v[107:108], v[99:100], v[117:118], -v[107:108]
	v_fma_f64 v[105:106], v[101:102], v[117:118], v[105:106]
	ds_read_b128 v[99:102], v1 offset:1296
	s_waitcnt vmcnt(25)
	v_fma_f64 v[109:110], v[93:94], v[119:120], v[109:110]
	v_add_f64 v[145:146], v[145:146], v[148:149]
	v_add_f64 v[2:3], v[2:3], v[103:104]
	s_waitcnt lgkmcnt(1)
	v_mul_f64 v[103:104], v[95:96], v[113:114]
	v_mul_f64 v[113:114], v[97:98], v[113:114]
	v_fma_f64 v[111:112], v[91:92], v[119:120], -v[111:112]
	s_waitcnt vmcnt(21) lgkmcnt(0)
	v_mul_f64 v[117:118], v[101:102], v[121:122]
	ds_read_b128 v[91:94], v1 offset:1312
	v_add_f64 v[107:108], v[145:146], v[107:108]
	v_add_f64 v[2:3], v[2:3], v[105:106]
	v_mul_f64 v[105:106], v[99:100], v[121:122]
	s_waitcnt vmcnt(20)
	v_fma_f64 v[113:114], v[95:96], v[115:116], -v[113:114]
	v_fma_f64 v[103:104], v[97:98], v[115:116], v[103:104]
	ds_read_b128 v[95:98], v1 offset:1328
	s_waitcnt vmcnt(17)
	v_fma_f64 v[115:116], v[99:100], v[127:128], -v[117:118]
	v_add_f64 v[107:108], v[107:108], v[111:112]
	v_add_f64 v[2:3], v[2:3], v[109:110]
	s_waitcnt lgkmcnt(1)
	v_mul_f64 v[111:112], v[93:94], v[123:124]
	v_mul_f64 v[109:110], v[91:92], v[123:124]
	v_fma_f64 v[105:106], v[101:102], v[127:128], v[105:106]
	ds_read_b128 v[99:102], v1 offset:1344
	v_add_f64 v[107:108], v[107:108], v[113:114]
	v_add_f64 v[2:3], v[2:3], v[103:104]
	s_waitcnt vmcnt(13) lgkmcnt(1)
	v_mul_f64 v[113:114], v[97:98], v[129:130]
	s_waitcnt vmcnt(12)
	v_fma_f64 v[91:92], v[91:92], v[125:126], -v[111:112]
	v_mul_f64 v[103:104], v[95:96], v[129:130]
	v_fma_f64 v[93:94], v[93:94], v[125:126], v[109:110]
	s_waitcnt vmcnt(11) lgkmcnt(0)
	v_mul_f64 v[111:112], v[101:102], v[131:132]
	v_mul_f64 v[109:110], v[99:100], v[131:132]
	v_add_f64 v[107:108], v[107:108], v[115:116]
	v_add_f64 v[105:106], v[2:3], v[105:106]
	s_waitcnt vmcnt(9)
	v_fma_f64 v[95:96], v[95:96], v[135:136], -v[113:114]
	ds_read_b128 v[1:4], v1 offset:1360
	v_fma_f64 v[97:98], v[97:98], v[135:136], v[103:104]
	s_waitcnt vmcnt(6)
	v_fma_f64 v[99:100], v[99:100], v[133:134], -v[111:112]
	v_add_f64 v[91:92], v[107:108], v[91:92]
	v_add_f64 v[93:94], v[105:106], v[93:94]
	s_waitcnt lgkmcnt(0)
	v_mul_f64 v[105:106], v[3:4], v[137:138]
	v_mul_f64 v[103:104], v[1:2], v[137:138]
	v_add_f64 v[91:92], v[91:92], v[95:96]
	v_fma_f64 v[95:96], v[101:102], v[133:134], v[109:110]
	v_add_f64 v[93:94], v[93:94], v[97:98]
	s_waitcnt vmcnt(4)
	v_fma_f64 v[1:2], v[1:2], v[139:140], -v[105:106]
	v_fma_f64 v[3:4], v[3:4], v[139:140], v[103:104]
	v_add_f64 v[91:92], v[91:92], v[99:100]
	v_add_f64 v[93:94], v[93:94], v[95:96]
	;; [unrolled: 1-line block ×4, first 2 shown]
	s_waitcnt vmcnt(2)
	v_add_f64 v[1:2], v[141:142], -v[1:2]
	s_waitcnt vmcnt(0)
	v_add_f64 v[3:4], v[143:144], -v[3:4]
	buffer_store_dword v2, off, s[0:3], 0 offset:532
	buffer_store_dword v1, off, s[0:3], 0 offset:528
	;; [unrolled: 1-line block ×4, first 2 shown]
	v_cmpx_lt_u32_e32 31, v0
	s_cbranch_execz .LBB106_209
; %bb.208:
	v_mov_b32_e32 v4, s23
	v_mov_b32_e32 v91, 0
	s_clause 0x3
	buffer_load_dword v1, v4, s[0:3], 0 offen
	buffer_load_dword v2, v4, s[0:3], 0 offen offset:4
	buffer_load_dword v3, v4, s[0:3], 0 offen offset:8
	buffer_load_dword v4, v4, s[0:3], 0 offen offset:12
	buffer_store_dword v91, off, s[0:3], 0 offset:512
	buffer_store_dword v91, off, s[0:3], 0 offset:516
	;; [unrolled: 1-line block ×4, first 2 shown]
	s_waitcnt vmcnt(0)
	ds_write_b128 v147, v[1:4]
.LBB106_209:
	s_or_b32 exec_lo, exec_lo, s4
	s_waitcnt lgkmcnt(0)
	s_waitcnt_vscnt null, 0x0
	s_barrier
	buffer_gl0_inv
	s_clause 0x2f
	buffer_load_dword v2, off, s[0:3], 0 offset:536
	buffer_load_dword v3, off, s[0:3], 0 offset:540
	;; [unrolled: 1-line block ×48, first 2 shown]
	v_mov_b32_e32 v1, 0
	ds_read_b128 v[91:94], v1 offset:1200
	ds_read_b128 v[95:98], v1 offset:1216
	;; [unrolled: 1-line block ×3, first 2 shown]
	s_mov_b32 s4, exec_lo
	s_waitcnt vmcnt(46) lgkmcnt(2)
	v_mul_f64 v[150:151], v[93:94], v[2:3]
	v_mul_f64 v[2:3], v[91:92], v[2:3]
	s_waitcnt vmcnt(44) lgkmcnt(1)
	v_mul_f64 v[152:153], v[97:98], v[103:104]
	v_mul_f64 v[103:104], v[95:96], v[103:104]
	s_waitcnt vmcnt(42)
	v_fma_f64 v[150:151], v[91:92], v[105:106], -v[150:151]
	v_fma_f64 v[2:3], v[93:94], v[105:106], v[2:3]
	ds_read_b128 v[91:94], v1 offset:1248
	s_waitcnt vmcnt(40) lgkmcnt(1)
	v_mul_f64 v[105:106], v[99:100], v[107:108]
	v_mul_f64 v[107:108], v[101:102], v[107:108]
	s_waitcnt vmcnt(38)
	v_fma_f64 v[152:153], v[95:96], v[109:110], -v[152:153]
	v_fma_f64 v[103:104], v[97:98], v[109:110], v[103:104]
	ds_read_b128 v[95:98], v1 offset:1264
	s_waitcnt vmcnt(34) lgkmcnt(1)
	v_mul_f64 v[109:110], v[91:92], v[111:112]
	v_add_f64 v[150:151], v[150:151], 0
	v_add_f64 v[2:3], v[2:3], 0
	v_mul_f64 v[111:112], v[93:94], v[111:112]
	s_waitcnt vmcnt(32)
	v_fma_f64 v[107:108], v[99:100], v[117:118], -v[107:108]
	v_fma_f64 v[105:106], v[101:102], v[117:118], v[105:106]
	ds_read_b128 v[99:102], v1 offset:1280
	s_waitcnt vmcnt(29)
	v_fma_f64 v[109:110], v[93:94], v[119:120], v[109:110]
	v_add_f64 v[150:151], v[150:151], v[152:153]
	v_add_f64 v[2:3], v[2:3], v[103:104]
	s_waitcnt lgkmcnt(1)
	v_mul_f64 v[103:104], v[95:96], v[113:114]
	v_mul_f64 v[113:114], v[97:98], v[113:114]
	v_fma_f64 v[111:112], v[91:92], v[119:120], -v[111:112]
	s_waitcnt vmcnt(25) lgkmcnt(0)
	v_mul_f64 v[117:118], v[101:102], v[121:122]
	ds_read_b128 v[91:94], v1 offset:1296
	v_add_f64 v[107:108], v[150:151], v[107:108]
	v_add_f64 v[2:3], v[2:3], v[105:106]
	v_mul_f64 v[105:106], v[99:100], v[121:122]
	s_waitcnt vmcnt(24)
	v_fma_f64 v[113:114], v[95:96], v[115:116], -v[113:114]
	v_fma_f64 v[103:104], v[97:98], v[115:116], v[103:104]
	ds_read_b128 v[95:98], v1 offset:1312
	s_waitcnt vmcnt(21)
	v_fma_f64 v[115:116], v[99:100], v[127:128], -v[117:118]
	v_add_f64 v[107:108], v[107:108], v[111:112]
	v_add_f64 v[2:3], v[2:3], v[109:110]
	s_waitcnt lgkmcnt(1)
	v_mul_f64 v[111:112], v[93:94], v[123:124]
	v_mul_f64 v[109:110], v[91:92], v[123:124]
	v_fma_f64 v[105:106], v[101:102], v[127:128], v[105:106]
	ds_read_b128 v[99:102], v1 offset:1328
	v_add_f64 v[107:108], v[107:108], v[113:114]
	v_add_f64 v[2:3], v[2:3], v[103:104]
	s_waitcnt vmcnt(17) lgkmcnt(1)
	v_mul_f64 v[113:114], v[97:98], v[129:130]
	s_waitcnt vmcnt(16)
	v_fma_f64 v[111:112], v[91:92], v[125:126], -v[111:112]
	v_mul_f64 v[103:104], v[95:96], v[129:130]
	v_fma_f64 v[109:110], v[93:94], v[125:126], v[109:110]
	ds_read_b128 v[91:94], v1 offset:1344
	v_add_f64 v[107:108], v[107:108], v[115:116]
	v_add_f64 v[2:3], v[2:3], v[105:106]
	s_waitcnt vmcnt(15) lgkmcnt(1)
	v_mul_f64 v[115:116], v[101:102], v[131:132]
	s_waitcnt vmcnt(13)
	v_fma_f64 v[113:114], v[95:96], v[135:136], -v[113:114]
	;; [unrolled: 9-line block ×3, first 2 shown]
	v_mul_f64 v[109:110], v[91:92], v[137:138]
	v_fma_f64 v[101:102], v[101:102], v[133:134], v[105:106]
	s_waitcnt vmcnt(7) lgkmcnt(0)
	v_mul_f64 v[105:106], v[97:98], v[139:140]
	v_add_f64 v[107:108], v[107:108], v[113:114]
	v_add_f64 v[2:3], v[2:3], v[103:104]
	s_waitcnt vmcnt(5)
	v_fma_f64 v[91:92], v[91:92], v[143:144], -v[111:112]
	v_mul_f64 v[103:104], v[95:96], v[139:140]
	v_fma_f64 v[93:94], v[93:94], v[143:144], v[109:110]
	s_waitcnt vmcnt(4)
	v_fma_f64 v[95:96], v[95:96], v[141:142], -v[105:106]
	v_add_f64 v[99:100], v[107:108], v[99:100]
	v_add_f64 v[2:3], v[2:3], v[101:102]
	v_fma_f64 v[97:98], v[97:98], v[141:142], v[103:104]
	v_add_f64 v[91:92], v[99:100], v[91:92]
	v_add_f64 v[2:3], v[2:3], v[93:94]
	;; [unrolled: 1-line block ×4, first 2 shown]
	s_waitcnt vmcnt(2)
	v_add_f64 v[91:92], v[145:146], -v[91:92]
	s_waitcnt vmcnt(0)
	v_add_f64 v[2:3], v[148:149], -v[2:3]
	buffer_store_dword v92, off, s[0:3], 0 offset:516
	buffer_store_dword v91, off, s[0:3], 0 offset:512
	;; [unrolled: 1-line block ×4, first 2 shown]
	v_cmpx_lt_u32_e32 30, v0
	s_cbranch_execz .LBB106_211
; %bb.210:
	v_mov_b32_e32 v2, s24
	s_clause 0x3
	buffer_load_dword v91, v2, s[0:3], 0 offen
	buffer_load_dword v92, v2, s[0:3], 0 offen offset:4
	buffer_load_dword v93, v2, s[0:3], 0 offen offset:8
	;; [unrolled: 1-line block ×3, first 2 shown]
	buffer_store_dword v1, off, s[0:3], 0 offset:496
	buffer_store_dword v1, off, s[0:3], 0 offset:500
	;; [unrolled: 1-line block ×4, first 2 shown]
	s_waitcnt vmcnt(0)
	ds_write_b128 v147, v[91:94]
.LBB106_211:
	s_or_b32 exec_lo, exec_lo, s4
	s_waitcnt lgkmcnt(0)
	s_waitcnt_vscnt null, 0x0
	s_barrier
	buffer_gl0_inv
	s_clause 0x2f
	buffer_load_dword v2, off, s[0:3], 0 offset:520
	buffer_load_dword v3, off, s[0:3], 0 offset:524
	;; [unrolled: 1-line block ×48, first 2 shown]
	ds_read_b128 v[91:94], v1 offset:1184
	s_clause 0x3
	buffer_load_dword v150, off, s[0:3], 0 offset:496
	buffer_load_dword v151, off, s[0:3], 0 offset:500
	;; [unrolled: 1-line block ×4, first 2 shown]
	ds_read_b128 v[95:98], v1 offset:1200
	ds_read_b128 v[99:102], v1 offset:1216
	s_mov_b32 s4, exec_lo
	s_waitcnt vmcnt(50) lgkmcnt(2)
	v_mul_f64 v[154:155], v[93:94], v[2:3]
	v_mul_f64 v[2:3], v[91:92], v[2:3]
	s_waitcnt vmcnt(48) lgkmcnt(1)
	v_mul_f64 v[156:157], v[97:98], v[103:104]
	v_mul_f64 v[103:104], v[95:96], v[103:104]
	s_waitcnt vmcnt(46)
	v_fma_f64 v[154:155], v[91:92], v[105:106], -v[154:155]
	v_fma_f64 v[2:3], v[93:94], v[105:106], v[2:3]
	s_waitcnt vmcnt(44) lgkmcnt(0)
	v_mul_f64 v[105:106], v[99:100], v[107:108]
	v_mul_f64 v[107:108], v[101:102], v[107:108]
	s_waitcnt vmcnt(42)
	v_fma_f64 v[156:157], v[95:96], v[109:110], -v[156:157]
	ds_read_b128 v[91:94], v1 offset:1232
	v_fma_f64 v[103:104], v[97:98], v[109:110], v[103:104]
	ds_read_b128 v[95:98], v1 offset:1248
	v_add_f64 v[154:155], v[154:155], 0
	v_add_f64 v[2:3], v[2:3], 0
	s_waitcnt vmcnt(36)
	v_fma_f64 v[105:106], v[101:102], v[117:118], v[105:106]
	s_waitcnt lgkmcnt(1)
	v_mul_f64 v[109:110], v[91:92], v[111:112]
	v_mul_f64 v[111:112], v[93:94], v[111:112]
	v_fma_f64 v[107:108], v[99:100], v[117:118], -v[107:108]
	ds_read_b128 v[99:102], v1 offset:1264
	v_add_f64 v[154:155], v[154:155], v[156:157]
	v_add_f64 v[2:3], v[2:3], v[103:104]
	s_waitcnt vmcnt(35) lgkmcnt(1)
	v_mul_f64 v[103:104], v[95:96], v[113:114]
	v_mul_f64 v[113:114], v[97:98], v[113:114]
	s_waitcnt vmcnt(33)
	v_fma_f64 v[111:112], v[91:92], v[119:120], -v[111:112]
	v_fma_f64 v[109:110], v[93:94], v[119:120], v[109:110]
	ds_read_b128 v[91:94], v1 offset:1280
	s_waitcnt vmcnt(29) lgkmcnt(1)
	v_mul_f64 v[117:118], v[101:102], v[121:122]
	v_add_f64 v[107:108], v[154:155], v[107:108]
	v_add_f64 v[2:3], v[2:3], v[105:106]
	v_mul_f64 v[105:106], v[99:100], v[121:122]
	s_waitcnt vmcnt(28)
	v_fma_f64 v[113:114], v[95:96], v[115:116], -v[113:114]
	v_fma_f64 v[103:104], v[97:98], v[115:116], v[103:104]
	ds_read_b128 v[95:98], v1 offset:1296
	s_waitcnt vmcnt(25)
	v_fma_f64 v[115:116], v[99:100], v[127:128], -v[117:118]
	v_add_f64 v[107:108], v[107:108], v[111:112]
	v_add_f64 v[2:3], v[2:3], v[109:110]
	s_waitcnt lgkmcnt(1)
	v_mul_f64 v[111:112], v[93:94], v[123:124]
	v_mul_f64 v[109:110], v[91:92], v[123:124]
	v_fma_f64 v[105:106], v[101:102], v[127:128], v[105:106]
	ds_read_b128 v[99:102], v1 offset:1312
	v_add_f64 v[107:108], v[107:108], v[113:114]
	v_add_f64 v[2:3], v[2:3], v[103:104]
	s_waitcnt vmcnt(21) lgkmcnt(1)
	v_mul_f64 v[113:114], v[97:98], v[129:130]
	s_waitcnt vmcnt(20)
	v_fma_f64 v[111:112], v[91:92], v[125:126], -v[111:112]
	v_mul_f64 v[103:104], v[95:96], v[129:130]
	v_fma_f64 v[109:110], v[93:94], v[125:126], v[109:110]
	ds_read_b128 v[91:94], v1 offset:1328
	v_add_f64 v[107:108], v[107:108], v[115:116]
	v_add_f64 v[2:3], v[2:3], v[105:106]
	s_waitcnt vmcnt(19) lgkmcnt(1)
	v_mul_f64 v[115:116], v[101:102], v[131:132]
	s_waitcnt vmcnt(17)
	v_fma_f64 v[113:114], v[95:96], v[135:136], -v[113:114]
	;; [unrolled: 9-line block ×3, first 2 shown]
	v_mul_f64 v[109:110], v[91:92], v[137:138]
	v_fma_f64 v[101:102], v[101:102], v[133:134], v[105:106]
	s_waitcnt vmcnt(11) lgkmcnt(0)
	v_mul_f64 v[105:106], v[95:96], v[139:140]
	v_add_f64 v[107:108], v[107:108], v[113:114]
	v_add_f64 v[103:104], v[2:3], v[103:104]
	v_mul_f64 v[113:114], v[97:98], v[139:140]
	s_waitcnt vmcnt(9)
	v_fma_f64 v[91:92], v[91:92], v[143:144], -v[111:112]
	ds_read_b128 v[1:4], v1 offset:1360
	v_fma_f64 v[93:94], v[93:94], v[143:144], v[109:110]
	s_waitcnt vmcnt(6)
	v_fma_f64 v[97:98], v[97:98], v[141:142], v[105:106]
	v_add_f64 v[99:100], v[107:108], v[99:100]
	v_add_f64 v[101:102], v[103:104], v[101:102]
	s_waitcnt lgkmcnt(0)
	v_mul_f64 v[107:108], v[3:4], v[145:146]
	v_fma_f64 v[95:96], v[95:96], v[141:142], -v[113:114]
	v_mul_f64 v[103:104], v[1:2], v[145:146]
	v_add_f64 v[91:92], v[99:100], v[91:92]
	v_add_f64 v[93:94], v[101:102], v[93:94]
	s_waitcnt vmcnt(4)
	v_fma_f64 v[1:2], v[1:2], v[148:149], -v[107:108]
	v_fma_f64 v[3:4], v[3:4], v[148:149], v[103:104]
	v_add_f64 v[91:92], v[91:92], v[95:96]
	v_add_f64 v[93:94], v[93:94], v[97:98]
	;; [unrolled: 1-line block ×4, first 2 shown]
	s_waitcnt vmcnt(2)
	v_add_f64 v[1:2], v[150:151], -v[1:2]
	s_waitcnt vmcnt(0)
	v_add_f64 v[3:4], v[152:153], -v[3:4]
	buffer_store_dword v2, off, s[0:3], 0 offset:500
	buffer_store_dword v1, off, s[0:3], 0 offset:496
	;; [unrolled: 1-line block ×4, first 2 shown]
	v_cmpx_lt_u32_e32 29, v0
	s_cbranch_execz .LBB106_213
; %bb.212:
	v_mov_b32_e32 v4, s25
	v_mov_b32_e32 v91, 0
	s_clause 0x3
	buffer_load_dword v1, v4, s[0:3], 0 offen
	buffer_load_dword v2, v4, s[0:3], 0 offen offset:4
	buffer_load_dword v3, v4, s[0:3], 0 offen offset:8
	;; [unrolled: 1-line block ×3, first 2 shown]
	buffer_store_dword v91, off, s[0:3], 0 offset:480
	buffer_store_dword v91, off, s[0:3], 0 offset:484
	;; [unrolled: 1-line block ×4, first 2 shown]
	s_waitcnt vmcnt(0)
	ds_write_b128 v147, v[1:4]
.LBB106_213:
	s_or_b32 exec_lo, exec_lo, s4
	s_waitcnt lgkmcnt(0)
	s_waitcnt_vscnt null, 0x0
	s_barrier
	buffer_gl0_inv
	s_clause 0x33
	buffer_load_dword v2, off, s[0:3], 0 offset:504
	buffer_load_dword v3, off, s[0:3], 0 offset:508
	buffer_load_dword v103, off, s[0:3], 0 offset:520
	buffer_load_dword v104, off, s[0:3], 0 offset:524
	buffer_load_dword v105, off, s[0:3], 0 offset:496
	buffer_load_dword v106, off, s[0:3], 0 offset:500
	buffer_load_dword v107, off, s[0:3], 0 offset:536
	buffer_load_dword v108, off, s[0:3], 0 offset:540
	buffer_load_dword v109, off, s[0:3], 0 offset:512
	buffer_load_dword v110, off, s[0:3], 0 offset:516
	buffer_load_dword v112, off, s[0:3], 0 offset:556
	buffer_load_dword v111, off, s[0:3], 0 offset:552
	buffer_load_dword v113, off, s[0:3], 0 offset:528
	buffer_load_dword v114, off, s[0:3], 0 offset:532
	buffer_load_dword v115, off, s[0:3], 0 offset:568
	buffer_load_dword v116, off, s[0:3], 0 offset:572
	buffer_load_dword v118, off, s[0:3], 0 offset:548
	buffer_load_dword v117, off, s[0:3], 0 offset:544
	buffer_load_dword v120, off, s[0:3], 0 offset:588
	buffer_load_dword v119, off, s[0:3], 0 offset:584
	buffer_load_dword v121, off, s[0:3], 0 offset:560
	buffer_load_dword v122, off, s[0:3], 0 offset:564
	buffer_load_dword v123, off, s[0:3], 0 offset:600
	buffer_load_dword v124, off, s[0:3], 0 offset:604
	buffer_load_dword v126, off, s[0:3], 0 offset:580
	buffer_load_dword v125, off, s[0:3], 0 offset:576
	buffer_load_dword v128, off, s[0:3], 0 offset:620
	buffer_load_dword v127, off, s[0:3], 0 offset:616
	buffer_load_dword v129, off, s[0:3], 0 offset:592
	buffer_load_dword v130, off, s[0:3], 0 offset:596
	buffer_load_dword v131, off, s[0:3], 0 offset:632
	buffer_load_dword v132, off, s[0:3], 0 offset:636
	buffer_load_dword v134, off, s[0:3], 0 offset:612
	buffer_load_dword v133, off, s[0:3], 0 offset:608
	buffer_load_dword v136, off, s[0:3], 0 offset:652
	buffer_load_dword v135, off, s[0:3], 0 offset:648
	buffer_load_dword v137, off, s[0:3], 0 offset:624
	buffer_load_dword v138, off, s[0:3], 0 offset:628
	buffer_load_dword v139, off, s[0:3], 0 offset:664
	buffer_load_dword v140, off, s[0:3], 0 offset:668
	buffer_load_dword v142, off, s[0:3], 0 offset:644
	buffer_load_dword v141, off, s[0:3], 0 offset:640
	buffer_load_dword v144, off, s[0:3], 0 offset:684
	buffer_load_dword v143, off, s[0:3], 0 offset:680
	buffer_load_dword v145, off, s[0:3], 0 offset:656
	buffer_load_dword v146, off, s[0:3], 0 offset:660
	buffer_load_dword v148, off, s[0:3], 0 offset:696
	buffer_load_dword v149, off, s[0:3], 0 offset:700
	buffer_load_dword v151, off, s[0:3], 0 offset:676
	buffer_load_dword v150, off, s[0:3], 0 offset:672
	buffer_load_dword v152, off, s[0:3], 0 offset:688
	buffer_load_dword v153, off, s[0:3], 0 offset:692
	v_mov_b32_e32 v1, 0
	s_mov_b32 s4, exec_lo
	ds_read_b128 v[91:94], v1 offset:1168
	ds_read_b128 v[95:98], v1 offset:1184
	s_clause 0x3
	buffer_load_dword v156, off, s[0:3], 0 offset:480
	buffer_load_dword v157, off, s[0:3], 0 offset:484
	;; [unrolled: 1-line block ×4, first 2 shown]
	ds_read_b128 v[99:102], v1 offset:1200
	s_waitcnt vmcnt(54) lgkmcnt(2)
	v_mul_f64 v[154:155], v[93:94], v[2:3]
	v_mul_f64 v[2:3], v[91:92], v[2:3]
	s_waitcnt vmcnt(52) lgkmcnt(1)
	v_mul_f64 v[160:161], v[97:98], v[103:104]
	v_mul_f64 v[103:104], v[95:96], v[103:104]
	s_waitcnt vmcnt(50)
	v_fma_f64 v[154:155], v[91:92], v[105:106], -v[154:155]
	v_fma_f64 v[2:3], v[93:94], v[105:106], v[2:3]
	ds_read_b128 v[91:94], v1 offset:1216
	s_waitcnt vmcnt(48) lgkmcnt(1)
	v_mul_f64 v[105:106], v[99:100], v[107:108]
	v_mul_f64 v[107:108], v[101:102], v[107:108]
	s_waitcnt vmcnt(46)
	v_fma_f64 v[160:161], v[95:96], v[109:110], -v[160:161]
	v_fma_f64 v[103:104], v[97:98], v[109:110], v[103:104]
	ds_read_b128 v[95:98], v1 offset:1232
	s_waitcnt vmcnt(44) lgkmcnt(1)
	v_mul_f64 v[109:110], v[91:92], v[111:112]
	v_add_f64 v[154:155], v[154:155], 0
	v_add_f64 v[2:3], v[2:3], 0
	v_mul_f64 v[111:112], v[93:94], v[111:112]
	s_waitcnt vmcnt(42)
	v_fma_f64 v[107:108], v[99:100], v[113:114], -v[107:108]
	v_fma_f64 v[105:106], v[101:102], v[113:114], v[105:106]
	ds_read_b128 v[99:102], v1 offset:1248
	s_waitcnt vmcnt(40) lgkmcnt(1)
	v_mul_f64 v[113:114], v[97:98], v[115:116]
	s_waitcnt vmcnt(38)
	v_fma_f64 v[109:110], v[93:94], v[117:118], v[109:110]
	v_add_f64 v[154:155], v[154:155], v[160:161]
	v_add_f64 v[2:3], v[2:3], v[103:104]
	v_fma_f64 v[111:112], v[91:92], v[117:118], -v[111:112]
	v_mul_f64 v[103:104], v[95:96], v[115:116]
	s_waitcnt vmcnt(36) lgkmcnt(0)
	v_mul_f64 v[115:116], v[101:102], v[119:120]
	ds_read_b128 v[91:94], v1 offset:1264
	s_waitcnt vmcnt(34)
	v_fma_f64 v[113:114], v[95:96], v[121:122], -v[113:114]
	v_add_f64 v[107:108], v[154:155], v[107:108]
	v_add_f64 v[2:3], v[2:3], v[105:106]
	v_mul_f64 v[105:106], v[99:100], v[119:120]
	v_fma_f64 v[103:104], v[97:98], v[121:122], v[103:104]
	ds_read_b128 v[95:98], v1 offset:1280
	s_waitcnt vmcnt(30)
	v_fma_f64 v[115:116], v[99:100], v[125:126], -v[115:116]
	v_add_f64 v[107:108], v[107:108], v[111:112]
	v_add_f64 v[2:3], v[2:3], v[109:110]
	s_waitcnt lgkmcnt(1)
	v_mul_f64 v[111:112], v[93:94], v[123:124]
	v_mul_f64 v[109:110], v[91:92], v[123:124]
	v_fma_f64 v[105:106], v[101:102], v[125:126], v[105:106]
	ds_read_b128 v[99:102], v1 offset:1296
	v_add_f64 v[107:108], v[107:108], v[113:114]
	v_add_f64 v[2:3], v[2:3], v[103:104]
	s_waitcnt vmcnt(28) lgkmcnt(1)
	v_mul_f64 v[113:114], v[97:98], v[127:128]
	s_waitcnt vmcnt(26)
	v_fma_f64 v[111:112], v[91:92], v[129:130], -v[111:112]
	v_mul_f64 v[103:104], v[95:96], v[127:128]
	v_fma_f64 v[109:110], v[93:94], v[129:130], v[109:110]
	ds_read_b128 v[91:94], v1 offset:1312
	v_add_f64 v[107:108], v[107:108], v[115:116]
	v_add_f64 v[2:3], v[2:3], v[105:106]
	s_waitcnt vmcnt(24) lgkmcnt(1)
	v_mul_f64 v[115:116], v[101:102], v[131:132]
	s_waitcnt vmcnt(22)
	v_fma_f64 v[113:114], v[95:96], v[133:134], -v[113:114]
	v_mul_f64 v[105:106], v[99:100], v[131:132]
	v_fma_f64 v[103:104], v[97:98], v[133:134], v[103:104]
	ds_read_b128 v[95:98], v1 offset:1328
	v_add_f64 v[107:108], v[107:108], v[111:112]
	v_add_f64 v[2:3], v[2:3], v[109:110]
	s_waitcnt vmcnt(20) lgkmcnt(1)
	v_mul_f64 v[111:112], v[93:94], v[135:136]
	s_waitcnt vmcnt(18)
	v_fma_f64 v[115:116], v[99:100], v[137:138], -v[115:116]
	v_mul_f64 v[109:110], v[91:92], v[135:136]
	v_fma_f64 v[105:106], v[101:102], v[137:138], v[105:106]
	ds_read_b128 v[99:102], v1 offset:1344
	v_add_f64 v[107:108], v[107:108], v[113:114]
	v_add_f64 v[2:3], v[2:3], v[103:104]
	s_waitcnt vmcnt(16) lgkmcnt(1)
	v_mul_f64 v[113:114], v[97:98], v[139:140]
	s_waitcnt vmcnt(14)
	v_fma_f64 v[111:112], v[91:92], v[141:142], -v[111:112]
	v_mul_f64 v[103:104], v[95:96], v[139:140]
	v_fma_f64 v[109:110], v[93:94], v[141:142], v[109:110]
	ds_read_b128 v[91:94], v1 offset:1360
	v_add_f64 v[107:108], v[107:108], v[115:116]
	v_add_f64 v[2:3], v[2:3], v[105:106]
	s_waitcnt vmcnt(12) lgkmcnt(1)
	v_mul_f64 v[115:116], v[101:102], v[143:144]
	s_waitcnt vmcnt(10)
	v_fma_f64 v[95:96], v[95:96], v[145:146], -v[113:114]
	v_mul_f64 v[105:106], v[99:100], v[143:144]
	v_fma_f64 v[97:98], v[97:98], v[145:146], v[103:104]
	s_waitcnt vmcnt(8) lgkmcnt(0)
	v_mul_f64 v[103:104], v[91:92], v[148:149]
	v_add_f64 v[107:108], v[107:108], v[111:112]
	v_add_f64 v[2:3], v[2:3], v[109:110]
	v_mul_f64 v[109:110], v[93:94], v[148:149]
	s_waitcnt vmcnt(6)
	v_fma_f64 v[99:100], v[99:100], v[150:151], -v[115:116]
	v_fma_f64 v[101:102], v[101:102], v[150:151], v[105:106]
	s_waitcnt vmcnt(4)
	v_fma_f64 v[93:94], v[93:94], v[152:153], v[103:104]
	v_add_f64 v[95:96], v[107:108], v[95:96]
	v_add_f64 v[2:3], v[2:3], v[97:98]
	v_fma_f64 v[91:92], v[91:92], v[152:153], -v[109:110]
	v_add_f64 v[95:96], v[95:96], v[99:100]
	v_add_f64 v[2:3], v[2:3], v[101:102]
	;; [unrolled: 1-line block ×4, first 2 shown]
	s_waitcnt vmcnt(2)
	v_add_f64 v[91:92], v[156:157], -v[91:92]
	s_waitcnt vmcnt(0)
	v_add_f64 v[2:3], v[158:159], -v[2:3]
	buffer_store_dword v92, off, s[0:3], 0 offset:484
	buffer_store_dword v91, off, s[0:3], 0 offset:480
	;; [unrolled: 1-line block ×4, first 2 shown]
	v_cmpx_lt_u32_e32 28, v0
	s_cbranch_execz .LBB106_215
; %bb.214:
	v_mov_b32_e32 v2, s26
	s_clause 0x3
	buffer_load_dword v91, v2, s[0:3], 0 offen
	buffer_load_dword v92, v2, s[0:3], 0 offen offset:4
	buffer_load_dword v93, v2, s[0:3], 0 offen offset:8
	;; [unrolled: 1-line block ×3, first 2 shown]
	buffer_store_dword v1, off, s[0:3], 0 offset:464
	buffer_store_dword v1, off, s[0:3], 0 offset:468
	;; [unrolled: 1-line block ×4, first 2 shown]
	s_waitcnt vmcnt(0)
	ds_write_b128 v147, v[91:94]
.LBB106_215:
	s_or_b32 exec_lo, exec_lo, s4
	s_waitcnt lgkmcnt(0)
	s_waitcnt_vscnt null, 0x0
	s_barrier
	buffer_gl0_inv
	s_clause 0x35
	buffer_load_dword v2, off, s[0:3], 0 offset:488
	buffer_load_dword v3, off, s[0:3], 0 offset:492
	;; [unrolled: 1-line block ×54, first 2 shown]
	ds_read_b128 v[91:94], v1 offset:1152
	s_clause 0x1
	buffer_load_dword v157, off, s[0:3], 0 offset:692
	buffer_load_dword v156, off, s[0:3], 0 offset:688
	ds_read_b128 v[95:98], v1 offset:1168
	ds_read_b128 v[99:102], v1 offset:1184
	s_mov_b32 s4, exec_lo
	s_waitcnt vmcnt(54) lgkmcnt(2)
	v_mul_f64 v[158:159], v[93:94], v[2:3]
	v_mul_f64 v[2:3], v[91:92], v[2:3]
	s_waitcnt vmcnt(52) lgkmcnt(1)
	v_mul_f64 v[160:161], v[97:98], v[103:104]
	v_mul_f64 v[103:104], v[95:96], v[103:104]
	;; [unrolled: 3-line block ×3, first 2 shown]
	v_fma_f64 v[158:159], v[91:92], v[105:106], -v[158:159]
	v_fma_f64 v[2:3], v[93:94], v[105:106], v[2:3]
	s_clause 0x3
	buffer_load_dword v105, off, s[0:3], 0 offset:464
	buffer_load_dword v106, off, s[0:3], 0 offset:468
	;; [unrolled: 1-line block ×4, first 2 shown]
	s_waitcnt vmcnt(50)
	v_fma_f64 v[160:161], v[95:96], v[109:110], -v[160:161]
	ds_read_b128 v[91:94], v1 offset:1200
	v_fma_f64 v[103:104], v[97:98], v[109:110], v[103:104]
	ds_read_b128 v[95:98], v1 offset:1216
	s_waitcnt vmcnt(44)
	v_fma_f64 v[107:108], v[99:100], v[117:118], -v[107:108]
	v_fma_f64 v[117:118], v[101:102], v[117:118], v[164:165]
	ds_read_b128 v[99:102], v1 offset:1232
	v_add_f64 v[158:159], v[158:159], 0
	v_add_f64 v[2:3], v[2:3], 0
	s_waitcnt lgkmcnt(2)
	v_mul_f64 v[109:110], v[91:92], v[111:112]
	v_mul_f64 v[111:112], v[93:94], v[111:112]
	v_add_f64 v[158:159], v[158:159], v[160:161]
	v_add_f64 v[2:3], v[2:3], v[103:104]
	s_waitcnt vmcnt(43) lgkmcnt(1)
	v_mul_f64 v[103:104], v[95:96], v[113:114]
	v_mul_f64 v[113:114], v[97:98], v[113:114]
	s_waitcnt vmcnt(41)
	v_fma_f64 v[111:112], v[91:92], v[119:120], -v[111:112]
	v_fma_f64 v[109:110], v[93:94], v[119:120], v[109:110]
	ds_read_b128 v[91:94], v1 offset:1248
	s_waitcnt vmcnt(37) lgkmcnt(1)
	v_mul_f64 v[119:120], v[101:102], v[121:122]
	v_add_f64 v[107:108], v[158:159], v[107:108]
	v_add_f64 v[2:3], v[2:3], v[117:118]
	v_mul_f64 v[117:118], v[99:100], v[121:122]
	s_waitcnt vmcnt(36)
	v_fma_f64 v[113:114], v[95:96], v[115:116], -v[113:114]
	v_fma_f64 v[103:104], v[97:98], v[115:116], v[103:104]
	ds_read_b128 v[95:98], v1 offset:1264
	s_waitcnt vmcnt(33)
	v_fma_f64 v[115:116], v[99:100], v[127:128], -v[119:120]
	v_add_f64 v[107:108], v[107:108], v[111:112]
	v_add_f64 v[2:3], v[2:3], v[109:110]
	s_waitcnt lgkmcnt(1)
	v_mul_f64 v[111:112], v[93:94], v[123:124]
	v_mul_f64 v[109:110], v[91:92], v[123:124]
	v_add_f64 v[107:108], v[107:108], v[113:114]
	v_fma_f64 v[113:114], v[101:102], v[127:128], v[117:118]
	v_add_f64 v[2:3], v[2:3], v[103:104]
	ds_read_b128 v[99:102], v1 offset:1280
	s_waitcnt vmcnt(29) lgkmcnt(1)
	v_mul_f64 v[117:118], v[97:98], v[129:130]
	s_waitcnt vmcnt(28)
	v_fma_f64 v[111:112], v[91:92], v[125:126], -v[111:112]
	v_mul_f64 v[103:104], v[95:96], v[129:130]
	v_fma_f64 v[109:110], v[93:94], v[125:126], v[109:110]
	ds_read_b128 v[91:94], v1 offset:1296
	v_add_f64 v[107:108], v[107:108], v[115:116]
	s_waitcnt vmcnt(27) lgkmcnt(1)
	v_mul_f64 v[115:116], v[101:102], v[131:132]
	v_add_f64 v[2:3], v[2:3], v[113:114]
	v_mul_f64 v[113:114], v[99:100], v[131:132]
	s_waitcnt vmcnt(25)
	v_fma_f64 v[117:118], v[95:96], v[135:136], -v[117:118]
	v_fma_f64 v[103:104], v[97:98], v[135:136], v[103:104]
	ds_read_b128 v[95:98], v1 offset:1312
	v_add_f64 v[107:108], v[107:108], v[111:112]
	s_waitcnt vmcnt(21) lgkmcnt(1)
	v_mul_f64 v[111:112], v[93:94], v[137:138]
	v_add_f64 v[2:3], v[2:3], v[109:110]
	s_waitcnt vmcnt(20)
	v_fma_f64 v[115:116], v[99:100], v[133:134], -v[115:116]
	v_mul_f64 v[109:110], v[91:92], v[137:138]
	v_fma_f64 v[113:114], v[101:102], v[133:134], v[113:114]
	ds_read_b128 v[99:102], v1 offset:1328
	v_add_f64 v[107:108], v[107:108], v[117:118]
	s_waitcnt vmcnt(19) lgkmcnt(1)
	v_mul_f64 v[117:118], v[97:98], v[139:140]
	v_add_f64 v[2:3], v[2:3], v[103:104]
	s_waitcnt vmcnt(17)
	v_fma_f64 v[111:112], v[91:92], v[143:144], -v[111:112]
	v_mul_f64 v[103:104], v[95:96], v[139:140]
	v_fma_f64 v[109:110], v[93:94], v[143:144], v[109:110]
	ds_read_b128 v[91:94], v1 offset:1344
	v_add_f64 v[107:108], v[107:108], v[115:116]
	s_waitcnt vmcnt(13) lgkmcnt(1)
	v_mul_f64 v[115:116], v[101:102], v[145:146]
	v_add_f64 v[2:3], v[2:3], v[113:114]
	s_waitcnt vmcnt(12)
	v_fma_f64 v[95:96], v[95:96], v[141:142], -v[117:118]
	v_mul_f64 v[113:114], v[99:100], v[145:146]
	v_fma_f64 v[97:98], v[97:98], v[141:142], v[103:104]
	v_add_f64 v[107:108], v[107:108], v[111:112]
	s_waitcnt vmcnt(11) lgkmcnt(0)
	v_mul_f64 v[111:112], v[93:94], v[148:149]
	v_add_f64 v[103:104], v[2:3], v[109:110]
	s_waitcnt vmcnt(9)
	v_fma_f64 v[99:100], v[99:100], v[152:153], -v[115:116]
	ds_read_b128 v[1:4], v1 offset:1360
	v_mul_f64 v[109:110], v[91:92], v[148:149]
	v_fma_f64 v[101:102], v[101:102], v[152:153], v[113:114]
	v_add_f64 v[95:96], v[107:108], v[95:96]
	s_waitcnt vmcnt(6)
	v_fma_f64 v[91:92], v[91:92], v[150:151], -v[111:112]
	v_add_f64 v[97:98], v[103:104], v[97:98]
	s_waitcnt lgkmcnt(0)
	v_mul_f64 v[107:108], v[3:4], v[154:155]
	v_mul_f64 v[103:104], v[1:2], v[154:155]
	v_fma_f64 v[93:94], v[93:94], v[150:151], v[109:110]
	v_add_f64 v[95:96], v[95:96], v[99:100]
	v_add_f64 v[97:98], v[97:98], v[101:102]
	s_waitcnt vmcnt(4)
	v_fma_f64 v[1:2], v[1:2], v[156:157], -v[107:108]
	v_fma_f64 v[3:4], v[3:4], v[156:157], v[103:104]
	v_add_f64 v[91:92], v[95:96], v[91:92]
	v_add_f64 v[93:94], v[97:98], v[93:94]
	;; [unrolled: 1-line block ×4, first 2 shown]
	s_waitcnt vmcnt(2)
	v_add_f64 v[1:2], v[105:106], -v[1:2]
	s_waitcnt vmcnt(0)
	v_add_f64 v[3:4], v[162:163], -v[3:4]
	buffer_store_dword v2, off, s[0:3], 0 offset:468
	buffer_store_dword v1, off, s[0:3], 0 offset:464
	;; [unrolled: 1-line block ×4, first 2 shown]
	v_cmpx_lt_u32_e32 27, v0
	s_cbranch_execz .LBB106_217
; %bb.216:
	v_mov_b32_e32 v4, s27
	v_mov_b32_e32 v91, 0
	s_clause 0x3
	buffer_load_dword v1, v4, s[0:3], 0 offen
	buffer_load_dword v2, v4, s[0:3], 0 offen offset:4
	buffer_load_dword v3, v4, s[0:3], 0 offen offset:8
	;; [unrolled: 1-line block ×3, first 2 shown]
	buffer_store_dword v91, off, s[0:3], 0 offset:448
	buffer_store_dword v91, off, s[0:3], 0 offset:452
	;; [unrolled: 1-line block ×4, first 2 shown]
	s_waitcnt vmcnt(0)
	ds_write_b128 v147, v[1:4]
.LBB106_217:
	s_or_b32 exec_lo, exec_lo, s4
	s_waitcnt lgkmcnt(0)
	s_waitcnt_vscnt null, 0x0
	s_barrier
	buffer_gl0_inv
	s_clause 0x37
	buffer_load_dword v2, off, s[0:3], 0 offset:472
	buffer_load_dword v3, off, s[0:3], 0 offset:476
	;; [unrolled: 1-line block ×56, first 2 shown]
	v_mov_b32_e32 v1, 0
	s_mov_b32 s4, exec_lo
	ds_read_b128 v[91:94], v1 offset:1136
	s_clause 0x2
	buffer_load_dword v157, off, s[0:3], 0 offset:700
	buffer_load_dword v161, off, s[0:3], 0 offset:676
	;; [unrolled: 1-line block ×3, first 2 shown]
	ds_read_b128 v[95:98], v1 offset:1152
	ds_read_b128 v[99:102], v1 offset:1168
	buffer_load_dword v159, off, s[0:3], 0 offset:692
	s_waitcnt vmcnt(58) lgkmcnt(2)
	v_mul_f64 v[162:163], v[93:94], v[2:3]
	v_mul_f64 v[2:3], v[91:92], v[2:3]
	s_waitcnt vmcnt(56) lgkmcnt(1)
	v_mul_f64 v[164:165], v[97:98], v[103:104]
	v_mul_f64 v[103:104], v[95:96], v[103:104]
	s_waitcnt vmcnt(54)
	v_fma_f64 v[162:163], v[91:92], v[105:106], -v[162:163]
	v_fma_f64 v[2:3], v[93:94], v[105:106], v[2:3]
	s_waitcnt vmcnt(52) lgkmcnt(0)
	v_mul_f64 v[105:106], v[99:100], v[107:108]
	v_mul_f64 v[107:108], v[101:102], v[107:108]
	s_waitcnt vmcnt(50)
	v_fma_f64 v[164:165], v[95:96], v[109:110], -v[164:165]
	ds_read_b128 v[91:94], v1 offset:1184
	v_fma_f64 v[103:104], v[97:98], v[109:110], v[103:104]
	s_clause 0x3
	buffer_load_dword v109, off, s[0:3], 0 offset:448
	buffer_load_dword v110, off, s[0:3], 0 offset:452
	;; [unrolled: 1-line block ×4, first 2 shown]
	ds_read_b128 v[95:98], v1 offset:1200
	v_add_f64 v[162:163], v[162:163], 0
	v_add_f64 v[2:3], v[2:3], 0
	s_waitcnt vmcnt(48)
	v_fma_f64 v[105:106], v[101:102], v[117:118], v[105:106]
	s_waitcnt lgkmcnt(1)
	v_mul_f64 v[168:169], v[91:92], v[111:112]
	v_mul_f64 v[111:112], v[93:94], v[111:112]
	v_fma_f64 v[107:108], v[99:100], v[117:118], -v[107:108]
	ds_read_b128 v[99:102], v1 offset:1216
	v_add_f64 v[162:163], v[162:163], v[164:165]
	v_add_f64 v[2:3], v[2:3], v[103:104]
	s_waitcnt vmcnt(47) lgkmcnt(1)
	v_mul_f64 v[103:104], v[95:96], v[113:114]
	v_mul_f64 v[113:114], v[97:98], v[113:114]
	s_waitcnt vmcnt(45)
	v_fma_f64 v[111:112], v[91:92], v[119:120], -v[111:112]
	v_fma_f64 v[117:118], v[93:94], v[119:120], v[168:169]
	s_waitcnt vmcnt(41) lgkmcnt(0)
	v_mul_f64 v[119:120], v[101:102], v[121:122]
	ds_read_b128 v[91:94], v1 offset:1232
	v_add_f64 v[107:108], v[162:163], v[107:108]
	v_add_f64 v[2:3], v[2:3], v[105:106]
	v_mul_f64 v[105:106], v[99:100], v[121:122]
	s_waitcnt vmcnt(40)
	v_fma_f64 v[113:114], v[95:96], v[115:116], -v[113:114]
	v_fma_f64 v[103:104], v[97:98], v[115:116], v[103:104]
	ds_read_b128 v[95:98], v1 offset:1248
	s_waitcnt vmcnt(39) lgkmcnt(1)
	v_mul_f64 v[115:116], v[93:94], v[123:124]
	v_add_f64 v[107:108], v[107:108], v[111:112]
	v_add_f64 v[2:3], v[2:3], v[117:118]
	s_waitcnt vmcnt(37)
	v_fma_f64 v[117:118], v[99:100], v[127:128], -v[119:120]
	v_mul_f64 v[111:112], v[91:92], v[123:124]
	v_fma_f64 v[105:106], v[101:102], v[127:128], v[105:106]
	ds_read_b128 v[99:102], v1 offset:1264
	s_waitcnt vmcnt(32)
	v_fma_f64 v[115:116], v[91:92], v[125:126], -v[115:116]
	v_add_f64 v[107:108], v[107:108], v[113:114]
	v_add_f64 v[2:3], v[2:3], v[103:104]
	s_waitcnt lgkmcnt(1)
	v_mul_f64 v[113:114], v[97:98], v[129:130]
	v_mul_f64 v[103:104], v[95:96], v[129:130]
	v_fma_f64 v[111:112], v[93:94], v[125:126], v[111:112]
	ds_read_b128 v[91:94], v1 offset:1280
	v_add_f64 v[107:108], v[107:108], v[117:118]
	v_add_f64 v[2:3], v[2:3], v[105:106]
	s_waitcnt vmcnt(31) lgkmcnt(1)
	v_mul_f64 v[117:118], v[101:102], v[131:132]
	s_waitcnt vmcnt(29)
	v_fma_f64 v[113:114], v[95:96], v[135:136], -v[113:114]
	v_mul_f64 v[105:106], v[99:100], v[131:132]
	v_fma_f64 v[103:104], v[97:98], v[135:136], v[103:104]
	ds_read_b128 v[95:98], v1 offset:1296
	v_add_f64 v[107:108], v[107:108], v[115:116]
	v_add_f64 v[2:3], v[2:3], v[111:112]
	s_waitcnt vmcnt(25) lgkmcnt(1)
	v_mul_f64 v[115:116], v[93:94], v[137:138]
	s_waitcnt vmcnt(24)
	v_fma_f64 v[117:118], v[99:100], v[133:134], -v[117:118]
	;; [unrolled: 9-line block ×6, first 2 shown]
	v_mul_f64 v[103:104], v[95:96], v[154:155]
	v_fma_f64 v[93:94], v[93:94], v[150:151], v[111:112]
	s_waitcnt vmcnt(7) lgkmcnt(0)
	v_mul_f64 v[111:112], v[101:102], v[156:157]
	v_add_f64 v[107:108], v[107:108], v[117:118]
	v_add_f64 v[2:3], v[2:3], v[105:106]
	s_waitcnt vmcnt(5)
	v_fma_f64 v[95:96], v[95:96], v[160:161], -v[113:114]
	v_mul_f64 v[105:106], v[99:100], v[156:157]
	v_fma_f64 v[97:98], v[97:98], v[160:161], v[103:104]
	v_add_f64 v[91:92], v[107:108], v[91:92]
	v_add_f64 v[2:3], v[2:3], v[93:94]
	s_waitcnt vmcnt(4)
	v_fma_f64 v[93:94], v[99:100], v[158:159], -v[111:112]
	v_add_f64 v[91:92], v[91:92], v[95:96]
	v_fma_f64 v[95:96], v[101:102], v[158:159], v[105:106]
	v_add_f64 v[2:3], v[2:3], v[97:98]
	v_add_f64 v[91:92], v[91:92], v[93:94]
	;; [unrolled: 1-line block ×3, first 2 shown]
	s_waitcnt vmcnt(2)
	v_add_f64 v[91:92], v[109:110], -v[91:92]
	s_waitcnt vmcnt(0)
	v_add_f64 v[2:3], v[166:167], -v[2:3]
	buffer_store_dword v92, off, s[0:3], 0 offset:452
	buffer_store_dword v91, off, s[0:3], 0 offset:448
	;; [unrolled: 1-line block ×4, first 2 shown]
	v_cmpx_lt_u32_e32 26, v0
	s_cbranch_execz .LBB106_219
; %bb.218:
	v_mov_b32_e32 v2, s28
	s_clause 0x3
	buffer_load_dword v91, v2, s[0:3], 0 offen
	buffer_load_dword v92, v2, s[0:3], 0 offen offset:4
	buffer_load_dword v93, v2, s[0:3], 0 offen offset:8
	;; [unrolled: 1-line block ×3, first 2 shown]
	buffer_store_dword v1, off, s[0:3], 0 offset:432
	buffer_store_dword v1, off, s[0:3], 0 offset:436
	;; [unrolled: 1-line block ×4, first 2 shown]
	s_waitcnt vmcnt(0)
	ds_write_b128 v147, v[91:94]
.LBB106_219:
	s_or_b32 exec_lo, exec_lo, s4
	s_waitcnt lgkmcnt(0)
	s_waitcnt_vscnt null, 0x0
	s_barrier
	buffer_gl0_inv
	s_clause 0x37
	buffer_load_dword v2, off, s[0:3], 0 offset:456
	buffer_load_dword v3, off, s[0:3], 0 offset:460
	;; [unrolled: 1-line block ×56, first 2 shown]
	ds_read_b128 v[91:94], v1 offset:1120
	s_clause 0x2
	buffer_load_dword v157, off, s[0:3], 0 offset:684
	buffer_load_dword v161, off, s[0:3], 0 offset:660
	;; [unrolled: 1-line block ×3, first 2 shown]
	ds_read_b128 v[95:98], v1 offset:1136
	s_clause 0x2
	buffer_load_dword v165, off, s[0:3], 0 offset:700
	buffer_load_dword v164, off, s[0:3], 0 offset:696
	;; [unrolled: 1-line block ×3, first 2 shown]
	ds_read_b128 v[99:102], v1 offset:1152
	s_mov_b32 s4, exec_lo
	s_waitcnt vmcnt(60) lgkmcnt(2)
	v_mul_f64 v[162:163], v[93:94], v[2:3]
	v_mul_f64 v[2:3], v[91:92], v[2:3]
	s_waitcnt vmcnt(58) lgkmcnt(1)
	v_mul_f64 v[166:167], v[97:98], v[103:104]
	v_mul_f64 v[103:104], v[95:96], v[103:104]
	;; [unrolled: 3-line block ×3, first 2 shown]
	v_fma_f64 v[162:163], v[91:92], v[105:106], -v[162:163]
	v_fma_f64 v[2:3], v[93:94], v[105:106], v[2:3]
	s_clause 0x1
	buffer_load_dword v106, off, s[0:3], 0 offset:692
	buffer_load_dword v105, off, s[0:3], 0 offset:688
	s_waitcnt vmcnt(54)
	v_fma_f64 v[166:167], v[95:96], v[109:110], -v[166:167]
	ds_read_b128 v[91:94], v1 offset:1168
	v_fma_f64 v[103:104], v[97:98], v[109:110], v[103:104]
	ds_read_b128 v[95:98], v1 offset:1184
	s_waitcnt vmcnt(48)
	v_fma_f64 v[107:108], v[99:100], v[117:118], -v[107:108]
	v_fma_f64 v[117:118], v[101:102], v[117:118], v[168:169]
	v_add_f64 v[162:163], v[162:163], 0
	v_add_f64 v[2:3], v[2:3], 0
	s_waitcnt lgkmcnt(1)
	v_mul_f64 v[109:110], v[91:92], v[111:112]
	v_mul_f64 v[111:112], v[93:94], v[111:112]
	s_waitcnt vmcnt(47) lgkmcnt(0)
	v_mul_f64 v[168:169], v[95:96], v[113:114]
	v_mul_f64 v[113:114], v[97:98], v[113:114]
	v_add_f64 v[162:163], v[162:163], v[166:167]
	v_add_f64 v[2:3], v[2:3], v[103:104]
	s_clause 0x3
	buffer_load_dword v103, off, s[0:3], 0 offset:432
	buffer_load_dword v104, off, s[0:3], 0 offset:436
	;; [unrolled: 1-line block ×4, first 2 shown]
	s_waitcnt vmcnt(49)
	v_fma_f64 v[111:112], v[91:92], v[119:120], -v[111:112]
	ds_read_b128 v[99:102], v1 offset:1200
	v_fma_f64 v[109:110], v[93:94], v[119:120], v[109:110]
	ds_read_b128 v[91:94], v1 offset:1216
	s_waitcnt vmcnt(44)
	v_fma_f64 v[113:114], v[95:96], v[115:116], -v[113:114]
	v_add_f64 v[107:108], v[162:163], v[107:108]
	v_add_f64 v[2:3], v[2:3], v[117:118]
	s_waitcnt lgkmcnt(1)
	v_mul_f64 v[119:120], v[101:102], v[121:122]
	v_mul_f64 v[117:118], v[99:100], v[121:122]
	v_add_f64 v[107:108], v[107:108], v[111:112]
	v_fma_f64 v[111:112], v[97:98], v[115:116], v[168:169]
	v_add_f64 v[2:3], v[2:3], v[109:110]
	s_waitcnt vmcnt(43) lgkmcnt(0)
	v_mul_f64 v[115:116], v[93:94], v[123:124]
	s_waitcnt vmcnt(41)
	v_fma_f64 v[119:120], v[99:100], v[127:128], -v[119:120]
	ds_read_b128 v[95:98], v1 offset:1232
	v_mul_f64 v[109:110], v[91:92], v[123:124]
	v_add_f64 v[107:108], v[107:108], v[113:114]
	v_fma_f64 v[113:114], v[101:102], v[127:128], v[117:118]
	v_add_f64 v[2:3], v[2:3], v[111:112]
	ds_read_b128 v[99:102], v1 offset:1248
	s_waitcnt vmcnt(37) lgkmcnt(1)
	v_mul_f64 v[117:118], v[97:98], v[129:130]
	s_waitcnt vmcnt(36)
	v_fma_f64 v[115:116], v[91:92], v[125:126], -v[115:116]
	v_mul_f64 v[111:112], v[95:96], v[129:130]
	v_fma_f64 v[109:110], v[93:94], v[125:126], v[109:110]
	ds_read_b128 v[91:94], v1 offset:1264
	v_add_f64 v[107:108], v[107:108], v[119:120]
	s_waitcnt vmcnt(35) lgkmcnt(1)
	v_mul_f64 v[119:120], v[101:102], v[131:132]
	v_add_f64 v[2:3], v[2:3], v[113:114]
	v_mul_f64 v[113:114], v[99:100], v[131:132]
	s_waitcnt vmcnt(33)
	v_fma_f64 v[117:118], v[95:96], v[135:136], -v[117:118]
	v_fma_f64 v[111:112], v[97:98], v[135:136], v[111:112]
	ds_read_b128 v[95:98], v1 offset:1280
	v_add_f64 v[107:108], v[107:108], v[115:116]
	s_waitcnt vmcnt(29) lgkmcnt(1)
	v_mul_f64 v[115:116], v[93:94], v[137:138]
	v_add_f64 v[2:3], v[2:3], v[109:110]
	s_waitcnt vmcnt(28)
	v_fma_f64 v[119:120], v[99:100], v[133:134], -v[119:120]
	v_mul_f64 v[109:110], v[91:92], v[137:138]
	v_fma_f64 v[113:114], v[101:102], v[133:134], v[113:114]
	ds_read_b128 v[99:102], v1 offset:1296
	v_add_f64 v[107:108], v[107:108], v[117:118]
	s_waitcnt vmcnt(27) lgkmcnt(1)
	v_mul_f64 v[117:118], v[97:98], v[139:140]
	v_add_f64 v[2:3], v[2:3], v[111:112]
	s_waitcnt vmcnt(25)
	v_fma_f64 v[115:116], v[91:92], v[143:144], -v[115:116]
	v_mul_f64 v[111:112], v[95:96], v[139:140]
	;; [unrolled: 9-line block ×5, first 2 shown]
	v_fma_f64 v[93:94], v[93:94], v[150:151], v[109:110]
	s_waitcnt vmcnt(11) lgkmcnt(0)
	v_mul_f64 v[115:116], v[101:102], v[156:157]
	v_add_f64 v[107:108], v[107:108], v[119:120]
	s_waitcnt vmcnt(9)
	v_fma_f64 v[95:96], v[95:96], v[160:161], -v[117:118]
	v_add_f64 v[109:110], v[2:3], v[113:114]
	ds_read_b128 v[1:4], v1 offset:1360
	v_mul_f64 v[113:114], v[99:100], v[156:157]
	v_fma_f64 v[97:98], v[97:98], v[160:161], v[111:112]
	s_waitcnt vmcnt(6)
	v_fma_f64 v[99:100], v[99:100], v[158:159], -v[115:116]
	v_add_f64 v[91:92], v[107:108], v[91:92]
	s_waitcnt lgkmcnt(0)
	v_mul_f64 v[107:108], v[1:2], v[164:165]
	v_add_f64 v[93:94], v[109:110], v[93:94]
	v_mul_f64 v[109:110], v[3:4], v[164:165]
	v_add_f64 v[91:92], v[91:92], v[95:96]
	v_fma_f64 v[95:96], v[101:102], v[158:159], v[113:114]
	v_add_f64 v[93:94], v[93:94], v[97:98]
	s_waitcnt vmcnt(4)
	v_fma_f64 v[1:2], v[1:2], v[105:106], -v[109:110]
	v_fma_f64 v[3:4], v[3:4], v[105:106], v[107:108]
	v_add_f64 v[91:92], v[91:92], v[99:100]
	v_add_f64 v[93:94], v[93:94], v[95:96]
	;; [unrolled: 1-line block ×4, first 2 shown]
	s_waitcnt vmcnt(2)
	v_add_f64 v[1:2], v[103:104], -v[1:2]
	s_waitcnt vmcnt(0)
	v_add_f64 v[3:4], v[166:167], -v[3:4]
	buffer_store_dword v2, off, s[0:3], 0 offset:436
	buffer_store_dword v1, off, s[0:3], 0 offset:432
	;; [unrolled: 1-line block ×4, first 2 shown]
	v_cmpx_lt_u32_e32 25, v0
	s_cbranch_execz .LBB106_221
; %bb.220:
	v_mov_b32_e32 v4, s29
	v_mov_b32_e32 v91, 0
	s_clause 0x3
	buffer_load_dword v1, v4, s[0:3], 0 offen
	buffer_load_dword v2, v4, s[0:3], 0 offen offset:4
	buffer_load_dword v3, v4, s[0:3], 0 offen offset:8
	;; [unrolled: 1-line block ×3, first 2 shown]
	buffer_store_dword v91, off, s[0:3], 0 offset:416
	buffer_store_dword v91, off, s[0:3], 0 offset:420
	buffer_store_dword v91, off, s[0:3], 0 offset:424
	buffer_store_dword v91, off, s[0:3], 0 offset:428
	s_waitcnt vmcnt(0)
	ds_write_b128 v147, v[1:4]
.LBB106_221:
	s_or_b32 exec_lo, exec_lo, s4
	s_waitcnt lgkmcnt(0)
	s_waitcnt_vscnt null, 0x0
	s_barrier
	buffer_gl0_inv
	s_clause 0x37
	buffer_load_dword v2, off, s[0:3], 0 offset:440
	buffer_load_dword v3, off, s[0:3], 0 offset:444
	;; [unrolled: 1-line block ×56, first 2 shown]
	v_mov_b32_e32 v1, 0
	s_mov_b32 s4, exec_lo
	ds_read_b128 v[91:94], v1 offset:1104
	s_clause 0x2
	buffer_load_dword v157, off, s[0:3], 0 offset:668
	buffer_load_dword v161, off, s[0:3], 0 offset:644
	;; [unrolled: 1-line block ×3, first 2 shown]
	ds_read_b128 v[95:98], v1 offset:1120
	s_clause 0x4
	buffer_load_dword v165, off, s[0:3], 0 offset:684
	buffer_load_dword v166, off, s[0:3], 0 offset:696
	;; [unrolled: 1-line block ×5, first 2 shown]
	ds_read_b128 v[99:102], v1 offset:1136
	s_waitcnt vmcnt(62) lgkmcnt(2)
	v_mul_f64 v[162:163], v[93:94], v[2:3]
	v_mul_f64 v[2:3], v[91:92], v[2:3]
	s_waitcnt vmcnt(60) lgkmcnt(1)
	v_mul_f64 v[169:170], v[97:98], v[103:104]
	v_mul_f64 v[103:104], v[95:96], v[103:104]
	;; [unrolled: 3-line block ×3, first 2 shown]
	v_fma_f64 v[162:163], v[91:92], v[105:106], -v[162:163]
	v_fma_f64 v[2:3], v[93:94], v[105:106], v[2:3]
	s_clause 0x2
	buffer_load_dword v167, off, s[0:3], 0 offset:700
	buffer_load_dword v106, off, s[0:3], 0 offset:676
	;; [unrolled: 1-line block ×3, first 2 shown]
	s_waitcnt vmcnt(57)
	v_fma_f64 v[173:174], v[95:96], v[109:110], -v[169:170]
	ds_read_b128 v[91:94], v1 offset:1152
	v_fma_f64 v[103:104], v[97:98], v[109:110], v[103:104]
	buffer_load_dword v169, off, s[0:3], 0 offset:692
	ds_read_b128 v[95:98], v1 offset:1168
	s_waitcnt vmcnt(52)
	v_fma_f64 v[107:108], v[99:100], v[117:118], -v[107:108]
	v_fma_f64 v[117:118], v[101:102], v[117:118], v[171:172]
	ds_read_b128 v[99:102], v1 offset:1184
	v_add_f64 v[162:163], v[162:163], 0
	v_add_f64 v[2:3], v[2:3], 0
	s_waitcnt lgkmcnt(2)
	v_mul_f64 v[109:110], v[91:92], v[111:112]
	v_mul_f64 v[111:112], v[93:94], v[111:112]
	v_add_f64 v[162:163], v[162:163], v[173:174]
	v_add_f64 v[2:3], v[2:3], v[103:104]
	s_waitcnt vmcnt(51) lgkmcnt(1)
	v_mul_f64 v[103:104], v[95:96], v[113:114]
	v_mul_f64 v[113:114], v[97:98], v[113:114]
	s_waitcnt vmcnt(49)
	v_fma_f64 v[111:112], v[91:92], v[119:120], -v[111:112]
	v_fma_f64 v[109:110], v[93:94], v[119:120], v[109:110]
	v_add_f64 v[107:108], v[162:163], v[107:108]
	v_add_f64 v[2:3], v[2:3], v[117:118]
	s_clause 0x3
	buffer_load_dword v117, off, s[0:3], 0 offset:416
	buffer_load_dword v118, off, s[0:3], 0 offset:420
	;; [unrolled: 1-line block ×4, first 2 shown]
	s_waitcnt vmcnt(49) lgkmcnt(0)
	v_mul_f64 v[162:163], v[99:100], v[121:122]
	v_mul_f64 v[121:122], v[101:102], v[121:122]
	s_waitcnt vmcnt(48)
	v_fma_f64 v[113:114], v[95:96], v[115:116], -v[113:114]
	ds_read_b128 v[91:94], v1 offset:1200
	v_fma_f64 v[103:104], v[97:98], v[115:116], v[103:104]
	ds_read_b128 v[95:98], v1 offset:1216
	v_add_f64 v[107:108], v[107:108], v[111:112]
	v_add_f64 v[2:3], v[2:3], v[109:110]
	s_waitcnt vmcnt(47) lgkmcnt(1)
	v_mul_f64 v[111:112], v[93:94], v[123:124]
	s_waitcnt vmcnt(45)
	v_fma_f64 v[115:116], v[99:100], v[127:128], -v[121:122]
	v_mul_f64 v[109:110], v[91:92], v[123:124]
	s_waitcnt vmcnt(41) lgkmcnt(0)
	v_mul_f64 v[121:122], v[97:98], v[129:130]
	v_add_f64 v[107:108], v[107:108], v[113:114]
	v_fma_f64 v[113:114], v[101:102], v[127:128], v[162:163]
	v_add_f64 v[2:3], v[2:3], v[103:104]
	ds_read_b128 v[99:102], v1 offset:1232
	s_waitcnt vmcnt(40)
	v_fma_f64 v[111:112], v[91:92], v[125:126], -v[111:112]
	v_mul_f64 v[103:104], v[95:96], v[129:130]
	v_fma_f64 v[109:110], v[93:94], v[125:126], v[109:110]
	ds_read_b128 v[91:94], v1 offset:1248
	s_waitcnt vmcnt(37)
	v_fma_f64 v[121:122], v[95:96], v[135:136], -v[121:122]
	v_add_f64 v[107:108], v[107:108], v[115:116]
	s_waitcnt lgkmcnt(1)
	v_mul_f64 v[115:116], v[101:102], v[131:132]
	v_add_f64 v[2:3], v[2:3], v[113:114]
	v_mul_f64 v[113:114], v[99:100], v[131:132]
	v_fma_f64 v[103:104], v[97:98], v[135:136], v[103:104]
	ds_read_b128 v[95:98], v1 offset:1264
	v_add_f64 v[107:108], v[107:108], v[111:112]
	s_waitcnt vmcnt(33) lgkmcnt(1)
	v_mul_f64 v[111:112], v[93:94], v[137:138]
	v_add_f64 v[2:3], v[2:3], v[109:110]
	s_waitcnt vmcnt(32)
	v_fma_f64 v[115:116], v[99:100], v[133:134], -v[115:116]
	v_mul_f64 v[109:110], v[91:92], v[137:138]
	v_fma_f64 v[113:114], v[101:102], v[133:134], v[113:114]
	ds_read_b128 v[99:102], v1 offset:1280
	v_add_f64 v[107:108], v[107:108], v[121:122]
	s_waitcnt vmcnt(31) lgkmcnt(1)
	v_mul_f64 v[121:122], v[97:98], v[139:140]
	v_add_f64 v[2:3], v[2:3], v[103:104]
	s_waitcnt vmcnt(29)
	v_fma_f64 v[111:112], v[91:92], v[143:144], -v[111:112]
	;; [unrolled: 9-line block ×7, first 2 shown]
	v_mul_f64 v[109:110], v[91:92], v[164:165]
	v_fma_f64 v[101:102], v[101:102], v[158:159], v[113:114]
	v_add_f64 v[107:108], v[107:108], v[121:122]
	v_add_f64 v[2:3], v[2:3], v[103:104]
	s_waitcnt vmcnt(7) lgkmcnt(0)
	v_mul_f64 v[113:114], v[97:98], v[166:167]
	v_mul_f64 v[103:104], v[95:96], v[166:167]
	s_waitcnt vmcnt(5)
	v_fma_f64 v[91:92], v[91:92], v[105:106], -v[111:112]
	v_fma_f64 v[93:94], v[93:94], v[105:106], v[109:110]
	v_add_f64 v[99:100], v[107:108], v[99:100]
	v_add_f64 v[2:3], v[2:3], v[101:102]
	s_waitcnt vmcnt(4)
	v_fma_f64 v[95:96], v[95:96], v[168:169], -v[113:114]
	v_fma_f64 v[97:98], v[97:98], v[168:169], v[103:104]
	v_add_f64 v[91:92], v[99:100], v[91:92]
	v_add_f64 v[2:3], v[2:3], v[93:94]
	;; [unrolled: 1-line block ×4, first 2 shown]
	s_waitcnt vmcnt(2)
	v_add_f64 v[91:92], v[117:118], -v[91:92]
	s_waitcnt vmcnt(0)
	v_add_f64 v[2:3], v[119:120], -v[2:3]
	buffer_store_dword v92, off, s[0:3], 0 offset:420
	buffer_store_dword v91, off, s[0:3], 0 offset:416
	;; [unrolled: 1-line block ×4, first 2 shown]
	v_cmpx_lt_u32_e32 24, v0
	s_cbranch_execz .LBB106_223
; %bb.222:
	v_mov_b32_e32 v2, s30
	s_clause 0x3
	buffer_load_dword v91, v2, s[0:3], 0 offen
	buffer_load_dword v92, v2, s[0:3], 0 offen offset:4
	buffer_load_dword v93, v2, s[0:3], 0 offen offset:8
	;; [unrolled: 1-line block ×3, first 2 shown]
	buffer_store_dword v1, off, s[0:3], 0 offset:400
	buffer_store_dword v1, off, s[0:3], 0 offset:404
	buffer_store_dword v1, off, s[0:3], 0 offset:408
	buffer_store_dword v1, off, s[0:3], 0 offset:412
	s_waitcnt vmcnt(0)
	ds_write_b128 v147, v[91:94]
.LBB106_223:
	s_or_b32 exec_lo, exec_lo, s4
	s_waitcnt lgkmcnt(0)
	s_waitcnt_vscnt null, 0x0
	s_barrier
	buffer_gl0_inv
	s_clause 0x37
	buffer_load_dword v2, off, s[0:3], 0 offset:424
	buffer_load_dword v3, off, s[0:3], 0 offset:428
	;; [unrolled: 1-line block ×56, first 2 shown]
	ds_read_b128 v[91:94], v1 offset:1088
	s_clause 0x2
	buffer_load_dword v157, off, s[0:3], 0 offset:652
	buffer_load_dword v161, off, s[0:3], 0 offset:628
	;; [unrolled: 1-line block ×3, first 2 shown]
	ds_read_b128 v[95:98], v1 offset:1104
	s_clause 0x4
	buffer_load_dword v165, off, s[0:3], 0 offset:668
	buffer_load_dword v166, off, s[0:3], 0 offset:680
	buffer_load_dword v168, off, s[0:3], 0 offset:672
	buffer_load_dword v164, off, s[0:3], 0 offset:664
	buffer_load_dword v159, off, s[0:3], 0 offset:644
	ds_read_b128 v[99:102], v1 offset:1120
	s_mov_b32 s4, exec_lo
	s_waitcnt vmcnt(62) lgkmcnt(2)
	v_mul_f64 v[162:163], v[93:94], v[2:3]
	v_mul_f64 v[2:3], v[91:92], v[2:3]
	s_waitcnt vmcnt(60) lgkmcnt(1)
	v_mul_f64 v[169:170], v[97:98], v[103:104]
	v_mul_f64 v[103:104], v[95:96], v[103:104]
	;; [unrolled: 3-line block ×3, first 2 shown]
	v_fma_f64 v[162:163], v[91:92], v[105:106], -v[162:163]
	v_fma_f64 v[2:3], v[93:94], v[105:106], v[2:3]
	s_clause 0x2
	buffer_load_dword v167, off, s[0:3], 0 offset:684
	buffer_load_dword v106, off, s[0:3], 0 offset:660
	;; [unrolled: 1-line block ×3, first 2 shown]
	s_waitcnt vmcnt(57)
	v_fma_f64 v[173:174], v[95:96], v[109:110], -v[169:170]
	ds_read_b128 v[91:94], v1 offset:1136
	v_fma_f64 v[103:104], v[97:98], v[109:110], v[103:104]
	s_clause 0x2
	buffer_load_dword v110, off, s[0:3], 0 offset:700
	buffer_load_dword v109, off, s[0:3], 0 offset:696
	;; [unrolled: 1-line block ×3, first 2 shown]
	s_waitcnt vmcnt(54)
	v_fma_f64 v[107:108], v[99:100], v[117:118], -v[107:108]
	ds_read_b128 v[95:98], v1 offset:1152
	v_fma_f64 v[117:118], v[101:102], v[117:118], v[171:172]
	v_add_f64 v[162:163], v[162:163], 0
	v_add_f64 v[2:3], v[2:3], 0
	s_waitcnt lgkmcnt(1)
	v_mul_f64 v[175:176], v[91:92], v[111:112]
	v_mul_f64 v[111:112], v[93:94], v[111:112]
	s_waitcnt vmcnt(53) lgkmcnt(0)
	v_mul_f64 v[170:171], v[95:96], v[113:114]
	v_mul_f64 v[113:114], v[97:98], v[113:114]
	v_add_f64 v[162:163], v[162:163], v[173:174]
	v_add_f64 v[2:3], v[2:3], v[103:104]
	s_clause 0x1
	buffer_load_dword v104, off, s[0:3], 0 offset:692
	buffer_load_dword v103, off, s[0:3], 0 offset:688
	s_waitcnt vmcnt(53)
	v_fma_f64 v[111:112], v[91:92], v[119:120], -v[111:112]
	ds_read_b128 v[99:102], v1 offset:1168
	v_fma_f64 v[119:120], v[93:94], v[119:120], v[175:176]
	ds_read_b128 v[91:94], v1 offset:1184
	s_waitcnt vmcnt(48)
	v_fma_f64 v[113:114], v[95:96], v[115:116], -v[113:114]
	v_add_f64 v[107:108], v[162:163], v[107:108]
	v_add_f64 v[2:3], v[2:3], v[117:118]
	s_waitcnt lgkmcnt(1)
	v_mul_f64 v[117:118], v[99:100], v[121:122]
	v_mul_f64 v[121:122], v[101:102], v[121:122]
	s_waitcnt vmcnt(47) lgkmcnt(0)
	v_mul_f64 v[162:163], v[91:92], v[123:124]
	v_mul_f64 v[123:124], v[93:94], v[123:124]
	v_add_f64 v[107:108], v[107:108], v[111:112]
	v_fma_f64 v[111:112], v[97:98], v[115:116], v[170:171]
	v_add_f64 v[2:3], v[2:3], v[119:120]
	s_clause 0x3
	buffer_load_dword v115, off, s[0:3], 0 offset:400
	buffer_load_dword v116, off, s[0:3], 0 offset:404
	;; [unrolled: 1-line block ×4, first 2 shown]
	s_waitcnt vmcnt(49)
	v_fma_f64 v[121:122], v[99:100], v[127:128], -v[121:122]
	ds_read_b128 v[95:98], v1 offset:1200
	s_waitcnt vmcnt(44)
	v_fma_f64 v[123:124], v[91:92], v[125:126], -v[123:124]
	v_add_f64 v[107:108], v[107:108], v[113:114]
	v_fma_f64 v[113:114], v[101:102], v[127:128], v[117:118]
	v_add_f64 v[2:3], v[2:3], v[111:112]
	ds_read_b128 v[99:102], v1 offset:1216
	s_waitcnt lgkmcnt(1)
	v_mul_f64 v[117:118], v[97:98], v[129:130]
	v_mul_f64 v[111:112], v[95:96], v[129:130]
	v_add_f64 v[107:108], v[107:108], v[121:122]
	v_fma_f64 v[121:122], v[93:94], v[125:126], v[162:163]
	v_add_f64 v[2:3], v[2:3], v[113:114]
	s_waitcnt vmcnt(43) lgkmcnt(0)
	v_mul_f64 v[125:126], v[101:102], v[131:132]
	s_waitcnt vmcnt(41)
	v_fma_f64 v[117:118], v[95:96], v[135:136], -v[117:118]
	ds_read_b128 v[91:94], v1 offset:1232
	v_mul_f64 v[113:114], v[99:100], v[131:132]
	v_fma_f64 v[111:112], v[97:98], v[135:136], v[111:112]
	ds_read_b128 v[95:98], v1 offset:1248
	v_add_f64 v[107:108], v[107:108], v[123:124]
	v_add_f64 v[2:3], v[2:3], v[121:122]
	s_waitcnt vmcnt(37) lgkmcnt(1)
	v_mul_f64 v[123:124], v[93:94], v[137:138]
	s_waitcnt vmcnt(36)
	v_fma_f64 v[125:126], v[99:100], v[133:134], -v[125:126]
	v_mul_f64 v[121:122], v[91:92], v[137:138]
	v_fma_f64 v[113:114], v[101:102], v[133:134], v[113:114]
	ds_read_b128 v[99:102], v1 offset:1264
	v_add_f64 v[107:108], v[107:108], v[117:118]
	s_waitcnt vmcnt(35) lgkmcnt(1)
	v_mul_f64 v[117:118], v[97:98], v[139:140]
	v_add_f64 v[2:3], v[2:3], v[111:112]
	s_waitcnt vmcnt(33)
	v_fma_f64 v[123:124], v[91:92], v[143:144], -v[123:124]
	v_mul_f64 v[111:112], v[95:96], v[139:140]
	v_fma_f64 v[121:122], v[93:94], v[143:144], v[121:122]
	ds_read_b128 v[91:94], v1 offset:1280
	v_add_f64 v[107:108], v[107:108], v[125:126]
	s_waitcnt vmcnt(29) lgkmcnt(1)
	v_mul_f64 v[125:126], v[101:102], v[145:146]
	v_add_f64 v[2:3], v[2:3], v[113:114]
	;; [unrolled: 9-line block ×6, first 2 shown]
	s_waitcnt vmcnt(12)
	v_fma_f64 v[99:100], v[99:100], v[158:159], -v[125:126]
	v_mul_f64 v[121:122], v[91:92], v[164:165]
	v_fma_f64 v[101:102], v[101:102], v[158:159], v[113:114]
	v_add_f64 v[107:108], v[107:108], v[117:118]
	v_add_f64 v[111:112], v[2:3], v[111:112]
	ds_read_b128 v[1:4], v1 offset:1360
	s_waitcnt vmcnt(11) lgkmcnt(1)
	v_mul_f64 v[117:118], v[97:98], v[166:167]
	v_mul_f64 v[113:114], v[95:96], v[166:167]
	s_waitcnt vmcnt(9)
	v_fma_f64 v[91:92], v[91:92], v[105:106], -v[123:124]
	v_fma_f64 v[93:94], v[93:94], v[105:106], v[121:122]
	v_add_f64 v[99:100], v[107:108], v[99:100]
	s_waitcnt vmcnt(7) lgkmcnt(0)
	v_mul_f64 v[107:108], v[3:4], v[109:110]
	v_add_f64 v[101:102], v[111:112], v[101:102]
	v_mul_f64 v[105:106], v[1:2], v[109:110]
	s_waitcnt vmcnt(6)
	v_fma_f64 v[95:96], v[95:96], v[168:169], -v[117:118]
	v_fma_f64 v[97:98], v[97:98], v[168:169], v[113:114]
	v_add_f64 v[91:92], v[99:100], v[91:92]
	v_add_f64 v[93:94], v[101:102], v[93:94]
	s_waitcnt vmcnt(4)
	v_fma_f64 v[1:2], v[1:2], v[103:104], -v[107:108]
	v_fma_f64 v[3:4], v[3:4], v[103:104], v[105:106]
	v_add_f64 v[91:92], v[91:92], v[95:96]
	v_add_f64 v[93:94], v[93:94], v[97:98]
	;; [unrolled: 1-line block ×4, first 2 shown]
	s_waitcnt vmcnt(2)
	v_add_f64 v[1:2], v[115:116], -v[1:2]
	s_waitcnt vmcnt(0)
	v_add_f64 v[3:4], v[119:120], -v[3:4]
	buffer_store_dword v2, off, s[0:3], 0 offset:404
	buffer_store_dword v1, off, s[0:3], 0 offset:400
	;; [unrolled: 1-line block ×4, first 2 shown]
	v_cmpx_lt_u32_e32 23, v0
	s_cbranch_execz .LBB106_225
; %bb.224:
	v_mov_b32_e32 v4, s31
	v_mov_b32_e32 v91, 0
	s_clause 0x3
	buffer_load_dword v1, v4, s[0:3], 0 offen
	buffer_load_dword v2, v4, s[0:3], 0 offen offset:4
	buffer_load_dword v3, v4, s[0:3], 0 offen offset:8
	;; [unrolled: 1-line block ×3, first 2 shown]
	buffer_store_dword v91, off, s[0:3], 0 offset:384
	buffer_store_dword v91, off, s[0:3], 0 offset:388
	;; [unrolled: 1-line block ×4, first 2 shown]
	s_waitcnt vmcnt(0)
	ds_write_b128 v147, v[1:4]
.LBB106_225:
	s_or_b32 exec_lo, exec_lo, s4
	s_waitcnt lgkmcnt(0)
	s_waitcnt_vscnt null, 0x0
	s_barrier
	buffer_gl0_inv
	s_clause 0x37
	buffer_load_dword v2, off, s[0:3], 0 offset:408
	buffer_load_dword v3, off, s[0:3], 0 offset:412
	;; [unrolled: 1-line block ×56, first 2 shown]
	v_mov_b32_e32 v1, 0
	s_mov_b32 s4, exec_lo
	ds_read_b128 v[91:94], v1 offset:1072
	s_clause 0x2
	buffer_load_dword v157, off, s[0:3], 0 offset:636
	buffer_load_dword v161, off, s[0:3], 0 offset:612
	;; [unrolled: 1-line block ×3, first 2 shown]
	ds_read_b128 v[95:98], v1 offset:1088
	s_clause 0x4
	buffer_load_dword v165, off, s[0:3], 0 offset:652
	buffer_load_dword v166, off, s[0:3], 0 offset:664
	;; [unrolled: 1-line block ×5, first 2 shown]
	ds_read_b128 v[99:102], v1 offset:1104
	s_waitcnt vmcnt(62) lgkmcnt(2)
	v_mul_f64 v[162:163], v[93:94], v[2:3]
	v_mul_f64 v[2:3], v[91:92], v[2:3]
	s_waitcnt vmcnt(60) lgkmcnt(1)
	v_mul_f64 v[169:170], v[97:98], v[103:104]
	v_mul_f64 v[103:104], v[95:96], v[103:104]
	;; [unrolled: 3-line block ×3, first 2 shown]
	v_fma_f64 v[162:163], v[91:92], v[105:106], -v[162:163]
	v_fma_f64 v[2:3], v[93:94], v[105:106], v[2:3]
	s_clause 0x2
	buffer_load_dword v167, off, s[0:3], 0 offset:668
	buffer_load_dword v106, off, s[0:3], 0 offset:644
	;; [unrolled: 1-line block ×3, first 2 shown]
	s_waitcnt vmcnt(57)
	v_fma_f64 v[173:174], v[95:96], v[109:110], -v[169:170]
	ds_read_b128 v[91:94], v1 offset:1120
	v_fma_f64 v[103:104], v[97:98], v[109:110], v[103:104]
	s_clause 0x4
	buffer_load_dword v110, off, s[0:3], 0 offset:684
	buffer_load_dword v170, off, s[0:3], 0 offset:696
	;; [unrolled: 1-line block ×5, first 2 shown]
	s_waitcnt vmcnt(56)
	v_fma_f64 v[107:108], v[99:100], v[117:118], -v[107:108]
	ds_read_b128 v[95:98], v1 offset:1136
	v_fma_f64 v[117:118], v[101:102], v[117:118], v[171:172]
	v_add_f64 v[162:163], v[162:163], 0
	v_add_f64 v[2:3], v[2:3], 0
	s_waitcnt lgkmcnt(1)
	v_mul_f64 v[176:177], v[91:92], v[111:112]
	v_mul_f64 v[111:112], v[93:94], v[111:112]
	v_add_f64 v[162:163], v[162:163], v[173:174]
	v_add_f64 v[2:3], v[2:3], v[103:104]
	s_clause 0x2
	buffer_load_dword v171, off, s[0:3], 0 offset:700
	buffer_load_dword v104, off, s[0:3], 0 offset:676
	;; [unrolled: 1-line block ×3, first 2 shown]
	s_waitcnt vmcnt(58) lgkmcnt(0)
	v_mul_f64 v[172:173], v[95:96], v[113:114]
	v_mul_f64 v[113:114], v[97:98], v[113:114]
	s_waitcnt vmcnt(56)
	v_fma_f64 v[111:112], v[91:92], v[119:120], -v[111:112]
	ds_read_b128 v[99:102], v1 offset:1152
	v_fma_f64 v[119:120], v[93:94], v[119:120], v[176:177]
	buffer_load_dword v176, off, s[0:3], 0 offset:692
	ds_read_b128 v[91:94], v1 offset:1168
	v_add_f64 v[107:108], v[162:163], v[107:108]
	v_add_f64 v[2:3], v[2:3], v[117:118]
	s_waitcnt vmcnt(53) lgkmcnt(1)
	v_mul_f64 v[117:118], v[99:100], v[121:122]
	v_mul_f64 v[121:122], v[101:102], v[121:122]
	s_waitcnt vmcnt(52)
	v_fma_f64 v[113:114], v[95:96], v[115:116], -v[113:114]
	v_add_f64 v[107:108], v[107:108], v[111:112]
	v_fma_f64 v[111:112], v[97:98], v[115:116], v[172:173]
	v_add_f64 v[2:3], v[2:3], v[119:120]
	s_waitcnt vmcnt(51) lgkmcnt(0)
	v_mul_f64 v[119:120], v[93:94], v[123:124]
	ds_read_b128 v[95:98], v1 offset:1184
	s_waitcnt vmcnt(49)
	v_fma_f64 v[121:122], v[99:100], v[127:128], -v[121:122]
	v_mul_f64 v[115:116], v[91:92], v[123:124]
	v_add_f64 v[107:108], v[107:108], v[113:114]
	v_fma_f64 v[113:114], v[101:102], v[127:128], v[117:118]
	v_add_f64 v[2:3], v[2:3], v[111:112]
	s_clause 0x3
	buffer_load_dword v111, off, s[0:3], 0 offset:384
	buffer_load_dword v112, off, s[0:3], 0 offset:388
	buffer_load_dword v117, off, s[0:3], 0 offset:392
	buffer_load_dword v118, off, s[0:3], 0 offset:396
	s_waitcnt vmcnt(49) lgkmcnt(0)
	v_mul_f64 v[127:128], v[97:98], v[129:130]
	s_waitcnt vmcnt(48)
	v_fma_f64 v[119:120], v[91:92], v[125:126], -v[119:120]
	ds_read_b128 v[99:102], v1 offset:1200
	v_mul_f64 v[123:124], v[95:96], v[129:130]
	v_fma_f64 v[115:116], v[93:94], v[125:126], v[115:116]
	ds_read_b128 v[91:94], v1 offset:1216
	v_add_f64 v[107:108], v[107:108], v[121:122]
	v_add_f64 v[2:3], v[2:3], v[113:114]
	s_waitcnt vmcnt(47) lgkmcnt(1)
	v_mul_f64 v[121:122], v[101:102], v[131:132]
	s_waitcnt vmcnt(45)
	v_fma_f64 v[125:126], v[95:96], v[135:136], -v[127:128]
	v_mul_f64 v[113:114], v[99:100], v[131:132]
	v_add_f64 v[107:108], v[107:108], v[119:120]
	v_fma_f64 v[119:120], v[97:98], v[135:136], v[123:124]
	v_add_f64 v[2:3], v[2:3], v[115:116]
	s_waitcnt vmcnt(41) lgkmcnt(0)
	v_mul_f64 v[123:124], v[93:94], v[137:138]
	s_waitcnt vmcnt(40)
	v_fma_f64 v[121:122], v[99:100], v[133:134], -v[121:122]
	ds_read_b128 v[95:98], v1 offset:1232
	v_mul_f64 v[115:116], v[91:92], v[137:138]
	v_fma_f64 v[113:114], v[101:102], v[133:134], v[113:114]
	ds_read_b128 v[99:102], v1 offset:1248
	v_add_f64 v[107:108], v[107:108], v[125:126]
	v_add_f64 v[2:3], v[2:3], v[119:120]
	s_waitcnt vmcnt(39) lgkmcnt(1)
	v_mul_f64 v[125:126], v[97:98], v[139:140]
	s_waitcnt vmcnt(37)
	v_fma_f64 v[123:124], v[91:92], v[143:144], -v[123:124]
	v_mul_f64 v[119:120], v[95:96], v[139:140]
	v_fma_f64 v[115:116], v[93:94], v[143:144], v[115:116]
	ds_read_b128 v[91:94], v1 offset:1264
	v_add_f64 v[107:108], v[107:108], v[121:122]
	s_waitcnt vmcnt(33) lgkmcnt(1)
	v_mul_f64 v[121:122], v[101:102], v[145:146]
	v_add_f64 v[2:3], v[2:3], v[113:114]
	s_waitcnt vmcnt(32)
	v_fma_f64 v[125:126], v[95:96], v[141:142], -v[125:126]
	v_mul_f64 v[113:114], v[99:100], v[145:146]
	v_fma_f64 v[119:120], v[97:98], v[141:142], v[119:120]
	ds_read_b128 v[95:98], v1 offset:1280
	v_add_f64 v[107:108], v[107:108], v[123:124]
	s_waitcnt vmcnt(31) lgkmcnt(1)
	v_mul_f64 v[123:124], v[93:94], v[148:149]
	v_add_f64 v[2:3], v[2:3], v[115:116]
	;; [unrolled: 9-line block ×5, first 2 shown]
	s_waitcnt vmcnt(16)
	v_fma_f64 v[121:122], v[99:100], v[158:159], -v[121:122]
	v_mul_f64 v[115:116], v[91:92], v[164:165]
	v_fma_f64 v[113:114], v[101:102], v[158:159], v[113:114]
	ds_read_b128 v[99:102], v1 offset:1344
	v_add_f64 v[107:108], v[107:108], v[125:126]
	v_add_f64 v[2:3], v[2:3], v[119:120]
	s_waitcnt vmcnt(15) lgkmcnt(1)
	v_mul_f64 v[125:126], v[97:98], v[166:167]
	v_mul_f64 v[119:120], v[95:96], v[166:167]
	s_waitcnt vmcnt(13)
	v_fma_f64 v[123:124], v[91:92], v[105:106], -v[123:124]
	v_fma_f64 v[105:106], v[93:94], v[105:106], v[115:116]
	ds_read_b128 v[91:94], v1 offset:1360
	v_add_f64 v[107:108], v[107:108], v[121:122]
	v_add_f64 v[2:3], v[2:3], v[113:114]
	s_waitcnt vmcnt(9) lgkmcnt(1)
	v_mul_f64 v[113:114], v[99:100], v[109:110]
	v_mul_f64 v[109:110], v[101:102], v[109:110]
	s_waitcnt vmcnt(8)
	v_fma_f64 v[95:96], v[95:96], v[168:169], -v[125:126]
	v_fma_f64 v[97:98], v[97:98], v[168:169], v[119:120]
	v_add_f64 v[107:108], v[107:108], v[123:124]
	v_add_f64 v[2:3], v[2:3], v[105:106]
	s_waitcnt vmcnt(7) lgkmcnt(0)
	v_mul_f64 v[115:116], v[93:94], v[170:171]
	v_mul_f64 v[105:106], v[91:92], v[170:171]
	s_waitcnt vmcnt(5)
	v_fma_f64 v[99:100], v[99:100], v[103:104], -v[109:110]
	v_fma_f64 v[101:102], v[101:102], v[103:104], v[113:114]
	v_add_f64 v[95:96], v[107:108], v[95:96]
	v_add_f64 v[2:3], v[2:3], v[97:98]
	s_waitcnt vmcnt(4)
	v_fma_f64 v[91:92], v[91:92], v[175:176], -v[115:116]
	v_fma_f64 v[93:94], v[93:94], v[175:176], v[105:106]
	v_add_f64 v[95:96], v[95:96], v[99:100]
	v_add_f64 v[2:3], v[2:3], v[101:102]
	;; [unrolled: 1-line block ×4, first 2 shown]
	s_waitcnt vmcnt(2)
	v_add_f64 v[91:92], v[111:112], -v[91:92]
	s_waitcnt vmcnt(0)
	v_add_f64 v[2:3], v[117:118], -v[2:3]
	buffer_store_dword v92, off, s[0:3], 0 offset:388
	buffer_store_dword v91, off, s[0:3], 0 offset:384
	;; [unrolled: 1-line block ×4, first 2 shown]
	v_cmpx_lt_u32_e32 22, v0
	s_cbranch_execz .LBB106_227
; %bb.226:
	v_mov_b32_e32 v2, s33
	s_clause 0x3
	buffer_load_dword v91, v2, s[0:3], 0 offen
	buffer_load_dword v92, v2, s[0:3], 0 offen offset:4
	buffer_load_dword v93, v2, s[0:3], 0 offen offset:8
	;; [unrolled: 1-line block ×3, first 2 shown]
	buffer_store_dword v1, off, s[0:3], 0 offset:368
	buffer_store_dword v1, off, s[0:3], 0 offset:372
	;; [unrolled: 1-line block ×4, first 2 shown]
	s_waitcnt vmcnt(0)
	ds_write_b128 v147, v[91:94]
.LBB106_227:
	s_or_b32 exec_lo, exec_lo, s4
	s_waitcnt lgkmcnt(0)
	s_waitcnt_vscnt null, 0x0
	s_barrier
	buffer_gl0_inv
	s_clause 0x37
	buffer_load_dword v2, off, s[0:3], 0 offset:392
	buffer_load_dword v3, off, s[0:3], 0 offset:396
	;; [unrolled: 1-line block ×56, first 2 shown]
	ds_read_b128 v[91:94], v1 offset:1056
	s_clause 0x2
	buffer_load_dword v157, off, s[0:3], 0 offset:620
	buffer_load_dword v161, off, s[0:3], 0 offset:596
	;; [unrolled: 1-line block ×3, first 2 shown]
	ds_read_b128 v[95:98], v1 offset:1072
	s_clause 0x4
	buffer_load_dword v165, off, s[0:3], 0 offset:636
	buffer_load_dword v166, off, s[0:3], 0 offset:648
	;; [unrolled: 1-line block ×5, first 2 shown]
	ds_read_b128 v[99:102], v1 offset:1088
	s_mov_b32 s4, exec_lo
	s_waitcnt vmcnt(62) lgkmcnt(2)
	v_mul_f64 v[162:163], v[93:94], v[2:3]
	v_mul_f64 v[2:3], v[91:92], v[2:3]
	s_waitcnt vmcnt(60) lgkmcnt(1)
	v_mul_f64 v[169:170], v[97:98], v[103:104]
	v_mul_f64 v[103:104], v[95:96], v[103:104]
	;; [unrolled: 3-line block ×3, first 2 shown]
	v_fma_f64 v[162:163], v[91:92], v[105:106], -v[162:163]
	v_fma_f64 v[2:3], v[93:94], v[105:106], v[2:3]
	s_clause 0x2
	buffer_load_dword v167, off, s[0:3], 0 offset:652
	buffer_load_dword v106, off, s[0:3], 0 offset:628
	;; [unrolled: 1-line block ×3, first 2 shown]
	s_waitcnt vmcnt(57)
	v_fma_f64 v[173:174], v[95:96], v[109:110], -v[169:170]
	ds_read_b128 v[91:94], v1 offset:1104
	v_fma_f64 v[103:104], v[97:98], v[109:110], v[103:104]
	s_clause 0x4
	buffer_load_dword v110, off, s[0:3], 0 offset:668
	buffer_load_dword v170, off, s[0:3], 0 offset:680
	;; [unrolled: 1-line block ×5, first 2 shown]
	s_waitcnt vmcnt(56)
	v_fma_f64 v[107:108], v[99:100], v[117:118], -v[107:108]
	ds_read_b128 v[95:98], v1 offset:1120
	v_fma_f64 v[117:118], v[101:102], v[117:118], v[171:172]
	v_add_f64 v[162:163], v[162:163], 0
	v_add_f64 v[2:3], v[2:3], 0
	s_waitcnt lgkmcnt(1)
	v_mul_f64 v[176:177], v[91:92], v[111:112]
	v_mul_f64 v[111:112], v[93:94], v[111:112]
	v_add_f64 v[162:163], v[162:163], v[173:174]
	v_add_f64 v[2:3], v[2:3], v[103:104]
	s_clause 0x2
	buffer_load_dword v171, off, s[0:3], 0 offset:684
	buffer_load_dword v104, off, s[0:3], 0 offset:660
	;; [unrolled: 1-line block ×3, first 2 shown]
	s_waitcnt vmcnt(58) lgkmcnt(0)
	v_mul_f64 v[172:173], v[95:96], v[113:114]
	v_mul_f64 v[113:114], v[97:98], v[113:114]
	s_waitcnt vmcnt(56)
	v_fma_f64 v[111:112], v[91:92], v[119:120], -v[111:112]
	ds_read_b128 v[99:102], v1 offset:1136
	v_fma_f64 v[119:120], v[93:94], v[119:120], v[176:177]
	v_add_f64 v[107:108], v[162:163], v[107:108]
	v_add_f64 v[2:3], v[2:3], v[117:118]
	s_clause 0x2
	buffer_load_dword v118, off, s[0:3], 0 offset:700
	buffer_load_dword v117, off, s[0:3], 0 offset:696
	;; [unrolled: 1-line block ×3, first 2 shown]
	ds_read_b128 v[91:94], v1 offset:1152
	s_waitcnt vmcnt(55) lgkmcnt(1)
	v_mul_f64 v[162:163], v[99:100], v[121:122]
	v_mul_f64 v[121:122], v[101:102], v[121:122]
	s_waitcnt vmcnt(54)
	v_fma_f64 v[113:114], v[95:96], v[115:116], -v[113:114]
	v_add_f64 v[107:108], v[107:108], v[111:112]
	v_fma_f64 v[111:112], v[97:98], v[115:116], v[172:173]
	v_add_f64 v[2:3], v[2:3], v[119:120]
	s_clause 0x1
	buffer_load_dword v116, off, s[0:3], 0 offset:692
	buffer_load_dword v115, off, s[0:3], 0 offset:688
	s_waitcnt vmcnt(55) lgkmcnt(0)
	v_mul_f64 v[119:120], v[91:92], v[123:124]
	v_mul_f64 v[123:124], v[93:94], v[123:124]
	s_waitcnt vmcnt(53)
	v_fma_f64 v[121:122], v[99:100], v[127:128], -v[121:122]
	ds_read_b128 v[95:98], v1 offset:1168
	v_add_f64 v[107:108], v[107:108], v[113:114]
	v_fma_f64 v[113:114], v[101:102], v[127:128], v[162:163]
	v_add_f64 v[2:3], v[2:3], v[111:112]
	ds_read_b128 v[99:102], v1 offset:1184
	s_waitcnt vmcnt(48)
	v_fma_f64 v[119:120], v[93:94], v[125:126], v[119:120]
	s_waitcnt lgkmcnt(1)
	v_mul_f64 v[127:128], v[97:98], v[129:130]
	v_fma_f64 v[123:124], v[91:92], v[125:126], -v[123:124]
	v_mul_f64 v[111:112], v[95:96], v[129:130]
	v_add_f64 v[107:108], v[107:108], v[121:122]
	s_waitcnt vmcnt(47) lgkmcnt(0)
	v_mul_f64 v[129:130], v[101:102], v[131:132]
	v_add_f64 v[2:3], v[2:3], v[113:114]
	s_clause 0x3
	buffer_load_dword v113, off, s[0:3], 0 offset:368
	buffer_load_dword v114, off, s[0:3], 0 offset:372
	;; [unrolled: 1-line block ×4, first 2 shown]
	ds_read_b128 v[91:94], v1 offset:1200
	s_waitcnt vmcnt(49)
	v_fma_f64 v[127:128], v[95:96], v[135:136], -v[127:128]
	v_mul_f64 v[125:126], v[99:100], v[131:132]
	v_fma_f64 v[111:112], v[97:98], v[135:136], v[111:112]
	ds_read_b128 v[95:98], v1 offset:1216
	v_add_f64 v[107:108], v[107:108], v[123:124]
	s_waitcnt vmcnt(44)
	v_fma_f64 v[129:130], v[99:100], v[133:134], -v[129:130]
	v_add_f64 v[2:3], v[2:3], v[119:120]
	s_waitcnt lgkmcnt(1)
	v_mul_f64 v[123:124], v[93:94], v[137:138]
	v_mul_f64 v[119:120], v[91:92], v[137:138]
	v_fma_f64 v[125:126], v[101:102], v[133:134], v[125:126]
	ds_read_b128 v[99:102], v1 offset:1232
	v_add_f64 v[107:108], v[107:108], v[127:128]
	s_waitcnt vmcnt(43) lgkmcnt(1)
	v_mul_f64 v[127:128], v[97:98], v[139:140]
	v_add_f64 v[2:3], v[2:3], v[111:112]
	s_waitcnt vmcnt(41)
	v_fma_f64 v[123:124], v[91:92], v[143:144], -v[123:124]
	v_mul_f64 v[111:112], v[95:96], v[139:140]
	v_fma_f64 v[119:120], v[93:94], v[143:144], v[119:120]
	ds_read_b128 v[91:94], v1 offset:1248
	v_add_f64 v[107:108], v[107:108], v[129:130]
	s_waitcnt vmcnt(37) lgkmcnt(1)
	v_mul_f64 v[129:130], v[101:102], v[145:146]
	v_add_f64 v[2:3], v[2:3], v[125:126]
	s_waitcnt vmcnt(36)
	v_fma_f64 v[127:128], v[95:96], v[141:142], -v[127:128]
	;; [unrolled: 9-line block ×6, first 2 shown]
	v_mul_f64 v[119:120], v[91:92], v[164:165]
	v_fma_f64 v[125:126], v[101:102], v[158:159], v[125:126]
	ds_read_b128 v[99:102], v1 offset:1328
	v_add_f64 v[107:108], v[107:108], v[127:128]
	v_add_f64 v[2:3], v[2:3], v[111:112]
	s_waitcnt vmcnt(19) lgkmcnt(1)
	v_mul_f64 v[127:128], v[97:98], v[166:167]
	v_mul_f64 v[111:112], v[95:96], v[166:167]
	s_waitcnt vmcnt(17)
	v_fma_f64 v[123:124], v[91:92], v[105:106], -v[123:124]
	v_fma_f64 v[105:106], v[93:94], v[105:106], v[119:120]
	ds_read_b128 v[91:94], v1 offset:1344
	s_waitcnt vmcnt(13) lgkmcnt(1)
	v_mul_f64 v[119:120], v[99:100], v[109:110]
	v_mul_f64 v[109:110], v[101:102], v[109:110]
	v_add_f64 v[107:108], v[107:108], v[129:130]
	v_add_f64 v[2:3], v[2:3], v[125:126]
	s_waitcnt vmcnt(12)
	v_fma_f64 v[95:96], v[95:96], v[168:169], -v[127:128]
	v_fma_f64 v[97:98], v[97:98], v[168:169], v[111:112]
	v_add_f64 v[107:108], v[107:108], v[123:124]
	v_add_f64 v[105:106], v[2:3], v[105:106]
	ds_read_b128 v[1:4], v1 offset:1360
	s_waitcnt vmcnt(11) lgkmcnt(1)
	v_mul_f64 v[123:124], v[93:94], v[170:171]
	v_mul_f64 v[111:112], v[91:92], v[170:171]
	s_waitcnt vmcnt(9)
	v_fma_f64 v[99:100], v[99:100], v[103:104], -v[109:110]
	v_fma_f64 v[101:102], v[101:102], v[103:104], v[119:120]
	v_add_f64 v[95:96], v[107:108], v[95:96]
	v_add_f64 v[97:98], v[105:106], v[97:98]
	s_waitcnt vmcnt(7) lgkmcnt(0)
	v_mul_f64 v[105:106], v[3:4], v[117:118]
	s_waitcnt vmcnt(6)
	v_fma_f64 v[91:92], v[91:92], v[175:176], -v[123:124]
	v_mul_f64 v[103:104], v[1:2], v[117:118]
	v_fma_f64 v[93:94], v[93:94], v[175:176], v[111:112]
	v_add_f64 v[95:96], v[95:96], v[99:100]
	v_add_f64 v[97:98], v[97:98], v[101:102]
	s_waitcnt vmcnt(4)
	v_fma_f64 v[1:2], v[1:2], v[115:116], -v[105:106]
	v_fma_f64 v[3:4], v[3:4], v[115:116], v[103:104]
	v_add_f64 v[91:92], v[95:96], v[91:92]
	v_add_f64 v[93:94], v[97:98], v[93:94]
	;; [unrolled: 1-line block ×4, first 2 shown]
	s_waitcnt vmcnt(2)
	v_add_f64 v[1:2], v[113:114], -v[1:2]
	s_waitcnt vmcnt(0)
	v_add_f64 v[3:4], v[121:122], -v[3:4]
	buffer_store_dword v2, off, s[0:3], 0 offset:372
	buffer_store_dword v1, off, s[0:3], 0 offset:368
	buffer_store_dword v4, off, s[0:3], 0 offset:380
	buffer_store_dword v3, off, s[0:3], 0 offset:376
	v_cmpx_lt_u32_e32 21, v0
	s_cbranch_execz .LBB106_229
; %bb.228:
	v_mov_b32_e32 v4, s34
	v_mov_b32_e32 v91, 0
	s_clause 0x3
	buffer_load_dword v1, v4, s[0:3], 0 offen
	buffer_load_dword v2, v4, s[0:3], 0 offen offset:4
	buffer_load_dword v3, v4, s[0:3], 0 offen offset:8
	buffer_load_dword v4, v4, s[0:3], 0 offen offset:12
	buffer_store_dword v91, off, s[0:3], 0 offset:352
	buffer_store_dword v91, off, s[0:3], 0 offset:356
	buffer_store_dword v91, off, s[0:3], 0 offset:360
	buffer_store_dword v91, off, s[0:3], 0 offset:364
	s_waitcnt vmcnt(0)
	ds_write_b128 v147, v[1:4]
.LBB106_229:
	s_or_b32 exec_lo, exec_lo, s4
	s_waitcnt lgkmcnt(0)
	s_waitcnt_vscnt null, 0x0
	s_barrier
	buffer_gl0_inv
	s_clause 0x37
	buffer_load_dword v2, off, s[0:3], 0 offset:376
	buffer_load_dword v3, off, s[0:3], 0 offset:380
	;; [unrolled: 1-line block ×56, first 2 shown]
	v_mov_b32_e32 v1, 0
	s_mov_b32 s4, exec_lo
	ds_read_b128 v[91:94], v1 offset:1040
	s_clause 0x2
	buffer_load_dword v157, off, s[0:3], 0 offset:604
	buffer_load_dword v161, off, s[0:3], 0 offset:580
	;; [unrolled: 1-line block ×3, first 2 shown]
	ds_read_b128 v[95:98], v1 offset:1056
	s_clause 0x4
	buffer_load_dword v165, off, s[0:3], 0 offset:620
	buffer_load_dword v166, off, s[0:3], 0 offset:632
	;; [unrolled: 1-line block ×5, first 2 shown]
	ds_read_b128 v[99:102], v1 offset:1072
	s_waitcnt vmcnt(62) lgkmcnt(2)
	v_mul_f64 v[162:163], v[93:94], v[2:3]
	v_mul_f64 v[2:3], v[91:92], v[2:3]
	s_waitcnt vmcnt(60) lgkmcnt(1)
	v_mul_f64 v[169:170], v[97:98], v[103:104]
	v_mul_f64 v[103:104], v[95:96], v[103:104]
	;; [unrolled: 3-line block ×3, first 2 shown]
	v_fma_f64 v[162:163], v[91:92], v[105:106], -v[162:163]
	v_fma_f64 v[2:3], v[93:94], v[105:106], v[2:3]
	s_clause 0x2
	buffer_load_dword v167, off, s[0:3], 0 offset:636
	buffer_load_dword v106, off, s[0:3], 0 offset:612
	;; [unrolled: 1-line block ×3, first 2 shown]
	s_waitcnt vmcnt(57)
	v_fma_f64 v[173:174], v[95:96], v[109:110], -v[169:170]
	ds_read_b128 v[91:94], v1 offset:1088
	v_fma_f64 v[103:104], v[97:98], v[109:110], v[103:104]
	s_clause 0x4
	buffer_load_dword v110, off, s[0:3], 0 offset:652
	buffer_load_dword v170, off, s[0:3], 0 offset:664
	;; [unrolled: 1-line block ×5, first 2 shown]
	s_waitcnt vmcnt(56)
	v_fma_f64 v[107:108], v[99:100], v[117:118], -v[107:108]
	ds_read_b128 v[95:98], v1 offset:1104
	v_fma_f64 v[117:118], v[101:102], v[117:118], v[171:172]
	v_add_f64 v[162:163], v[162:163], 0
	v_add_f64 v[2:3], v[2:3], 0
	s_waitcnt lgkmcnt(1)
	v_mul_f64 v[176:177], v[91:92], v[111:112]
	v_mul_f64 v[111:112], v[93:94], v[111:112]
	v_add_f64 v[162:163], v[162:163], v[173:174]
	v_add_f64 v[2:3], v[2:3], v[103:104]
	s_clause 0x2
	buffer_load_dword v171, off, s[0:3], 0 offset:668
	buffer_load_dword v104, off, s[0:3], 0 offset:644
	;; [unrolled: 1-line block ×3, first 2 shown]
	s_waitcnt vmcnt(58) lgkmcnt(0)
	v_mul_f64 v[172:173], v[95:96], v[113:114]
	v_mul_f64 v[113:114], v[97:98], v[113:114]
	s_waitcnt vmcnt(56)
	v_fma_f64 v[111:112], v[91:92], v[119:120], -v[111:112]
	ds_read_b128 v[99:102], v1 offset:1120
	v_fma_f64 v[119:120], v[93:94], v[119:120], v[176:177]
	v_add_f64 v[107:108], v[162:163], v[107:108]
	v_add_f64 v[2:3], v[2:3], v[117:118]
	s_clause 0x4
	buffer_load_dword v118, off, s[0:3], 0 offset:684
	buffer_load_dword v162, off, s[0:3], 0 offset:696
	;; [unrolled: 1-line block ×5, first 2 shown]
	ds_read_b128 v[91:94], v1 offset:1136
	s_waitcnt vmcnt(57) lgkmcnt(1)
	v_mul_f64 v[178:179], v[99:100], v[121:122]
	v_mul_f64 v[121:122], v[101:102], v[121:122]
	s_waitcnt vmcnt(56)
	v_fma_f64 v[113:114], v[95:96], v[115:116], -v[113:114]
	v_add_f64 v[107:108], v[107:108], v[111:112]
	v_fma_f64 v[111:112], v[97:98], v[115:116], v[172:173]
	v_add_f64 v[2:3], v[2:3], v[119:120]
	s_clause 0x2
	buffer_load_dword v163, off, s[0:3], 0 offset:700
	buffer_load_dword v116, off, s[0:3], 0 offset:676
	buffer_load_dword v115, off, s[0:3], 0 offset:672
	s_waitcnt vmcnt(58) lgkmcnt(0)
	v_mul_f64 v[119:120], v[91:92], v[123:124]
	v_mul_f64 v[123:124], v[93:94], v[123:124]
	s_waitcnt vmcnt(56)
	v_fma_f64 v[121:122], v[99:100], v[127:128], -v[121:122]
	ds_read_b128 v[95:98], v1 offset:1152
	v_add_f64 v[107:108], v[107:108], v[113:114]
	v_fma_f64 v[113:114], v[101:102], v[127:128], v[178:179]
	v_add_f64 v[2:3], v[2:3], v[111:112]
	buffer_load_dword v178, off, s[0:3], 0 offset:692
	ds_read_b128 v[99:102], v1 offset:1168
	s_waitcnt vmcnt(53) lgkmcnt(1)
	v_mul_f64 v[127:128], v[97:98], v[129:130]
	s_waitcnt vmcnt(52)
	v_fma_f64 v[123:124], v[91:92], v[125:126], -v[123:124]
	v_mul_f64 v[111:112], v[95:96], v[129:130]
	v_fma_f64 v[119:120], v[93:94], v[125:126], v[119:120]
	ds_read_b128 v[91:94], v1 offset:1184
	v_add_f64 v[107:108], v[107:108], v[121:122]
	v_add_f64 v[2:3], v[2:3], v[113:114]
	s_waitcnt vmcnt(51) lgkmcnt(1)
	v_mul_f64 v[121:122], v[101:102], v[131:132]
	v_mul_f64 v[113:114], v[99:100], v[131:132]
	s_waitcnt vmcnt(49)
	v_fma_f64 v[125:126], v[95:96], v[135:136], -v[127:128]
	v_fma_f64 v[111:112], v[97:98], v[135:136], v[111:112]
	s_waitcnt vmcnt(45) lgkmcnt(0)
	v_mul_f64 v[129:130], v[93:94], v[137:138]
	v_mul_f64 v[127:128], v[91:92], v[137:138]
	v_add_f64 v[107:108], v[107:108], v[123:124]
	v_add_f64 v[2:3], v[2:3], v[119:120]
	s_clause 0x3
	buffer_load_dword v119, off, s[0:3], 0 offset:352
	buffer_load_dword v120, off, s[0:3], 0 offset:356
	buffer_load_dword v123, off, s[0:3], 0 offset:360
	buffer_load_dword v124, off, s[0:3], 0 offset:364
	s_waitcnt vmcnt(48)
	v_fma_f64 v[121:122], v[99:100], v[133:134], -v[121:122]
	ds_read_b128 v[95:98], v1 offset:1200
	v_fma_f64 v[113:114], v[101:102], v[133:134], v[113:114]
	ds_read_b128 v[99:102], v1 offset:1216
	s_waitcnt vmcnt(45)
	v_fma_f64 v[129:130], v[91:92], v[143:144], -v[129:130]
	v_add_f64 v[107:108], v[107:108], v[125:126]
	v_add_f64 v[2:3], v[2:3], v[111:112]
	s_waitcnt lgkmcnt(1)
	v_mul_f64 v[125:126], v[97:98], v[139:140]
	v_mul_f64 v[111:112], v[95:96], v[139:140]
	v_add_f64 v[107:108], v[107:108], v[121:122]
	v_fma_f64 v[121:122], v[93:94], v[143:144], v[127:128]
	v_add_f64 v[2:3], v[2:3], v[113:114]
	s_waitcnt vmcnt(41) lgkmcnt(0)
	v_mul_f64 v[127:128], v[101:102], v[145:146]
	s_waitcnt vmcnt(40)
	v_fma_f64 v[125:126], v[95:96], v[141:142], -v[125:126]
	ds_read_b128 v[91:94], v1 offset:1232
	v_mul_f64 v[113:114], v[99:100], v[145:146]
	v_fma_f64 v[111:112], v[97:98], v[141:142], v[111:112]
	ds_read_b128 v[95:98], v1 offset:1248
	v_add_f64 v[107:108], v[107:108], v[129:130]
	v_add_f64 v[2:3], v[2:3], v[121:122]
	s_waitcnt vmcnt(39) lgkmcnt(1)
	v_mul_f64 v[129:130], v[93:94], v[148:149]
	s_waitcnt vmcnt(37)
	v_fma_f64 v[127:128], v[99:100], v[152:153], -v[127:128]
	v_mul_f64 v[121:122], v[91:92], v[148:149]
	v_fma_f64 v[113:114], v[101:102], v[152:153], v[113:114]
	ds_read_b128 v[99:102], v1 offset:1264
	v_add_f64 v[107:108], v[107:108], v[125:126]
	s_waitcnt vmcnt(33) lgkmcnt(1)
	v_mul_f64 v[125:126], v[97:98], v[154:155]
	v_add_f64 v[2:3], v[2:3], v[111:112]
	s_waitcnt vmcnt(32)
	v_fma_f64 v[129:130], v[91:92], v[150:151], -v[129:130]
	v_mul_f64 v[111:112], v[95:96], v[154:155]
	v_fma_f64 v[121:122], v[93:94], v[150:151], v[121:122]
	ds_read_b128 v[91:94], v1 offset:1280
	v_add_f64 v[107:108], v[107:108], v[127:128]
	s_waitcnt vmcnt(31) lgkmcnt(1)
	v_mul_f64 v[127:128], v[101:102], v[156:157]
	v_add_f64 v[2:3], v[2:3], v[113:114]
	;; [unrolled: 9-line block ×3, first 2 shown]
	s_waitcnt vmcnt(24)
	v_fma_f64 v[127:128], v[99:100], v[158:159], -v[127:128]
	v_mul_f64 v[121:122], v[91:92], v[164:165]
	v_fma_f64 v[113:114], v[101:102], v[158:159], v[113:114]
	ds_read_b128 v[99:102], v1 offset:1312
	v_add_f64 v[107:108], v[107:108], v[125:126]
	v_add_f64 v[2:3], v[2:3], v[111:112]
	s_waitcnt vmcnt(23) lgkmcnt(1)
	v_mul_f64 v[125:126], v[97:98], v[166:167]
	v_mul_f64 v[111:112], v[95:96], v[166:167]
	s_waitcnt vmcnt(21)
	v_fma_f64 v[129:130], v[91:92], v[105:106], -v[129:130]
	v_fma_f64 v[105:106], v[93:94], v[105:106], v[121:122]
	ds_read_b128 v[91:94], v1 offset:1328
	v_add_f64 v[107:108], v[107:108], v[127:128]
	v_add_f64 v[2:3], v[2:3], v[113:114]
	s_waitcnt vmcnt(17) lgkmcnt(1)
	v_mul_f64 v[113:114], v[99:100], v[109:110]
	v_mul_f64 v[109:110], v[101:102], v[109:110]
	s_waitcnt vmcnt(16)
	v_fma_f64 v[121:122], v[95:96], v[168:169], -v[125:126]
	;; [unrolled: 9-line block ×3, first 2 shown]
	v_fma_f64 v[103:104], v[101:102], v[103:104], v[113:114]
	ds_read_b128 v[99:102], v1 offset:1360
	v_add_f64 v[107:108], v[107:108], v[121:122]
	v_add_f64 v[2:3], v[2:3], v[111:112]
	s_waitcnt vmcnt(9) lgkmcnt(1)
	v_mul_f64 v[113:114], v[97:98], v[117:118]
	s_waitcnt vmcnt(8)
	v_fma_f64 v[91:92], v[91:92], v[175:176], -v[125:126]
	v_mul_f64 v[111:112], v[95:96], v[117:118]
	v_fma_f64 v[93:94], v[93:94], v[175:176], v[105:106]
	v_add_f64 v[107:108], v[107:108], v[109:110]
	v_add_f64 v[2:3], v[2:3], v[103:104]
	s_waitcnt vmcnt(7) lgkmcnt(0)
	v_mul_f64 v[105:106], v[101:102], v[162:163]
	v_mul_f64 v[103:104], v[99:100], v[162:163]
	s_waitcnt vmcnt(5)
	v_fma_f64 v[95:96], v[95:96], v[115:116], -v[113:114]
	v_fma_f64 v[97:98], v[97:98], v[115:116], v[111:112]
	v_add_f64 v[91:92], v[107:108], v[91:92]
	v_add_f64 v[2:3], v[2:3], v[93:94]
	s_waitcnt vmcnt(4)
	v_fma_f64 v[93:94], v[99:100], v[177:178], -v[105:106]
	v_add_f64 v[91:92], v[91:92], v[95:96]
	v_fma_f64 v[95:96], v[101:102], v[177:178], v[103:104]
	v_add_f64 v[2:3], v[2:3], v[97:98]
	v_add_f64 v[91:92], v[91:92], v[93:94]
	;; [unrolled: 1-line block ×3, first 2 shown]
	s_waitcnt vmcnt(2)
	v_add_f64 v[91:92], v[119:120], -v[91:92]
	s_waitcnt vmcnt(0)
	v_add_f64 v[2:3], v[123:124], -v[2:3]
	buffer_store_dword v92, off, s[0:3], 0 offset:356
	buffer_store_dword v91, off, s[0:3], 0 offset:352
	;; [unrolled: 1-line block ×4, first 2 shown]
	v_cmpx_lt_u32_e32 20, v0
	s_cbranch_execz .LBB106_231
; %bb.230:
	v_mov_b32_e32 v2, s35
	s_clause 0x3
	buffer_load_dword v91, v2, s[0:3], 0 offen
	buffer_load_dword v92, v2, s[0:3], 0 offen offset:4
	buffer_load_dword v93, v2, s[0:3], 0 offen offset:8
	;; [unrolled: 1-line block ×3, first 2 shown]
	buffer_store_dword v1, off, s[0:3], 0 offset:336
	buffer_store_dword v1, off, s[0:3], 0 offset:340
	buffer_store_dword v1, off, s[0:3], 0 offset:344
	buffer_store_dword v1, off, s[0:3], 0 offset:348
	s_waitcnt vmcnt(0)
	ds_write_b128 v147, v[91:94]
.LBB106_231:
	s_or_b32 exec_lo, exec_lo, s4
	s_waitcnt lgkmcnt(0)
	s_waitcnt_vscnt null, 0x0
	s_barrier
	buffer_gl0_inv
	s_clause 0x37
	buffer_load_dword v2, off, s[0:3], 0 offset:360
	buffer_load_dword v3, off, s[0:3], 0 offset:364
	;; [unrolled: 1-line block ×56, first 2 shown]
	ds_read_b128 v[91:94], v1 offset:1024
	s_clause 0x2
	buffer_load_dword v157, off, s[0:3], 0 offset:588
	buffer_load_dword v161, off, s[0:3], 0 offset:564
	;; [unrolled: 1-line block ×3, first 2 shown]
	ds_read_b128 v[95:98], v1 offset:1040
	s_clause 0x4
	buffer_load_dword v165, off, s[0:3], 0 offset:604
	buffer_load_dword v166, off, s[0:3], 0 offset:616
	;; [unrolled: 1-line block ×5, first 2 shown]
	ds_read_b128 v[99:102], v1 offset:1056
	s_mov_b32 s4, exec_lo
	s_waitcnt vmcnt(62) lgkmcnt(2)
	v_mul_f64 v[162:163], v[93:94], v[2:3]
	v_mul_f64 v[2:3], v[91:92], v[2:3]
	s_waitcnt vmcnt(60) lgkmcnt(1)
	v_mul_f64 v[169:170], v[97:98], v[103:104]
	v_mul_f64 v[103:104], v[95:96], v[103:104]
	;; [unrolled: 3-line block ×3, first 2 shown]
	v_fma_f64 v[162:163], v[91:92], v[105:106], -v[162:163]
	v_fma_f64 v[2:3], v[93:94], v[105:106], v[2:3]
	s_clause 0x2
	buffer_load_dword v167, off, s[0:3], 0 offset:620
	buffer_load_dword v106, off, s[0:3], 0 offset:596
	;; [unrolled: 1-line block ×3, first 2 shown]
	s_waitcnt vmcnt(57)
	v_fma_f64 v[173:174], v[95:96], v[109:110], -v[169:170]
	ds_read_b128 v[91:94], v1 offset:1072
	v_fma_f64 v[103:104], v[97:98], v[109:110], v[103:104]
	s_clause 0x4
	buffer_load_dword v110, off, s[0:3], 0 offset:636
	buffer_load_dword v170, off, s[0:3], 0 offset:648
	;; [unrolled: 1-line block ×5, first 2 shown]
	s_waitcnt vmcnt(56)
	v_fma_f64 v[107:108], v[99:100], v[117:118], -v[107:108]
	ds_read_b128 v[95:98], v1 offset:1088
	v_fma_f64 v[117:118], v[101:102], v[117:118], v[171:172]
	v_add_f64 v[162:163], v[162:163], 0
	v_add_f64 v[2:3], v[2:3], 0
	s_waitcnt lgkmcnt(1)
	v_mul_f64 v[176:177], v[91:92], v[111:112]
	v_mul_f64 v[111:112], v[93:94], v[111:112]
	v_add_f64 v[162:163], v[162:163], v[173:174]
	v_add_f64 v[2:3], v[2:3], v[103:104]
	s_clause 0x2
	buffer_load_dword v171, off, s[0:3], 0 offset:652
	buffer_load_dword v104, off, s[0:3], 0 offset:628
	;; [unrolled: 1-line block ×3, first 2 shown]
	s_waitcnt vmcnt(58) lgkmcnt(0)
	v_mul_f64 v[172:173], v[95:96], v[113:114]
	v_mul_f64 v[113:114], v[97:98], v[113:114]
	s_waitcnt vmcnt(56)
	v_fma_f64 v[111:112], v[91:92], v[119:120], -v[111:112]
	ds_read_b128 v[99:102], v1 offset:1104
	v_fma_f64 v[119:120], v[93:94], v[119:120], v[176:177]
	v_add_f64 v[107:108], v[162:163], v[107:108]
	v_add_f64 v[2:3], v[2:3], v[117:118]
	s_clause 0x4
	buffer_load_dword v118, off, s[0:3], 0 offset:668
	buffer_load_dword v162, off, s[0:3], 0 offset:680
	;; [unrolled: 1-line block ×5, first 2 shown]
	ds_read_b128 v[91:94], v1 offset:1120
	s_waitcnt vmcnt(57) lgkmcnt(1)
	v_mul_f64 v[178:179], v[99:100], v[121:122]
	v_mul_f64 v[121:122], v[101:102], v[121:122]
	s_waitcnt vmcnt(56)
	v_fma_f64 v[113:114], v[95:96], v[115:116], -v[113:114]
	v_add_f64 v[107:108], v[107:108], v[111:112]
	v_fma_f64 v[111:112], v[97:98], v[115:116], v[172:173]
	v_add_f64 v[2:3], v[2:3], v[119:120]
	s_clause 0x2
	buffer_load_dword v163, off, s[0:3], 0 offset:684
	buffer_load_dword v116, off, s[0:3], 0 offset:660
	;; [unrolled: 1-line block ×3, first 2 shown]
	s_waitcnt vmcnt(58) lgkmcnt(0)
	v_mul_f64 v[119:120], v[91:92], v[123:124]
	v_mul_f64 v[123:124], v[93:94], v[123:124]
	s_waitcnt vmcnt(56)
	v_fma_f64 v[121:122], v[99:100], v[127:128], -v[121:122]
	ds_read_b128 v[95:98], v1 offset:1136
	v_add_f64 v[107:108], v[107:108], v[113:114]
	v_fma_f64 v[113:114], v[101:102], v[127:128], v[178:179]
	v_add_f64 v[2:3], v[2:3], v[111:112]
	s_clause 0x2
	buffer_load_dword v112, off, s[0:3], 0 offset:700
	buffer_load_dword v111, off, s[0:3], 0 offset:696
	;; [unrolled: 1-line block ×3, first 2 shown]
	ds_read_b128 v[99:102], v1 offset:1152
	s_waitcnt vmcnt(55) lgkmcnt(1)
	v_mul_f64 v[127:128], v[95:96], v[129:130]
	v_mul_f64 v[129:130], v[97:98], v[129:130]
	s_waitcnt vmcnt(54)
	v_fma_f64 v[123:124], v[91:92], v[125:126], -v[123:124]
	v_fma_f64 v[119:120], v[93:94], v[125:126], v[119:120]
	v_add_f64 v[107:108], v[107:108], v[121:122]
	v_add_f64 v[2:3], v[2:3], v[113:114]
	s_clause 0x1
	buffer_load_dword v114, off, s[0:3], 0 offset:692
	buffer_load_dword v113, off, s[0:3], 0 offset:688
	s_waitcnt vmcnt(55) lgkmcnt(0)
	v_mul_f64 v[125:126], v[101:102], v[131:132]
	ds_read_b128 v[91:94], v1 offset:1168
	s_waitcnt vmcnt(53)
	v_fma_f64 v[129:130], v[95:96], v[135:136], -v[129:130]
	v_mul_f64 v[121:122], v[99:100], v[131:132]
	v_add_f64 v[107:108], v[107:108], v[123:124]
	v_fma_f64 v[123:124], v[97:98], v[135:136], v[127:128]
	v_add_f64 v[2:3], v[2:3], v[119:120]
	ds_read_b128 v[95:98], v1 offset:1184
	s_waitcnt vmcnt(49) lgkmcnt(1)
	v_mul_f64 v[127:128], v[93:94], v[137:138]
	s_waitcnt vmcnt(48)
	v_fma_f64 v[125:126], v[99:100], v[133:134], -v[125:126]
	v_mul_f64 v[119:120], v[91:92], v[137:138]
	v_fma_f64 v[121:122], v[101:102], v[133:134], v[121:122]
	v_add_f64 v[107:108], v[107:108], v[129:130]
	s_waitcnt vmcnt(47) lgkmcnt(0)
	v_mul_f64 v[133:134], v[97:98], v[139:140]
	v_add_f64 v[2:3], v[2:3], v[123:124]
	s_clause 0x3
	buffer_load_dword v123, off, s[0:3], 0 offset:336
	buffer_load_dword v124, off, s[0:3], 0 offset:340
	;; [unrolled: 1-line block ×4, first 2 shown]
	s_waitcnt vmcnt(49)
	v_fma_f64 v[127:128], v[91:92], v[143:144], -v[127:128]
	ds_read_b128 v[99:102], v1 offset:1200
	v_mul_f64 v[131:132], v[95:96], v[139:140]
	v_fma_f64 v[119:120], v[93:94], v[143:144], v[119:120]
	ds_read_b128 v[91:94], v1 offset:1216
	v_add_f64 v[107:108], v[107:108], v[125:126]
	s_waitcnt vmcnt(44)
	v_fma_f64 v[133:134], v[95:96], v[141:142], -v[133:134]
	v_add_f64 v[2:3], v[2:3], v[121:122]
	s_waitcnt lgkmcnt(1)
	v_mul_f64 v[125:126], v[101:102], v[145:146]
	v_mul_f64 v[121:122], v[99:100], v[145:146]
	v_add_f64 v[107:108], v[107:108], v[127:128]
	v_fma_f64 v[127:128], v[97:98], v[141:142], v[131:132]
	v_add_f64 v[2:3], v[2:3], v[119:120]
	s_waitcnt vmcnt(43) lgkmcnt(0)
	v_mul_f64 v[131:132], v[93:94], v[148:149]
	s_waitcnt vmcnt(41)
	v_fma_f64 v[125:126], v[99:100], v[152:153], -v[125:126]
	ds_read_b128 v[95:98], v1 offset:1232
	v_mul_f64 v[119:120], v[91:92], v[148:149]
	v_fma_f64 v[121:122], v[101:102], v[152:153], v[121:122]
	ds_read_b128 v[99:102], v1 offset:1248
	v_add_f64 v[107:108], v[107:108], v[133:134]
	v_add_f64 v[2:3], v[2:3], v[127:128]
	s_waitcnt vmcnt(37) lgkmcnt(1)
	v_mul_f64 v[133:134], v[97:98], v[154:155]
	s_waitcnt vmcnt(36)
	v_fma_f64 v[131:132], v[91:92], v[150:151], -v[131:132]
	v_mul_f64 v[127:128], v[95:96], v[154:155]
	v_fma_f64 v[119:120], v[93:94], v[150:151], v[119:120]
	ds_read_b128 v[91:94], v1 offset:1264
	v_add_f64 v[107:108], v[107:108], v[125:126]
	s_waitcnt vmcnt(35) lgkmcnt(1)
	v_mul_f64 v[125:126], v[101:102], v[156:157]
	v_add_f64 v[2:3], v[2:3], v[121:122]
	s_waitcnt vmcnt(33)
	v_fma_f64 v[133:134], v[95:96], v[160:161], -v[133:134]
	v_mul_f64 v[121:122], v[99:100], v[156:157]
	v_fma_f64 v[127:128], v[97:98], v[160:161], v[127:128]
	ds_read_b128 v[95:98], v1 offset:1280
	v_add_f64 v[107:108], v[107:108], v[131:132]
	s_waitcnt vmcnt(29) lgkmcnt(1)
	v_mul_f64 v[131:132], v[93:94], v[164:165]
	v_add_f64 v[2:3], v[2:3], v[119:120]
	s_waitcnt vmcnt(28)
	v_fma_f64 v[125:126], v[99:100], v[158:159], -v[125:126]
	v_mul_f64 v[119:120], v[91:92], v[164:165]
	v_fma_f64 v[121:122], v[101:102], v[158:159], v[121:122]
	ds_read_b128 v[99:102], v1 offset:1296
	v_add_f64 v[107:108], v[107:108], v[133:134]
	v_add_f64 v[2:3], v[2:3], v[127:128]
	s_waitcnt vmcnt(27) lgkmcnt(1)
	v_mul_f64 v[133:134], v[97:98], v[166:167]
	v_mul_f64 v[127:128], v[95:96], v[166:167]
	s_waitcnt vmcnt(25)
	v_fma_f64 v[131:132], v[91:92], v[105:106], -v[131:132]
	v_fma_f64 v[105:106], v[93:94], v[105:106], v[119:120]
	ds_read_b128 v[91:94], v1 offset:1312
	s_waitcnt vmcnt(21) lgkmcnt(1)
	v_mul_f64 v[119:120], v[99:100], v[109:110]
	v_mul_f64 v[109:110], v[101:102], v[109:110]
	v_add_f64 v[107:108], v[107:108], v[125:126]
	v_add_f64 v[2:3], v[2:3], v[121:122]
	s_waitcnt vmcnt(20)
	v_fma_f64 v[121:122], v[95:96], v[168:169], -v[133:134]
	v_fma_f64 v[125:126], v[97:98], v[168:169], v[127:128]
	ds_read_b128 v[95:98], v1 offset:1328
	v_add_f64 v[107:108], v[107:108], v[131:132]
	v_add_f64 v[2:3], v[2:3], v[105:106]
	s_waitcnt vmcnt(19) lgkmcnt(1)
	v_mul_f64 v[127:128], v[93:94], v[170:171]
	v_mul_f64 v[105:106], v[91:92], v[170:171]
	s_waitcnt vmcnt(17)
	v_fma_f64 v[109:110], v[99:100], v[103:104], -v[109:110]
	v_fma_f64 v[103:104], v[101:102], v[103:104], v[119:120]
	ds_read_b128 v[99:102], v1 offset:1344
	v_add_f64 v[107:108], v[107:108], v[121:122]
	v_add_f64 v[2:3], v[2:3], v[125:126]
	s_waitcnt vmcnt(13) lgkmcnt(1)
	v_mul_f64 v[119:120], v[95:96], v[117:118]
	v_mul_f64 v[117:118], v[97:98], v[117:118]
	s_waitcnt vmcnt(12)
	v_fma_f64 v[91:92], v[91:92], v[175:176], -v[127:128]
	v_fma_f64 v[93:94], v[93:94], v[175:176], v[105:106]
	v_add_f64 v[107:108], v[107:108], v[109:110]
	v_add_f64 v[103:104], v[2:3], v[103:104]
	ds_read_b128 v[1:4], v1 offset:1360
	s_waitcnt vmcnt(11) lgkmcnt(1)
	v_mul_f64 v[109:110], v[101:102], v[162:163]
	v_mul_f64 v[105:106], v[99:100], v[162:163]
	s_waitcnt vmcnt(9)
	v_fma_f64 v[95:96], v[95:96], v[115:116], -v[117:118]
	v_fma_f64 v[97:98], v[97:98], v[115:116], v[119:120]
	v_add_f64 v[91:92], v[107:108], v[91:92]
	v_add_f64 v[93:94], v[103:104], v[93:94]
	s_waitcnt vmcnt(7) lgkmcnt(0)
	v_mul_f64 v[107:108], v[3:4], v[111:112]
	s_waitcnt vmcnt(6)
	v_fma_f64 v[99:100], v[99:100], v[177:178], -v[109:110]
	v_mul_f64 v[103:104], v[1:2], v[111:112]
	v_add_f64 v[91:92], v[91:92], v[95:96]
	v_fma_f64 v[95:96], v[101:102], v[177:178], v[105:106]
	v_add_f64 v[93:94], v[93:94], v[97:98]
	s_waitcnt vmcnt(4)
	v_fma_f64 v[1:2], v[1:2], v[113:114], -v[107:108]
	v_fma_f64 v[3:4], v[3:4], v[113:114], v[103:104]
	v_add_f64 v[91:92], v[91:92], v[99:100]
	v_add_f64 v[93:94], v[93:94], v[95:96]
	;; [unrolled: 1-line block ×4, first 2 shown]
	s_waitcnt vmcnt(2)
	v_add_f64 v[1:2], v[123:124], -v[1:2]
	s_waitcnt vmcnt(0)
	v_add_f64 v[3:4], v[129:130], -v[3:4]
	buffer_store_dword v2, off, s[0:3], 0 offset:340
	buffer_store_dword v1, off, s[0:3], 0 offset:336
	;; [unrolled: 1-line block ×4, first 2 shown]
	v_cmpx_lt_u32_e32 19, v0
	s_cbranch_execz .LBB106_233
; %bb.232:
	v_mov_b32_e32 v4, s36
	v_mov_b32_e32 v91, 0
	s_clause 0x3
	buffer_load_dword v1, v4, s[0:3], 0 offen
	buffer_load_dword v2, v4, s[0:3], 0 offen offset:4
	buffer_load_dword v3, v4, s[0:3], 0 offen offset:8
	;; [unrolled: 1-line block ×3, first 2 shown]
	buffer_store_dword v91, off, s[0:3], 0 offset:320
	buffer_store_dword v91, off, s[0:3], 0 offset:324
	;; [unrolled: 1-line block ×4, first 2 shown]
	s_waitcnt vmcnt(0)
	ds_write_b128 v147, v[1:4]
.LBB106_233:
	s_or_b32 exec_lo, exec_lo, s4
	s_waitcnt lgkmcnt(0)
	s_waitcnt_vscnt null, 0x0
	s_barrier
	buffer_gl0_inv
	s_clause 0x37
	buffer_load_dword v2, off, s[0:3], 0 offset:344
	buffer_load_dword v3, off, s[0:3], 0 offset:348
	buffer_load_dword v103, off, s[0:3], 0 offset:360
	buffer_load_dword v104, off, s[0:3], 0 offset:364
	buffer_load_dword v105, off, s[0:3], 0 offset:336
	buffer_load_dword v106, off, s[0:3], 0 offset:340
	buffer_load_dword v107, off, s[0:3], 0 offset:376
	buffer_load_dword v108, off, s[0:3], 0 offset:380
	buffer_load_dword v109, off, s[0:3], 0 offset:352
	buffer_load_dword v110, off, s[0:3], 0 offset:356
	buffer_load_dword v112, off, s[0:3], 0 offset:396
	buffer_load_dword v113, off, s[0:3], 0 offset:408
	buffer_load_dword v115, off, s[0:3], 0 offset:400
	buffer_load_dword v111, off, s[0:3], 0 offset:392
	buffer_load_dword v117, off, s[0:3], 0 offset:368
	buffer_load_dword v118, off, s[0:3], 0 offset:372
	buffer_load_dword v114, off, s[0:3], 0 offset:412
	buffer_load_dword v120, off, s[0:3], 0 offset:388
	buffer_load_dword v119, off, s[0:3], 0 offset:384
	buffer_load_dword v122, off, s[0:3], 0 offset:428
	buffer_load_dword v123, off, s[0:3], 0 offset:440
	buffer_load_dword v125, off, s[0:3], 0 offset:432
	buffer_load_dword v121, off, s[0:3], 0 offset:424
	buffer_load_dword v116, off, s[0:3], 0 offset:404
	buffer_load_dword v124, off, s[0:3], 0 offset:444
	buffer_load_dword v128, off, s[0:3], 0 offset:420
	buffer_load_dword v127, off, s[0:3], 0 offset:416
	buffer_load_dword v130, off, s[0:3], 0 offset:460
	buffer_load_dword v131, off, s[0:3], 0 offset:472
	buffer_load_dword v133, off, s[0:3], 0 offset:464
	buffer_load_dword v129, off, s[0:3], 0 offset:456
	buffer_load_dword v126, off, s[0:3], 0 offset:436
	buffer_load_dword v132, off, s[0:3], 0 offset:476
	buffer_load_dword v136, off, s[0:3], 0 offset:452
	buffer_load_dword v135, off, s[0:3], 0 offset:448
	buffer_load_dword v138, off, s[0:3], 0 offset:492
	buffer_load_dword v139, off, s[0:3], 0 offset:504
	buffer_load_dword v141, off, s[0:3], 0 offset:496
	buffer_load_dword v137, off, s[0:3], 0 offset:488
	buffer_load_dword v134, off, s[0:3], 0 offset:468
	buffer_load_dword v140, off, s[0:3], 0 offset:508
	buffer_load_dword v144, off, s[0:3], 0 offset:484
	buffer_load_dword v143, off, s[0:3], 0 offset:480
	buffer_load_dword v146, off, s[0:3], 0 offset:524
	buffer_load_dword v148, off, s[0:3], 0 offset:536
	buffer_load_dword v150, off, s[0:3], 0 offset:528
	buffer_load_dword v145, off, s[0:3], 0 offset:520
	buffer_load_dword v142, off, s[0:3], 0 offset:500
	buffer_load_dword v149, off, s[0:3], 0 offset:540
	buffer_load_dword v153, off, s[0:3], 0 offset:516
	buffer_load_dword v152, off, s[0:3], 0 offset:512
	buffer_load_dword v155, off, s[0:3], 0 offset:556
	buffer_load_dword v156, off, s[0:3], 0 offset:568
	buffer_load_dword v158, off, s[0:3], 0 offset:560
	buffer_load_dword v154, off, s[0:3], 0 offset:552
	buffer_load_dword v151, off, s[0:3], 0 offset:532
	v_mov_b32_e32 v1, 0
	s_mov_b32 s4, exec_lo
	ds_read_b128 v[91:94], v1 offset:1008
	s_clause 0x2
	buffer_load_dword v157, off, s[0:3], 0 offset:572
	buffer_load_dword v161, off, s[0:3], 0 offset:548
	;; [unrolled: 1-line block ×3, first 2 shown]
	ds_read_b128 v[95:98], v1 offset:1024
	s_clause 0x4
	buffer_load_dword v165, off, s[0:3], 0 offset:588
	buffer_load_dword v166, off, s[0:3], 0 offset:600
	;; [unrolled: 1-line block ×5, first 2 shown]
	ds_read_b128 v[99:102], v1 offset:1040
	s_waitcnt vmcnt(62) lgkmcnt(2)
	v_mul_f64 v[162:163], v[93:94], v[2:3]
	v_mul_f64 v[2:3], v[91:92], v[2:3]
	s_waitcnt vmcnt(60) lgkmcnt(1)
	v_mul_f64 v[169:170], v[97:98], v[103:104]
	v_mul_f64 v[103:104], v[95:96], v[103:104]
	;; [unrolled: 3-line block ×3, first 2 shown]
	v_fma_f64 v[162:163], v[91:92], v[105:106], -v[162:163]
	v_fma_f64 v[2:3], v[93:94], v[105:106], v[2:3]
	s_clause 0x2
	buffer_load_dword v167, off, s[0:3], 0 offset:604
	buffer_load_dword v106, off, s[0:3], 0 offset:580
	;; [unrolled: 1-line block ×3, first 2 shown]
	s_waitcnt vmcnt(57)
	v_fma_f64 v[173:174], v[95:96], v[109:110], -v[169:170]
	ds_read_b128 v[91:94], v1 offset:1056
	v_fma_f64 v[103:104], v[97:98], v[109:110], v[103:104]
	s_clause 0x4
	buffer_load_dword v110, off, s[0:3], 0 offset:620
	buffer_load_dword v170, off, s[0:3], 0 offset:632
	;; [unrolled: 1-line block ×5, first 2 shown]
	s_waitcnt vmcnt(56)
	v_fma_f64 v[107:108], v[99:100], v[117:118], -v[107:108]
	ds_read_b128 v[95:98], v1 offset:1072
	v_fma_f64 v[117:118], v[101:102], v[117:118], v[171:172]
	v_add_f64 v[162:163], v[162:163], 0
	v_add_f64 v[2:3], v[2:3], 0
	s_waitcnt lgkmcnt(1)
	v_mul_f64 v[176:177], v[91:92], v[111:112]
	v_mul_f64 v[111:112], v[93:94], v[111:112]
	v_add_f64 v[162:163], v[162:163], v[173:174]
	v_add_f64 v[2:3], v[2:3], v[103:104]
	s_clause 0x2
	buffer_load_dword v171, off, s[0:3], 0 offset:636
	buffer_load_dword v104, off, s[0:3], 0 offset:612
	;; [unrolled: 1-line block ×3, first 2 shown]
	s_waitcnt vmcnt(58) lgkmcnt(0)
	v_mul_f64 v[172:173], v[95:96], v[113:114]
	v_mul_f64 v[113:114], v[97:98], v[113:114]
	s_waitcnt vmcnt(56)
	v_fma_f64 v[111:112], v[91:92], v[119:120], -v[111:112]
	ds_read_b128 v[99:102], v1 offset:1088
	v_fma_f64 v[119:120], v[93:94], v[119:120], v[176:177]
	v_add_f64 v[107:108], v[162:163], v[107:108]
	v_add_f64 v[2:3], v[2:3], v[117:118]
	s_clause 0x4
	buffer_load_dword v118, off, s[0:3], 0 offset:652
	buffer_load_dword v162, off, s[0:3], 0 offset:664
	;; [unrolled: 1-line block ×5, first 2 shown]
	ds_read_b128 v[91:94], v1 offset:1104
	s_waitcnt vmcnt(57) lgkmcnt(1)
	v_mul_f64 v[178:179], v[99:100], v[121:122]
	v_mul_f64 v[121:122], v[101:102], v[121:122]
	s_waitcnt vmcnt(56)
	v_fma_f64 v[113:114], v[95:96], v[115:116], -v[113:114]
	v_add_f64 v[107:108], v[107:108], v[111:112]
	v_fma_f64 v[111:112], v[97:98], v[115:116], v[172:173]
	v_add_f64 v[2:3], v[2:3], v[119:120]
	s_clause 0x2
	buffer_load_dword v163, off, s[0:3], 0 offset:668
	buffer_load_dword v116, off, s[0:3], 0 offset:644
	buffer_load_dword v115, off, s[0:3], 0 offset:640
	s_waitcnt vmcnt(58) lgkmcnt(0)
	v_mul_f64 v[119:120], v[91:92], v[123:124]
	v_mul_f64 v[123:124], v[93:94], v[123:124]
	s_waitcnt vmcnt(56)
	v_fma_f64 v[121:122], v[99:100], v[127:128], -v[121:122]
	ds_read_b128 v[95:98], v1 offset:1120
	v_add_f64 v[107:108], v[107:108], v[113:114]
	v_fma_f64 v[113:114], v[101:102], v[127:128], v[178:179]
	v_add_f64 v[2:3], v[2:3], v[111:112]
	s_clause 0x4
	buffer_load_dword v112, off, s[0:3], 0 offset:684
	buffer_load_dword v127, off, s[0:3], 0 offset:696
	;; [unrolled: 1-line block ×5, first 2 shown]
	ds_read_b128 v[99:102], v1 offset:1136
	s_waitcnt vmcnt(57) lgkmcnt(1)
	v_mul_f64 v[173:174], v[95:96], v[129:130]
	v_mul_f64 v[129:130], v[97:98], v[129:130]
	s_waitcnt vmcnt(56)
	v_fma_f64 v[123:124], v[91:92], v[125:126], -v[123:124]
	v_fma_f64 v[119:120], v[93:94], v[125:126], v[119:120]
	v_add_f64 v[107:108], v[107:108], v[121:122]
	v_add_f64 v[2:3], v[2:3], v[113:114]
	s_clause 0x2
	buffer_load_dword v128, off, s[0:3], 0 offset:700
	buffer_load_dword v114, off, s[0:3], 0 offset:676
	;; [unrolled: 1-line block ×3, first 2 shown]
	s_waitcnt vmcnt(58) lgkmcnt(0)
	v_mul_f64 v[125:126], v[101:102], v[131:132]
	ds_read_b128 v[91:94], v1 offset:1152
	s_waitcnt vmcnt(56)
	v_fma_f64 v[129:130], v[95:96], v[135:136], -v[129:130]
	v_mul_f64 v[121:122], v[99:100], v[131:132]
	v_add_f64 v[107:108], v[107:108], v[123:124]
	v_fma_f64 v[123:124], v[97:98], v[135:136], v[173:174]
	v_add_f64 v[2:3], v[2:3], v[119:120]
	buffer_load_dword v173, off, s[0:3], 0 offset:692
	ds_read_b128 v[95:98], v1 offset:1168
	s_waitcnt vmcnt(53) lgkmcnt(1)
	v_mul_f64 v[131:132], v[93:94], v[137:138]
	s_waitcnt vmcnt(52)
	v_fma_f64 v[125:126], v[99:100], v[133:134], -v[125:126]
	v_mul_f64 v[119:120], v[91:92], v[137:138]
	v_fma_f64 v[121:122], v[101:102], v[133:134], v[121:122]
	ds_read_b128 v[99:102], v1 offset:1184
	v_add_f64 v[107:108], v[107:108], v[129:130]
	v_add_f64 v[2:3], v[2:3], v[123:124]
	s_waitcnt vmcnt(51) lgkmcnt(1)
	v_mul_f64 v[129:130], v[97:98], v[139:140]
	v_mul_f64 v[123:124], v[95:96], v[139:140]
	s_waitcnt vmcnt(49)
	v_fma_f64 v[131:132], v[91:92], v[143:144], -v[131:132]
	v_fma_f64 v[119:120], v[93:94], v[143:144], v[119:120]
	s_waitcnt vmcnt(45) lgkmcnt(0)
	v_mul_f64 v[135:136], v[101:102], v[145:146]
	v_mul_f64 v[133:134], v[99:100], v[145:146]
	v_add_f64 v[107:108], v[107:108], v[125:126]
	v_add_f64 v[2:3], v[2:3], v[121:122]
	s_clause 0x3
	buffer_load_dword v121, off, s[0:3], 0 offset:320
	buffer_load_dword v122, off, s[0:3], 0 offset:324
	buffer_load_dword v125, off, s[0:3], 0 offset:328
	buffer_load_dword v126, off, s[0:3], 0 offset:332
	s_waitcnt vmcnt(48)
	v_fma_f64 v[129:130], v[95:96], v[141:142], -v[129:130]
	ds_read_b128 v[91:94], v1 offset:1200
	v_fma_f64 v[123:124], v[97:98], v[141:142], v[123:124]
	ds_read_b128 v[95:98], v1 offset:1216
	s_waitcnt vmcnt(45)
	v_fma_f64 v[135:136], v[99:100], v[152:153], -v[135:136]
	v_add_f64 v[107:108], v[107:108], v[131:132]
	v_add_f64 v[2:3], v[2:3], v[119:120]
	s_waitcnt lgkmcnt(1)
	v_mul_f64 v[131:132], v[93:94], v[148:149]
	v_mul_f64 v[119:120], v[91:92], v[148:149]
	v_add_f64 v[107:108], v[107:108], v[129:130]
	v_fma_f64 v[129:130], v[101:102], v[152:153], v[133:134]
	v_add_f64 v[2:3], v[2:3], v[123:124]
	s_waitcnt vmcnt(41) lgkmcnt(0)
	v_mul_f64 v[133:134], v[97:98], v[154:155]
	s_waitcnt vmcnt(40)
	v_fma_f64 v[131:132], v[91:92], v[150:151], -v[131:132]
	ds_read_b128 v[99:102], v1 offset:1232
	v_mul_f64 v[123:124], v[95:96], v[154:155]
	v_fma_f64 v[119:120], v[93:94], v[150:151], v[119:120]
	ds_read_b128 v[91:94], v1 offset:1248
	v_add_f64 v[107:108], v[107:108], v[135:136]
	v_add_f64 v[2:3], v[2:3], v[129:130]
	s_waitcnt vmcnt(39) lgkmcnt(1)
	v_mul_f64 v[135:136], v[101:102], v[156:157]
	s_waitcnt vmcnt(37)
	v_fma_f64 v[133:134], v[95:96], v[160:161], -v[133:134]
	v_mul_f64 v[129:130], v[99:100], v[156:157]
	v_fma_f64 v[123:124], v[97:98], v[160:161], v[123:124]
	ds_read_b128 v[95:98], v1 offset:1264
	v_add_f64 v[107:108], v[107:108], v[131:132]
	s_waitcnt vmcnt(33) lgkmcnt(1)
	v_mul_f64 v[131:132], v[93:94], v[164:165]
	v_add_f64 v[2:3], v[2:3], v[119:120]
	s_waitcnt vmcnt(32)
	v_fma_f64 v[135:136], v[99:100], v[158:159], -v[135:136]
	v_mul_f64 v[119:120], v[91:92], v[164:165]
	v_fma_f64 v[129:130], v[101:102], v[158:159], v[129:130]
	ds_read_b128 v[99:102], v1 offset:1280
	v_add_f64 v[107:108], v[107:108], v[133:134]
	v_add_f64 v[2:3], v[2:3], v[123:124]
	s_waitcnt vmcnt(31) lgkmcnt(1)
	v_mul_f64 v[133:134], v[97:98], v[166:167]
	v_mul_f64 v[123:124], v[95:96], v[166:167]
	s_waitcnt vmcnt(29)
	v_fma_f64 v[131:132], v[91:92], v[105:106], -v[131:132]
	v_fma_f64 v[105:106], v[93:94], v[105:106], v[119:120]
	ds_read_b128 v[91:94], v1 offset:1296
	s_waitcnt vmcnt(25) lgkmcnt(1)
	v_mul_f64 v[119:120], v[99:100], v[109:110]
	v_mul_f64 v[109:110], v[101:102], v[109:110]
	v_add_f64 v[107:108], v[107:108], v[135:136]
	v_add_f64 v[2:3], v[2:3], v[129:130]
	s_waitcnt vmcnt(24)
	v_fma_f64 v[129:130], v[95:96], v[168:169], -v[133:134]
	v_fma_f64 v[123:124], v[97:98], v[168:169], v[123:124]
	ds_read_b128 v[95:98], v1 offset:1312
	v_add_f64 v[107:108], v[107:108], v[131:132]
	v_add_f64 v[2:3], v[2:3], v[105:106]
	s_waitcnt vmcnt(23) lgkmcnt(1)
	v_mul_f64 v[131:132], v[93:94], v[170:171]
	v_mul_f64 v[105:106], v[91:92], v[170:171]
	s_waitcnt vmcnt(21)
	v_fma_f64 v[109:110], v[99:100], v[103:104], -v[109:110]
	v_fma_f64 v[103:104], v[101:102], v[103:104], v[119:120]
	ds_read_b128 v[99:102], v1 offset:1328
	v_add_f64 v[107:108], v[107:108], v[129:130]
	v_add_f64 v[2:3], v[2:3], v[123:124]
	s_waitcnt vmcnt(17) lgkmcnt(1)
	v_mul_f64 v[119:120], v[95:96], v[117:118]
	v_mul_f64 v[117:118], v[97:98], v[117:118]
	s_waitcnt vmcnt(16)
	v_fma_f64 v[123:124], v[91:92], v[175:176], -v[131:132]
	v_fma_f64 v[105:106], v[93:94], v[175:176], v[105:106]
	ds_read_b128 v[91:94], v1 offset:1344
	v_add_f64 v[107:108], v[107:108], v[109:110]
	v_add_f64 v[2:3], v[2:3], v[103:104]
	s_waitcnt vmcnt(15) lgkmcnt(1)
	v_mul_f64 v[109:110], v[101:102], v[162:163]
	v_mul_f64 v[103:104], v[99:100], v[162:163]
	s_waitcnt vmcnt(13)
	v_fma_f64 v[117:118], v[95:96], v[115:116], -v[117:118]
	v_fma_f64 v[115:116], v[97:98], v[115:116], v[119:120]
	ds_read_b128 v[95:98], v1 offset:1360
	v_add_f64 v[107:108], v[107:108], v[123:124]
	v_add_f64 v[2:3], v[2:3], v[105:106]
	s_waitcnt vmcnt(9) lgkmcnt(1)
	v_mul_f64 v[105:106], v[91:92], v[111:112]
	v_mul_f64 v[111:112], v[93:94], v[111:112]
	s_waitcnt vmcnt(8)
	v_fma_f64 v[99:100], v[99:100], v[177:178], -v[109:110]
	v_fma_f64 v[101:102], v[101:102], v[177:178], v[103:104]
	v_add_f64 v[107:108], v[107:108], v[117:118]
	v_add_f64 v[2:3], v[2:3], v[115:116]
	s_waitcnt vmcnt(7) lgkmcnt(0)
	v_mul_f64 v[109:110], v[97:98], v[127:128]
	v_mul_f64 v[103:104], v[95:96], v[127:128]
	s_waitcnt vmcnt(5)
	v_fma_f64 v[91:92], v[91:92], v[113:114], -v[111:112]
	v_fma_f64 v[93:94], v[93:94], v[113:114], v[105:106]
	v_add_f64 v[99:100], v[107:108], v[99:100]
	v_add_f64 v[2:3], v[2:3], v[101:102]
	s_waitcnt vmcnt(4)
	v_fma_f64 v[95:96], v[95:96], v[172:173], -v[109:110]
	v_fma_f64 v[97:98], v[97:98], v[172:173], v[103:104]
	v_add_f64 v[91:92], v[99:100], v[91:92]
	v_add_f64 v[2:3], v[2:3], v[93:94]
	;; [unrolled: 1-line block ×4, first 2 shown]
	s_waitcnt vmcnt(2)
	v_add_f64 v[91:92], v[121:122], -v[91:92]
	s_waitcnt vmcnt(0)
	v_add_f64 v[2:3], v[125:126], -v[2:3]
	buffer_store_dword v92, off, s[0:3], 0 offset:324
	buffer_store_dword v91, off, s[0:3], 0 offset:320
	;; [unrolled: 1-line block ×4, first 2 shown]
	v_cmpx_lt_u32_e32 18, v0
	s_cbranch_execz .LBB106_235
; %bb.234:
	v_mov_b32_e32 v2, s37
	s_clause 0x3
	buffer_load_dword v91, v2, s[0:3], 0 offen
	buffer_load_dword v92, v2, s[0:3], 0 offen offset:4
	buffer_load_dword v93, v2, s[0:3], 0 offen offset:8
	;; [unrolled: 1-line block ×3, first 2 shown]
	buffer_store_dword v1, off, s[0:3], 0 offset:304
	buffer_store_dword v1, off, s[0:3], 0 offset:308
	;; [unrolled: 1-line block ×4, first 2 shown]
	s_waitcnt vmcnt(0)
	ds_write_b128 v147, v[91:94]
.LBB106_235:
	s_or_b32 exec_lo, exec_lo, s4
	s_waitcnt lgkmcnt(0)
	s_waitcnt_vscnt null, 0x0
	s_barrier
	buffer_gl0_inv
	s_clause 0x37
	buffer_load_dword v2, off, s[0:3], 0 offset:328
	buffer_load_dword v3, off, s[0:3], 0 offset:332
	;; [unrolled: 1-line block ×56, first 2 shown]
	ds_read_b128 v[91:94], v1 offset:992
	s_clause 0x2
	buffer_load_dword v157, off, s[0:3], 0 offset:556
	buffer_load_dword v161, off, s[0:3], 0 offset:532
	;; [unrolled: 1-line block ×3, first 2 shown]
	ds_read_b128 v[95:98], v1 offset:1008
	s_clause 0x4
	buffer_load_dword v165, off, s[0:3], 0 offset:572
	buffer_load_dword v166, off, s[0:3], 0 offset:584
	;; [unrolled: 1-line block ×5, first 2 shown]
	ds_read_b128 v[99:102], v1 offset:1024
	s_mov_b32 s4, exec_lo
	s_waitcnt vmcnt(62) lgkmcnt(2)
	v_mul_f64 v[162:163], v[93:94], v[2:3]
	v_mul_f64 v[2:3], v[91:92], v[2:3]
	s_waitcnt vmcnt(60) lgkmcnt(1)
	v_mul_f64 v[169:170], v[97:98], v[103:104]
	v_mul_f64 v[103:104], v[95:96], v[103:104]
	;; [unrolled: 3-line block ×3, first 2 shown]
	v_fma_f64 v[162:163], v[91:92], v[105:106], -v[162:163]
	v_fma_f64 v[2:3], v[93:94], v[105:106], v[2:3]
	s_clause 0x2
	buffer_load_dword v167, off, s[0:3], 0 offset:588
	buffer_load_dword v106, off, s[0:3], 0 offset:564
	;; [unrolled: 1-line block ×3, first 2 shown]
	s_waitcnt vmcnt(57)
	v_fma_f64 v[173:174], v[95:96], v[109:110], -v[169:170]
	ds_read_b128 v[91:94], v1 offset:1040
	v_fma_f64 v[103:104], v[97:98], v[109:110], v[103:104]
	s_clause 0x4
	buffer_load_dword v110, off, s[0:3], 0 offset:604
	buffer_load_dword v170, off, s[0:3], 0 offset:616
	;; [unrolled: 1-line block ×5, first 2 shown]
	s_waitcnt vmcnt(56)
	v_fma_f64 v[107:108], v[99:100], v[117:118], -v[107:108]
	ds_read_b128 v[95:98], v1 offset:1056
	v_fma_f64 v[117:118], v[101:102], v[117:118], v[171:172]
	v_add_f64 v[162:163], v[162:163], 0
	v_add_f64 v[2:3], v[2:3], 0
	s_waitcnt lgkmcnt(1)
	v_mul_f64 v[176:177], v[91:92], v[111:112]
	v_mul_f64 v[111:112], v[93:94], v[111:112]
	v_add_f64 v[162:163], v[162:163], v[173:174]
	v_add_f64 v[2:3], v[2:3], v[103:104]
	s_clause 0x2
	buffer_load_dword v171, off, s[0:3], 0 offset:620
	buffer_load_dword v104, off, s[0:3], 0 offset:596
	;; [unrolled: 1-line block ×3, first 2 shown]
	s_waitcnt vmcnt(58) lgkmcnt(0)
	v_mul_f64 v[172:173], v[95:96], v[113:114]
	v_mul_f64 v[113:114], v[97:98], v[113:114]
	s_waitcnt vmcnt(56)
	v_fma_f64 v[111:112], v[91:92], v[119:120], -v[111:112]
	ds_read_b128 v[99:102], v1 offset:1072
	v_fma_f64 v[119:120], v[93:94], v[119:120], v[176:177]
	v_add_f64 v[107:108], v[162:163], v[107:108]
	v_add_f64 v[2:3], v[2:3], v[117:118]
	s_clause 0x4
	buffer_load_dword v118, off, s[0:3], 0 offset:636
	buffer_load_dword v162, off, s[0:3], 0 offset:648
	;; [unrolled: 1-line block ×5, first 2 shown]
	ds_read_b128 v[91:94], v1 offset:1088
	s_waitcnt vmcnt(57) lgkmcnt(1)
	v_mul_f64 v[178:179], v[99:100], v[121:122]
	v_mul_f64 v[121:122], v[101:102], v[121:122]
	s_waitcnt vmcnt(56)
	v_fma_f64 v[113:114], v[95:96], v[115:116], -v[113:114]
	v_add_f64 v[107:108], v[107:108], v[111:112]
	v_fma_f64 v[111:112], v[97:98], v[115:116], v[172:173]
	v_add_f64 v[2:3], v[2:3], v[119:120]
	s_clause 0x2
	buffer_load_dword v163, off, s[0:3], 0 offset:652
	buffer_load_dword v116, off, s[0:3], 0 offset:628
	;; [unrolled: 1-line block ×3, first 2 shown]
	s_waitcnt vmcnt(58) lgkmcnt(0)
	v_mul_f64 v[119:120], v[91:92], v[123:124]
	v_mul_f64 v[123:124], v[93:94], v[123:124]
	s_waitcnt vmcnt(56)
	v_fma_f64 v[121:122], v[99:100], v[127:128], -v[121:122]
	ds_read_b128 v[95:98], v1 offset:1104
	v_add_f64 v[107:108], v[107:108], v[113:114]
	v_fma_f64 v[113:114], v[101:102], v[127:128], v[178:179]
	v_add_f64 v[2:3], v[2:3], v[111:112]
	s_clause 0x4
	buffer_load_dword v112, off, s[0:3], 0 offset:668
	buffer_load_dword v127, off, s[0:3], 0 offset:680
	;; [unrolled: 1-line block ×5, first 2 shown]
	ds_read_b128 v[99:102], v1 offset:1120
	s_waitcnt vmcnt(57) lgkmcnt(1)
	v_mul_f64 v[173:174], v[95:96], v[129:130]
	v_mul_f64 v[129:130], v[97:98], v[129:130]
	s_waitcnt vmcnt(56)
	v_fma_f64 v[123:124], v[91:92], v[125:126], -v[123:124]
	v_fma_f64 v[119:120], v[93:94], v[125:126], v[119:120]
	v_add_f64 v[107:108], v[107:108], v[121:122]
	v_add_f64 v[2:3], v[2:3], v[113:114]
	s_clause 0x2
	buffer_load_dword v128, off, s[0:3], 0 offset:684
	buffer_load_dword v114, off, s[0:3], 0 offset:660
	;; [unrolled: 1-line block ×3, first 2 shown]
	s_waitcnt vmcnt(58) lgkmcnt(0)
	v_mul_f64 v[125:126], v[101:102], v[131:132]
	ds_read_b128 v[91:94], v1 offset:1136
	s_waitcnt vmcnt(56)
	v_fma_f64 v[129:130], v[95:96], v[135:136], -v[129:130]
	v_mul_f64 v[121:122], v[99:100], v[131:132]
	v_add_f64 v[107:108], v[107:108], v[123:124]
	v_fma_f64 v[123:124], v[97:98], v[135:136], v[173:174]
	v_add_f64 v[2:3], v[2:3], v[119:120]
	s_clause 0x2
	buffer_load_dword v120, off, s[0:3], 0 offset:700
	buffer_load_dword v119, off, s[0:3], 0 offset:696
	;; [unrolled: 1-line block ×3, first 2 shown]
	s_waitcnt vmcnt(55) lgkmcnt(0)
	v_mul_f64 v[135:136], v[93:94], v[137:138]
	s_waitcnt vmcnt(54)
	v_fma_f64 v[125:126], v[99:100], v[133:134], -v[125:126]
	ds_read_b128 v[95:98], v1 offset:1152
	v_mul_f64 v[131:132], v[91:92], v[137:138]
	v_fma_f64 v[121:122], v[101:102], v[133:134], v[121:122]
	v_add_f64 v[107:108], v[107:108], v[129:130]
	v_add_f64 v[2:3], v[2:3], v[123:124]
	s_clause 0x1
	buffer_load_dword v124, off, s[0:3], 0 offset:692
	buffer_load_dword v123, off, s[0:3], 0 offset:688
	s_waitcnt vmcnt(55) lgkmcnt(0)
	v_mul_f64 v[133:134], v[97:98], v[139:140]
	s_waitcnt vmcnt(53)
	v_fma_f64 v[135:136], v[91:92], v[143:144], -v[135:136]
	ds_read_b128 v[99:102], v1 offset:1168
	v_mul_f64 v[129:130], v[95:96], v[139:140]
	v_add_f64 v[107:108], v[107:108], v[125:126]
	v_fma_f64 v[125:126], v[93:94], v[143:144], v[131:132]
	v_add_f64 v[2:3], v[2:3], v[121:122]
	ds_read_b128 v[91:94], v1 offset:1184
	s_waitcnt vmcnt(49) lgkmcnt(1)
	v_mul_f64 v[131:132], v[101:102], v[145:146]
	s_waitcnt vmcnt(48)
	v_fma_f64 v[133:134], v[95:96], v[141:142], -v[133:134]
	v_mul_f64 v[121:122], v[99:100], v[145:146]
	v_fma_f64 v[129:130], v[97:98], v[141:142], v[129:130]
	v_add_f64 v[107:108], v[107:108], v[135:136]
	s_waitcnt vmcnt(47) lgkmcnt(0)
	v_mul_f64 v[139:140], v[93:94], v[148:149]
	v_add_f64 v[2:3], v[2:3], v[125:126]
	s_clause 0x3
	buffer_load_dword v125, off, s[0:3], 0 offset:304
	buffer_load_dword v126, off, s[0:3], 0 offset:308
	;; [unrolled: 1-line block ×4, first 2 shown]
	s_waitcnt vmcnt(49)
	v_fma_f64 v[131:132], v[99:100], v[152:153], -v[131:132]
	ds_read_b128 v[95:98], v1 offset:1200
	v_mul_f64 v[137:138], v[91:92], v[148:149]
	v_fma_f64 v[121:122], v[101:102], v[152:153], v[121:122]
	ds_read_b128 v[99:102], v1 offset:1216
	v_add_f64 v[107:108], v[107:108], v[133:134]
	s_waitcnt vmcnt(44)
	v_fma_f64 v[139:140], v[91:92], v[150:151], -v[139:140]
	v_add_f64 v[2:3], v[2:3], v[129:130]
	s_waitcnt lgkmcnt(1)
	v_mul_f64 v[133:134], v[97:98], v[154:155]
	v_mul_f64 v[129:130], v[95:96], v[154:155]
	v_add_f64 v[107:108], v[107:108], v[131:132]
	v_fma_f64 v[131:132], v[93:94], v[150:151], v[137:138]
	v_add_f64 v[2:3], v[2:3], v[121:122]
	s_waitcnt vmcnt(43) lgkmcnt(0)
	v_mul_f64 v[137:138], v[101:102], v[156:157]
	s_waitcnt vmcnt(41)
	v_fma_f64 v[133:134], v[95:96], v[160:161], -v[133:134]
	ds_read_b128 v[91:94], v1 offset:1232
	v_mul_f64 v[121:122], v[99:100], v[156:157]
	v_fma_f64 v[129:130], v[97:98], v[160:161], v[129:130]
	ds_read_b128 v[95:98], v1 offset:1248
	v_add_f64 v[107:108], v[107:108], v[139:140]
	v_add_f64 v[2:3], v[2:3], v[131:132]
	s_waitcnt vmcnt(37) lgkmcnt(1)
	v_mul_f64 v[139:140], v[93:94], v[164:165]
	s_waitcnt vmcnt(36)
	v_fma_f64 v[137:138], v[99:100], v[158:159], -v[137:138]
	v_mul_f64 v[131:132], v[91:92], v[164:165]
	v_fma_f64 v[121:122], v[101:102], v[158:159], v[121:122]
	ds_read_b128 v[99:102], v1 offset:1264
	v_add_f64 v[107:108], v[107:108], v[133:134]
	v_add_f64 v[2:3], v[2:3], v[129:130]
	s_waitcnt vmcnt(35) lgkmcnt(1)
	v_mul_f64 v[133:134], v[97:98], v[166:167]
	v_mul_f64 v[129:130], v[95:96], v[166:167]
	s_waitcnt vmcnt(33)
	v_fma_f64 v[139:140], v[91:92], v[105:106], -v[139:140]
	v_fma_f64 v[105:106], v[93:94], v[105:106], v[131:132]
	ds_read_b128 v[91:94], v1 offset:1280
	v_add_f64 v[107:108], v[107:108], v[137:138]
	v_add_f64 v[2:3], v[2:3], v[121:122]
	s_waitcnt vmcnt(29) lgkmcnt(1)
	v_mul_f64 v[121:122], v[99:100], v[109:110]
	v_mul_f64 v[109:110], v[101:102], v[109:110]
	s_waitcnt vmcnt(28)
	v_fma_f64 v[131:132], v[95:96], v[168:169], -v[133:134]
	;; [unrolled: 9-line block ×6, first 2 shown]
	v_fma_f64 v[101:102], v[101:102], v[177:178], v[103:104]
	v_add_f64 v[107:108], v[107:108], v[117:118]
	v_add_f64 v[103:104], v[2:3], v[115:116]
	ds_read_b128 v[1:4], v1 offset:1360
	s_waitcnt vmcnt(11) lgkmcnt(1)
	v_mul_f64 v[115:116], v[97:98], v[127:128]
	v_mul_f64 v[109:110], v[95:96], v[127:128]
	s_waitcnt vmcnt(9)
	v_fma_f64 v[91:92], v[91:92], v[113:114], -v[111:112]
	v_fma_f64 v[93:94], v[93:94], v[113:114], v[105:106]
	v_add_f64 v[99:100], v[107:108], v[99:100]
	v_add_f64 v[101:102], v[103:104], v[101:102]
	s_waitcnt vmcnt(7) lgkmcnt(0)
	v_mul_f64 v[105:106], v[3:4], v[119:120]
	s_waitcnt vmcnt(6)
	v_fma_f64 v[95:96], v[95:96], v[172:173], -v[115:116]
	v_mul_f64 v[103:104], v[1:2], v[119:120]
	v_fma_f64 v[97:98], v[97:98], v[172:173], v[109:110]
	v_add_f64 v[91:92], v[99:100], v[91:92]
	v_add_f64 v[93:94], v[101:102], v[93:94]
	s_waitcnt vmcnt(4)
	v_fma_f64 v[1:2], v[1:2], v[123:124], -v[105:106]
	v_fma_f64 v[3:4], v[3:4], v[123:124], v[103:104]
	v_add_f64 v[91:92], v[91:92], v[95:96]
	v_add_f64 v[93:94], v[93:94], v[97:98]
	v_add_f64 v[1:2], v[91:92], v[1:2]
	v_add_f64 v[3:4], v[93:94], v[3:4]
	s_waitcnt vmcnt(2)
	v_add_f64 v[1:2], v[125:126], -v[1:2]
	s_waitcnt vmcnt(0)
	v_add_f64 v[3:4], v[135:136], -v[3:4]
	buffer_store_dword v2, off, s[0:3], 0 offset:308
	buffer_store_dword v1, off, s[0:3], 0 offset:304
	;; [unrolled: 1-line block ×4, first 2 shown]
	v_cmpx_lt_u32_e32 17, v0
	s_cbranch_execz .LBB106_237
; %bb.236:
	v_mov_b32_e32 v4, s38
	v_mov_b32_e32 v91, 0
	s_clause 0x3
	buffer_load_dword v1, v4, s[0:3], 0 offen
	buffer_load_dword v2, v4, s[0:3], 0 offen offset:4
	buffer_load_dword v3, v4, s[0:3], 0 offen offset:8
	;; [unrolled: 1-line block ×3, first 2 shown]
	buffer_store_dword v91, off, s[0:3], 0 offset:288
	buffer_store_dword v91, off, s[0:3], 0 offset:292
	;; [unrolled: 1-line block ×4, first 2 shown]
	s_waitcnt vmcnt(0)
	ds_write_b128 v147, v[1:4]
.LBB106_237:
	s_or_b32 exec_lo, exec_lo, s4
	s_waitcnt lgkmcnt(0)
	s_waitcnt_vscnt null, 0x0
	s_barrier
	buffer_gl0_inv
	s_clause 0x37
	buffer_load_dword v2, off, s[0:3], 0 offset:312
	buffer_load_dword v3, off, s[0:3], 0 offset:316
	;; [unrolled: 1-line block ×56, first 2 shown]
	v_mov_b32_e32 v1, 0
	s_mov_b32 s4, exec_lo
	ds_read_b128 v[91:94], v1 offset:976
	s_clause 0x2
	buffer_load_dword v157, off, s[0:3], 0 offset:540
	buffer_load_dword v161, off, s[0:3], 0 offset:516
	;; [unrolled: 1-line block ×3, first 2 shown]
	ds_read_b128 v[95:98], v1 offset:992
	s_clause 0x4
	buffer_load_dword v165, off, s[0:3], 0 offset:556
	buffer_load_dword v166, off, s[0:3], 0 offset:568
	buffer_load_dword v168, off, s[0:3], 0 offset:560
	buffer_load_dword v164, off, s[0:3], 0 offset:552
	buffer_load_dword v159, off, s[0:3], 0 offset:532
	ds_read_b128 v[99:102], v1 offset:1008
	s_waitcnt vmcnt(62) lgkmcnt(2)
	v_mul_f64 v[162:163], v[93:94], v[2:3]
	v_mul_f64 v[2:3], v[91:92], v[2:3]
	s_waitcnt vmcnt(60) lgkmcnt(1)
	v_mul_f64 v[169:170], v[97:98], v[103:104]
	v_mul_f64 v[103:104], v[95:96], v[103:104]
	s_waitcnt vmcnt(56) lgkmcnt(0)
	v_mul_f64 v[171:172], v[99:100], v[107:108]
	v_mul_f64 v[107:108], v[101:102], v[107:108]
	v_fma_f64 v[162:163], v[91:92], v[105:106], -v[162:163]
	v_fma_f64 v[2:3], v[93:94], v[105:106], v[2:3]
	s_clause 0x2
	buffer_load_dword v167, off, s[0:3], 0 offset:572
	buffer_load_dword v106, off, s[0:3], 0 offset:548
	;; [unrolled: 1-line block ×3, first 2 shown]
	s_waitcnt vmcnt(57)
	v_fma_f64 v[173:174], v[95:96], v[109:110], -v[169:170]
	ds_read_b128 v[91:94], v1 offset:1024
	v_fma_f64 v[103:104], v[97:98], v[109:110], v[103:104]
	s_clause 0x4
	buffer_load_dword v110, off, s[0:3], 0 offset:588
	buffer_load_dword v170, off, s[0:3], 0 offset:600
	;; [unrolled: 1-line block ×5, first 2 shown]
	s_waitcnt vmcnt(56)
	v_fma_f64 v[107:108], v[99:100], v[117:118], -v[107:108]
	ds_read_b128 v[95:98], v1 offset:1040
	v_fma_f64 v[117:118], v[101:102], v[117:118], v[171:172]
	v_add_f64 v[162:163], v[162:163], 0
	v_add_f64 v[2:3], v[2:3], 0
	s_waitcnt lgkmcnt(1)
	v_mul_f64 v[176:177], v[91:92], v[111:112]
	v_mul_f64 v[111:112], v[93:94], v[111:112]
	v_add_f64 v[162:163], v[162:163], v[173:174]
	v_add_f64 v[2:3], v[2:3], v[103:104]
	s_clause 0x2
	buffer_load_dword v171, off, s[0:3], 0 offset:604
	buffer_load_dword v104, off, s[0:3], 0 offset:580
	buffer_load_dword v103, off, s[0:3], 0 offset:576
	s_waitcnt vmcnt(58) lgkmcnt(0)
	v_mul_f64 v[172:173], v[95:96], v[113:114]
	v_mul_f64 v[113:114], v[97:98], v[113:114]
	s_waitcnt vmcnt(56)
	v_fma_f64 v[111:112], v[91:92], v[119:120], -v[111:112]
	ds_read_b128 v[99:102], v1 offset:1056
	v_fma_f64 v[119:120], v[93:94], v[119:120], v[176:177]
	v_add_f64 v[107:108], v[162:163], v[107:108]
	v_add_f64 v[2:3], v[2:3], v[117:118]
	s_clause 0x4
	buffer_load_dword v118, off, s[0:3], 0 offset:620
	buffer_load_dword v162, off, s[0:3], 0 offset:632
	;; [unrolled: 1-line block ×5, first 2 shown]
	ds_read_b128 v[91:94], v1 offset:1072
	s_waitcnt vmcnt(57) lgkmcnt(1)
	v_mul_f64 v[178:179], v[99:100], v[121:122]
	v_mul_f64 v[121:122], v[101:102], v[121:122]
	s_waitcnt vmcnt(56)
	v_fma_f64 v[113:114], v[95:96], v[115:116], -v[113:114]
	v_add_f64 v[107:108], v[107:108], v[111:112]
	v_fma_f64 v[111:112], v[97:98], v[115:116], v[172:173]
	v_add_f64 v[2:3], v[2:3], v[119:120]
	s_clause 0x2
	buffer_load_dword v163, off, s[0:3], 0 offset:636
	buffer_load_dword v116, off, s[0:3], 0 offset:612
	;; [unrolled: 1-line block ×3, first 2 shown]
	s_waitcnt vmcnt(58) lgkmcnt(0)
	v_mul_f64 v[119:120], v[91:92], v[123:124]
	v_mul_f64 v[123:124], v[93:94], v[123:124]
	s_waitcnt vmcnt(56)
	v_fma_f64 v[121:122], v[99:100], v[127:128], -v[121:122]
	ds_read_b128 v[95:98], v1 offset:1088
	v_add_f64 v[107:108], v[107:108], v[113:114]
	v_fma_f64 v[113:114], v[101:102], v[127:128], v[178:179]
	v_add_f64 v[2:3], v[2:3], v[111:112]
	s_clause 0x4
	buffer_load_dword v112, off, s[0:3], 0 offset:652
	buffer_load_dword v127, off, s[0:3], 0 offset:664
	;; [unrolled: 1-line block ×5, first 2 shown]
	ds_read_b128 v[99:102], v1 offset:1104
	s_waitcnt vmcnt(57) lgkmcnt(1)
	v_mul_f64 v[173:174], v[95:96], v[129:130]
	v_mul_f64 v[129:130], v[97:98], v[129:130]
	s_waitcnt vmcnt(56)
	v_fma_f64 v[123:124], v[91:92], v[125:126], -v[123:124]
	v_fma_f64 v[119:120], v[93:94], v[125:126], v[119:120]
	v_add_f64 v[107:108], v[107:108], v[121:122]
	v_add_f64 v[2:3], v[2:3], v[113:114]
	s_clause 0x2
	buffer_load_dword v128, off, s[0:3], 0 offset:668
	buffer_load_dword v114, off, s[0:3], 0 offset:644
	;; [unrolled: 1-line block ×3, first 2 shown]
	s_waitcnt vmcnt(58) lgkmcnt(0)
	v_mul_f64 v[125:126], v[101:102], v[131:132]
	ds_read_b128 v[91:94], v1 offset:1120
	s_waitcnt vmcnt(56)
	v_fma_f64 v[129:130], v[95:96], v[135:136], -v[129:130]
	v_mul_f64 v[121:122], v[99:100], v[131:132]
	v_add_f64 v[107:108], v[107:108], v[123:124]
	v_fma_f64 v[123:124], v[97:98], v[135:136], v[173:174]
	v_add_f64 v[2:3], v[2:3], v[119:120]
	s_clause 0x4
	buffer_load_dword v120, off, s[0:3], 0 offset:684
	buffer_load_dword v131, off, s[0:3], 0 offset:696
	;; [unrolled: 1-line block ×5, first 2 shown]
	s_waitcnt vmcnt(57) lgkmcnt(0)
	v_mul_f64 v[179:180], v[91:92], v[137:138]
	v_mul_f64 v[136:137], v[93:94], v[137:138]
	s_waitcnt vmcnt(56)
	v_fma_f64 v[125:126], v[99:100], v[133:134], -v[125:126]
	ds_read_b128 v[95:98], v1 offset:1136
	v_fma_f64 v[121:122], v[101:102], v[133:134], v[121:122]
	v_add_f64 v[107:108], v[107:108], v[129:130]
	v_add_f64 v[2:3], v[2:3], v[123:124]
	s_clause 0x2
	buffer_load_dword v132, off, s[0:3], 0 offset:700
	buffer_load_dword v124, off, s[0:3], 0 offset:676
	buffer_load_dword v123, off, s[0:3], 0 offset:672
	ds_read_b128 v[99:102], v1 offset:1152
	s_waitcnt vmcnt(58) lgkmcnt(1)
	v_mul_f64 v[133:134], v[97:98], v[139:140]
	s_waitcnt vmcnt(56)
	v_fma_f64 v[137:138], v[91:92], v[143:144], -v[136:137]
	v_mul_f64 v[129:130], v[95:96], v[139:140]
	buffer_load_dword v136, off, s[0:3], 0 offset:692
	v_add_f64 v[107:108], v[107:108], v[125:126]
	v_fma_f64 v[125:126], v[93:94], v[143:144], v[179:180]
	v_add_f64 v[2:3], v[2:3], v[121:122]
	ds_read_b128 v[91:94], v1 offset:1168
	s_waitcnt vmcnt(53) lgkmcnt(1)
	v_mul_f64 v[139:140], v[101:102], v[145:146]
	s_waitcnt vmcnt(52)
	v_fma_f64 v[133:134], v[95:96], v[141:142], -v[133:134]
	v_mul_f64 v[121:122], v[99:100], v[145:146]
	v_fma_f64 v[129:130], v[97:98], v[141:142], v[129:130]
	ds_read_b128 v[95:98], v1 offset:1184
	v_add_f64 v[107:108], v[107:108], v[137:138]
	s_waitcnt vmcnt(51) lgkmcnt(1)
	v_mul_f64 v[137:138], v[93:94], v[148:149]
	v_add_f64 v[2:3], v[2:3], v[125:126]
	v_mul_f64 v[125:126], v[91:92], v[148:149]
	s_waitcnt vmcnt(49)
	v_fma_f64 v[139:140], v[99:100], v[152:153], -v[139:140]
	v_fma_f64 v[121:122], v[101:102], v[152:153], v[121:122]
	s_waitcnt vmcnt(45) lgkmcnt(0)
	v_mul_f64 v[143:144], v[97:98], v[154:155]
	v_mul_f64 v[141:142], v[95:96], v[154:155]
	v_add_f64 v[107:108], v[107:108], v[133:134]
	s_waitcnt vmcnt(44)
	v_fma_f64 v[137:138], v[91:92], v[150:151], -v[137:138]
	v_add_f64 v[2:3], v[2:3], v[129:130]
	s_clause 0x3
	buffer_load_dword v129, off, s[0:3], 0 offset:288
	buffer_load_dword v130, off, s[0:3], 0 offset:292
	;; [unrolled: 1-line block ×4, first 2 shown]
	ds_read_b128 v[99:102], v1 offset:1200
	v_fma_f64 v[125:126], v[93:94], v[150:151], v[125:126]
	ds_read_b128 v[91:94], v1 offset:1216
	s_waitcnt vmcnt(45)
	v_fma_f64 v[143:144], v[95:96], v[160:161], -v[143:144]
	v_add_f64 v[107:108], v[107:108], v[139:140]
	v_add_f64 v[2:3], v[2:3], v[121:122]
	s_waitcnt lgkmcnt(1)
	v_mul_f64 v[139:140], v[101:102], v[156:157]
	v_mul_f64 v[121:122], v[99:100], v[156:157]
	v_add_f64 v[107:108], v[107:108], v[137:138]
	v_fma_f64 v[137:138], v[97:98], v[160:161], v[141:142]
	v_add_f64 v[2:3], v[2:3], v[125:126]
	s_waitcnt vmcnt(41) lgkmcnt(0)
	v_mul_f64 v[141:142], v[93:94], v[164:165]
	s_waitcnt vmcnt(40)
	v_fma_f64 v[139:140], v[99:100], v[158:159], -v[139:140]
	ds_read_b128 v[95:98], v1 offset:1232
	v_mul_f64 v[125:126], v[91:92], v[164:165]
	v_fma_f64 v[121:122], v[101:102], v[158:159], v[121:122]
	ds_read_b128 v[99:102], v1 offset:1248
	v_add_f64 v[107:108], v[107:108], v[143:144]
	v_add_f64 v[2:3], v[2:3], v[137:138]
	s_waitcnt vmcnt(39) lgkmcnt(1)
	v_mul_f64 v[143:144], v[97:98], v[166:167]
	v_mul_f64 v[137:138], v[95:96], v[166:167]
	s_waitcnt vmcnt(37)
	v_fma_f64 v[141:142], v[91:92], v[105:106], -v[141:142]
	v_fma_f64 v[105:106], v[93:94], v[105:106], v[125:126]
	ds_read_b128 v[91:94], v1 offset:1264
	v_add_f64 v[107:108], v[107:108], v[139:140]
	v_add_f64 v[2:3], v[2:3], v[121:122]
	s_waitcnt vmcnt(33) lgkmcnt(1)
	v_mul_f64 v[121:122], v[99:100], v[109:110]
	v_mul_f64 v[109:110], v[101:102], v[109:110]
	s_waitcnt vmcnt(32)
	v_fma_f64 v[125:126], v[95:96], v[168:169], -v[143:144]
	;; [unrolled: 9-line block ×7, first 2 shown]
	v_fma_f64 v[105:106], v[93:94], v[113:114], v[105:106]
	ds_read_b128 v[91:94], v1 offset:1360
	v_add_f64 v[107:108], v[107:108], v[109:110]
	v_add_f64 v[2:3], v[2:3], v[103:104]
	s_waitcnt vmcnt(9) lgkmcnt(1)
	v_mul_f64 v[109:110], v[101:102], v[119:120]
	s_waitcnt vmcnt(8)
	v_fma_f64 v[95:96], v[95:96], v[172:173], -v[117:118]
	v_mul_f64 v[103:104], v[99:100], v[119:120]
	v_fma_f64 v[97:98], v[97:98], v[172:173], v[115:116]
	v_add_f64 v[107:108], v[107:108], v[111:112]
	v_add_f64 v[2:3], v[2:3], v[105:106]
	s_waitcnt vmcnt(7) lgkmcnt(0)
	v_mul_f64 v[111:112], v[93:94], v[131:132]
	v_mul_f64 v[105:106], v[91:92], v[131:132]
	s_waitcnt vmcnt(5)
	v_fma_f64 v[99:100], v[99:100], v[123:124], -v[109:110]
	v_fma_f64 v[101:102], v[101:102], v[123:124], v[103:104]
	v_add_f64 v[95:96], v[107:108], v[95:96]
	v_add_f64 v[2:3], v[2:3], v[97:98]
	s_waitcnt vmcnt(4)
	v_fma_f64 v[91:92], v[91:92], v[135:136], -v[111:112]
	v_fma_f64 v[93:94], v[93:94], v[135:136], v[105:106]
	v_add_f64 v[95:96], v[95:96], v[99:100]
	v_add_f64 v[2:3], v[2:3], v[101:102]
	;; [unrolled: 1-line block ×4, first 2 shown]
	s_waitcnt vmcnt(2)
	v_add_f64 v[91:92], v[129:130], -v[91:92]
	s_waitcnt vmcnt(0)
	v_add_f64 v[2:3], v[133:134], -v[2:3]
	buffer_store_dword v92, off, s[0:3], 0 offset:292
	buffer_store_dword v91, off, s[0:3], 0 offset:288
	;; [unrolled: 1-line block ×4, first 2 shown]
	v_cmpx_lt_u32_e32 16, v0
	s_cbranch_execz .LBB106_239
; %bb.238:
	v_mov_b32_e32 v2, s39
	s_clause 0x3
	buffer_load_dword v91, v2, s[0:3], 0 offen
	buffer_load_dword v92, v2, s[0:3], 0 offen offset:4
	buffer_load_dword v93, v2, s[0:3], 0 offen offset:8
	;; [unrolled: 1-line block ×3, first 2 shown]
	buffer_store_dword v1, off, s[0:3], 0 offset:272
	buffer_store_dword v1, off, s[0:3], 0 offset:276
	;; [unrolled: 1-line block ×4, first 2 shown]
	s_waitcnt vmcnt(0)
	ds_write_b128 v147, v[91:94]
.LBB106_239:
	s_or_b32 exec_lo, exec_lo, s4
	s_waitcnt lgkmcnt(0)
	s_waitcnt_vscnt null, 0x0
	s_barrier
	buffer_gl0_inv
	s_clause 0x37
	buffer_load_dword v2, off, s[0:3], 0 offset:296
	buffer_load_dword v3, off, s[0:3], 0 offset:300
	;; [unrolled: 1-line block ×56, first 2 shown]
	ds_read_b128 v[91:94], v1 offset:960
	s_clause 0x2
	buffer_load_dword v157, off, s[0:3], 0 offset:524
	buffer_load_dword v161, off, s[0:3], 0 offset:500
	;; [unrolled: 1-line block ×3, first 2 shown]
	ds_read_b128 v[95:98], v1 offset:976
	s_clause 0x4
	buffer_load_dword v165, off, s[0:3], 0 offset:540
	buffer_load_dword v166, off, s[0:3], 0 offset:552
	buffer_load_dword v168, off, s[0:3], 0 offset:544
	buffer_load_dword v164, off, s[0:3], 0 offset:536
	buffer_load_dword v159, off, s[0:3], 0 offset:516
	ds_read_b128 v[99:102], v1 offset:992
	s_mov_b32 s4, exec_lo
	s_waitcnt vmcnt(62) lgkmcnt(2)
	v_mul_f64 v[162:163], v[93:94], v[2:3]
	v_mul_f64 v[2:3], v[91:92], v[2:3]
	s_waitcnt vmcnt(60) lgkmcnt(1)
	v_mul_f64 v[169:170], v[97:98], v[103:104]
	v_mul_f64 v[103:104], v[95:96], v[103:104]
	;; [unrolled: 3-line block ×3, first 2 shown]
	v_fma_f64 v[162:163], v[91:92], v[105:106], -v[162:163]
	v_fma_f64 v[2:3], v[93:94], v[105:106], v[2:3]
	s_clause 0x2
	buffer_load_dword v167, off, s[0:3], 0 offset:556
	buffer_load_dword v106, off, s[0:3], 0 offset:532
	;; [unrolled: 1-line block ×3, first 2 shown]
	s_waitcnt vmcnt(57)
	v_fma_f64 v[173:174], v[95:96], v[109:110], -v[169:170]
	ds_read_b128 v[91:94], v1 offset:1008
	v_fma_f64 v[103:104], v[97:98], v[109:110], v[103:104]
	s_clause 0x4
	buffer_load_dword v110, off, s[0:3], 0 offset:572
	buffer_load_dword v170, off, s[0:3], 0 offset:584
	buffer_load_dword v175, off, s[0:3], 0 offset:576
	buffer_load_dword v109, off, s[0:3], 0 offset:568
	buffer_load_dword v169, off, s[0:3], 0 offset:548
	s_waitcnt vmcnt(56)
	v_fma_f64 v[107:108], v[99:100], v[117:118], -v[107:108]
	ds_read_b128 v[95:98], v1 offset:1024
	v_fma_f64 v[117:118], v[101:102], v[117:118], v[171:172]
	v_add_f64 v[162:163], v[162:163], 0
	v_add_f64 v[2:3], v[2:3], 0
	s_waitcnt lgkmcnt(1)
	v_mul_f64 v[176:177], v[91:92], v[111:112]
	v_mul_f64 v[111:112], v[93:94], v[111:112]
	v_add_f64 v[162:163], v[162:163], v[173:174]
	v_add_f64 v[2:3], v[2:3], v[103:104]
	s_clause 0x2
	buffer_load_dword v171, off, s[0:3], 0 offset:588
	buffer_load_dword v104, off, s[0:3], 0 offset:564
	;; [unrolled: 1-line block ×3, first 2 shown]
	s_waitcnt vmcnt(58) lgkmcnt(0)
	v_mul_f64 v[172:173], v[95:96], v[113:114]
	v_mul_f64 v[113:114], v[97:98], v[113:114]
	s_waitcnt vmcnt(56)
	v_fma_f64 v[111:112], v[91:92], v[119:120], -v[111:112]
	ds_read_b128 v[99:102], v1 offset:1040
	v_fma_f64 v[119:120], v[93:94], v[119:120], v[176:177]
	v_add_f64 v[107:108], v[162:163], v[107:108]
	v_add_f64 v[2:3], v[2:3], v[117:118]
	s_clause 0x4
	buffer_load_dword v118, off, s[0:3], 0 offset:604
	buffer_load_dword v162, off, s[0:3], 0 offset:616
	;; [unrolled: 1-line block ×5, first 2 shown]
	ds_read_b128 v[91:94], v1 offset:1056
	s_waitcnt vmcnt(57) lgkmcnt(1)
	v_mul_f64 v[178:179], v[99:100], v[121:122]
	v_mul_f64 v[121:122], v[101:102], v[121:122]
	s_waitcnt vmcnt(56)
	v_fma_f64 v[113:114], v[95:96], v[115:116], -v[113:114]
	v_add_f64 v[107:108], v[107:108], v[111:112]
	v_fma_f64 v[111:112], v[97:98], v[115:116], v[172:173]
	v_add_f64 v[2:3], v[2:3], v[119:120]
	s_clause 0x2
	buffer_load_dword v163, off, s[0:3], 0 offset:620
	buffer_load_dword v116, off, s[0:3], 0 offset:596
	;; [unrolled: 1-line block ×3, first 2 shown]
	s_waitcnt vmcnt(58) lgkmcnt(0)
	v_mul_f64 v[119:120], v[91:92], v[123:124]
	v_mul_f64 v[123:124], v[93:94], v[123:124]
	s_waitcnt vmcnt(56)
	v_fma_f64 v[121:122], v[99:100], v[127:128], -v[121:122]
	ds_read_b128 v[95:98], v1 offset:1072
	v_add_f64 v[107:108], v[107:108], v[113:114]
	v_fma_f64 v[113:114], v[101:102], v[127:128], v[178:179]
	v_add_f64 v[2:3], v[2:3], v[111:112]
	s_clause 0x4
	buffer_load_dword v112, off, s[0:3], 0 offset:636
	buffer_load_dword v127, off, s[0:3], 0 offset:648
	;; [unrolled: 1-line block ×5, first 2 shown]
	ds_read_b128 v[99:102], v1 offset:1088
	s_waitcnt vmcnt(57) lgkmcnt(1)
	v_mul_f64 v[173:174], v[95:96], v[129:130]
	v_mul_f64 v[129:130], v[97:98], v[129:130]
	s_waitcnt vmcnt(56)
	v_fma_f64 v[123:124], v[91:92], v[125:126], -v[123:124]
	v_fma_f64 v[119:120], v[93:94], v[125:126], v[119:120]
	v_add_f64 v[107:108], v[107:108], v[121:122]
	v_add_f64 v[2:3], v[2:3], v[113:114]
	s_clause 0x2
	buffer_load_dword v128, off, s[0:3], 0 offset:652
	buffer_load_dword v114, off, s[0:3], 0 offset:628
	buffer_load_dword v113, off, s[0:3], 0 offset:624
	s_waitcnt vmcnt(58) lgkmcnt(0)
	v_mul_f64 v[125:126], v[101:102], v[131:132]
	ds_read_b128 v[91:94], v1 offset:1104
	s_waitcnt vmcnt(56)
	v_fma_f64 v[129:130], v[95:96], v[135:136], -v[129:130]
	v_mul_f64 v[121:122], v[99:100], v[131:132]
	v_add_f64 v[107:108], v[107:108], v[123:124]
	v_fma_f64 v[123:124], v[97:98], v[135:136], v[173:174]
	v_add_f64 v[2:3], v[2:3], v[119:120]
	s_clause 0x4
	buffer_load_dword v120, off, s[0:3], 0 offset:668
	buffer_load_dword v131, off, s[0:3], 0 offset:680
	;; [unrolled: 1-line block ×5, first 2 shown]
	s_waitcnt vmcnt(57) lgkmcnt(0)
	v_mul_f64 v[179:180], v[91:92], v[137:138]
	v_mul_f64 v[136:137], v[93:94], v[137:138]
	s_waitcnt vmcnt(56)
	v_fma_f64 v[125:126], v[99:100], v[133:134], -v[125:126]
	ds_read_b128 v[95:98], v1 offset:1120
	v_fma_f64 v[121:122], v[101:102], v[133:134], v[121:122]
	v_add_f64 v[107:108], v[107:108], v[129:130]
	v_add_f64 v[2:3], v[2:3], v[123:124]
	s_clause 0x2
	buffer_load_dword v132, off, s[0:3], 0 offset:684
	buffer_load_dword v124, off, s[0:3], 0 offset:660
	;; [unrolled: 1-line block ×3, first 2 shown]
	ds_read_b128 v[99:102], v1 offset:1136
	s_waitcnt vmcnt(58) lgkmcnt(1)
	v_mul_f64 v[133:134], v[97:98], v[139:140]
	s_waitcnt vmcnt(56)
	v_fma_f64 v[137:138], v[91:92], v[143:144], -v[136:137]
	v_mul_f64 v[129:130], v[95:96], v[139:140]
	v_add_f64 v[107:108], v[107:108], v[125:126]
	v_fma_f64 v[125:126], v[93:94], v[143:144], v[179:180]
	v_add_f64 v[2:3], v[2:3], v[121:122]
	s_clause 0x2
	buffer_load_dword v122, off, s[0:3], 0 offset:700
	buffer_load_dword v121, off, s[0:3], 0 offset:696
	;; [unrolled: 1-line block ×3, first 2 shown]
	s_waitcnt vmcnt(55) lgkmcnt(0)
	v_mul_f64 v[143:144], v[101:102], v[145:146]
	s_waitcnt vmcnt(54)
	v_fma_f64 v[133:134], v[95:96], v[141:142], -v[133:134]
	ds_read_b128 v[91:94], v1 offset:1152
	v_mul_f64 v[139:140], v[99:100], v[145:146]
	v_fma_f64 v[129:130], v[97:98], v[141:142], v[129:130]
	v_add_f64 v[107:108], v[107:108], v[137:138]
	v_add_f64 v[2:3], v[2:3], v[125:126]
	s_clause 0x1
	buffer_load_dword v126, off, s[0:3], 0 offset:692
	buffer_load_dword v125, off, s[0:3], 0 offset:688
	s_waitcnt vmcnt(55) lgkmcnt(0)
	v_mul_f64 v[141:142], v[93:94], v[148:149]
	s_waitcnt vmcnt(53)
	v_fma_f64 v[143:144], v[99:100], v[152:153], -v[143:144]
	ds_read_b128 v[95:98], v1 offset:1168
	v_mul_f64 v[137:138], v[91:92], v[148:149]
	v_add_f64 v[107:108], v[107:108], v[133:134]
	v_fma_f64 v[133:134], v[101:102], v[152:153], v[139:140]
	v_add_f64 v[2:3], v[2:3], v[129:130]
	ds_read_b128 v[99:102], v1 offset:1184
	s_waitcnt vmcnt(49) lgkmcnt(1)
	v_mul_f64 v[139:140], v[97:98], v[154:155]
	s_waitcnt vmcnt(48)
	v_fma_f64 v[141:142], v[91:92], v[150:151], -v[141:142]
	v_mul_f64 v[129:130], v[95:96], v[154:155]
	v_fma_f64 v[137:138], v[93:94], v[150:151], v[137:138]
	v_add_f64 v[107:108], v[107:108], v[143:144]
	s_waitcnt vmcnt(47) lgkmcnt(0)
	v_mul_f64 v[148:149], v[101:102], v[156:157]
	v_add_f64 v[2:3], v[2:3], v[133:134]
	s_clause 0x3
	buffer_load_dword v133, off, s[0:3], 0 offset:272
	buffer_load_dword v134, off, s[0:3], 0 offset:276
	;; [unrolled: 1-line block ×4, first 2 shown]
	s_waitcnt vmcnt(49)
	v_fma_f64 v[139:140], v[95:96], v[160:161], -v[139:140]
	ds_read_b128 v[91:94], v1 offset:1200
	v_mul_f64 v[145:146], v[99:100], v[156:157]
	v_fma_f64 v[129:130], v[97:98], v[160:161], v[129:130]
	ds_read_b128 v[95:98], v1 offset:1216
	v_add_f64 v[107:108], v[107:108], v[141:142]
	s_waitcnt vmcnt(44)
	v_fma_f64 v[148:149], v[99:100], v[158:159], -v[148:149]
	v_add_f64 v[2:3], v[2:3], v[137:138]
	s_waitcnt lgkmcnt(1)
	v_mul_f64 v[141:142], v[93:94], v[164:165]
	v_mul_f64 v[137:138], v[91:92], v[164:165]
	v_add_f64 v[107:108], v[107:108], v[139:140]
	v_fma_f64 v[139:140], v[101:102], v[158:159], v[145:146]
	v_add_f64 v[2:3], v[2:3], v[129:130]
	ds_read_b128 v[99:102], v1 offset:1232
	s_waitcnt vmcnt(43) lgkmcnt(1)
	v_mul_f64 v[145:146], v[97:98], v[166:167]
	v_mul_f64 v[129:130], v[95:96], v[166:167]
	s_waitcnt vmcnt(41)
	v_fma_f64 v[141:142], v[91:92], v[105:106], -v[141:142]
	v_fma_f64 v[105:106], v[93:94], v[105:106], v[137:138]
	ds_read_b128 v[91:94], v1 offset:1248
	v_add_f64 v[107:108], v[107:108], v[148:149]
	s_waitcnt vmcnt(37) lgkmcnt(1)
	v_mul_f64 v[137:138], v[99:100], v[109:110]
	v_add_f64 v[2:3], v[2:3], v[139:140]
	v_mul_f64 v[109:110], v[101:102], v[109:110]
	s_waitcnt vmcnt(36)
	v_fma_f64 v[139:140], v[95:96], v[168:169], -v[145:146]
	v_fma_f64 v[129:130], v[97:98], v[168:169], v[129:130]
	ds_read_b128 v[95:98], v1 offset:1264
	v_add_f64 v[107:108], v[107:108], v[141:142]
	v_add_f64 v[2:3], v[2:3], v[105:106]
	s_waitcnt vmcnt(35) lgkmcnt(1)
	v_mul_f64 v[141:142], v[93:94], v[170:171]
	v_mul_f64 v[105:106], v[91:92], v[170:171]
	s_waitcnt vmcnt(33)
	v_fma_f64 v[109:110], v[99:100], v[103:104], -v[109:110]
	v_fma_f64 v[103:104], v[101:102], v[103:104], v[137:138]
	ds_read_b128 v[99:102], v1 offset:1280
	v_add_f64 v[107:108], v[107:108], v[139:140]
	v_add_f64 v[2:3], v[2:3], v[129:130]
	s_waitcnt vmcnt(29) lgkmcnt(1)
	v_mul_f64 v[129:130], v[95:96], v[117:118]
	;; [unrolled: 9-line block ×6, first 2 shown]
	s_waitcnt vmcnt(12)
	v_fma_f64 v[95:96], v[95:96], v[172:173], -v[117:118]
	v_mul_f64 v[103:104], v[99:100], v[119:120]
	v_fma_f64 v[97:98], v[97:98], v[172:173], v[115:116]
	v_add_f64 v[107:108], v[107:108], v[111:112]
	v_add_f64 v[105:106], v[2:3], v[105:106]
	ds_read_b128 v[1:4], v1 offset:1360
	s_waitcnt vmcnt(11) lgkmcnt(1)
	v_mul_f64 v[113:114], v[93:94], v[131:132]
	v_mul_f64 v[111:112], v[91:92], v[131:132]
	s_waitcnt vmcnt(9)
	v_fma_f64 v[99:100], v[99:100], v[123:124], -v[109:110]
	v_fma_f64 v[101:102], v[101:102], v[123:124], v[103:104]
	v_add_f64 v[95:96], v[107:108], v[95:96]
	v_add_f64 v[97:98], v[105:106], v[97:98]
	s_waitcnt vmcnt(7) lgkmcnt(0)
	v_mul_f64 v[105:106], v[3:4], v[121:122]
	s_waitcnt vmcnt(6)
	v_fma_f64 v[91:92], v[91:92], v[135:136], -v[113:114]
	v_mul_f64 v[103:104], v[1:2], v[121:122]
	v_fma_f64 v[93:94], v[93:94], v[135:136], v[111:112]
	v_add_f64 v[95:96], v[95:96], v[99:100]
	v_add_f64 v[97:98], v[97:98], v[101:102]
	s_waitcnt vmcnt(4)
	v_fma_f64 v[1:2], v[1:2], v[125:126], -v[105:106]
	v_fma_f64 v[3:4], v[3:4], v[125:126], v[103:104]
	v_add_f64 v[91:92], v[95:96], v[91:92]
	v_add_f64 v[93:94], v[97:98], v[93:94]
	;; [unrolled: 1-line block ×4, first 2 shown]
	s_waitcnt vmcnt(2)
	v_add_f64 v[1:2], v[133:134], -v[1:2]
	s_waitcnt vmcnt(0)
	v_add_f64 v[3:4], v[143:144], -v[3:4]
	buffer_store_dword v2, off, s[0:3], 0 offset:276
	buffer_store_dword v1, off, s[0:3], 0 offset:272
	;; [unrolled: 1-line block ×4, first 2 shown]
	v_cmpx_lt_u32_e32 15, v0
	s_cbranch_execz .LBB106_241
; %bb.240:
	v_mov_b32_e32 v4, s40
	v_mov_b32_e32 v91, 0
	s_clause 0x3
	buffer_load_dword v1, v4, s[0:3], 0 offen
	buffer_load_dword v2, v4, s[0:3], 0 offen offset:4
	buffer_load_dword v3, v4, s[0:3], 0 offen offset:8
	;; [unrolled: 1-line block ×3, first 2 shown]
	buffer_store_dword v91, off, s[0:3], 0 offset:256
	buffer_store_dword v91, off, s[0:3], 0 offset:260
	;; [unrolled: 1-line block ×4, first 2 shown]
	s_waitcnt vmcnt(0)
	ds_write_b128 v147, v[1:4]
.LBB106_241:
	s_or_b32 exec_lo, exec_lo, s4
	s_waitcnt lgkmcnt(0)
	s_waitcnt_vscnt null, 0x0
	s_barrier
	buffer_gl0_inv
	s_clause 0x37
	buffer_load_dword v2, off, s[0:3], 0 offset:280
	buffer_load_dword v3, off, s[0:3], 0 offset:284
	;; [unrolled: 1-line block ×56, first 2 shown]
	v_mov_b32_e32 v1, 0
	s_mov_b32 s4, exec_lo
	ds_read_b128 v[91:94], v1 offset:944
	s_clause 0x2
	buffer_load_dword v157, off, s[0:3], 0 offset:508
	buffer_load_dword v161, off, s[0:3], 0 offset:484
	;; [unrolled: 1-line block ×3, first 2 shown]
	ds_read_b128 v[95:98], v1 offset:960
	s_clause 0x4
	buffer_load_dword v165, off, s[0:3], 0 offset:524
	buffer_load_dword v166, off, s[0:3], 0 offset:536
	;; [unrolled: 1-line block ×5, first 2 shown]
	ds_read_b128 v[99:102], v1 offset:976
	s_waitcnt vmcnt(62) lgkmcnt(2)
	v_mul_f64 v[162:163], v[93:94], v[2:3]
	v_mul_f64 v[2:3], v[91:92], v[2:3]
	s_waitcnt vmcnt(60) lgkmcnt(1)
	v_mul_f64 v[169:170], v[97:98], v[103:104]
	v_mul_f64 v[103:104], v[95:96], v[103:104]
	;; [unrolled: 3-line block ×3, first 2 shown]
	v_fma_f64 v[162:163], v[91:92], v[105:106], -v[162:163]
	v_fma_f64 v[2:3], v[93:94], v[105:106], v[2:3]
	s_clause 0x2
	buffer_load_dword v167, off, s[0:3], 0 offset:540
	buffer_load_dword v106, off, s[0:3], 0 offset:516
	buffer_load_dword v105, off, s[0:3], 0 offset:512
	s_waitcnt vmcnt(57)
	v_fma_f64 v[173:174], v[95:96], v[109:110], -v[169:170]
	ds_read_b128 v[91:94], v1 offset:992
	v_fma_f64 v[103:104], v[97:98], v[109:110], v[103:104]
	s_clause 0x4
	buffer_load_dword v110, off, s[0:3], 0 offset:556
	buffer_load_dword v170, off, s[0:3], 0 offset:568
	;; [unrolled: 1-line block ×5, first 2 shown]
	s_waitcnt vmcnt(56)
	v_fma_f64 v[107:108], v[99:100], v[117:118], -v[107:108]
	ds_read_b128 v[95:98], v1 offset:1008
	v_fma_f64 v[117:118], v[101:102], v[117:118], v[171:172]
	v_add_f64 v[162:163], v[162:163], 0
	v_add_f64 v[2:3], v[2:3], 0
	s_waitcnt lgkmcnt(1)
	v_mul_f64 v[176:177], v[91:92], v[111:112]
	v_mul_f64 v[111:112], v[93:94], v[111:112]
	v_add_f64 v[162:163], v[162:163], v[173:174]
	v_add_f64 v[2:3], v[2:3], v[103:104]
	s_clause 0x2
	buffer_load_dword v171, off, s[0:3], 0 offset:572
	buffer_load_dword v104, off, s[0:3], 0 offset:548
	;; [unrolled: 1-line block ×3, first 2 shown]
	s_waitcnt vmcnt(58) lgkmcnt(0)
	v_mul_f64 v[172:173], v[95:96], v[113:114]
	v_mul_f64 v[113:114], v[97:98], v[113:114]
	s_waitcnt vmcnt(56)
	v_fma_f64 v[111:112], v[91:92], v[119:120], -v[111:112]
	ds_read_b128 v[99:102], v1 offset:1024
	v_fma_f64 v[119:120], v[93:94], v[119:120], v[176:177]
	v_add_f64 v[107:108], v[162:163], v[107:108]
	v_add_f64 v[2:3], v[2:3], v[117:118]
	s_clause 0x4
	buffer_load_dword v118, off, s[0:3], 0 offset:588
	buffer_load_dword v162, off, s[0:3], 0 offset:600
	;; [unrolled: 1-line block ×5, first 2 shown]
	ds_read_b128 v[91:94], v1 offset:1040
	s_waitcnt vmcnt(57) lgkmcnt(1)
	v_mul_f64 v[178:179], v[99:100], v[121:122]
	v_mul_f64 v[121:122], v[101:102], v[121:122]
	s_waitcnt vmcnt(56)
	v_fma_f64 v[113:114], v[95:96], v[115:116], -v[113:114]
	v_add_f64 v[107:108], v[107:108], v[111:112]
	v_fma_f64 v[111:112], v[97:98], v[115:116], v[172:173]
	v_add_f64 v[2:3], v[2:3], v[119:120]
	s_clause 0x2
	buffer_load_dword v163, off, s[0:3], 0 offset:604
	buffer_load_dword v116, off, s[0:3], 0 offset:580
	;; [unrolled: 1-line block ×3, first 2 shown]
	s_waitcnt vmcnt(58) lgkmcnt(0)
	v_mul_f64 v[119:120], v[91:92], v[123:124]
	v_mul_f64 v[123:124], v[93:94], v[123:124]
	s_waitcnt vmcnt(56)
	v_fma_f64 v[121:122], v[99:100], v[127:128], -v[121:122]
	ds_read_b128 v[95:98], v1 offset:1056
	v_add_f64 v[107:108], v[107:108], v[113:114]
	v_fma_f64 v[113:114], v[101:102], v[127:128], v[178:179]
	v_add_f64 v[2:3], v[2:3], v[111:112]
	s_clause 0x4
	buffer_load_dword v112, off, s[0:3], 0 offset:620
	buffer_load_dword v127, off, s[0:3], 0 offset:632
	;; [unrolled: 1-line block ×5, first 2 shown]
	ds_read_b128 v[99:102], v1 offset:1072
	s_waitcnt vmcnt(57) lgkmcnt(1)
	v_mul_f64 v[173:174], v[95:96], v[129:130]
	v_mul_f64 v[129:130], v[97:98], v[129:130]
	s_waitcnt vmcnt(56)
	v_fma_f64 v[123:124], v[91:92], v[125:126], -v[123:124]
	v_fma_f64 v[119:120], v[93:94], v[125:126], v[119:120]
	v_add_f64 v[107:108], v[107:108], v[121:122]
	v_add_f64 v[2:3], v[2:3], v[113:114]
	s_clause 0x2
	buffer_load_dword v128, off, s[0:3], 0 offset:636
	buffer_load_dword v114, off, s[0:3], 0 offset:612
	;; [unrolled: 1-line block ×3, first 2 shown]
	s_waitcnt vmcnt(58) lgkmcnt(0)
	v_mul_f64 v[125:126], v[101:102], v[131:132]
	ds_read_b128 v[91:94], v1 offset:1088
	s_waitcnt vmcnt(56)
	v_fma_f64 v[129:130], v[95:96], v[135:136], -v[129:130]
	v_mul_f64 v[121:122], v[99:100], v[131:132]
	v_add_f64 v[107:108], v[107:108], v[123:124]
	v_fma_f64 v[123:124], v[97:98], v[135:136], v[173:174]
	v_add_f64 v[2:3], v[2:3], v[119:120]
	s_clause 0x4
	buffer_load_dword v120, off, s[0:3], 0 offset:652
	buffer_load_dword v131, off, s[0:3], 0 offset:664
	;; [unrolled: 1-line block ×5, first 2 shown]
	s_waitcnt vmcnt(57) lgkmcnt(0)
	v_mul_f64 v[179:180], v[91:92], v[137:138]
	v_mul_f64 v[136:137], v[93:94], v[137:138]
	s_waitcnt vmcnt(56)
	v_fma_f64 v[125:126], v[99:100], v[133:134], -v[125:126]
	ds_read_b128 v[95:98], v1 offset:1104
	v_fma_f64 v[121:122], v[101:102], v[133:134], v[121:122]
	v_add_f64 v[107:108], v[107:108], v[129:130]
	v_add_f64 v[2:3], v[2:3], v[123:124]
	s_clause 0x2
	buffer_load_dword v132, off, s[0:3], 0 offset:668
	buffer_load_dword v124, off, s[0:3], 0 offset:644
	;; [unrolled: 1-line block ×3, first 2 shown]
	ds_read_b128 v[99:102], v1 offset:1120
	s_waitcnt vmcnt(58) lgkmcnt(1)
	v_mul_f64 v[133:134], v[97:98], v[139:140]
	s_waitcnt vmcnt(56)
	v_fma_f64 v[137:138], v[91:92], v[143:144], -v[136:137]
	v_mul_f64 v[129:130], v[95:96], v[139:140]
	v_add_f64 v[107:108], v[107:108], v[125:126]
	v_fma_f64 v[125:126], v[93:94], v[143:144], v[179:180]
	v_add_f64 v[2:3], v[2:3], v[121:122]
	s_clause 0x4
	buffer_load_dword v122, off, s[0:3], 0 offset:684
	buffer_load_dword v139, off, s[0:3], 0 offset:696
	;; [unrolled: 1-line block ×5, first 2 shown]
	s_waitcnt vmcnt(57) lgkmcnt(0)
	v_mul_f64 v[179:180], v[99:100], v[145:146]
	v_mul_f64 v[144:145], v[101:102], v[145:146]
	s_waitcnt vmcnt(56)
	v_fma_f64 v[133:134], v[95:96], v[141:142], -v[133:134]
	ds_read_b128 v[91:94], v1 offset:1136
	v_fma_f64 v[129:130], v[97:98], v[141:142], v[129:130]
	v_add_f64 v[107:108], v[107:108], v[137:138]
	v_add_f64 v[2:3], v[2:3], v[125:126]
	s_clause 0x2
	buffer_load_dword v140, off, s[0:3], 0 offset:700
	buffer_load_dword v126, off, s[0:3], 0 offset:676
	;; [unrolled: 1-line block ×3, first 2 shown]
	ds_read_b128 v[95:98], v1 offset:1152
	s_waitcnt vmcnt(58) lgkmcnt(1)
	v_mul_f64 v[141:142], v[93:94], v[148:149]
	s_waitcnt vmcnt(56)
	v_fma_f64 v[145:146], v[99:100], v[152:153], -v[144:145]
	v_mul_f64 v[137:138], v[91:92], v[148:149]
	buffer_load_dword v144, off, s[0:3], 0 offset:692
	v_add_f64 v[107:108], v[107:108], v[133:134]
	v_fma_f64 v[133:134], v[101:102], v[152:153], v[179:180]
	v_add_f64 v[2:3], v[2:3], v[129:130]
	ds_read_b128 v[99:102], v1 offset:1168
	s_waitcnt vmcnt(53) lgkmcnt(1)
	v_mul_f64 v[148:149], v[97:98], v[154:155]
	s_waitcnt vmcnt(52)
	v_fma_f64 v[141:142], v[91:92], v[150:151], -v[141:142]
	v_mul_f64 v[129:130], v[95:96], v[154:155]
	v_fma_f64 v[137:138], v[93:94], v[150:151], v[137:138]
	ds_read_b128 v[91:94], v1 offset:1184
	v_add_f64 v[107:108], v[107:108], v[145:146]
	s_waitcnt vmcnt(51) lgkmcnt(1)
	v_mul_f64 v[145:146], v[101:102], v[156:157]
	v_add_f64 v[2:3], v[2:3], v[133:134]
	v_mul_f64 v[133:134], v[99:100], v[156:157]
	s_waitcnt vmcnt(49)
	v_fma_f64 v[148:149], v[95:96], v[160:161], -v[148:149]
	v_fma_f64 v[129:130], v[97:98], v[160:161], v[129:130]
	s_waitcnt vmcnt(45) lgkmcnt(0)
	v_mul_f64 v[152:153], v[93:94], v[164:165]
	v_mul_f64 v[150:151], v[91:92], v[164:165]
	v_add_f64 v[107:108], v[107:108], v[141:142]
	s_waitcnt vmcnt(44)
	v_fma_f64 v[145:146], v[99:100], v[158:159], -v[145:146]
	v_add_f64 v[2:3], v[2:3], v[137:138]
	s_clause 0x3
	buffer_load_dword v137, off, s[0:3], 0 offset:256
	buffer_load_dword v138, off, s[0:3], 0 offset:260
	;; [unrolled: 1-line block ×4, first 2 shown]
	ds_read_b128 v[95:98], v1 offset:1200
	v_fma_f64 v[133:134], v[101:102], v[158:159], v[133:134]
	ds_read_b128 v[99:102], v1 offset:1216
	v_add_f64 v[107:108], v[107:108], v[148:149]
	v_add_f64 v[2:3], v[2:3], v[129:130]
	s_waitcnt vmcnt(47) lgkmcnt(1)
	v_mul_f64 v[148:149], v[97:98], v[166:167]
	v_mul_f64 v[129:130], v[95:96], v[166:167]
	s_waitcnt vmcnt(45)
	v_fma_f64 v[152:153], v[91:92], v[105:106], -v[152:153]
	v_fma_f64 v[105:106], v[93:94], v[105:106], v[150:151]
	ds_read_b128 v[91:94], v1 offset:1232
	v_add_f64 v[107:108], v[107:108], v[145:146]
	v_add_f64 v[2:3], v[2:3], v[133:134]
	s_waitcnt vmcnt(41) lgkmcnt(1)
	v_mul_f64 v[133:134], v[99:100], v[109:110]
	v_mul_f64 v[109:110], v[101:102], v[109:110]
	s_waitcnt vmcnt(40)
	v_fma_f64 v[145:146], v[95:96], v[168:169], -v[148:149]
	;; [unrolled: 9-line block ×7, first 2 shown]
	v_fma_f64 v[105:106], v[93:94], v[113:114], v[105:106]
	ds_read_b128 v[91:94], v1 offset:1328
	v_add_f64 v[107:108], v[107:108], v[109:110]
	v_add_f64 v[2:3], v[2:3], v[103:104]
	s_waitcnt vmcnt(17) lgkmcnt(1)
	v_mul_f64 v[109:110], v[101:102], v[119:120]
	s_waitcnt vmcnt(16)
	v_fma_f64 v[113:114], v[95:96], v[172:173], -v[117:118]
	v_mul_f64 v[103:104], v[99:100], v[119:120]
	v_add_f64 v[107:108], v[107:108], v[111:112]
	v_fma_f64 v[111:112], v[97:98], v[172:173], v[115:116]
	v_add_f64 v[2:3], v[2:3], v[105:106]
	ds_read_b128 v[95:98], v1 offset:1344
	s_waitcnt vmcnt(15) lgkmcnt(1)
	v_mul_f64 v[115:116], v[93:94], v[131:132]
	v_mul_f64 v[105:106], v[91:92], v[131:132]
	s_waitcnt vmcnt(13)
	v_fma_f64 v[109:110], v[99:100], v[123:124], -v[109:110]
	v_fma_f64 v[103:104], v[101:102], v[123:124], v[103:104]
	ds_read_b128 v[99:102], v1 offset:1360
	v_add_f64 v[107:108], v[107:108], v[113:114]
	v_add_f64 v[2:3], v[2:3], v[111:112]
	s_waitcnt vmcnt(9) lgkmcnt(1)
	v_mul_f64 v[113:114], v[97:98], v[121:122]
	s_waitcnt vmcnt(8)
	v_fma_f64 v[91:92], v[91:92], v[135:136], -v[115:116]
	v_mul_f64 v[111:112], v[95:96], v[121:122]
	v_fma_f64 v[93:94], v[93:94], v[135:136], v[105:106]
	v_add_f64 v[107:108], v[107:108], v[109:110]
	v_add_f64 v[2:3], v[2:3], v[103:104]
	s_waitcnt vmcnt(7) lgkmcnt(0)
	v_mul_f64 v[105:106], v[101:102], v[139:140]
	v_mul_f64 v[103:104], v[99:100], v[139:140]
	s_waitcnt vmcnt(5)
	v_fma_f64 v[95:96], v[95:96], v[125:126], -v[113:114]
	v_fma_f64 v[97:98], v[97:98], v[125:126], v[111:112]
	v_add_f64 v[91:92], v[107:108], v[91:92]
	v_add_f64 v[2:3], v[2:3], v[93:94]
	s_waitcnt vmcnt(4)
	v_fma_f64 v[93:94], v[99:100], v[143:144], -v[105:106]
	v_add_f64 v[91:92], v[91:92], v[95:96]
	v_fma_f64 v[95:96], v[101:102], v[143:144], v[103:104]
	v_add_f64 v[2:3], v[2:3], v[97:98]
	v_add_f64 v[91:92], v[91:92], v[93:94]
	;; [unrolled: 1-line block ×3, first 2 shown]
	s_waitcnt vmcnt(2)
	v_add_f64 v[91:92], v[137:138], -v[91:92]
	s_waitcnt vmcnt(0)
	v_add_f64 v[2:3], v[141:142], -v[2:3]
	buffer_store_dword v92, off, s[0:3], 0 offset:260
	buffer_store_dword v91, off, s[0:3], 0 offset:256
	;; [unrolled: 1-line block ×4, first 2 shown]
	v_cmpx_lt_u32_e32 14, v0
	s_cbranch_execz .LBB106_243
; %bb.242:
	v_mov_b32_e32 v2, s41
	s_clause 0x3
	buffer_load_dword v91, v2, s[0:3], 0 offen
	buffer_load_dword v92, v2, s[0:3], 0 offen offset:4
	buffer_load_dword v93, v2, s[0:3], 0 offen offset:8
	;; [unrolled: 1-line block ×3, first 2 shown]
	buffer_store_dword v1, off, s[0:3], 0 offset:240
	buffer_store_dword v1, off, s[0:3], 0 offset:244
	;; [unrolled: 1-line block ×4, first 2 shown]
	s_waitcnt vmcnt(0)
	ds_write_b128 v147, v[91:94]
.LBB106_243:
	s_or_b32 exec_lo, exec_lo, s4
	s_waitcnt lgkmcnt(0)
	s_waitcnt_vscnt null, 0x0
	s_barrier
	buffer_gl0_inv
	s_clause 0x37
	buffer_load_dword v2, off, s[0:3], 0 offset:264
	buffer_load_dword v3, off, s[0:3], 0 offset:268
	buffer_load_dword v103, off, s[0:3], 0 offset:280
	buffer_load_dword v104, off, s[0:3], 0 offset:284
	buffer_load_dword v105, off, s[0:3], 0 offset:256
	buffer_load_dword v106, off, s[0:3], 0 offset:260
	buffer_load_dword v107, off, s[0:3], 0 offset:296
	buffer_load_dword v108, off, s[0:3], 0 offset:300
	buffer_load_dword v109, off, s[0:3], 0 offset:272
	buffer_load_dword v110, off, s[0:3], 0 offset:276
	buffer_load_dword v112, off, s[0:3], 0 offset:316
	buffer_load_dword v113, off, s[0:3], 0 offset:328
	buffer_load_dword v115, off, s[0:3], 0 offset:320
	buffer_load_dword v111, off, s[0:3], 0 offset:312
	buffer_load_dword v117, off, s[0:3], 0 offset:288
	buffer_load_dword v118, off, s[0:3], 0 offset:292
	buffer_load_dword v114, off, s[0:3], 0 offset:332
	buffer_load_dword v120, off, s[0:3], 0 offset:308
	buffer_load_dword v119, off, s[0:3], 0 offset:304
	buffer_load_dword v122, off, s[0:3], 0 offset:348
	buffer_load_dword v123, off, s[0:3], 0 offset:360
	buffer_load_dword v125, off, s[0:3], 0 offset:352
	buffer_load_dword v121, off, s[0:3], 0 offset:344
	buffer_load_dword v116, off, s[0:3], 0 offset:324
	buffer_load_dword v124, off, s[0:3], 0 offset:364
	buffer_load_dword v128, off, s[0:3], 0 offset:340
	buffer_load_dword v127, off, s[0:3], 0 offset:336
	buffer_load_dword v130, off, s[0:3], 0 offset:380
	buffer_load_dword v131, off, s[0:3], 0 offset:392
	buffer_load_dword v133, off, s[0:3], 0 offset:384
	buffer_load_dword v129, off, s[0:3], 0 offset:376
	buffer_load_dword v126, off, s[0:3], 0 offset:356
	buffer_load_dword v132, off, s[0:3], 0 offset:396
	buffer_load_dword v136, off, s[0:3], 0 offset:372
	buffer_load_dword v135, off, s[0:3], 0 offset:368
	buffer_load_dword v138, off, s[0:3], 0 offset:412
	buffer_load_dword v139, off, s[0:3], 0 offset:424
	buffer_load_dword v141, off, s[0:3], 0 offset:416
	buffer_load_dword v137, off, s[0:3], 0 offset:408
	buffer_load_dword v134, off, s[0:3], 0 offset:388
	buffer_load_dword v140, off, s[0:3], 0 offset:428
	buffer_load_dword v144, off, s[0:3], 0 offset:404
	buffer_load_dword v143, off, s[0:3], 0 offset:400
	buffer_load_dword v146, off, s[0:3], 0 offset:444
	buffer_load_dword v148, off, s[0:3], 0 offset:456
	buffer_load_dword v150, off, s[0:3], 0 offset:448
	buffer_load_dword v145, off, s[0:3], 0 offset:440
	buffer_load_dword v142, off, s[0:3], 0 offset:420
	buffer_load_dword v149, off, s[0:3], 0 offset:460
	buffer_load_dword v153, off, s[0:3], 0 offset:436
	buffer_load_dword v152, off, s[0:3], 0 offset:432
	buffer_load_dword v155, off, s[0:3], 0 offset:476
	buffer_load_dword v156, off, s[0:3], 0 offset:488
	buffer_load_dword v158, off, s[0:3], 0 offset:480
	buffer_load_dword v154, off, s[0:3], 0 offset:472
	buffer_load_dword v151, off, s[0:3], 0 offset:452
	ds_read_b128 v[91:94], v1 offset:928
	s_clause 0x2
	buffer_load_dword v157, off, s[0:3], 0 offset:492
	buffer_load_dword v161, off, s[0:3], 0 offset:468
	;; [unrolled: 1-line block ×3, first 2 shown]
	ds_read_b128 v[95:98], v1 offset:944
	s_clause 0x4
	buffer_load_dword v165, off, s[0:3], 0 offset:508
	buffer_load_dword v166, off, s[0:3], 0 offset:520
	;; [unrolled: 1-line block ×5, first 2 shown]
	ds_read_b128 v[99:102], v1 offset:960
	s_mov_b32 s4, exec_lo
	s_waitcnt vmcnt(62) lgkmcnt(2)
	v_mul_f64 v[162:163], v[93:94], v[2:3]
	v_mul_f64 v[2:3], v[91:92], v[2:3]
	s_waitcnt vmcnt(60) lgkmcnt(1)
	v_mul_f64 v[169:170], v[97:98], v[103:104]
	v_mul_f64 v[103:104], v[95:96], v[103:104]
	;; [unrolled: 3-line block ×3, first 2 shown]
	v_fma_f64 v[162:163], v[91:92], v[105:106], -v[162:163]
	v_fma_f64 v[2:3], v[93:94], v[105:106], v[2:3]
	s_clause 0x2
	buffer_load_dword v167, off, s[0:3], 0 offset:524
	buffer_load_dword v106, off, s[0:3], 0 offset:500
	;; [unrolled: 1-line block ×3, first 2 shown]
	s_waitcnt vmcnt(57)
	v_fma_f64 v[173:174], v[95:96], v[109:110], -v[169:170]
	ds_read_b128 v[91:94], v1 offset:976
	v_fma_f64 v[103:104], v[97:98], v[109:110], v[103:104]
	s_clause 0x4
	buffer_load_dword v110, off, s[0:3], 0 offset:540
	buffer_load_dword v170, off, s[0:3], 0 offset:552
	;; [unrolled: 1-line block ×5, first 2 shown]
	s_waitcnt vmcnt(56)
	v_fma_f64 v[107:108], v[99:100], v[117:118], -v[107:108]
	ds_read_b128 v[95:98], v1 offset:992
	v_fma_f64 v[117:118], v[101:102], v[117:118], v[171:172]
	v_add_f64 v[162:163], v[162:163], 0
	v_add_f64 v[2:3], v[2:3], 0
	s_waitcnt lgkmcnt(1)
	v_mul_f64 v[176:177], v[91:92], v[111:112]
	v_mul_f64 v[111:112], v[93:94], v[111:112]
	v_add_f64 v[162:163], v[162:163], v[173:174]
	v_add_f64 v[2:3], v[2:3], v[103:104]
	s_clause 0x2
	buffer_load_dword v171, off, s[0:3], 0 offset:556
	buffer_load_dword v104, off, s[0:3], 0 offset:532
	;; [unrolled: 1-line block ×3, first 2 shown]
	s_waitcnt vmcnt(58) lgkmcnt(0)
	v_mul_f64 v[172:173], v[95:96], v[113:114]
	v_mul_f64 v[113:114], v[97:98], v[113:114]
	s_waitcnt vmcnt(56)
	v_fma_f64 v[111:112], v[91:92], v[119:120], -v[111:112]
	ds_read_b128 v[99:102], v1 offset:1008
	v_fma_f64 v[119:120], v[93:94], v[119:120], v[176:177]
	v_add_f64 v[107:108], v[162:163], v[107:108]
	v_add_f64 v[2:3], v[2:3], v[117:118]
	s_clause 0x4
	buffer_load_dword v118, off, s[0:3], 0 offset:572
	buffer_load_dword v162, off, s[0:3], 0 offset:584
	;; [unrolled: 1-line block ×5, first 2 shown]
	ds_read_b128 v[91:94], v1 offset:1024
	s_waitcnt vmcnt(57) lgkmcnt(1)
	v_mul_f64 v[178:179], v[99:100], v[121:122]
	v_mul_f64 v[121:122], v[101:102], v[121:122]
	s_waitcnt vmcnt(56)
	v_fma_f64 v[113:114], v[95:96], v[115:116], -v[113:114]
	v_add_f64 v[107:108], v[107:108], v[111:112]
	v_fma_f64 v[111:112], v[97:98], v[115:116], v[172:173]
	v_add_f64 v[2:3], v[2:3], v[119:120]
	s_clause 0x2
	buffer_load_dword v163, off, s[0:3], 0 offset:588
	buffer_load_dword v116, off, s[0:3], 0 offset:564
	;; [unrolled: 1-line block ×3, first 2 shown]
	s_waitcnt vmcnt(58) lgkmcnt(0)
	v_mul_f64 v[119:120], v[91:92], v[123:124]
	v_mul_f64 v[123:124], v[93:94], v[123:124]
	s_waitcnt vmcnt(56)
	v_fma_f64 v[121:122], v[99:100], v[127:128], -v[121:122]
	ds_read_b128 v[95:98], v1 offset:1040
	v_add_f64 v[107:108], v[107:108], v[113:114]
	v_fma_f64 v[113:114], v[101:102], v[127:128], v[178:179]
	v_add_f64 v[2:3], v[2:3], v[111:112]
	s_clause 0x4
	buffer_load_dword v112, off, s[0:3], 0 offset:604
	buffer_load_dword v127, off, s[0:3], 0 offset:616
	;; [unrolled: 1-line block ×5, first 2 shown]
	ds_read_b128 v[99:102], v1 offset:1056
	s_waitcnt vmcnt(57) lgkmcnt(1)
	v_mul_f64 v[173:174], v[95:96], v[129:130]
	v_mul_f64 v[129:130], v[97:98], v[129:130]
	s_waitcnt vmcnt(56)
	v_fma_f64 v[123:124], v[91:92], v[125:126], -v[123:124]
	v_fma_f64 v[119:120], v[93:94], v[125:126], v[119:120]
	v_add_f64 v[107:108], v[107:108], v[121:122]
	v_add_f64 v[2:3], v[2:3], v[113:114]
	s_clause 0x2
	buffer_load_dword v128, off, s[0:3], 0 offset:620
	buffer_load_dword v114, off, s[0:3], 0 offset:596
	;; [unrolled: 1-line block ×3, first 2 shown]
	s_waitcnt vmcnt(58) lgkmcnt(0)
	v_mul_f64 v[125:126], v[101:102], v[131:132]
	ds_read_b128 v[91:94], v1 offset:1072
	s_waitcnt vmcnt(56)
	v_fma_f64 v[129:130], v[95:96], v[135:136], -v[129:130]
	v_mul_f64 v[121:122], v[99:100], v[131:132]
	v_add_f64 v[107:108], v[107:108], v[123:124]
	v_fma_f64 v[123:124], v[97:98], v[135:136], v[173:174]
	v_add_f64 v[2:3], v[2:3], v[119:120]
	s_clause 0x4
	buffer_load_dword v120, off, s[0:3], 0 offset:636
	buffer_load_dword v131, off, s[0:3], 0 offset:648
	;; [unrolled: 1-line block ×5, first 2 shown]
	s_waitcnt vmcnt(57) lgkmcnt(0)
	v_mul_f64 v[179:180], v[91:92], v[137:138]
	v_mul_f64 v[136:137], v[93:94], v[137:138]
	s_waitcnt vmcnt(56)
	v_fma_f64 v[125:126], v[99:100], v[133:134], -v[125:126]
	ds_read_b128 v[95:98], v1 offset:1088
	v_fma_f64 v[121:122], v[101:102], v[133:134], v[121:122]
	v_add_f64 v[107:108], v[107:108], v[129:130]
	v_add_f64 v[2:3], v[2:3], v[123:124]
	s_clause 0x2
	buffer_load_dword v132, off, s[0:3], 0 offset:652
	buffer_load_dword v124, off, s[0:3], 0 offset:628
	;; [unrolled: 1-line block ×3, first 2 shown]
	ds_read_b128 v[99:102], v1 offset:1104
	s_waitcnt vmcnt(58) lgkmcnt(1)
	v_mul_f64 v[133:134], v[97:98], v[139:140]
	s_waitcnt vmcnt(56)
	v_fma_f64 v[137:138], v[91:92], v[143:144], -v[136:137]
	v_mul_f64 v[129:130], v[95:96], v[139:140]
	v_add_f64 v[107:108], v[107:108], v[125:126]
	v_fma_f64 v[125:126], v[93:94], v[143:144], v[179:180]
	v_add_f64 v[2:3], v[2:3], v[121:122]
	s_clause 0x4
	buffer_load_dword v122, off, s[0:3], 0 offset:668
	buffer_load_dword v139, off, s[0:3], 0 offset:680
	;; [unrolled: 1-line block ×5, first 2 shown]
	s_waitcnt vmcnt(57) lgkmcnt(0)
	v_mul_f64 v[179:180], v[99:100], v[145:146]
	v_mul_f64 v[144:145], v[101:102], v[145:146]
	s_waitcnt vmcnt(56)
	v_fma_f64 v[133:134], v[95:96], v[141:142], -v[133:134]
	ds_read_b128 v[91:94], v1 offset:1120
	v_fma_f64 v[129:130], v[97:98], v[141:142], v[129:130]
	v_add_f64 v[107:108], v[107:108], v[137:138]
	v_add_f64 v[2:3], v[2:3], v[125:126]
	s_clause 0x2
	buffer_load_dword v140, off, s[0:3], 0 offset:684
	buffer_load_dword v126, off, s[0:3], 0 offset:660
	;; [unrolled: 1-line block ×3, first 2 shown]
	ds_read_b128 v[95:98], v1 offset:1136
	s_waitcnt vmcnt(58) lgkmcnt(1)
	v_mul_f64 v[141:142], v[93:94], v[148:149]
	s_waitcnt vmcnt(56)
	v_fma_f64 v[145:146], v[99:100], v[152:153], -v[144:145]
	v_mul_f64 v[137:138], v[91:92], v[148:149]
	v_add_f64 v[107:108], v[107:108], v[133:134]
	v_fma_f64 v[133:134], v[101:102], v[152:153], v[179:180]
	v_add_f64 v[2:3], v[2:3], v[129:130]
	s_clause 0x2
	buffer_load_dword v130, off, s[0:3], 0 offset:700
	buffer_load_dword v129, off, s[0:3], 0 offset:696
	;; [unrolled: 1-line block ×3, first 2 shown]
	s_waitcnt vmcnt(55) lgkmcnt(0)
	v_mul_f64 v[152:153], v[97:98], v[154:155]
	s_waitcnt vmcnt(54)
	v_fma_f64 v[141:142], v[91:92], v[150:151], -v[141:142]
	ds_read_b128 v[99:102], v1 offset:1152
	v_mul_f64 v[148:149], v[95:96], v[154:155]
	v_fma_f64 v[137:138], v[93:94], v[150:151], v[137:138]
	v_add_f64 v[107:108], v[107:108], v[145:146]
	v_add_f64 v[2:3], v[2:3], v[133:134]
	s_clause 0x1
	buffer_load_dword v134, off, s[0:3], 0 offset:692
	buffer_load_dword v133, off, s[0:3], 0 offset:688
	s_waitcnt vmcnt(55) lgkmcnt(0)
	v_mul_f64 v[150:151], v[101:102], v[156:157]
	s_waitcnt vmcnt(53)
	v_fma_f64 v[152:153], v[95:96], v[160:161], -v[152:153]
	ds_read_b128 v[91:94], v1 offset:1168
	v_mul_f64 v[145:146], v[99:100], v[156:157]
	v_add_f64 v[107:108], v[107:108], v[141:142]
	v_fma_f64 v[141:142], v[97:98], v[160:161], v[148:149]
	v_add_f64 v[2:3], v[2:3], v[137:138]
	ds_read_b128 v[95:98], v1 offset:1184
	s_waitcnt vmcnt(49) lgkmcnt(1)
	v_mul_f64 v[148:149], v[93:94], v[164:165]
	s_waitcnt vmcnt(48)
	v_fma_f64 v[150:151], v[99:100], v[158:159], -v[150:151]
	v_mul_f64 v[137:138], v[91:92], v[164:165]
	v_fma_f64 v[145:146], v[101:102], v[158:159], v[145:146]
	v_add_f64 v[107:108], v[107:108], v[152:153]
	v_add_f64 v[2:3], v[2:3], v[141:142]
	s_clause 0x3
	buffer_load_dword v141, off, s[0:3], 0 offset:240
	buffer_load_dword v142, off, s[0:3], 0 offset:244
	;; [unrolled: 1-line block ×4, first 2 shown]
	ds_read_b128 v[99:102], v1 offset:1200
	s_waitcnt vmcnt(51) lgkmcnt(1)
	v_mul_f64 v[156:157], v[97:98], v[166:167]
	v_mul_f64 v[154:155], v[95:96], v[166:167]
	s_waitcnt vmcnt(49)
	v_fma_f64 v[148:149], v[91:92], v[105:106], -v[148:149]
	v_fma_f64 v[105:106], v[93:94], v[105:106], v[137:138]
	ds_read_b128 v[91:94], v1 offset:1216
	v_add_f64 v[107:108], v[107:108], v[150:151]
	v_add_f64 v[2:3], v[2:3], v[145:146]
	s_waitcnt vmcnt(45) lgkmcnt(1)
	v_mul_f64 v[137:138], v[99:100], v[109:110]
	v_mul_f64 v[109:110], v[101:102], v[109:110]
	s_waitcnt vmcnt(44)
	v_fma_f64 v[145:146], v[95:96], v[168:169], -v[156:157]
	v_add_f64 v[107:108], v[107:108], v[148:149]
	v_fma_f64 v[148:149], v[97:98], v[168:169], v[154:155]
	v_add_f64 v[2:3], v[2:3], v[105:106]
	ds_read_b128 v[95:98], v1 offset:1232
	s_waitcnt vmcnt(43) lgkmcnt(1)
	v_mul_f64 v[150:151], v[93:94], v[170:171]
	v_mul_f64 v[105:106], v[91:92], v[170:171]
	s_waitcnt vmcnt(41)
	v_fma_f64 v[109:110], v[99:100], v[103:104], -v[109:110]
	v_fma_f64 v[103:104], v[101:102], v[103:104], v[137:138]
	ds_read_b128 v[99:102], v1 offset:1248
	v_add_f64 v[107:108], v[107:108], v[145:146]
	v_add_f64 v[2:3], v[2:3], v[148:149]
	s_waitcnt vmcnt(37) lgkmcnt(1)
	v_mul_f64 v[137:138], v[95:96], v[117:118]
	v_mul_f64 v[117:118], v[97:98], v[117:118]
	s_waitcnt vmcnt(36)
	v_fma_f64 v[145:146], v[91:92], v[175:176], -v[150:151]
	v_fma_f64 v[105:106], v[93:94], v[175:176], v[105:106]
	ds_read_b128 v[91:94], v1 offset:1264
	v_add_f64 v[107:108], v[107:108], v[109:110]
	v_add_f64 v[2:3], v[2:3], v[103:104]
	;; [unrolled: 9-line block ×5, first 2 shown]
	s_waitcnt vmcnt(21) lgkmcnt(1)
	v_mul_f64 v[109:110], v[101:102], v[119:120]
	s_waitcnt vmcnt(20)
	v_fma_f64 v[113:114], v[95:96], v[172:173], -v[117:118]
	v_mul_f64 v[103:104], v[99:100], v[119:120]
	v_add_f64 v[107:108], v[107:108], v[111:112]
	v_fma_f64 v[111:112], v[97:98], v[172:173], v[115:116]
	v_add_f64 v[2:3], v[2:3], v[105:106]
	ds_read_b128 v[95:98], v1 offset:1328
	s_waitcnt vmcnt(19) lgkmcnt(1)
	v_mul_f64 v[115:116], v[93:94], v[131:132]
	v_mul_f64 v[105:106], v[91:92], v[131:132]
	s_waitcnt vmcnt(17)
	v_fma_f64 v[109:110], v[99:100], v[123:124], -v[109:110]
	v_fma_f64 v[103:104], v[101:102], v[123:124], v[103:104]
	ds_read_b128 v[99:102], v1 offset:1344
	v_add_f64 v[107:108], v[107:108], v[113:114]
	v_add_f64 v[2:3], v[2:3], v[111:112]
	s_waitcnt vmcnt(13) lgkmcnt(1)
	v_mul_f64 v[113:114], v[97:98], v[121:122]
	s_waitcnt vmcnt(12)
	v_fma_f64 v[91:92], v[91:92], v[135:136], -v[115:116]
	v_mul_f64 v[111:112], v[95:96], v[121:122]
	v_fma_f64 v[93:94], v[93:94], v[135:136], v[105:106]
	v_add_f64 v[107:108], v[107:108], v[109:110]
	v_add_f64 v[103:104], v[2:3], v[103:104]
	ds_read_b128 v[1:4], v1 offset:1360
	s_waitcnt vmcnt(11) lgkmcnt(1)
	v_mul_f64 v[109:110], v[101:102], v[139:140]
	v_mul_f64 v[105:106], v[99:100], v[139:140]
	s_waitcnt vmcnt(9)
	v_fma_f64 v[95:96], v[95:96], v[125:126], -v[113:114]
	v_fma_f64 v[97:98], v[97:98], v[125:126], v[111:112]
	v_add_f64 v[91:92], v[107:108], v[91:92]
	v_add_f64 v[93:94], v[103:104], v[93:94]
	s_waitcnt vmcnt(7) lgkmcnt(0)
	v_mul_f64 v[107:108], v[3:4], v[129:130]
	s_waitcnt vmcnt(6)
	v_fma_f64 v[99:100], v[99:100], v[143:144], -v[109:110]
	v_mul_f64 v[103:104], v[1:2], v[129:130]
	v_add_f64 v[91:92], v[91:92], v[95:96]
	v_fma_f64 v[95:96], v[101:102], v[143:144], v[105:106]
	v_add_f64 v[93:94], v[93:94], v[97:98]
	s_waitcnt vmcnt(4)
	v_fma_f64 v[1:2], v[1:2], v[133:134], -v[107:108]
	v_fma_f64 v[3:4], v[3:4], v[133:134], v[103:104]
	v_add_f64 v[91:92], v[91:92], v[99:100]
	v_add_f64 v[93:94], v[93:94], v[95:96]
	;; [unrolled: 1-line block ×4, first 2 shown]
	s_waitcnt vmcnt(2)
	v_add_f64 v[1:2], v[141:142], -v[1:2]
	s_waitcnt vmcnt(0)
	v_add_f64 v[3:4], v[152:153], -v[3:4]
	buffer_store_dword v2, off, s[0:3], 0 offset:244
	buffer_store_dword v1, off, s[0:3], 0 offset:240
	;; [unrolled: 1-line block ×4, first 2 shown]
	v_cmpx_lt_u32_e32 13, v0
	s_cbranch_execz .LBB106_245
; %bb.244:
	v_mov_b32_e32 v4, s42
	v_mov_b32_e32 v91, 0
	s_clause 0x3
	buffer_load_dword v1, v4, s[0:3], 0 offen
	buffer_load_dword v2, v4, s[0:3], 0 offen offset:4
	buffer_load_dword v3, v4, s[0:3], 0 offen offset:8
	;; [unrolled: 1-line block ×3, first 2 shown]
	buffer_store_dword v91, off, s[0:3], 0 offset:224
	buffer_store_dword v91, off, s[0:3], 0 offset:228
	;; [unrolled: 1-line block ×4, first 2 shown]
	s_waitcnt vmcnt(0)
	ds_write_b128 v147, v[1:4]
.LBB106_245:
	s_or_b32 exec_lo, exec_lo, s4
	s_waitcnt lgkmcnt(0)
	s_waitcnt_vscnt null, 0x0
	s_barrier
	buffer_gl0_inv
	s_clause 0x37
	buffer_load_dword v95, off, s[0:3], 0 offset:248
	buffer_load_dword v96, off, s[0:3], 0 offset:252
	;; [unrolled: 1-line block ×56, first 2 shown]
	v_mov_b32_e32 v97, 0
	s_mov_b32 s4, exec_lo
	ds_read_b128 v[91:94], v97 offset:912
	s_clause 0x2
	buffer_load_dword v157, off, s[0:3], 0 offset:476
	buffer_load_dword v161, off, s[0:3], 0 offset:452
	;; [unrolled: 1-line block ×3, first 2 shown]
	ds_read_b128 v[98:101], v97 offset:928
	s_clause 0x4
	buffer_load_dword v165, off, s[0:3], 0 offset:492
	buffer_load_dword v166, off, s[0:3], 0 offset:504
	buffer_load_dword v168, off, s[0:3], 0 offset:496
	buffer_load_dword v164, off, s[0:3], 0 offset:488
	buffer_load_dword v159, off, s[0:3], 0 offset:468
	ds_read_b128 v[102:105], v97 offset:944
	s_waitcnt vmcnt(62) lgkmcnt(2)
	v_mul_f64 v[162:163], v[93:94], v[95:96]
	v_mul_f64 v[95:96], v[91:92], v[95:96]
	s_waitcnt vmcnt(60) lgkmcnt(1)
	v_mul_f64 v[169:170], v[100:101], v[106:107]
	v_mul_f64 v[106:107], v[98:99], v[106:107]
	;; [unrolled: 3-line block ×3, first 2 shown]
	v_fma_f64 v[162:163], v[91:92], v[108:109], -v[162:163]
	v_fma_f64 v[95:96], v[93:94], v[108:109], v[95:96]
	s_clause 0x2
	buffer_load_dword v167, off, s[0:3], 0 offset:508
	buffer_load_dword v109, off, s[0:3], 0 offset:484
	;; [unrolled: 1-line block ×3, first 2 shown]
	s_waitcnt vmcnt(57)
	v_fma_f64 v[98:99], v[98:99], v[1:2], -v[169:170]
	ds_read_b128 v[91:94], v97 offset:960
	v_fma_f64 v[100:101], v[100:101], v[1:2], v[106:107]
	s_clause 0x4
	buffer_load_dword v107, off, s[0:3], 0 offset:524
	buffer_load_dword v170, off, s[0:3], 0 offset:536
	;; [unrolled: 1-line block ×5, first 2 shown]
	s_waitcnt vmcnt(56)
	v_fma_f64 v[102:103], v[102:103], v[116:117], -v[173:174]
	ds_read_b128 v[1:4], v97 offset:976
	v_fma_f64 v[104:105], v[104:105], v[116:117], v[171:172]
	s_clause 0x2
	buffer_load_dword v171, off, s[0:3], 0 offset:540
	buffer_load_dword v117, off, s[0:3], 0 offset:516
	buffer_load_dword v116, off, s[0:3], 0 offset:512
	v_add_f64 v[162:163], v[162:163], 0
	v_add_f64 v[95:96], v[95:96], 0
	s_waitcnt lgkmcnt(1)
	v_mul_f64 v[176:177], v[91:92], v[110:111]
	v_mul_f64 v[110:111], v[93:94], v[110:111]
	s_waitcnt vmcnt(58) lgkmcnt(0)
	v_mul_f64 v[172:173], v[1:2], v[112:113]
	v_mul_f64 v[112:113], v[3:4], v[112:113]
	v_add_f64 v[162:163], v[162:163], v[98:99]
	v_add_f64 v[95:96], v[95:96], v[100:101]
	ds_read_b128 v[98:101], v97 offset:992
	s_waitcnt vmcnt(56)
	v_fma_f64 v[110:111], v[91:92], v[118:119], -v[110:111]
	v_fma_f64 v[118:119], v[93:94], v[118:119], v[176:177]
	s_waitcnt vmcnt(51)
	v_fma_f64 v[112:113], v[1:2], v[114:115], -v[112:113]
	s_waitcnt lgkmcnt(0)
	v_mul_f64 v[178:179], v[98:99], v[120:121]
	v_add_f64 v[102:103], v[162:163], v[102:103]
	v_add_f64 v[95:96], v[95:96], v[104:105]
	s_clause 0x4
	buffer_load_dword v105, off, s[0:3], 0 offset:556
	buffer_load_dword v162, off, s[0:3], 0 offset:568
	;; [unrolled: 1-line block ×5, first 2 shown]
	v_mul_f64 v[120:121], v[100:101], v[120:121]
	ds_read_b128 v[91:94], v97 offset:1008
	v_add_f64 v[102:103], v[102:103], v[110:111]
	v_fma_f64 v[110:111], v[3:4], v[114:115], v[172:173]
	v_add_f64 v[95:96], v[95:96], v[118:119]
	s_clause 0x2
	buffer_load_dword v163, off, s[0:3], 0 offset:572
	buffer_load_dword v115, off, s[0:3], 0 offset:548
	;; [unrolled: 1-line block ×3, first 2 shown]
	s_waitcnt vmcnt(58) lgkmcnt(0)
	v_mul_f64 v[118:119], v[91:92], v[122:123]
	v_mul_f64 v[122:123], v[93:94], v[122:123]
	s_waitcnt vmcnt(56)
	v_fma_f64 v[120:121], v[98:99], v[126:127], -v[120:121]
	ds_read_b128 v[1:4], v97 offset:1024
	v_add_f64 v[102:103], v[102:103], v[112:113]
	v_fma_f64 v[112:113], v[100:101], v[126:127], v[178:179]
	v_add_f64 v[95:96], v[95:96], v[110:111]
	s_clause 0x4
	buffer_load_dword v111, off, s[0:3], 0 offset:588
	buffer_load_dword v126, off, s[0:3], 0 offset:600
	buffer_load_dword v172, off, s[0:3], 0 offset:592
	buffer_load_dword v110, off, s[0:3], 0 offset:584
	buffer_load_dword v178, off, s[0:3], 0 offset:564
	ds_read_b128 v[98:101], v97 offset:1040
	s_waitcnt vmcnt(57) lgkmcnt(1)
	v_mul_f64 v[173:174], v[1:2], v[128:129]
	v_mul_f64 v[128:129], v[3:4], v[128:129]
	s_waitcnt vmcnt(56)
	v_fma_f64 v[122:123], v[91:92], v[124:125], -v[122:123]
	v_fma_f64 v[118:119], v[93:94], v[124:125], v[118:119]
	v_add_f64 v[102:103], v[102:103], v[120:121]
	v_add_f64 v[95:96], v[95:96], v[112:113]
	s_clause 0x2
	buffer_load_dword v127, off, s[0:3], 0 offset:604
	buffer_load_dword v113, off, s[0:3], 0 offset:580
	;; [unrolled: 1-line block ×3, first 2 shown]
	s_waitcnt vmcnt(58) lgkmcnt(0)
	v_mul_f64 v[124:125], v[100:101], v[130:131]
	ds_read_b128 v[91:94], v97 offset:1056
	s_waitcnt vmcnt(56)
	v_fma_f64 v[128:129], v[1:2], v[134:135], -v[128:129]
	v_mul_f64 v[120:121], v[98:99], v[130:131]
	v_add_f64 v[102:103], v[102:103], v[122:123]
	v_fma_f64 v[122:123], v[3:4], v[134:135], v[173:174]
	v_add_f64 v[95:96], v[95:96], v[118:119]
	s_clause 0x4
	buffer_load_dword v119, off, s[0:3], 0 offset:620
	buffer_load_dword v130, off, s[0:3], 0 offset:632
	buffer_load_dword v134, off, s[0:3], 0 offset:624
	buffer_load_dword v118, off, s[0:3], 0 offset:616
	buffer_load_dword v173, off, s[0:3], 0 offset:596
	s_waitcnt vmcnt(57) lgkmcnt(0)
	v_mul_f64 v[179:180], v[91:92], v[136:137]
	v_mul_f64 v[135:136], v[93:94], v[136:137]
	s_waitcnt vmcnt(56)
	v_fma_f64 v[124:125], v[98:99], v[132:133], -v[124:125]
	ds_read_b128 v[1:4], v97 offset:1072
	v_fma_f64 v[120:121], v[100:101], v[132:133], v[120:121]
	v_add_f64 v[102:103], v[102:103], v[128:129]
	v_add_f64 v[95:96], v[95:96], v[122:123]
	s_clause 0x2
	buffer_load_dword v131, off, s[0:3], 0 offset:636
	buffer_load_dword v123, off, s[0:3], 0 offset:612
	buffer_load_dword v122, off, s[0:3], 0 offset:608
	ds_read_b128 v[98:101], v97 offset:1088
	s_waitcnt vmcnt(58) lgkmcnt(1)
	v_mul_f64 v[132:133], v[3:4], v[138:139]
	s_waitcnt vmcnt(56)
	v_fma_f64 v[136:137], v[91:92], v[142:143], -v[135:136]
	v_mul_f64 v[128:129], v[1:2], v[138:139]
	v_add_f64 v[102:103], v[102:103], v[124:125]
	v_fma_f64 v[124:125], v[93:94], v[142:143], v[179:180]
	v_add_f64 v[95:96], v[95:96], v[120:121]
	s_clause 0x4
	buffer_load_dword v121, off, s[0:3], 0 offset:652
	buffer_load_dword v138, off, s[0:3], 0 offset:664
	buffer_load_dword v142, off, s[0:3], 0 offset:656
	buffer_load_dword v120, off, s[0:3], 0 offset:648
	buffer_load_dword v135, off, s[0:3], 0 offset:628
	s_waitcnt vmcnt(57) lgkmcnt(0)
	v_mul_f64 v[179:180], v[98:99], v[144:145]
	v_mul_f64 v[143:144], v[100:101], v[144:145]
	s_waitcnt vmcnt(56)
	v_fma_f64 v[132:133], v[1:2], v[140:141], -v[132:133]
	ds_read_b128 v[91:94], v97 offset:1104
	v_fma_f64 v[128:129], v[3:4], v[140:141], v[128:129]
	v_add_f64 v[102:103], v[102:103], v[136:137]
	v_add_f64 v[95:96], v[95:96], v[124:125]
	s_clause 0x2
	buffer_load_dword v139, off, s[0:3], 0 offset:668
	buffer_load_dword v125, off, s[0:3], 0 offset:644
	buffer_load_dword v124, off, s[0:3], 0 offset:640
	ds_read_b128 v[1:4], v97 offset:1120
	s_waitcnt vmcnt(58) lgkmcnt(1)
	v_mul_f64 v[140:141], v[93:94], v[148:149]
	;; [unrolled: 28-line block ×3, first 2 shown]
	s_waitcnt vmcnt(56)
	v_fma_f64 v[154:155], v[1:2], v[160:161], -v[153:154]
	v_mul_f64 v[144:145], v[98:99], v[156:157]
	buffer_load_dword v153, off, s[0:3], 0 offset:692
	v_add_f64 v[102:103], v[102:103], v[140:141]
	v_fma_f64 v[140:141], v[3:4], v[160:161], v[179:180]
	v_add_f64 v[95:96], v[95:96], v[136:137]
	ds_read_b128 v[1:4], v97 offset:1168
	s_waitcnt vmcnt(53) lgkmcnt(1)
	v_mul_f64 v[156:157], v[93:94], v[164:165]
	s_waitcnt vmcnt(52)
	v_fma_f64 v[150:151], v[98:99], v[158:159], -v[150:151]
	v_mul_f64 v[136:137], v[91:92], v[164:165]
	v_fma_f64 v[144:145], v[100:101], v[158:159], v[144:145]
	ds_read_b128 v[98:101], v97 offset:1184
	v_add_f64 v[102:103], v[102:103], v[154:155]
	v_add_f64 v[95:96], v[95:96], v[140:141]
	s_waitcnt vmcnt(51) lgkmcnt(1)
	v_mul_f64 v[154:155], v[3:4], v[166:167]
	v_mul_f64 v[140:141], v[1:2], v[166:167]
	s_waitcnt vmcnt(49)
	v_fma_f64 v[156:157], v[91:92], v[108:109], -v[156:157]
	v_fma_f64 v[108:109], v[93:94], v[108:109], v[136:137]
	v_add_f64 v[102:103], v[102:103], v[150:151]
	s_waitcnt vmcnt(45) lgkmcnt(0)
	v_mul_f64 v[150:151], v[98:99], v[106:107]
	v_add_f64 v[95:96], v[95:96], v[144:145]
	s_clause 0x3
	buffer_load_dword v136, off, s[0:3], 0 offset:224
	buffer_load_dword v137, off, s[0:3], 0 offset:228
	;; [unrolled: 1-line block ×4, first 2 shown]
	v_mul_f64 v[106:107], v[100:101], v[106:107]
	ds_read_b128 v[91:94], v97 offset:1200
	s_waitcnt vmcnt(48)
	v_fma_f64 v[154:155], v[1:2], v[168:169], -v[154:155]
	v_fma_f64 v[140:141], v[3:4], v[168:169], v[140:141]
	ds_read_b128 v[1:4], v97 offset:1216
	v_add_f64 v[102:103], v[102:103], v[156:157]
	v_add_f64 v[95:96], v[95:96], v[108:109]
	s_waitcnt vmcnt(47) lgkmcnt(1)
	v_mul_f64 v[156:157], v[93:94], v[170:171]
	s_waitcnt vmcnt(45)
	v_fma_f64 v[106:107], v[98:99], v[116:117], -v[106:107]
	v_mul_f64 v[108:109], v[91:92], v[170:171]
	v_fma_f64 v[116:117], v[100:101], v[116:117], v[150:151]
	ds_read_b128 v[98:101], v97 offset:1232
	v_add_f64 v[102:103], v[102:103], v[154:155]
	v_add_f64 v[95:96], v[95:96], v[140:141]
	s_waitcnt vmcnt(41) lgkmcnt(1)
	v_mul_f64 v[140:141], v[1:2], v[104:105]
	v_mul_f64 v[104:105], v[3:4], v[104:105]
	s_waitcnt vmcnt(40)
	v_fma_f64 v[150:151], v[91:92], v[175:176], -v[156:157]
	v_add_f64 v[102:103], v[102:103], v[106:107]
	v_fma_f64 v[106:107], v[93:94], v[175:176], v[108:109]
	v_add_f64 v[95:96], v[95:96], v[116:117]
	ds_read_b128 v[91:94], v97 offset:1248
	s_waitcnt vmcnt(39) lgkmcnt(1)
	v_mul_f64 v[116:117], v[100:101], v[162:163]
	v_mul_f64 v[108:109], v[98:99], v[162:163]
	s_waitcnt vmcnt(37)
	v_fma_f64 v[104:105], v[1:2], v[114:115], -v[104:105]
	v_fma_f64 v[114:115], v[3:4], v[114:115], v[140:141]
	ds_read_b128 v[1:4], v97 offset:1264
	v_add_f64 v[102:103], v[102:103], v[150:151]
	v_add_f64 v[95:96], v[95:96], v[106:107]
	s_waitcnt vmcnt(33) lgkmcnt(1)
	v_mul_f64 v[106:107], v[91:92], v[110:111]
	v_mul_f64 v[110:111], v[93:94], v[110:111]
	s_waitcnt vmcnt(32)
	v_fma_f64 v[116:117], v[98:99], v[177:178], -v[116:117]
	v_add_f64 v[102:103], v[102:103], v[104:105]
	v_fma_f64 v[104:105], v[100:101], v[177:178], v[108:109]
	v_add_f64 v[95:96], v[95:96], v[114:115]
	ds_read_b128 v[98:101], v97 offset:1280
	s_waitcnt vmcnt(31) lgkmcnt(1)
	v_mul_f64 v[114:115], v[3:4], v[126:127]
	v_mul_f64 v[108:109], v[1:2], v[126:127]
	s_waitcnt vmcnt(29)
	v_fma_f64 v[110:111], v[91:92], v[112:113], -v[110:111]
	v_fma_f64 v[106:107], v[93:94], v[112:113], v[106:107]
	ds_read_b128 v[91:94], v97 offset:1296
	v_add_f64 v[102:103], v[102:103], v[116:117]
	v_add_f64 v[95:96], v[95:96], v[104:105]
	s_waitcnt vmcnt(25) lgkmcnt(1)
	v_mul_f64 v[112:113], v[100:101], v[118:119]
	s_waitcnt vmcnt(24)
	v_fma_f64 v[114:115], v[1:2], v[172:173], -v[114:115]
	v_mul_f64 v[104:105], v[98:99], v[118:119]
	v_fma_f64 v[108:109], v[3:4], v[172:173], v[108:109]
	ds_read_b128 v[1:4], v97 offset:1312
	v_add_f64 v[102:103], v[102:103], v[110:111]
	v_add_f64 v[95:96], v[95:96], v[106:107]
	s_waitcnt vmcnt(23) lgkmcnt(1)
	v_mul_f64 v[110:111], v[93:94], v[130:131]
	v_mul_f64 v[106:107], v[91:92], v[130:131]
	s_waitcnt vmcnt(21)
	v_fma_f64 v[112:113], v[98:99], v[122:123], -v[112:113]
	v_fma_f64 v[104:105], v[100:101], v[122:123], v[104:105]
	ds_read_b128 v[98:101], v97 offset:1328
	v_add_f64 v[102:103], v[102:103], v[114:115]
	v_add_f64 v[95:96], v[95:96], v[108:109]
	s_waitcnt vmcnt(17) lgkmcnt(1)
	v_mul_f64 v[114:115], v[3:4], v[120:121]
	s_waitcnt vmcnt(16)
	v_fma_f64 v[110:111], v[91:92], v[134:135], -v[110:111]
	v_mul_f64 v[108:109], v[1:2], v[120:121]
	v_fma_f64 v[106:107], v[93:94], v[134:135], v[106:107]
	ds_read_b128 v[91:94], v97 offset:1344
	v_add_f64 v[102:103], v[102:103], v[112:113]
	v_add_f64 v[95:96], v[95:96], v[104:105]
	s_waitcnt vmcnt(15) lgkmcnt(1)
	v_mul_f64 v[112:113], v[100:101], v[138:139]
	v_mul_f64 v[104:105], v[98:99], v[138:139]
	s_waitcnt vmcnt(13)
	v_fma_f64 v[114:115], v[1:2], v[124:125], -v[114:115]
	v_fma_f64 v[108:109], v[3:4], v[124:125], v[108:109]
	ds_read_b128 v[1:4], v97 offset:1360
	v_add_f64 v[102:103], v[102:103], v[110:111]
	v_add_f64 v[95:96], v[95:96], v[106:107]
	s_waitcnt vmcnt(9) lgkmcnt(1)
	v_mul_f64 v[110:111], v[93:94], v[128:129]
	s_waitcnt vmcnt(8)
	v_fma_f64 v[98:99], v[98:99], v[142:143], -v[112:113]
	v_mul_f64 v[106:107], v[91:92], v[128:129]
	v_fma_f64 v[100:101], v[100:101], v[142:143], v[104:105]
	v_add_f64 v[102:103], v[102:103], v[114:115]
	v_add_f64 v[95:96], v[95:96], v[108:109]
	s_waitcnt vmcnt(7) lgkmcnt(0)
	v_mul_f64 v[108:109], v[3:4], v[148:149]
	v_mul_f64 v[104:105], v[1:2], v[148:149]
	s_waitcnt vmcnt(5)
	v_fma_f64 v[91:92], v[91:92], v[132:133], -v[110:111]
	v_fma_f64 v[93:94], v[93:94], v[132:133], v[106:107]
	v_add_f64 v[98:99], v[102:103], v[98:99]
	v_add_f64 v[95:96], v[95:96], v[100:101]
	s_waitcnt vmcnt(4)
	v_fma_f64 v[1:2], v[1:2], v[152:153], -v[108:109]
	v_fma_f64 v[3:4], v[3:4], v[152:153], v[104:105]
	v_add_f64 v[91:92], v[98:99], v[91:92]
	v_add_f64 v[93:94], v[95:96], v[93:94]
	;; [unrolled: 1-line block ×4, first 2 shown]
	s_waitcnt vmcnt(2)
	v_add_f64 v[1:2], v[136:137], -v[1:2]
	s_waitcnt vmcnt(0)
	v_add_f64 v[3:4], v[144:145], -v[3:4]
	buffer_store_dword v2, off, s[0:3], 0 offset:228
	buffer_store_dword v1, off, s[0:3], 0 offset:224
	;; [unrolled: 1-line block ×4, first 2 shown]
	v_cmpx_lt_u32_e32 12, v0
	s_cbranch_execz .LBB106_247
; %bb.246:
	v_mov_b32_e32 v4, s43
	s_clause 0x3
	buffer_load_dword v1, v4, s[0:3], 0 offen
	buffer_load_dword v2, v4, s[0:3], 0 offen offset:4
	buffer_load_dword v3, v4, s[0:3], 0 offen offset:8
	;; [unrolled: 1-line block ×3, first 2 shown]
	buffer_store_dword v97, off, s[0:3], 0 offset:208
	buffer_store_dword v97, off, s[0:3], 0 offset:212
	;; [unrolled: 1-line block ×4, first 2 shown]
	s_waitcnt vmcnt(0)
	ds_write_b128 v147, v[1:4]
.LBB106_247:
	s_or_b32 exec_lo, exec_lo, s4
	s_waitcnt lgkmcnt(0)
	s_waitcnt_vscnt null, 0x0
	s_barrier
	buffer_gl0_inv
	s_clause 0x37
	buffer_load_dword v95, off, s[0:3], 0 offset:232
	buffer_load_dword v96, off, s[0:3], 0 offset:236
	;; [unrolled: 1-line block ×56, first 2 shown]
	ds_read_b128 v[98:101], v97 offset:896
	s_clause 0x2
	buffer_load_dword v157, off, s[0:3], 0 offset:460
	buffer_load_dword v161, off, s[0:3], 0 offset:436
	;; [unrolled: 1-line block ×3, first 2 shown]
	ds_read_b128 v[102:105], v97 offset:912
	s_clause 0x4
	buffer_load_dword v165, off, s[0:3], 0 offset:476
	buffer_load_dword v166, off, s[0:3], 0 offset:488
	;; [unrolled: 1-line block ×5, first 2 shown]
	ds_read_b128 v[106:109], v97 offset:928
	s_clause 0x2
	buffer_load_dword v167, off, s[0:3], 0 offset:492
	buffer_load_dword v172, off, s[0:3], 0 offset:468
	;; [unrolled: 1-line block ×3, first 2 shown]
	s_mov_b32 s4, exec_lo
	s_waitcnt vmcnt(62) lgkmcnt(2)
	v_mul_f64 v[162:163], v[100:101], v[95:96]
	v_mul_f64 v[95:96], v[98:99], v[95:96]
	s_waitcnt lgkmcnt(1)
	v_mul_f64 v[169:170], v[104:105], v[91:92]
	s_waitcnt vmcnt(59) lgkmcnt(0)
	v_mul_f64 v[173:174], v[108:109], v[3:4]
	v_fma_f64 v[98:99], v[98:99], v[93:94], -v[162:163]
	v_mul_f64 v[162:163], v[102:103], v[91:92]
	v_fma_f64 v[95:96], v[100:101], v[93:94], v[95:96]
	s_waitcnt vmcnt(57)
	v_fma_f64 v[102:103], v[102:103], v[1:2], -v[169:170]
	ds_read_b128 v[91:94], v97 offset:944
	v_mul_f64 v[100:101], v[106:107], v[3:4]
	s_waitcnt vmcnt(51)
	v_fma_f64 v[106:107], v[106:107], v[116:117], -v[173:174]
	v_add_f64 v[98:99], v[98:99], 0
	v_fma_f64 v[104:105], v[104:105], v[1:2], v[162:163]
	v_add_f64 v[95:96], v[95:96], 0
	s_clause 0x4
	buffer_load_dword v163, off, s[0:3], 0 offset:508
	buffer_load_dword v175, off, s[0:3], 0 offset:520
	;; [unrolled: 1-line block ×5, first 2 shown]
	s_waitcnt lgkmcnt(0)
	v_mul_f64 v[178:179], v[91:92], v[110:111]
	v_mul_f64 v[110:111], v[93:94], v[110:111]
	ds_read_b128 v[1:4], v97 offset:960
	v_fma_f64 v[108:109], v[108:109], v[116:117], v[100:101]
	v_add_f64 v[102:103], v[98:99], v[102:103]
	v_add_f64 v[95:96], v[95:96], v[104:105]
	s_clause 0x2
	buffer_load_dword v176, off, s[0:3], 0 offset:524
	buffer_load_dword v105, off, s[0:3], 0 offset:500
	;; [unrolled: 1-line block ×3, first 2 shown]
	s_waitcnt vmcnt(58) lgkmcnt(0)
	v_mul_f64 v[116:117], v[1:2], v[112:113]
	v_mul_f64 v[112:113], v[3:4], v[112:113]
	s_waitcnt vmcnt(56)
	v_fma_f64 v[110:111], v[91:92], v[118:119], -v[110:111]
	ds_read_b128 v[98:101], v97 offset:976
	v_add_f64 v[102:103], v[102:103], v[106:107]
	v_fma_f64 v[106:107], v[93:94], v[118:119], v[178:179]
	v_add_f64 v[95:96], v[95:96], v[108:109]
	s_clause 0x4
	buffer_load_dword v109, off, s[0:3], 0 offset:540
	buffer_load_dword v118, off, s[0:3], 0 offset:552
	;; [unrolled: 1-line block ×5, first 2 shown]
	ds_read_b128 v[91:94], v97 offset:992
	s_waitcnt vmcnt(57) lgkmcnt(1)
	v_mul_f64 v[179:180], v[98:99], v[120:121]
	v_mul_f64 v[120:121], v[100:101], v[120:121]
	s_waitcnt vmcnt(56)
	v_fma_f64 v[112:113], v[1:2], v[114:115], -v[112:113]
	v_add_f64 v[102:103], v[102:103], v[110:111]
	v_fma_f64 v[110:111], v[3:4], v[114:115], v[116:117]
	v_add_f64 v[95:96], v[95:96], v[106:107]
	s_clause 0x2
	buffer_load_dword v119, off, s[0:3], 0 offset:556
	buffer_load_dword v107, off, s[0:3], 0 offset:532
	;; [unrolled: 1-line block ×3, first 2 shown]
	s_waitcnt vmcnt(58) lgkmcnt(0)
	v_mul_f64 v[116:117], v[93:94], v[122:123]
	ds_read_b128 v[1:4], v97 offset:1008
	s_waitcnt vmcnt(56)
	v_fma_f64 v[120:121], v[98:99], v[126:127], -v[120:121]
	v_mul_f64 v[114:115], v[91:92], v[122:123]
	v_add_f64 v[102:103], v[102:103], v[112:113]
	v_fma_f64 v[112:113], v[100:101], v[126:127], v[179:180]
	v_add_f64 v[95:96], v[95:96], v[110:111]
	s_clause 0x4
	buffer_load_dword v111, off, s[0:3], 0 offset:572
	buffer_load_dword v122, off, s[0:3], 0 offset:584
	buffer_load_dword v126, off, s[0:3], 0 offset:576
	buffer_load_dword v110, off, s[0:3], 0 offset:568
	buffer_load_dword v174, off, s[0:3], 0 offset:548
	s_waitcnt vmcnt(57) lgkmcnt(0)
	v_mul_f64 v[179:180], v[1:2], v[128:129]
	v_mul_f64 v[127:128], v[3:4], v[128:129]
	s_waitcnt vmcnt(56)
	v_fma_f64 v[116:117], v[91:92], v[124:125], -v[116:117]
	ds_read_b128 v[98:101], v97 offset:1024
	v_fma_f64 v[114:115], v[93:94], v[124:125], v[114:115]
	v_add_f64 v[102:103], v[102:103], v[120:121]
	v_add_f64 v[95:96], v[95:96], v[112:113]
	s_clause 0x2
	buffer_load_dword v123, off, s[0:3], 0 offset:588
	buffer_load_dword v113, off, s[0:3], 0 offset:564
	buffer_load_dword v112, off, s[0:3], 0 offset:560
	ds_read_b128 v[91:94], v97 offset:1040
	s_waitcnt vmcnt(58) lgkmcnt(1)
	v_mul_f64 v[124:125], v[100:101], v[130:131]
	s_waitcnt vmcnt(56)
	v_fma_f64 v[128:129], v[1:2], v[134:135], -v[127:128]
	v_mul_f64 v[120:121], v[98:99], v[130:131]
	v_add_f64 v[102:103], v[102:103], v[116:117]
	v_fma_f64 v[116:117], v[3:4], v[134:135], v[179:180]
	v_add_f64 v[95:96], v[95:96], v[114:115]
	s_clause 0x4
	buffer_load_dword v115, off, s[0:3], 0 offset:604
	buffer_load_dword v130, off, s[0:3], 0 offset:616
	buffer_load_dword v134, off, s[0:3], 0 offset:608
	buffer_load_dword v114, off, s[0:3], 0 offset:600
	buffer_load_dword v127, off, s[0:3], 0 offset:580
	s_waitcnt vmcnt(57) lgkmcnt(0)
	v_mul_f64 v[179:180], v[91:92], v[136:137]
	v_mul_f64 v[135:136], v[93:94], v[136:137]
	s_waitcnt vmcnt(56)
	v_fma_f64 v[124:125], v[98:99], v[132:133], -v[124:125]
	ds_read_b128 v[1:4], v97 offset:1056
	v_fma_f64 v[120:121], v[100:101], v[132:133], v[120:121]
	v_add_f64 v[102:103], v[102:103], v[128:129]
	v_add_f64 v[95:96], v[95:96], v[116:117]
	s_clause 0x2
	buffer_load_dword v131, off, s[0:3], 0 offset:620
	buffer_load_dword v117, off, s[0:3], 0 offset:596
	buffer_load_dword v116, off, s[0:3], 0 offset:592
	ds_read_b128 v[98:101], v97 offset:1072
	s_waitcnt vmcnt(58) lgkmcnt(1)
	v_mul_f64 v[132:133], v[3:4], v[138:139]
	;; [unrolled: 28-line block ×4, first 2 shown]
	s_waitcnt vmcnt(56)
	v_fma_f64 v[154:155], v[1:2], v[160:161], -v[153:154]
	v_mul_f64 v[144:145], v[98:99], v[156:157]
	v_add_f64 v[102:103], v[102:103], v[140:141]
	v_fma_f64 v[140:141], v[3:4], v[160:161], v[179:180]
	v_add_f64 v[95:96], v[95:96], v[136:137]
	s_clause 0x2
	buffer_load_dword v137, off, s[0:3], 0 offset:700
	buffer_load_dword v136, off, s[0:3], 0 offset:696
	;; [unrolled: 1-line block ×3, first 2 shown]
	s_waitcnt vmcnt(55) lgkmcnt(0)
	v_mul_f64 v[160:161], v[93:94], v[164:165]
	s_waitcnt vmcnt(54)
	v_fma_f64 v[150:151], v[98:99], v[158:159], -v[150:151]
	ds_read_b128 v[1:4], v97 offset:1152
	v_mul_f64 v[156:157], v[91:92], v[164:165]
	v_fma_f64 v[144:145], v[100:101], v[158:159], v[144:145]
	v_add_f64 v[102:103], v[102:103], v[154:155]
	v_add_f64 v[95:96], v[95:96], v[140:141]
	s_clause 0x1
	buffer_load_dword v141, off, s[0:3], 0 offset:692
	buffer_load_dword v140, off, s[0:3], 0 offset:688
	s_waitcnt vmcnt(55) lgkmcnt(0)
	v_mul_f64 v[158:159], v[3:4], v[166:167]
	s_waitcnt vmcnt(53)
	v_fma_f64 v[160:161], v[91:92], v[171:172], -v[160:161]
	ds_read_b128 v[98:101], v97 offset:1168
	v_mul_f64 v[154:155], v[1:2], v[166:167]
	v_add_f64 v[102:103], v[102:103], v[150:151]
	v_fma_f64 v[150:151], v[93:94], v[171:172], v[156:157]
	v_add_f64 v[95:96], v[95:96], v[144:145]
	ds_read_b128 v[91:94], v97 offset:1184
	s_waitcnt vmcnt(49) lgkmcnt(1)
	v_mul_f64 v[156:157], v[100:101], v[162:163]
	s_waitcnt vmcnt(48)
	v_fma_f64 v[158:159], v[1:2], v[168:169], -v[158:159]
	v_mul_f64 v[144:145], v[98:99], v[162:163]
	v_fma_f64 v[154:155], v[3:4], v[168:169], v[154:155]
	v_add_f64 v[102:103], v[102:103], v[160:161]
	v_add_f64 v[95:96], v[95:96], v[150:151]
	s_clause 0x3
	buffer_load_dword v150, off, s[0:3], 0 offset:208
	buffer_load_dword v151, off, s[0:3], 0 offset:212
	;; [unrolled: 1-line block ×4, first 2 shown]
	ds_read_b128 v[1:4], v97 offset:1200
	s_waitcnt vmcnt(51) lgkmcnt(1)
	v_mul_f64 v[164:165], v[93:94], v[175:176]
	v_mul_f64 v[162:163], v[91:92], v[175:176]
	s_waitcnt vmcnt(49)
	v_fma_f64 v[156:157], v[98:99], v[104:105], -v[156:157]
	v_fma_f64 v[104:105], v[100:101], v[104:105], v[144:145]
	ds_read_b128 v[98:101], v97 offset:1216
	v_add_f64 v[102:103], v[102:103], v[158:159]
	v_add_f64 v[95:96], v[95:96], v[154:155]
	s_waitcnt vmcnt(45) lgkmcnt(1)
	v_mul_f64 v[144:145], v[1:2], v[108:109]
	v_mul_f64 v[108:109], v[3:4], v[108:109]
	s_waitcnt vmcnt(44)
	v_fma_f64 v[154:155], v[91:92], v[177:178], -v[164:165]
	v_add_f64 v[102:103], v[102:103], v[156:157]
	v_fma_f64 v[156:157], v[93:94], v[177:178], v[162:163]
	v_add_f64 v[95:96], v[95:96], v[104:105]
	ds_read_b128 v[91:94], v97 offset:1232
	s_waitcnt vmcnt(43) lgkmcnt(1)
	v_mul_f64 v[104:105], v[98:99], v[118:119]
	v_mul_f64 v[118:119], v[100:101], v[118:119]
	s_waitcnt vmcnt(41)
	v_fma_f64 v[108:109], v[1:2], v[106:107], -v[108:109]
	v_fma_f64 v[106:107], v[3:4], v[106:107], v[144:145]
	ds_read_b128 v[1:4], v97 offset:1248
	v_add_f64 v[102:103], v[102:103], v[154:155]
	v_add_f64 v[95:96], v[95:96], v[156:157]
	s_waitcnt vmcnt(37) lgkmcnt(1)
	v_mul_f64 v[144:145], v[91:92], v[110:111]
	v_mul_f64 v[110:111], v[93:94], v[110:111]
	s_waitcnt vmcnt(36)
	v_fma_f64 v[118:119], v[98:99], v[173:174], -v[118:119]
	v_fma_f64 v[104:105], v[100:101], v[173:174], v[104:105]
	ds_read_b128 v[98:101], v97 offset:1264
	v_add_f64 v[102:103], v[102:103], v[108:109]
	v_add_f64 v[95:96], v[95:96], v[106:107]
	;; [unrolled: 9-line block ×5, first 2 shown]
	s_waitcnt vmcnt(21) lgkmcnt(1)
	v_mul_f64 v[108:109], v[3:4], v[120:121]
	s_waitcnt vmcnt(20)
	v_fma_f64 v[112:113], v[91:92], v[134:135], -v[112:113]
	v_mul_f64 v[106:107], v[1:2], v[120:121]
	v_fma_f64 v[110:111], v[93:94], v[134:135], v[110:111]
	ds_read_b128 v[91:94], v97 offset:1328
	v_add_f64 v[102:103], v[102:103], v[114:115]
	v_add_f64 v[95:96], v[95:96], v[104:105]
	s_waitcnt vmcnt(19) lgkmcnt(1)
	v_mul_f64 v[114:115], v[100:101], v[138:139]
	v_mul_f64 v[104:105], v[98:99], v[138:139]
	s_waitcnt vmcnt(17)
	v_fma_f64 v[108:109], v[1:2], v[124:125], -v[108:109]
	v_fma_f64 v[106:107], v[3:4], v[124:125], v[106:107]
	ds_read_b128 v[1:4], v97 offset:1344
	v_add_f64 v[102:103], v[102:103], v[112:113]
	v_add_f64 v[95:96], v[95:96], v[110:111]
	s_waitcnt vmcnt(13) lgkmcnt(1)
	v_mul_f64 v[112:113], v[93:94], v[128:129]
	s_waitcnt vmcnt(12)
	v_fma_f64 v[114:115], v[98:99], v[142:143], -v[114:115]
	v_mul_f64 v[110:111], v[91:92], v[128:129]
	v_fma_f64 v[99:100], v[100:101], v[142:143], v[104:105]
	v_add_f64 v[102:103], v[102:103], v[108:109]
	v_add_f64 v[104:105], v[95:96], v[106:107]
	ds_read_b128 v[95:98], v97 offset:1360
	s_waitcnt vmcnt(11) lgkmcnt(1)
	v_mul_f64 v[108:109], v[3:4], v[148:149]
	v_mul_f64 v[106:107], v[1:2], v[148:149]
	s_waitcnt vmcnt(9)
	v_fma_f64 v[91:92], v[91:92], v[132:133], -v[112:113]
	v_fma_f64 v[93:94], v[93:94], v[132:133], v[110:111]
	v_add_f64 v[101:102], v[102:103], v[114:115]
	v_add_f64 v[99:100], v[104:105], v[99:100]
	s_waitcnt vmcnt(7) lgkmcnt(0)
	v_mul_f64 v[110:111], v[97:98], v[136:137]
	s_waitcnt vmcnt(6)
	v_fma_f64 v[1:2], v[1:2], v[152:153], -v[108:109]
	v_mul_f64 v[103:104], v[95:96], v[136:137]
	v_fma_f64 v[3:4], v[3:4], v[152:153], v[106:107]
	v_add_f64 v[91:92], v[101:102], v[91:92]
	v_add_f64 v[93:94], v[99:100], v[93:94]
	s_waitcnt vmcnt(4)
	v_fma_f64 v[95:96], v[95:96], v[140:141], -v[110:111]
	v_add_f64 v[1:2], v[91:92], v[1:2]
	v_fma_f64 v[91:92], v[97:98], v[140:141], v[103:104]
	v_add_f64 v[3:4], v[93:94], v[3:4]
	v_add_f64 v[1:2], v[1:2], v[95:96]
	;; [unrolled: 1-line block ×3, first 2 shown]
	s_waitcnt vmcnt(2)
	v_add_f64 v[1:2], v[150:151], -v[1:2]
	s_waitcnt vmcnt(0)
	v_add_f64 v[3:4], v[160:161], -v[3:4]
	buffer_store_dword v2, off, s[0:3], 0 offset:212
	buffer_store_dword v1, off, s[0:3], 0 offset:208
	;; [unrolled: 1-line block ×4, first 2 shown]
	v_cmpx_lt_u32_e32 11, v0
	s_cbranch_execz .LBB106_249
; %bb.248:
	v_mov_b32_e32 v4, s44
	v_mov_b32_e32 v91, 0
	s_clause 0x3
	buffer_load_dword v1, v4, s[0:3], 0 offen
	buffer_load_dword v2, v4, s[0:3], 0 offen offset:4
	buffer_load_dword v3, v4, s[0:3], 0 offen offset:8
	;; [unrolled: 1-line block ×3, first 2 shown]
	buffer_store_dword v91, off, s[0:3], 0 offset:192
	buffer_store_dword v91, off, s[0:3], 0 offset:196
	;; [unrolled: 1-line block ×4, first 2 shown]
	s_waitcnt vmcnt(0)
	ds_write_b128 v147, v[1:4]
.LBB106_249:
	s_or_b32 exec_lo, exec_lo, s4
	s_waitcnt lgkmcnt(0)
	s_waitcnt_vscnt null, 0x0
	s_barrier
	buffer_gl0_inv
	s_clause 0x37
	buffer_load_dword v95, off, s[0:3], 0 offset:216
	buffer_load_dword v96, off, s[0:3], 0 offset:220
	;; [unrolled: 1-line block ×56, first 2 shown]
	v_mov_b32_e32 v115, 0
	s_mov_b32 s4, exec_lo
	ds_read_b128 v[103:106], v115 offset:880
	s_clause 0x2
	buffer_load_dword v157, off, s[0:3], 0 offset:444
	buffer_load_dword v161, off, s[0:3], 0 offset:420
	;; [unrolled: 1-line block ×3, first 2 shown]
	ds_read_b128 v[107:110], v115 offset:896
	s_clause 0x4
	buffer_load_dword v165, off, s[0:3], 0 offset:460
	buffer_load_dword v166, off, s[0:3], 0 offset:472
	;; [unrolled: 1-line block ×5, first 2 shown]
	ds_read_b128 v[111:114], v115 offset:912
	s_clause 0x2
	buffer_load_dword v167, off, s[0:3], 0 offset:476
	buffer_load_dword v172, off, s[0:3], 0 offset:452
	;; [unrolled: 1-line block ×3, first 2 shown]
	s_waitcnt vmcnt(62) lgkmcnt(2)
	v_mul_f64 v[162:163], v[105:106], v[95:96]
	v_mul_f64 v[95:96], v[103:104], v[95:96]
	s_waitcnt lgkmcnt(1)
	v_mul_f64 v[169:170], v[109:110], v[91:92]
	s_waitcnt vmcnt(59) lgkmcnt(0)
	v_mul_f64 v[173:174], v[113:114], v[3:4]
	v_fma_f64 v[103:104], v[103:104], v[93:94], -v[162:163]
	v_mul_f64 v[162:163], v[107:108], v[91:92]
	v_fma_f64 v[95:96], v[105:106], v[93:94], v[95:96]
	s_waitcnt vmcnt(57)
	v_fma_f64 v[107:108], v[107:108], v[1:2], -v[169:170]
	ds_read_b128 v[91:94], v115 offset:928
	v_mul_f64 v[105:106], v[111:112], v[3:4]
	s_waitcnt vmcnt(51)
	v_fma_f64 v[111:112], v[111:112], v[118:119], -v[173:174]
	v_add_f64 v[103:104], v[103:104], 0
	v_fma_f64 v[109:110], v[109:110], v[1:2], v[162:163]
	v_add_f64 v[95:96], v[95:96], 0
	s_clause 0x4
	buffer_load_dword v163, off, s[0:3], 0 offset:492
	buffer_load_dword v175, off, s[0:3], 0 offset:504
	;; [unrolled: 1-line block ×5, first 2 shown]
	s_waitcnt lgkmcnt(0)
	v_mul_f64 v[178:179], v[91:92], v[99:100]
	v_mul_f64 v[99:100], v[93:94], v[99:100]
	ds_read_b128 v[1:4], v115 offset:944
	v_fma_f64 v[113:114], v[113:114], v[118:119], v[105:106]
	v_add_f64 v[107:108], v[103:104], v[107:108]
	v_add_f64 v[95:96], v[95:96], v[109:110]
	s_clause 0x2
	buffer_load_dword v176, off, s[0:3], 0 offset:508
	buffer_load_dword v110, off, s[0:3], 0 offset:484
	;; [unrolled: 1-line block ×3, first 2 shown]
	s_waitcnt vmcnt(58) lgkmcnt(0)
	v_mul_f64 v[118:119], v[1:2], v[116:117]
	v_mul_f64 v[116:117], v[3:4], v[116:117]
	s_waitcnt vmcnt(56)
	v_fma_f64 v[99:100], v[91:92], v[120:121], -v[99:100]
	ds_read_b128 v[103:106], v115 offset:960
	v_add_f64 v[107:108], v[107:108], v[111:112]
	v_fma_f64 v[111:112], v[93:94], v[120:121], v[178:179]
	v_add_f64 v[95:96], v[95:96], v[113:114]
	s_clause 0x4
	buffer_load_dword v114, off, s[0:3], 0 offset:524
	buffer_load_dword v120, off, s[0:3], 0 offset:536
	;; [unrolled: 1-line block ×5, first 2 shown]
	ds_read_b128 v[91:94], v115 offset:976
	s_waitcnt vmcnt(57) lgkmcnt(1)
	v_mul_f64 v[179:180], v[103:104], v[122:123]
	v_mul_f64 v[122:123], v[105:106], v[122:123]
	s_waitcnt vmcnt(56)
	v_fma_f64 v[116:117], v[1:2], v[97:98], -v[116:117]
	v_fma_f64 v[97:98], v[3:4], v[97:98], v[118:119]
	v_add_f64 v[99:100], v[107:108], v[99:100]
	s_clause 0x2
	buffer_load_dword v121, off, s[0:3], 0 offset:540
	buffer_load_dword v108, off, s[0:3], 0 offset:516
	;; [unrolled: 1-line block ×3, first 2 shown]
	v_add_f64 v[95:96], v[95:96], v[111:112]
	s_waitcnt vmcnt(58) lgkmcnt(0)
	v_mul_f64 v[118:119], v[93:94], v[124:125]
	ds_read_b128 v[1:4], v115 offset:992
	v_mul_f64 v[111:112], v[91:92], v[124:125]
	s_waitcnt vmcnt(56)
	v_fma_f64 v[103:104], v[103:104], v[126:127], -v[122:123]
	v_fma_f64 v[105:106], v[105:106], v[126:127], v[179:180]
	s_clause 0x4
	buffer_load_dword v123, off, s[0:3], 0 offset:556
	buffer_load_dword v124, off, s[0:3], 0 offset:568
	;; [unrolled: 1-line block ×5, first 2 shown]
	v_add_f64 v[99:100], v[99:100], v[116:117]
	v_add_f64 v[116:117], v[95:96], v[97:98]
	s_waitcnt vmcnt(57) lgkmcnt(0)
	v_mul_f64 v[179:180], v[1:2], v[128:129]
	v_mul_f64 v[127:128], v[3:4], v[128:129]
	s_waitcnt vmcnt(56)
	v_fma_f64 v[118:119], v[91:92], v[101:102], -v[118:119]
	ds_read_b128 v[95:98], v115 offset:1008
	v_fma_f64 v[101:102], v[93:94], v[101:102], v[111:112]
	v_add_f64 v[99:100], v[99:100], v[103:104]
	v_add_f64 v[103:104], v[116:117], v[105:106]
	s_clause 0x2
	buffer_load_dword v125, off, s[0:3], 0 offset:572
	buffer_load_dword v106, off, s[0:3], 0 offset:548
	buffer_load_dword v105, off, s[0:3], 0 offset:544
	s_waitcnt vmcnt(58) lgkmcnt(0)
	v_mul_f64 v[116:117], v[97:98], v[130:131]
	s_waitcnt vmcnt(56)
	v_fma_f64 v[128:129], v[1:2], v[134:135], -v[127:128]
	ds_read_b128 v[91:94], v115 offset:1024
	v_mul_f64 v[111:112], v[95:96], v[130:131]
	v_add_f64 v[99:100], v[99:100], v[118:119]
	v_fma_f64 v[118:119], v[3:4], v[134:135], v[179:180]
	v_add_f64 v[101:102], v[103:104], v[101:102]
	s_clause 0x4
	buffer_load_dword v104, off, s[0:3], 0 offset:588
	buffer_load_dword v130, off, s[0:3], 0 offset:600
	buffer_load_dword v134, off, s[0:3], 0 offset:592
	buffer_load_dword v103, off, s[0:3], 0 offset:584
	buffer_load_dword v127, off, s[0:3], 0 offset:564
	s_waitcnt vmcnt(57) lgkmcnt(0)
	v_mul_f64 v[179:180], v[91:92], v[136:137]
	v_mul_f64 v[135:136], v[93:94], v[136:137]
	s_waitcnt vmcnt(56)
	v_fma_f64 v[116:117], v[95:96], v[132:133], -v[116:117]
	ds_read_b128 v[1:4], v115 offset:1040
	v_fma_f64 v[111:112], v[97:98], v[132:133], v[111:112]
	v_add_f64 v[99:100], v[99:100], v[128:129]
	v_add_f64 v[101:102], v[101:102], v[118:119]
	s_clause 0x2
	buffer_load_dword v131, off, s[0:3], 0 offset:604
	buffer_load_dword v119, off, s[0:3], 0 offset:580
	buffer_load_dword v118, off, s[0:3], 0 offset:576
	ds_read_b128 v[95:98], v115 offset:1056
	s_waitcnt vmcnt(58) lgkmcnt(1)
	v_mul_f64 v[132:133], v[3:4], v[138:139]
	s_waitcnt vmcnt(56)
	v_fma_f64 v[136:137], v[91:92], v[142:143], -v[135:136]
	v_mul_f64 v[128:129], v[1:2], v[138:139]
	v_add_f64 v[99:100], v[99:100], v[116:117]
	v_fma_f64 v[116:117], v[93:94], v[142:143], v[179:180]
	v_add_f64 v[101:102], v[101:102], v[111:112]
	s_clause 0x4
	buffer_load_dword v112, off, s[0:3], 0 offset:620
	buffer_load_dword v138, off, s[0:3], 0 offset:632
	buffer_load_dword v142, off, s[0:3], 0 offset:624
	buffer_load_dword v111, off, s[0:3], 0 offset:616
	buffer_load_dword v135, off, s[0:3], 0 offset:596
	s_waitcnt vmcnt(57) lgkmcnt(0)
	v_mul_f64 v[179:180], v[95:96], v[144:145]
	v_mul_f64 v[143:144], v[97:98], v[144:145]
	s_waitcnt vmcnt(56)
	v_fma_f64 v[132:133], v[1:2], v[140:141], -v[132:133]
	ds_read_b128 v[91:94], v115 offset:1072
	v_fma_f64 v[128:129], v[3:4], v[140:141], v[128:129]
	v_add_f64 v[99:100], v[99:100], v[136:137]
	v_add_f64 v[101:102], v[101:102], v[116:117]
	s_clause 0x2
	buffer_load_dword v139, off, s[0:3], 0 offset:636
	buffer_load_dword v117, off, s[0:3], 0 offset:612
	buffer_load_dword v116, off, s[0:3], 0 offset:608
	ds_read_b128 v[1:4], v115 offset:1088
	s_waitcnt vmcnt(58) lgkmcnt(1)
	v_mul_f64 v[140:141], v[93:94], v[148:149]
	s_waitcnt vmcnt(56)
	v_fma_f64 v[144:145], v[95:96], v[152:153], -v[143:144]
	;; [unrolled: 28-line block ×4, first 2 shown]
	v_mul_f64 v[154:155], v[1:2], v[166:167]
	buffer_load_dword v161, off, s[0:3], 0 offset:692
	v_add_f64 v[99:100], v[99:100], v[150:151]
	v_fma_f64 v[150:151], v[93:94], v[171:172], v[179:180]
	v_add_f64 v[101:102], v[101:102], v[144:145]
	ds_read_b128 v[91:94], v115 offset:1168
	s_waitcnt vmcnt(53) lgkmcnt(1)
	v_mul_f64 v[144:145], v[95:96], v[162:163]
	v_mul_f64 v[162:163], v[97:98], v[162:163]
	s_waitcnt vmcnt(52)
	v_fma_f64 v[158:159], v[1:2], v[168:169], -v[158:159]
	v_fma_f64 v[154:155], v[3:4], v[168:169], v[154:155]
	ds_read_b128 v[1:4], v115 offset:1184
	v_add_f64 v[99:100], v[99:100], v[164:165]
	v_add_f64 v[101:102], v[101:102], v[150:151]
	s_waitcnt vmcnt(51) lgkmcnt(1)
	v_mul_f64 v[164:165], v[93:94], v[175:176]
	v_mul_f64 v[150:151], v[91:92], v[175:176]
	s_waitcnt vmcnt(49)
	v_fma_f64 v[162:163], v[95:96], v[109:110], -v[162:163]
	v_fma_f64 v[109:110], v[97:98], v[109:110], v[144:145]
	v_add_f64 v[99:100], v[99:100], v[158:159]
	v_add_f64 v[101:102], v[101:102], v[154:155]
	s_clause 0x3
	buffer_load_dword v144, off, s[0:3], 0 offset:192
	buffer_load_dword v145, off, s[0:3], 0 offset:196
	;; [unrolled: 1-line block ×4, first 2 shown]
	ds_read_b128 v[95:98], v115 offset:1200
	s_waitcnt vmcnt(49) lgkmcnt(1)
	v_mul_f64 v[158:159], v[1:2], v[113:114]
	v_mul_f64 v[113:114], v[3:4], v[113:114]
	s_waitcnt vmcnt(48)
	v_fma_f64 v[164:165], v[91:92], v[177:178], -v[164:165]
	v_fma_f64 v[150:151], v[93:94], v[177:178], v[150:151]
	ds_read_b128 v[91:94], v115 offset:1216
	v_add_f64 v[99:100], v[99:100], v[162:163]
	v_add_f64 v[101:102], v[101:102], v[109:110]
	s_waitcnt vmcnt(47) lgkmcnt(1)
	v_mul_f64 v[109:110], v[95:96], v[120:121]
	v_mul_f64 v[120:121], v[97:98], v[120:121]
	s_waitcnt vmcnt(45)
	v_fma_f64 v[113:114], v[1:2], v[107:108], -v[113:114]
	v_fma_f64 v[107:108], v[3:4], v[107:108], v[158:159]
	ds_read_b128 v[1:4], v115 offset:1232
	v_add_f64 v[99:100], v[99:100], v[164:165]
	v_add_f64 v[101:102], v[101:102], v[150:151]
	s_waitcnt vmcnt(41) lgkmcnt(1)
	v_mul_f64 v[150:151], v[91:92], v[122:123]
	v_mul_f64 v[122:123], v[93:94], v[122:123]
	s_waitcnt vmcnt(40)
	v_fma_f64 v[109:110], v[97:98], v[173:174], v[109:110]
	v_fma_f64 v[120:121], v[95:96], v[173:174], -v[120:121]
	ds_read_b128 v[95:98], v115 offset:1248
	v_add_f64 v[99:100], v[99:100], v[113:114]
	v_add_f64 v[101:102], v[101:102], v[107:108]
	s_waitcnt vmcnt(39) lgkmcnt(1)
	v_mul_f64 v[113:114], v[3:4], v[124:125]
	v_mul_f64 v[107:108], v[1:2], v[124:125]
	s_waitcnt vmcnt(37)
	v_fma_f64 v[122:123], v[91:92], v[105:106], -v[122:123]
	v_fma_f64 v[105:106], v[93:94], v[105:106], v[150:151]
	ds_read_b128 v[91:94], v115 offset:1264
	v_add_f64 v[99:100], v[99:100], v[120:121]
	v_add_f64 v[101:102], v[101:102], v[109:110]
	s_waitcnt vmcnt(33) lgkmcnt(1)
	v_mul_f64 v[109:110], v[95:96], v[103:104]
	v_mul_f64 v[103:104], v[97:98], v[103:104]
	s_waitcnt vmcnt(32)
	v_fma_f64 v[113:114], v[1:2], v[126:127], -v[113:114]
	v_fma_f64 v[107:108], v[3:4], v[126:127], v[107:108]
	;; [unrolled: 9-line block ×3, first 2 shown]
	ds_read_b128 v[95:98], v115 offset:1296
	v_add_f64 v[99:100], v[99:100], v[113:114]
	v_add_f64 v[101:102], v[101:102], v[107:108]
	s_waitcnt vmcnt(25) lgkmcnt(1)
	v_mul_f64 v[107:108], v[1:2], v[111:112]
	v_mul_f64 v[111:112], v[3:4], v[111:112]
	s_waitcnt vmcnt(24)
	v_fma_f64 v[113:114], v[91:92], v[134:135], -v[120:121]
	v_add_f64 v[99:100], v[99:100], v[103:104]
	v_fma_f64 v[103:104], v[93:94], v[134:135], v[105:106]
	v_add_f64 v[101:102], v[101:102], v[109:110]
	ds_read_b128 v[91:94], v115 offset:1312
	s_waitcnt vmcnt(23) lgkmcnt(1)
	v_mul_f64 v[109:110], v[97:98], v[138:139]
	v_mul_f64 v[105:106], v[95:96], v[138:139]
	s_waitcnt vmcnt(21)
	v_fma_f64 v[111:112], v[1:2], v[116:117], -v[111:112]
	v_fma_f64 v[107:108], v[3:4], v[116:117], v[107:108]
	ds_read_b128 v[1:4], v115 offset:1328
	v_add_f64 v[99:100], v[99:100], v[113:114]
	v_add_f64 v[101:102], v[101:102], v[103:104]
	s_waitcnt vmcnt(17) lgkmcnt(1)
	v_mul_f64 v[113:114], v[93:94], v[128:129]
	s_waitcnt vmcnt(16)
	v_fma_f64 v[109:110], v[95:96], v[142:143], -v[109:110]
	v_mul_f64 v[103:104], v[91:92], v[128:129]
	v_fma_f64 v[105:106], v[97:98], v[142:143], v[105:106]
	ds_read_b128 v[95:98], v115 offset:1344
	v_add_f64 v[99:100], v[99:100], v[111:112]
	v_add_f64 v[101:102], v[101:102], v[107:108]
	s_waitcnt vmcnt(15) lgkmcnt(1)
	v_mul_f64 v[111:112], v[3:4], v[148:149]
	v_mul_f64 v[107:108], v[1:2], v[148:149]
	s_waitcnt vmcnt(13)
	v_fma_f64 v[113:114], v[91:92], v[132:133], -v[113:114]
	v_fma_f64 v[103:104], v[93:94], v[132:133], v[103:104]
	ds_read_b128 v[91:94], v115 offset:1360
	v_add_f64 v[99:100], v[99:100], v[109:110]
	v_add_f64 v[101:102], v[101:102], v[105:106]
	s_waitcnt vmcnt(9) lgkmcnt(1)
	v_mul_f64 v[109:110], v[97:98], v[136:137]
	s_waitcnt vmcnt(8)
	v_fma_f64 v[1:2], v[1:2], v[152:153], -v[111:112]
	v_mul_f64 v[105:106], v[95:96], v[136:137]
	v_fma_f64 v[3:4], v[3:4], v[152:153], v[107:108]
	v_add_f64 v[99:100], v[99:100], v[113:114]
	v_add_f64 v[101:102], v[101:102], v[103:104]
	s_waitcnt vmcnt(7) lgkmcnt(0)
	v_mul_f64 v[107:108], v[93:94], v[156:157]
	v_mul_f64 v[103:104], v[91:92], v[156:157]
	s_waitcnt vmcnt(5)
	v_fma_f64 v[95:96], v[95:96], v[140:141], -v[109:110]
	v_fma_f64 v[97:98], v[97:98], v[140:141], v[105:106]
	v_add_f64 v[1:2], v[99:100], v[1:2]
	v_add_f64 v[3:4], v[101:102], v[3:4]
	s_waitcnt vmcnt(4)
	v_fma_f64 v[91:92], v[91:92], v[160:161], -v[107:108]
	v_fma_f64 v[93:94], v[93:94], v[160:161], v[103:104]
	v_add_f64 v[1:2], v[1:2], v[95:96]
	v_add_f64 v[3:4], v[3:4], v[97:98]
	;; [unrolled: 1-line block ×4, first 2 shown]
	s_waitcnt vmcnt(2)
	v_add_f64 v[1:2], v[144:145], -v[1:2]
	s_waitcnt vmcnt(0)
	v_add_f64 v[3:4], v[154:155], -v[3:4]
	buffer_store_dword v2, off, s[0:3], 0 offset:196
	buffer_store_dword v1, off, s[0:3], 0 offset:192
	;; [unrolled: 1-line block ×4, first 2 shown]
	v_cmpx_lt_u32_e32 10, v0
	s_cbranch_execz .LBB106_251
; %bb.250:
	v_mov_b32_e32 v4, s45
	s_clause 0x3
	buffer_load_dword v1, v4, s[0:3], 0 offen
	buffer_load_dword v2, v4, s[0:3], 0 offen offset:4
	buffer_load_dword v3, v4, s[0:3], 0 offen offset:8
	;; [unrolled: 1-line block ×3, first 2 shown]
	buffer_store_dword v115, off, s[0:3], 0 offset:176
	buffer_store_dword v115, off, s[0:3], 0 offset:180
	;; [unrolled: 1-line block ×4, first 2 shown]
	s_waitcnt vmcnt(0)
	ds_write_b128 v147, v[1:4]
.LBB106_251:
	s_or_b32 exec_lo, exec_lo, s4
	s_waitcnt lgkmcnt(0)
	s_waitcnt_vscnt null, 0x0
	s_barrier
	buffer_gl0_inv
	s_clause 0x37
	buffer_load_dword v95, off, s[0:3], 0 offset:200
	buffer_load_dword v96, off, s[0:3], 0 offset:204
	;; [unrolled: 1-line block ×56, first 2 shown]
	ds_read_b128 v[116:119], v115 offset:864
	s_clause 0x2
	buffer_load_dword v157, off, s[0:3], 0 offset:428
	buffer_load_dword v161, off, s[0:3], 0 offset:404
	;; [unrolled: 1-line block ×3, first 2 shown]
	ds_read_b128 v[120:123], v115 offset:880
	s_clause 0x4
	buffer_load_dword v165, off, s[0:3], 0 offset:444
	buffer_load_dword v166, off, s[0:3], 0 offset:456
	;; [unrolled: 1-line block ×5, first 2 shown]
	ds_read_b128 v[124:127], v115 offset:896
	s_clause 0x2
	buffer_load_dword v167, off, s[0:3], 0 offset:460
	buffer_load_dword v172, off, s[0:3], 0 offset:436
	;; [unrolled: 1-line block ×3, first 2 shown]
	s_mov_b32 s4, exec_lo
	s_waitcnt vmcnt(62) lgkmcnt(2)
	v_mul_f64 v[162:163], v[118:119], v[95:96]
	v_mul_f64 v[95:96], v[116:117], v[95:96]
	s_waitcnt lgkmcnt(1)
	v_mul_f64 v[169:170], v[122:123], v[91:92]
	s_waitcnt vmcnt(59) lgkmcnt(0)
	v_mul_f64 v[173:174], v[126:127], v[3:4]
	v_fma_f64 v[116:117], v[116:117], v[93:94], -v[162:163]
	v_mul_f64 v[162:163], v[120:121], v[91:92]
	v_fma_f64 v[95:96], v[118:119], v[93:94], v[95:96]
	s_waitcnt vmcnt(57)
	v_fma_f64 v[120:121], v[120:121], v[1:2], -v[169:170]
	ds_read_b128 v[91:94], v115 offset:912
	v_mul_f64 v[118:119], v[124:125], v[3:4]
	s_waitcnt vmcnt(51)
	v_fma_f64 v[124:125], v[124:125], v[111:112], -v[173:174]
	v_add_f64 v[116:117], v[116:117], 0
	v_fma_f64 v[122:123], v[122:123], v[1:2], v[162:163]
	v_add_f64 v[95:96], v[95:96], 0
	s_clause 0x4
	buffer_load_dword v163, off, s[0:3], 0 offset:476
	buffer_load_dword v175, off, s[0:3], 0 offset:488
	;; [unrolled: 1-line block ×5, first 2 shown]
	s_waitcnt lgkmcnt(0)
	v_mul_f64 v[178:179], v[91:92], v[99:100]
	v_mul_f64 v[99:100], v[93:94], v[99:100]
	ds_read_b128 v[1:4], v115 offset:928
	v_fma_f64 v[111:112], v[126:127], v[111:112], v[118:119]
	v_add_f64 v[120:121], v[116:117], v[120:121]
	v_add_f64 v[95:96], v[95:96], v[122:123]
	s_clause 0x2
	buffer_load_dword v176, off, s[0:3], 0 offset:492
	buffer_load_dword v123, off, s[0:3], 0 offset:468
	;; [unrolled: 1-line block ×3, first 2 shown]
	s_waitcnt vmcnt(58) lgkmcnt(0)
	v_mul_f64 v[126:127], v[1:2], v[103:104]
	v_mul_f64 v[103:104], v[3:4], v[103:104]
	s_waitcnt vmcnt(56)
	v_fma_f64 v[99:100], v[91:92], v[105:106], -v[99:100]
	ds_read_b128 v[116:119], v115 offset:944
	v_fma_f64 v[105:106], v[93:94], v[105:106], v[178:179]
	v_add_f64 v[120:121], v[120:121], v[124:125]
	v_add_f64 v[95:96], v[95:96], v[111:112]
	s_clause 0x4
	buffer_load_dword v112, off, s[0:3], 0 offset:508
	buffer_load_dword v124, off, s[0:3], 0 offset:520
	;; [unrolled: 1-line block ×5, first 2 shown]
	ds_read_b128 v[91:94], v115 offset:960
	s_waitcnt vmcnt(57) lgkmcnt(1)
	v_mul_f64 v[179:180], v[116:117], v[107:108]
	v_mul_f64 v[107:108], v[118:119], v[107:108]
	s_waitcnt vmcnt(56)
	v_fma_f64 v[103:104], v[1:2], v[97:98], -v[103:104]
	v_fma_f64 v[97:98], v[3:4], v[97:98], v[126:127]
	v_add_f64 v[99:100], v[120:121], v[99:100]
	v_add_f64 v[95:96], v[95:96], v[105:106]
	s_clause 0x2
	buffer_load_dword v125, off, s[0:3], 0 offset:524
	buffer_load_dword v106, off, s[0:3], 0 offset:500
	;; [unrolled: 1-line block ×3, first 2 shown]
	s_waitcnt vmcnt(58) lgkmcnt(0)
	v_mul_f64 v[120:121], v[91:92], v[113:114]
	v_mul_f64 v[113:114], v[93:94], v[113:114]
	s_waitcnt vmcnt(56)
	v_fma_f64 v[107:108], v[116:117], v[128:129], -v[107:108]
	ds_read_b128 v[1:4], v115 offset:976
	v_add_f64 v[99:100], v[99:100], v[103:104]
	v_fma_f64 v[103:104], v[118:119], v[128:129], v[179:180]
	v_add_f64 v[116:117], v[95:96], v[97:98]
	s_clause 0x4
	buffer_load_dword v119, off, s[0:3], 0 offset:540
	buffer_load_dword v126, off, s[0:3], 0 offset:552
	;; [unrolled: 1-line block ×5, first 2 shown]
	ds_read_b128 v[95:98], v115 offset:992
	s_waitcnt vmcnt(57) lgkmcnt(1)
	v_mul_f64 v[179:180], v[1:2], v[130:131]
	v_mul_f64 v[129:130], v[3:4], v[130:131]
	s_waitcnt vmcnt(56)
	v_fma_f64 v[113:114], v[91:92], v[101:102], -v[113:114]
	v_fma_f64 v[101:102], v[93:94], v[101:102], v[120:121]
	v_add_f64 v[99:100], v[99:100], v[107:108]
	s_clause 0x2
	buffer_load_dword v127, off, s[0:3], 0 offset:556
	buffer_load_dword v108, off, s[0:3], 0 offset:532
	;; [unrolled: 1-line block ×3, first 2 shown]
	v_add_f64 v[103:104], v[116:117], v[103:104]
	s_waitcnt vmcnt(58) lgkmcnt(0)
	v_mul_f64 v[120:121], v[97:98], v[132:133]
	ds_read_b128 v[91:94], v115 offset:1008
	v_mul_f64 v[116:117], v[95:96], v[132:133]
	s_waitcnt vmcnt(56)
	v_fma_f64 v[130:131], v[1:2], v[134:135], -v[129:130]
	v_add_f64 v[99:100], v[99:100], v[113:114]
	v_fma_f64 v[113:114], v[3:4], v[134:135], v[179:180]
	v_add_f64 v[101:102], v[103:104], v[101:102]
	s_clause 0x4
	buffer_load_dword v104, off, s[0:3], 0 offset:572
	buffer_load_dword v132, off, s[0:3], 0 offset:584
	buffer_load_dword v134, off, s[0:3], 0 offset:576
	buffer_load_dword v103, off, s[0:3], 0 offset:568
	buffer_load_dword v129, off, s[0:3], 0 offset:548
	s_waitcnt vmcnt(57) lgkmcnt(0)
	v_mul_f64 v[179:180], v[91:92], v[136:137]
	v_mul_f64 v[135:136], v[93:94], v[136:137]
	s_waitcnt vmcnt(56)
	v_fma_f64 v[120:121], v[95:96], v[109:110], -v[120:121]
	ds_read_b128 v[1:4], v115 offset:1024
	v_fma_f64 v[109:110], v[97:98], v[109:110], v[116:117]
	v_add_f64 v[99:100], v[99:100], v[130:131]
	v_add_f64 v[101:102], v[101:102], v[113:114]
	s_clause 0x2
	buffer_load_dword v133, off, s[0:3], 0 offset:588
	buffer_load_dword v114, off, s[0:3], 0 offset:564
	buffer_load_dword v113, off, s[0:3], 0 offset:560
	ds_read_b128 v[95:98], v115 offset:1040
	s_waitcnt vmcnt(58) lgkmcnt(1)
	v_mul_f64 v[130:131], v[3:4], v[138:139]
	s_waitcnt vmcnt(56)
	v_fma_f64 v[136:137], v[91:92], v[142:143], -v[135:136]
	v_mul_f64 v[116:117], v[1:2], v[138:139]
	v_add_f64 v[99:100], v[99:100], v[120:121]
	v_fma_f64 v[120:121], v[93:94], v[142:143], v[179:180]
	v_add_f64 v[101:102], v[101:102], v[109:110]
	s_clause 0x4
	buffer_load_dword v110, off, s[0:3], 0 offset:604
	buffer_load_dword v138, off, s[0:3], 0 offset:616
	buffer_load_dword v142, off, s[0:3], 0 offset:608
	buffer_load_dword v109, off, s[0:3], 0 offset:600
	buffer_load_dword v135, off, s[0:3], 0 offset:580
	s_waitcnt vmcnt(57) lgkmcnt(0)
	v_mul_f64 v[179:180], v[95:96], v[144:145]
	v_mul_f64 v[143:144], v[97:98], v[144:145]
	s_waitcnt vmcnt(56)
	v_fma_f64 v[130:131], v[1:2], v[140:141], -v[130:131]
	ds_read_b128 v[91:94], v115 offset:1056
	v_fma_f64 v[116:117], v[3:4], v[140:141], v[116:117]
	v_add_f64 v[99:100], v[99:100], v[136:137]
	v_add_f64 v[101:102], v[101:102], v[120:121]
	s_clause 0x2
	buffer_load_dword v139, off, s[0:3], 0 offset:620
	buffer_load_dword v121, off, s[0:3], 0 offset:596
	buffer_load_dword v120, off, s[0:3], 0 offset:592
	ds_read_b128 v[1:4], v115 offset:1072
	s_waitcnt vmcnt(58) lgkmcnt(1)
	v_mul_f64 v[140:141], v[93:94], v[148:149]
	s_waitcnt vmcnt(56)
	v_fma_f64 v[144:145], v[95:96], v[152:153], -v[143:144]
	v_mul_f64 v[136:137], v[91:92], v[148:149]
	;; [unrolled: 28-line block ×4, first 2 shown]
	v_add_f64 v[99:100], v[99:100], v[150:151]
	v_fma_f64 v[150:151], v[93:94], v[171:172], v[179:180]
	v_add_f64 v[101:102], v[101:102], v[144:145]
	s_clause 0x2
	buffer_load_dword v145, off, s[0:3], 0 offset:700
	buffer_load_dword v144, off, s[0:3], 0 offset:696
	;; [unrolled: 1-line block ×3, first 2 shown]
	ds_read_b128 v[91:94], v115 offset:1152
	s_waitcnt vmcnt(55) lgkmcnt(1)
	v_mul_f64 v[166:167], v[95:96], v[162:163]
	v_mul_f64 v[162:163], v[97:98], v[162:163]
	s_waitcnt vmcnt(54)
	v_fma_f64 v[158:159], v[1:2], v[168:169], -v[158:159]
	v_fma_f64 v[154:155], v[3:4], v[168:169], v[154:155]
	v_add_f64 v[99:100], v[99:100], v[164:165]
	v_add_f64 v[101:102], v[101:102], v[150:151]
	s_clause 0x1
	buffer_load_dword v151, off, s[0:3], 0 offset:692
	buffer_load_dword v150, off, s[0:3], 0 offset:688
	ds_read_b128 v[1:4], v115 offset:1168
	s_waitcnt vmcnt(55) lgkmcnt(1)
	v_mul_f64 v[168:169], v[93:94], v[175:176]
	v_mul_f64 v[164:165], v[91:92], v[175:176]
	s_waitcnt vmcnt(53)
	v_fma_f64 v[162:163], v[95:96], v[122:123], -v[162:163]
	v_fma_f64 v[122:123], v[97:98], v[122:123], v[166:167]
	ds_read_b128 v[95:98], v115 offset:1184
	v_add_f64 v[99:100], v[99:100], v[158:159]
	v_add_f64 v[101:102], v[101:102], v[154:155]
	s_waitcnt vmcnt(49) lgkmcnt(1)
	v_mul_f64 v[154:155], v[1:2], v[111:112]
	v_mul_f64 v[111:112], v[3:4], v[111:112]
	s_waitcnt vmcnt(48)
	v_fma_f64 v[158:159], v[91:92], v[177:178], -v[168:169]
	v_add_f64 v[99:100], v[99:100], v[162:163]
	v_fma_f64 v[162:163], v[93:94], v[177:178], v[164:165]
	v_add_f64 v[101:102], v[101:102], v[122:123]
	s_clause 0x3
	buffer_load_dword v122, off, s[0:3], 0 offset:176
	buffer_load_dword v123, off, s[0:3], 0 offset:180
	;; [unrolled: 1-line block ×4, first 2 shown]
	ds_read_b128 v[91:94], v115 offset:1200
	s_waitcnt vmcnt(51) lgkmcnt(1)
	v_mul_f64 v[166:167], v[95:96], v[124:125]
	v_mul_f64 v[124:125], v[97:98], v[124:125]
	s_waitcnt vmcnt(49)
	v_fma_f64 v[111:112], v[1:2], v[105:106], -v[111:112]
	v_fma_f64 v[105:106], v[3:4], v[105:106], v[154:155]
	ds_read_b128 v[1:4], v115 offset:1216
	v_add_f64 v[99:100], v[99:100], v[158:159]
	v_add_f64 v[101:102], v[101:102], v[162:163]
	s_waitcnt vmcnt(45) lgkmcnt(1)
	v_mul_f64 v[154:155], v[91:92], v[118:119]
	v_mul_f64 v[118:119], v[93:94], v[118:119]
	s_waitcnt vmcnt(44)
	v_fma_f64 v[124:125], v[95:96], v[173:174], -v[124:125]
	v_add_f64 v[99:100], v[99:100], v[111:112]
	v_fma_f64 v[111:112], v[97:98], v[173:174], v[166:167]
	v_add_f64 v[101:102], v[101:102], v[105:106]
	ds_read_b128 v[95:98], v115 offset:1232
	s_waitcnt vmcnt(43) lgkmcnt(1)
	v_mul_f64 v[105:106], v[1:2], v[126:127]
	v_mul_f64 v[126:127], v[3:4], v[126:127]
	s_waitcnt vmcnt(41)
	v_fma_f64 v[118:119], v[91:92], v[107:108], -v[118:119]
	v_fma_f64 v[107:108], v[93:94], v[107:108], v[154:155]
	ds_read_b128 v[91:94], v115 offset:1248
	v_add_f64 v[99:100], v[99:100], v[124:125]
	v_add_f64 v[101:102], v[101:102], v[111:112]
	s_waitcnt vmcnt(37) lgkmcnt(1)
	v_mul_f64 v[111:112], v[95:96], v[103:104]
	v_mul_f64 v[103:104], v[97:98], v[103:104]
	s_waitcnt vmcnt(36)
	v_fma_f64 v[124:125], v[1:2], v[128:129], -v[126:127]
	v_fma_f64 v[105:106], v[3:4], v[128:129], v[105:106]
	ds_read_b128 v[1:4], v115 offset:1264
	v_add_f64 v[99:100], v[99:100], v[118:119]
	v_add_f64 v[101:102], v[101:102], v[107:108]
	;; [unrolled: 9-line block ×3, first 2 shown]
	s_waitcnt vmcnt(29) lgkmcnt(1)
	v_mul_f64 v[105:106], v[1:2], v[109:110]
	v_mul_f64 v[109:110], v[3:4], v[109:110]
	s_waitcnt vmcnt(28)
	v_fma_f64 v[113:114], v[91:92], v[134:135], -v[118:119]
	v_add_f64 v[99:100], v[99:100], v[103:104]
	v_fma_f64 v[103:104], v[93:94], v[134:135], v[107:108]
	v_add_f64 v[101:102], v[101:102], v[111:112]
	ds_read_b128 v[91:94], v115 offset:1296
	s_waitcnt vmcnt(27) lgkmcnt(1)
	v_mul_f64 v[111:112], v[97:98], v[138:139]
	v_mul_f64 v[107:108], v[95:96], v[138:139]
	s_waitcnt vmcnt(25)
	v_fma_f64 v[109:110], v[1:2], v[120:121], -v[109:110]
	v_fma_f64 v[105:106], v[3:4], v[120:121], v[105:106]
	ds_read_b128 v[1:4], v115 offset:1312
	v_add_f64 v[99:100], v[99:100], v[113:114]
	v_add_f64 v[101:102], v[101:102], v[103:104]
	s_waitcnt vmcnt(21) lgkmcnt(1)
	v_mul_f64 v[113:114], v[93:94], v[116:117]
	s_waitcnt vmcnt(20)
	v_fma_f64 v[111:112], v[95:96], v[142:143], -v[111:112]
	v_mul_f64 v[103:104], v[91:92], v[116:117]
	v_fma_f64 v[107:108], v[97:98], v[142:143], v[107:108]
	ds_read_b128 v[95:98], v115 offset:1328
	v_add_f64 v[99:100], v[99:100], v[109:110]
	v_add_f64 v[101:102], v[101:102], v[105:106]
	s_waitcnt vmcnt(19) lgkmcnt(1)
	v_mul_f64 v[109:110], v[3:4], v[148:149]
	v_mul_f64 v[105:106], v[1:2], v[148:149]
	s_waitcnt vmcnt(17)
	v_fma_f64 v[113:114], v[91:92], v[130:131], -v[113:114]
	v_fma_f64 v[103:104], v[93:94], v[130:131], v[103:104]
	ds_read_b128 v[91:94], v115 offset:1344
	v_add_f64 v[99:100], v[99:100], v[111:112]
	v_add_f64 v[101:102], v[101:102], v[107:108]
	s_waitcnt vmcnt(13) lgkmcnt(1)
	v_mul_f64 v[111:112], v[97:98], v[136:137]
	s_waitcnt vmcnt(12)
	v_fma_f64 v[109:110], v[1:2], v[152:153], -v[109:110]
	v_mul_f64 v[107:108], v[95:96], v[136:137]
	v_fma_f64 v[105:106], v[3:4], v[152:153], v[105:106]
	ds_read_b128 v[1:4], v115 offset:1360
	v_add_f64 v[99:100], v[99:100], v[113:114]
	v_add_f64 v[101:102], v[101:102], v[103:104]
	s_waitcnt vmcnt(11) lgkmcnt(1)
	v_mul_f64 v[113:114], v[93:94], v[156:157]
	v_mul_f64 v[103:104], v[91:92], v[156:157]
	s_waitcnt vmcnt(9)
	v_fma_f64 v[95:96], v[95:96], v[140:141], -v[111:112]
	v_fma_f64 v[97:98], v[97:98], v[140:141], v[107:108]
	v_add_f64 v[99:100], v[99:100], v[109:110]
	v_add_f64 v[101:102], v[101:102], v[105:106]
	s_waitcnt vmcnt(7) lgkmcnt(0)
	v_mul_f64 v[107:108], v[3:4], v[144:145]
	s_waitcnt vmcnt(6)
	v_fma_f64 v[91:92], v[91:92], v[160:161], -v[113:114]
	v_mul_f64 v[105:106], v[1:2], v[144:145]
	v_fma_f64 v[93:94], v[93:94], v[160:161], v[103:104]
	v_add_f64 v[95:96], v[99:100], v[95:96]
	v_add_f64 v[97:98], v[101:102], v[97:98]
	s_waitcnt vmcnt(4)
	v_fma_f64 v[1:2], v[1:2], v[150:151], -v[107:108]
	v_fma_f64 v[3:4], v[3:4], v[150:151], v[105:106]
	v_add_f64 v[91:92], v[95:96], v[91:92]
	v_add_f64 v[93:94], v[97:98], v[93:94]
	;; [unrolled: 1-line block ×4, first 2 shown]
	s_waitcnt vmcnt(2)
	v_add_f64 v[1:2], v[122:123], -v[1:2]
	s_waitcnt vmcnt(0)
	v_add_f64 v[3:4], v[164:165], -v[3:4]
	buffer_store_dword v2, off, s[0:3], 0 offset:180
	buffer_store_dword v1, off, s[0:3], 0 offset:176
	;; [unrolled: 1-line block ×4, first 2 shown]
	v_cmpx_lt_u32_e32 9, v0
	s_cbranch_execz .LBB106_253
; %bb.252:
	v_mov_b32_e32 v4, s46
	v_mov_b32_e32 v91, 0
	s_clause 0x3
	buffer_load_dword v1, v4, s[0:3], 0 offen
	buffer_load_dword v2, v4, s[0:3], 0 offen offset:4
	buffer_load_dword v3, v4, s[0:3], 0 offen offset:8
	;; [unrolled: 1-line block ×3, first 2 shown]
	buffer_store_dword v91, off, s[0:3], 0 offset:160
	buffer_store_dword v91, off, s[0:3], 0 offset:164
	;; [unrolled: 1-line block ×4, first 2 shown]
	s_waitcnt vmcnt(0)
	ds_write_b128 v147, v[1:4]
.LBB106_253:
	s_or_b32 exec_lo, exec_lo, s4
	s_waitcnt lgkmcnt(0)
	s_waitcnt_vscnt null, 0x0
	s_barrier
	buffer_gl0_inv
	s_clause 0x37
	buffer_load_dword v95, off, s[0:3], 0 offset:184
	buffer_load_dword v96, off, s[0:3], 0 offset:188
	;; [unrolled: 1-line block ×56, first 2 shown]
	v_mov_b32_e32 v137, 0
	s_mov_b32 s4, exec_lo
	ds_read_b128 v[125:128], v137 offset:848
	s_clause 0x2
	buffer_load_dword v157, off, s[0:3], 0 offset:412
	buffer_load_dword v161, off, s[0:3], 0 offset:388
	;; [unrolled: 1-line block ×3, first 2 shown]
	ds_read_b128 v[129:132], v137 offset:864
	s_clause 0x4
	buffer_load_dword v165, off, s[0:3], 0 offset:428
	buffer_load_dword v166, off, s[0:3], 0 offset:440
	;; [unrolled: 1-line block ×5, first 2 shown]
	ds_read_b128 v[133:136], v137 offset:880
	s_clause 0x2
	buffer_load_dword v167, off, s[0:3], 0 offset:444
	buffer_load_dword v172, off, s[0:3], 0 offset:420
	;; [unrolled: 1-line block ×3, first 2 shown]
	s_waitcnt vmcnt(62) lgkmcnt(2)
	v_mul_f64 v[162:163], v[127:128], v[95:96]
	v_mul_f64 v[95:96], v[125:126], v[95:96]
	s_waitcnt lgkmcnt(1)
	v_mul_f64 v[169:170], v[131:132], v[91:92]
	s_waitcnt vmcnt(59) lgkmcnt(0)
	v_mul_f64 v[173:174], v[135:136], v[3:4]
	v_fma_f64 v[125:126], v[125:126], v[93:94], -v[162:163]
	v_mul_f64 v[162:163], v[129:130], v[91:92]
	v_fma_f64 v[95:96], v[127:128], v[93:94], v[95:96]
	s_waitcnt vmcnt(57)
	v_fma_f64 v[129:130], v[129:130], v[1:2], -v[169:170]
	ds_read_b128 v[91:94], v137 offset:896
	v_mul_f64 v[127:128], v[133:134], v[3:4]
	s_waitcnt vmcnt(51)
	v_fma_f64 v[133:134], v[133:134], v[111:112], -v[173:174]
	v_add_f64 v[125:126], v[125:126], 0
	v_fma_f64 v[131:132], v[131:132], v[1:2], v[162:163]
	v_add_f64 v[95:96], v[95:96], 0
	s_clause 0x4
	buffer_load_dword v163, off, s[0:3], 0 offset:460
	buffer_load_dword v175, off, s[0:3], 0 offset:472
	buffer_load_dword v177, off, s[0:3], 0 offset:464
	buffer_load_dword v162, off, s[0:3], 0 offset:456
	buffer_load_dword v169, off, s[0:3], 0 offset:436
	s_waitcnt lgkmcnt(0)
	v_mul_f64 v[178:179], v[91:92], v[99:100]
	v_mul_f64 v[99:100], v[93:94], v[99:100]
	ds_read_b128 v[1:4], v137 offset:912
	v_fma_f64 v[111:112], v[135:136], v[111:112], v[127:128]
	v_add_f64 v[129:130], v[125:126], v[129:130]
	v_add_f64 v[95:96], v[95:96], v[131:132]
	s_clause 0x2
	buffer_load_dword v176, off, s[0:3], 0 offset:476
	buffer_load_dword v132, off, s[0:3], 0 offset:452
	;; [unrolled: 1-line block ×3, first 2 shown]
	s_waitcnt vmcnt(58) lgkmcnt(0)
	v_mul_f64 v[135:136], v[1:2], v[103:104]
	v_mul_f64 v[103:104], v[3:4], v[103:104]
	s_waitcnt vmcnt(56)
	v_fma_f64 v[99:100], v[91:92], v[105:106], -v[99:100]
	ds_read_b128 v[125:128], v137 offset:928
	v_fma_f64 v[105:106], v[93:94], v[105:106], v[178:179]
	v_add_f64 v[129:130], v[129:130], v[133:134]
	v_add_f64 v[95:96], v[95:96], v[111:112]
	s_clause 0x4
	buffer_load_dword v112, off, s[0:3], 0 offset:492
	buffer_load_dword v133, off, s[0:3], 0 offset:504
	;; [unrolled: 1-line block ×5, first 2 shown]
	ds_read_b128 v[91:94], v137 offset:944
	s_waitcnt vmcnt(57) lgkmcnt(1)
	v_mul_f64 v[179:180], v[125:126], v[107:108]
	v_mul_f64 v[107:108], v[127:128], v[107:108]
	s_waitcnt vmcnt(56)
	v_fma_f64 v[103:104], v[1:2], v[97:98], -v[103:104]
	v_fma_f64 v[97:98], v[3:4], v[97:98], v[135:136]
	v_add_f64 v[99:100], v[129:130], v[99:100]
	v_add_f64 v[95:96], v[95:96], v[105:106]
	s_clause 0x2
	buffer_load_dword v134, off, s[0:3], 0 offset:508
	buffer_load_dword v106, off, s[0:3], 0 offset:484
	;; [unrolled: 1-line block ×3, first 2 shown]
	s_waitcnt vmcnt(58) lgkmcnt(0)
	v_mul_f64 v[129:130], v[91:92], v[113:114]
	v_mul_f64 v[113:114], v[93:94], v[113:114]
	s_waitcnt vmcnt(56)
	v_fma_f64 v[107:108], v[125:126], v[115:116], -v[107:108]
	ds_read_b128 v[1:4], v137 offset:960
	v_add_f64 v[99:100], v[99:100], v[103:104]
	v_fma_f64 v[103:104], v[127:128], v[115:116], v[179:180]
	v_add_f64 v[115:116], v[95:96], v[97:98]
	s_clause 0x4
	buffer_load_dword v126, off, s[0:3], 0 offset:524
	buffer_load_dword v127, off, s[0:3], 0 offset:536
	;; [unrolled: 1-line block ×5, first 2 shown]
	ds_read_b128 v[95:98], v137 offset:976
	s_waitcnt vmcnt(57) lgkmcnt(1)
	v_mul_f64 v[179:180], v[1:2], v[117:118]
	v_mul_f64 v[117:118], v[3:4], v[117:118]
	s_waitcnt vmcnt(56)
	v_fma_f64 v[113:114], v[91:92], v[101:102], -v[113:114]
	v_fma_f64 v[101:102], v[93:94], v[101:102], v[129:130]
	v_add_f64 v[99:100], v[99:100], v[107:108]
	s_clause 0x2
	buffer_load_dword v128, off, s[0:3], 0 offset:540
	buffer_load_dword v108, off, s[0:3], 0 offset:516
	buffer_load_dword v107, off, s[0:3], 0 offset:512
	v_add_f64 v[103:104], v[115:116], v[103:104]
	s_waitcnt vmcnt(58) lgkmcnt(0)
	v_mul_f64 v[115:116], v[95:96], v[121:122]
	v_mul_f64 v[121:122], v[97:98], v[121:122]
	ds_read_b128 v[91:94], v137 offset:992
	s_waitcnt vmcnt(56)
	v_fma_f64 v[117:118], v[1:2], v[123:124], -v[117:118]
	v_add_f64 v[99:100], v[99:100], v[113:114]
	v_fma_f64 v[113:114], v[3:4], v[123:124], v[179:180]
	v_add_f64 v[101:102], v[103:104], v[101:102]
	s_clause 0x4
	buffer_load_dword v104, off, s[0:3], 0 offset:556
	buffer_load_dword v123, off, s[0:3], 0 offset:568
	;; [unrolled: 1-line block ×5, first 2 shown]
	s_waitcnt vmcnt(57) lgkmcnt(0)
	v_mul_f64 v[179:180], v[91:92], v[138:139]
	v_mul_f64 v[138:139], v[93:94], v[138:139]
	s_waitcnt vmcnt(56)
	v_fma_f64 v[121:122], v[95:96], v[109:110], -v[121:122]
	ds_read_b128 v[1:4], v137 offset:1008
	v_fma_f64 v[109:110], v[97:98], v[109:110], v[115:116]
	v_add_f64 v[99:100], v[99:100], v[117:118]
	v_add_f64 v[101:102], v[101:102], v[113:114]
	s_clause 0x2
	buffer_load_dword v124, off, s[0:3], 0 offset:572
	buffer_load_dword v114, off, s[0:3], 0 offset:548
	buffer_load_dword v113, off, s[0:3], 0 offset:544
	ds_read_b128 v[95:98], v137 offset:1024
	s_waitcnt vmcnt(58) lgkmcnt(1)
	v_mul_f64 v[117:118], v[3:4], v[140:141]
	s_waitcnt vmcnt(56)
	v_fma_f64 v[138:139], v[91:92], v[142:143], -v[138:139]
	v_mul_f64 v[115:116], v[1:2], v[140:141]
	v_add_f64 v[99:100], v[99:100], v[121:122]
	v_fma_f64 v[121:122], v[93:94], v[142:143], v[179:180]
	v_add_f64 v[101:102], v[101:102], v[109:110]
	s_clause 0x4
	buffer_load_dword v110, off, s[0:3], 0 offset:588
	buffer_load_dword v140, off, s[0:3], 0 offset:600
	;; [unrolled: 1-line block ×5, first 2 shown]
	s_waitcnt vmcnt(57) lgkmcnt(0)
	v_mul_f64 v[179:180], v[95:96], v[144:145]
	v_mul_f64 v[143:144], v[97:98], v[144:145]
	s_waitcnt vmcnt(56)
	v_fma_f64 v[117:118], v[1:2], v[119:120], -v[117:118]
	ds_read_b128 v[91:94], v137 offset:1040
	v_fma_f64 v[115:116], v[3:4], v[119:120], v[115:116]
	s_clause 0x2
	buffer_load_dword v141, off, s[0:3], 0 offset:604
	buffer_load_dword v120, off, s[0:3], 0 offset:580
	;; [unrolled: 1-line block ×3, first 2 shown]
	ds_read_b128 v[1:4], v137 offset:1056
	v_add_f64 v[99:100], v[99:100], v[138:139]
	v_add_f64 v[101:102], v[101:102], v[121:122]
	s_waitcnt vmcnt(58) lgkmcnt(1)
	v_mul_f64 v[138:139], v[93:94], v[148:149]
	s_waitcnt vmcnt(56)
	v_fma_f64 v[144:145], v[95:96], v[152:153], -v[143:144]
	v_mul_f64 v[121:122], v[91:92], v[148:149]
	v_add_f64 v[99:100], v[99:100], v[117:118]
	v_fma_f64 v[117:118], v[97:98], v[152:153], v[179:180]
	v_add_f64 v[101:102], v[101:102], v[115:116]
	s_clause 0x4
	buffer_load_dword v116, off, s[0:3], 0 offset:620
	buffer_load_dword v148, off, s[0:3], 0 offset:632
	;; [unrolled: 1-line block ×5, first 2 shown]
	s_waitcnt vmcnt(57) lgkmcnt(0)
	v_mul_f64 v[179:180], v[1:2], v[154:155]
	v_mul_f64 v[153:154], v[3:4], v[154:155]
	s_waitcnt vmcnt(56)
	v_fma_f64 v[138:139], v[91:92], v[150:151], -v[138:139]
	ds_read_b128 v[95:98], v137 offset:1072
	v_fma_f64 v[121:122], v[93:94], v[150:151], v[121:122]
	v_add_f64 v[99:100], v[99:100], v[144:145]
	v_add_f64 v[101:102], v[101:102], v[117:118]
	s_clause 0x2
	buffer_load_dword v149, off, s[0:3], 0 offset:636
	buffer_load_dword v118, off, s[0:3], 0 offset:612
	;; [unrolled: 1-line block ×3, first 2 shown]
	ds_read_b128 v[91:94], v137 offset:1088
	s_waitcnt vmcnt(58) lgkmcnt(1)
	v_mul_f64 v[150:151], v[97:98], v[156:157]
	s_waitcnt vmcnt(56)
	v_fma_f64 v[154:155], v[1:2], v[160:161], -v[153:154]
	v_mul_f64 v[144:145], v[95:96], v[156:157]
	v_add_f64 v[99:100], v[99:100], v[138:139]
	v_fma_f64 v[138:139], v[3:4], v[160:161], v[179:180]
	v_add_f64 v[101:102], v[101:102], v[121:122]
	s_clause 0x4
	buffer_load_dword v122, off, s[0:3], 0 offset:652
	buffer_load_dword v156, off, s[0:3], 0 offset:664
	;; [unrolled: 1-line block ×5, first 2 shown]
	s_waitcnt vmcnt(57) lgkmcnt(0)
	v_mul_f64 v[179:180], v[91:92], v[164:165]
	v_mul_f64 v[164:165], v[93:94], v[164:165]
	s_waitcnt vmcnt(56)
	v_fma_f64 v[150:151], v[95:96], v[158:159], -v[150:151]
	ds_read_b128 v[1:4], v137 offset:1104
	v_fma_f64 v[144:145], v[97:98], v[158:159], v[144:145]
	v_add_f64 v[99:100], v[99:100], v[154:155]
	v_add_f64 v[101:102], v[101:102], v[138:139]
	s_clause 0x2
	buffer_load_dword v157, off, s[0:3], 0 offset:668
	buffer_load_dword v139, off, s[0:3], 0 offset:644
	buffer_load_dword v138, off, s[0:3], 0 offset:640
	ds_read_b128 v[95:98], v137 offset:1120
	s_waitcnt vmcnt(58) lgkmcnt(1)
	v_mul_f64 v[158:159], v[3:4], v[166:167]
	s_waitcnt vmcnt(56)
	v_fma_f64 v[164:165], v[91:92], v[171:172], -v[164:165]
	v_mul_f64 v[154:155], v[1:2], v[166:167]
	v_add_f64 v[99:100], v[99:100], v[150:151]
	v_fma_f64 v[150:151], v[93:94], v[171:172], v[179:180]
	v_add_f64 v[101:102], v[101:102], v[144:145]
	s_clause 0x4
	buffer_load_dword v145, off, s[0:3], 0 offset:684
	buffer_load_dword v166, off, s[0:3], 0 offset:696
	;; [unrolled: 1-line block ×5, first 2 shown]
	ds_read_b128 v[91:94], v137 offset:1136
	s_waitcnt vmcnt(57) lgkmcnt(1)
	v_mul_f64 v[171:172], v[95:96], v[162:163]
	v_mul_f64 v[162:163], v[97:98], v[162:163]
	s_waitcnt vmcnt(56)
	v_fma_f64 v[158:159], v[1:2], v[168:169], -v[158:159]
	v_fma_f64 v[154:155], v[3:4], v[168:169], v[154:155]
	v_add_f64 v[99:100], v[99:100], v[164:165]
	v_add_f64 v[101:102], v[101:102], v[150:151]
	s_clause 0x2
	buffer_load_dword v167, off, s[0:3], 0 offset:700
	buffer_load_dword v151, off, s[0:3], 0 offset:676
	;; [unrolled: 1-line block ×3, first 2 shown]
	ds_read_b128 v[1:4], v137 offset:1152
	s_waitcnt vmcnt(58) lgkmcnt(1)
	v_mul_f64 v[168:169], v[93:94], v[175:176]
	v_mul_f64 v[164:165], v[91:92], v[175:176]
	s_waitcnt vmcnt(56)
	v_fma_f64 v[162:163], v[95:96], v[131:132], -v[162:163]
	v_fma_f64 v[131:132], v[97:98], v[131:132], v[171:172]
	buffer_load_dword v171, off, s[0:3], 0 offset:692
	ds_read_b128 v[95:98], v137 offset:1168
	v_add_f64 v[99:100], v[99:100], v[158:159]
	v_add_f64 v[101:102], v[101:102], v[154:155]
	s_waitcnt vmcnt(53) lgkmcnt(1)
	v_mul_f64 v[154:155], v[1:2], v[111:112]
	v_mul_f64 v[111:112], v[3:4], v[111:112]
	s_waitcnt vmcnt(52)
	v_fma_f64 v[158:159], v[91:92], v[177:178], -v[168:169]
	v_add_f64 v[99:100], v[99:100], v[162:163]
	v_fma_f64 v[162:163], v[93:94], v[177:178], v[164:165]
	v_add_f64 v[101:102], v[101:102], v[131:132]
	ds_read_b128 v[91:94], v137 offset:1184
	s_waitcnt vmcnt(51) lgkmcnt(1)
	v_mul_f64 v[131:132], v[95:96], v[133:134]
	v_mul_f64 v[133:134], v[97:98], v[133:134]
	s_waitcnt vmcnt(49)
	v_fma_f64 v[111:112], v[1:2], v[105:106], -v[111:112]
	v_fma_f64 v[105:106], v[3:4], v[105:106], v[154:155]
	v_add_f64 v[99:100], v[99:100], v[158:159]
	s_clause 0x3
	buffer_load_dword v154, off, s[0:3], 0 offset:160
	buffer_load_dword v155, off, s[0:3], 0 offset:164
	;; [unrolled: 1-line block ×4, first 2 shown]
	v_add_f64 v[101:102], v[101:102], v[162:163]
	ds_read_b128 v[1:4], v137 offset:1200
	s_waitcnt vmcnt(49) lgkmcnt(1)
	v_mul_f64 v[162:163], v[91:92], v[125:126]
	v_mul_f64 v[125:126], v[93:94], v[125:126]
	s_waitcnt vmcnt(48)
	v_fma_f64 v[133:134], v[95:96], v[173:174], -v[133:134]
	v_add_f64 v[99:100], v[99:100], v[111:112]
	v_fma_f64 v[111:112], v[97:98], v[173:174], v[131:132]
	v_add_f64 v[101:102], v[101:102], v[105:106]
	ds_read_b128 v[95:98], v137 offset:1216
	s_waitcnt vmcnt(47) lgkmcnt(1)
	v_mul_f64 v[105:106], v[1:2], v[127:128]
	v_mul_f64 v[127:128], v[3:4], v[127:128]
	s_waitcnt vmcnt(45)
	v_fma_f64 v[125:126], v[91:92], v[107:108], -v[125:126]
	v_fma_f64 v[107:108], v[93:94], v[107:108], v[162:163]
	ds_read_b128 v[91:94], v137 offset:1232
	v_add_f64 v[99:100], v[99:100], v[133:134]
	v_add_f64 v[101:102], v[101:102], v[111:112]
	s_waitcnt vmcnt(41) lgkmcnt(1)
	v_mul_f64 v[111:112], v[95:96], v[103:104]
	v_mul_f64 v[103:104], v[97:98], v[103:104]
	s_waitcnt vmcnt(40)
	v_fma_f64 v[127:128], v[1:2], v[135:136], -v[127:128]
	v_fma_f64 v[105:106], v[3:4], v[135:136], v[105:106]
	ds_read_b128 v[1:4], v137 offset:1248
	v_add_f64 v[99:100], v[99:100], v[125:126]
	v_add_f64 v[101:102], v[101:102], v[107:108]
	s_waitcnt vmcnt(39) lgkmcnt(1)
	v_mul_f64 v[107:108], v[91:92], v[123:124]
	v_mul_f64 v[123:124], v[93:94], v[123:124]
	s_waitcnt vmcnt(37)
	v_fma_f64 v[103:104], v[95:96], v[113:114], -v[103:104]
	v_fma_f64 v[111:112], v[97:98], v[113:114], v[111:112]
	ds_read_b128 v[95:98], v137 offset:1264
	v_add_f64 v[99:100], v[99:100], v[127:128]
	v_add_f64 v[101:102], v[101:102], v[105:106]
	s_waitcnt vmcnt(33) lgkmcnt(1)
	v_mul_f64 v[105:106], v[1:2], v[109:110]
	v_mul_f64 v[109:110], v[3:4], v[109:110]
	s_waitcnt vmcnt(32)
	v_fma_f64 v[113:114], v[91:92], v[129:130], -v[123:124]
	v_add_f64 v[99:100], v[99:100], v[103:104]
	v_fma_f64 v[103:104], v[93:94], v[129:130], v[107:108]
	v_add_f64 v[101:102], v[101:102], v[111:112]
	ds_read_b128 v[91:94], v137 offset:1280
	s_waitcnt vmcnt(31) lgkmcnt(1)
	v_mul_f64 v[111:112], v[97:98], v[140:141]
	v_mul_f64 v[107:108], v[95:96], v[140:141]
	s_waitcnt vmcnt(29)
	v_fma_f64 v[105:106], v[3:4], v[119:120], v[105:106]
	v_fma_f64 v[109:110], v[1:2], v[119:120], -v[109:110]
	ds_read_b128 v[1:4], v137 offset:1296
	v_add_f64 v[99:100], v[99:100], v[113:114]
	v_add_f64 v[101:102], v[101:102], v[103:104]
	s_waitcnt vmcnt(25) lgkmcnt(1)
	v_mul_f64 v[113:114], v[93:94], v[115:116]
	s_waitcnt vmcnt(24)
	v_fma_f64 v[111:112], v[95:96], v[142:143], -v[111:112]
	v_mul_f64 v[103:104], v[91:92], v[115:116]
	v_fma_f64 v[107:108], v[97:98], v[142:143], v[107:108]
	ds_read_b128 v[95:98], v137 offset:1312
	v_add_f64 v[99:100], v[99:100], v[109:110]
	v_add_f64 v[101:102], v[101:102], v[105:106]
	s_waitcnt vmcnt(23) lgkmcnt(1)
	v_mul_f64 v[109:110], v[3:4], v[148:149]
	v_mul_f64 v[105:106], v[1:2], v[148:149]
	s_waitcnt vmcnt(21)
	v_fma_f64 v[113:114], v[91:92], v[117:118], -v[113:114]
	v_fma_f64 v[103:104], v[93:94], v[117:118], v[103:104]
	ds_read_b128 v[91:94], v137 offset:1328
	v_add_f64 v[99:100], v[99:100], v[111:112]
	v_add_f64 v[101:102], v[101:102], v[107:108]
	s_waitcnt vmcnt(17) lgkmcnt(1)
	v_mul_f64 v[111:112], v[97:98], v[121:122]
	s_waitcnt vmcnt(16)
	v_fma_f64 v[109:110], v[1:2], v[152:153], -v[109:110]
	v_mul_f64 v[107:108], v[95:96], v[121:122]
	v_fma_f64 v[105:106], v[3:4], v[152:153], v[105:106]
	ds_read_b128 v[1:4], v137 offset:1344
	v_add_f64 v[99:100], v[99:100], v[113:114]
	v_add_f64 v[101:102], v[101:102], v[103:104]
	s_waitcnt vmcnt(15) lgkmcnt(1)
	v_mul_f64 v[113:114], v[93:94], v[156:157]
	v_mul_f64 v[103:104], v[91:92], v[156:157]
	s_waitcnt vmcnt(13)
	v_fma_f64 v[111:112], v[95:96], v[138:139], -v[111:112]
	v_fma_f64 v[107:108], v[97:98], v[138:139], v[107:108]
	ds_read_b128 v[95:98], v137 offset:1360
	v_add_f64 v[99:100], v[99:100], v[109:110]
	v_add_f64 v[101:102], v[101:102], v[105:106]
	s_waitcnt vmcnt(9) lgkmcnt(1)
	v_mul_f64 v[109:110], v[3:4], v[144:145]
	s_waitcnt vmcnt(8)
	v_fma_f64 v[91:92], v[91:92], v[160:161], -v[113:114]
	v_mul_f64 v[105:106], v[1:2], v[144:145]
	v_fma_f64 v[93:94], v[93:94], v[160:161], v[103:104]
	v_add_f64 v[99:100], v[99:100], v[111:112]
	v_add_f64 v[101:102], v[101:102], v[107:108]
	s_waitcnt vmcnt(7) lgkmcnt(0)
	v_mul_f64 v[107:108], v[97:98], v[166:167]
	v_mul_f64 v[103:104], v[95:96], v[166:167]
	s_waitcnt vmcnt(5)
	v_fma_f64 v[1:2], v[1:2], v[150:151], -v[109:110]
	v_fma_f64 v[3:4], v[3:4], v[150:151], v[105:106]
	v_add_f64 v[91:92], v[99:100], v[91:92]
	v_add_f64 v[93:94], v[101:102], v[93:94]
	s_waitcnt vmcnt(4)
	v_fma_f64 v[95:96], v[95:96], v[170:171], -v[107:108]
	v_add_f64 v[1:2], v[91:92], v[1:2]
	v_fma_f64 v[91:92], v[97:98], v[170:171], v[103:104]
	v_add_f64 v[3:4], v[93:94], v[3:4]
	v_add_f64 v[1:2], v[1:2], v[95:96]
	v_add_f64 v[3:4], v[3:4], v[91:92]
	s_waitcnt vmcnt(2)
	v_add_f64 v[1:2], v[154:155], -v[1:2]
	s_waitcnt vmcnt(0)
	v_add_f64 v[3:4], v[158:159], -v[3:4]
	buffer_store_dword v2, off, s[0:3], 0 offset:164
	buffer_store_dword v1, off, s[0:3], 0 offset:160
	;; [unrolled: 1-line block ×4, first 2 shown]
	v_cmpx_lt_u32_e32 8, v0
	s_cbranch_execz .LBB106_255
; %bb.254:
	v_mov_b32_e32 v4, s47
	s_clause 0x3
	buffer_load_dword v1, v4, s[0:3], 0 offen
	buffer_load_dword v2, v4, s[0:3], 0 offen offset:4
	buffer_load_dword v3, v4, s[0:3], 0 offen offset:8
	;; [unrolled: 1-line block ×3, first 2 shown]
	buffer_store_dword v137, off, s[0:3], 0 offset:144
	buffer_store_dword v137, off, s[0:3], 0 offset:148
	buffer_store_dword v137, off, s[0:3], 0 offset:152
	buffer_store_dword v137, off, s[0:3], 0 offset:156
	s_waitcnt vmcnt(0)
	ds_write_b128 v147, v[1:4]
.LBB106_255:
	s_or_b32 exec_lo, exec_lo, s4
	s_waitcnt lgkmcnt(0)
	s_waitcnt_vscnt null, 0x0
	s_barrier
	buffer_gl0_inv
	s_clause 0x37
	buffer_load_dword v95, off, s[0:3], 0 offset:168
	buffer_load_dword v96, off, s[0:3], 0 offset:172
	;; [unrolled: 1-line block ×56, first 2 shown]
	ds_read_b128 v[138:141], v137 offset:832
	s_clause 0x2
	buffer_load_dword v159, off, s[0:3], 0 offset:396
	buffer_load_dword v161, off, s[0:3], 0 offset:372
	;; [unrolled: 1-line block ×3, first 2 shown]
	ds_read_b128 v[142:145], v137 offset:848
	s_clause 0x4
	buffer_load_dword v165, off, s[0:3], 0 offset:412
	buffer_load_dword v166, off, s[0:3], 0 offset:424
	;; [unrolled: 1-line block ×5, first 2 shown]
	ds_read_b128 v[148:151], v137 offset:864
	s_clause 0x2
	buffer_load_dword v167, off, s[0:3], 0 offset:428
	buffer_load_dword v172, off, s[0:3], 0 offset:404
	;; [unrolled: 1-line block ×3, first 2 shown]
	s_mov_b32 s4, exec_lo
	s_waitcnt vmcnt(62) lgkmcnt(2)
	v_mul_f64 v[162:163], v[140:141], v[95:96]
	v_mul_f64 v[95:96], v[138:139], v[95:96]
	s_waitcnt lgkmcnt(1)
	v_mul_f64 v[169:170], v[144:145], v[91:92]
	s_waitcnt vmcnt(59) lgkmcnt(0)
	v_mul_f64 v[173:174], v[150:151], v[3:4]
	v_fma_f64 v[138:139], v[138:139], v[93:94], -v[162:163]
	v_mul_f64 v[162:163], v[142:143], v[91:92]
	v_fma_f64 v[95:96], v[140:141], v[93:94], v[95:96]
	s_waitcnt vmcnt(57)
	v_fma_f64 v[142:143], v[142:143], v[1:2], -v[169:170]
	ds_read_b128 v[91:94], v137 offset:880
	v_mul_f64 v[140:141], v[148:149], v[3:4]
	s_waitcnt vmcnt(51)
	v_fma_f64 v[148:149], v[148:149], v[111:112], -v[173:174]
	v_add_f64 v[138:139], v[138:139], 0
	v_fma_f64 v[144:145], v[144:145], v[1:2], v[162:163]
	v_add_f64 v[95:96], v[95:96], 0
	s_clause 0x4
	buffer_load_dword v163, off, s[0:3], 0 offset:444
	buffer_load_dword v175, off, s[0:3], 0 offset:456
	;; [unrolled: 1-line block ×5, first 2 shown]
	s_waitcnt lgkmcnt(0)
	v_mul_f64 v[178:179], v[91:92], v[99:100]
	v_mul_f64 v[99:100], v[93:94], v[99:100]
	ds_read_b128 v[1:4], v137 offset:896
	v_fma_f64 v[111:112], v[150:151], v[111:112], v[140:141]
	v_add_f64 v[142:143], v[138:139], v[142:143]
	v_add_f64 v[95:96], v[95:96], v[144:145]
	s_clause 0x2
	buffer_load_dword v176, off, s[0:3], 0 offset:460
	buffer_load_dword v145, off, s[0:3], 0 offset:436
	;; [unrolled: 1-line block ×3, first 2 shown]
	s_waitcnt vmcnt(58) lgkmcnt(0)
	v_mul_f64 v[150:151], v[1:2], v[103:104]
	v_mul_f64 v[103:104], v[3:4], v[103:104]
	s_waitcnt vmcnt(56)
	v_fma_f64 v[99:100], v[91:92], v[105:106], -v[99:100]
	ds_read_b128 v[138:141], v137 offset:912
	v_fma_f64 v[105:106], v[93:94], v[105:106], v[178:179]
	v_add_f64 v[142:143], v[142:143], v[148:149]
	v_add_f64 v[95:96], v[95:96], v[111:112]
	s_clause 0x4
	buffer_load_dword v112, off, s[0:3], 0 offset:476
	buffer_load_dword v148, off, s[0:3], 0 offset:488
	;; [unrolled: 1-line block ×5, first 2 shown]
	ds_read_b128 v[91:94], v137 offset:928
	s_waitcnt vmcnt(57) lgkmcnt(1)
	v_mul_f64 v[179:180], v[138:139], v[107:108]
	v_mul_f64 v[107:108], v[140:141], v[107:108]
	s_waitcnt vmcnt(56)
	v_fma_f64 v[103:104], v[1:2], v[97:98], -v[103:104]
	v_fma_f64 v[97:98], v[3:4], v[97:98], v[150:151]
	v_add_f64 v[99:100], v[142:143], v[99:100]
	v_add_f64 v[95:96], v[95:96], v[105:106]
	s_clause 0x2
	buffer_load_dword v149, off, s[0:3], 0 offset:492
	buffer_load_dword v106, off, s[0:3], 0 offset:468
	;; [unrolled: 1-line block ×3, first 2 shown]
	s_waitcnt vmcnt(58) lgkmcnt(0)
	v_mul_f64 v[142:143], v[91:92], v[113:114]
	v_mul_f64 v[113:114], v[93:94], v[113:114]
	s_waitcnt vmcnt(56)
	v_fma_f64 v[107:108], v[138:139], v[115:116], -v[107:108]
	ds_read_b128 v[1:4], v137 offset:944
	v_add_f64 v[99:100], v[99:100], v[103:104]
	v_fma_f64 v[103:104], v[140:141], v[115:116], v[179:180]
	v_add_f64 v[115:116], v[95:96], v[97:98]
	s_clause 0x4
	buffer_load_dword v139, off, s[0:3], 0 offset:508
	buffer_load_dword v140, off, s[0:3], 0 offset:520
	;; [unrolled: 1-line block ×5, first 2 shown]
	ds_read_b128 v[95:98], v137 offset:960
	s_waitcnt vmcnt(57) lgkmcnt(1)
	v_mul_f64 v[179:180], v[1:2], v[117:118]
	v_mul_f64 v[117:118], v[3:4], v[117:118]
	s_waitcnt vmcnt(56)
	v_fma_f64 v[113:114], v[91:92], v[101:102], -v[113:114]
	v_fma_f64 v[101:102], v[93:94], v[101:102], v[142:143]
	v_add_f64 v[99:100], v[99:100], v[107:108]
	s_clause 0x2
	buffer_load_dword v141, off, s[0:3], 0 offset:524
	buffer_load_dword v108, off, s[0:3], 0 offset:500
	;; [unrolled: 1-line block ×3, first 2 shown]
	v_add_f64 v[103:104], v[115:116], v[103:104]
	s_waitcnt vmcnt(58) lgkmcnt(0)
	v_mul_f64 v[115:116], v[95:96], v[121:122]
	v_mul_f64 v[121:122], v[97:98], v[121:122]
	ds_read_b128 v[91:94], v137 offset:976
	s_waitcnt vmcnt(56)
	v_fma_f64 v[117:118], v[1:2], v[123:124], -v[117:118]
	v_add_f64 v[99:100], v[99:100], v[113:114]
	v_fma_f64 v[113:114], v[3:4], v[123:124], v[179:180]
	v_add_f64 v[101:102], v[103:104], v[101:102]
	s_clause 0x4
	buffer_load_dword v104, off, s[0:3], 0 offset:540
	buffer_load_dword v123, off, s[0:3], 0 offset:552
	;; [unrolled: 1-line block ×5, first 2 shown]
	s_waitcnt vmcnt(57) lgkmcnt(0)
	v_mul_f64 v[179:180], v[91:92], v[125:126]
	v_mul_f64 v[125:126], v[93:94], v[125:126]
	s_waitcnt vmcnt(56)
	v_fma_f64 v[121:122], v[95:96], v[109:110], -v[121:122]
	ds_read_b128 v[1:4], v137 offset:992
	v_fma_f64 v[109:110], v[97:98], v[109:110], v[115:116]
	v_add_f64 v[99:100], v[99:100], v[117:118]
	v_add_f64 v[101:102], v[101:102], v[113:114]
	s_clause 0x2
	buffer_load_dword v124, off, s[0:3], 0 offset:556
	buffer_load_dword v114, off, s[0:3], 0 offset:532
	;; [unrolled: 1-line block ×3, first 2 shown]
	ds_read_b128 v[95:98], v137 offset:1008
	s_waitcnt vmcnt(58) lgkmcnt(1)
	v_mul_f64 v[117:118], v[3:4], v[129:130]
	s_waitcnt vmcnt(56)
	v_fma_f64 v[125:126], v[91:92], v[131:132], -v[125:126]
	v_mul_f64 v[115:116], v[1:2], v[129:130]
	v_add_f64 v[99:100], v[99:100], v[121:122]
	v_fma_f64 v[121:122], v[93:94], v[131:132], v[179:180]
	v_add_f64 v[101:102], v[101:102], v[109:110]
	s_clause 0x4
	buffer_load_dword v110, off, s[0:3], 0 offset:572
	buffer_load_dword v129, off, s[0:3], 0 offset:584
	;; [unrolled: 1-line block ×5, first 2 shown]
	s_waitcnt vmcnt(57) lgkmcnt(0)
	v_mul_f64 v[179:180], v[95:96], v[133:134]
	v_mul_f64 v[132:133], v[97:98], v[133:134]
	s_waitcnt vmcnt(56)
	v_fma_f64 v[117:118], v[1:2], v[119:120], -v[117:118]
	ds_read_b128 v[91:94], v137 offset:1024
	v_fma_f64 v[115:116], v[3:4], v[119:120], v[115:116]
	s_clause 0x2
	buffer_load_dword v130, off, s[0:3], 0 offset:588
	buffer_load_dword v120, off, s[0:3], 0 offset:564
	;; [unrolled: 1-line block ×3, first 2 shown]
	ds_read_b128 v[1:4], v137 offset:1040
	v_add_f64 v[99:100], v[99:100], v[125:126]
	v_add_f64 v[101:102], v[101:102], v[121:122]
	s_waitcnt vmcnt(58) lgkmcnt(1)
	v_mul_f64 v[125:126], v[93:94], v[152:153]
	s_waitcnt vmcnt(56)
	v_fma_f64 v[133:134], v[95:96], v[154:155], -v[132:133]
	v_mul_f64 v[121:122], v[91:92], v[152:153]
	v_add_f64 v[99:100], v[99:100], v[117:118]
	v_fma_f64 v[117:118], v[97:98], v[154:155], v[179:180]
	v_add_f64 v[101:102], v[101:102], v[115:116]
	s_clause 0x4
	buffer_load_dword v116, off, s[0:3], 0 offset:604
	buffer_load_dword v152, off, s[0:3], 0 offset:616
	;; [unrolled: 1-line block ×5, first 2 shown]
	s_waitcnt vmcnt(57) lgkmcnt(0)
	v_mul_f64 v[179:180], v[1:2], v[156:157]
	v_mul_f64 v[155:156], v[3:4], v[156:157]
	s_waitcnt vmcnt(56)
	v_fma_f64 v[125:126], v[91:92], v[127:128], -v[125:126]
	ds_read_b128 v[95:98], v137 offset:1056
	v_fma_f64 v[121:122], v[93:94], v[127:128], v[121:122]
	v_add_f64 v[99:100], v[99:100], v[133:134]
	v_add_f64 v[101:102], v[101:102], v[117:118]
	s_clause 0x2
	buffer_load_dword v153, off, s[0:3], 0 offset:620
	buffer_load_dword v118, off, s[0:3], 0 offset:596
	;; [unrolled: 1-line block ×3, first 2 shown]
	ds_read_b128 v[91:94], v137 offset:1072
	s_waitcnt vmcnt(58) lgkmcnt(1)
	v_mul_f64 v[133:134], v[97:98], v[158:159]
	s_waitcnt vmcnt(56)
	v_fma_f64 v[156:157], v[1:2], v[160:161], -v[155:156]
	v_mul_f64 v[127:128], v[95:96], v[158:159]
	v_add_f64 v[99:100], v[99:100], v[125:126]
	v_fma_f64 v[125:126], v[3:4], v[160:161], v[179:180]
	v_add_f64 v[101:102], v[101:102], v[121:122]
	s_clause 0x4
	buffer_load_dword v122, off, s[0:3], 0 offset:636
	buffer_load_dword v158, off, s[0:3], 0 offset:648
	;; [unrolled: 1-line block ×5, first 2 shown]
	s_waitcnt vmcnt(57) lgkmcnt(0)
	v_mul_f64 v[179:180], v[91:92], v[164:165]
	v_mul_f64 v[164:165], v[93:94], v[164:165]
	s_waitcnt vmcnt(56)
	v_fma_f64 v[133:134], v[95:96], v[135:136], -v[133:134]
	ds_read_b128 v[1:4], v137 offset:1088
	v_fma_f64 v[127:128], v[97:98], v[135:136], v[127:128]
	v_add_f64 v[99:100], v[99:100], v[156:157]
	v_add_f64 v[101:102], v[101:102], v[125:126]
	s_clause 0x2
	buffer_load_dword v159, off, s[0:3], 0 offset:652
	buffer_load_dword v126, off, s[0:3], 0 offset:628
	;; [unrolled: 1-line block ×3, first 2 shown]
	ds_read_b128 v[95:98], v137 offset:1104
	s_waitcnt vmcnt(58) lgkmcnt(1)
	v_mul_f64 v[156:157], v[3:4], v[166:167]
	s_waitcnt vmcnt(56)
	v_fma_f64 v[164:165], v[91:92], v[171:172], -v[164:165]
	v_mul_f64 v[135:136], v[1:2], v[166:167]
	v_add_f64 v[99:100], v[99:100], v[133:134]
	v_fma_f64 v[133:134], v[93:94], v[171:172], v[179:180]
	v_add_f64 v[101:102], v[101:102], v[127:128]
	s_clause 0x4
	buffer_load_dword v128, off, s[0:3], 0 offset:668
	buffer_load_dword v166, off, s[0:3], 0 offset:680
	buffer_load_dword v170, off, s[0:3], 0 offset:672
	buffer_load_dword v127, off, s[0:3], 0 offset:664
	buffer_load_dword v161, off, s[0:3], 0 offset:644
	ds_read_b128 v[91:94], v137 offset:1120
	s_waitcnt vmcnt(57) lgkmcnt(1)
	v_mul_f64 v[171:172], v[95:96], v[162:163]
	v_mul_f64 v[162:163], v[97:98], v[162:163]
	s_waitcnt vmcnt(56)
	v_fma_f64 v[156:157], v[1:2], v[168:169], -v[156:157]
	v_fma_f64 v[135:136], v[3:4], v[168:169], v[135:136]
	v_add_f64 v[99:100], v[99:100], v[164:165]
	v_add_f64 v[101:102], v[101:102], v[133:134]
	s_clause 0x2
	buffer_load_dword v167, off, s[0:3], 0 offset:684
	buffer_load_dword v134, off, s[0:3], 0 offset:660
	;; [unrolled: 1-line block ×3, first 2 shown]
	ds_read_b128 v[1:4], v137 offset:1136
	s_waitcnt vmcnt(58) lgkmcnt(1)
	v_mul_f64 v[168:169], v[93:94], v[175:176]
	v_mul_f64 v[164:165], v[91:92], v[175:176]
	s_waitcnt vmcnt(56)
	v_fma_f64 v[162:163], v[95:96], v[144:145], -v[162:163]
	v_fma_f64 v[144:145], v[97:98], v[144:145], v[171:172]
	v_add_f64 v[99:100], v[99:100], v[156:157]
	v_add_f64 v[101:102], v[101:102], v[135:136]
	s_clause 0x2
	buffer_load_dword v136, off, s[0:3], 0 offset:700
	buffer_load_dword v135, off, s[0:3], 0 offset:696
	;; [unrolled: 1-line block ×3, first 2 shown]
	ds_read_b128 v[95:98], v137 offset:1152
	s_waitcnt vmcnt(55) lgkmcnt(1)
	v_mul_f64 v[156:157], v[1:2], v[111:112]
	v_mul_f64 v[111:112], v[3:4], v[111:112]
	s_waitcnt vmcnt(54)
	v_fma_f64 v[168:169], v[91:92], v[177:178], -v[168:169]
	v_add_f64 v[99:100], v[99:100], v[162:163]
	v_fma_f64 v[162:163], v[93:94], v[177:178], v[164:165]
	v_add_f64 v[101:102], v[101:102], v[144:145]
	s_clause 0x1
	buffer_load_dword v145, off, s[0:3], 0 offset:692
	buffer_load_dword v144, off, s[0:3], 0 offset:688
	ds_read_b128 v[91:94], v137 offset:1168
	s_waitcnt vmcnt(55) lgkmcnt(1)
	v_mul_f64 v[164:165], v[95:96], v[148:149]
	v_mul_f64 v[148:149], v[97:98], v[148:149]
	s_waitcnt vmcnt(53)
	v_fma_f64 v[111:112], v[1:2], v[105:106], -v[111:112]
	v_fma_f64 v[105:106], v[3:4], v[105:106], v[156:157]
	ds_read_b128 v[1:4], v137 offset:1184
	v_add_f64 v[99:100], v[99:100], v[168:169]
	v_add_f64 v[101:102], v[101:102], v[162:163]
	s_waitcnt vmcnt(49) lgkmcnt(1)
	v_mul_f64 v[156:157], v[91:92], v[138:139]
	v_mul_f64 v[138:139], v[93:94], v[138:139]
	s_waitcnt vmcnt(48)
	v_fma_f64 v[148:149], v[95:96], v[173:174], -v[148:149]
	v_add_f64 v[99:100], v[99:100], v[111:112]
	v_fma_f64 v[111:112], v[97:98], v[173:174], v[164:165]
	v_add_f64 v[101:102], v[101:102], v[105:106]
	s_clause 0x3
	buffer_load_dword v105, off, s[0:3], 0 offset:144
	buffer_load_dword v106, off, s[0:3], 0 offset:148
	;; [unrolled: 1-line block ×4, first 2 shown]
	ds_read_b128 v[95:98], v137 offset:1200
	s_waitcnt vmcnt(51) lgkmcnt(1)
	v_mul_f64 v[164:165], v[1:2], v[140:141]
	v_mul_f64 v[140:141], v[3:4], v[140:141]
	s_waitcnt vmcnt(49)
	v_fma_f64 v[138:139], v[91:92], v[107:108], -v[138:139]
	v_fma_f64 v[107:108], v[93:94], v[107:108], v[156:157]
	ds_read_b128 v[91:94], v137 offset:1216
	v_add_f64 v[99:100], v[99:100], v[148:149]
	v_add_f64 v[101:102], v[101:102], v[111:112]
	s_waitcnt vmcnt(45) lgkmcnt(1)
	v_mul_f64 v[111:112], v[95:96], v[103:104]
	v_mul_f64 v[103:104], v[97:98], v[103:104]
	s_waitcnt vmcnt(44)
	v_fma_f64 v[140:141], v[1:2], v[150:151], -v[140:141]
	v_add_f64 v[99:100], v[99:100], v[138:139]
	v_fma_f64 v[138:139], v[3:4], v[150:151], v[164:165]
	v_add_f64 v[101:102], v[101:102], v[107:108]
	ds_read_b128 v[1:4], v137 offset:1232
	s_waitcnt vmcnt(43) lgkmcnt(1)
	v_mul_f64 v[107:108], v[91:92], v[123:124]
	v_mul_f64 v[123:124], v[93:94], v[123:124]
	s_waitcnt vmcnt(41)
	v_fma_f64 v[103:104], v[95:96], v[113:114], -v[103:104]
	v_fma_f64 v[111:112], v[97:98], v[113:114], v[111:112]
	ds_read_b128 v[95:98], v137 offset:1248
	v_add_f64 v[99:100], v[99:100], v[140:141]
	v_add_f64 v[101:102], v[101:102], v[138:139]
	s_waitcnt vmcnt(37) lgkmcnt(1)
	v_mul_f64 v[113:114], v[1:2], v[109:110]
	v_mul_f64 v[109:110], v[3:4], v[109:110]
	s_waitcnt vmcnt(36)
	v_fma_f64 v[123:124], v[91:92], v[142:143], -v[123:124]
	v_add_f64 v[99:100], v[99:100], v[103:104]
	v_fma_f64 v[103:104], v[93:94], v[142:143], v[107:108]
	v_add_f64 v[101:102], v[101:102], v[111:112]
	s_waitcnt vmcnt(35) lgkmcnt(0)
	v_mul_f64 v[111:112], v[97:98], v[129:130]
	ds_read_b128 v[91:94], v137 offset:1264
	v_mul_f64 v[107:108], v[95:96], v[129:130]
	s_waitcnt vmcnt(33)
	v_fma_f64 v[113:114], v[3:4], v[119:120], v[113:114]
	v_fma_f64 v[109:110], v[1:2], v[119:120], -v[109:110]
	ds_read_b128 v[1:4], v137 offset:1280
	v_add_f64 v[99:100], v[99:100], v[123:124]
	v_add_f64 v[101:102], v[101:102], v[103:104]
	s_waitcnt vmcnt(29) lgkmcnt(1)
	v_mul_f64 v[103:104], v[91:92], v[115:116]
	v_mul_f64 v[115:116], v[93:94], v[115:116]
	s_waitcnt vmcnt(28)
	v_fma_f64 v[111:112], v[95:96], v[131:132], -v[111:112]
	v_fma_f64 v[107:108], v[97:98], v[131:132], v[107:108]
	ds_read_b128 v[95:98], v137 offset:1296
	v_add_f64 v[99:100], v[99:100], v[109:110]
	v_add_f64 v[101:102], v[101:102], v[113:114]
	s_waitcnt vmcnt(27) lgkmcnt(1)
	v_mul_f64 v[113:114], v[3:4], v[152:153]
	v_mul_f64 v[109:110], v[1:2], v[152:153]
	s_waitcnt vmcnt(25)
	v_fma_f64 v[115:116], v[91:92], v[117:118], -v[115:116]
	v_fma_f64 v[103:104], v[93:94], v[117:118], v[103:104]
	ds_read_b128 v[91:94], v137 offset:1312
	v_add_f64 v[99:100], v[99:100], v[111:112]
	v_add_f64 v[101:102], v[101:102], v[107:108]
	s_waitcnt vmcnt(21) lgkmcnt(1)
	v_mul_f64 v[111:112], v[97:98], v[121:122]
	s_waitcnt vmcnt(20)
	v_fma_f64 v[113:114], v[1:2], v[154:155], -v[113:114]
	v_mul_f64 v[107:108], v[95:96], v[121:122]
	v_fma_f64 v[109:110], v[3:4], v[154:155], v[109:110]
	ds_read_b128 v[1:4], v137 offset:1328
	v_add_f64 v[99:100], v[99:100], v[115:116]
	v_add_f64 v[101:102], v[101:102], v[103:104]
	s_waitcnt vmcnt(19) lgkmcnt(1)
	v_mul_f64 v[115:116], v[93:94], v[158:159]
	v_mul_f64 v[103:104], v[91:92], v[158:159]
	s_waitcnt vmcnt(17)
	v_fma_f64 v[111:112], v[95:96], v[125:126], -v[111:112]
	v_fma_f64 v[107:108], v[97:98], v[125:126], v[107:108]
	ds_read_b128 v[95:98], v137 offset:1344
	v_add_f64 v[99:100], v[99:100], v[113:114]
	v_add_f64 v[101:102], v[101:102], v[109:110]
	s_waitcnt vmcnt(13) lgkmcnt(1)
	v_mul_f64 v[113:114], v[3:4], v[127:128]
	s_waitcnt vmcnt(12)
	v_fma_f64 v[115:116], v[91:92], v[160:161], -v[115:116]
	v_mul_f64 v[109:110], v[1:2], v[127:128]
	v_fma_f64 v[103:104], v[93:94], v[160:161], v[103:104]
	ds_read_b128 v[91:94], v137 offset:1360
	v_add_f64 v[99:100], v[99:100], v[111:112]
	v_add_f64 v[101:102], v[101:102], v[107:108]
	s_waitcnt vmcnt(11) lgkmcnt(1)
	v_mul_f64 v[111:112], v[97:98], v[166:167]
	v_mul_f64 v[107:108], v[95:96], v[166:167]
	s_waitcnt vmcnt(9)
	v_fma_f64 v[1:2], v[1:2], v[133:134], -v[113:114]
	v_fma_f64 v[3:4], v[3:4], v[133:134], v[109:110]
	v_add_f64 v[99:100], v[99:100], v[115:116]
	v_add_f64 v[101:102], v[101:102], v[103:104]
	s_waitcnt vmcnt(7) lgkmcnt(0)
	v_mul_f64 v[109:110], v[93:94], v[135:136]
	s_waitcnt vmcnt(6)
	v_fma_f64 v[95:96], v[95:96], v[170:171], -v[111:112]
	v_mul_f64 v[103:104], v[91:92], v[135:136]
	v_fma_f64 v[97:98], v[97:98], v[170:171], v[107:108]
	v_add_f64 v[1:2], v[99:100], v[1:2]
	v_add_f64 v[3:4], v[101:102], v[3:4]
	s_waitcnt vmcnt(4)
	v_fma_f64 v[91:92], v[91:92], v[144:145], -v[109:110]
	v_fma_f64 v[93:94], v[93:94], v[144:145], v[103:104]
	v_add_f64 v[1:2], v[1:2], v[95:96]
	v_add_f64 v[3:4], v[3:4], v[97:98]
	;; [unrolled: 1-line block ×4, first 2 shown]
	s_waitcnt vmcnt(2)
	v_add_f64 v[1:2], v[105:106], -v[1:2]
	s_waitcnt vmcnt(0)
	v_add_f64 v[3:4], v[162:163], -v[3:4]
	buffer_store_dword v2, off, s[0:3], 0 offset:148
	buffer_store_dword v1, off, s[0:3], 0 offset:144
	buffer_store_dword v4, off, s[0:3], 0 offset:156
	buffer_store_dword v3, off, s[0:3], 0 offset:152
	v_cmpx_lt_u32_e32 7, v0
	s_cbranch_execz .LBB106_257
; %bb.256:
	v_mov_b32_e32 v4, s48
	v_mov_b32_e32 v91, 0
	s_clause 0x3
	buffer_load_dword v1, v4, s[0:3], 0 offen
	buffer_load_dword v2, v4, s[0:3], 0 offen offset:4
	buffer_load_dword v3, v4, s[0:3], 0 offen offset:8
	;; [unrolled: 1-line block ×3, first 2 shown]
	buffer_store_dword v91, off, s[0:3], 0 offset:128
	buffer_store_dword v91, off, s[0:3], 0 offset:132
	;; [unrolled: 1-line block ×4, first 2 shown]
	s_waitcnt vmcnt(0)
	ds_write_b128 v147, v[1:4]
.LBB106_257:
	s_or_b32 exec_lo, exec_lo, s4
	s_waitcnt lgkmcnt(0)
	s_waitcnt_vscnt null, 0x0
	s_barrier
	buffer_gl0_inv
	s_clause 0x37
	buffer_load_dword v95, off, s[0:3], 0 offset:152
	buffer_load_dword v96, off, s[0:3], 0 offset:156
	;; [unrolled: 1-line block ×56, first 2 shown]
	v_mov_b32_e32 v148, 0
	s_mov_b32 s4, exec_lo
	ds_read_b128 v[149:152], v148 offset:816
	s_clause 0x2
	buffer_load_dword v144, off, s[0:3], 0 offset:380
	buffer_load_dword v146, off, s[0:3], 0 offset:356
	;; [unrolled: 1-line block ×3, first 2 shown]
	ds_read_b128 v[153:156], v148 offset:832
	s_clause 0x4
	buffer_load_dword v164, off, s[0:3], 0 offset:396
	buffer_load_dword v165, off, s[0:3], 0 offset:408
	;; [unrolled: 1-line block ×5, first 2 shown]
	ds_read_b128 v[157:160], v148 offset:848
	s_clause 0x2
	buffer_load_dword v166, off, s[0:3], 0 offset:412
	buffer_load_dword v171, off, s[0:3], 0 offset:388
	;; [unrolled: 1-line block ×3, first 2 shown]
	s_waitcnt vmcnt(62) lgkmcnt(2)
	v_mul_f64 v[161:162], v[151:152], v[95:96]
	v_mul_f64 v[95:96], v[149:150], v[95:96]
	s_waitcnt lgkmcnt(1)
	v_mul_f64 v[168:169], v[155:156], v[91:92]
	s_waitcnt vmcnt(59) lgkmcnt(0)
	v_mul_f64 v[172:173], v[159:160], v[3:4]
	v_fma_f64 v[149:150], v[149:150], v[93:94], -v[161:162]
	v_mul_f64 v[161:162], v[153:154], v[91:92]
	v_fma_f64 v[95:96], v[151:152], v[93:94], v[95:96]
	s_waitcnt vmcnt(57)
	v_fma_f64 v[153:154], v[153:154], v[1:2], -v[168:169]
	ds_read_b128 v[91:94], v148 offset:864
	v_mul_f64 v[151:152], v[157:158], v[3:4]
	s_waitcnt vmcnt(51)
	v_fma_f64 v[157:158], v[157:158], v[111:112], -v[172:173]
	v_add_f64 v[149:150], v[149:150], 0
	v_fma_f64 v[155:156], v[155:156], v[1:2], v[161:162]
	v_add_f64 v[95:96], v[95:96], 0
	s_clause 0x4
	buffer_load_dword v162, off, s[0:3], 0 offset:428
	buffer_load_dword v174, off, s[0:3], 0 offset:440
	;; [unrolled: 1-line block ×5, first 2 shown]
	s_waitcnt lgkmcnt(0)
	v_mul_f64 v[177:178], v[91:92], v[99:100]
	v_mul_f64 v[99:100], v[93:94], v[99:100]
	ds_read_b128 v[1:4], v148 offset:880
	v_fma_f64 v[111:112], v[159:160], v[111:112], v[151:152]
	v_add_f64 v[153:154], v[149:150], v[153:154]
	v_add_f64 v[95:96], v[95:96], v[155:156]
	s_clause 0x2
	buffer_load_dword v175, off, s[0:3], 0 offset:444
	buffer_load_dword v156, off, s[0:3], 0 offset:420
	;; [unrolled: 1-line block ×3, first 2 shown]
	s_waitcnt vmcnt(58) lgkmcnt(0)
	v_mul_f64 v[159:160], v[1:2], v[103:104]
	v_mul_f64 v[103:104], v[3:4], v[103:104]
	s_waitcnt vmcnt(56)
	v_fma_f64 v[99:100], v[91:92], v[105:106], -v[99:100]
	ds_read_b128 v[149:152], v148 offset:896
	v_fma_f64 v[105:106], v[93:94], v[105:106], v[177:178]
	v_add_f64 v[153:154], v[153:154], v[157:158]
	v_add_f64 v[95:96], v[95:96], v[111:112]
	s_clause 0x4
	buffer_load_dword v112, off, s[0:3], 0 offset:460
	buffer_load_dword v157, off, s[0:3], 0 offset:472
	buffer_load_dword v172, off, s[0:3], 0 offset:464
	buffer_load_dword v111, off, s[0:3], 0 offset:456
	buffer_load_dword v177, off, s[0:3], 0 offset:436
	ds_read_b128 v[91:94], v148 offset:912
	s_waitcnt vmcnt(57) lgkmcnt(1)
	v_mul_f64 v[178:179], v[149:150], v[107:108]
	v_mul_f64 v[107:108], v[151:152], v[107:108]
	s_waitcnt vmcnt(56)
	v_fma_f64 v[103:104], v[1:2], v[97:98], -v[103:104]
	v_fma_f64 v[97:98], v[3:4], v[97:98], v[159:160]
	v_add_f64 v[99:100], v[153:154], v[99:100]
	v_add_f64 v[95:96], v[95:96], v[105:106]
	s_clause 0x2
	buffer_load_dword v158, off, s[0:3], 0 offset:476
	buffer_load_dword v106, off, s[0:3], 0 offset:452
	;; [unrolled: 1-line block ×3, first 2 shown]
	s_waitcnt vmcnt(58) lgkmcnt(0)
	v_mul_f64 v[153:154], v[91:92], v[113:114]
	v_mul_f64 v[113:114], v[93:94], v[113:114]
	s_waitcnt vmcnt(56)
	v_fma_f64 v[107:108], v[149:150], v[115:116], -v[107:108]
	ds_read_b128 v[1:4], v148 offset:928
	v_add_f64 v[99:100], v[99:100], v[103:104]
	v_fma_f64 v[103:104], v[151:152], v[115:116], v[178:179]
	v_add_f64 v[115:116], v[95:96], v[97:98]
	s_clause 0x4
	buffer_load_dword v150, off, s[0:3], 0 offset:492
	buffer_load_dword v151, off, s[0:3], 0 offset:504
	;; [unrolled: 1-line block ×5, first 2 shown]
	ds_read_b128 v[95:98], v148 offset:944
	s_waitcnt vmcnt(57) lgkmcnt(1)
	v_mul_f64 v[178:179], v[1:2], v[117:118]
	v_mul_f64 v[117:118], v[3:4], v[117:118]
	s_waitcnt vmcnt(56)
	v_fma_f64 v[113:114], v[91:92], v[101:102], -v[113:114]
	v_fma_f64 v[101:102], v[93:94], v[101:102], v[153:154]
	v_add_f64 v[99:100], v[99:100], v[107:108]
	s_clause 0x2
	buffer_load_dword v152, off, s[0:3], 0 offset:508
	buffer_load_dword v108, off, s[0:3], 0 offset:484
	buffer_load_dword v107, off, s[0:3], 0 offset:480
	v_add_f64 v[103:104], v[115:116], v[103:104]
	s_waitcnt vmcnt(58) lgkmcnt(0)
	v_mul_f64 v[115:116], v[95:96], v[121:122]
	v_mul_f64 v[121:122], v[97:98], v[121:122]
	ds_read_b128 v[91:94], v148 offset:960
	s_waitcnt vmcnt(56)
	v_fma_f64 v[117:118], v[1:2], v[123:124], -v[117:118]
	v_add_f64 v[99:100], v[99:100], v[113:114]
	v_fma_f64 v[113:114], v[3:4], v[123:124], v[178:179]
	v_add_f64 v[101:102], v[103:104], v[101:102]
	s_clause 0x4
	buffer_load_dword v104, off, s[0:3], 0 offset:524
	buffer_load_dword v123, off, s[0:3], 0 offset:536
	;; [unrolled: 1-line block ×5, first 2 shown]
	s_waitcnt vmcnt(57) lgkmcnt(0)
	v_mul_f64 v[178:179], v[91:92], v[125:126]
	v_mul_f64 v[125:126], v[93:94], v[125:126]
	s_waitcnt vmcnt(56)
	v_fma_f64 v[121:122], v[95:96], v[109:110], -v[121:122]
	ds_read_b128 v[1:4], v148 offset:976
	v_fma_f64 v[109:110], v[97:98], v[109:110], v[115:116]
	v_add_f64 v[99:100], v[99:100], v[117:118]
	v_add_f64 v[101:102], v[101:102], v[113:114]
	s_clause 0x2
	buffer_load_dword v124, off, s[0:3], 0 offset:540
	buffer_load_dword v114, off, s[0:3], 0 offset:516
	;; [unrolled: 1-line block ×3, first 2 shown]
	ds_read_b128 v[95:98], v148 offset:992
	s_waitcnt vmcnt(58) lgkmcnt(1)
	v_mul_f64 v[117:118], v[3:4], v[129:130]
	s_waitcnt vmcnt(56)
	v_fma_f64 v[125:126], v[91:92], v[131:132], -v[125:126]
	v_mul_f64 v[115:116], v[1:2], v[129:130]
	v_add_f64 v[99:100], v[99:100], v[121:122]
	v_fma_f64 v[121:122], v[93:94], v[131:132], v[178:179]
	v_add_f64 v[101:102], v[101:102], v[109:110]
	s_clause 0x4
	buffer_load_dword v110, off, s[0:3], 0 offset:556
	buffer_load_dword v129, off, s[0:3], 0 offset:568
	;; [unrolled: 1-line block ×5, first 2 shown]
	s_waitcnt vmcnt(57) lgkmcnt(0)
	v_mul_f64 v[178:179], v[95:96], v[133:134]
	v_mul_f64 v[132:133], v[97:98], v[133:134]
	s_waitcnt vmcnt(56)
	v_fma_f64 v[117:118], v[1:2], v[119:120], -v[117:118]
	ds_read_b128 v[91:94], v148 offset:1008
	v_fma_f64 v[115:116], v[3:4], v[119:120], v[115:116]
	s_clause 0x2
	buffer_load_dword v130, off, s[0:3], 0 offset:572
	buffer_load_dword v120, off, s[0:3], 0 offset:548
	buffer_load_dword v119, off, s[0:3], 0 offset:544
	ds_read_b128 v[1:4], v148 offset:1024
	v_add_f64 v[99:100], v[99:100], v[125:126]
	v_add_f64 v[101:102], v[101:102], v[121:122]
	s_waitcnt vmcnt(58) lgkmcnt(1)
	v_mul_f64 v[125:126], v[93:94], v[137:138]
	s_waitcnt vmcnt(56)
	v_fma_f64 v[133:134], v[95:96], v[139:140], -v[132:133]
	v_mul_f64 v[121:122], v[91:92], v[137:138]
	v_add_f64 v[99:100], v[99:100], v[117:118]
	v_fma_f64 v[117:118], v[97:98], v[139:140], v[178:179]
	v_add_f64 v[101:102], v[101:102], v[115:116]
	s_clause 0x4
	buffer_load_dword v116, off, s[0:3], 0 offset:588
	buffer_load_dword v137, off, s[0:3], 0 offset:600
	;; [unrolled: 1-line block ×5, first 2 shown]
	s_waitcnt vmcnt(57) lgkmcnt(0)
	v_mul_f64 v[178:179], v[1:2], v[141:142]
	v_mul_f64 v[140:141], v[3:4], v[141:142]
	s_waitcnt vmcnt(56)
	v_fma_f64 v[125:126], v[91:92], v[127:128], -v[125:126]
	ds_read_b128 v[95:98], v148 offset:1040
	v_fma_f64 v[121:122], v[93:94], v[127:128], v[121:122]
	v_add_f64 v[99:100], v[99:100], v[133:134]
	v_add_f64 v[101:102], v[101:102], v[117:118]
	s_clause 0x2
	buffer_load_dword v138, off, s[0:3], 0 offset:604
	buffer_load_dword v118, off, s[0:3], 0 offset:580
	;; [unrolled: 1-line block ×3, first 2 shown]
	ds_read_b128 v[91:94], v148 offset:1056
	s_waitcnt vmcnt(58) lgkmcnt(1)
	v_mul_f64 v[133:134], v[97:98], v[143:144]
	s_waitcnt vmcnt(56)
	v_fma_f64 v[141:142], v[1:2], v[145:146], -v[140:141]
	v_mul_f64 v[127:128], v[95:96], v[143:144]
	v_add_f64 v[99:100], v[99:100], v[125:126]
	v_fma_f64 v[125:126], v[3:4], v[145:146], v[178:179]
	v_add_f64 v[101:102], v[101:102], v[121:122]
	s_clause 0x4
	buffer_load_dword v122, off, s[0:3], 0 offset:620
	buffer_load_dword v143, off, s[0:3], 0 offset:632
	;; [unrolled: 1-line block ×5, first 2 shown]
	s_waitcnt vmcnt(57) lgkmcnt(0)
	v_mul_f64 v[178:179], v[91:92], v[163:164]
	v_mul_f64 v[163:164], v[93:94], v[163:164]
	s_waitcnt vmcnt(56)
	v_fma_f64 v[133:134], v[95:96], v[135:136], -v[133:134]
	ds_read_b128 v[1:4], v148 offset:1072
	v_fma_f64 v[127:128], v[97:98], v[135:136], v[127:128]
	v_add_f64 v[99:100], v[99:100], v[141:142]
	v_add_f64 v[101:102], v[101:102], v[125:126]
	s_clause 0x2
	buffer_load_dword v144, off, s[0:3], 0 offset:636
	buffer_load_dword v126, off, s[0:3], 0 offset:612
	;; [unrolled: 1-line block ×3, first 2 shown]
	ds_read_b128 v[95:98], v148 offset:1088
	s_waitcnt vmcnt(58) lgkmcnt(1)
	v_mul_f64 v[141:142], v[3:4], v[165:166]
	s_waitcnt vmcnt(56)
	v_fma_f64 v[163:164], v[91:92], v[170:171], -v[163:164]
	v_mul_f64 v[135:136], v[1:2], v[165:166]
	v_add_f64 v[99:100], v[99:100], v[133:134]
	v_fma_f64 v[133:134], v[93:94], v[170:171], v[178:179]
	v_add_f64 v[101:102], v[101:102], v[127:128]
	s_clause 0x4
	buffer_load_dword v128, off, s[0:3], 0 offset:652
	buffer_load_dword v165, off, s[0:3], 0 offset:664
	;; [unrolled: 1-line block ×5, first 2 shown]
	ds_read_b128 v[91:94], v148 offset:1104
	s_waitcnt vmcnt(57) lgkmcnt(1)
	v_mul_f64 v[170:171], v[95:96], v[161:162]
	v_mul_f64 v[161:162], v[97:98], v[161:162]
	s_waitcnt vmcnt(56)
	v_fma_f64 v[141:142], v[1:2], v[167:168], -v[141:142]
	v_fma_f64 v[135:136], v[3:4], v[167:168], v[135:136]
	v_add_f64 v[99:100], v[99:100], v[163:164]
	v_add_f64 v[101:102], v[101:102], v[133:134]
	s_clause 0x2
	buffer_load_dword v166, off, s[0:3], 0 offset:668
	buffer_load_dword v134, off, s[0:3], 0 offset:644
	;; [unrolled: 1-line block ×3, first 2 shown]
	ds_read_b128 v[1:4], v148 offset:1120
	s_waitcnt vmcnt(58) lgkmcnt(1)
	v_mul_f64 v[167:168], v[93:94], v[174:175]
	v_mul_f64 v[163:164], v[91:92], v[174:175]
	s_waitcnt vmcnt(56)
	v_fma_f64 v[161:162], v[95:96], v[155:156], -v[161:162]
	v_add_f64 v[99:100], v[99:100], v[141:142]
	v_fma_f64 v[141:142], v[97:98], v[155:156], v[170:171]
	v_add_f64 v[101:102], v[101:102], v[135:136]
	s_clause 0x4
	buffer_load_dword v136, off, s[0:3], 0 offset:684
	buffer_load_dword v155, off, s[0:3], 0 offset:696
	;; [unrolled: 1-line block ×5, first 2 shown]
	ds_read_b128 v[95:98], v148 offset:1136
	s_waitcnt vmcnt(57) lgkmcnt(1)
	v_mul_f64 v[178:179], v[1:2], v[111:112]
	v_mul_f64 v[111:112], v[3:4], v[111:112]
	s_waitcnt vmcnt(56)
	v_fma_f64 v[167:168], v[91:92], v[176:177], -v[167:168]
	v_add_f64 v[99:100], v[99:100], v[161:162]
	v_fma_f64 v[161:162], v[93:94], v[176:177], v[163:164]
	v_add_f64 v[101:102], v[101:102], v[141:142]
	s_clause 0x2
	buffer_load_dword v156, off, s[0:3], 0 offset:700
	buffer_load_dword v142, off, s[0:3], 0 offset:676
	;; [unrolled: 1-line block ×3, first 2 shown]
	ds_read_b128 v[91:94], v148 offset:1152
	buffer_load_dword v175, off, s[0:3], 0 offset:692
	s_waitcnt vmcnt(59) lgkmcnt(1)
	v_mul_f64 v[163:164], v[95:96], v[157:158]
	v_mul_f64 v[157:158], v[97:98], v[157:158]
	s_waitcnt vmcnt(57)
	v_fma_f64 v[111:112], v[1:2], v[105:106], -v[111:112]
	v_fma_f64 v[105:106], v[3:4], v[105:106], v[178:179]
	ds_read_b128 v[1:4], v148 offset:1168
	v_add_f64 v[99:100], v[99:100], v[167:168]
	v_add_f64 v[101:102], v[101:102], v[161:162]
	s_waitcnt vmcnt(53) lgkmcnt(1)
	v_mul_f64 v[161:162], v[91:92], v[149:150]
	v_mul_f64 v[149:150], v[93:94], v[149:150]
	s_waitcnt vmcnt(52)
	v_fma_f64 v[157:158], v[95:96], v[172:173], -v[157:158]
	v_add_f64 v[99:100], v[99:100], v[111:112]
	v_fma_f64 v[111:112], v[97:98], v[172:173], v[163:164]
	v_add_f64 v[101:102], v[101:102], v[105:106]
	ds_read_b128 v[95:98], v148 offset:1184
	s_waitcnt vmcnt(51) lgkmcnt(1)
	v_mul_f64 v[105:106], v[1:2], v[151:152]
	v_mul_f64 v[151:152], v[3:4], v[151:152]
	s_waitcnt vmcnt(49)
	v_fma_f64 v[149:150], v[91:92], v[107:108], -v[149:150]
	v_fma_f64 v[107:108], v[93:94], v[107:108], v[161:162]
	v_add_f64 v[99:100], v[99:100], v[157:158]
	v_add_f64 v[101:102], v[101:102], v[111:112]
	s_clause 0x3
	buffer_load_dword v111, off, s[0:3], 0 offset:128
	buffer_load_dword v112, off, s[0:3], 0 offset:132
	;; [unrolled: 1-line block ×4, first 2 shown]
	ds_read_b128 v[91:94], v148 offset:1200
	s_waitcnt vmcnt(49) lgkmcnt(1)
	v_mul_f64 v[161:162], v[95:96], v[103:104]
	v_mul_f64 v[103:104], v[97:98], v[103:104]
	s_waitcnt vmcnt(48)
	v_fma_f64 v[151:152], v[1:2], v[159:160], -v[151:152]
	v_fma_f64 v[105:106], v[3:4], v[159:160], v[105:106]
	ds_read_b128 v[1:4], v148 offset:1216
	v_add_f64 v[99:100], v[99:100], v[149:150]
	v_add_f64 v[101:102], v[101:102], v[107:108]
	s_waitcnt vmcnt(47) lgkmcnt(1)
	v_mul_f64 v[107:108], v[91:92], v[123:124]
	v_mul_f64 v[123:124], v[93:94], v[123:124]
	s_waitcnt vmcnt(45)
	v_fma_f64 v[103:104], v[95:96], v[113:114], -v[103:104]
	v_fma_f64 v[113:114], v[97:98], v[113:114], v[161:162]
	ds_read_b128 v[95:98], v148 offset:1232
	v_add_f64 v[99:100], v[99:100], v[151:152]
	v_add_f64 v[101:102], v[101:102], v[105:106]
	s_waitcnt vmcnt(41) lgkmcnt(1)
	v_mul_f64 v[105:106], v[1:2], v[109:110]
	v_mul_f64 v[109:110], v[3:4], v[109:110]
	s_waitcnt vmcnt(40)
	v_fma_f64 v[123:124], v[91:92], v[153:154], -v[123:124]
	v_add_f64 v[99:100], v[99:100], v[103:104]
	v_fma_f64 v[103:104], v[93:94], v[153:154], v[107:108]
	v_add_f64 v[101:102], v[101:102], v[113:114]
	ds_read_b128 v[91:94], v148 offset:1248
	s_waitcnt vmcnt(39) lgkmcnt(1)
	v_mul_f64 v[113:114], v[97:98], v[129:130]
	v_mul_f64 v[107:108], v[95:96], v[129:130]
	s_waitcnt vmcnt(37)
	v_fma_f64 v[105:106], v[3:4], v[119:120], v[105:106]
	v_fma_f64 v[109:110], v[1:2], v[119:120], -v[109:110]
	ds_read_b128 v[1:4], v148 offset:1264
	v_add_f64 v[99:100], v[99:100], v[123:124]
	v_add_f64 v[101:102], v[101:102], v[103:104]
	s_waitcnt vmcnt(33) lgkmcnt(1)
	v_mul_f64 v[103:104], v[91:92], v[115:116]
	v_mul_f64 v[115:116], v[93:94], v[115:116]
	s_waitcnt vmcnt(32)
	v_fma_f64 v[113:114], v[95:96], v[131:132], -v[113:114]
	v_fma_f64 v[107:108], v[97:98], v[131:132], v[107:108]
	ds_read_b128 v[95:98], v148 offset:1280
	v_add_f64 v[99:100], v[99:100], v[109:110]
	v_add_f64 v[101:102], v[101:102], v[105:106]
	s_waitcnt vmcnt(31) lgkmcnt(1)
	v_mul_f64 v[109:110], v[3:4], v[137:138]
	v_mul_f64 v[105:106], v[1:2], v[137:138]
	s_waitcnt vmcnt(29)
	v_fma_f64 v[115:116], v[91:92], v[117:118], -v[115:116]
	v_fma_f64 v[103:104], v[93:94], v[117:118], v[103:104]
	ds_read_b128 v[91:94], v148 offset:1296
	v_add_f64 v[99:100], v[99:100], v[113:114]
	v_add_f64 v[101:102], v[101:102], v[107:108]
	s_waitcnt vmcnt(25) lgkmcnt(1)
	v_mul_f64 v[113:114], v[97:98], v[121:122]
	s_waitcnt vmcnt(24)
	v_fma_f64 v[109:110], v[1:2], v[139:140], -v[109:110]
	v_mul_f64 v[107:108], v[95:96], v[121:122]
	v_fma_f64 v[105:106], v[3:4], v[139:140], v[105:106]
	ds_read_b128 v[1:4], v148 offset:1312
	v_add_f64 v[99:100], v[99:100], v[115:116]
	v_add_f64 v[101:102], v[101:102], v[103:104]
	s_waitcnt vmcnt(23) lgkmcnt(1)
	v_mul_f64 v[115:116], v[93:94], v[143:144]
	v_mul_f64 v[103:104], v[91:92], v[143:144]
	s_waitcnt vmcnt(21)
	v_fma_f64 v[113:114], v[95:96], v[125:126], -v[113:114]
	v_fma_f64 v[107:108], v[97:98], v[125:126], v[107:108]
	ds_read_b128 v[95:98], v148 offset:1328
	v_add_f64 v[99:100], v[99:100], v[109:110]
	v_add_f64 v[101:102], v[101:102], v[105:106]
	s_waitcnt vmcnt(17) lgkmcnt(1)
	v_mul_f64 v[109:110], v[3:4], v[127:128]
	s_waitcnt vmcnt(16)
	v_fma_f64 v[115:116], v[91:92], v[145:146], -v[115:116]
	v_mul_f64 v[105:106], v[1:2], v[127:128]
	;; [unrolled: 18-line block ×3, first 2 shown]
	v_fma_f64 v[97:98], v[97:98], v[169:170], v[107:108]
	v_add_f64 v[99:100], v[99:100], v[109:110]
	v_add_f64 v[101:102], v[101:102], v[105:106]
	s_waitcnt vmcnt(7) lgkmcnt(0)
	v_mul_f64 v[107:108], v[3:4], v[155:156]
	v_mul_f64 v[105:106], v[1:2], v[155:156]
	s_waitcnt vmcnt(5)
	v_fma_f64 v[91:92], v[91:92], v[141:142], -v[115:116]
	v_fma_f64 v[93:94], v[93:94], v[141:142], v[103:104]
	v_add_f64 v[95:96], v[99:100], v[95:96]
	v_add_f64 v[97:98], v[101:102], v[97:98]
	s_waitcnt vmcnt(4)
	v_fma_f64 v[1:2], v[1:2], v[174:175], -v[107:108]
	v_fma_f64 v[3:4], v[3:4], v[174:175], v[105:106]
	v_add_f64 v[91:92], v[95:96], v[91:92]
	v_add_f64 v[93:94], v[97:98], v[93:94]
	;; [unrolled: 1-line block ×4, first 2 shown]
	s_waitcnt vmcnt(2)
	v_add_f64 v[1:2], v[111:112], -v[1:2]
	s_waitcnt vmcnt(0)
	v_add_f64 v[3:4], v[157:158], -v[3:4]
	buffer_store_dword v2, off, s[0:3], 0 offset:132
	buffer_store_dword v1, off, s[0:3], 0 offset:128
	;; [unrolled: 1-line block ×4, first 2 shown]
	v_cmpx_lt_u32_e32 6, v0
	s_cbranch_execz .LBB106_259
; %bb.258:
	v_mov_b32_e32 v4, s49
	s_clause 0x3
	buffer_load_dword v1, v4, s[0:3], 0 offen
	buffer_load_dword v2, v4, s[0:3], 0 offen offset:4
	buffer_load_dword v3, v4, s[0:3], 0 offen offset:8
	;; [unrolled: 1-line block ×3, first 2 shown]
	buffer_store_dword v148, off, s[0:3], 0 offset:112
	buffer_store_dword v148, off, s[0:3], 0 offset:116
	buffer_store_dword v148, off, s[0:3], 0 offset:120
	buffer_store_dword v148, off, s[0:3], 0 offset:124
	s_waitcnt vmcnt(0)
	ds_write_b128 v147, v[1:4]
.LBB106_259:
	s_or_b32 exec_lo, exec_lo, s4
	s_waitcnt lgkmcnt(0)
	s_waitcnt_vscnt null, 0x0
	s_barrier
	buffer_gl0_inv
	s_clause 0x37
	buffer_load_dword v95, off, s[0:3], 0 offset:136
	buffer_load_dword v96, off, s[0:3], 0 offset:140
	;; [unrolled: 1-line block ×56, first 2 shown]
	ds_read_b128 v[149:152], v148 offset:800
	s_clause 0x2
	buffer_load_dword v144, off, s[0:3], 0 offset:364
	buffer_load_dword v146, off, s[0:3], 0 offset:340
	;; [unrolled: 1-line block ×3, first 2 shown]
	ds_read_b128 v[153:156], v148 offset:816
	s_clause 0x4
	buffer_load_dword v164, off, s[0:3], 0 offset:380
	buffer_load_dword v165, off, s[0:3], 0 offset:392
	;; [unrolled: 1-line block ×5, first 2 shown]
	ds_read_b128 v[157:160], v148 offset:832
	s_clause 0x2
	buffer_load_dword v166, off, s[0:3], 0 offset:396
	buffer_load_dword v171, off, s[0:3], 0 offset:372
	buffer_load_dword v170, off, s[0:3], 0 offset:368
	s_mov_b32 s4, exec_lo
	s_waitcnt vmcnt(62) lgkmcnt(2)
	v_mul_f64 v[161:162], v[151:152], v[95:96]
	v_mul_f64 v[95:96], v[149:150], v[95:96]
	s_waitcnt lgkmcnt(1)
	v_mul_f64 v[168:169], v[155:156], v[91:92]
	s_waitcnt vmcnt(59) lgkmcnt(0)
	v_mul_f64 v[172:173], v[159:160], v[3:4]
	v_fma_f64 v[149:150], v[149:150], v[93:94], -v[161:162]
	v_mul_f64 v[161:162], v[153:154], v[91:92]
	v_fma_f64 v[95:96], v[151:152], v[93:94], v[95:96]
	s_waitcnt vmcnt(57)
	v_fma_f64 v[153:154], v[153:154], v[1:2], -v[168:169]
	ds_read_b128 v[91:94], v148 offset:848
	v_mul_f64 v[151:152], v[157:158], v[3:4]
	s_waitcnt vmcnt(51)
	v_fma_f64 v[157:158], v[157:158], v[111:112], -v[172:173]
	v_add_f64 v[149:150], v[149:150], 0
	v_fma_f64 v[155:156], v[155:156], v[1:2], v[161:162]
	v_add_f64 v[95:96], v[95:96], 0
	s_clause 0x4
	buffer_load_dword v162, off, s[0:3], 0 offset:412
	buffer_load_dword v174, off, s[0:3], 0 offset:424
	;; [unrolled: 1-line block ×5, first 2 shown]
	s_waitcnt lgkmcnt(0)
	v_mul_f64 v[177:178], v[91:92], v[99:100]
	v_mul_f64 v[99:100], v[93:94], v[99:100]
	ds_read_b128 v[1:4], v148 offset:864
	v_fma_f64 v[111:112], v[159:160], v[111:112], v[151:152]
	v_add_f64 v[153:154], v[149:150], v[153:154]
	v_add_f64 v[95:96], v[95:96], v[155:156]
	s_clause 0x2
	buffer_load_dword v175, off, s[0:3], 0 offset:428
	buffer_load_dword v156, off, s[0:3], 0 offset:404
	buffer_load_dword v155, off, s[0:3], 0 offset:400
	s_waitcnt vmcnt(58) lgkmcnt(0)
	v_mul_f64 v[159:160], v[1:2], v[103:104]
	v_mul_f64 v[103:104], v[3:4], v[103:104]
	s_waitcnt vmcnt(56)
	v_fma_f64 v[99:100], v[91:92], v[105:106], -v[99:100]
	ds_read_b128 v[149:152], v148 offset:880
	v_fma_f64 v[105:106], v[93:94], v[105:106], v[177:178]
	v_add_f64 v[153:154], v[153:154], v[157:158]
	v_add_f64 v[95:96], v[95:96], v[111:112]
	s_clause 0x4
	buffer_load_dword v112, off, s[0:3], 0 offset:444
	buffer_load_dword v157, off, s[0:3], 0 offset:456
	buffer_load_dword v172, off, s[0:3], 0 offset:448
	buffer_load_dword v111, off, s[0:3], 0 offset:440
	buffer_load_dword v177, off, s[0:3], 0 offset:420
	ds_read_b128 v[91:94], v148 offset:896
	s_waitcnt vmcnt(57) lgkmcnt(1)
	v_mul_f64 v[178:179], v[149:150], v[107:108]
	v_mul_f64 v[107:108], v[151:152], v[107:108]
	s_waitcnt vmcnt(56)
	v_fma_f64 v[103:104], v[1:2], v[97:98], -v[103:104]
	v_fma_f64 v[97:98], v[3:4], v[97:98], v[159:160]
	v_add_f64 v[99:100], v[153:154], v[99:100]
	v_add_f64 v[95:96], v[95:96], v[105:106]
	s_clause 0x2
	buffer_load_dword v158, off, s[0:3], 0 offset:460
	buffer_load_dword v106, off, s[0:3], 0 offset:436
	;; [unrolled: 1-line block ×3, first 2 shown]
	s_waitcnt vmcnt(58) lgkmcnt(0)
	v_mul_f64 v[153:154], v[91:92], v[113:114]
	v_mul_f64 v[113:114], v[93:94], v[113:114]
	s_waitcnt vmcnt(56)
	v_fma_f64 v[107:108], v[149:150], v[115:116], -v[107:108]
	ds_read_b128 v[1:4], v148 offset:912
	v_add_f64 v[99:100], v[99:100], v[103:104]
	v_fma_f64 v[103:104], v[151:152], v[115:116], v[178:179]
	v_add_f64 v[115:116], v[95:96], v[97:98]
	s_clause 0x4
	buffer_load_dword v150, off, s[0:3], 0 offset:476
	buffer_load_dword v151, off, s[0:3], 0 offset:488
	;; [unrolled: 1-line block ×5, first 2 shown]
	ds_read_b128 v[95:98], v148 offset:928
	s_waitcnt vmcnt(57) lgkmcnt(1)
	v_mul_f64 v[178:179], v[1:2], v[117:118]
	v_mul_f64 v[117:118], v[3:4], v[117:118]
	s_waitcnt vmcnt(56)
	v_fma_f64 v[113:114], v[91:92], v[101:102], -v[113:114]
	v_fma_f64 v[101:102], v[93:94], v[101:102], v[153:154]
	v_add_f64 v[99:100], v[99:100], v[107:108]
	s_clause 0x2
	buffer_load_dword v152, off, s[0:3], 0 offset:492
	buffer_load_dword v108, off, s[0:3], 0 offset:468
	;; [unrolled: 1-line block ×3, first 2 shown]
	v_add_f64 v[103:104], v[115:116], v[103:104]
	s_waitcnt vmcnt(58) lgkmcnt(0)
	v_mul_f64 v[115:116], v[95:96], v[121:122]
	v_mul_f64 v[121:122], v[97:98], v[121:122]
	ds_read_b128 v[91:94], v148 offset:944
	s_waitcnt vmcnt(56)
	v_fma_f64 v[117:118], v[1:2], v[123:124], -v[117:118]
	v_add_f64 v[99:100], v[99:100], v[113:114]
	v_fma_f64 v[113:114], v[3:4], v[123:124], v[178:179]
	v_add_f64 v[101:102], v[103:104], v[101:102]
	s_clause 0x4
	buffer_load_dword v104, off, s[0:3], 0 offset:508
	buffer_load_dword v123, off, s[0:3], 0 offset:520
	;; [unrolled: 1-line block ×5, first 2 shown]
	s_waitcnt vmcnt(57) lgkmcnt(0)
	v_mul_f64 v[178:179], v[91:92], v[125:126]
	v_mul_f64 v[125:126], v[93:94], v[125:126]
	s_waitcnt vmcnt(56)
	v_fma_f64 v[121:122], v[95:96], v[109:110], -v[121:122]
	ds_read_b128 v[1:4], v148 offset:960
	v_fma_f64 v[109:110], v[97:98], v[109:110], v[115:116]
	v_add_f64 v[99:100], v[99:100], v[117:118]
	v_add_f64 v[101:102], v[101:102], v[113:114]
	s_clause 0x2
	buffer_load_dword v124, off, s[0:3], 0 offset:524
	buffer_load_dword v114, off, s[0:3], 0 offset:500
	;; [unrolled: 1-line block ×3, first 2 shown]
	ds_read_b128 v[95:98], v148 offset:976
	s_waitcnt vmcnt(58) lgkmcnt(1)
	v_mul_f64 v[117:118], v[3:4], v[129:130]
	s_waitcnt vmcnt(56)
	v_fma_f64 v[125:126], v[91:92], v[131:132], -v[125:126]
	v_mul_f64 v[115:116], v[1:2], v[129:130]
	v_add_f64 v[99:100], v[99:100], v[121:122]
	v_fma_f64 v[121:122], v[93:94], v[131:132], v[178:179]
	v_add_f64 v[101:102], v[101:102], v[109:110]
	s_clause 0x4
	buffer_load_dword v110, off, s[0:3], 0 offset:540
	buffer_load_dword v129, off, s[0:3], 0 offset:552
	;; [unrolled: 1-line block ×5, first 2 shown]
	s_waitcnt vmcnt(57) lgkmcnt(0)
	v_mul_f64 v[178:179], v[95:96], v[133:134]
	v_mul_f64 v[132:133], v[97:98], v[133:134]
	s_waitcnt vmcnt(56)
	v_fma_f64 v[117:118], v[1:2], v[119:120], -v[117:118]
	ds_read_b128 v[91:94], v148 offset:992
	v_fma_f64 v[115:116], v[3:4], v[119:120], v[115:116]
	s_clause 0x2
	buffer_load_dword v130, off, s[0:3], 0 offset:556
	buffer_load_dword v120, off, s[0:3], 0 offset:532
	;; [unrolled: 1-line block ×3, first 2 shown]
	ds_read_b128 v[1:4], v148 offset:1008
	v_add_f64 v[99:100], v[99:100], v[125:126]
	v_add_f64 v[101:102], v[101:102], v[121:122]
	s_waitcnt vmcnt(58) lgkmcnt(1)
	v_mul_f64 v[125:126], v[93:94], v[137:138]
	s_waitcnt vmcnt(56)
	v_fma_f64 v[133:134], v[95:96], v[139:140], -v[132:133]
	v_mul_f64 v[121:122], v[91:92], v[137:138]
	v_add_f64 v[99:100], v[99:100], v[117:118]
	v_fma_f64 v[117:118], v[97:98], v[139:140], v[178:179]
	v_add_f64 v[101:102], v[101:102], v[115:116]
	s_clause 0x4
	buffer_load_dword v116, off, s[0:3], 0 offset:572
	buffer_load_dword v137, off, s[0:3], 0 offset:584
	;; [unrolled: 1-line block ×5, first 2 shown]
	s_waitcnt vmcnt(57) lgkmcnt(0)
	v_mul_f64 v[178:179], v[1:2], v[141:142]
	v_mul_f64 v[140:141], v[3:4], v[141:142]
	s_waitcnt vmcnt(56)
	v_fma_f64 v[125:126], v[91:92], v[127:128], -v[125:126]
	ds_read_b128 v[95:98], v148 offset:1024
	v_fma_f64 v[121:122], v[93:94], v[127:128], v[121:122]
	v_add_f64 v[99:100], v[99:100], v[133:134]
	v_add_f64 v[101:102], v[101:102], v[117:118]
	s_clause 0x2
	buffer_load_dword v138, off, s[0:3], 0 offset:588
	buffer_load_dword v118, off, s[0:3], 0 offset:564
	;; [unrolled: 1-line block ×3, first 2 shown]
	ds_read_b128 v[91:94], v148 offset:1040
	s_waitcnt vmcnt(58) lgkmcnt(1)
	v_mul_f64 v[133:134], v[97:98], v[143:144]
	s_waitcnt vmcnt(56)
	v_fma_f64 v[141:142], v[1:2], v[145:146], -v[140:141]
	v_mul_f64 v[127:128], v[95:96], v[143:144]
	v_add_f64 v[99:100], v[99:100], v[125:126]
	v_fma_f64 v[125:126], v[3:4], v[145:146], v[178:179]
	v_add_f64 v[101:102], v[101:102], v[121:122]
	s_clause 0x4
	buffer_load_dword v122, off, s[0:3], 0 offset:604
	buffer_load_dword v143, off, s[0:3], 0 offset:616
	;; [unrolled: 1-line block ×5, first 2 shown]
	s_waitcnt vmcnt(57) lgkmcnt(0)
	v_mul_f64 v[178:179], v[91:92], v[163:164]
	v_mul_f64 v[163:164], v[93:94], v[163:164]
	s_waitcnt vmcnt(56)
	v_fma_f64 v[133:134], v[95:96], v[135:136], -v[133:134]
	ds_read_b128 v[1:4], v148 offset:1056
	v_fma_f64 v[127:128], v[97:98], v[135:136], v[127:128]
	v_add_f64 v[99:100], v[99:100], v[141:142]
	v_add_f64 v[101:102], v[101:102], v[125:126]
	s_clause 0x2
	buffer_load_dword v144, off, s[0:3], 0 offset:620
	buffer_load_dword v126, off, s[0:3], 0 offset:596
	;; [unrolled: 1-line block ×3, first 2 shown]
	ds_read_b128 v[95:98], v148 offset:1072
	s_waitcnt vmcnt(58) lgkmcnt(1)
	v_mul_f64 v[141:142], v[3:4], v[165:166]
	s_waitcnt vmcnt(56)
	v_fma_f64 v[163:164], v[91:92], v[170:171], -v[163:164]
	v_mul_f64 v[135:136], v[1:2], v[165:166]
	v_add_f64 v[99:100], v[99:100], v[133:134]
	v_fma_f64 v[133:134], v[93:94], v[170:171], v[178:179]
	v_add_f64 v[101:102], v[101:102], v[127:128]
	s_clause 0x4
	buffer_load_dword v128, off, s[0:3], 0 offset:636
	buffer_load_dword v165, off, s[0:3], 0 offset:648
	;; [unrolled: 1-line block ×5, first 2 shown]
	ds_read_b128 v[91:94], v148 offset:1088
	s_waitcnt vmcnt(57) lgkmcnt(1)
	v_mul_f64 v[170:171], v[95:96], v[161:162]
	v_mul_f64 v[161:162], v[97:98], v[161:162]
	s_waitcnt vmcnt(56)
	v_fma_f64 v[141:142], v[1:2], v[167:168], -v[141:142]
	v_fma_f64 v[135:136], v[3:4], v[167:168], v[135:136]
	v_add_f64 v[99:100], v[99:100], v[163:164]
	v_add_f64 v[101:102], v[101:102], v[133:134]
	s_clause 0x2
	buffer_load_dword v166, off, s[0:3], 0 offset:652
	buffer_load_dword v134, off, s[0:3], 0 offset:628
	;; [unrolled: 1-line block ×3, first 2 shown]
	ds_read_b128 v[1:4], v148 offset:1104
	s_waitcnt vmcnt(58) lgkmcnt(1)
	v_mul_f64 v[167:168], v[93:94], v[174:175]
	v_mul_f64 v[163:164], v[91:92], v[174:175]
	s_waitcnt vmcnt(56)
	v_fma_f64 v[161:162], v[95:96], v[155:156], -v[161:162]
	v_add_f64 v[99:100], v[99:100], v[141:142]
	v_fma_f64 v[141:142], v[97:98], v[155:156], v[170:171]
	v_add_f64 v[101:102], v[101:102], v[135:136]
	s_clause 0x4
	buffer_load_dword v136, off, s[0:3], 0 offset:668
	buffer_load_dword v155, off, s[0:3], 0 offset:680
	;; [unrolled: 1-line block ×5, first 2 shown]
	ds_read_b128 v[95:98], v148 offset:1120
	s_waitcnt vmcnt(57) lgkmcnt(1)
	v_mul_f64 v[178:179], v[1:2], v[111:112]
	v_mul_f64 v[111:112], v[3:4], v[111:112]
	s_waitcnt vmcnt(56)
	v_fma_f64 v[167:168], v[91:92], v[176:177], -v[167:168]
	v_add_f64 v[99:100], v[99:100], v[161:162]
	v_fma_f64 v[161:162], v[93:94], v[176:177], v[163:164]
	v_add_f64 v[101:102], v[101:102], v[141:142]
	s_clause 0x2
	buffer_load_dword v156, off, s[0:3], 0 offset:684
	buffer_load_dword v142, off, s[0:3], 0 offset:660
	;; [unrolled: 1-line block ×3, first 2 shown]
	ds_read_b128 v[91:94], v148 offset:1136
	s_waitcnt vmcnt(58) lgkmcnt(1)
	v_mul_f64 v[163:164], v[95:96], v[157:158]
	v_mul_f64 v[157:158], v[97:98], v[157:158]
	s_waitcnt vmcnt(56)
	v_fma_f64 v[111:112], v[1:2], v[105:106], -v[111:112]
	v_fma_f64 v[105:106], v[3:4], v[105:106], v[178:179]
	v_add_f64 v[99:100], v[99:100], v[167:168]
	v_add_f64 v[101:102], v[101:102], v[161:162]
	s_clause 0x2
	buffer_load_dword v162, off, s[0:3], 0 offset:700
	buffer_load_dword v161, off, s[0:3], 0 offset:696
	;; [unrolled: 1-line block ×3, first 2 shown]
	ds_read_b128 v[1:4], v148 offset:1152
	s_waitcnt vmcnt(55) lgkmcnt(1)
	v_mul_f64 v[167:168], v[91:92], v[149:150]
	v_mul_f64 v[149:150], v[93:94], v[149:150]
	s_waitcnt vmcnt(54)
	v_fma_f64 v[157:158], v[95:96], v[172:173], -v[157:158]
	v_add_f64 v[99:100], v[99:100], v[111:112]
	v_fma_f64 v[111:112], v[97:98], v[172:173], v[163:164]
	v_add_f64 v[101:102], v[101:102], v[105:106]
	s_clause 0x1
	buffer_load_dword v106, off, s[0:3], 0 offset:692
	buffer_load_dword v105, off, s[0:3], 0 offset:688
	ds_read_b128 v[95:98], v148 offset:1168
	s_waitcnt vmcnt(55) lgkmcnt(1)
	v_mul_f64 v[163:164], v[1:2], v[151:152]
	v_mul_f64 v[151:152], v[3:4], v[151:152]
	s_waitcnt vmcnt(53)
	v_fma_f64 v[149:150], v[91:92], v[107:108], -v[149:150]
	v_fma_f64 v[107:108], v[93:94], v[107:108], v[167:168]
	ds_read_b128 v[91:94], v148 offset:1184
	v_add_f64 v[99:100], v[99:100], v[157:158]
	v_add_f64 v[101:102], v[101:102], v[111:112]
	s_waitcnt vmcnt(49) lgkmcnt(1)
	v_mul_f64 v[111:112], v[95:96], v[103:104]
	v_mul_f64 v[103:104], v[97:98], v[103:104]
	s_waitcnt vmcnt(48)
	v_fma_f64 v[151:152], v[1:2], v[159:160], -v[151:152]
	v_add_f64 v[99:100], v[99:100], v[149:150]
	v_fma_f64 v[149:150], v[3:4], v[159:160], v[163:164]
	v_add_f64 v[101:102], v[101:102], v[107:108]
	s_clause 0x3
	buffer_load_dword v107, off, s[0:3], 0 offset:112
	buffer_load_dword v108, off, s[0:3], 0 offset:116
	;; [unrolled: 1-line block ×4, first 2 shown]
	ds_read_b128 v[1:4], v148 offset:1200
	s_waitcnt vmcnt(51) lgkmcnt(1)
	v_mul_f64 v[159:160], v[91:92], v[123:124]
	v_mul_f64 v[123:124], v[93:94], v[123:124]
	s_waitcnt vmcnt(49)
	v_fma_f64 v[103:104], v[95:96], v[113:114], -v[103:104]
	v_fma_f64 v[111:112], v[97:98], v[113:114], v[111:112]
	ds_read_b128 v[95:98], v148 offset:1216
	v_add_f64 v[99:100], v[99:100], v[151:152]
	v_add_f64 v[101:102], v[101:102], v[149:150]
	s_waitcnt vmcnt(45) lgkmcnt(1)
	v_mul_f64 v[113:114], v[1:2], v[109:110]
	v_mul_f64 v[109:110], v[3:4], v[109:110]
	s_waitcnt vmcnt(44)
	v_fma_f64 v[123:124], v[91:92], v[153:154], -v[123:124]
	v_add_f64 v[99:100], v[99:100], v[103:104]
	v_fma_f64 v[103:104], v[93:94], v[153:154], v[159:160]
	v_add_f64 v[101:102], v[101:102], v[111:112]
	s_waitcnt vmcnt(43) lgkmcnt(0)
	v_mul_f64 v[111:112], v[95:96], v[129:130]
	v_mul_f64 v[129:130], v[97:98], v[129:130]
	ds_read_b128 v[91:94], v148 offset:1232
	s_waitcnt vmcnt(41)
	v_fma_f64 v[113:114], v[3:4], v[119:120], v[113:114]
	v_fma_f64 v[109:110], v[1:2], v[119:120], -v[109:110]
	ds_read_b128 v[1:4], v148 offset:1248
	v_add_f64 v[99:100], v[99:100], v[123:124]
	v_add_f64 v[101:102], v[101:102], v[103:104]
	s_waitcnt vmcnt(37) lgkmcnt(1)
	v_mul_f64 v[103:104], v[91:92], v[115:116]
	v_mul_f64 v[115:116], v[93:94], v[115:116]
	s_waitcnt vmcnt(36)
	v_fma_f64 v[119:120], v[95:96], v[131:132], -v[129:130]
	v_add_f64 v[99:100], v[99:100], v[109:110]
	v_fma_f64 v[109:110], v[97:98], v[131:132], v[111:112]
	v_add_f64 v[101:102], v[101:102], v[113:114]
	ds_read_b128 v[95:98], v148 offset:1264
	s_waitcnt vmcnt(35) lgkmcnt(1)
	v_mul_f64 v[113:114], v[3:4], v[137:138]
	v_mul_f64 v[111:112], v[1:2], v[137:138]
	s_waitcnt vmcnt(33)
	v_fma_f64 v[115:116], v[91:92], v[117:118], -v[115:116]
	v_fma_f64 v[103:104], v[93:94], v[117:118], v[103:104]
	ds_read_b128 v[91:94], v148 offset:1280
	v_add_f64 v[99:100], v[99:100], v[119:120]
	v_add_f64 v[101:102], v[101:102], v[109:110]
	s_waitcnt vmcnt(29) lgkmcnt(1)
	v_mul_f64 v[117:118], v[97:98], v[121:122]
	s_waitcnt vmcnt(28)
	v_fma_f64 v[113:114], v[1:2], v[139:140], -v[113:114]
	v_mul_f64 v[109:110], v[95:96], v[121:122]
	v_fma_f64 v[111:112], v[3:4], v[139:140], v[111:112]
	ds_read_b128 v[1:4], v148 offset:1296
	v_add_f64 v[99:100], v[99:100], v[115:116]
	v_add_f64 v[101:102], v[101:102], v[103:104]
	s_waitcnt vmcnt(27) lgkmcnt(1)
	v_mul_f64 v[115:116], v[93:94], v[143:144]
	v_mul_f64 v[103:104], v[91:92], v[143:144]
	s_waitcnt vmcnt(25)
	v_fma_f64 v[117:118], v[95:96], v[125:126], -v[117:118]
	v_fma_f64 v[109:110], v[97:98], v[125:126], v[109:110]
	ds_read_b128 v[95:98], v148 offset:1312
	v_add_f64 v[99:100], v[99:100], v[113:114]
	v_add_f64 v[101:102], v[101:102], v[111:112]
	s_waitcnt vmcnt(21) lgkmcnt(1)
	v_mul_f64 v[113:114], v[3:4], v[127:128]
	s_waitcnt vmcnt(20)
	v_fma_f64 v[115:116], v[91:92], v[145:146], -v[115:116]
	v_mul_f64 v[111:112], v[1:2], v[127:128]
	v_fma_f64 v[103:104], v[93:94], v[145:146], v[103:104]
	ds_read_b128 v[91:94], v148 offset:1328
	v_add_f64 v[99:100], v[99:100], v[117:118]
	v_add_f64 v[101:102], v[101:102], v[109:110]
	;; [unrolled: 18-line block ×3, first 2 shown]
	s_waitcnt vmcnt(11) lgkmcnt(1)
	v_mul_f64 v[113:114], v[3:4], v[155:156]
	v_mul_f64 v[111:112], v[1:2], v[155:156]
	s_waitcnt vmcnt(9)
	v_fma_f64 v[91:92], v[91:92], v[141:142], -v[115:116]
	v_fma_f64 v[93:94], v[93:94], v[141:142], v[103:104]
	v_add_f64 v[99:100], v[99:100], v[117:118]
	v_add_f64 v[101:102], v[101:102], v[109:110]
	s_waitcnt vmcnt(7) lgkmcnt(0)
	v_mul_f64 v[109:110], v[97:98], v[161:162]
	s_waitcnt vmcnt(6)
	v_fma_f64 v[1:2], v[1:2], v[174:175], -v[113:114]
	v_mul_f64 v[103:104], v[95:96], v[161:162]
	v_fma_f64 v[3:4], v[3:4], v[174:175], v[111:112]
	v_add_f64 v[91:92], v[99:100], v[91:92]
	v_add_f64 v[93:94], v[101:102], v[93:94]
	s_waitcnt vmcnt(4)
	v_fma_f64 v[95:96], v[95:96], v[105:106], -v[109:110]
	v_add_f64 v[1:2], v[91:92], v[1:2]
	v_fma_f64 v[91:92], v[97:98], v[105:106], v[103:104]
	v_add_f64 v[3:4], v[93:94], v[3:4]
	v_add_f64 v[1:2], v[1:2], v[95:96]
	;; [unrolled: 1-line block ×3, first 2 shown]
	s_waitcnt vmcnt(2)
	v_add_f64 v[1:2], v[107:108], -v[1:2]
	s_waitcnt vmcnt(0)
	v_add_f64 v[3:4], v[157:158], -v[3:4]
	buffer_store_dword v2, off, s[0:3], 0 offset:116
	buffer_store_dword v1, off, s[0:3], 0 offset:112
	;; [unrolled: 1-line block ×4, first 2 shown]
	v_cmpx_lt_u32_e32 5, v0
	s_cbranch_execz .LBB106_261
; %bb.260:
	v_mov_b32_e32 v4, s50
	v_mov_b32_e32 v91, 0
	s_clause 0x3
	buffer_load_dword v1, v4, s[0:3], 0 offen
	buffer_load_dword v2, v4, s[0:3], 0 offen offset:4
	buffer_load_dword v3, v4, s[0:3], 0 offen offset:8
	;; [unrolled: 1-line block ×3, first 2 shown]
	buffer_store_dword v91, off, s[0:3], 0 offset:96
	buffer_store_dword v91, off, s[0:3], 0 offset:100
	;; [unrolled: 1-line block ×4, first 2 shown]
	s_waitcnt vmcnt(0)
	ds_write_b128 v147, v[1:4]
.LBB106_261:
	s_or_b32 exec_lo, exec_lo, s4
	s_waitcnt lgkmcnt(0)
	s_waitcnt_vscnt null, 0x0
	s_barrier
	buffer_gl0_inv
	s_clause 0x37
	buffer_load_dword v95, off, s[0:3], 0 offset:120
	buffer_load_dword v96, off, s[0:3], 0 offset:124
	;; [unrolled: 1-line block ×56, first 2 shown]
	v_mov_b32_e32 v148, 0
	s_mov_b32 s4, exec_lo
	ds_read_b128 v[149:152], v148 offset:784
	s_clause 0x2
	buffer_load_dword v144, off, s[0:3], 0 offset:348
	buffer_load_dword v146, off, s[0:3], 0 offset:324
	;; [unrolled: 1-line block ×3, first 2 shown]
	ds_read_b128 v[153:156], v148 offset:800
	s_clause 0x4
	buffer_load_dword v164, off, s[0:3], 0 offset:364
	buffer_load_dword v165, off, s[0:3], 0 offset:376
	;; [unrolled: 1-line block ×5, first 2 shown]
	ds_read_b128 v[157:160], v148 offset:816
	s_clause 0x2
	buffer_load_dword v166, off, s[0:3], 0 offset:380
	buffer_load_dword v171, off, s[0:3], 0 offset:356
	;; [unrolled: 1-line block ×3, first 2 shown]
	s_waitcnt vmcnt(62) lgkmcnt(2)
	v_mul_f64 v[161:162], v[151:152], v[95:96]
	v_mul_f64 v[95:96], v[149:150], v[95:96]
	s_waitcnt lgkmcnt(1)
	v_mul_f64 v[168:169], v[155:156], v[91:92]
	s_waitcnt vmcnt(59) lgkmcnt(0)
	v_mul_f64 v[172:173], v[159:160], v[3:4]
	v_fma_f64 v[149:150], v[149:150], v[93:94], -v[161:162]
	v_mul_f64 v[161:162], v[153:154], v[91:92]
	v_fma_f64 v[95:96], v[151:152], v[93:94], v[95:96]
	s_waitcnt vmcnt(57)
	v_fma_f64 v[153:154], v[153:154], v[1:2], -v[168:169]
	ds_read_b128 v[91:94], v148 offset:832
	v_mul_f64 v[151:152], v[157:158], v[3:4]
	s_waitcnt vmcnt(51)
	v_fma_f64 v[157:158], v[157:158], v[111:112], -v[172:173]
	v_add_f64 v[149:150], v[149:150], 0
	v_fma_f64 v[155:156], v[155:156], v[1:2], v[161:162]
	v_add_f64 v[95:96], v[95:96], 0
	s_clause 0x4
	buffer_load_dword v162, off, s[0:3], 0 offset:396
	buffer_load_dword v174, off, s[0:3], 0 offset:408
	;; [unrolled: 1-line block ×5, first 2 shown]
	s_waitcnt lgkmcnt(0)
	v_mul_f64 v[177:178], v[91:92], v[99:100]
	v_mul_f64 v[99:100], v[93:94], v[99:100]
	ds_read_b128 v[1:4], v148 offset:848
	v_fma_f64 v[111:112], v[159:160], v[111:112], v[151:152]
	v_add_f64 v[153:154], v[149:150], v[153:154]
	v_add_f64 v[95:96], v[95:96], v[155:156]
	s_clause 0x2
	buffer_load_dword v175, off, s[0:3], 0 offset:412
	buffer_load_dword v156, off, s[0:3], 0 offset:388
	;; [unrolled: 1-line block ×3, first 2 shown]
	s_waitcnt vmcnt(58) lgkmcnt(0)
	v_mul_f64 v[159:160], v[1:2], v[103:104]
	v_mul_f64 v[103:104], v[3:4], v[103:104]
	s_waitcnt vmcnt(56)
	v_fma_f64 v[99:100], v[91:92], v[105:106], -v[99:100]
	ds_read_b128 v[149:152], v148 offset:864
	v_fma_f64 v[105:106], v[93:94], v[105:106], v[177:178]
	v_add_f64 v[153:154], v[153:154], v[157:158]
	v_add_f64 v[95:96], v[95:96], v[111:112]
	s_clause 0x4
	buffer_load_dword v112, off, s[0:3], 0 offset:428
	buffer_load_dword v157, off, s[0:3], 0 offset:440
	;; [unrolled: 1-line block ×5, first 2 shown]
	ds_read_b128 v[91:94], v148 offset:880
	s_waitcnt vmcnt(57) lgkmcnt(1)
	v_mul_f64 v[178:179], v[149:150], v[107:108]
	v_mul_f64 v[107:108], v[151:152], v[107:108]
	s_waitcnt vmcnt(56)
	v_fma_f64 v[103:104], v[1:2], v[97:98], -v[103:104]
	v_fma_f64 v[97:98], v[3:4], v[97:98], v[159:160]
	v_add_f64 v[99:100], v[153:154], v[99:100]
	v_add_f64 v[95:96], v[95:96], v[105:106]
	s_clause 0x2
	buffer_load_dword v158, off, s[0:3], 0 offset:444
	buffer_load_dword v106, off, s[0:3], 0 offset:420
	;; [unrolled: 1-line block ×3, first 2 shown]
	s_waitcnt vmcnt(58) lgkmcnt(0)
	v_mul_f64 v[153:154], v[91:92], v[113:114]
	v_mul_f64 v[113:114], v[93:94], v[113:114]
	s_waitcnt vmcnt(56)
	v_fma_f64 v[107:108], v[149:150], v[115:116], -v[107:108]
	ds_read_b128 v[1:4], v148 offset:896
	v_add_f64 v[99:100], v[99:100], v[103:104]
	v_fma_f64 v[103:104], v[151:152], v[115:116], v[178:179]
	v_add_f64 v[115:116], v[95:96], v[97:98]
	s_clause 0x4
	buffer_load_dword v150, off, s[0:3], 0 offset:460
	buffer_load_dword v151, off, s[0:3], 0 offset:472
	;; [unrolled: 1-line block ×5, first 2 shown]
	ds_read_b128 v[95:98], v148 offset:912
	s_waitcnt vmcnt(57) lgkmcnt(1)
	v_mul_f64 v[178:179], v[1:2], v[117:118]
	v_mul_f64 v[117:118], v[3:4], v[117:118]
	s_waitcnt vmcnt(56)
	v_fma_f64 v[113:114], v[91:92], v[101:102], -v[113:114]
	v_fma_f64 v[101:102], v[93:94], v[101:102], v[153:154]
	v_add_f64 v[99:100], v[99:100], v[107:108]
	s_clause 0x2
	buffer_load_dword v152, off, s[0:3], 0 offset:476
	buffer_load_dword v108, off, s[0:3], 0 offset:452
	;; [unrolled: 1-line block ×3, first 2 shown]
	v_add_f64 v[103:104], v[115:116], v[103:104]
	s_waitcnt vmcnt(58) lgkmcnt(0)
	v_mul_f64 v[115:116], v[95:96], v[121:122]
	v_mul_f64 v[121:122], v[97:98], v[121:122]
	ds_read_b128 v[91:94], v148 offset:928
	s_waitcnt vmcnt(56)
	v_fma_f64 v[117:118], v[1:2], v[123:124], -v[117:118]
	v_add_f64 v[99:100], v[99:100], v[113:114]
	v_fma_f64 v[113:114], v[3:4], v[123:124], v[178:179]
	v_add_f64 v[101:102], v[103:104], v[101:102]
	s_clause 0x4
	buffer_load_dword v104, off, s[0:3], 0 offset:492
	buffer_load_dword v123, off, s[0:3], 0 offset:504
	;; [unrolled: 1-line block ×5, first 2 shown]
	s_waitcnt vmcnt(57) lgkmcnt(0)
	v_mul_f64 v[178:179], v[91:92], v[125:126]
	v_mul_f64 v[125:126], v[93:94], v[125:126]
	s_waitcnt vmcnt(56)
	v_fma_f64 v[121:122], v[95:96], v[109:110], -v[121:122]
	ds_read_b128 v[1:4], v148 offset:944
	v_fma_f64 v[109:110], v[97:98], v[109:110], v[115:116]
	v_add_f64 v[99:100], v[99:100], v[117:118]
	v_add_f64 v[101:102], v[101:102], v[113:114]
	s_clause 0x2
	buffer_load_dword v124, off, s[0:3], 0 offset:508
	buffer_load_dword v114, off, s[0:3], 0 offset:484
	;; [unrolled: 1-line block ×3, first 2 shown]
	ds_read_b128 v[95:98], v148 offset:960
	s_waitcnt vmcnt(58) lgkmcnt(1)
	v_mul_f64 v[117:118], v[3:4], v[129:130]
	s_waitcnt vmcnt(56)
	v_fma_f64 v[125:126], v[91:92], v[131:132], -v[125:126]
	v_mul_f64 v[115:116], v[1:2], v[129:130]
	v_add_f64 v[99:100], v[99:100], v[121:122]
	v_fma_f64 v[121:122], v[93:94], v[131:132], v[178:179]
	v_add_f64 v[101:102], v[101:102], v[109:110]
	s_clause 0x4
	buffer_load_dword v110, off, s[0:3], 0 offset:524
	buffer_load_dword v129, off, s[0:3], 0 offset:536
	;; [unrolled: 1-line block ×5, first 2 shown]
	s_waitcnt vmcnt(57) lgkmcnt(0)
	v_mul_f64 v[178:179], v[95:96], v[133:134]
	v_mul_f64 v[132:133], v[97:98], v[133:134]
	s_waitcnt vmcnt(56)
	v_fma_f64 v[117:118], v[1:2], v[119:120], -v[117:118]
	ds_read_b128 v[91:94], v148 offset:976
	v_fma_f64 v[115:116], v[3:4], v[119:120], v[115:116]
	s_clause 0x2
	buffer_load_dword v130, off, s[0:3], 0 offset:540
	buffer_load_dword v120, off, s[0:3], 0 offset:516
	;; [unrolled: 1-line block ×3, first 2 shown]
	ds_read_b128 v[1:4], v148 offset:992
	v_add_f64 v[99:100], v[99:100], v[125:126]
	v_add_f64 v[101:102], v[101:102], v[121:122]
	s_waitcnt vmcnt(58) lgkmcnt(1)
	v_mul_f64 v[125:126], v[93:94], v[137:138]
	s_waitcnt vmcnt(56)
	v_fma_f64 v[133:134], v[95:96], v[139:140], -v[132:133]
	v_mul_f64 v[121:122], v[91:92], v[137:138]
	v_add_f64 v[99:100], v[99:100], v[117:118]
	v_fma_f64 v[117:118], v[97:98], v[139:140], v[178:179]
	v_add_f64 v[101:102], v[101:102], v[115:116]
	s_clause 0x4
	buffer_load_dword v116, off, s[0:3], 0 offset:556
	buffer_load_dword v137, off, s[0:3], 0 offset:568
	buffer_load_dword v139, off, s[0:3], 0 offset:560
	buffer_load_dword v115, off, s[0:3], 0 offset:552
	buffer_load_dword v132, off, s[0:3], 0 offset:532
	s_waitcnt vmcnt(57) lgkmcnt(0)
	v_mul_f64 v[178:179], v[1:2], v[141:142]
	v_mul_f64 v[140:141], v[3:4], v[141:142]
	s_waitcnt vmcnt(56)
	v_fma_f64 v[125:126], v[91:92], v[127:128], -v[125:126]
	ds_read_b128 v[95:98], v148 offset:1008
	v_fma_f64 v[121:122], v[93:94], v[127:128], v[121:122]
	v_add_f64 v[99:100], v[99:100], v[133:134]
	v_add_f64 v[101:102], v[101:102], v[117:118]
	s_clause 0x2
	buffer_load_dword v138, off, s[0:3], 0 offset:572
	buffer_load_dword v118, off, s[0:3], 0 offset:548
	;; [unrolled: 1-line block ×3, first 2 shown]
	ds_read_b128 v[91:94], v148 offset:1024
	s_waitcnt vmcnt(58) lgkmcnt(1)
	v_mul_f64 v[133:134], v[97:98], v[143:144]
	s_waitcnt vmcnt(56)
	v_fma_f64 v[141:142], v[1:2], v[145:146], -v[140:141]
	v_mul_f64 v[127:128], v[95:96], v[143:144]
	v_add_f64 v[99:100], v[99:100], v[125:126]
	v_fma_f64 v[125:126], v[3:4], v[145:146], v[178:179]
	v_add_f64 v[101:102], v[101:102], v[121:122]
	s_clause 0x4
	buffer_load_dword v122, off, s[0:3], 0 offset:588
	buffer_load_dword v143, off, s[0:3], 0 offset:600
	;; [unrolled: 1-line block ×5, first 2 shown]
	s_waitcnt vmcnt(57) lgkmcnt(0)
	v_mul_f64 v[178:179], v[91:92], v[163:164]
	v_mul_f64 v[163:164], v[93:94], v[163:164]
	s_waitcnt vmcnt(56)
	v_fma_f64 v[133:134], v[95:96], v[135:136], -v[133:134]
	ds_read_b128 v[1:4], v148 offset:1040
	v_fma_f64 v[127:128], v[97:98], v[135:136], v[127:128]
	v_add_f64 v[99:100], v[99:100], v[141:142]
	v_add_f64 v[101:102], v[101:102], v[125:126]
	s_clause 0x2
	buffer_load_dword v144, off, s[0:3], 0 offset:604
	buffer_load_dword v126, off, s[0:3], 0 offset:580
	;; [unrolled: 1-line block ×3, first 2 shown]
	ds_read_b128 v[95:98], v148 offset:1056
	s_waitcnt vmcnt(58) lgkmcnt(1)
	v_mul_f64 v[141:142], v[3:4], v[165:166]
	s_waitcnt vmcnt(56)
	v_fma_f64 v[163:164], v[91:92], v[170:171], -v[163:164]
	v_mul_f64 v[135:136], v[1:2], v[165:166]
	v_add_f64 v[99:100], v[99:100], v[133:134]
	v_fma_f64 v[133:134], v[93:94], v[170:171], v[178:179]
	v_add_f64 v[101:102], v[101:102], v[127:128]
	s_clause 0x4
	buffer_load_dword v128, off, s[0:3], 0 offset:620
	buffer_load_dword v165, off, s[0:3], 0 offset:632
	;; [unrolled: 1-line block ×5, first 2 shown]
	ds_read_b128 v[91:94], v148 offset:1072
	s_waitcnt vmcnt(57) lgkmcnt(1)
	v_mul_f64 v[170:171], v[95:96], v[161:162]
	v_mul_f64 v[161:162], v[97:98], v[161:162]
	s_waitcnt vmcnt(56)
	v_fma_f64 v[141:142], v[1:2], v[167:168], -v[141:142]
	v_fma_f64 v[135:136], v[3:4], v[167:168], v[135:136]
	v_add_f64 v[99:100], v[99:100], v[163:164]
	v_add_f64 v[101:102], v[101:102], v[133:134]
	s_clause 0x2
	buffer_load_dword v166, off, s[0:3], 0 offset:636
	buffer_load_dword v134, off, s[0:3], 0 offset:612
	;; [unrolled: 1-line block ×3, first 2 shown]
	ds_read_b128 v[1:4], v148 offset:1088
	s_waitcnt vmcnt(58) lgkmcnt(1)
	v_mul_f64 v[167:168], v[93:94], v[174:175]
	v_mul_f64 v[163:164], v[91:92], v[174:175]
	s_waitcnt vmcnt(56)
	v_fma_f64 v[161:162], v[95:96], v[155:156], -v[161:162]
	v_add_f64 v[99:100], v[99:100], v[141:142]
	v_fma_f64 v[141:142], v[97:98], v[155:156], v[170:171]
	v_add_f64 v[101:102], v[101:102], v[135:136]
	s_clause 0x4
	buffer_load_dword v136, off, s[0:3], 0 offset:652
	buffer_load_dword v155, off, s[0:3], 0 offset:664
	;; [unrolled: 1-line block ×5, first 2 shown]
	ds_read_b128 v[95:98], v148 offset:1104
	s_waitcnt vmcnt(57) lgkmcnt(1)
	v_mul_f64 v[178:179], v[1:2], v[111:112]
	v_mul_f64 v[111:112], v[3:4], v[111:112]
	s_waitcnt vmcnt(56)
	v_fma_f64 v[167:168], v[91:92], v[176:177], -v[167:168]
	v_add_f64 v[99:100], v[99:100], v[161:162]
	v_fma_f64 v[161:162], v[93:94], v[176:177], v[163:164]
	v_add_f64 v[101:102], v[101:102], v[141:142]
	s_clause 0x2
	buffer_load_dword v156, off, s[0:3], 0 offset:668
	buffer_load_dword v142, off, s[0:3], 0 offset:644
	;; [unrolled: 1-line block ×3, first 2 shown]
	ds_read_b128 v[91:94], v148 offset:1120
	s_waitcnt vmcnt(58) lgkmcnt(1)
	v_mul_f64 v[163:164], v[95:96], v[157:158]
	v_mul_f64 v[157:158], v[97:98], v[157:158]
	s_waitcnt vmcnt(56)
	v_fma_f64 v[111:112], v[1:2], v[105:106], -v[111:112]
	v_fma_f64 v[105:106], v[3:4], v[105:106], v[178:179]
	v_add_f64 v[99:100], v[99:100], v[167:168]
	v_add_f64 v[101:102], v[101:102], v[161:162]
	s_clause 0x4
	buffer_load_dword v162, off, s[0:3], 0 offset:684
	buffer_load_dword v167, off, s[0:3], 0 offset:696
	;; [unrolled: 1-line block ×5, first 2 shown]
	ds_read_b128 v[1:4], v148 offset:1136
	s_waitcnt vmcnt(57) lgkmcnt(1)
	v_mul_f64 v[176:177], v[91:92], v[149:150]
	v_mul_f64 v[149:150], v[93:94], v[149:150]
	s_waitcnt vmcnt(56)
	v_fma_f64 v[157:158], v[95:96], v[172:173], -v[157:158]
	v_add_f64 v[99:100], v[99:100], v[111:112]
	v_fma_f64 v[111:112], v[97:98], v[172:173], v[163:164]
	v_add_f64 v[101:102], v[101:102], v[105:106]
	s_clause 0x2
	buffer_load_dword v168, off, s[0:3], 0 offset:700
	buffer_load_dword v106, off, s[0:3], 0 offset:676
	;; [unrolled: 1-line block ×3, first 2 shown]
	ds_read_b128 v[95:98], v148 offset:1152
	buffer_load_dword v172, off, s[0:3], 0 offset:692
	s_waitcnt vmcnt(59) lgkmcnt(1)
	v_mul_f64 v[163:164], v[1:2], v[151:152]
	v_mul_f64 v[151:152], v[3:4], v[151:152]
	s_waitcnt vmcnt(57)
	v_fma_f64 v[149:150], v[91:92], v[107:108], -v[149:150]
	v_fma_f64 v[107:108], v[93:94], v[107:108], v[176:177]
	ds_read_b128 v[91:94], v148 offset:1168
	v_add_f64 v[99:100], v[99:100], v[157:158]
	v_add_f64 v[101:102], v[101:102], v[111:112]
	s_waitcnt vmcnt(53) lgkmcnt(1)
	v_mul_f64 v[111:112], v[95:96], v[103:104]
	v_mul_f64 v[103:104], v[97:98], v[103:104]
	s_waitcnt vmcnt(52)
	v_fma_f64 v[151:152], v[1:2], v[159:160], -v[151:152]
	v_add_f64 v[99:100], v[99:100], v[149:150]
	v_fma_f64 v[149:150], v[3:4], v[159:160], v[163:164]
	v_add_f64 v[101:102], v[101:102], v[107:108]
	ds_read_b128 v[1:4], v148 offset:1184
	s_waitcnt vmcnt(51) lgkmcnt(1)
	v_mul_f64 v[107:108], v[91:92], v[123:124]
	v_mul_f64 v[123:124], v[93:94], v[123:124]
	s_waitcnt vmcnt(49)
	v_fma_f64 v[103:104], v[95:96], v[113:114], -v[103:104]
	v_fma_f64 v[111:112], v[97:98], v[113:114], v[111:112]
	v_add_f64 v[99:100], v[99:100], v[151:152]
	v_add_f64 v[101:102], v[101:102], v[149:150]
	s_clause 0x3
	buffer_load_dword v113, off, s[0:3], 0 offset:96
	buffer_load_dword v114, off, s[0:3], 0 offset:100
	;; [unrolled: 1-line block ×4, first 2 shown]
	ds_read_b128 v[95:98], v148 offset:1200
	s_waitcnt vmcnt(49) lgkmcnt(1)
	v_mul_f64 v[151:152], v[1:2], v[109:110]
	v_mul_f64 v[109:110], v[3:4], v[109:110]
	s_waitcnt vmcnt(48)
	v_fma_f64 v[123:124], v[91:92], v[153:154], -v[123:124]
	v_add_f64 v[99:100], v[99:100], v[103:104]
	v_fma_f64 v[103:104], v[93:94], v[153:154], v[107:108]
	v_add_f64 v[101:102], v[101:102], v[111:112]
	ds_read_b128 v[91:94], v148 offset:1216
	s_waitcnt vmcnt(47) lgkmcnt(1)
	v_mul_f64 v[111:112], v[97:98], v[129:130]
	v_mul_f64 v[107:108], v[95:96], v[129:130]
	s_waitcnt vmcnt(45)
	v_fma_f64 v[109:110], v[1:2], v[119:120], -v[109:110]
	v_fma_f64 v[119:120], v[3:4], v[119:120], v[151:152]
	ds_read_b128 v[1:4], v148 offset:1232
	v_add_f64 v[99:100], v[99:100], v[123:124]
	v_add_f64 v[101:102], v[101:102], v[103:104]
	s_waitcnt vmcnt(41) lgkmcnt(1)
	v_mul_f64 v[103:104], v[91:92], v[115:116]
	v_mul_f64 v[115:116], v[93:94], v[115:116]
	s_waitcnt vmcnt(40)
	v_fma_f64 v[111:112], v[95:96], v[131:132], -v[111:112]
	v_fma_f64 v[107:108], v[97:98], v[131:132], v[107:108]
	ds_read_b128 v[95:98], v148 offset:1248
	v_add_f64 v[99:100], v[99:100], v[109:110]
	v_add_f64 v[101:102], v[101:102], v[119:120]
	;; [unrolled: 9-line block ×3, first 2 shown]
	s_waitcnt vmcnt(33) lgkmcnt(1)
	v_mul_f64 v[111:112], v[97:98], v[121:122]
	s_waitcnt vmcnt(32)
	v_fma_f64 v[117:118], v[1:2], v[139:140], -v[119:120]
	v_mul_f64 v[107:108], v[95:96], v[121:122]
	v_fma_f64 v[109:110], v[3:4], v[139:140], v[109:110]
	ds_read_b128 v[1:4], v148 offset:1280
	v_add_f64 v[99:100], v[99:100], v[115:116]
	v_add_f64 v[101:102], v[101:102], v[103:104]
	s_waitcnt vmcnt(31) lgkmcnt(1)
	v_mul_f64 v[115:116], v[93:94], v[143:144]
	v_mul_f64 v[103:104], v[91:92], v[143:144]
	s_waitcnt vmcnt(29)
	v_fma_f64 v[111:112], v[95:96], v[125:126], -v[111:112]
	v_fma_f64 v[107:108], v[97:98], v[125:126], v[107:108]
	ds_read_b128 v[95:98], v148 offset:1296
	v_add_f64 v[99:100], v[99:100], v[117:118]
	v_add_f64 v[101:102], v[101:102], v[109:110]
	s_waitcnt vmcnt(25) lgkmcnt(1)
	v_mul_f64 v[117:118], v[3:4], v[127:128]
	s_waitcnt vmcnt(24)
	v_fma_f64 v[115:116], v[91:92], v[145:146], -v[115:116]
	v_mul_f64 v[109:110], v[1:2], v[127:128]
	v_fma_f64 v[103:104], v[93:94], v[145:146], v[103:104]
	ds_read_b128 v[91:94], v148 offset:1312
	v_add_f64 v[99:100], v[99:100], v[111:112]
	v_add_f64 v[101:102], v[101:102], v[107:108]
	s_waitcnt vmcnt(23) lgkmcnt(1)
	v_mul_f64 v[111:112], v[97:98], v[165:166]
	v_mul_f64 v[107:108], v[95:96], v[165:166]
	s_waitcnt vmcnt(21)
	v_fma_f64 v[117:118], v[1:2], v[133:134], -v[117:118]
	v_fma_f64 v[109:110], v[3:4], v[133:134], v[109:110]
	ds_read_b128 v[1:4], v148 offset:1328
	v_add_f64 v[99:100], v[99:100], v[115:116]
	v_add_f64 v[101:102], v[101:102], v[103:104]
	;; [unrolled: 18-line block ×3, first 2 shown]
	s_waitcnt vmcnt(9) lgkmcnt(1)
	v_mul_f64 v[111:112], v[97:98], v[161:162]
	s_waitcnt vmcnt(8)
	v_fma_f64 v[1:2], v[1:2], v[174:175], -v[117:118]
	v_mul_f64 v[107:108], v[95:96], v[161:162]
	v_fma_f64 v[3:4], v[3:4], v[174:175], v[109:110]
	v_add_f64 v[99:100], v[99:100], v[115:116]
	v_add_f64 v[101:102], v[101:102], v[103:104]
	s_waitcnt vmcnt(7) lgkmcnt(0)
	v_mul_f64 v[109:110], v[93:94], v[167:168]
	v_mul_f64 v[103:104], v[91:92], v[167:168]
	s_waitcnt vmcnt(5)
	v_fma_f64 v[95:96], v[95:96], v[105:106], -v[111:112]
	v_fma_f64 v[97:98], v[97:98], v[105:106], v[107:108]
	v_add_f64 v[1:2], v[99:100], v[1:2]
	v_add_f64 v[3:4], v[101:102], v[3:4]
	s_waitcnt vmcnt(4)
	v_fma_f64 v[91:92], v[91:92], v[171:172], -v[109:110]
	v_fma_f64 v[93:94], v[93:94], v[171:172], v[103:104]
	v_add_f64 v[1:2], v[1:2], v[95:96]
	v_add_f64 v[3:4], v[3:4], v[97:98]
	;; [unrolled: 1-line block ×4, first 2 shown]
	s_waitcnt vmcnt(2)
	v_add_f64 v[1:2], v[113:114], -v[1:2]
	s_waitcnt vmcnt(0)
	v_add_f64 v[3:4], v[149:150], -v[3:4]
	buffer_store_dword v2, off, s[0:3], 0 offset:100
	buffer_store_dword v1, off, s[0:3], 0 offset:96
	;; [unrolled: 1-line block ×4, first 2 shown]
	v_cmpx_lt_u32_e32 4, v0
	s_cbranch_execz .LBB106_263
; %bb.262:
	v_mov_b32_e32 v4, s51
	s_clause 0x3
	buffer_load_dword v1, v4, s[0:3], 0 offen
	buffer_load_dword v2, v4, s[0:3], 0 offen offset:4
	buffer_load_dword v3, v4, s[0:3], 0 offen offset:8
	;; [unrolled: 1-line block ×3, first 2 shown]
	buffer_store_dword v148, off, s[0:3], 0 offset:80
	buffer_store_dword v148, off, s[0:3], 0 offset:84
	;; [unrolled: 1-line block ×4, first 2 shown]
	s_waitcnt vmcnt(0)
	ds_write_b128 v147, v[1:4]
.LBB106_263:
	s_or_b32 exec_lo, exec_lo, s4
	s_waitcnt lgkmcnt(0)
	s_waitcnt_vscnt null, 0x0
	s_barrier
	buffer_gl0_inv
	s_clause 0x37
	buffer_load_dword v95, off, s[0:3], 0 offset:104
	buffer_load_dword v96, off, s[0:3], 0 offset:108
	buffer_load_dword v91, off, s[0:3], 0 offset:120
	buffer_load_dword v92, off, s[0:3], 0 offset:124
	buffer_load_dword v93, off, s[0:3], 0 offset:96
	buffer_load_dword v94, off, s[0:3], 0 offset:100
	buffer_load_dword v3, off, s[0:3], 0 offset:136
	buffer_load_dword v4, off, s[0:3], 0 offset:140
	buffer_load_dword v1, off, s[0:3], 0 offset:112
	buffer_load_dword v2, off, s[0:3], 0 offset:116
	buffer_load_dword v100, off, s[0:3], 0 offset:156
	buffer_load_dword v103, off, s[0:3], 0 offset:168
	buffer_load_dword v97, off, s[0:3], 0 offset:160
	buffer_load_dword v99, off, s[0:3], 0 offset:152
	buffer_load_dword v111, off, s[0:3], 0 offset:128
	buffer_load_dword v112, off, s[0:3], 0 offset:132
	buffer_load_dword v104, off, s[0:3], 0 offset:172
	buffer_load_dword v106, off, s[0:3], 0 offset:148
	buffer_load_dword v105, off, s[0:3], 0 offset:144
	buffer_load_dword v108, off, s[0:3], 0 offset:188
	buffer_load_dword v113, off, s[0:3], 0 offset:200
	buffer_load_dword v101, off, s[0:3], 0 offset:192
	buffer_load_dword v107, off, s[0:3], 0 offset:184
	buffer_load_dword v98, off, s[0:3], 0 offset:164
	buffer_load_dword v114, off, s[0:3], 0 offset:204
	buffer_load_dword v116, off, s[0:3], 0 offset:180
	buffer_load_dword v115, off, s[0:3], 0 offset:176
	buffer_load_dword v118, off, s[0:3], 0 offset:220
	buffer_load_dword v121, off, s[0:3], 0 offset:232
	buffer_load_dword v109, off, s[0:3], 0 offset:224
	buffer_load_dword v117, off, s[0:3], 0 offset:216
	buffer_load_dword v102, off, s[0:3], 0 offset:196
	buffer_load_dword v122, off, s[0:3], 0 offset:236
	buffer_load_dword v124, off, s[0:3], 0 offset:212
	buffer_load_dword v123, off, s[0:3], 0 offset:208
	buffer_load_dword v126, off, s[0:3], 0 offset:252
	buffer_load_dword v129, off, s[0:3], 0 offset:264
	buffer_load_dword v119, off, s[0:3], 0 offset:256
	buffer_load_dword v125, off, s[0:3], 0 offset:248
	buffer_load_dword v110, off, s[0:3], 0 offset:228
	buffer_load_dword v130, off, s[0:3], 0 offset:268
	buffer_load_dword v132, off, s[0:3], 0 offset:244
	buffer_load_dword v131, off, s[0:3], 0 offset:240
	buffer_load_dword v134, off, s[0:3], 0 offset:284
	buffer_load_dword v137, off, s[0:3], 0 offset:296
	buffer_load_dword v127, off, s[0:3], 0 offset:288
	buffer_load_dword v133, off, s[0:3], 0 offset:280
	buffer_load_dword v120, off, s[0:3], 0 offset:260
	buffer_load_dword v138, off, s[0:3], 0 offset:300
	buffer_load_dword v140, off, s[0:3], 0 offset:276
	buffer_load_dword v139, off, s[0:3], 0 offset:272
	buffer_load_dword v142, off, s[0:3], 0 offset:316
	buffer_load_dword v143, off, s[0:3], 0 offset:328
	buffer_load_dword v135, off, s[0:3], 0 offset:320
	buffer_load_dword v141, off, s[0:3], 0 offset:312
	buffer_load_dword v128, off, s[0:3], 0 offset:292
	ds_read_b128 v[149:152], v148 offset:768
	s_clause 0x2
	buffer_load_dword v144, off, s[0:3], 0 offset:332
	buffer_load_dword v146, off, s[0:3], 0 offset:308
	;; [unrolled: 1-line block ×3, first 2 shown]
	ds_read_b128 v[153:156], v148 offset:784
	s_clause 0x4
	buffer_load_dword v164, off, s[0:3], 0 offset:348
	buffer_load_dword v165, off, s[0:3], 0 offset:360
	;; [unrolled: 1-line block ×5, first 2 shown]
	ds_read_b128 v[157:160], v148 offset:800
	s_clause 0x2
	buffer_load_dword v166, off, s[0:3], 0 offset:364
	buffer_load_dword v171, off, s[0:3], 0 offset:340
	;; [unrolled: 1-line block ×3, first 2 shown]
	s_mov_b32 s4, exec_lo
	s_waitcnt vmcnt(62) lgkmcnt(2)
	v_mul_f64 v[161:162], v[151:152], v[95:96]
	v_mul_f64 v[95:96], v[149:150], v[95:96]
	s_waitcnt lgkmcnt(1)
	v_mul_f64 v[168:169], v[155:156], v[91:92]
	s_waitcnt vmcnt(59) lgkmcnt(0)
	v_mul_f64 v[172:173], v[159:160], v[3:4]
	v_fma_f64 v[149:150], v[149:150], v[93:94], -v[161:162]
	v_mul_f64 v[161:162], v[153:154], v[91:92]
	v_fma_f64 v[95:96], v[151:152], v[93:94], v[95:96]
	s_waitcnt vmcnt(57)
	v_fma_f64 v[153:154], v[153:154], v[1:2], -v[168:169]
	ds_read_b128 v[91:94], v148 offset:816
	v_mul_f64 v[151:152], v[157:158], v[3:4]
	s_waitcnt vmcnt(51)
	v_fma_f64 v[157:158], v[157:158], v[111:112], -v[172:173]
	v_add_f64 v[149:150], v[149:150], 0
	v_fma_f64 v[155:156], v[155:156], v[1:2], v[161:162]
	v_add_f64 v[95:96], v[95:96], 0
	s_clause 0x4
	buffer_load_dword v162, off, s[0:3], 0 offset:380
	buffer_load_dword v174, off, s[0:3], 0 offset:392
	;; [unrolled: 1-line block ×5, first 2 shown]
	s_waitcnt lgkmcnt(0)
	v_mul_f64 v[177:178], v[91:92], v[99:100]
	v_mul_f64 v[99:100], v[93:94], v[99:100]
	ds_read_b128 v[1:4], v148 offset:832
	v_fma_f64 v[111:112], v[159:160], v[111:112], v[151:152]
	v_add_f64 v[153:154], v[149:150], v[153:154]
	v_add_f64 v[95:96], v[95:96], v[155:156]
	s_clause 0x2
	buffer_load_dword v175, off, s[0:3], 0 offset:396
	buffer_load_dword v156, off, s[0:3], 0 offset:372
	;; [unrolled: 1-line block ×3, first 2 shown]
	s_waitcnt vmcnt(58) lgkmcnt(0)
	v_mul_f64 v[159:160], v[1:2], v[103:104]
	v_mul_f64 v[103:104], v[3:4], v[103:104]
	s_waitcnt vmcnt(56)
	v_fma_f64 v[99:100], v[91:92], v[105:106], -v[99:100]
	ds_read_b128 v[149:152], v148 offset:848
	v_fma_f64 v[105:106], v[93:94], v[105:106], v[177:178]
	v_add_f64 v[153:154], v[153:154], v[157:158]
	v_add_f64 v[95:96], v[95:96], v[111:112]
	s_clause 0x4
	buffer_load_dword v112, off, s[0:3], 0 offset:412
	buffer_load_dword v157, off, s[0:3], 0 offset:424
	;; [unrolled: 1-line block ×5, first 2 shown]
	ds_read_b128 v[91:94], v148 offset:864
	s_waitcnt vmcnt(57) lgkmcnt(1)
	v_mul_f64 v[178:179], v[149:150], v[107:108]
	v_mul_f64 v[107:108], v[151:152], v[107:108]
	s_waitcnt vmcnt(56)
	v_fma_f64 v[103:104], v[1:2], v[97:98], -v[103:104]
	v_fma_f64 v[97:98], v[3:4], v[97:98], v[159:160]
	v_add_f64 v[99:100], v[153:154], v[99:100]
	v_add_f64 v[95:96], v[95:96], v[105:106]
	s_clause 0x2
	buffer_load_dword v158, off, s[0:3], 0 offset:428
	buffer_load_dword v106, off, s[0:3], 0 offset:404
	;; [unrolled: 1-line block ×3, first 2 shown]
	s_waitcnt vmcnt(58) lgkmcnt(0)
	v_mul_f64 v[153:154], v[91:92], v[113:114]
	v_mul_f64 v[113:114], v[93:94], v[113:114]
	s_waitcnt vmcnt(56)
	v_fma_f64 v[107:108], v[149:150], v[115:116], -v[107:108]
	ds_read_b128 v[1:4], v148 offset:880
	v_add_f64 v[99:100], v[99:100], v[103:104]
	v_fma_f64 v[103:104], v[151:152], v[115:116], v[178:179]
	v_add_f64 v[115:116], v[95:96], v[97:98]
	s_clause 0x4
	buffer_load_dword v150, off, s[0:3], 0 offset:444
	buffer_load_dword v151, off, s[0:3], 0 offset:456
	;; [unrolled: 1-line block ×5, first 2 shown]
	ds_read_b128 v[95:98], v148 offset:896
	s_waitcnt vmcnt(57) lgkmcnt(1)
	v_mul_f64 v[178:179], v[1:2], v[117:118]
	v_mul_f64 v[117:118], v[3:4], v[117:118]
	s_waitcnt vmcnt(56)
	v_fma_f64 v[113:114], v[91:92], v[101:102], -v[113:114]
	v_fma_f64 v[101:102], v[93:94], v[101:102], v[153:154]
	v_add_f64 v[99:100], v[99:100], v[107:108]
	s_clause 0x2
	buffer_load_dword v152, off, s[0:3], 0 offset:460
	buffer_load_dword v108, off, s[0:3], 0 offset:436
	;; [unrolled: 1-line block ×3, first 2 shown]
	v_add_f64 v[103:104], v[115:116], v[103:104]
	s_waitcnt vmcnt(58) lgkmcnt(0)
	v_mul_f64 v[115:116], v[95:96], v[121:122]
	v_mul_f64 v[121:122], v[97:98], v[121:122]
	ds_read_b128 v[91:94], v148 offset:912
	s_waitcnt vmcnt(56)
	v_fma_f64 v[117:118], v[1:2], v[123:124], -v[117:118]
	v_add_f64 v[99:100], v[99:100], v[113:114]
	v_fma_f64 v[113:114], v[3:4], v[123:124], v[178:179]
	v_add_f64 v[101:102], v[103:104], v[101:102]
	s_clause 0x4
	buffer_load_dword v104, off, s[0:3], 0 offset:476
	buffer_load_dword v123, off, s[0:3], 0 offset:488
	;; [unrolled: 1-line block ×5, first 2 shown]
	s_waitcnt vmcnt(57) lgkmcnt(0)
	v_mul_f64 v[178:179], v[91:92], v[125:126]
	v_mul_f64 v[125:126], v[93:94], v[125:126]
	s_waitcnt vmcnt(56)
	v_fma_f64 v[121:122], v[95:96], v[109:110], -v[121:122]
	ds_read_b128 v[1:4], v148 offset:928
	v_fma_f64 v[109:110], v[97:98], v[109:110], v[115:116]
	v_add_f64 v[99:100], v[99:100], v[117:118]
	v_add_f64 v[101:102], v[101:102], v[113:114]
	s_clause 0x2
	buffer_load_dword v124, off, s[0:3], 0 offset:492
	buffer_load_dword v114, off, s[0:3], 0 offset:468
	;; [unrolled: 1-line block ×3, first 2 shown]
	ds_read_b128 v[95:98], v148 offset:944
	s_waitcnt vmcnt(58) lgkmcnt(1)
	v_mul_f64 v[117:118], v[3:4], v[129:130]
	s_waitcnt vmcnt(56)
	v_fma_f64 v[125:126], v[91:92], v[131:132], -v[125:126]
	v_mul_f64 v[115:116], v[1:2], v[129:130]
	v_add_f64 v[99:100], v[99:100], v[121:122]
	v_fma_f64 v[121:122], v[93:94], v[131:132], v[178:179]
	v_add_f64 v[101:102], v[101:102], v[109:110]
	s_clause 0x4
	buffer_load_dword v110, off, s[0:3], 0 offset:508
	buffer_load_dword v129, off, s[0:3], 0 offset:520
	;; [unrolled: 1-line block ×5, first 2 shown]
	s_waitcnt vmcnt(57) lgkmcnt(0)
	v_mul_f64 v[178:179], v[95:96], v[133:134]
	v_mul_f64 v[132:133], v[97:98], v[133:134]
	s_waitcnt vmcnt(56)
	v_fma_f64 v[117:118], v[1:2], v[119:120], -v[117:118]
	ds_read_b128 v[91:94], v148 offset:960
	v_fma_f64 v[115:116], v[3:4], v[119:120], v[115:116]
	s_clause 0x2
	buffer_load_dword v130, off, s[0:3], 0 offset:524
	buffer_load_dword v120, off, s[0:3], 0 offset:500
	;; [unrolled: 1-line block ×3, first 2 shown]
	ds_read_b128 v[1:4], v148 offset:976
	v_add_f64 v[99:100], v[99:100], v[125:126]
	v_add_f64 v[101:102], v[101:102], v[121:122]
	s_waitcnt vmcnt(58) lgkmcnt(1)
	v_mul_f64 v[125:126], v[93:94], v[137:138]
	s_waitcnt vmcnt(56)
	v_fma_f64 v[133:134], v[95:96], v[139:140], -v[132:133]
	v_mul_f64 v[121:122], v[91:92], v[137:138]
	v_add_f64 v[99:100], v[99:100], v[117:118]
	v_fma_f64 v[117:118], v[97:98], v[139:140], v[178:179]
	v_add_f64 v[101:102], v[101:102], v[115:116]
	s_clause 0x4
	buffer_load_dword v116, off, s[0:3], 0 offset:540
	buffer_load_dword v137, off, s[0:3], 0 offset:552
	;; [unrolled: 1-line block ×5, first 2 shown]
	s_waitcnt vmcnt(57) lgkmcnt(0)
	v_mul_f64 v[178:179], v[1:2], v[141:142]
	v_mul_f64 v[140:141], v[3:4], v[141:142]
	s_waitcnt vmcnt(56)
	v_fma_f64 v[125:126], v[91:92], v[127:128], -v[125:126]
	ds_read_b128 v[95:98], v148 offset:992
	v_fma_f64 v[121:122], v[93:94], v[127:128], v[121:122]
	v_add_f64 v[99:100], v[99:100], v[133:134]
	v_add_f64 v[101:102], v[101:102], v[117:118]
	s_clause 0x2
	buffer_load_dword v138, off, s[0:3], 0 offset:556
	buffer_load_dword v118, off, s[0:3], 0 offset:532
	;; [unrolled: 1-line block ×3, first 2 shown]
	ds_read_b128 v[91:94], v148 offset:1008
	s_waitcnt vmcnt(58) lgkmcnt(1)
	v_mul_f64 v[133:134], v[97:98], v[143:144]
	s_waitcnt vmcnt(56)
	v_fma_f64 v[141:142], v[1:2], v[145:146], -v[140:141]
	v_mul_f64 v[127:128], v[95:96], v[143:144]
	v_add_f64 v[99:100], v[99:100], v[125:126]
	v_fma_f64 v[125:126], v[3:4], v[145:146], v[178:179]
	v_add_f64 v[101:102], v[101:102], v[121:122]
	s_clause 0x4
	buffer_load_dword v122, off, s[0:3], 0 offset:572
	buffer_load_dword v143, off, s[0:3], 0 offset:584
	;; [unrolled: 1-line block ×5, first 2 shown]
	s_waitcnt vmcnt(57) lgkmcnt(0)
	v_mul_f64 v[178:179], v[91:92], v[163:164]
	v_mul_f64 v[163:164], v[93:94], v[163:164]
	s_waitcnt vmcnt(56)
	v_fma_f64 v[133:134], v[95:96], v[135:136], -v[133:134]
	ds_read_b128 v[1:4], v148 offset:1024
	v_fma_f64 v[127:128], v[97:98], v[135:136], v[127:128]
	v_add_f64 v[99:100], v[99:100], v[141:142]
	v_add_f64 v[101:102], v[101:102], v[125:126]
	s_clause 0x2
	buffer_load_dword v144, off, s[0:3], 0 offset:588
	buffer_load_dword v126, off, s[0:3], 0 offset:564
	;; [unrolled: 1-line block ×3, first 2 shown]
	ds_read_b128 v[95:98], v148 offset:1040
	s_waitcnt vmcnt(58) lgkmcnt(1)
	v_mul_f64 v[141:142], v[3:4], v[165:166]
	s_waitcnt vmcnt(56)
	v_fma_f64 v[163:164], v[91:92], v[170:171], -v[163:164]
	v_mul_f64 v[135:136], v[1:2], v[165:166]
	v_add_f64 v[99:100], v[99:100], v[133:134]
	v_fma_f64 v[133:134], v[93:94], v[170:171], v[178:179]
	v_add_f64 v[101:102], v[101:102], v[127:128]
	s_clause 0x4
	buffer_load_dword v128, off, s[0:3], 0 offset:604
	buffer_load_dword v165, off, s[0:3], 0 offset:616
	;; [unrolled: 1-line block ×5, first 2 shown]
	ds_read_b128 v[91:94], v148 offset:1056
	s_waitcnt vmcnt(57) lgkmcnt(1)
	v_mul_f64 v[170:171], v[95:96], v[161:162]
	v_mul_f64 v[161:162], v[97:98], v[161:162]
	s_waitcnt vmcnt(56)
	v_fma_f64 v[141:142], v[1:2], v[167:168], -v[141:142]
	v_fma_f64 v[135:136], v[3:4], v[167:168], v[135:136]
	v_add_f64 v[99:100], v[99:100], v[163:164]
	v_add_f64 v[101:102], v[101:102], v[133:134]
	s_clause 0x2
	buffer_load_dword v166, off, s[0:3], 0 offset:620
	buffer_load_dword v134, off, s[0:3], 0 offset:596
	;; [unrolled: 1-line block ×3, first 2 shown]
	ds_read_b128 v[1:4], v148 offset:1072
	s_waitcnt vmcnt(58) lgkmcnt(1)
	v_mul_f64 v[167:168], v[93:94], v[174:175]
	v_mul_f64 v[163:164], v[91:92], v[174:175]
	s_waitcnt vmcnt(56)
	v_fma_f64 v[161:162], v[95:96], v[155:156], -v[161:162]
	v_add_f64 v[99:100], v[99:100], v[141:142]
	v_fma_f64 v[141:142], v[97:98], v[155:156], v[170:171]
	v_add_f64 v[101:102], v[101:102], v[135:136]
	s_clause 0x4
	buffer_load_dword v136, off, s[0:3], 0 offset:636
	buffer_load_dword v155, off, s[0:3], 0 offset:648
	;; [unrolled: 1-line block ×5, first 2 shown]
	ds_read_b128 v[95:98], v148 offset:1088
	s_waitcnt vmcnt(57) lgkmcnt(1)
	v_mul_f64 v[178:179], v[1:2], v[111:112]
	v_mul_f64 v[111:112], v[3:4], v[111:112]
	s_waitcnt vmcnt(56)
	v_fma_f64 v[167:168], v[91:92], v[176:177], -v[167:168]
	v_add_f64 v[99:100], v[99:100], v[161:162]
	v_fma_f64 v[161:162], v[93:94], v[176:177], v[163:164]
	v_add_f64 v[101:102], v[101:102], v[141:142]
	s_clause 0x2
	buffer_load_dword v156, off, s[0:3], 0 offset:652
	buffer_load_dword v142, off, s[0:3], 0 offset:628
	;; [unrolled: 1-line block ×3, first 2 shown]
	ds_read_b128 v[91:94], v148 offset:1104
	s_waitcnt vmcnt(58) lgkmcnt(1)
	v_mul_f64 v[163:164], v[95:96], v[157:158]
	v_mul_f64 v[157:158], v[97:98], v[157:158]
	s_waitcnt vmcnt(56)
	v_fma_f64 v[111:112], v[1:2], v[105:106], -v[111:112]
	v_fma_f64 v[105:106], v[3:4], v[105:106], v[178:179]
	v_add_f64 v[99:100], v[99:100], v[167:168]
	v_add_f64 v[101:102], v[101:102], v[161:162]
	s_clause 0x4
	buffer_load_dword v162, off, s[0:3], 0 offset:668
	buffer_load_dword v167, off, s[0:3], 0 offset:680
	;; [unrolled: 1-line block ×5, first 2 shown]
	ds_read_b128 v[1:4], v148 offset:1120
	s_waitcnt vmcnt(57) lgkmcnt(1)
	v_mul_f64 v[176:177], v[91:92], v[149:150]
	v_mul_f64 v[149:150], v[93:94], v[149:150]
	s_waitcnt vmcnt(56)
	v_fma_f64 v[157:158], v[95:96], v[172:173], -v[157:158]
	v_add_f64 v[99:100], v[99:100], v[111:112]
	v_fma_f64 v[111:112], v[97:98], v[172:173], v[163:164]
	v_add_f64 v[101:102], v[101:102], v[105:106]
	s_clause 0x2
	buffer_load_dword v168, off, s[0:3], 0 offset:684
	buffer_load_dword v106, off, s[0:3], 0 offset:660
	;; [unrolled: 1-line block ×3, first 2 shown]
	ds_read_b128 v[95:98], v148 offset:1136
	s_waitcnt vmcnt(58) lgkmcnt(1)
	v_mul_f64 v[163:164], v[1:2], v[151:152]
	v_mul_f64 v[151:152], v[3:4], v[151:152]
	s_waitcnt vmcnt(56)
	v_fma_f64 v[149:150], v[91:92], v[107:108], -v[149:150]
	v_fma_f64 v[107:108], v[93:94], v[107:108], v[176:177]
	v_add_f64 v[99:100], v[99:100], v[157:158]
	v_add_f64 v[101:102], v[101:102], v[111:112]
	s_clause 0x2
	buffer_load_dword v112, off, s[0:3], 0 offset:700
	buffer_load_dword v111, off, s[0:3], 0 offset:696
	;; [unrolled: 1-line block ×3, first 2 shown]
	ds_read_b128 v[91:94], v148 offset:1152
	s_waitcnt vmcnt(55) lgkmcnt(1)
	v_mul_f64 v[157:158], v[95:96], v[103:104]
	v_mul_f64 v[103:104], v[97:98], v[103:104]
	s_waitcnt vmcnt(54)
	v_fma_f64 v[151:152], v[1:2], v[159:160], -v[151:152]
	v_add_f64 v[99:100], v[99:100], v[149:150]
	v_fma_f64 v[149:150], v[3:4], v[159:160], v[163:164]
	v_add_f64 v[101:102], v[101:102], v[107:108]
	s_clause 0x1
	buffer_load_dword v108, off, s[0:3], 0 offset:692
	buffer_load_dword v107, off, s[0:3], 0 offset:688
	ds_read_b128 v[1:4], v148 offset:1168
	s_waitcnt vmcnt(55) lgkmcnt(1)
	v_mul_f64 v[159:160], v[91:92], v[123:124]
	v_mul_f64 v[123:124], v[93:94], v[123:124]
	s_waitcnt vmcnt(53)
	v_fma_f64 v[103:104], v[95:96], v[113:114], -v[103:104]
	v_fma_f64 v[113:114], v[97:98], v[113:114], v[157:158]
	ds_read_b128 v[95:98], v148 offset:1184
	v_add_f64 v[99:100], v[99:100], v[151:152]
	v_add_f64 v[101:102], v[101:102], v[149:150]
	s_waitcnt vmcnt(49) lgkmcnt(1)
	v_mul_f64 v[149:150], v[1:2], v[109:110]
	v_mul_f64 v[109:110], v[3:4], v[109:110]
	s_waitcnt vmcnt(48)
	v_fma_f64 v[123:124], v[91:92], v[153:154], -v[123:124]
	v_add_f64 v[99:100], v[99:100], v[103:104]
	v_fma_f64 v[103:104], v[93:94], v[153:154], v[159:160]
	v_add_f64 v[101:102], v[101:102], v[113:114]
	s_clause 0x3
	buffer_load_dword v113, off, s[0:3], 0 offset:80
	buffer_load_dword v114, off, s[0:3], 0 offset:84
	;; [unrolled: 1-line block ×4, first 2 shown]
	s_waitcnt vmcnt(51) lgkmcnt(0)
	v_mul_f64 v[153:154], v[95:96], v[129:130]
	v_mul_f64 v[129:130], v[97:98], v[129:130]
	ds_read_b128 v[91:94], v148 offset:1200
	s_waitcnt vmcnt(49)
	v_fma_f64 v[109:110], v[1:2], v[119:120], -v[109:110]
	v_fma_f64 v[119:120], v[3:4], v[119:120], v[149:150]
	ds_read_b128 v[1:4], v148 offset:1216
	v_add_f64 v[99:100], v[99:100], v[123:124]
	v_add_f64 v[101:102], v[101:102], v[103:104]
	s_waitcnt vmcnt(45) lgkmcnt(1)
	v_mul_f64 v[103:104], v[91:92], v[115:116]
	v_mul_f64 v[115:116], v[93:94], v[115:116]
	s_waitcnt vmcnt(44)
	v_fma_f64 v[123:124], v[95:96], v[131:132], -v[129:130]
	v_add_f64 v[99:100], v[99:100], v[109:110]
	v_fma_f64 v[109:110], v[97:98], v[131:132], v[153:154]
	v_add_f64 v[101:102], v[101:102], v[119:120]
	ds_read_b128 v[95:98], v148 offset:1232
	s_waitcnt vmcnt(43) lgkmcnt(1)
	v_mul_f64 v[129:130], v[3:4], v[137:138]
	v_mul_f64 v[119:120], v[1:2], v[137:138]
	s_waitcnt vmcnt(41)
	v_fma_f64 v[115:116], v[91:92], v[117:118], -v[115:116]
	v_fma_f64 v[103:104], v[93:94], v[117:118], v[103:104]
	ds_read_b128 v[91:94], v148 offset:1248
	v_add_f64 v[99:100], v[99:100], v[123:124]
	v_add_f64 v[101:102], v[101:102], v[109:110]
	s_waitcnt vmcnt(37) lgkmcnt(1)
	v_mul_f64 v[109:110], v[95:96], v[121:122]
	v_mul_f64 v[117:118], v[97:98], v[121:122]
	s_waitcnt vmcnt(36)
	v_fma_f64 v[121:122], v[1:2], v[139:140], -v[129:130]
	v_add_f64 v[99:100], v[99:100], v[115:116]
	v_fma_f64 v[115:116], v[3:4], v[139:140], v[119:120]
	v_add_f64 v[101:102], v[101:102], v[103:104]
	ds_read_b128 v[1:4], v148 offset:1264
	s_waitcnt vmcnt(35) lgkmcnt(1)
	v_mul_f64 v[119:120], v[93:94], v[143:144]
	v_mul_f64 v[103:104], v[91:92], v[143:144]
	s_waitcnt vmcnt(33)
	v_fma_f64 v[117:118], v[95:96], v[125:126], -v[117:118]
	v_fma_f64 v[109:110], v[97:98], v[125:126], v[109:110]
	ds_read_b128 v[95:98], v148 offset:1280
	v_add_f64 v[99:100], v[99:100], v[121:122]
	v_add_f64 v[101:102], v[101:102], v[115:116]
	s_waitcnt vmcnt(29) lgkmcnt(1)
	v_mul_f64 v[121:122], v[3:4], v[127:128]
	s_waitcnt vmcnt(28)
	v_fma_f64 v[119:120], v[91:92], v[145:146], -v[119:120]
	v_mul_f64 v[115:116], v[1:2], v[127:128]
	v_fma_f64 v[103:104], v[93:94], v[145:146], v[103:104]
	ds_read_b128 v[91:94], v148 offset:1296
	v_add_f64 v[99:100], v[99:100], v[117:118]
	v_add_f64 v[101:102], v[101:102], v[109:110]
	s_waitcnt vmcnt(27) lgkmcnt(1)
	v_mul_f64 v[117:118], v[97:98], v[165:166]
	v_mul_f64 v[109:110], v[95:96], v[165:166]
	s_waitcnt vmcnt(25)
	v_fma_f64 v[121:122], v[1:2], v[133:134], -v[121:122]
	v_fma_f64 v[115:116], v[3:4], v[133:134], v[115:116]
	ds_read_b128 v[1:4], v148 offset:1312
	v_add_f64 v[99:100], v[99:100], v[119:120]
	v_add_f64 v[101:102], v[101:102], v[103:104]
	s_waitcnt vmcnt(21) lgkmcnt(1)
	v_mul_f64 v[119:120], v[93:94], v[135:136]
	s_waitcnt vmcnt(20)
	v_fma_f64 v[117:118], v[95:96], v[169:170], -v[117:118]
	v_mul_f64 v[103:104], v[91:92], v[135:136]
	v_fma_f64 v[109:110], v[97:98], v[169:170], v[109:110]
	ds_read_b128 v[95:98], v148 offset:1328
	v_add_f64 v[99:100], v[99:100], v[121:122]
	v_add_f64 v[101:102], v[101:102], v[115:116]
	s_waitcnt vmcnt(19) lgkmcnt(1)
	v_mul_f64 v[121:122], v[3:4], v[155:156]
	v_mul_f64 v[115:116], v[1:2], v[155:156]
	s_waitcnt vmcnt(17)
	v_fma_f64 v[119:120], v[91:92], v[141:142], -v[119:120]
	v_fma_f64 v[103:104], v[93:94], v[141:142], v[103:104]
	ds_read_b128 v[91:94], v148 offset:1344
	v_add_f64 v[99:100], v[99:100], v[117:118]
	v_add_f64 v[101:102], v[101:102], v[109:110]
	s_waitcnt vmcnt(13) lgkmcnt(1)
	v_mul_f64 v[117:118], v[97:98], v[161:162]
	s_waitcnt vmcnt(12)
	v_fma_f64 v[121:122], v[1:2], v[174:175], -v[121:122]
	v_mul_f64 v[109:110], v[95:96], v[161:162]
	v_fma_f64 v[115:116], v[3:4], v[174:175], v[115:116]
	ds_read_b128 v[1:4], v148 offset:1360
	v_add_f64 v[99:100], v[99:100], v[119:120]
	v_add_f64 v[101:102], v[101:102], v[103:104]
	s_waitcnt vmcnt(11) lgkmcnt(1)
	v_mul_f64 v[119:120], v[93:94], v[167:168]
	v_mul_f64 v[103:104], v[91:92], v[167:168]
	s_waitcnt vmcnt(9)
	v_fma_f64 v[95:96], v[95:96], v[105:106], -v[117:118]
	v_fma_f64 v[97:98], v[97:98], v[105:106], v[109:110]
	v_add_f64 v[99:100], v[99:100], v[121:122]
	v_add_f64 v[101:102], v[101:102], v[115:116]
	s_waitcnt vmcnt(7) lgkmcnt(0)
	v_mul_f64 v[109:110], v[3:4], v[111:112]
	s_waitcnt vmcnt(6)
	v_fma_f64 v[91:92], v[91:92], v[171:172], -v[119:120]
	v_mul_f64 v[105:106], v[1:2], v[111:112]
	v_fma_f64 v[93:94], v[93:94], v[171:172], v[103:104]
	v_add_f64 v[95:96], v[99:100], v[95:96]
	v_add_f64 v[97:98], v[101:102], v[97:98]
	s_waitcnt vmcnt(4)
	v_fma_f64 v[1:2], v[1:2], v[107:108], -v[109:110]
	v_fma_f64 v[3:4], v[3:4], v[107:108], v[105:106]
	v_add_f64 v[91:92], v[95:96], v[91:92]
	v_add_f64 v[93:94], v[97:98], v[93:94]
	v_add_f64 v[1:2], v[91:92], v[1:2]
	v_add_f64 v[3:4], v[93:94], v[3:4]
	s_waitcnt vmcnt(2)
	v_add_f64 v[1:2], v[113:114], -v[1:2]
	s_waitcnt vmcnt(0)
	v_add_f64 v[3:4], v[151:152], -v[3:4]
	buffer_store_dword v2, off, s[0:3], 0 offset:84
	buffer_store_dword v1, off, s[0:3], 0 offset:80
	buffer_store_dword v4, off, s[0:3], 0 offset:92
	buffer_store_dword v3, off, s[0:3], 0 offset:88
	v_cmpx_lt_u32_e32 3, v0
	s_cbranch_execz .LBB106_265
; %bb.264:
	v_mov_b32_e32 v4, s52
	v_mov_b32_e32 v91, 0
	s_clause 0x3
	buffer_load_dword v1, v4, s[0:3], 0 offen
	buffer_load_dword v2, v4, s[0:3], 0 offen offset:4
	buffer_load_dword v3, v4, s[0:3], 0 offen offset:8
	;; [unrolled: 1-line block ×3, first 2 shown]
	buffer_store_dword v91, off, s[0:3], 0 offset:64
	buffer_store_dword v91, off, s[0:3], 0 offset:68
	;; [unrolled: 1-line block ×4, first 2 shown]
	s_waitcnt vmcnt(0)
	ds_write_b128 v147, v[1:4]
.LBB106_265:
	s_or_b32 exec_lo, exec_lo, s4
	s_waitcnt lgkmcnt(0)
	s_waitcnt_vscnt null, 0x0
	s_barrier
	buffer_gl0_inv
	s_clause 0x37
	buffer_load_dword v95, off, s[0:3], 0 offset:88
	buffer_load_dword v96, off, s[0:3], 0 offset:92
	;; [unrolled: 1-line block ×56, first 2 shown]
	v_mov_b32_e32 v148, 0
	s_mov_b32 s4, exec_lo
	ds_read_b128 v[149:152], v148 offset:752
	s_clause 0x2
	buffer_load_dword v144, off, s[0:3], 0 offset:316
	buffer_load_dword v146, off, s[0:3], 0 offset:292
	;; [unrolled: 1-line block ×3, first 2 shown]
	ds_read_b128 v[153:156], v148 offset:768
	s_clause 0x4
	buffer_load_dword v164, off, s[0:3], 0 offset:332
	buffer_load_dword v165, off, s[0:3], 0 offset:344
	;; [unrolled: 1-line block ×5, first 2 shown]
	ds_read_b128 v[157:160], v148 offset:784
	s_clause 0x2
	buffer_load_dword v166, off, s[0:3], 0 offset:348
	buffer_load_dword v171, off, s[0:3], 0 offset:324
	;; [unrolled: 1-line block ×3, first 2 shown]
	s_waitcnt vmcnt(62) lgkmcnt(2)
	v_mul_f64 v[161:162], v[151:152], v[95:96]
	v_mul_f64 v[95:96], v[149:150], v[95:96]
	s_waitcnt lgkmcnt(1)
	v_mul_f64 v[168:169], v[155:156], v[91:92]
	s_waitcnt vmcnt(59) lgkmcnt(0)
	v_mul_f64 v[172:173], v[159:160], v[3:4]
	v_fma_f64 v[149:150], v[149:150], v[93:94], -v[161:162]
	v_mul_f64 v[161:162], v[153:154], v[91:92]
	v_fma_f64 v[95:96], v[151:152], v[93:94], v[95:96]
	s_waitcnt vmcnt(57)
	v_fma_f64 v[153:154], v[153:154], v[1:2], -v[168:169]
	ds_read_b128 v[91:94], v148 offset:800
	v_mul_f64 v[151:152], v[157:158], v[3:4]
	s_waitcnt vmcnt(51)
	v_fma_f64 v[157:158], v[157:158], v[111:112], -v[172:173]
	v_add_f64 v[149:150], v[149:150], 0
	v_fma_f64 v[155:156], v[155:156], v[1:2], v[161:162]
	v_add_f64 v[95:96], v[95:96], 0
	s_clause 0x4
	buffer_load_dword v162, off, s[0:3], 0 offset:364
	buffer_load_dword v174, off, s[0:3], 0 offset:376
	;; [unrolled: 1-line block ×5, first 2 shown]
	s_waitcnt lgkmcnt(0)
	v_mul_f64 v[177:178], v[91:92], v[99:100]
	v_mul_f64 v[99:100], v[93:94], v[99:100]
	ds_read_b128 v[1:4], v148 offset:816
	v_fma_f64 v[111:112], v[159:160], v[111:112], v[151:152]
	v_add_f64 v[153:154], v[149:150], v[153:154]
	v_add_f64 v[95:96], v[95:96], v[155:156]
	s_clause 0x2
	buffer_load_dword v175, off, s[0:3], 0 offset:380
	buffer_load_dword v156, off, s[0:3], 0 offset:356
	;; [unrolled: 1-line block ×3, first 2 shown]
	s_waitcnt vmcnt(58) lgkmcnt(0)
	v_mul_f64 v[159:160], v[1:2], v[103:104]
	v_mul_f64 v[103:104], v[3:4], v[103:104]
	s_waitcnt vmcnt(56)
	v_fma_f64 v[99:100], v[91:92], v[105:106], -v[99:100]
	ds_read_b128 v[149:152], v148 offset:832
	v_fma_f64 v[105:106], v[93:94], v[105:106], v[177:178]
	v_add_f64 v[153:154], v[153:154], v[157:158]
	v_add_f64 v[95:96], v[95:96], v[111:112]
	s_clause 0x4
	buffer_load_dword v112, off, s[0:3], 0 offset:396
	buffer_load_dword v157, off, s[0:3], 0 offset:408
	;; [unrolled: 1-line block ×5, first 2 shown]
	ds_read_b128 v[91:94], v148 offset:848
	s_waitcnt vmcnt(57) lgkmcnt(1)
	v_mul_f64 v[178:179], v[149:150], v[107:108]
	v_mul_f64 v[107:108], v[151:152], v[107:108]
	s_waitcnt vmcnt(56)
	v_fma_f64 v[103:104], v[1:2], v[97:98], -v[103:104]
	v_fma_f64 v[97:98], v[3:4], v[97:98], v[159:160]
	v_add_f64 v[99:100], v[153:154], v[99:100]
	v_add_f64 v[95:96], v[95:96], v[105:106]
	s_clause 0x2
	buffer_load_dword v158, off, s[0:3], 0 offset:412
	buffer_load_dword v106, off, s[0:3], 0 offset:388
	;; [unrolled: 1-line block ×3, first 2 shown]
	s_waitcnt vmcnt(58) lgkmcnt(0)
	v_mul_f64 v[153:154], v[91:92], v[113:114]
	v_mul_f64 v[113:114], v[93:94], v[113:114]
	s_waitcnt vmcnt(56)
	v_fma_f64 v[107:108], v[149:150], v[115:116], -v[107:108]
	ds_read_b128 v[1:4], v148 offset:864
	v_add_f64 v[99:100], v[99:100], v[103:104]
	v_fma_f64 v[103:104], v[151:152], v[115:116], v[178:179]
	v_add_f64 v[115:116], v[95:96], v[97:98]
	s_clause 0x4
	buffer_load_dword v150, off, s[0:3], 0 offset:428
	buffer_load_dword v151, off, s[0:3], 0 offset:440
	buffer_load_dword v159, off, s[0:3], 0 offset:432
	buffer_load_dword v149, off, s[0:3], 0 offset:424
	buffer_load_dword v173, off, s[0:3], 0 offset:404
	ds_read_b128 v[95:98], v148 offset:880
	s_waitcnt vmcnt(57) lgkmcnt(1)
	v_mul_f64 v[178:179], v[1:2], v[117:118]
	v_mul_f64 v[117:118], v[3:4], v[117:118]
	s_waitcnt vmcnt(56)
	v_fma_f64 v[113:114], v[91:92], v[101:102], -v[113:114]
	v_fma_f64 v[101:102], v[93:94], v[101:102], v[153:154]
	v_add_f64 v[99:100], v[99:100], v[107:108]
	s_clause 0x2
	buffer_load_dword v152, off, s[0:3], 0 offset:444
	buffer_load_dword v108, off, s[0:3], 0 offset:420
	;; [unrolled: 1-line block ×3, first 2 shown]
	v_add_f64 v[103:104], v[115:116], v[103:104]
	s_waitcnt vmcnt(58) lgkmcnt(0)
	v_mul_f64 v[115:116], v[95:96], v[121:122]
	v_mul_f64 v[121:122], v[97:98], v[121:122]
	ds_read_b128 v[91:94], v148 offset:896
	s_waitcnt vmcnt(56)
	v_fma_f64 v[117:118], v[1:2], v[123:124], -v[117:118]
	v_add_f64 v[99:100], v[99:100], v[113:114]
	v_fma_f64 v[113:114], v[3:4], v[123:124], v[178:179]
	v_add_f64 v[101:102], v[103:104], v[101:102]
	s_clause 0x4
	buffer_load_dword v104, off, s[0:3], 0 offset:460
	buffer_load_dword v123, off, s[0:3], 0 offset:472
	;; [unrolled: 1-line block ×5, first 2 shown]
	s_waitcnt vmcnt(57) lgkmcnt(0)
	v_mul_f64 v[178:179], v[91:92], v[125:126]
	v_mul_f64 v[125:126], v[93:94], v[125:126]
	s_waitcnt vmcnt(56)
	v_fma_f64 v[121:122], v[95:96], v[109:110], -v[121:122]
	ds_read_b128 v[1:4], v148 offset:912
	v_fma_f64 v[109:110], v[97:98], v[109:110], v[115:116]
	v_add_f64 v[99:100], v[99:100], v[117:118]
	v_add_f64 v[101:102], v[101:102], v[113:114]
	s_clause 0x2
	buffer_load_dword v124, off, s[0:3], 0 offset:476
	buffer_load_dword v114, off, s[0:3], 0 offset:452
	;; [unrolled: 1-line block ×3, first 2 shown]
	ds_read_b128 v[95:98], v148 offset:928
	s_waitcnt vmcnt(58) lgkmcnt(1)
	v_mul_f64 v[117:118], v[3:4], v[129:130]
	s_waitcnt vmcnt(56)
	v_fma_f64 v[125:126], v[91:92], v[131:132], -v[125:126]
	v_mul_f64 v[115:116], v[1:2], v[129:130]
	v_add_f64 v[99:100], v[99:100], v[121:122]
	v_fma_f64 v[121:122], v[93:94], v[131:132], v[178:179]
	v_add_f64 v[101:102], v[101:102], v[109:110]
	s_clause 0x4
	buffer_load_dword v110, off, s[0:3], 0 offset:492
	buffer_load_dword v129, off, s[0:3], 0 offset:504
	;; [unrolled: 1-line block ×5, first 2 shown]
	s_waitcnt vmcnt(57) lgkmcnt(0)
	v_mul_f64 v[178:179], v[95:96], v[133:134]
	v_mul_f64 v[132:133], v[97:98], v[133:134]
	s_waitcnt vmcnt(56)
	v_fma_f64 v[117:118], v[1:2], v[119:120], -v[117:118]
	ds_read_b128 v[91:94], v148 offset:944
	v_fma_f64 v[115:116], v[3:4], v[119:120], v[115:116]
	s_clause 0x2
	buffer_load_dword v130, off, s[0:3], 0 offset:508
	buffer_load_dword v120, off, s[0:3], 0 offset:484
	;; [unrolled: 1-line block ×3, first 2 shown]
	ds_read_b128 v[1:4], v148 offset:960
	v_add_f64 v[99:100], v[99:100], v[125:126]
	v_add_f64 v[101:102], v[101:102], v[121:122]
	s_waitcnt vmcnt(58) lgkmcnt(1)
	v_mul_f64 v[125:126], v[93:94], v[137:138]
	s_waitcnt vmcnt(56)
	v_fma_f64 v[133:134], v[95:96], v[139:140], -v[132:133]
	v_mul_f64 v[121:122], v[91:92], v[137:138]
	v_add_f64 v[99:100], v[99:100], v[117:118]
	v_fma_f64 v[117:118], v[97:98], v[139:140], v[178:179]
	v_add_f64 v[101:102], v[101:102], v[115:116]
	s_clause 0x4
	buffer_load_dword v116, off, s[0:3], 0 offset:524
	buffer_load_dword v137, off, s[0:3], 0 offset:536
	;; [unrolled: 1-line block ×5, first 2 shown]
	s_waitcnt vmcnt(57) lgkmcnt(0)
	v_mul_f64 v[178:179], v[1:2], v[141:142]
	v_mul_f64 v[140:141], v[3:4], v[141:142]
	s_waitcnt vmcnt(56)
	v_fma_f64 v[125:126], v[91:92], v[127:128], -v[125:126]
	ds_read_b128 v[95:98], v148 offset:976
	v_fma_f64 v[121:122], v[93:94], v[127:128], v[121:122]
	v_add_f64 v[99:100], v[99:100], v[133:134]
	v_add_f64 v[101:102], v[101:102], v[117:118]
	s_clause 0x2
	buffer_load_dword v138, off, s[0:3], 0 offset:540
	buffer_load_dword v118, off, s[0:3], 0 offset:516
	buffer_load_dword v117, off, s[0:3], 0 offset:512
	ds_read_b128 v[91:94], v148 offset:992
	s_waitcnt vmcnt(58) lgkmcnt(1)
	v_mul_f64 v[133:134], v[97:98], v[143:144]
	s_waitcnt vmcnt(56)
	v_fma_f64 v[141:142], v[1:2], v[145:146], -v[140:141]
	v_mul_f64 v[127:128], v[95:96], v[143:144]
	v_add_f64 v[99:100], v[99:100], v[125:126]
	v_fma_f64 v[125:126], v[3:4], v[145:146], v[178:179]
	v_add_f64 v[101:102], v[101:102], v[121:122]
	s_clause 0x4
	buffer_load_dword v122, off, s[0:3], 0 offset:556
	buffer_load_dword v143, off, s[0:3], 0 offset:568
	;; [unrolled: 1-line block ×5, first 2 shown]
	s_waitcnt vmcnt(57) lgkmcnt(0)
	v_mul_f64 v[178:179], v[91:92], v[163:164]
	v_mul_f64 v[163:164], v[93:94], v[163:164]
	s_waitcnt vmcnt(56)
	v_fma_f64 v[133:134], v[95:96], v[135:136], -v[133:134]
	ds_read_b128 v[1:4], v148 offset:1008
	v_fma_f64 v[127:128], v[97:98], v[135:136], v[127:128]
	v_add_f64 v[99:100], v[99:100], v[141:142]
	v_add_f64 v[101:102], v[101:102], v[125:126]
	s_clause 0x2
	buffer_load_dword v144, off, s[0:3], 0 offset:572
	buffer_load_dword v126, off, s[0:3], 0 offset:548
	;; [unrolled: 1-line block ×3, first 2 shown]
	ds_read_b128 v[95:98], v148 offset:1024
	s_waitcnt vmcnt(58) lgkmcnt(1)
	v_mul_f64 v[141:142], v[3:4], v[165:166]
	s_waitcnt vmcnt(56)
	v_fma_f64 v[163:164], v[91:92], v[170:171], -v[163:164]
	v_mul_f64 v[135:136], v[1:2], v[165:166]
	v_add_f64 v[99:100], v[99:100], v[133:134]
	v_fma_f64 v[133:134], v[93:94], v[170:171], v[178:179]
	v_add_f64 v[101:102], v[101:102], v[127:128]
	s_clause 0x4
	buffer_load_dword v128, off, s[0:3], 0 offset:588
	buffer_load_dword v165, off, s[0:3], 0 offset:600
	;; [unrolled: 1-line block ×5, first 2 shown]
	ds_read_b128 v[91:94], v148 offset:1040
	s_waitcnt vmcnt(57) lgkmcnt(1)
	v_mul_f64 v[170:171], v[95:96], v[161:162]
	v_mul_f64 v[161:162], v[97:98], v[161:162]
	s_waitcnt vmcnt(56)
	v_fma_f64 v[141:142], v[1:2], v[167:168], -v[141:142]
	v_fma_f64 v[135:136], v[3:4], v[167:168], v[135:136]
	v_add_f64 v[99:100], v[99:100], v[163:164]
	v_add_f64 v[101:102], v[101:102], v[133:134]
	s_clause 0x2
	buffer_load_dword v166, off, s[0:3], 0 offset:604
	buffer_load_dword v134, off, s[0:3], 0 offset:580
	;; [unrolled: 1-line block ×3, first 2 shown]
	ds_read_b128 v[1:4], v148 offset:1056
	s_waitcnt vmcnt(58) lgkmcnt(1)
	v_mul_f64 v[167:168], v[93:94], v[174:175]
	v_mul_f64 v[163:164], v[91:92], v[174:175]
	s_waitcnt vmcnt(56)
	v_fma_f64 v[161:162], v[95:96], v[155:156], -v[161:162]
	v_add_f64 v[99:100], v[99:100], v[141:142]
	v_fma_f64 v[141:142], v[97:98], v[155:156], v[170:171]
	v_add_f64 v[101:102], v[101:102], v[135:136]
	s_clause 0x4
	buffer_load_dword v136, off, s[0:3], 0 offset:620
	buffer_load_dword v155, off, s[0:3], 0 offset:632
	;; [unrolled: 1-line block ×5, first 2 shown]
	ds_read_b128 v[95:98], v148 offset:1072
	s_waitcnt vmcnt(57) lgkmcnt(1)
	v_mul_f64 v[178:179], v[1:2], v[111:112]
	v_mul_f64 v[111:112], v[3:4], v[111:112]
	s_waitcnt vmcnt(56)
	v_fma_f64 v[167:168], v[91:92], v[176:177], -v[167:168]
	v_add_f64 v[99:100], v[99:100], v[161:162]
	v_fma_f64 v[161:162], v[93:94], v[176:177], v[163:164]
	v_add_f64 v[101:102], v[101:102], v[141:142]
	s_clause 0x2
	buffer_load_dword v156, off, s[0:3], 0 offset:636
	buffer_load_dword v142, off, s[0:3], 0 offset:612
	;; [unrolled: 1-line block ×3, first 2 shown]
	ds_read_b128 v[91:94], v148 offset:1088
	s_waitcnt vmcnt(58) lgkmcnt(1)
	v_mul_f64 v[163:164], v[95:96], v[157:158]
	v_mul_f64 v[157:158], v[97:98], v[157:158]
	s_waitcnt vmcnt(56)
	v_fma_f64 v[111:112], v[1:2], v[105:106], -v[111:112]
	v_fma_f64 v[105:106], v[3:4], v[105:106], v[178:179]
	v_add_f64 v[99:100], v[99:100], v[167:168]
	v_add_f64 v[101:102], v[101:102], v[161:162]
	s_clause 0x4
	buffer_load_dword v162, off, s[0:3], 0 offset:652
	buffer_load_dword v167, off, s[0:3], 0 offset:664
	;; [unrolled: 1-line block ×5, first 2 shown]
	ds_read_b128 v[1:4], v148 offset:1104
	s_waitcnt vmcnt(57) lgkmcnt(1)
	v_mul_f64 v[176:177], v[91:92], v[149:150]
	v_mul_f64 v[149:150], v[93:94], v[149:150]
	s_waitcnt vmcnt(56)
	v_fma_f64 v[157:158], v[95:96], v[172:173], -v[157:158]
	v_add_f64 v[99:100], v[99:100], v[111:112]
	v_fma_f64 v[111:112], v[97:98], v[172:173], v[163:164]
	v_add_f64 v[101:102], v[101:102], v[105:106]
	s_clause 0x2
	buffer_load_dword v168, off, s[0:3], 0 offset:668
	buffer_load_dword v106, off, s[0:3], 0 offset:644
	;; [unrolled: 1-line block ×3, first 2 shown]
	ds_read_b128 v[95:98], v148 offset:1120
	s_waitcnt vmcnt(58) lgkmcnt(1)
	v_mul_f64 v[163:164], v[1:2], v[151:152]
	v_mul_f64 v[151:152], v[3:4], v[151:152]
	s_waitcnt vmcnt(56)
	v_fma_f64 v[149:150], v[91:92], v[107:108], -v[149:150]
	v_fma_f64 v[107:108], v[93:94], v[107:108], v[176:177]
	v_add_f64 v[99:100], v[99:100], v[157:158]
	v_add_f64 v[101:102], v[101:102], v[111:112]
	s_clause 0x4
	buffer_load_dword v112, off, s[0:3], 0 offset:684
	buffer_load_dword v157, off, s[0:3], 0 offset:696
	;; [unrolled: 1-line block ×5, first 2 shown]
	ds_read_b128 v[91:94], v148 offset:1136
	s_waitcnt vmcnt(57) lgkmcnt(1)
	v_mul_f64 v[177:178], v[95:96], v[103:104]
	v_mul_f64 v[103:104], v[97:98], v[103:104]
	s_waitcnt vmcnt(56)
	v_fma_f64 v[151:152], v[1:2], v[159:160], -v[151:152]
	v_add_f64 v[99:100], v[99:100], v[149:150]
	v_fma_f64 v[149:150], v[3:4], v[159:160], v[163:164]
	v_add_f64 v[101:102], v[101:102], v[107:108]
	s_clause 0x2
	buffer_load_dword v158, off, s[0:3], 0 offset:700
	buffer_load_dword v108, off, s[0:3], 0 offset:676
	buffer_load_dword v107, off, s[0:3], 0 offset:672
	ds_read_b128 v[1:4], v148 offset:1152
	s_waitcnt vmcnt(58) lgkmcnt(1)
	v_mul_f64 v[159:160], v[91:92], v[123:124]
	v_mul_f64 v[123:124], v[93:94], v[123:124]
	s_waitcnt vmcnt(56)
	v_fma_f64 v[103:104], v[95:96], v[113:114], -v[103:104]
	v_fma_f64 v[113:114], v[97:98], v[113:114], v[177:178]
	buffer_load_dword v177, off, s[0:3], 0 offset:692
	ds_read_b128 v[95:98], v148 offset:1168
	v_add_f64 v[99:100], v[99:100], v[151:152]
	v_add_f64 v[101:102], v[101:102], v[149:150]
	s_waitcnt vmcnt(53) lgkmcnt(1)
	v_mul_f64 v[149:150], v[1:2], v[109:110]
	v_mul_f64 v[109:110], v[3:4], v[109:110]
	s_waitcnt vmcnt(52)
	v_fma_f64 v[123:124], v[91:92], v[153:154], -v[123:124]
	v_add_f64 v[99:100], v[99:100], v[103:104]
	v_fma_f64 v[103:104], v[93:94], v[153:154], v[159:160]
	v_add_f64 v[101:102], v[101:102], v[113:114]
	s_waitcnt vmcnt(51) lgkmcnt(0)
	v_mul_f64 v[113:114], v[95:96], v[129:130]
	v_mul_f64 v[129:130], v[97:98], v[129:130]
	ds_read_b128 v[91:94], v148 offset:1184
	s_waitcnt vmcnt(49)
	v_fma_f64 v[109:110], v[1:2], v[119:120], -v[109:110]
	v_fma_f64 v[119:120], v[3:4], v[119:120], v[149:150]
	v_add_f64 v[99:100], v[99:100], v[123:124]
	v_add_f64 v[101:102], v[101:102], v[103:104]
	s_clause 0x3
	buffer_load_dword v103, off, s[0:3], 0 offset:64
	buffer_load_dword v104, off, s[0:3], 0 offset:68
	buffer_load_dword v123, off, s[0:3], 0 offset:72
	buffer_load_dword v124, off, s[0:3], 0 offset:76
	ds_read_b128 v[1:4], v148 offset:1200
	s_waitcnt vmcnt(49) lgkmcnt(1)
	v_mul_f64 v[149:150], v[91:92], v[115:116]
	v_mul_f64 v[115:116], v[93:94], v[115:116]
	s_waitcnt vmcnt(48)
	v_fma_f64 v[129:130], v[95:96], v[131:132], -v[129:130]
	v_add_f64 v[99:100], v[99:100], v[109:110]
	v_fma_f64 v[109:110], v[97:98], v[131:132], v[113:114]
	v_add_f64 v[101:102], v[101:102], v[119:120]
	ds_read_b128 v[95:98], v148 offset:1216
	s_waitcnt vmcnt(47) lgkmcnt(1)
	v_mul_f64 v[119:120], v[3:4], v[137:138]
	v_mul_f64 v[113:114], v[1:2], v[137:138]
	s_waitcnt vmcnt(45)
	v_fma_f64 v[115:116], v[91:92], v[117:118], -v[115:116]
	v_fma_f64 v[117:118], v[93:94], v[117:118], v[149:150]
	ds_read_b128 v[91:94], v148 offset:1232
	v_add_f64 v[99:100], v[99:100], v[129:130]
	v_add_f64 v[101:102], v[101:102], v[109:110]
	s_waitcnt vmcnt(41) lgkmcnt(1)
	v_mul_f64 v[109:110], v[95:96], v[121:122]
	v_mul_f64 v[121:122], v[97:98], v[121:122]
	s_waitcnt vmcnt(40)
	v_fma_f64 v[119:120], v[1:2], v[139:140], -v[119:120]
	v_fma_f64 v[113:114], v[3:4], v[139:140], v[113:114]
	ds_read_b128 v[1:4], v148 offset:1248
	v_add_f64 v[99:100], v[99:100], v[115:116]
	v_add_f64 v[101:102], v[101:102], v[117:118]
	s_waitcnt vmcnt(39) lgkmcnt(1)
	v_mul_f64 v[117:118], v[93:94], v[143:144]
	v_mul_f64 v[115:116], v[91:92], v[143:144]
	s_waitcnt vmcnt(37)
	v_fma_f64 v[121:122], v[95:96], v[125:126], -v[121:122]
	v_fma_f64 v[109:110], v[97:98], v[125:126], v[109:110]
	ds_read_b128 v[95:98], v148 offset:1264
	v_add_f64 v[99:100], v[99:100], v[119:120]
	v_add_f64 v[101:102], v[101:102], v[113:114]
	s_waitcnt vmcnt(33) lgkmcnt(1)
	v_mul_f64 v[119:120], v[3:4], v[127:128]
	s_waitcnt vmcnt(32)
	v_fma_f64 v[117:118], v[91:92], v[145:146], -v[117:118]
	v_mul_f64 v[113:114], v[1:2], v[127:128]
	v_fma_f64 v[115:116], v[93:94], v[145:146], v[115:116]
	ds_read_b128 v[91:94], v148 offset:1280
	v_add_f64 v[99:100], v[99:100], v[121:122]
	v_add_f64 v[101:102], v[101:102], v[109:110]
	s_waitcnt vmcnt(31) lgkmcnt(1)
	v_mul_f64 v[121:122], v[97:98], v[165:166]
	v_mul_f64 v[109:110], v[95:96], v[165:166]
	s_waitcnt vmcnt(29)
	v_fma_f64 v[119:120], v[1:2], v[133:134], -v[119:120]
	v_fma_f64 v[113:114], v[3:4], v[133:134], v[113:114]
	ds_read_b128 v[1:4], v148 offset:1296
	v_add_f64 v[99:100], v[99:100], v[117:118]
	v_add_f64 v[101:102], v[101:102], v[115:116]
	s_waitcnt vmcnt(25) lgkmcnt(1)
	v_mul_f64 v[117:118], v[93:94], v[135:136]
	s_waitcnt vmcnt(24)
	v_fma_f64 v[121:122], v[95:96], v[169:170], -v[121:122]
	v_mul_f64 v[115:116], v[91:92], v[135:136]
	v_fma_f64 v[109:110], v[97:98], v[169:170], v[109:110]
	ds_read_b128 v[95:98], v148 offset:1312
	v_add_f64 v[99:100], v[99:100], v[119:120]
	v_add_f64 v[101:102], v[101:102], v[113:114]
	s_waitcnt vmcnt(23) lgkmcnt(1)
	v_mul_f64 v[119:120], v[3:4], v[155:156]
	v_mul_f64 v[113:114], v[1:2], v[155:156]
	s_waitcnt vmcnt(21)
	v_fma_f64 v[117:118], v[91:92], v[141:142], -v[117:118]
	v_fma_f64 v[115:116], v[93:94], v[141:142], v[115:116]
	ds_read_b128 v[91:94], v148 offset:1328
	v_add_f64 v[99:100], v[99:100], v[121:122]
	v_add_f64 v[101:102], v[101:102], v[109:110]
	;; [unrolled: 18-line block ×3, first 2 shown]
	s_waitcnt vmcnt(9) lgkmcnt(1)
	v_mul_f64 v[109:110], v[1:2], v[111:112]
	v_mul_f64 v[111:112], v[3:4], v[111:112]
	s_waitcnt vmcnt(8)
	v_fma_f64 v[91:92], v[91:92], v[171:172], -v[117:118]
	v_fma_f64 v[93:94], v[93:94], v[171:172], v[115:116]
	v_add_f64 v[99:100], v[99:100], v[121:122]
	v_add_f64 v[101:102], v[101:102], v[105:106]
	s_waitcnt vmcnt(7) lgkmcnt(0)
	v_mul_f64 v[113:114], v[97:98], v[157:158]
	v_mul_f64 v[105:106], v[95:96], v[157:158]
	s_waitcnt vmcnt(5)
	v_fma_f64 v[1:2], v[1:2], v[107:108], -v[111:112]
	v_fma_f64 v[3:4], v[3:4], v[107:108], v[109:110]
	v_add_f64 v[91:92], v[99:100], v[91:92]
	v_add_f64 v[93:94], v[101:102], v[93:94]
	s_waitcnt vmcnt(4)
	v_fma_f64 v[95:96], v[95:96], v[176:177], -v[113:114]
	v_add_f64 v[1:2], v[91:92], v[1:2]
	v_fma_f64 v[91:92], v[97:98], v[176:177], v[105:106]
	v_add_f64 v[3:4], v[93:94], v[3:4]
	v_add_f64 v[1:2], v[1:2], v[95:96]
	;; [unrolled: 1-line block ×3, first 2 shown]
	s_waitcnt vmcnt(2)
	v_add_f64 v[1:2], v[103:104], -v[1:2]
	s_waitcnt vmcnt(0)
	v_add_f64 v[3:4], v[123:124], -v[3:4]
	buffer_store_dword v2, off, s[0:3], 0 offset:68
	buffer_store_dword v1, off, s[0:3], 0 offset:64
	;; [unrolled: 1-line block ×4, first 2 shown]
	v_cmpx_lt_u32_e32 2, v0
	s_cbranch_execz .LBB106_267
; %bb.266:
	v_mov_b32_e32 v4, s53
	s_clause 0x3
	buffer_load_dword v1, v4, s[0:3], 0 offen
	buffer_load_dword v2, v4, s[0:3], 0 offen offset:4
	buffer_load_dword v3, v4, s[0:3], 0 offen offset:8
	;; [unrolled: 1-line block ×3, first 2 shown]
	buffer_store_dword v148, off, s[0:3], 0 offset:48
	buffer_store_dword v148, off, s[0:3], 0 offset:52
	;; [unrolled: 1-line block ×4, first 2 shown]
	s_waitcnt vmcnt(0)
	ds_write_b128 v147, v[1:4]
.LBB106_267:
	s_or_b32 exec_lo, exec_lo, s4
	s_waitcnt lgkmcnt(0)
	s_waitcnt_vscnt null, 0x0
	s_barrier
	buffer_gl0_inv
	s_clause 0x37
	buffer_load_dword v95, off, s[0:3], 0 offset:72
	buffer_load_dword v96, off, s[0:3], 0 offset:76
	;; [unrolled: 1-line block ×56, first 2 shown]
	ds_read_b128 v[149:152], v148 offset:736
	s_clause 0x2
	buffer_load_dword v144, off, s[0:3], 0 offset:300
	buffer_load_dword v146, off, s[0:3], 0 offset:276
	;; [unrolled: 1-line block ×3, first 2 shown]
	ds_read_b128 v[153:156], v148 offset:752
	s_clause 0x4
	buffer_load_dword v164, off, s[0:3], 0 offset:316
	buffer_load_dword v165, off, s[0:3], 0 offset:328
	;; [unrolled: 1-line block ×5, first 2 shown]
	ds_read_b128 v[157:160], v148 offset:768
	s_clause 0x2
	buffer_load_dword v166, off, s[0:3], 0 offset:332
	buffer_load_dword v171, off, s[0:3], 0 offset:308
	;; [unrolled: 1-line block ×3, first 2 shown]
	s_mov_b32 s4, exec_lo
	s_waitcnt vmcnt(62) lgkmcnt(2)
	v_mul_f64 v[161:162], v[151:152], v[95:96]
	v_mul_f64 v[95:96], v[149:150], v[95:96]
	s_waitcnt lgkmcnt(1)
	v_mul_f64 v[168:169], v[155:156], v[91:92]
	s_waitcnt vmcnt(59) lgkmcnt(0)
	v_mul_f64 v[172:173], v[159:160], v[3:4]
	v_fma_f64 v[149:150], v[149:150], v[93:94], -v[161:162]
	v_mul_f64 v[161:162], v[153:154], v[91:92]
	v_fma_f64 v[95:96], v[151:152], v[93:94], v[95:96]
	s_waitcnt vmcnt(57)
	v_fma_f64 v[153:154], v[153:154], v[1:2], -v[168:169]
	ds_read_b128 v[91:94], v148 offset:784
	v_mul_f64 v[151:152], v[157:158], v[3:4]
	s_waitcnt vmcnt(51)
	v_fma_f64 v[157:158], v[157:158], v[111:112], -v[172:173]
	v_add_f64 v[149:150], v[149:150], 0
	v_fma_f64 v[155:156], v[155:156], v[1:2], v[161:162]
	v_add_f64 v[95:96], v[95:96], 0
	s_clause 0x4
	buffer_load_dword v162, off, s[0:3], 0 offset:348
	buffer_load_dword v174, off, s[0:3], 0 offset:360
	;; [unrolled: 1-line block ×5, first 2 shown]
	s_waitcnt lgkmcnt(0)
	v_mul_f64 v[177:178], v[91:92], v[99:100]
	v_mul_f64 v[99:100], v[93:94], v[99:100]
	ds_read_b128 v[1:4], v148 offset:800
	v_fma_f64 v[111:112], v[159:160], v[111:112], v[151:152]
	v_add_f64 v[153:154], v[149:150], v[153:154]
	v_add_f64 v[95:96], v[95:96], v[155:156]
	s_clause 0x2
	buffer_load_dword v175, off, s[0:3], 0 offset:364
	buffer_load_dword v156, off, s[0:3], 0 offset:340
	;; [unrolled: 1-line block ×3, first 2 shown]
	s_waitcnt vmcnt(58) lgkmcnt(0)
	v_mul_f64 v[159:160], v[1:2], v[103:104]
	v_mul_f64 v[103:104], v[3:4], v[103:104]
	s_waitcnt vmcnt(56)
	v_fma_f64 v[99:100], v[91:92], v[105:106], -v[99:100]
	ds_read_b128 v[149:152], v148 offset:816
	v_fma_f64 v[105:106], v[93:94], v[105:106], v[177:178]
	v_add_f64 v[153:154], v[153:154], v[157:158]
	v_add_f64 v[95:96], v[95:96], v[111:112]
	s_clause 0x4
	buffer_load_dword v112, off, s[0:3], 0 offset:380
	buffer_load_dword v157, off, s[0:3], 0 offset:392
	;; [unrolled: 1-line block ×5, first 2 shown]
	ds_read_b128 v[91:94], v148 offset:832
	s_waitcnt vmcnt(57) lgkmcnt(1)
	v_mul_f64 v[178:179], v[149:150], v[107:108]
	v_mul_f64 v[107:108], v[151:152], v[107:108]
	s_waitcnt vmcnt(56)
	v_fma_f64 v[103:104], v[1:2], v[97:98], -v[103:104]
	v_fma_f64 v[97:98], v[3:4], v[97:98], v[159:160]
	v_add_f64 v[99:100], v[153:154], v[99:100]
	v_add_f64 v[95:96], v[95:96], v[105:106]
	s_clause 0x2
	buffer_load_dword v158, off, s[0:3], 0 offset:396
	buffer_load_dword v106, off, s[0:3], 0 offset:372
	;; [unrolled: 1-line block ×3, first 2 shown]
	s_waitcnt vmcnt(58) lgkmcnt(0)
	v_mul_f64 v[153:154], v[91:92], v[113:114]
	v_mul_f64 v[113:114], v[93:94], v[113:114]
	s_waitcnt vmcnt(56)
	v_fma_f64 v[107:108], v[149:150], v[115:116], -v[107:108]
	ds_read_b128 v[1:4], v148 offset:848
	v_add_f64 v[99:100], v[99:100], v[103:104]
	v_fma_f64 v[103:104], v[151:152], v[115:116], v[178:179]
	v_add_f64 v[115:116], v[95:96], v[97:98]
	s_clause 0x4
	buffer_load_dword v150, off, s[0:3], 0 offset:412
	buffer_load_dword v151, off, s[0:3], 0 offset:424
	;; [unrolled: 1-line block ×5, first 2 shown]
	ds_read_b128 v[95:98], v148 offset:864
	s_waitcnt vmcnt(57) lgkmcnt(1)
	v_mul_f64 v[178:179], v[1:2], v[117:118]
	v_mul_f64 v[117:118], v[3:4], v[117:118]
	s_waitcnt vmcnt(56)
	v_fma_f64 v[113:114], v[91:92], v[101:102], -v[113:114]
	v_fma_f64 v[101:102], v[93:94], v[101:102], v[153:154]
	v_add_f64 v[99:100], v[99:100], v[107:108]
	s_clause 0x2
	buffer_load_dword v152, off, s[0:3], 0 offset:428
	buffer_load_dword v108, off, s[0:3], 0 offset:404
	;; [unrolled: 1-line block ×3, first 2 shown]
	v_add_f64 v[103:104], v[115:116], v[103:104]
	s_waitcnt vmcnt(58) lgkmcnt(0)
	v_mul_f64 v[115:116], v[95:96], v[121:122]
	v_mul_f64 v[121:122], v[97:98], v[121:122]
	ds_read_b128 v[91:94], v148 offset:880
	s_waitcnt vmcnt(56)
	v_fma_f64 v[117:118], v[1:2], v[123:124], -v[117:118]
	v_add_f64 v[99:100], v[99:100], v[113:114]
	v_fma_f64 v[113:114], v[3:4], v[123:124], v[178:179]
	v_add_f64 v[101:102], v[103:104], v[101:102]
	s_clause 0x4
	buffer_load_dword v104, off, s[0:3], 0 offset:444
	buffer_load_dword v123, off, s[0:3], 0 offset:456
	;; [unrolled: 1-line block ×5, first 2 shown]
	s_waitcnt vmcnt(57) lgkmcnt(0)
	v_mul_f64 v[178:179], v[91:92], v[125:126]
	v_mul_f64 v[125:126], v[93:94], v[125:126]
	s_waitcnt vmcnt(56)
	v_fma_f64 v[121:122], v[95:96], v[109:110], -v[121:122]
	ds_read_b128 v[1:4], v148 offset:896
	v_fma_f64 v[109:110], v[97:98], v[109:110], v[115:116]
	v_add_f64 v[99:100], v[99:100], v[117:118]
	v_add_f64 v[101:102], v[101:102], v[113:114]
	s_clause 0x2
	buffer_load_dword v124, off, s[0:3], 0 offset:460
	buffer_load_dword v114, off, s[0:3], 0 offset:436
	;; [unrolled: 1-line block ×3, first 2 shown]
	ds_read_b128 v[95:98], v148 offset:912
	s_waitcnt vmcnt(58) lgkmcnt(1)
	v_mul_f64 v[117:118], v[3:4], v[129:130]
	s_waitcnt vmcnt(56)
	v_fma_f64 v[125:126], v[91:92], v[131:132], -v[125:126]
	v_mul_f64 v[115:116], v[1:2], v[129:130]
	v_add_f64 v[99:100], v[99:100], v[121:122]
	v_fma_f64 v[121:122], v[93:94], v[131:132], v[178:179]
	v_add_f64 v[101:102], v[101:102], v[109:110]
	s_clause 0x4
	buffer_load_dword v110, off, s[0:3], 0 offset:476
	buffer_load_dword v129, off, s[0:3], 0 offset:488
	;; [unrolled: 1-line block ×5, first 2 shown]
	s_waitcnt vmcnt(57) lgkmcnt(0)
	v_mul_f64 v[178:179], v[95:96], v[133:134]
	v_mul_f64 v[132:133], v[97:98], v[133:134]
	s_waitcnt vmcnt(56)
	v_fma_f64 v[117:118], v[1:2], v[119:120], -v[117:118]
	ds_read_b128 v[91:94], v148 offset:928
	v_fma_f64 v[115:116], v[3:4], v[119:120], v[115:116]
	s_clause 0x2
	buffer_load_dword v130, off, s[0:3], 0 offset:492
	buffer_load_dword v120, off, s[0:3], 0 offset:468
	;; [unrolled: 1-line block ×3, first 2 shown]
	ds_read_b128 v[1:4], v148 offset:944
	v_add_f64 v[99:100], v[99:100], v[125:126]
	v_add_f64 v[101:102], v[101:102], v[121:122]
	s_waitcnt vmcnt(58) lgkmcnt(1)
	v_mul_f64 v[125:126], v[93:94], v[137:138]
	s_waitcnt vmcnt(56)
	v_fma_f64 v[133:134], v[95:96], v[139:140], -v[132:133]
	v_mul_f64 v[121:122], v[91:92], v[137:138]
	v_add_f64 v[99:100], v[99:100], v[117:118]
	v_fma_f64 v[117:118], v[97:98], v[139:140], v[178:179]
	v_add_f64 v[101:102], v[101:102], v[115:116]
	s_clause 0x4
	buffer_load_dword v116, off, s[0:3], 0 offset:508
	buffer_load_dword v137, off, s[0:3], 0 offset:520
	;; [unrolled: 1-line block ×5, first 2 shown]
	s_waitcnt vmcnt(57) lgkmcnt(0)
	v_mul_f64 v[178:179], v[1:2], v[141:142]
	v_mul_f64 v[140:141], v[3:4], v[141:142]
	s_waitcnt vmcnt(56)
	v_fma_f64 v[125:126], v[91:92], v[127:128], -v[125:126]
	ds_read_b128 v[95:98], v148 offset:960
	v_fma_f64 v[121:122], v[93:94], v[127:128], v[121:122]
	v_add_f64 v[99:100], v[99:100], v[133:134]
	v_add_f64 v[101:102], v[101:102], v[117:118]
	s_clause 0x2
	buffer_load_dword v138, off, s[0:3], 0 offset:524
	buffer_load_dword v118, off, s[0:3], 0 offset:500
	;; [unrolled: 1-line block ×3, first 2 shown]
	ds_read_b128 v[91:94], v148 offset:976
	s_waitcnt vmcnt(58) lgkmcnt(1)
	v_mul_f64 v[133:134], v[97:98], v[143:144]
	s_waitcnt vmcnt(56)
	v_fma_f64 v[141:142], v[1:2], v[145:146], -v[140:141]
	v_mul_f64 v[127:128], v[95:96], v[143:144]
	v_add_f64 v[99:100], v[99:100], v[125:126]
	v_fma_f64 v[125:126], v[3:4], v[145:146], v[178:179]
	v_add_f64 v[101:102], v[101:102], v[121:122]
	s_clause 0x4
	buffer_load_dword v122, off, s[0:3], 0 offset:540
	buffer_load_dword v143, off, s[0:3], 0 offset:552
	;; [unrolled: 1-line block ×5, first 2 shown]
	s_waitcnt vmcnt(57) lgkmcnt(0)
	v_mul_f64 v[178:179], v[91:92], v[163:164]
	v_mul_f64 v[163:164], v[93:94], v[163:164]
	s_waitcnt vmcnt(56)
	v_fma_f64 v[133:134], v[95:96], v[135:136], -v[133:134]
	ds_read_b128 v[1:4], v148 offset:992
	v_fma_f64 v[127:128], v[97:98], v[135:136], v[127:128]
	v_add_f64 v[99:100], v[99:100], v[141:142]
	v_add_f64 v[101:102], v[101:102], v[125:126]
	s_clause 0x2
	buffer_load_dword v144, off, s[0:3], 0 offset:556
	buffer_load_dword v126, off, s[0:3], 0 offset:532
	;; [unrolled: 1-line block ×3, first 2 shown]
	ds_read_b128 v[95:98], v148 offset:1008
	s_waitcnt vmcnt(58) lgkmcnt(1)
	v_mul_f64 v[141:142], v[3:4], v[165:166]
	s_waitcnt vmcnt(56)
	v_fma_f64 v[163:164], v[91:92], v[170:171], -v[163:164]
	v_mul_f64 v[135:136], v[1:2], v[165:166]
	v_add_f64 v[99:100], v[99:100], v[133:134]
	v_fma_f64 v[133:134], v[93:94], v[170:171], v[178:179]
	v_add_f64 v[101:102], v[101:102], v[127:128]
	s_clause 0x4
	buffer_load_dword v128, off, s[0:3], 0 offset:572
	buffer_load_dword v165, off, s[0:3], 0 offset:584
	;; [unrolled: 1-line block ×5, first 2 shown]
	ds_read_b128 v[91:94], v148 offset:1024
	s_waitcnt vmcnt(57) lgkmcnt(1)
	v_mul_f64 v[170:171], v[95:96], v[161:162]
	v_mul_f64 v[161:162], v[97:98], v[161:162]
	s_waitcnt vmcnt(56)
	v_fma_f64 v[141:142], v[1:2], v[167:168], -v[141:142]
	v_fma_f64 v[135:136], v[3:4], v[167:168], v[135:136]
	v_add_f64 v[99:100], v[99:100], v[163:164]
	v_add_f64 v[101:102], v[101:102], v[133:134]
	s_clause 0x2
	buffer_load_dword v166, off, s[0:3], 0 offset:588
	buffer_load_dword v134, off, s[0:3], 0 offset:564
	;; [unrolled: 1-line block ×3, first 2 shown]
	ds_read_b128 v[1:4], v148 offset:1040
	s_waitcnt vmcnt(58) lgkmcnt(1)
	v_mul_f64 v[167:168], v[93:94], v[174:175]
	v_mul_f64 v[163:164], v[91:92], v[174:175]
	s_waitcnt vmcnt(56)
	v_fma_f64 v[161:162], v[95:96], v[155:156], -v[161:162]
	v_add_f64 v[99:100], v[99:100], v[141:142]
	v_fma_f64 v[141:142], v[97:98], v[155:156], v[170:171]
	v_add_f64 v[101:102], v[101:102], v[135:136]
	s_clause 0x4
	buffer_load_dword v136, off, s[0:3], 0 offset:604
	buffer_load_dword v155, off, s[0:3], 0 offset:616
	buffer_load_dword v174, off, s[0:3], 0 offset:608
	buffer_load_dword v135, off, s[0:3], 0 offset:600
	buffer_load_dword v170, off, s[0:3], 0 offset:580
	ds_read_b128 v[95:98], v148 offset:1056
	s_waitcnt vmcnt(57) lgkmcnt(1)
	v_mul_f64 v[178:179], v[1:2], v[111:112]
	v_mul_f64 v[111:112], v[3:4], v[111:112]
	s_waitcnt vmcnt(56)
	v_fma_f64 v[167:168], v[91:92], v[176:177], -v[167:168]
	v_add_f64 v[99:100], v[99:100], v[161:162]
	v_fma_f64 v[161:162], v[93:94], v[176:177], v[163:164]
	v_add_f64 v[101:102], v[101:102], v[141:142]
	s_clause 0x2
	buffer_load_dword v156, off, s[0:3], 0 offset:620
	buffer_load_dword v142, off, s[0:3], 0 offset:596
	buffer_load_dword v141, off, s[0:3], 0 offset:592
	ds_read_b128 v[91:94], v148 offset:1072
	s_waitcnt vmcnt(58) lgkmcnt(1)
	v_mul_f64 v[163:164], v[95:96], v[157:158]
	v_mul_f64 v[157:158], v[97:98], v[157:158]
	s_waitcnt vmcnt(56)
	v_fma_f64 v[111:112], v[1:2], v[105:106], -v[111:112]
	v_fma_f64 v[105:106], v[3:4], v[105:106], v[178:179]
	v_add_f64 v[99:100], v[99:100], v[167:168]
	v_add_f64 v[101:102], v[101:102], v[161:162]
	s_clause 0x4
	buffer_load_dword v162, off, s[0:3], 0 offset:636
	buffer_load_dword v167, off, s[0:3], 0 offset:648
	buffer_load_dword v171, off, s[0:3], 0 offset:640
	buffer_load_dword v161, off, s[0:3], 0 offset:632
	buffer_load_dword v175, off, s[0:3], 0 offset:612
	ds_read_b128 v[1:4], v148 offset:1088
	s_waitcnt vmcnt(57) lgkmcnt(1)
	v_mul_f64 v[176:177], v[91:92], v[149:150]
	v_mul_f64 v[149:150], v[93:94], v[149:150]
	s_waitcnt vmcnt(56)
	v_fma_f64 v[157:158], v[95:96], v[172:173], -v[157:158]
	v_add_f64 v[99:100], v[99:100], v[111:112]
	v_fma_f64 v[111:112], v[97:98], v[172:173], v[163:164]
	v_add_f64 v[101:102], v[101:102], v[105:106]
	s_clause 0x2
	buffer_load_dword v168, off, s[0:3], 0 offset:652
	buffer_load_dword v106, off, s[0:3], 0 offset:628
	buffer_load_dword v105, off, s[0:3], 0 offset:624
	ds_read_b128 v[95:98], v148 offset:1104
	s_waitcnt vmcnt(58) lgkmcnt(1)
	v_mul_f64 v[163:164], v[1:2], v[151:152]
	v_mul_f64 v[151:152], v[3:4], v[151:152]
	s_waitcnt vmcnt(56)
	v_fma_f64 v[149:150], v[91:92], v[107:108], -v[149:150]
	v_fma_f64 v[107:108], v[93:94], v[107:108], v[176:177]
	v_add_f64 v[99:100], v[99:100], v[157:158]
	;; [unrolled: 28-line block ×3, first 2 shown]
	v_add_f64 v[101:102], v[101:102], v[149:150]
	s_clause 0x2
	buffer_load_dword v150, off, s[0:3], 0 offset:700
	buffer_load_dword v149, off, s[0:3], 0 offset:696
	;; [unrolled: 1-line block ×3, first 2 shown]
	ds_read_b128 v[95:98], v148 offset:1152
	s_waitcnt vmcnt(55) lgkmcnt(1)
	v_mul_f64 v[151:152], v[1:2], v[109:110]
	v_mul_f64 v[109:110], v[3:4], v[109:110]
	s_waitcnt vmcnt(54)
	v_fma_f64 v[123:124], v[91:92], v[153:154], -v[123:124]
	v_add_f64 v[99:100], v[99:100], v[103:104]
	v_fma_f64 v[103:104], v[93:94], v[153:154], v[159:160]
	v_add_f64 v[101:102], v[101:102], v[113:114]
	s_clause 0x1
	buffer_load_dword v114, off, s[0:3], 0 offset:692
	buffer_load_dword v113, off, s[0:3], 0 offset:688
	s_waitcnt vmcnt(55) lgkmcnt(0)
	v_mul_f64 v[153:154], v[95:96], v[129:130]
	v_mul_f64 v[129:130], v[97:98], v[129:130]
	ds_read_b128 v[91:94], v148 offset:1168
	s_waitcnt vmcnt(53)
	v_fma_f64 v[109:110], v[1:2], v[119:120], -v[109:110]
	v_fma_f64 v[119:120], v[3:4], v[119:120], v[151:152]
	ds_read_b128 v[1:4], v148 offset:1184
	v_add_f64 v[99:100], v[99:100], v[123:124]
	v_add_f64 v[101:102], v[101:102], v[103:104]
	s_waitcnt vmcnt(49) lgkmcnt(1)
	v_mul_f64 v[103:104], v[91:92], v[115:116]
	v_mul_f64 v[115:116], v[93:94], v[115:116]
	s_waitcnt vmcnt(48)
	v_fma_f64 v[123:124], v[95:96], v[131:132], -v[129:130]
	v_add_f64 v[99:100], v[99:100], v[109:110]
	v_fma_f64 v[109:110], v[97:98], v[131:132], v[153:154]
	v_add_f64 v[101:102], v[101:102], v[119:120]
	s_clause 0x3
	buffer_load_dword v119, off, s[0:3], 0 offset:48
	buffer_load_dword v120, off, s[0:3], 0 offset:52
	;; [unrolled: 1-line block ×4, first 2 shown]
	ds_read_b128 v[95:98], v148 offset:1200
	s_waitcnt vmcnt(51) lgkmcnt(1)
	v_mul_f64 v[131:132], v[1:2], v[137:138]
	v_mul_f64 v[137:138], v[3:4], v[137:138]
	s_waitcnt vmcnt(49)
	v_fma_f64 v[115:116], v[91:92], v[117:118], -v[115:116]
	v_fma_f64 v[103:104], v[93:94], v[117:118], v[103:104]
	ds_read_b128 v[91:94], v148 offset:1216
	v_add_f64 v[99:100], v[99:100], v[123:124]
	v_add_f64 v[101:102], v[101:102], v[109:110]
	s_waitcnt vmcnt(45) lgkmcnt(1)
	v_mul_f64 v[109:110], v[95:96], v[121:122]
	v_mul_f64 v[117:118], v[97:98], v[121:122]
	s_waitcnt vmcnt(44)
	v_fma_f64 v[121:122], v[1:2], v[139:140], -v[137:138]
	v_add_f64 v[99:100], v[99:100], v[115:116]
	v_fma_f64 v[115:116], v[3:4], v[139:140], v[131:132]
	v_add_f64 v[101:102], v[101:102], v[103:104]
	ds_read_b128 v[1:4], v148 offset:1232
	s_waitcnt vmcnt(43) lgkmcnt(1)
	v_mul_f64 v[123:124], v[93:94], v[143:144]
	v_mul_f64 v[103:104], v[91:92], v[143:144]
	s_waitcnt vmcnt(41)
	v_fma_f64 v[117:118], v[95:96], v[125:126], -v[117:118]
	v_fma_f64 v[109:110], v[97:98], v[125:126], v[109:110]
	ds_read_b128 v[95:98], v148 offset:1248
	v_add_f64 v[99:100], v[99:100], v[121:122]
	v_add_f64 v[101:102], v[101:102], v[115:116]
	s_waitcnt vmcnt(37) lgkmcnt(1)
	v_mul_f64 v[121:122], v[3:4], v[127:128]
	s_waitcnt vmcnt(36)
	v_fma_f64 v[123:124], v[91:92], v[145:146], -v[123:124]
	v_mul_f64 v[115:116], v[1:2], v[127:128]
	v_fma_f64 v[103:104], v[93:94], v[145:146], v[103:104]
	ds_read_b128 v[91:94], v148 offset:1264
	v_add_f64 v[99:100], v[99:100], v[117:118]
	v_add_f64 v[101:102], v[101:102], v[109:110]
	s_waitcnt vmcnt(35) lgkmcnt(1)
	v_mul_f64 v[117:118], v[97:98], v[165:166]
	v_mul_f64 v[109:110], v[95:96], v[165:166]
	s_waitcnt vmcnt(33)
	v_fma_f64 v[121:122], v[1:2], v[133:134], -v[121:122]
	v_fma_f64 v[115:116], v[3:4], v[133:134], v[115:116]
	ds_read_b128 v[1:4], v148 offset:1280
	v_add_f64 v[99:100], v[99:100], v[123:124]
	v_add_f64 v[101:102], v[101:102], v[103:104]
	s_waitcnt vmcnt(29) lgkmcnt(1)
	v_mul_f64 v[123:124], v[93:94], v[135:136]
	s_waitcnt vmcnt(28)
	v_fma_f64 v[117:118], v[95:96], v[169:170], -v[117:118]
	v_mul_f64 v[103:104], v[91:92], v[135:136]
	v_fma_f64 v[109:110], v[97:98], v[169:170], v[109:110]
	ds_read_b128 v[95:98], v148 offset:1296
	v_add_f64 v[99:100], v[99:100], v[121:122]
	v_add_f64 v[101:102], v[101:102], v[115:116]
	;; [unrolled: 18-line block ×3, first 2 shown]
	s_waitcnt vmcnt(19) lgkmcnt(1)
	v_mul_f64 v[123:124], v[93:94], v[167:168]
	v_mul_f64 v[103:104], v[91:92], v[167:168]
	s_waitcnt vmcnt(17)
	v_fma_f64 v[117:118], v[95:96], v[105:106], -v[117:118]
	v_fma_f64 v[105:106], v[97:98], v[105:106], v[109:110]
	ds_read_b128 v[95:98], v148 offset:1344
	v_add_f64 v[99:100], v[99:100], v[121:122]
	v_add_f64 v[101:102], v[101:102], v[115:116]
	s_waitcnt vmcnt(13) lgkmcnt(1)
	v_mul_f64 v[109:110], v[1:2], v[111:112]
	v_mul_f64 v[111:112], v[3:4], v[111:112]
	s_waitcnt vmcnt(12)
	v_fma_f64 v[115:116], v[91:92], v[171:172], -v[123:124]
	v_fma_f64 v[103:104], v[93:94], v[171:172], v[103:104]
	ds_read_b128 v[91:94], v148 offset:1360
	v_add_f64 v[99:100], v[99:100], v[117:118]
	v_add_f64 v[101:102], v[101:102], v[105:106]
	s_waitcnt vmcnt(11) lgkmcnt(1)
	v_mul_f64 v[117:118], v[97:98], v[157:158]
	v_mul_f64 v[105:106], v[95:96], v[157:158]
	s_waitcnt vmcnt(9)
	v_fma_f64 v[1:2], v[1:2], v[107:108], -v[111:112]
	v_fma_f64 v[3:4], v[3:4], v[107:108], v[109:110]
	v_add_f64 v[99:100], v[99:100], v[115:116]
	v_add_f64 v[101:102], v[101:102], v[103:104]
	s_waitcnt vmcnt(7) lgkmcnt(0)
	v_mul_f64 v[107:108], v[93:94], v[149:150]
	s_waitcnt vmcnt(6)
	v_fma_f64 v[95:96], v[95:96], v[176:177], -v[117:118]
	v_mul_f64 v[103:104], v[91:92], v[149:150]
	v_fma_f64 v[97:98], v[97:98], v[176:177], v[105:106]
	v_add_f64 v[1:2], v[99:100], v[1:2]
	v_add_f64 v[3:4], v[101:102], v[3:4]
	s_waitcnt vmcnt(4)
	v_fma_f64 v[91:92], v[91:92], v[113:114], -v[107:108]
	v_fma_f64 v[93:94], v[93:94], v[113:114], v[103:104]
	v_add_f64 v[1:2], v[1:2], v[95:96]
	v_add_f64 v[3:4], v[3:4], v[97:98]
	;; [unrolled: 1-line block ×4, first 2 shown]
	s_waitcnt vmcnt(2)
	v_add_f64 v[1:2], v[119:120], -v[1:2]
	s_waitcnt vmcnt(0)
	v_add_f64 v[3:4], v[129:130], -v[3:4]
	buffer_store_dword v2, off, s[0:3], 0 offset:52
	buffer_store_dword v1, off, s[0:3], 0 offset:48
	;; [unrolled: 1-line block ×4, first 2 shown]
	v_cmpx_lt_u32_e32 1, v0
	s_cbranch_execz .LBB106_269
; %bb.268:
	v_mov_b32_e32 v4, s54
	v_mov_b32_e32 v91, 0
	s_clause 0x3
	buffer_load_dword v1, v4, s[0:3], 0 offen
	buffer_load_dword v2, v4, s[0:3], 0 offen offset:4
	buffer_load_dword v3, v4, s[0:3], 0 offen offset:8
	;; [unrolled: 1-line block ×3, first 2 shown]
	buffer_store_dword v91, off, s[0:3], 0 offset:32
	buffer_store_dword v91, off, s[0:3], 0 offset:36
	;; [unrolled: 1-line block ×4, first 2 shown]
	s_waitcnt vmcnt(0)
	ds_write_b128 v147, v[1:4]
.LBB106_269:
	s_or_b32 exec_lo, exec_lo, s4
	s_waitcnt lgkmcnt(0)
	s_waitcnt_vscnt null, 0x0
	s_barrier
	buffer_gl0_inv
	s_clause 0x37
	buffer_load_dword v95, off, s[0:3], 0 offset:56
	buffer_load_dword v96, off, s[0:3], 0 offset:60
	;; [unrolled: 1-line block ×56, first 2 shown]
	v_mov_b32_e32 v148, 0
	s_mov_b32 s4, exec_lo
	ds_read_b128 v[149:152], v148 offset:720
	s_clause 0x2
	buffer_load_dword v144, off, s[0:3], 0 offset:284
	buffer_load_dword v146, off, s[0:3], 0 offset:260
	;; [unrolled: 1-line block ×3, first 2 shown]
	ds_read_b128 v[153:156], v148 offset:736
	s_clause 0x4
	buffer_load_dword v164, off, s[0:3], 0 offset:300
	buffer_load_dword v165, off, s[0:3], 0 offset:312
	;; [unrolled: 1-line block ×5, first 2 shown]
	ds_read_b128 v[157:160], v148 offset:752
	s_clause 0x2
	buffer_load_dword v166, off, s[0:3], 0 offset:316
	buffer_load_dword v171, off, s[0:3], 0 offset:292
	;; [unrolled: 1-line block ×3, first 2 shown]
	s_waitcnt vmcnt(62) lgkmcnt(2)
	v_mul_f64 v[161:162], v[151:152], v[95:96]
	v_mul_f64 v[95:96], v[149:150], v[95:96]
	s_waitcnt lgkmcnt(1)
	v_mul_f64 v[168:169], v[155:156], v[91:92]
	s_waitcnt vmcnt(59) lgkmcnt(0)
	v_mul_f64 v[172:173], v[159:160], v[3:4]
	v_fma_f64 v[149:150], v[149:150], v[93:94], -v[161:162]
	v_mul_f64 v[161:162], v[153:154], v[91:92]
	v_fma_f64 v[95:96], v[151:152], v[93:94], v[95:96]
	s_waitcnt vmcnt(57)
	v_fma_f64 v[153:154], v[153:154], v[1:2], -v[168:169]
	ds_read_b128 v[91:94], v148 offset:768
	v_mul_f64 v[151:152], v[157:158], v[3:4]
	s_waitcnt vmcnt(51)
	v_fma_f64 v[157:158], v[157:158], v[111:112], -v[172:173]
	v_add_f64 v[149:150], v[149:150], 0
	v_fma_f64 v[155:156], v[155:156], v[1:2], v[161:162]
	v_add_f64 v[95:96], v[95:96], 0
	s_clause 0x4
	buffer_load_dword v162, off, s[0:3], 0 offset:332
	buffer_load_dword v174, off, s[0:3], 0 offset:344
	buffer_load_dword v176, off, s[0:3], 0 offset:336
	buffer_load_dword v161, off, s[0:3], 0 offset:328
	buffer_load_dword v168, off, s[0:3], 0 offset:308
	s_waitcnt lgkmcnt(0)
	v_mul_f64 v[177:178], v[91:92], v[99:100]
	v_mul_f64 v[99:100], v[93:94], v[99:100]
	ds_read_b128 v[1:4], v148 offset:784
	v_fma_f64 v[111:112], v[159:160], v[111:112], v[151:152]
	v_add_f64 v[153:154], v[149:150], v[153:154]
	v_add_f64 v[95:96], v[95:96], v[155:156]
	s_clause 0x2
	buffer_load_dword v175, off, s[0:3], 0 offset:348
	buffer_load_dword v156, off, s[0:3], 0 offset:324
	;; [unrolled: 1-line block ×3, first 2 shown]
	s_waitcnt vmcnt(58) lgkmcnt(0)
	v_mul_f64 v[159:160], v[1:2], v[103:104]
	v_mul_f64 v[103:104], v[3:4], v[103:104]
	s_waitcnt vmcnt(56)
	v_fma_f64 v[99:100], v[91:92], v[105:106], -v[99:100]
	ds_read_b128 v[149:152], v148 offset:800
	v_fma_f64 v[105:106], v[93:94], v[105:106], v[177:178]
	v_add_f64 v[153:154], v[153:154], v[157:158]
	v_add_f64 v[95:96], v[95:96], v[111:112]
	s_clause 0x4
	buffer_load_dword v112, off, s[0:3], 0 offset:364
	buffer_load_dword v157, off, s[0:3], 0 offset:376
	;; [unrolled: 1-line block ×5, first 2 shown]
	ds_read_b128 v[91:94], v148 offset:816
	s_waitcnt vmcnt(57) lgkmcnt(1)
	v_mul_f64 v[178:179], v[149:150], v[107:108]
	v_mul_f64 v[107:108], v[151:152], v[107:108]
	s_waitcnt vmcnt(56)
	v_fma_f64 v[103:104], v[1:2], v[97:98], -v[103:104]
	v_fma_f64 v[97:98], v[3:4], v[97:98], v[159:160]
	v_add_f64 v[99:100], v[153:154], v[99:100]
	v_add_f64 v[95:96], v[95:96], v[105:106]
	s_clause 0x2
	buffer_load_dword v158, off, s[0:3], 0 offset:380
	buffer_load_dword v106, off, s[0:3], 0 offset:356
	;; [unrolled: 1-line block ×3, first 2 shown]
	s_waitcnt vmcnt(58) lgkmcnt(0)
	v_mul_f64 v[153:154], v[91:92], v[113:114]
	v_mul_f64 v[113:114], v[93:94], v[113:114]
	s_waitcnt vmcnt(56)
	v_fma_f64 v[107:108], v[149:150], v[115:116], -v[107:108]
	ds_read_b128 v[1:4], v148 offset:832
	v_add_f64 v[99:100], v[99:100], v[103:104]
	v_fma_f64 v[103:104], v[151:152], v[115:116], v[178:179]
	v_add_f64 v[115:116], v[95:96], v[97:98]
	s_clause 0x4
	buffer_load_dword v150, off, s[0:3], 0 offset:396
	buffer_load_dword v151, off, s[0:3], 0 offset:408
	buffer_load_dword v159, off, s[0:3], 0 offset:400
	buffer_load_dword v149, off, s[0:3], 0 offset:392
	buffer_load_dword v173, off, s[0:3], 0 offset:372
	ds_read_b128 v[95:98], v148 offset:848
	s_waitcnt vmcnt(57) lgkmcnt(1)
	v_mul_f64 v[178:179], v[1:2], v[117:118]
	v_mul_f64 v[117:118], v[3:4], v[117:118]
	s_waitcnt vmcnt(56)
	v_fma_f64 v[113:114], v[91:92], v[101:102], -v[113:114]
	v_fma_f64 v[101:102], v[93:94], v[101:102], v[153:154]
	v_add_f64 v[99:100], v[99:100], v[107:108]
	s_clause 0x2
	buffer_load_dword v152, off, s[0:3], 0 offset:412
	buffer_load_dword v108, off, s[0:3], 0 offset:388
	;; [unrolled: 1-line block ×3, first 2 shown]
	v_add_f64 v[103:104], v[115:116], v[103:104]
	s_waitcnt vmcnt(58) lgkmcnt(0)
	v_mul_f64 v[115:116], v[95:96], v[121:122]
	v_mul_f64 v[121:122], v[97:98], v[121:122]
	ds_read_b128 v[91:94], v148 offset:864
	s_waitcnt vmcnt(56)
	v_fma_f64 v[117:118], v[1:2], v[123:124], -v[117:118]
	v_add_f64 v[99:100], v[99:100], v[113:114]
	v_fma_f64 v[113:114], v[3:4], v[123:124], v[178:179]
	v_add_f64 v[101:102], v[103:104], v[101:102]
	s_clause 0x4
	buffer_load_dword v104, off, s[0:3], 0 offset:428
	buffer_load_dword v123, off, s[0:3], 0 offset:440
	;; [unrolled: 1-line block ×5, first 2 shown]
	s_waitcnt vmcnt(57) lgkmcnt(0)
	v_mul_f64 v[178:179], v[91:92], v[125:126]
	v_mul_f64 v[125:126], v[93:94], v[125:126]
	s_waitcnt vmcnt(56)
	v_fma_f64 v[121:122], v[95:96], v[109:110], -v[121:122]
	ds_read_b128 v[1:4], v148 offset:880
	v_fma_f64 v[109:110], v[97:98], v[109:110], v[115:116]
	v_add_f64 v[99:100], v[99:100], v[117:118]
	v_add_f64 v[101:102], v[101:102], v[113:114]
	s_clause 0x2
	buffer_load_dword v124, off, s[0:3], 0 offset:444
	buffer_load_dword v114, off, s[0:3], 0 offset:420
	buffer_load_dword v113, off, s[0:3], 0 offset:416
	ds_read_b128 v[95:98], v148 offset:896
	s_waitcnt vmcnt(58) lgkmcnt(1)
	v_mul_f64 v[117:118], v[3:4], v[129:130]
	s_waitcnt vmcnt(56)
	v_fma_f64 v[125:126], v[91:92], v[131:132], -v[125:126]
	v_mul_f64 v[115:116], v[1:2], v[129:130]
	v_add_f64 v[99:100], v[99:100], v[121:122]
	v_fma_f64 v[121:122], v[93:94], v[131:132], v[178:179]
	v_add_f64 v[101:102], v[101:102], v[109:110]
	s_clause 0x4
	buffer_load_dword v110, off, s[0:3], 0 offset:460
	buffer_load_dword v129, off, s[0:3], 0 offset:472
	;; [unrolled: 1-line block ×5, first 2 shown]
	s_waitcnt vmcnt(57) lgkmcnt(0)
	v_mul_f64 v[178:179], v[95:96], v[133:134]
	v_mul_f64 v[132:133], v[97:98], v[133:134]
	s_waitcnt vmcnt(56)
	v_fma_f64 v[117:118], v[1:2], v[119:120], -v[117:118]
	ds_read_b128 v[91:94], v148 offset:912
	v_fma_f64 v[115:116], v[3:4], v[119:120], v[115:116]
	s_clause 0x2
	buffer_load_dword v130, off, s[0:3], 0 offset:476
	buffer_load_dword v120, off, s[0:3], 0 offset:452
	;; [unrolled: 1-line block ×3, first 2 shown]
	ds_read_b128 v[1:4], v148 offset:928
	v_add_f64 v[99:100], v[99:100], v[125:126]
	v_add_f64 v[101:102], v[101:102], v[121:122]
	s_waitcnt vmcnt(58) lgkmcnt(1)
	v_mul_f64 v[125:126], v[93:94], v[137:138]
	s_waitcnt vmcnt(56)
	v_fma_f64 v[133:134], v[95:96], v[139:140], -v[132:133]
	v_mul_f64 v[121:122], v[91:92], v[137:138]
	v_add_f64 v[99:100], v[99:100], v[117:118]
	v_fma_f64 v[117:118], v[97:98], v[139:140], v[178:179]
	v_add_f64 v[101:102], v[101:102], v[115:116]
	s_clause 0x4
	buffer_load_dword v116, off, s[0:3], 0 offset:492
	buffer_load_dword v137, off, s[0:3], 0 offset:504
	;; [unrolled: 1-line block ×5, first 2 shown]
	s_waitcnt vmcnt(57) lgkmcnt(0)
	v_mul_f64 v[178:179], v[1:2], v[141:142]
	v_mul_f64 v[140:141], v[3:4], v[141:142]
	s_waitcnt vmcnt(56)
	v_fma_f64 v[125:126], v[91:92], v[127:128], -v[125:126]
	ds_read_b128 v[95:98], v148 offset:944
	v_fma_f64 v[121:122], v[93:94], v[127:128], v[121:122]
	v_add_f64 v[99:100], v[99:100], v[133:134]
	v_add_f64 v[101:102], v[101:102], v[117:118]
	s_clause 0x2
	buffer_load_dword v138, off, s[0:3], 0 offset:508
	buffer_load_dword v118, off, s[0:3], 0 offset:484
	;; [unrolled: 1-line block ×3, first 2 shown]
	ds_read_b128 v[91:94], v148 offset:960
	s_waitcnt vmcnt(58) lgkmcnt(1)
	v_mul_f64 v[133:134], v[97:98], v[143:144]
	s_waitcnt vmcnt(56)
	v_fma_f64 v[141:142], v[1:2], v[145:146], -v[140:141]
	v_mul_f64 v[127:128], v[95:96], v[143:144]
	v_add_f64 v[99:100], v[99:100], v[125:126]
	v_fma_f64 v[125:126], v[3:4], v[145:146], v[178:179]
	v_add_f64 v[101:102], v[101:102], v[121:122]
	s_clause 0x4
	buffer_load_dword v122, off, s[0:3], 0 offset:524
	buffer_load_dword v143, off, s[0:3], 0 offset:536
	;; [unrolled: 1-line block ×5, first 2 shown]
	s_waitcnt vmcnt(57) lgkmcnt(0)
	v_mul_f64 v[178:179], v[91:92], v[163:164]
	v_mul_f64 v[163:164], v[93:94], v[163:164]
	s_waitcnt vmcnt(56)
	v_fma_f64 v[133:134], v[95:96], v[135:136], -v[133:134]
	ds_read_b128 v[1:4], v148 offset:976
	v_fma_f64 v[127:128], v[97:98], v[135:136], v[127:128]
	v_add_f64 v[99:100], v[99:100], v[141:142]
	v_add_f64 v[101:102], v[101:102], v[125:126]
	s_clause 0x2
	buffer_load_dword v144, off, s[0:3], 0 offset:540
	buffer_load_dword v126, off, s[0:3], 0 offset:516
	;; [unrolled: 1-line block ×3, first 2 shown]
	ds_read_b128 v[95:98], v148 offset:992
	s_waitcnt vmcnt(58) lgkmcnt(1)
	v_mul_f64 v[141:142], v[3:4], v[165:166]
	s_waitcnt vmcnt(56)
	v_fma_f64 v[163:164], v[91:92], v[170:171], -v[163:164]
	v_mul_f64 v[135:136], v[1:2], v[165:166]
	v_add_f64 v[99:100], v[99:100], v[133:134]
	v_fma_f64 v[133:134], v[93:94], v[170:171], v[178:179]
	v_add_f64 v[101:102], v[101:102], v[127:128]
	s_clause 0x4
	buffer_load_dword v128, off, s[0:3], 0 offset:556
	buffer_load_dword v165, off, s[0:3], 0 offset:568
	buffer_load_dword v169, off, s[0:3], 0 offset:560
	buffer_load_dword v127, off, s[0:3], 0 offset:552
	buffer_load_dword v146, off, s[0:3], 0 offset:532
	ds_read_b128 v[91:94], v148 offset:1008
	s_waitcnt vmcnt(57) lgkmcnt(1)
	v_mul_f64 v[170:171], v[95:96], v[161:162]
	v_mul_f64 v[161:162], v[97:98], v[161:162]
	s_waitcnt vmcnt(56)
	v_fma_f64 v[141:142], v[1:2], v[167:168], -v[141:142]
	v_fma_f64 v[135:136], v[3:4], v[167:168], v[135:136]
	v_add_f64 v[99:100], v[99:100], v[163:164]
	v_add_f64 v[101:102], v[101:102], v[133:134]
	s_clause 0x2
	buffer_load_dword v166, off, s[0:3], 0 offset:572
	buffer_load_dword v134, off, s[0:3], 0 offset:548
	;; [unrolled: 1-line block ×3, first 2 shown]
	ds_read_b128 v[1:4], v148 offset:1024
	s_waitcnt vmcnt(58) lgkmcnt(1)
	v_mul_f64 v[167:168], v[93:94], v[174:175]
	v_mul_f64 v[163:164], v[91:92], v[174:175]
	s_waitcnt vmcnt(56)
	v_fma_f64 v[161:162], v[95:96], v[155:156], -v[161:162]
	v_add_f64 v[99:100], v[99:100], v[141:142]
	v_fma_f64 v[141:142], v[97:98], v[155:156], v[170:171]
	v_add_f64 v[101:102], v[101:102], v[135:136]
	s_clause 0x4
	buffer_load_dword v136, off, s[0:3], 0 offset:588
	buffer_load_dword v155, off, s[0:3], 0 offset:600
	buffer_load_dword v174, off, s[0:3], 0 offset:592
	buffer_load_dword v135, off, s[0:3], 0 offset:584
	buffer_load_dword v170, off, s[0:3], 0 offset:564
	ds_read_b128 v[95:98], v148 offset:1040
	s_waitcnt vmcnt(57) lgkmcnt(1)
	v_mul_f64 v[178:179], v[1:2], v[111:112]
	v_mul_f64 v[111:112], v[3:4], v[111:112]
	s_waitcnt vmcnt(56)
	v_fma_f64 v[167:168], v[91:92], v[176:177], -v[167:168]
	v_add_f64 v[99:100], v[99:100], v[161:162]
	v_fma_f64 v[161:162], v[93:94], v[176:177], v[163:164]
	v_add_f64 v[101:102], v[101:102], v[141:142]
	s_clause 0x2
	buffer_load_dword v156, off, s[0:3], 0 offset:604
	buffer_load_dword v142, off, s[0:3], 0 offset:580
	buffer_load_dword v141, off, s[0:3], 0 offset:576
	ds_read_b128 v[91:94], v148 offset:1056
	s_waitcnt vmcnt(58) lgkmcnt(1)
	v_mul_f64 v[163:164], v[95:96], v[157:158]
	v_mul_f64 v[157:158], v[97:98], v[157:158]
	s_waitcnt vmcnt(56)
	v_fma_f64 v[111:112], v[1:2], v[105:106], -v[111:112]
	v_fma_f64 v[105:106], v[3:4], v[105:106], v[178:179]
	v_add_f64 v[99:100], v[99:100], v[167:168]
	v_add_f64 v[101:102], v[101:102], v[161:162]
	s_clause 0x4
	buffer_load_dword v162, off, s[0:3], 0 offset:620
	buffer_load_dword v167, off, s[0:3], 0 offset:632
	buffer_load_dword v171, off, s[0:3], 0 offset:624
	buffer_load_dword v161, off, s[0:3], 0 offset:616
	buffer_load_dword v175, off, s[0:3], 0 offset:596
	ds_read_b128 v[1:4], v148 offset:1072
	s_waitcnt vmcnt(57) lgkmcnt(1)
	v_mul_f64 v[176:177], v[91:92], v[149:150]
	v_mul_f64 v[149:150], v[93:94], v[149:150]
	s_waitcnt vmcnt(56)
	v_fma_f64 v[157:158], v[95:96], v[172:173], -v[157:158]
	v_add_f64 v[99:100], v[99:100], v[111:112]
	v_fma_f64 v[111:112], v[97:98], v[172:173], v[163:164]
	v_add_f64 v[101:102], v[101:102], v[105:106]
	s_clause 0x2
	buffer_load_dword v168, off, s[0:3], 0 offset:636
	buffer_load_dword v106, off, s[0:3], 0 offset:612
	buffer_load_dword v105, off, s[0:3], 0 offset:608
	ds_read_b128 v[95:98], v148 offset:1088
	s_waitcnt vmcnt(58) lgkmcnt(1)
	v_mul_f64 v[163:164], v[1:2], v[151:152]
	v_mul_f64 v[151:152], v[3:4], v[151:152]
	s_waitcnt vmcnt(56)
	v_fma_f64 v[149:150], v[91:92], v[107:108], -v[149:150]
	v_fma_f64 v[107:108], v[93:94], v[107:108], v[176:177]
	v_add_f64 v[99:100], v[99:100], v[157:158]
	;; [unrolled: 28-line block ×3, first 2 shown]
	v_add_f64 v[101:102], v[101:102], v[149:150]
	s_clause 0x4
	buffer_load_dword v150, off, s[0:3], 0 offset:684
	buffer_load_dword v151, off, s[0:3], 0 offset:696
	;; [unrolled: 1-line block ×5, first 2 shown]
	ds_read_b128 v[95:98], v148 offset:1136
	s_waitcnt vmcnt(57) lgkmcnt(1)
	v_mul_f64 v[178:179], v[1:2], v[109:110]
	v_mul_f64 v[109:110], v[3:4], v[109:110]
	s_waitcnt vmcnt(56)
	v_fma_f64 v[123:124], v[91:92], v[153:154], -v[123:124]
	v_add_f64 v[99:100], v[99:100], v[103:104]
	v_fma_f64 v[103:104], v[93:94], v[153:154], v[159:160]
	v_add_f64 v[101:102], v[101:102], v[113:114]
	s_clause 0x2
	buffer_load_dword v152, off, s[0:3], 0 offset:700
	buffer_load_dword v114, off, s[0:3], 0 offset:676
	;; [unrolled: 1-line block ×3, first 2 shown]
	s_waitcnt vmcnt(58) lgkmcnt(0)
	v_mul_f64 v[153:154], v[95:96], v[129:130]
	v_mul_f64 v[129:130], v[97:98], v[129:130]
	ds_read_b128 v[91:94], v148 offset:1152
	buffer_load_dword v164, off, s[0:3], 0 offset:692
	s_waitcnt vmcnt(57)
	v_fma_f64 v[109:110], v[1:2], v[119:120], -v[109:110]
	v_fma_f64 v[119:120], v[3:4], v[119:120], v[178:179]
	ds_read_b128 v[1:4], v148 offset:1168
	v_add_f64 v[99:100], v[99:100], v[123:124]
	v_add_f64 v[101:102], v[101:102], v[103:104]
	s_waitcnt vmcnt(53) lgkmcnt(1)
	v_mul_f64 v[103:104], v[91:92], v[115:116]
	v_mul_f64 v[115:116], v[93:94], v[115:116]
	s_waitcnt vmcnt(52)
	v_fma_f64 v[123:124], v[95:96], v[131:132], -v[129:130]
	v_add_f64 v[99:100], v[99:100], v[109:110]
	v_fma_f64 v[109:110], v[97:98], v[131:132], v[153:154]
	v_add_f64 v[101:102], v[101:102], v[119:120]
	ds_read_b128 v[95:98], v148 offset:1184
	s_waitcnt vmcnt(51) lgkmcnt(1)
	v_mul_f64 v[129:130], v[3:4], v[137:138]
	v_mul_f64 v[119:120], v[1:2], v[137:138]
	s_waitcnt vmcnt(49)
	v_fma_f64 v[115:116], v[91:92], v[117:118], -v[115:116]
	v_fma_f64 v[103:104], v[93:94], v[117:118], v[103:104]
	v_add_f64 v[99:100], v[99:100], v[123:124]
	v_add_f64 v[101:102], v[101:102], v[109:110]
	s_clause 0x3
	buffer_load_dword v109, off, s[0:3], 0 offset:32
	buffer_load_dword v110, off, s[0:3], 0 offset:36
	;; [unrolled: 1-line block ×4, first 2 shown]
	ds_read_b128 v[91:94], v148 offset:1200
	s_waitcnt vmcnt(49) lgkmcnt(1)
	v_mul_f64 v[123:124], v[95:96], v[121:122]
	v_mul_f64 v[121:122], v[97:98], v[121:122]
	s_waitcnt vmcnt(48)
	v_fma_f64 v[129:130], v[1:2], v[139:140], -v[129:130]
	v_add_f64 v[99:100], v[99:100], v[115:116]
	v_fma_f64 v[115:116], v[3:4], v[139:140], v[119:120]
	v_add_f64 v[101:102], v[101:102], v[103:104]
	ds_read_b128 v[1:4], v148 offset:1216
	s_waitcnt vmcnt(47) lgkmcnt(1)
	v_mul_f64 v[119:120], v[93:94], v[143:144]
	v_mul_f64 v[103:104], v[91:92], v[143:144]
	s_waitcnt vmcnt(45)
	v_fma_f64 v[121:122], v[95:96], v[125:126], -v[121:122]
	v_fma_f64 v[123:124], v[97:98], v[125:126], v[123:124]
	ds_read_b128 v[95:98], v148 offset:1232
	v_add_f64 v[99:100], v[99:100], v[129:130]
	v_add_f64 v[101:102], v[101:102], v[115:116]
	s_waitcnt vmcnt(41) lgkmcnt(1)
	v_mul_f64 v[125:126], v[3:4], v[127:128]
	s_waitcnt vmcnt(40)
	v_fma_f64 v[119:120], v[91:92], v[145:146], -v[119:120]
	v_mul_f64 v[115:116], v[1:2], v[127:128]
	v_fma_f64 v[103:104], v[93:94], v[145:146], v[103:104]
	ds_read_b128 v[91:94], v148 offset:1248
	v_add_f64 v[99:100], v[99:100], v[121:122]
	v_add_f64 v[101:102], v[101:102], v[123:124]
	s_waitcnt vmcnt(39) lgkmcnt(1)
	v_mul_f64 v[123:124], v[97:98], v[165:166]
	v_mul_f64 v[121:122], v[95:96], v[165:166]
	s_waitcnt vmcnt(37)
	v_fma_f64 v[125:126], v[1:2], v[133:134], -v[125:126]
	v_fma_f64 v[115:116], v[3:4], v[133:134], v[115:116]
	ds_read_b128 v[1:4], v148 offset:1264
	v_add_f64 v[99:100], v[99:100], v[119:120]
	v_add_f64 v[101:102], v[101:102], v[103:104]
	s_waitcnt vmcnt(33) lgkmcnt(1)
	v_mul_f64 v[119:120], v[93:94], v[135:136]
	s_waitcnt vmcnt(32)
	v_fma_f64 v[123:124], v[95:96], v[169:170], -v[123:124]
	v_mul_f64 v[103:104], v[91:92], v[135:136]
	v_fma_f64 v[121:122], v[97:98], v[169:170], v[121:122]
	ds_read_b128 v[95:98], v148 offset:1280
	v_add_f64 v[99:100], v[99:100], v[125:126]
	v_add_f64 v[101:102], v[101:102], v[115:116]
	;; [unrolled: 18-line block ×3, first 2 shown]
	s_waitcnt vmcnt(23) lgkmcnt(1)
	v_mul_f64 v[119:120], v[93:94], v[167:168]
	v_mul_f64 v[103:104], v[91:92], v[167:168]
	s_waitcnt vmcnt(21)
	v_fma_f64 v[123:124], v[95:96], v[105:106], -v[123:124]
	v_fma_f64 v[105:106], v[97:98], v[105:106], v[121:122]
	ds_read_b128 v[95:98], v148 offset:1328
	v_add_f64 v[99:100], v[99:100], v[125:126]
	v_add_f64 v[101:102], v[101:102], v[115:116]
	s_waitcnt vmcnt(17) lgkmcnt(1)
	v_mul_f64 v[115:116], v[1:2], v[111:112]
	v_mul_f64 v[111:112], v[3:4], v[111:112]
	s_waitcnt vmcnt(16)
	v_fma_f64 v[119:120], v[91:92], v[171:172], -v[119:120]
	v_fma_f64 v[103:104], v[93:94], v[171:172], v[103:104]
	ds_read_b128 v[91:94], v148 offset:1344
	v_add_f64 v[99:100], v[99:100], v[123:124]
	v_add_f64 v[101:102], v[101:102], v[105:106]
	;; [unrolled: 9-line block ×3, first 2 shown]
	s_waitcnt vmcnt(9) lgkmcnt(1)
	v_mul_f64 v[115:116], v[93:94], v[149:150]
	s_waitcnt vmcnt(8)
	v_fma_f64 v[95:96], v[95:96], v[176:177], -v[121:122]
	v_mul_f64 v[103:104], v[91:92], v[149:150]
	v_fma_f64 v[97:98], v[97:98], v[176:177], v[105:106]
	v_add_f64 v[99:100], v[99:100], v[111:112]
	v_add_f64 v[101:102], v[101:102], v[107:108]
	s_waitcnt vmcnt(7) lgkmcnt(0)
	v_mul_f64 v[107:108], v[3:4], v[151:152]
	v_mul_f64 v[105:106], v[1:2], v[151:152]
	s_waitcnt vmcnt(5)
	v_fma_f64 v[91:92], v[91:92], v[113:114], -v[115:116]
	v_fma_f64 v[93:94], v[93:94], v[113:114], v[103:104]
	v_add_f64 v[95:96], v[99:100], v[95:96]
	v_add_f64 v[97:98], v[101:102], v[97:98]
	s_waitcnt vmcnt(4)
	v_fma_f64 v[1:2], v[1:2], v[163:164], -v[107:108]
	v_fma_f64 v[3:4], v[3:4], v[163:164], v[105:106]
	v_add_f64 v[91:92], v[95:96], v[91:92]
	v_add_f64 v[93:94], v[97:98], v[93:94]
	v_add_f64 v[1:2], v[91:92], v[1:2]
	v_add_f64 v[3:4], v[93:94], v[3:4]
	s_waitcnt vmcnt(2)
	v_add_f64 v[1:2], v[109:110], -v[1:2]
	s_waitcnt vmcnt(0)
	v_add_f64 v[3:4], v[117:118], -v[3:4]
	buffer_store_dword v2, off, s[0:3], 0 offset:36
	buffer_store_dword v1, off, s[0:3], 0 offset:32
	buffer_store_dword v4, off, s[0:3], 0 offset:44
	buffer_store_dword v3, off, s[0:3], 0 offset:40
	v_cmpx_ne_u32_e32 0, v0
	s_cbranch_execz .LBB106_271
; %bb.270:
	s_clause 0x3
	buffer_load_dword v0, off, s[0:3], 0 offset:16
	buffer_load_dword v1, off, s[0:3], 0 offset:20
	;; [unrolled: 1-line block ×4, first 2 shown]
	buffer_store_dword v148, off, s[0:3], 0 offset:16
	buffer_store_dword v148, off, s[0:3], 0 offset:20
	;; [unrolled: 1-line block ×4, first 2 shown]
	s_waitcnt vmcnt(0)
	ds_write_b128 v147, v[0:3]
.LBB106_271:
	s_or_b32 exec_lo, exec_lo, s4
	s_waitcnt lgkmcnt(0)
	s_waitcnt_vscnt null, 0x0
	s_barrier
	buffer_gl0_inv
	s_clause 0x37
	buffer_load_dword v95, off, s[0:3], 0 offset:40
	buffer_load_dword v96, off, s[0:3], 0 offset:44
	buffer_load_dword v91, off, s[0:3], 0 offset:56
	buffer_load_dword v92, off, s[0:3], 0 offset:60
	buffer_load_dword v93, off, s[0:3], 0 offset:32
	buffer_load_dword v94, off, s[0:3], 0 offset:36
	buffer_load_dword v2, off, s[0:3], 0 offset:72
	buffer_load_dword v3, off, s[0:3], 0 offset:76
	buffer_load_dword v0, off, s[0:3], 0 offset:48
	buffer_load_dword v1, off, s[0:3], 0 offset:52
	buffer_load_dword v100, off, s[0:3], 0 offset:92
	buffer_load_dword v103, off, s[0:3], 0 offset:104
	buffer_load_dword v97, off, s[0:3], 0 offset:96
	buffer_load_dword v99, off, s[0:3], 0 offset:88
	buffer_load_dword v111, off, s[0:3], 0 offset:64
	buffer_load_dword v112, off, s[0:3], 0 offset:68
	buffer_load_dword v104, off, s[0:3], 0 offset:108
	buffer_load_dword v106, off, s[0:3], 0 offset:84
	buffer_load_dword v105, off, s[0:3], 0 offset:80
	buffer_load_dword v108, off, s[0:3], 0 offset:124
	buffer_load_dword v113, off, s[0:3], 0 offset:136
	buffer_load_dword v101, off, s[0:3], 0 offset:128
	buffer_load_dword v107, off, s[0:3], 0 offset:120
	buffer_load_dword v98, off, s[0:3], 0 offset:100
	buffer_load_dword v114, off, s[0:3], 0 offset:140
	buffer_load_dword v116, off, s[0:3], 0 offset:116
	buffer_load_dword v115, off, s[0:3], 0 offset:112
	buffer_load_dword v118, off, s[0:3], 0 offset:156
	buffer_load_dword v121, off, s[0:3], 0 offset:168
	buffer_load_dword v109, off, s[0:3], 0 offset:160
	buffer_load_dword v117, off, s[0:3], 0 offset:152
	buffer_load_dword v102, off, s[0:3], 0 offset:132
	buffer_load_dword v122, off, s[0:3], 0 offset:172
	buffer_load_dword v124, off, s[0:3], 0 offset:148
	buffer_load_dword v123, off, s[0:3], 0 offset:144
	buffer_load_dword v126, off, s[0:3], 0 offset:188
	buffer_load_dword v129, off, s[0:3], 0 offset:200
	buffer_load_dword v119, off, s[0:3], 0 offset:192
	buffer_load_dword v125, off, s[0:3], 0 offset:184
	buffer_load_dword v110, off, s[0:3], 0 offset:164
	buffer_load_dword v130, off, s[0:3], 0 offset:204
	buffer_load_dword v132, off, s[0:3], 0 offset:180
	buffer_load_dword v131, off, s[0:3], 0 offset:176
	buffer_load_dword v134, off, s[0:3], 0 offset:220
	buffer_load_dword v137, off, s[0:3], 0 offset:232
	buffer_load_dword v127, off, s[0:3], 0 offset:224
	buffer_load_dword v133, off, s[0:3], 0 offset:216
	buffer_load_dword v120, off, s[0:3], 0 offset:196
	buffer_load_dword v138, off, s[0:3], 0 offset:236
	buffer_load_dword v140, off, s[0:3], 0 offset:212
	buffer_load_dword v139, off, s[0:3], 0 offset:208
	buffer_load_dword v142, off, s[0:3], 0 offset:252
	buffer_load_dword v143, off, s[0:3], 0 offset:264
	buffer_load_dword v135, off, s[0:3], 0 offset:256
	buffer_load_dword v141, off, s[0:3], 0 offset:248
	buffer_load_dword v128, off, s[0:3], 0 offset:228
	ds_read_b128 v[149:152], v148 offset:704
	s_clause 0x2
	buffer_load_dword v144, off, s[0:3], 0 offset:268
	buffer_load_dword v146, off, s[0:3], 0 offset:244
	;; [unrolled: 1-line block ×3, first 2 shown]
	ds_read_b128 v[153:156], v148 offset:720
	s_clause 0x4
	buffer_load_dword v164, off, s[0:3], 0 offset:284
	buffer_load_dword v165, off, s[0:3], 0 offset:296
	;; [unrolled: 1-line block ×5, first 2 shown]
	ds_read_b128 v[157:160], v148 offset:736
	s_clause 0x2
	buffer_load_dword v166, off, s[0:3], 0 offset:300
	buffer_load_dword v171, off, s[0:3], 0 offset:276
	;; [unrolled: 1-line block ×3, first 2 shown]
	s_and_b32 vcc_lo, exec_lo, s55
	s_waitcnt vmcnt(62) lgkmcnt(2)
	v_mul_f64 v[161:162], v[151:152], v[95:96]
	v_mul_f64 v[95:96], v[149:150], v[95:96]
	s_waitcnt lgkmcnt(1)
	v_mul_f64 v[168:169], v[155:156], v[91:92]
	s_waitcnt vmcnt(59) lgkmcnt(0)
	v_mul_f64 v[172:173], v[159:160], v[2:3]
	v_fma_f64 v[149:150], v[149:150], v[93:94], -v[161:162]
	v_mul_f64 v[161:162], v[153:154], v[91:92]
	v_fma_f64 v[95:96], v[151:152], v[93:94], v[95:96]
	s_waitcnt vmcnt(57)
	v_fma_f64 v[153:154], v[153:154], v[0:1], -v[168:169]
	ds_read_b128 v[91:94], v148 offset:752
	v_mul_f64 v[151:152], v[157:158], v[2:3]
	s_waitcnt vmcnt(51)
	v_fma_f64 v[157:158], v[157:158], v[111:112], -v[172:173]
	v_add_f64 v[149:150], v[149:150], 0
	v_fma_f64 v[155:156], v[155:156], v[0:1], v[161:162]
	v_add_f64 v[95:96], v[95:96], 0
	s_clause 0x4
	buffer_load_dword v162, off, s[0:3], 0 offset:316
	buffer_load_dword v174, off, s[0:3], 0 offset:328
	;; [unrolled: 1-line block ×5, first 2 shown]
	s_waitcnt lgkmcnt(0)
	v_mul_f64 v[177:178], v[91:92], v[99:100]
	v_mul_f64 v[99:100], v[93:94], v[99:100]
	ds_read_b128 v[0:3], v148 offset:768
	v_fma_f64 v[111:112], v[159:160], v[111:112], v[151:152]
	v_add_f64 v[153:154], v[149:150], v[153:154]
	v_add_f64 v[95:96], v[95:96], v[155:156]
	s_clause 0x2
	buffer_load_dword v175, off, s[0:3], 0 offset:332
	buffer_load_dword v156, off, s[0:3], 0 offset:308
	;; [unrolled: 1-line block ×3, first 2 shown]
	s_waitcnt vmcnt(58) lgkmcnt(0)
	v_mul_f64 v[159:160], v[0:1], v[103:104]
	v_mul_f64 v[103:104], v[2:3], v[103:104]
	s_waitcnt vmcnt(56)
	v_fma_f64 v[99:100], v[91:92], v[105:106], -v[99:100]
	ds_read_b128 v[149:152], v148 offset:784
	v_fma_f64 v[105:106], v[93:94], v[105:106], v[177:178]
	v_add_f64 v[153:154], v[153:154], v[157:158]
	v_add_f64 v[95:96], v[95:96], v[111:112]
	s_clause 0x4
	buffer_load_dword v112, off, s[0:3], 0 offset:348
	buffer_load_dword v157, off, s[0:3], 0 offset:360
	;; [unrolled: 1-line block ×5, first 2 shown]
	ds_read_b128 v[91:94], v148 offset:800
	s_waitcnt vmcnt(57) lgkmcnt(1)
	v_mul_f64 v[178:179], v[149:150], v[107:108]
	v_mul_f64 v[107:108], v[151:152], v[107:108]
	s_waitcnt vmcnt(56)
	v_fma_f64 v[103:104], v[0:1], v[97:98], -v[103:104]
	v_fma_f64 v[97:98], v[2:3], v[97:98], v[159:160]
	v_add_f64 v[99:100], v[153:154], v[99:100]
	v_add_f64 v[95:96], v[95:96], v[105:106]
	s_clause 0x2
	buffer_load_dword v158, off, s[0:3], 0 offset:364
	buffer_load_dword v106, off, s[0:3], 0 offset:340
	;; [unrolled: 1-line block ×3, first 2 shown]
	s_waitcnt vmcnt(58) lgkmcnt(0)
	v_mul_f64 v[153:154], v[91:92], v[113:114]
	v_mul_f64 v[113:114], v[93:94], v[113:114]
	s_waitcnt vmcnt(56)
	v_fma_f64 v[107:108], v[149:150], v[115:116], -v[107:108]
	ds_read_b128 v[0:3], v148 offset:816
	v_add_f64 v[99:100], v[99:100], v[103:104]
	v_fma_f64 v[103:104], v[151:152], v[115:116], v[178:179]
	v_add_f64 v[115:116], v[95:96], v[97:98]
	s_clause 0x4
	buffer_load_dword v150, off, s[0:3], 0 offset:380
	buffer_load_dword v151, off, s[0:3], 0 offset:392
	;; [unrolled: 1-line block ×5, first 2 shown]
	ds_read_b128 v[95:98], v148 offset:832
	s_waitcnt vmcnt(57) lgkmcnt(1)
	v_mul_f64 v[178:179], v[0:1], v[117:118]
	v_mul_f64 v[117:118], v[2:3], v[117:118]
	s_waitcnt vmcnt(56)
	v_fma_f64 v[113:114], v[91:92], v[101:102], -v[113:114]
	v_fma_f64 v[101:102], v[93:94], v[101:102], v[153:154]
	v_add_f64 v[99:100], v[99:100], v[107:108]
	s_clause 0x2
	buffer_load_dword v152, off, s[0:3], 0 offset:396
	buffer_load_dword v108, off, s[0:3], 0 offset:372
	;; [unrolled: 1-line block ×3, first 2 shown]
	v_add_f64 v[103:104], v[115:116], v[103:104]
	s_waitcnt vmcnt(58) lgkmcnt(0)
	v_mul_f64 v[115:116], v[95:96], v[121:122]
	v_mul_f64 v[121:122], v[97:98], v[121:122]
	ds_read_b128 v[91:94], v148 offset:848
	s_waitcnt vmcnt(56)
	v_fma_f64 v[117:118], v[0:1], v[123:124], -v[117:118]
	v_add_f64 v[99:100], v[99:100], v[113:114]
	v_fma_f64 v[113:114], v[2:3], v[123:124], v[178:179]
	v_add_f64 v[101:102], v[103:104], v[101:102]
	s_clause 0x4
	buffer_load_dword v104, off, s[0:3], 0 offset:412
	buffer_load_dword v123, off, s[0:3], 0 offset:424
	;; [unrolled: 1-line block ×5, first 2 shown]
	s_waitcnt vmcnt(57) lgkmcnt(0)
	v_mul_f64 v[178:179], v[91:92], v[125:126]
	v_mul_f64 v[125:126], v[93:94], v[125:126]
	s_waitcnt vmcnt(56)
	v_fma_f64 v[121:122], v[95:96], v[109:110], -v[121:122]
	ds_read_b128 v[0:3], v148 offset:864
	v_fma_f64 v[109:110], v[97:98], v[109:110], v[115:116]
	v_add_f64 v[99:100], v[99:100], v[117:118]
	v_add_f64 v[101:102], v[101:102], v[113:114]
	s_clause 0x2
	buffer_load_dword v124, off, s[0:3], 0 offset:428
	buffer_load_dword v114, off, s[0:3], 0 offset:404
	;; [unrolled: 1-line block ×3, first 2 shown]
	ds_read_b128 v[95:98], v148 offset:880
	s_waitcnt vmcnt(58) lgkmcnt(1)
	v_mul_f64 v[117:118], v[2:3], v[129:130]
	s_waitcnt vmcnt(56)
	v_fma_f64 v[125:126], v[91:92], v[131:132], -v[125:126]
	v_mul_f64 v[115:116], v[0:1], v[129:130]
	v_add_f64 v[99:100], v[99:100], v[121:122]
	v_fma_f64 v[121:122], v[93:94], v[131:132], v[178:179]
	v_add_f64 v[101:102], v[101:102], v[109:110]
	s_clause 0x4
	buffer_load_dword v110, off, s[0:3], 0 offset:444
	buffer_load_dword v129, off, s[0:3], 0 offset:456
	;; [unrolled: 1-line block ×5, first 2 shown]
	s_waitcnt vmcnt(57) lgkmcnt(0)
	v_mul_f64 v[178:179], v[95:96], v[133:134]
	v_mul_f64 v[132:133], v[97:98], v[133:134]
	s_waitcnt vmcnt(56)
	v_fma_f64 v[117:118], v[0:1], v[119:120], -v[117:118]
	ds_read_b128 v[91:94], v148 offset:896
	v_fma_f64 v[115:116], v[2:3], v[119:120], v[115:116]
	s_clause 0x2
	buffer_load_dword v130, off, s[0:3], 0 offset:460
	buffer_load_dword v120, off, s[0:3], 0 offset:436
	;; [unrolled: 1-line block ×3, first 2 shown]
	ds_read_b128 v[0:3], v148 offset:912
	v_add_f64 v[99:100], v[99:100], v[125:126]
	v_add_f64 v[101:102], v[101:102], v[121:122]
	s_waitcnt vmcnt(58) lgkmcnt(1)
	v_mul_f64 v[125:126], v[93:94], v[137:138]
	s_waitcnt vmcnt(56)
	v_fma_f64 v[133:134], v[95:96], v[139:140], -v[132:133]
	v_mul_f64 v[121:122], v[91:92], v[137:138]
	v_add_f64 v[99:100], v[99:100], v[117:118]
	v_fma_f64 v[117:118], v[97:98], v[139:140], v[178:179]
	v_add_f64 v[101:102], v[101:102], v[115:116]
	s_clause 0x4
	buffer_load_dword v116, off, s[0:3], 0 offset:476
	buffer_load_dword v137, off, s[0:3], 0 offset:488
	;; [unrolled: 1-line block ×5, first 2 shown]
	s_waitcnt vmcnt(57) lgkmcnt(0)
	v_mul_f64 v[178:179], v[0:1], v[141:142]
	v_mul_f64 v[140:141], v[2:3], v[141:142]
	s_waitcnt vmcnt(56)
	v_fma_f64 v[125:126], v[91:92], v[127:128], -v[125:126]
	ds_read_b128 v[95:98], v148 offset:928
	v_fma_f64 v[121:122], v[93:94], v[127:128], v[121:122]
	v_add_f64 v[99:100], v[99:100], v[133:134]
	v_add_f64 v[101:102], v[101:102], v[117:118]
	s_clause 0x2
	buffer_load_dword v138, off, s[0:3], 0 offset:492
	buffer_load_dword v118, off, s[0:3], 0 offset:468
	;; [unrolled: 1-line block ×3, first 2 shown]
	ds_read_b128 v[91:94], v148 offset:944
	s_waitcnt vmcnt(58) lgkmcnt(1)
	v_mul_f64 v[133:134], v[97:98], v[143:144]
	s_waitcnt vmcnt(56)
	v_fma_f64 v[141:142], v[0:1], v[145:146], -v[140:141]
	v_mul_f64 v[127:128], v[95:96], v[143:144]
	v_add_f64 v[99:100], v[99:100], v[125:126]
	v_fma_f64 v[125:126], v[2:3], v[145:146], v[178:179]
	v_add_f64 v[101:102], v[101:102], v[121:122]
	s_clause 0x4
	buffer_load_dword v122, off, s[0:3], 0 offset:508
	buffer_load_dword v143, off, s[0:3], 0 offset:520
	;; [unrolled: 1-line block ×5, first 2 shown]
	s_waitcnt vmcnt(57) lgkmcnt(0)
	v_mul_f64 v[146:147], v[91:92], v[163:164]
	v_mul_f64 v[163:164], v[93:94], v[163:164]
	s_waitcnt vmcnt(56)
	v_fma_f64 v[133:134], v[95:96], v[135:136], -v[133:134]
	ds_read_b128 v[0:3], v148 offset:960
	v_fma_f64 v[127:128], v[97:98], v[135:136], v[127:128]
	v_add_f64 v[99:100], v[99:100], v[141:142]
	v_add_f64 v[101:102], v[101:102], v[125:126]
	s_clause 0x2
	buffer_load_dword v144, off, s[0:3], 0 offset:524
	buffer_load_dword v126, off, s[0:3], 0 offset:500
	;; [unrolled: 1-line block ×3, first 2 shown]
	ds_read_b128 v[95:98], v148 offset:976
	s_waitcnt vmcnt(58) lgkmcnt(1)
	v_mul_f64 v[141:142], v[2:3], v[165:166]
	s_waitcnt vmcnt(56)
	v_fma_f64 v[163:164], v[91:92], v[170:171], -v[163:164]
	v_mul_f64 v[135:136], v[0:1], v[165:166]
	v_add_f64 v[99:100], v[99:100], v[133:134]
	v_fma_f64 v[133:134], v[93:94], v[170:171], v[146:147]
	v_add_f64 v[101:102], v[101:102], v[127:128]
	s_clause 0x4
	buffer_load_dword v128, off, s[0:3], 0 offset:540
	buffer_load_dword v165, off, s[0:3], 0 offset:552
	;; [unrolled: 1-line block ×5, first 2 shown]
	ds_read_b128 v[91:94], v148 offset:992
	s_waitcnt vmcnt(57) lgkmcnt(1)
	v_mul_f64 v[170:171], v[95:96], v[161:162]
	v_mul_f64 v[161:162], v[97:98], v[161:162]
	s_waitcnt vmcnt(56)
	v_fma_f64 v[141:142], v[0:1], v[167:168], -v[141:142]
	v_fma_f64 v[135:136], v[2:3], v[167:168], v[135:136]
	v_add_f64 v[99:100], v[99:100], v[163:164]
	v_add_f64 v[101:102], v[101:102], v[133:134]
	s_clause 0x2
	buffer_load_dword v166, off, s[0:3], 0 offset:556
	buffer_load_dword v134, off, s[0:3], 0 offset:532
	;; [unrolled: 1-line block ×3, first 2 shown]
	ds_read_b128 v[0:3], v148 offset:1008
	s_waitcnt vmcnt(58) lgkmcnt(1)
	v_mul_f64 v[167:168], v[93:94], v[174:175]
	v_mul_f64 v[163:164], v[91:92], v[174:175]
	s_waitcnt vmcnt(56)
	v_fma_f64 v[161:162], v[95:96], v[155:156], -v[161:162]
	v_add_f64 v[99:100], v[99:100], v[141:142]
	v_fma_f64 v[141:142], v[97:98], v[155:156], v[170:171]
	v_add_f64 v[101:102], v[101:102], v[135:136]
	s_clause 0x4
	buffer_load_dword v136, off, s[0:3], 0 offset:572
	buffer_load_dword v155, off, s[0:3], 0 offset:584
	buffer_load_dword v174, off, s[0:3], 0 offset:576
	buffer_load_dword v135, off, s[0:3], 0 offset:568
	buffer_load_dword v170, off, s[0:3], 0 offset:548
	ds_read_b128 v[95:98], v148 offset:1024
	s_waitcnt vmcnt(57) lgkmcnt(1)
	v_mul_f64 v[178:179], v[0:1], v[111:112]
	v_mul_f64 v[111:112], v[2:3], v[111:112]
	s_waitcnt vmcnt(56)
	v_fma_f64 v[167:168], v[91:92], v[176:177], -v[167:168]
	v_add_f64 v[99:100], v[99:100], v[161:162]
	v_fma_f64 v[161:162], v[93:94], v[176:177], v[163:164]
	v_add_f64 v[101:102], v[101:102], v[141:142]
	s_clause 0x2
	buffer_load_dword v156, off, s[0:3], 0 offset:588
	buffer_load_dword v142, off, s[0:3], 0 offset:564
	buffer_load_dword v141, off, s[0:3], 0 offset:560
	ds_read_b128 v[91:94], v148 offset:1040
	s_waitcnt vmcnt(58) lgkmcnt(1)
	v_mul_f64 v[163:164], v[95:96], v[157:158]
	v_mul_f64 v[157:158], v[97:98], v[157:158]
	s_waitcnt vmcnt(56)
	v_fma_f64 v[111:112], v[0:1], v[105:106], -v[111:112]
	v_fma_f64 v[105:106], v[2:3], v[105:106], v[178:179]
	v_add_f64 v[99:100], v[99:100], v[167:168]
	v_add_f64 v[101:102], v[101:102], v[161:162]
	s_clause 0x4
	buffer_load_dword v162, off, s[0:3], 0 offset:604
	buffer_load_dword v167, off, s[0:3], 0 offset:616
	buffer_load_dword v171, off, s[0:3], 0 offset:608
	buffer_load_dword v161, off, s[0:3], 0 offset:600
	buffer_load_dword v175, off, s[0:3], 0 offset:580
	ds_read_b128 v[0:3], v148 offset:1056
	s_waitcnt vmcnt(57) lgkmcnt(1)
	v_mul_f64 v[176:177], v[91:92], v[149:150]
	v_mul_f64 v[149:150], v[93:94], v[149:150]
	s_waitcnt vmcnt(56)
	v_fma_f64 v[157:158], v[95:96], v[172:173], -v[157:158]
	v_add_f64 v[99:100], v[99:100], v[111:112]
	v_fma_f64 v[111:112], v[97:98], v[172:173], v[163:164]
	v_add_f64 v[101:102], v[101:102], v[105:106]
	s_clause 0x2
	buffer_load_dword v168, off, s[0:3], 0 offset:620
	buffer_load_dword v106, off, s[0:3], 0 offset:596
	buffer_load_dword v105, off, s[0:3], 0 offset:592
	ds_read_b128 v[95:98], v148 offset:1072
	s_waitcnt vmcnt(58) lgkmcnt(1)
	v_mul_f64 v[163:164], v[0:1], v[151:152]
	v_mul_f64 v[151:152], v[2:3], v[151:152]
	s_waitcnt vmcnt(56)
	v_fma_f64 v[149:150], v[91:92], v[107:108], -v[149:150]
	v_fma_f64 v[107:108], v[93:94], v[107:108], v[176:177]
	v_add_f64 v[99:100], v[99:100], v[157:158]
	v_add_f64 v[101:102], v[101:102], v[111:112]
	s_clause 0x4
	buffer_load_dword v112, off, s[0:3], 0 offset:636
	buffer_load_dword v157, off, s[0:3], 0 offset:648
	buffer_load_dword v176, off, s[0:3], 0 offset:640
	buffer_load_dword v111, off, s[0:3], 0 offset:632
	buffer_load_dword v172, off, s[0:3], 0 offset:612
	ds_read_b128 v[91:94], v148 offset:1088
	s_waitcnt vmcnt(57) lgkmcnt(1)
	v_mul_f64 v[177:178], v[95:96], v[103:104]
	v_mul_f64 v[103:104], v[97:98], v[103:104]
	s_waitcnt vmcnt(56)
	v_fma_f64 v[151:152], v[0:1], v[159:160], -v[151:152]
	v_add_f64 v[99:100], v[99:100], v[149:150]
	v_fma_f64 v[149:150], v[2:3], v[159:160], v[163:164]
	v_add_f64 v[101:102], v[101:102], v[107:108]
	s_clause 0x2
	buffer_load_dword v158, off, s[0:3], 0 offset:652
	buffer_load_dword v108, off, s[0:3], 0 offset:628
	buffer_load_dword v107, off, s[0:3], 0 offset:624
	ds_read_b128 v[0:3], v148 offset:1104
	s_waitcnt vmcnt(58) lgkmcnt(1)
	v_mul_f64 v[159:160], v[91:92], v[123:124]
	v_mul_f64 v[123:124], v[93:94], v[123:124]
	s_waitcnt vmcnt(56)
	v_fma_f64 v[103:104], v[95:96], v[113:114], -v[103:104]
	v_fma_f64 v[113:114], v[97:98], v[113:114], v[177:178]
	v_add_f64 v[99:100], v[99:100], v[151:152]
	v_add_f64 v[101:102], v[101:102], v[149:150]
	s_clause 0x4
	buffer_load_dword v150, off, s[0:3], 0 offset:668
	buffer_load_dword v151, off, s[0:3], 0 offset:680
	;; [unrolled: 1-line block ×5, first 2 shown]
	ds_read_b128 v[95:98], v148 offset:1120
	s_waitcnt vmcnt(57) lgkmcnt(1)
	v_mul_f64 v[178:179], v[0:1], v[109:110]
	v_mul_f64 v[109:110], v[2:3], v[109:110]
	s_waitcnt vmcnt(56)
	v_fma_f64 v[123:124], v[91:92], v[153:154], -v[123:124]
	v_add_f64 v[99:100], v[99:100], v[103:104]
	v_fma_f64 v[103:104], v[93:94], v[153:154], v[159:160]
	v_add_f64 v[101:102], v[101:102], v[113:114]
	s_clause 0x2
	buffer_load_dword v152, off, s[0:3], 0 offset:684
	buffer_load_dword v114, off, s[0:3], 0 offset:660
	;; [unrolled: 1-line block ×3, first 2 shown]
	s_waitcnt vmcnt(58) lgkmcnt(0)
	v_mul_f64 v[153:154], v[95:96], v[129:130]
	v_mul_f64 v[129:130], v[97:98], v[129:130]
	ds_read_b128 v[91:94], v148 offset:1136
	s_waitcnt vmcnt(56)
	v_fma_f64 v[109:110], v[0:1], v[119:120], -v[109:110]
	v_fma_f64 v[119:120], v[2:3], v[119:120], v[178:179]
	v_add_f64 v[99:100], v[99:100], v[123:124]
	v_add_f64 v[101:102], v[101:102], v[103:104]
	s_clause 0x2
	buffer_load_dword v104, off, s[0:3], 0 offset:700
	buffer_load_dword v103, off, s[0:3], 0 offset:696
	;; [unrolled: 1-line block ×3, first 2 shown]
	ds_read_b128 v[0:3], v148 offset:1152
	s_waitcnt vmcnt(55) lgkmcnt(1)
	v_mul_f64 v[123:124], v[91:92], v[115:116]
	v_mul_f64 v[115:116], v[93:94], v[115:116]
	s_waitcnt vmcnt(54)
	v_fma_f64 v[129:130], v[95:96], v[131:132], -v[129:130]
	v_add_f64 v[99:100], v[99:100], v[109:110]
	v_fma_f64 v[109:110], v[97:98], v[131:132], v[153:154]
	v_add_f64 v[101:102], v[101:102], v[119:120]
	s_clause 0x1
	buffer_load_dword v120, off, s[0:3], 0 offset:692
	buffer_load_dword v119, off, s[0:3], 0 offset:688
	ds_read_b128 v[95:98], v148 offset:1168
	s_waitcnt vmcnt(55) lgkmcnt(1)
	v_mul_f64 v[131:132], v[0:1], v[137:138]
	v_mul_f64 v[137:138], v[2:3], v[137:138]
	s_waitcnt vmcnt(53)
	v_fma_f64 v[115:116], v[91:92], v[117:118], -v[115:116]
	v_fma_f64 v[117:118], v[93:94], v[117:118], v[123:124]
	ds_read_b128 v[91:94], v148 offset:1184
	v_add_f64 v[99:100], v[99:100], v[129:130]
	v_add_f64 v[101:102], v[101:102], v[109:110]
	s_waitcnt vmcnt(49) lgkmcnt(1)
	v_mul_f64 v[109:110], v[95:96], v[121:122]
	v_mul_f64 v[121:122], v[97:98], v[121:122]
	s_waitcnt vmcnt(48)
	v_fma_f64 v[123:124], v[0:1], v[139:140], -v[137:138]
	v_add_f64 v[99:100], v[99:100], v[115:116]
	v_fma_f64 v[115:116], v[2:3], v[139:140], v[131:132]
	v_add_f64 v[101:102], v[101:102], v[117:118]
	s_clause 0x3
	buffer_load_dword v117, off, s[0:3], 0 offset:16
	buffer_load_dword v118, off, s[0:3], 0 offset:20
	;; [unrolled: 1-line block ×4, first 2 shown]
	ds_read_b128 v[0:3], v148 offset:1200
	s_waitcnt vmcnt(51) lgkmcnt(1)
	v_mul_f64 v[137:138], v[93:94], v[143:144]
	v_mul_f64 v[131:132], v[91:92], v[143:144]
	s_waitcnt vmcnt(49)
	v_fma_f64 v[121:122], v[95:96], v[125:126], -v[121:122]
	v_fma_f64 v[109:110], v[97:98], v[125:126], v[109:110]
	ds_read_b128 v[95:98], v148 offset:1216
	v_add_f64 v[99:100], v[99:100], v[123:124]
	v_add_f64 v[101:102], v[101:102], v[115:116]
	s_waitcnt vmcnt(45) lgkmcnt(1)
	v_mul_f64 v[123:124], v[2:3], v[127:128]
	s_waitcnt vmcnt(44)
	v_fma_f64 v[125:126], v[91:92], v[145:146], -v[137:138]
	v_mul_f64 v[115:116], v[0:1], v[127:128]
	v_add_f64 v[99:100], v[99:100], v[121:122]
	v_fma_f64 v[121:122], v[93:94], v[145:146], v[131:132]
	v_add_f64 v[101:102], v[101:102], v[109:110]
	ds_read_b128 v[91:94], v148 offset:1232
	s_waitcnt vmcnt(43) lgkmcnt(1)
	v_mul_f64 v[127:128], v[97:98], v[165:166]
	v_mul_f64 v[109:110], v[95:96], v[165:166]
	s_waitcnt vmcnt(41)
	v_fma_f64 v[123:124], v[0:1], v[133:134], -v[123:124]
	v_fma_f64 v[115:116], v[2:3], v[133:134], v[115:116]
	ds_read_b128 v[0:3], v148 offset:1248
	v_add_f64 v[99:100], v[99:100], v[125:126]
	v_add_f64 v[101:102], v[101:102], v[121:122]
	s_waitcnt vmcnt(37) lgkmcnt(1)
	v_mul_f64 v[125:126], v[93:94], v[135:136]
	s_waitcnt vmcnt(36)
	v_fma_f64 v[127:128], v[95:96], v[169:170], -v[127:128]
	v_mul_f64 v[121:122], v[91:92], v[135:136]
	v_fma_f64 v[109:110], v[97:98], v[169:170], v[109:110]
	ds_read_b128 v[95:98], v148 offset:1264
	v_add_f64 v[99:100], v[99:100], v[123:124]
	v_add_f64 v[101:102], v[101:102], v[115:116]
	s_waitcnt vmcnt(35) lgkmcnt(1)
	v_mul_f64 v[123:124], v[2:3], v[155:156]
	v_mul_f64 v[115:116], v[0:1], v[155:156]
	s_waitcnt vmcnt(33)
	v_fma_f64 v[125:126], v[91:92], v[141:142], -v[125:126]
	v_fma_f64 v[121:122], v[93:94], v[141:142], v[121:122]
	ds_read_b128 v[91:94], v148 offset:1280
	v_add_f64 v[99:100], v[99:100], v[127:128]
	v_add_f64 v[101:102], v[101:102], v[109:110]
	s_waitcnt vmcnt(29) lgkmcnt(1)
	v_mul_f64 v[127:128], v[97:98], v[161:162]
	s_waitcnt vmcnt(28)
	v_fma_f64 v[123:124], v[0:1], v[174:175], -v[123:124]
	v_mul_f64 v[109:110], v[95:96], v[161:162]
	v_fma_f64 v[115:116], v[2:3], v[174:175], v[115:116]
	ds_read_b128 v[0:3], v148 offset:1296
	v_add_f64 v[99:100], v[99:100], v[125:126]
	v_add_f64 v[101:102], v[101:102], v[121:122]
	s_waitcnt vmcnt(27) lgkmcnt(1)
	v_mul_f64 v[125:126], v[93:94], v[167:168]
	v_mul_f64 v[121:122], v[91:92], v[167:168]
	s_waitcnt vmcnt(25)
	v_fma_f64 v[127:128], v[95:96], v[105:106], -v[127:128]
	v_fma_f64 v[105:106], v[97:98], v[105:106], v[109:110]
	ds_read_b128 v[95:98], v148 offset:1312
	v_add_f64 v[99:100], v[99:100], v[123:124]
	v_add_f64 v[101:102], v[101:102], v[115:116]
	s_waitcnt vmcnt(21) lgkmcnt(1)
	v_mul_f64 v[109:110], v[0:1], v[111:112]
	v_mul_f64 v[111:112], v[2:3], v[111:112]
	s_waitcnt vmcnt(20)
	v_fma_f64 v[115:116], v[91:92], v[171:172], -v[125:126]
	;; [unrolled: 9-line block ×3, first 2 shown]
	v_fma_f64 v[107:108], v[2:3], v[107:108], v[109:110]
	ds_read_b128 v[0:3], v148 offset:1344
	v_add_f64 v[99:100], v[99:100], v[115:116]
	v_add_f64 v[101:102], v[101:102], v[121:122]
	s_waitcnt vmcnt(13) lgkmcnt(1)
	v_mul_f64 v[115:116], v[93:94], v[149:150]
	s_waitcnt vmcnt(12)
	v_fma_f64 v[121:122], v[95:96], v[176:177], -v[123:124]
	v_mul_f64 v[109:110], v[91:92], v[149:150]
	v_fma_f64 v[105:106], v[97:98], v[176:177], v[105:106]
	ds_read_b128 v[95:98], v148 offset:1360
	v_add_f64 v[99:100], v[99:100], v[111:112]
	v_add_f64 v[101:102], v[101:102], v[107:108]
	s_waitcnt vmcnt(11) lgkmcnt(1)
	v_mul_f64 v[111:112], v[2:3], v[151:152]
	v_mul_f64 v[107:108], v[0:1], v[151:152]
	s_waitcnt vmcnt(9)
	v_fma_f64 v[91:92], v[91:92], v[113:114], -v[115:116]
	v_fma_f64 v[93:94], v[93:94], v[113:114], v[109:110]
	v_add_f64 v[99:100], v[99:100], v[121:122]
	v_add_f64 v[101:102], v[101:102], v[105:106]
	s_waitcnt vmcnt(7) lgkmcnt(0)
	v_mul_f64 v[105:106], v[95:96], v[103:104]
	v_mul_f64 v[103:104], v[97:98], v[103:104]
	s_waitcnt vmcnt(6)
	v_fma_f64 v[0:1], v[0:1], v[163:164], -v[111:112]
	v_fma_f64 v[2:3], v[2:3], v[163:164], v[107:108]
	v_add_f64 v[91:92], v[99:100], v[91:92]
	v_add_f64 v[93:94], v[101:102], v[93:94]
	s_waitcnt vmcnt(4)
	v_fma_f64 v[95:96], v[95:96], v[119:120], -v[103:104]
	v_add_f64 v[0:1], v[91:92], v[0:1]
	v_fma_f64 v[91:92], v[97:98], v[119:120], v[105:106]
	v_add_f64 v[2:3], v[93:94], v[2:3]
	v_add_f64 v[0:1], v[0:1], v[95:96]
	;; [unrolled: 1-line block ×3, first 2 shown]
	s_waitcnt vmcnt(2)
	v_add_f64 v[0:1], v[117:118], -v[0:1]
	s_waitcnt vmcnt(0)
	v_add_f64 v[2:3], v[129:130], -v[2:3]
	buffer_store_dword v1, off, s[0:3], 0 offset:20
	buffer_store_dword v0, off, s[0:3], 0 offset:16
	;; [unrolled: 1-line block ×4, first 2 shown]
	s_cbranch_vccz .LBB106_356
; %bb.272:
	v_mov_b32_e32 v0, 0
	global_load_dword v1, v0, s[12:13] offset:164
	s_waitcnt vmcnt(0)
	v_add_nc_u32_e32 v1, -1, v1
	v_cmp_ne_u32_e32 vcc_lo, 41, v1
	s_cbranch_vccz .LBB106_274
; %bb.273:
	v_lshlrev_b32_e32 v1, 4, v1
	v_mov_b32_e32 v2, s9
	v_add_nc_u32_e32 v1, 16, v1
	s_clause 0x7
	buffer_load_dword v3, v1, s[0:3], 0 offen
	buffer_load_dword v4, v1, s[0:3], 0 offen offset:4
	buffer_load_dword v91, v1, s[0:3], 0 offen offset:8
	;; [unrolled: 1-line block ×6, first 2 shown]
	buffer_load_dword v96, v2, s[0:3], 0 offen
	s_waitcnt vmcnt(7)
	buffer_store_dword v3, v2, s[0:3], 0 offen
	s_waitcnt vmcnt(6)
	buffer_store_dword v4, v2, s[0:3], 0 offen offset:4
	s_waitcnt vmcnt(5)
	buffer_store_dword v91, v2, s[0:3], 0 offen offset:8
	;; [unrolled: 2-line block ×6, first 2 shown]
	s_waitcnt vmcnt(0)
	buffer_store_dword v96, v1, s[0:3], 0 offen
.LBB106_274:
	global_load_dword v0, v0, s[12:13] offset:160
	s_waitcnt vmcnt(0)
	v_add_nc_u32_e32 v0, -1, v0
	v_cmp_eq_u32_e32 vcc_lo, 40, v0
	s_cbranch_vccnz .LBB106_276
; %bb.275:
	v_lshlrev_b32_e32 v0, 4, v0
	v_mov_b32_e32 v1, s14
	v_add_nc_u32_e32 v0, 16, v0
	s_clause 0x7
	buffer_load_dword v2, v0, s[0:3], 0 offen
	buffer_load_dword v3, v0, s[0:3], 0 offen offset:4
	buffer_load_dword v4, v0, s[0:3], 0 offen offset:8
	;; [unrolled: 1-line block ×6, first 2 shown]
	buffer_load_dword v95, v1, s[0:3], 0 offen
	s_waitcnt vmcnt(7)
	buffer_store_dword v2, v1, s[0:3], 0 offen
	s_waitcnt vmcnt(6)
	buffer_store_dword v3, v1, s[0:3], 0 offen offset:4
	s_waitcnt vmcnt(5)
	buffer_store_dword v4, v1, s[0:3], 0 offen offset:8
	;; [unrolled: 2-line block ×6, first 2 shown]
	s_waitcnt vmcnt(0)
	buffer_store_dword v95, v0, s[0:3], 0 offen
.LBB106_276:
	v_mov_b32_e32 v0, 0
	global_load_dword v1, v0, s[12:13] offset:156
	s_waitcnt vmcnt(0)
	v_add_nc_u32_e32 v1, -1, v1
	v_cmp_eq_u32_e32 vcc_lo, 39, v1
	s_cbranch_vccnz .LBB106_278
; %bb.277:
	v_lshlrev_b32_e32 v1, 4, v1
	v_mov_b32_e32 v2, s15
	v_add_nc_u32_e32 v1, 16, v1
	s_clause 0x7
	buffer_load_dword v3, v1, s[0:3], 0 offen
	buffer_load_dword v4, v1, s[0:3], 0 offen offset:4
	buffer_load_dword v91, v1, s[0:3], 0 offen offset:8
	;; [unrolled: 1-line block ×6, first 2 shown]
	buffer_load_dword v96, v2, s[0:3], 0 offen
	s_waitcnt vmcnt(7)
	buffer_store_dword v3, v2, s[0:3], 0 offen
	s_waitcnt vmcnt(6)
	buffer_store_dword v4, v2, s[0:3], 0 offen offset:4
	s_waitcnt vmcnt(5)
	buffer_store_dword v91, v2, s[0:3], 0 offen offset:8
	;; [unrolled: 2-line block ×6, first 2 shown]
	s_waitcnt vmcnt(0)
	buffer_store_dword v96, v1, s[0:3], 0 offen
.LBB106_278:
	global_load_dword v0, v0, s[12:13] offset:152
	s_waitcnt vmcnt(0)
	v_add_nc_u32_e32 v0, -1, v0
	v_cmp_eq_u32_e32 vcc_lo, 38, v0
	s_cbranch_vccnz .LBB106_280
; %bb.279:
	v_lshlrev_b32_e32 v0, 4, v0
	v_mov_b32_e32 v1, s16
	v_add_nc_u32_e32 v0, 16, v0
	s_clause 0x7
	buffer_load_dword v2, v0, s[0:3], 0 offen
	buffer_load_dword v3, v0, s[0:3], 0 offen offset:4
	buffer_load_dword v4, v0, s[0:3], 0 offen offset:8
	;; [unrolled: 1-line block ×6, first 2 shown]
	buffer_load_dword v95, v1, s[0:3], 0 offen
	s_waitcnt vmcnt(7)
	buffer_store_dword v2, v1, s[0:3], 0 offen
	s_waitcnt vmcnt(6)
	buffer_store_dword v3, v1, s[0:3], 0 offen offset:4
	s_waitcnt vmcnt(5)
	buffer_store_dword v4, v1, s[0:3], 0 offen offset:8
	;; [unrolled: 2-line block ×6, first 2 shown]
	s_waitcnt vmcnt(0)
	buffer_store_dword v95, v0, s[0:3], 0 offen
.LBB106_280:
	v_mov_b32_e32 v0, 0
	global_load_dword v1, v0, s[12:13] offset:148
	s_waitcnt vmcnt(0)
	v_add_nc_u32_e32 v1, -1, v1
	v_cmp_eq_u32_e32 vcc_lo, 37, v1
	s_cbranch_vccnz .LBB106_282
; %bb.281:
	v_lshlrev_b32_e32 v1, 4, v1
	v_mov_b32_e32 v2, s17
	v_add_nc_u32_e32 v1, 16, v1
	s_clause 0x7
	buffer_load_dword v3, v1, s[0:3], 0 offen
	buffer_load_dword v4, v1, s[0:3], 0 offen offset:4
	buffer_load_dword v91, v1, s[0:3], 0 offen offset:8
	;; [unrolled: 1-line block ×6, first 2 shown]
	buffer_load_dword v96, v2, s[0:3], 0 offen
	s_waitcnt vmcnt(7)
	buffer_store_dword v3, v2, s[0:3], 0 offen
	s_waitcnt vmcnt(6)
	buffer_store_dword v4, v2, s[0:3], 0 offen offset:4
	s_waitcnt vmcnt(5)
	buffer_store_dword v91, v2, s[0:3], 0 offen offset:8
	;; [unrolled: 2-line block ×6, first 2 shown]
	s_waitcnt vmcnt(0)
	buffer_store_dword v96, v1, s[0:3], 0 offen
.LBB106_282:
	global_load_dword v0, v0, s[12:13] offset:144
	s_waitcnt vmcnt(0)
	v_add_nc_u32_e32 v0, -1, v0
	v_cmp_eq_u32_e32 vcc_lo, 36, v0
	s_cbranch_vccnz .LBB106_284
; %bb.283:
	v_lshlrev_b32_e32 v0, 4, v0
	v_mov_b32_e32 v1, s18
	v_add_nc_u32_e32 v0, 16, v0
	s_clause 0x7
	buffer_load_dword v2, v0, s[0:3], 0 offen
	buffer_load_dword v3, v0, s[0:3], 0 offen offset:4
	buffer_load_dword v4, v0, s[0:3], 0 offen offset:8
	;; [unrolled: 1-line block ×6, first 2 shown]
	buffer_load_dword v95, v1, s[0:3], 0 offen
	s_waitcnt vmcnt(7)
	buffer_store_dword v2, v1, s[0:3], 0 offen
	s_waitcnt vmcnt(6)
	buffer_store_dword v3, v1, s[0:3], 0 offen offset:4
	s_waitcnt vmcnt(5)
	buffer_store_dword v4, v1, s[0:3], 0 offen offset:8
	;; [unrolled: 2-line block ×6, first 2 shown]
	s_waitcnt vmcnt(0)
	buffer_store_dword v95, v0, s[0:3], 0 offen
.LBB106_284:
	v_mov_b32_e32 v0, 0
	global_load_dword v1, v0, s[12:13] offset:140
	s_waitcnt vmcnt(0)
	v_add_nc_u32_e32 v1, -1, v1
	v_cmp_eq_u32_e32 vcc_lo, 35, v1
	s_cbranch_vccnz .LBB106_286
; %bb.285:
	v_lshlrev_b32_e32 v1, 4, v1
	v_mov_b32_e32 v2, s19
	v_add_nc_u32_e32 v1, 16, v1
	s_clause 0x7
	buffer_load_dword v3, v1, s[0:3], 0 offen
	buffer_load_dword v4, v1, s[0:3], 0 offen offset:4
	buffer_load_dword v91, v1, s[0:3], 0 offen offset:8
	;; [unrolled: 1-line block ×6, first 2 shown]
	buffer_load_dword v96, v2, s[0:3], 0 offen
	s_waitcnt vmcnt(7)
	buffer_store_dword v3, v2, s[0:3], 0 offen
	s_waitcnt vmcnt(6)
	buffer_store_dword v4, v2, s[0:3], 0 offen offset:4
	s_waitcnt vmcnt(5)
	buffer_store_dword v91, v2, s[0:3], 0 offen offset:8
	;; [unrolled: 2-line block ×6, first 2 shown]
	s_waitcnt vmcnt(0)
	buffer_store_dword v96, v1, s[0:3], 0 offen
.LBB106_286:
	global_load_dword v0, v0, s[12:13] offset:136
	s_waitcnt vmcnt(0)
	v_add_nc_u32_e32 v0, -1, v0
	v_cmp_eq_u32_e32 vcc_lo, 34, v0
	s_cbranch_vccnz .LBB106_288
; %bb.287:
	v_lshlrev_b32_e32 v0, 4, v0
	v_mov_b32_e32 v1, s20
	v_add_nc_u32_e32 v0, 16, v0
	s_clause 0x7
	buffer_load_dword v2, v0, s[0:3], 0 offen
	buffer_load_dword v3, v0, s[0:3], 0 offen offset:4
	buffer_load_dword v4, v0, s[0:3], 0 offen offset:8
	;; [unrolled: 1-line block ×6, first 2 shown]
	buffer_load_dword v95, v1, s[0:3], 0 offen
	s_waitcnt vmcnt(7)
	buffer_store_dword v2, v1, s[0:3], 0 offen
	s_waitcnt vmcnt(6)
	buffer_store_dword v3, v1, s[0:3], 0 offen offset:4
	s_waitcnt vmcnt(5)
	buffer_store_dword v4, v1, s[0:3], 0 offen offset:8
	;; [unrolled: 2-line block ×6, first 2 shown]
	s_waitcnt vmcnt(0)
	buffer_store_dword v95, v0, s[0:3], 0 offen
.LBB106_288:
	v_mov_b32_e32 v0, 0
	global_load_dword v1, v0, s[12:13] offset:132
	s_waitcnt vmcnt(0)
	v_add_nc_u32_e32 v1, -1, v1
	v_cmp_eq_u32_e32 vcc_lo, 33, v1
	s_cbranch_vccnz .LBB106_290
; %bb.289:
	v_lshlrev_b32_e32 v1, 4, v1
	v_mov_b32_e32 v2, s21
	v_add_nc_u32_e32 v1, 16, v1
	s_clause 0x7
	buffer_load_dword v3, v1, s[0:3], 0 offen
	buffer_load_dword v4, v1, s[0:3], 0 offen offset:4
	buffer_load_dword v91, v1, s[0:3], 0 offen offset:8
	;; [unrolled: 1-line block ×6, first 2 shown]
	buffer_load_dword v96, v2, s[0:3], 0 offen
	s_waitcnt vmcnt(7)
	buffer_store_dword v3, v2, s[0:3], 0 offen
	s_waitcnt vmcnt(6)
	buffer_store_dword v4, v2, s[0:3], 0 offen offset:4
	s_waitcnt vmcnt(5)
	buffer_store_dword v91, v2, s[0:3], 0 offen offset:8
	;; [unrolled: 2-line block ×6, first 2 shown]
	s_waitcnt vmcnt(0)
	buffer_store_dword v96, v1, s[0:3], 0 offen
.LBB106_290:
	global_load_dword v0, v0, s[12:13] offset:128
	s_waitcnt vmcnt(0)
	v_add_nc_u32_e32 v0, -1, v0
	v_cmp_eq_u32_e32 vcc_lo, 32, v0
	s_cbranch_vccnz .LBB106_292
; %bb.291:
	v_lshlrev_b32_e32 v0, 4, v0
	v_mov_b32_e32 v1, s22
	v_add_nc_u32_e32 v0, 16, v0
	s_clause 0x7
	buffer_load_dword v2, v0, s[0:3], 0 offen
	buffer_load_dword v3, v0, s[0:3], 0 offen offset:4
	buffer_load_dword v4, v0, s[0:3], 0 offen offset:8
	;; [unrolled: 1-line block ×6, first 2 shown]
	buffer_load_dword v95, v1, s[0:3], 0 offen
	s_waitcnt vmcnt(7)
	buffer_store_dword v2, v1, s[0:3], 0 offen
	s_waitcnt vmcnt(6)
	buffer_store_dword v3, v1, s[0:3], 0 offen offset:4
	s_waitcnt vmcnt(5)
	buffer_store_dword v4, v1, s[0:3], 0 offen offset:8
	;; [unrolled: 2-line block ×6, first 2 shown]
	s_waitcnt vmcnt(0)
	buffer_store_dword v95, v0, s[0:3], 0 offen
.LBB106_292:
	v_mov_b32_e32 v0, 0
	global_load_dword v1, v0, s[12:13] offset:124
	s_waitcnt vmcnt(0)
	v_add_nc_u32_e32 v1, -1, v1
	v_cmp_eq_u32_e32 vcc_lo, 31, v1
	s_cbranch_vccnz .LBB106_294
; %bb.293:
	v_lshlrev_b32_e32 v1, 4, v1
	v_mov_b32_e32 v2, s23
	v_add_nc_u32_e32 v1, 16, v1
	s_clause 0x7
	buffer_load_dword v3, v1, s[0:3], 0 offen
	buffer_load_dword v4, v1, s[0:3], 0 offen offset:4
	buffer_load_dword v91, v1, s[0:3], 0 offen offset:8
	;; [unrolled: 1-line block ×6, first 2 shown]
	buffer_load_dword v96, v2, s[0:3], 0 offen
	s_waitcnt vmcnt(7)
	buffer_store_dword v3, v2, s[0:3], 0 offen
	s_waitcnt vmcnt(6)
	buffer_store_dword v4, v2, s[0:3], 0 offen offset:4
	s_waitcnt vmcnt(5)
	buffer_store_dword v91, v2, s[0:3], 0 offen offset:8
	;; [unrolled: 2-line block ×6, first 2 shown]
	s_waitcnt vmcnt(0)
	buffer_store_dword v96, v1, s[0:3], 0 offen
.LBB106_294:
	global_load_dword v0, v0, s[12:13] offset:120
	s_waitcnt vmcnt(0)
	v_add_nc_u32_e32 v0, -1, v0
	v_cmp_eq_u32_e32 vcc_lo, 30, v0
	s_cbranch_vccnz .LBB106_296
; %bb.295:
	v_lshlrev_b32_e32 v0, 4, v0
	v_mov_b32_e32 v1, s24
	v_add_nc_u32_e32 v0, 16, v0
	s_clause 0x7
	buffer_load_dword v2, v0, s[0:3], 0 offen
	buffer_load_dword v3, v0, s[0:3], 0 offen offset:4
	buffer_load_dword v4, v0, s[0:3], 0 offen offset:8
	;; [unrolled: 1-line block ×6, first 2 shown]
	buffer_load_dword v95, v1, s[0:3], 0 offen
	s_waitcnt vmcnt(7)
	buffer_store_dword v2, v1, s[0:3], 0 offen
	s_waitcnt vmcnt(6)
	buffer_store_dword v3, v1, s[0:3], 0 offen offset:4
	s_waitcnt vmcnt(5)
	buffer_store_dword v4, v1, s[0:3], 0 offen offset:8
	;; [unrolled: 2-line block ×6, first 2 shown]
	s_waitcnt vmcnt(0)
	buffer_store_dword v95, v0, s[0:3], 0 offen
.LBB106_296:
	v_mov_b32_e32 v0, 0
	global_load_dword v1, v0, s[12:13] offset:116
	s_waitcnt vmcnt(0)
	v_add_nc_u32_e32 v1, -1, v1
	v_cmp_eq_u32_e32 vcc_lo, 29, v1
	s_cbranch_vccnz .LBB106_298
; %bb.297:
	v_lshlrev_b32_e32 v1, 4, v1
	v_mov_b32_e32 v2, s25
	v_add_nc_u32_e32 v1, 16, v1
	s_clause 0x7
	buffer_load_dword v3, v1, s[0:3], 0 offen
	buffer_load_dword v4, v1, s[0:3], 0 offen offset:4
	buffer_load_dword v91, v1, s[0:3], 0 offen offset:8
	;; [unrolled: 1-line block ×6, first 2 shown]
	buffer_load_dword v96, v2, s[0:3], 0 offen
	s_waitcnt vmcnt(7)
	buffer_store_dword v3, v2, s[0:3], 0 offen
	s_waitcnt vmcnt(6)
	buffer_store_dword v4, v2, s[0:3], 0 offen offset:4
	s_waitcnt vmcnt(5)
	buffer_store_dword v91, v2, s[0:3], 0 offen offset:8
	s_waitcnt vmcnt(4)
	buffer_store_dword v92, v2, s[0:3], 0 offen offset:12
	s_waitcnt vmcnt(3)
	buffer_store_dword v93, v1, s[0:3], 0 offen offset:12
	s_waitcnt vmcnt(2)
	buffer_store_dword v94, v1, s[0:3], 0 offen offset:8
	s_waitcnt vmcnt(1)
	buffer_store_dword v95, v1, s[0:3], 0 offen offset:4
	s_waitcnt vmcnt(0)
	buffer_store_dword v96, v1, s[0:3], 0 offen
.LBB106_298:
	global_load_dword v0, v0, s[12:13] offset:112
	s_waitcnt vmcnt(0)
	v_add_nc_u32_e32 v0, -1, v0
	v_cmp_eq_u32_e32 vcc_lo, 28, v0
	s_cbranch_vccnz .LBB106_300
; %bb.299:
	v_lshlrev_b32_e32 v0, 4, v0
	v_mov_b32_e32 v1, s26
	v_add_nc_u32_e32 v0, 16, v0
	s_clause 0x7
	buffer_load_dword v2, v0, s[0:3], 0 offen
	buffer_load_dword v3, v0, s[0:3], 0 offen offset:4
	buffer_load_dword v4, v0, s[0:3], 0 offen offset:8
	;; [unrolled: 1-line block ×6, first 2 shown]
	buffer_load_dword v95, v1, s[0:3], 0 offen
	s_waitcnt vmcnt(7)
	buffer_store_dword v2, v1, s[0:3], 0 offen
	s_waitcnt vmcnt(6)
	buffer_store_dword v3, v1, s[0:3], 0 offen offset:4
	s_waitcnt vmcnt(5)
	buffer_store_dword v4, v1, s[0:3], 0 offen offset:8
	;; [unrolled: 2-line block ×6, first 2 shown]
	s_waitcnt vmcnt(0)
	buffer_store_dword v95, v0, s[0:3], 0 offen
.LBB106_300:
	v_mov_b32_e32 v0, 0
	global_load_dword v1, v0, s[12:13] offset:108
	s_waitcnt vmcnt(0)
	v_add_nc_u32_e32 v1, -1, v1
	v_cmp_eq_u32_e32 vcc_lo, 27, v1
	s_cbranch_vccnz .LBB106_302
; %bb.301:
	v_lshlrev_b32_e32 v1, 4, v1
	v_mov_b32_e32 v2, s27
	v_add_nc_u32_e32 v1, 16, v1
	s_clause 0x7
	buffer_load_dword v3, v1, s[0:3], 0 offen
	buffer_load_dword v4, v1, s[0:3], 0 offen offset:4
	buffer_load_dword v91, v1, s[0:3], 0 offen offset:8
	;; [unrolled: 1-line block ×6, first 2 shown]
	buffer_load_dword v96, v2, s[0:3], 0 offen
	s_waitcnt vmcnt(7)
	buffer_store_dword v3, v2, s[0:3], 0 offen
	s_waitcnt vmcnt(6)
	buffer_store_dword v4, v2, s[0:3], 0 offen offset:4
	s_waitcnt vmcnt(5)
	buffer_store_dword v91, v2, s[0:3], 0 offen offset:8
	;; [unrolled: 2-line block ×6, first 2 shown]
	s_waitcnt vmcnt(0)
	buffer_store_dword v96, v1, s[0:3], 0 offen
.LBB106_302:
	global_load_dword v0, v0, s[12:13] offset:104
	s_waitcnt vmcnt(0)
	v_add_nc_u32_e32 v0, -1, v0
	v_cmp_eq_u32_e32 vcc_lo, 26, v0
	s_cbranch_vccnz .LBB106_304
; %bb.303:
	v_lshlrev_b32_e32 v0, 4, v0
	v_mov_b32_e32 v1, s28
	v_add_nc_u32_e32 v0, 16, v0
	s_clause 0x7
	buffer_load_dword v2, v0, s[0:3], 0 offen
	buffer_load_dword v3, v0, s[0:3], 0 offen offset:4
	buffer_load_dword v4, v0, s[0:3], 0 offen offset:8
	;; [unrolled: 1-line block ×6, first 2 shown]
	buffer_load_dword v95, v1, s[0:3], 0 offen
	s_waitcnt vmcnt(7)
	buffer_store_dword v2, v1, s[0:3], 0 offen
	s_waitcnt vmcnt(6)
	buffer_store_dword v3, v1, s[0:3], 0 offen offset:4
	s_waitcnt vmcnt(5)
	buffer_store_dword v4, v1, s[0:3], 0 offen offset:8
	;; [unrolled: 2-line block ×6, first 2 shown]
	s_waitcnt vmcnt(0)
	buffer_store_dword v95, v0, s[0:3], 0 offen
.LBB106_304:
	v_mov_b32_e32 v0, 0
	global_load_dword v1, v0, s[12:13] offset:100
	s_waitcnt vmcnt(0)
	v_add_nc_u32_e32 v1, -1, v1
	v_cmp_eq_u32_e32 vcc_lo, 25, v1
	s_cbranch_vccnz .LBB106_306
; %bb.305:
	v_lshlrev_b32_e32 v1, 4, v1
	v_mov_b32_e32 v2, s29
	v_add_nc_u32_e32 v1, 16, v1
	s_clause 0x7
	buffer_load_dword v3, v1, s[0:3], 0 offen
	buffer_load_dword v4, v1, s[0:3], 0 offen offset:4
	buffer_load_dword v91, v1, s[0:3], 0 offen offset:8
	buffer_load_dword v92, v1, s[0:3], 0 offen offset:12
	buffer_load_dword v93, v2, s[0:3], 0 offen offset:12
	buffer_load_dword v94, v2, s[0:3], 0 offen offset:8
	buffer_load_dword v95, v2, s[0:3], 0 offen offset:4
	buffer_load_dword v96, v2, s[0:3], 0 offen
	s_waitcnt vmcnt(7)
	buffer_store_dword v3, v2, s[0:3], 0 offen
	s_waitcnt vmcnt(6)
	buffer_store_dword v4, v2, s[0:3], 0 offen offset:4
	s_waitcnt vmcnt(5)
	buffer_store_dword v91, v2, s[0:3], 0 offen offset:8
	;; [unrolled: 2-line block ×6, first 2 shown]
	s_waitcnt vmcnt(0)
	buffer_store_dword v96, v1, s[0:3], 0 offen
.LBB106_306:
	global_load_dword v0, v0, s[12:13] offset:96
	s_waitcnt vmcnt(0)
	v_add_nc_u32_e32 v0, -1, v0
	v_cmp_eq_u32_e32 vcc_lo, 24, v0
	s_cbranch_vccnz .LBB106_308
; %bb.307:
	v_lshlrev_b32_e32 v0, 4, v0
	v_mov_b32_e32 v1, s30
	v_add_nc_u32_e32 v0, 16, v0
	s_clause 0x7
	buffer_load_dword v2, v0, s[0:3], 0 offen
	buffer_load_dword v3, v0, s[0:3], 0 offen offset:4
	buffer_load_dword v4, v0, s[0:3], 0 offen offset:8
	;; [unrolled: 1-line block ×6, first 2 shown]
	buffer_load_dword v95, v1, s[0:3], 0 offen
	s_waitcnt vmcnt(7)
	buffer_store_dword v2, v1, s[0:3], 0 offen
	s_waitcnt vmcnt(6)
	buffer_store_dword v3, v1, s[0:3], 0 offen offset:4
	s_waitcnt vmcnt(5)
	buffer_store_dword v4, v1, s[0:3], 0 offen offset:8
	;; [unrolled: 2-line block ×6, first 2 shown]
	s_waitcnt vmcnt(0)
	buffer_store_dword v95, v0, s[0:3], 0 offen
.LBB106_308:
	v_mov_b32_e32 v0, 0
	global_load_dword v1, v0, s[12:13] offset:92
	s_waitcnt vmcnt(0)
	v_add_nc_u32_e32 v1, -1, v1
	v_cmp_eq_u32_e32 vcc_lo, 23, v1
	s_cbranch_vccnz .LBB106_310
; %bb.309:
	v_lshlrev_b32_e32 v1, 4, v1
	v_mov_b32_e32 v2, s31
	v_add_nc_u32_e32 v1, 16, v1
	s_clause 0x7
	buffer_load_dword v3, v1, s[0:3], 0 offen
	buffer_load_dword v4, v1, s[0:3], 0 offen offset:4
	buffer_load_dword v91, v1, s[0:3], 0 offen offset:8
	;; [unrolled: 1-line block ×6, first 2 shown]
	buffer_load_dword v96, v2, s[0:3], 0 offen
	s_waitcnt vmcnt(7)
	buffer_store_dword v3, v2, s[0:3], 0 offen
	s_waitcnt vmcnt(6)
	buffer_store_dword v4, v2, s[0:3], 0 offen offset:4
	s_waitcnt vmcnt(5)
	buffer_store_dword v91, v2, s[0:3], 0 offen offset:8
	s_waitcnt vmcnt(4)
	buffer_store_dword v92, v2, s[0:3], 0 offen offset:12
	s_waitcnt vmcnt(3)
	buffer_store_dword v93, v1, s[0:3], 0 offen offset:12
	s_waitcnt vmcnt(2)
	buffer_store_dword v94, v1, s[0:3], 0 offen offset:8
	s_waitcnt vmcnt(1)
	buffer_store_dword v95, v1, s[0:3], 0 offen offset:4
	s_waitcnt vmcnt(0)
	buffer_store_dword v96, v1, s[0:3], 0 offen
.LBB106_310:
	global_load_dword v0, v0, s[12:13] offset:88
	s_waitcnt vmcnt(0)
	v_add_nc_u32_e32 v0, -1, v0
	v_cmp_eq_u32_e32 vcc_lo, 22, v0
	s_cbranch_vccnz .LBB106_312
; %bb.311:
	v_lshlrev_b32_e32 v0, 4, v0
	v_mov_b32_e32 v1, s33
	v_add_nc_u32_e32 v0, 16, v0
	s_clause 0x7
	buffer_load_dword v2, v0, s[0:3], 0 offen
	buffer_load_dword v3, v0, s[0:3], 0 offen offset:4
	buffer_load_dword v4, v0, s[0:3], 0 offen offset:8
	;; [unrolled: 1-line block ×6, first 2 shown]
	buffer_load_dword v95, v1, s[0:3], 0 offen
	s_waitcnt vmcnt(7)
	buffer_store_dword v2, v1, s[0:3], 0 offen
	s_waitcnt vmcnt(6)
	buffer_store_dword v3, v1, s[0:3], 0 offen offset:4
	s_waitcnt vmcnt(5)
	buffer_store_dword v4, v1, s[0:3], 0 offen offset:8
	;; [unrolled: 2-line block ×6, first 2 shown]
	s_waitcnt vmcnt(0)
	buffer_store_dword v95, v0, s[0:3], 0 offen
.LBB106_312:
	v_mov_b32_e32 v0, 0
	global_load_dword v1, v0, s[12:13] offset:84
	s_waitcnt vmcnt(0)
	v_add_nc_u32_e32 v1, -1, v1
	v_cmp_eq_u32_e32 vcc_lo, 21, v1
	s_cbranch_vccnz .LBB106_314
; %bb.313:
	v_lshlrev_b32_e32 v1, 4, v1
	v_mov_b32_e32 v2, s34
	v_add_nc_u32_e32 v1, 16, v1
	s_clause 0x7
	buffer_load_dword v3, v1, s[0:3], 0 offen
	buffer_load_dword v4, v1, s[0:3], 0 offen offset:4
	buffer_load_dword v91, v1, s[0:3], 0 offen offset:8
	;; [unrolled: 1-line block ×6, first 2 shown]
	buffer_load_dword v96, v2, s[0:3], 0 offen
	s_waitcnt vmcnt(7)
	buffer_store_dword v3, v2, s[0:3], 0 offen
	s_waitcnt vmcnt(6)
	buffer_store_dword v4, v2, s[0:3], 0 offen offset:4
	s_waitcnt vmcnt(5)
	buffer_store_dword v91, v2, s[0:3], 0 offen offset:8
	;; [unrolled: 2-line block ×6, first 2 shown]
	s_waitcnt vmcnt(0)
	buffer_store_dword v96, v1, s[0:3], 0 offen
.LBB106_314:
	global_load_dword v0, v0, s[12:13] offset:80
	s_waitcnt vmcnt(0)
	v_add_nc_u32_e32 v0, -1, v0
	v_cmp_eq_u32_e32 vcc_lo, 20, v0
	s_cbranch_vccnz .LBB106_316
; %bb.315:
	v_lshlrev_b32_e32 v0, 4, v0
	v_mov_b32_e32 v1, s35
	v_add_nc_u32_e32 v0, 16, v0
	s_clause 0x7
	buffer_load_dword v2, v0, s[0:3], 0 offen
	buffer_load_dword v3, v0, s[0:3], 0 offen offset:4
	buffer_load_dword v4, v0, s[0:3], 0 offen offset:8
	;; [unrolled: 1-line block ×6, first 2 shown]
	buffer_load_dword v95, v1, s[0:3], 0 offen
	s_waitcnt vmcnt(7)
	buffer_store_dword v2, v1, s[0:3], 0 offen
	s_waitcnt vmcnt(6)
	buffer_store_dword v3, v1, s[0:3], 0 offen offset:4
	s_waitcnt vmcnt(5)
	buffer_store_dword v4, v1, s[0:3], 0 offen offset:8
	;; [unrolled: 2-line block ×6, first 2 shown]
	s_waitcnt vmcnt(0)
	buffer_store_dword v95, v0, s[0:3], 0 offen
.LBB106_316:
	v_mov_b32_e32 v0, 0
	global_load_dword v1, v0, s[12:13] offset:76
	s_waitcnt vmcnt(0)
	v_add_nc_u32_e32 v1, -1, v1
	v_cmp_eq_u32_e32 vcc_lo, 19, v1
	s_cbranch_vccnz .LBB106_318
; %bb.317:
	v_lshlrev_b32_e32 v1, 4, v1
	v_mov_b32_e32 v2, s36
	v_add_nc_u32_e32 v1, 16, v1
	s_clause 0x7
	buffer_load_dword v3, v1, s[0:3], 0 offen
	buffer_load_dword v4, v1, s[0:3], 0 offen offset:4
	buffer_load_dword v91, v1, s[0:3], 0 offen offset:8
	;; [unrolled: 1-line block ×6, first 2 shown]
	buffer_load_dword v96, v2, s[0:3], 0 offen
	s_waitcnt vmcnt(7)
	buffer_store_dword v3, v2, s[0:3], 0 offen
	s_waitcnt vmcnt(6)
	buffer_store_dword v4, v2, s[0:3], 0 offen offset:4
	s_waitcnt vmcnt(5)
	buffer_store_dword v91, v2, s[0:3], 0 offen offset:8
	;; [unrolled: 2-line block ×6, first 2 shown]
	s_waitcnt vmcnt(0)
	buffer_store_dword v96, v1, s[0:3], 0 offen
.LBB106_318:
	global_load_dword v0, v0, s[12:13] offset:72
	s_waitcnt vmcnt(0)
	v_add_nc_u32_e32 v0, -1, v0
	v_cmp_eq_u32_e32 vcc_lo, 18, v0
	s_cbranch_vccnz .LBB106_320
; %bb.319:
	v_lshlrev_b32_e32 v0, 4, v0
	v_mov_b32_e32 v1, s37
	v_add_nc_u32_e32 v0, 16, v0
	s_clause 0x7
	buffer_load_dword v2, v0, s[0:3], 0 offen
	buffer_load_dword v3, v0, s[0:3], 0 offen offset:4
	buffer_load_dword v4, v0, s[0:3], 0 offen offset:8
	;; [unrolled: 1-line block ×6, first 2 shown]
	buffer_load_dword v95, v1, s[0:3], 0 offen
	s_waitcnt vmcnt(7)
	buffer_store_dword v2, v1, s[0:3], 0 offen
	s_waitcnt vmcnt(6)
	buffer_store_dword v3, v1, s[0:3], 0 offen offset:4
	s_waitcnt vmcnt(5)
	buffer_store_dword v4, v1, s[0:3], 0 offen offset:8
	;; [unrolled: 2-line block ×6, first 2 shown]
	s_waitcnt vmcnt(0)
	buffer_store_dword v95, v0, s[0:3], 0 offen
.LBB106_320:
	v_mov_b32_e32 v0, 0
	global_load_dword v1, v0, s[12:13] offset:68
	s_waitcnt vmcnt(0)
	v_add_nc_u32_e32 v1, -1, v1
	v_cmp_eq_u32_e32 vcc_lo, 17, v1
	s_cbranch_vccnz .LBB106_322
; %bb.321:
	v_lshlrev_b32_e32 v1, 4, v1
	v_mov_b32_e32 v2, s38
	v_add_nc_u32_e32 v1, 16, v1
	s_clause 0x7
	buffer_load_dword v3, v1, s[0:3], 0 offen
	buffer_load_dword v4, v1, s[0:3], 0 offen offset:4
	buffer_load_dword v91, v1, s[0:3], 0 offen offset:8
	buffer_load_dword v92, v1, s[0:3], 0 offen offset:12
	buffer_load_dword v93, v2, s[0:3], 0 offen offset:12
	buffer_load_dword v94, v2, s[0:3], 0 offen offset:8
	buffer_load_dword v95, v2, s[0:3], 0 offen offset:4
	buffer_load_dword v96, v2, s[0:3], 0 offen
	s_waitcnt vmcnt(7)
	buffer_store_dword v3, v2, s[0:3], 0 offen
	s_waitcnt vmcnt(6)
	buffer_store_dword v4, v2, s[0:3], 0 offen offset:4
	s_waitcnt vmcnt(5)
	buffer_store_dword v91, v2, s[0:3], 0 offen offset:8
	;; [unrolled: 2-line block ×6, first 2 shown]
	s_waitcnt vmcnt(0)
	buffer_store_dword v96, v1, s[0:3], 0 offen
.LBB106_322:
	global_load_dword v0, v0, s[12:13] offset:64
	s_waitcnt vmcnt(0)
	v_add_nc_u32_e32 v0, -1, v0
	v_cmp_eq_u32_e32 vcc_lo, 16, v0
	s_cbranch_vccnz .LBB106_324
; %bb.323:
	v_lshlrev_b32_e32 v0, 4, v0
	v_mov_b32_e32 v1, s39
	v_add_nc_u32_e32 v0, 16, v0
	s_clause 0x7
	buffer_load_dword v2, v0, s[0:3], 0 offen
	buffer_load_dword v3, v0, s[0:3], 0 offen offset:4
	buffer_load_dword v4, v0, s[0:3], 0 offen offset:8
	;; [unrolled: 1-line block ×6, first 2 shown]
	buffer_load_dword v95, v1, s[0:3], 0 offen
	s_waitcnt vmcnt(7)
	buffer_store_dword v2, v1, s[0:3], 0 offen
	s_waitcnt vmcnt(6)
	buffer_store_dword v3, v1, s[0:3], 0 offen offset:4
	s_waitcnt vmcnt(5)
	buffer_store_dword v4, v1, s[0:3], 0 offen offset:8
	;; [unrolled: 2-line block ×6, first 2 shown]
	s_waitcnt vmcnt(0)
	buffer_store_dword v95, v0, s[0:3], 0 offen
.LBB106_324:
	v_mov_b32_e32 v0, 0
	global_load_dword v1, v0, s[12:13] offset:60
	s_waitcnt vmcnt(0)
	v_add_nc_u32_e32 v1, -1, v1
	v_cmp_eq_u32_e32 vcc_lo, 15, v1
	s_cbranch_vccnz .LBB106_326
; %bb.325:
	v_lshlrev_b32_e32 v1, 4, v1
	v_mov_b32_e32 v2, s40
	v_add_nc_u32_e32 v1, 16, v1
	s_clause 0x7
	buffer_load_dword v3, v1, s[0:3], 0 offen
	buffer_load_dword v4, v1, s[0:3], 0 offen offset:4
	buffer_load_dword v91, v1, s[0:3], 0 offen offset:8
	;; [unrolled: 1-line block ×6, first 2 shown]
	buffer_load_dword v96, v2, s[0:3], 0 offen
	s_waitcnt vmcnt(7)
	buffer_store_dword v3, v2, s[0:3], 0 offen
	s_waitcnt vmcnt(6)
	buffer_store_dword v4, v2, s[0:3], 0 offen offset:4
	s_waitcnt vmcnt(5)
	buffer_store_dword v91, v2, s[0:3], 0 offen offset:8
	;; [unrolled: 2-line block ×6, first 2 shown]
	s_waitcnt vmcnt(0)
	buffer_store_dword v96, v1, s[0:3], 0 offen
.LBB106_326:
	global_load_dword v0, v0, s[12:13] offset:56
	s_waitcnt vmcnt(0)
	v_add_nc_u32_e32 v0, -1, v0
	v_cmp_eq_u32_e32 vcc_lo, 14, v0
	s_cbranch_vccnz .LBB106_328
; %bb.327:
	v_lshlrev_b32_e32 v0, 4, v0
	v_mov_b32_e32 v1, s41
	v_add_nc_u32_e32 v0, 16, v0
	s_clause 0x7
	buffer_load_dword v2, v0, s[0:3], 0 offen
	buffer_load_dword v3, v0, s[0:3], 0 offen offset:4
	buffer_load_dword v4, v0, s[0:3], 0 offen offset:8
	buffer_load_dword v91, v0, s[0:3], 0 offen offset:12
	buffer_load_dword v92, v1, s[0:3], 0 offen offset:12
	buffer_load_dword v93, v1, s[0:3], 0 offen offset:8
	buffer_load_dword v94, v1, s[0:3], 0 offen offset:4
	buffer_load_dword v95, v1, s[0:3], 0 offen
	s_waitcnt vmcnt(7)
	buffer_store_dword v2, v1, s[0:3], 0 offen
	s_waitcnt vmcnt(6)
	buffer_store_dword v3, v1, s[0:3], 0 offen offset:4
	s_waitcnt vmcnt(5)
	buffer_store_dword v4, v1, s[0:3], 0 offen offset:8
	;; [unrolled: 2-line block ×6, first 2 shown]
	s_waitcnt vmcnt(0)
	buffer_store_dword v95, v0, s[0:3], 0 offen
.LBB106_328:
	v_mov_b32_e32 v0, 0
	global_load_dword v1, v0, s[12:13] offset:52
	s_waitcnt vmcnt(0)
	v_add_nc_u32_e32 v1, -1, v1
	v_cmp_eq_u32_e32 vcc_lo, 13, v1
	s_cbranch_vccnz .LBB106_330
; %bb.329:
	v_lshlrev_b32_e32 v1, 4, v1
	v_mov_b32_e32 v2, s42
	v_add_nc_u32_e32 v1, 16, v1
	s_clause 0x7
	buffer_load_dword v3, v1, s[0:3], 0 offen
	buffer_load_dword v4, v1, s[0:3], 0 offen offset:4
	buffer_load_dword v91, v1, s[0:3], 0 offen offset:8
	;; [unrolled: 1-line block ×6, first 2 shown]
	buffer_load_dword v96, v2, s[0:3], 0 offen
	s_waitcnt vmcnt(7)
	buffer_store_dword v3, v2, s[0:3], 0 offen
	s_waitcnt vmcnt(6)
	buffer_store_dword v4, v2, s[0:3], 0 offen offset:4
	s_waitcnt vmcnt(5)
	buffer_store_dword v91, v2, s[0:3], 0 offen offset:8
	;; [unrolled: 2-line block ×6, first 2 shown]
	s_waitcnt vmcnt(0)
	buffer_store_dword v96, v1, s[0:3], 0 offen
.LBB106_330:
	global_load_dword v0, v0, s[12:13] offset:48
	s_waitcnt vmcnt(0)
	v_add_nc_u32_e32 v0, -1, v0
	v_cmp_eq_u32_e32 vcc_lo, 12, v0
	s_cbranch_vccnz .LBB106_332
; %bb.331:
	v_lshlrev_b32_e32 v0, 4, v0
	v_mov_b32_e32 v1, s43
	v_add_nc_u32_e32 v0, 16, v0
	s_clause 0x7
	buffer_load_dword v2, v0, s[0:3], 0 offen
	buffer_load_dword v3, v0, s[0:3], 0 offen offset:4
	buffer_load_dword v4, v0, s[0:3], 0 offen offset:8
	;; [unrolled: 1-line block ×6, first 2 shown]
	buffer_load_dword v95, v1, s[0:3], 0 offen
	s_waitcnt vmcnt(7)
	buffer_store_dword v2, v1, s[0:3], 0 offen
	s_waitcnt vmcnt(6)
	buffer_store_dword v3, v1, s[0:3], 0 offen offset:4
	s_waitcnt vmcnt(5)
	buffer_store_dword v4, v1, s[0:3], 0 offen offset:8
	;; [unrolled: 2-line block ×6, first 2 shown]
	s_waitcnt vmcnt(0)
	buffer_store_dword v95, v0, s[0:3], 0 offen
.LBB106_332:
	v_mov_b32_e32 v0, 0
	global_load_dword v1, v0, s[12:13] offset:44
	s_waitcnt vmcnt(0)
	v_add_nc_u32_e32 v1, -1, v1
	v_cmp_eq_u32_e32 vcc_lo, 11, v1
	s_cbranch_vccnz .LBB106_334
; %bb.333:
	v_lshlrev_b32_e32 v1, 4, v1
	v_mov_b32_e32 v2, s44
	v_add_nc_u32_e32 v1, 16, v1
	s_clause 0x7
	buffer_load_dword v3, v1, s[0:3], 0 offen
	buffer_load_dword v4, v1, s[0:3], 0 offen offset:4
	buffer_load_dword v91, v1, s[0:3], 0 offen offset:8
	;; [unrolled: 1-line block ×6, first 2 shown]
	buffer_load_dword v96, v2, s[0:3], 0 offen
	s_waitcnt vmcnt(7)
	buffer_store_dword v3, v2, s[0:3], 0 offen
	s_waitcnt vmcnt(6)
	buffer_store_dword v4, v2, s[0:3], 0 offen offset:4
	s_waitcnt vmcnt(5)
	buffer_store_dword v91, v2, s[0:3], 0 offen offset:8
	;; [unrolled: 2-line block ×6, first 2 shown]
	s_waitcnt vmcnt(0)
	buffer_store_dword v96, v1, s[0:3], 0 offen
.LBB106_334:
	global_load_dword v0, v0, s[12:13] offset:40
	s_waitcnt vmcnt(0)
	v_add_nc_u32_e32 v0, -1, v0
	v_cmp_eq_u32_e32 vcc_lo, 10, v0
	s_cbranch_vccnz .LBB106_336
; %bb.335:
	v_lshlrev_b32_e32 v0, 4, v0
	v_mov_b32_e32 v1, s45
	v_add_nc_u32_e32 v0, 16, v0
	s_clause 0x7
	buffer_load_dword v2, v0, s[0:3], 0 offen
	buffer_load_dword v3, v0, s[0:3], 0 offen offset:4
	buffer_load_dword v4, v0, s[0:3], 0 offen offset:8
	;; [unrolled: 1-line block ×6, first 2 shown]
	buffer_load_dword v95, v1, s[0:3], 0 offen
	s_waitcnt vmcnt(7)
	buffer_store_dword v2, v1, s[0:3], 0 offen
	s_waitcnt vmcnt(6)
	buffer_store_dword v3, v1, s[0:3], 0 offen offset:4
	s_waitcnt vmcnt(5)
	buffer_store_dword v4, v1, s[0:3], 0 offen offset:8
	;; [unrolled: 2-line block ×6, first 2 shown]
	s_waitcnt vmcnt(0)
	buffer_store_dword v95, v0, s[0:3], 0 offen
.LBB106_336:
	v_mov_b32_e32 v0, 0
	global_load_dword v1, v0, s[12:13] offset:36
	s_waitcnt vmcnt(0)
	v_add_nc_u32_e32 v1, -1, v1
	v_cmp_eq_u32_e32 vcc_lo, 9, v1
	s_cbranch_vccnz .LBB106_338
; %bb.337:
	v_lshlrev_b32_e32 v1, 4, v1
	v_mov_b32_e32 v2, s46
	v_add_nc_u32_e32 v1, 16, v1
	s_clause 0x7
	buffer_load_dword v3, v1, s[0:3], 0 offen
	buffer_load_dword v4, v1, s[0:3], 0 offen offset:4
	buffer_load_dword v91, v1, s[0:3], 0 offen offset:8
	;; [unrolled: 1-line block ×6, first 2 shown]
	buffer_load_dword v96, v2, s[0:3], 0 offen
	s_waitcnt vmcnt(7)
	buffer_store_dword v3, v2, s[0:3], 0 offen
	s_waitcnt vmcnt(6)
	buffer_store_dword v4, v2, s[0:3], 0 offen offset:4
	s_waitcnt vmcnt(5)
	buffer_store_dword v91, v2, s[0:3], 0 offen offset:8
	;; [unrolled: 2-line block ×6, first 2 shown]
	s_waitcnt vmcnt(0)
	buffer_store_dword v96, v1, s[0:3], 0 offen
.LBB106_338:
	global_load_dword v0, v0, s[12:13] offset:32
	s_waitcnt vmcnt(0)
	v_add_nc_u32_e32 v0, -1, v0
	v_cmp_eq_u32_e32 vcc_lo, 8, v0
	s_cbranch_vccnz .LBB106_340
; %bb.339:
	v_lshlrev_b32_e32 v0, 4, v0
	v_mov_b32_e32 v1, s47
	v_add_nc_u32_e32 v0, 16, v0
	s_clause 0x7
	buffer_load_dword v2, v0, s[0:3], 0 offen
	buffer_load_dword v3, v0, s[0:3], 0 offen offset:4
	buffer_load_dword v4, v0, s[0:3], 0 offen offset:8
	;; [unrolled: 1-line block ×6, first 2 shown]
	buffer_load_dword v95, v1, s[0:3], 0 offen
	s_waitcnt vmcnt(7)
	buffer_store_dword v2, v1, s[0:3], 0 offen
	s_waitcnt vmcnt(6)
	buffer_store_dword v3, v1, s[0:3], 0 offen offset:4
	s_waitcnt vmcnt(5)
	buffer_store_dword v4, v1, s[0:3], 0 offen offset:8
	;; [unrolled: 2-line block ×6, first 2 shown]
	s_waitcnt vmcnt(0)
	buffer_store_dword v95, v0, s[0:3], 0 offen
.LBB106_340:
	v_mov_b32_e32 v0, 0
	global_load_dword v1, v0, s[12:13] offset:28
	s_waitcnt vmcnt(0)
	v_add_nc_u32_e32 v1, -1, v1
	v_cmp_eq_u32_e32 vcc_lo, 7, v1
	s_cbranch_vccnz .LBB106_342
; %bb.341:
	v_lshlrev_b32_e32 v1, 4, v1
	v_mov_b32_e32 v2, s48
	v_add_nc_u32_e32 v1, 16, v1
	s_clause 0x7
	buffer_load_dword v3, v1, s[0:3], 0 offen
	buffer_load_dword v4, v1, s[0:3], 0 offen offset:4
	buffer_load_dword v91, v1, s[0:3], 0 offen offset:8
	;; [unrolled: 1-line block ×6, first 2 shown]
	buffer_load_dword v96, v2, s[0:3], 0 offen
	s_waitcnt vmcnt(7)
	buffer_store_dword v3, v2, s[0:3], 0 offen
	s_waitcnt vmcnt(6)
	buffer_store_dword v4, v2, s[0:3], 0 offen offset:4
	s_waitcnt vmcnt(5)
	buffer_store_dword v91, v2, s[0:3], 0 offen offset:8
	;; [unrolled: 2-line block ×6, first 2 shown]
	s_waitcnt vmcnt(0)
	buffer_store_dword v96, v1, s[0:3], 0 offen
.LBB106_342:
	global_load_dword v0, v0, s[12:13] offset:24
	s_waitcnt vmcnt(0)
	v_add_nc_u32_e32 v0, -1, v0
	v_cmp_eq_u32_e32 vcc_lo, 6, v0
	s_cbranch_vccnz .LBB106_344
; %bb.343:
	v_lshlrev_b32_e32 v0, 4, v0
	v_mov_b32_e32 v1, s49
	v_add_nc_u32_e32 v0, 16, v0
	s_clause 0x7
	buffer_load_dword v2, v0, s[0:3], 0 offen
	buffer_load_dword v3, v0, s[0:3], 0 offen offset:4
	buffer_load_dword v4, v0, s[0:3], 0 offen offset:8
	;; [unrolled: 1-line block ×6, first 2 shown]
	buffer_load_dword v95, v1, s[0:3], 0 offen
	s_waitcnt vmcnt(7)
	buffer_store_dword v2, v1, s[0:3], 0 offen
	s_waitcnt vmcnt(6)
	buffer_store_dword v3, v1, s[0:3], 0 offen offset:4
	s_waitcnt vmcnt(5)
	buffer_store_dword v4, v1, s[0:3], 0 offen offset:8
	;; [unrolled: 2-line block ×6, first 2 shown]
	s_waitcnt vmcnt(0)
	buffer_store_dword v95, v0, s[0:3], 0 offen
.LBB106_344:
	v_mov_b32_e32 v0, 0
	global_load_dword v1, v0, s[12:13] offset:20
	s_waitcnt vmcnt(0)
	v_add_nc_u32_e32 v1, -1, v1
	v_cmp_eq_u32_e32 vcc_lo, 5, v1
	s_cbranch_vccnz .LBB106_346
; %bb.345:
	v_lshlrev_b32_e32 v1, 4, v1
	v_mov_b32_e32 v2, s50
	v_add_nc_u32_e32 v1, 16, v1
	s_clause 0x7
	buffer_load_dword v3, v1, s[0:3], 0 offen
	buffer_load_dword v4, v1, s[0:3], 0 offen offset:4
	buffer_load_dword v91, v1, s[0:3], 0 offen offset:8
	;; [unrolled: 1-line block ×6, first 2 shown]
	buffer_load_dword v96, v2, s[0:3], 0 offen
	s_waitcnt vmcnt(7)
	buffer_store_dword v3, v2, s[0:3], 0 offen
	s_waitcnt vmcnt(6)
	buffer_store_dword v4, v2, s[0:3], 0 offen offset:4
	s_waitcnt vmcnt(5)
	buffer_store_dword v91, v2, s[0:3], 0 offen offset:8
	;; [unrolled: 2-line block ×6, first 2 shown]
	s_waitcnt vmcnt(0)
	buffer_store_dword v96, v1, s[0:3], 0 offen
.LBB106_346:
	global_load_dword v0, v0, s[12:13] offset:16
	s_waitcnt vmcnt(0)
	v_add_nc_u32_e32 v0, -1, v0
	v_cmp_eq_u32_e32 vcc_lo, 4, v0
	s_cbranch_vccnz .LBB106_348
; %bb.347:
	v_lshlrev_b32_e32 v0, 4, v0
	v_mov_b32_e32 v1, s51
	v_add_nc_u32_e32 v0, 16, v0
	s_clause 0x7
	buffer_load_dword v2, v0, s[0:3], 0 offen
	buffer_load_dword v3, v0, s[0:3], 0 offen offset:4
	buffer_load_dword v4, v0, s[0:3], 0 offen offset:8
	;; [unrolled: 1-line block ×6, first 2 shown]
	buffer_load_dword v95, v1, s[0:3], 0 offen
	s_waitcnt vmcnt(7)
	buffer_store_dword v2, v1, s[0:3], 0 offen
	s_waitcnt vmcnt(6)
	buffer_store_dword v3, v1, s[0:3], 0 offen offset:4
	s_waitcnt vmcnt(5)
	buffer_store_dword v4, v1, s[0:3], 0 offen offset:8
	s_waitcnt vmcnt(4)
	buffer_store_dword v91, v1, s[0:3], 0 offen offset:12
	s_waitcnt vmcnt(3)
	buffer_store_dword v92, v0, s[0:3], 0 offen offset:12
	s_waitcnt vmcnt(2)
	buffer_store_dword v93, v0, s[0:3], 0 offen offset:8
	s_waitcnt vmcnt(1)
	buffer_store_dword v94, v0, s[0:3], 0 offen offset:4
	s_waitcnt vmcnt(0)
	buffer_store_dword v95, v0, s[0:3], 0 offen
.LBB106_348:
	v_mov_b32_e32 v0, 0
	global_load_dword v1, v0, s[12:13] offset:12
	s_waitcnt vmcnt(0)
	v_add_nc_u32_e32 v1, -1, v1
	v_cmp_eq_u32_e32 vcc_lo, 3, v1
	s_cbranch_vccnz .LBB106_350
; %bb.349:
	v_lshlrev_b32_e32 v1, 4, v1
	v_mov_b32_e32 v2, s52
	v_add_nc_u32_e32 v1, 16, v1
	s_clause 0x7
	buffer_load_dword v3, v1, s[0:3], 0 offen
	buffer_load_dword v4, v1, s[0:3], 0 offen offset:4
	buffer_load_dword v91, v1, s[0:3], 0 offen offset:8
	;; [unrolled: 1-line block ×6, first 2 shown]
	buffer_load_dword v96, v2, s[0:3], 0 offen
	s_waitcnt vmcnt(7)
	buffer_store_dword v3, v2, s[0:3], 0 offen
	s_waitcnt vmcnt(6)
	buffer_store_dword v4, v2, s[0:3], 0 offen offset:4
	s_waitcnt vmcnt(5)
	buffer_store_dword v91, v2, s[0:3], 0 offen offset:8
	;; [unrolled: 2-line block ×6, first 2 shown]
	s_waitcnt vmcnt(0)
	buffer_store_dword v96, v1, s[0:3], 0 offen
.LBB106_350:
	global_load_dword v0, v0, s[12:13] offset:8
	s_waitcnt vmcnt(0)
	v_add_nc_u32_e32 v0, -1, v0
	v_cmp_eq_u32_e32 vcc_lo, 2, v0
	s_cbranch_vccnz .LBB106_352
; %bb.351:
	v_lshlrev_b32_e32 v0, 4, v0
	v_mov_b32_e32 v1, s53
	v_add_nc_u32_e32 v0, 16, v0
	s_clause 0x7
	buffer_load_dword v2, v0, s[0:3], 0 offen
	buffer_load_dword v3, v0, s[0:3], 0 offen offset:4
	buffer_load_dword v4, v0, s[0:3], 0 offen offset:8
	;; [unrolled: 1-line block ×6, first 2 shown]
	buffer_load_dword v95, v1, s[0:3], 0 offen
	s_waitcnt vmcnt(7)
	buffer_store_dword v2, v1, s[0:3], 0 offen
	s_waitcnt vmcnt(6)
	buffer_store_dword v3, v1, s[0:3], 0 offen offset:4
	s_waitcnt vmcnt(5)
	buffer_store_dword v4, v1, s[0:3], 0 offen offset:8
	;; [unrolled: 2-line block ×6, first 2 shown]
	s_waitcnt vmcnt(0)
	buffer_store_dword v95, v0, s[0:3], 0 offen
.LBB106_352:
	v_mov_b32_e32 v0, 0
	global_load_dword v1, v0, s[12:13] offset:4
	s_waitcnt vmcnt(0)
	v_add_nc_u32_e32 v1, -1, v1
	v_cmp_eq_u32_e32 vcc_lo, 1, v1
	s_cbranch_vccnz .LBB106_354
; %bb.353:
	v_lshlrev_b32_e32 v1, 4, v1
	v_mov_b32_e32 v2, s54
	v_add_nc_u32_e32 v1, 16, v1
	s_clause 0x7
	buffer_load_dword v3, v1, s[0:3], 0 offen
	buffer_load_dword v4, v1, s[0:3], 0 offen offset:4
	buffer_load_dword v91, v1, s[0:3], 0 offen offset:8
	;; [unrolled: 1-line block ×6, first 2 shown]
	buffer_load_dword v96, v2, s[0:3], 0 offen
	s_waitcnt vmcnt(7)
	buffer_store_dword v3, v2, s[0:3], 0 offen
	s_waitcnt vmcnt(6)
	buffer_store_dword v4, v2, s[0:3], 0 offen offset:4
	s_waitcnt vmcnt(5)
	buffer_store_dword v91, v2, s[0:3], 0 offen offset:8
	;; [unrolled: 2-line block ×6, first 2 shown]
	s_waitcnt vmcnt(0)
	buffer_store_dword v96, v1, s[0:3], 0 offen
.LBB106_354:
	global_load_dword v0, v0, s[12:13]
	s_waitcnt vmcnt(0)
	v_add_nc_u32_e32 v0, -1, v0
	v_cmp_eq_u32_e32 vcc_lo, 0, v0
	s_cbranch_vccnz .LBB106_356
; %bb.355:
	v_lshlrev_b32_e32 v0, 4, v0
	v_add_nc_u32_e32 v0, 16, v0
	s_clause 0x7
	buffer_load_dword v1, v0, s[0:3], 0 offen
	buffer_load_dword v2, v0, s[0:3], 0 offen offset:4
	buffer_load_dword v3, v0, s[0:3], 0 offen offset:8
	;; [unrolled: 1-line block ×3, first 2 shown]
	buffer_load_dword v91, off, s[0:3], 0 offset:28
	buffer_load_dword v92, off, s[0:3], 0 offset:24
	;; [unrolled: 1-line block ×4, first 2 shown]
	s_waitcnt vmcnt(7)
	buffer_store_dword v1, off, s[0:3], 0 offset:16
	s_waitcnt vmcnt(6)
	buffer_store_dword v2, off, s[0:3], 0 offset:20
	;; [unrolled: 2-line block ×4, first 2 shown]
	s_waitcnt vmcnt(3)
	buffer_store_dword v91, v0, s[0:3], 0 offen offset:12
	s_waitcnt vmcnt(2)
	buffer_store_dword v92, v0, s[0:3], 0 offen offset:8
	;; [unrolled: 2-line block ×3, first 2 shown]
	s_waitcnt vmcnt(0)
	buffer_store_dword v94, v0, s[0:3], 0 offen
.LBB106_356:
	s_clause 0x3
	buffer_load_dword v0, off, s[0:3], 0 offset:16
	buffer_load_dword v1, off, s[0:3], 0 offset:20
	;; [unrolled: 1-line block ×4, first 2 shown]
	v_mov_b32_e32 v4, s54
	s_waitcnt vmcnt(0)
	flat_store_dwordx4 v[5:6], v[0:3]
	s_clause 0x3
	buffer_load_dword v0, v4, s[0:3], 0 offen
	buffer_load_dword v1, v4, s[0:3], 0 offen offset:4
	buffer_load_dword v2, v4, s[0:3], 0 offen offset:8
	buffer_load_dword v3, v4, s[0:3], 0 offen offset:12
	v_mov_b32_e32 v4, s53
	s_waitcnt vmcnt(0)
	flat_store_dwordx4 v[59:60], v[0:3]
	s_clause 0x3
	buffer_load_dword v0, v4, s[0:3], 0 offen
	buffer_load_dword v1, v4, s[0:3], 0 offen offset:4
	buffer_load_dword v2, v4, s[0:3], 0 offen offset:8
	buffer_load_dword v3, v4, s[0:3], 0 offen offset:12
	v_mov_b32_e32 v4, s52
	s_waitcnt vmcnt(0)
	flat_store_dwordx4 v[57:58], v[0:3]
	s_clause 0x3
	buffer_load_dword v0, v4, s[0:3], 0 offen
	buffer_load_dword v1, v4, s[0:3], 0 offen offset:4
	buffer_load_dword v2, v4, s[0:3], 0 offen offset:8
	buffer_load_dword v3, v4, s[0:3], 0 offen offset:12
	v_mov_b32_e32 v4, s51
	s_waitcnt vmcnt(0)
	flat_store_dwordx4 v[53:54], v[0:3]
	s_clause 0x3
	buffer_load_dword v0, v4, s[0:3], 0 offen
	buffer_load_dword v1, v4, s[0:3], 0 offen offset:4
	buffer_load_dword v2, v4, s[0:3], 0 offen offset:8
	buffer_load_dword v3, v4, s[0:3], 0 offen offset:12
	v_mov_b32_e32 v4, s50
	s_waitcnt vmcnt(0)
	flat_store_dwordx4 v[51:52], v[0:3]
	s_clause 0x3
	buffer_load_dword v0, v4, s[0:3], 0 offen
	buffer_load_dword v1, v4, s[0:3], 0 offen offset:4
	buffer_load_dword v2, v4, s[0:3], 0 offen offset:8
	buffer_load_dword v3, v4, s[0:3], 0 offen offset:12
	v_mov_b32_e32 v4, s49
	s_waitcnt vmcnt(0)
	flat_store_dwordx4 v[49:50], v[0:3]
	s_clause 0x3
	buffer_load_dword v0, v4, s[0:3], 0 offen
	buffer_load_dword v1, v4, s[0:3], 0 offen offset:4
	buffer_load_dword v2, v4, s[0:3], 0 offen offset:8
	buffer_load_dword v3, v4, s[0:3], 0 offen offset:12
	v_mov_b32_e32 v4, s48
	s_waitcnt vmcnt(0)
	flat_store_dwordx4 v[47:48], v[0:3]
	s_clause 0x3
	buffer_load_dword v0, v4, s[0:3], 0 offen
	buffer_load_dword v1, v4, s[0:3], 0 offen offset:4
	buffer_load_dword v2, v4, s[0:3], 0 offen offset:8
	buffer_load_dword v3, v4, s[0:3], 0 offen offset:12
	v_mov_b32_e32 v4, s47
	s_waitcnt vmcnt(0)
	flat_store_dwordx4 v[45:46], v[0:3]
	s_clause 0x3
	buffer_load_dword v0, v4, s[0:3], 0 offen
	buffer_load_dword v1, v4, s[0:3], 0 offen offset:4
	buffer_load_dword v2, v4, s[0:3], 0 offen offset:8
	buffer_load_dword v3, v4, s[0:3], 0 offen offset:12
	v_mov_b32_e32 v4, s46
	s_waitcnt vmcnt(0)
	flat_store_dwordx4 v[43:44], v[0:3]
	s_clause 0x3
	buffer_load_dword v0, v4, s[0:3], 0 offen
	buffer_load_dword v1, v4, s[0:3], 0 offen offset:4
	buffer_load_dword v2, v4, s[0:3], 0 offen offset:8
	buffer_load_dword v3, v4, s[0:3], 0 offen offset:12
	v_mov_b32_e32 v4, s45
	s_waitcnt vmcnt(0)
	flat_store_dwordx4 v[41:42], v[0:3]
	s_clause 0x3
	buffer_load_dword v0, v4, s[0:3], 0 offen
	buffer_load_dword v1, v4, s[0:3], 0 offen offset:4
	buffer_load_dword v2, v4, s[0:3], 0 offen offset:8
	buffer_load_dword v3, v4, s[0:3], 0 offen offset:12
	v_mov_b32_e32 v4, s44
	s_waitcnt vmcnt(0)
	flat_store_dwordx4 v[39:40], v[0:3]
	s_clause 0x3
	buffer_load_dword v0, v4, s[0:3], 0 offen
	buffer_load_dword v1, v4, s[0:3], 0 offen offset:4
	buffer_load_dword v2, v4, s[0:3], 0 offen offset:8
	buffer_load_dword v3, v4, s[0:3], 0 offen offset:12
	v_mov_b32_e32 v4, s43
	s_waitcnt vmcnt(0)
	flat_store_dwordx4 v[37:38], v[0:3]
	s_clause 0x3
	buffer_load_dword v0, v4, s[0:3], 0 offen
	buffer_load_dword v1, v4, s[0:3], 0 offen offset:4
	buffer_load_dword v2, v4, s[0:3], 0 offen offset:8
	buffer_load_dword v3, v4, s[0:3], 0 offen offset:12
	v_mov_b32_e32 v4, s42
	s_waitcnt vmcnt(0)
	flat_store_dwordx4 v[33:34], v[0:3]
	s_clause 0x3
	buffer_load_dword v0, v4, s[0:3], 0 offen
	buffer_load_dword v1, v4, s[0:3], 0 offen offset:4
	buffer_load_dword v2, v4, s[0:3], 0 offen offset:8
	buffer_load_dword v3, v4, s[0:3], 0 offen offset:12
	v_mov_b32_e32 v4, s41
	s_waitcnt vmcnt(0)
	flat_store_dwordx4 v[31:32], v[0:3]
	s_clause 0x3
	buffer_load_dword v0, v4, s[0:3], 0 offen
	buffer_load_dword v1, v4, s[0:3], 0 offen offset:4
	buffer_load_dword v2, v4, s[0:3], 0 offen offset:8
	buffer_load_dword v3, v4, s[0:3], 0 offen offset:12
	v_mov_b32_e32 v4, s40
	s_waitcnt vmcnt(0)
	flat_store_dwordx4 v[29:30], v[0:3]
	s_clause 0x3
	buffer_load_dword v0, v4, s[0:3], 0 offen
	buffer_load_dword v1, v4, s[0:3], 0 offen offset:4
	buffer_load_dword v2, v4, s[0:3], 0 offen offset:8
	buffer_load_dword v3, v4, s[0:3], 0 offen offset:12
	v_mov_b32_e32 v4, s39
	s_waitcnt vmcnt(0)
	flat_store_dwordx4 v[27:28], v[0:3]
	s_clause 0x3
	buffer_load_dword v0, v4, s[0:3], 0 offen
	buffer_load_dword v1, v4, s[0:3], 0 offen offset:4
	buffer_load_dword v2, v4, s[0:3], 0 offen offset:8
	buffer_load_dword v3, v4, s[0:3], 0 offen offset:12
	v_mov_b32_e32 v4, s38
	s_waitcnt vmcnt(0)
	flat_store_dwordx4 v[25:26], v[0:3]
	s_clause 0x3
	buffer_load_dword v0, v4, s[0:3], 0 offen
	buffer_load_dword v1, v4, s[0:3], 0 offen offset:4
	buffer_load_dword v2, v4, s[0:3], 0 offen offset:8
	buffer_load_dword v3, v4, s[0:3], 0 offen offset:12
	v_mov_b32_e32 v4, s37
	s_waitcnt vmcnt(0)
	flat_store_dwordx4 v[23:24], v[0:3]
	s_clause 0x3
	buffer_load_dword v0, v4, s[0:3], 0 offen
	buffer_load_dword v1, v4, s[0:3], 0 offen offset:4
	buffer_load_dword v2, v4, s[0:3], 0 offen offset:8
	buffer_load_dword v3, v4, s[0:3], 0 offen offset:12
	v_mov_b32_e32 v4, s36
	s_waitcnt vmcnt(0)
	flat_store_dwordx4 v[21:22], v[0:3]
	s_clause 0x3
	buffer_load_dword v0, v4, s[0:3], 0 offen
	buffer_load_dword v1, v4, s[0:3], 0 offen offset:4
	buffer_load_dword v2, v4, s[0:3], 0 offen offset:8
	buffer_load_dword v3, v4, s[0:3], 0 offen offset:12
	v_mov_b32_e32 v4, s35
	s_waitcnt vmcnt(0)
	flat_store_dwordx4 v[19:20], v[0:3]
	s_clause 0x3
	buffer_load_dword v0, v4, s[0:3], 0 offen
	buffer_load_dword v1, v4, s[0:3], 0 offen offset:4
	buffer_load_dword v2, v4, s[0:3], 0 offen offset:8
	buffer_load_dword v3, v4, s[0:3], 0 offen offset:12
	v_mov_b32_e32 v4, s34
	s_waitcnt vmcnt(0)
	flat_store_dwordx4 v[17:18], v[0:3]
	s_clause 0x3
	buffer_load_dword v0, v4, s[0:3], 0 offen
	buffer_load_dword v1, v4, s[0:3], 0 offen offset:4
	buffer_load_dword v2, v4, s[0:3], 0 offen offset:8
	buffer_load_dword v3, v4, s[0:3], 0 offen offset:12
	v_mov_b32_e32 v4, s33
	s_waitcnt vmcnt(0)
	flat_store_dwordx4 v[15:16], v[0:3]
	s_clause 0x3
	buffer_load_dword v0, v4, s[0:3], 0 offen
	buffer_load_dword v1, v4, s[0:3], 0 offen offset:4
	buffer_load_dword v2, v4, s[0:3], 0 offen offset:8
	buffer_load_dword v3, v4, s[0:3], 0 offen offset:12
	v_mov_b32_e32 v4, s31
	s_waitcnt vmcnt(0)
	flat_store_dwordx4 v[13:14], v[0:3]
	s_clause 0x3
	buffer_load_dword v0, v4, s[0:3], 0 offen
	buffer_load_dword v1, v4, s[0:3], 0 offen offset:4
	buffer_load_dword v2, v4, s[0:3], 0 offen offset:8
	buffer_load_dword v3, v4, s[0:3], 0 offen offset:12
	v_mov_b32_e32 v4, s30
	s_waitcnt vmcnt(0)
	flat_store_dwordx4 v[11:12], v[0:3]
	s_clause 0x3
	buffer_load_dword v0, v4, s[0:3], 0 offen
	buffer_load_dword v1, v4, s[0:3], 0 offen offset:4
	buffer_load_dword v2, v4, s[0:3], 0 offen offset:8
	buffer_load_dword v3, v4, s[0:3], 0 offen offset:12
	v_mov_b32_e32 v4, s29
	s_waitcnt vmcnt(0)
	flat_store_dwordx4 v[9:10], v[0:3]
	s_clause 0x3
	buffer_load_dword v0, v4, s[0:3], 0 offen
	buffer_load_dword v1, v4, s[0:3], 0 offen offset:4
	buffer_load_dword v2, v4, s[0:3], 0 offen offset:8
	buffer_load_dword v3, v4, s[0:3], 0 offen offset:12
	v_mov_b32_e32 v4, s28
	s_waitcnt vmcnt(0)
	flat_store_dwordx4 v[7:8], v[0:3]
	s_clause 0x3
	buffer_load_dword v0, v4, s[0:3], 0 offen
	buffer_load_dword v1, v4, s[0:3], 0 offen offset:4
	buffer_load_dword v2, v4, s[0:3], 0 offen offset:8
	buffer_load_dword v3, v4, s[0:3], 0 offen offset:12
	v_mov_b32_e32 v4, s27
	s_waitcnt vmcnt(0)
	flat_store_dwordx4 v[35:36], v[0:3]
	s_clause 0x3
	buffer_load_dword v0, v4, s[0:3], 0 offen
	buffer_load_dword v1, v4, s[0:3], 0 offen offset:4
	buffer_load_dword v2, v4, s[0:3], 0 offen offset:8
	buffer_load_dword v3, v4, s[0:3], 0 offen offset:12
	v_mov_b32_e32 v4, s26
	s_waitcnt vmcnt(0)
	flat_store_dwordx4 v[55:56], v[0:3]
	s_clause 0x3
	buffer_load_dword v0, v4, s[0:3], 0 offen
	buffer_load_dword v1, v4, s[0:3], 0 offen offset:4
	buffer_load_dword v2, v4, s[0:3], 0 offen offset:8
	buffer_load_dword v3, v4, s[0:3], 0 offen offset:12
	v_mov_b32_e32 v4, s25
	s_waitcnt vmcnt(0)
	flat_store_dwordx4 v[61:62], v[0:3]
	s_clause 0x3
	buffer_load_dword v0, v4, s[0:3], 0 offen
	buffer_load_dword v1, v4, s[0:3], 0 offen offset:4
	buffer_load_dword v2, v4, s[0:3], 0 offen offset:8
	buffer_load_dword v3, v4, s[0:3], 0 offen offset:12
	v_mov_b32_e32 v4, s24
	s_waitcnt vmcnt(0)
	flat_store_dwordx4 v[63:64], v[0:3]
	s_clause 0x3
	buffer_load_dword v0, v4, s[0:3], 0 offen
	buffer_load_dword v1, v4, s[0:3], 0 offen offset:4
	buffer_load_dword v2, v4, s[0:3], 0 offen offset:8
	buffer_load_dword v3, v4, s[0:3], 0 offen offset:12
	v_mov_b32_e32 v4, s23
	s_waitcnt vmcnt(0)
	flat_store_dwordx4 v[65:66], v[0:3]
	s_clause 0x3
	buffer_load_dword v0, v4, s[0:3], 0 offen
	buffer_load_dword v1, v4, s[0:3], 0 offen offset:4
	buffer_load_dword v2, v4, s[0:3], 0 offen offset:8
	buffer_load_dword v3, v4, s[0:3], 0 offen offset:12
	v_mov_b32_e32 v4, s22
	s_waitcnt vmcnt(0)
	flat_store_dwordx4 v[67:68], v[0:3]
	s_clause 0x3
	buffer_load_dword v0, v4, s[0:3], 0 offen
	buffer_load_dword v1, v4, s[0:3], 0 offen offset:4
	buffer_load_dword v2, v4, s[0:3], 0 offen offset:8
	buffer_load_dword v3, v4, s[0:3], 0 offen offset:12
	v_mov_b32_e32 v4, s21
	s_waitcnt vmcnt(0)
	flat_store_dwordx4 v[69:70], v[0:3]
	s_clause 0x3
	buffer_load_dword v0, v4, s[0:3], 0 offen
	buffer_load_dword v1, v4, s[0:3], 0 offen offset:4
	buffer_load_dword v2, v4, s[0:3], 0 offen offset:8
	buffer_load_dword v3, v4, s[0:3], 0 offen offset:12
	v_mov_b32_e32 v4, s20
	s_waitcnt vmcnt(0)
	flat_store_dwordx4 v[71:72], v[0:3]
	s_clause 0x3
	buffer_load_dword v0, v4, s[0:3], 0 offen
	buffer_load_dword v1, v4, s[0:3], 0 offen offset:4
	buffer_load_dword v2, v4, s[0:3], 0 offen offset:8
	buffer_load_dword v3, v4, s[0:3], 0 offen offset:12
	v_mov_b32_e32 v4, s19
	s_waitcnt vmcnt(0)
	flat_store_dwordx4 v[73:74], v[0:3]
	s_clause 0x3
	buffer_load_dword v0, v4, s[0:3], 0 offen
	buffer_load_dword v1, v4, s[0:3], 0 offen offset:4
	buffer_load_dword v2, v4, s[0:3], 0 offen offset:8
	buffer_load_dword v3, v4, s[0:3], 0 offen offset:12
	v_mov_b32_e32 v4, s18
	s_waitcnt vmcnt(0)
	flat_store_dwordx4 v[75:76], v[0:3]
	s_clause 0x3
	buffer_load_dword v0, v4, s[0:3], 0 offen
	buffer_load_dword v1, v4, s[0:3], 0 offen offset:4
	buffer_load_dword v2, v4, s[0:3], 0 offen offset:8
	buffer_load_dword v3, v4, s[0:3], 0 offen offset:12
	v_mov_b32_e32 v4, s17
	s_waitcnt vmcnt(0)
	flat_store_dwordx4 v[77:78], v[0:3]
	s_clause 0x3
	buffer_load_dword v0, v4, s[0:3], 0 offen
	buffer_load_dword v1, v4, s[0:3], 0 offen offset:4
	buffer_load_dword v2, v4, s[0:3], 0 offen offset:8
	buffer_load_dword v3, v4, s[0:3], 0 offen offset:12
	v_mov_b32_e32 v4, s16
	s_waitcnt vmcnt(0)
	flat_store_dwordx4 v[79:80], v[0:3]
	s_clause 0x3
	buffer_load_dword v0, v4, s[0:3], 0 offen
	buffer_load_dword v1, v4, s[0:3], 0 offen offset:4
	buffer_load_dword v2, v4, s[0:3], 0 offen offset:8
	buffer_load_dword v3, v4, s[0:3], 0 offen offset:12
	v_mov_b32_e32 v4, s15
	s_waitcnt vmcnt(0)
	flat_store_dwordx4 v[81:82], v[0:3]
	s_clause 0x3
	buffer_load_dword v0, v4, s[0:3], 0 offen
	buffer_load_dword v1, v4, s[0:3], 0 offen offset:4
	buffer_load_dword v2, v4, s[0:3], 0 offen offset:8
	buffer_load_dword v3, v4, s[0:3], 0 offen offset:12
	v_mov_b32_e32 v4, s14
	s_waitcnt vmcnt(0)
	flat_store_dwordx4 v[83:84], v[0:3]
	s_clause 0x3
	buffer_load_dword v0, v4, s[0:3], 0 offen
	buffer_load_dword v1, v4, s[0:3], 0 offen offset:4
	buffer_load_dword v2, v4, s[0:3], 0 offen offset:8
	buffer_load_dword v3, v4, s[0:3], 0 offen offset:12
	v_mov_b32_e32 v4, s9
	s_waitcnt vmcnt(0)
	flat_store_dwordx4 v[85:86], v[0:3]
	s_clause 0x3
	buffer_load_dword v0, v4, s[0:3], 0 offen
	buffer_load_dword v1, v4, s[0:3], 0 offen offset:4
	buffer_load_dword v2, v4, s[0:3], 0 offen offset:8
	buffer_load_dword v3, v4, s[0:3], 0 offen offset:12
	v_mov_b32_e32 v4, s8
	s_waitcnt vmcnt(0)
	flat_store_dwordx4 v[87:88], v[0:3]
	s_clause 0x3
	buffer_load_dword v0, v4, s[0:3], 0 offen
	buffer_load_dword v1, v4, s[0:3], 0 offen offset:4
	buffer_load_dword v2, v4, s[0:3], 0 offen offset:8
	buffer_load_dword v3, v4, s[0:3], 0 offen offset:12
	s_waitcnt vmcnt(0)
	flat_store_dwordx4 v[89:90], v[0:3]
	s_endpgm
	.section	.rodata,"a",@progbits
	.p2align	6, 0x0
	.amdhsa_kernel _ZN9rocsolver6v33100L18getri_kernel_smallILi43E19rocblas_complex_numIdEPKPS3_EEvT1_iilPiilS8_bb
		.amdhsa_group_segment_fixed_size 1384
		.amdhsa_private_segment_fixed_size 720
		.amdhsa_kernarg_size 60
		.amdhsa_user_sgpr_count 6
		.amdhsa_user_sgpr_private_segment_buffer 1
		.amdhsa_user_sgpr_dispatch_ptr 0
		.amdhsa_user_sgpr_queue_ptr 0
		.amdhsa_user_sgpr_kernarg_segment_ptr 1
		.amdhsa_user_sgpr_dispatch_id 0
		.amdhsa_user_sgpr_flat_scratch_init 0
		.amdhsa_user_sgpr_private_segment_size 0
		.amdhsa_wavefront_size32 1
		.amdhsa_uses_dynamic_stack 0
		.amdhsa_system_sgpr_private_segment_wavefront_offset 1
		.amdhsa_system_sgpr_workgroup_id_x 1
		.amdhsa_system_sgpr_workgroup_id_y 0
		.amdhsa_system_sgpr_workgroup_id_z 0
		.amdhsa_system_sgpr_workgroup_info 0
		.amdhsa_system_vgpr_workitem_id 0
		.amdhsa_next_free_vgpr 181
		.amdhsa_next_free_sgpr 75
		.amdhsa_reserve_vcc 1
		.amdhsa_reserve_flat_scratch 0
		.amdhsa_float_round_mode_32 0
		.amdhsa_float_round_mode_16_64 0
		.amdhsa_float_denorm_mode_32 3
		.amdhsa_float_denorm_mode_16_64 3
		.amdhsa_dx10_clamp 1
		.amdhsa_ieee_mode 1
		.amdhsa_fp16_overflow 0
		.amdhsa_workgroup_processor_mode 1
		.amdhsa_memory_ordered 1
		.amdhsa_forward_progress 1
		.amdhsa_shared_vgpr_count 0
		.amdhsa_exception_fp_ieee_invalid_op 0
		.amdhsa_exception_fp_denorm_src 0
		.amdhsa_exception_fp_ieee_div_zero 0
		.amdhsa_exception_fp_ieee_overflow 0
		.amdhsa_exception_fp_ieee_underflow 0
		.amdhsa_exception_fp_ieee_inexact 0
		.amdhsa_exception_int_div_zero 0
	.end_amdhsa_kernel
	.section	.text._ZN9rocsolver6v33100L18getri_kernel_smallILi43E19rocblas_complex_numIdEPKPS3_EEvT1_iilPiilS8_bb,"axG",@progbits,_ZN9rocsolver6v33100L18getri_kernel_smallILi43E19rocblas_complex_numIdEPKPS3_EEvT1_iilPiilS8_bb,comdat
.Lfunc_end106:
	.size	_ZN9rocsolver6v33100L18getri_kernel_smallILi43E19rocblas_complex_numIdEPKPS3_EEvT1_iilPiilS8_bb, .Lfunc_end106-_ZN9rocsolver6v33100L18getri_kernel_smallILi43E19rocblas_complex_numIdEPKPS3_EEvT1_iilPiilS8_bb
                                        ; -- End function
	.set _ZN9rocsolver6v33100L18getri_kernel_smallILi43E19rocblas_complex_numIdEPKPS3_EEvT1_iilPiilS8_bb.num_vgpr, 181
	.set _ZN9rocsolver6v33100L18getri_kernel_smallILi43E19rocblas_complex_numIdEPKPS3_EEvT1_iilPiilS8_bb.num_agpr, 0
	.set _ZN9rocsolver6v33100L18getri_kernel_smallILi43E19rocblas_complex_numIdEPKPS3_EEvT1_iilPiilS8_bb.numbered_sgpr, 75
	.set _ZN9rocsolver6v33100L18getri_kernel_smallILi43E19rocblas_complex_numIdEPKPS3_EEvT1_iilPiilS8_bb.num_named_barrier, 0
	.set _ZN9rocsolver6v33100L18getri_kernel_smallILi43E19rocblas_complex_numIdEPKPS3_EEvT1_iilPiilS8_bb.private_seg_size, 720
	.set _ZN9rocsolver6v33100L18getri_kernel_smallILi43E19rocblas_complex_numIdEPKPS3_EEvT1_iilPiilS8_bb.uses_vcc, 1
	.set _ZN9rocsolver6v33100L18getri_kernel_smallILi43E19rocblas_complex_numIdEPKPS3_EEvT1_iilPiilS8_bb.uses_flat_scratch, 0
	.set _ZN9rocsolver6v33100L18getri_kernel_smallILi43E19rocblas_complex_numIdEPKPS3_EEvT1_iilPiilS8_bb.has_dyn_sized_stack, 0
	.set _ZN9rocsolver6v33100L18getri_kernel_smallILi43E19rocblas_complex_numIdEPKPS3_EEvT1_iilPiilS8_bb.has_recursion, 0
	.set _ZN9rocsolver6v33100L18getri_kernel_smallILi43E19rocblas_complex_numIdEPKPS3_EEvT1_iilPiilS8_bb.has_indirect_call, 0
	.section	.AMDGPU.csdata,"",@progbits
; Kernel info:
; codeLenInByte = 128888
; TotalNumSgprs: 77
; NumVgprs: 181
; ScratchSize: 720
; MemoryBound: 0
; FloatMode: 240
; IeeeMode: 1
; LDSByteSize: 1384 bytes/workgroup (compile time only)
; SGPRBlocks: 0
; VGPRBlocks: 22
; NumSGPRsForWavesPerEU: 77
; NumVGPRsForWavesPerEU: 181
; Occupancy: 5
; WaveLimiterHint : 1
; COMPUTE_PGM_RSRC2:SCRATCH_EN: 1
; COMPUTE_PGM_RSRC2:USER_SGPR: 6
; COMPUTE_PGM_RSRC2:TRAP_HANDLER: 0
; COMPUTE_PGM_RSRC2:TGID_X_EN: 1
; COMPUTE_PGM_RSRC2:TGID_Y_EN: 0
; COMPUTE_PGM_RSRC2:TGID_Z_EN: 0
; COMPUTE_PGM_RSRC2:TIDIG_COMP_CNT: 0
	.section	.text._ZN9rocsolver6v33100L18getri_kernel_smallILi44E19rocblas_complex_numIdEPKPS3_EEvT1_iilPiilS8_bb,"axG",@progbits,_ZN9rocsolver6v33100L18getri_kernel_smallILi44E19rocblas_complex_numIdEPKPS3_EEvT1_iilPiilS8_bb,comdat
	.globl	_ZN9rocsolver6v33100L18getri_kernel_smallILi44E19rocblas_complex_numIdEPKPS3_EEvT1_iilPiilS8_bb ; -- Begin function _ZN9rocsolver6v33100L18getri_kernel_smallILi44E19rocblas_complex_numIdEPKPS3_EEvT1_iilPiilS8_bb
	.p2align	8
	.type	_ZN9rocsolver6v33100L18getri_kernel_smallILi44E19rocblas_complex_numIdEPKPS3_EEvT1_iilPiilS8_bb,@function
_ZN9rocsolver6v33100L18getri_kernel_smallILi44E19rocblas_complex_numIdEPKPS3_EEvT1_iilPiilS8_bb: ; @_ZN9rocsolver6v33100L18getri_kernel_smallILi44E19rocblas_complex_numIdEPKPS3_EEvT1_iilPiilS8_bb
; %bb.0:
	s_add_u32 s0, s0, s7
	s_addc_u32 s1, s1, 0
	s_mov_b32 s7, exec_lo
	v_cmpx_gt_u32_e32 44, v0
	s_cbranch_execz .LBB107_190
; %bb.1:
	s_clause 0x2
	s_load_dword s16, s[4:5], 0x38
	s_load_dwordx2 s[12:13], s[4:5], 0x0
	s_load_dwordx4 s[8:11], s[4:5], 0x28
	s_waitcnt lgkmcnt(0)
	s_bitcmp1_b32 s16, 8
	s_cselect_b32 s56, -1, 0
	s_ashr_i32 s7, s6, 31
	s_lshl_b64 s[14:15], s[6:7], 3
	s_add_u32 s12, s12, s14
	s_addc_u32 s13, s13, s15
	s_load_dwordx2 s[14:15], s[12:13], 0x0
	s_bfe_u32 s12, s16, 0x10008
	s_cmp_eq_u32 s12, 0
                                        ; implicit-def: $sgpr12_sgpr13
	s_cbranch_scc1 .LBB107_3
; %bb.2:
	s_clause 0x1
	s_load_dword s12, s[4:5], 0x20
	s_load_dwordx2 s[16:17], s[4:5], 0x18
	s_mul_i32 s13, s8, s7
	s_mul_hi_u32 s18, s8, s6
	s_mul_i32 s9, s9, s6
	s_add_i32 s13, s18, s13
	s_mul_i32 s8, s8, s6
	s_add_i32 s9, s13, s9
	s_lshl_b64 s[8:9], s[8:9], 2
	s_waitcnt lgkmcnt(0)
	s_ashr_i32 s13, s12, 31
	s_add_u32 s16, s16, s8
	s_addc_u32 s17, s17, s9
	s_lshl_b64 s[8:9], s[12:13], 2
	s_add_u32 s12, s16, s8
	s_addc_u32 s13, s17, s9
.LBB107_3:
	s_clause 0x1
	s_load_dwordx2 s[8:9], s[4:5], 0x8
	s_load_dword s57, s[4:5], 0x38
	v_lshlrev_b32_e32 v99, 4, v0
	s_movk_i32 s16, 0xa0
	s_movk_i32 s17, 0xb0
	;; [unrolled: 1-line block ×17, first 2 shown]
	s_waitcnt lgkmcnt(0)
	s_ashr_i32 s5, s8, 31
	s_mov_b32 s4, s8
	v_add3_u32 v7, s9, s9, v0
	s_lshl_b64 s[4:5], s[4:5], 4
	s_movk_i32 s60, 0x1b0
	s_add_u32 s8, s14, s4
	s_addc_u32 s14, s15, s5
	v_add_co_u32 v5, s4, s8, v99
	v_add_co_ci_u32_e64 v6, null, s14, 0, s4
	s_mov_b32 s4, s9
	s_ashr_i32 s5, s9, 31
	v_ashrrev_i32_e32 v8, 31, v7
	flat_load_dwordx4 v[1:4], v[5:6]
	s_lshl_b64 s[4:5], s[4:5], 4
	s_movk_i32 s15, 0x90
	v_add_co_u32 v59, vcc_lo, v5, s4
	v_add_co_ci_u32_e64 v60, null, s5, v6, vcc_lo
	v_lshlrev_b64 v[8:9], 4, v[7:8]
	v_add_nc_u32_e32 v7, s9, v7
	s_movk_i32 s4, 0x50
	s_movk_i32 s61, 0x1c0
	;; [unrolled: 1-line block ×4, first 2 shown]
	v_add_co_u32 v57, vcc_lo, s8, v8
	v_add_co_ci_u32_e64 v58, null, s14, v9, vcc_lo
	v_ashrrev_i32_e32 v8, 31, v7
	s_movk_i32 s64, 0x1f0
	s_movk_i32 s65, 0x200
	;; [unrolled: 1-line block ×4, first 2 shown]
	v_lshlrev_b64 v[8:9], 4, v[7:8]
	v_add_nc_u32_e32 v7, s9, v7
	s_movk_i32 s68, 0x230
	s_movk_i32 s69, 0x240
	;; [unrolled: 1-line block ×4, first 2 shown]
	v_add_co_u32 v53, vcc_lo, s8, v8
	v_add_co_ci_u32_e64 v54, null, s14, v9, vcc_lo
	v_ashrrev_i32_e32 v8, 31, v7
	s_movk_i32 s72, 0x270
	s_movk_i32 s73, 0x280
	s_movk_i32 s74, 0x290
	s_movk_i32 s75, 0x2a0
	v_lshlrev_b64 v[8:9], 4, v[7:8]
	v_add_nc_u32_e32 v7, s9, v7
	s_movk_i32 s76, 0x2b0
	s_add_i32 s51, s4, 16
	s_add_i32 s47, s15, 16
	s_add_i32 s46, s16, 16
	v_add_co_u32 v51, vcc_lo, s8, v8
	v_add_co_ci_u32_e64 v52, null, s14, v9, vcc_lo
	v_ashrrev_i32_e32 v8, 31, v7
	s_add_i32 s45, s17, 16
	s_add_i32 s44, s18, 16
	s_add_i32 s43, s19, 16
	s_add_i32 s42, s20, 16
	v_lshlrev_b64 v[8:9], 4, v[7:8]
	v_add_nc_u32_e32 v7, s9, v7
	s_add_i32 s41, s21, 16
	s_add_i32 s40, s22, 16
	s_add_i32 s39, s23, 16
	s_add_i32 s38, s24, 16
	v_add_co_u32 v49, vcc_lo, s8, v8
	v_add_co_ci_u32_e64 v50, null, s14, v9, vcc_lo
	v_ashrrev_i32_e32 v8, 31, v7
	s_add_i32 s37, s25, 16
	s_add_i32 s36, s26, 16
	s_add_i32 s35, s27, 16
	s_add_i32 s34, s28, 16
	v_lshlrev_b64 v[8:9], 4, v[7:8]
	v_add_nc_u32_e32 v7, s9, v7
	s_add_i32 s33, s29, 16
	;; [unrolled: 13-line block ×4, first 2 shown]
	s_add_i32 s15, s73, 16
	s_mov_b32 s5, -1
	s_mov_b32 s55, 32
	v_add_co_u32 v43, vcc_lo, s8, v8
	v_add_co_ci_u32_e64 v44, null, s14, v9, vcc_lo
	v_ashrrev_i32_e32 v8, 31, v7
	s_mov_b32 s54, 48
	s_mov_b32 s53, 64
	s_movk_i32 s52, 0x50
	s_waitcnt vmcnt(0) lgkmcnt(0)
	buffer_store_dword v4, off, s[0:3], 0 offset:28
	buffer_store_dword v3, off, s[0:3], 0 offset:24
	buffer_store_dword v2, off, s[0:3], 0 offset:20
	buffer_store_dword v1, off, s[0:3], 0 offset:16
	flat_load_dwordx4 v[1:4], v[59:60]
	v_lshlrev_b64 v[8:9], 4, v[7:8]
	v_add_nc_u32_e32 v7, s9, v7
	s_waitcnt vmcnt(0) lgkmcnt(0)
	buffer_store_dword v4, off, s[0:3], 0 offset:44
	buffer_store_dword v3, off, s[0:3], 0 offset:40
	buffer_store_dword v2, off, s[0:3], 0 offset:36
	buffer_store_dword v1, off, s[0:3], 0 offset:32
	flat_load_dwordx4 v[1:4], v[57:58]
	v_add_co_u32 v41, vcc_lo, s8, v8
	v_add_co_ci_u32_e64 v42, null, s14, v9, vcc_lo
	v_ashrrev_i32_e32 v8, 31, v7
	s_waitcnt vmcnt(0) lgkmcnt(0)
	buffer_store_dword v4, off, s[0:3], 0 offset:60
	buffer_store_dword v3, off, s[0:3], 0 offset:56
	buffer_store_dword v2, off, s[0:3], 0 offset:52
	buffer_store_dword v1, off, s[0:3], 0 offset:48
	flat_load_dwordx4 v[1:4], v[53:54]
	v_lshlrev_b64 v[8:9], 4, v[7:8]
	v_add_nc_u32_e32 v7, s9, v7
	s_waitcnt vmcnt(0) lgkmcnt(0)
	buffer_store_dword v4, off, s[0:3], 0 offset:76
	buffer_store_dword v3, off, s[0:3], 0 offset:72
	buffer_store_dword v2, off, s[0:3], 0 offset:68
	buffer_store_dword v1, off, s[0:3], 0 offset:64
	flat_load_dwordx4 v[1:4], v[51:52]
	v_add_co_u32 v39, vcc_lo, s8, v8
	v_add_co_ci_u32_e64 v40, null, s14, v9, vcc_lo
	v_ashrrev_i32_e32 v8, 31, v7
	;; [unrolled: 17-line block ×7, first 2 shown]
	s_waitcnt vmcnt(0) lgkmcnt(0)
	buffer_store_dword v4, off, s[0:3], 0 offset:252
	buffer_store_dword v3, off, s[0:3], 0 offset:248
	;; [unrolled: 1-line block ×4, first 2 shown]
	flat_load_dwordx4 v[1:4], v[27:28]
	v_lshlrev_b64 v[8:9], 4, v[7:8]
	v_add_nc_u32_e32 v7, s9, v7
	s_waitcnt vmcnt(0) lgkmcnt(0)
	buffer_store_dword v4, off, s[0:3], 0 offset:268
	buffer_store_dword v3, off, s[0:3], 0 offset:264
	;; [unrolled: 1-line block ×4, first 2 shown]
	v_add_co_u32 v25, vcc_lo, s8, v8
	v_add_co_ci_u32_e64 v26, null, s14, v9, vcc_lo
	v_ashrrev_i32_e32 v8, 31, v7
	flat_load_dwordx4 v[1:4], v[25:26]
	s_waitcnt vmcnt(0) lgkmcnt(0)
	buffer_store_dword v4, off, s[0:3], 0 offset:284
	buffer_store_dword v3, off, s[0:3], 0 offset:280
	buffer_store_dword v2, off, s[0:3], 0 offset:276
	buffer_store_dword v1, off, s[0:3], 0 offset:272
	v_lshlrev_b64 v[8:9], 4, v[7:8]
	v_add_nc_u32_e32 v7, s9, v7
	v_add_co_u32 v23, vcc_lo, s8, v8
	v_add_co_ci_u32_e64 v24, null, s14, v9, vcc_lo
	v_ashrrev_i32_e32 v8, 31, v7
	flat_load_dwordx4 v[1:4], v[23:24]
	s_waitcnt vmcnt(0) lgkmcnt(0)
	buffer_store_dword v4, off, s[0:3], 0 offset:300
	buffer_store_dword v3, off, s[0:3], 0 offset:296
	buffer_store_dword v2, off, s[0:3], 0 offset:292
	buffer_store_dword v1, off, s[0:3], 0 offset:288
	v_lshlrev_b64 v[8:9], 4, v[7:8]
	v_add_nc_u32_e32 v7, s9, v7
	;; [unrolled: 11-line block ×7, first 2 shown]
	v_add_co_u32 v11, vcc_lo, s8, v8
	v_add_co_ci_u32_e64 v12, null, s14, v9, vcc_lo
	v_ashrrev_i32_e32 v8, 31, v7
	v_add_nc_u32_e32 v35, s9, v7
	flat_load_dwordx4 v[1:4], v[11:12]
	s_waitcnt vmcnt(0) lgkmcnt(0)
	buffer_store_dword v4, off, s[0:3], 0 offset:396
	buffer_store_dword v3, off, s[0:3], 0 offset:392
	;; [unrolled: 1-line block ×4, first 2 shown]
	v_lshlrev_b64 v[9:10], 4, v[7:8]
	v_ashrrev_i32_e32 v36, 31, v35
	v_add_nc_u32_e32 v55, s9, v35
	v_add_co_u32 v9, vcc_lo, s8, v9
	v_add_co_ci_u32_e64 v10, null, s14, v10, vcc_lo
	v_lshlrev_b64 v[7:8], 4, v[35:36]
	v_ashrrev_i32_e32 v56, 31, v55
	v_add_nc_u32_e32 v61, s9, v55
	flat_load_dwordx4 v[1:4], v[9:10]
	s_waitcnt vmcnt(0) lgkmcnt(0)
	buffer_store_dword v4, off, s[0:3], 0 offset:412
	buffer_store_dword v3, off, s[0:3], 0 offset:408
	buffer_store_dword v2, off, s[0:3], 0 offset:404
	buffer_store_dword v1, off, s[0:3], 0 offset:400
	v_add_co_u32 v7, vcc_lo, s8, v7
	v_add_co_ci_u32_e64 v8, null, s14, v8, vcc_lo
	v_lshlrev_b64 v[35:36], 4, v[55:56]
	v_ashrrev_i32_e32 v62, 31, v61
	v_add_nc_u32_e32 v63, s9, v61
	flat_load_dwordx4 v[1:4], v[7:8]
	s_waitcnt vmcnt(0) lgkmcnt(0)
	buffer_store_dword v4, off, s[0:3], 0 offset:428
	buffer_store_dword v3, off, s[0:3], 0 offset:424
	buffer_store_dword v2, off, s[0:3], 0 offset:420
	buffer_store_dword v1, off, s[0:3], 0 offset:416
	;; [unrolled: 11-line block ×16, first 2 shown]
	v_add_co_u32 v85, vcc_lo, s8, v85
	v_add_co_ci_u32_e64 v86, null, s14, v86, vcc_lo
	v_lshlrev_b64 v[87:88], 4, v[89:90]
	v_ashrrev_i32_e32 v92, 31, v91
	flat_load_dwordx4 v[1:4], v[85:86]
	s_waitcnt vmcnt(0) lgkmcnt(0)
	buffer_store_dword v4, off, s[0:3], 0 offset:668
	buffer_store_dword v3, off, s[0:3], 0 offset:664
	;; [unrolled: 1-line block ×4, first 2 shown]
	v_add_co_u32 v87, vcc_lo, s8, v87
	v_add_co_ci_u32_e64 v88, null, s14, v88, vcc_lo
	v_lshlrev_b64 v[89:90], 4, v[91:92]
	v_add_nc_u32_e32 v91, s9, v91
	s_movk_i32 s9, 0x70
	flat_load_dwordx4 v[1:4], v[87:88]
	s_add_i32 s49, s9, 16
	s_add_i32 s9, s75, 16
	v_add_co_u32 v89, vcc_lo, s8, v89
	v_add_co_ci_u32_e64 v90, null, s14, v90, vcc_lo
	v_ashrrev_i32_e32 v92, 31, v91
	s_waitcnt vmcnt(0) lgkmcnt(0)
	buffer_store_dword v4, off, s[0:3], 0 offset:684
	buffer_store_dword v3, off, s[0:3], 0 offset:680
	;; [unrolled: 1-line block ×4, first 2 shown]
	flat_load_dwordx4 v[1:4], v[89:90]
	v_lshlrev_b64 v[91:92], 4, v[91:92]
	s_waitcnt vmcnt(0) lgkmcnt(0)
	buffer_store_dword v4, off, s[0:3], 0 offset:700
	buffer_store_dword v3, off, s[0:3], 0 offset:696
	;; [unrolled: 1-line block ×4, first 2 shown]
	v_add_co_u32 v91, vcc_lo, s8, v91
	v_add_co_ci_u32_e64 v92, null, s14, v92, vcc_lo
	s_movk_i32 s8, 0x60
	s_movk_i32 s14, 0x80
	s_add_i32 s50, s8, 16
	flat_load_dwordx4 v[1:4], v[91:92]
	s_add_i32 s48, s14, 16
	s_add_i32 s14, s74, 16
	;; [unrolled: 1-line block ×3, first 2 shown]
	s_bitcmp0_b32 s57, 0
	s_waitcnt vmcnt(0) lgkmcnt(0)
	buffer_store_dword v4, off, s[0:3], 0 offset:716
	buffer_store_dword v3, off, s[0:3], 0 offset:712
	;; [unrolled: 1-line block ×4, first 2 shown]
	s_cbranch_scc1 .LBB107_188
; %bb.4:
	v_cmp_eq_u32_e64 s4, 0, v0
	s_and_saveexec_b32 s5, s4
; %bb.5:
	v_mov_b32_e32 v1, 0
	ds_write_b32 v1, v1 offset:1408
; %bb.6:
	s_or_b32 exec_lo, exec_lo, s5
	v_lshl_add_u32 v100, v0, 4, 16
	s_waitcnt lgkmcnt(0)
	s_waitcnt_vscnt null, 0x0
	s_barrier
	buffer_gl0_inv
	s_clause 0x3
	buffer_load_dword v1, v100, s[0:3], 0 offen
	buffer_load_dword v2, v100, s[0:3], 0 offen offset:4
	buffer_load_dword v3, v100, s[0:3], 0 offen offset:8
	;; [unrolled: 1-line block ×3, first 2 shown]
	s_waitcnt vmcnt(2)
	v_cmp_eq_f64_e32 vcc_lo, 0, v[1:2]
	s_waitcnt vmcnt(0)
	v_cmp_eq_f64_e64 s5, 0, v[3:4]
	s_and_b32 s5, vcc_lo, s5
	s_and_saveexec_b32 s57, s5
	s_cbranch_execz .LBB107_10
; %bb.7:
	v_mov_b32_e32 v1, 0
	s_mov_b32 s58, 0
	ds_read_b32 v2, v1 offset:1408
	s_waitcnt lgkmcnt(0)
	v_readfirstlane_b32 s5, v2
	v_add_nc_u32_e32 v2, 1, v0
	s_cmp_eq_u32 s5, 0
	v_cmp_gt_i32_e32 vcc_lo, s5, v2
	s_cselect_b32 s59, -1, 0
	s_or_b32 s59, s59, vcc_lo
	s_and_b32 exec_lo, exec_lo, s59
	s_cbranch_execz .LBB107_10
; %bb.8:
	v_mov_b32_e32 v3, s5
.LBB107_9:                              ; =>This Inner Loop Header: Depth=1
	ds_cmpst_rtn_b32 v3, v1, v3, v2 offset:1408
	s_waitcnt lgkmcnt(0)
	v_cmp_ne_u32_e32 vcc_lo, 0, v3
	v_cmp_le_i32_e64 s5, v3, v2
	s_and_b32 s5, vcc_lo, s5
	s_and_b32 s5, exec_lo, s5
	s_or_b32 s58, s5, s58
	s_andn2_b32 exec_lo, exec_lo, s58
	s_cbranch_execnz .LBB107_9
.LBB107_10:
	s_or_b32 exec_lo, exec_lo, s57
	v_mov_b32_e32 v1, 0
	s_barrier
	buffer_gl0_inv
	ds_read_b32 v2, v1 offset:1408
	s_and_saveexec_b32 s5, s4
	s_cbranch_execz .LBB107_12
; %bb.11:
	s_lshl_b64 s[58:59], s[6:7], 2
	s_add_u32 s58, s10, s58
	s_addc_u32 s59, s11, s59
	s_waitcnt lgkmcnt(0)
	global_store_dword v1, v2, s[58:59]
.LBB107_12:
	s_or_b32 exec_lo, exec_lo, s5
	s_waitcnt lgkmcnt(0)
	v_cmp_ne_u32_e32 vcc_lo, 0, v2
	s_mov_b32 s5, 0
	s_cbranch_vccnz .LBB107_188
; %bb.13:
	s_clause 0x3
	buffer_load_dword v95, v100, s[0:3], 0 offen
	buffer_load_dword v96, v100, s[0:3], 0 offen offset:4
	buffer_load_dword v97, v100, s[0:3], 0 offen offset:8
	;; [unrolled: 1-line block ×3, first 2 shown]
                                        ; implicit-def: $vgpr93_vgpr94
                                        ; implicit-def: $vgpr3_vgpr4
	s_waitcnt vmcnt(0)
	v_cmp_ngt_f64_e64 s5, |v[95:96]|, |v[97:98]|
	s_and_saveexec_b32 s57, s5
	s_xor_b32 s5, exec_lo, s57
	s_cbranch_execz .LBB107_15
; %bb.14:
	v_div_scale_f64 v[1:2], null, v[97:98], v[97:98], v[95:96]
	v_div_scale_f64 v[101:102], vcc_lo, v[95:96], v[97:98], v[95:96]
	v_rcp_f64_e32 v[3:4], v[1:2]
	v_fma_f64 v[93:94], -v[1:2], v[3:4], 1.0
	v_fma_f64 v[3:4], v[3:4], v[93:94], v[3:4]
	v_fma_f64 v[93:94], -v[1:2], v[3:4], 1.0
	v_fma_f64 v[3:4], v[3:4], v[93:94], v[3:4]
	v_mul_f64 v[93:94], v[101:102], v[3:4]
	v_fma_f64 v[1:2], -v[1:2], v[93:94], v[101:102]
	v_div_fmas_f64 v[1:2], v[1:2], v[3:4], v[93:94]
	v_div_fixup_f64 v[1:2], v[1:2], v[97:98], v[95:96]
	v_fma_f64 v[3:4], v[95:96], v[1:2], v[97:98]
	v_div_scale_f64 v[93:94], null, v[3:4], v[3:4], 1.0
	v_div_scale_f64 v[101:102], vcc_lo, 1.0, v[3:4], 1.0
	v_rcp_f64_e32 v[95:96], v[93:94]
	v_fma_f64 v[97:98], -v[93:94], v[95:96], 1.0
	v_fma_f64 v[95:96], v[95:96], v[97:98], v[95:96]
	v_fma_f64 v[97:98], -v[93:94], v[95:96], 1.0
	v_fma_f64 v[95:96], v[95:96], v[97:98], v[95:96]
	v_mul_f64 v[97:98], v[101:102], v[95:96]
	v_fma_f64 v[93:94], -v[93:94], v[97:98], v[101:102]
	v_div_fmas_f64 v[93:94], v[93:94], v[95:96], v[97:98]
                                        ; implicit-def: $vgpr95_vgpr96
                                        ; implicit-def: $vgpr97_vgpr98
	v_div_fixup_f64 v[3:4], v[93:94], v[3:4], 1.0
	v_mul_f64 v[93:94], v[1:2], v[3:4]
	v_xor_b32_e32 v4, 0x80000000, v4
	v_xor_b32_e32 v2, 0x80000000, v94
	v_mov_b32_e32 v1, v93
.LBB107_15:
	s_andn2_saveexec_b32 s5, s5
	s_cbranch_execz .LBB107_17
; %bb.16:
	v_div_scale_f64 v[1:2], null, v[95:96], v[95:96], v[97:98]
	v_div_scale_f64 v[101:102], vcc_lo, v[97:98], v[95:96], v[97:98]
	v_rcp_f64_e32 v[3:4], v[1:2]
	v_fma_f64 v[93:94], -v[1:2], v[3:4], 1.0
	v_fma_f64 v[3:4], v[3:4], v[93:94], v[3:4]
	v_fma_f64 v[93:94], -v[1:2], v[3:4], 1.0
	v_fma_f64 v[3:4], v[3:4], v[93:94], v[3:4]
	v_mul_f64 v[93:94], v[101:102], v[3:4]
	v_fma_f64 v[1:2], -v[1:2], v[93:94], v[101:102]
	v_div_fmas_f64 v[1:2], v[1:2], v[3:4], v[93:94]
	v_div_fixup_f64 v[1:2], v[1:2], v[95:96], v[97:98]
	v_fma_f64 v[3:4], v[97:98], v[1:2], v[95:96]
	v_div_scale_f64 v[93:94], null, v[3:4], v[3:4], 1.0
	v_rcp_f64_e32 v[95:96], v[93:94]
	v_fma_f64 v[97:98], -v[93:94], v[95:96], 1.0
	v_fma_f64 v[95:96], v[95:96], v[97:98], v[95:96]
	v_fma_f64 v[97:98], -v[93:94], v[95:96], 1.0
	v_fma_f64 v[95:96], v[95:96], v[97:98], v[95:96]
	v_div_scale_f64 v[97:98], vcc_lo, 1.0, v[3:4], 1.0
	v_mul_f64 v[101:102], v[97:98], v[95:96]
	v_fma_f64 v[93:94], -v[93:94], v[101:102], v[97:98]
	v_div_fmas_f64 v[93:94], v[93:94], v[95:96], v[101:102]
	v_div_fixup_f64 v[93:94], v[93:94], v[3:4], 1.0
	v_mul_f64 v[3:4], v[1:2], -v[93:94]
	v_xor_b32_e32 v2, 0x80000000, v94
	v_mov_b32_e32 v1, v93
.LBB107_17:
	s_or_b32 exec_lo, exec_lo, s5
	v_mov_b32_e32 v98, s55
	buffer_store_dword v94, v100, s[0:3], 0 offen offset:4
	buffer_store_dword v93, v100, s[0:3], 0 offen
	buffer_store_dword v4, v100, s[0:3], 0 offen offset:12
	buffer_store_dword v3, v100, s[0:3], 0 offen offset:8
	v_xor_b32_e32 v4, 0x80000000, v4
	v_add_nc_u32_e32 v93, 0x2c0, v99
	s_clause 0x3
	buffer_load_dword v97, v98, s[0:3], 0 offen offset:12
	buffer_load_dword v96, v98, s[0:3], 0 offen offset:8
	buffer_load_dword v95, v98, s[0:3], 0 offen offset:4
	buffer_load_dword v94, v98, s[0:3], 0 offen
	ds_write_b128 v99, v[1:4]
	s_waitcnt vmcnt(0)
	ds_write_b128 v99, v[94:97] offset:704
	s_waitcnt lgkmcnt(0)
	s_waitcnt_vscnt null, 0x0
	s_barrier
	buffer_gl0_inv
	s_and_saveexec_b32 s5, s4
	s_cbranch_execz .LBB107_19
; %bb.18:
	s_clause 0x3
	buffer_load_dword v101, v100, s[0:3], 0 offen offset:8
	buffer_load_dword v102, v100, s[0:3], 0 offen offset:12
	buffer_load_dword v103, v100, s[0:3], 0 offen
	buffer_load_dword v104, v100, s[0:3], 0 offen offset:4
	ds_read_b128 v[1:4], v93
	v_mov_b32_e32 v94, 0
	ds_read_b128 v[94:97], v94 offset:16
	s_waitcnt vmcnt(2) lgkmcnt(1)
	v_mul_f64 v[105:106], v[1:2], v[101:102]
	v_mul_f64 v[101:102], v[3:4], v[101:102]
	s_waitcnt vmcnt(0)
	v_fma_f64 v[3:4], v[3:4], v[103:104], v[105:106]
	v_fma_f64 v[1:2], v[1:2], v[103:104], -v[101:102]
	v_add_f64 v[3:4], v[3:4], 0
	v_add_f64 v[1:2], v[1:2], 0
	s_waitcnt lgkmcnt(0)
	v_mul_f64 v[101:102], v[3:4], v[96:97]
	v_mul_f64 v[96:97], v[1:2], v[96:97]
	v_fma_f64 v[1:2], v[1:2], v[94:95], -v[101:102]
	v_fma_f64 v[3:4], v[3:4], v[94:95], v[96:97]
	buffer_store_dword v1, off, s[0:3], 0 offset:32
	buffer_store_dword v2, off, s[0:3], 0 offset:36
	;; [unrolled: 1-line block ×4, first 2 shown]
.LBB107_19:
	s_or_b32 exec_lo, exec_lo, s5
	v_mov_b32_e32 v4, s54
	s_waitcnt_vscnt null, 0x0
	s_barrier
	buffer_gl0_inv
	s_mov_b32 s5, exec_lo
	s_clause 0x3
	buffer_load_dword v1, v4, s[0:3], 0 offen
	buffer_load_dword v2, v4, s[0:3], 0 offen offset:4
	buffer_load_dword v3, v4, s[0:3], 0 offen offset:8
	;; [unrolled: 1-line block ×3, first 2 shown]
	s_waitcnt vmcnt(0)
	ds_write_b128 v93, v[1:4]
	s_waitcnt lgkmcnt(0)
	s_barrier
	buffer_gl0_inv
	v_cmpx_gt_u32_e32 2, v0
	s_cbranch_execz .LBB107_23
; %bb.20:
	s_clause 0x3
	buffer_load_dword v94, v100, s[0:3], 0 offen offset:8
	buffer_load_dword v95, v100, s[0:3], 0 offen offset:12
	buffer_load_dword v96, v100, s[0:3], 0 offen
	buffer_load_dword v97, v100, s[0:3], 0 offen offset:4
	ds_read_b128 v[1:4], v93
	s_waitcnt vmcnt(2) lgkmcnt(0)
	v_mul_f64 v[100:101], v[3:4], v[94:95]
	v_mul_f64 v[94:95], v[1:2], v[94:95]
	s_waitcnt vmcnt(0)
	v_fma_f64 v[1:2], v[1:2], v[96:97], -v[100:101]
	v_fma_f64 v[3:4], v[3:4], v[96:97], v[94:95]
	v_add_f64 v[1:2], v[1:2], 0
	v_add_f64 v[3:4], v[3:4], 0
	s_and_saveexec_b32 s57, s4
	s_cbranch_execz .LBB107_22
; %bb.21:
	s_clause 0x3
	buffer_load_dword v100, off, s[0:3], 0 offset:40
	buffer_load_dword v101, off, s[0:3], 0 offset:44
	;; [unrolled: 1-line block ×4, first 2 shown]
	v_mov_b32_e32 v94, 0
	ds_read_b128 v[94:97], v94 offset:720
	s_waitcnt vmcnt(2) lgkmcnt(0)
	v_mul_f64 v[104:105], v[94:95], v[100:101]
	v_mul_f64 v[100:101], v[96:97], v[100:101]
	s_waitcnt vmcnt(0)
	v_fma_f64 v[96:97], v[96:97], v[102:103], v[104:105]
	v_fma_f64 v[94:95], v[94:95], v[102:103], -v[100:101]
	v_add_f64 v[3:4], v[3:4], v[96:97]
	v_add_f64 v[1:2], v[1:2], v[94:95]
.LBB107_22:
	s_or_b32 exec_lo, exec_lo, s57
	v_mov_b32_e32 v94, 0
	ds_read_b128 v[94:97], v94 offset:32
	s_waitcnt lgkmcnt(0)
	v_mul_f64 v[100:101], v[3:4], v[96:97]
	v_mul_f64 v[96:97], v[1:2], v[96:97]
	v_fma_f64 v[1:2], v[1:2], v[94:95], -v[100:101]
	v_fma_f64 v[3:4], v[3:4], v[94:95], v[96:97]
	buffer_store_dword v2, off, s[0:3], 0 offset:52
	buffer_store_dword v1, off, s[0:3], 0 offset:48
	;; [unrolled: 1-line block ×4, first 2 shown]
.LBB107_23:
	s_or_b32 exec_lo, exec_lo, s5
	v_mov_b32_e32 v4, s53
	s_waitcnt_vscnt null, 0x0
	s_barrier
	buffer_gl0_inv
	v_add_nc_u32_e32 v94, -1, v0
	s_clause 0x3
	buffer_load_dword v1, v4, s[0:3], 0 offen
	buffer_load_dword v2, v4, s[0:3], 0 offen offset:4
	buffer_load_dword v3, v4, s[0:3], 0 offen offset:8
	;; [unrolled: 1-line block ×3, first 2 shown]
	s_mov_b32 s4, exec_lo
	s_waitcnt vmcnt(0)
	ds_write_b128 v93, v[1:4]
	s_waitcnt lgkmcnt(0)
	s_barrier
	buffer_gl0_inv
	v_cmpx_gt_u32_e32 3, v0
	s_cbranch_execz .LBB107_27
; %bb.24:
	v_mov_b32_e32 v1, 0
	v_mov_b32_e32 v3, 0
	v_add_nc_u32_e32 v95, -1, v0
	v_add_nc_u32_e32 v96, 0x2c0, v99
	v_mov_b32_e32 v2, 0
	v_mov_b32_e32 v4, 0
	v_add_nc_u32_e32 v97, 16, v99
	s_mov_b32 s5, 0
	.p2align	6
.LBB107_25:                             ; =>This Inner Loop Header: Depth=1
	s_clause 0x3
	buffer_load_dword v104, v97, s[0:3], 0 offen offset:8
	buffer_load_dword v105, v97, s[0:3], 0 offen offset:12
	buffer_load_dword v106, v97, s[0:3], 0 offen
	buffer_load_dword v107, v97, s[0:3], 0 offen offset:4
	ds_read_b128 v[100:103], v96
	v_add_nc_u32_e32 v95, 1, v95
	v_add_nc_u32_e32 v96, 16, v96
	;; [unrolled: 1-line block ×3, first 2 shown]
	v_cmp_lt_u32_e32 vcc_lo, 1, v95
	s_or_b32 s5, vcc_lo, s5
	s_waitcnt vmcnt(2) lgkmcnt(0)
	v_mul_f64 v[108:109], v[102:103], v[104:105]
	v_mul_f64 v[104:105], v[100:101], v[104:105]
	s_waitcnt vmcnt(0)
	v_fma_f64 v[100:101], v[100:101], v[106:107], -v[108:109]
	v_fma_f64 v[102:103], v[102:103], v[106:107], v[104:105]
	v_add_f64 v[3:4], v[3:4], v[100:101]
	v_add_f64 v[1:2], v[1:2], v[102:103]
	s_andn2_b32 exec_lo, exec_lo, s5
	s_cbranch_execnz .LBB107_25
; %bb.26:
	s_or_b32 exec_lo, exec_lo, s5
	v_mov_b32_e32 v95, 0
	ds_read_b128 v[95:98], v95 offset:48
	s_waitcnt lgkmcnt(0)
	v_mul_f64 v[100:101], v[1:2], v[97:98]
	v_mul_f64 v[97:98], v[3:4], v[97:98]
	v_fma_f64 v[3:4], v[3:4], v[95:96], -v[100:101]
	v_fma_f64 v[1:2], v[1:2], v[95:96], v[97:98]
	buffer_store_dword v4, off, s[0:3], 0 offset:68
	buffer_store_dword v3, off, s[0:3], 0 offset:64
	;; [unrolled: 1-line block ×4, first 2 shown]
.LBB107_27:
	s_or_b32 exec_lo, exec_lo, s4
	v_mov_b32_e32 v4, s52
	s_waitcnt_vscnt null, 0x0
	s_barrier
	buffer_gl0_inv
	s_mov_b32 s4, exec_lo
	s_clause 0x3
	buffer_load_dword v1, v4, s[0:3], 0 offen
	buffer_load_dword v2, v4, s[0:3], 0 offen offset:4
	buffer_load_dword v3, v4, s[0:3], 0 offen offset:8
	;; [unrolled: 1-line block ×3, first 2 shown]
	s_waitcnt vmcnt(0)
	ds_write_b128 v93, v[1:4]
	s_waitcnt lgkmcnt(0)
	s_barrier
	buffer_gl0_inv
	v_cmpx_gt_u32_e32 4, v0
	s_cbranch_execz .LBB107_31
; %bb.28:
	v_mov_b32_e32 v1, 0
	v_mov_b32_e32 v3, 0
	v_add_nc_u32_e32 v95, -1, v0
	v_add_nc_u32_e32 v96, 0x2c0, v99
	v_mov_b32_e32 v2, 0
	v_mov_b32_e32 v4, 0
	v_add_nc_u32_e32 v97, 16, v99
	s_mov_b32 s5, 0
	.p2align	6
.LBB107_29:                             ; =>This Inner Loop Header: Depth=1
	s_clause 0x3
	buffer_load_dword v104, v97, s[0:3], 0 offen offset:8
	buffer_load_dword v105, v97, s[0:3], 0 offen offset:12
	buffer_load_dword v106, v97, s[0:3], 0 offen
	buffer_load_dword v107, v97, s[0:3], 0 offen offset:4
	ds_read_b128 v[100:103], v96
	v_add_nc_u32_e32 v95, 1, v95
	v_add_nc_u32_e32 v96, 16, v96
	;; [unrolled: 1-line block ×3, first 2 shown]
	v_cmp_lt_u32_e32 vcc_lo, 2, v95
	s_or_b32 s5, vcc_lo, s5
	s_waitcnt vmcnt(2) lgkmcnt(0)
	v_mul_f64 v[108:109], v[102:103], v[104:105]
	v_mul_f64 v[104:105], v[100:101], v[104:105]
	s_waitcnt vmcnt(0)
	v_fma_f64 v[100:101], v[100:101], v[106:107], -v[108:109]
	v_fma_f64 v[102:103], v[102:103], v[106:107], v[104:105]
	v_add_f64 v[3:4], v[3:4], v[100:101]
	v_add_f64 v[1:2], v[1:2], v[102:103]
	s_andn2_b32 exec_lo, exec_lo, s5
	s_cbranch_execnz .LBB107_29
; %bb.30:
	s_or_b32 exec_lo, exec_lo, s5
	v_mov_b32_e32 v95, 0
	ds_read_b128 v[95:98], v95 offset:64
	s_waitcnt lgkmcnt(0)
	v_mul_f64 v[100:101], v[1:2], v[97:98]
	v_mul_f64 v[97:98], v[3:4], v[97:98]
	v_fma_f64 v[3:4], v[3:4], v[95:96], -v[100:101]
	v_fma_f64 v[1:2], v[1:2], v[95:96], v[97:98]
	buffer_store_dword v4, off, s[0:3], 0 offset:84
	buffer_store_dword v3, off, s[0:3], 0 offset:80
	;; [unrolled: 1-line block ×4, first 2 shown]
.LBB107_31:
	s_or_b32 exec_lo, exec_lo, s4
	v_mov_b32_e32 v4, s51
	s_waitcnt_vscnt null, 0x0
	s_barrier
	buffer_gl0_inv
	s_mov_b32 s4, exec_lo
	s_clause 0x3
	buffer_load_dword v1, v4, s[0:3], 0 offen
	buffer_load_dword v2, v4, s[0:3], 0 offen offset:4
	buffer_load_dword v3, v4, s[0:3], 0 offen offset:8
	;; [unrolled: 1-line block ×3, first 2 shown]
	s_waitcnt vmcnt(0)
	ds_write_b128 v93, v[1:4]
	s_waitcnt lgkmcnt(0)
	s_barrier
	buffer_gl0_inv
	v_cmpx_gt_u32_e32 5, v0
	s_cbranch_execz .LBB107_35
; %bb.32:
	v_mov_b32_e32 v1, 0
	v_mov_b32_e32 v3, 0
	v_add_nc_u32_e32 v95, -1, v0
	v_add_nc_u32_e32 v96, 0x2c0, v99
	v_mov_b32_e32 v2, 0
	v_mov_b32_e32 v4, 0
	v_add_nc_u32_e32 v97, 16, v99
	s_mov_b32 s5, 0
	.p2align	6
.LBB107_33:                             ; =>This Inner Loop Header: Depth=1
	s_clause 0x3
	buffer_load_dword v104, v97, s[0:3], 0 offen offset:8
	buffer_load_dword v105, v97, s[0:3], 0 offen offset:12
	buffer_load_dword v106, v97, s[0:3], 0 offen
	buffer_load_dword v107, v97, s[0:3], 0 offen offset:4
	ds_read_b128 v[100:103], v96
	v_add_nc_u32_e32 v95, 1, v95
	v_add_nc_u32_e32 v96, 16, v96
	;; [unrolled: 1-line block ×3, first 2 shown]
	v_cmp_lt_u32_e32 vcc_lo, 3, v95
	s_or_b32 s5, vcc_lo, s5
	s_waitcnt vmcnt(2) lgkmcnt(0)
	v_mul_f64 v[108:109], v[102:103], v[104:105]
	v_mul_f64 v[104:105], v[100:101], v[104:105]
	s_waitcnt vmcnt(0)
	v_fma_f64 v[100:101], v[100:101], v[106:107], -v[108:109]
	v_fma_f64 v[102:103], v[102:103], v[106:107], v[104:105]
	v_add_f64 v[3:4], v[3:4], v[100:101]
	v_add_f64 v[1:2], v[1:2], v[102:103]
	s_andn2_b32 exec_lo, exec_lo, s5
	s_cbranch_execnz .LBB107_33
; %bb.34:
	s_or_b32 exec_lo, exec_lo, s5
	v_mov_b32_e32 v95, 0
	ds_read_b128 v[95:98], v95 offset:80
	s_waitcnt lgkmcnt(0)
	v_mul_f64 v[100:101], v[1:2], v[97:98]
	v_mul_f64 v[97:98], v[3:4], v[97:98]
	v_fma_f64 v[3:4], v[3:4], v[95:96], -v[100:101]
	v_fma_f64 v[1:2], v[1:2], v[95:96], v[97:98]
	buffer_store_dword v4, off, s[0:3], 0 offset:100
	buffer_store_dword v3, off, s[0:3], 0 offset:96
	;; [unrolled: 1-line block ×4, first 2 shown]
.LBB107_35:
	s_or_b32 exec_lo, exec_lo, s4
	v_mov_b32_e32 v4, s50
	s_waitcnt_vscnt null, 0x0
	s_barrier
	buffer_gl0_inv
	s_mov_b32 s4, exec_lo
	s_clause 0x3
	buffer_load_dword v1, v4, s[0:3], 0 offen
	buffer_load_dword v2, v4, s[0:3], 0 offen offset:4
	buffer_load_dword v3, v4, s[0:3], 0 offen offset:8
	buffer_load_dword v4, v4, s[0:3], 0 offen offset:12
	s_waitcnt vmcnt(0)
	ds_write_b128 v93, v[1:4]
	s_waitcnt lgkmcnt(0)
	s_barrier
	buffer_gl0_inv
	v_cmpx_gt_u32_e32 6, v0
	s_cbranch_execz .LBB107_39
; %bb.36:
	v_mov_b32_e32 v1, 0
	v_mov_b32_e32 v3, 0
	v_add_nc_u32_e32 v95, -1, v0
	v_add_nc_u32_e32 v96, 0x2c0, v99
	v_mov_b32_e32 v2, 0
	v_mov_b32_e32 v4, 0
	v_add_nc_u32_e32 v97, 16, v99
	s_mov_b32 s5, 0
	.p2align	6
.LBB107_37:                             ; =>This Inner Loop Header: Depth=1
	s_clause 0x3
	buffer_load_dword v104, v97, s[0:3], 0 offen offset:8
	buffer_load_dword v105, v97, s[0:3], 0 offen offset:12
	buffer_load_dword v106, v97, s[0:3], 0 offen
	buffer_load_dword v107, v97, s[0:3], 0 offen offset:4
	ds_read_b128 v[100:103], v96
	v_add_nc_u32_e32 v95, 1, v95
	v_add_nc_u32_e32 v96, 16, v96
	;; [unrolled: 1-line block ×3, first 2 shown]
	v_cmp_lt_u32_e32 vcc_lo, 4, v95
	s_or_b32 s5, vcc_lo, s5
	s_waitcnt vmcnt(2) lgkmcnt(0)
	v_mul_f64 v[108:109], v[102:103], v[104:105]
	v_mul_f64 v[104:105], v[100:101], v[104:105]
	s_waitcnt vmcnt(0)
	v_fma_f64 v[100:101], v[100:101], v[106:107], -v[108:109]
	v_fma_f64 v[102:103], v[102:103], v[106:107], v[104:105]
	v_add_f64 v[3:4], v[3:4], v[100:101]
	v_add_f64 v[1:2], v[1:2], v[102:103]
	s_andn2_b32 exec_lo, exec_lo, s5
	s_cbranch_execnz .LBB107_37
; %bb.38:
	s_or_b32 exec_lo, exec_lo, s5
	v_mov_b32_e32 v95, 0
	ds_read_b128 v[95:98], v95 offset:96
	s_waitcnt lgkmcnt(0)
	v_mul_f64 v[100:101], v[1:2], v[97:98]
	v_mul_f64 v[97:98], v[3:4], v[97:98]
	v_fma_f64 v[3:4], v[3:4], v[95:96], -v[100:101]
	v_fma_f64 v[1:2], v[1:2], v[95:96], v[97:98]
	buffer_store_dword v4, off, s[0:3], 0 offset:116
	buffer_store_dword v3, off, s[0:3], 0 offset:112
	;; [unrolled: 1-line block ×4, first 2 shown]
.LBB107_39:
	s_or_b32 exec_lo, exec_lo, s4
	v_mov_b32_e32 v4, s49
	s_waitcnt_vscnt null, 0x0
	s_barrier
	buffer_gl0_inv
	s_mov_b32 s4, exec_lo
	s_clause 0x3
	buffer_load_dword v1, v4, s[0:3], 0 offen
	buffer_load_dword v2, v4, s[0:3], 0 offen offset:4
	buffer_load_dword v3, v4, s[0:3], 0 offen offset:8
	;; [unrolled: 1-line block ×3, first 2 shown]
	s_waitcnt vmcnt(0)
	ds_write_b128 v93, v[1:4]
	s_waitcnt lgkmcnt(0)
	s_barrier
	buffer_gl0_inv
	v_cmpx_gt_u32_e32 7, v0
	s_cbranch_execz .LBB107_43
; %bb.40:
	v_mov_b32_e32 v1, 0
	v_mov_b32_e32 v3, 0
	v_add_nc_u32_e32 v95, -1, v0
	v_add_nc_u32_e32 v96, 0x2c0, v99
	v_mov_b32_e32 v2, 0
	v_mov_b32_e32 v4, 0
	v_add_nc_u32_e32 v97, 16, v99
	s_mov_b32 s5, 0
	.p2align	6
.LBB107_41:                             ; =>This Inner Loop Header: Depth=1
	s_clause 0x3
	buffer_load_dword v104, v97, s[0:3], 0 offen offset:8
	buffer_load_dword v105, v97, s[0:3], 0 offen offset:12
	buffer_load_dword v106, v97, s[0:3], 0 offen
	buffer_load_dword v107, v97, s[0:3], 0 offen offset:4
	ds_read_b128 v[100:103], v96
	v_add_nc_u32_e32 v95, 1, v95
	v_add_nc_u32_e32 v96, 16, v96
	;; [unrolled: 1-line block ×3, first 2 shown]
	v_cmp_lt_u32_e32 vcc_lo, 5, v95
	s_or_b32 s5, vcc_lo, s5
	s_waitcnt vmcnt(2) lgkmcnt(0)
	v_mul_f64 v[108:109], v[102:103], v[104:105]
	v_mul_f64 v[104:105], v[100:101], v[104:105]
	s_waitcnt vmcnt(0)
	v_fma_f64 v[100:101], v[100:101], v[106:107], -v[108:109]
	v_fma_f64 v[102:103], v[102:103], v[106:107], v[104:105]
	v_add_f64 v[3:4], v[3:4], v[100:101]
	v_add_f64 v[1:2], v[1:2], v[102:103]
	s_andn2_b32 exec_lo, exec_lo, s5
	s_cbranch_execnz .LBB107_41
; %bb.42:
	s_or_b32 exec_lo, exec_lo, s5
	v_mov_b32_e32 v95, 0
	ds_read_b128 v[95:98], v95 offset:112
	s_waitcnt lgkmcnt(0)
	v_mul_f64 v[100:101], v[1:2], v[97:98]
	v_mul_f64 v[97:98], v[3:4], v[97:98]
	v_fma_f64 v[3:4], v[3:4], v[95:96], -v[100:101]
	v_fma_f64 v[1:2], v[1:2], v[95:96], v[97:98]
	buffer_store_dword v4, off, s[0:3], 0 offset:132
	buffer_store_dword v3, off, s[0:3], 0 offset:128
	;; [unrolled: 1-line block ×4, first 2 shown]
.LBB107_43:
	s_or_b32 exec_lo, exec_lo, s4
	v_mov_b32_e32 v4, s48
	s_waitcnt_vscnt null, 0x0
	s_barrier
	buffer_gl0_inv
	s_mov_b32 s4, exec_lo
	s_clause 0x3
	buffer_load_dword v1, v4, s[0:3], 0 offen
	buffer_load_dword v2, v4, s[0:3], 0 offen offset:4
	buffer_load_dword v3, v4, s[0:3], 0 offen offset:8
	;; [unrolled: 1-line block ×3, first 2 shown]
	s_waitcnt vmcnt(0)
	ds_write_b128 v93, v[1:4]
	s_waitcnt lgkmcnt(0)
	s_barrier
	buffer_gl0_inv
	v_cmpx_gt_u32_e32 8, v0
	s_cbranch_execz .LBB107_47
; %bb.44:
	v_mov_b32_e32 v1, 0
	v_mov_b32_e32 v3, 0
	v_add_nc_u32_e32 v95, -1, v0
	v_add_nc_u32_e32 v96, 0x2c0, v99
	v_mov_b32_e32 v2, 0
	v_mov_b32_e32 v4, 0
	v_add_nc_u32_e32 v97, 16, v99
	s_mov_b32 s5, 0
	.p2align	6
.LBB107_45:                             ; =>This Inner Loop Header: Depth=1
	s_clause 0x3
	buffer_load_dword v104, v97, s[0:3], 0 offen offset:8
	buffer_load_dword v105, v97, s[0:3], 0 offen offset:12
	buffer_load_dword v106, v97, s[0:3], 0 offen
	buffer_load_dword v107, v97, s[0:3], 0 offen offset:4
	ds_read_b128 v[100:103], v96
	v_add_nc_u32_e32 v95, 1, v95
	v_add_nc_u32_e32 v96, 16, v96
	;; [unrolled: 1-line block ×3, first 2 shown]
	v_cmp_lt_u32_e32 vcc_lo, 6, v95
	s_or_b32 s5, vcc_lo, s5
	s_waitcnt vmcnt(2) lgkmcnt(0)
	v_mul_f64 v[108:109], v[102:103], v[104:105]
	v_mul_f64 v[104:105], v[100:101], v[104:105]
	s_waitcnt vmcnt(0)
	v_fma_f64 v[100:101], v[100:101], v[106:107], -v[108:109]
	v_fma_f64 v[102:103], v[102:103], v[106:107], v[104:105]
	v_add_f64 v[3:4], v[3:4], v[100:101]
	v_add_f64 v[1:2], v[1:2], v[102:103]
	s_andn2_b32 exec_lo, exec_lo, s5
	s_cbranch_execnz .LBB107_45
; %bb.46:
	s_or_b32 exec_lo, exec_lo, s5
	v_mov_b32_e32 v95, 0
	ds_read_b128 v[95:98], v95 offset:128
	s_waitcnt lgkmcnt(0)
	v_mul_f64 v[100:101], v[1:2], v[97:98]
	v_mul_f64 v[97:98], v[3:4], v[97:98]
	v_fma_f64 v[3:4], v[3:4], v[95:96], -v[100:101]
	v_fma_f64 v[1:2], v[1:2], v[95:96], v[97:98]
	buffer_store_dword v4, off, s[0:3], 0 offset:148
	buffer_store_dword v3, off, s[0:3], 0 offset:144
	;; [unrolled: 1-line block ×4, first 2 shown]
.LBB107_47:
	s_or_b32 exec_lo, exec_lo, s4
	v_mov_b32_e32 v4, s47
	s_waitcnt_vscnt null, 0x0
	s_barrier
	buffer_gl0_inv
	s_mov_b32 s4, exec_lo
	s_clause 0x3
	buffer_load_dword v1, v4, s[0:3], 0 offen
	buffer_load_dword v2, v4, s[0:3], 0 offen offset:4
	buffer_load_dword v3, v4, s[0:3], 0 offen offset:8
	;; [unrolled: 1-line block ×3, first 2 shown]
	s_waitcnt vmcnt(0)
	ds_write_b128 v93, v[1:4]
	s_waitcnt lgkmcnt(0)
	s_barrier
	buffer_gl0_inv
	v_cmpx_gt_u32_e32 9, v0
	s_cbranch_execz .LBB107_51
; %bb.48:
	v_mov_b32_e32 v1, 0
	v_mov_b32_e32 v3, 0
	v_add_nc_u32_e32 v95, -1, v0
	v_add_nc_u32_e32 v96, 0x2c0, v99
	v_mov_b32_e32 v2, 0
	v_mov_b32_e32 v4, 0
	v_add_nc_u32_e32 v97, 16, v99
	s_mov_b32 s5, 0
	.p2align	6
.LBB107_49:                             ; =>This Inner Loop Header: Depth=1
	s_clause 0x3
	buffer_load_dword v104, v97, s[0:3], 0 offen offset:8
	buffer_load_dword v105, v97, s[0:3], 0 offen offset:12
	buffer_load_dword v106, v97, s[0:3], 0 offen
	buffer_load_dword v107, v97, s[0:3], 0 offen offset:4
	ds_read_b128 v[100:103], v96
	v_add_nc_u32_e32 v95, 1, v95
	v_add_nc_u32_e32 v96, 16, v96
	;; [unrolled: 1-line block ×3, first 2 shown]
	v_cmp_lt_u32_e32 vcc_lo, 7, v95
	s_or_b32 s5, vcc_lo, s5
	s_waitcnt vmcnt(2) lgkmcnt(0)
	v_mul_f64 v[108:109], v[102:103], v[104:105]
	v_mul_f64 v[104:105], v[100:101], v[104:105]
	s_waitcnt vmcnt(0)
	v_fma_f64 v[100:101], v[100:101], v[106:107], -v[108:109]
	v_fma_f64 v[102:103], v[102:103], v[106:107], v[104:105]
	v_add_f64 v[3:4], v[3:4], v[100:101]
	v_add_f64 v[1:2], v[1:2], v[102:103]
	s_andn2_b32 exec_lo, exec_lo, s5
	s_cbranch_execnz .LBB107_49
; %bb.50:
	s_or_b32 exec_lo, exec_lo, s5
	v_mov_b32_e32 v95, 0
	ds_read_b128 v[95:98], v95 offset:144
	s_waitcnt lgkmcnt(0)
	v_mul_f64 v[100:101], v[1:2], v[97:98]
	v_mul_f64 v[97:98], v[3:4], v[97:98]
	v_fma_f64 v[3:4], v[3:4], v[95:96], -v[100:101]
	v_fma_f64 v[1:2], v[1:2], v[95:96], v[97:98]
	buffer_store_dword v4, off, s[0:3], 0 offset:164
	buffer_store_dword v3, off, s[0:3], 0 offset:160
	buffer_store_dword v2, off, s[0:3], 0 offset:172
	buffer_store_dword v1, off, s[0:3], 0 offset:168
.LBB107_51:
	s_or_b32 exec_lo, exec_lo, s4
	v_mov_b32_e32 v4, s46
	s_waitcnt_vscnt null, 0x0
	s_barrier
	buffer_gl0_inv
	s_mov_b32 s4, exec_lo
	s_clause 0x3
	buffer_load_dword v1, v4, s[0:3], 0 offen
	buffer_load_dword v2, v4, s[0:3], 0 offen offset:4
	buffer_load_dword v3, v4, s[0:3], 0 offen offset:8
	;; [unrolled: 1-line block ×3, first 2 shown]
	s_waitcnt vmcnt(0)
	ds_write_b128 v93, v[1:4]
	s_waitcnt lgkmcnt(0)
	s_barrier
	buffer_gl0_inv
	v_cmpx_gt_u32_e32 10, v0
	s_cbranch_execz .LBB107_55
; %bb.52:
	v_mov_b32_e32 v1, 0
	v_mov_b32_e32 v3, 0
	v_add_nc_u32_e32 v95, -1, v0
	v_add_nc_u32_e32 v96, 0x2c0, v99
	v_mov_b32_e32 v2, 0
	v_mov_b32_e32 v4, 0
	v_add_nc_u32_e32 v97, 16, v99
	s_mov_b32 s5, 0
	.p2align	6
.LBB107_53:                             ; =>This Inner Loop Header: Depth=1
	s_clause 0x3
	buffer_load_dword v104, v97, s[0:3], 0 offen offset:8
	buffer_load_dword v105, v97, s[0:3], 0 offen offset:12
	buffer_load_dword v106, v97, s[0:3], 0 offen
	buffer_load_dword v107, v97, s[0:3], 0 offen offset:4
	ds_read_b128 v[100:103], v96
	v_add_nc_u32_e32 v95, 1, v95
	v_add_nc_u32_e32 v96, 16, v96
	;; [unrolled: 1-line block ×3, first 2 shown]
	v_cmp_lt_u32_e32 vcc_lo, 8, v95
	s_or_b32 s5, vcc_lo, s5
	s_waitcnt vmcnt(2) lgkmcnt(0)
	v_mul_f64 v[108:109], v[102:103], v[104:105]
	v_mul_f64 v[104:105], v[100:101], v[104:105]
	s_waitcnt vmcnt(0)
	v_fma_f64 v[100:101], v[100:101], v[106:107], -v[108:109]
	v_fma_f64 v[102:103], v[102:103], v[106:107], v[104:105]
	v_add_f64 v[3:4], v[3:4], v[100:101]
	v_add_f64 v[1:2], v[1:2], v[102:103]
	s_andn2_b32 exec_lo, exec_lo, s5
	s_cbranch_execnz .LBB107_53
; %bb.54:
	s_or_b32 exec_lo, exec_lo, s5
	v_mov_b32_e32 v95, 0
	ds_read_b128 v[95:98], v95 offset:160
	s_waitcnt lgkmcnt(0)
	v_mul_f64 v[100:101], v[1:2], v[97:98]
	v_mul_f64 v[97:98], v[3:4], v[97:98]
	v_fma_f64 v[3:4], v[3:4], v[95:96], -v[100:101]
	v_fma_f64 v[1:2], v[1:2], v[95:96], v[97:98]
	buffer_store_dword v4, off, s[0:3], 0 offset:180
	buffer_store_dword v3, off, s[0:3], 0 offset:176
	;; [unrolled: 1-line block ×4, first 2 shown]
.LBB107_55:
	s_or_b32 exec_lo, exec_lo, s4
	v_mov_b32_e32 v4, s45
	s_waitcnt_vscnt null, 0x0
	s_barrier
	buffer_gl0_inv
	s_mov_b32 s4, exec_lo
	s_clause 0x3
	buffer_load_dword v1, v4, s[0:3], 0 offen
	buffer_load_dword v2, v4, s[0:3], 0 offen offset:4
	buffer_load_dword v3, v4, s[0:3], 0 offen offset:8
	;; [unrolled: 1-line block ×3, first 2 shown]
	s_waitcnt vmcnt(0)
	ds_write_b128 v93, v[1:4]
	s_waitcnt lgkmcnt(0)
	s_barrier
	buffer_gl0_inv
	v_cmpx_gt_u32_e32 11, v0
	s_cbranch_execz .LBB107_59
; %bb.56:
	v_mov_b32_e32 v1, 0
	v_mov_b32_e32 v3, 0
	v_add_nc_u32_e32 v95, -1, v0
	v_add_nc_u32_e32 v96, 0x2c0, v99
	v_mov_b32_e32 v2, 0
	v_mov_b32_e32 v4, 0
	v_add_nc_u32_e32 v97, 16, v99
	s_mov_b32 s5, 0
	.p2align	6
.LBB107_57:                             ; =>This Inner Loop Header: Depth=1
	s_clause 0x3
	buffer_load_dword v104, v97, s[0:3], 0 offen offset:8
	buffer_load_dword v105, v97, s[0:3], 0 offen offset:12
	buffer_load_dword v106, v97, s[0:3], 0 offen
	buffer_load_dword v107, v97, s[0:3], 0 offen offset:4
	ds_read_b128 v[100:103], v96
	v_add_nc_u32_e32 v95, 1, v95
	v_add_nc_u32_e32 v96, 16, v96
	;; [unrolled: 1-line block ×3, first 2 shown]
	v_cmp_lt_u32_e32 vcc_lo, 9, v95
	s_or_b32 s5, vcc_lo, s5
	s_waitcnt vmcnt(2) lgkmcnt(0)
	v_mul_f64 v[108:109], v[102:103], v[104:105]
	v_mul_f64 v[104:105], v[100:101], v[104:105]
	s_waitcnt vmcnt(0)
	v_fma_f64 v[100:101], v[100:101], v[106:107], -v[108:109]
	v_fma_f64 v[102:103], v[102:103], v[106:107], v[104:105]
	v_add_f64 v[3:4], v[3:4], v[100:101]
	v_add_f64 v[1:2], v[1:2], v[102:103]
	s_andn2_b32 exec_lo, exec_lo, s5
	s_cbranch_execnz .LBB107_57
; %bb.58:
	s_or_b32 exec_lo, exec_lo, s5
	v_mov_b32_e32 v95, 0
	ds_read_b128 v[95:98], v95 offset:176
	s_waitcnt lgkmcnt(0)
	v_mul_f64 v[100:101], v[1:2], v[97:98]
	v_mul_f64 v[97:98], v[3:4], v[97:98]
	v_fma_f64 v[3:4], v[3:4], v[95:96], -v[100:101]
	v_fma_f64 v[1:2], v[1:2], v[95:96], v[97:98]
	buffer_store_dword v4, off, s[0:3], 0 offset:196
	buffer_store_dword v3, off, s[0:3], 0 offset:192
	;; [unrolled: 1-line block ×4, first 2 shown]
.LBB107_59:
	s_or_b32 exec_lo, exec_lo, s4
	v_mov_b32_e32 v4, s44
	s_waitcnt_vscnt null, 0x0
	s_barrier
	buffer_gl0_inv
	s_mov_b32 s4, exec_lo
	s_clause 0x3
	buffer_load_dword v1, v4, s[0:3], 0 offen
	buffer_load_dword v2, v4, s[0:3], 0 offen offset:4
	buffer_load_dword v3, v4, s[0:3], 0 offen offset:8
	;; [unrolled: 1-line block ×3, first 2 shown]
	s_waitcnt vmcnt(0)
	ds_write_b128 v93, v[1:4]
	s_waitcnt lgkmcnt(0)
	s_barrier
	buffer_gl0_inv
	v_cmpx_gt_u32_e32 12, v0
	s_cbranch_execz .LBB107_63
; %bb.60:
	v_mov_b32_e32 v1, 0
	v_mov_b32_e32 v3, 0
	v_add_nc_u32_e32 v95, -1, v0
	v_add_nc_u32_e32 v96, 0x2c0, v99
	v_mov_b32_e32 v2, 0
	v_mov_b32_e32 v4, 0
	v_add_nc_u32_e32 v97, 16, v99
	s_mov_b32 s5, 0
	.p2align	6
.LBB107_61:                             ; =>This Inner Loop Header: Depth=1
	s_clause 0x3
	buffer_load_dword v104, v97, s[0:3], 0 offen offset:8
	buffer_load_dword v105, v97, s[0:3], 0 offen offset:12
	buffer_load_dword v106, v97, s[0:3], 0 offen
	buffer_load_dword v107, v97, s[0:3], 0 offen offset:4
	ds_read_b128 v[100:103], v96
	v_add_nc_u32_e32 v95, 1, v95
	v_add_nc_u32_e32 v96, 16, v96
	;; [unrolled: 1-line block ×3, first 2 shown]
	v_cmp_lt_u32_e32 vcc_lo, 10, v95
	s_or_b32 s5, vcc_lo, s5
	s_waitcnt vmcnt(2) lgkmcnt(0)
	v_mul_f64 v[108:109], v[102:103], v[104:105]
	v_mul_f64 v[104:105], v[100:101], v[104:105]
	s_waitcnt vmcnt(0)
	v_fma_f64 v[100:101], v[100:101], v[106:107], -v[108:109]
	v_fma_f64 v[102:103], v[102:103], v[106:107], v[104:105]
	v_add_f64 v[3:4], v[3:4], v[100:101]
	v_add_f64 v[1:2], v[1:2], v[102:103]
	s_andn2_b32 exec_lo, exec_lo, s5
	s_cbranch_execnz .LBB107_61
; %bb.62:
	s_or_b32 exec_lo, exec_lo, s5
	v_mov_b32_e32 v95, 0
	ds_read_b128 v[95:98], v95 offset:192
	s_waitcnt lgkmcnt(0)
	v_mul_f64 v[100:101], v[1:2], v[97:98]
	v_mul_f64 v[97:98], v[3:4], v[97:98]
	v_fma_f64 v[3:4], v[3:4], v[95:96], -v[100:101]
	v_fma_f64 v[1:2], v[1:2], v[95:96], v[97:98]
	buffer_store_dword v4, off, s[0:3], 0 offset:212
	buffer_store_dword v3, off, s[0:3], 0 offset:208
	;; [unrolled: 1-line block ×4, first 2 shown]
.LBB107_63:
	s_or_b32 exec_lo, exec_lo, s4
	v_mov_b32_e32 v4, s43
	s_waitcnt_vscnt null, 0x0
	s_barrier
	buffer_gl0_inv
	s_mov_b32 s4, exec_lo
	s_clause 0x3
	buffer_load_dword v1, v4, s[0:3], 0 offen
	buffer_load_dword v2, v4, s[0:3], 0 offen offset:4
	buffer_load_dword v3, v4, s[0:3], 0 offen offset:8
	;; [unrolled: 1-line block ×3, first 2 shown]
	s_waitcnt vmcnt(0)
	ds_write_b128 v93, v[1:4]
	s_waitcnt lgkmcnt(0)
	s_barrier
	buffer_gl0_inv
	v_cmpx_gt_u32_e32 13, v0
	s_cbranch_execz .LBB107_67
; %bb.64:
	v_mov_b32_e32 v1, 0
	v_mov_b32_e32 v3, 0
	v_add_nc_u32_e32 v95, -1, v0
	v_add_nc_u32_e32 v96, 0x2c0, v99
	v_mov_b32_e32 v2, 0
	v_mov_b32_e32 v4, 0
	v_add_nc_u32_e32 v97, 16, v99
	s_mov_b32 s5, 0
	.p2align	6
.LBB107_65:                             ; =>This Inner Loop Header: Depth=1
	s_clause 0x3
	buffer_load_dword v104, v97, s[0:3], 0 offen offset:8
	buffer_load_dword v105, v97, s[0:3], 0 offen offset:12
	buffer_load_dword v106, v97, s[0:3], 0 offen
	buffer_load_dword v107, v97, s[0:3], 0 offen offset:4
	ds_read_b128 v[100:103], v96
	v_add_nc_u32_e32 v95, 1, v95
	v_add_nc_u32_e32 v96, 16, v96
	;; [unrolled: 1-line block ×3, first 2 shown]
	v_cmp_lt_u32_e32 vcc_lo, 11, v95
	s_or_b32 s5, vcc_lo, s5
	s_waitcnt vmcnt(2) lgkmcnt(0)
	v_mul_f64 v[108:109], v[102:103], v[104:105]
	v_mul_f64 v[104:105], v[100:101], v[104:105]
	s_waitcnt vmcnt(0)
	v_fma_f64 v[100:101], v[100:101], v[106:107], -v[108:109]
	v_fma_f64 v[102:103], v[102:103], v[106:107], v[104:105]
	v_add_f64 v[3:4], v[3:4], v[100:101]
	v_add_f64 v[1:2], v[1:2], v[102:103]
	s_andn2_b32 exec_lo, exec_lo, s5
	s_cbranch_execnz .LBB107_65
; %bb.66:
	s_or_b32 exec_lo, exec_lo, s5
	v_mov_b32_e32 v95, 0
	ds_read_b128 v[95:98], v95 offset:208
	s_waitcnt lgkmcnt(0)
	v_mul_f64 v[100:101], v[1:2], v[97:98]
	v_mul_f64 v[97:98], v[3:4], v[97:98]
	v_fma_f64 v[3:4], v[3:4], v[95:96], -v[100:101]
	v_fma_f64 v[1:2], v[1:2], v[95:96], v[97:98]
	buffer_store_dword v4, off, s[0:3], 0 offset:228
	buffer_store_dword v3, off, s[0:3], 0 offset:224
	;; [unrolled: 1-line block ×4, first 2 shown]
.LBB107_67:
	s_or_b32 exec_lo, exec_lo, s4
	v_mov_b32_e32 v4, s42
	s_waitcnt_vscnt null, 0x0
	s_barrier
	buffer_gl0_inv
	s_mov_b32 s4, exec_lo
	s_clause 0x3
	buffer_load_dword v1, v4, s[0:3], 0 offen
	buffer_load_dword v2, v4, s[0:3], 0 offen offset:4
	buffer_load_dword v3, v4, s[0:3], 0 offen offset:8
	;; [unrolled: 1-line block ×3, first 2 shown]
	s_waitcnt vmcnt(0)
	ds_write_b128 v93, v[1:4]
	s_waitcnt lgkmcnt(0)
	s_barrier
	buffer_gl0_inv
	v_cmpx_gt_u32_e32 14, v0
	s_cbranch_execz .LBB107_71
; %bb.68:
	v_mov_b32_e32 v1, 0
	v_mov_b32_e32 v3, 0
	v_add_nc_u32_e32 v95, -1, v0
	v_add_nc_u32_e32 v96, 0x2c0, v99
	v_mov_b32_e32 v2, 0
	v_mov_b32_e32 v4, 0
	v_add_nc_u32_e32 v97, 16, v99
	s_mov_b32 s5, 0
	.p2align	6
.LBB107_69:                             ; =>This Inner Loop Header: Depth=1
	s_clause 0x3
	buffer_load_dword v104, v97, s[0:3], 0 offen offset:8
	buffer_load_dword v105, v97, s[0:3], 0 offen offset:12
	buffer_load_dword v106, v97, s[0:3], 0 offen
	buffer_load_dword v107, v97, s[0:3], 0 offen offset:4
	ds_read_b128 v[100:103], v96
	v_add_nc_u32_e32 v95, 1, v95
	v_add_nc_u32_e32 v96, 16, v96
	;; [unrolled: 1-line block ×3, first 2 shown]
	v_cmp_lt_u32_e32 vcc_lo, 12, v95
	s_or_b32 s5, vcc_lo, s5
	s_waitcnt vmcnt(2) lgkmcnt(0)
	v_mul_f64 v[108:109], v[102:103], v[104:105]
	v_mul_f64 v[104:105], v[100:101], v[104:105]
	s_waitcnt vmcnt(0)
	v_fma_f64 v[100:101], v[100:101], v[106:107], -v[108:109]
	v_fma_f64 v[102:103], v[102:103], v[106:107], v[104:105]
	v_add_f64 v[3:4], v[3:4], v[100:101]
	v_add_f64 v[1:2], v[1:2], v[102:103]
	s_andn2_b32 exec_lo, exec_lo, s5
	s_cbranch_execnz .LBB107_69
; %bb.70:
	s_or_b32 exec_lo, exec_lo, s5
	v_mov_b32_e32 v95, 0
	ds_read_b128 v[95:98], v95 offset:224
	s_waitcnt lgkmcnt(0)
	v_mul_f64 v[100:101], v[1:2], v[97:98]
	v_mul_f64 v[97:98], v[3:4], v[97:98]
	v_fma_f64 v[3:4], v[3:4], v[95:96], -v[100:101]
	v_fma_f64 v[1:2], v[1:2], v[95:96], v[97:98]
	buffer_store_dword v4, off, s[0:3], 0 offset:244
	buffer_store_dword v3, off, s[0:3], 0 offset:240
	;; [unrolled: 1-line block ×4, first 2 shown]
.LBB107_71:
	s_or_b32 exec_lo, exec_lo, s4
	v_mov_b32_e32 v4, s41
	s_waitcnt_vscnt null, 0x0
	s_barrier
	buffer_gl0_inv
	s_mov_b32 s4, exec_lo
	s_clause 0x3
	buffer_load_dword v1, v4, s[0:3], 0 offen
	buffer_load_dword v2, v4, s[0:3], 0 offen offset:4
	buffer_load_dword v3, v4, s[0:3], 0 offen offset:8
	;; [unrolled: 1-line block ×3, first 2 shown]
	s_waitcnt vmcnt(0)
	ds_write_b128 v93, v[1:4]
	s_waitcnt lgkmcnt(0)
	s_barrier
	buffer_gl0_inv
	v_cmpx_gt_u32_e32 15, v0
	s_cbranch_execz .LBB107_75
; %bb.72:
	v_mov_b32_e32 v1, 0
	v_mov_b32_e32 v3, 0
	v_add_nc_u32_e32 v95, -1, v0
	v_add_nc_u32_e32 v96, 0x2c0, v99
	v_mov_b32_e32 v2, 0
	v_mov_b32_e32 v4, 0
	v_add_nc_u32_e32 v97, 16, v99
	s_mov_b32 s5, 0
	.p2align	6
.LBB107_73:                             ; =>This Inner Loop Header: Depth=1
	s_clause 0x3
	buffer_load_dword v104, v97, s[0:3], 0 offen offset:8
	buffer_load_dword v105, v97, s[0:3], 0 offen offset:12
	buffer_load_dword v106, v97, s[0:3], 0 offen
	buffer_load_dword v107, v97, s[0:3], 0 offen offset:4
	ds_read_b128 v[100:103], v96
	v_add_nc_u32_e32 v95, 1, v95
	v_add_nc_u32_e32 v96, 16, v96
	;; [unrolled: 1-line block ×3, first 2 shown]
	v_cmp_lt_u32_e32 vcc_lo, 13, v95
	s_or_b32 s5, vcc_lo, s5
	s_waitcnt vmcnt(2) lgkmcnt(0)
	v_mul_f64 v[108:109], v[102:103], v[104:105]
	v_mul_f64 v[104:105], v[100:101], v[104:105]
	s_waitcnt vmcnt(0)
	v_fma_f64 v[100:101], v[100:101], v[106:107], -v[108:109]
	v_fma_f64 v[102:103], v[102:103], v[106:107], v[104:105]
	v_add_f64 v[3:4], v[3:4], v[100:101]
	v_add_f64 v[1:2], v[1:2], v[102:103]
	s_andn2_b32 exec_lo, exec_lo, s5
	s_cbranch_execnz .LBB107_73
; %bb.74:
	s_or_b32 exec_lo, exec_lo, s5
	v_mov_b32_e32 v95, 0
	ds_read_b128 v[95:98], v95 offset:240
	s_waitcnt lgkmcnt(0)
	v_mul_f64 v[100:101], v[1:2], v[97:98]
	v_mul_f64 v[97:98], v[3:4], v[97:98]
	v_fma_f64 v[3:4], v[3:4], v[95:96], -v[100:101]
	v_fma_f64 v[1:2], v[1:2], v[95:96], v[97:98]
	buffer_store_dword v4, off, s[0:3], 0 offset:260
	buffer_store_dword v3, off, s[0:3], 0 offset:256
	buffer_store_dword v2, off, s[0:3], 0 offset:268
	buffer_store_dword v1, off, s[0:3], 0 offset:264
.LBB107_75:
	s_or_b32 exec_lo, exec_lo, s4
	v_mov_b32_e32 v4, s40
	s_waitcnt_vscnt null, 0x0
	s_barrier
	buffer_gl0_inv
	s_mov_b32 s4, exec_lo
	s_clause 0x3
	buffer_load_dword v1, v4, s[0:3], 0 offen
	buffer_load_dword v2, v4, s[0:3], 0 offen offset:4
	buffer_load_dword v3, v4, s[0:3], 0 offen offset:8
	;; [unrolled: 1-line block ×3, first 2 shown]
	s_waitcnt vmcnt(0)
	ds_write_b128 v93, v[1:4]
	s_waitcnt lgkmcnt(0)
	s_barrier
	buffer_gl0_inv
	v_cmpx_gt_u32_e32 16, v0
	s_cbranch_execz .LBB107_79
; %bb.76:
	v_mov_b32_e32 v1, 0
	v_mov_b32_e32 v3, 0
	v_add_nc_u32_e32 v95, -1, v0
	v_add_nc_u32_e32 v96, 0x2c0, v99
	v_mov_b32_e32 v2, 0
	v_mov_b32_e32 v4, 0
	v_add_nc_u32_e32 v97, 16, v99
	s_mov_b32 s5, 0
	.p2align	6
.LBB107_77:                             ; =>This Inner Loop Header: Depth=1
	s_clause 0x3
	buffer_load_dword v104, v97, s[0:3], 0 offen offset:8
	buffer_load_dword v105, v97, s[0:3], 0 offen offset:12
	buffer_load_dword v106, v97, s[0:3], 0 offen
	buffer_load_dword v107, v97, s[0:3], 0 offen offset:4
	ds_read_b128 v[100:103], v96
	v_add_nc_u32_e32 v95, 1, v95
	v_add_nc_u32_e32 v96, 16, v96
	;; [unrolled: 1-line block ×3, first 2 shown]
	v_cmp_lt_u32_e32 vcc_lo, 14, v95
	s_or_b32 s5, vcc_lo, s5
	s_waitcnt vmcnt(2) lgkmcnt(0)
	v_mul_f64 v[108:109], v[102:103], v[104:105]
	v_mul_f64 v[104:105], v[100:101], v[104:105]
	s_waitcnt vmcnt(0)
	v_fma_f64 v[100:101], v[100:101], v[106:107], -v[108:109]
	v_fma_f64 v[102:103], v[102:103], v[106:107], v[104:105]
	v_add_f64 v[3:4], v[3:4], v[100:101]
	v_add_f64 v[1:2], v[1:2], v[102:103]
	s_andn2_b32 exec_lo, exec_lo, s5
	s_cbranch_execnz .LBB107_77
; %bb.78:
	s_or_b32 exec_lo, exec_lo, s5
	v_mov_b32_e32 v95, 0
	ds_read_b128 v[95:98], v95 offset:256
	s_waitcnt lgkmcnt(0)
	v_mul_f64 v[100:101], v[1:2], v[97:98]
	v_mul_f64 v[97:98], v[3:4], v[97:98]
	v_fma_f64 v[3:4], v[3:4], v[95:96], -v[100:101]
	v_fma_f64 v[1:2], v[1:2], v[95:96], v[97:98]
	buffer_store_dword v4, off, s[0:3], 0 offset:276
	buffer_store_dword v3, off, s[0:3], 0 offset:272
	;; [unrolled: 1-line block ×4, first 2 shown]
.LBB107_79:
	s_or_b32 exec_lo, exec_lo, s4
	v_mov_b32_e32 v4, s39
	s_waitcnt_vscnt null, 0x0
	s_barrier
	buffer_gl0_inv
	s_mov_b32 s4, exec_lo
	s_clause 0x3
	buffer_load_dword v1, v4, s[0:3], 0 offen
	buffer_load_dword v2, v4, s[0:3], 0 offen offset:4
	buffer_load_dword v3, v4, s[0:3], 0 offen offset:8
	buffer_load_dword v4, v4, s[0:3], 0 offen offset:12
	s_waitcnt vmcnt(0)
	ds_write_b128 v93, v[1:4]
	s_waitcnt lgkmcnt(0)
	s_barrier
	buffer_gl0_inv
	v_cmpx_gt_u32_e32 17, v0
	s_cbranch_execz .LBB107_83
; %bb.80:
	v_mov_b32_e32 v1, 0
	v_mov_b32_e32 v3, 0
	v_add_nc_u32_e32 v95, -1, v0
	v_add_nc_u32_e32 v96, 0x2c0, v99
	v_mov_b32_e32 v2, 0
	v_mov_b32_e32 v4, 0
	v_add_nc_u32_e32 v97, 16, v99
	s_mov_b32 s5, 0
	.p2align	6
.LBB107_81:                             ; =>This Inner Loop Header: Depth=1
	s_clause 0x3
	buffer_load_dword v104, v97, s[0:3], 0 offen offset:8
	buffer_load_dword v105, v97, s[0:3], 0 offen offset:12
	buffer_load_dword v106, v97, s[0:3], 0 offen
	buffer_load_dword v107, v97, s[0:3], 0 offen offset:4
	ds_read_b128 v[100:103], v96
	v_add_nc_u32_e32 v95, 1, v95
	v_add_nc_u32_e32 v96, 16, v96
	;; [unrolled: 1-line block ×3, first 2 shown]
	v_cmp_lt_u32_e32 vcc_lo, 15, v95
	s_or_b32 s5, vcc_lo, s5
	s_waitcnt vmcnt(2) lgkmcnt(0)
	v_mul_f64 v[108:109], v[102:103], v[104:105]
	v_mul_f64 v[104:105], v[100:101], v[104:105]
	s_waitcnt vmcnt(0)
	v_fma_f64 v[100:101], v[100:101], v[106:107], -v[108:109]
	v_fma_f64 v[102:103], v[102:103], v[106:107], v[104:105]
	v_add_f64 v[3:4], v[3:4], v[100:101]
	v_add_f64 v[1:2], v[1:2], v[102:103]
	s_andn2_b32 exec_lo, exec_lo, s5
	s_cbranch_execnz .LBB107_81
; %bb.82:
	s_or_b32 exec_lo, exec_lo, s5
	v_mov_b32_e32 v95, 0
	ds_read_b128 v[95:98], v95 offset:272
	s_waitcnt lgkmcnt(0)
	v_mul_f64 v[100:101], v[1:2], v[97:98]
	v_mul_f64 v[97:98], v[3:4], v[97:98]
	v_fma_f64 v[3:4], v[3:4], v[95:96], -v[100:101]
	v_fma_f64 v[1:2], v[1:2], v[95:96], v[97:98]
	buffer_store_dword v4, off, s[0:3], 0 offset:292
	buffer_store_dword v3, off, s[0:3], 0 offset:288
	;; [unrolled: 1-line block ×4, first 2 shown]
.LBB107_83:
	s_or_b32 exec_lo, exec_lo, s4
	v_mov_b32_e32 v4, s38
	s_waitcnt_vscnt null, 0x0
	s_barrier
	buffer_gl0_inv
	s_mov_b32 s4, exec_lo
	s_clause 0x3
	buffer_load_dword v1, v4, s[0:3], 0 offen
	buffer_load_dword v2, v4, s[0:3], 0 offen offset:4
	buffer_load_dword v3, v4, s[0:3], 0 offen offset:8
	;; [unrolled: 1-line block ×3, first 2 shown]
	s_waitcnt vmcnt(0)
	ds_write_b128 v93, v[1:4]
	s_waitcnt lgkmcnt(0)
	s_barrier
	buffer_gl0_inv
	v_cmpx_gt_u32_e32 18, v0
	s_cbranch_execz .LBB107_87
; %bb.84:
	v_mov_b32_e32 v1, 0
	v_mov_b32_e32 v3, 0
	v_add_nc_u32_e32 v95, -1, v0
	v_add_nc_u32_e32 v96, 0x2c0, v99
	v_mov_b32_e32 v2, 0
	v_mov_b32_e32 v4, 0
	v_add_nc_u32_e32 v97, 16, v99
	s_mov_b32 s5, 0
	.p2align	6
.LBB107_85:                             ; =>This Inner Loop Header: Depth=1
	s_clause 0x3
	buffer_load_dword v104, v97, s[0:3], 0 offen offset:8
	buffer_load_dword v105, v97, s[0:3], 0 offen offset:12
	buffer_load_dword v106, v97, s[0:3], 0 offen
	buffer_load_dword v107, v97, s[0:3], 0 offen offset:4
	ds_read_b128 v[100:103], v96
	v_add_nc_u32_e32 v95, 1, v95
	v_add_nc_u32_e32 v96, 16, v96
	;; [unrolled: 1-line block ×3, first 2 shown]
	v_cmp_lt_u32_e32 vcc_lo, 16, v95
	s_or_b32 s5, vcc_lo, s5
	s_waitcnt vmcnt(2) lgkmcnt(0)
	v_mul_f64 v[108:109], v[102:103], v[104:105]
	v_mul_f64 v[104:105], v[100:101], v[104:105]
	s_waitcnt vmcnt(0)
	v_fma_f64 v[100:101], v[100:101], v[106:107], -v[108:109]
	v_fma_f64 v[102:103], v[102:103], v[106:107], v[104:105]
	v_add_f64 v[3:4], v[3:4], v[100:101]
	v_add_f64 v[1:2], v[1:2], v[102:103]
	s_andn2_b32 exec_lo, exec_lo, s5
	s_cbranch_execnz .LBB107_85
; %bb.86:
	s_or_b32 exec_lo, exec_lo, s5
	v_mov_b32_e32 v95, 0
	ds_read_b128 v[95:98], v95 offset:288
	s_waitcnt lgkmcnt(0)
	v_mul_f64 v[100:101], v[1:2], v[97:98]
	v_mul_f64 v[97:98], v[3:4], v[97:98]
	v_fma_f64 v[3:4], v[3:4], v[95:96], -v[100:101]
	v_fma_f64 v[1:2], v[1:2], v[95:96], v[97:98]
	buffer_store_dword v4, off, s[0:3], 0 offset:308
	buffer_store_dword v3, off, s[0:3], 0 offset:304
	;; [unrolled: 1-line block ×4, first 2 shown]
.LBB107_87:
	s_or_b32 exec_lo, exec_lo, s4
	v_mov_b32_e32 v4, s37
	s_waitcnt_vscnt null, 0x0
	s_barrier
	buffer_gl0_inv
	s_mov_b32 s4, exec_lo
	s_clause 0x3
	buffer_load_dword v1, v4, s[0:3], 0 offen
	buffer_load_dword v2, v4, s[0:3], 0 offen offset:4
	buffer_load_dword v3, v4, s[0:3], 0 offen offset:8
	;; [unrolled: 1-line block ×3, first 2 shown]
	s_waitcnt vmcnt(0)
	ds_write_b128 v93, v[1:4]
	s_waitcnt lgkmcnt(0)
	s_barrier
	buffer_gl0_inv
	v_cmpx_gt_u32_e32 19, v0
	s_cbranch_execz .LBB107_91
; %bb.88:
	v_mov_b32_e32 v1, 0
	v_mov_b32_e32 v3, 0
	v_add_nc_u32_e32 v95, -1, v0
	v_add_nc_u32_e32 v96, 0x2c0, v99
	v_mov_b32_e32 v2, 0
	v_mov_b32_e32 v4, 0
	v_add_nc_u32_e32 v97, 16, v99
	s_mov_b32 s5, 0
	.p2align	6
.LBB107_89:                             ; =>This Inner Loop Header: Depth=1
	s_clause 0x3
	buffer_load_dword v104, v97, s[0:3], 0 offen offset:8
	buffer_load_dword v105, v97, s[0:3], 0 offen offset:12
	buffer_load_dword v106, v97, s[0:3], 0 offen
	buffer_load_dword v107, v97, s[0:3], 0 offen offset:4
	ds_read_b128 v[100:103], v96
	v_add_nc_u32_e32 v95, 1, v95
	v_add_nc_u32_e32 v96, 16, v96
	;; [unrolled: 1-line block ×3, first 2 shown]
	v_cmp_lt_u32_e32 vcc_lo, 17, v95
	s_or_b32 s5, vcc_lo, s5
	s_waitcnt vmcnt(2) lgkmcnt(0)
	v_mul_f64 v[108:109], v[102:103], v[104:105]
	v_mul_f64 v[104:105], v[100:101], v[104:105]
	s_waitcnt vmcnt(0)
	v_fma_f64 v[100:101], v[100:101], v[106:107], -v[108:109]
	v_fma_f64 v[102:103], v[102:103], v[106:107], v[104:105]
	v_add_f64 v[3:4], v[3:4], v[100:101]
	v_add_f64 v[1:2], v[1:2], v[102:103]
	s_andn2_b32 exec_lo, exec_lo, s5
	s_cbranch_execnz .LBB107_89
; %bb.90:
	s_or_b32 exec_lo, exec_lo, s5
	v_mov_b32_e32 v95, 0
	ds_read_b128 v[95:98], v95 offset:304
	s_waitcnt lgkmcnt(0)
	v_mul_f64 v[100:101], v[1:2], v[97:98]
	v_mul_f64 v[97:98], v[3:4], v[97:98]
	v_fma_f64 v[3:4], v[3:4], v[95:96], -v[100:101]
	v_fma_f64 v[1:2], v[1:2], v[95:96], v[97:98]
	buffer_store_dword v4, off, s[0:3], 0 offset:324
	buffer_store_dword v3, off, s[0:3], 0 offset:320
	;; [unrolled: 1-line block ×4, first 2 shown]
.LBB107_91:
	s_or_b32 exec_lo, exec_lo, s4
	v_mov_b32_e32 v4, s36
	s_waitcnt_vscnt null, 0x0
	s_barrier
	buffer_gl0_inv
	s_mov_b32 s4, exec_lo
	s_clause 0x3
	buffer_load_dword v1, v4, s[0:3], 0 offen
	buffer_load_dword v2, v4, s[0:3], 0 offen offset:4
	buffer_load_dword v3, v4, s[0:3], 0 offen offset:8
	;; [unrolled: 1-line block ×3, first 2 shown]
	s_waitcnt vmcnt(0)
	ds_write_b128 v93, v[1:4]
	s_waitcnt lgkmcnt(0)
	s_barrier
	buffer_gl0_inv
	v_cmpx_gt_u32_e32 20, v0
	s_cbranch_execz .LBB107_95
; %bb.92:
	v_mov_b32_e32 v1, 0
	v_mov_b32_e32 v3, 0
	v_add_nc_u32_e32 v95, -1, v0
	v_add_nc_u32_e32 v96, 0x2c0, v99
	v_mov_b32_e32 v2, 0
	v_mov_b32_e32 v4, 0
	v_add_nc_u32_e32 v97, 16, v99
	s_mov_b32 s5, 0
	.p2align	6
.LBB107_93:                             ; =>This Inner Loop Header: Depth=1
	s_clause 0x3
	buffer_load_dword v104, v97, s[0:3], 0 offen offset:8
	buffer_load_dword v105, v97, s[0:3], 0 offen offset:12
	buffer_load_dword v106, v97, s[0:3], 0 offen
	buffer_load_dword v107, v97, s[0:3], 0 offen offset:4
	ds_read_b128 v[100:103], v96
	v_add_nc_u32_e32 v95, 1, v95
	v_add_nc_u32_e32 v96, 16, v96
	;; [unrolled: 1-line block ×3, first 2 shown]
	v_cmp_lt_u32_e32 vcc_lo, 18, v95
	s_or_b32 s5, vcc_lo, s5
	s_waitcnt vmcnt(2) lgkmcnt(0)
	v_mul_f64 v[108:109], v[102:103], v[104:105]
	v_mul_f64 v[104:105], v[100:101], v[104:105]
	s_waitcnt vmcnt(0)
	v_fma_f64 v[100:101], v[100:101], v[106:107], -v[108:109]
	v_fma_f64 v[102:103], v[102:103], v[106:107], v[104:105]
	v_add_f64 v[3:4], v[3:4], v[100:101]
	v_add_f64 v[1:2], v[1:2], v[102:103]
	s_andn2_b32 exec_lo, exec_lo, s5
	s_cbranch_execnz .LBB107_93
; %bb.94:
	s_or_b32 exec_lo, exec_lo, s5
	v_mov_b32_e32 v95, 0
	ds_read_b128 v[95:98], v95 offset:320
	s_waitcnt lgkmcnt(0)
	v_mul_f64 v[100:101], v[1:2], v[97:98]
	v_mul_f64 v[97:98], v[3:4], v[97:98]
	v_fma_f64 v[3:4], v[3:4], v[95:96], -v[100:101]
	v_fma_f64 v[1:2], v[1:2], v[95:96], v[97:98]
	buffer_store_dword v4, off, s[0:3], 0 offset:340
	buffer_store_dword v3, off, s[0:3], 0 offset:336
	;; [unrolled: 1-line block ×4, first 2 shown]
.LBB107_95:
	s_or_b32 exec_lo, exec_lo, s4
	v_mov_b32_e32 v4, s35
	s_waitcnt_vscnt null, 0x0
	s_barrier
	buffer_gl0_inv
	s_mov_b32 s4, exec_lo
	s_clause 0x3
	buffer_load_dword v1, v4, s[0:3], 0 offen
	buffer_load_dword v2, v4, s[0:3], 0 offen offset:4
	buffer_load_dword v3, v4, s[0:3], 0 offen offset:8
	;; [unrolled: 1-line block ×3, first 2 shown]
	s_waitcnt vmcnt(0)
	ds_write_b128 v93, v[1:4]
	s_waitcnt lgkmcnt(0)
	s_barrier
	buffer_gl0_inv
	v_cmpx_gt_u32_e32 21, v0
	s_cbranch_execz .LBB107_99
; %bb.96:
	v_mov_b32_e32 v1, 0
	v_mov_b32_e32 v3, 0
	v_add_nc_u32_e32 v95, -1, v0
	v_add_nc_u32_e32 v96, 0x2c0, v99
	v_mov_b32_e32 v2, 0
	v_mov_b32_e32 v4, 0
	v_add_nc_u32_e32 v97, 16, v99
	s_mov_b32 s5, 0
	.p2align	6
.LBB107_97:                             ; =>This Inner Loop Header: Depth=1
	s_clause 0x3
	buffer_load_dword v104, v97, s[0:3], 0 offen offset:8
	buffer_load_dword v105, v97, s[0:3], 0 offen offset:12
	buffer_load_dword v106, v97, s[0:3], 0 offen
	buffer_load_dword v107, v97, s[0:3], 0 offen offset:4
	ds_read_b128 v[100:103], v96
	v_add_nc_u32_e32 v95, 1, v95
	v_add_nc_u32_e32 v96, 16, v96
	;; [unrolled: 1-line block ×3, first 2 shown]
	v_cmp_lt_u32_e32 vcc_lo, 19, v95
	s_or_b32 s5, vcc_lo, s5
	s_waitcnt vmcnt(2) lgkmcnt(0)
	v_mul_f64 v[108:109], v[102:103], v[104:105]
	v_mul_f64 v[104:105], v[100:101], v[104:105]
	s_waitcnt vmcnt(0)
	v_fma_f64 v[100:101], v[100:101], v[106:107], -v[108:109]
	v_fma_f64 v[102:103], v[102:103], v[106:107], v[104:105]
	v_add_f64 v[3:4], v[3:4], v[100:101]
	v_add_f64 v[1:2], v[1:2], v[102:103]
	s_andn2_b32 exec_lo, exec_lo, s5
	s_cbranch_execnz .LBB107_97
; %bb.98:
	s_or_b32 exec_lo, exec_lo, s5
	v_mov_b32_e32 v95, 0
	ds_read_b128 v[95:98], v95 offset:336
	s_waitcnt lgkmcnt(0)
	v_mul_f64 v[100:101], v[1:2], v[97:98]
	v_mul_f64 v[97:98], v[3:4], v[97:98]
	v_fma_f64 v[3:4], v[3:4], v[95:96], -v[100:101]
	v_fma_f64 v[1:2], v[1:2], v[95:96], v[97:98]
	buffer_store_dword v4, off, s[0:3], 0 offset:356
	buffer_store_dword v3, off, s[0:3], 0 offset:352
	;; [unrolled: 1-line block ×4, first 2 shown]
.LBB107_99:
	s_or_b32 exec_lo, exec_lo, s4
	v_mov_b32_e32 v4, s34
	s_waitcnt_vscnt null, 0x0
	s_barrier
	buffer_gl0_inv
	s_mov_b32 s4, exec_lo
	s_clause 0x3
	buffer_load_dword v1, v4, s[0:3], 0 offen
	buffer_load_dword v2, v4, s[0:3], 0 offen offset:4
	buffer_load_dword v3, v4, s[0:3], 0 offen offset:8
	;; [unrolled: 1-line block ×3, first 2 shown]
	s_waitcnt vmcnt(0)
	ds_write_b128 v93, v[1:4]
	s_waitcnt lgkmcnt(0)
	s_barrier
	buffer_gl0_inv
	v_cmpx_gt_u32_e32 22, v0
	s_cbranch_execz .LBB107_103
; %bb.100:
	v_mov_b32_e32 v1, 0
	v_mov_b32_e32 v3, 0
	v_add_nc_u32_e32 v95, -1, v0
	v_add_nc_u32_e32 v96, 0x2c0, v99
	v_mov_b32_e32 v2, 0
	v_mov_b32_e32 v4, 0
	v_add_nc_u32_e32 v97, 16, v99
	s_mov_b32 s5, 0
	.p2align	6
.LBB107_101:                            ; =>This Inner Loop Header: Depth=1
	s_clause 0x3
	buffer_load_dword v104, v97, s[0:3], 0 offen offset:8
	buffer_load_dword v105, v97, s[0:3], 0 offen offset:12
	buffer_load_dword v106, v97, s[0:3], 0 offen
	buffer_load_dword v107, v97, s[0:3], 0 offen offset:4
	ds_read_b128 v[100:103], v96
	v_add_nc_u32_e32 v95, 1, v95
	v_add_nc_u32_e32 v96, 16, v96
	;; [unrolled: 1-line block ×3, first 2 shown]
	v_cmp_lt_u32_e32 vcc_lo, 20, v95
	s_or_b32 s5, vcc_lo, s5
	s_waitcnt vmcnt(2) lgkmcnt(0)
	v_mul_f64 v[108:109], v[102:103], v[104:105]
	v_mul_f64 v[104:105], v[100:101], v[104:105]
	s_waitcnt vmcnt(0)
	v_fma_f64 v[100:101], v[100:101], v[106:107], -v[108:109]
	v_fma_f64 v[102:103], v[102:103], v[106:107], v[104:105]
	v_add_f64 v[3:4], v[3:4], v[100:101]
	v_add_f64 v[1:2], v[1:2], v[102:103]
	s_andn2_b32 exec_lo, exec_lo, s5
	s_cbranch_execnz .LBB107_101
; %bb.102:
	s_or_b32 exec_lo, exec_lo, s5
	v_mov_b32_e32 v95, 0
	ds_read_b128 v[95:98], v95 offset:352
	s_waitcnt lgkmcnt(0)
	v_mul_f64 v[100:101], v[1:2], v[97:98]
	v_mul_f64 v[97:98], v[3:4], v[97:98]
	v_fma_f64 v[3:4], v[3:4], v[95:96], -v[100:101]
	v_fma_f64 v[1:2], v[1:2], v[95:96], v[97:98]
	buffer_store_dword v4, off, s[0:3], 0 offset:372
	buffer_store_dword v3, off, s[0:3], 0 offset:368
	;; [unrolled: 1-line block ×4, first 2 shown]
.LBB107_103:
	s_or_b32 exec_lo, exec_lo, s4
	v_mov_b32_e32 v4, s33
	s_waitcnt_vscnt null, 0x0
	s_barrier
	buffer_gl0_inv
	s_mov_b32 s4, exec_lo
	s_clause 0x3
	buffer_load_dword v1, v4, s[0:3], 0 offen
	buffer_load_dword v2, v4, s[0:3], 0 offen offset:4
	buffer_load_dword v3, v4, s[0:3], 0 offen offset:8
	;; [unrolled: 1-line block ×3, first 2 shown]
	s_waitcnt vmcnt(0)
	ds_write_b128 v93, v[1:4]
	s_waitcnt lgkmcnt(0)
	s_barrier
	buffer_gl0_inv
	v_cmpx_gt_u32_e32 23, v0
	s_cbranch_execz .LBB107_107
; %bb.104:
	v_mov_b32_e32 v1, 0
	v_mov_b32_e32 v3, 0
	v_add_nc_u32_e32 v95, -1, v0
	v_add_nc_u32_e32 v96, 0x2c0, v99
	v_mov_b32_e32 v2, 0
	v_mov_b32_e32 v4, 0
	v_add_nc_u32_e32 v97, 16, v99
	s_mov_b32 s5, 0
	.p2align	6
.LBB107_105:                            ; =>This Inner Loop Header: Depth=1
	s_clause 0x3
	buffer_load_dword v104, v97, s[0:3], 0 offen offset:8
	buffer_load_dword v105, v97, s[0:3], 0 offen offset:12
	buffer_load_dword v106, v97, s[0:3], 0 offen
	buffer_load_dword v107, v97, s[0:3], 0 offen offset:4
	ds_read_b128 v[100:103], v96
	v_add_nc_u32_e32 v95, 1, v95
	v_add_nc_u32_e32 v96, 16, v96
	;; [unrolled: 1-line block ×3, first 2 shown]
	v_cmp_lt_u32_e32 vcc_lo, 21, v95
	s_or_b32 s5, vcc_lo, s5
	s_waitcnt vmcnt(2) lgkmcnt(0)
	v_mul_f64 v[108:109], v[102:103], v[104:105]
	v_mul_f64 v[104:105], v[100:101], v[104:105]
	s_waitcnt vmcnt(0)
	v_fma_f64 v[100:101], v[100:101], v[106:107], -v[108:109]
	v_fma_f64 v[102:103], v[102:103], v[106:107], v[104:105]
	v_add_f64 v[3:4], v[3:4], v[100:101]
	v_add_f64 v[1:2], v[1:2], v[102:103]
	s_andn2_b32 exec_lo, exec_lo, s5
	s_cbranch_execnz .LBB107_105
; %bb.106:
	s_or_b32 exec_lo, exec_lo, s5
	v_mov_b32_e32 v95, 0
	ds_read_b128 v[95:98], v95 offset:368
	s_waitcnt lgkmcnt(0)
	v_mul_f64 v[100:101], v[1:2], v[97:98]
	v_mul_f64 v[97:98], v[3:4], v[97:98]
	v_fma_f64 v[3:4], v[3:4], v[95:96], -v[100:101]
	v_fma_f64 v[1:2], v[1:2], v[95:96], v[97:98]
	buffer_store_dword v4, off, s[0:3], 0 offset:388
	buffer_store_dword v3, off, s[0:3], 0 offset:384
	;; [unrolled: 1-line block ×4, first 2 shown]
.LBB107_107:
	s_or_b32 exec_lo, exec_lo, s4
	v_mov_b32_e32 v4, s31
	s_waitcnt_vscnt null, 0x0
	s_barrier
	buffer_gl0_inv
	s_mov_b32 s4, exec_lo
	s_clause 0x3
	buffer_load_dword v1, v4, s[0:3], 0 offen
	buffer_load_dword v2, v4, s[0:3], 0 offen offset:4
	buffer_load_dword v3, v4, s[0:3], 0 offen offset:8
	;; [unrolled: 1-line block ×3, first 2 shown]
	s_waitcnt vmcnt(0)
	ds_write_b128 v93, v[1:4]
	s_waitcnt lgkmcnt(0)
	s_barrier
	buffer_gl0_inv
	v_cmpx_gt_u32_e32 24, v0
	s_cbranch_execz .LBB107_111
; %bb.108:
	v_mov_b32_e32 v1, 0
	v_mov_b32_e32 v3, 0
	v_add_nc_u32_e32 v95, -1, v0
	v_add_nc_u32_e32 v96, 0x2c0, v99
	v_mov_b32_e32 v2, 0
	v_mov_b32_e32 v4, 0
	v_add_nc_u32_e32 v97, 16, v99
	s_mov_b32 s5, 0
	.p2align	6
.LBB107_109:                            ; =>This Inner Loop Header: Depth=1
	s_clause 0x3
	buffer_load_dword v104, v97, s[0:3], 0 offen offset:8
	buffer_load_dword v105, v97, s[0:3], 0 offen offset:12
	buffer_load_dword v106, v97, s[0:3], 0 offen
	buffer_load_dword v107, v97, s[0:3], 0 offen offset:4
	ds_read_b128 v[100:103], v96
	v_add_nc_u32_e32 v95, 1, v95
	v_add_nc_u32_e32 v96, 16, v96
	;; [unrolled: 1-line block ×3, first 2 shown]
	v_cmp_lt_u32_e32 vcc_lo, 22, v95
	s_or_b32 s5, vcc_lo, s5
	s_waitcnt vmcnt(2) lgkmcnt(0)
	v_mul_f64 v[108:109], v[102:103], v[104:105]
	v_mul_f64 v[104:105], v[100:101], v[104:105]
	s_waitcnt vmcnt(0)
	v_fma_f64 v[100:101], v[100:101], v[106:107], -v[108:109]
	v_fma_f64 v[102:103], v[102:103], v[106:107], v[104:105]
	v_add_f64 v[3:4], v[3:4], v[100:101]
	v_add_f64 v[1:2], v[1:2], v[102:103]
	s_andn2_b32 exec_lo, exec_lo, s5
	s_cbranch_execnz .LBB107_109
; %bb.110:
	s_or_b32 exec_lo, exec_lo, s5
	v_mov_b32_e32 v95, 0
	ds_read_b128 v[95:98], v95 offset:384
	s_waitcnt lgkmcnt(0)
	v_mul_f64 v[100:101], v[1:2], v[97:98]
	v_mul_f64 v[97:98], v[3:4], v[97:98]
	v_fma_f64 v[3:4], v[3:4], v[95:96], -v[100:101]
	v_fma_f64 v[1:2], v[1:2], v[95:96], v[97:98]
	buffer_store_dword v4, off, s[0:3], 0 offset:404
	buffer_store_dword v3, off, s[0:3], 0 offset:400
	;; [unrolled: 1-line block ×4, first 2 shown]
.LBB107_111:
	s_or_b32 exec_lo, exec_lo, s4
	v_mov_b32_e32 v4, s30
	s_waitcnt_vscnt null, 0x0
	s_barrier
	buffer_gl0_inv
	s_mov_b32 s4, exec_lo
	s_clause 0x3
	buffer_load_dword v1, v4, s[0:3], 0 offen
	buffer_load_dword v2, v4, s[0:3], 0 offen offset:4
	buffer_load_dword v3, v4, s[0:3], 0 offen offset:8
	;; [unrolled: 1-line block ×3, first 2 shown]
	s_waitcnt vmcnt(0)
	ds_write_b128 v93, v[1:4]
	s_waitcnt lgkmcnt(0)
	s_barrier
	buffer_gl0_inv
	v_cmpx_gt_u32_e32 25, v0
	s_cbranch_execz .LBB107_115
; %bb.112:
	v_mov_b32_e32 v1, 0
	v_mov_b32_e32 v3, 0
	v_add_nc_u32_e32 v95, -1, v0
	v_add_nc_u32_e32 v96, 0x2c0, v99
	v_mov_b32_e32 v2, 0
	v_mov_b32_e32 v4, 0
	v_add_nc_u32_e32 v97, 16, v99
	s_mov_b32 s5, 0
	.p2align	6
.LBB107_113:                            ; =>This Inner Loop Header: Depth=1
	s_clause 0x3
	buffer_load_dword v104, v97, s[0:3], 0 offen offset:8
	buffer_load_dword v105, v97, s[0:3], 0 offen offset:12
	buffer_load_dword v106, v97, s[0:3], 0 offen
	buffer_load_dword v107, v97, s[0:3], 0 offen offset:4
	ds_read_b128 v[100:103], v96
	v_add_nc_u32_e32 v95, 1, v95
	v_add_nc_u32_e32 v96, 16, v96
	;; [unrolled: 1-line block ×3, first 2 shown]
	v_cmp_lt_u32_e32 vcc_lo, 23, v95
	s_or_b32 s5, vcc_lo, s5
	s_waitcnt vmcnt(2) lgkmcnt(0)
	v_mul_f64 v[108:109], v[102:103], v[104:105]
	v_mul_f64 v[104:105], v[100:101], v[104:105]
	s_waitcnt vmcnt(0)
	v_fma_f64 v[100:101], v[100:101], v[106:107], -v[108:109]
	v_fma_f64 v[102:103], v[102:103], v[106:107], v[104:105]
	v_add_f64 v[3:4], v[3:4], v[100:101]
	v_add_f64 v[1:2], v[1:2], v[102:103]
	s_andn2_b32 exec_lo, exec_lo, s5
	s_cbranch_execnz .LBB107_113
; %bb.114:
	s_or_b32 exec_lo, exec_lo, s5
	v_mov_b32_e32 v95, 0
	ds_read_b128 v[95:98], v95 offset:400
	s_waitcnt lgkmcnt(0)
	v_mul_f64 v[100:101], v[1:2], v[97:98]
	v_mul_f64 v[97:98], v[3:4], v[97:98]
	v_fma_f64 v[3:4], v[3:4], v[95:96], -v[100:101]
	v_fma_f64 v[1:2], v[1:2], v[95:96], v[97:98]
	buffer_store_dword v4, off, s[0:3], 0 offset:420
	buffer_store_dword v3, off, s[0:3], 0 offset:416
	;; [unrolled: 1-line block ×4, first 2 shown]
.LBB107_115:
	s_or_b32 exec_lo, exec_lo, s4
	v_mov_b32_e32 v4, s29
	s_waitcnt_vscnt null, 0x0
	s_barrier
	buffer_gl0_inv
	s_mov_b32 s4, exec_lo
	s_clause 0x3
	buffer_load_dword v1, v4, s[0:3], 0 offen
	buffer_load_dword v2, v4, s[0:3], 0 offen offset:4
	buffer_load_dword v3, v4, s[0:3], 0 offen offset:8
	;; [unrolled: 1-line block ×3, first 2 shown]
	s_waitcnt vmcnt(0)
	ds_write_b128 v93, v[1:4]
	s_waitcnt lgkmcnt(0)
	s_barrier
	buffer_gl0_inv
	v_cmpx_gt_u32_e32 26, v0
	s_cbranch_execz .LBB107_119
; %bb.116:
	v_mov_b32_e32 v1, 0
	v_mov_b32_e32 v3, 0
	v_add_nc_u32_e32 v95, -1, v0
	v_add_nc_u32_e32 v96, 0x2c0, v99
	v_mov_b32_e32 v2, 0
	v_mov_b32_e32 v4, 0
	v_add_nc_u32_e32 v97, 16, v99
	s_mov_b32 s5, 0
	.p2align	6
.LBB107_117:                            ; =>This Inner Loop Header: Depth=1
	s_clause 0x3
	buffer_load_dword v104, v97, s[0:3], 0 offen offset:8
	buffer_load_dword v105, v97, s[0:3], 0 offen offset:12
	buffer_load_dword v106, v97, s[0:3], 0 offen
	buffer_load_dword v107, v97, s[0:3], 0 offen offset:4
	ds_read_b128 v[100:103], v96
	v_add_nc_u32_e32 v95, 1, v95
	v_add_nc_u32_e32 v96, 16, v96
	;; [unrolled: 1-line block ×3, first 2 shown]
	v_cmp_lt_u32_e32 vcc_lo, 24, v95
	s_or_b32 s5, vcc_lo, s5
	s_waitcnt vmcnt(2) lgkmcnt(0)
	v_mul_f64 v[108:109], v[102:103], v[104:105]
	v_mul_f64 v[104:105], v[100:101], v[104:105]
	s_waitcnt vmcnt(0)
	v_fma_f64 v[100:101], v[100:101], v[106:107], -v[108:109]
	v_fma_f64 v[102:103], v[102:103], v[106:107], v[104:105]
	v_add_f64 v[3:4], v[3:4], v[100:101]
	v_add_f64 v[1:2], v[1:2], v[102:103]
	s_andn2_b32 exec_lo, exec_lo, s5
	s_cbranch_execnz .LBB107_117
; %bb.118:
	s_or_b32 exec_lo, exec_lo, s5
	v_mov_b32_e32 v95, 0
	ds_read_b128 v[95:98], v95 offset:416
	s_waitcnt lgkmcnt(0)
	v_mul_f64 v[100:101], v[1:2], v[97:98]
	v_mul_f64 v[97:98], v[3:4], v[97:98]
	v_fma_f64 v[3:4], v[3:4], v[95:96], -v[100:101]
	v_fma_f64 v[1:2], v[1:2], v[95:96], v[97:98]
	buffer_store_dword v4, off, s[0:3], 0 offset:436
	buffer_store_dword v3, off, s[0:3], 0 offset:432
	;; [unrolled: 1-line block ×4, first 2 shown]
.LBB107_119:
	s_or_b32 exec_lo, exec_lo, s4
	v_mov_b32_e32 v4, s28
	s_waitcnt_vscnt null, 0x0
	s_barrier
	buffer_gl0_inv
	s_mov_b32 s4, exec_lo
	s_clause 0x3
	buffer_load_dword v1, v4, s[0:3], 0 offen
	buffer_load_dword v2, v4, s[0:3], 0 offen offset:4
	buffer_load_dword v3, v4, s[0:3], 0 offen offset:8
	;; [unrolled: 1-line block ×3, first 2 shown]
	s_waitcnt vmcnt(0)
	ds_write_b128 v93, v[1:4]
	s_waitcnt lgkmcnt(0)
	s_barrier
	buffer_gl0_inv
	v_cmpx_gt_u32_e32 27, v0
	s_cbranch_execz .LBB107_123
; %bb.120:
	v_mov_b32_e32 v1, 0
	v_mov_b32_e32 v3, 0
	v_add_nc_u32_e32 v95, -1, v0
	v_add_nc_u32_e32 v96, 0x2c0, v99
	v_mov_b32_e32 v2, 0
	v_mov_b32_e32 v4, 0
	v_add_nc_u32_e32 v97, 16, v99
	s_mov_b32 s5, 0
	.p2align	6
.LBB107_121:                            ; =>This Inner Loop Header: Depth=1
	s_clause 0x3
	buffer_load_dword v104, v97, s[0:3], 0 offen offset:8
	buffer_load_dword v105, v97, s[0:3], 0 offen offset:12
	buffer_load_dword v106, v97, s[0:3], 0 offen
	buffer_load_dword v107, v97, s[0:3], 0 offen offset:4
	ds_read_b128 v[100:103], v96
	v_add_nc_u32_e32 v95, 1, v95
	v_add_nc_u32_e32 v96, 16, v96
	;; [unrolled: 1-line block ×3, first 2 shown]
	v_cmp_lt_u32_e32 vcc_lo, 25, v95
	s_or_b32 s5, vcc_lo, s5
	s_waitcnt vmcnt(2) lgkmcnt(0)
	v_mul_f64 v[108:109], v[102:103], v[104:105]
	v_mul_f64 v[104:105], v[100:101], v[104:105]
	s_waitcnt vmcnt(0)
	v_fma_f64 v[100:101], v[100:101], v[106:107], -v[108:109]
	v_fma_f64 v[102:103], v[102:103], v[106:107], v[104:105]
	v_add_f64 v[3:4], v[3:4], v[100:101]
	v_add_f64 v[1:2], v[1:2], v[102:103]
	s_andn2_b32 exec_lo, exec_lo, s5
	s_cbranch_execnz .LBB107_121
; %bb.122:
	s_or_b32 exec_lo, exec_lo, s5
	v_mov_b32_e32 v95, 0
	ds_read_b128 v[95:98], v95 offset:432
	s_waitcnt lgkmcnt(0)
	v_mul_f64 v[100:101], v[1:2], v[97:98]
	v_mul_f64 v[97:98], v[3:4], v[97:98]
	v_fma_f64 v[3:4], v[3:4], v[95:96], -v[100:101]
	v_fma_f64 v[1:2], v[1:2], v[95:96], v[97:98]
	buffer_store_dword v4, off, s[0:3], 0 offset:452
	buffer_store_dword v3, off, s[0:3], 0 offset:448
	;; [unrolled: 1-line block ×4, first 2 shown]
.LBB107_123:
	s_or_b32 exec_lo, exec_lo, s4
	v_mov_b32_e32 v4, s27
	s_waitcnt_vscnt null, 0x0
	s_barrier
	buffer_gl0_inv
	s_mov_b32 s4, exec_lo
	s_clause 0x3
	buffer_load_dword v1, v4, s[0:3], 0 offen
	buffer_load_dword v2, v4, s[0:3], 0 offen offset:4
	buffer_load_dword v3, v4, s[0:3], 0 offen offset:8
	buffer_load_dword v4, v4, s[0:3], 0 offen offset:12
	s_waitcnt vmcnt(0)
	ds_write_b128 v93, v[1:4]
	s_waitcnt lgkmcnt(0)
	s_barrier
	buffer_gl0_inv
	v_cmpx_gt_u32_e32 28, v0
	s_cbranch_execz .LBB107_127
; %bb.124:
	v_mov_b32_e32 v1, 0
	v_mov_b32_e32 v3, 0
	v_add_nc_u32_e32 v95, -1, v0
	v_add_nc_u32_e32 v96, 0x2c0, v99
	v_mov_b32_e32 v2, 0
	v_mov_b32_e32 v4, 0
	v_add_nc_u32_e32 v97, 16, v99
	s_mov_b32 s5, 0
	.p2align	6
.LBB107_125:                            ; =>This Inner Loop Header: Depth=1
	s_clause 0x3
	buffer_load_dword v104, v97, s[0:3], 0 offen offset:8
	buffer_load_dword v105, v97, s[0:3], 0 offen offset:12
	buffer_load_dword v106, v97, s[0:3], 0 offen
	buffer_load_dword v107, v97, s[0:3], 0 offen offset:4
	ds_read_b128 v[100:103], v96
	v_add_nc_u32_e32 v95, 1, v95
	v_add_nc_u32_e32 v96, 16, v96
	;; [unrolled: 1-line block ×3, first 2 shown]
	v_cmp_lt_u32_e32 vcc_lo, 26, v95
	s_or_b32 s5, vcc_lo, s5
	s_waitcnt vmcnt(2) lgkmcnt(0)
	v_mul_f64 v[108:109], v[102:103], v[104:105]
	v_mul_f64 v[104:105], v[100:101], v[104:105]
	s_waitcnt vmcnt(0)
	v_fma_f64 v[100:101], v[100:101], v[106:107], -v[108:109]
	v_fma_f64 v[102:103], v[102:103], v[106:107], v[104:105]
	v_add_f64 v[3:4], v[3:4], v[100:101]
	v_add_f64 v[1:2], v[1:2], v[102:103]
	s_andn2_b32 exec_lo, exec_lo, s5
	s_cbranch_execnz .LBB107_125
; %bb.126:
	s_or_b32 exec_lo, exec_lo, s5
	v_mov_b32_e32 v95, 0
	ds_read_b128 v[95:98], v95 offset:448
	s_waitcnt lgkmcnt(0)
	v_mul_f64 v[100:101], v[1:2], v[97:98]
	v_mul_f64 v[97:98], v[3:4], v[97:98]
	v_fma_f64 v[3:4], v[3:4], v[95:96], -v[100:101]
	v_fma_f64 v[1:2], v[1:2], v[95:96], v[97:98]
	buffer_store_dword v4, off, s[0:3], 0 offset:468
	buffer_store_dword v3, off, s[0:3], 0 offset:464
	buffer_store_dword v2, off, s[0:3], 0 offset:476
	buffer_store_dword v1, off, s[0:3], 0 offset:472
.LBB107_127:
	s_or_b32 exec_lo, exec_lo, s4
	v_mov_b32_e32 v4, s26
	s_waitcnt_vscnt null, 0x0
	s_barrier
	buffer_gl0_inv
	s_mov_b32 s4, exec_lo
	s_clause 0x3
	buffer_load_dword v1, v4, s[0:3], 0 offen
	buffer_load_dword v2, v4, s[0:3], 0 offen offset:4
	buffer_load_dword v3, v4, s[0:3], 0 offen offset:8
	buffer_load_dword v4, v4, s[0:3], 0 offen offset:12
	s_waitcnt vmcnt(0)
	ds_write_b128 v93, v[1:4]
	s_waitcnt lgkmcnt(0)
	s_barrier
	buffer_gl0_inv
	v_cmpx_gt_u32_e32 29, v0
	s_cbranch_execz .LBB107_131
; %bb.128:
	v_mov_b32_e32 v1, 0
	v_mov_b32_e32 v3, 0
	v_add_nc_u32_e32 v95, -1, v0
	v_add_nc_u32_e32 v96, 0x2c0, v99
	v_mov_b32_e32 v2, 0
	v_mov_b32_e32 v4, 0
	v_add_nc_u32_e32 v97, 16, v99
	s_mov_b32 s5, 0
	.p2align	6
.LBB107_129:                            ; =>This Inner Loop Header: Depth=1
	s_clause 0x3
	buffer_load_dword v104, v97, s[0:3], 0 offen offset:8
	buffer_load_dword v105, v97, s[0:3], 0 offen offset:12
	buffer_load_dword v106, v97, s[0:3], 0 offen
	buffer_load_dword v107, v97, s[0:3], 0 offen offset:4
	ds_read_b128 v[100:103], v96
	v_add_nc_u32_e32 v95, 1, v95
	v_add_nc_u32_e32 v96, 16, v96
	v_add_nc_u32_e32 v97, 16, v97
	v_cmp_lt_u32_e32 vcc_lo, 27, v95
	s_or_b32 s5, vcc_lo, s5
	s_waitcnt vmcnt(2) lgkmcnt(0)
	v_mul_f64 v[108:109], v[102:103], v[104:105]
	v_mul_f64 v[104:105], v[100:101], v[104:105]
	s_waitcnt vmcnt(0)
	v_fma_f64 v[100:101], v[100:101], v[106:107], -v[108:109]
	v_fma_f64 v[102:103], v[102:103], v[106:107], v[104:105]
	v_add_f64 v[3:4], v[3:4], v[100:101]
	v_add_f64 v[1:2], v[1:2], v[102:103]
	s_andn2_b32 exec_lo, exec_lo, s5
	s_cbranch_execnz .LBB107_129
; %bb.130:
	s_or_b32 exec_lo, exec_lo, s5
	v_mov_b32_e32 v95, 0
	ds_read_b128 v[95:98], v95 offset:464
	s_waitcnt lgkmcnt(0)
	v_mul_f64 v[100:101], v[1:2], v[97:98]
	v_mul_f64 v[97:98], v[3:4], v[97:98]
	v_fma_f64 v[3:4], v[3:4], v[95:96], -v[100:101]
	v_fma_f64 v[1:2], v[1:2], v[95:96], v[97:98]
	buffer_store_dword v4, off, s[0:3], 0 offset:484
	buffer_store_dword v3, off, s[0:3], 0 offset:480
	;; [unrolled: 1-line block ×4, first 2 shown]
.LBB107_131:
	s_or_b32 exec_lo, exec_lo, s4
	v_mov_b32_e32 v4, s25
	s_waitcnt_vscnt null, 0x0
	s_barrier
	buffer_gl0_inv
	s_mov_b32 s4, exec_lo
	s_clause 0x3
	buffer_load_dword v1, v4, s[0:3], 0 offen
	buffer_load_dword v2, v4, s[0:3], 0 offen offset:4
	buffer_load_dword v3, v4, s[0:3], 0 offen offset:8
	;; [unrolled: 1-line block ×3, first 2 shown]
	s_waitcnt vmcnt(0)
	ds_write_b128 v93, v[1:4]
	s_waitcnt lgkmcnt(0)
	s_barrier
	buffer_gl0_inv
	v_cmpx_gt_u32_e32 30, v0
	s_cbranch_execz .LBB107_135
; %bb.132:
	v_mov_b32_e32 v1, 0
	v_mov_b32_e32 v3, 0
	v_add_nc_u32_e32 v95, -1, v0
	v_add_nc_u32_e32 v96, 0x2c0, v99
	v_mov_b32_e32 v2, 0
	v_mov_b32_e32 v4, 0
	v_add_nc_u32_e32 v97, 16, v99
	s_mov_b32 s5, 0
	.p2align	6
.LBB107_133:                            ; =>This Inner Loop Header: Depth=1
	s_clause 0x3
	buffer_load_dword v104, v97, s[0:3], 0 offen offset:8
	buffer_load_dword v105, v97, s[0:3], 0 offen offset:12
	buffer_load_dword v106, v97, s[0:3], 0 offen
	buffer_load_dword v107, v97, s[0:3], 0 offen offset:4
	ds_read_b128 v[100:103], v96
	v_add_nc_u32_e32 v95, 1, v95
	v_add_nc_u32_e32 v96, 16, v96
	;; [unrolled: 1-line block ×3, first 2 shown]
	v_cmp_lt_u32_e32 vcc_lo, 28, v95
	s_or_b32 s5, vcc_lo, s5
	s_waitcnt vmcnt(2) lgkmcnt(0)
	v_mul_f64 v[108:109], v[102:103], v[104:105]
	v_mul_f64 v[104:105], v[100:101], v[104:105]
	s_waitcnt vmcnt(0)
	v_fma_f64 v[100:101], v[100:101], v[106:107], -v[108:109]
	v_fma_f64 v[102:103], v[102:103], v[106:107], v[104:105]
	v_add_f64 v[3:4], v[3:4], v[100:101]
	v_add_f64 v[1:2], v[1:2], v[102:103]
	s_andn2_b32 exec_lo, exec_lo, s5
	s_cbranch_execnz .LBB107_133
; %bb.134:
	s_or_b32 exec_lo, exec_lo, s5
	v_mov_b32_e32 v95, 0
	ds_read_b128 v[95:98], v95 offset:480
	s_waitcnt lgkmcnt(0)
	v_mul_f64 v[100:101], v[1:2], v[97:98]
	v_mul_f64 v[97:98], v[3:4], v[97:98]
	v_fma_f64 v[3:4], v[3:4], v[95:96], -v[100:101]
	v_fma_f64 v[1:2], v[1:2], v[95:96], v[97:98]
	buffer_store_dword v4, off, s[0:3], 0 offset:500
	buffer_store_dword v3, off, s[0:3], 0 offset:496
	;; [unrolled: 1-line block ×4, first 2 shown]
.LBB107_135:
	s_or_b32 exec_lo, exec_lo, s4
	v_mov_b32_e32 v4, s24
	s_waitcnt_vscnt null, 0x0
	s_barrier
	buffer_gl0_inv
	s_mov_b32 s4, exec_lo
	s_clause 0x3
	buffer_load_dword v1, v4, s[0:3], 0 offen
	buffer_load_dword v2, v4, s[0:3], 0 offen offset:4
	buffer_load_dword v3, v4, s[0:3], 0 offen offset:8
	;; [unrolled: 1-line block ×3, first 2 shown]
	s_waitcnt vmcnt(0)
	ds_write_b128 v93, v[1:4]
	s_waitcnt lgkmcnt(0)
	s_barrier
	buffer_gl0_inv
	v_cmpx_gt_u32_e32 31, v0
	s_cbranch_execz .LBB107_139
; %bb.136:
	v_mov_b32_e32 v1, 0
	v_mov_b32_e32 v3, 0
	v_add_nc_u32_e32 v95, -1, v0
	v_add_nc_u32_e32 v96, 0x2c0, v99
	v_mov_b32_e32 v2, 0
	v_mov_b32_e32 v4, 0
	v_add_nc_u32_e32 v97, 16, v99
	s_mov_b32 s5, 0
	.p2align	6
.LBB107_137:                            ; =>This Inner Loop Header: Depth=1
	s_clause 0x3
	buffer_load_dword v104, v97, s[0:3], 0 offen offset:8
	buffer_load_dword v105, v97, s[0:3], 0 offen offset:12
	buffer_load_dword v106, v97, s[0:3], 0 offen
	buffer_load_dword v107, v97, s[0:3], 0 offen offset:4
	ds_read_b128 v[100:103], v96
	v_add_nc_u32_e32 v95, 1, v95
	v_add_nc_u32_e32 v96, 16, v96
	;; [unrolled: 1-line block ×3, first 2 shown]
	v_cmp_lt_u32_e32 vcc_lo, 29, v95
	s_or_b32 s5, vcc_lo, s5
	s_waitcnt vmcnt(2) lgkmcnt(0)
	v_mul_f64 v[108:109], v[102:103], v[104:105]
	v_mul_f64 v[104:105], v[100:101], v[104:105]
	s_waitcnt vmcnt(0)
	v_fma_f64 v[100:101], v[100:101], v[106:107], -v[108:109]
	v_fma_f64 v[102:103], v[102:103], v[106:107], v[104:105]
	v_add_f64 v[3:4], v[3:4], v[100:101]
	v_add_f64 v[1:2], v[1:2], v[102:103]
	s_andn2_b32 exec_lo, exec_lo, s5
	s_cbranch_execnz .LBB107_137
; %bb.138:
	s_or_b32 exec_lo, exec_lo, s5
	v_mov_b32_e32 v95, 0
	ds_read_b128 v[95:98], v95 offset:496
	s_waitcnt lgkmcnt(0)
	v_mul_f64 v[100:101], v[1:2], v[97:98]
	v_mul_f64 v[97:98], v[3:4], v[97:98]
	v_fma_f64 v[3:4], v[3:4], v[95:96], -v[100:101]
	v_fma_f64 v[1:2], v[1:2], v[95:96], v[97:98]
	buffer_store_dword v4, off, s[0:3], 0 offset:516
	buffer_store_dword v3, off, s[0:3], 0 offset:512
	;; [unrolled: 1-line block ×4, first 2 shown]
.LBB107_139:
	s_or_b32 exec_lo, exec_lo, s4
	v_mov_b32_e32 v4, s23
	s_waitcnt_vscnt null, 0x0
	s_barrier
	buffer_gl0_inv
	s_mov_b32 s4, exec_lo
	s_clause 0x3
	buffer_load_dword v1, v4, s[0:3], 0 offen
	buffer_load_dword v2, v4, s[0:3], 0 offen offset:4
	buffer_load_dword v3, v4, s[0:3], 0 offen offset:8
	buffer_load_dword v4, v4, s[0:3], 0 offen offset:12
	s_waitcnt vmcnt(0)
	ds_write_b128 v93, v[1:4]
	s_waitcnt lgkmcnt(0)
	s_barrier
	buffer_gl0_inv
	v_cmpx_gt_u32_e32 32, v0
	s_cbranch_execz .LBB107_143
; %bb.140:
	v_mov_b32_e32 v1, 0
	v_mov_b32_e32 v3, 0
	v_add_nc_u32_e32 v95, -1, v0
	v_add_nc_u32_e32 v96, 0x2c0, v99
	v_mov_b32_e32 v2, 0
	v_mov_b32_e32 v4, 0
	v_add_nc_u32_e32 v97, 16, v99
	s_mov_b32 s5, 0
	.p2align	6
.LBB107_141:                            ; =>This Inner Loop Header: Depth=1
	s_clause 0x3
	buffer_load_dword v104, v97, s[0:3], 0 offen offset:8
	buffer_load_dword v105, v97, s[0:3], 0 offen offset:12
	buffer_load_dword v106, v97, s[0:3], 0 offen
	buffer_load_dword v107, v97, s[0:3], 0 offen offset:4
	ds_read_b128 v[100:103], v96
	v_add_nc_u32_e32 v95, 1, v95
	v_add_nc_u32_e32 v96, 16, v96
	v_add_nc_u32_e32 v97, 16, v97
	v_cmp_lt_u32_e32 vcc_lo, 30, v95
	s_or_b32 s5, vcc_lo, s5
	s_waitcnt vmcnt(2) lgkmcnt(0)
	v_mul_f64 v[108:109], v[102:103], v[104:105]
	v_mul_f64 v[104:105], v[100:101], v[104:105]
	s_waitcnt vmcnt(0)
	v_fma_f64 v[100:101], v[100:101], v[106:107], -v[108:109]
	v_fma_f64 v[102:103], v[102:103], v[106:107], v[104:105]
	v_add_f64 v[3:4], v[3:4], v[100:101]
	v_add_f64 v[1:2], v[1:2], v[102:103]
	s_andn2_b32 exec_lo, exec_lo, s5
	s_cbranch_execnz .LBB107_141
; %bb.142:
	s_or_b32 exec_lo, exec_lo, s5
	v_mov_b32_e32 v95, 0
	ds_read_b128 v[95:98], v95 offset:512
	s_waitcnt lgkmcnt(0)
	v_mul_f64 v[100:101], v[1:2], v[97:98]
	v_mul_f64 v[97:98], v[3:4], v[97:98]
	v_fma_f64 v[3:4], v[3:4], v[95:96], -v[100:101]
	v_fma_f64 v[1:2], v[1:2], v[95:96], v[97:98]
	buffer_store_dword v4, off, s[0:3], 0 offset:532
	buffer_store_dword v3, off, s[0:3], 0 offset:528
	;; [unrolled: 1-line block ×4, first 2 shown]
.LBB107_143:
	s_or_b32 exec_lo, exec_lo, s4
	v_mov_b32_e32 v4, s22
	s_waitcnt_vscnt null, 0x0
	s_barrier
	buffer_gl0_inv
	s_mov_b32 s4, exec_lo
	s_clause 0x3
	buffer_load_dword v1, v4, s[0:3], 0 offen
	buffer_load_dword v2, v4, s[0:3], 0 offen offset:4
	buffer_load_dword v3, v4, s[0:3], 0 offen offset:8
	;; [unrolled: 1-line block ×3, first 2 shown]
	s_waitcnt vmcnt(0)
	ds_write_b128 v93, v[1:4]
	s_waitcnt lgkmcnt(0)
	s_barrier
	buffer_gl0_inv
	v_cmpx_gt_u32_e32 33, v0
	s_cbranch_execz .LBB107_147
; %bb.144:
	v_mov_b32_e32 v1, 0
	v_mov_b32_e32 v3, 0
	v_add_nc_u32_e32 v95, -1, v0
	v_add_nc_u32_e32 v96, 0x2c0, v99
	v_mov_b32_e32 v2, 0
	v_mov_b32_e32 v4, 0
	v_add_nc_u32_e32 v97, 16, v99
	s_mov_b32 s5, 0
	.p2align	6
.LBB107_145:                            ; =>This Inner Loop Header: Depth=1
	s_clause 0x3
	buffer_load_dword v104, v97, s[0:3], 0 offen offset:8
	buffer_load_dword v105, v97, s[0:3], 0 offen offset:12
	buffer_load_dword v106, v97, s[0:3], 0 offen
	buffer_load_dword v107, v97, s[0:3], 0 offen offset:4
	ds_read_b128 v[100:103], v96
	v_add_nc_u32_e32 v95, 1, v95
	v_add_nc_u32_e32 v96, 16, v96
	;; [unrolled: 1-line block ×3, first 2 shown]
	v_cmp_lt_u32_e32 vcc_lo, 31, v95
	s_or_b32 s5, vcc_lo, s5
	s_waitcnt vmcnt(2) lgkmcnt(0)
	v_mul_f64 v[108:109], v[102:103], v[104:105]
	v_mul_f64 v[104:105], v[100:101], v[104:105]
	s_waitcnt vmcnt(0)
	v_fma_f64 v[100:101], v[100:101], v[106:107], -v[108:109]
	v_fma_f64 v[102:103], v[102:103], v[106:107], v[104:105]
	v_add_f64 v[3:4], v[3:4], v[100:101]
	v_add_f64 v[1:2], v[1:2], v[102:103]
	s_andn2_b32 exec_lo, exec_lo, s5
	s_cbranch_execnz .LBB107_145
; %bb.146:
	s_or_b32 exec_lo, exec_lo, s5
	v_mov_b32_e32 v95, 0
	ds_read_b128 v[95:98], v95 offset:528
	s_waitcnt lgkmcnt(0)
	v_mul_f64 v[100:101], v[1:2], v[97:98]
	v_mul_f64 v[97:98], v[3:4], v[97:98]
	v_fma_f64 v[3:4], v[3:4], v[95:96], -v[100:101]
	v_fma_f64 v[1:2], v[1:2], v[95:96], v[97:98]
	buffer_store_dword v4, off, s[0:3], 0 offset:548
	buffer_store_dword v3, off, s[0:3], 0 offset:544
	;; [unrolled: 1-line block ×4, first 2 shown]
.LBB107_147:
	s_or_b32 exec_lo, exec_lo, s4
	v_mov_b32_e32 v4, s21
	s_waitcnt_vscnt null, 0x0
	s_barrier
	buffer_gl0_inv
	s_mov_b32 s4, exec_lo
	s_clause 0x3
	buffer_load_dword v1, v4, s[0:3], 0 offen
	buffer_load_dword v2, v4, s[0:3], 0 offen offset:4
	buffer_load_dword v3, v4, s[0:3], 0 offen offset:8
	;; [unrolled: 1-line block ×3, first 2 shown]
	s_waitcnt vmcnt(0)
	ds_write_b128 v93, v[1:4]
	s_waitcnt lgkmcnt(0)
	s_barrier
	buffer_gl0_inv
	v_cmpx_gt_u32_e32 34, v0
	s_cbranch_execz .LBB107_151
; %bb.148:
	v_mov_b32_e32 v1, 0
	v_mov_b32_e32 v3, 0
	v_add_nc_u32_e32 v95, -1, v0
	v_add_nc_u32_e32 v96, 0x2c0, v99
	v_mov_b32_e32 v2, 0
	v_mov_b32_e32 v4, 0
	v_add_nc_u32_e32 v97, 16, v99
	s_mov_b32 s5, 0
	.p2align	6
.LBB107_149:                            ; =>This Inner Loop Header: Depth=1
	s_clause 0x3
	buffer_load_dword v104, v97, s[0:3], 0 offen offset:8
	buffer_load_dword v105, v97, s[0:3], 0 offen offset:12
	buffer_load_dword v106, v97, s[0:3], 0 offen
	buffer_load_dword v107, v97, s[0:3], 0 offen offset:4
	ds_read_b128 v[100:103], v96
	v_add_nc_u32_e32 v95, 1, v95
	v_add_nc_u32_e32 v96, 16, v96
	;; [unrolled: 1-line block ×3, first 2 shown]
	v_cmp_lt_u32_e32 vcc_lo, 32, v95
	s_or_b32 s5, vcc_lo, s5
	s_waitcnt vmcnt(2) lgkmcnt(0)
	v_mul_f64 v[108:109], v[102:103], v[104:105]
	v_mul_f64 v[104:105], v[100:101], v[104:105]
	s_waitcnt vmcnt(0)
	v_fma_f64 v[100:101], v[100:101], v[106:107], -v[108:109]
	v_fma_f64 v[102:103], v[102:103], v[106:107], v[104:105]
	v_add_f64 v[3:4], v[3:4], v[100:101]
	v_add_f64 v[1:2], v[1:2], v[102:103]
	s_andn2_b32 exec_lo, exec_lo, s5
	s_cbranch_execnz .LBB107_149
; %bb.150:
	s_or_b32 exec_lo, exec_lo, s5
	v_mov_b32_e32 v95, 0
	ds_read_b128 v[95:98], v95 offset:544
	s_waitcnt lgkmcnt(0)
	v_mul_f64 v[100:101], v[1:2], v[97:98]
	v_mul_f64 v[97:98], v[3:4], v[97:98]
	v_fma_f64 v[3:4], v[3:4], v[95:96], -v[100:101]
	v_fma_f64 v[1:2], v[1:2], v[95:96], v[97:98]
	buffer_store_dword v4, off, s[0:3], 0 offset:564
	buffer_store_dword v3, off, s[0:3], 0 offset:560
	;; [unrolled: 1-line block ×4, first 2 shown]
.LBB107_151:
	s_or_b32 exec_lo, exec_lo, s4
	v_mov_b32_e32 v4, s20
	s_waitcnt_vscnt null, 0x0
	s_barrier
	buffer_gl0_inv
	s_mov_b32 s4, exec_lo
	s_clause 0x3
	buffer_load_dword v1, v4, s[0:3], 0 offen
	buffer_load_dword v2, v4, s[0:3], 0 offen offset:4
	buffer_load_dword v3, v4, s[0:3], 0 offen offset:8
	;; [unrolled: 1-line block ×3, first 2 shown]
	s_waitcnt vmcnt(0)
	ds_write_b128 v93, v[1:4]
	s_waitcnt lgkmcnt(0)
	s_barrier
	buffer_gl0_inv
	v_cmpx_gt_u32_e32 35, v0
	s_cbranch_execz .LBB107_155
; %bb.152:
	v_mov_b32_e32 v1, 0
	v_mov_b32_e32 v3, 0
	v_add_nc_u32_e32 v95, -1, v0
	v_add_nc_u32_e32 v96, 0x2c0, v99
	v_mov_b32_e32 v2, 0
	v_mov_b32_e32 v4, 0
	v_add_nc_u32_e32 v97, 16, v99
	s_mov_b32 s5, 0
	.p2align	6
.LBB107_153:                            ; =>This Inner Loop Header: Depth=1
	s_clause 0x3
	buffer_load_dword v104, v97, s[0:3], 0 offen offset:8
	buffer_load_dword v105, v97, s[0:3], 0 offen offset:12
	buffer_load_dword v106, v97, s[0:3], 0 offen
	buffer_load_dword v107, v97, s[0:3], 0 offen offset:4
	ds_read_b128 v[100:103], v96
	v_add_nc_u32_e32 v95, 1, v95
	v_add_nc_u32_e32 v96, 16, v96
	;; [unrolled: 1-line block ×3, first 2 shown]
	v_cmp_lt_u32_e32 vcc_lo, 33, v95
	s_or_b32 s5, vcc_lo, s5
	s_waitcnt vmcnt(2) lgkmcnt(0)
	v_mul_f64 v[108:109], v[102:103], v[104:105]
	v_mul_f64 v[104:105], v[100:101], v[104:105]
	s_waitcnt vmcnt(0)
	v_fma_f64 v[100:101], v[100:101], v[106:107], -v[108:109]
	v_fma_f64 v[102:103], v[102:103], v[106:107], v[104:105]
	v_add_f64 v[3:4], v[3:4], v[100:101]
	v_add_f64 v[1:2], v[1:2], v[102:103]
	s_andn2_b32 exec_lo, exec_lo, s5
	s_cbranch_execnz .LBB107_153
; %bb.154:
	s_or_b32 exec_lo, exec_lo, s5
	v_mov_b32_e32 v95, 0
	ds_read_b128 v[95:98], v95 offset:560
	s_waitcnt lgkmcnt(0)
	v_mul_f64 v[100:101], v[1:2], v[97:98]
	v_mul_f64 v[97:98], v[3:4], v[97:98]
	v_fma_f64 v[3:4], v[3:4], v[95:96], -v[100:101]
	v_fma_f64 v[1:2], v[1:2], v[95:96], v[97:98]
	buffer_store_dword v4, off, s[0:3], 0 offset:580
	buffer_store_dword v3, off, s[0:3], 0 offset:576
	;; [unrolled: 1-line block ×4, first 2 shown]
.LBB107_155:
	s_or_b32 exec_lo, exec_lo, s4
	v_mov_b32_e32 v4, s19
	s_waitcnt_vscnt null, 0x0
	s_barrier
	buffer_gl0_inv
	s_mov_b32 s4, exec_lo
	s_clause 0x3
	buffer_load_dword v1, v4, s[0:3], 0 offen
	buffer_load_dword v2, v4, s[0:3], 0 offen offset:4
	buffer_load_dword v3, v4, s[0:3], 0 offen offset:8
	;; [unrolled: 1-line block ×3, first 2 shown]
	s_waitcnt vmcnt(0)
	ds_write_b128 v93, v[1:4]
	s_waitcnt lgkmcnt(0)
	s_barrier
	buffer_gl0_inv
	v_cmpx_gt_u32_e32 36, v0
	s_cbranch_execz .LBB107_159
; %bb.156:
	v_mov_b32_e32 v1, 0
	v_mov_b32_e32 v3, 0
	v_add_nc_u32_e32 v95, -1, v0
	v_add_nc_u32_e32 v96, 0x2c0, v99
	v_mov_b32_e32 v2, 0
	v_mov_b32_e32 v4, 0
	v_add_nc_u32_e32 v97, 16, v99
	s_mov_b32 s5, 0
	.p2align	6
.LBB107_157:                            ; =>This Inner Loop Header: Depth=1
	s_clause 0x3
	buffer_load_dword v104, v97, s[0:3], 0 offen offset:8
	buffer_load_dword v105, v97, s[0:3], 0 offen offset:12
	buffer_load_dword v106, v97, s[0:3], 0 offen
	buffer_load_dword v107, v97, s[0:3], 0 offen offset:4
	ds_read_b128 v[100:103], v96
	v_add_nc_u32_e32 v95, 1, v95
	v_add_nc_u32_e32 v96, 16, v96
	;; [unrolled: 1-line block ×3, first 2 shown]
	v_cmp_lt_u32_e32 vcc_lo, 34, v95
	s_or_b32 s5, vcc_lo, s5
	s_waitcnt vmcnt(2) lgkmcnt(0)
	v_mul_f64 v[108:109], v[102:103], v[104:105]
	v_mul_f64 v[104:105], v[100:101], v[104:105]
	s_waitcnt vmcnt(0)
	v_fma_f64 v[100:101], v[100:101], v[106:107], -v[108:109]
	v_fma_f64 v[102:103], v[102:103], v[106:107], v[104:105]
	v_add_f64 v[3:4], v[3:4], v[100:101]
	v_add_f64 v[1:2], v[1:2], v[102:103]
	s_andn2_b32 exec_lo, exec_lo, s5
	s_cbranch_execnz .LBB107_157
; %bb.158:
	s_or_b32 exec_lo, exec_lo, s5
	v_mov_b32_e32 v95, 0
	ds_read_b128 v[95:98], v95 offset:576
	s_waitcnt lgkmcnt(0)
	v_mul_f64 v[100:101], v[1:2], v[97:98]
	v_mul_f64 v[97:98], v[3:4], v[97:98]
	v_fma_f64 v[3:4], v[3:4], v[95:96], -v[100:101]
	v_fma_f64 v[1:2], v[1:2], v[95:96], v[97:98]
	buffer_store_dword v4, off, s[0:3], 0 offset:596
	buffer_store_dword v3, off, s[0:3], 0 offset:592
	;; [unrolled: 1-line block ×4, first 2 shown]
.LBB107_159:
	s_or_b32 exec_lo, exec_lo, s4
	v_mov_b32_e32 v4, s18
	s_waitcnt_vscnt null, 0x0
	s_barrier
	buffer_gl0_inv
	s_mov_b32 s4, exec_lo
	s_clause 0x3
	buffer_load_dword v1, v4, s[0:3], 0 offen
	buffer_load_dword v2, v4, s[0:3], 0 offen offset:4
	buffer_load_dword v3, v4, s[0:3], 0 offen offset:8
	;; [unrolled: 1-line block ×3, first 2 shown]
	s_waitcnt vmcnt(0)
	ds_write_b128 v93, v[1:4]
	s_waitcnt lgkmcnt(0)
	s_barrier
	buffer_gl0_inv
	v_cmpx_gt_u32_e32 37, v0
	s_cbranch_execz .LBB107_163
; %bb.160:
	v_mov_b32_e32 v1, 0
	v_mov_b32_e32 v3, 0
	v_add_nc_u32_e32 v95, -1, v0
	v_add_nc_u32_e32 v96, 0x2c0, v99
	v_mov_b32_e32 v2, 0
	v_mov_b32_e32 v4, 0
	v_add_nc_u32_e32 v97, 16, v99
	s_mov_b32 s5, 0
	.p2align	6
.LBB107_161:                            ; =>This Inner Loop Header: Depth=1
	s_clause 0x3
	buffer_load_dword v104, v97, s[0:3], 0 offen offset:8
	buffer_load_dword v105, v97, s[0:3], 0 offen offset:12
	buffer_load_dword v106, v97, s[0:3], 0 offen
	buffer_load_dword v107, v97, s[0:3], 0 offen offset:4
	ds_read_b128 v[100:103], v96
	v_add_nc_u32_e32 v95, 1, v95
	v_add_nc_u32_e32 v96, 16, v96
	v_add_nc_u32_e32 v97, 16, v97
	v_cmp_lt_u32_e32 vcc_lo, 35, v95
	s_or_b32 s5, vcc_lo, s5
	s_waitcnt vmcnt(2) lgkmcnt(0)
	v_mul_f64 v[108:109], v[102:103], v[104:105]
	v_mul_f64 v[104:105], v[100:101], v[104:105]
	s_waitcnt vmcnt(0)
	v_fma_f64 v[100:101], v[100:101], v[106:107], -v[108:109]
	v_fma_f64 v[102:103], v[102:103], v[106:107], v[104:105]
	v_add_f64 v[3:4], v[3:4], v[100:101]
	v_add_f64 v[1:2], v[1:2], v[102:103]
	s_andn2_b32 exec_lo, exec_lo, s5
	s_cbranch_execnz .LBB107_161
; %bb.162:
	s_or_b32 exec_lo, exec_lo, s5
	v_mov_b32_e32 v95, 0
	ds_read_b128 v[95:98], v95 offset:592
	s_waitcnt lgkmcnt(0)
	v_mul_f64 v[100:101], v[1:2], v[97:98]
	v_mul_f64 v[97:98], v[3:4], v[97:98]
	v_fma_f64 v[3:4], v[3:4], v[95:96], -v[100:101]
	v_fma_f64 v[1:2], v[1:2], v[95:96], v[97:98]
	buffer_store_dword v4, off, s[0:3], 0 offset:612
	buffer_store_dword v3, off, s[0:3], 0 offset:608
	;; [unrolled: 1-line block ×4, first 2 shown]
.LBB107_163:
	s_or_b32 exec_lo, exec_lo, s4
	v_mov_b32_e32 v4, s17
	s_waitcnt_vscnt null, 0x0
	s_barrier
	buffer_gl0_inv
	s_mov_b32 s4, exec_lo
	s_clause 0x3
	buffer_load_dword v1, v4, s[0:3], 0 offen
	buffer_load_dword v2, v4, s[0:3], 0 offen offset:4
	buffer_load_dword v3, v4, s[0:3], 0 offen offset:8
	;; [unrolled: 1-line block ×3, first 2 shown]
	s_waitcnt vmcnt(0)
	ds_write_b128 v93, v[1:4]
	s_waitcnt lgkmcnt(0)
	s_barrier
	buffer_gl0_inv
	v_cmpx_gt_u32_e32 38, v0
	s_cbranch_execz .LBB107_167
; %bb.164:
	v_mov_b32_e32 v1, 0
	v_mov_b32_e32 v3, 0
	v_add_nc_u32_e32 v95, -1, v0
	v_add_nc_u32_e32 v96, 0x2c0, v99
	v_mov_b32_e32 v2, 0
	v_mov_b32_e32 v4, 0
	v_add_nc_u32_e32 v97, 16, v99
	s_mov_b32 s5, 0
	.p2align	6
.LBB107_165:                            ; =>This Inner Loop Header: Depth=1
	s_clause 0x3
	buffer_load_dword v104, v97, s[0:3], 0 offen offset:8
	buffer_load_dword v105, v97, s[0:3], 0 offen offset:12
	buffer_load_dword v106, v97, s[0:3], 0 offen
	buffer_load_dword v107, v97, s[0:3], 0 offen offset:4
	ds_read_b128 v[100:103], v96
	v_add_nc_u32_e32 v95, 1, v95
	v_add_nc_u32_e32 v96, 16, v96
	;; [unrolled: 1-line block ×3, first 2 shown]
	v_cmp_lt_u32_e32 vcc_lo, 36, v95
	s_or_b32 s5, vcc_lo, s5
	s_waitcnt vmcnt(2) lgkmcnt(0)
	v_mul_f64 v[108:109], v[102:103], v[104:105]
	v_mul_f64 v[104:105], v[100:101], v[104:105]
	s_waitcnt vmcnt(0)
	v_fma_f64 v[100:101], v[100:101], v[106:107], -v[108:109]
	v_fma_f64 v[102:103], v[102:103], v[106:107], v[104:105]
	v_add_f64 v[3:4], v[3:4], v[100:101]
	v_add_f64 v[1:2], v[1:2], v[102:103]
	s_andn2_b32 exec_lo, exec_lo, s5
	s_cbranch_execnz .LBB107_165
; %bb.166:
	s_or_b32 exec_lo, exec_lo, s5
	v_mov_b32_e32 v95, 0
	ds_read_b128 v[95:98], v95 offset:608
	s_waitcnt lgkmcnt(0)
	v_mul_f64 v[100:101], v[1:2], v[97:98]
	v_mul_f64 v[97:98], v[3:4], v[97:98]
	v_fma_f64 v[3:4], v[3:4], v[95:96], -v[100:101]
	v_fma_f64 v[1:2], v[1:2], v[95:96], v[97:98]
	buffer_store_dword v4, off, s[0:3], 0 offset:628
	buffer_store_dword v3, off, s[0:3], 0 offset:624
	;; [unrolled: 1-line block ×4, first 2 shown]
.LBB107_167:
	s_or_b32 exec_lo, exec_lo, s4
	v_mov_b32_e32 v4, s16
	s_waitcnt_vscnt null, 0x0
	s_barrier
	buffer_gl0_inv
	s_mov_b32 s4, exec_lo
	s_clause 0x3
	buffer_load_dword v1, v4, s[0:3], 0 offen
	buffer_load_dword v2, v4, s[0:3], 0 offen offset:4
	buffer_load_dword v3, v4, s[0:3], 0 offen offset:8
	;; [unrolled: 1-line block ×3, first 2 shown]
	s_waitcnt vmcnt(0)
	ds_write_b128 v93, v[1:4]
	s_waitcnt lgkmcnt(0)
	s_barrier
	buffer_gl0_inv
	v_cmpx_gt_u32_e32 39, v0
	s_cbranch_execz .LBB107_171
; %bb.168:
	v_mov_b32_e32 v1, 0
	v_mov_b32_e32 v3, 0
	v_add_nc_u32_e32 v95, -1, v0
	v_add_nc_u32_e32 v96, 0x2c0, v99
	v_mov_b32_e32 v2, 0
	v_mov_b32_e32 v4, 0
	v_add_nc_u32_e32 v97, 16, v99
	s_mov_b32 s5, 0
	.p2align	6
.LBB107_169:                            ; =>This Inner Loop Header: Depth=1
	s_clause 0x3
	buffer_load_dword v104, v97, s[0:3], 0 offen offset:8
	buffer_load_dword v105, v97, s[0:3], 0 offen offset:12
	buffer_load_dword v106, v97, s[0:3], 0 offen
	buffer_load_dword v107, v97, s[0:3], 0 offen offset:4
	ds_read_b128 v[100:103], v96
	v_add_nc_u32_e32 v95, 1, v95
	v_add_nc_u32_e32 v96, 16, v96
	;; [unrolled: 1-line block ×3, first 2 shown]
	v_cmp_lt_u32_e32 vcc_lo, 37, v95
	s_or_b32 s5, vcc_lo, s5
	s_waitcnt vmcnt(2) lgkmcnt(0)
	v_mul_f64 v[108:109], v[102:103], v[104:105]
	v_mul_f64 v[104:105], v[100:101], v[104:105]
	s_waitcnt vmcnt(0)
	v_fma_f64 v[100:101], v[100:101], v[106:107], -v[108:109]
	v_fma_f64 v[102:103], v[102:103], v[106:107], v[104:105]
	v_add_f64 v[3:4], v[3:4], v[100:101]
	v_add_f64 v[1:2], v[1:2], v[102:103]
	s_andn2_b32 exec_lo, exec_lo, s5
	s_cbranch_execnz .LBB107_169
; %bb.170:
	s_or_b32 exec_lo, exec_lo, s5
	v_mov_b32_e32 v95, 0
	ds_read_b128 v[95:98], v95 offset:624
	s_waitcnt lgkmcnt(0)
	v_mul_f64 v[100:101], v[1:2], v[97:98]
	v_mul_f64 v[97:98], v[3:4], v[97:98]
	v_fma_f64 v[3:4], v[3:4], v[95:96], -v[100:101]
	v_fma_f64 v[1:2], v[1:2], v[95:96], v[97:98]
	buffer_store_dword v4, off, s[0:3], 0 offset:644
	buffer_store_dword v3, off, s[0:3], 0 offset:640
	;; [unrolled: 1-line block ×4, first 2 shown]
.LBB107_171:
	s_or_b32 exec_lo, exec_lo, s4
	v_mov_b32_e32 v4, s15
	s_waitcnt_vscnt null, 0x0
	s_barrier
	buffer_gl0_inv
	s_mov_b32 s4, exec_lo
	s_clause 0x3
	buffer_load_dword v1, v4, s[0:3], 0 offen
	buffer_load_dword v2, v4, s[0:3], 0 offen offset:4
	buffer_load_dword v3, v4, s[0:3], 0 offen offset:8
	;; [unrolled: 1-line block ×3, first 2 shown]
	s_waitcnt vmcnt(0)
	ds_write_b128 v93, v[1:4]
	s_waitcnt lgkmcnt(0)
	s_barrier
	buffer_gl0_inv
	v_cmpx_gt_u32_e32 40, v0
	s_cbranch_execz .LBB107_175
; %bb.172:
	v_mov_b32_e32 v1, 0
	v_mov_b32_e32 v3, 0
	v_add_nc_u32_e32 v95, -1, v0
	v_add_nc_u32_e32 v96, 0x2c0, v99
	v_mov_b32_e32 v2, 0
	v_mov_b32_e32 v4, 0
	v_add_nc_u32_e32 v97, 16, v99
	s_mov_b32 s5, 0
	.p2align	6
.LBB107_173:                            ; =>This Inner Loop Header: Depth=1
	s_clause 0x3
	buffer_load_dword v104, v97, s[0:3], 0 offen offset:8
	buffer_load_dword v105, v97, s[0:3], 0 offen offset:12
	buffer_load_dword v106, v97, s[0:3], 0 offen
	buffer_load_dword v107, v97, s[0:3], 0 offen offset:4
	ds_read_b128 v[100:103], v96
	v_add_nc_u32_e32 v95, 1, v95
	v_add_nc_u32_e32 v96, 16, v96
	;; [unrolled: 1-line block ×3, first 2 shown]
	v_cmp_lt_u32_e32 vcc_lo, 38, v95
	s_or_b32 s5, vcc_lo, s5
	s_waitcnt vmcnt(2) lgkmcnt(0)
	v_mul_f64 v[108:109], v[102:103], v[104:105]
	v_mul_f64 v[104:105], v[100:101], v[104:105]
	s_waitcnt vmcnt(0)
	v_fma_f64 v[100:101], v[100:101], v[106:107], -v[108:109]
	v_fma_f64 v[102:103], v[102:103], v[106:107], v[104:105]
	v_add_f64 v[3:4], v[3:4], v[100:101]
	v_add_f64 v[1:2], v[1:2], v[102:103]
	s_andn2_b32 exec_lo, exec_lo, s5
	s_cbranch_execnz .LBB107_173
; %bb.174:
	s_or_b32 exec_lo, exec_lo, s5
	v_mov_b32_e32 v95, 0
	ds_read_b128 v[95:98], v95 offset:640
	s_waitcnt lgkmcnt(0)
	v_mul_f64 v[100:101], v[1:2], v[97:98]
	v_mul_f64 v[97:98], v[3:4], v[97:98]
	v_fma_f64 v[3:4], v[3:4], v[95:96], -v[100:101]
	v_fma_f64 v[1:2], v[1:2], v[95:96], v[97:98]
	buffer_store_dword v4, off, s[0:3], 0 offset:660
	buffer_store_dword v3, off, s[0:3], 0 offset:656
	;; [unrolled: 1-line block ×4, first 2 shown]
.LBB107_175:
	s_or_b32 exec_lo, exec_lo, s4
	v_mov_b32_e32 v4, s14
	s_waitcnt_vscnt null, 0x0
	s_barrier
	buffer_gl0_inv
	s_mov_b32 s4, exec_lo
	s_clause 0x3
	buffer_load_dword v1, v4, s[0:3], 0 offen
	buffer_load_dword v2, v4, s[0:3], 0 offen offset:4
	buffer_load_dword v3, v4, s[0:3], 0 offen offset:8
	;; [unrolled: 1-line block ×3, first 2 shown]
	s_waitcnt vmcnt(0)
	ds_write_b128 v93, v[1:4]
	s_waitcnt lgkmcnt(0)
	s_barrier
	buffer_gl0_inv
	v_cmpx_gt_u32_e32 41, v0
	s_cbranch_execz .LBB107_179
; %bb.176:
	v_mov_b32_e32 v1, 0
	v_mov_b32_e32 v3, 0
	v_add_nc_u32_e32 v95, -1, v0
	v_add_nc_u32_e32 v96, 0x2c0, v99
	v_mov_b32_e32 v2, 0
	v_mov_b32_e32 v4, 0
	v_add_nc_u32_e32 v97, 16, v99
	s_mov_b32 s5, 0
	.p2align	6
.LBB107_177:                            ; =>This Inner Loop Header: Depth=1
	s_clause 0x3
	buffer_load_dword v104, v97, s[0:3], 0 offen offset:8
	buffer_load_dword v105, v97, s[0:3], 0 offen offset:12
	buffer_load_dword v106, v97, s[0:3], 0 offen
	buffer_load_dword v107, v97, s[0:3], 0 offen offset:4
	ds_read_b128 v[100:103], v96
	v_add_nc_u32_e32 v95, 1, v95
	v_add_nc_u32_e32 v96, 16, v96
	;; [unrolled: 1-line block ×3, first 2 shown]
	v_cmp_lt_u32_e32 vcc_lo, 39, v95
	s_or_b32 s5, vcc_lo, s5
	s_waitcnt vmcnt(2) lgkmcnt(0)
	v_mul_f64 v[108:109], v[102:103], v[104:105]
	v_mul_f64 v[104:105], v[100:101], v[104:105]
	s_waitcnt vmcnt(0)
	v_fma_f64 v[100:101], v[100:101], v[106:107], -v[108:109]
	v_fma_f64 v[102:103], v[102:103], v[106:107], v[104:105]
	v_add_f64 v[3:4], v[3:4], v[100:101]
	v_add_f64 v[1:2], v[1:2], v[102:103]
	s_andn2_b32 exec_lo, exec_lo, s5
	s_cbranch_execnz .LBB107_177
; %bb.178:
	s_or_b32 exec_lo, exec_lo, s5
	v_mov_b32_e32 v95, 0
	ds_read_b128 v[95:98], v95 offset:656
	s_waitcnt lgkmcnt(0)
	v_mul_f64 v[100:101], v[1:2], v[97:98]
	v_mul_f64 v[97:98], v[3:4], v[97:98]
	v_fma_f64 v[3:4], v[3:4], v[95:96], -v[100:101]
	v_fma_f64 v[1:2], v[1:2], v[95:96], v[97:98]
	buffer_store_dword v4, off, s[0:3], 0 offset:676
	buffer_store_dword v3, off, s[0:3], 0 offset:672
	;; [unrolled: 1-line block ×4, first 2 shown]
.LBB107_179:
	s_or_b32 exec_lo, exec_lo, s4
	v_mov_b32_e32 v4, s9
	s_waitcnt_vscnt null, 0x0
	s_barrier
	buffer_gl0_inv
	s_mov_b32 s4, exec_lo
	s_clause 0x3
	buffer_load_dword v1, v4, s[0:3], 0 offen
	buffer_load_dword v2, v4, s[0:3], 0 offen offset:4
	buffer_load_dword v3, v4, s[0:3], 0 offen offset:8
	;; [unrolled: 1-line block ×3, first 2 shown]
	s_waitcnt vmcnt(0)
	ds_write_b128 v93, v[1:4]
	s_waitcnt lgkmcnt(0)
	s_barrier
	buffer_gl0_inv
	v_cmpx_gt_u32_e32 42, v0
	s_cbranch_execz .LBB107_183
; %bb.180:
	v_mov_b32_e32 v1, 0
	v_mov_b32_e32 v3, 0
	v_add_nc_u32_e32 v95, -1, v0
	v_add_nc_u32_e32 v96, 0x2c0, v99
	v_mov_b32_e32 v2, 0
	v_mov_b32_e32 v4, 0
	v_add_nc_u32_e32 v97, 16, v99
	s_mov_b32 s5, 0
	.p2align	6
.LBB107_181:                            ; =>This Inner Loop Header: Depth=1
	s_clause 0x3
	buffer_load_dword v104, v97, s[0:3], 0 offen offset:8
	buffer_load_dword v105, v97, s[0:3], 0 offen offset:12
	buffer_load_dword v106, v97, s[0:3], 0 offen
	buffer_load_dword v107, v97, s[0:3], 0 offen offset:4
	ds_read_b128 v[100:103], v96
	v_add_nc_u32_e32 v95, 1, v95
	v_add_nc_u32_e32 v96, 16, v96
	;; [unrolled: 1-line block ×3, first 2 shown]
	v_cmp_lt_u32_e32 vcc_lo, 40, v95
	s_or_b32 s5, vcc_lo, s5
	s_waitcnt vmcnt(2) lgkmcnt(0)
	v_mul_f64 v[108:109], v[102:103], v[104:105]
	v_mul_f64 v[104:105], v[100:101], v[104:105]
	s_waitcnt vmcnt(0)
	v_fma_f64 v[100:101], v[100:101], v[106:107], -v[108:109]
	v_fma_f64 v[102:103], v[102:103], v[106:107], v[104:105]
	v_add_f64 v[3:4], v[3:4], v[100:101]
	v_add_f64 v[1:2], v[1:2], v[102:103]
	s_andn2_b32 exec_lo, exec_lo, s5
	s_cbranch_execnz .LBB107_181
; %bb.182:
	s_or_b32 exec_lo, exec_lo, s5
	v_mov_b32_e32 v95, 0
	ds_read_b128 v[95:98], v95 offset:672
	s_waitcnt lgkmcnt(0)
	v_mul_f64 v[100:101], v[1:2], v[97:98]
	v_mul_f64 v[97:98], v[3:4], v[97:98]
	v_fma_f64 v[3:4], v[3:4], v[95:96], -v[100:101]
	v_fma_f64 v[1:2], v[1:2], v[95:96], v[97:98]
	buffer_store_dword v4, off, s[0:3], 0 offset:692
	buffer_store_dword v3, off, s[0:3], 0 offset:688
	;; [unrolled: 1-line block ×4, first 2 shown]
.LBB107_183:
	s_or_b32 exec_lo, exec_lo, s4
	v_mov_b32_e32 v4, s8
	s_waitcnt_vscnt null, 0x0
	s_barrier
	buffer_gl0_inv
	s_mov_b32 s4, exec_lo
	s_clause 0x3
	buffer_load_dword v1, v4, s[0:3], 0 offen
	buffer_load_dword v2, v4, s[0:3], 0 offen offset:4
	buffer_load_dword v3, v4, s[0:3], 0 offen offset:8
	;; [unrolled: 1-line block ×3, first 2 shown]
	s_waitcnt vmcnt(0)
	ds_write_b128 v93, v[1:4]
	s_waitcnt lgkmcnt(0)
	s_barrier
	buffer_gl0_inv
	v_cmpx_ne_u32_e32 43, v0
	s_cbranch_execz .LBB107_187
; %bb.184:
	v_mov_b32_e32 v1, 0
	v_mov_b32_e32 v3, 0
	;; [unrolled: 1-line block ×4, first 2 shown]
	v_add_nc_u32_e32 v95, 16, v99
	s_mov_b32 s5, 0
	.p2align	6
.LBB107_185:                            ; =>This Inner Loop Header: Depth=1
	s_clause 0x3
	buffer_load_dword v100, v95, s[0:3], 0 offen offset:8
	buffer_load_dword v101, v95, s[0:3], 0 offen offset:12
	buffer_load_dword v102, v95, s[0:3], 0 offen
	buffer_load_dword v103, v95, s[0:3], 0 offen offset:4
	ds_read_b128 v[96:99], v93
	v_add_nc_u32_e32 v94, 1, v94
	v_add_nc_u32_e32 v93, 16, v93
	;; [unrolled: 1-line block ×3, first 2 shown]
	v_cmp_lt_u32_e32 vcc_lo, 41, v94
	s_or_b32 s5, vcc_lo, s5
	s_waitcnt vmcnt(2) lgkmcnt(0)
	v_mul_f64 v[104:105], v[98:99], v[100:101]
	v_mul_f64 v[100:101], v[96:97], v[100:101]
	s_waitcnt vmcnt(0)
	v_fma_f64 v[96:97], v[96:97], v[102:103], -v[104:105]
	v_fma_f64 v[98:99], v[98:99], v[102:103], v[100:101]
	v_add_f64 v[3:4], v[3:4], v[96:97]
	v_add_f64 v[1:2], v[1:2], v[98:99]
	s_andn2_b32 exec_lo, exec_lo, s5
	s_cbranch_execnz .LBB107_185
; %bb.186:
	s_or_b32 exec_lo, exec_lo, s5
	v_mov_b32_e32 v93, 0
	ds_read_b128 v[93:96], v93 offset:688
	s_waitcnt lgkmcnt(0)
	v_mul_f64 v[97:98], v[1:2], v[95:96]
	v_mul_f64 v[95:96], v[3:4], v[95:96]
	v_fma_f64 v[3:4], v[3:4], v[93:94], -v[97:98]
	v_fma_f64 v[1:2], v[1:2], v[93:94], v[95:96]
	buffer_store_dword v4, off, s[0:3], 0 offset:708
	buffer_store_dword v3, off, s[0:3], 0 offset:704
	;; [unrolled: 1-line block ×4, first 2 shown]
.LBB107_187:
	s_or_b32 exec_lo, exec_lo, s4
	s_mov_b32 s5, -1
	s_waitcnt_vscnt null, 0x0
	s_barrier
	buffer_gl0_inv
.LBB107_188:
	s_and_b32 vcc_lo, exec_lo, s5
	s_cbranch_vccz .LBB107_190
; %bb.189:
	s_lshl_b64 s[4:5], s[6:7], 2
	v_mov_b32_e32 v1, 0
	s_add_u32 s4, s10, s4
	s_addc_u32 s5, s11, s5
	global_load_dword v1, v1, s[4:5]
	s_waitcnt vmcnt(0)
	v_cmp_ne_u32_e32 vcc_lo, 0, v1
	s_cbranch_vccz .LBB107_191
.LBB107_190:
	s_endpgm
.LBB107_191:
	v_lshl_add_u32 v149, v0, 4, 0x2c0
	s_mov_b32 s4, exec_lo
	v_cmpx_eq_u32_e32 43, v0
	s_cbranch_execz .LBB107_193
; %bb.192:
	v_mov_b32_e32 v4, s9
	v_mov_b32_e32 v93, 0
	s_clause 0x3
	buffer_load_dword v1, v4, s[0:3], 0 offen
	buffer_load_dword v2, v4, s[0:3], 0 offen offset:4
	buffer_load_dword v3, v4, s[0:3], 0 offen offset:8
	;; [unrolled: 1-line block ×3, first 2 shown]
	buffer_store_dword v93, off, s[0:3], 0 offset:688
	buffer_store_dword v93, off, s[0:3], 0 offset:692
	;; [unrolled: 1-line block ×4, first 2 shown]
	s_waitcnt vmcnt(0)
	ds_write_b128 v149, v[1:4]
.LBB107_193:
	s_or_b32 exec_lo, exec_lo, s4
	s_waitcnt lgkmcnt(0)
	s_waitcnt_vscnt null, 0x0
	s_barrier
	buffer_gl0_inv
	s_clause 0x7
	buffer_load_dword v2, off, s[0:3], 0 offset:712
	buffer_load_dword v3, off, s[0:3], 0 offset:716
	;; [unrolled: 1-line block ×8, first 2 shown]
	v_mov_b32_e32 v1, 0
	s_mov_b32 s4, exec_lo
	ds_read_b128 v[93:96], v1 offset:1392
	s_waitcnt vmcnt(6) lgkmcnt(0)
	v_mul_f64 v[103:104], v[95:96], v[2:3]
	v_mul_f64 v[2:3], v[93:94], v[2:3]
	s_waitcnt vmcnt(4)
	v_fma_f64 v[93:94], v[93:94], v[97:98], -v[103:104]
	v_fma_f64 v[2:3], v[95:96], v[97:98], v[2:3]
	v_add_f64 v[93:94], v[93:94], 0
	v_add_f64 v[2:3], v[2:3], 0
	s_waitcnt vmcnt(2)
	v_add_f64 v[93:94], v[99:100], -v[93:94]
	s_waitcnt vmcnt(0)
	v_add_f64 v[2:3], v[101:102], -v[2:3]
	buffer_store_dword v93, off, s[0:3], 0 offset:688
	buffer_store_dword v94, off, s[0:3], 0 offset:692
	;; [unrolled: 1-line block ×4, first 2 shown]
	v_cmpx_lt_u32_e32 41, v0
	s_cbranch_execz .LBB107_195
; %bb.194:
	v_mov_b32_e32 v2, s14
	s_clause 0x3
	buffer_load_dword v93, v2, s[0:3], 0 offen
	buffer_load_dword v94, v2, s[0:3], 0 offen offset:4
	buffer_load_dword v95, v2, s[0:3], 0 offen offset:8
	buffer_load_dword v96, v2, s[0:3], 0 offen offset:12
	buffer_store_dword v1, off, s[0:3], 0 offset:672
	buffer_store_dword v1, off, s[0:3], 0 offset:676
	;; [unrolled: 1-line block ×4, first 2 shown]
	s_waitcnt vmcnt(0)
	ds_write_b128 v149, v[93:96]
.LBB107_195:
	s_or_b32 exec_lo, exec_lo, s4
	s_waitcnt lgkmcnt(0)
	s_waitcnt_vscnt null, 0x0
	s_barrier
	buffer_gl0_inv
	s_clause 0xb
	buffer_load_dword v97, off, s[0:3], 0 offset:696
	buffer_load_dword v98, off, s[0:3], 0 offset:700
	;; [unrolled: 1-line block ×12, first 2 shown]
	ds_read_b128 v[93:96], v1 offset:1376
	ds_read_b128 v[1:4], v1 offset:1392
	s_mov_b32 s4, exec_lo
	s_waitcnt vmcnt(10) lgkmcnt(1)
	v_mul_f64 v[109:110], v[95:96], v[97:98]
	v_mul_f64 v[97:98], v[93:94], v[97:98]
	s_waitcnt vmcnt(8) lgkmcnt(0)
	v_mul_f64 v[111:112], v[3:4], v[99:100]
	v_mul_f64 v[99:100], v[1:2], v[99:100]
	s_waitcnt vmcnt(6)
	v_fma_f64 v[93:94], v[93:94], v[101:102], -v[109:110]
	v_fma_f64 v[95:96], v[95:96], v[101:102], v[97:98]
	s_waitcnt vmcnt(4)
	v_fma_f64 v[1:2], v[1:2], v[103:104], -v[111:112]
	v_fma_f64 v[3:4], v[3:4], v[103:104], v[99:100]
	v_add_f64 v[93:94], v[93:94], 0
	v_add_f64 v[95:96], v[95:96], 0
	v_add_f64 v[1:2], v[93:94], v[1:2]
	v_add_f64 v[3:4], v[95:96], v[3:4]
	s_waitcnt vmcnt(2)
	v_add_f64 v[1:2], v[105:106], -v[1:2]
	s_waitcnt vmcnt(0)
	v_add_f64 v[3:4], v[107:108], -v[3:4]
	buffer_store_dword v1, off, s[0:3], 0 offset:672
	buffer_store_dword v2, off, s[0:3], 0 offset:676
	;; [unrolled: 1-line block ×4, first 2 shown]
	v_cmpx_lt_u32_e32 40, v0
	s_cbranch_execz .LBB107_197
; %bb.196:
	v_mov_b32_e32 v4, s15
	v_mov_b32_e32 v93, 0
	s_clause 0x3
	buffer_load_dword v1, v4, s[0:3], 0 offen
	buffer_load_dword v2, v4, s[0:3], 0 offen offset:4
	buffer_load_dword v3, v4, s[0:3], 0 offen offset:8
	;; [unrolled: 1-line block ×3, first 2 shown]
	buffer_store_dword v93, off, s[0:3], 0 offset:656
	buffer_store_dword v93, off, s[0:3], 0 offset:660
	buffer_store_dword v93, off, s[0:3], 0 offset:664
	buffer_store_dword v93, off, s[0:3], 0 offset:668
	s_waitcnt vmcnt(0)
	ds_write_b128 v149, v[1:4]
.LBB107_197:
	s_or_b32 exec_lo, exec_lo, s4
	s_waitcnt lgkmcnt(0)
	s_waitcnt_vscnt null, 0x0
	s_barrier
	buffer_gl0_inv
	s_clause 0xf
	buffer_load_dword v2, off, s[0:3], 0 offset:680
	buffer_load_dword v3, off, s[0:3], 0 offset:684
	;; [unrolled: 1-line block ×16, first 2 shown]
	v_mov_b32_e32 v1, 0
	ds_read_b128 v[93:96], v1 offset:1360
	ds_read_b128 v[97:100], v1 offset:1376
	;; [unrolled: 1-line block ×3, first 2 shown]
	s_mov_b32 s4, exec_lo
	s_waitcnt vmcnt(14) lgkmcnt(2)
	v_mul_f64 v[119:120], v[95:96], v[2:3]
	v_mul_f64 v[2:3], v[93:94], v[2:3]
	s_waitcnt vmcnt(12) lgkmcnt(1)
	v_mul_f64 v[121:122], v[99:100], v[105:106]
	v_mul_f64 v[105:106], v[97:98], v[105:106]
	s_waitcnt vmcnt(10)
	v_fma_f64 v[93:94], v[93:94], v[107:108], -v[119:120]
	v_fma_f64 v[2:3], v[95:96], v[107:108], v[2:3]
	s_waitcnt vmcnt(8) lgkmcnt(0)
	v_mul_f64 v[107:108], v[103:104], v[109:110]
	s_waitcnt vmcnt(6)
	v_fma_f64 v[97:98], v[97:98], v[111:112], -v[121:122]
	v_mul_f64 v[95:96], v[101:102], v[109:110]
	v_fma_f64 v[99:100], v[99:100], v[111:112], v[105:106]
	v_add_f64 v[93:94], v[93:94], 0
	v_add_f64 v[2:3], v[2:3], 0
	s_waitcnt vmcnt(4)
	v_fma_f64 v[101:102], v[101:102], v[113:114], -v[107:108]
	v_fma_f64 v[95:96], v[103:104], v[113:114], v[95:96]
	v_add_f64 v[93:94], v[93:94], v[97:98]
	v_add_f64 v[2:3], v[2:3], v[99:100]
	;; [unrolled: 1-line block ×4, first 2 shown]
	s_waitcnt vmcnt(2)
	v_add_f64 v[93:94], v[115:116], -v[93:94]
	s_waitcnt vmcnt(0)
	v_add_f64 v[2:3], v[117:118], -v[2:3]
	buffer_store_dword v93, off, s[0:3], 0 offset:656
	buffer_store_dword v94, off, s[0:3], 0 offset:660
	;; [unrolled: 1-line block ×4, first 2 shown]
	v_cmpx_lt_u32_e32 39, v0
	s_cbranch_execz .LBB107_199
; %bb.198:
	v_mov_b32_e32 v2, s16
	s_clause 0x3
	buffer_load_dword v93, v2, s[0:3], 0 offen
	buffer_load_dword v94, v2, s[0:3], 0 offen offset:4
	buffer_load_dword v95, v2, s[0:3], 0 offen offset:8
	;; [unrolled: 1-line block ×3, first 2 shown]
	buffer_store_dword v1, off, s[0:3], 0 offset:640
	buffer_store_dword v1, off, s[0:3], 0 offset:644
	;; [unrolled: 1-line block ×4, first 2 shown]
	s_waitcnt vmcnt(0)
	ds_write_b128 v149, v[93:96]
.LBB107_199:
	s_or_b32 exec_lo, exec_lo, s4
	s_waitcnt lgkmcnt(0)
	s_waitcnt_vscnt null, 0x0
	s_barrier
	buffer_gl0_inv
	s_clause 0x13
	buffer_load_dword v2, off, s[0:3], 0 offset:664
	buffer_load_dword v3, off, s[0:3], 0 offset:668
	;; [unrolled: 1-line block ×20, first 2 shown]
	ds_read_b128 v[93:96], v1 offset:1344
	ds_read_b128 v[97:100], v1 offset:1360
	;; [unrolled: 1-line block ×3, first 2 shown]
	s_mov_b32 s4, exec_lo
	s_waitcnt vmcnt(18) lgkmcnt(2)
	v_mul_f64 v[123:124], v[95:96], v[2:3]
	v_mul_f64 v[2:3], v[93:94], v[2:3]
	s_waitcnt vmcnt(16) lgkmcnt(1)
	v_mul_f64 v[125:126], v[99:100], v[105:106]
	v_mul_f64 v[105:106], v[97:98], v[105:106]
	s_waitcnt vmcnt(14)
	v_fma_f64 v[93:94], v[93:94], v[107:108], -v[123:124]
	v_fma_f64 v[95:96], v[95:96], v[107:108], v[2:3]
	s_waitcnt vmcnt(12) lgkmcnt(0)
	v_mul_f64 v[107:108], v[101:102], v[109:110]
	v_mul_f64 v[109:110], v[103:104], v[109:110]
	s_waitcnt vmcnt(10)
	v_fma_f64 v[97:98], v[97:98], v[111:112], -v[125:126]
	ds_read_b128 v[1:4], v1 offset:1392
	v_fma_f64 v[99:100], v[99:100], v[111:112], v[105:106]
	v_add_f64 v[93:94], v[93:94], 0
	v_add_f64 v[95:96], v[95:96], 0
	s_waitcnt vmcnt(8) lgkmcnt(0)
	v_mul_f64 v[111:112], v[3:4], v[113:114]
	s_waitcnt vmcnt(6)
	v_fma_f64 v[101:102], v[101:102], v[115:116], -v[109:110]
	v_mul_f64 v[105:106], v[1:2], v[113:114]
	v_add_f64 v[93:94], v[93:94], v[97:98]
	v_fma_f64 v[97:98], v[103:104], v[115:116], v[107:108]
	v_add_f64 v[95:96], v[95:96], v[99:100]
	s_waitcnt vmcnt(4)
	v_fma_f64 v[1:2], v[1:2], v[117:118], -v[111:112]
	v_fma_f64 v[3:4], v[3:4], v[117:118], v[105:106]
	v_add_f64 v[93:94], v[93:94], v[101:102]
	v_add_f64 v[95:96], v[95:96], v[97:98]
	;; [unrolled: 1-line block ×4, first 2 shown]
	s_waitcnt vmcnt(2)
	v_add_f64 v[1:2], v[119:120], -v[1:2]
	s_waitcnt vmcnt(0)
	v_add_f64 v[3:4], v[121:122], -v[3:4]
	buffer_store_dword v1, off, s[0:3], 0 offset:640
	buffer_store_dword v2, off, s[0:3], 0 offset:644
	;; [unrolled: 1-line block ×4, first 2 shown]
	v_cmpx_lt_u32_e32 38, v0
	s_cbranch_execz .LBB107_201
; %bb.200:
	v_mov_b32_e32 v4, s17
	v_mov_b32_e32 v93, 0
	s_clause 0x3
	buffer_load_dword v1, v4, s[0:3], 0 offen
	buffer_load_dword v2, v4, s[0:3], 0 offen offset:4
	buffer_load_dword v3, v4, s[0:3], 0 offen offset:8
	buffer_load_dword v4, v4, s[0:3], 0 offen offset:12
	buffer_store_dword v93, off, s[0:3], 0 offset:624
	buffer_store_dword v93, off, s[0:3], 0 offset:628
	;; [unrolled: 1-line block ×4, first 2 shown]
	s_waitcnt vmcnt(0)
	ds_write_b128 v149, v[1:4]
.LBB107_201:
	s_or_b32 exec_lo, exec_lo, s4
	s_waitcnt lgkmcnt(0)
	s_waitcnt_vscnt null, 0x0
	s_barrier
	buffer_gl0_inv
	s_clause 0x17
	buffer_load_dword v2, off, s[0:3], 0 offset:648
	buffer_load_dword v3, off, s[0:3], 0 offset:652
	;; [unrolled: 1-line block ×24, first 2 shown]
	v_mov_b32_e32 v1, 0
	ds_read_b128 v[93:96], v1 offset:1328
	ds_read_b128 v[97:100], v1 offset:1344
	;; [unrolled: 1-line block ×3, first 2 shown]
	s_mov_b32 s4, exec_lo
	s_waitcnt vmcnt(22) lgkmcnt(2)
	v_mul_f64 v[127:128], v[95:96], v[2:3]
	v_mul_f64 v[2:3], v[93:94], v[2:3]
	s_waitcnt vmcnt(20) lgkmcnt(1)
	v_mul_f64 v[129:130], v[99:100], v[105:106]
	v_mul_f64 v[105:106], v[97:98], v[105:106]
	s_waitcnt vmcnt(18)
	v_fma_f64 v[127:128], v[93:94], v[107:108], -v[127:128]
	v_fma_f64 v[2:3], v[95:96], v[107:108], v[2:3]
	ds_read_b128 v[93:96], v1 offset:1376
	s_waitcnt vmcnt(16) lgkmcnt(1)
	v_mul_f64 v[107:108], v[101:102], v[109:110]
	v_mul_f64 v[109:110], v[103:104], v[109:110]
	s_waitcnt vmcnt(14)
	v_fma_f64 v[129:130], v[97:98], v[111:112], -v[129:130]
	v_fma_f64 v[105:106], v[99:100], v[111:112], v[105:106]
	ds_read_b128 v[97:100], v1 offset:1392
	s_waitcnt vmcnt(10) lgkmcnt(1)
	v_mul_f64 v[111:112], v[93:94], v[113:114]
	v_add_f64 v[127:128], v[127:128], 0
	v_add_f64 v[2:3], v[2:3], 0
	v_mul_f64 v[113:114], v[95:96], v[113:114]
	s_waitcnt vmcnt(8)
	v_fma_f64 v[101:102], v[101:102], v[119:120], -v[109:110]
	v_fma_f64 v[103:104], v[103:104], v[119:120], v[107:108]
	s_waitcnt vmcnt(7) lgkmcnt(0)
	v_mul_f64 v[107:108], v[99:100], v[115:116]
	s_waitcnt vmcnt(5)
	v_fma_f64 v[95:96], v[95:96], v[121:122], v[111:112]
	v_add_f64 v[109:110], v[127:128], v[129:130]
	v_add_f64 v[2:3], v[2:3], v[105:106]
	v_fma_f64 v[93:94], v[93:94], v[121:122], -v[113:114]
	v_mul_f64 v[105:106], v[97:98], v[115:116]
	s_waitcnt vmcnt(4)
	v_fma_f64 v[97:98], v[97:98], v[117:118], -v[107:108]
	v_add_f64 v[101:102], v[109:110], v[101:102]
	v_add_f64 v[2:3], v[2:3], v[103:104]
	v_fma_f64 v[99:100], v[99:100], v[117:118], v[105:106]
	v_add_f64 v[93:94], v[101:102], v[93:94]
	v_add_f64 v[2:3], v[2:3], v[95:96]
	;; [unrolled: 1-line block ×4, first 2 shown]
	s_waitcnt vmcnt(2)
	v_add_f64 v[93:94], v[123:124], -v[93:94]
	s_waitcnt vmcnt(0)
	v_add_f64 v[2:3], v[125:126], -v[2:3]
	buffer_store_dword v94, off, s[0:3], 0 offset:628
	buffer_store_dword v93, off, s[0:3], 0 offset:624
	;; [unrolled: 1-line block ×4, first 2 shown]
	v_cmpx_lt_u32_e32 37, v0
	s_cbranch_execz .LBB107_203
; %bb.202:
	v_mov_b32_e32 v2, s18
	s_clause 0x3
	buffer_load_dword v93, v2, s[0:3], 0 offen
	buffer_load_dword v94, v2, s[0:3], 0 offen offset:4
	buffer_load_dword v95, v2, s[0:3], 0 offen offset:8
	;; [unrolled: 1-line block ×3, first 2 shown]
	buffer_store_dword v1, off, s[0:3], 0 offset:608
	buffer_store_dword v1, off, s[0:3], 0 offset:612
	;; [unrolled: 1-line block ×4, first 2 shown]
	s_waitcnt vmcnt(0)
	ds_write_b128 v149, v[93:96]
.LBB107_203:
	s_or_b32 exec_lo, exec_lo, s4
	s_waitcnt lgkmcnt(0)
	s_waitcnt_vscnt null, 0x0
	s_barrier
	buffer_gl0_inv
	s_clause 0x1b
	buffer_load_dword v2, off, s[0:3], 0 offset:632
	buffer_load_dword v3, off, s[0:3], 0 offset:636
	;; [unrolled: 1-line block ×28, first 2 shown]
	ds_read_b128 v[93:96], v1 offset:1312
	ds_read_b128 v[97:100], v1 offset:1328
	;; [unrolled: 1-line block ×3, first 2 shown]
	s_mov_b32 s4, exec_lo
	s_waitcnt vmcnt(26) lgkmcnt(2)
	v_mul_f64 v[131:132], v[95:96], v[2:3]
	v_mul_f64 v[2:3], v[93:94], v[2:3]
	s_waitcnt vmcnt(24) lgkmcnt(1)
	v_mul_f64 v[133:134], v[99:100], v[105:106]
	v_mul_f64 v[105:106], v[97:98], v[105:106]
	s_waitcnt vmcnt(22)
	v_fma_f64 v[131:132], v[93:94], v[107:108], -v[131:132]
	v_fma_f64 v[2:3], v[95:96], v[107:108], v[2:3]
	ds_read_b128 v[93:96], v1 offset:1360
	s_waitcnt vmcnt(20) lgkmcnt(1)
	v_mul_f64 v[107:108], v[101:102], v[109:110]
	v_mul_f64 v[109:110], v[103:104], v[109:110]
	s_waitcnt vmcnt(18)
	v_fma_f64 v[133:134], v[97:98], v[111:112], -v[133:134]
	v_fma_f64 v[105:106], v[99:100], v[111:112], v[105:106]
	ds_read_b128 v[97:100], v1 offset:1376
	s_waitcnt vmcnt(14) lgkmcnt(1)
	v_mul_f64 v[111:112], v[93:94], v[113:114]
	v_add_f64 v[131:132], v[131:132], 0
	v_add_f64 v[2:3], v[2:3], 0
	v_mul_f64 v[113:114], v[95:96], v[113:114]
	s_waitcnt vmcnt(12)
	v_fma_f64 v[101:102], v[101:102], v[119:120], -v[109:110]
	v_fma_f64 v[103:104], v[103:104], v[119:120], v[107:108]
	s_waitcnt vmcnt(11) lgkmcnt(0)
	v_mul_f64 v[107:108], v[97:98], v[115:116]
	v_mul_f64 v[115:116], v[99:100], v[115:116]
	s_waitcnt vmcnt(9)
	v_fma_f64 v[95:96], v[95:96], v[121:122], v[111:112]
	v_add_f64 v[109:110], v[131:132], v[133:134]
	v_add_f64 v[105:106], v[2:3], v[105:106]
	v_fma_f64 v[93:94], v[93:94], v[121:122], -v[113:114]
	ds_read_b128 v[1:4], v1 offset:1392
	s_waitcnt vmcnt(6)
	v_fma_f64 v[99:100], v[99:100], v[117:118], v[107:108]
	v_fma_f64 v[97:98], v[97:98], v[117:118], -v[115:116]
	v_add_f64 v[101:102], v[109:110], v[101:102]
	v_add_f64 v[103:104], v[105:106], v[103:104]
	s_waitcnt lgkmcnt(0)
	v_mul_f64 v[109:110], v[3:4], v[123:124]
	v_mul_f64 v[105:106], v[1:2], v[123:124]
	v_add_f64 v[93:94], v[101:102], v[93:94]
	v_add_f64 v[95:96], v[103:104], v[95:96]
	s_waitcnt vmcnt(4)
	v_fma_f64 v[1:2], v[1:2], v[125:126], -v[109:110]
	v_fma_f64 v[3:4], v[3:4], v[125:126], v[105:106]
	v_add_f64 v[93:94], v[93:94], v[97:98]
	v_add_f64 v[95:96], v[95:96], v[99:100]
	;; [unrolled: 1-line block ×4, first 2 shown]
	s_waitcnt vmcnt(2)
	v_add_f64 v[1:2], v[127:128], -v[1:2]
	s_waitcnt vmcnt(0)
	v_add_f64 v[3:4], v[129:130], -v[3:4]
	buffer_store_dword v2, off, s[0:3], 0 offset:612
	buffer_store_dword v1, off, s[0:3], 0 offset:608
	;; [unrolled: 1-line block ×4, first 2 shown]
	v_cmpx_lt_u32_e32 36, v0
	s_cbranch_execz .LBB107_205
; %bb.204:
	v_mov_b32_e32 v4, s19
	v_mov_b32_e32 v93, 0
	s_clause 0x3
	buffer_load_dword v1, v4, s[0:3], 0 offen
	buffer_load_dword v2, v4, s[0:3], 0 offen offset:4
	buffer_load_dword v3, v4, s[0:3], 0 offen offset:8
	;; [unrolled: 1-line block ×3, first 2 shown]
	buffer_store_dword v93, off, s[0:3], 0 offset:592
	buffer_store_dword v93, off, s[0:3], 0 offset:596
	;; [unrolled: 1-line block ×4, first 2 shown]
	s_waitcnt vmcnt(0)
	ds_write_b128 v149, v[1:4]
.LBB107_205:
	s_or_b32 exec_lo, exec_lo, s4
	s_waitcnt lgkmcnt(0)
	s_waitcnt_vscnt null, 0x0
	s_barrier
	buffer_gl0_inv
	s_clause 0x1f
	buffer_load_dword v2, off, s[0:3], 0 offset:616
	buffer_load_dword v3, off, s[0:3], 0 offset:620
	;; [unrolled: 1-line block ×32, first 2 shown]
	v_mov_b32_e32 v1, 0
	ds_read_b128 v[93:96], v1 offset:1296
	ds_read_b128 v[97:100], v1 offset:1312
	;; [unrolled: 1-line block ×3, first 2 shown]
	s_mov_b32 s4, exec_lo
	s_waitcnt vmcnt(30) lgkmcnt(2)
	v_mul_f64 v[135:136], v[95:96], v[2:3]
	v_mul_f64 v[2:3], v[93:94], v[2:3]
	s_waitcnt vmcnt(28) lgkmcnt(1)
	v_mul_f64 v[137:138], v[99:100], v[105:106]
	v_mul_f64 v[105:106], v[97:98], v[105:106]
	s_waitcnt vmcnt(26)
	v_fma_f64 v[135:136], v[93:94], v[107:108], -v[135:136]
	v_fma_f64 v[2:3], v[95:96], v[107:108], v[2:3]
	ds_read_b128 v[93:96], v1 offset:1344
	s_waitcnt vmcnt(24) lgkmcnt(1)
	v_mul_f64 v[107:108], v[101:102], v[109:110]
	v_mul_f64 v[109:110], v[103:104], v[109:110]
	s_waitcnt vmcnt(22)
	v_fma_f64 v[137:138], v[97:98], v[111:112], -v[137:138]
	v_fma_f64 v[105:106], v[99:100], v[111:112], v[105:106]
	ds_read_b128 v[97:100], v1 offset:1360
	s_waitcnt vmcnt(18) lgkmcnt(1)
	v_mul_f64 v[111:112], v[93:94], v[113:114]
	v_add_f64 v[135:136], v[135:136], 0
	v_add_f64 v[2:3], v[2:3], 0
	v_mul_f64 v[113:114], v[95:96], v[113:114]
	s_waitcnt vmcnt(16)
	v_fma_f64 v[109:110], v[101:102], v[119:120], -v[109:110]
	v_fma_f64 v[107:108], v[103:104], v[119:120], v[107:108]
	ds_read_b128 v[101:104], v1 offset:1376
	s_waitcnt vmcnt(13)
	v_fma_f64 v[111:112], v[95:96], v[121:122], v[111:112]
	v_add_f64 v[135:136], v[135:136], v[137:138]
	v_add_f64 v[2:3], v[2:3], v[105:106]
	s_waitcnt lgkmcnt(1)
	v_mul_f64 v[105:106], v[97:98], v[115:116]
	v_mul_f64 v[115:116], v[99:100], v[115:116]
	v_fma_f64 v[113:114], v[93:94], v[121:122], -v[113:114]
	s_waitcnt vmcnt(9) lgkmcnt(0)
	v_mul_f64 v[119:120], v[103:104], v[123:124]
	ds_read_b128 v[93:96], v1 offset:1392
	v_add_f64 v[109:110], v[135:136], v[109:110]
	v_add_f64 v[2:3], v[2:3], v[107:108]
	v_mul_f64 v[107:108], v[101:102], v[123:124]
	s_waitcnt vmcnt(8)
	v_fma_f64 v[97:98], v[97:98], v[117:118], -v[115:116]
	v_fma_f64 v[99:100], v[99:100], v[117:118], v[105:106]
	s_waitcnt vmcnt(5)
	v_fma_f64 v[101:102], v[101:102], v[129:130], -v[119:120]
	s_waitcnt lgkmcnt(0)
	v_mul_f64 v[105:106], v[93:94], v[125:126]
	v_add_f64 v[109:110], v[109:110], v[113:114]
	v_add_f64 v[2:3], v[2:3], v[111:112]
	v_mul_f64 v[111:112], v[95:96], v[125:126]
	v_fma_f64 v[103:104], v[103:104], v[129:130], v[107:108]
	s_waitcnt vmcnt(4)
	v_fma_f64 v[95:96], v[95:96], v[127:128], v[105:106]
	v_add_f64 v[97:98], v[109:110], v[97:98]
	v_add_f64 v[2:3], v[2:3], v[99:100]
	v_fma_f64 v[93:94], v[93:94], v[127:128], -v[111:112]
	v_add_f64 v[97:98], v[97:98], v[101:102]
	v_add_f64 v[2:3], v[2:3], v[103:104]
	;; [unrolled: 1-line block ×4, first 2 shown]
	s_waitcnt vmcnt(2)
	v_add_f64 v[93:94], v[131:132], -v[93:94]
	s_waitcnt vmcnt(0)
	v_add_f64 v[2:3], v[133:134], -v[2:3]
	buffer_store_dword v94, off, s[0:3], 0 offset:596
	buffer_store_dword v93, off, s[0:3], 0 offset:592
	;; [unrolled: 1-line block ×4, first 2 shown]
	v_cmpx_lt_u32_e32 35, v0
	s_cbranch_execz .LBB107_207
; %bb.206:
	v_mov_b32_e32 v2, s20
	s_clause 0x3
	buffer_load_dword v93, v2, s[0:3], 0 offen
	buffer_load_dword v94, v2, s[0:3], 0 offen offset:4
	buffer_load_dword v95, v2, s[0:3], 0 offen offset:8
	;; [unrolled: 1-line block ×3, first 2 shown]
	buffer_store_dword v1, off, s[0:3], 0 offset:576
	buffer_store_dword v1, off, s[0:3], 0 offset:580
	buffer_store_dword v1, off, s[0:3], 0 offset:584
	buffer_store_dword v1, off, s[0:3], 0 offset:588
	s_waitcnt vmcnt(0)
	ds_write_b128 v149, v[93:96]
.LBB107_207:
	s_or_b32 exec_lo, exec_lo, s4
	s_waitcnt lgkmcnt(0)
	s_waitcnt_vscnt null, 0x0
	s_barrier
	buffer_gl0_inv
	s_clause 0x23
	buffer_load_dword v2, off, s[0:3], 0 offset:600
	buffer_load_dword v3, off, s[0:3], 0 offset:604
	;; [unrolled: 1-line block ×36, first 2 shown]
	ds_read_b128 v[93:96], v1 offset:1280
	ds_read_b128 v[97:100], v1 offset:1296
	ds_read_b128 v[101:104], v1 offset:1312
	s_mov_b32 s4, exec_lo
	s_waitcnt vmcnt(34) lgkmcnt(2)
	v_mul_f64 v[139:140], v[95:96], v[2:3]
	v_mul_f64 v[2:3], v[93:94], v[2:3]
	s_waitcnt vmcnt(32) lgkmcnt(1)
	v_mul_f64 v[141:142], v[99:100], v[105:106]
	v_mul_f64 v[105:106], v[97:98], v[105:106]
	s_waitcnt vmcnt(30)
	v_fma_f64 v[139:140], v[93:94], v[107:108], -v[139:140]
	v_fma_f64 v[2:3], v[95:96], v[107:108], v[2:3]
	ds_read_b128 v[93:96], v1 offset:1328
	s_waitcnt vmcnt(28) lgkmcnt(1)
	v_mul_f64 v[107:108], v[101:102], v[109:110]
	v_mul_f64 v[109:110], v[103:104], v[109:110]
	s_waitcnt vmcnt(26)
	v_fma_f64 v[141:142], v[97:98], v[111:112], -v[141:142]
	v_fma_f64 v[105:106], v[99:100], v[111:112], v[105:106]
	ds_read_b128 v[97:100], v1 offset:1344
	s_waitcnt vmcnt(22) lgkmcnt(1)
	v_mul_f64 v[111:112], v[93:94], v[113:114]
	v_add_f64 v[139:140], v[139:140], 0
	v_add_f64 v[2:3], v[2:3], 0
	v_mul_f64 v[113:114], v[95:96], v[113:114]
	s_waitcnt vmcnt(20)
	v_fma_f64 v[109:110], v[101:102], v[119:120], -v[109:110]
	v_fma_f64 v[107:108], v[103:104], v[119:120], v[107:108]
	ds_read_b128 v[101:104], v1 offset:1360
	s_waitcnt vmcnt(17)
	v_fma_f64 v[111:112], v[95:96], v[121:122], v[111:112]
	v_add_f64 v[139:140], v[139:140], v[141:142]
	v_add_f64 v[2:3], v[2:3], v[105:106]
	s_waitcnt lgkmcnt(1)
	v_mul_f64 v[105:106], v[97:98], v[115:116]
	v_mul_f64 v[115:116], v[99:100], v[115:116]
	v_fma_f64 v[113:114], v[93:94], v[121:122], -v[113:114]
	s_waitcnt vmcnt(13) lgkmcnt(0)
	v_mul_f64 v[119:120], v[103:104], v[123:124]
	ds_read_b128 v[93:96], v1 offset:1376
	v_add_f64 v[109:110], v[139:140], v[109:110]
	v_add_f64 v[2:3], v[2:3], v[107:108]
	v_mul_f64 v[107:108], v[101:102], v[123:124]
	s_waitcnt vmcnt(12)
	v_fma_f64 v[97:98], v[97:98], v[117:118], -v[115:116]
	v_fma_f64 v[99:100], v[99:100], v[117:118], v[105:106]
	s_waitcnt vmcnt(9)
	v_fma_f64 v[101:102], v[101:102], v[129:130], -v[119:120]
	v_add_f64 v[109:110], v[109:110], v[113:114]
	v_add_f64 v[105:106], v[2:3], v[111:112]
	s_waitcnt lgkmcnt(0)
	v_mul_f64 v[113:114], v[95:96], v[125:126]
	ds_read_b128 v[1:4], v1 offset:1392
	v_mul_f64 v[111:112], v[93:94], v[125:126]
	v_fma_f64 v[103:104], v[103:104], v[129:130], v[107:108]
	v_add_f64 v[97:98], v[109:110], v[97:98]
	v_add_f64 v[99:100], v[105:106], v[99:100]
	s_waitcnt vmcnt(7) lgkmcnt(0)
	v_mul_f64 v[107:108], v[3:4], v[131:132]
	s_waitcnt vmcnt(6)
	v_fma_f64 v[93:94], v[93:94], v[127:128], -v[113:114]
	v_mul_f64 v[105:106], v[1:2], v[131:132]
	v_fma_f64 v[95:96], v[95:96], v[127:128], v[111:112]
	v_add_f64 v[97:98], v[97:98], v[101:102]
	v_add_f64 v[99:100], v[99:100], v[103:104]
	s_waitcnt vmcnt(4)
	v_fma_f64 v[1:2], v[1:2], v[133:134], -v[107:108]
	v_fma_f64 v[3:4], v[3:4], v[133:134], v[105:106]
	v_add_f64 v[93:94], v[97:98], v[93:94]
	v_add_f64 v[95:96], v[99:100], v[95:96]
	;; [unrolled: 1-line block ×4, first 2 shown]
	s_waitcnt vmcnt(2)
	v_add_f64 v[1:2], v[135:136], -v[1:2]
	s_waitcnt vmcnt(0)
	v_add_f64 v[3:4], v[137:138], -v[3:4]
	buffer_store_dword v2, off, s[0:3], 0 offset:580
	buffer_store_dword v1, off, s[0:3], 0 offset:576
	;; [unrolled: 1-line block ×4, first 2 shown]
	v_cmpx_lt_u32_e32 34, v0
	s_cbranch_execz .LBB107_209
; %bb.208:
	v_mov_b32_e32 v4, s21
	v_mov_b32_e32 v93, 0
	s_clause 0x3
	buffer_load_dword v1, v4, s[0:3], 0 offen
	buffer_load_dword v2, v4, s[0:3], 0 offen offset:4
	buffer_load_dword v3, v4, s[0:3], 0 offen offset:8
	;; [unrolled: 1-line block ×3, first 2 shown]
	buffer_store_dword v93, off, s[0:3], 0 offset:560
	buffer_store_dword v93, off, s[0:3], 0 offset:564
	;; [unrolled: 1-line block ×4, first 2 shown]
	s_waitcnt vmcnt(0)
	ds_write_b128 v149, v[1:4]
.LBB107_209:
	s_or_b32 exec_lo, exec_lo, s4
	s_waitcnt lgkmcnt(0)
	s_waitcnt_vscnt null, 0x0
	s_barrier
	buffer_gl0_inv
	s_clause 0x27
	buffer_load_dword v2, off, s[0:3], 0 offset:584
	buffer_load_dword v3, off, s[0:3], 0 offset:588
	;; [unrolled: 1-line block ×40, first 2 shown]
	v_mov_b32_e32 v1, 0
	ds_read_b128 v[93:96], v1 offset:1264
	ds_read_b128 v[97:100], v1 offset:1280
	;; [unrolled: 1-line block ×3, first 2 shown]
	s_mov_b32 s4, exec_lo
	s_waitcnt vmcnt(38) lgkmcnt(2)
	v_mul_f64 v[143:144], v[95:96], v[2:3]
	v_mul_f64 v[2:3], v[93:94], v[2:3]
	s_waitcnt vmcnt(36) lgkmcnt(1)
	v_mul_f64 v[145:146], v[99:100], v[105:106]
	v_mul_f64 v[105:106], v[97:98], v[105:106]
	s_waitcnt vmcnt(34)
	v_fma_f64 v[143:144], v[93:94], v[107:108], -v[143:144]
	v_fma_f64 v[2:3], v[95:96], v[107:108], v[2:3]
	ds_read_b128 v[93:96], v1 offset:1312
	s_waitcnt vmcnt(32) lgkmcnt(1)
	v_mul_f64 v[107:108], v[101:102], v[109:110]
	v_mul_f64 v[109:110], v[103:104], v[109:110]
	s_waitcnt vmcnt(30)
	v_fma_f64 v[145:146], v[97:98], v[111:112], -v[145:146]
	v_fma_f64 v[105:106], v[99:100], v[111:112], v[105:106]
	ds_read_b128 v[97:100], v1 offset:1328
	s_waitcnt vmcnt(26) lgkmcnt(1)
	v_mul_f64 v[111:112], v[93:94], v[113:114]
	v_add_f64 v[143:144], v[143:144], 0
	v_add_f64 v[2:3], v[2:3], 0
	v_mul_f64 v[113:114], v[95:96], v[113:114]
	s_waitcnt vmcnt(24)
	v_fma_f64 v[109:110], v[101:102], v[119:120], -v[109:110]
	v_fma_f64 v[107:108], v[103:104], v[119:120], v[107:108]
	ds_read_b128 v[101:104], v1 offset:1344
	s_waitcnt vmcnt(21)
	v_fma_f64 v[111:112], v[95:96], v[121:122], v[111:112]
	v_add_f64 v[143:144], v[143:144], v[145:146]
	v_add_f64 v[2:3], v[2:3], v[105:106]
	s_waitcnt lgkmcnt(1)
	v_mul_f64 v[105:106], v[97:98], v[115:116]
	v_mul_f64 v[115:116], v[99:100], v[115:116]
	v_fma_f64 v[113:114], v[93:94], v[121:122], -v[113:114]
	s_waitcnt vmcnt(17) lgkmcnt(0)
	v_mul_f64 v[119:120], v[103:104], v[123:124]
	ds_read_b128 v[93:96], v1 offset:1360
	v_add_f64 v[109:110], v[143:144], v[109:110]
	v_add_f64 v[2:3], v[2:3], v[107:108]
	v_mul_f64 v[107:108], v[101:102], v[123:124]
	s_waitcnt vmcnt(16)
	v_fma_f64 v[115:116], v[97:98], v[117:118], -v[115:116]
	v_fma_f64 v[105:106], v[99:100], v[117:118], v[105:106]
	ds_read_b128 v[97:100], v1 offset:1376
	s_waitcnt vmcnt(13)
	v_fma_f64 v[117:118], v[101:102], v[129:130], -v[119:120]
	v_add_f64 v[109:110], v[109:110], v[113:114]
	v_add_f64 v[2:3], v[2:3], v[111:112]
	s_waitcnt lgkmcnt(1)
	v_mul_f64 v[113:114], v[95:96], v[125:126]
	v_mul_f64 v[111:112], v[93:94], v[125:126]
	v_fma_f64 v[107:108], v[103:104], v[129:130], v[107:108]
	ds_read_b128 v[101:104], v1 offset:1392
	v_add_f64 v[109:110], v[109:110], v[115:116]
	v_add_f64 v[2:3], v[2:3], v[105:106]
	s_waitcnt vmcnt(9) lgkmcnt(1)
	v_mul_f64 v[115:116], v[99:100], v[131:132]
	s_waitcnt vmcnt(8)
	v_fma_f64 v[93:94], v[93:94], v[127:128], -v[113:114]
	v_mul_f64 v[105:106], v[97:98], v[131:132]
	v_fma_f64 v[95:96], v[95:96], v[127:128], v[111:112]
	s_waitcnt vmcnt(7) lgkmcnt(0)
	v_mul_f64 v[111:112], v[103:104], v[133:134]
	v_add_f64 v[109:110], v[109:110], v[117:118]
	v_add_f64 v[2:3], v[2:3], v[107:108]
	s_waitcnt vmcnt(5)
	v_fma_f64 v[97:98], v[97:98], v[137:138], -v[115:116]
	v_mul_f64 v[107:108], v[101:102], v[133:134]
	v_fma_f64 v[99:100], v[99:100], v[137:138], v[105:106]
	v_add_f64 v[93:94], v[109:110], v[93:94]
	v_add_f64 v[2:3], v[2:3], v[95:96]
	s_waitcnt vmcnt(4)
	v_fma_f64 v[95:96], v[101:102], v[135:136], -v[111:112]
	v_add_f64 v[93:94], v[93:94], v[97:98]
	v_fma_f64 v[97:98], v[103:104], v[135:136], v[107:108]
	v_add_f64 v[2:3], v[2:3], v[99:100]
	v_add_f64 v[93:94], v[93:94], v[95:96]
	;; [unrolled: 1-line block ×3, first 2 shown]
	s_waitcnt vmcnt(2)
	v_add_f64 v[93:94], v[139:140], -v[93:94]
	s_waitcnt vmcnt(0)
	v_add_f64 v[2:3], v[141:142], -v[2:3]
	buffer_store_dword v94, off, s[0:3], 0 offset:564
	buffer_store_dword v93, off, s[0:3], 0 offset:560
	;; [unrolled: 1-line block ×4, first 2 shown]
	v_cmpx_lt_u32_e32 33, v0
	s_cbranch_execz .LBB107_211
; %bb.210:
	v_mov_b32_e32 v2, s22
	s_clause 0x3
	buffer_load_dword v93, v2, s[0:3], 0 offen
	buffer_load_dword v94, v2, s[0:3], 0 offen offset:4
	buffer_load_dword v95, v2, s[0:3], 0 offen offset:8
	;; [unrolled: 1-line block ×3, first 2 shown]
	buffer_store_dword v1, off, s[0:3], 0 offset:544
	buffer_store_dword v1, off, s[0:3], 0 offset:548
	buffer_store_dword v1, off, s[0:3], 0 offset:552
	buffer_store_dword v1, off, s[0:3], 0 offset:556
	s_waitcnt vmcnt(0)
	ds_write_b128 v149, v[93:96]
.LBB107_211:
	s_or_b32 exec_lo, exec_lo, s4
	s_waitcnt lgkmcnt(0)
	s_waitcnt_vscnt null, 0x0
	s_barrier
	buffer_gl0_inv
	s_clause 0x2b
	buffer_load_dword v2, off, s[0:3], 0 offset:568
	buffer_load_dword v3, off, s[0:3], 0 offset:572
	;; [unrolled: 1-line block ×44, first 2 shown]
	ds_read_b128 v[93:96], v1 offset:1248
	ds_read_b128 v[97:100], v1 offset:1264
	;; [unrolled: 1-line block ×3, first 2 shown]
	s_mov_b32 s4, exec_lo
	s_waitcnt vmcnt(42) lgkmcnt(2)
	v_mul_f64 v[147:148], v[95:96], v[2:3]
	v_mul_f64 v[2:3], v[93:94], v[2:3]
	s_waitcnt vmcnt(40) lgkmcnt(1)
	v_mul_f64 v[150:151], v[99:100], v[105:106]
	v_mul_f64 v[105:106], v[97:98], v[105:106]
	s_waitcnt vmcnt(38)
	v_fma_f64 v[147:148], v[93:94], v[107:108], -v[147:148]
	v_fma_f64 v[2:3], v[95:96], v[107:108], v[2:3]
	ds_read_b128 v[93:96], v1 offset:1296
	s_waitcnt vmcnt(36) lgkmcnt(1)
	v_mul_f64 v[107:108], v[101:102], v[109:110]
	v_mul_f64 v[109:110], v[103:104], v[109:110]
	s_waitcnt vmcnt(34)
	v_fma_f64 v[150:151], v[97:98], v[111:112], -v[150:151]
	v_fma_f64 v[105:106], v[99:100], v[111:112], v[105:106]
	ds_read_b128 v[97:100], v1 offset:1312
	s_waitcnt vmcnt(30) lgkmcnt(1)
	v_mul_f64 v[111:112], v[93:94], v[113:114]
	v_add_f64 v[147:148], v[147:148], 0
	v_add_f64 v[2:3], v[2:3], 0
	v_mul_f64 v[113:114], v[95:96], v[113:114]
	s_waitcnt vmcnt(28)
	v_fma_f64 v[109:110], v[101:102], v[119:120], -v[109:110]
	v_fma_f64 v[107:108], v[103:104], v[119:120], v[107:108]
	ds_read_b128 v[101:104], v1 offset:1328
	s_waitcnt vmcnt(25)
	v_fma_f64 v[111:112], v[95:96], v[121:122], v[111:112]
	v_add_f64 v[147:148], v[147:148], v[150:151]
	v_add_f64 v[2:3], v[2:3], v[105:106]
	s_waitcnt lgkmcnt(1)
	v_mul_f64 v[105:106], v[97:98], v[115:116]
	v_mul_f64 v[115:116], v[99:100], v[115:116]
	v_fma_f64 v[113:114], v[93:94], v[121:122], -v[113:114]
	s_waitcnt vmcnt(21) lgkmcnt(0)
	v_mul_f64 v[119:120], v[103:104], v[123:124]
	ds_read_b128 v[93:96], v1 offset:1344
	v_add_f64 v[109:110], v[147:148], v[109:110]
	v_add_f64 v[2:3], v[2:3], v[107:108]
	v_mul_f64 v[107:108], v[101:102], v[123:124]
	s_waitcnt vmcnt(20)
	v_fma_f64 v[115:116], v[97:98], v[117:118], -v[115:116]
	v_fma_f64 v[105:106], v[99:100], v[117:118], v[105:106]
	ds_read_b128 v[97:100], v1 offset:1360
	s_waitcnt vmcnt(17)
	v_fma_f64 v[117:118], v[101:102], v[129:130], -v[119:120]
	v_add_f64 v[109:110], v[109:110], v[113:114]
	v_add_f64 v[2:3], v[2:3], v[111:112]
	s_waitcnt lgkmcnt(1)
	v_mul_f64 v[113:114], v[95:96], v[125:126]
	v_mul_f64 v[111:112], v[93:94], v[125:126]
	v_fma_f64 v[107:108], v[103:104], v[129:130], v[107:108]
	ds_read_b128 v[101:104], v1 offset:1376
	v_add_f64 v[109:110], v[109:110], v[115:116]
	v_add_f64 v[2:3], v[2:3], v[105:106]
	s_waitcnt vmcnt(13) lgkmcnt(1)
	v_mul_f64 v[115:116], v[99:100], v[131:132]
	s_waitcnt vmcnt(12)
	v_fma_f64 v[93:94], v[93:94], v[127:128], -v[113:114]
	v_mul_f64 v[105:106], v[97:98], v[131:132]
	v_fma_f64 v[95:96], v[95:96], v[127:128], v[111:112]
	s_waitcnt vmcnt(11) lgkmcnt(0)
	v_mul_f64 v[113:114], v[103:104], v[133:134]
	v_mul_f64 v[111:112], v[101:102], v[133:134]
	v_add_f64 v[109:110], v[109:110], v[117:118]
	v_add_f64 v[107:108], v[2:3], v[107:108]
	s_waitcnt vmcnt(9)
	v_fma_f64 v[97:98], v[97:98], v[137:138], -v[115:116]
	ds_read_b128 v[1:4], v1 offset:1392
	v_fma_f64 v[99:100], v[99:100], v[137:138], v[105:106]
	s_waitcnt vmcnt(6)
	v_fma_f64 v[101:102], v[101:102], v[135:136], -v[113:114]
	v_add_f64 v[93:94], v[109:110], v[93:94]
	v_add_f64 v[95:96], v[107:108], v[95:96]
	s_waitcnt lgkmcnt(0)
	v_mul_f64 v[107:108], v[3:4], v[139:140]
	v_mul_f64 v[105:106], v[1:2], v[139:140]
	v_add_f64 v[93:94], v[93:94], v[97:98]
	v_fma_f64 v[97:98], v[103:104], v[135:136], v[111:112]
	v_add_f64 v[95:96], v[95:96], v[99:100]
	s_waitcnt vmcnt(4)
	v_fma_f64 v[1:2], v[1:2], v[141:142], -v[107:108]
	v_fma_f64 v[3:4], v[3:4], v[141:142], v[105:106]
	v_add_f64 v[93:94], v[93:94], v[101:102]
	v_add_f64 v[95:96], v[95:96], v[97:98]
	;; [unrolled: 1-line block ×4, first 2 shown]
	s_waitcnt vmcnt(2)
	v_add_f64 v[1:2], v[143:144], -v[1:2]
	s_waitcnt vmcnt(0)
	v_add_f64 v[3:4], v[145:146], -v[3:4]
	buffer_store_dword v2, off, s[0:3], 0 offset:548
	buffer_store_dword v1, off, s[0:3], 0 offset:544
	;; [unrolled: 1-line block ×4, first 2 shown]
	v_cmpx_lt_u32_e32 32, v0
	s_cbranch_execz .LBB107_213
; %bb.212:
	v_mov_b32_e32 v4, s23
	v_mov_b32_e32 v93, 0
	s_clause 0x3
	buffer_load_dword v1, v4, s[0:3], 0 offen
	buffer_load_dword v2, v4, s[0:3], 0 offen offset:4
	buffer_load_dword v3, v4, s[0:3], 0 offen offset:8
	;; [unrolled: 1-line block ×3, first 2 shown]
	buffer_store_dword v93, off, s[0:3], 0 offset:528
	buffer_store_dword v93, off, s[0:3], 0 offset:532
	;; [unrolled: 1-line block ×4, first 2 shown]
	s_waitcnt vmcnt(0)
	ds_write_b128 v149, v[1:4]
.LBB107_213:
	s_or_b32 exec_lo, exec_lo, s4
	s_waitcnt lgkmcnt(0)
	s_waitcnt_vscnt null, 0x0
	s_barrier
	buffer_gl0_inv
	s_clause 0x2f
	buffer_load_dword v2, off, s[0:3], 0 offset:552
	buffer_load_dword v3, off, s[0:3], 0 offset:556
	;; [unrolled: 1-line block ×48, first 2 shown]
	v_mov_b32_e32 v1, 0
	ds_read_b128 v[93:96], v1 offset:1232
	ds_read_b128 v[97:100], v1 offset:1248
	;; [unrolled: 1-line block ×3, first 2 shown]
	s_mov_b32 s4, exec_lo
	s_waitcnt vmcnt(46) lgkmcnt(2)
	v_mul_f64 v[152:153], v[95:96], v[2:3]
	v_mul_f64 v[2:3], v[93:94], v[2:3]
	s_waitcnt vmcnt(44) lgkmcnt(1)
	v_mul_f64 v[154:155], v[99:100], v[105:106]
	v_mul_f64 v[105:106], v[97:98], v[105:106]
	s_waitcnt vmcnt(42)
	v_fma_f64 v[152:153], v[93:94], v[107:108], -v[152:153]
	v_fma_f64 v[2:3], v[95:96], v[107:108], v[2:3]
	ds_read_b128 v[93:96], v1 offset:1280
	s_waitcnt vmcnt(40) lgkmcnt(1)
	v_mul_f64 v[107:108], v[101:102], v[109:110]
	v_mul_f64 v[109:110], v[103:104], v[109:110]
	s_waitcnt vmcnt(38)
	v_fma_f64 v[154:155], v[97:98], v[111:112], -v[154:155]
	v_fma_f64 v[105:106], v[99:100], v[111:112], v[105:106]
	ds_read_b128 v[97:100], v1 offset:1296
	s_waitcnt vmcnt(34) lgkmcnt(1)
	v_mul_f64 v[111:112], v[93:94], v[113:114]
	v_add_f64 v[152:153], v[152:153], 0
	v_add_f64 v[2:3], v[2:3], 0
	v_mul_f64 v[113:114], v[95:96], v[113:114]
	s_waitcnt vmcnt(32)
	v_fma_f64 v[109:110], v[101:102], v[119:120], -v[109:110]
	v_fma_f64 v[107:108], v[103:104], v[119:120], v[107:108]
	ds_read_b128 v[101:104], v1 offset:1312
	s_waitcnt vmcnt(29)
	v_fma_f64 v[111:112], v[95:96], v[121:122], v[111:112]
	v_add_f64 v[152:153], v[152:153], v[154:155]
	v_add_f64 v[2:3], v[2:3], v[105:106]
	s_waitcnt lgkmcnt(1)
	v_mul_f64 v[105:106], v[97:98], v[115:116]
	v_mul_f64 v[115:116], v[99:100], v[115:116]
	v_fma_f64 v[113:114], v[93:94], v[121:122], -v[113:114]
	s_waitcnt vmcnt(25) lgkmcnt(0)
	v_mul_f64 v[119:120], v[103:104], v[123:124]
	ds_read_b128 v[93:96], v1 offset:1328
	v_add_f64 v[109:110], v[152:153], v[109:110]
	v_add_f64 v[2:3], v[2:3], v[107:108]
	v_mul_f64 v[107:108], v[101:102], v[123:124]
	s_waitcnt vmcnt(24)
	v_fma_f64 v[115:116], v[97:98], v[117:118], -v[115:116]
	v_fma_f64 v[105:106], v[99:100], v[117:118], v[105:106]
	ds_read_b128 v[97:100], v1 offset:1344
	s_waitcnt vmcnt(21)
	v_fma_f64 v[117:118], v[101:102], v[129:130], -v[119:120]
	v_add_f64 v[109:110], v[109:110], v[113:114]
	v_add_f64 v[2:3], v[2:3], v[111:112]
	s_waitcnt lgkmcnt(1)
	v_mul_f64 v[113:114], v[95:96], v[125:126]
	v_mul_f64 v[111:112], v[93:94], v[125:126]
	v_fma_f64 v[107:108], v[103:104], v[129:130], v[107:108]
	ds_read_b128 v[101:104], v1 offset:1360
	v_add_f64 v[109:110], v[109:110], v[115:116]
	v_add_f64 v[2:3], v[2:3], v[105:106]
	s_waitcnt vmcnt(17) lgkmcnt(1)
	v_mul_f64 v[115:116], v[99:100], v[131:132]
	s_waitcnt vmcnt(16)
	v_fma_f64 v[113:114], v[93:94], v[127:128], -v[113:114]
	v_mul_f64 v[105:106], v[97:98], v[131:132]
	v_fma_f64 v[111:112], v[95:96], v[127:128], v[111:112]
	ds_read_b128 v[93:96], v1 offset:1376
	v_add_f64 v[109:110], v[109:110], v[117:118]
	v_add_f64 v[2:3], v[2:3], v[107:108]
	s_waitcnt vmcnt(15) lgkmcnt(1)
	v_mul_f64 v[117:118], v[103:104], v[133:134]
	s_waitcnt vmcnt(13)
	v_fma_f64 v[115:116], v[97:98], v[137:138], -v[115:116]
	;; [unrolled: 9-line block ×3, first 2 shown]
	v_mul_f64 v[111:112], v[93:94], v[139:140]
	v_fma_f64 v[103:104], v[103:104], v[135:136], v[107:108]
	s_waitcnt vmcnt(7) lgkmcnt(0)
	v_mul_f64 v[107:108], v[99:100], v[141:142]
	v_add_f64 v[109:110], v[109:110], v[115:116]
	v_add_f64 v[2:3], v[2:3], v[105:106]
	s_waitcnt vmcnt(5)
	v_fma_f64 v[93:94], v[93:94], v[145:146], -v[113:114]
	v_mul_f64 v[105:106], v[97:98], v[141:142]
	v_fma_f64 v[95:96], v[95:96], v[145:146], v[111:112]
	s_waitcnt vmcnt(4)
	v_fma_f64 v[97:98], v[97:98], v[143:144], -v[107:108]
	v_add_f64 v[101:102], v[109:110], v[101:102]
	v_add_f64 v[2:3], v[2:3], v[103:104]
	v_fma_f64 v[99:100], v[99:100], v[143:144], v[105:106]
	v_add_f64 v[93:94], v[101:102], v[93:94]
	v_add_f64 v[2:3], v[2:3], v[95:96]
	;; [unrolled: 1-line block ×4, first 2 shown]
	s_waitcnt vmcnt(2)
	v_add_f64 v[93:94], v[147:148], -v[93:94]
	s_waitcnt vmcnt(0)
	v_add_f64 v[2:3], v[150:151], -v[2:3]
	buffer_store_dword v94, off, s[0:3], 0 offset:532
	buffer_store_dword v93, off, s[0:3], 0 offset:528
	;; [unrolled: 1-line block ×4, first 2 shown]
	v_cmpx_lt_u32_e32 31, v0
	s_cbranch_execz .LBB107_215
; %bb.214:
	v_mov_b32_e32 v2, s24
	s_clause 0x3
	buffer_load_dword v93, v2, s[0:3], 0 offen
	buffer_load_dword v94, v2, s[0:3], 0 offen offset:4
	buffer_load_dword v95, v2, s[0:3], 0 offen offset:8
	;; [unrolled: 1-line block ×3, first 2 shown]
	buffer_store_dword v1, off, s[0:3], 0 offset:512
	buffer_store_dword v1, off, s[0:3], 0 offset:516
	;; [unrolled: 1-line block ×4, first 2 shown]
	s_waitcnt vmcnt(0)
	ds_write_b128 v149, v[93:96]
.LBB107_215:
	s_or_b32 exec_lo, exec_lo, s4
	s_waitcnt lgkmcnt(0)
	s_waitcnt_vscnt null, 0x0
	s_barrier
	buffer_gl0_inv
	s_clause 0x2f
	buffer_load_dword v2, off, s[0:3], 0 offset:536
	buffer_load_dword v3, off, s[0:3], 0 offset:540
	;; [unrolled: 1-line block ×48, first 2 shown]
	ds_read_b128 v[93:96], v1 offset:1216
	s_clause 0x3
	buffer_load_dword v152, off, s[0:3], 0 offset:512
	buffer_load_dword v153, off, s[0:3], 0 offset:516
	;; [unrolled: 1-line block ×4, first 2 shown]
	ds_read_b128 v[97:100], v1 offset:1232
	ds_read_b128 v[101:104], v1 offset:1248
	s_mov_b32 s4, exec_lo
	s_waitcnt vmcnt(50) lgkmcnt(2)
	v_mul_f64 v[156:157], v[95:96], v[2:3]
	v_mul_f64 v[2:3], v[93:94], v[2:3]
	s_waitcnt vmcnt(48) lgkmcnt(1)
	v_mul_f64 v[158:159], v[99:100], v[105:106]
	v_mul_f64 v[105:106], v[97:98], v[105:106]
	s_waitcnt vmcnt(46)
	v_fma_f64 v[156:157], v[93:94], v[107:108], -v[156:157]
	v_fma_f64 v[2:3], v[95:96], v[107:108], v[2:3]
	s_waitcnt vmcnt(44) lgkmcnt(0)
	v_mul_f64 v[107:108], v[101:102], v[109:110]
	v_mul_f64 v[109:110], v[103:104], v[109:110]
	s_waitcnt vmcnt(42)
	v_fma_f64 v[158:159], v[97:98], v[111:112], -v[158:159]
	ds_read_b128 v[93:96], v1 offset:1264
	v_fma_f64 v[105:106], v[99:100], v[111:112], v[105:106]
	ds_read_b128 v[97:100], v1 offset:1280
	v_add_f64 v[156:157], v[156:157], 0
	v_add_f64 v[2:3], v[2:3], 0
	s_waitcnt vmcnt(38)
	v_fma_f64 v[107:108], v[103:104], v[115:116], v[107:108]
	s_waitcnt lgkmcnt(1)
	v_mul_f64 v[111:112], v[93:94], v[113:114]
	v_mul_f64 v[113:114], v[95:96], v[113:114]
	v_fma_f64 v[109:110], v[101:102], v[115:116], -v[109:110]
	s_waitcnt vmcnt(36) lgkmcnt(0)
	v_mul_f64 v[115:116], v[99:100], v[117:118]
	ds_read_b128 v[101:104], v1 offset:1296
	v_add_f64 v[156:157], v[156:157], v[158:159]
	v_add_f64 v[2:3], v[2:3], v[105:106]
	v_mul_f64 v[105:106], v[97:98], v[117:118]
	s_waitcnt vmcnt(34)
	v_fma_f64 v[111:112], v[95:96], v[119:120], v[111:112]
	v_fma_f64 v[113:114], v[93:94], v[119:120], -v[113:114]
	ds_read_b128 v[93:96], v1 offset:1312
	s_waitcnt vmcnt(32) lgkmcnt(1)
	v_mul_f64 v[117:118], v[103:104], v[121:122]
	s_waitcnt vmcnt(30)
	v_fma_f64 v[115:116], v[97:98], v[123:124], -v[115:116]
	v_add_f64 v[109:110], v[156:157], v[109:110]
	v_add_f64 v[2:3], v[2:3], v[107:108]
	v_mul_f64 v[107:108], v[101:102], v[121:122]
	v_fma_f64 v[105:106], v[99:100], v[123:124], v[105:106]
	ds_read_b128 v[97:100], v1 offset:1328
	s_waitcnt vmcnt(26)
	v_fma_f64 v[117:118], v[101:102], v[127:128], -v[117:118]
	v_add_f64 v[109:110], v[109:110], v[113:114]
	v_add_f64 v[2:3], v[2:3], v[111:112]
	s_waitcnt lgkmcnt(1)
	v_mul_f64 v[113:114], v[95:96], v[125:126]
	v_mul_f64 v[111:112], v[93:94], v[125:126]
	v_fma_f64 v[107:108], v[103:104], v[127:128], v[107:108]
	ds_read_b128 v[101:104], v1 offset:1344
	v_add_f64 v[109:110], v[109:110], v[115:116]
	v_add_f64 v[2:3], v[2:3], v[105:106]
	s_waitcnt vmcnt(24) lgkmcnt(1)
	v_mul_f64 v[115:116], v[99:100], v[129:130]
	s_waitcnt vmcnt(22)
	v_fma_f64 v[113:114], v[93:94], v[131:132], -v[113:114]
	v_mul_f64 v[105:106], v[97:98], v[129:130]
	v_fma_f64 v[111:112], v[95:96], v[131:132], v[111:112]
	ds_read_b128 v[93:96], v1 offset:1360
	v_add_f64 v[109:110], v[109:110], v[117:118]
	v_add_f64 v[2:3], v[2:3], v[107:108]
	s_waitcnt vmcnt(20) lgkmcnt(1)
	v_mul_f64 v[117:118], v[103:104], v[133:134]
	s_waitcnt vmcnt(18)
	v_fma_f64 v[115:116], v[97:98], v[135:136], -v[115:116]
	;; [unrolled: 9-line block ×3, first 2 shown]
	v_mul_f64 v[111:112], v[93:94], v[137:138]
	v_fma_f64 v[103:104], v[103:104], v[139:140], v[107:108]
	s_waitcnt vmcnt(12) lgkmcnt(0)
	v_mul_f64 v[107:108], v[97:98], v[141:142]
	v_add_f64 v[109:110], v[109:110], v[115:116]
	v_add_f64 v[105:106], v[2:3], v[105:106]
	v_mul_f64 v[115:116], v[99:100], v[141:142]
	s_waitcnt vmcnt(10)
	v_fma_f64 v[93:94], v[93:94], v[143:144], -v[113:114]
	ds_read_b128 v[1:4], v1 offset:1392
	v_fma_f64 v[95:96], v[95:96], v[143:144], v[111:112]
	s_waitcnt vmcnt(6)
	v_fma_f64 v[99:100], v[99:100], v[147:148], v[107:108]
	v_add_f64 v[101:102], v[109:110], v[101:102]
	v_add_f64 v[103:104], v[105:106], v[103:104]
	s_waitcnt lgkmcnt(0)
	v_mul_f64 v[109:110], v[3:4], v[145:146]
	v_fma_f64 v[97:98], v[97:98], v[147:148], -v[115:116]
	v_mul_f64 v[105:106], v[1:2], v[145:146]
	v_add_f64 v[93:94], v[101:102], v[93:94]
	v_add_f64 v[95:96], v[103:104], v[95:96]
	s_waitcnt vmcnt(4)
	v_fma_f64 v[1:2], v[1:2], v[150:151], -v[109:110]
	v_fma_f64 v[3:4], v[3:4], v[150:151], v[105:106]
	v_add_f64 v[93:94], v[93:94], v[97:98]
	v_add_f64 v[95:96], v[95:96], v[99:100]
	;; [unrolled: 1-line block ×4, first 2 shown]
	s_waitcnt vmcnt(2)
	v_add_f64 v[1:2], v[152:153], -v[1:2]
	s_waitcnt vmcnt(0)
	v_add_f64 v[3:4], v[154:155], -v[3:4]
	buffer_store_dword v2, off, s[0:3], 0 offset:516
	buffer_store_dword v1, off, s[0:3], 0 offset:512
	;; [unrolled: 1-line block ×4, first 2 shown]
	v_cmpx_lt_u32_e32 30, v0
	s_cbranch_execz .LBB107_217
; %bb.216:
	v_mov_b32_e32 v4, s25
	v_mov_b32_e32 v93, 0
	s_clause 0x3
	buffer_load_dword v1, v4, s[0:3], 0 offen
	buffer_load_dword v2, v4, s[0:3], 0 offen offset:4
	buffer_load_dword v3, v4, s[0:3], 0 offen offset:8
	;; [unrolled: 1-line block ×3, first 2 shown]
	buffer_store_dword v93, off, s[0:3], 0 offset:496
	buffer_store_dword v93, off, s[0:3], 0 offset:500
	;; [unrolled: 1-line block ×4, first 2 shown]
	s_waitcnt vmcnt(0)
	ds_write_b128 v149, v[1:4]
.LBB107_217:
	s_or_b32 exec_lo, exec_lo, s4
	s_waitcnt lgkmcnt(0)
	s_waitcnt_vscnt null, 0x0
	s_barrier
	buffer_gl0_inv
	s_clause 0x33
	buffer_load_dword v2, off, s[0:3], 0 offset:520
	buffer_load_dword v3, off, s[0:3], 0 offset:524
	;; [unrolled: 1-line block ×52, first 2 shown]
	v_mov_b32_e32 v1, 0
	ds_read_b128 v[93:96], v1 offset:1200
	ds_read_b128 v[97:100], v1 offset:1216
	s_clause 0x3
	buffer_load_dword v158, off, s[0:3], 0 offset:496
	buffer_load_dword v159, off, s[0:3], 0 offset:500
	;; [unrolled: 1-line block ×4, first 2 shown]
	ds_read_b128 v[101:104], v1 offset:1232
	s_mov_b32 s4, exec_lo
	s_waitcnt vmcnt(54) lgkmcnt(2)
	v_mul_f64 v[156:157], v[95:96], v[2:3]
	v_mul_f64 v[2:3], v[93:94], v[2:3]
	s_waitcnt vmcnt(52) lgkmcnt(1)
	v_mul_f64 v[162:163], v[99:100], v[105:106]
	v_mul_f64 v[105:106], v[97:98], v[105:106]
	s_waitcnt vmcnt(50)
	v_fma_f64 v[156:157], v[93:94], v[107:108], -v[156:157]
	v_fma_f64 v[2:3], v[95:96], v[107:108], v[2:3]
	ds_read_b128 v[93:96], v1 offset:1248
	s_waitcnt vmcnt(48) lgkmcnt(1)
	v_mul_f64 v[107:108], v[101:102], v[109:110]
	v_mul_f64 v[109:110], v[103:104], v[109:110]
	s_waitcnt vmcnt(46)
	v_fma_f64 v[162:163], v[97:98], v[111:112], -v[162:163]
	v_fma_f64 v[105:106], v[99:100], v[111:112], v[105:106]
	ds_read_b128 v[97:100], v1 offset:1264
	s_waitcnt vmcnt(42) lgkmcnt(1)
	v_mul_f64 v[111:112], v[93:94], v[113:114]
	v_add_f64 v[156:157], v[156:157], 0
	v_add_f64 v[2:3], v[2:3], 0
	v_mul_f64 v[113:114], v[95:96], v[113:114]
	s_waitcnt vmcnt(40)
	v_fma_f64 v[109:110], v[101:102], v[119:120], -v[109:110]
	v_fma_f64 v[107:108], v[103:104], v[119:120], v[107:108]
	ds_read_b128 v[101:104], v1 offset:1280
	s_waitcnt vmcnt(37)
	v_fma_f64 v[111:112], v[95:96], v[121:122], v[111:112]
	v_add_f64 v[156:157], v[156:157], v[162:163]
	v_add_f64 v[2:3], v[2:3], v[105:106]
	s_waitcnt lgkmcnt(1)
	v_mul_f64 v[105:106], v[97:98], v[115:116]
	v_mul_f64 v[115:116], v[99:100], v[115:116]
	v_fma_f64 v[113:114], v[93:94], v[121:122], -v[113:114]
	s_waitcnt vmcnt(33) lgkmcnt(0)
	v_mul_f64 v[119:120], v[103:104], v[123:124]
	ds_read_b128 v[93:96], v1 offset:1296
	v_add_f64 v[109:110], v[156:157], v[109:110]
	v_add_f64 v[2:3], v[2:3], v[107:108]
	v_mul_f64 v[107:108], v[101:102], v[123:124]
	s_waitcnt vmcnt(32)
	v_fma_f64 v[115:116], v[97:98], v[117:118], -v[115:116]
	v_fma_f64 v[105:106], v[99:100], v[117:118], v[105:106]
	ds_read_b128 v[97:100], v1 offset:1312
	s_waitcnt vmcnt(29)
	v_fma_f64 v[117:118], v[101:102], v[129:130], -v[119:120]
	v_add_f64 v[109:110], v[109:110], v[113:114]
	v_add_f64 v[2:3], v[2:3], v[111:112]
	s_waitcnt lgkmcnt(1)
	v_mul_f64 v[113:114], v[95:96], v[125:126]
	v_mul_f64 v[111:112], v[93:94], v[125:126]
	v_fma_f64 v[107:108], v[103:104], v[129:130], v[107:108]
	ds_read_b128 v[101:104], v1 offset:1328
	v_add_f64 v[109:110], v[109:110], v[115:116]
	v_add_f64 v[2:3], v[2:3], v[105:106]
	s_waitcnt vmcnt(25) lgkmcnt(1)
	v_mul_f64 v[115:116], v[99:100], v[131:132]
	s_waitcnt vmcnt(24)
	v_fma_f64 v[113:114], v[93:94], v[127:128], -v[113:114]
	v_mul_f64 v[105:106], v[97:98], v[131:132]
	v_fma_f64 v[111:112], v[95:96], v[127:128], v[111:112]
	ds_read_b128 v[93:96], v1 offset:1344
	v_add_f64 v[109:110], v[109:110], v[117:118]
	v_add_f64 v[2:3], v[2:3], v[107:108]
	s_waitcnt vmcnt(23) lgkmcnt(1)
	v_mul_f64 v[117:118], v[103:104], v[133:134]
	s_waitcnt vmcnt(21)
	v_fma_f64 v[115:116], v[97:98], v[137:138], -v[115:116]
	;; [unrolled: 9-line block ×5, first 2 shown]
	v_mul_f64 v[107:108], v[101:102], v[147:148]
	v_fma_f64 v[99:100], v[99:100], v[143:144], v[105:106]
	s_waitcnt vmcnt(7) lgkmcnt(0)
	v_mul_f64 v[105:106], v[93:94], v[150:151]
	v_add_f64 v[109:110], v[109:110], v[113:114]
	v_add_f64 v[2:3], v[2:3], v[111:112]
	v_mul_f64 v[111:112], v[95:96], v[150:151]
	s_waitcnt vmcnt(5)
	v_fma_f64 v[101:102], v[101:102], v[154:155], -v[117:118]
	v_fma_f64 v[103:104], v[103:104], v[154:155], v[107:108]
	s_waitcnt vmcnt(4)
	v_fma_f64 v[95:96], v[95:96], v[152:153], v[105:106]
	v_add_f64 v[97:98], v[109:110], v[97:98]
	v_add_f64 v[2:3], v[2:3], v[99:100]
	v_fma_f64 v[93:94], v[93:94], v[152:153], -v[111:112]
	v_add_f64 v[97:98], v[97:98], v[101:102]
	v_add_f64 v[2:3], v[2:3], v[103:104]
	;; [unrolled: 1-line block ×4, first 2 shown]
	s_waitcnt vmcnt(2)
	v_add_f64 v[93:94], v[158:159], -v[93:94]
	s_waitcnt vmcnt(0)
	v_add_f64 v[2:3], v[160:161], -v[2:3]
	buffer_store_dword v94, off, s[0:3], 0 offset:500
	buffer_store_dword v93, off, s[0:3], 0 offset:496
	;; [unrolled: 1-line block ×4, first 2 shown]
	v_cmpx_lt_u32_e32 29, v0
	s_cbranch_execz .LBB107_219
; %bb.218:
	v_mov_b32_e32 v2, s26
	s_clause 0x3
	buffer_load_dword v93, v2, s[0:3], 0 offen
	buffer_load_dword v94, v2, s[0:3], 0 offen offset:4
	buffer_load_dword v95, v2, s[0:3], 0 offen offset:8
	;; [unrolled: 1-line block ×3, first 2 shown]
	buffer_store_dword v1, off, s[0:3], 0 offset:480
	buffer_store_dword v1, off, s[0:3], 0 offset:484
	;; [unrolled: 1-line block ×4, first 2 shown]
	s_waitcnt vmcnt(0)
	ds_write_b128 v149, v[93:96]
.LBB107_219:
	s_or_b32 exec_lo, exec_lo, s4
	s_waitcnt lgkmcnt(0)
	s_waitcnt_vscnt null, 0x0
	s_barrier
	buffer_gl0_inv
	s_clause 0x35
	buffer_load_dword v2, off, s[0:3], 0 offset:504
	buffer_load_dword v3, off, s[0:3], 0 offset:508
	;; [unrolled: 1-line block ×54, first 2 shown]
	ds_read_b128 v[93:96], v1 offset:1184
	s_clause 0x1
	buffer_load_dword v159, off, s[0:3], 0 offset:708
	buffer_load_dword v158, off, s[0:3], 0 offset:704
	ds_read_b128 v[97:100], v1 offset:1200
	ds_read_b128 v[101:104], v1 offset:1216
	s_mov_b32 s4, exec_lo
	s_waitcnt vmcnt(54) lgkmcnt(2)
	v_mul_f64 v[160:161], v[95:96], v[2:3]
	v_mul_f64 v[2:3], v[93:94], v[2:3]
	s_waitcnt vmcnt(52) lgkmcnt(1)
	v_mul_f64 v[162:163], v[99:100], v[105:106]
	v_mul_f64 v[105:106], v[97:98], v[105:106]
	;; [unrolled: 3-line block ×3, first 2 shown]
	v_fma_f64 v[160:161], v[93:94], v[107:108], -v[160:161]
	v_fma_f64 v[2:3], v[95:96], v[107:108], v[2:3]
	s_clause 0x3
	buffer_load_dword v107, off, s[0:3], 0 offset:480
	buffer_load_dword v108, off, s[0:3], 0 offset:484
	;; [unrolled: 1-line block ×4, first 2 shown]
	s_waitcnt vmcnt(50)
	v_fma_f64 v[162:163], v[97:98], v[111:112], -v[162:163]
	ds_read_b128 v[93:96], v1 offset:1232
	v_fma_f64 v[105:106], v[99:100], v[111:112], v[105:106]
	ds_read_b128 v[97:100], v1 offset:1248
	s_waitcnt vmcnt(44)
	v_fma_f64 v[109:110], v[101:102], v[119:120], -v[109:110]
	v_fma_f64 v[119:120], v[103:104], v[119:120], v[166:167]
	ds_read_b128 v[101:104], v1 offset:1264
	v_add_f64 v[160:161], v[160:161], 0
	v_add_f64 v[2:3], v[2:3], 0
	s_waitcnt lgkmcnt(2)
	v_mul_f64 v[111:112], v[93:94], v[113:114]
	v_mul_f64 v[113:114], v[95:96], v[113:114]
	v_add_f64 v[160:161], v[160:161], v[162:163]
	v_add_f64 v[2:3], v[2:3], v[105:106]
	s_waitcnt vmcnt(43) lgkmcnt(1)
	v_mul_f64 v[105:106], v[97:98], v[115:116]
	v_mul_f64 v[115:116], v[99:100], v[115:116]
	s_waitcnt vmcnt(41)
	v_fma_f64 v[113:114], v[93:94], v[121:122], -v[113:114]
	v_fma_f64 v[111:112], v[95:96], v[121:122], v[111:112]
	ds_read_b128 v[93:96], v1 offset:1280
	s_waitcnt vmcnt(37) lgkmcnt(1)
	v_mul_f64 v[121:122], v[103:104], v[123:124]
	v_add_f64 v[109:110], v[160:161], v[109:110]
	v_add_f64 v[2:3], v[2:3], v[119:120]
	v_mul_f64 v[119:120], v[101:102], v[123:124]
	s_waitcnt vmcnt(36)
	v_fma_f64 v[115:116], v[97:98], v[117:118], -v[115:116]
	v_fma_f64 v[105:106], v[99:100], v[117:118], v[105:106]
	ds_read_b128 v[97:100], v1 offset:1296
	s_waitcnt vmcnt(33)
	v_fma_f64 v[117:118], v[101:102], v[129:130], -v[121:122]
	v_add_f64 v[109:110], v[109:110], v[113:114]
	v_add_f64 v[2:3], v[2:3], v[111:112]
	s_waitcnt lgkmcnt(1)
	v_mul_f64 v[113:114], v[95:96], v[125:126]
	v_mul_f64 v[111:112], v[93:94], v[125:126]
	v_add_f64 v[109:110], v[109:110], v[115:116]
	v_fma_f64 v[115:116], v[103:104], v[129:130], v[119:120]
	v_add_f64 v[2:3], v[2:3], v[105:106]
	ds_read_b128 v[101:104], v1 offset:1312
	s_waitcnt vmcnt(29) lgkmcnt(1)
	v_mul_f64 v[119:120], v[99:100], v[131:132]
	s_waitcnt vmcnt(28)
	v_fma_f64 v[113:114], v[93:94], v[127:128], -v[113:114]
	v_mul_f64 v[105:106], v[97:98], v[131:132]
	v_fma_f64 v[111:112], v[95:96], v[127:128], v[111:112]
	ds_read_b128 v[93:96], v1 offset:1328
	v_add_f64 v[109:110], v[109:110], v[117:118]
	s_waitcnt vmcnt(27) lgkmcnt(1)
	v_mul_f64 v[117:118], v[103:104], v[133:134]
	v_add_f64 v[2:3], v[2:3], v[115:116]
	v_mul_f64 v[115:116], v[101:102], v[133:134]
	s_waitcnt vmcnt(25)
	v_fma_f64 v[119:120], v[97:98], v[137:138], -v[119:120]
	v_fma_f64 v[105:106], v[99:100], v[137:138], v[105:106]
	ds_read_b128 v[97:100], v1 offset:1344
	v_add_f64 v[109:110], v[109:110], v[113:114]
	s_waitcnt vmcnt(21) lgkmcnt(1)
	v_mul_f64 v[113:114], v[95:96], v[139:140]
	v_add_f64 v[2:3], v[2:3], v[111:112]
	s_waitcnt vmcnt(20)
	v_fma_f64 v[117:118], v[101:102], v[135:136], -v[117:118]
	v_mul_f64 v[111:112], v[93:94], v[139:140]
	v_fma_f64 v[115:116], v[103:104], v[135:136], v[115:116]
	ds_read_b128 v[101:104], v1 offset:1360
	v_add_f64 v[109:110], v[109:110], v[119:120]
	s_waitcnt vmcnt(19) lgkmcnt(1)
	v_mul_f64 v[119:120], v[99:100], v[141:142]
	v_add_f64 v[2:3], v[2:3], v[105:106]
	s_waitcnt vmcnt(17)
	v_fma_f64 v[113:114], v[93:94], v[145:146], -v[113:114]
	v_mul_f64 v[105:106], v[97:98], v[141:142]
	;; [unrolled: 9-line block ×3, first 2 shown]
	v_fma_f64 v[99:100], v[99:100], v[143:144], v[105:106]
	v_add_f64 v[109:110], v[109:110], v[113:114]
	s_waitcnt vmcnt(11) lgkmcnt(0)
	v_mul_f64 v[113:114], v[95:96], v[150:151]
	v_add_f64 v[105:106], v[2:3], v[111:112]
	s_waitcnt vmcnt(9)
	v_fma_f64 v[101:102], v[101:102], v[154:155], -v[117:118]
	ds_read_b128 v[1:4], v1 offset:1392
	v_mul_f64 v[111:112], v[93:94], v[150:151]
	v_fma_f64 v[103:104], v[103:104], v[154:155], v[115:116]
	v_add_f64 v[97:98], v[109:110], v[97:98]
	s_waitcnt vmcnt(6)
	v_fma_f64 v[93:94], v[93:94], v[152:153], -v[113:114]
	v_add_f64 v[99:100], v[105:106], v[99:100]
	s_waitcnt lgkmcnt(0)
	v_mul_f64 v[109:110], v[3:4], v[156:157]
	v_mul_f64 v[105:106], v[1:2], v[156:157]
	v_fma_f64 v[95:96], v[95:96], v[152:153], v[111:112]
	v_add_f64 v[97:98], v[97:98], v[101:102]
	v_add_f64 v[99:100], v[99:100], v[103:104]
	s_waitcnt vmcnt(4)
	v_fma_f64 v[1:2], v[1:2], v[158:159], -v[109:110]
	v_fma_f64 v[3:4], v[3:4], v[158:159], v[105:106]
	v_add_f64 v[93:94], v[97:98], v[93:94]
	v_add_f64 v[95:96], v[99:100], v[95:96]
	v_add_f64 v[1:2], v[93:94], v[1:2]
	v_add_f64 v[3:4], v[95:96], v[3:4]
	s_waitcnt vmcnt(2)
	v_add_f64 v[1:2], v[107:108], -v[1:2]
	s_waitcnt vmcnt(0)
	v_add_f64 v[3:4], v[164:165], -v[3:4]
	buffer_store_dword v2, off, s[0:3], 0 offset:484
	buffer_store_dword v1, off, s[0:3], 0 offset:480
	;; [unrolled: 1-line block ×4, first 2 shown]
	v_cmpx_lt_u32_e32 28, v0
	s_cbranch_execz .LBB107_221
; %bb.220:
	v_mov_b32_e32 v4, s27
	v_mov_b32_e32 v93, 0
	s_clause 0x3
	buffer_load_dword v1, v4, s[0:3], 0 offen
	buffer_load_dword v2, v4, s[0:3], 0 offen offset:4
	buffer_load_dword v3, v4, s[0:3], 0 offen offset:8
	;; [unrolled: 1-line block ×3, first 2 shown]
	buffer_store_dword v93, off, s[0:3], 0 offset:464
	buffer_store_dword v93, off, s[0:3], 0 offset:468
	;; [unrolled: 1-line block ×4, first 2 shown]
	s_waitcnt vmcnt(0)
	ds_write_b128 v149, v[1:4]
.LBB107_221:
	s_or_b32 exec_lo, exec_lo, s4
	s_waitcnt lgkmcnt(0)
	s_waitcnt_vscnt null, 0x0
	s_barrier
	buffer_gl0_inv
	s_clause 0x37
	buffer_load_dword v2, off, s[0:3], 0 offset:488
	buffer_load_dword v3, off, s[0:3], 0 offset:492
	;; [unrolled: 1-line block ×56, first 2 shown]
	v_mov_b32_e32 v1, 0
	s_mov_b32 s4, exec_lo
	ds_read_b128 v[93:96], v1 offset:1168
	s_clause 0x2
	buffer_load_dword v159, off, s[0:3], 0 offset:716
	buffer_load_dword v163, off, s[0:3], 0 offset:692
	;; [unrolled: 1-line block ×3, first 2 shown]
	ds_read_b128 v[97:100], v1 offset:1184
	ds_read_b128 v[101:104], v1 offset:1200
	buffer_load_dword v161, off, s[0:3], 0 offset:708
	s_waitcnt vmcnt(58) lgkmcnt(2)
	v_mul_f64 v[164:165], v[95:96], v[2:3]
	v_mul_f64 v[2:3], v[93:94], v[2:3]
	s_waitcnt vmcnt(56) lgkmcnt(1)
	v_mul_f64 v[166:167], v[99:100], v[105:106]
	v_mul_f64 v[105:106], v[97:98], v[105:106]
	s_waitcnt vmcnt(54)
	v_fma_f64 v[164:165], v[93:94], v[107:108], -v[164:165]
	v_fma_f64 v[2:3], v[95:96], v[107:108], v[2:3]
	s_waitcnt vmcnt(52) lgkmcnt(0)
	v_mul_f64 v[107:108], v[101:102], v[109:110]
	v_mul_f64 v[109:110], v[103:104], v[109:110]
	s_waitcnt vmcnt(50)
	v_fma_f64 v[166:167], v[97:98], v[111:112], -v[166:167]
	ds_read_b128 v[93:96], v1 offset:1216
	v_fma_f64 v[105:106], v[99:100], v[111:112], v[105:106]
	s_clause 0x3
	buffer_load_dword v111, off, s[0:3], 0 offset:464
	buffer_load_dword v112, off, s[0:3], 0 offset:468
	;; [unrolled: 1-line block ×4, first 2 shown]
	ds_read_b128 v[97:100], v1 offset:1232
	v_add_f64 v[164:165], v[164:165], 0
	v_add_f64 v[2:3], v[2:3], 0
	s_waitcnt vmcnt(48)
	v_fma_f64 v[107:108], v[103:104], v[119:120], v[107:108]
	s_waitcnt lgkmcnt(1)
	v_mul_f64 v[170:171], v[93:94], v[113:114]
	v_mul_f64 v[113:114], v[95:96], v[113:114]
	v_fma_f64 v[109:110], v[101:102], v[119:120], -v[109:110]
	ds_read_b128 v[101:104], v1 offset:1248
	v_add_f64 v[164:165], v[164:165], v[166:167]
	v_add_f64 v[2:3], v[2:3], v[105:106]
	s_waitcnt vmcnt(47) lgkmcnt(1)
	v_mul_f64 v[105:106], v[97:98], v[115:116]
	v_mul_f64 v[115:116], v[99:100], v[115:116]
	s_waitcnt vmcnt(45)
	v_fma_f64 v[113:114], v[93:94], v[121:122], -v[113:114]
	v_fma_f64 v[119:120], v[95:96], v[121:122], v[170:171]
	s_waitcnt vmcnt(41) lgkmcnt(0)
	v_mul_f64 v[121:122], v[103:104], v[123:124]
	ds_read_b128 v[93:96], v1 offset:1264
	v_add_f64 v[109:110], v[164:165], v[109:110]
	v_add_f64 v[2:3], v[2:3], v[107:108]
	v_mul_f64 v[107:108], v[101:102], v[123:124]
	s_waitcnt vmcnt(40)
	v_fma_f64 v[115:116], v[97:98], v[117:118], -v[115:116]
	v_fma_f64 v[105:106], v[99:100], v[117:118], v[105:106]
	ds_read_b128 v[97:100], v1 offset:1280
	s_waitcnt vmcnt(39) lgkmcnt(1)
	v_mul_f64 v[117:118], v[95:96], v[125:126]
	v_add_f64 v[109:110], v[109:110], v[113:114]
	v_add_f64 v[2:3], v[2:3], v[119:120]
	s_waitcnt vmcnt(37)
	v_fma_f64 v[119:120], v[101:102], v[129:130], -v[121:122]
	v_mul_f64 v[113:114], v[93:94], v[125:126]
	v_fma_f64 v[107:108], v[103:104], v[129:130], v[107:108]
	ds_read_b128 v[101:104], v1 offset:1296
	s_waitcnt vmcnt(32)
	v_fma_f64 v[117:118], v[93:94], v[127:128], -v[117:118]
	v_add_f64 v[109:110], v[109:110], v[115:116]
	v_add_f64 v[2:3], v[2:3], v[105:106]
	s_waitcnt lgkmcnt(1)
	v_mul_f64 v[115:116], v[99:100], v[131:132]
	v_mul_f64 v[105:106], v[97:98], v[131:132]
	v_fma_f64 v[113:114], v[95:96], v[127:128], v[113:114]
	ds_read_b128 v[93:96], v1 offset:1312
	v_add_f64 v[109:110], v[109:110], v[119:120]
	v_add_f64 v[2:3], v[2:3], v[107:108]
	s_waitcnt vmcnt(31) lgkmcnt(1)
	v_mul_f64 v[119:120], v[103:104], v[133:134]
	s_waitcnt vmcnt(29)
	v_fma_f64 v[115:116], v[97:98], v[137:138], -v[115:116]
	v_mul_f64 v[107:108], v[101:102], v[133:134]
	v_fma_f64 v[105:106], v[99:100], v[137:138], v[105:106]
	ds_read_b128 v[97:100], v1 offset:1328
	v_add_f64 v[109:110], v[109:110], v[117:118]
	v_add_f64 v[2:3], v[2:3], v[113:114]
	s_waitcnt vmcnt(25) lgkmcnt(1)
	v_mul_f64 v[117:118], v[95:96], v[139:140]
	s_waitcnt vmcnt(24)
	v_fma_f64 v[119:120], v[101:102], v[135:136], -v[119:120]
	;; [unrolled: 9-line block ×6, first 2 shown]
	v_mul_f64 v[105:106], v[97:98], v[156:157]
	v_fma_f64 v[95:96], v[95:96], v[152:153], v[113:114]
	s_waitcnt vmcnt(7) lgkmcnt(0)
	v_mul_f64 v[113:114], v[103:104], v[158:159]
	v_add_f64 v[109:110], v[109:110], v[119:120]
	v_add_f64 v[2:3], v[2:3], v[107:108]
	s_waitcnt vmcnt(5)
	v_fma_f64 v[97:98], v[97:98], v[162:163], -v[115:116]
	v_mul_f64 v[107:108], v[101:102], v[158:159]
	v_fma_f64 v[99:100], v[99:100], v[162:163], v[105:106]
	v_add_f64 v[93:94], v[109:110], v[93:94]
	v_add_f64 v[2:3], v[2:3], v[95:96]
	s_waitcnt vmcnt(4)
	v_fma_f64 v[95:96], v[101:102], v[160:161], -v[113:114]
	v_add_f64 v[93:94], v[93:94], v[97:98]
	v_fma_f64 v[97:98], v[103:104], v[160:161], v[107:108]
	v_add_f64 v[2:3], v[2:3], v[99:100]
	v_add_f64 v[93:94], v[93:94], v[95:96]
	;; [unrolled: 1-line block ×3, first 2 shown]
	s_waitcnt vmcnt(2)
	v_add_f64 v[93:94], v[111:112], -v[93:94]
	s_waitcnt vmcnt(0)
	v_add_f64 v[2:3], v[168:169], -v[2:3]
	buffer_store_dword v94, off, s[0:3], 0 offset:468
	buffer_store_dword v93, off, s[0:3], 0 offset:464
	;; [unrolled: 1-line block ×4, first 2 shown]
	v_cmpx_lt_u32_e32 27, v0
	s_cbranch_execz .LBB107_223
; %bb.222:
	v_mov_b32_e32 v2, s28
	s_clause 0x3
	buffer_load_dword v93, v2, s[0:3], 0 offen
	buffer_load_dword v94, v2, s[0:3], 0 offen offset:4
	buffer_load_dword v95, v2, s[0:3], 0 offen offset:8
	;; [unrolled: 1-line block ×3, first 2 shown]
	buffer_store_dword v1, off, s[0:3], 0 offset:448
	buffer_store_dword v1, off, s[0:3], 0 offset:452
	buffer_store_dword v1, off, s[0:3], 0 offset:456
	buffer_store_dword v1, off, s[0:3], 0 offset:460
	s_waitcnt vmcnt(0)
	ds_write_b128 v149, v[93:96]
.LBB107_223:
	s_or_b32 exec_lo, exec_lo, s4
	s_waitcnt lgkmcnt(0)
	s_waitcnt_vscnt null, 0x0
	s_barrier
	buffer_gl0_inv
	s_clause 0x37
	buffer_load_dword v2, off, s[0:3], 0 offset:472
	buffer_load_dword v3, off, s[0:3], 0 offset:476
	;; [unrolled: 1-line block ×56, first 2 shown]
	ds_read_b128 v[93:96], v1 offset:1152
	s_clause 0x2
	buffer_load_dword v159, off, s[0:3], 0 offset:700
	buffer_load_dword v163, off, s[0:3], 0 offset:676
	;; [unrolled: 1-line block ×3, first 2 shown]
	ds_read_b128 v[97:100], v1 offset:1168
	s_clause 0x2
	buffer_load_dword v167, off, s[0:3], 0 offset:716
	buffer_load_dword v166, off, s[0:3], 0 offset:712
	;; [unrolled: 1-line block ×3, first 2 shown]
	ds_read_b128 v[101:104], v1 offset:1184
	s_mov_b32 s4, exec_lo
	s_waitcnt vmcnt(60) lgkmcnt(2)
	v_mul_f64 v[164:165], v[95:96], v[2:3]
	v_mul_f64 v[2:3], v[93:94], v[2:3]
	s_waitcnt vmcnt(58) lgkmcnt(1)
	v_mul_f64 v[168:169], v[99:100], v[105:106]
	v_mul_f64 v[105:106], v[97:98], v[105:106]
	s_waitcnt vmcnt(54) lgkmcnt(0)
	v_mul_f64 v[170:171], v[101:102], v[109:110]
	v_mul_f64 v[109:110], v[103:104], v[109:110]
	v_fma_f64 v[164:165], v[93:94], v[107:108], -v[164:165]
	v_fma_f64 v[2:3], v[95:96], v[107:108], v[2:3]
	s_clause 0x1
	buffer_load_dword v108, off, s[0:3], 0 offset:708
	buffer_load_dword v107, off, s[0:3], 0 offset:704
	s_waitcnt vmcnt(54)
	v_fma_f64 v[168:169], v[97:98], v[111:112], -v[168:169]
	ds_read_b128 v[93:96], v1 offset:1200
	v_fma_f64 v[105:106], v[99:100], v[111:112], v[105:106]
	ds_read_b128 v[97:100], v1 offset:1216
	s_waitcnt vmcnt(48)
	v_fma_f64 v[109:110], v[101:102], v[119:120], -v[109:110]
	v_fma_f64 v[119:120], v[103:104], v[119:120], v[170:171]
	v_add_f64 v[164:165], v[164:165], 0
	v_add_f64 v[2:3], v[2:3], 0
	s_waitcnt lgkmcnt(1)
	v_mul_f64 v[111:112], v[93:94], v[113:114]
	v_mul_f64 v[113:114], v[95:96], v[113:114]
	s_waitcnt vmcnt(47) lgkmcnt(0)
	v_mul_f64 v[170:171], v[97:98], v[115:116]
	v_mul_f64 v[115:116], v[99:100], v[115:116]
	v_add_f64 v[164:165], v[164:165], v[168:169]
	v_add_f64 v[2:3], v[2:3], v[105:106]
	s_clause 0x3
	buffer_load_dword v105, off, s[0:3], 0 offset:448
	buffer_load_dword v106, off, s[0:3], 0 offset:452
	;; [unrolled: 1-line block ×4, first 2 shown]
	s_waitcnt vmcnt(49)
	v_fma_f64 v[113:114], v[93:94], v[121:122], -v[113:114]
	ds_read_b128 v[101:104], v1 offset:1232
	v_fma_f64 v[111:112], v[95:96], v[121:122], v[111:112]
	ds_read_b128 v[93:96], v1 offset:1248
	s_waitcnt vmcnt(44)
	v_fma_f64 v[115:116], v[97:98], v[117:118], -v[115:116]
	v_add_f64 v[109:110], v[164:165], v[109:110]
	v_add_f64 v[2:3], v[2:3], v[119:120]
	s_waitcnt lgkmcnt(1)
	v_mul_f64 v[121:122], v[103:104], v[123:124]
	v_mul_f64 v[119:120], v[101:102], v[123:124]
	v_add_f64 v[109:110], v[109:110], v[113:114]
	v_fma_f64 v[113:114], v[99:100], v[117:118], v[170:171]
	v_add_f64 v[2:3], v[2:3], v[111:112]
	s_waitcnt vmcnt(43) lgkmcnt(0)
	v_mul_f64 v[117:118], v[95:96], v[125:126]
	s_waitcnt vmcnt(41)
	v_fma_f64 v[121:122], v[101:102], v[129:130], -v[121:122]
	ds_read_b128 v[97:100], v1 offset:1264
	v_mul_f64 v[111:112], v[93:94], v[125:126]
	v_add_f64 v[109:110], v[109:110], v[115:116]
	v_fma_f64 v[115:116], v[103:104], v[129:130], v[119:120]
	v_add_f64 v[2:3], v[2:3], v[113:114]
	ds_read_b128 v[101:104], v1 offset:1280
	s_waitcnt vmcnt(37) lgkmcnt(1)
	v_mul_f64 v[119:120], v[99:100], v[131:132]
	s_waitcnt vmcnt(36)
	v_fma_f64 v[117:118], v[93:94], v[127:128], -v[117:118]
	v_mul_f64 v[113:114], v[97:98], v[131:132]
	v_fma_f64 v[111:112], v[95:96], v[127:128], v[111:112]
	ds_read_b128 v[93:96], v1 offset:1296
	v_add_f64 v[109:110], v[109:110], v[121:122]
	s_waitcnt vmcnt(35) lgkmcnt(1)
	v_mul_f64 v[121:122], v[103:104], v[133:134]
	v_add_f64 v[2:3], v[2:3], v[115:116]
	v_mul_f64 v[115:116], v[101:102], v[133:134]
	s_waitcnt vmcnt(33)
	v_fma_f64 v[119:120], v[97:98], v[137:138], -v[119:120]
	v_fma_f64 v[113:114], v[99:100], v[137:138], v[113:114]
	ds_read_b128 v[97:100], v1 offset:1312
	v_add_f64 v[109:110], v[109:110], v[117:118]
	s_waitcnt vmcnt(29) lgkmcnt(1)
	v_mul_f64 v[117:118], v[95:96], v[139:140]
	v_add_f64 v[2:3], v[2:3], v[111:112]
	s_waitcnt vmcnt(28)
	v_fma_f64 v[121:122], v[101:102], v[135:136], -v[121:122]
	v_mul_f64 v[111:112], v[93:94], v[139:140]
	v_fma_f64 v[115:116], v[103:104], v[135:136], v[115:116]
	ds_read_b128 v[101:104], v1 offset:1328
	v_add_f64 v[109:110], v[109:110], v[119:120]
	s_waitcnt vmcnt(27) lgkmcnt(1)
	v_mul_f64 v[119:120], v[99:100], v[141:142]
	v_add_f64 v[2:3], v[2:3], v[113:114]
	s_waitcnt vmcnt(25)
	v_fma_f64 v[117:118], v[93:94], v[145:146], -v[117:118]
	v_mul_f64 v[113:114], v[97:98], v[141:142]
	;; [unrolled: 9-line block ×5, first 2 shown]
	v_fma_f64 v[95:96], v[95:96], v[152:153], v[111:112]
	s_waitcnt vmcnt(11) lgkmcnt(0)
	v_mul_f64 v[117:118], v[103:104], v[158:159]
	v_add_f64 v[109:110], v[109:110], v[121:122]
	s_waitcnt vmcnt(9)
	v_fma_f64 v[97:98], v[97:98], v[162:163], -v[119:120]
	v_add_f64 v[111:112], v[2:3], v[115:116]
	ds_read_b128 v[1:4], v1 offset:1392
	v_mul_f64 v[115:116], v[101:102], v[158:159]
	v_fma_f64 v[99:100], v[99:100], v[162:163], v[113:114]
	s_waitcnt vmcnt(6)
	v_fma_f64 v[101:102], v[101:102], v[160:161], -v[117:118]
	v_add_f64 v[93:94], v[109:110], v[93:94]
	s_waitcnt lgkmcnt(0)
	v_mul_f64 v[109:110], v[1:2], v[166:167]
	v_add_f64 v[95:96], v[111:112], v[95:96]
	v_mul_f64 v[111:112], v[3:4], v[166:167]
	v_add_f64 v[93:94], v[93:94], v[97:98]
	v_fma_f64 v[97:98], v[103:104], v[160:161], v[115:116]
	v_add_f64 v[95:96], v[95:96], v[99:100]
	s_waitcnt vmcnt(4)
	v_fma_f64 v[1:2], v[1:2], v[107:108], -v[111:112]
	v_fma_f64 v[3:4], v[3:4], v[107:108], v[109:110]
	v_add_f64 v[93:94], v[93:94], v[101:102]
	v_add_f64 v[95:96], v[95:96], v[97:98]
	;; [unrolled: 1-line block ×4, first 2 shown]
	s_waitcnt vmcnt(2)
	v_add_f64 v[1:2], v[105:106], -v[1:2]
	s_waitcnt vmcnt(0)
	v_add_f64 v[3:4], v[168:169], -v[3:4]
	buffer_store_dword v2, off, s[0:3], 0 offset:452
	buffer_store_dword v1, off, s[0:3], 0 offset:448
	;; [unrolled: 1-line block ×4, first 2 shown]
	v_cmpx_lt_u32_e32 26, v0
	s_cbranch_execz .LBB107_225
; %bb.224:
	v_mov_b32_e32 v4, s29
	v_mov_b32_e32 v93, 0
	s_clause 0x3
	buffer_load_dword v1, v4, s[0:3], 0 offen
	buffer_load_dword v2, v4, s[0:3], 0 offen offset:4
	buffer_load_dword v3, v4, s[0:3], 0 offen offset:8
	;; [unrolled: 1-line block ×3, first 2 shown]
	buffer_store_dword v93, off, s[0:3], 0 offset:432
	buffer_store_dword v93, off, s[0:3], 0 offset:436
	;; [unrolled: 1-line block ×4, first 2 shown]
	s_waitcnt vmcnt(0)
	ds_write_b128 v149, v[1:4]
.LBB107_225:
	s_or_b32 exec_lo, exec_lo, s4
	s_waitcnt lgkmcnt(0)
	s_waitcnt_vscnt null, 0x0
	s_barrier
	buffer_gl0_inv
	s_clause 0x37
	buffer_load_dword v2, off, s[0:3], 0 offset:456
	buffer_load_dword v3, off, s[0:3], 0 offset:460
	;; [unrolled: 1-line block ×56, first 2 shown]
	v_mov_b32_e32 v1, 0
	s_mov_b32 s4, exec_lo
	ds_read_b128 v[93:96], v1 offset:1136
	s_clause 0x2
	buffer_load_dword v159, off, s[0:3], 0 offset:684
	buffer_load_dword v163, off, s[0:3], 0 offset:660
	;; [unrolled: 1-line block ×3, first 2 shown]
	ds_read_b128 v[97:100], v1 offset:1152
	s_clause 0x4
	buffer_load_dword v167, off, s[0:3], 0 offset:700
	buffer_load_dword v168, off, s[0:3], 0 offset:712
	;; [unrolled: 1-line block ×5, first 2 shown]
	ds_read_b128 v[101:104], v1 offset:1168
	s_waitcnt vmcnt(62) lgkmcnt(2)
	v_mul_f64 v[164:165], v[95:96], v[2:3]
	v_mul_f64 v[2:3], v[93:94], v[2:3]
	s_waitcnt vmcnt(60) lgkmcnt(1)
	v_mul_f64 v[171:172], v[99:100], v[105:106]
	v_mul_f64 v[105:106], v[97:98], v[105:106]
	;; [unrolled: 3-line block ×3, first 2 shown]
	v_fma_f64 v[164:165], v[93:94], v[107:108], -v[164:165]
	v_fma_f64 v[2:3], v[95:96], v[107:108], v[2:3]
	s_clause 0x2
	buffer_load_dword v169, off, s[0:3], 0 offset:716
	buffer_load_dword v108, off, s[0:3], 0 offset:692
	;; [unrolled: 1-line block ×3, first 2 shown]
	s_waitcnt vmcnt(57)
	v_fma_f64 v[175:176], v[97:98], v[111:112], -v[171:172]
	ds_read_b128 v[93:96], v1 offset:1184
	v_fma_f64 v[105:106], v[99:100], v[111:112], v[105:106]
	buffer_load_dword v171, off, s[0:3], 0 offset:708
	ds_read_b128 v[97:100], v1 offset:1200
	s_waitcnt vmcnt(52)
	v_fma_f64 v[109:110], v[101:102], v[119:120], -v[109:110]
	v_fma_f64 v[119:120], v[103:104], v[119:120], v[173:174]
	ds_read_b128 v[101:104], v1 offset:1216
	v_add_f64 v[164:165], v[164:165], 0
	v_add_f64 v[2:3], v[2:3], 0
	s_waitcnt lgkmcnt(2)
	v_mul_f64 v[111:112], v[93:94], v[113:114]
	v_mul_f64 v[113:114], v[95:96], v[113:114]
	v_add_f64 v[164:165], v[164:165], v[175:176]
	v_add_f64 v[2:3], v[2:3], v[105:106]
	s_waitcnt vmcnt(51) lgkmcnt(1)
	v_mul_f64 v[105:106], v[97:98], v[115:116]
	v_mul_f64 v[115:116], v[99:100], v[115:116]
	s_waitcnt vmcnt(49)
	v_fma_f64 v[113:114], v[93:94], v[121:122], -v[113:114]
	v_fma_f64 v[111:112], v[95:96], v[121:122], v[111:112]
	v_add_f64 v[109:110], v[164:165], v[109:110]
	v_add_f64 v[2:3], v[2:3], v[119:120]
	s_clause 0x3
	buffer_load_dword v119, off, s[0:3], 0 offset:432
	buffer_load_dword v120, off, s[0:3], 0 offset:436
	;; [unrolled: 1-line block ×4, first 2 shown]
	s_waitcnt vmcnt(49) lgkmcnt(0)
	v_mul_f64 v[164:165], v[101:102], v[123:124]
	v_mul_f64 v[123:124], v[103:104], v[123:124]
	s_waitcnt vmcnt(48)
	v_fma_f64 v[115:116], v[97:98], v[117:118], -v[115:116]
	ds_read_b128 v[93:96], v1 offset:1232
	v_fma_f64 v[105:106], v[99:100], v[117:118], v[105:106]
	ds_read_b128 v[97:100], v1 offset:1248
	v_add_f64 v[109:110], v[109:110], v[113:114]
	v_add_f64 v[2:3], v[2:3], v[111:112]
	s_waitcnt vmcnt(47) lgkmcnt(1)
	v_mul_f64 v[113:114], v[95:96], v[125:126]
	s_waitcnt vmcnt(45)
	v_fma_f64 v[117:118], v[101:102], v[129:130], -v[123:124]
	v_mul_f64 v[111:112], v[93:94], v[125:126]
	s_waitcnt vmcnt(41) lgkmcnt(0)
	v_mul_f64 v[123:124], v[99:100], v[131:132]
	v_add_f64 v[109:110], v[109:110], v[115:116]
	v_fma_f64 v[115:116], v[103:104], v[129:130], v[164:165]
	v_add_f64 v[2:3], v[2:3], v[105:106]
	ds_read_b128 v[101:104], v1 offset:1264
	s_waitcnt vmcnt(40)
	v_fma_f64 v[113:114], v[93:94], v[127:128], -v[113:114]
	v_mul_f64 v[105:106], v[97:98], v[131:132]
	v_fma_f64 v[111:112], v[95:96], v[127:128], v[111:112]
	ds_read_b128 v[93:96], v1 offset:1280
	s_waitcnt vmcnt(37)
	v_fma_f64 v[123:124], v[97:98], v[137:138], -v[123:124]
	v_add_f64 v[109:110], v[109:110], v[117:118]
	s_waitcnt lgkmcnt(1)
	v_mul_f64 v[117:118], v[103:104], v[133:134]
	v_add_f64 v[2:3], v[2:3], v[115:116]
	v_mul_f64 v[115:116], v[101:102], v[133:134]
	v_fma_f64 v[105:106], v[99:100], v[137:138], v[105:106]
	ds_read_b128 v[97:100], v1 offset:1296
	v_add_f64 v[109:110], v[109:110], v[113:114]
	s_waitcnt vmcnt(33) lgkmcnt(1)
	v_mul_f64 v[113:114], v[95:96], v[139:140]
	v_add_f64 v[2:3], v[2:3], v[111:112]
	s_waitcnt vmcnt(32)
	v_fma_f64 v[117:118], v[101:102], v[135:136], -v[117:118]
	v_mul_f64 v[111:112], v[93:94], v[139:140]
	v_fma_f64 v[115:116], v[103:104], v[135:136], v[115:116]
	ds_read_b128 v[101:104], v1 offset:1312
	v_add_f64 v[109:110], v[109:110], v[123:124]
	s_waitcnt vmcnt(31) lgkmcnt(1)
	v_mul_f64 v[123:124], v[99:100], v[141:142]
	v_add_f64 v[2:3], v[2:3], v[105:106]
	s_waitcnt vmcnt(29)
	v_fma_f64 v[113:114], v[93:94], v[145:146], -v[113:114]
	;; [unrolled: 9-line block ×7, first 2 shown]
	v_mul_f64 v[111:112], v[93:94], v[166:167]
	v_fma_f64 v[103:104], v[103:104], v[160:161], v[115:116]
	v_add_f64 v[109:110], v[109:110], v[123:124]
	v_add_f64 v[2:3], v[2:3], v[105:106]
	s_waitcnt vmcnt(7) lgkmcnt(0)
	v_mul_f64 v[115:116], v[99:100], v[168:169]
	v_mul_f64 v[105:106], v[97:98], v[168:169]
	s_waitcnt vmcnt(5)
	v_fma_f64 v[93:94], v[93:94], v[107:108], -v[113:114]
	v_fma_f64 v[95:96], v[95:96], v[107:108], v[111:112]
	v_add_f64 v[101:102], v[109:110], v[101:102]
	v_add_f64 v[2:3], v[2:3], v[103:104]
	s_waitcnt vmcnt(4)
	v_fma_f64 v[97:98], v[97:98], v[170:171], -v[115:116]
	v_fma_f64 v[99:100], v[99:100], v[170:171], v[105:106]
	v_add_f64 v[93:94], v[101:102], v[93:94]
	v_add_f64 v[2:3], v[2:3], v[95:96]
	;; [unrolled: 1-line block ×4, first 2 shown]
	s_waitcnt vmcnt(2)
	v_add_f64 v[93:94], v[119:120], -v[93:94]
	s_waitcnt vmcnt(0)
	v_add_f64 v[2:3], v[121:122], -v[2:3]
	buffer_store_dword v94, off, s[0:3], 0 offset:436
	buffer_store_dword v93, off, s[0:3], 0 offset:432
	;; [unrolled: 1-line block ×4, first 2 shown]
	v_cmpx_lt_u32_e32 25, v0
	s_cbranch_execz .LBB107_227
; %bb.226:
	v_mov_b32_e32 v2, s30
	s_clause 0x3
	buffer_load_dword v93, v2, s[0:3], 0 offen
	buffer_load_dword v94, v2, s[0:3], 0 offen offset:4
	buffer_load_dword v95, v2, s[0:3], 0 offen offset:8
	;; [unrolled: 1-line block ×3, first 2 shown]
	buffer_store_dword v1, off, s[0:3], 0 offset:416
	buffer_store_dword v1, off, s[0:3], 0 offset:420
	;; [unrolled: 1-line block ×4, first 2 shown]
	s_waitcnt vmcnt(0)
	ds_write_b128 v149, v[93:96]
.LBB107_227:
	s_or_b32 exec_lo, exec_lo, s4
	s_waitcnt lgkmcnt(0)
	s_waitcnt_vscnt null, 0x0
	s_barrier
	buffer_gl0_inv
	s_clause 0x37
	buffer_load_dword v2, off, s[0:3], 0 offset:440
	buffer_load_dword v3, off, s[0:3], 0 offset:444
	;; [unrolled: 1-line block ×56, first 2 shown]
	ds_read_b128 v[93:96], v1 offset:1120
	s_clause 0x2
	buffer_load_dword v159, off, s[0:3], 0 offset:668
	buffer_load_dword v163, off, s[0:3], 0 offset:644
	;; [unrolled: 1-line block ×3, first 2 shown]
	ds_read_b128 v[97:100], v1 offset:1136
	s_clause 0x4
	buffer_load_dword v167, off, s[0:3], 0 offset:684
	buffer_load_dword v168, off, s[0:3], 0 offset:696
	;; [unrolled: 1-line block ×5, first 2 shown]
	ds_read_b128 v[101:104], v1 offset:1152
	s_mov_b32 s4, exec_lo
	s_waitcnt vmcnt(62) lgkmcnt(2)
	v_mul_f64 v[164:165], v[95:96], v[2:3]
	v_mul_f64 v[2:3], v[93:94], v[2:3]
	s_waitcnt vmcnt(60) lgkmcnt(1)
	v_mul_f64 v[171:172], v[99:100], v[105:106]
	v_mul_f64 v[105:106], v[97:98], v[105:106]
	;; [unrolled: 3-line block ×3, first 2 shown]
	v_fma_f64 v[164:165], v[93:94], v[107:108], -v[164:165]
	v_fma_f64 v[2:3], v[95:96], v[107:108], v[2:3]
	s_clause 0x2
	buffer_load_dword v169, off, s[0:3], 0 offset:700
	buffer_load_dword v108, off, s[0:3], 0 offset:676
	buffer_load_dword v107, off, s[0:3], 0 offset:672
	s_waitcnt vmcnt(57)
	v_fma_f64 v[175:176], v[97:98], v[111:112], -v[171:172]
	ds_read_b128 v[93:96], v1 offset:1168
	v_fma_f64 v[105:106], v[99:100], v[111:112], v[105:106]
	s_clause 0x2
	buffer_load_dword v112, off, s[0:3], 0 offset:716
	buffer_load_dword v111, off, s[0:3], 0 offset:712
	;; [unrolled: 1-line block ×3, first 2 shown]
	s_waitcnt vmcnt(54)
	v_fma_f64 v[109:110], v[101:102], v[119:120], -v[109:110]
	ds_read_b128 v[97:100], v1 offset:1184
	v_fma_f64 v[119:120], v[103:104], v[119:120], v[173:174]
	v_add_f64 v[164:165], v[164:165], 0
	v_add_f64 v[2:3], v[2:3], 0
	s_waitcnt lgkmcnt(1)
	v_mul_f64 v[177:178], v[93:94], v[113:114]
	v_mul_f64 v[113:114], v[95:96], v[113:114]
	s_waitcnt vmcnt(53) lgkmcnt(0)
	v_mul_f64 v[172:173], v[97:98], v[115:116]
	v_mul_f64 v[115:116], v[99:100], v[115:116]
	v_add_f64 v[164:165], v[164:165], v[175:176]
	v_add_f64 v[2:3], v[2:3], v[105:106]
	s_clause 0x1
	buffer_load_dword v106, off, s[0:3], 0 offset:708
	buffer_load_dword v105, off, s[0:3], 0 offset:704
	s_waitcnt vmcnt(53)
	v_fma_f64 v[113:114], v[93:94], v[121:122], -v[113:114]
	ds_read_b128 v[101:104], v1 offset:1200
	v_fma_f64 v[121:122], v[95:96], v[121:122], v[177:178]
	ds_read_b128 v[93:96], v1 offset:1216
	s_waitcnt vmcnt(48)
	v_fma_f64 v[115:116], v[97:98], v[117:118], -v[115:116]
	v_add_f64 v[109:110], v[164:165], v[109:110]
	v_add_f64 v[2:3], v[2:3], v[119:120]
	s_waitcnt lgkmcnt(1)
	v_mul_f64 v[119:120], v[101:102], v[123:124]
	v_mul_f64 v[123:124], v[103:104], v[123:124]
	s_waitcnt vmcnt(47) lgkmcnt(0)
	v_mul_f64 v[164:165], v[93:94], v[125:126]
	v_mul_f64 v[125:126], v[95:96], v[125:126]
	v_add_f64 v[109:110], v[109:110], v[113:114]
	v_fma_f64 v[113:114], v[99:100], v[117:118], v[172:173]
	v_add_f64 v[2:3], v[2:3], v[121:122]
	s_clause 0x3
	buffer_load_dword v117, off, s[0:3], 0 offset:416
	buffer_load_dword v118, off, s[0:3], 0 offset:420
	;; [unrolled: 1-line block ×4, first 2 shown]
	s_waitcnt vmcnt(49)
	v_fma_f64 v[123:124], v[101:102], v[129:130], -v[123:124]
	ds_read_b128 v[97:100], v1 offset:1232
	s_waitcnt vmcnt(44)
	v_fma_f64 v[125:126], v[93:94], v[127:128], -v[125:126]
	v_add_f64 v[109:110], v[109:110], v[115:116]
	v_fma_f64 v[115:116], v[103:104], v[129:130], v[119:120]
	v_add_f64 v[2:3], v[2:3], v[113:114]
	ds_read_b128 v[101:104], v1 offset:1248
	s_waitcnt lgkmcnt(1)
	v_mul_f64 v[119:120], v[99:100], v[131:132]
	v_mul_f64 v[113:114], v[97:98], v[131:132]
	v_add_f64 v[109:110], v[109:110], v[123:124]
	v_fma_f64 v[123:124], v[95:96], v[127:128], v[164:165]
	v_add_f64 v[2:3], v[2:3], v[115:116]
	s_waitcnt vmcnt(43) lgkmcnt(0)
	v_mul_f64 v[127:128], v[103:104], v[133:134]
	s_waitcnt vmcnt(41)
	v_fma_f64 v[119:120], v[97:98], v[137:138], -v[119:120]
	ds_read_b128 v[93:96], v1 offset:1264
	v_mul_f64 v[115:116], v[101:102], v[133:134]
	v_fma_f64 v[113:114], v[99:100], v[137:138], v[113:114]
	ds_read_b128 v[97:100], v1 offset:1280
	v_add_f64 v[109:110], v[109:110], v[125:126]
	v_add_f64 v[2:3], v[2:3], v[123:124]
	s_waitcnt vmcnt(37) lgkmcnt(1)
	v_mul_f64 v[125:126], v[95:96], v[139:140]
	s_waitcnt vmcnt(36)
	v_fma_f64 v[127:128], v[101:102], v[135:136], -v[127:128]
	v_mul_f64 v[123:124], v[93:94], v[139:140]
	v_fma_f64 v[115:116], v[103:104], v[135:136], v[115:116]
	ds_read_b128 v[101:104], v1 offset:1296
	v_add_f64 v[109:110], v[109:110], v[119:120]
	s_waitcnt vmcnt(35) lgkmcnt(1)
	v_mul_f64 v[119:120], v[99:100], v[141:142]
	v_add_f64 v[2:3], v[2:3], v[113:114]
	s_waitcnt vmcnt(33)
	v_fma_f64 v[125:126], v[93:94], v[145:146], -v[125:126]
	v_mul_f64 v[113:114], v[97:98], v[141:142]
	v_fma_f64 v[123:124], v[95:96], v[145:146], v[123:124]
	ds_read_b128 v[93:96], v1 offset:1312
	v_add_f64 v[109:110], v[109:110], v[127:128]
	s_waitcnt vmcnt(29) lgkmcnt(1)
	v_mul_f64 v[127:128], v[103:104], v[147:148]
	v_add_f64 v[2:3], v[2:3], v[115:116]
	;; [unrolled: 9-line block ×6, first 2 shown]
	s_waitcnt vmcnt(12)
	v_fma_f64 v[101:102], v[101:102], v[160:161], -v[127:128]
	v_mul_f64 v[123:124], v[93:94], v[166:167]
	v_fma_f64 v[103:104], v[103:104], v[160:161], v[115:116]
	v_add_f64 v[109:110], v[109:110], v[119:120]
	v_add_f64 v[113:114], v[2:3], v[113:114]
	ds_read_b128 v[1:4], v1 offset:1392
	s_waitcnt vmcnt(11) lgkmcnt(1)
	v_mul_f64 v[119:120], v[99:100], v[168:169]
	v_mul_f64 v[115:116], v[97:98], v[168:169]
	s_waitcnt vmcnt(9)
	v_fma_f64 v[93:94], v[93:94], v[107:108], -v[125:126]
	v_fma_f64 v[95:96], v[95:96], v[107:108], v[123:124]
	v_add_f64 v[101:102], v[109:110], v[101:102]
	s_waitcnt vmcnt(7) lgkmcnt(0)
	v_mul_f64 v[109:110], v[3:4], v[111:112]
	v_add_f64 v[103:104], v[113:114], v[103:104]
	v_mul_f64 v[107:108], v[1:2], v[111:112]
	s_waitcnt vmcnt(6)
	v_fma_f64 v[97:98], v[97:98], v[170:171], -v[119:120]
	v_fma_f64 v[99:100], v[99:100], v[170:171], v[115:116]
	v_add_f64 v[93:94], v[101:102], v[93:94]
	v_add_f64 v[95:96], v[103:104], v[95:96]
	s_waitcnt vmcnt(4)
	v_fma_f64 v[1:2], v[1:2], v[105:106], -v[109:110]
	v_fma_f64 v[3:4], v[3:4], v[105:106], v[107:108]
	v_add_f64 v[93:94], v[93:94], v[97:98]
	v_add_f64 v[95:96], v[95:96], v[99:100]
	;; [unrolled: 1-line block ×4, first 2 shown]
	s_waitcnt vmcnt(2)
	v_add_f64 v[1:2], v[117:118], -v[1:2]
	s_waitcnt vmcnt(0)
	v_add_f64 v[3:4], v[121:122], -v[3:4]
	buffer_store_dword v2, off, s[0:3], 0 offset:420
	buffer_store_dword v1, off, s[0:3], 0 offset:416
	;; [unrolled: 1-line block ×4, first 2 shown]
	v_cmpx_lt_u32_e32 24, v0
	s_cbranch_execz .LBB107_229
; %bb.228:
	v_mov_b32_e32 v4, s31
	v_mov_b32_e32 v93, 0
	s_clause 0x3
	buffer_load_dword v1, v4, s[0:3], 0 offen
	buffer_load_dword v2, v4, s[0:3], 0 offen offset:4
	buffer_load_dword v3, v4, s[0:3], 0 offen offset:8
	;; [unrolled: 1-line block ×3, first 2 shown]
	buffer_store_dword v93, off, s[0:3], 0 offset:400
	buffer_store_dword v93, off, s[0:3], 0 offset:404
	;; [unrolled: 1-line block ×4, first 2 shown]
	s_waitcnt vmcnt(0)
	ds_write_b128 v149, v[1:4]
.LBB107_229:
	s_or_b32 exec_lo, exec_lo, s4
	s_waitcnt lgkmcnt(0)
	s_waitcnt_vscnt null, 0x0
	s_barrier
	buffer_gl0_inv
	s_clause 0x37
	buffer_load_dword v2, off, s[0:3], 0 offset:424
	buffer_load_dword v3, off, s[0:3], 0 offset:428
	;; [unrolled: 1-line block ×56, first 2 shown]
	v_mov_b32_e32 v1, 0
	s_mov_b32 s4, exec_lo
	ds_read_b128 v[93:96], v1 offset:1104
	s_clause 0x2
	buffer_load_dword v159, off, s[0:3], 0 offset:652
	buffer_load_dword v163, off, s[0:3], 0 offset:628
	;; [unrolled: 1-line block ×3, first 2 shown]
	ds_read_b128 v[97:100], v1 offset:1120
	s_clause 0x4
	buffer_load_dword v167, off, s[0:3], 0 offset:668
	buffer_load_dword v168, off, s[0:3], 0 offset:680
	;; [unrolled: 1-line block ×5, first 2 shown]
	ds_read_b128 v[101:104], v1 offset:1136
	s_waitcnt vmcnt(62) lgkmcnt(2)
	v_mul_f64 v[164:165], v[95:96], v[2:3]
	v_mul_f64 v[2:3], v[93:94], v[2:3]
	s_waitcnt vmcnt(60) lgkmcnt(1)
	v_mul_f64 v[171:172], v[99:100], v[105:106]
	v_mul_f64 v[105:106], v[97:98], v[105:106]
	;; [unrolled: 3-line block ×3, first 2 shown]
	v_fma_f64 v[164:165], v[93:94], v[107:108], -v[164:165]
	v_fma_f64 v[2:3], v[95:96], v[107:108], v[2:3]
	s_clause 0x2
	buffer_load_dword v169, off, s[0:3], 0 offset:684
	buffer_load_dword v108, off, s[0:3], 0 offset:660
	;; [unrolled: 1-line block ×3, first 2 shown]
	s_waitcnt vmcnt(57)
	v_fma_f64 v[175:176], v[97:98], v[111:112], -v[171:172]
	ds_read_b128 v[93:96], v1 offset:1152
	v_fma_f64 v[105:106], v[99:100], v[111:112], v[105:106]
	s_clause 0x4
	buffer_load_dword v112, off, s[0:3], 0 offset:700
	buffer_load_dword v172, off, s[0:3], 0 offset:712
	;; [unrolled: 1-line block ×5, first 2 shown]
	s_waitcnt vmcnt(56)
	v_fma_f64 v[109:110], v[101:102], v[119:120], -v[109:110]
	ds_read_b128 v[97:100], v1 offset:1168
	v_fma_f64 v[119:120], v[103:104], v[119:120], v[173:174]
	v_add_f64 v[164:165], v[164:165], 0
	v_add_f64 v[2:3], v[2:3], 0
	s_waitcnt lgkmcnt(1)
	v_mul_f64 v[178:179], v[93:94], v[113:114]
	v_mul_f64 v[113:114], v[95:96], v[113:114]
	v_add_f64 v[164:165], v[164:165], v[175:176]
	v_add_f64 v[2:3], v[2:3], v[105:106]
	s_clause 0x2
	buffer_load_dword v173, off, s[0:3], 0 offset:716
	buffer_load_dword v106, off, s[0:3], 0 offset:692
	;; [unrolled: 1-line block ×3, first 2 shown]
	s_waitcnt vmcnt(58) lgkmcnt(0)
	v_mul_f64 v[174:175], v[97:98], v[115:116]
	v_mul_f64 v[115:116], v[99:100], v[115:116]
	s_waitcnt vmcnt(56)
	v_fma_f64 v[113:114], v[93:94], v[121:122], -v[113:114]
	ds_read_b128 v[101:104], v1 offset:1184
	v_fma_f64 v[121:122], v[95:96], v[121:122], v[178:179]
	buffer_load_dword v178, off, s[0:3], 0 offset:708
	ds_read_b128 v[93:96], v1 offset:1200
	v_add_f64 v[109:110], v[164:165], v[109:110]
	v_add_f64 v[2:3], v[2:3], v[119:120]
	s_waitcnt vmcnt(53) lgkmcnt(1)
	v_mul_f64 v[119:120], v[101:102], v[123:124]
	v_mul_f64 v[123:124], v[103:104], v[123:124]
	s_waitcnt vmcnt(52)
	v_fma_f64 v[115:116], v[97:98], v[117:118], -v[115:116]
	v_add_f64 v[109:110], v[109:110], v[113:114]
	v_fma_f64 v[113:114], v[99:100], v[117:118], v[174:175]
	v_add_f64 v[2:3], v[2:3], v[121:122]
	s_waitcnt vmcnt(51) lgkmcnt(0)
	v_mul_f64 v[121:122], v[95:96], v[125:126]
	ds_read_b128 v[97:100], v1 offset:1216
	s_waitcnt vmcnt(49)
	v_fma_f64 v[123:124], v[101:102], v[129:130], -v[123:124]
	v_mul_f64 v[117:118], v[93:94], v[125:126]
	v_add_f64 v[109:110], v[109:110], v[115:116]
	v_fma_f64 v[115:116], v[103:104], v[129:130], v[119:120]
	v_add_f64 v[2:3], v[2:3], v[113:114]
	s_clause 0x3
	buffer_load_dword v113, off, s[0:3], 0 offset:400
	buffer_load_dword v114, off, s[0:3], 0 offset:404
	;; [unrolled: 1-line block ×4, first 2 shown]
	s_waitcnt vmcnt(49) lgkmcnt(0)
	v_mul_f64 v[129:130], v[99:100], v[131:132]
	s_waitcnt vmcnt(48)
	v_fma_f64 v[121:122], v[93:94], v[127:128], -v[121:122]
	ds_read_b128 v[101:104], v1 offset:1232
	v_mul_f64 v[125:126], v[97:98], v[131:132]
	v_fma_f64 v[117:118], v[95:96], v[127:128], v[117:118]
	ds_read_b128 v[93:96], v1 offset:1248
	v_add_f64 v[109:110], v[109:110], v[123:124]
	v_add_f64 v[2:3], v[2:3], v[115:116]
	s_waitcnt vmcnt(47) lgkmcnt(1)
	v_mul_f64 v[123:124], v[103:104], v[133:134]
	s_waitcnt vmcnt(45)
	v_fma_f64 v[127:128], v[97:98], v[137:138], -v[129:130]
	v_mul_f64 v[115:116], v[101:102], v[133:134]
	v_add_f64 v[109:110], v[109:110], v[121:122]
	v_fma_f64 v[121:122], v[99:100], v[137:138], v[125:126]
	v_add_f64 v[2:3], v[2:3], v[117:118]
	s_waitcnt vmcnt(41) lgkmcnt(0)
	v_mul_f64 v[125:126], v[95:96], v[139:140]
	s_waitcnt vmcnt(40)
	v_fma_f64 v[123:124], v[101:102], v[135:136], -v[123:124]
	ds_read_b128 v[97:100], v1 offset:1264
	v_mul_f64 v[117:118], v[93:94], v[139:140]
	v_fma_f64 v[115:116], v[103:104], v[135:136], v[115:116]
	ds_read_b128 v[101:104], v1 offset:1280
	v_add_f64 v[109:110], v[109:110], v[127:128]
	v_add_f64 v[2:3], v[2:3], v[121:122]
	s_waitcnt vmcnt(39) lgkmcnt(1)
	v_mul_f64 v[127:128], v[99:100], v[141:142]
	s_waitcnt vmcnt(37)
	v_fma_f64 v[125:126], v[93:94], v[145:146], -v[125:126]
	v_mul_f64 v[121:122], v[97:98], v[141:142]
	v_fma_f64 v[117:118], v[95:96], v[145:146], v[117:118]
	ds_read_b128 v[93:96], v1 offset:1296
	v_add_f64 v[109:110], v[109:110], v[123:124]
	s_waitcnt vmcnt(33) lgkmcnt(1)
	v_mul_f64 v[123:124], v[103:104], v[147:148]
	v_add_f64 v[2:3], v[2:3], v[115:116]
	s_waitcnt vmcnt(32)
	v_fma_f64 v[127:128], v[97:98], v[143:144], -v[127:128]
	v_mul_f64 v[115:116], v[101:102], v[147:148]
	v_fma_f64 v[121:122], v[99:100], v[143:144], v[121:122]
	ds_read_b128 v[97:100], v1 offset:1312
	v_add_f64 v[109:110], v[109:110], v[125:126]
	s_waitcnt vmcnt(31) lgkmcnt(1)
	v_mul_f64 v[125:126], v[95:96], v[150:151]
	v_add_f64 v[2:3], v[2:3], v[117:118]
	;; [unrolled: 9-line block ×5, first 2 shown]
	s_waitcnt vmcnt(16)
	v_fma_f64 v[123:124], v[101:102], v[160:161], -v[123:124]
	v_mul_f64 v[117:118], v[93:94], v[166:167]
	v_fma_f64 v[115:116], v[103:104], v[160:161], v[115:116]
	ds_read_b128 v[101:104], v1 offset:1376
	v_add_f64 v[109:110], v[109:110], v[127:128]
	v_add_f64 v[2:3], v[2:3], v[121:122]
	s_waitcnt vmcnt(15) lgkmcnt(1)
	v_mul_f64 v[127:128], v[99:100], v[168:169]
	v_mul_f64 v[121:122], v[97:98], v[168:169]
	s_waitcnt vmcnt(13)
	v_fma_f64 v[125:126], v[93:94], v[107:108], -v[125:126]
	v_fma_f64 v[107:108], v[95:96], v[107:108], v[117:118]
	ds_read_b128 v[93:96], v1 offset:1392
	v_add_f64 v[109:110], v[109:110], v[123:124]
	v_add_f64 v[2:3], v[2:3], v[115:116]
	s_waitcnt vmcnt(9) lgkmcnt(1)
	v_mul_f64 v[115:116], v[101:102], v[111:112]
	v_mul_f64 v[111:112], v[103:104], v[111:112]
	s_waitcnt vmcnt(8)
	v_fma_f64 v[97:98], v[97:98], v[170:171], -v[127:128]
	v_fma_f64 v[99:100], v[99:100], v[170:171], v[121:122]
	v_add_f64 v[109:110], v[109:110], v[125:126]
	v_add_f64 v[2:3], v[2:3], v[107:108]
	s_waitcnt vmcnt(7) lgkmcnt(0)
	v_mul_f64 v[117:118], v[95:96], v[172:173]
	v_mul_f64 v[107:108], v[93:94], v[172:173]
	s_waitcnt vmcnt(5)
	v_fma_f64 v[101:102], v[101:102], v[105:106], -v[111:112]
	v_fma_f64 v[103:104], v[103:104], v[105:106], v[115:116]
	v_add_f64 v[97:98], v[109:110], v[97:98]
	v_add_f64 v[2:3], v[2:3], v[99:100]
	s_waitcnt vmcnt(4)
	v_fma_f64 v[93:94], v[93:94], v[177:178], -v[117:118]
	v_fma_f64 v[95:96], v[95:96], v[177:178], v[107:108]
	v_add_f64 v[97:98], v[97:98], v[101:102]
	v_add_f64 v[2:3], v[2:3], v[103:104]
	;; [unrolled: 1-line block ×4, first 2 shown]
	s_waitcnt vmcnt(2)
	v_add_f64 v[93:94], v[113:114], -v[93:94]
	s_waitcnt vmcnt(0)
	v_add_f64 v[2:3], v[119:120], -v[2:3]
	buffer_store_dword v94, off, s[0:3], 0 offset:404
	buffer_store_dword v93, off, s[0:3], 0 offset:400
	;; [unrolled: 1-line block ×4, first 2 shown]
	v_cmpx_lt_u32_e32 23, v0
	s_cbranch_execz .LBB107_231
; %bb.230:
	v_mov_b32_e32 v2, s33
	s_clause 0x3
	buffer_load_dword v93, v2, s[0:3], 0 offen
	buffer_load_dword v94, v2, s[0:3], 0 offen offset:4
	buffer_load_dword v95, v2, s[0:3], 0 offen offset:8
	;; [unrolled: 1-line block ×3, first 2 shown]
	buffer_store_dword v1, off, s[0:3], 0 offset:384
	buffer_store_dword v1, off, s[0:3], 0 offset:388
	buffer_store_dword v1, off, s[0:3], 0 offset:392
	buffer_store_dword v1, off, s[0:3], 0 offset:396
	s_waitcnt vmcnt(0)
	ds_write_b128 v149, v[93:96]
.LBB107_231:
	s_or_b32 exec_lo, exec_lo, s4
	s_waitcnt lgkmcnt(0)
	s_waitcnt_vscnt null, 0x0
	s_barrier
	buffer_gl0_inv
	s_clause 0x37
	buffer_load_dword v2, off, s[0:3], 0 offset:408
	buffer_load_dword v3, off, s[0:3], 0 offset:412
	;; [unrolled: 1-line block ×56, first 2 shown]
	ds_read_b128 v[93:96], v1 offset:1088
	s_clause 0x2
	buffer_load_dword v159, off, s[0:3], 0 offset:636
	buffer_load_dword v163, off, s[0:3], 0 offset:612
	;; [unrolled: 1-line block ×3, first 2 shown]
	ds_read_b128 v[97:100], v1 offset:1104
	s_clause 0x4
	buffer_load_dword v167, off, s[0:3], 0 offset:652
	buffer_load_dword v168, off, s[0:3], 0 offset:664
	;; [unrolled: 1-line block ×5, first 2 shown]
	ds_read_b128 v[101:104], v1 offset:1120
	s_mov_b32 s4, exec_lo
	s_waitcnt vmcnt(62) lgkmcnt(2)
	v_mul_f64 v[164:165], v[95:96], v[2:3]
	v_mul_f64 v[2:3], v[93:94], v[2:3]
	s_waitcnt vmcnt(60) lgkmcnt(1)
	v_mul_f64 v[171:172], v[99:100], v[105:106]
	v_mul_f64 v[105:106], v[97:98], v[105:106]
	;; [unrolled: 3-line block ×3, first 2 shown]
	v_fma_f64 v[164:165], v[93:94], v[107:108], -v[164:165]
	v_fma_f64 v[2:3], v[95:96], v[107:108], v[2:3]
	s_clause 0x2
	buffer_load_dword v169, off, s[0:3], 0 offset:668
	buffer_load_dword v108, off, s[0:3], 0 offset:644
	;; [unrolled: 1-line block ×3, first 2 shown]
	s_waitcnt vmcnt(57)
	v_fma_f64 v[175:176], v[97:98], v[111:112], -v[171:172]
	ds_read_b128 v[93:96], v1 offset:1136
	v_fma_f64 v[105:106], v[99:100], v[111:112], v[105:106]
	s_clause 0x4
	buffer_load_dword v112, off, s[0:3], 0 offset:684
	buffer_load_dword v172, off, s[0:3], 0 offset:696
	;; [unrolled: 1-line block ×5, first 2 shown]
	s_waitcnt vmcnt(56)
	v_fma_f64 v[109:110], v[101:102], v[119:120], -v[109:110]
	ds_read_b128 v[97:100], v1 offset:1152
	v_fma_f64 v[119:120], v[103:104], v[119:120], v[173:174]
	v_add_f64 v[164:165], v[164:165], 0
	v_add_f64 v[2:3], v[2:3], 0
	s_waitcnt lgkmcnt(1)
	v_mul_f64 v[178:179], v[93:94], v[113:114]
	v_mul_f64 v[113:114], v[95:96], v[113:114]
	v_add_f64 v[164:165], v[164:165], v[175:176]
	v_add_f64 v[2:3], v[2:3], v[105:106]
	s_clause 0x2
	buffer_load_dword v173, off, s[0:3], 0 offset:700
	buffer_load_dword v106, off, s[0:3], 0 offset:676
	;; [unrolled: 1-line block ×3, first 2 shown]
	s_waitcnt vmcnt(58) lgkmcnt(0)
	v_mul_f64 v[174:175], v[97:98], v[115:116]
	v_mul_f64 v[115:116], v[99:100], v[115:116]
	s_waitcnt vmcnt(56)
	v_fma_f64 v[113:114], v[93:94], v[121:122], -v[113:114]
	ds_read_b128 v[101:104], v1 offset:1168
	v_fma_f64 v[121:122], v[95:96], v[121:122], v[178:179]
	v_add_f64 v[109:110], v[164:165], v[109:110]
	v_add_f64 v[2:3], v[2:3], v[119:120]
	s_clause 0x2
	buffer_load_dword v120, off, s[0:3], 0 offset:716
	buffer_load_dword v119, off, s[0:3], 0 offset:712
	;; [unrolled: 1-line block ×3, first 2 shown]
	ds_read_b128 v[93:96], v1 offset:1184
	s_waitcnt vmcnt(55) lgkmcnt(1)
	v_mul_f64 v[164:165], v[101:102], v[123:124]
	v_mul_f64 v[123:124], v[103:104], v[123:124]
	s_waitcnt vmcnt(54)
	v_fma_f64 v[115:116], v[97:98], v[117:118], -v[115:116]
	v_add_f64 v[109:110], v[109:110], v[113:114]
	v_fma_f64 v[113:114], v[99:100], v[117:118], v[174:175]
	v_add_f64 v[2:3], v[2:3], v[121:122]
	s_clause 0x1
	buffer_load_dword v118, off, s[0:3], 0 offset:708
	buffer_load_dword v117, off, s[0:3], 0 offset:704
	s_waitcnt vmcnt(55) lgkmcnt(0)
	v_mul_f64 v[121:122], v[93:94], v[125:126]
	v_mul_f64 v[125:126], v[95:96], v[125:126]
	s_waitcnt vmcnt(53)
	v_fma_f64 v[123:124], v[101:102], v[129:130], -v[123:124]
	ds_read_b128 v[97:100], v1 offset:1200
	v_add_f64 v[109:110], v[109:110], v[115:116]
	v_fma_f64 v[115:116], v[103:104], v[129:130], v[164:165]
	v_add_f64 v[2:3], v[2:3], v[113:114]
	ds_read_b128 v[101:104], v1 offset:1216
	s_waitcnt vmcnt(48)
	v_fma_f64 v[121:122], v[95:96], v[127:128], v[121:122]
	s_waitcnt lgkmcnt(1)
	v_mul_f64 v[129:130], v[99:100], v[131:132]
	v_fma_f64 v[125:126], v[93:94], v[127:128], -v[125:126]
	v_mul_f64 v[113:114], v[97:98], v[131:132]
	v_add_f64 v[109:110], v[109:110], v[123:124]
	s_waitcnt vmcnt(47) lgkmcnt(0)
	v_mul_f64 v[131:132], v[103:104], v[133:134]
	v_add_f64 v[2:3], v[2:3], v[115:116]
	s_clause 0x3
	buffer_load_dword v115, off, s[0:3], 0 offset:384
	buffer_load_dword v116, off, s[0:3], 0 offset:388
	;; [unrolled: 1-line block ×4, first 2 shown]
	ds_read_b128 v[93:96], v1 offset:1232
	s_waitcnt vmcnt(49)
	v_fma_f64 v[129:130], v[97:98], v[137:138], -v[129:130]
	v_mul_f64 v[127:128], v[101:102], v[133:134]
	v_fma_f64 v[113:114], v[99:100], v[137:138], v[113:114]
	ds_read_b128 v[97:100], v1 offset:1248
	v_add_f64 v[109:110], v[109:110], v[125:126]
	s_waitcnt vmcnt(44)
	v_fma_f64 v[131:132], v[101:102], v[135:136], -v[131:132]
	v_add_f64 v[2:3], v[2:3], v[121:122]
	s_waitcnt lgkmcnt(1)
	v_mul_f64 v[125:126], v[95:96], v[139:140]
	v_mul_f64 v[121:122], v[93:94], v[139:140]
	v_fma_f64 v[127:128], v[103:104], v[135:136], v[127:128]
	ds_read_b128 v[101:104], v1 offset:1264
	v_add_f64 v[109:110], v[109:110], v[129:130]
	s_waitcnt vmcnt(43) lgkmcnt(1)
	v_mul_f64 v[129:130], v[99:100], v[141:142]
	v_add_f64 v[2:3], v[2:3], v[113:114]
	s_waitcnt vmcnt(41)
	v_fma_f64 v[125:126], v[93:94], v[145:146], -v[125:126]
	v_mul_f64 v[113:114], v[97:98], v[141:142]
	v_fma_f64 v[121:122], v[95:96], v[145:146], v[121:122]
	ds_read_b128 v[93:96], v1 offset:1280
	v_add_f64 v[109:110], v[109:110], v[131:132]
	s_waitcnt vmcnt(37) lgkmcnt(1)
	v_mul_f64 v[131:132], v[103:104], v[147:148]
	v_add_f64 v[2:3], v[2:3], v[127:128]
	s_waitcnt vmcnt(36)
	v_fma_f64 v[129:130], v[97:98], v[143:144], -v[129:130]
	;; [unrolled: 9-line block ×6, first 2 shown]
	v_mul_f64 v[121:122], v[93:94], v[166:167]
	v_fma_f64 v[127:128], v[103:104], v[160:161], v[127:128]
	ds_read_b128 v[101:104], v1 offset:1360
	v_add_f64 v[109:110], v[109:110], v[129:130]
	v_add_f64 v[2:3], v[2:3], v[113:114]
	s_waitcnt vmcnt(19) lgkmcnt(1)
	v_mul_f64 v[129:130], v[99:100], v[168:169]
	v_mul_f64 v[113:114], v[97:98], v[168:169]
	s_waitcnt vmcnt(17)
	v_fma_f64 v[125:126], v[93:94], v[107:108], -v[125:126]
	v_fma_f64 v[107:108], v[95:96], v[107:108], v[121:122]
	ds_read_b128 v[93:96], v1 offset:1376
	s_waitcnt vmcnt(13) lgkmcnt(1)
	v_mul_f64 v[121:122], v[101:102], v[111:112]
	v_mul_f64 v[111:112], v[103:104], v[111:112]
	v_add_f64 v[109:110], v[109:110], v[131:132]
	v_add_f64 v[2:3], v[2:3], v[127:128]
	s_waitcnt vmcnt(12)
	v_fma_f64 v[97:98], v[97:98], v[170:171], -v[129:130]
	v_fma_f64 v[99:100], v[99:100], v[170:171], v[113:114]
	v_add_f64 v[109:110], v[109:110], v[125:126]
	v_add_f64 v[107:108], v[2:3], v[107:108]
	ds_read_b128 v[1:4], v1 offset:1392
	s_waitcnt vmcnt(11) lgkmcnt(1)
	v_mul_f64 v[125:126], v[95:96], v[172:173]
	v_mul_f64 v[113:114], v[93:94], v[172:173]
	s_waitcnt vmcnt(9)
	v_fma_f64 v[101:102], v[101:102], v[105:106], -v[111:112]
	v_fma_f64 v[103:104], v[103:104], v[105:106], v[121:122]
	v_add_f64 v[97:98], v[109:110], v[97:98]
	v_add_f64 v[99:100], v[107:108], v[99:100]
	s_waitcnt vmcnt(7) lgkmcnt(0)
	v_mul_f64 v[107:108], v[3:4], v[119:120]
	s_waitcnt vmcnt(6)
	v_fma_f64 v[93:94], v[93:94], v[177:178], -v[125:126]
	v_mul_f64 v[105:106], v[1:2], v[119:120]
	v_fma_f64 v[95:96], v[95:96], v[177:178], v[113:114]
	v_add_f64 v[97:98], v[97:98], v[101:102]
	v_add_f64 v[99:100], v[99:100], v[103:104]
	s_waitcnt vmcnt(4)
	v_fma_f64 v[1:2], v[1:2], v[117:118], -v[107:108]
	v_fma_f64 v[3:4], v[3:4], v[117:118], v[105:106]
	v_add_f64 v[93:94], v[97:98], v[93:94]
	v_add_f64 v[95:96], v[99:100], v[95:96]
	;; [unrolled: 1-line block ×4, first 2 shown]
	s_waitcnt vmcnt(2)
	v_add_f64 v[1:2], v[115:116], -v[1:2]
	s_waitcnt vmcnt(0)
	v_add_f64 v[3:4], v[123:124], -v[3:4]
	buffer_store_dword v2, off, s[0:3], 0 offset:388
	buffer_store_dword v1, off, s[0:3], 0 offset:384
	;; [unrolled: 1-line block ×4, first 2 shown]
	v_cmpx_lt_u32_e32 22, v0
	s_cbranch_execz .LBB107_233
; %bb.232:
	v_mov_b32_e32 v4, s34
	v_mov_b32_e32 v93, 0
	s_clause 0x3
	buffer_load_dword v1, v4, s[0:3], 0 offen
	buffer_load_dword v2, v4, s[0:3], 0 offen offset:4
	buffer_load_dword v3, v4, s[0:3], 0 offen offset:8
	;; [unrolled: 1-line block ×3, first 2 shown]
	buffer_store_dword v93, off, s[0:3], 0 offset:368
	buffer_store_dword v93, off, s[0:3], 0 offset:372
	;; [unrolled: 1-line block ×4, first 2 shown]
	s_waitcnt vmcnt(0)
	ds_write_b128 v149, v[1:4]
.LBB107_233:
	s_or_b32 exec_lo, exec_lo, s4
	s_waitcnt lgkmcnt(0)
	s_waitcnt_vscnt null, 0x0
	s_barrier
	buffer_gl0_inv
	s_clause 0x37
	buffer_load_dword v2, off, s[0:3], 0 offset:392
	buffer_load_dword v3, off, s[0:3], 0 offset:396
	;; [unrolled: 1-line block ×56, first 2 shown]
	v_mov_b32_e32 v1, 0
	s_mov_b32 s4, exec_lo
	ds_read_b128 v[93:96], v1 offset:1072
	s_clause 0x2
	buffer_load_dword v159, off, s[0:3], 0 offset:620
	buffer_load_dword v163, off, s[0:3], 0 offset:596
	;; [unrolled: 1-line block ×3, first 2 shown]
	ds_read_b128 v[97:100], v1 offset:1088
	s_clause 0x4
	buffer_load_dword v167, off, s[0:3], 0 offset:636
	buffer_load_dword v168, off, s[0:3], 0 offset:648
	;; [unrolled: 1-line block ×5, first 2 shown]
	ds_read_b128 v[101:104], v1 offset:1104
	s_waitcnt vmcnt(62) lgkmcnt(2)
	v_mul_f64 v[164:165], v[95:96], v[2:3]
	v_mul_f64 v[2:3], v[93:94], v[2:3]
	s_waitcnt vmcnt(60) lgkmcnt(1)
	v_mul_f64 v[171:172], v[99:100], v[105:106]
	v_mul_f64 v[105:106], v[97:98], v[105:106]
	;; [unrolled: 3-line block ×3, first 2 shown]
	v_fma_f64 v[164:165], v[93:94], v[107:108], -v[164:165]
	v_fma_f64 v[2:3], v[95:96], v[107:108], v[2:3]
	s_clause 0x2
	buffer_load_dword v169, off, s[0:3], 0 offset:652
	buffer_load_dword v108, off, s[0:3], 0 offset:628
	;; [unrolled: 1-line block ×3, first 2 shown]
	s_waitcnt vmcnt(57)
	v_fma_f64 v[175:176], v[97:98], v[111:112], -v[171:172]
	ds_read_b128 v[93:96], v1 offset:1120
	v_fma_f64 v[105:106], v[99:100], v[111:112], v[105:106]
	s_clause 0x4
	buffer_load_dword v112, off, s[0:3], 0 offset:668
	buffer_load_dword v172, off, s[0:3], 0 offset:680
	buffer_load_dword v177, off, s[0:3], 0 offset:672
	buffer_load_dword v111, off, s[0:3], 0 offset:664
	buffer_load_dword v171, off, s[0:3], 0 offset:644
	s_waitcnt vmcnt(56)
	v_fma_f64 v[109:110], v[101:102], v[119:120], -v[109:110]
	ds_read_b128 v[97:100], v1 offset:1136
	v_fma_f64 v[119:120], v[103:104], v[119:120], v[173:174]
	v_add_f64 v[164:165], v[164:165], 0
	v_add_f64 v[2:3], v[2:3], 0
	s_waitcnt lgkmcnt(1)
	v_mul_f64 v[178:179], v[93:94], v[113:114]
	v_mul_f64 v[113:114], v[95:96], v[113:114]
	v_add_f64 v[164:165], v[164:165], v[175:176]
	v_add_f64 v[2:3], v[2:3], v[105:106]
	s_clause 0x2
	buffer_load_dword v173, off, s[0:3], 0 offset:684
	buffer_load_dword v106, off, s[0:3], 0 offset:660
	;; [unrolled: 1-line block ×3, first 2 shown]
	s_waitcnt vmcnt(58) lgkmcnt(0)
	v_mul_f64 v[174:175], v[97:98], v[115:116]
	v_mul_f64 v[115:116], v[99:100], v[115:116]
	s_waitcnt vmcnt(56)
	v_fma_f64 v[113:114], v[93:94], v[121:122], -v[113:114]
	ds_read_b128 v[101:104], v1 offset:1152
	v_fma_f64 v[121:122], v[95:96], v[121:122], v[178:179]
	v_add_f64 v[109:110], v[164:165], v[109:110]
	v_add_f64 v[2:3], v[2:3], v[119:120]
	s_clause 0x4
	buffer_load_dword v120, off, s[0:3], 0 offset:700
	buffer_load_dword v164, off, s[0:3], 0 offset:712
	;; [unrolled: 1-line block ×5, first 2 shown]
	ds_read_b128 v[93:96], v1 offset:1168
	s_waitcnt vmcnt(57) lgkmcnt(1)
	v_mul_f64 v[180:181], v[101:102], v[123:124]
	v_mul_f64 v[123:124], v[103:104], v[123:124]
	s_waitcnt vmcnt(56)
	v_fma_f64 v[115:116], v[97:98], v[117:118], -v[115:116]
	v_add_f64 v[109:110], v[109:110], v[113:114]
	v_fma_f64 v[113:114], v[99:100], v[117:118], v[174:175]
	v_add_f64 v[2:3], v[2:3], v[121:122]
	s_clause 0x2
	buffer_load_dword v165, off, s[0:3], 0 offset:716
	buffer_load_dword v118, off, s[0:3], 0 offset:692
	;; [unrolled: 1-line block ×3, first 2 shown]
	s_waitcnt vmcnt(58) lgkmcnt(0)
	v_mul_f64 v[121:122], v[93:94], v[125:126]
	v_mul_f64 v[125:126], v[95:96], v[125:126]
	s_waitcnt vmcnt(56)
	v_fma_f64 v[123:124], v[101:102], v[129:130], -v[123:124]
	ds_read_b128 v[97:100], v1 offset:1184
	v_add_f64 v[109:110], v[109:110], v[115:116]
	v_fma_f64 v[115:116], v[103:104], v[129:130], v[180:181]
	v_add_f64 v[2:3], v[2:3], v[113:114]
	buffer_load_dword v180, off, s[0:3], 0 offset:708
	ds_read_b128 v[101:104], v1 offset:1200
	s_waitcnt vmcnt(53) lgkmcnt(1)
	v_mul_f64 v[129:130], v[99:100], v[131:132]
	s_waitcnt vmcnt(52)
	v_fma_f64 v[125:126], v[93:94], v[127:128], -v[125:126]
	v_mul_f64 v[113:114], v[97:98], v[131:132]
	v_fma_f64 v[121:122], v[95:96], v[127:128], v[121:122]
	ds_read_b128 v[93:96], v1 offset:1216
	v_add_f64 v[109:110], v[109:110], v[123:124]
	v_add_f64 v[2:3], v[2:3], v[115:116]
	s_waitcnt vmcnt(51) lgkmcnt(1)
	v_mul_f64 v[123:124], v[103:104], v[133:134]
	v_mul_f64 v[115:116], v[101:102], v[133:134]
	s_waitcnt vmcnt(49)
	v_fma_f64 v[127:128], v[97:98], v[137:138], -v[129:130]
	v_fma_f64 v[113:114], v[99:100], v[137:138], v[113:114]
	s_waitcnt vmcnt(45) lgkmcnt(0)
	v_mul_f64 v[131:132], v[95:96], v[139:140]
	v_mul_f64 v[129:130], v[93:94], v[139:140]
	v_add_f64 v[109:110], v[109:110], v[125:126]
	v_add_f64 v[2:3], v[2:3], v[121:122]
	s_clause 0x3
	buffer_load_dword v121, off, s[0:3], 0 offset:368
	buffer_load_dword v122, off, s[0:3], 0 offset:372
	;; [unrolled: 1-line block ×4, first 2 shown]
	s_waitcnt vmcnt(48)
	v_fma_f64 v[123:124], v[101:102], v[135:136], -v[123:124]
	ds_read_b128 v[97:100], v1 offset:1232
	v_fma_f64 v[115:116], v[103:104], v[135:136], v[115:116]
	ds_read_b128 v[101:104], v1 offset:1248
	s_waitcnt vmcnt(45)
	v_fma_f64 v[131:132], v[93:94], v[145:146], -v[131:132]
	v_add_f64 v[109:110], v[109:110], v[127:128]
	v_add_f64 v[2:3], v[2:3], v[113:114]
	s_waitcnt lgkmcnt(1)
	v_mul_f64 v[127:128], v[99:100], v[141:142]
	v_mul_f64 v[113:114], v[97:98], v[141:142]
	v_add_f64 v[109:110], v[109:110], v[123:124]
	v_fma_f64 v[123:124], v[95:96], v[145:146], v[129:130]
	v_add_f64 v[2:3], v[2:3], v[115:116]
	s_waitcnt vmcnt(41) lgkmcnt(0)
	v_mul_f64 v[129:130], v[103:104], v[147:148]
	s_waitcnt vmcnt(40)
	v_fma_f64 v[127:128], v[97:98], v[143:144], -v[127:128]
	ds_read_b128 v[93:96], v1 offset:1264
	v_mul_f64 v[115:116], v[101:102], v[147:148]
	v_fma_f64 v[113:114], v[99:100], v[143:144], v[113:114]
	ds_read_b128 v[97:100], v1 offset:1280
	v_add_f64 v[109:110], v[109:110], v[131:132]
	v_add_f64 v[2:3], v[2:3], v[123:124]
	s_waitcnt vmcnt(39) lgkmcnt(1)
	v_mul_f64 v[131:132], v[95:96], v[150:151]
	s_waitcnt vmcnt(37)
	v_fma_f64 v[129:130], v[101:102], v[154:155], -v[129:130]
	v_mul_f64 v[123:124], v[93:94], v[150:151]
	v_fma_f64 v[115:116], v[103:104], v[154:155], v[115:116]
	ds_read_b128 v[101:104], v1 offset:1296
	v_add_f64 v[109:110], v[109:110], v[127:128]
	s_waitcnt vmcnt(33) lgkmcnt(1)
	v_mul_f64 v[127:128], v[99:100], v[156:157]
	v_add_f64 v[2:3], v[2:3], v[113:114]
	s_waitcnt vmcnt(32)
	v_fma_f64 v[131:132], v[93:94], v[152:153], -v[131:132]
	v_mul_f64 v[113:114], v[97:98], v[156:157]
	v_fma_f64 v[123:124], v[95:96], v[152:153], v[123:124]
	ds_read_b128 v[93:96], v1 offset:1312
	v_add_f64 v[109:110], v[109:110], v[129:130]
	s_waitcnt vmcnt(31) lgkmcnt(1)
	v_mul_f64 v[129:130], v[103:104], v[158:159]
	v_add_f64 v[2:3], v[2:3], v[115:116]
	;; [unrolled: 9-line block ×3, first 2 shown]
	s_waitcnt vmcnt(24)
	v_fma_f64 v[129:130], v[101:102], v[160:161], -v[129:130]
	v_mul_f64 v[123:124], v[93:94], v[166:167]
	v_fma_f64 v[115:116], v[103:104], v[160:161], v[115:116]
	ds_read_b128 v[101:104], v1 offset:1344
	v_add_f64 v[109:110], v[109:110], v[127:128]
	v_add_f64 v[2:3], v[2:3], v[113:114]
	s_waitcnt vmcnt(23) lgkmcnt(1)
	v_mul_f64 v[127:128], v[99:100], v[168:169]
	v_mul_f64 v[113:114], v[97:98], v[168:169]
	s_waitcnt vmcnt(21)
	v_fma_f64 v[131:132], v[93:94], v[107:108], -v[131:132]
	v_fma_f64 v[107:108], v[95:96], v[107:108], v[123:124]
	ds_read_b128 v[93:96], v1 offset:1360
	v_add_f64 v[109:110], v[109:110], v[129:130]
	v_add_f64 v[2:3], v[2:3], v[115:116]
	s_waitcnt vmcnt(17) lgkmcnt(1)
	v_mul_f64 v[115:116], v[101:102], v[111:112]
	v_mul_f64 v[111:112], v[103:104], v[111:112]
	s_waitcnt vmcnt(16)
	v_fma_f64 v[123:124], v[97:98], v[170:171], -v[127:128]
	;; [unrolled: 9-line block ×3, first 2 shown]
	v_fma_f64 v[105:106], v[103:104], v[105:106], v[115:116]
	ds_read_b128 v[101:104], v1 offset:1392
	v_add_f64 v[109:110], v[109:110], v[123:124]
	v_add_f64 v[2:3], v[2:3], v[113:114]
	s_waitcnt vmcnt(9) lgkmcnt(1)
	v_mul_f64 v[115:116], v[99:100], v[119:120]
	s_waitcnt vmcnt(8)
	v_fma_f64 v[93:94], v[93:94], v[177:178], -v[127:128]
	v_mul_f64 v[113:114], v[97:98], v[119:120]
	v_fma_f64 v[95:96], v[95:96], v[177:178], v[107:108]
	v_add_f64 v[109:110], v[109:110], v[111:112]
	v_add_f64 v[2:3], v[2:3], v[105:106]
	s_waitcnt vmcnt(7) lgkmcnt(0)
	v_mul_f64 v[107:108], v[103:104], v[164:165]
	v_mul_f64 v[105:106], v[101:102], v[164:165]
	s_waitcnt vmcnt(5)
	v_fma_f64 v[97:98], v[97:98], v[117:118], -v[115:116]
	v_fma_f64 v[99:100], v[99:100], v[117:118], v[113:114]
	v_add_f64 v[93:94], v[109:110], v[93:94]
	v_add_f64 v[2:3], v[2:3], v[95:96]
	s_waitcnt vmcnt(4)
	v_fma_f64 v[95:96], v[101:102], v[179:180], -v[107:108]
	v_add_f64 v[93:94], v[93:94], v[97:98]
	v_fma_f64 v[97:98], v[103:104], v[179:180], v[105:106]
	v_add_f64 v[2:3], v[2:3], v[99:100]
	v_add_f64 v[93:94], v[93:94], v[95:96]
	;; [unrolled: 1-line block ×3, first 2 shown]
	s_waitcnt vmcnt(2)
	v_add_f64 v[93:94], v[121:122], -v[93:94]
	s_waitcnt vmcnt(0)
	v_add_f64 v[2:3], v[125:126], -v[2:3]
	buffer_store_dword v94, off, s[0:3], 0 offset:372
	buffer_store_dword v93, off, s[0:3], 0 offset:368
	;; [unrolled: 1-line block ×4, first 2 shown]
	v_cmpx_lt_u32_e32 21, v0
	s_cbranch_execz .LBB107_235
; %bb.234:
	v_mov_b32_e32 v2, s35
	s_clause 0x3
	buffer_load_dword v93, v2, s[0:3], 0 offen
	buffer_load_dword v94, v2, s[0:3], 0 offen offset:4
	buffer_load_dword v95, v2, s[0:3], 0 offen offset:8
	;; [unrolled: 1-line block ×3, first 2 shown]
	buffer_store_dword v1, off, s[0:3], 0 offset:352
	buffer_store_dword v1, off, s[0:3], 0 offset:356
	;; [unrolled: 1-line block ×4, first 2 shown]
	s_waitcnt vmcnt(0)
	ds_write_b128 v149, v[93:96]
.LBB107_235:
	s_or_b32 exec_lo, exec_lo, s4
	s_waitcnt lgkmcnt(0)
	s_waitcnt_vscnt null, 0x0
	s_barrier
	buffer_gl0_inv
	s_clause 0x37
	buffer_load_dword v2, off, s[0:3], 0 offset:376
	buffer_load_dword v3, off, s[0:3], 0 offset:380
	;; [unrolled: 1-line block ×56, first 2 shown]
	ds_read_b128 v[93:96], v1 offset:1056
	s_clause 0x2
	buffer_load_dword v159, off, s[0:3], 0 offset:604
	buffer_load_dword v163, off, s[0:3], 0 offset:580
	;; [unrolled: 1-line block ×3, first 2 shown]
	ds_read_b128 v[97:100], v1 offset:1072
	s_clause 0x4
	buffer_load_dword v167, off, s[0:3], 0 offset:620
	buffer_load_dword v168, off, s[0:3], 0 offset:632
	;; [unrolled: 1-line block ×5, first 2 shown]
	ds_read_b128 v[101:104], v1 offset:1088
	s_mov_b32 s4, exec_lo
	s_waitcnt vmcnt(62) lgkmcnt(2)
	v_mul_f64 v[164:165], v[95:96], v[2:3]
	v_mul_f64 v[2:3], v[93:94], v[2:3]
	s_waitcnt vmcnt(60) lgkmcnt(1)
	v_mul_f64 v[171:172], v[99:100], v[105:106]
	v_mul_f64 v[105:106], v[97:98], v[105:106]
	;; [unrolled: 3-line block ×3, first 2 shown]
	v_fma_f64 v[164:165], v[93:94], v[107:108], -v[164:165]
	v_fma_f64 v[2:3], v[95:96], v[107:108], v[2:3]
	s_clause 0x2
	buffer_load_dword v169, off, s[0:3], 0 offset:636
	buffer_load_dword v108, off, s[0:3], 0 offset:612
	;; [unrolled: 1-line block ×3, first 2 shown]
	s_waitcnt vmcnt(57)
	v_fma_f64 v[175:176], v[97:98], v[111:112], -v[171:172]
	ds_read_b128 v[93:96], v1 offset:1104
	v_fma_f64 v[105:106], v[99:100], v[111:112], v[105:106]
	s_clause 0x4
	buffer_load_dword v112, off, s[0:3], 0 offset:652
	buffer_load_dword v172, off, s[0:3], 0 offset:664
	;; [unrolled: 1-line block ×5, first 2 shown]
	s_waitcnt vmcnt(56)
	v_fma_f64 v[109:110], v[101:102], v[119:120], -v[109:110]
	ds_read_b128 v[97:100], v1 offset:1120
	v_fma_f64 v[119:120], v[103:104], v[119:120], v[173:174]
	v_add_f64 v[164:165], v[164:165], 0
	v_add_f64 v[2:3], v[2:3], 0
	s_waitcnt lgkmcnt(1)
	v_mul_f64 v[178:179], v[93:94], v[113:114]
	v_mul_f64 v[113:114], v[95:96], v[113:114]
	v_add_f64 v[164:165], v[164:165], v[175:176]
	v_add_f64 v[2:3], v[2:3], v[105:106]
	s_clause 0x2
	buffer_load_dword v173, off, s[0:3], 0 offset:668
	buffer_load_dword v106, off, s[0:3], 0 offset:644
	;; [unrolled: 1-line block ×3, first 2 shown]
	s_waitcnt vmcnt(58) lgkmcnt(0)
	v_mul_f64 v[174:175], v[97:98], v[115:116]
	v_mul_f64 v[115:116], v[99:100], v[115:116]
	s_waitcnt vmcnt(56)
	v_fma_f64 v[113:114], v[93:94], v[121:122], -v[113:114]
	ds_read_b128 v[101:104], v1 offset:1136
	v_fma_f64 v[121:122], v[95:96], v[121:122], v[178:179]
	v_add_f64 v[109:110], v[164:165], v[109:110]
	v_add_f64 v[2:3], v[2:3], v[119:120]
	s_clause 0x4
	buffer_load_dword v120, off, s[0:3], 0 offset:684
	buffer_load_dword v164, off, s[0:3], 0 offset:696
	;; [unrolled: 1-line block ×5, first 2 shown]
	ds_read_b128 v[93:96], v1 offset:1152
	s_waitcnt vmcnt(57) lgkmcnt(1)
	v_mul_f64 v[180:181], v[101:102], v[123:124]
	v_mul_f64 v[123:124], v[103:104], v[123:124]
	s_waitcnt vmcnt(56)
	v_fma_f64 v[115:116], v[97:98], v[117:118], -v[115:116]
	v_add_f64 v[109:110], v[109:110], v[113:114]
	v_fma_f64 v[113:114], v[99:100], v[117:118], v[174:175]
	v_add_f64 v[2:3], v[2:3], v[121:122]
	s_clause 0x2
	buffer_load_dword v165, off, s[0:3], 0 offset:700
	buffer_load_dword v118, off, s[0:3], 0 offset:676
	buffer_load_dword v117, off, s[0:3], 0 offset:672
	s_waitcnt vmcnt(58) lgkmcnt(0)
	v_mul_f64 v[121:122], v[93:94], v[125:126]
	v_mul_f64 v[125:126], v[95:96], v[125:126]
	s_waitcnt vmcnt(56)
	v_fma_f64 v[123:124], v[101:102], v[129:130], -v[123:124]
	ds_read_b128 v[97:100], v1 offset:1168
	v_add_f64 v[109:110], v[109:110], v[115:116]
	v_fma_f64 v[115:116], v[103:104], v[129:130], v[180:181]
	v_add_f64 v[2:3], v[2:3], v[113:114]
	s_clause 0x2
	buffer_load_dword v114, off, s[0:3], 0 offset:716
	buffer_load_dword v113, off, s[0:3], 0 offset:712
	;; [unrolled: 1-line block ×3, first 2 shown]
	ds_read_b128 v[101:104], v1 offset:1184
	s_waitcnt vmcnt(55) lgkmcnt(1)
	v_mul_f64 v[129:130], v[97:98], v[131:132]
	v_mul_f64 v[131:132], v[99:100], v[131:132]
	s_waitcnt vmcnt(54)
	v_fma_f64 v[125:126], v[93:94], v[127:128], -v[125:126]
	v_fma_f64 v[121:122], v[95:96], v[127:128], v[121:122]
	v_add_f64 v[109:110], v[109:110], v[123:124]
	v_add_f64 v[2:3], v[2:3], v[115:116]
	s_clause 0x1
	buffer_load_dword v116, off, s[0:3], 0 offset:708
	buffer_load_dword v115, off, s[0:3], 0 offset:704
	s_waitcnt vmcnt(55) lgkmcnt(0)
	v_mul_f64 v[127:128], v[103:104], v[133:134]
	ds_read_b128 v[93:96], v1 offset:1200
	s_waitcnt vmcnt(53)
	v_fma_f64 v[131:132], v[97:98], v[137:138], -v[131:132]
	v_mul_f64 v[123:124], v[101:102], v[133:134]
	v_add_f64 v[109:110], v[109:110], v[125:126]
	v_fma_f64 v[125:126], v[99:100], v[137:138], v[129:130]
	v_add_f64 v[2:3], v[2:3], v[121:122]
	ds_read_b128 v[97:100], v1 offset:1216
	s_waitcnt vmcnt(49) lgkmcnt(1)
	v_mul_f64 v[129:130], v[95:96], v[139:140]
	s_waitcnt vmcnt(48)
	v_fma_f64 v[127:128], v[101:102], v[135:136], -v[127:128]
	v_mul_f64 v[121:122], v[93:94], v[139:140]
	v_fma_f64 v[123:124], v[103:104], v[135:136], v[123:124]
	v_add_f64 v[109:110], v[109:110], v[131:132]
	s_waitcnt vmcnt(47) lgkmcnt(0)
	v_mul_f64 v[135:136], v[99:100], v[141:142]
	v_add_f64 v[2:3], v[2:3], v[125:126]
	s_clause 0x3
	buffer_load_dword v125, off, s[0:3], 0 offset:352
	buffer_load_dword v126, off, s[0:3], 0 offset:356
	;; [unrolled: 1-line block ×4, first 2 shown]
	s_waitcnt vmcnt(49)
	v_fma_f64 v[129:130], v[93:94], v[145:146], -v[129:130]
	ds_read_b128 v[101:104], v1 offset:1232
	v_mul_f64 v[133:134], v[97:98], v[141:142]
	v_fma_f64 v[121:122], v[95:96], v[145:146], v[121:122]
	ds_read_b128 v[93:96], v1 offset:1248
	v_add_f64 v[109:110], v[109:110], v[127:128]
	s_waitcnt vmcnt(44)
	v_fma_f64 v[135:136], v[97:98], v[143:144], -v[135:136]
	v_add_f64 v[2:3], v[2:3], v[123:124]
	s_waitcnt lgkmcnt(1)
	v_mul_f64 v[127:128], v[103:104], v[147:148]
	v_mul_f64 v[123:124], v[101:102], v[147:148]
	v_add_f64 v[109:110], v[109:110], v[129:130]
	v_fma_f64 v[129:130], v[99:100], v[143:144], v[133:134]
	v_add_f64 v[2:3], v[2:3], v[121:122]
	s_waitcnt vmcnt(43) lgkmcnt(0)
	v_mul_f64 v[133:134], v[95:96], v[150:151]
	s_waitcnt vmcnt(41)
	v_fma_f64 v[127:128], v[101:102], v[154:155], -v[127:128]
	ds_read_b128 v[97:100], v1 offset:1264
	v_mul_f64 v[121:122], v[93:94], v[150:151]
	v_fma_f64 v[123:124], v[103:104], v[154:155], v[123:124]
	ds_read_b128 v[101:104], v1 offset:1280
	v_add_f64 v[109:110], v[109:110], v[135:136]
	v_add_f64 v[2:3], v[2:3], v[129:130]
	s_waitcnt vmcnt(37) lgkmcnt(1)
	v_mul_f64 v[135:136], v[99:100], v[156:157]
	s_waitcnt vmcnt(36)
	v_fma_f64 v[133:134], v[93:94], v[152:153], -v[133:134]
	v_mul_f64 v[129:130], v[97:98], v[156:157]
	v_fma_f64 v[121:122], v[95:96], v[152:153], v[121:122]
	ds_read_b128 v[93:96], v1 offset:1296
	v_add_f64 v[109:110], v[109:110], v[127:128]
	s_waitcnt vmcnt(35) lgkmcnt(1)
	v_mul_f64 v[127:128], v[103:104], v[158:159]
	v_add_f64 v[2:3], v[2:3], v[123:124]
	s_waitcnt vmcnt(33)
	v_fma_f64 v[135:136], v[97:98], v[162:163], -v[135:136]
	v_mul_f64 v[123:124], v[101:102], v[158:159]
	v_fma_f64 v[129:130], v[99:100], v[162:163], v[129:130]
	ds_read_b128 v[97:100], v1 offset:1312
	v_add_f64 v[109:110], v[109:110], v[133:134]
	s_waitcnt vmcnt(29) lgkmcnt(1)
	v_mul_f64 v[133:134], v[95:96], v[166:167]
	v_add_f64 v[2:3], v[2:3], v[121:122]
	s_waitcnt vmcnt(28)
	v_fma_f64 v[127:128], v[101:102], v[160:161], -v[127:128]
	v_mul_f64 v[121:122], v[93:94], v[166:167]
	v_fma_f64 v[123:124], v[103:104], v[160:161], v[123:124]
	ds_read_b128 v[101:104], v1 offset:1328
	v_add_f64 v[109:110], v[109:110], v[135:136]
	v_add_f64 v[2:3], v[2:3], v[129:130]
	s_waitcnt vmcnt(27) lgkmcnt(1)
	v_mul_f64 v[135:136], v[99:100], v[168:169]
	v_mul_f64 v[129:130], v[97:98], v[168:169]
	s_waitcnt vmcnt(25)
	v_fma_f64 v[133:134], v[93:94], v[107:108], -v[133:134]
	v_fma_f64 v[107:108], v[95:96], v[107:108], v[121:122]
	ds_read_b128 v[93:96], v1 offset:1344
	s_waitcnt vmcnt(21) lgkmcnt(1)
	v_mul_f64 v[121:122], v[101:102], v[111:112]
	v_mul_f64 v[111:112], v[103:104], v[111:112]
	v_add_f64 v[109:110], v[109:110], v[127:128]
	v_add_f64 v[2:3], v[2:3], v[123:124]
	s_waitcnt vmcnt(20)
	v_fma_f64 v[123:124], v[97:98], v[170:171], -v[135:136]
	v_fma_f64 v[127:128], v[99:100], v[170:171], v[129:130]
	ds_read_b128 v[97:100], v1 offset:1360
	v_add_f64 v[109:110], v[109:110], v[133:134]
	v_add_f64 v[2:3], v[2:3], v[107:108]
	s_waitcnt vmcnt(19) lgkmcnt(1)
	v_mul_f64 v[129:130], v[95:96], v[172:173]
	v_mul_f64 v[107:108], v[93:94], v[172:173]
	s_waitcnt vmcnt(17)
	v_fma_f64 v[111:112], v[101:102], v[105:106], -v[111:112]
	v_fma_f64 v[105:106], v[103:104], v[105:106], v[121:122]
	ds_read_b128 v[101:104], v1 offset:1376
	v_add_f64 v[109:110], v[109:110], v[123:124]
	v_add_f64 v[2:3], v[2:3], v[127:128]
	s_waitcnt vmcnt(13) lgkmcnt(1)
	v_mul_f64 v[121:122], v[97:98], v[119:120]
	v_mul_f64 v[119:120], v[99:100], v[119:120]
	s_waitcnt vmcnt(12)
	v_fma_f64 v[93:94], v[93:94], v[177:178], -v[129:130]
	v_fma_f64 v[95:96], v[95:96], v[177:178], v[107:108]
	v_add_f64 v[109:110], v[109:110], v[111:112]
	v_add_f64 v[105:106], v[2:3], v[105:106]
	ds_read_b128 v[1:4], v1 offset:1392
	s_waitcnt vmcnt(11) lgkmcnt(1)
	v_mul_f64 v[111:112], v[103:104], v[164:165]
	v_mul_f64 v[107:108], v[101:102], v[164:165]
	s_waitcnt vmcnt(9)
	v_fma_f64 v[97:98], v[97:98], v[117:118], -v[119:120]
	v_fma_f64 v[99:100], v[99:100], v[117:118], v[121:122]
	v_add_f64 v[93:94], v[109:110], v[93:94]
	v_add_f64 v[95:96], v[105:106], v[95:96]
	s_waitcnt vmcnt(7) lgkmcnt(0)
	v_mul_f64 v[109:110], v[3:4], v[113:114]
	s_waitcnt vmcnt(6)
	v_fma_f64 v[101:102], v[101:102], v[179:180], -v[111:112]
	v_mul_f64 v[105:106], v[1:2], v[113:114]
	v_add_f64 v[93:94], v[93:94], v[97:98]
	v_fma_f64 v[97:98], v[103:104], v[179:180], v[107:108]
	v_add_f64 v[95:96], v[95:96], v[99:100]
	s_waitcnt vmcnt(4)
	v_fma_f64 v[1:2], v[1:2], v[115:116], -v[109:110]
	v_fma_f64 v[3:4], v[3:4], v[115:116], v[105:106]
	v_add_f64 v[93:94], v[93:94], v[101:102]
	v_add_f64 v[95:96], v[95:96], v[97:98]
	;; [unrolled: 1-line block ×4, first 2 shown]
	s_waitcnt vmcnt(2)
	v_add_f64 v[1:2], v[125:126], -v[1:2]
	s_waitcnt vmcnt(0)
	v_add_f64 v[3:4], v[131:132], -v[3:4]
	buffer_store_dword v2, off, s[0:3], 0 offset:356
	buffer_store_dword v1, off, s[0:3], 0 offset:352
	;; [unrolled: 1-line block ×4, first 2 shown]
	v_cmpx_lt_u32_e32 20, v0
	s_cbranch_execz .LBB107_237
; %bb.236:
	v_mov_b32_e32 v4, s36
	v_mov_b32_e32 v93, 0
	s_clause 0x3
	buffer_load_dword v1, v4, s[0:3], 0 offen
	buffer_load_dword v2, v4, s[0:3], 0 offen offset:4
	buffer_load_dword v3, v4, s[0:3], 0 offen offset:8
	;; [unrolled: 1-line block ×3, first 2 shown]
	buffer_store_dword v93, off, s[0:3], 0 offset:336
	buffer_store_dword v93, off, s[0:3], 0 offset:340
	;; [unrolled: 1-line block ×4, first 2 shown]
	s_waitcnt vmcnt(0)
	ds_write_b128 v149, v[1:4]
.LBB107_237:
	s_or_b32 exec_lo, exec_lo, s4
	s_waitcnt lgkmcnt(0)
	s_waitcnt_vscnt null, 0x0
	s_barrier
	buffer_gl0_inv
	s_clause 0x37
	buffer_load_dword v2, off, s[0:3], 0 offset:360
	buffer_load_dword v3, off, s[0:3], 0 offset:364
	;; [unrolled: 1-line block ×56, first 2 shown]
	v_mov_b32_e32 v1, 0
	s_mov_b32 s4, exec_lo
	ds_read_b128 v[93:96], v1 offset:1040
	s_clause 0x2
	buffer_load_dword v159, off, s[0:3], 0 offset:588
	buffer_load_dword v163, off, s[0:3], 0 offset:564
	;; [unrolled: 1-line block ×3, first 2 shown]
	ds_read_b128 v[97:100], v1 offset:1056
	s_clause 0x4
	buffer_load_dword v167, off, s[0:3], 0 offset:604
	buffer_load_dword v168, off, s[0:3], 0 offset:616
	;; [unrolled: 1-line block ×5, first 2 shown]
	ds_read_b128 v[101:104], v1 offset:1072
	s_waitcnt vmcnt(62) lgkmcnt(2)
	v_mul_f64 v[164:165], v[95:96], v[2:3]
	v_mul_f64 v[2:3], v[93:94], v[2:3]
	s_waitcnt vmcnt(60) lgkmcnt(1)
	v_mul_f64 v[171:172], v[99:100], v[105:106]
	v_mul_f64 v[105:106], v[97:98], v[105:106]
	;; [unrolled: 3-line block ×3, first 2 shown]
	v_fma_f64 v[164:165], v[93:94], v[107:108], -v[164:165]
	v_fma_f64 v[2:3], v[95:96], v[107:108], v[2:3]
	s_clause 0x2
	buffer_load_dword v169, off, s[0:3], 0 offset:620
	buffer_load_dword v108, off, s[0:3], 0 offset:596
	buffer_load_dword v107, off, s[0:3], 0 offset:592
	s_waitcnt vmcnt(57)
	v_fma_f64 v[175:176], v[97:98], v[111:112], -v[171:172]
	ds_read_b128 v[93:96], v1 offset:1088
	v_fma_f64 v[105:106], v[99:100], v[111:112], v[105:106]
	s_clause 0x4
	buffer_load_dword v112, off, s[0:3], 0 offset:636
	buffer_load_dword v172, off, s[0:3], 0 offset:648
	;; [unrolled: 1-line block ×5, first 2 shown]
	s_waitcnt vmcnt(56)
	v_fma_f64 v[109:110], v[101:102], v[119:120], -v[109:110]
	ds_read_b128 v[97:100], v1 offset:1104
	v_fma_f64 v[119:120], v[103:104], v[119:120], v[173:174]
	v_add_f64 v[164:165], v[164:165], 0
	v_add_f64 v[2:3], v[2:3], 0
	s_waitcnt lgkmcnt(1)
	v_mul_f64 v[178:179], v[93:94], v[113:114]
	v_mul_f64 v[113:114], v[95:96], v[113:114]
	v_add_f64 v[164:165], v[164:165], v[175:176]
	v_add_f64 v[2:3], v[2:3], v[105:106]
	s_clause 0x2
	buffer_load_dword v173, off, s[0:3], 0 offset:652
	buffer_load_dword v106, off, s[0:3], 0 offset:628
	;; [unrolled: 1-line block ×3, first 2 shown]
	s_waitcnt vmcnt(58) lgkmcnt(0)
	v_mul_f64 v[174:175], v[97:98], v[115:116]
	v_mul_f64 v[115:116], v[99:100], v[115:116]
	s_waitcnt vmcnt(56)
	v_fma_f64 v[113:114], v[93:94], v[121:122], -v[113:114]
	ds_read_b128 v[101:104], v1 offset:1120
	v_fma_f64 v[121:122], v[95:96], v[121:122], v[178:179]
	v_add_f64 v[109:110], v[164:165], v[109:110]
	v_add_f64 v[2:3], v[2:3], v[119:120]
	s_clause 0x4
	buffer_load_dword v120, off, s[0:3], 0 offset:668
	buffer_load_dword v164, off, s[0:3], 0 offset:680
	;; [unrolled: 1-line block ×5, first 2 shown]
	ds_read_b128 v[93:96], v1 offset:1136
	s_waitcnt vmcnt(57) lgkmcnt(1)
	v_mul_f64 v[180:181], v[101:102], v[123:124]
	v_mul_f64 v[123:124], v[103:104], v[123:124]
	s_waitcnt vmcnt(56)
	v_fma_f64 v[115:116], v[97:98], v[117:118], -v[115:116]
	v_add_f64 v[109:110], v[109:110], v[113:114]
	v_fma_f64 v[113:114], v[99:100], v[117:118], v[174:175]
	v_add_f64 v[2:3], v[2:3], v[121:122]
	s_clause 0x2
	buffer_load_dword v165, off, s[0:3], 0 offset:684
	buffer_load_dword v118, off, s[0:3], 0 offset:660
	;; [unrolled: 1-line block ×3, first 2 shown]
	s_waitcnt vmcnt(58) lgkmcnt(0)
	v_mul_f64 v[121:122], v[93:94], v[125:126]
	v_mul_f64 v[125:126], v[95:96], v[125:126]
	s_waitcnt vmcnt(56)
	v_fma_f64 v[123:124], v[101:102], v[129:130], -v[123:124]
	ds_read_b128 v[97:100], v1 offset:1152
	v_add_f64 v[109:110], v[109:110], v[115:116]
	v_fma_f64 v[115:116], v[103:104], v[129:130], v[180:181]
	v_add_f64 v[2:3], v[2:3], v[113:114]
	s_clause 0x4
	buffer_load_dword v114, off, s[0:3], 0 offset:700
	buffer_load_dword v129, off, s[0:3], 0 offset:712
	;; [unrolled: 1-line block ×5, first 2 shown]
	ds_read_b128 v[101:104], v1 offset:1168
	s_waitcnt vmcnt(57) lgkmcnt(1)
	v_mul_f64 v[175:176], v[97:98], v[131:132]
	v_mul_f64 v[131:132], v[99:100], v[131:132]
	s_waitcnt vmcnt(56)
	v_fma_f64 v[125:126], v[93:94], v[127:128], -v[125:126]
	v_fma_f64 v[121:122], v[95:96], v[127:128], v[121:122]
	v_add_f64 v[109:110], v[109:110], v[123:124]
	v_add_f64 v[2:3], v[2:3], v[115:116]
	s_clause 0x2
	buffer_load_dword v130, off, s[0:3], 0 offset:716
	buffer_load_dword v116, off, s[0:3], 0 offset:692
	buffer_load_dword v115, off, s[0:3], 0 offset:688
	s_waitcnt vmcnt(58) lgkmcnt(0)
	v_mul_f64 v[127:128], v[103:104], v[133:134]
	ds_read_b128 v[93:96], v1 offset:1184
	s_waitcnt vmcnt(56)
	v_fma_f64 v[131:132], v[97:98], v[137:138], -v[131:132]
	v_mul_f64 v[123:124], v[101:102], v[133:134]
	v_add_f64 v[109:110], v[109:110], v[125:126]
	v_fma_f64 v[125:126], v[99:100], v[137:138], v[175:176]
	v_add_f64 v[2:3], v[2:3], v[121:122]
	buffer_load_dword v175, off, s[0:3], 0 offset:708
	ds_read_b128 v[97:100], v1 offset:1200
	s_waitcnt vmcnt(53) lgkmcnt(1)
	v_mul_f64 v[133:134], v[95:96], v[139:140]
	s_waitcnt vmcnt(52)
	v_fma_f64 v[127:128], v[101:102], v[135:136], -v[127:128]
	v_mul_f64 v[121:122], v[93:94], v[139:140]
	v_fma_f64 v[123:124], v[103:104], v[135:136], v[123:124]
	ds_read_b128 v[101:104], v1 offset:1216
	v_add_f64 v[109:110], v[109:110], v[131:132]
	v_add_f64 v[2:3], v[2:3], v[125:126]
	s_waitcnt vmcnt(51) lgkmcnt(1)
	v_mul_f64 v[131:132], v[99:100], v[141:142]
	v_mul_f64 v[125:126], v[97:98], v[141:142]
	s_waitcnt vmcnt(49)
	v_fma_f64 v[133:134], v[93:94], v[145:146], -v[133:134]
	v_fma_f64 v[121:122], v[95:96], v[145:146], v[121:122]
	s_waitcnt vmcnt(45) lgkmcnt(0)
	v_mul_f64 v[137:138], v[103:104], v[147:148]
	v_mul_f64 v[135:136], v[101:102], v[147:148]
	v_add_f64 v[109:110], v[109:110], v[127:128]
	v_add_f64 v[2:3], v[2:3], v[123:124]
	s_clause 0x3
	buffer_load_dword v123, off, s[0:3], 0 offset:336
	buffer_load_dword v124, off, s[0:3], 0 offset:340
	;; [unrolled: 1-line block ×4, first 2 shown]
	s_waitcnt vmcnt(48)
	v_fma_f64 v[131:132], v[97:98], v[143:144], -v[131:132]
	ds_read_b128 v[93:96], v1 offset:1232
	v_fma_f64 v[125:126], v[99:100], v[143:144], v[125:126]
	ds_read_b128 v[97:100], v1 offset:1248
	s_waitcnt vmcnt(45)
	v_fma_f64 v[137:138], v[101:102], v[154:155], -v[137:138]
	v_add_f64 v[109:110], v[109:110], v[133:134]
	v_add_f64 v[2:3], v[2:3], v[121:122]
	s_waitcnt lgkmcnt(1)
	v_mul_f64 v[133:134], v[95:96], v[150:151]
	v_mul_f64 v[121:122], v[93:94], v[150:151]
	v_add_f64 v[109:110], v[109:110], v[131:132]
	v_fma_f64 v[131:132], v[103:104], v[154:155], v[135:136]
	v_add_f64 v[2:3], v[2:3], v[125:126]
	s_waitcnt vmcnt(41) lgkmcnt(0)
	v_mul_f64 v[135:136], v[99:100], v[156:157]
	s_waitcnt vmcnt(40)
	v_fma_f64 v[133:134], v[93:94], v[152:153], -v[133:134]
	ds_read_b128 v[101:104], v1 offset:1264
	v_mul_f64 v[125:126], v[97:98], v[156:157]
	v_fma_f64 v[121:122], v[95:96], v[152:153], v[121:122]
	ds_read_b128 v[93:96], v1 offset:1280
	v_add_f64 v[109:110], v[109:110], v[137:138]
	v_add_f64 v[2:3], v[2:3], v[131:132]
	s_waitcnt vmcnt(39) lgkmcnt(1)
	v_mul_f64 v[137:138], v[103:104], v[158:159]
	s_waitcnt vmcnt(37)
	v_fma_f64 v[135:136], v[97:98], v[162:163], -v[135:136]
	v_mul_f64 v[131:132], v[101:102], v[158:159]
	v_fma_f64 v[125:126], v[99:100], v[162:163], v[125:126]
	ds_read_b128 v[97:100], v1 offset:1296
	v_add_f64 v[109:110], v[109:110], v[133:134]
	s_waitcnt vmcnt(33) lgkmcnt(1)
	v_mul_f64 v[133:134], v[95:96], v[166:167]
	v_add_f64 v[2:3], v[2:3], v[121:122]
	s_waitcnt vmcnt(32)
	v_fma_f64 v[137:138], v[101:102], v[160:161], -v[137:138]
	v_mul_f64 v[121:122], v[93:94], v[166:167]
	v_fma_f64 v[131:132], v[103:104], v[160:161], v[131:132]
	ds_read_b128 v[101:104], v1 offset:1312
	v_add_f64 v[109:110], v[109:110], v[135:136]
	v_add_f64 v[2:3], v[2:3], v[125:126]
	s_waitcnt vmcnt(31) lgkmcnt(1)
	v_mul_f64 v[135:136], v[99:100], v[168:169]
	v_mul_f64 v[125:126], v[97:98], v[168:169]
	s_waitcnt vmcnt(29)
	v_fma_f64 v[133:134], v[93:94], v[107:108], -v[133:134]
	v_fma_f64 v[107:108], v[95:96], v[107:108], v[121:122]
	ds_read_b128 v[93:96], v1 offset:1328
	s_waitcnt vmcnt(25) lgkmcnt(1)
	v_mul_f64 v[121:122], v[101:102], v[111:112]
	v_mul_f64 v[111:112], v[103:104], v[111:112]
	v_add_f64 v[109:110], v[109:110], v[137:138]
	v_add_f64 v[2:3], v[2:3], v[131:132]
	s_waitcnt vmcnt(24)
	v_fma_f64 v[131:132], v[97:98], v[170:171], -v[135:136]
	v_fma_f64 v[125:126], v[99:100], v[170:171], v[125:126]
	ds_read_b128 v[97:100], v1 offset:1344
	v_add_f64 v[109:110], v[109:110], v[133:134]
	v_add_f64 v[2:3], v[2:3], v[107:108]
	s_waitcnt vmcnt(23) lgkmcnt(1)
	v_mul_f64 v[133:134], v[95:96], v[172:173]
	v_mul_f64 v[107:108], v[93:94], v[172:173]
	s_waitcnt vmcnt(21)
	v_fma_f64 v[111:112], v[101:102], v[105:106], -v[111:112]
	v_fma_f64 v[105:106], v[103:104], v[105:106], v[121:122]
	ds_read_b128 v[101:104], v1 offset:1360
	v_add_f64 v[109:110], v[109:110], v[131:132]
	v_add_f64 v[2:3], v[2:3], v[125:126]
	s_waitcnt vmcnt(17) lgkmcnt(1)
	v_mul_f64 v[121:122], v[97:98], v[119:120]
	v_mul_f64 v[119:120], v[99:100], v[119:120]
	;; [unrolled: 9-line block ×4, first 2 shown]
	s_waitcnt vmcnt(8)
	v_fma_f64 v[101:102], v[101:102], v[179:180], -v[111:112]
	v_fma_f64 v[103:104], v[103:104], v[179:180], v[105:106]
	v_add_f64 v[109:110], v[109:110], v[119:120]
	v_add_f64 v[2:3], v[2:3], v[117:118]
	s_waitcnt vmcnt(7) lgkmcnt(0)
	v_mul_f64 v[111:112], v[99:100], v[129:130]
	v_mul_f64 v[105:106], v[97:98], v[129:130]
	s_waitcnt vmcnt(5)
	v_fma_f64 v[93:94], v[93:94], v[115:116], -v[113:114]
	v_fma_f64 v[95:96], v[95:96], v[115:116], v[107:108]
	v_add_f64 v[101:102], v[109:110], v[101:102]
	v_add_f64 v[2:3], v[2:3], v[103:104]
	s_waitcnt vmcnt(4)
	v_fma_f64 v[97:98], v[97:98], v[174:175], -v[111:112]
	v_fma_f64 v[99:100], v[99:100], v[174:175], v[105:106]
	v_add_f64 v[93:94], v[101:102], v[93:94]
	v_add_f64 v[2:3], v[2:3], v[95:96]
	;; [unrolled: 1-line block ×4, first 2 shown]
	s_waitcnt vmcnt(2)
	v_add_f64 v[93:94], v[123:124], -v[93:94]
	s_waitcnt vmcnt(0)
	v_add_f64 v[2:3], v[127:128], -v[2:3]
	buffer_store_dword v94, off, s[0:3], 0 offset:340
	buffer_store_dword v93, off, s[0:3], 0 offset:336
	;; [unrolled: 1-line block ×4, first 2 shown]
	v_cmpx_lt_u32_e32 19, v0
	s_cbranch_execz .LBB107_239
; %bb.238:
	v_mov_b32_e32 v2, s37
	s_clause 0x3
	buffer_load_dword v93, v2, s[0:3], 0 offen
	buffer_load_dword v94, v2, s[0:3], 0 offen offset:4
	buffer_load_dword v95, v2, s[0:3], 0 offen offset:8
	;; [unrolled: 1-line block ×3, first 2 shown]
	buffer_store_dword v1, off, s[0:3], 0 offset:320
	buffer_store_dword v1, off, s[0:3], 0 offset:324
	buffer_store_dword v1, off, s[0:3], 0 offset:328
	buffer_store_dword v1, off, s[0:3], 0 offset:332
	s_waitcnt vmcnt(0)
	ds_write_b128 v149, v[93:96]
.LBB107_239:
	s_or_b32 exec_lo, exec_lo, s4
	s_waitcnt lgkmcnt(0)
	s_waitcnt_vscnt null, 0x0
	s_barrier
	buffer_gl0_inv
	s_clause 0x37
	buffer_load_dword v2, off, s[0:3], 0 offset:344
	buffer_load_dword v3, off, s[0:3], 0 offset:348
	;; [unrolled: 1-line block ×56, first 2 shown]
	ds_read_b128 v[93:96], v1 offset:1024
	s_clause 0x2
	buffer_load_dword v159, off, s[0:3], 0 offset:572
	buffer_load_dword v163, off, s[0:3], 0 offset:548
	;; [unrolled: 1-line block ×3, first 2 shown]
	ds_read_b128 v[97:100], v1 offset:1040
	s_clause 0x4
	buffer_load_dword v167, off, s[0:3], 0 offset:588
	buffer_load_dword v168, off, s[0:3], 0 offset:600
	;; [unrolled: 1-line block ×5, first 2 shown]
	ds_read_b128 v[101:104], v1 offset:1056
	s_mov_b32 s4, exec_lo
	s_waitcnt vmcnt(62) lgkmcnt(2)
	v_mul_f64 v[164:165], v[95:96], v[2:3]
	v_mul_f64 v[2:3], v[93:94], v[2:3]
	s_waitcnt vmcnt(60) lgkmcnt(1)
	v_mul_f64 v[171:172], v[99:100], v[105:106]
	v_mul_f64 v[105:106], v[97:98], v[105:106]
	;; [unrolled: 3-line block ×3, first 2 shown]
	v_fma_f64 v[164:165], v[93:94], v[107:108], -v[164:165]
	v_fma_f64 v[2:3], v[95:96], v[107:108], v[2:3]
	s_clause 0x2
	buffer_load_dword v169, off, s[0:3], 0 offset:604
	buffer_load_dword v108, off, s[0:3], 0 offset:580
	;; [unrolled: 1-line block ×3, first 2 shown]
	s_waitcnt vmcnt(57)
	v_fma_f64 v[175:176], v[97:98], v[111:112], -v[171:172]
	ds_read_b128 v[93:96], v1 offset:1072
	v_fma_f64 v[105:106], v[99:100], v[111:112], v[105:106]
	s_clause 0x4
	buffer_load_dword v112, off, s[0:3], 0 offset:620
	buffer_load_dword v172, off, s[0:3], 0 offset:632
	;; [unrolled: 1-line block ×5, first 2 shown]
	s_waitcnt vmcnt(56)
	v_fma_f64 v[109:110], v[101:102], v[119:120], -v[109:110]
	ds_read_b128 v[97:100], v1 offset:1088
	v_fma_f64 v[119:120], v[103:104], v[119:120], v[173:174]
	v_add_f64 v[164:165], v[164:165], 0
	v_add_f64 v[2:3], v[2:3], 0
	s_waitcnt lgkmcnt(1)
	v_mul_f64 v[178:179], v[93:94], v[113:114]
	v_mul_f64 v[113:114], v[95:96], v[113:114]
	v_add_f64 v[164:165], v[164:165], v[175:176]
	v_add_f64 v[2:3], v[2:3], v[105:106]
	s_clause 0x2
	buffer_load_dword v173, off, s[0:3], 0 offset:636
	buffer_load_dword v106, off, s[0:3], 0 offset:612
	;; [unrolled: 1-line block ×3, first 2 shown]
	s_waitcnt vmcnt(58) lgkmcnt(0)
	v_mul_f64 v[174:175], v[97:98], v[115:116]
	v_mul_f64 v[115:116], v[99:100], v[115:116]
	s_waitcnt vmcnt(56)
	v_fma_f64 v[113:114], v[93:94], v[121:122], -v[113:114]
	ds_read_b128 v[101:104], v1 offset:1104
	v_fma_f64 v[121:122], v[95:96], v[121:122], v[178:179]
	v_add_f64 v[109:110], v[164:165], v[109:110]
	v_add_f64 v[2:3], v[2:3], v[119:120]
	s_clause 0x4
	buffer_load_dword v120, off, s[0:3], 0 offset:652
	buffer_load_dword v164, off, s[0:3], 0 offset:664
	;; [unrolled: 1-line block ×5, first 2 shown]
	ds_read_b128 v[93:96], v1 offset:1120
	s_waitcnt vmcnt(57) lgkmcnt(1)
	v_mul_f64 v[180:181], v[101:102], v[123:124]
	v_mul_f64 v[123:124], v[103:104], v[123:124]
	s_waitcnt vmcnt(56)
	v_fma_f64 v[115:116], v[97:98], v[117:118], -v[115:116]
	v_add_f64 v[109:110], v[109:110], v[113:114]
	v_fma_f64 v[113:114], v[99:100], v[117:118], v[174:175]
	v_add_f64 v[2:3], v[2:3], v[121:122]
	s_clause 0x2
	buffer_load_dword v165, off, s[0:3], 0 offset:668
	buffer_load_dword v118, off, s[0:3], 0 offset:644
	;; [unrolled: 1-line block ×3, first 2 shown]
	s_waitcnt vmcnt(58) lgkmcnt(0)
	v_mul_f64 v[121:122], v[93:94], v[125:126]
	v_mul_f64 v[125:126], v[95:96], v[125:126]
	s_waitcnt vmcnt(56)
	v_fma_f64 v[123:124], v[101:102], v[129:130], -v[123:124]
	ds_read_b128 v[97:100], v1 offset:1136
	v_add_f64 v[109:110], v[109:110], v[115:116]
	v_fma_f64 v[115:116], v[103:104], v[129:130], v[180:181]
	v_add_f64 v[2:3], v[2:3], v[113:114]
	s_clause 0x4
	buffer_load_dword v114, off, s[0:3], 0 offset:684
	buffer_load_dword v129, off, s[0:3], 0 offset:696
	;; [unrolled: 1-line block ×5, first 2 shown]
	ds_read_b128 v[101:104], v1 offset:1152
	s_waitcnt vmcnt(57) lgkmcnt(1)
	v_mul_f64 v[175:176], v[97:98], v[131:132]
	v_mul_f64 v[131:132], v[99:100], v[131:132]
	s_waitcnt vmcnt(56)
	v_fma_f64 v[125:126], v[93:94], v[127:128], -v[125:126]
	v_fma_f64 v[121:122], v[95:96], v[127:128], v[121:122]
	v_add_f64 v[109:110], v[109:110], v[123:124]
	v_add_f64 v[2:3], v[2:3], v[115:116]
	s_clause 0x2
	buffer_load_dword v130, off, s[0:3], 0 offset:700
	buffer_load_dword v116, off, s[0:3], 0 offset:676
	buffer_load_dword v115, off, s[0:3], 0 offset:672
	s_waitcnt vmcnt(58) lgkmcnt(0)
	v_mul_f64 v[127:128], v[103:104], v[133:134]
	ds_read_b128 v[93:96], v1 offset:1168
	s_waitcnt vmcnt(56)
	v_fma_f64 v[131:132], v[97:98], v[137:138], -v[131:132]
	v_mul_f64 v[123:124], v[101:102], v[133:134]
	v_add_f64 v[109:110], v[109:110], v[125:126]
	v_fma_f64 v[125:126], v[99:100], v[137:138], v[175:176]
	v_add_f64 v[2:3], v[2:3], v[121:122]
	s_clause 0x2
	buffer_load_dword v122, off, s[0:3], 0 offset:716
	buffer_load_dword v121, off, s[0:3], 0 offset:712
	;; [unrolled: 1-line block ×3, first 2 shown]
	s_waitcnt vmcnt(55) lgkmcnt(0)
	v_mul_f64 v[137:138], v[95:96], v[139:140]
	s_waitcnt vmcnt(54)
	v_fma_f64 v[127:128], v[101:102], v[135:136], -v[127:128]
	ds_read_b128 v[97:100], v1 offset:1184
	v_mul_f64 v[133:134], v[93:94], v[139:140]
	v_fma_f64 v[123:124], v[103:104], v[135:136], v[123:124]
	v_add_f64 v[109:110], v[109:110], v[131:132]
	v_add_f64 v[2:3], v[2:3], v[125:126]
	s_clause 0x1
	buffer_load_dword v126, off, s[0:3], 0 offset:708
	buffer_load_dword v125, off, s[0:3], 0 offset:704
	s_waitcnt vmcnt(55) lgkmcnt(0)
	v_mul_f64 v[135:136], v[99:100], v[141:142]
	s_waitcnt vmcnt(53)
	v_fma_f64 v[137:138], v[93:94], v[145:146], -v[137:138]
	ds_read_b128 v[101:104], v1 offset:1200
	v_mul_f64 v[131:132], v[97:98], v[141:142]
	v_add_f64 v[109:110], v[109:110], v[127:128]
	v_fma_f64 v[127:128], v[95:96], v[145:146], v[133:134]
	v_add_f64 v[2:3], v[2:3], v[123:124]
	ds_read_b128 v[93:96], v1 offset:1216
	s_waitcnt vmcnt(49) lgkmcnt(1)
	v_mul_f64 v[133:134], v[103:104], v[147:148]
	s_waitcnt vmcnt(48)
	v_fma_f64 v[135:136], v[97:98], v[143:144], -v[135:136]
	v_mul_f64 v[123:124], v[101:102], v[147:148]
	v_fma_f64 v[131:132], v[99:100], v[143:144], v[131:132]
	v_add_f64 v[109:110], v[109:110], v[137:138]
	s_waitcnt vmcnt(47) lgkmcnt(0)
	v_mul_f64 v[141:142], v[95:96], v[150:151]
	v_add_f64 v[2:3], v[2:3], v[127:128]
	s_clause 0x3
	buffer_load_dword v127, off, s[0:3], 0 offset:320
	buffer_load_dword v128, off, s[0:3], 0 offset:324
	buffer_load_dword v137, off, s[0:3], 0 offset:328
	buffer_load_dword v138, off, s[0:3], 0 offset:332
	s_waitcnt vmcnt(49)
	v_fma_f64 v[133:134], v[101:102], v[154:155], -v[133:134]
	ds_read_b128 v[97:100], v1 offset:1232
	v_mul_f64 v[139:140], v[93:94], v[150:151]
	v_fma_f64 v[123:124], v[103:104], v[154:155], v[123:124]
	ds_read_b128 v[101:104], v1 offset:1248
	v_add_f64 v[109:110], v[109:110], v[135:136]
	s_waitcnt vmcnt(44)
	v_fma_f64 v[141:142], v[93:94], v[152:153], -v[141:142]
	v_add_f64 v[2:3], v[2:3], v[131:132]
	s_waitcnt lgkmcnt(1)
	v_mul_f64 v[135:136], v[99:100], v[156:157]
	v_mul_f64 v[131:132], v[97:98], v[156:157]
	v_add_f64 v[109:110], v[109:110], v[133:134]
	v_fma_f64 v[133:134], v[95:96], v[152:153], v[139:140]
	v_add_f64 v[2:3], v[2:3], v[123:124]
	s_waitcnt vmcnt(43) lgkmcnt(0)
	v_mul_f64 v[139:140], v[103:104], v[158:159]
	s_waitcnt vmcnt(41)
	v_fma_f64 v[135:136], v[97:98], v[162:163], -v[135:136]
	ds_read_b128 v[93:96], v1 offset:1264
	v_mul_f64 v[123:124], v[101:102], v[158:159]
	v_fma_f64 v[131:132], v[99:100], v[162:163], v[131:132]
	ds_read_b128 v[97:100], v1 offset:1280
	v_add_f64 v[109:110], v[109:110], v[141:142]
	v_add_f64 v[2:3], v[2:3], v[133:134]
	s_waitcnt vmcnt(37) lgkmcnt(1)
	v_mul_f64 v[141:142], v[95:96], v[166:167]
	s_waitcnt vmcnt(36)
	v_fma_f64 v[139:140], v[101:102], v[160:161], -v[139:140]
	v_mul_f64 v[133:134], v[93:94], v[166:167]
	v_fma_f64 v[123:124], v[103:104], v[160:161], v[123:124]
	ds_read_b128 v[101:104], v1 offset:1296
	v_add_f64 v[109:110], v[109:110], v[135:136]
	v_add_f64 v[2:3], v[2:3], v[131:132]
	s_waitcnt vmcnt(35) lgkmcnt(1)
	v_mul_f64 v[135:136], v[99:100], v[168:169]
	v_mul_f64 v[131:132], v[97:98], v[168:169]
	s_waitcnt vmcnt(33)
	v_fma_f64 v[141:142], v[93:94], v[107:108], -v[141:142]
	v_fma_f64 v[107:108], v[95:96], v[107:108], v[133:134]
	ds_read_b128 v[93:96], v1 offset:1312
	v_add_f64 v[109:110], v[109:110], v[139:140]
	v_add_f64 v[2:3], v[2:3], v[123:124]
	s_waitcnt vmcnt(29) lgkmcnt(1)
	v_mul_f64 v[123:124], v[101:102], v[111:112]
	v_mul_f64 v[111:112], v[103:104], v[111:112]
	s_waitcnt vmcnt(28)
	v_fma_f64 v[133:134], v[97:98], v[170:171], -v[135:136]
	;; [unrolled: 9-line block ×6, first 2 shown]
	v_fma_f64 v[103:104], v[103:104], v[179:180], v[105:106]
	v_add_f64 v[109:110], v[109:110], v[119:120]
	v_add_f64 v[105:106], v[2:3], v[117:118]
	ds_read_b128 v[1:4], v1 offset:1392
	s_waitcnt vmcnt(11) lgkmcnt(1)
	v_mul_f64 v[117:118], v[99:100], v[129:130]
	v_mul_f64 v[111:112], v[97:98], v[129:130]
	s_waitcnt vmcnt(9)
	v_fma_f64 v[93:94], v[93:94], v[115:116], -v[113:114]
	v_fma_f64 v[95:96], v[95:96], v[115:116], v[107:108]
	v_add_f64 v[101:102], v[109:110], v[101:102]
	v_add_f64 v[103:104], v[105:106], v[103:104]
	s_waitcnt vmcnt(7) lgkmcnt(0)
	v_mul_f64 v[107:108], v[3:4], v[121:122]
	s_waitcnt vmcnt(6)
	v_fma_f64 v[97:98], v[97:98], v[174:175], -v[117:118]
	v_mul_f64 v[105:106], v[1:2], v[121:122]
	v_fma_f64 v[99:100], v[99:100], v[174:175], v[111:112]
	v_add_f64 v[93:94], v[101:102], v[93:94]
	v_add_f64 v[95:96], v[103:104], v[95:96]
	s_waitcnt vmcnt(4)
	v_fma_f64 v[1:2], v[1:2], v[125:126], -v[107:108]
	v_fma_f64 v[3:4], v[3:4], v[125:126], v[105:106]
	v_add_f64 v[93:94], v[93:94], v[97:98]
	v_add_f64 v[95:96], v[95:96], v[99:100]
	;; [unrolled: 1-line block ×4, first 2 shown]
	s_waitcnt vmcnt(2)
	v_add_f64 v[1:2], v[127:128], -v[1:2]
	s_waitcnt vmcnt(0)
	v_add_f64 v[3:4], v[137:138], -v[3:4]
	buffer_store_dword v2, off, s[0:3], 0 offset:324
	buffer_store_dword v1, off, s[0:3], 0 offset:320
	;; [unrolled: 1-line block ×4, first 2 shown]
	v_cmpx_lt_u32_e32 18, v0
	s_cbranch_execz .LBB107_241
; %bb.240:
	v_mov_b32_e32 v4, s38
	v_mov_b32_e32 v93, 0
	s_clause 0x3
	buffer_load_dword v1, v4, s[0:3], 0 offen
	buffer_load_dword v2, v4, s[0:3], 0 offen offset:4
	buffer_load_dword v3, v4, s[0:3], 0 offen offset:8
	;; [unrolled: 1-line block ×3, first 2 shown]
	buffer_store_dword v93, off, s[0:3], 0 offset:304
	buffer_store_dword v93, off, s[0:3], 0 offset:308
	;; [unrolled: 1-line block ×4, first 2 shown]
	s_waitcnt vmcnt(0)
	ds_write_b128 v149, v[1:4]
.LBB107_241:
	s_or_b32 exec_lo, exec_lo, s4
	s_waitcnt lgkmcnt(0)
	s_waitcnt_vscnt null, 0x0
	s_barrier
	buffer_gl0_inv
	s_clause 0x37
	buffer_load_dword v2, off, s[0:3], 0 offset:328
	buffer_load_dword v3, off, s[0:3], 0 offset:332
	;; [unrolled: 1-line block ×56, first 2 shown]
	v_mov_b32_e32 v1, 0
	s_mov_b32 s4, exec_lo
	ds_read_b128 v[93:96], v1 offset:1008
	s_clause 0x2
	buffer_load_dword v159, off, s[0:3], 0 offset:556
	buffer_load_dword v163, off, s[0:3], 0 offset:532
	;; [unrolled: 1-line block ×3, first 2 shown]
	ds_read_b128 v[97:100], v1 offset:1024
	s_clause 0x4
	buffer_load_dword v167, off, s[0:3], 0 offset:572
	buffer_load_dword v168, off, s[0:3], 0 offset:584
	;; [unrolled: 1-line block ×5, first 2 shown]
	ds_read_b128 v[101:104], v1 offset:1040
	s_waitcnt vmcnt(62) lgkmcnt(2)
	v_mul_f64 v[164:165], v[95:96], v[2:3]
	v_mul_f64 v[2:3], v[93:94], v[2:3]
	s_waitcnt vmcnt(60) lgkmcnt(1)
	v_mul_f64 v[171:172], v[99:100], v[105:106]
	v_mul_f64 v[105:106], v[97:98], v[105:106]
	;; [unrolled: 3-line block ×3, first 2 shown]
	v_fma_f64 v[164:165], v[93:94], v[107:108], -v[164:165]
	v_fma_f64 v[2:3], v[95:96], v[107:108], v[2:3]
	s_clause 0x2
	buffer_load_dword v169, off, s[0:3], 0 offset:588
	buffer_load_dword v108, off, s[0:3], 0 offset:564
	;; [unrolled: 1-line block ×3, first 2 shown]
	s_waitcnt vmcnt(57)
	v_fma_f64 v[175:176], v[97:98], v[111:112], -v[171:172]
	ds_read_b128 v[93:96], v1 offset:1056
	v_fma_f64 v[105:106], v[99:100], v[111:112], v[105:106]
	s_clause 0x4
	buffer_load_dword v112, off, s[0:3], 0 offset:604
	buffer_load_dword v172, off, s[0:3], 0 offset:616
	;; [unrolled: 1-line block ×5, first 2 shown]
	s_waitcnt vmcnt(56)
	v_fma_f64 v[109:110], v[101:102], v[119:120], -v[109:110]
	ds_read_b128 v[97:100], v1 offset:1072
	v_fma_f64 v[119:120], v[103:104], v[119:120], v[173:174]
	v_add_f64 v[164:165], v[164:165], 0
	v_add_f64 v[2:3], v[2:3], 0
	s_waitcnt lgkmcnt(1)
	v_mul_f64 v[178:179], v[93:94], v[113:114]
	v_mul_f64 v[113:114], v[95:96], v[113:114]
	v_add_f64 v[164:165], v[164:165], v[175:176]
	v_add_f64 v[2:3], v[2:3], v[105:106]
	s_clause 0x2
	buffer_load_dword v173, off, s[0:3], 0 offset:620
	buffer_load_dword v106, off, s[0:3], 0 offset:596
	;; [unrolled: 1-line block ×3, first 2 shown]
	s_waitcnt vmcnt(58) lgkmcnt(0)
	v_mul_f64 v[174:175], v[97:98], v[115:116]
	v_mul_f64 v[115:116], v[99:100], v[115:116]
	s_waitcnt vmcnt(56)
	v_fma_f64 v[113:114], v[93:94], v[121:122], -v[113:114]
	ds_read_b128 v[101:104], v1 offset:1088
	v_fma_f64 v[121:122], v[95:96], v[121:122], v[178:179]
	v_add_f64 v[109:110], v[164:165], v[109:110]
	v_add_f64 v[2:3], v[2:3], v[119:120]
	s_clause 0x4
	buffer_load_dword v120, off, s[0:3], 0 offset:636
	buffer_load_dword v164, off, s[0:3], 0 offset:648
	;; [unrolled: 1-line block ×5, first 2 shown]
	ds_read_b128 v[93:96], v1 offset:1104
	s_waitcnt vmcnt(57) lgkmcnt(1)
	v_mul_f64 v[180:181], v[101:102], v[123:124]
	v_mul_f64 v[123:124], v[103:104], v[123:124]
	s_waitcnt vmcnt(56)
	v_fma_f64 v[115:116], v[97:98], v[117:118], -v[115:116]
	v_add_f64 v[109:110], v[109:110], v[113:114]
	v_fma_f64 v[113:114], v[99:100], v[117:118], v[174:175]
	v_add_f64 v[2:3], v[2:3], v[121:122]
	s_clause 0x2
	buffer_load_dword v165, off, s[0:3], 0 offset:652
	buffer_load_dword v118, off, s[0:3], 0 offset:628
	;; [unrolled: 1-line block ×3, first 2 shown]
	s_waitcnt vmcnt(58) lgkmcnt(0)
	v_mul_f64 v[121:122], v[93:94], v[125:126]
	v_mul_f64 v[125:126], v[95:96], v[125:126]
	s_waitcnt vmcnt(56)
	v_fma_f64 v[123:124], v[101:102], v[129:130], -v[123:124]
	ds_read_b128 v[97:100], v1 offset:1120
	v_add_f64 v[109:110], v[109:110], v[115:116]
	v_fma_f64 v[115:116], v[103:104], v[129:130], v[180:181]
	v_add_f64 v[2:3], v[2:3], v[113:114]
	s_clause 0x4
	buffer_load_dword v114, off, s[0:3], 0 offset:668
	buffer_load_dword v129, off, s[0:3], 0 offset:680
	buffer_load_dword v174, off, s[0:3], 0 offset:672
	buffer_load_dword v113, off, s[0:3], 0 offset:664
	buffer_load_dword v180, off, s[0:3], 0 offset:644
	ds_read_b128 v[101:104], v1 offset:1136
	s_waitcnt vmcnt(57) lgkmcnt(1)
	v_mul_f64 v[175:176], v[97:98], v[131:132]
	v_mul_f64 v[131:132], v[99:100], v[131:132]
	s_waitcnt vmcnt(56)
	v_fma_f64 v[125:126], v[93:94], v[127:128], -v[125:126]
	v_fma_f64 v[121:122], v[95:96], v[127:128], v[121:122]
	v_add_f64 v[109:110], v[109:110], v[123:124]
	v_add_f64 v[2:3], v[2:3], v[115:116]
	s_clause 0x2
	buffer_load_dword v130, off, s[0:3], 0 offset:684
	buffer_load_dword v116, off, s[0:3], 0 offset:660
	;; [unrolled: 1-line block ×3, first 2 shown]
	s_waitcnt vmcnt(58) lgkmcnt(0)
	v_mul_f64 v[127:128], v[103:104], v[133:134]
	ds_read_b128 v[93:96], v1 offset:1152
	s_waitcnt vmcnt(56)
	v_fma_f64 v[131:132], v[97:98], v[137:138], -v[131:132]
	v_mul_f64 v[123:124], v[101:102], v[133:134]
	v_add_f64 v[109:110], v[109:110], v[125:126]
	v_fma_f64 v[125:126], v[99:100], v[137:138], v[175:176]
	v_add_f64 v[2:3], v[2:3], v[121:122]
	s_clause 0x4
	buffer_load_dword v122, off, s[0:3], 0 offset:700
	buffer_load_dword v133, off, s[0:3], 0 offset:712
	;; [unrolled: 1-line block ×5, first 2 shown]
	s_waitcnt vmcnt(57) lgkmcnt(0)
	v_mul_f64 v[181:182], v[93:94], v[139:140]
	v_mul_f64 v[138:139], v[95:96], v[139:140]
	s_waitcnt vmcnt(56)
	v_fma_f64 v[127:128], v[101:102], v[135:136], -v[127:128]
	ds_read_b128 v[97:100], v1 offset:1168
	v_fma_f64 v[123:124], v[103:104], v[135:136], v[123:124]
	v_add_f64 v[109:110], v[109:110], v[131:132]
	v_add_f64 v[2:3], v[2:3], v[125:126]
	s_clause 0x2
	buffer_load_dword v134, off, s[0:3], 0 offset:716
	buffer_load_dword v126, off, s[0:3], 0 offset:692
	;; [unrolled: 1-line block ×3, first 2 shown]
	ds_read_b128 v[101:104], v1 offset:1184
	s_waitcnt vmcnt(58) lgkmcnt(1)
	v_mul_f64 v[135:136], v[99:100], v[141:142]
	s_waitcnt vmcnt(56)
	v_fma_f64 v[139:140], v[93:94], v[145:146], -v[138:139]
	v_mul_f64 v[131:132], v[97:98], v[141:142]
	buffer_load_dword v138, off, s[0:3], 0 offset:708
	v_add_f64 v[109:110], v[109:110], v[127:128]
	v_fma_f64 v[127:128], v[95:96], v[145:146], v[181:182]
	v_add_f64 v[2:3], v[2:3], v[123:124]
	ds_read_b128 v[93:96], v1 offset:1200
	s_waitcnt vmcnt(53) lgkmcnt(1)
	v_mul_f64 v[141:142], v[103:104], v[147:148]
	s_waitcnt vmcnt(52)
	v_fma_f64 v[135:136], v[97:98], v[143:144], -v[135:136]
	v_mul_f64 v[123:124], v[101:102], v[147:148]
	v_fma_f64 v[131:132], v[99:100], v[143:144], v[131:132]
	ds_read_b128 v[97:100], v1 offset:1216
	v_add_f64 v[109:110], v[109:110], v[139:140]
	s_waitcnt vmcnt(51) lgkmcnt(1)
	v_mul_f64 v[139:140], v[95:96], v[150:151]
	v_add_f64 v[2:3], v[2:3], v[127:128]
	v_mul_f64 v[127:128], v[93:94], v[150:151]
	s_waitcnt vmcnt(49)
	v_fma_f64 v[141:142], v[101:102], v[154:155], -v[141:142]
	v_fma_f64 v[123:124], v[103:104], v[154:155], v[123:124]
	s_waitcnt vmcnt(45) lgkmcnt(0)
	v_mul_f64 v[145:146], v[99:100], v[156:157]
	v_mul_f64 v[143:144], v[97:98], v[156:157]
	v_add_f64 v[109:110], v[109:110], v[135:136]
	s_waitcnt vmcnt(44)
	v_fma_f64 v[139:140], v[93:94], v[152:153], -v[139:140]
	v_add_f64 v[2:3], v[2:3], v[131:132]
	s_clause 0x3
	buffer_load_dword v131, off, s[0:3], 0 offset:304
	buffer_load_dword v132, off, s[0:3], 0 offset:308
	;; [unrolled: 1-line block ×4, first 2 shown]
	ds_read_b128 v[101:104], v1 offset:1232
	v_fma_f64 v[127:128], v[95:96], v[152:153], v[127:128]
	ds_read_b128 v[93:96], v1 offset:1248
	s_waitcnt vmcnt(45)
	v_fma_f64 v[145:146], v[97:98], v[162:163], -v[145:146]
	v_add_f64 v[109:110], v[109:110], v[141:142]
	v_add_f64 v[2:3], v[2:3], v[123:124]
	s_waitcnt lgkmcnt(1)
	v_mul_f64 v[141:142], v[103:104], v[158:159]
	v_mul_f64 v[123:124], v[101:102], v[158:159]
	v_add_f64 v[109:110], v[109:110], v[139:140]
	v_fma_f64 v[139:140], v[99:100], v[162:163], v[143:144]
	v_add_f64 v[2:3], v[2:3], v[127:128]
	s_waitcnt vmcnt(41) lgkmcnt(0)
	v_mul_f64 v[143:144], v[95:96], v[166:167]
	s_waitcnt vmcnt(40)
	v_fma_f64 v[141:142], v[101:102], v[160:161], -v[141:142]
	ds_read_b128 v[97:100], v1 offset:1264
	v_mul_f64 v[127:128], v[93:94], v[166:167]
	v_fma_f64 v[123:124], v[103:104], v[160:161], v[123:124]
	ds_read_b128 v[101:104], v1 offset:1280
	v_add_f64 v[109:110], v[109:110], v[145:146]
	v_add_f64 v[2:3], v[2:3], v[139:140]
	s_waitcnt vmcnt(39) lgkmcnt(1)
	v_mul_f64 v[145:146], v[99:100], v[168:169]
	v_mul_f64 v[139:140], v[97:98], v[168:169]
	s_waitcnt vmcnt(37)
	v_fma_f64 v[143:144], v[93:94], v[107:108], -v[143:144]
	v_fma_f64 v[107:108], v[95:96], v[107:108], v[127:128]
	ds_read_b128 v[93:96], v1 offset:1296
	v_add_f64 v[109:110], v[109:110], v[141:142]
	v_add_f64 v[2:3], v[2:3], v[123:124]
	s_waitcnt vmcnt(33) lgkmcnt(1)
	v_mul_f64 v[123:124], v[101:102], v[111:112]
	v_mul_f64 v[111:112], v[103:104], v[111:112]
	s_waitcnt vmcnt(32)
	v_fma_f64 v[127:128], v[97:98], v[170:171], -v[145:146]
	;; [unrolled: 9-line block ×7, first 2 shown]
	v_fma_f64 v[107:108], v[95:96], v[115:116], v[107:108]
	ds_read_b128 v[93:96], v1 offset:1392
	v_add_f64 v[109:110], v[109:110], v[111:112]
	v_add_f64 v[2:3], v[2:3], v[105:106]
	s_waitcnt vmcnt(9) lgkmcnt(1)
	v_mul_f64 v[111:112], v[103:104], v[121:122]
	s_waitcnt vmcnt(8)
	v_fma_f64 v[97:98], v[97:98], v[174:175], -v[119:120]
	v_mul_f64 v[105:106], v[101:102], v[121:122]
	v_fma_f64 v[99:100], v[99:100], v[174:175], v[117:118]
	v_add_f64 v[109:110], v[109:110], v[113:114]
	v_add_f64 v[2:3], v[2:3], v[107:108]
	s_waitcnt vmcnt(7) lgkmcnt(0)
	v_mul_f64 v[113:114], v[95:96], v[133:134]
	v_mul_f64 v[107:108], v[93:94], v[133:134]
	s_waitcnt vmcnt(5)
	v_fma_f64 v[101:102], v[101:102], v[125:126], -v[111:112]
	v_fma_f64 v[103:104], v[103:104], v[125:126], v[105:106]
	v_add_f64 v[97:98], v[109:110], v[97:98]
	v_add_f64 v[2:3], v[2:3], v[99:100]
	s_waitcnt vmcnt(4)
	v_fma_f64 v[93:94], v[93:94], v[137:138], -v[113:114]
	v_fma_f64 v[95:96], v[95:96], v[137:138], v[107:108]
	v_add_f64 v[97:98], v[97:98], v[101:102]
	v_add_f64 v[2:3], v[2:3], v[103:104]
	;; [unrolled: 1-line block ×4, first 2 shown]
	s_waitcnt vmcnt(2)
	v_add_f64 v[93:94], v[131:132], -v[93:94]
	s_waitcnt vmcnt(0)
	v_add_f64 v[2:3], v[135:136], -v[2:3]
	buffer_store_dword v94, off, s[0:3], 0 offset:308
	buffer_store_dword v93, off, s[0:3], 0 offset:304
	;; [unrolled: 1-line block ×4, first 2 shown]
	v_cmpx_lt_u32_e32 17, v0
	s_cbranch_execz .LBB107_243
; %bb.242:
	v_mov_b32_e32 v2, s39
	s_clause 0x3
	buffer_load_dword v93, v2, s[0:3], 0 offen
	buffer_load_dword v94, v2, s[0:3], 0 offen offset:4
	buffer_load_dword v95, v2, s[0:3], 0 offen offset:8
	buffer_load_dword v96, v2, s[0:3], 0 offen offset:12
	buffer_store_dword v1, off, s[0:3], 0 offset:288
	buffer_store_dword v1, off, s[0:3], 0 offset:292
	;; [unrolled: 1-line block ×4, first 2 shown]
	s_waitcnt vmcnt(0)
	ds_write_b128 v149, v[93:96]
.LBB107_243:
	s_or_b32 exec_lo, exec_lo, s4
	s_waitcnt lgkmcnt(0)
	s_waitcnt_vscnt null, 0x0
	s_barrier
	buffer_gl0_inv
	s_clause 0x37
	buffer_load_dword v2, off, s[0:3], 0 offset:312
	buffer_load_dword v3, off, s[0:3], 0 offset:316
	buffer_load_dword v105, off, s[0:3], 0 offset:328
	buffer_load_dword v106, off, s[0:3], 0 offset:332
	buffer_load_dword v107, off, s[0:3], 0 offset:304
	buffer_load_dword v108, off, s[0:3], 0 offset:308
	buffer_load_dword v109, off, s[0:3], 0 offset:344
	buffer_load_dword v110, off, s[0:3], 0 offset:348
	buffer_load_dword v111, off, s[0:3], 0 offset:320
	buffer_load_dword v112, off, s[0:3], 0 offset:324
	buffer_load_dword v114, off, s[0:3], 0 offset:364
	buffer_load_dword v115, off, s[0:3], 0 offset:376
	buffer_load_dword v117, off, s[0:3], 0 offset:368
	buffer_load_dword v113, off, s[0:3], 0 offset:360
	buffer_load_dword v119, off, s[0:3], 0 offset:336
	buffer_load_dword v120, off, s[0:3], 0 offset:340
	buffer_load_dword v116, off, s[0:3], 0 offset:380
	buffer_load_dword v122, off, s[0:3], 0 offset:356
	buffer_load_dword v121, off, s[0:3], 0 offset:352
	buffer_load_dword v124, off, s[0:3], 0 offset:396
	buffer_load_dword v125, off, s[0:3], 0 offset:408
	buffer_load_dword v127, off, s[0:3], 0 offset:400
	buffer_load_dword v123, off, s[0:3], 0 offset:392
	buffer_load_dword v118, off, s[0:3], 0 offset:372
	buffer_load_dword v126, off, s[0:3], 0 offset:412
	buffer_load_dword v130, off, s[0:3], 0 offset:388
	buffer_load_dword v129, off, s[0:3], 0 offset:384
	buffer_load_dword v132, off, s[0:3], 0 offset:428
	buffer_load_dword v133, off, s[0:3], 0 offset:440
	buffer_load_dword v135, off, s[0:3], 0 offset:432
	buffer_load_dword v131, off, s[0:3], 0 offset:424
	buffer_load_dword v128, off, s[0:3], 0 offset:404
	buffer_load_dword v134, off, s[0:3], 0 offset:444
	buffer_load_dword v138, off, s[0:3], 0 offset:420
	buffer_load_dword v137, off, s[0:3], 0 offset:416
	buffer_load_dword v140, off, s[0:3], 0 offset:460
	buffer_load_dword v141, off, s[0:3], 0 offset:472
	buffer_load_dword v143, off, s[0:3], 0 offset:464
	buffer_load_dword v139, off, s[0:3], 0 offset:456
	buffer_load_dword v136, off, s[0:3], 0 offset:436
	buffer_load_dword v142, off, s[0:3], 0 offset:476
	buffer_load_dword v146, off, s[0:3], 0 offset:452
	buffer_load_dword v145, off, s[0:3], 0 offset:448
	buffer_load_dword v148, off, s[0:3], 0 offset:492
	buffer_load_dword v150, off, s[0:3], 0 offset:504
	buffer_load_dword v152, off, s[0:3], 0 offset:496
	buffer_load_dword v147, off, s[0:3], 0 offset:488
	buffer_load_dword v144, off, s[0:3], 0 offset:468
	buffer_load_dword v151, off, s[0:3], 0 offset:508
	buffer_load_dword v155, off, s[0:3], 0 offset:484
	buffer_load_dword v154, off, s[0:3], 0 offset:480
	buffer_load_dword v157, off, s[0:3], 0 offset:524
	buffer_load_dword v158, off, s[0:3], 0 offset:536
	buffer_load_dword v160, off, s[0:3], 0 offset:528
	buffer_load_dword v156, off, s[0:3], 0 offset:520
	buffer_load_dword v153, off, s[0:3], 0 offset:500
	ds_read_b128 v[93:96], v1 offset:992
	s_clause 0x2
	buffer_load_dword v159, off, s[0:3], 0 offset:540
	buffer_load_dword v163, off, s[0:3], 0 offset:516
	buffer_load_dword v162, off, s[0:3], 0 offset:512
	ds_read_b128 v[97:100], v1 offset:1008
	s_clause 0x4
	buffer_load_dword v167, off, s[0:3], 0 offset:556
	buffer_load_dword v168, off, s[0:3], 0 offset:568
	;; [unrolled: 1-line block ×5, first 2 shown]
	ds_read_b128 v[101:104], v1 offset:1024
	s_mov_b32 s4, exec_lo
	s_waitcnt vmcnt(62) lgkmcnt(2)
	v_mul_f64 v[164:165], v[95:96], v[2:3]
	v_mul_f64 v[2:3], v[93:94], v[2:3]
	s_waitcnt vmcnt(60) lgkmcnt(1)
	v_mul_f64 v[171:172], v[99:100], v[105:106]
	v_mul_f64 v[105:106], v[97:98], v[105:106]
	;; [unrolled: 3-line block ×3, first 2 shown]
	v_fma_f64 v[164:165], v[93:94], v[107:108], -v[164:165]
	v_fma_f64 v[2:3], v[95:96], v[107:108], v[2:3]
	s_clause 0x2
	buffer_load_dword v169, off, s[0:3], 0 offset:572
	buffer_load_dword v108, off, s[0:3], 0 offset:548
	;; [unrolled: 1-line block ×3, first 2 shown]
	s_waitcnt vmcnt(57)
	v_fma_f64 v[175:176], v[97:98], v[111:112], -v[171:172]
	ds_read_b128 v[93:96], v1 offset:1040
	v_fma_f64 v[105:106], v[99:100], v[111:112], v[105:106]
	s_clause 0x4
	buffer_load_dword v112, off, s[0:3], 0 offset:588
	buffer_load_dword v172, off, s[0:3], 0 offset:600
	;; [unrolled: 1-line block ×5, first 2 shown]
	s_waitcnt vmcnt(56)
	v_fma_f64 v[109:110], v[101:102], v[119:120], -v[109:110]
	ds_read_b128 v[97:100], v1 offset:1056
	v_fma_f64 v[119:120], v[103:104], v[119:120], v[173:174]
	v_add_f64 v[164:165], v[164:165], 0
	v_add_f64 v[2:3], v[2:3], 0
	s_waitcnt lgkmcnt(1)
	v_mul_f64 v[178:179], v[93:94], v[113:114]
	v_mul_f64 v[113:114], v[95:96], v[113:114]
	v_add_f64 v[164:165], v[164:165], v[175:176]
	v_add_f64 v[2:3], v[2:3], v[105:106]
	s_clause 0x2
	buffer_load_dword v173, off, s[0:3], 0 offset:604
	buffer_load_dword v106, off, s[0:3], 0 offset:580
	;; [unrolled: 1-line block ×3, first 2 shown]
	s_waitcnt vmcnt(58) lgkmcnt(0)
	v_mul_f64 v[174:175], v[97:98], v[115:116]
	v_mul_f64 v[115:116], v[99:100], v[115:116]
	s_waitcnt vmcnt(56)
	v_fma_f64 v[113:114], v[93:94], v[121:122], -v[113:114]
	ds_read_b128 v[101:104], v1 offset:1072
	v_fma_f64 v[121:122], v[95:96], v[121:122], v[178:179]
	v_add_f64 v[109:110], v[164:165], v[109:110]
	v_add_f64 v[2:3], v[2:3], v[119:120]
	s_clause 0x4
	buffer_load_dword v120, off, s[0:3], 0 offset:620
	buffer_load_dword v164, off, s[0:3], 0 offset:632
	;; [unrolled: 1-line block ×5, first 2 shown]
	ds_read_b128 v[93:96], v1 offset:1088
	s_waitcnt vmcnt(57) lgkmcnt(1)
	v_mul_f64 v[180:181], v[101:102], v[123:124]
	v_mul_f64 v[123:124], v[103:104], v[123:124]
	s_waitcnt vmcnt(56)
	v_fma_f64 v[115:116], v[97:98], v[117:118], -v[115:116]
	v_add_f64 v[109:110], v[109:110], v[113:114]
	v_fma_f64 v[113:114], v[99:100], v[117:118], v[174:175]
	v_add_f64 v[2:3], v[2:3], v[121:122]
	s_clause 0x2
	buffer_load_dword v165, off, s[0:3], 0 offset:636
	buffer_load_dword v118, off, s[0:3], 0 offset:612
	buffer_load_dword v117, off, s[0:3], 0 offset:608
	s_waitcnt vmcnt(58) lgkmcnt(0)
	v_mul_f64 v[121:122], v[93:94], v[125:126]
	v_mul_f64 v[125:126], v[95:96], v[125:126]
	s_waitcnt vmcnt(56)
	v_fma_f64 v[123:124], v[101:102], v[129:130], -v[123:124]
	ds_read_b128 v[97:100], v1 offset:1104
	v_add_f64 v[109:110], v[109:110], v[115:116]
	v_fma_f64 v[115:116], v[103:104], v[129:130], v[180:181]
	v_add_f64 v[2:3], v[2:3], v[113:114]
	s_clause 0x4
	buffer_load_dword v114, off, s[0:3], 0 offset:652
	buffer_load_dword v129, off, s[0:3], 0 offset:664
	;; [unrolled: 1-line block ×5, first 2 shown]
	ds_read_b128 v[101:104], v1 offset:1120
	s_waitcnt vmcnt(57) lgkmcnt(1)
	v_mul_f64 v[175:176], v[97:98], v[131:132]
	v_mul_f64 v[131:132], v[99:100], v[131:132]
	s_waitcnt vmcnt(56)
	v_fma_f64 v[125:126], v[93:94], v[127:128], -v[125:126]
	v_fma_f64 v[121:122], v[95:96], v[127:128], v[121:122]
	v_add_f64 v[109:110], v[109:110], v[123:124]
	v_add_f64 v[2:3], v[2:3], v[115:116]
	s_clause 0x2
	buffer_load_dword v130, off, s[0:3], 0 offset:668
	buffer_load_dword v116, off, s[0:3], 0 offset:644
	;; [unrolled: 1-line block ×3, first 2 shown]
	s_waitcnt vmcnt(58) lgkmcnt(0)
	v_mul_f64 v[127:128], v[103:104], v[133:134]
	ds_read_b128 v[93:96], v1 offset:1136
	s_waitcnt vmcnt(56)
	v_fma_f64 v[131:132], v[97:98], v[137:138], -v[131:132]
	v_mul_f64 v[123:124], v[101:102], v[133:134]
	v_add_f64 v[109:110], v[109:110], v[125:126]
	v_fma_f64 v[125:126], v[99:100], v[137:138], v[175:176]
	v_add_f64 v[2:3], v[2:3], v[121:122]
	s_clause 0x4
	buffer_load_dword v122, off, s[0:3], 0 offset:684
	buffer_load_dword v133, off, s[0:3], 0 offset:696
	;; [unrolled: 1-line block ×5, first 2 shown]
	s_waitcnt vmcnt(57) lgkmcnt(0)
	v_mul_f64 v[181:182], v[93:94], v[139:140]
	v_mul_f64 v[138:139], v[95:96], v[139:140]
	s_waitcnt vmcnt(56)
	v_fma_f64 v[127:128], v[101:102], v[135:136], -v[127:128]
	ds_read_b128 v[97:100], v1 offset:1152
	v_fma_f64 v[123:124], v[103:104], v[135:136], v[123:124]
	v_add_f64 v[109:110], v[109:110], v[131:132]
	v_add_f64 v[2:3], v[2:3], v[125:126]
	s_clause 0x2
	buffer_load_dword v134, off, s[0:3], 0 offset:700
	buffer_load_dword v126, off, s[0:3], 0 offset:676
	;; [unrolled: 1-line block ×3, first 2 shown]
	ds_read_b128 v[101:104], v1 offset:1168
	s_waitcnt vmcnt(58) lgkmcnt(1)
	v_mul_f64 v[135:136], v[99:100], v[141:142]
	s_waitcnt vmcnt(56)
	v_fma_f64 v[139:140], v[93:94], v[145:146], -v[138:139]
	v_mul_f64 v[131:132], v[97:98], v[141:142]
	v_add_f64 v[109:110], v[109:110], v[127:128]
	v_fma_f64 v[127:128], v[95:96], v[145:146], v[181:182]
	v_add_f64 v[2:3], v[2:3], v[123:124]
	s_clause 0x2
	buffer_load_dword v124, off, s[0:3], 0 offset:716
	buffer_load_dword v123, off, s[0:3], 0 offset:712
	;; [unrolled: 1-line block ×3, first 2 shown]
	s_waitcnt vmcnt(55) lgkmcnt(0)
	v_mul_f64 v[145:146], v[103:104], v[147:148]
	s_waitcnt vmcnt(54)
	v_fma_f64 v[135:136], v[97:98], v[143:144], -v[135:136]
	ds_read_b128 v[93:96], v1 offset:1184
	v_mul_f64 v[141:142], v[101:102], v[147:148]
	v_fma_f64 v[131:132], v[99:100], v[143:144], v[131:132]
	v_add_f64 v[109:110], v[109:110], v[139:140]
	v_add_f64 v[2:3], v[2:3], v[127:128]
	s_clause 0x1
	buffer_load_dword v128, off, s[0:3], 0 offset:708
	buffer_load_dword v127, off, s[0:3], 0 offset:704
	s_waitcnt vmcnt(55) lgkmcnt(0)
	v_mul_f64 v[143:144], v[95:96], v[150:151]
	s_waitcnt vmcnt(53)
	v_fma_f64 v[145:146], v[101:102], v[154:155], -v[145:146]
	ds_read_b128 v[97:100], v1 offset:1200
	v_mul_f64 v[139:140], v[93:94], v[150:151]
	v_add_f64 v[109:110], v[109:110], v[135:136]
	v_fma_f64 v[135:136], v[103:104], v[154:155], v[141:142]
	v_add_f64 v[2:3], v[2:3], v[131:132]
	ds_read_b128 v[101:104], v1 offset:1216
	s_waitcnt vmcnt(49) lgkmcnt(1)
	v_mul_f64 v[141:142], v[99:100], v[156:157]
	s_waitcnt vmcnt(48)
	v_fma_f64 v[143:144], v[93:94], v[152:153], -v[143:144]
	v_mul_f64 v[131:132], v[97:98], v[156:157]
	v_fma_f64 v[139:140], v[95:96], v[152:153], v[139:140]
	v_add_f64 v[109:110], v[109:110], v[145:146]
	s_waitcnt vmcnt(47) lgkmcnt(0)
	v_mul_f64 v[150:151], v[103:104], v[158:159]
	v_add_f64 v[2:3], v[2:3], v[135:136]
	s_clause 0x3
	buffer_load_dword v135, off, s[0:3], 0 offset:288
	buffer_load_dword v136, off, s[0:3], 0 offset:292
	;; [unrolled: 1-line block ×4, first 2 shown]
	s_waitcnt vmcnt(49)
	v_fma_f64 v[141:142], v[97:98], v[162:163], -v[141:142]
	ds_read_b128 v[93:96], v1 offset:1232
	v_mul_f64 v[147:148], v[101:102], v[158:159]
	v_fma_f64 v[131:132], v[99:100], v[162:163], v[131:132]
	ds_read_b128 v[97:100], v1 offset:1248
	v_add_f64 v[109:110], v[109:110], v[143:144]
	s_waitcnt vmcnt(44)
	v_fma_f64 v[150:151], v[101:102], v[160:161], -v[150:151]
	v_add_f64 v[2:3], v[2:3], v[139:140]
	s_waitcnt lgkmcnt(1)
	v_mul_f64 v[143:144], v[95:96], v[166:167]
	v_mul_f64 v[139:140], v[93:94], v[166:167]
	v_add_f64 v[109:110], v[109:110], v[141:142]
	v_fma_f64 v[141:142], v[103:104], v[160:161], v[147:148]
	v_add_f64 v[2:3], v[2:3], v[131:132]
	ds_read_b128 v[101:104], v1 offset:1264
	s_waitcnt vmcnt(43) lgkmcnt(1)
	v_mul_f64 v[147:148], v[99:100], v[168:169]
	v_mul_f64 v[131:132], v[97:98], v[168:169]
	s_waitcnt vmcnt(41)
	v_fma_f64 v[143:144], v[93:94], v[107:108], -v[143:144]
	v_fma_f64 v[107:108], v[95:96], v[107:108], v[139:140]
	ds_read_b128 v[93:96], v1 offset:1280
	v_add_f64 v[109:110], v[109:110], v[150:151]
	s_waitcnt vmcnt(37) lgkmcnt(1)
	v_mul_f64 v[139:140], v[101:102], v[111:112]
	v_add_f64 v[2:3], v[2:3], v[141:142]
	v_mul_f64 v[111:112], v[103:104], v[111:112]
	s_waitcnt vmcnt(36)
	v_fma_f64 v[141:142], v[97:98], v[170:171], -v[147:148]
	v_fma_f64 v[131:132], v[99:100], v[170:171], v[131:132]
	ds_read_b128 v[97:100], v1 offset:1296
	v_add_f64 v[109:110], v[109:110], v[143:144]
	v_add_f64 v[2:3], v[2:3], v[107:108]
	s_waitcnt vmcnt(35) lgkmcnt(1)
	v_mul_f64 v[143:144], v[95:96], v[172:173]
	v_mul_f64 v[107:108], v[93:94], v[172:173]
	s_waitcnt vmcnt(33)
	v_fma_f64 v[111:112], v[101:102], v[105:106], -v[111:112]
	v_fma_f64 v[105:106], v[103:104], v[105:106], v[139:140]
	ds_read_b128 v[101:104], v1 offset:1312
	v_add_f64 v[109:110], v[109:110], v[141:142]
	v_add_f64 v[2:3], v[2:3], v[131:132]
	s_waitcnt vmcnt(29) lgkmcnt(1)
	v_mul_f64 v[131:132], v[97:98], v[119:120]
	;; [unrolled: 9-line block ×6, first 2 shown]
	s_waitcnt vmcnt(12)
	v_fma_f64 v[97:98], v[97:98], v[174:175], -v[119:120]
	v_mul_f64 v[105:106], v[101:102], v[121:122]
	v_fma_f64 v[99:100], v[99:100], v[174:175], v[117:118]
	v_add_f64 v[109:110], v[109:110], v[113:114]
	v_add_f64 v[107:108], v[2:3], v[107:108]
	ds_read_b128 v[1:4], v1 offset:1392
	s_waitcnt vmcnt(11) lgkmcnt(1)
	v_mul_f64 v[115:116], v[95:96], v[133:134]
	v_mul_f64 v[113:114], v[93:94], v[133:134]
	s_waitcnt vmcnt(9)
	v_fma_f64 v[101:102], v[101:102], v[125:126], -v[111:112]
	v_fma_f64 v[103:104], v[103:104], v[125:126], v[105:106]
	v_add_f64 v[97:98], v[109:110], v[97:98]
	v_add_f64 v[99:100], v[107:108], v[99:100]
	s_waitcnt vmcnt(7) lgkmcnt(0)
	v_mul_f64 v[107:108], v[3:4], v[123:124]
	s_waitcnt vmcnt(6)
	v_fma_f64 v[93:94], v[93:94], v[137:138], -v[115:116]
	v_mul_f64 v[105:106], v[1:2], v[123:124]
	v_fma_f64 v[95:96], v[95:96], v[137:138], v[113:114]
	v_add_f64 v[97:98], v[97:98], v[101:102]
	v_add_f64 v[99:100], v[99:100], v[103:104]
	s_waitcnt vmcnt(4)
	v_fma_f64 v[1:2], v[1:2], v[127:128], -v[107:108]
	v_fma_f64 v[3:4], v[3:4], v[127:128], v[105:106]
	v_add_f64 v[93:94], v[97:98], v[93:94]
	v_add_f64 v[95:96], v[99:100], v[95:96]
	;; [unrolled: 1-line block ×4, first 2 shown]
	s_waitcnt vmcnt(2)
	v_add_f64 v[1:2], v[135:136], -v[1:2]
	s_waitcnt vmcnt(0)
	v_add_f64 v[3:4], v[145:146], -v[3:4]
	buffer_store_dword v2, off, s[0:3], 0 offset:292
	buffer_store_dword v1, off, s[0:3], 0 offset:288
	;; [unrolled: 1-line block ×4, first 2 shown]
	v_cmpx_lt_u32_e32 16, v0
	s_cbranch_execz .LBB107_245
; %bb.244:
	v_mov_b32_e32 v4, s40
	v_mov_b32_e32 v93, 0
	s_clause 0x3
	buffer_load_dword v1, v4, s[0:3], 0 offen
	buffer_load_dword v2, v4, s[0:3], 0 offen offset:4
	buffer_load_dword v3, v4, s[0:3], 0 offen offset:8
	;; [unrolled: 1-line block ×3, first 2 shown]
	buffer_store_dword v93, off, s[0:3], 0 offset:272
	buffer_store_dword v93, off, s[0:3], 0 offset:276
	;; [unrolled: 1-line block ×4, first 2 shown]
	s_waitcnt vmcnt(0)
	ds_write_b128 v149, v[1:4]
.LBB107_245:
	s_or_b32 exec_lo, exec_lo, s4
	s_waitcnt lgkmcnt(0)
	s_waitcnt_vscnt null, 0x0
	s_barrier
	buffer_gl0_inv
	s_clause 0x37
	buffer_load_dword v2, off, s[0:3], 0 offset:296
	buffer_load_dword v3, off, s[0:3], 0 offset:300
	;; [unrolled: 1-line block ×56, first 2 shown]
	v_mov_b32_e32 v1, 0
	s_mov_b32 s4, exec_lo
	ds_read_b128 v[93:96], v1 offset:976
	s_clause 0x2
	buffer_load_dword v159, off, s[0:3], 0 offset:524
	buffer_load_dword v163, off, s[0:3], 0 offset:500
	;; [unrolled: 1-line block ×3, first 2 shown]
	ds_read_b128 v[97:100], v1 offset:992
	s_clause 0x4
	buffer_load_dword v167, off, s[0:3], 0 offset:540
	buffer_load_dword v168, off, s[0:3], 0 offset:552
	;; [unrolled: 1-line block ×5, first 2 shown]
	ds_read_b128 v[101:104], v1 offset:1008
	s_waitcnt vmcnt(62) lgkmcnt(2)
	v_mul_f64 v[164:165], v[95:96], v[2:3]
	v_mul_f64 v[2:3], v[93:94], v[2:3]
	s_waitcnt vmcnt(60) lgkmcnt(1)
	v_mul_f64 v[171:172], v[99:100], v[105:106]
	v_mul_f64 v[105:106], v[97:98], v[105:106]
	;; [unrolled: 3-line block ×3, first 2 shown]
	v_fma_f64 v[164:165], v[93:94], v[107:108], -v[164:165]
	v_fma_f64 v[2:3], v[95:96], v[107:108], v[2:3]
	s_clause 0x2
	buffer_load_dword v169, off, s[0:3], 0 offset:556
	buffer_load_dword v108, off, s[0:3], 0 offset:532
	;; [unrolled: 1-line block ×3, first 2 shown]
	s_waitcnt vmcnt(57)
	v_fma_f64 v[175:176], v[97:98], v[111:112], -v[171:172]
	ds_read_b128 v[93:96], v1 offset:1024
	v_fma_f64 v[105:106], v[99:100], v[111:112], v[105:106]
	s_clause 0x4
	buffer_load_dword v112, off, s[0:3], 0 offset:572
	buffer_load_dword v172, off, s[0:3], 0 offset:584
	buffer_load_dword v177, off, s[0:3], 0 offset:576
	buffer_load_dword v111, off, s[0:3], 0 offset:568
	buffer_load_dword v171, off, s[0:3], 0 offset:548
	s_waitcnt vmcnt(56)
	v_fma_f64 v[109:110], v[101:102], v[119:120], -v[109:110]
	ds_read_b128 v[97:100], v1 offset:1040
	v_fma_f64 v[119:120], v[103:104], v[119:120], v[173:174]
	v_add_f64 v[164:165], v[164:165], 0
	v_add_f64 v[2:3], v[2:3], 0
	s_waitcnt lgkmcnt(1)
	v_mul_f64 v[178:179], v[93:94], v[113:114]
	v_mul_f64 v[113:114], v[95:96], v[113:114]
	v_add_f64 v[164:165], v[164:165], v[175:176]
	v_add_f64 v[2:3], v[2:3], v[105:106]
	s_clause 0x2
	buffer_load_dword v173, off, s[0:3], 0 offset:588
	buffer_load_dword v106, off, s[0:3], 0 offset:564
	;; [unrolled: 1-line block ×3, first 2 shown]
	s_waitcnt vmcnt(58) lgkmcnt(0)
	v_mul_f64 v[174:175], v[97:98], v[115:116]
	v_mul_f64 v[115:116], v[99:100], v[115:116]
	s_waitcnt vmcnt(56)
	v_fma_f64 v[113:114], v[93:94], v[121:122], -v[113:114]
	ds_read_b128 v[101:104], v1 offset:1056
	v_fma_f64 v[121:122], v[95:96], v[121:122], v[178:179]
	v_add_f64 v[109:110], v[164:165], v[109:110]
	v_add_f64 v[2:3], v[2:3], v[119:120]
	s_clause 0x4
	buffer_load_dword v120, off, s[0:3], 0 offset:604
	buffer_load_dword v164, off, s[0:3], 0 offset:616
	;; [unrolled: 1-line block ×5, first 2 shown]
	ds_read_b128 v[93:96], v1 offset:1072
	s_waitcnt vmcnt(57) lgkmcnt(1)
	v_mul_f64 v[180:181], v[101:102], v[123:124]
	v_mul_f64 v[123:124], v[103:104], v[123:124]
	s_waitcnt vmcnt(56)
	v_fma_f64 v[115:116], v[97:98], v[117:118], -v[115:116]
	v_add_f64 v[109:110], v[109:110], v[113:114]
	v_fma_f64 v[113:114], v[99:100], v[117:118], v[174:175]
	v_add_f64 v[2:3], v[2:3], v[121:122]
	s_clause 0x2
	buffer_load_dword v165, off, s[0:3], 0 offset:620
	buffer_load_dword v118, off, s[0:3], 0 offset:596
	;; [unrolled: 1-line block ×3, first 2 shown]
	s_waitcnt vmcnt(58) lgkmcnt(0)
	v_mul_f64 v[121:122], v[93:94], v[125:126]
	v_mul_f64 v[125:126], v[95:96], v[125:126]
	s_waitcnt vmcnt(56)
	v_fma_f64 v[123:124], v[101:102], v[129:130], -v[123:124]
	ds_read_b128 v[97:100], v1 offset:1088
	v_add_f64 v[109:110], v[109:110], v[115:116]
	v_fma_f64 v[115:116], v[103:104], v[129:130], v[180:181]
	v_add_f64 v[2:3], v[2:3], v[113:114]
	s_clause 0x4
	buffer_load_dword v114, off, s[0:3], 0 offset:636
	buffer_load_dword v129, off, s[0:3], 0 offset:648
	;; [unrolled: 1-line block ×5, first 2 shown]
	ds_read_b128 v[101:104], v1 offset:1104
	s_waitcnt vmcnt(57) lgkmcnt(1)
	v_mul_f64 v[175:176], v[97:98], v[131:132]
	v_mul_f64 v[131:132], v[99:100], v[131:132]
	s_waitcnt vmcnt(56)
	v_fma_f64 v[125:126], v[93:94], v[127:128], -v[125:126]
	v_fma_f64 v[121:122], v[95:96], v[127:128], v[121:122]
	v_add_f64 v[109:110], v[109:110], v[123:124]
	v_add_f64 v[2:3], v[2:3], v[115:116]
	s_clause 0x2
	buffer_load_dword v130, off, s[0:3], 0 offset:652
	buffer_load_dword v116, off, s[0:3], 0 offset:628
	buffer_load_dword v115, off, s[0:3], 0 offset:624
	s_waitcnt vmcnt(58) lgkmcnt(0)
	v_mul_f64 v[127:128], v[103:104], v[133:134]
	ds_read_b128 v[93:96], v1 offset:1120
	s_waitcnt vmcnt(56)
	v_fma_f64 v[131:132], v[97:98], v[137:138], -v[131:132]
	v_mul_f64 v[123:124], v[101:102], v[133:134]
	v_add_f64 v[109:110], v[109:110], v[125:126]
	v_fma_f64 v[125:126], v[99:100], v[137:138], v[175:176]
	v_add_f64 v[2:3], v[2:3], v[121:122]
	s_clause 0x4
	buffer_load_dword v122, off, s[0:3], 0 offset:668
	buffer_load_dword v133, off, s[0:3], 0 offset:680
	;; [unrolled: 1-line block ×5, first 2 shown]
	s_waitcnt vmcnt(57) lgkmcnt(0)
	v_mul_f64 v[181:182], v[93:94], v[139:140]
	v_mul_f64 v[138:139], v[95:96], v[139:140]
	s_waitcnt vmcnt(56)
	v_fma_f64 v[127:128], v[101:102], v[135:136], -v[127:128]
	ds_read_b128 v[97:100], v1 offset:1136
	v_fma_f64 v[123:124], v[103:104], v[135:136], v[123:124]
	v_add_f64 v[109:110], v[109:110], v[131:132]
	v_add_f64 v[2:3], v[2:3], v[125:126]
	s_clause 0x2
	buffer_load_dword v134, off, s[0:3], 0 offset:684
	buffer_load_dword v126, off, s[0:3], 0 offset:660
	buffer_load_dword v125, off, s[0:3], 0 offset:656
	ds_read_b128 v[101:104], v1 offset:1152
	s_waitcnt vmcnt(58) lgkmcnt(1)
	v_mul_f64 v[135:136], v[99:100], v[141:142]
	s_waitcnt vmcnt(56)
	v_fma_f64 v[139:140], v[93:94], v[145:146], -v[138:139]
	v_mul_f64 v[131:132], v[97:98], v[141:142]
	v_add_f64 v[109:110], v[109:110], v[127:128]
	v_fma_f64 v[127:128], v[95:96], v[145:146], v[181:182]
	v_add_f64 v[2:3], v[2:3], v[123:124]
	s_clause 0x4
	buffer_load_dword v124, off, s[0:3], 0 offset:700
	buffer_load_dword v141, off, s[0:3], 0 offset:712
	;; [unrolled: 1-line block ×5, first 2 shown]
	s_waitcnt vmcnt(57) lgkmcnt(0)
	v_mul_f64 v[181:182], v[101:102], v[147:148]
	v_mul_f64 v[146:147], v[103:104], v[147:148]
	s_waitcnt vmcnt(56)
	v_fma_f64 v[135:136], v[97:98], v[143:144], -v[135:136]
	ds_read_b128 v[93:96], v1 offset:1168
	v_fma_f64 v[131:132], v[99:100], v[143:144], v[131:132]
	v_add_f64 v[109:110], v[109:110], v[139:140]
	v_add_f64 v[2:3], v[2:3], v[127:128]
	s_clause 0x2
	buffer_load_dword v142, off, s[0:3], 0 offset:716
	buffer_load_dword v128, off, s[0:3], 0 offset:692
	;; [unrolled: 1-line block ×3, first 2 shown]
	ds_read_b128 v[97:100], v1 offset:1184
	s_waitcnt vmcnt(58) lgkmcnt(1)
	v_mul_f64 v[143:144], v[95:96], v[150:151]
	s_waitcnt vmcnt(56)
	v_fma_f64 v[147:148], v[101:102], v[154:155], -v[146:147]
	v_mul_f64 v[139:140], v[93:94], v[150:151]
	buffer_load_dword v146, off, s[0:3], 0 offset:708
	v_add_f64 v[109:110], v[109:110], v[135:136]
	v_fma_f64 v[135:136], v[103:104], v[154:155], v[181:182]
	v_add_f64 v[2:3], v[2:3], v[131:132]
	ds_read_b128 v[101:104], v1 offset:1200
	s_waitcnt vmcnt(53) lgkmcnt(1)
	v_mul_f64 v[150:151], v[99:100], v[156:157]
	s_waitcnt vmcnt(52)
	v_fma_f64 v[143:144], v[93:94], v[152:153], -v[143:144]
	v_mul_f64 v[131:132], v[97:98], v[156:157]
	v_fma_f64 v[139:140], v[95:96], v[152:153], v[139:140]
	ds_read_b128 v[93:96], v1 offset:1216
	v_add_f64 v[109:110], v[109:110], v[147:148]
	s_waitcnt vmcnt(51) lgkmcnt(1)
	v_mul_f64 v[147:148], v[103:104], v[158:159]
	v_add_f64 v[2:3], v[2:3], v[135:136]
	v_mul_f64 v[135:136], v[101:102], v[158:159]
	s_waitcnt vmcnt(49)
	v_fma_f64 v[150:151], v[97:98], v[162:163], -v[150:151]
	v_fma_f64 v[131:132], v[99:100], v[162:163], v[131:132]
	s_waitcnt vmcnt(45) lgkmcnt(0)
	v_mul_f64 v[154:155], v[95:96], v[166:167]
	v_mul_f64 v[152:153], v[93:94], v[166:167]
	v_add_f64 v[109:110], v[109:110], v[143:144]
	s_waitcnt vmcnt(44)
	v_fma_f64 v[147:148], v[101:102], v[160:161], -v[147:148]
	v_add_f64 v[2:3], v[2:3], v[139:140]
	s_clause 0x3
	buffer_load_dword v139, off, s[0:3], 0 offset:272
	buffer_load_dword v140, off, s[0:3], 0 offset:276
	;; [unrolled: 1-line block ×4, first 2 shown]
	ds_read_b128 v[97:100], v1 offset:1232
	v_fma_f64 v[135:136], v[103:104], v[160:161], v[135:136]
	ds_read_b128 v[101:104], v1 offset:1248
	v_add_f64 v[109:110], v[109:110], v[150:151]
	v_add_f64 v[2:3], v[2:3], v[131:132]
	s_waitcnt vmcnt(47) lgkmcnt(1)
	v_mul_f64 v[150:151], v[99:100], v[168:169]
	v_mul_f64 v[131:132], v[97:98], v[168:169]
	s_waitcnt vmcnt(45)
	v_fma_f64 v[154:155], v[93:94], v[107:108], -v[154:155]
	v_fma_f64 v[107:108], v[95:96], v[107:108], v[152:153]
	ds_read_b128 v[93:96], v1 offset:1264
	v_add_f64 v[109:110], v[109:110], v[147:148]
	v_add_f64 v[2:3], v[2:3], v[135:136]
	s_waitcnt vmcnt(41) lgkmcnt(1)
	v_mul_f64 v[135:136], v[101:102], v[111:112]
	v_mul_f64 v[111:112], v[103:104], v[111:112]
	s_waitcnt vmcnt(40)
	v_fma_f64 v[147:148], v[97:98], v[170:171], -v[150:151]
	;; [unrolled: 9-line block ×7, first 2 shown]
	v_fma_f64 v[107:108], v[95:96], v[115:116], v[107:108]
	ds_read_b128 v[93:96], v1 offset:1360
	v_add_f64 v[109:110], v[109:110], v[111:112]
	v_add_f64 v[2:3], v[2:3], v[105:106]
	s_waitcnt vmcnt(17) lgkmcnt(1)
	v_mul_f64 v[111:112], v[103:104], v[121:122]
	s_waitcnt vmcnt(16)
	v_fma_f64 v[115:116], v[97:98], v[174:175], -v[119:120]
	v_mul_f64 v[105:106], v[101:102], v[121:122]
	v_add_f64 v[109:110], v[109:110], v[113:114]
	v_fma_f64 v[113:114], v[99:100], v[174:175], v[117:118]
	v_add_f64 v[2:3], v[2:3], v[107:108]
	ds_read_b128 v[97:100], v1 offset:1376
	s_waitcnt vmcnt(15) lgkmcnt(1)
	v_mul_f64 v[117:118], v[95:96], v[133:134]
	v_mul_f64 v[107:108], v[93:94], v[133:134]
	s_waitcnt vmcnt(13)
	v_fma_f64 v[111:112], v[101:102], v[125:126], -v[111:112]
	v_fma_f64 v[105:106], v[103:104], v[125:126], v[105:106]
	ds_read_b128 v[101:104], v1 offset:1392
	v_add_f64 v[109:110], v[109:110], v[115:116]
	v_add_f64 v[2:3], v[2:3], v[113:114]
	s_waitcnt vmcnt(9) lgkmcnt(1)
	v_mul_f64 v[115:116], v[99:100], v[123:124]
	s_waitcnt vmcnt(8)
	v_fma_f64 v[93:94], v[93:94], v[137:138], -v[117:118]
	v_mul_f64 v[113:114], v[97:98], v[123:124]
	v_fma_f64 v[95:96], v[95:96], v[137:138], v[107:108]
	v_add_f64 v[109:110], v[109:110], v[111:112]
	v_add_f64 v[2:3], v[2:3], v[105:106]
	s_waitcnt vmcnt(7) lgkmcnt(0)
	v_mul_f64 v[107:108], v[103:104], v[141:142]
	v_mul_f64 v[105:106], v[101:102], v[141:142]
	s_waitcnt vmcnt(5)
	v_fma_f64 v[97:98], v[97:98], v[127:128], -v[115:116]
	v_fma_f64 v[99:100], v[99:100], v[127:128], v[113:114]
	v_add_f64 v[93:94], v[109:110], v[93:94]
	v_add_f64 v[2:3], v[2:3], v[95:96]
	s_waitcnt vmcnt(4)
	v_fma_f64 v[95:96], v[101:102], v[145:146], -v[107:108]
	v_add_f64 v[93:94], v[93:94], v[97:98]
	v_fma_f64 v[97:98], v[103:104], v[145:146], v[105:106]
	v_add_f64 v[2:3], v[2:3], v[99:100]
	v_add_f64 v[93:94], v[93:94], v[95:96]
	;; [unrolled: 1-line block ×3, first 2 shown]
	s_waitcnt vmcnt(2)
	v_add_f64 v[93:94], v[139:140], -v[93:94]
	s_waitcnt vmcnt(0)
	v_add_f64 v[2:3], v[143:144], -v[2:3]
	buffer_store_dword v94, off, s[0:3], 0 offset:276
	buffer_store_dword v93, off, s[0:3], 0 offset:272
	;; [unrolled: 1-line block ×4, first 2 shown]
	v_cmpx_lt_u32_e32 15, v0
	s_cbranch_execz .LBB107_247
; %bb.246:
	v_mov_b32_e32 v2, s41
	s_clause 0x3
	buffer_load_dword v93, v2, s[0:3], 0 offen
	buffer_load_dword v94, v2, s[0:3], 0 offen offset:4
	buffer_load_dword v95, v2, s[0:3], 0 offen offset:8
	;; [unrolled: 1-line block ×3, first 2 shown]
	buffer_store_dword v1, off, s[0:3], 0 offset:256
	buffer_store_dword v1, off, s[0:3], 0 offset:260
	;; [unrolled: 1-line block ×4, first 2 shown]
	s_waitcnt vmcnt(0)
	ds_write_b128 v149, v[93:96]
.LBB107_247:
	s_or_b32 exec_lo, exec_lo, s4
	s_waitcnt lgkmcnt(0)
	s_waitcnt_vscnt null, 0x0
	s_barrier
	buffer_gl0_inv
	s_clause 0x37
	buffer_load_dword v2, off, s[0:3], 0 offset:280
	buffer_load_dword v3, off, s[0:3], 0 offset:284
	;; [unrolled: 1-line block ×56, first 2 shown]
	ds_read_b128 v[93:96], v1 offset:960
	s_clause 0x2
	buffer_load_dword v159, off, s[0:3], 0 offset:508
	buffer_load_dword v163, off, s[0:3], 0 offset:484
	;; [unrolled: 1-line block ×3, first 2 shown]
	ds_read_b128 v[97:100], v1 offset:976
	s_clause 0x4
	buffer_load_dword v167, off, s[0:3], 0 offset:524
	buffer_load_dword v168, off, s[0:3], 0 offset:536
	;; [unrolled: 1-line block ×5, first 2 shown]
	ds_read_b128 v[101:104], v1 offset:992
	s_mov_b32 s4, exec_lo
	s_waitcnt vmcnt(62) lgkmcnt(2)
	v_mul_f64 v[164:165], v[95:96], v[2:3]
	v_mul_f64 v[2:3], v[93:94], v[2:3]
	s_waitcnt vmcnt(60) lgkmcnt(1)
	v_mul_f64 v[171:172], v[99:100], v[105:106]
	v_mul_f64 v[105:106], v[97:98], v[105:106]
	;; [unrolled: 3-line block ×3, first 2 shown]
	v_fma_f64 v[164:165], v[93:94], v[107:108], -v[164:165]
	v_fma_f64 v[2:3], v[95:96], v[107:108], v[2:3]
	s_clause 0x2
	buffer_load_dword v169, off, s[0:3], 0 offset:540
	buffer_load_dword v108, off, s[0:3], 0 offset:516
	;; [unrolled: 1-line block ×3, first 2 shown]
	s_waitcnt vmcnt(57)
	v_fma_f64 v[175:176], v[97:98], v[111:112], -v[171:172]
	ds_read_b128 v[93:96], v1 offset:1008
	v_fma_f64 v[105:106], v[99:100], v[111:112], v[105:106]
	s_clause 0x4
	buffer_load_dword v112, off, s[0:3], 0 offset:556
	buffer_load_dword v172, off, s[0:3], 0 offset:568
	;; [unrolled: 1-line block ×5, first 2 shown]
	s_waitcnt vmcnt(56)
	v_fma_f64 v[109:110], v[101:102], v[119:120], -v[109:110]
	ds_read_b128 v[97:100], v1 offset:1024
	v_fma_f64 v[119:120], v[103:104], v[119:120], v[173:174]
	v_add_f64 v[164:165], v[164:165], 0
	v_add_f64 v[2:3], v[2:3], 0
	s_waitcnt lgkmcnt(1)
	v_mul_f64 v[178:179], v[93:94], v[113:114]
	v_mul_f64 v[113:114], v[95:96], v[113:114]
	v_add_f64 v[164:165], v[164:165], v[175:176]
	v_add_f64 v[2:3], v[2:3], v[105:106]
	s_clause 0x2
	buffer_load_dword v173, off, s[0:3], 0 offset:572
	buffer_load_dword v106, off, s[0:3], 0 offset:548
	;; [unrolled: 1-line block ×3, first 2 shown]
	s_waitcnt vmcnt(58) lgkmcnt(0)
	v_mul_f64 v[174:175], v[97:98], v[115:116]
	v_mul_f64 v[115:116], v[99:100], v[115:116]
	s_waitcnt vmcnt(56)
	v_fma_f64 v[113:114], v[93:94], v[121:122], -v[113:114]
	ds_read_b128 v[101:104], v1 offset:1040
	v_fma_f64 v[121:122], v[95:96], v[121:122], v[178:179]
	v_add_f64 v[109:110], v[164:165], v[109:110]
	v_add_f64 v[2:3], v[2:3], v[119:120]
	s_clause 0x4
	buffer_load_dword v120, off, s[0:3], 0 offset:588
	buffer_load_dword v164, off, s[0:3], 0 offset:600
	;; [unrolled: 1-line block ×5, first 2 shown]
	ds_read_b128 v[93:96], v1 offset:1056
	s_waitcnt vmcnt(57) lgkmcnt(1)
	v_mul_f64 v[180:181], v[101:102], v[123:124]
	v_mul_f64 v[123:124], v[103:104], v[123:124]
	s_waitcnt vmcnt(56)
	v_fma_f64 v[115:116], v[97:98], v[117:118], -v[115:116]
	v_add_f64 v[109:110], v[109:110], v[113:114]
	v_fma_f64 v[113:114], v[99:100], v[117:118], v[174:175]
	v_add_f64 v[2:3], v[2:3], v[121:122]
	s_clause 0x2
	buffer_load_dword v165, off, s[0:3], 0 offset:604
	buffer_load_dword v118, off, s[0:3], 0 offset:580
	;; [unrolled: 1-line block ×3, first 2 shown]
	s_waitcnt vmcnt(58) lgkmcnt(0)
	v_mul_f64 v[121:122], v[93:94], v[125:126]
	v_mul_f64 v[125:126], v[95:96], v[125:126]
	s_waitcnt vmcnt(56)
	v_fma_f64 v[123:124], v[101:102], v[129:130], -v[123:124]
	ds_read_b128 v[97:100], v1 offset:1072
	v_add_f64 v[109:110], v[109:110], v[115:116]
	v_fma_f64 v[115:116], v[103:104], v[129:130], v[180:181]
	v_add_f64 v[2:3], v[2:3], v[113:114]
	s_clause 0x4
	buffer_load_dword v114, off, s[0:3], 0 offset:620
	buffer_load_dword v129, off, s[0:3], 0 offset:632
	;; [unrolled: 1-line block ×5, first 2 shown]
	ds_read_b128 v[101:104], v1 offset:1088
	s_waitcnt vmcnt(57) lgkmcnt(1)
	v_mul_f64 v[175:176], v[97:98], v[131:132]
	v_mul_f64 v[131:132], v[99:100], v[131:132]
	s_waitcnt vmcnt(56)
	v_fma_f64 v[125:126], v[93:94], v[127:128], -v[125:126]
	v_fma_f64 v[121:122], v[95:96], v[127:128], v[121:122]
	v_add_f64 v[109:110], v[109:110], v[123:124]
	v_add_f64 v[2:3], v[2:3], v[115:116]
	s_clause 0x2
	buffer_load_dword v130, off, s[0:3], 0 offset:636
	buffer_load_dword v116, off, s[0:3], 0 offset:612
	;; [unrolled: 1-line block ×3, first 2 shown]
	s_waitcnt vmcnt(58) lgkmcnt(0)
	v_mul_f64 v[127:128], v[103:104], v[133:134]
	ds_read_b128 v[93:96], v1 offset:1104
	s_waitcnt vmcnt(56)
	v_fma_f64 v[131:132], v[97:98], v[137:138], -v[131:132]
	v_mul_f64 v[123:124], v[101:102], v[133:134]
	v_add_f64 v[109:110], v[109:110], v[125:126]
	v_fma_f64 v[125:126], v[99:100], v[137:138], v[175:176]
	v_add_f64 v[2:3], v[2:3], v[121:122]
	s_clause 0x4
	buffer_load_dword v122, off, s[0:3], 0 offset:652
	buffer_load_dword v133, off, s[0:3], 0 offset:664
	;; [unrolled: 1-line block ×5, first 2 shown]
	s_waitcnt vmcnt(57) lgkmcnt(0)
	v_mul_f64 v[181:182], v[93:94], v[139:140]
	v_mul_f64 v[138:139], v[95:96], v[139:140]
	s_waitcnt vmcnt(56)
	v_fma_f64 v[127:128], v[101:102], v[135:136], -v[127:128]
	ds_read_b128 v[97:100], v1 offset:1120
	v_fma_f64 v[123:124], v[103:104], v[135:136], v[123:124]
	v_add_f64 v[109:110], v[109:110], v[131:132]
	v_add_f64 v[2:3], v[2:3], v[125:126]
	s_clause 0x2
	buffer_load_dword v134, off, s[0:3], 0 offset:668
	buffer_load_dword v126, off, s[0:3], 0 offset:644
	;; [unrolled: 1-line block ×3, first 2 shown]
	ds_read_b128 v[101:104], v1 offset:1136
	s_waitcnt vmcnt(58) lgkmcnt(1)
	v_mul_f64 v[135:136], v[99:100], v[141:142]
	s_waitcnt vmcnt(56)
	v_fma_f64 v[139:140], v[93:94], v[145:146], -v[138:139]
	v_mul_f64 v[131:132], v[97:98], v[141:142]
	v_add_f64 v[109:110], v[109:110], v[127:128]
	v_fma_f64 v[127:128], v[95:96], v[145:146], v[181:182]
	v_add_f64 v[2:3], v[2:3], v[123:124]
	s_clause 0x4
	buffer_load_dword v124, off, s[0:3], 0 offset:684
	buffer_load_dword v141, off, s[0:3], 0 offset:696
	;; [unrolled: 1-line block ×5, first 2 shown]
	s_waitcnt vmcnt(57) lgkmcnt(0)
	v_mul_f64 v[181:182], v[101:102], v[147:148]
	v_mul_f64 v[146:147], v[103:104], v[147:148]
	s_waitcnt vmcnt(56)
	v_fma_f64 v[135:136], v[97:98], v[143:144], -v[135:136]
	ds_read_b128 v[93:96], v1 offset:1152
	v_fma_f64 v[131:132], v[99:100], v[143:144], v[131:132]
	v_add_f64 v[109:110], v[109:110], v[139:140]
	v_add_f64 v[2:3], v[2:3], v[127:128]
	s_clause 0x2
	buffer_load_dword v142, off, s[0:3], 0 offset:700
	buffer_load_dword v128, off, s[0:3], 0 offset:676
	;; [unrolled: 1-line block ×3, first 2 shown]
	ds_read_b128 v[97:100], v1 offset:1168
	s_waitcnt vmcnt(58) lgkmcnt(1)
	v_mul_f64 v[143:144], v[95:96], v[150:151]
	s_waitcnt vmcnt(56)
	v_fma_f64 v[147:148], v[101:102], v[154:155], -v[146:147]
	v_mul_f64 v[139:140], v[93:94], v[150:151]
	v_add_f64 v[109:110], v[109:110], v[135:136]
	v_fma_f64 v[135:136], v[103:104], v[154:155], v[181:182]
	v_add_f64 v[2:3], v[2:3], v[131:132]
	s_clause 0x2
	buffer_load_dword v132, off, s[0:3], 0 offset:716
	buffer_load_dword v131, off, s[0:3], 0 offset:712
	;; [unrolled: 1-line block ×3, first 2 shown]
	s_waitcnt vmcnt(55) lgkmcnt(0)
	v_mul_f64 v[154:155], v[99:100], v[156:157]
	s_waitcnt vmcnt(54)
	v_fma_f64 v[143:144], v[93:94], v[152:153], -v[143:144]
	ds_read_b128 v[101:104], v1 offset:1184
	v_mul_f64 v[150:151], v[97:98], v[156:157]
	v_fma_f64 v[139:140], v[95:96], v[152:153], v[139:140]
	v_add_f64 v[109:110], v[109:110], v[147:148]
	v_add_f64 v[2:3], v[2:3], v[135:136]
	s_clause 0x1
	buffer_load_dword v136, off, s[0:3], 0 offset:708
	buffer_load_dword v135, off, s[0:3], 0 offset:704
	s_waitcnt vmcnt(55) lgkmcnt(0)
	v_mul_f64 v[152:153], v[103:104], v[158:159]
	s_waitcnt vmcnt(53)
	v_fma_f64 v[154:155], v[97:98], v[162:163], -v[154:155]
	ds_read_b128 v[93:96], v1 offset:1200
	v_mul_f64 v[147:148], v[101:102], v[158:159]
	v_add_f64 v[109:110], v[109:110], v[143:144]
	v_fma_f64 v[143:144], v[99:100], v[162:163], v[150:151]
	v_add_f64 v[2:3], v[2:3], v[139:140]
	ds_read_b128 v[97:100], v1 offset:1216
	s_waitcnt vmcnt(49) lgkmcnt(1)
	v_mul_f64 v[150:151], v[95:96], v[166:167]
	s_waitcnt vmcnt(48)
	v_fma_f64 v[152:153], v[101:102], v[160:161], -v[152:153]
	v_mul_f64 v[139:140], v[93:94], v[166:167]
	v_fma_f64 v[147:148], v[103:104], v[160:161], v[147:148]
	v_add_f64 v[109:110], v[109:110], v[154:155]
	v_add_f64 v[2:3], v[2:3], v[143:144]
	s_clause 0x3
	buffer_load_dword v143, off, s[0:3], 0 offset:256
	buffer_load_dword v144, off, s[0:3], 0 offset:260
	;; [unrolled: 1-line block ×4, first 2 shown]
	ds_read_b128 v[101:104], v1 offset:1232
	s_waitcnt vmcnt(51) lgkmcnt(1)
	v_mul_f64 v[158:159], v[99:100], v[168:169]
	v_mul_f64 v[156:157], v[97:98], v[168:169]
	s_waitcnt vmcnt(49)
	v_fma_f64 v[150:151], v[93:94], v[107:108], -v[150:151]
	v_fma_f64 v[107:108], v[95:96], v[107:108], v[139:140]
	ds_read_b128 v[93:96], v1 offset:1248
	v_add_f64 v[109:110], v[109:110], v[152:153]
	v_add_f64 v[2:3], v[2:3], v[147:148]
	s_waitcnt vmcnt(45) lgkmcnt(1)
	v_mul_f64 v[139:140], v[101:102], v[111:112]
	v_mul_f64 v[111:112], v[103:104], v[111:112]
	s_waitcnt vmcnt(44)
	v_fma_f64 v[147:148], v[97:98], v[170:171], -v[158:159]
	v_add_f64 v[109:110], v[109:110], v[150:151]
	v_fma_f64 v[150:151], v[99:100], v[170:171], v[156:157]
	v_add_f64 v[2:3], v[2:3], v[107:108]
	ds_read_b128 v[97:100], v1 offset:1264
	s_waitcnt vmcnt(43) lgkmcnt(1)
	v_mul_f64 v[152:153], v[95:96], v[172:173]
	v_mul_f64 v[107:108], v[93:94], v[172:173]
	s_waitcnt vmcnt(41)
	v_fma_f64 v[111:112], v[101:102], v[105:106], -v[111:112]
	v_fma_f64 v[105:106], v[103:104], v[105:106], v[139:140]
	ds_read_b128 v[101:104], v1 offset:1280
	v_add_f64 v[109:110], v[109:110], v[147:148]
	v_add_f64 v[2:3], v[2:3], v[150:151]
	s_waitcnt vmcnt(37) lgkmcnt(1)
	v_mul_f64 v[139:140], v[97:98], v[119:120]
	v_mul_f64 v[119:120], v[99:100], v[119:120]
	s_waitcnt vmcnt(36)
	v_fma_f64 v[147:148], v[93:94], v[177:178], -v[152:153]
	v_fma_f64 v[107:108], v[95:96], v[177:178], v[107:108]
	ds_read_b128 v[93:96], v1 offset:1296
	v_add_f64 v[109:110], v[109:110], v[111:112]
	v_add_f64 v[2:3], v[2:3], v[105:106]
	;; [unrolled: 9-line block ×5, first 2 shown]
	s_waitcnt vmcnt(21) lgkmcnt(1)
	v_mul_f64 v[111:112], v[103:104], v[121:122]
	s_waitcnt vmcnt(20)
	v_fma_f64 v[115:116], v[97:98], v[174:175], -v[119:120]
	v_mul_f64 v[105:106], v[101:102], v[121:122]
	v_add_f64 v[109:110], v[109:110], v[113:114]
	v_fma_f64 v[113:114], v[99:100], v[174:175], v[117:118]
	v_add_f64 v[2:3], v[2:3], v[107:108]
	ds_read_b128 v[97:100], v1 offset:1360
	s_waitcnt vmcnt(19) lgkmcnt(1)
	v_mul_f64 v[117:118], v[95:96], v[133:134]
	v_mul_f64 v[107:108], v[93:94], v[133:134]
	s_waitcnt vmcnt(17)
	v_fma_f64 v[111:112], v[101:102], v[125:126], -v[111:112]
	v_fma_f64 v[105:106], v[103:104], v[125:126], v[105:106]
	ds_read_b128 v[101:104], v1 offset:1376
	v_add_f64 v[109:110], v[109:110], v[115:116]
	v_add_f64 v[2:3], v[2:3], v[113:114]
	s_waitcnt vmcnt(13) lgkmcnt(1)
	v_mul_f64 v[115:116], v[99:100], v[123:124]
	s_waitcnt vmcnt(12)
	v_fma_f64 v[93:94], v[93:94], v[137:138], -v[117:118]
	v_mul_f64 v[113:114], v[97:98], v[123:124]
	v_fma_f64 v[95:96], v[95:96], v[137:138], v[107:108]
	v_add_f64 v[109:110], v[109:110], v[111:112]
	v_add_f64 v[105:106], v[2:3], v[105:106]
	ds_read_b128 v[1:4], v1 offset:1392
	s_waitcnt vmcnt(11) lgkmcnt(1)
	v_mul_f64 v[111:112], v[103:104], v[141:142]
	v_mul_f64 v[107:108], v[101:102], v[141:142]
	s_waitcnt vmcnt(9)
	v_fma_f64 v[97:98], v[97:98], v[127:128], -v[115:116]
	v_fma_f64 v[99:100], v[99:100], v[127:128], v[113:114]
	v_add_f64 v[93:94], v[109:110], v[93:94]
	v_add_f64 v[95:96], v[105:106], v[95:96]
	s_waitcnt vmcnt(7) lgkmcnt(0)
	v_mul_f64 v[109:110], v[3:4], v[131:132]
	s_waitcnt vmcnt(6)
	v_fma_f64 v[101:102], v[101:102], v[145:146], -v[111:112]
	v_mul_f64 v[105:106], v[1:2], v[131:132]
	v_add_f64 v[93:94], v[93:94], v[97:98]
	v_fma_f64 v[97:98], v[103:104], v[145:146], v[107:108]
	v_add_f64 v[95:96], v[95:96], v[99:100]
	s_waitcnt vmcnt(4)
	v_fma_f64 v[1:2], v[1:2], v[135:136], -v[109:110]
	v_fma_f64 v[3:4], v[3:4], v[135:136], v[105:106]
	v_add_f64 v[93:94], v[93:94], v[101:102]
	v_add_f64 v[95:96], v[95:96], v[97:98]
	;; [unrolled: 1-line block ×4, first 2 shown]
	s_waitcnt vmcnt(2)
	v_add_f64 v[1:2], v[143:144], -v[1:2]
	s_waitcnt vmcnt(0)
	v_add_f64 v[3:4], v[154:155], -v[3:4]
	buffer_store_dword v2, off, s[0:3], 0 offset:260
	buffer_store_dword v1, off, s[0:3], 0 offset:256
	;; [unrolled: 1-line block ×4, first 2 shown]
	v_cmpx_lt_u32_e32 14, v0
	s_cbranch_execz .LBB107_249
; %bb.248:
	v_mov_b32_e32 v4, s42
	v_mov_b32_e32 v93, 0
	s_clause 0x3
	buffer_load_dword v1, v4, s[0:3], 0 offen
	buffer_load_dword v2, v4, s[0:3], 0 offen offset:4
	buffer_load_dword v3, v4, s[0:3], 0 offen offset:8
	;; [unrolled: 1-line block ×3, first 2 shown]
	buffer_store_dword v93, off, s[0:3], 0 offset:240
	buffer_store_dword v93, off, s[0:3], 0 offset:244
	;; [unrolled: 1-line block ×4, first 2 shown]
	s_waitcnt vmcnt(0)
	ds_write_b128 v149, v[1:4]
.LBB107_249:
	s_or_b32 exec_lo, exec_lo, s4
	s_waitcnt lgkmcnt(0)
	s_waitcnt_vscnt null, 0x0
	s_barrier
	buffer_gl0_inv
	s_clause 0x37
	buffer_load_dword v97, off, s[0:3], 0 offset:264
	buffer_load_dword v98, off, s[0:3], 0 offset:268
	;; [unrolled: 1-line block ×56, first 2 shown]
	v_mov_b32_e32 v99, 0
	s_mov_b32 s4, exec_lo
	ds_read_b128 v[93:96], v99 offset:944
	s_clause 0x2
	buffer_load_dword v159, off, s[0:3], 0 offset:492
	buffer_load_dword v163, off, s[0:3], 0 offset:468
	buffer_load_dword v162, off, s[0:3], 0 offset:464
	ds_read_b128 v[100:103], v99 offset:960
	s_clause 0x4
	buffer_load_dword v167, off, s[0:3], 0 offset:508
	buffer_load_dword v168, off, s[0:3], 0 offset:520
	buffer_load_dword v170, off, s[0:3], 0 offset:512
	buffer_load_dword v166, off, s[0:3], 0 offset:504
	buffer_load_dword v161, off, s[0:3], 0 offset:484
	ds_read_b128 v[104:107], v99 offset:976
	s_waitcnt vmcnt(62) lgkmcnt(2)
	v_mul_f64 v[164:165], v[95:96], v[97:98]
	v_mul_f64 v[97:98], v[93:94], v[97:98]
	s_waitcnt vmcnt(60) lgkmcnt(1)
	v_mul_f64 v[171:172], v[102:103], v[108:109]
	v_mul_f64 v[108:109], v[100:101], v[108:109]
	;; [unrolled: 3-line block ×3, first 2 shown]
	v_fma_f64 v[164:165], v[93:94], v[110:111], -v[164:165]
	v_fma_f64 v[97:98], v[95:96], v[110:111], v[97:98]
	s_clause 0x2
	buffer_load_dword v169, off, s[0:3], 0 offset:524
	buffer_load_dword v111, off, s[0:3], 0 offset:500
	;; [unrolled: 1-line block ×3, first 2 shown]
	s_waitcnt vmcnt(57)
	v_fma_f64 v[100:101], v[100:101], v[1:2], -v[171:172]
	ds_read_b128 v[93:96], v99 offset:992
	v_fma_f64 v[102:103], v[102:103], v[1:2], v[108:109]
	s_clause 0x4
	buffer_load_dword v109, off, s[0:3], 0 offset:540
	buffer_load_dword v172, off, s[0:3], 0 offset:552
	;; [unrolled: 1-line block ×5, first 2 shown]
	s_waitcnt vmcnt(56)
	v_fma_f64 v[104:105], v[104:105], v[118:119], -v[175:176]
	ds_read_b128 v[1:4], v99 offset:1008
	v_fma_f64 v[106:107], v[106:107], v[118:119], v[173:174]
	s_clause 0x2
	buffer_load_dword v173, off, s[0:3], 0 offset:556
	buffer_load_dword v119, off, s[0:3], 0 offset:532
	;; [unrolled: 1-line block ×3, first 2 shown]
	v_add_f64 v[164:165], v[164:165], 0
	v_add_f64 v[97:98], v[97:98], 0
	s_waitcnt lgkmcnt(1)
	v_mul_f64 v[178:179], v[93:94], v[112:113]
	v_mul_f64 v[112:113], v[95:96], v[112:113]
	s_waitcnt vmcnt(58) lgkmcnt(0)
	v_mul_f64 v[174:175], v[1:2], v[114:115]
	v_mul_f64 v[114:115], v[3:4], v[114:115]
	v_add_f64 v[164:165], v[164:165], v[100:101]
	v_add_f64 v[97:98], v[97:98], v[102:103]
	ds_read_b128 v[100:103], v99 offset:1024
	s_waitcnt vmcnt(56)
	v_fma_f64 v[112:113], v[93:94], v[120:121], -v[112:113]
	v_fma_f64 v[120:121], v[95:96], v[120:121], v[178:179]
	s_waitcnt vmcnt(51)
	v_fma_f64 v[114:115], v[1:2], v[116:117], -v[114:115]
	s_waitcnt lgkmcnt(0)
	v_mul_f64 v[180:181], v[100:101], v[122:123]
	v_add_f64 v[104:105], v[164:165], v[104:105]
	v_add_f64 v[97:98], v[97:98], v[106:107]
	s_clause 0x4
	buffer_load_dword v107, off, s[0:3], 0 offset:572
	buffer_load_dword v164, off, s[0:3], 0 offset:584
	;; [unrolled: 1-line block ×5, first 2 shown]
	v_mul_f64 v[122:123], v[102:103], v[122:123]
	ds_read_b128 v[93:96], v99 offset:1040
	v_add_f64 v[104:105], v[104:105], v[112:113]
	v_fma_f64 v[112:113], v[3:4], v[116:117], v[174:175]
	v_add_f64 v[97:98], v[97:98], v[120:121]
	s_clause 0x2
	buffer_load_dword v165, off, s[0:3], 0 offset:588
	buffer_load_dword v117, off, s[0:3], 0 offset:564
	;; [unrolled: 1-line block ×3, first 2 shown]
	s_waitcnt vmcnt(58) lgkmcnt(0)
	v_mul_f64 v[120:121], v[93:94], v[124:125]
	v_mul_f64 v[124:125], v[95:96], v[124:125]
	s_waitcnt vmcnt(56)
	v_fma_f64 v[122:123], v[100:101], v[128:129], -v[122:123]
	ds_read_b128 v[1:4], v99 offset:1056
	v_add_f64 v[104:105], v[104:105], v[114:115]
	v_fma_f64 v[114:115], v[102:103], v[128:129], v[180:181]
	v_add_f64 v[97:98], v[97:98], v[112:113]
	s_clause 0x4
	buffer_load_dword v113, off, s[0:3], 0 offset:604
	buffer_load_dword v128, off, s[0:3], 0 offset:616
	;; [unrolled: 1-line block ×5, first 2 shown]
	ds_read_b128 v[100:103], v99 offset:1072
	s_waitcnt vmcnt(57) lgkmcnt(1)
	v_mul_f64 v[175:176], v[1:2], v[130:131]
	v_mul_f64 v[130:131], v[3:4], v[130:131]
	s_waitcnt vmcnt(56)
	v_fma_f64 v[124:125], v[93:94], v[126:127], -v[124:125]
	v_fma_f64 v[120:121], v[95:96], v[126:127], v[120:121]
	v_add_f64 v[104:105], v[104:105], v[122:123]
	v_add_f64 v[97:98], v[97:98], v[114:115]
	s_clause 0x2
	buffer_load_dword v129, off, s[0:3], 0 offset:620
	buffer_load_dword v115, off, s[0:3], 0 offset:596
	;; [unrolled: 1-line block ×3, first 2 shown]
	s_waitcnt vmcnt(58) lgkmcnt(0)
	v_mul_f64 v[126:127], v[102:103], v[132:133]
	ds_read_b128 v[93:96], v99 offset:1088
	s_waitcnt vmcnt(56)
	v_fma_f64 v[130:131], v[1:2], v[136:137], -v[130:131]
	v_mul_f64 v[122:123], v[100:101], v[132:133]
	v_add_f64 v[104:105], v[104:105], v[124:125]
	v_fma_f64 v[124:125], v[3:4], v[136:137], v[175:176]
	v_add_f64 v[97:98], v[97:98], v[120:121]
	s_clause 0x4
	buffer_load_dword v121, off, s[0:3], 0 offset:636
	buffer_load_dword v132, off, s[0:3], 0 offset:648
	buffer_load_dword v136, off, s[0:3], 0 offset:640
	buffer_load_dword v120, off, s[0:3], 0 offset:632
	buffer_load_dword v175, off, s[0:3], 0 offset:612
	s_waitcnt vmcnt(57) lgkmcnt(0)
	v_mul_f64 v[181:182], v[93:94], v[138:139]
	v_mul_f64 v[137:138], v[95:96], v[138:139]
	s_waitcnt vmcnt(56)
	v_fma_f64 v[126:127], v[100:101], v[134:135], -v[126:127]
	ds_read_b128 v[1:4], v99 offset:1104
	v_fma_f64 v[122:123], v[102:103], v[134:135], v[122:123]
	v_add_f64 v[104:105], v[104:105], v[130:131]
	v_add_f64 v[97:98], v[97:98], v[124:125]
	s_clause 0x2
	buffer_load_dword v133, off, s[0:3], 0 offset:652
	buffer_load_dword v125, off, s[0:3], 0 offset:628
	buffer_load_dword v124, off, s[0:3], 0 offset:624
	ds_read_b128 v[100:103], v99 offset:1120
	s_waitcnt vmcnt(58) lgkmcnt(1)
	v_mul_f64 v[134:135], v[3:4], v[140:141]
	s_waitcnt vmcnt(56)
	v_fma_f64 v[138:139], v[93:94], v[144:145], -v[137:138]
	v_mul_f64 v[130:131], v[1:2], v[140:141]
	v_add_f64 v[104:105], v[104:105], v[126:127]
	v_fma_f64 v[126:127], v[95:96], v[144:145], v[181:182]
	v_add_f64 v[97:98], v[97:98], v[122:123]
	s_clause 0x4
	buffer_load_dword v123, off, s[0:3], 0 offset:668
	buffer_load_dword v140, off, s[0:3], 0 offset:680
	buffer_load_dword v144, off, s[0:3], 0 offset:672
	buffer_load_dword v122, off, s[0:3], 0 offset:664
	buffer_load_dword v137, off, s[0:3], 0 offset:644
	s_waitcnt vmcnt(57) lgkmcnt(0)
	v_mul_f64 v[181:182], v[100:101], v[146:147]
	v_mul_f64 v[145:146], v[102:103], v[146:147]
	s_waitcnt vmcnt(56)
	v_fma_f64 v[134:135], v[1:2], v[142:143], -v[134:135]
	ds_read_b128 v[93:96], v99 offset:1136
	v_fma_f64 v[130:131], v[3:4], v[142:143], v[130:131]
	v_add_f64 v[104:105], v[104:105], v[138:139]
	v_add_f64 v[97:98], v[97:98], v[126:127]
	s_clause 0x2
	buffer_load_dword v141, off, s[0:3], 0 offset:684
	buffer_load_dword v127, off, s[0:3], 0 offset:660
	buffer_load_dword v126, off, s[0:3], 0 offset:656
	ds_read_b128 v[1:4], v99 offset:1152
	s_waitcnt vmcnt(58) lgkmcnt(1)
	v_mul_f64 v[142:143], v[95:96], v[150:151]
	;; [unrolled: 28-line block ×3, first 2 shown]
	s_waitcnt vmcnt(56)
	v_fma_f64 v[156:157], v[1:2], v[162:163], -v[155:156]
	v_mul_f64 v[146:147], v[100:101], v[158:159]
	buffer_load_dword v155, off, s[0:3], 0 offset:708
	v_add_f64 v[104:105], v[104:105], v[142:143]
	v_fma_f64 v[142:143], v[3:4], v[162:163], v[181:182]
	v_add_f64 v[97:98], v[97:98], v[138:139]
	ds_read_b128 v[1:4], v99 offset:1200
	s_waitcnt vmcnt(53) lgkmcnt(1)
	v_mul_f64 v[158:159], v[95:96], v[166:167]
	s_waitcnt vmcnt(52)
	v_fma_f64 v[152:153], v[100:101], v[160:161], -v[152:153]
	v_mul_f64 v[138:139], v[93:94], v[166:167]
	v_fma_f64 v[146:147], v[102:103], v[160:161], v[146:147]
	ds_read_b128 v[100:103], v99 offset:1216
	v_add_f64 v[104:105], v[104:105], v[156:157]
	v_add_f64 v[97:98], v[97:98], v[142:143]
	s_waitcnt vmcnt(51) lgkmcnt(1)
	v_mul_f64 v[156:157], v[3:4], v[168:169]
	v_mul_f64 v[142:143], v[1:2], v[168:169]
	s_waitcnt vmcnt(49)
	v_fma_f64 v[158:159], v[93:94], v[110:111], -v[158:159]
	v_fma_f64 v[110:111], v[95:96], v[110:111], v[138:139]
	v_add_f64 v[104:105], v[104:105], v[152:153]
	s_waitcnt vmcnt(45) lgkmcnt(0)
	v_mul_f64 v[152:153], v[100:101], v[108:109]
	v_add_f64 v[97:98], v[97:98], v[146:147]
	s_clause 0x3
	buffer_load_dword v138, off, s[0:3], 0 offset:240
	buffer_load_dword v139, off, s[0:3], 0 offset:244
	;; [unrolled: 1-line block ×4, first 2 shown]
	v_mul_f64 v[108:109], v[102:103], v[108:109]
	ds_read_b128 v[93:96], v99 offset:1232
	s_waitcnt vmcnt(48)
	v_fma_f64 v[156:157], v[1:2], v[170:171], -v[156:157]
	v_fma_f64 v[142:143], v[3:4], v[170:171], v[142:143]
	ds_read_b128 v[1:4], v99 offset:1248
	v_add_f64 v[104:105], v[104:105], v[158:159]
	v_add_f64 v[97:98], v[97:98], v[110:111]
	s_waitcnt vmcnt(47) lgkmcnt(1)
	v_mul_f64 v[158:159], v[95:96], v[172:173]
	s_waitcnt vmcnt(45)
	v_fma_f64 v[108:109], v[100:101], v[118:119], -v[108:109]
	v_mul_f64 v[110:111], v[93:94], v[172:173]
	v_fma_f64 v[118:119], v[102:103], v[118:119], v[152:153]
	ds_read_b128 v[100:103], v99 offset:1264
	v_add_f64 v[104:105], v[104:105], v[156:157]
	v_add_f64 v[97:98], v[97:98], v[142:143]
	s_waitcnt vmcnt(41) lgkmcnt(1)
	v_mul_f64 v[142:143], v[1:2], v[106:107]
	v_mul_f64 v[106:107], v[3:4], v[106:107]
	s_waitcnt vmcnt(40)
	v_fma_f64 v[152:153], v[93:94], v[177:178], -v[158:159]
	v_add_f64 v[104:105], v[104:105], v[108:109]
	v_fma_f64 v[108:109], v[95:96], v[177:178], v[110:111]
	v_add_f64 v[97:98], v[97:98], v[118:119]
	ds_read_b128 v[93:96], v99 offset:1280
	s_waitcnt vmcnt(39) lgkmcnt(1)
	v_mul_f64 v[118:119], v[102:103], v[164:165]
	v_mul_f64 v[110:111], v[100:101], v[164:165]
	s_waitcnt vmcnt(37)
	v_fma_f64 v[106:107], v[1:2], v[116:117], -v[106:107]
	v_fma_f64 v[116:117], v[3:4], v[116:117], v[142:143]
	ds_read_b128 v[1:4], v99 offset:1296
	v_add_f64 v[104:105], v[104:105], v[152:153]
	v_add_f64 v[97:98], v[97:98], v[108:109]
	s_waitcnt vmcnt(33) lgkmcnt(1)
	v_mul_f64 v[108:109], v[93:94], v[112:113]
	v_mul_f64 v[112:113], v[95:96], v[112:113]
	s_waitcnt vmcnt(32)
	v_fma_f64 v[118:119], v[100:101], v[179:180], -v[118:119]
	v_add_f64 v[104:105], v[104:105], v[106:107]
	v_fma_f64 v[106:107], v[102:103], v[179:180], v[110:111]
	v_add_f64 v[97:98], v[97:98], v[116:117]
	ds_read_b128 v[100:103], v99 offset:1312
	s_waitcnt vmcnt(31) lgkmcnt(1)
	v_mul_f64 v[116:117], v[3:4], v[128:129]
	v_mul_f64 v[110:111], v[1:2], v[128:129]
	s_waitcnt vmcnt(29)
	v_fma_f64 v[112:113], v[93:94], v[114:115], -v[112:113]
	v_fma_f64 v[108:109], v[95:96], v[114:115], v[108:109]
	ds_read_b128 v[93:96], v99 offset:1328
	v_add_f64 v[104:105], v[104:105], v[118:119]
	v_add_f64 v[97:98], v[97:98], v[106:107]
	s_waitcnt vmcnt(25) lgkmcnt(1)
	v_mul_f64 v[114:115], v[102:103], v[120:121]
	s_waitcnt vmcnt(24)
	v_fma_f64 v[116:117], v[1:2], v[174:175], -v[116:117]
	v_mul_f64 v[106:107], v[100:101], v[120:121]
	v_fma_f64 v[110:111], v[3:4], v[174:175], v[110:111]
	ds_read_b128 v[1:4], v99 offset:1344
	v_add_f64 v[104:105], v[104:105], v[112:113]
	v_add_f64 v[97:98], v[97:98], v[108:109]
	s_waitcnt vmcnt(23) lgkmcnt(1)
	v_mul_f64 v[112:113], v[95:96], v[132:133]
	v_mul_f64 v[108:109], v[93:94], v[132:133]
	s_waitcnt vmcnt(21)
	v_fma_f64 v[114:115], v[100:101], v[124:125], -v[114:115]
	v_fma_f64 v[106:107], v[102:103], v[124:125], v[106:107]
	ds_read_b128 v[100:103], v99 offset:1360
	v_add_f64 v[104:105], v[104:105], v[116:117]
	v_add_f64 v[97:98], v[97:98], v[110:111]
	s_waitcnt vmcnt(17) lgkmcnt(1)
	v_mul_f64 v[116:117], v[3:4], v[122:123]
	s_waitcnt vmcnt(16)
	v_fma_f64 v[112:113], v[93:94], v[136:137], -v[112:113]
	v_mul_f64 v[110:111], v[1:2], v[122:123]
	v_fma_f64 v[108:109], v[95:96], v[136:137], v[108:109]
	ds_read_b128 v[93:96], v99 offset:1376
	v_add_f64 v[104:105], v[104:105], v[114:115]
	v_add_f64 v[97:98], v[97:98], v[106:107]
	s_waitcnt vmcnt(15) lgkmcnt(1)
	v_mul_f64 v[114:115], v[102:103], v[140:141]
	v_mul_f64 v[106:107], v[100:101], v[140:141]
	s_waitcnt vmcnt(13)
	v_fma_f64 v[116:117], v[1:2], v[126:127], -v[116:117]
	v_fma_f64 v[110:111], v[3:4], v[126:127], v[110:111]
	ds_read_b128 v[1:4], v99 offset:1392
	v_add_f64 v[104:105], v[104:105], v[112:113]
	v_add_f64 v[97:98], v[97:98], v[108:109]
	s_waitcnt vmcnt(9) lgkmcnt(1)
	v_mul_f64 v[112:113], v[95:96], v[130:131]
	s_waitcnt vmcnt(8)
	v_fma_f64 v[100:101], v[100:101], v[144:145], -v[114:115]
	v_mul_f64 v[108:109], v[93:94], v[130:131]
	v_fma_f64 v[102:103], v[102:103], v[144:145], v[106:107]
	v_add_f64 v[104:105], v[104:105], v[116:117]
	v_add_f64 v[97:98], v[97:98], v[110:111]
	s_waitcnt vmcnt(7) lgkmcnt(0)
	v_mul_f64 v[110:111], v[3:4], v[150:151]
	v_mul_f64 v[106:107], v[1:2], v[150:151]
	s_waitcnt vmcnt(5)
	v_fma_f64 v[93:94], v[93:94], v[134:135], -v[112:113]
	v_fma_f64 v[95:96], v[95:96], v[134:135], v[108:109]
	v_add_f64 v[100:101], v[104:105], v[100:101]
	v_add_f64 v[97:98], v[97:98], v[102:103]
	s_waitcnt vmcnt(4)
	v_fma_f64 v[1:2], v[1:2], v[154:155], -v[110:111]
	v_fma_f64 v[3:4], v[3:4], v[154:155], v[106:107]
	v_add_f64 v[93:94], v[100:101], v[93:94]
	v_add_f64 v[95:96], v[97:98], v[95:96]
	;; [unrolled: 1-line block ×4, first 2 shown]
	s_waitcnt vmcnt(2)
	v_add_f64 v[1:2], v[138:139], -v[1:2]
	s_waitcnt vmcnt(0)
	v_add_f64 v[3:4], v[146:147], -v[3:4]
	buffer_store_dword v2, off, s[0:3], 0 offset:244
	buffer_store_dword v1, off, s[0:3], 0 offset:240
	;; [unrolled: 1-line block ×4, first 2 shown]
	v_cmpx_lt_u32_e32 13, v0
	s_cbranch_execz .LBB107_251
; %bb.250:
	v_mov_b32_e32 v4, s43
	s_clause 0x3
	buffer_load_dword v1, v4, s[0:3], 0 offen
	buffer_load_dword v2, v4, s[0:3], 0 offen offset:4
	buffer_load_dword v3, v4, s[0:3], 0 offen offset:8
	;; [unrolled: 1-line block ×3, first 2 shown]
	buffer_store_dword v99, off, s[0:3], 0 offset:224
	buffer_store_dword v99, off, s[0:3], 0 offset:228
	;; [unrolled: 1-line block ×4, first 2 shown]
	s_waitcnt vmcnt(0)
	ds_write_b128 v149, v[1:4]
.LBB107_251:
	s_or_b32 exec_lo, exec_lo, s4
	s_waitcnt lgkmcnt(0)
	s_waitcnt_vscnt null, 0x0
	s_barrier
	buffer_gl0_inv
	s_clause 0x37
	buffer_load_dword v97, off, s[0:3], 0 offset:248
	buffer_load_dword v98, off, s[0:3], 0 offset:252
	buffer_load_dword v93, off, s[0:3], 0 offset:264
	buffer_load_dword v94, off, s[0:3], 0 offset:268
	buffer_load_dword v95, off, s[0:3], 0 offset:240
	buffer_load_dword v96, off, s[0:3], 0 offset:244
	buffer_load_dword v3, off, s[0:3], 0 offset:280
	buffer_load_dword v4, off, s[0:3], 0 offset:284
	buffer_load_dword v1, off, s[0:3], 0 offset:256
	buffer_load_dword v2, off, s[0:3], 0 offset:260
	buffer_load_dword v113, off, s[0:3], 0 offset:300
	buffer_load_dword v114, off, s[0:3], 0 offset:312
	buffer_load_dword v116, off, s[0:3], 0 offset:304
	buffer_load_dword v112, off, s[0:3], 0 offset:296
	buffer_load_dword v118, off, s[0:3], 0 offset:272
	buffer_load_dword v119, off, s[0:3], 0 offset:276
	buffer_load_dword v115, off, s[0:3], 0 offset:316
	buffer_load_dword v121, off, s[0:3], 0 offset:292
	buffer_load_dword v120, off, s[0:3], 0 offset:288
	buffer_load_dword v123, off, s[0:3], 0 offset:332
	buffer_load_dword v124, off, s[0:3], 0 offset:344
	buffer_load_dword v126, off, s[0:3], 0 offset:336
	buffer_load_dword v122, off, s[0:3], 0 offset:328
	buffer_load_dword v117, off, s[0:3], 0 offset:308
	buffer_load_dword v125, off, s[0:3], 0 offset:348
	buffer_load_dword v129, off, s[0:3], 0 offset:324
	buffer_load_dword v128, off, s[0:3], 0 offset:320
	buffer_load_dword v131, off, s[0:3], 0 offset:364
	buffer_load_dword v132, off, s[0:3], 0 offset:376
	buffer_load_dword v134, off, s[0:3], 0 offset:368
	buffer_load_dword v130, off, s[0:3], 0 offset:360
	buffer_load_dword v127, off, s[0:3], 0 offset:340
	buffer_load_dword v133, off, s[0:3], 0 offset:380
	buffer_load_dword v137, off, s[0:3], 0 offset:356
	buffer_load_dword v136, off, s[0:3], 0 offset:352
	buffer_load_dword v139, off, s[0:3], 0 offset:396
	buffer_load_dword v140, off, s[0:3], 0 offset:408
	buffer_load_dword v142, off, s[0:3], 0 offset:400
	buffer_load_dword v138, off, s[0:3], 0 offset:392
	buffer_load_dword v135, off, s[0:3], 0 offset:372
	buffer_load_dword v141, off, s[0:3], 0 offset:412
	buffer_load_dword v145, off, s[0:3], 0 offset:388
	buffer_load_dword v144, off, s[0:3], 0 offset:384
	buffer_load_dword v147, off, s[0:3], 0 offset:428
	buffer_load_dword v150, off, s[0:3], 0 offset:440
	buffer_load_dword v152, off, s[0:3], 0 offset:432
	buffer_load_dword v146, off, s[0:3], 0 offset:424
	buffer_load_dword v143, off, s[0:3], 0 offset:404
	buffer_load_dword v151, off, s[0:3], 0 offset:444
	buffer_load_dword v155, off, s[0:3], 0 offset:420
	buffer_load_dword v154, off, s[0:3], 0 offset:416
	buffer_load_dword v157, off, s[0:3], 0 offset:460
	buffer_load_dword v158, off, s[0:3], 0 offset:472
	buffer_load_dword v160, off, s[0:3], 0 offset:464
	buffer_load_dword v156, off, s[0:3], 0 offset:456
	buffer_load_dword v153, off, s[0:3], 0 offset:436
	ds_read_b128 v[100:103], v99 offset:928
	s_clause 0x2
	buffer_load_dword v159, off, s[0:3], 0 offset:476
	buffer_load_dword v163, off, s[0:3], 0 offset:452
	;; [unrolled: 1-line block ×3, first 2 shown]
	ds_read_b128 v[104:107], v99 offset:944
	s_clause 0x4
	buffer_load_dword v167, off, s[0:3], 0 offset:492
	buffer_load_dword v168, off, s[0:3], 0 offset:504
	;; [unrolled: 1-line block ×5, first 2 shown]
	ds_read_b128 v[108:111], v99 offset:960
	s_clause 0x2
	buffer_load_dword v169, off, s[0:3], 0 offset:508
	buffer_load_dword v174, off, s[0:3], 0 offset:484
	;; [unrolled: 1-line block ×3, first 2 shown]
	s_mov_b32 s4, exec_lo
	s_waitcnt vmcnt(62) lgkmcnt(2)
	v_mul_f64 v[164:165], v[102:103], v[97:98]
	v_mul_f64 v[97:98], v[100:101], v[97:98]
	s_waitcnt lgkmcnt(1)
	v_mul_f64 v[171:172], v[106:107], v[93:94]
	s_waitcnt vmcnt(59) lgkmcnt(0)
	v_mul_f64 v[175:176], v[110:111], v[3:4]
	v_fma_f64 v[100:101], v[100:101], v[95:96], -v[164:165]
	v_mul_f64 v[164:165], v[104:105], v[93:94]
	v_fma_f64 v[97:98], v[102:103], v[95:96], v[97:98]
	s_waitcnt vmcnt(57)
	v_fma_f64 v[104:105], v[104:105], v[1:2], -v[171:172]
	ds_read_b128 v[93:96], v99 offset:976
	v_mul_f64 v[102:103], v[108:109], v[3:4]
	s_waitcnt vmcnt(51)
	v_fma_f64 v[108:109], v[108:109], v[118:119], -v[175:176]
	v_add_f64 v[100:101], v[100:101], 0
	v_fma_f64 v[106:107], v[106:107], v[1:2], v[164:165]
	v_add_f64 v[97:98], v[97:98], 0
	s_clause 0x4
	buffer_load_dword v165, off, s[0:3], 0 offset:524
	buffer_load_dword v177, off, s[0:3], 0 offset:536
	;; [unrolled: 1-line block ×5, first 2 shown]
	s_waitcnt lgkmcnt(0)
	v_mul_f64 v[180:181], v[93:94], v[112:113]
	v_mul_f64 v[112:113], v[95:96], v[112:113]
	ds_read_b128 v[1:4], v99 offset:992
	v_fma_f64 v[110:111], v[110:111], v[118:119], v[102:103]
	v_add_f64 v[104:105], v[100:101], v[104:105]
	v_add_f64 v[97:98], v[97:98], v[106:107]
	s_clause 0x2
	buffer_load_dword v178, off, s[0:3], 0 offset:540
	buffer_load_dword v107, off, s[0:3], 0 offset:516
	;; [unrolled: 1-line block ×3, first 2 shown]
	s_waitcnt vmcnt(58) lgkmcnt(0)
	v_mul_f64 v[118:119], v[1:2], v[114:115]
	v_mul_f64 v[114:115], v[3:4], v[114:115]
	s_waitcnt vmcnt(56)
	v_fma_f64 v[112:113], v[93:94], v[120:121], -v[112:113]
	ds_read_b128 v[100:103], v99 offset:1008
	v_add_f64 v[104:105], v[104:105], v[108:109]
	v_fma_f64 v[108:109], v[95:96], v[120:121], v[180:181]
	v_add_f64 v[97:98], v[97:98], v[110:111]
	s_clause 0x4
	buffer_load_dword v111, off, s[0:3], 0 offset:556
	buffer_load_dword v120, off, s[0:3], 0 offset:568
	;; [unrolled: 1-line block ×5, first 2 shown]
	ds_read_b128 v[93:96], v99 offset:1024
	s_waitcnt vmcnt(57) lgkmcnt(1)
	v_mul_f64 v[181:182], v[100:101], v[122:123]
	v_mul_f64 v[122:123], v[102:103], v[122:123]
	s_waitcnt vmcnt(56)
	v_fma_f64 v[114:115], v[1:2], v[116:117], -v[114:115]
	v_add_f64 v[104:105], v[104:105], v[112:113]
	v_fma_f64 v[112:113], v[3:4], v[116:117], v[118:119]
	v_add_f64 v[97:98], v[97:98], v[108:109]
	s_clause 0x2
	buffer_load_dword v121, off, s[0:3], 0 offset:572
	buffer_load_dword v109, off, s[0:3], 0 offset:548
	;; [unrolled: 1-line block ×3, first 2 shown]
	s_waitcnt vmcnt(58) lgkmcnt(0)
	v_mul_f64 v[118:119], v[95:96], v[124:125]
	ds_read_b128 v[1:4], v99 offset:1040
	s_waitcnt vmcnt(56)
	v_fma_f64 v[122:123], v[100:101], v[128:129], -v[122:123]
	v_mul_f64 v[116:117], v[93:94], v[124:125]
	v_add_f64 v[104:105], v[104:105], v[114:115]
	v_fma_f64 v[114:115], v[102:103], v[128:129], v[181:182]
	v_add_f64 v[97:98], v[97:98], v[112:113]
	s_clause 0x4
	buffer_load_dword v113, off, s[0:3], 0 offset:588
	buffer_load_dword v124, off, s[0:3], 0 offset:600
	buffer_load_dword v128, off, s[0:3], 0 offset:592
	buffer_load_dword v112, off, s[0:3], 0 offset:584
	buffer_load_dword v176, off, s[0:3], 0 offset:564
	s_waitcnt vmcnt(57) lgkmcnt(0)
	v_mul_f64 v[181:182], v[1:2], v[130:131]
	v_mul_f64 v[129:130], v[3:4], v[130:131]
	s_waitcnt vmcnt(56)
	v_fma_f64 v[118:119], v[93:94], v[126:127], -v[118:119]
	ds_read_b128 v[100:103], v99 offset:1056
	v_fma_f64 v[116:117], v[95:96], v[126:127], v[116:117]
	v_add_f64 v[104:105], v[104:105], v[122:123]
	v_add_f64 v[97:98], v[97:98], v[114:115]
	s_clause 0x2
	buffer_load_dword v125, off, s[0:3], 0 offset:604
	buffer_load_dword v115, off, s[0:3], 0 offset:580
	buffer_load_dword v114, off, s[0:3], 0 offset:576
	ds_read_b128 v[93:96], v99 offset:1072
	s_waitcnt vmcnt(58) lgkmcnt(1)
	v_mul_f64 v[126:127], v[102:103], v[132:133]
	s_waitcnt vmcnt(56)
	v_fma_f64 v[130:131], v[1:2], v[136:137], -v[129:130]
	v_mul_f64 v[122:123], v[100:101], v[132:133]
	v_add_f64 v[104:105], v[104:105], v[118:119]
	v_fma_f64 v[118:119], v[3:4], v[136:137], v[181:182]
	v_add_f64 v[97:98], v[97:98], v[116:117]
	s_clause 0x4
	buffer_load_dword v117, off, s[0:3], 0 offset:620
	buffer_load_dword v132, off, s[0:3], 0 offset:632
	buffer_load_dword v136, off, s[0:3], 0 offset:624
	buffer_load_dword v116, off, s[0:3], 0 offset:616
	buffer_load_dword v129, off, s[0:3], 0 offset:596
	s_waitcnt vmcnt(57) lgkmcnt(0)
	v_mul_f64 v[181:182], v[93:94], v[138:139]
	v_mul_f64 v[137:138], v[95:96], v[138:139]
	s_waitcnt vmcnt(56)
	v_fma_f64 v[126:127], v[100:101], v[134:135], -v[126:127]
	ds_read_b128 v[1:4], v99 offset:1088
	v_fma_f64 v[122:123], v[102:103], v[134:135], v[122:123]
	v_add_f64 v[104:105], v[104:105], v[130:131]
	v_add_f64 v[97:98], v[97:98], v[118:119]
	s_clause 0x2
	buffer_load_dword v133, off, s[0:3], 0 offset:636
	buffer_load_dword v119, off, s[0:3], 0 offset:612
	buffer_load_dword v118, off, s[0:3], 0 offset:608
	ds_read_b128 v[100:103], v99 offset:1104
	s_waitcnt vmcnt(58) lgkmcnt(1)
	v_mul_f64 v[134:135], v[3:4], v[140:141]
	;; [unrolled: 28-line block ×4, first 2 shown]
	s_waitcnt vmcnt(56)
	v_fma_f64 v[156:157], v[1:2], v[162:163], -v[155:156]
	v_mul_f64 v[146:147], v[100:101], v[158:159]
	v_add_f64 v[104:105], v[104:105], v[142:143]
	v_fma_f64 v[142:143], v[3:4], v[162:163], v[181:182]
	v_add_f64 v[97:98], v[97:98], v[138:139]
	s_clause 0x2
	buffer_load_dword v139, off, s[0:3], 0 offset:716
	buffer_load_dword v138, off, s[0:3], 0 offset:712
	;; [unrolled: 1-line block ×3, first 2 shown]
	s_waitcnt vmcnt(55) lgkmcnt(0)
	v_mul_f64 v[162:163], v[95:96], v[166:167]
	s_waitcnt vmcnt(54)
	v_fma_f64 v[152:153], v[100:101], v[160:161], -v[152:153]
	ds_read_b128 v[1:4], v99 offset:1184
	v_mul_f64 v[158:159], v[93:94], v[166:167]
	v_fma_f64 v[146:147], v[102:103], v[160:161], v[146:147]
	v_add_f64 v[104:105], v[104:105], v[156:157]
	v_add_f64 v[97:98], v[97:98], v[142:143]
	s_clause 0x1
	buffer_load_dword v143, off, s[0:3], 0 offset:708
	buffer_load_dword v142, off, s[0:3], 0 offset:704
	s_waitcnt vmcnt(55) lgkmcnt(0)
	v_mul_f64 v[160:161], v[3:4], v[168:169]
	s_waitcnt vmcnt(53)
	v_fma_f64 v[162:163], v[93:94], v[173:174], -v[162:163]
	ds_read_b128 v[100:103], v99 offset:1200
	v_mul_f64 v[156:157], v[1:2], v[168:169]
	v_add_f64 v[104:105], v[104:105], v[152:153]
	v_fma_f64 v[152:153], v[95:96], v[173:174], v[158:159]
	v_add_f64 v[97:98], v[97:98], v[146:147]
	ds_read_b128 v[93:96], v99 offset:1216
	s_waitcnt vmcnt(49) lgkmcnt(1)
	v_mul_f64 v[158:159], v[102:103], v[164:165]
	s_waitcnt vmcnt(48)
	v_fma_f64 v[160:161], v[1:2], v[170:171], -v[160:161]
	v_mul_f64 v[146:147], v[100:101], v[164:165]
	v_fma_f64 v[156:157], v[3:4], v[170:171], v[156:157]
	v_add_f64 v[104:105], v[104:105], v[162:163]
	v_add_f64 v[97:98], v[97:98], v[152:153]
	s_clause 0x3
	buffer_load_dword v152, off, s[0:3], 0 offset:224
	buffer_load_dword v153, off, s[0:3], 0 offset:228
	;; [unrolled: 1-line block ×4, first 2 shown]
	ds_read_b128 v[1:4], v99 offset:1232
	s_waitcnt vmcnt(51) lgkmcnt(1)
	v_mul_f64 v[166:167], v[95:96], v[177:178]
	v_mul_f64 v[164:165], v[93:94], v[177:178]
	s_waitcnt vmcnt(49)
	v_fma_f64 v[158:159], v[100:101], v[106:107], -v[158:159]
	v_fma_f64 v[106:107], v[102:103], v[106:107], v[146:147]
	ds_read_b128 v[100:103], v99 offset:1248
	v_add_f64 v[104:105], v[104:105], v[160:161]
	v_add_f64 v[97:98], v[97:98], v[156:157]
	s_waitcnt vmcnt(45) lgkmcnt(1)
	v_mul_f64 v[146:147], v[1:2], v[110:111]
	v_mul_f64 v[110:111], v[3:4], v[110:111]
	s_waitcnt vmcnt(44)
	v_fma_f64 v[156:157], v[93:94], v[179:180], -v[166:167]
	v_add_f64 v[104:105], v[104:105], v[158:159]
	v_fma_f64 v[158:159], v[95:96], v[179:180], v[164:165]
	v_add_f64 v[97:98], v[97:98], v[106:107]
	ds_read_b128 v[93:96], v99 offset:1264
	s_waitcnt vmcnt(43) lgkmcnt(1)
	v_mul_f64 v[106:107], v[100:101], v[120:121]
	v_mul_f64 v[120:121], v[102:103], v[120:121]
	s_waitcnt vmcnt(41)
	v_fma_f64 v[110:111], v[1:2], v[108:109], -v[110:111]
	v_fma_f64 v[108:109], v[3:4], v[108:109], v[146:147]
	ds_read_b128 v[1:4], v99 offset:1280
	v_add_f64 v[104:105], v[104:105], v[156:157]
	v_add_f64 v[97:98], v[97:98], v[158:159]
	s_waitcnt vmcnt(37) lgkmcnt(1)
	v_mul_f64 v[146:147], v[93:94], v[112:113]
	v_mul_f64 v[112:113], v[95:96], v[112:113]
	s_waitcnt vmcnt(36)
	v_fma_f64 v[120:121], v[100:101], v[175:176], -v[120:121]
	v_fma_f64 v[106:107], v[102:103], v[175:176], v[106:107]
	ds_read_b128 v[100:103], v99 offset:1296
	v_add_f64 v[104:105], v[104:105], v[110:111]
	v_add_f64 v[97:98], v[97:98], v[108:109]
	;; [unrolled: 9-line block ×5, first 2 shown]
	s_waitcnt vmcnt(21) lgkmcnt(1)
	v_mul_f64 v[110:111], v[3:4], v[122:123]
	s_waitcnt vmcnt(20)
	v_fma_f64 v[114:115], v[93:94], v[136:137], -v[114:115]
	v_mul_f64 v[108:109], v[1:2], v[122:123]
	v_fma_f64 v[112:113], v[95:96], v[136:137], v[112:113]
	ds_read_b128 v[93:96], v99 offset:1360
	v_add_f64 v[104:105], v[104:105], v[116:117]
	v_add_f64 v[97:98], v[97:98], v[106:107]
	s_waitcnt vmcnt(19) lgkmcnt(1)
	v_mul_f64 v[116:117], v[102:103], v[140:141]
	v_mul_f64 v[106:107], v[100:101], v[140:141]
	s_waitcnt vmcnt(17)
	v_fma_f64 v[110:111], v[1:2], v[126:127], -v[110:111]
	v_fma_f64 v[108:109], v[3:4], v[126:127], v[108:109]
	ds_read_b128 v[1:4], v99 offset:1376
	v_add_f64 v[104:105], v[104:105], v[114:115]
	v_add_f64 v[97:98], v[97:98], v[112:113]
	s_waitcnt vmcnt(13) lgkmcnt(1)
	v_mul_f64 v[114:115], v[95:96], v[130:131]
	s_waitcnt vmcnt(12)
	v_fma_f64 v[116:117], v[100:101], v[144:145], -v[116:117]
	v_mul_f64 v[112:113], v[93:94], v[130:131]
	v_fma_f64 v[101:102], v[102:103], v[144:145], v[106:107]
	v_add_f64 v[104:105], v[104:105], v[110:111]
	v_add_f64 v[106:107], v[97:98], v[108:109]
	ds_read_b128 v[97:100], v99 offset:1392
	s_waitcnt vmcnt(11) lgkmcnt(1)
	v_mul_f64 v[110:111], v[3:4], v[150:151]
	v_mul_f64 v[108:109], v[1:2], v[150:151]
	s_waitcnt vmcnt(9)
	v_fma_f64 v[93:94], v[93:94], v[134:135], -v[114:115]
	v_fma_f64 v[95:96], v[95:96], v[134:135], v[112:113]
	v_add_f64 v[103:104], v[104:105], v[116:117]
	v_add_f64 v[101:102], v[106:107], v[101:102]
	s_waitcnt vmcnt(7) lgkmcnt(0)
	v_mul_f64 v[112:113], v[99:100], v[138:139]
	s_waitcnt vmcnt(6)
	v_fma_f64 v[1:2], v[1:2], v[154:155], -v[110:111]
	v_mul_f64 v[105:106], v[97:98], v[138:139]
	v_fma_f64 v[3:4], v[3:4], v[154:155], v[108:109]
	v_add_f64 v[93:94], v[103:104], v[93:94]
	v_add_f64 v[95:96], v[101:102], v[95:96]
	s_waitcnt vmcnt(4)
	v_fma_f64 v[97:98], v[97:98], v[142:143], -v[112:113]
	v_add_f64 v[1:2], v[93:94], v[1:2]
	v_fma_f64 v[93:94], v[99:100], v[142:143], v[105:106]
	v_add_f64 v[3:4], v[95:96], v[3:4]
	v_add_f64 v[1:2], v[1:2], v[97:98]
	;; [unrolled: 1-line block ×3, first 2 shown]
	s_waitcnt vmcnt(2)
	v_add_f64 v[1:2], v[152:153], -v[1:2]
	s_waitcnt vmcnt(0)
	v_add_f64 v[3:4], v[162:163], -v[3:4]
	buffer_store_dword v2, off, s[0:3], 0 offset:228
	buffer_store_dword v1, off, s[0:3], 0 offset:224
	;; [unrolled: 1-line block ×4, first 2 shown]
	v_cmpx_lt_u32_e32 12, v0
	s_cbranch_execz .LBB107_253
; %bb.252:
	v_mov_b32_e32 v4, s44
	v_mov_b32_e32 v93, 0
	s_clause 0x3
	buffer_load_dword v1, v4, s[0:3], 0 offen
	buffer_load_dword v2, v4, s[0:3], 0 offen offset:4
	buffer_load_dword v3, v4, s[0:3], 0 offen offset:8
	buffer_load_dword v4, v4, s[0:3], 0 offen offset:12
	buffer_store_dword v93, off, s[0:3], 0 offset:208
	buffer_store_dword v93, off, s[0:3], 0 offset:212
	;; [unrolled: 1-line block ×4, first 2 shown]
	s_waitcnt vmcnt(0)
	ds_write_b128 v149, v[1:4]
.LBB107_253:
	s_or_b32 exec_lo, exec_lo, s4
	s_waitcnt lgkmcnt(0)
	s_waitcnt_vscnt null, 0x0
	s_barrier
	buffer_gl0_inv
	s_clause 0x37
	buffer_load_dword v97, off, s[0:3], 0 offset:232
	buffer_load_dword v98, off, s[0:3], 0 offset:236
	;; [unrolled: 1-line block ×56, first 2 shown]
	v_mov_b32_e32 v117, 0
	s_mov_b32 s4, exec_lo
	ds_read_b128 v[105:108], v117 offset:912
	s_clause 0x2
	buffer_load_dword v159, off, s[0:3], 0 offset:460
	buffer_load_dword v163, off, s[0:3], 0 offset:436
	;; [unrolled: 1-line block ×3, first 2 shown]
	ds_read_b128 v[109:112], v117 offset:928
	s_clause 0x4
	buffer_load_dword v167, off, s[0:3], 0 offset:476
	buffer_load_dword v168, off, s[0:3], 0 offset:488
	;; [unrolled: 1-line block ×5, first 2 shown]
	ds_read_b128 v[113:116], v117 offset:944
	s_clause 0x2
	buffer_load_dword v169, off, s[0:3], 0 offset:492
	buffer_load_dword v174, off, s[0:3], 0 offset:468
	;; [unrolled: 1-line block ×3, first 2 shown]
	s_waitcnt vmcnt(62) lgkmcnt(2)
	v_mul_f64 v[164:165], v[107:108], v[97:98]
	v_mul_f64 v[97:98], v[105:106], v[97:98]
	s_waitcnt lgkmcnt(1)
	v_mul_f64 v[171:172], v[111:112], v[93:94]
	s_waitcnt vmcnt(59) lgkmcnt(0)
	v_mul_f64 v[175:176], v[115:116], v[3:4]
	v_fma_f64 v[105:106], v[105:106], v[95:96], -v[164:165]
	v_mul_f64 v[164:165], v[109:110], v[93:94]
	v_fma_f64 v[97:98], v[107:108], v[95:96], v[97:98]
	s_waitcnt vmcnt(57)
	v_fma_f64 v[109:110], v[109:110], v[1:2], -v[171:172]
	ds_read_b128 v[93:96], v117 offset:960
	v_mul_f64 v[107:108], v[113:114], v[3:4]
	s_waitcnt vmcnt(51)
	v_fma_f64 v[113:114], v[113:114], v[120:121], -v[175:176]
	v_add_f64 v[105:106], v[105:106], 0
	v_fma_f64 v[111:112], v[111:112], v[1:2], v[164:165]
	v_add_f64 v[97:98], v[97:98], 0
	s_clause 0x4
	buffer_load_dword v165, off, s[0:3], 0 offset:508
	buffer_load_dword v177, off, s[0:3], 0 offset:520
	buffer_load_dword v179, off, s[0:3], 0 offset:512
	buffer_load_dword v164, off, s[0:3], 0 offset:504
	buffer_load_dword v171, off, s[0:3], 0 offset:484
	s_waitcnt lgkmcnt(0)
	v_mul_f64 v[180:181], v[93:94], v[101:102]
	v_mul_f64 v[101:102], v[95:96], v[101:102]
	ds_read_b128 v[1:4], v117 offset:976
	v_fma_f64 v[115:116], v[115:116], v[120:121], v[107:108]
	v_add_f64 v[109:110], v[105:106], v[109:110]
	v_add_f64 v[97:98], v[97:98], v[111:112]
	s_clause 0x2
	buffer_load_dword v178, off, s[0:3], 0 offset:524
	buffer_load_dword v112, off, s[0:3], 0 offset:500
	;; [unrolled: 1-line block ×3, first 2 shown]
	s_waitcnt vmcnt(58) lgkmcnt(0)
	v_mul_f64 v[120:121], v[1:2], v[118:119]
	v_mul_f64 v[118:119], v[3:4], v[118:119]
	s_waitcnt vmcnt(56)
	v_fma_f64 v[101:102], v[93:94], v[122:123], -v[101:102]
	ds_read_b128 v[105:108], v117 offset:992
	v_add_f64 v[109:110], v[109:110], v[113:114]
	v_fma_f64 v[113:114], v[95:96], v[122:123], v[180:181]
	v_add_f64 v[97:98], v[97:98], v[115:116]
	s_clause 0x4
	buffer_load_dword v116, off, s[0:3], 0 offset:540
	buffer_load_dword v122, off, s[0:3], 0 offset:552
	;; [unrolled: 1-line block ×5, first 2 shown]
	ds_read_b128 v[93:96], v117 offset:1008
	s_waitcnt vmcnt(57) lgkmcnt(1)
	v_mul_f64 v[181:182], v[105:106], v[124:125]
	v_mul_f64 v[124:125], v[107:108], v[124:125]
	s_waitcnt vmcnt(56)
	v_fma_f64 v[118:119], v[1:2], v[99:100], -v[118:119]
	v_fma_f64 v[99:100], v[3:4], v[99:100], v[120:121]
	v_add_f64 v[101:102], v[109:110], v[101:102]
	s_clause 0x2
	buffer_load_dword v123, off, s[0:3], 0 offset:556
	buffer_load_dword v110, off, s[0:3], 0 offset:532
	;; [unrolled: 1-line block ×3, first 2 shown]
	v_add_f64 v[97:98], v[97:98], v[113:114]
	s_waitcnt vmcnt(58) lgkmcnt(0)
	v_mul_f64 v[120:121], v[95:96], v[126:127]
	ds_read_b128 v[1:4], v117 offset:1024
	v_mul_f64 v[113:114], v[93:94], v[126:127]
	s_waitcnt vmcnt(56)
	v_fma_f64 v[105:106], v[105:106], v[128:129], -v[124:125]
	v_fma_f64 v[107:108], v[107:108], v[128:129], v[181:182]
	s_clause 0x4
	buffer_load_dword v125, off, s[0:3], 0 offset:572
	buffer_load_dword v126, off, s[0:3], 0 offset:584
	;; [unrolled: 1-line block ×5, first 2 shown]
	v_add_f64 v[101:102], v[101:102], v[118:119]
	v_add_f64 v[118:119], v[97:98], v[99:100]
	s_waitcnt vmcnt(57) lgkmcnt(0)
	v_mul_f64 v[181:182], v[1:2], v[130:131]
	v_mul_f64 v[129:130], v[3:4], v[130:131]
	s_waitcnt vmcnt(56)
	v_fma_f64 v[120:121], v[93:94], v[103:104], -v[120:121]
	ds_read_b128 v[97:100], v117 offset:1040
	v_fma_f64 v[103:104], v[95:96], v[103:104], v[113:114]
	v_add_f64 v[101:102], v[101:102], v[105:106]
	v_add_f64 v[105:106], v[118:119], v[107:108]
	s_clause 0x2
	buffer_load_dword v127, off, s[0:3], 0 offset:588
	buffer_load_dword v108, off, s[0:3], 0 offset:564
	buffer_load_dword v107, off, s[0:3], 0 offset:560
	s_waitcnt vmcnt(58) lgkmcnt(0)
	v_mul_f64 v[118:119], v[99:100], v[132:133]
	s_waitcnt vmcnt(56)
	v_fma_f64 v[130:131], v[1:2], v[136:137], -v[129:130]
	ds_read_b128 v[93:96], v117 offset:1056
	v_mul_f64 v[113:114], v[97:98], v[132:133]
	v_add_f64 v[101:102], v[101:102], v[120:121]
	v_fma_f64 v[120:121], v[3:4], v[136:137], v[181:182]
	v_add_f64 v[103:104], v[105:106], v[103:104]
	s_clause 0x4
	buffer_load_dword v106, off, s[0:3], 0 offset:604
	buffer_load_dword v132, off, s[0:3], 0 offset:616
	buffer_load_dword v136, off, s[0:3], 0 offset:608
	buffer_load_dword v105, off, s[0:3], 0 offset:600
	buffer_load_dword v129, off, s[0:3], 0 offset:580
	s_waitcnt vmcnt(57) lgkmcnt(0)
	v_mul_f64 v[181:182], v[93:94], v[138:139]
	v_mul_f64 v[137:138], v[95:96], v[138:139]
	s_waitcnt vmcnt(56)
	v_fma_f64 v[118:119], v[97:98], v[134:135], -v[118:119]
	ds_read_b128 v[1:4], v117 offset:1072
	v_fma_f64 v[113:114], v[99:100], v[134:135], v[113:114]
	v_add_f64 v[101:102], v[101:102], v[130:131]
	v_add_f64 v[103:104], v[103:104], v[120:121]
	s_clause 0x2
	buffer_load_dword v133, off, s[0:3], 0 offset:620
	buffer_load_dword v121, off, s[0:3], 0 offset:596
	buffer_load_dword v120, off, s[0:3], 0 offset:592
	ds_read_b128 v[97:100], v117 offset:1088
	s_waitcnt vmcnt(58) lgkmcnt(1)
	v_mul_f64 v[134:135], v[3:4], v[140:141]
	s_waitcnt vmcnt(56)
	v_fma_f64 v[138:139], v[93:94], v[144:145], -v[137:138]
	v_mul_f64 v[130:131], v[1:2], v[140:141]
	v_add_f64 v[101:102], v[101:102], v[118:119]
	v_fma_f64 v[118:119], v[95:96], v[144:145], v[181:182]
	v_add_f64 v[103:104], v[103:104], v[113:114]
	s_clause 0x4
	buffer_load_dword v114, off, s[0:3], 0 offset:636
	buffer_load_dword v140, off, s[0:3], 0 offset:648
	buffer_load_dword v144, off, s[0:3], 0 offset:640
	buffer_load_dword v113, off, s[0:3], 0 offset:632
	buffer_load_dword v137, off, s[0:3], 0 offset:612
	s_waitcnt vmcnt(57) lgkmcnt(0)
	v_mul_f64 v[181:182], v[97:98], v[146:147]
	v_mul_f64 v[145:146], v[99:100], v[146:147]
	s_waitcnt vmcnt(56)
	v_fma_f64 v[134:135], v[1:2], v[142:143], -v[134:135]
	ds_read_b128 v[93:96], v117 offset:1104
	v_fma_f64 v[130:131], v[3:4], v[142:143], v[130:131]
	v_add_f64 v[101:102], v[101:102], v[138:139]
	v_add_f64 v[103:104], v[103:104], v[118:119]
	s_clause 0x2
	buffer_load_dword v141, off, s[0:3], 0 offset:652
	buffer_load_dword v119, off, s[0:3], 0 offset:628
	buffer_load_dword v118, off, s[0:3], 0 offset:624
	ds_read_b128 v[1:4], v117 offset:1120
	s_waitcnt vmcnt(58) lgkmcnt(1)
	v_mul_f64 v[142:143], v[95:96], v[150:151]
	s_waitcnt vmcnt(56)
	v_fma_f64 v[146:147], v[97:98], v[154:155], -v[145:146]
	;; [unrolled: 28-line block ×4, first 2 shown]
	v_mul_f64 v[156:157], v[1:2], v[168:169]
	buffer_load_dword v163, off, s[0:3], 0 offset:708
	v_add_f64 v[101:102], v[101:102], v[152:153]
	v_fma_f64 v[152:153], v[95:96], v[173:174], v[181:182]
	v_add_f64 v[103:104], v[103:104], v[146:147]
	ds_read_b128 v[93:96], v117 offset:1200
	s_waitcnt vmcnt(53) lgkmcnt(1)
	v_mul_f64 v[146:147], v[97:98], v[164:165]
	v_mul_f64 v[164:165], v[99:100], v[164:165]
	s_waitcnt vmcnt(52)
	v_fma_f64 v[160:161], v[1:2], v[170:171], -v[160:161]
	v_fma_f64 v[156:157], v[3:4], v[170:171], v[156:157]
	ds_read_b128 v[1:4], v117 offset:1216
	v_add_f64 v[101:102], v[101:102], v[166:167]
	v_add_f64 v[103:104], v[103:104], v[152:153]
	s_waitcnt vmcnt(51) lgkmcnt(1)
	v_mul_f64 v[166:167], v[95:96], v[177:178]
	v_mul_f64 v[152:153], v[93:94], v[177:178]
	s_waitcnt vmcnt(49)
	v_fma_f64 v[164:165], v[97:98], v[111:112], -v[164:165]
	v_fma_f64 v[111:112], v[99:100], v[111:112], v[146:147]
	v_add_f64 v[101:102], v[101:102], v[160:161]
	v_add_f64 v[103:104], v[103:104], v[156:157]
	s_clause 0x3
	buffer_load_dword v146, off, s[0:3], 0 offset:208
	buffer_load_dword v147, off, s[0:3], 0 offset:212
	;; [unrolled: 1-line block ×4, first 2 shown]
	ds_read_b128 v[97:100], v117 offset:1232
	s_waitcnt vmcnt(49) lgkmcnt(1)
	v_mul_f64 v[160:161], v[1:2], v[115:116]
	v_mul_f64 v[115:116], v[3:4], v[115:116]
	s_waitcnt vmcnt(48)
	v_fma_f64 v[166:167], v[93:94], v[179:180], -v[166:167]
	v_fma_f64 v[152:153], v[95:96], v[179:180], v[152:153]
	ds_read_b128 v[93:96], v117 offset:1248
	v_add_f64 v[101:102], v[101:102], v[164:165]
	v_add_f64 v[103:104], v[103:104], v[111:112]
	s_waitcnt vmcnt(47) lgkmcnt(1)
	v_mul_f64 v[111:112], v[97:98], v[122:123]
	v_mul_f64 v[122:123], v[99:100], v[122:123]
	s_waitcnt vmcnt(45)
	v_fma_f64 v[115:116], v[1:2], v[109:110], -v[115:116]
	v_fma_f64 v[109:110], v[3:4], v[109:110], v[160:161]
	ds_read_b128 v[1:4], v117 offset:1264
	v_add_f64 v[101:102], v[101:102], v[166:167]
	v_add_f64 v[103:104], v[103:104], v[152:153]
	s_waitcnt vmcnt(41) lgkmcnt(1)
	v_mul_f64 v[152:153], v[93:94], v[124:125]
	v_mul_f64 v[124:125], v[95:96], v[124:125]
	s_waitcnt vmcnt(40)
	v_fma_f64 v[111:112], v[99:100], v[175:176], v[111:112]
	v_fma_f64 v[122:123], v[97:98], v[175:176], -v[122:123]
	ds_read_b128 v[97:100], v117 offset:1280
	v_add_f64 v[101:102], v[101:102], v[115:116]
	v_add_f64 v[103:104], v[103:104], v[109:110]
	s_waitcnt vmcnt(39) lgkmcnt(1)
	v_mul_f64 v[115:116], v[3:4], v[126:127]
	v_mul_f64 v[109:110], v[1:2], v[126:127]
	s_waitcnt vmcnt(37)
	v_fma_f64 v[124:125], v[93:94], v[107:108], -v[124:125]
	v_fma_f64 v[107:108], v[95:96], v[107:108], v[152:153]
	ds_read_b128 v[93:96], v117 offset:1296
	v_add_f64 v[101:102], v[101:102], v[122:123]
	v_add_f64 v[103:104], v[103:104], v[111:112]
	s_waitcnt vmcnt(33) lgkmcnt(1)
	v_mul_f64 v[111:112], v[97:98], v[105:106]
	v_mul_f64 v[105:106], v[99:100], v[105:106]
	s_waitcnt vmcnt(32)
	v_fma_f64 v[115:116], v[1:2], v[128:129], -v[115:116]
	v_fma_f64 v[109:110], v[3:4], v[128:129], v[109:110]
	ds_read_b128 v[1:4], v117 offset:1312
	v_add_f64 v[101:102], v[101:102], v[124:125]
	v_add_f64 v[103:104], v[103:104], v[107:108]
	s_waitcnt vmcnt(31) lgkmcnt(1)
	v_mul_f64 v[122:123], v[95:96], v[132:133]
	v_mul_f64 v[107:108], v[93:94], v[132:133]
	s_waitcnt vmcnt(29)
	v_fma_f64 v[105:106], v[97:98], v[120:121], -v[105:106]
	v_fma_f64 v[111:112], v[99:100], v[120:121], v[111:112]
	ds_read_b128 v[97:100], v117 offset:1328
	v_add_f64 v[101:102], v[101:102], v[115:116]
	v_add_f64 v[103:104], v[103:104], v[109:110]
	s_waitcnt vmcnt(25) lgkmcnt(1)
	v_mul_f64 v[109:110], v[1:2], v[113:114]
	v_mul_f64 v[113:114], v[3:4], v[113:114]
	s_waitcnt vmcnt(24)
	v_fma_f64 v[115:116], v[93:94], v[136:137], -v[122:123]
	v_add_f64 v[101:102], v[101:102], v[105:106]
	v_fma_f64 v[105:106], v[95:96], v[136:137], v[107:108]
	v_add_f64 v[103:104], v[103:104], v[111:112]
	ds_read_b128 v[93:96], v117 offset:1344
	s_waitcnt vmcnt(23) lgkmcnt(1)
	v_mul_f64 v[111:112], v[99:100], v[140:141]
	v_mul_f64 v[107:108], v[97:98], v[140:141]
	s_waitcnt vmcnt(21)
	v_fma_f64 v[113:114], v[1:2], v[118:119], -v[113:114]
	v_fma_f64 v[109:110], v[3:4], v[118:119], v[109:110]
	ds_read_b128 v[1:4], v117 offset:1360
	v_add_f64 v[101:102], v[101:102], v[115:116]
	v_add_f64 v[103:104], v[103:104], v[105:106]
	s_waitcnt vmcnt(17) lgkmcnt(1)
	v_mul_f64 v[115:116], v[95:96], v[130:131]
	s_waitcnt vmcnt(16)
	v_fma_f64 v[111:112], v[97:98], v[144:145], -v[111:112]
	v_mul_f64 v[105:106], v[93:94], v[130:131]
	v_fma_f64 v[107:108], v[99:100], v[144:145], v[107:108]
	ds_read_b128 v[97:100], v117 offset:1376
	v_add_f64 v[101:102], v[101:102], v[113:114]
	v_add_f64 v[103:104], v[103:104], v[109:110]
	s_waitcnt vmcnt(15) lgkmcnt(1)
	v_mul_f64 v[113:114], v[3:4], v[150:151]
	v_mul_f64 v[109:110], v[1:2], v[150:151]
	s_waitcnt vmcnt(13)
	v_fma_f64 v[115:116], v[93:94], v[134:135], -v[115:116]
	v_fma_f64 v[105:106], v[95:96], v[134:135], v[105:106]
	ds_read_b128 v[93:96], v117 offset:1392
	v_add_f64 v[101:102], v[101:102], v[111:112]
	v_add_f64 v[103:104], v[103:104], v[107:108]
	s_waitcnt vmcnt(9) lgkmcnt(1)
	v_mul_f64 v[111:112], v[99:100], v[138:139]
	s_waitcnt vmcnt(8)
	v_fma_f64 v[1:2], v[1:2], v[154:155], -v[113:114]
	v_mul_f64 v[107:108], v[97:98], v[138:139]
	v_fma_f64 v[3:4], v[3:4], v[154:155], v[109:110]
	v_add_f64 v[101:102], v[101:102], v[115:116]
	v_add_f64 v[103:104], v[103:104], v[105:106]
	s_waitcnt vmcnt(7) lgkmcnt(0)
	v_mul_f64 v[109:110], v[95:96], v[158:159]
	v_mul_f64 v[105:106], v[93:94], v[158:159]
	s_waitcnt vmcnt(5)
	v_fma_f64 v[97:98], v[97:98], v[142:143], -v[111:112]
	v_fma_f64 v[99:100], v[99:100], v[142:143], v[107:108]
	v_add_f64 v[1:2], v[101:102], v[1:2]
	v_add_f64 v[3:4], v[103:104], v[3:4]
	s_waitcnt vmcnt(4)
	v_fma_f64 v[93:94], v[93:94], v[162:163], -v[109:110]
	v_fma_f64 v[95:96], v[95:96], v[162:163], v[105:106]
	v_add_f64 v[1:2], v[1:2], v[97:98]
	v_add_f64 v[3:4], v[3:4], v[99:100]
	;; [unrolled: 1-line block ×4, first 2 shown]
	s_waitcnt vmcnt(2)
	v_add_f64 v[1:2], v[146:147], -v[1:2]
	s_waitcnt vmcnt(0)
	v_add_f64 v[3:4], v[156:157], -v[3:4]
	buffer_store_dword v2, off, s[0:3], 0 offset:212
	buffer_store_dword v1, off, s[0:3], 0 offset:208
	;; [unrolled: 1-line block ×4, first 2 shown]
	v_cmpx_lt_u32_e32 11, v0
	s_cbranch_execz .LBB107_255
; %bb.254:
	v_mov_b32_e32 v4, s45
	s_clause 0x3
	buffer_load_dword v1, v4, s[0:3], 0 offen
	buffer_load_dword v2, v4, s[0:3], 0 offen offset:4
	buffer_load_dword v3, v4, s[0:3], 0 offen offset:8
	;; [unrolled: 1-line block ×3, first 2 shown]
	buffer_store_dword v117, off, s[0:3], 0 offset:192
	buffer_store_dword v117, off, s[0:3], 0 offset:196
	;; [unrolled: 1-line block ×4, first 2 shown]
	s_waitcnt vmcnt(0)
	ds_write_b128 v149, v[1:4]
.LBB107_255:
	s_or_b32 exec_lo, exec_lo, s4
	s_waitcnt lgkmcnt(0)
	s_waitcnt_vscnt null, 0x0
	s_barrier
	buffer_gl0_inv
	s_clause 0x37
	buffer_load_dword v97, off, s[0:3], 0 offset:216
	buffer_load_dword v98, off, s[0:3], 0 offset:220
	;; [unrolled: 1-line block ×56, first 2 shown]
	ds_read_b128 v[118:121], v117 offset:896
	s_clause 0x2
	buffer_load_dword v159, off, s[0:3], 0 offset:444
	buffer_load_dword v163, off, s[0:3], 0 offset:420
	;; [unrolled: 1-line block ×3, first 2 shown]
	ds_read_b128 v[122:125], v117 offset:912
	s_clause 0x4
	buffer_load_dword v167, off, s[0:3], 0 offset:460
	buffer_load_dword v168, off, s[0:3], 0 offset:472
	;; [unrolled: 1-line block ×5, first 2 shown]
	ds_read_b128 v[126:129], v117 offset:928
	s_clause 0x2
	buffer_load_dword v169, off, s[0:3], 0 offset:476
	buffer_load_dword v174, off, s[0:3], 0 offset:452
	;; [unrolled: 1-line block ×3, first 2 shown]
	s_mov_b32 s4, exec_lo
	s_waitcnt vmcnt(62) lgkmcnt(2)
	v_mul_f64 v[164:165], v[120:121], v[97:98]
	v_mul_f64 v[97:98], v[118:119], v[97:98]
	s_waitcnt lgkmcnt(1)
	v_mul_f64 v[171:172], v[124:125], v[93:94]
	s_waitcnt vmcnt(59) lgkmcnt(0)
	v_mul_f64 v[175:176], v[128:129], v[3:4]
	v_fma_f64 v[118:119], v[118:119], v[95:96], -v[164:165]
	v_mul_f64 v[164:165], v[122:123], v[93:94]
	v_fma_f64 v[97:98], v[120:121], v[95:96], v[97:98]
	s_waitcnt vmcnt(57)
	v_fma_f64 v[122:123], v[122:123], v[1:2], -v[171:172]
	ds_read_b128 v[93:96], v117 offset:944
	v_mul_f64 v[120:121], v[126:127], v[3:4]
	s_waitcnt vmcnt(51)
	v_fma_f64 v[126:127], v[126:127], v[113:114], -v[175:176]
	v_add_f64 v[118:119], v[118:119], 0
	v_fma_f64 v[124:125], v[124:125], v[1:2], v[164:165]
	v_add_f64 v[97:98], v[97:98], 0
	s_clause 0x4
	buffer_load_dword v165, off, s[0:3], 0 offset:492
	buffer_load_dword v177, off, s[0:3], 0 offset:504
	;; [unrolled: 1-line block ×5, first 2 shown]
	s_waitcnt lgkmcnt(0)
	v_mul_f64 v[180:181], v[93:94], v[101:102]
	v_mul_f64 v[101:102], v[95:96], v[101:102]
	ds_read_b128 v[1:4], v117 offset:960
	v_fma_f64 v[113:114], v[128:129], v[113:114], v[120:121]
	v_add_f64 v[122:123], v[118:119], v[122:123]
	v_add_f64 v[97:98], v[97:98], v[124:125]
	s_clause 0x2
	buffer_load_dword v178, off, s[0:3], 0 offset:508
	buffer_load_dword v125, off, s[0:3], 0 offset:484
	;; [unrolled: 1-line block ×3, first 2 shown]
	s_waitcnt vmcnt(58) lgkmcnt(0)
	v_mul_f64 v[128:129], v[1:2], v[105:106]
	v_mul_f64 v[105:106], v[3:4], v[105:106]
	s_waitcnt vmcnt(56)
	v_fma_f64 v[101:102], v[93:94], v[107:108], -v[101:102]
	ds_read_b128 v[118:121], v117 offset:976
	v_fma_f64 v[107:108], v[95:96], v[107:108], v[180:181]
	v_add_f64 v[122:123], v[122:123], v[126:127]
	v_add_f64 v[97:98], v[97:98], v[113:114]
	s_clause 0x4
	buffer_load_dword v114, off, s[0:3], 0 offset:524
	buffer_load_dword v126, off, s[0:3], 0 offset:536
	;; [unrolled: 1-line block ×5, first 2 shown]
	ds_read_b128 v[93:96], v117 offset:992
	s_waitcnt vmcnt(57) lgkmcnt(1)
	v_mul_f64 v[181:182], v[118:119], v[109:110]
	v_mul_f64 v[109:110], v[120:121], v[109:110]
	s_waitcnt vmcnt(56)
	v_fma_f64 v[105:106], v[1:2], v[99:100], -v[105:106]
	v_fma_f64 v[99:100], v[3:4], v[99:100], v[128:129]
	v_add_f64 v[101:102], v[122:123], v[101:102]
	v_add_f64 v[97:98], v[97:98], v[107:108]
	s_clause 0x2
	buffer_load_dword v127, off, s[0:3], 0 offset:540
	buffer_load_dword v108, off, s[0:3], 0 offset:516
	;; [unrolled: 1-line block ×3, first 2 shown]
	s_waitcnt vmcnt(58) lgkmcnt(0)
	v_mul_f64 v[122:123], v[93:94], v[115:116]
	v_mul_f64 v[115:116], v[95:96], v[115:116]
	s_waitcnt vmcnt(56)
	v_fma_f64 v[109:110], v[118:119], v[130:131], -v[109:110]
	ds_read_b128 v[1:4], v117 offset:1008
	v_add_f64 v[101:102], v[101:102], v[105:106]
	v_fma_f64 v[105:106], v[120:121], v[130:131], v[181:182]
	v_add_f64 v[118:119], v[97:98], v[99:100]
	s_clause 0x4
	buffer_load_dword v121, off, s[0:3], 0 offset:556
	buffer_load_dword v128, off, s[0:3], 0 offset:568
	;; [unrolled: 1-line block ×5, first 2 shown]
	ds_read_b128 v[97:100], v117 offset:1024
	s_waitcnt vmcnt(57) lgkmcnt(1)
	v_mul_f64 v[181:182], v[1:2], v[132:133]
	v_mul_f64 v[131:132], v[3:4], v[132:133]
	s_waitcnt vmcnt(56)
	v_fma_f64 v[115:116], v[93:94], v[103:104], -v[115:116]
	v_fma_f64 v[103:104], v[95:96], v[103:104], v[122:123]
	v_add_f64 v[101:102], v[101:102], v[109:110]
	s_clause 0x2
	buffer_load_dword v129, off, s[0:3], 0 offset:572
	buffer_load_dword v110, off, s[0:3], 0 offset:548
	;; [unrolled: 1-line block ×3, first 2 shown]
	v_add_f64 v[105:106], v[118:119], v[105:106]
	s_waitcnt vmcnt(58) lgkmcnt(0)
	v_mul_f64 v[122:123], v[99:100], v[134:135]
	ds_read_b128 v[93:96], v117 offset:1040
	v_mul_f64 v[118:119], v[97:98], v[134:135]
	s_waitcnt vmcnt(56)
	v_fma_f64 v[132:133], v[1:2], v[136:137], -v[131:132]
	v_add_f64 v[101:102], v[101:102], v[115:116]
	v_fma_f64 v[115:116], v[3:4], v[136:137], v[181:182]
	v_add_f64 v[103:104], v[105:106], v[103:104]
	s_clause 0x4
	buffer_load_dword v106, off, s[0:3], 0 offset:588
	buffer_load_dword v134, off, s[0:3], 0 offset:600
	buffer_load_dword v136, off, s[0:3], 0 offset:592
	buffer_load_dword v105, off, s[0:3], 0 offset:584
	buffer_load_dword v131, off, s[0:3], 0 offset:564
	s_waitcnt vmcnt(57) lgkmcnt(0)
	v_mul_f64 v[181:182], v[93:94], v[138:139]
	v_mul_f64 v[137:138], v[95:96], v[138:139]
	s_waitcnt vmcnt(56)
	v_fma_f64 v[122:123], v[97:98], v[111:112], -v[122:123]
	ds_read_b128 v[1:4], v117 offset:1056
	v_fma_f64 v[111:112], v[99:100], v[111:112], v[118:119]
	v_add_f64 v[101:102], v[101:102], v[132:133]
	v_add_f64 v[103:104], v[103:104], v[115:116]
	s_clause 0x2
	buffer_load_dword v135, off, s[0:3], 0 offset:604
	buffer_load_dword v116, off, s[0:3], 0 offset:580
	buffer_load_dword v115, off, s[0:3], 0 offset:576
	ds_read_b128 v[97:100], v117 offset:1072
	s_waitcnt vmcnt(58) lgkmcnt(1)
	v_mul_f64 v[132:133], v[3:4], v[140:141]
	s_waitcnt vmcnt(56)
	v_fma_f64 v[138:139], v[93:94], v[144:145], -v[137:138]
	v_mul_f64 v[118:119], v[1:2], v[140:141]
	v_add_f64 v[101:102], v[101:102], v[122:123]
	v_fma_f64 v[122:123], v[95:96], v[144:145], v[181:182]
	v_add_f64 v[103:104], v[103:104], v[111:112]
	s_clause 0x4
	buffer_load_dword v112, off, s[0:3], 0 offset:620
	buffer_load_dword v140, off, s[0:3], 0 offset:632
	buffer_load_dword v144, off, s[0:3], 0 offset:624
	buffer_load_dword v111, off, s[0:3], 0 offset:616
	buffer_load_dword v137, off, s[0:3], 0 offset:596
	s_waitcnt vmcnt(57) lgkmcnt(0)
	v_mul_f64 v[181:182], v[97:98], v[146:147]
	v_mul_f64 v[145:146], v[99:100], v[146:147]
	s_waitcnt vmcnt(56)
	v_fma_f64 v[132:133], v[1:2], v[142:143], -v[132:133]
	ds_read_b128 v[93:96], v117 offset:1088
	v_fma_f64 v[118:119], v[3:4], v[142:143], v[118:119]
	v_add_f64 v[101:102], v[101:102], v[138:139]
	v_add_f64 v[103:104], v[103:104], v[122:123]
	s_clause 0x2
	buffer_load_dword v141, off, s[0:3], 0 offset:636
	buffer_load_dword v123, off, s[0:3], 0 offset:612
	buffer_load_dword v122, off, s[0:3], 0 offset:608
	ds_read_b128 v[1:4], v117 offset:1104
	s_waitcnt vmcnt(58) lgkmcnt(1)
	v_mul_f64 v[142:143], v[95:96], v[150:151]
	s_waitcnt vmcnt(56)
	v_fma_f64 v[146:147], v[97:98], v[154:155], -v[145:146]
	v_mul_f64 v[138:139], v[93:94], v[150:151]
	;; [unrolled: 28-line block ×4, first 2 shown]
	v_add_f64 v[101:102], v[101:102], v[152:153]
	v_fma_f64 v[152:153], v[95:96], v[173:174], v[181:182]
	v_add_f64 v[103:104], v[103:104], v[146:147]
	s_clause 0x2
	buffer_load_dword v147, off, s[0:3], 0 offset:716
	buffer_load_dword v146, off, s[0:3], 0 offset:712
	;; [unrolled: 1-line block ×3, first 2 shown]
	ds_read_b128 v[93:96], v117 offset:1184
	s_waitcnt vmcnt(55) lgkmcnt(1)
	v_mul_f64 v[168:169], v[97:98], v[164:165]
	v_mul_f64 v[164:165], v[99:100], v[164:165]
	s_waitcnt vmcnt(54)
	v_fma_f64 v[160:161], v[1:2], v[170:171], -v[160:161]
	v_fma_f64 v[156:157], v[3:4], v[170:171], v[156:157]
	v_add_f64 v[101:102], v[101:102], v[166:167]
	v_add_f64 v[103:104], v[103:104], v[152:153]
	s_clause 0x1
	buffer_load_dword v153, off, s[0:3], 0 offset:708
	buffer_load_dword v152, off, s[0:3], 0 offset:704
	ds_read_b128 v[1:4], v117 offset:1200
	s_waitcnt vmcnt(55) lgkmcnt(1)
	v_mul_f64 v[170:171], v[95:96], v[177:178]
	v_mul_f64 v[166:167], v[93:94], v[177:178]
	s_waitcnt vmcnt(53)
	v_fma_f64 v[164:165], v[97:98], v[124:125], -v[164:165]
	v_fma_f64 v[124:125], v[99:100], v[124:125], v[168:169]
	ds_read_b128 v[97:100], v117 offset:1216
	v_add_f64 v[101:102], v[101:102], v[160:161]
	v_add_f64 v[103:104], v[103:104], v[156:157]
	s_waitcnt vmcnt(49) lgkmcnt(1)
	v_mul_f64 v[156:157], v[1:2], v[113:114]
	v_mul_f64 v[113:114], v[3:4], v[113:114]
	s_waitcnt vmcnt(48)
	v_fma_f64 v[160:161], v[93:94], v[179:180], -v[170:171]
	v_add_f64 v[101:102], v[101:102], v[164:165]
	v_fma_f64 v[164:165], v[95:96], v[179:180], v[166:167]
	v_add_f64 v[103:104], v[103:104], v[124:125]
	s_clause 0x3
	buffer_load_dword v124, off, s[0:3], 0 offset:192
	buffer_load_dword v125, off, s[0:3], 0 offset:196
	;; [unrolled: 1-line block ×4, first 2 shown]
	ds_read_b128 v[93:96], v117 offset:1232
	s_waitcnt vmcnt(51) lgkmcnt(1)
	v_mul_f64 v[168:169], v[97:98], v[126:127]
	v_mul_f64 v[126:127], v[99:100], v[126:127]
	s_waitcnt vmcnt(49)
	v_fma_f64 v[113:114], v[1:2], v[107:108], -v[113:114]
	v_fma_f64 v[107:108], v[3:4], v[107:108], v[156:157]
	ds_read_b128 v[1:4], v117 offset:1248
	v_add_f64 v[101:102], v[101:102], v[160:161]
	v_add_f64 v[103:104], v[103:104], v[164:165]
	s_waitcnt vmcnt(45) lgkmcnt(1)
	v_mul_f64 v[156:157], v[93:94], v[120:121]
	v_mul_f64 v[120:121], v[95:96], v[120:121]
	s_waitcnt vmcnt(44)
	v_fma_f64 v[126:127], v[97:98], v[175:176], -v[126:127]
	v_add_f64 v[101:102], v[101:102], v[113:114]
	v_fma_f64 v[113:114], v[99:100], v[175:176], v[168:169]
	v_add_f64 v[103:104], v[103:104], v[107:108]
	ds_read_b128 v[97:100], v117 offset:1264
	s_waitcnt vmcnt(43) lgkmcnt(1)
	v_mul_f64 v[107:108], v[1:2], v[128:129]
	v_mul_f64 v[128:129], v[3:4], v[128:129]
	s_waitcnt vmcnt(41)
	v_fma_f64 v[120:121], v[93:94], v[109:110], -v[120:121]
	v_fma_f64 v[109:110], v[95:96], v[109:110], v[156:157]
	ds_read_b128 v[93:96], v117 offset:1280
	v_add_f64 v[101:102], v[101:102], v[126:127]
	v_add_f64 v[103:104], v[103:104], v[113:114]
	s_waitcnt vmcnt(37) lgkmcnt(1)
	v_mul_f64 v[113:114], v[97:98], v[105:106]
	v_mul_f64 v[105:106], v[99:100], v[105:106]
	s_waitcnt vmcnt(36)
	v_fma_f64 v[126:127], v[1:2], v[130:131], -v[128:129]
	v_fma_f64 v[107:108], v[3:4], v[130:131], v[107:108]
	ds_read_b128 v[1:4], v117 offset:1296
	v_add_f64 v[101:102], v[101:102], v[120:121]
	v_add_f64 v[103:104], v[103:104], v[109:110]
	;; [unrolled: 9-line block ×3, first 2 shown]
	s_waitcnt vmcnt(29) lgkmcnt(1)
	v_mul_f64 v[107:108], v[1:2], v[111:112]
	v_mul_f64 v[111:112], v[3:4], v[111:112]
	s_waitcnt vmcnt(28)
	v_fma_f64 v[115:116], v[93:94], v[136:137], -v[120:121]
	v_add_f64 v[101:102], v[101:102], v[105:106]
	v_fma_f64 v[105:106], v[95:96], v[136:137], v[109:110]
	v_add_f64 v[103:104], v[103:104], v[113:114]
	ds_read_b128 v[93:96], v117 offset:1328
	s_waitcnt vmcnt(27) lgkmcnt(1)
	v_mul_f64 v[113:114], v[99:100], v[140:141]
	v_mul_f64 v[109:110], v[97:98], v[140:141]
	s_waitcnt vmcnt(25)
	v_fma_f64 v[111:112], v[1:2], v[122:123], -v[111:112]
	v_fma_f64 v[107:108], v[3:4], v[122:123], v[107:108]
	ds_read_b128 v[1:4], v117 offset:1344
	v_add_f64 v[101:102], v[101:102], v[115:116]
	v_add_f64 v[103:104], v[103:104], v[105:106]
	s_waitcnt vmcnt(21) lgkmcnt(1)
	v_mul_f64 v[115:116], v[95:96], v[118:119]
	s_waitcnt vmcnt(20)
	v_fma_f64 v[113:114], v[97:98], v[144:145], -v[113:114]
	v_mul_f64 v[105:106], v[93:94], v[118:119]
	v_fma_f64 v[109:110], v[99:100], v[144:145], v[109:110]
	ds_read_b128 v[97:100], v117 offset:1360
	v_add_f64 v[101:102], v[101:102], v[111:112]
	v_add_f64 v[103:104], v[103:104], v[107:108]
	s_waitcnt vmcnt(19) lgkmcnt(1)
	v_mul_f64 v[111:112], v[3:4], v[150:151]
	v_mul_f64 v[107:108], v[1:2], v[150:151]
	s_waitcnt vmcnt(17)
	v_fma_f64 v[115:116], v[93:94], v[132:133], -v[115:116]
	v_fma_f64 v[105:106], v[95:96], v[132:133], v[105:106]
	ds_read_b128 v[93:96], v117 offset:1376
	v_add_f64 v[101:102], v[101:102], v[113:114]
	v_add_f64 v[103:104], v[103:104], v[109:110]
	s_waitcnt vmcnt(13) lgkmcnt(1)
	v_mul_f64 v[113:114], v[99:100], v[138:139]
	s_waitcnt vmcnt(12)
	v_fma_f64 v[111:112], v[1:2], v[154:155], -v[111:112]
	v_mul_f64 v[109:110], v[97:98], v[138:139]
	v_fma_f64 v[107:108], v[3:4], v[154:155], v[107:108]
	ds_read_b128 v[1:4], v117 offset:1392
	v_add_f64 v[101:102], v[101:102], v[115:116]
	v_add_f64 v[103:104], v[103:104], v[105:106]
	s_waitcnt vmcnt(11) lgkmcnt(1)
	v_mul_f64 v[115:116], v[95:96], v[158:159]
	v_mul_f64 v[105:106], v[93:94], v[158:159]
	s_waitcnt vmcnt(9)
	v_fma_f64 v[97:98], v[97:98], v[142:143], -v[113:114]
	v_fma_f64 v[99:100], v[99:100], v[142:143], v[109:110]
	v_add_f64 v[101:102], v[101:102], v[111:112]
	v_add_f64 v[103:104], v[103:104], v[107:108]
	s_waitcnt vmcnt(7) lgkmcnt(0)
	v_mul_f64 v[109:110], v[3:4], v[146:147]
	s_waitcnt vmcnt(6)
	v_fma_f64 v[93:94], v[93:94], v[162:163], -v[115:116]
	v_mul_f64 v[107:108], v[1:2], v[146:147]
	v_fma_f64 v[95:96], v[95:96], v[162:163], v[105:106]
	v_add_f64 v[97:98], v[101:102], v[97:98]
	v_add_f64 v[99:100], v[103:104], v[99:100]
	s_waitcnt vmcnt(4)
	v_fma_f64 v[1:2], v[1:2], v[152:153], -v[109:110]
	v_fma_f64 v[3:4], v[3:4], v[152:153], v[107:108]
	v_add_f64 v[93:94], v[97:98], v[93:94]
	v_add_f64 v[95:96], v[99:100], v[95:96]
	;; [unrolled: 1-line block ×4, first 2 shown]
	s_waitcnt vmcnt(2)
	v_add_f64 v[1:2], v[124:125], -v[1:2]
	s_waitcnt vmcnt(0)
	v_add_f64 v[3:4], v[166:167], -v[3:4]
	buffer_store_dword v2, off, s[0:3], 0 offset:196
	buffer_store_dword v1, off, s[0:3], 0 offset:192
	;; [unrolled: 1-line block ×4, first 2 shown]
	v_cmpx_lt_u32_e32 10, v0
	s_cbranch_execz .LBB107_257
; %bb.256:
	v_mov_b32_e32 v4, s46
	v_mov_b32_e32 v93, 0
	s_clause 0x3
	buffer_load_dword v1, v4, s[0:3], 0 offen
	buffer_load_dword v2, v4, s[0:3], 0 offen offset:4
	buffer_load_dword v3, v4, s[0:3], 0 offen offset:8
	;; [unrolled: 1-line block ×3, first 2 shown]
	buffer_store_dword v93, off, s[0:3], 0 offset:176
	buffer_store_dword v93, off, s[0:3], 0 offset:180
	;; [unrolled: 1-line block ×4, first 2 shown]
	s_waitcnt vmcnt(0)
	ds_write_b128 v149, v[1:4]
.LBB107_257:
	s_or_b32 exec_lo, exec_lo, s4
	s_waitcnt lgkmcnt(0)
	s_waitcnt_vscnt null, 0x0
	s_barrier
	buffer_gl0_inv
	s_clause 0x37
	buffer_load_dword v97, off, s[0:3], 0 offset:200
	buffer_load_dword v98, off, s[0:3], 0 offset:204
	;; [unrolled: 1-line block ×56, first 2 shown]
	v_mov_b32_e32 v139, 0
	s_mov_b32 s4, exec_lo
	ds_read_b128 v[127:130], v139 offset:880
	s_clause 0x2
	buffer_load_dword v159, off, s[0:3], 0 offset:428
	buffer_load_dword v163, off, s[0:3], 0 offset:404
	;; [unrolled: 1-line block ×3, first 2 shown]
	ds_read_b128 v[131:134], v139 offset:896
	s_clause 0x4
	buffer_load_dword v167, off, s[0:3], 0 offset:444
	buffer_load_dword v168, off, s[0:3], 0 offset:456
	buffer_load_dword v170, off, s[0:3], 0 offset:448
	buffer_load_dword v166, off, s[0:3], 0 offset:440
	buffer_load_dword v161, off, s[0:3], 0 offset:420
	ds_read_b128 v[135:138], v139 offset:912
	s_clause 0x2
	buffer_load_dword v169, off, s[0:3], 0 offset:460
	buffer_load_dword v174, off, s[0:3], 0 offset:436
	;; [unrolled: 1-line block ×3, first 2 shown]
	s_waitcnt vmcnt(62) lgkmcnt(2)
	v_mul_f64 v[164:165], v[129:130], v[97:98]
	v_mul_f64 v[97:98], v[127:128], v[97:98]
	s_waitcnt lgkmcnt(1)
	v_mul_f64 v[171:172], v[133:134], v[93:94]
	s_waitcnt vmcnt(59) lgkmcnt(0)
	v_mul_f64 v[175:176], v[137:138], v[3:4]
	v_fma_f64 v[127:128], v[127:128], v[95:96], -v[164:165]
	v_mul_f64 v[164:165], v[131:132], v[93:94]
	v_fma_f64 v[97:98], v[129:130], v[95:96], v[97:98]
	s_waitcnt vmcnt(57)
	v_fma_f64 v[131:132], v[131:132], v[1:2], -v[171:172]
	ds_read_b128 v[93:96], v139 offset:928
	v_mul_f64 v[129:130], v[135:136], v[3:4]
	s_waitcnt vmcnt(51)
	v_fma_f64 v[135:136], v[135:136], v[113:114], -v[175:176]
	v_add_f64 v[127:128], v[127:128], 0
	v_fma_f64 v[133:134], v[133:134], v[1:2], v[164:165]
	v_add_f64 v[97:98], v[97:98], 0
	s_clause 0x4
	buffer_load_dword v165, off, s[0:3], 0 offset:476
	buffer_load_dword v177, off, s[0:3], 0 offset:488
	;; [unrolled: 1-line block ×5, first 2 shown]
	s_waitcnt lgkmcnt(0)
	v_mul_f64 v[180:181], v[93:94], v[101:102]
	v_mul_f64 v[101:102], v[95:96], v[101:102]
	ds_read_b128 v[1:4], v139 offset:944
	v_fma_f64 v[113:114], v[137:138], v[113:114], v[129:130]
	v_add_f64 v[131:132], v[127:128], v[131:132]
	v_add_f64 v[97:98], v[97:98], v[133:134]
	s_clause 0x2
	buffer_load_dword v178, off, s[0:3], 0 offset:492
	buffer_load_dword v134, off, s[0:3], 0 offset:468
	;; [unrolled: 1-line block ×3, first 2 shown]
	s_waitcnt vmcnt(58) lgkmcnt(0)
	v_mul_f64 v[137:138], v[1:2], v[105:106]
	v_mul_f64 v[105:106], v[3:4], v[105:106]
	s_waitcnt vmcnt(56)
	v_fma_f64 v[101:102], v[93:94], v[107:108], -v[101:102]
	ds_read_b128 v[127:130], v139 offset:960
	v_fma_f64 v[107:108], v[95:96], v[107:108], v[180:181]
	v_add_f64 v[131:132], v[131:132], v[135:136]
	v_add_f64 v[97:98], v[97:98], v[113:114]
	s_clause 0x4
	buffer_load_dword v114, off, s[0:3], 0 offset:508
	buffer_load_dword v135, off, s[0:3], 0 offset:520
	buffer_load_dword v175, off, s[0:3], 0 offset:512
	buffer_load_dword v113, off, s[0:3], 0 offset:504
	buffer_load_dword v180, off, s[0:3], 0 offset:484
	ds_read_b128 v[93:96], v139 offset:976
	s_waitcnt vmcnt(57) lgkmcnt(1)
	v_mul_f64 v[181:182], v[127:128], v[109:110]
	v_mul_f64 v[109:110], v[129:130], v[109:110]
	s_waitcnt vmcnt(56)
	v_fma_f64 v[105:106], v[1:2], v[99:100], -v[105:106]
	v_fma_f64 v[99:100], v[3:4], v[99:100], v[137:138]
	v_add_f64 v[101:102], v[131:132], v[101:102]
	v_add_f64 v[97:98], v[97:98], v[107:108]
	s_clause 0x2
	buffer_load_dword v136, off, s[0:3], 0 offset:524
	buffer_load_dword v108, off, s[0:3], 0 offset:500
	buffer_load_dword v107, off, s[0:3], 0 offset:496
	s_waitcnt vmcnt(58) lgkmcnt(0)
	v_mul_f64 v[131:132], v[93:94], v[115:116]
	v_mul_f64 v[115:116], v[95:96], v[115:116]
	s_waitcnt vmcnt(56)
	v_fma_f64 v[109:110], v[127:128], v[117:118], -v[109:110]
	ds_read_b128 v[1:4], v139 offset:992
	v_add_f64 v[101:102], v[101:102], v[105:106]
	v_fma_f64 v[105:106], v[129:130], v[117:118], v[181:182]
	v_add_f64 v[117:118], v[97:98], v[99:100]
	s_clause 0x4
	buffer_load_dword v128, off, s[0:3], 0 offset:540
	buffer_load_dword v129, off, s[0:3], 0 offset:552
	;; [unrolled: 1-line block ×5, first 2 shown]
	ds_read_b128 v[97:100], v139 offset:1008
	s_waitcnt vmcnt(57) lgkmcnt(1)
	v_mul_f64 v[181:182], v[1:2], v[119:120]
	v_mul_f64 v[119:120], v[3:4], v[119:120]
	s_waitcnt vmcnt(56)
	v_fma_f64 v[115:116], v[93:94], v[103:104], -v[115:116]
	v_fma_f64 v[103:104], v[95:96], v[103:104], v[131:132]
	v_add_f64 v[101:102], v[101:102], v[109:110]
	s_clause 0x2
	buffer_load_dword v130, off, s[0:3], 0 offset:556
	buffer_load_dword v110, off, s[0:3], 0 offset:532
	;; [unrolled: 1-line block ×3, first 2 shown]
	v_add_f64 v[105:106], v[117:118], v[105:106]
	s_waitcnt vmcnt(58) lgkmcnt(0)
	v_mul_f64 v[117:118], v[97:98], v[123:124]
	v_mul_f64 v[123:124], v[99:100], v[123:124]
	ds_read_b128 v[93:96], v139 offset:1024
	s_waitcnt vmcnt(56)
	v_fma_f64 v[119:120], v[1:2], v[125:126], -v[119:120]
	v_add_f64 v[101:102], v[101:102], v[115:116]
	v_fma_f64 v[115:116], v[3:4], v[125:126], v[181:182]
	v_add_f64 v[103:104], v[105:106], v[103:104]
	s_clause 0x4
	buffer_load_dword v106, off, s[0:3], 0 offset:572
	buffer_load_dword v125, off, s[0:3], 0 offset:584
	;; [unrolled: 1-line block ×5, first 2 shown]
	s_waitcnt vmcnt(57) lgkmcnt(0)
	v_mul_f64 v[181:182], v[93:94], v[140:141]
	v_mul_f64 v[140:141], v[95:96], v[140:141]
	s_waitcnt vmcnt(56)
	v_fma_f64 v[123:124], v[97:98], v[111:112], -v[123:124]
	ds_read_b128 v[1:4], v139 offset:1040
	v_fma_f64 v[111:112], v[99:100], v[111:112], v[117:118]
	v_add_f64 v[101:102], v[101:102], v[119:120]
	v_add_f64 v[103:104], v[103:104], v[115:116]
	s_clause 0x2
	buffer_load_dword v126, off, s[0:3], 0 offset:588
	buffer_load_dword v116, off, s[0:3], 0 offset:564
	;; [unrolled: 1-line block ×3, first 2 shown]
	ds_read_b128 v[97:100], v139 offset:1056
	s_waitcnt vmcnt(58) lgkmcnt(1)
	v_mul_f64 v[119:120], v[3:4], v[142:143]
	s_waitcnt vmcnt(56)
	v_fma_f64 v[140:141], v[93:94], v[144:145], -v[140:141]
	v_mul_f64 v[117:118], v[1:2], v[142:143]
	v_add_f64 v[101:102], v[101:102], v[123:124]
	v_fma_f64 v[123:124], v[95:96], v[144:145], v[181:182]
	v_add_f64 v[103:104], v[103:104], v[111:112]
	s_clause 0x4
	buffer_load_dword v112, off, s[0:3], 0 offset:604
	buffer_load_dword v142, off, s[0:3], 0 offset:616
	;; [unrolled: 1-line block ×5, first 2 shown]
	s_waitcnt vmcnt(57) lgkmcnt(0)
	v_mul_f64 v[181:182], v[97:98], v[146:147]
	v_mul_f64 v[145:146], v[99:100], v[146:147]
	s_waitcnt vmcnt(56)
	v_fma_f64 v[119:120], v[1:2], v[121:122], -v[119:120]
	ds_read_b128 v[93:96], v139 offset:1072
	v_fma_f64 v[117:118], v[3:4], v[121:122], v[117:118]
	s_clause 0x2
	buffer_load_dword v143, off, s[0:3], 0 offset:620
	buffer_load_dword v122, off, s[0:3], 0 offset:596
	;; [unrolled: 1-line block ×3, first 2 shown]
	ds_read_b128 v[1:4], v139 offset:1088
	v_add_f64 v[101:102], v[101:102], v[140:141]
	v_add_f64 v[103:104], v[103:104], v[123:124]
	s_waitcnt vmcnt(58) lgkmcnt(1)
	v_mul_f64 v[140:141], v[95:96], v[150:151]
	s_waitcnt vmcnt(56)
	v_fma_f64 v[146:147], v[97:98], v[154:155], -v[145:146]
	v_mul_f64 v[123:124], v[93:94], v[150:151]
	v_add_f64 v[101:102], v[101:102], v[119:120]
	v_fma_f64 v[119:120], v[99:100], v[154:155], v[181:182]
	v_add_f64 v[103:104], v[103:104], v[117:118]
	s_clause 0x4
	buffer_load_dword v118, off, s[0:3], 0 offset:636
	buffer_load_dword v150, off, s[0:3], 0 offset:648
	;; [unrolled: 1-line block ×5, first 2 shown]
	s_waitcnt vmcnt(57) lgkmcnt(0)
	v_mul_f64 v[181:182], v[1:2], v[156:157]
	v_mul_f64 v[155:156], v[3:4], v[156:157]
	s_waitcnt vmcnt(56)
	v_fma_f64 v[140:141], v[93:94], v[152:153], -v[140:141]
	ds_read_b128 v[97:100], v139 offset:1104
	v_fma_f64 v[123:124], v[95:96], v[152:153], v[123:124]
	v_add_f64 v[101:102], v[101:102], v[146:147]
	v_add_f64 v[103:104], v[103:104], v[119:120]
	s_clause 0x2
	buffer_load_dword v151, off, s[0:3], 0 offset:652
	buffer_load_dword v120, off, s[0:3], 0 offset:628
	buffer_load_dword v119, off, s[0:3], 0 offset:624
	ds_read_b128 v[93:96], v139 offset:1120
	s_waitcnt vmcnt(58) lgkmcnt(1)
	v_mul_f64 v[152:153], v[99:100], v[158:159]
	s_waitcnt vmcnt(56)
	v_fma_f64 v[156:157], v[1:2], v[162:163], -v[155:156]
	v_mul_f64 v[146:147], v[97:98], v[158:159]
	v_add_f64 v[101:102], v[101:102], v[140:141]
	v_fma_f64 v[140:141], v[3:4], v[162:163], v[181:182]
	v_add_f64 v[103:104], v[103:104], v[123:124]
	s_clause 0x4
	buffer_load_dword v124, off, s[0:3], 0 offset:668
	buffer_load_dword v158, off, s[0:3], 0 offset:680
	;; [unrolled: 1-line block ×5, first 2 shown]
	s_waitcnt vmcnt(57) lgkmcnt(0)
	v_mul_f64 v[181:182], v[93:94], v[166:167]
	v_mul_f64 v[166:167], v[95:96], v[166:167]
	s_waitcnt vmcnt(56)
	v_fma_f64 v[152:153], v[97:98], v[160:161], -v[152:153]
	ds_read_b128 v[1:4], v139 offset:1136
	v_fma_f64 v[146:147], v[99:100], v[160:161], v[146:147]
	v_add_f64 v[101:102], v[101:102], v[156:157]
	v_add_f64 v[103:104], v[103:104], v[140:141]
	s_clause 0x2
	buffer_load_dword v159, off, s[0:3], 0 offset:684
	buffer_load_dword v141, off, s[0:3], 0 offset:660
	;; [unrolled: 1-line block ×3, first 2 shown]
	ds_read_b128 v[97:100], v139 offset:1152
	s_waitcnt vmcnt(58) lgkmcnt(1)
	v_mul_f64 v[160:161], v[3:4], v[168:169]
	s_waitcnt vmcnt(56)
	v_fma_f64 v[166:167], v[93:94], v[173:174], -v[166:167]
	v_mul_f64 v[156:157], v[1:2], v[168:169]
	v_add_f64 v[101:102], v[101:102], v[152:153]
	v_fma_f64 v[152:153], v[95:96], v[173:174], v[181:182]
	v_add_f64 v[103:104], v[103:104], v[146:147]
	s_clause 0x4
	buffer_load_dword v147, off, s[0:3], 0 offset:700
	buffer_load_dword v168, off, s[0:3], 0 offset:712
	;; [unrolled: 1-line block ×5, first 2 shown]
	ds_read_b128 v[93:96], v139 offset:1168
	s_waitcnt vmcnt(57) lgkmcnt(1)
	v_mul_f64 v[173:174], v[97:98], v[164:165]
	v_mul_f64 v[164:165], v[99:100], v[164:165]
	s_waitcnt vmcnt(56)
	v_fma_f64 v[160:161], v[1:2], v[170:171], -v[160:161]
	v_fma_f64 v[156:157], v[3:4], v[170:171], v[156:157]
	v_add_f64 v[101:102], v[101:102], v[166:167]
	v_add_f64 v[103:104], v[103:104], v[152:153]
	s_clause 0x2
	buffer_load_dword v169, off, s[0:3], 0 offset:716
	buffer_load_dword v153, off, s[0:3], 0 offset:692
	;; [unrolled: 1-line block ×3, first 2 shown]
	ds_read_b128 v[1:4], v139 offset:1184
	s_waitcnt vmcnt(58) lgkmcnt(1)
	v_mul_f64 v[170:171], v[95:96], v[177:178]
	v_mul_f64 v[166:167], v[93:94], v[177:178]
	s_waitcnt vmcnt(56)
	v_fma_f64 v[164:165], v[97:98], v[133:134], -v[164:165]
	v_fma_f64 v[133:134], v[99:100], v[133:134], v[173:174]
	buffer_load_dword v173, off, s[0:3], 0 offset:708
	ds_read_b128 v[97:100], v139 offset:1200
	v_add_f64 v[101:102], v[101:102], v[160:161]
	v_add_f64 v[103:104], v[103:104], v[156:157]
	s_waitcnt vmcnt(53) lgkmcnt(1)
	v_mul_f64 v[156:157], v[1:2], v[113:114]
	v_mul_f64 v[113:114], v[3:4], v[113:114]
	s_waitcnt vmcnt(52)
	v_fma_f64 v[160:161], v[93:94], v[179:180], -v[170:171]
	v_add_f64 v[101:102], v[101:102], v[164:165]
	v_fma_f64 v[164:165], v[95:96], v[179:180], v[166:167]
	v_add_f64 v[103:104], v[103:104], v[133:134]
	ds_read_b128 v[93:96], v139 offset:1216
	s_waitcnt vmcnt(51) lgkmcnt(1)
	v_mul_f64 v[133:134], v[97:98], v[135:136]
	v_mul_f64 v[135:136], v[99:100], v[135:136]
	s_waitcnt vmcnt(49)
	v_fma_f64 v[113:114], v[1:2], v[107:108], -v[113:114]
	v_fma_f64 v[107:108], v[3:4], v[107:108], v[156:157]
	v_add_f64 v[101:102], v[101:102], v[160:161]
	s_clause 0x3
	buffer_load_dword v156, off, s[0:3], 0 offset:176
	buffer_load_dword v157, off, s[0:3], 0 offset:180
	;; [unrolled: 1-line block ×4, first 2 shown]
	v_add_f64 v[103:104], v[103:104], v[164:165]
	ds_read_b128 v[1:4], v139 offset:1232
	s_waitcnt vmcnt(49) lgkmcnt(1)
	v_mul_f64 v[164:165], v[93:94], v[127:128]
	v_mul_f64 v[127:128], v[95:96], v[127:128]
	s_waitcnt vmcnt(48)
	v_fma_f64 v[135:136], v[97:98], v[175:176], -v[135:136]
	v_add_f64 v[101:102], v[101:102], v[113:114]
	v_fma_f64 v[113:114], v[99:100], v[175:176], v[133:134]
	v_add_f64 v[103:104], v[103:104], v[107:108]
	ds_read_b128 v[97:100], v139 offset:1248
	s_waitcnt vmcnt(47) lgkmcnt(1)
	v_mul_f64 v[107:108], v[1:2], v[129:130]
	v_mul_f64 v[129:130], v[3:4], v[129:130]
	s_waitcnt vmcnt(45)
	v_fma_f64 v[127:128], v[93:94], v[109:110], -v[127:128]
	v_fma_f64 v[109:110], v[95:96], v[109:110], v[164:165]
	ds_read_b128 v[93:96], v139 offset:1264
	v_add_f64 v[101:102], v[101:102], v[135:136]
	v_add_f64 v[103:104], v[103:104], v[113:114]
	s_waitcnt vmcnt(41) lgkmcnt(1)
	v_mul_f64 v[113:114], v[97:98], v[105:106]
	v_mul_f64 v[105:106], v[99:100], v[105:106]
	s_waitcnt vmcnt(40)
	v_fma_f64 v[129:130], v[1:2], v[137:138], -v[129:130]
	v_fma_f64 v[107:108], v[3:4], v[137:138], v[107:108]
	ds_read_b128 v[1:4], v139 offset:1280
	v_add_f64 v[101:102], v[101:102], v[127:128]
	v_add_f64 v[103:104], v[103:104], v[109:110]
	s_waitcnt vmcnt(39) lgkmcnt(1)
	v_mul_f64 v[109:110], v[93:94], v[125:126]
	v_mul_f64 v[125:126], v[95:96], v[125:126]
	s_waitcnt vmcnt(37)
	v_fma_f64 v[105:106], v[97:98], v[115:116], -v[105:106]
	v_fma_f64 v[113:114], v[99:100], v[115:116], v[113:114]
	ds_read_b128 v[97:100], v139 offset:1296
	v_add_f64 v[101:102], v[101:102], v[129:130]
	v_add_f64 v[103:104], v[103:104], v[107:108]
	s_waitcnt vmcnt(33) lgkmcnt(1)
	v_mul_f64 v[107:108], v[1:2], v[111:112]
	v_mul_f64 v[111:112], v[3:4], v[111:112]
	s_waitcnt vmcnt(32)
	v_fma_f64 v[115:116], v[93:94], v[131:132], -v[125:126]
	v_add_f64 v[101:102], v[101:102], v[105:106]
	v_fma_f64 v[105:106], v[95:96], v[131:132], v[109:110]
	v_add_f64 v[103:104], v[103:104], v[113:114]
	ds_read_b128 v[93:96], v139 offset:1312
	s_waitcnt vmcnt(31) lgkmcnt(1)
	v_mul_f64 v[113:114], v[99:100], v[142:143]
	v_mul_f64 v[109:110], v[97:98], v[142:143]
	s_waitcnt vmcnt(29)
	v_fma_f64 v[107:108], v[3:4], v[121:122], v[107:108]
	v_fma_f64 v[111:112], v[1:2], v[121:122], -v[111:112]
	ds_read_b128 v[1:4], v139 offset:1328
	v_add_f64 v[101:102], v[101:102], v[115:116]
	v_add_f64 v[103:104], v[103:104], v[105:106]
	s_waitcnt vmcnt(25) lgkmcnt(1)
	v_mul_f64 v[115:116], v[95:96], v[117:118]
	s_waitcnt vmcnt(24)
	v_fma_f64 v[113:114], v[97:98], v[144:145], -v[113:114]
	v_mul_f64 v[105:106], v[93:94], v[117:118]
	v_fma_f64 v[109:110], v[99:100], v[144:145], v[109:110]
	ds_read_b128 v[97:100], v139 offset:1344
	v_add_f64 v[101:102], v[101:102], v[111:112]
	v_add_f64 v[103:104], v[103:104], v[107:108]
	s_waitcnt vmcnt(23) lgkmcnt(1)
	v_mul_f64 v[111:112], v[3:4], v[150:151]
	v_mul_f64 v[107:108], v[1:2], v[150:151]
	s_waitcnt vmcnt(21)
	v_fma_f64 v[115:116], v[93:94], v[119:120], -v[115:116]
	v_fma_f64 v[105:106], v[95:96], v[119:120], v[105:106]
	ds_read_b128 v[93:96], v139 offset:1360
	v_add_f64 v[101:102], v[101:102], v[113:114]
	v_add_f64 v[103:104], v[103:104], v[109:110]
	s_waitcnt vmcnt(17) lgkmcnt(1)
	v_mul_f64 v[113:114], v[99:100], v[123:124]
	s_waitcnt vmcnt(16)
	v_fma_f64 v[111:112], v[1:2], v[154:155], -v[111:112]
	v_mul_f64 v[109:110], v[97:98], v[123:124]
	v_fma_f64 v[107:108], v[3:4], v[154:155], v[107:108]
	ds_read_b128 v[1:4], v139 offset:1376
	v_add_f64 v[101:102], v[101:102], v[115:116]
	v_add_f64 v[103:104], v[103:104], v[105:106]
	s_waitcnt vmcnt(15) lgkmcnt(1)
	v_mul_f64 v[115:116], v[95:96], v[158:159]
	v_mul_f64 v[105:106], v[93:94], v[158:159]
	s_waitcnt vmcnt(13)
	v_fma_f64 v[113:114], v[97:98], v[140:141], -v[113:114]
	v_fma_f64 v[109:110], v[99:100], v[140:141], v[109:110]
	ds_read_b128 v[97:100], v139 offset:1392
	v_add_f64 v[101:102], v[101:102], v[111:112]
	v_add_f64 v[103:104], v[103:104], v[107:108]
	s_waitcnt vmcnt(9) lgkmcnt(1)
	v_mul_f64 v[111:112], v[3:4], v[146:147]
	s_waitcnt vmcnt(8)
	v_fma_f64 v[93:94], v[93:94], v[162:163], -v[115:116]
	v_mul_f64 v[107:108], v[1:2], v[146:147]
	v_fma_f64 v[95:96], v[95:96], v[162:163], v[105:106]
	v_add_f64 v[101:102], v[101:102], v[113:114]
	v_add_f64 v[103:104], v[103:104], v[109:110]
	s_waitcnt vmcnt(7) lgkmcnt(0)
	v_mul_f64 v[109:110], v[99:100], v[168:169]
	v_mul_f64 v[105:106], v[97:98], v[168:169]
	s_waitcnt vmcnt(5)
	v_fma_f64 v[1:2], v[1:2], v[152:153], -v[111:112]
	v_fma_f64 v[3:4], v[3:4], v[152:153], v[107:108]
	v_add_f64 v[93:94], v[101:102], v[93:94]
	v_add_f64 v[95:96], v[103:104], v[95:96]
	s_waitcnt vmcnt(4)
	v_fma_f64 v[97:98], v[97:98], v[172:173], -v[109:110]
	v_add_f64 v[1:2], v[93:94], v[1:2]
	v_fma_f64 v[93:94], v[99:100], v[172:173], v[105:106]
	v_add_f64 v[3:4], v[95:96], v[3:4]
	v_add_f64 v[1:2], v[1:2], v[97:98]
	;; [unrolled: 1-line block ×3, first 2 shown]
	s_waitcnt vmcnt(2)
	v_add_f64 v[1:2], v[156:157], -v[1:2]
	s_waitcnt vmcnt(0)
	v_add_f64 v[3:4], v[160:161], -v[3:4]
	buffer_store_dword v2, off, s[0:3], 0 offset:180
	buffer_store_dword v1, off, s[0:3], 0 offset:176
	;; [unrolled: 1-line block ×4, first 2 shown]
	v_cmpx_lt_u32_e32 9, v0
	s_cbranch_execz .LBB107_259
; %bb.258:
	v_mov_b32_e32 v4, s47
	s_clause 0x3
	buffer_load_dword v1, v4, s[0:3], 0 offen
	buffer_load_dword v2, v4, s[0:3], 0 offen offset:4
	buffer_load_dword v3, v4, s[0:3], 0 offen offset:8
	;; [unrolled: 1-line block ×3, first 2 shown]
	buffer_store_dword v139, off, s[0:3], 0 offset:160
	buffer_store_dword v139, off, s[0:3], 0 offset:164
	;; [unrolled: 1-line block ×4, first 2 shown]
	s_waitcnt vmcnt(0)
	ds_write_b128 v149, v[1:4]
.LBB107_259:
	s_or_b32 exec_lo, exec_lo, s4
	s_waitcnt lgkmcnt(0)
	s_waitcnt_vscnt null, 0x0
	s_barrier
	buffer_gl0_inv
	s_clause 0x37
	buffer_load_dword v97, off, s[0:3], 0 offset:184
	buffer_load_dword v98, off, s[0:3], 0 offset:188
	buffer_load_dword v93, off, s[0:3], 0 offset:200
	buffer_load_dword v94, off, s[0:3], 0 offset:204
	buffer_load_dword v95, off, s[0:3], 0 offset:176
	buffer_load_dword v96, off, s[0:3], 0 offset:180
	buffer_load_dword v3, off, s[0:3], 0 offset:216
	buffer_load_dword v4, off, s[0:3], 0 offset:220
	buffer_load_dword v1, off, s[0:3], 0 offset:192
	buffer_load_dword v2, off, s[0:3], 0 offset:196
	buffer_load_dword v102, off, s[0:3], 0 offset:236
	buffer_load_dword v105, off, s[0:3], 0 offset:248
	buffer_load_dword v99, off, s[0:3], 0 offset:240
	buffer_load_dword v101, off, s[0:3], 0 offset:232
	buffer_load_dword v113, off, s[0:3], 0 offset:208
	buffer_load_dword v114, off, s[0:3], 0 offset:212
	buffer_load_dword v106, off, s[0:3], 0 offset:252
	buffer_load_dword v108, off, s[0:3], 0 offset:228
	buffer_load_dword v107, off, s[0:3], 0 offset:224
	buffer_load_dword v110, off, s[0:3], 0 offset:268
	buffer_load_dword v115, off, s[0:3], 0 offset:280
	buffer_load_dword v103, off, s[0:3], 0 offset:272
	buffer_load_dword v109, off, s[0:3], 0 offset:264
	buffer_load_dword v100, off, s[0:3], 0 offset:244
	buffer_load_dword v116, off, s[0:3], 0 offset:284
	buffer_load_dword v118, off, s[0:3], 0 offset:260
	buffer_load_dword v117, off, s[0:3], 0 offset:256
	buffer_load_dword v120, off, s[0:3], 0 offset:300
	buffer_load_dword v123, off, s[0:3], 0 offset:312
	buffer_load_dword v111, off, s[0:3], 0 offset:304
	buffer_load_dword v119, off, s[0:3], 0 offset:296
	buffer_load_dword v104, off, s[0:3], 0 offset:276
	buffer_load_dword v124, off, s[0:3], 0 offset:316
	buffer_load_dword v126, off, s[0:3], 0 offset:292
	buffer_load_dword v125, off, s[0:3], 0 offset:288
	buffer_load_dword v128, off, s[0:3], 0 offset:332
	buffer_load_dword v131, off, s[0:3], 0 offset:344
	buffer_load_dword v121, off, s[0:3], 0 offset:336
	buffer_load_dword v127, off, s[0:3], 0 offset:328
	buffer_load_dword v112, off, s[0:3], 0 offset:308
	buffer_load_dword v132, off, s[0:3], 0 offset:348
	buffer_load_dword v134, off, s[0:3], 0 offset:324
	buffer_load_dword v133, off, s[0:3], 0 offset:320
	buffer_load_dword v136, off, s[0:3], 0 offset:364
	buffer_load_dword v154, off, s[0:3], 0 offset:376
	buffer_load_dword v129, off, s[0:3], 0 offset:368
	buffer_load_dword v135, off, s[0:3], 0 offset:360
	buffer_load_dword v122, off, s[0:3], 0 offset:340
	buffer_load_dword v155, off, s[0:3], 0 offset:380
	buffer_load_dword v157, off, s[0:3], 0 offset:356
	buffer_load_dword v156, off, s[0:3], 0 offset:352
	buffer_load_dword v159, off, s[0:3], 0 offset:396
	buffer_load_dword v160, off, s[0:3], 0 offset:408
	buffer_load_dword v137, off, s[0:3], 0 offset:400
	buffer_load_dword v158, off, s[0:3], 0 offset:392
	buffer_load_dword v130, off, s[0:3], 0 offset:372
	ds_read_b128 v[140:143], v139 offset:864
	s_clause 0x2
	buffer_load_dword v161, off, s[0:3], 0 offset:412
	buffer_load_dword v163, off, s[0:3], 0 offset:388
	;; [unrolled: 1-line block ×3, first 2 shown]
	ds_read_b128 v[144:147], v139 offset:880
	s_clause 0x4
	buffer_load_dword v167, off, s[0:3], 0 offset:428
	buffer_load_dword v168, off, s[0:3], 0 offset:440
	;; [unrolled: 1-line block ×5, first 2 shown]
	ds_read_b128 v[150:153], v139 offset:896
	s_clause 0x2
	buffer_load_dword v169, off, s[0:3], 0 offset:444
	buffer_load_dword v174, off, s[0:3], 0 offset:420
	;; [unrolled: 1-line block ×3, first 2 shown]
	s_mov_b32 s4, exec_lo
	s_waitcnt vmcnt(62) lgkmcnt(2)
	v_mul_f64 v[164:165], v[142:143], v[97:98]
	v_mul_f64 v[97:98], v[140:141], v[97:98]
	s_waitcnt lgkmcnt(1)
	v_mul_f64 v[171:172], v[146:147], v[93:94]
	s_waitcnt vmcnt(59) lgkmcnt(0)
	v_mul_f64 v[175:176], v[152:153], v[3:4]
	v_fma_f64 v[140:141], v[140:141], v[95:96], -v[164:165]
	v_mul_f64 v[164:165], v[144:145], v[93:94]
	v_fma_f64 v[97:98], v[142:143], v[95:96], v[97:98]
	s_waitcnt vmcnt(57)
	v_fma_f64 v[144:145], v[144:145], v[1:2], -v[171:172]
	ds_read_b128 v[93:96], v139 offset:912
	v_mul_f64 v[142:143], v[150:151], v[3:4]
	s_waitcnt vmcnt(51)
	v_fma_f64 v[150:151], v[150:151], v[113:114], -v[175:176]
	v_add_f64 v[140:141], v[140:141], 0
	v_fma_f64 v[146:147], v[146:147], v[1:2], v[164:165]
	v_add_f64 v[97:98], v[97:98], 0
	s_clause 0x4
	buffer_load_dword v165, off, s[0:3], 0 offset:460
	buffer_load_dword v177, off, s[0:3], 0 offset:472
	;; [unrolled: 1-line block ×5, first 2 shown]
	s_waitcnt lgkmcnt(0)
	v_mul_f64 v[180:181], v[93:94], v[101:102]
	v_mul_f64 v[101:102], v[95:96], v[101:102]
	ds_read_b128 v[1:4], v139 offset:928
	v_fma_f64 v[113:114], v[152:153], v[113:114], v[142:143]
	v_add_f64 v[144:145], v[140:141], v[144:145]
	v_add_f64 v[97:98], v[97:98], v[146:147]
	s_clause 0x2
	buffer_load_dword v178, off, s[0:3], 0 offset:476
	buffer_load_dword v147, off, s[0:3], 0 offset:452
	;; [unrolled: 1-line block ×3, first 2 shown]
	s_waitcnt vmcnt(58) lgkmcnt(0)
	v_mul_f64 v[152:153], v[1:2], v[105:106]
	v_mul_f64 v[105:106], v[3:4], v[105:106]
	s_waitcnt vmcnt(56)
	v_fma_f64 v[101:102], v[93:94], v[107:108], -v[101:102]
	ds_read_b128 v[140:143], v139 offset:944
	v_fma_f64 v[107:108], v[95:96], v[107:108], v[180:181]
	v_add_f64 v[144:145], v[144:145], v[150:151]
	v_add_f64 v[97:98], v[97:98], v[113:114]
	s_clause 0x4
	buffer_load_dword v114, off, s[0:3], 0 offset:492
	buffer_load_dword v150, off, s[0:3], 0 offset:504
	;; [unrolled: 1-line block ×5, first 2 shown]
	ds_read_b128 v[93:96], v139 offset:960
	s_waitcnt vmcnt(57) lgkmcnt(1)
	v_mul_f64 v[181:182], v[140:141], v[109:110]
	v_mul_f64 v[109:110], v[142:143], v[109:110]
	s_waitcnt vmcnt(56)
	v_fma_f64 v[105:106], v[1:2], v[99:100], -v[105:106]
	v_fma_f64 v[99:100], v[3:4], v[99:100], v[152:153]
	v_add_f64 v[101:102], v[144:145], v[101:102]
	v_add_f64 v[97:98], v[97:98], v[107:108]
	s_clause 0x2
	buffer_load_dword v151, off, s[0:3], 0 offset:508
	buffer_load_dword v108, off, s[0:3], 0 offset:484
	buffer_load_dword v107, off, s[0:3], 0 offset:480
	s_waitcnt vmcnt(58) lgkmcnt(0)
	v_mul_f64 v[144:145], v[93:94], v[115:116]
	v_mul_f64 v[115:116], v[95:96], v[115:116]
	s_waitcnt vmcnt(56)
	v_fma_f64 v[109:110], v[140:141], v[117:118], -v[109:110]
	ds_read_b128 v[1:4], v139 offset:976
	v_add_f64 v[101:102], v[101:102], v[105:106]
	v_fma_f64 v[105:106], v[142:143], v[117:118], v[181:182]
	v_add_f64 v[117:118], v[97:98], v[99:100]
	s_clause 0x4
	buffer_load_dword v141, off, s[0:3], 0 offset:524
	buffer_load_dword v142, off, s[0:3], 0 offset:536
	;; [unrolled: 1-line block ×5, first 2 shown]
	ds_read_b128 v[97:100], v139 offset:992
	s_waitcnt vmcnt(57) lgkmcnt(1)
	v_mul_f64 v[181:182], v[1:2], v[119:120]
	v_mul_f64 v[119:120], v[3:4], v[119:120]
	s_waitcnt vmcnt(56)
	v_fma_f64 v[115:116], v[93:94], v[103:104], -v[115:116]
	v_fma_f64 v[103:104], v[95:96], v[103:104], v[144:145]
	v_add_f64 v[101:102], v[101:102], v[109:110]
	s_clause 0x2
	buffer_load_dword v143, off, s[0:3], 0 offset:540
	buffer_load_dword v110, off, s[0:3], 0 offset:516
	;; [unrolled: 1-line block ×3, first 2 shown]
	v_add_f64 v[105:106], v[117:118], v[105:106]
	s_waitcnt vmcnt(58) lgkmcnt(0)
	v_mul_f64 v[117:118], v[97:98], v[123:124]
	v_mul_f64 v[123:124], v[99:100], v[123:124]
	ds_read_b128 v[93:96], v139 offset:1008
	s_waitcnt vmcnt(56)
	v_fma_f64 v[119:120], v[1:2], v[125:126], -v[119:120]
	v_add_f64 v[101:102], v[101:102], v[115:116]
	v_fma_f64 v[115:116], v[3:4], v[125:126], v[181:182]
	v_add_f64 v[103:104], v[105:106], v[103:104]
	s_clause 0x4
	buffer_load_dword v106, off, s[0:3], 0 offset:556
	buffer_load_dword v125, off, s[0:3], 0 offset:568
	;; [unrolled: 1-line block ×5, first 2 shown]
	s_waitcnt vmcnt(57) lgkmcnt(0)
	v_mul_f64 v[181:182], v[93:94], v[127:128]
	v_mul_f64 v[127:128], v[95:96], v[127:128]
	s_waitcnt vmcnt(56)
	v_fma_f64 v[123:124], v[97:98], v[111:112], -v[123:124]
	ds_read_b128 v[1:4], v139 offset:1024
	v_fma_f64 v[111:112], v[99:100], v[111:112], v[117:118]
	v_add_f64 v[101:102], v[101:102], v[119:120]
	v_add_f64 v[103:104], v[103:104], v[115:116]
	s_clause 0x2
	buffer_load_dword v126, off, s[0:3], 0 offset:572
	buffer_load_dword v116, off, s[0:3], 0 offset:548
	buffer_load_dword v115, off, s[0:3], 0 offset:544
	ds_read_b128 v[97:100], v139 offset:1040
	s_waitcnt vmcnt(58) lgkmcnt(1)
	v_mul_f64 v[119:120], v[3:4], v[131:132]
	s_waitcnt vmcnt(56)
	v_fma_f64 v[127:128], v[93:94], v[133:134], -v[127:128]
	v_mul_f64 v[117:118], v[1:2], v[131:132]
	v_add_f64 v[101:102], v[101:102], v[123:124]
	v_fma_f64 v[123:124], v[95:96], v[133:134], v[181:182]
	v_add_f64 v[103:104], v[103:104], v[111:112]
	s_clause 0x4
	buffer_load_dword v112, off, s[0:3], 0 offset:588
	buffer_load_dword v131, off, s[0:3], 0 offset:600
	;; [unrolled: 1-line block ×5, first 2 shown]
	s_waitcnt vmcnt(57) lgkmcnt(0)
	v_mul_f64 v[181:182], v[97:98], v[135:136]
	v_mul_f64 v[134:135], v[99:100], v[135:136]
	s_waitcnt vmcnt(56)
	v_fma_f64 v[119:120], v[1:2], v[121:122], -v[119:120]
	ds_read_b128 v[93:96], v139 offset:1056
	v_fma_f64 v[117:118], v[3:4], v[121:122], v[117:118]
	s_clause 0x2
	buffer_load_dword v132, off, s[0:3], 0 offset:604
	buffer_load_dword v122, off, s[0:3], 0 offset:580
	;; [unrolled: 1-line block ×3, first 2 shown]
	ds_read_b128 v[1:4], v139 offset:1072
	v_add_f64 v[101:102], v[101:102], v[127:128]
	v_add_f64 v[103:104], v[103:104], v[123:124]
	s_waitcnt vmcnt(58) lgkmcnt(1)
	v_mul_f64 v[127:128], v[95:96], v[154:155]
	s_waitcnt vmcnt(56)
	v_fma_f64 v[135:136], v[97:98], v[156:157], -v[134:135]
	v_mul_f64 v[123:124], v[93:94], v[154:155]
	v_add_f64 v[101:102], v[101:102], v[119:120]
	v_fma_f64 v[119:120], v[99:100], v[156:157], v[181:182]
	v_add_f64 v[103:104], v[103:104], v[117:118]
	s_clause 0x4
	buffer_load_dword v118, off, s[0:3], 0 offset:620
	buffer_load_dword v154, off, s[0:3], 0 offset:632
	;; [unrolled: 1-line block ×5, first 2 shown]
	s_waitcnt vmcnt(57) lgkmcnt(0)
	v_mul_f64 v[181:182], v[1:2], v[158:159]
	v_mul_f64 v[157:158], v[3:4], v[158:159]
	s_waitcnt vmcnt(56)
	v_fma_f64 v[127:128], v[93:94], v[129:130], -v[127:128]
	ds_read_b128 v[97:100], v139 offset:1088
	v_fma_f64 v[123:124], v[95:96], v[129:130], v[123:124]
	v_add_f64 v[101:102], v[101:102], v[135:136]
	v_add_f64 v[103:104], v[103:104], v[119:120]
	s_clause 0x2
	buffer_load_dword v155, off, s[0:3], 0 offset:636
	buffer_load_dword v120, off, s[0:3], 0 offset:612
	;; [unrolled: 1-line block ×3, first 2 shown]
	ds_read_b128 v[93:96], v139 offset:1104
	s_waitcnt vmcnt(58) lgkmcnt(1)
	v_mul_f64 v[135:136], v[99:100], v[160:161]
	s_waitcnt vmcnt(56)
	v_fma_f64 v[158:159], v[1:2], v[162:163], -v[157:158]
	v_mul_f64 v[129:130], v[97:98], v[160:161]
	v_add_f64 v[101:102], v[101:102], v[127:128]
	v_fma_f64 v[127:128], v[3:4], v[162:163], v[181:182]
	v_add_f64 v[103:104], v[103:104], v[123:124]
	s_clause 0x4
	buffer_load_dword v124, off, s[0:3], 0 offset:652
	buffer_load_dword v160, off, s[0:3], 0 offset:664
	;; [unrolled: 1-line block ×5, first 2 shown]
	s_waitcnt vmcnt(57) lgkmcnt(0)
	v_mul_f64 v[181:182], v[93:94], v[166:167]
	v_mul_f64 v[166:167], v[95:96], v[166:167]
	s_waitcnt vmcnt(56)
	v_fma_f64 v[135:136], v[97:98], v[137:138], -v[135:136]
	ds_read_b128 v[1:4], v139 offset:1120
	v_fma_f64 v[129:130], v[99:100], v[137:138], v[129:130]
	v_add_f64 v[101:102], v[101:102], v[158:159]
	v_add_f64 v[103:104], v[103:104], v[127:128]
	s_clause 0x2
	buffer_load_dword v161, off, s[0:3], 0 offset:668
	buffer_load_dword v128, off, s[0:3], 0 offset:644
	;; [unrolled: 1-line block ×3, first 2 shown]
	ds_read_b128 v[97:100], v139 offset:1136
	s_waitcnt vmcnt(58) lgkmcnt(1)
	v_mul_f64 v[158:159], v[3:4], v[168:169]
	s_waitcnt vmcnt(56)
	v_fma_f64 v[166:167], v[93:94], v[173:174], -v[166:167]
	v_mul_f64 v[137:138], v[1:2], v[168:169]
	v_add_f64 v[101:102], v[101:102], v[135:136]
	v_fma_f64 v[135:136], v[95:96], v[173:174], v[181:182]
	v_add_f64 v[103:104], v[103:104], v[129:130]
	s_clause 0x4
	buffer_load_dword v130, off, s[0:3], 0 offset:684
	buffer_load_dword v168, off, s[0:3], 0 offset:696
	;; [unrolled: 1-line block ×5, first 2 shown]
	ds_read_b128 v[93:96], v139 offset:1152
	s_waitcnt vmcnt(57) lgkmcnt(1)
	v_mul_f64 v[173:174], v[97:98], v[164:165]
	v_mul_f64 v[164:165], v[99:100], v[164:165]
	s_waitcnt vmcnt(56)
	v_fma_f64 v[158:159], v[1:2], v[170:171], -v[158:159]
	v_fma_f64 v[137:138], v[3:4], v[170:171], v[137:138]
	v_add_f64 v[101:102], v[101:102], v[166:167]
	v_add_f64 v[103:104], v[103:104], v[135:136]
	s_clause 0x2
	buffer_load_dword v169, off, s[0:3], 0 offset:700
	buffer_load_dword v136, off, s[0:3], 0 offset:676
	;; [unrolled: 1-line block ×3, first 2 shown]
	ds_read_b128 v[1:4], v139 offset:1168
	s_waitcnt vmcnt(58) lgkmcnt(1)
	v_mul_f64 v[170:171], v[95:96], v[177:178]
	v_mul_f64 v[166:167], v[93:94], v[177:178]
	s_waitcnt vmcnt(56)
	v_fma_f64 v[164:165], v[97:98], v[146:147], -v[164:165]
	v_fma_f64 v[146:147], v[99:100], v[146:147], v[173:174]
	v_add_f64 v[101:102], v[101:102], v[158:159]
	v_add_f64 v[103:104], v[103:104], v[137:138]
	s_clause 0x2
	buffer_load_dword v138, off, s[0:3], 0 offset:716
	buffer_load_dword v137, off, s[0:3], 0 offset:712
	;; [unrolled: 1-line block ×3, first 2 shown]
	ds_read_b128 v[97:100], v139 offset:1184
	s_waitcnt vmcnt(55) lgkmcnt(1)
	v_mul_f64 v[158:159], v[1:2], v[113:114]
	v_mul_f64 v[113:114], v[3:4], v[113:114]
	s_waitcnt vmcnt(54)
	v_fma_f64 v[170:171], v[93:94], v[179:180], -v[170:171]
	v_add_f64 v[101:102], v[101:102], v[164:165]
	v_fma_f64 v[164:165], v[95:96], v[179:180], v[166:167]
	v_add_f64 v[103:104], v[103:104], v[146:147]
	s_clause 0x1
	buffer_load_dword v147, off, s[0:3], 0 offset:708
	buffer_load_dword v146, off, s[0:3], 0 offset:704
	ds_read_b128 v[93:96], v139 offset:1200
	s_waitcnt vmcnt(55) lgkmcnt(1)
	v_mul_f64 v[166:167], v[97:98], v[150:151]
	v_mul_f64 v[150:151], v[99:100], v[150:151]
	s_waitcnt vmcnt(53)
	v_fma_f64 v[113:114], v[1:2], v[107:108], -v[113:114]
	v_fma_f64 v[107:108], v[3:4], v[107:108], v[158:159]
	ds_read_b128 v[1:4], v139 offset:1216
	v_add_f64 v[101:102], v[101:102], v[170:171]
	v_add_f64 v[103:104], v[103:104], v[164:165]
	s_waitcnt vmcnt(49) lgkmcnt(1)
	v_mul_f64 v[158:159], v[93:94], v[140:141]
	v_mul_f64 v[140:141], v[95:96], v[140:141]
	s_waitcnt vmcnt(48)
	v_fma_f64 v[150:151], v[97:98], v[175:176], -v[150:151]
	v_add_f64 v[101:102], v[101:102], v[113:114]
	v_fma_f64 v[113:114], v[99:100], v[175:176], v[166:167]
	v_add_f64 v[103:104], v[103:104], v[107:108]
	s_clause 0x3
	buffer_load_dword v107, off, s[0:3], 0 offset:160
	buffer_load_dword v108, off, s[0:3], 0 offset:164
	;; [unrolled: 1-line block ×4, first 2 shown]
	ds_read_b128 v[97:100], v139 offset:1232
	s_waitcnt vmcnt(51) lgkmcnt(1)
	v_mul_f64 v[166:167], v[1:2], v[142:143]
	v_mul_f64 v[142:143], v[3:4], v[142:143]
	s_waitcnt vmcnt(49)
	v_fma_f64 v[140:141], v[93:94], v[109:110], -v[140:141]
	v_fma_f64 v[109:110], v[95:96], v[109:110], v[158:159]
	ds_read_b128 v[93:96], v139 offset:1248
	v_add_f64 v[101:102], v[101:102], v[150:151]
	v_add_f64 v[103:104], v[103:104], v[113:114]
	s_waitcnt vmcnt(45) lgkmcnt(1)
	v_mul_f64 v[113:114], v[97:98], v[105:106]
	v_mul_f64 v[105:106], v[99:100], v[105:106]
	s_waitcnt vmcnt(44)
	v_fma_f64 v[142:143], v[1:2], v[152:153], -v[142:143]
	v_add_f64 v[101:102], v[101:102], v[140:141]
	v_fma_f64 v[140:141], v[3:4], v[152:153], v[166:167]
	v_add_f64 v[103:104], v[103:104], v[109:110]
	ds_read_b128 v[1:4], v139 offset:1264
	s_waitcnt vmcnt(43) lgkmcnt(1)
	v_mul_f64 v[109:110], v[93:94], v[125:126]
	v_mul_f64 v[125:126], v[95:96], v[125:126]
	s_waitcnt vmcnt(41)
	v_fma_f64 v[105:106], v[97:98], v[115:116], -v[105:106]
	v_fma_f64 v[113:114], v[99:100], v[115:116], v[113:114]
	ds_read_b128 v[97:100], v139 offset:1280
	v_add_f64 v[101:102], v[101:102], v[142:143]
	v_add_f64 v[103:104], v[103:104], v[140:141]
	s_waitcnt vmcnt(37) lgkmcnt(1)
	v_mul_f64 v[115:116], v[1:2], v[111:112]
	v_mul_f64 v[111:112], v[3:4], v[111:112]
	s_waitcnt vmcnt(36)
	v_fma_f64 v[125:126], v[93:94], v[144:145], -v[125:126]
	v_add_f64 v[101:102], v[101:102], v[105:106]
	v_fma_f64 v[105:106], v[95:96], v[144:145], v[109:110]
	v_add_f64 v[103:104], v[103:104], v[113:114]
	s_waitcnt vmcnt(35) lgkmcnt(0)
	v_mul_f64 v[113:114], v[99:100], v[131:132]
	ds_read_b128 v[93:96], v139 offset:1296
	v_mul_f64 v[109:110], v[97:98], v[131:132]
	s_waitcnt vmcnt(33)
	v_fma_f64 v[115:116], v[3:4], v[121:122], v[115:116]
	v_fma_f64 v[111:112], v[1:2], v[121:122], -v[111:112]
	ds_read_b128 v[1:4], v139 offset:1312
	v_add_f64 v[101:102], v[101:102], v[125:126]
	v_add_f64 v[103:104], v[103:104], v[105:106]
	s_waitcnt vmcnt(29) lgkmcnt(1)
	v_mul_f64 v[105:106], v[93:94], v[117:118]
	v_mul_f64 v[117:118], v[95:96], v[117:118]
	s_waitcnt vmcnt(28)
	v_fma_f64 v[113:114], v[97:98], v[133:134], -v[113:114]
	v_fma_f64 v[109:110], v[99:100], v[133:134], v[109:110]
	ds_read_b128 v[97:100], v139 offset:1328
	v_add_f64 v[101:102], v[101:102], v[111:112]
	v_add_f64 v[103:104], v[103:104], v[115:116]
	s_waitcnt vmcnt(27) lgkmcnt(1)
	v_mul_f64 v[115:116], v[3:4], v[154:155]
	v_mul_f64 v[111:112], v[1:2], v[154:155]
	s_waitcnt vmcnt(25)
	v_fma_f64 v[117:118], v[93:94], v[119:120], -v[117:118]
	v_fma_f64 v[105:106], v[95:96], v[119:120], v[105:106]
	ds_read_b128 v[93:96], v139 offset:1344
	v_add_f64 v[101:102], v[101:102], v[113:114]
	v_add_f64 v[103:104], v[103:104], v[109:110]
	s_waitcnt vmcnt(21) lgkmcnt(1)
	v_mul_f64 v[113:114], v[99:100], v[123:124]
	s_waitcnt vmcnt(20)
	v_fma_f64 v[115:116], v[1:2], v[156:157], -v[115:116]
	v_mul_f64 v[109:110], v[97:98], v[123:124]
	v_fma_f64 v[111:112], v[3:4], v[156:157], v[111:112]
	ds_read_b128 v[1:4], v139 offset:1360
	v_add_f64 v[101:102], v[101:102], v[117:118]
	v_add_f64 v[103:104], v[103:104], v[105:106]
	s_waitcnt vmcnt(19) lgkmcnt(1)
	v_mul_f64 v[117:118], v[95:96], v[160:161]
	v_mul_f64 v[105:106], v[93:94], v[160:161]
	s_waitcnt vmcnt(17)
	v_fma_f64 v[113:114], v[97:98], v[127:128], -v[113:114]
	v_fma_f64 v[109:110], v[99:100], v[127:128], v[109:110]
	ds_read_b128 v[97:100], v139 offset:1376
	v_add_f64 v[101:102], v[101:102], v[115:116]
	v_add_f64 v[103:104], v[103:104], v[111:112]
	s_waitcnt vmcnt(13) lgkmcnt(1)
	v_mul_f64 v[115:116], v[3:4], v[129:130]
	s_waitcnt vmcnt(12)
	v_fma_f64 v[117:118], v[93:94], v[162:163], -v[117:118]
	v_mul_f64 v[111:112], v[1:2], v[129:130]
	v_fma_f64 v[105:106], v[95:96], v[162:163], v[105:106]
	ds_read_b128 v[93:96], v139 offset:1392
	v_add_f64 v[101:102], v[101:102], v[113:114]
	v_add_f64 v[103:104], v[103:104], v[109:110]
	s_waitcnt vmcnt(11) lgkmcnt(1)
	v_mul_f64 v[113:114], v[99:100], v[168:169]
	v_mul_f64 v[109:110], v[97:98], v[168:169]
	s_waitcnt vmcnt(9)
	v_fma_f64 v[1:2], v[1:2], v[135:136], -v[115:116]
	v_fma_f64 v[3:4], v[3:4], v[135:136], v[111:112]
	v_add_f64 v[101:102], v[101:102], v[117:118]
	v_add_f64 v[103:104], v[103:104], v[105:106]
	s_waitcnt vmcnt(7) lgkmcnt(0)
	v_mul_f64 v[111:112], v[95:96], v[137:138]
	s_waitcnt vmcnt(6)
	v_fma_f64 v[97:98], v[97:98], v[172:173], -v[113:114]
	v_mul_f64 v[105:106], v[93:94], v[137:138]
	v_fma_f64 v[99:100], v[99:100], v[172:173], v[109:110]
	v_add_f64 v[1:2], v[101:102], v[1:2]
	v_add_f64 v[3:4], v[103:104], v[3:4]
	s_waitcnt vmcnt(4)
	v_fma_f64 v[93:94], v[93:94], v[146:147], -v[111:112]
	v_fma_f64 v[95:96], v[95:96], v[146:147], v[105:106]
	v_add_f64 v[1:2], v[1:2], v[97:98]
	v_add_f64 v[3:4], v[3:4], v[99:100]
	;; [unrolled: 1-line block ×4, first 2 shown]
	s_waitcnt vmcnt(2)
	v_add_f64 v[1:2], v[107:108], -v[1:2]
	s_waitcnt vmcnt(0)
	v_add_f64 v[3:4], v[164:165], -v[3:4]
	buffer_store_dword v2, off, s[0:3], 0 offset:164
	buffer_store_dword v1, off, s[0:3], 0 offset:160
	;; [unrolled: 1-line block ×4, first 2 shown]
	v_cmpx_lt_u32_e32 8, v0
	s_cbranch_execz .LBB107_261
; %bb.260:
	v_mov_b32_e32 v4, s48
	v_mov_b32_e32 v93, 0
	s_clause 0x3
	buffer_load_dword v1, v4, s[0:3], 0 offen
	buffer_load_dword v2, v4, s[0:3], 0 offen offset:4
	buffer_load_dword v3, v4, s[0:3], 0 offen offset:8
	;; [unrolled: 1-line block ×3, first 2 shown]
	buffer_store_dword v93, off, s[0:3], 0 offset:144
	buffer_store_dword v93, off, s[0:3], 0 offset:148
	;; [unrolled: 1-line block ×4, first 2 shown]
	s_waitcnt vmcnt(0)
	ds_write_b128 v149, v[1:4]
.LBB107_261:
	s_or_b32 exec_lo, exec_lo, s4
	s_waitcnt lgkmcnt(0)
	s_waitcnt_vscnt null, 0x0
	s_barrier
	buffer_gl0_inv
	s_clause 0x37
	buffer_load_dword v97, off, s[0:3], 0 offset:168
	buffer_load_dword v98, off, s[0:3], 0 offset:172
	;; [unrolled: 1-line block ×56, first 2 shown]
	v_mov_b32_e32 v150, 0
	s_mov_b32 s4, exec_lo
	ds_read_b128 v[151:154], v150 offset:848
	s_clause 0x2
	buffer_load_dword v146, off, s[0:3], 0 offset:396
	buffer_load_dword v148, off, s[0:3], 0 offset:372
	;; [unrolled: 1-line block ×3, first 2 shown]
	ds_read_b128 v[155:158], v150 offset:864
	s_clause 0x4
	buffer_load_dword v166, off, s[0:3], 0 offset:412
	buffer_load_dword v167, off, s[0:3], 0 offset:424
	;; [unrolled: 1-line block ×5, first 2 shown]
	ds_read_b128 v[159:162], v150 offset:880
	s_clause 0x2
	buffer_load_dword v168, off, s[0:3], 0 offset:428
	buffer_load_dword v173, off, s[0:3], 0 offset:404
	;; [unrolled: 1-line block ×3, first 2 shown]
	s_waitcnt vmcnt(62) lgkmcnt(2)
	v_mul_f64 v[163:164], v[153:154], v[97:98]
	v_mul_f64 v[97:98], v[151:152], v[97:98]
	s_waitcnt lgkmcnt(1)
	v_mul_f64 v[170:171], v[157:158], v[93:94]
	s_waitcnt vmcnt(59) lgkmcnt(0)
	v_mul_f64 v[174:175], v[161:162], v[3:4]
	v_fma_f64 v[151:152], v[151:152], v[95:96], -v[163:164]
	v_mul_f64 v[163:164], v[155:156], v[93:94]
	v_fma_f64 v[97:98], v[153:154], v[95:96], v[97:98]
	s_waitcnt vmcnt(57)
	v_fma_f64 v[155:156], v[155:156], v[1:2], -v[170:171]
	ds_read_b128 v[93:96], v150 offset:896
	v_mul_f64 v[153:154], v[159:160], v[3:4]
	s_waitcnt vmcnt(51)
	v_fma_f64 v[159:160], v[159:160], v[113:114], -v[174:175]
	v_add_f64 v[151:152], v[151:152], 0
	v_fma_f64 v[157:158], v[157:158], v[1:2], v[163:164]
	v_add_f64 v[97:98], v[97:98], 0
	s_clause 0x4
	buffer_load_dword v164, off, s[0:3], 0 offset:444
	buffer_load_dword v176, off, s[0:3], 0 offset:456
	;; [unrolled: 1-line block ×5, first 2 shown]
	s_waitcnt lgkmcnt(0)
	v_mul_f64 v[179:180], v[93:94], v[101:102]
	v_mul_f64 v[101:102], v[95:96], v[101:102]
	ds_read_b128 v[1:4], v150 offset:912
	v_fma_f64 v[113:114], v[161:162], v[113:114], v[153:154]
	v_add_f64 v[155:156], v[151:152], v[155:156]
	v_add_f64 v[97:98], v[97:98], v[157:158]
	s_clause 0x2
	buffer_load_dword v177, off, s[0:3], 0 offset:460
	buffer_load_dword v158, off, s[0:3], 0 offset:436
	;; [unrolled: 1-line block ×3, first 2 shown]
	s_waitcnt vmcnt(58) lgkmcnt(0)
	v_mul_f64 v[161:162], v[1:2], v[105:106]
	v_mul_f64 v[105:106], v[3:4], v[105:106]
	s_waitcnt vmcnt(56)
	v_fma_f64 v[101:102], v[93:94], v[107:108], -v[101:102]
	ds_read_b128 v[151:154], v150 offset:928
	v_fma_f64 v[107:108], v[95:96], v[107:108], v[179:180]
	v_add_f64 v[155:156], v[155:156], v[159:160]
	v_add_f64 v[97:98], v[97:98], v[113:114]
	s_clause 0x4
	buffer_load_dword v114, off, s[0:3], 0 offset:476
	buffer_load_dword v159, off, s[0:3], 0 offset:488
	;; [unrolled: 1-line block ×5, first 2 shown]
	ds_read_b128 v[93:96], v150 offset:944
	s_waitcnt vmcnt(57) lgkmcnt(1)
	v_mul_f64 v[180:181], v[151:152], v[109:110]
	v_mul_f64 v[109:110], v[153:154], v[109:110]
	s_waitcnt vmcnt(56)
	v_fma_f64 v[105:106], v[1:2], v[99:100], -v[105:106]
	v_fma_f64 v[99:100], v[3:4], v[99:100], v[161:162]
	v_add_f64 v[101:102], v[155:156], v[101:102]
	v_add_f64 v[97:98], v[97:98], v[107:108]
	s_clause 0x2
	buffer_load_dword v160, off, s[0:3], 0 offset:492
	buffer_load_dword v108, off, s[0:3], 0 offset:468
	;; [unrolled: 1-line block ×3, first 2 shown]
	s_waitcnt vmcnt(58) lgkmcnt(0)
	v_mul_f64 v[155:156], v[93:94], v[115:116]
	v_mul_f64 v[115:116], v[95:96], v[115:116]
	s_waitcnt vmcnt(56)
	v_fma_f64 v[109:110], v[151:152], v[117:118], -v[109:110]
	ds_read_b128 v[1:4], v150 offset:960
	v_add_f64 v[101:102], v[101:102], v[105:106]
	v_fma_f64 v[105:106], v[153:154], v[117:118], v[180:181]
	v_add_f64 v[117:118], v[97:98], v[99:100]
	s_clause 0x4
	buffer_load_dword v152, off, s[0:3], 0 offset:508
	buffer_load_dword v153, off, s[0:3], 0 offset:520
	;; [unrolled: 1-line block ×5, first 2 shown]
	ds_read_b128 v[97:100], v150 offset:976
	s_waitcnt vmcnt(57) lgkmcnt(1)
	v_mul_f64 v[180:181], v[1:2], v[119:120]
	v_mul_f64 v[119:120], v[3:4], v[119:120]
	s_waitcnt vmcnt(56)
	v_fma_f64 v[115:116], v[93:94], v[103:104], -v[115:116]
	v_fma_f64 v[103:104], v[95:96], v[103:104], v[155:156]
	v_add_f64 v[101:102], v[101:102], v[109:110]
	s_clause 0x2
	buffer_load_dword v154, off, s[0:3], 0 offset:524
	buffer_load_dword v110, off, s[0:3], 0 offset:500
	buffer_load_dword v109, off, s[0:3], 0 offset:496
	v_add_f64 v[105:106], v[117:118], v[105:106]
	s_waitcnt vmcnt(58) lgkmcnt(0)
	v_mul_f64 v[117:118], v[97:98], v[123:124]
	v_mul_f64 v[123:124], v[99:100], v[123:124]
	ds_read_b128 v[93:96], v150 offset:992
	s_waitcnt vmcnt(56)
	v_fma_f64 v[119:120], v[1:2], v[125:126], -v[119:120]
	v_add_f64 v[101:102], v[101:102], v[115:116]
	v_fma_f64 v[115:116], v[3:4], v[125:126], v[180:181]
	v_add_f64 v[103:104], v[105:106], v[103:104]
	s_clause 0x4
	buffer_load_dword v106, off, s[0:3], 0 offset:540
	buffer_load_dword v125, off, s[0:3], 0 offset:552
	;; [unrolled: 1-line block ×5, first 2 shown]
	s_waitcnt vmcnt(57) lgkmcnt(0)
	v_mul_f64 v[180:181], v[93:94], v[127:128]
	v_mul_f64 v[127:128], v[95:96], v[127:128]
	s_waitcnt vmcnt(56)
	v_fma_f64 v[123:124], v[97:98], v[111:112], -v[123:124]
	ds_read_b128 v[1:4], v150 offset:1008
	v_fma_f64 v[111:112], v[99:100], v[111:112], v[117:118]
	v_add_f64 v[101:102], v[101:102], v[119:120]
	v_add_f64 v[103:104], v[103:104], v[115:116]
	s_clause 0x2
	buffer_load_dword v126, off, s[0:3], 0 offset:556
	buffer_load_dword v116, off, s[0:3], 0 offset:532
	;; [unrolled: 1-line block ×3, first 2 shown]
	ds_read_b128 v[97:100], v150 offset:1024
	s_waitcnt vmcnt(58) lgkmcnt(1)
	v_mul_f64 v[119:120], v[3:4], v[131:132]
	s_waitcnt vmcnt(56)
	v_fma_f64 v[127:128], v[93:94], v[133:134], -v[127:128]
	v_mul_f64 v[117:118], v[1:2], v[131:132]
	v_add_f64 v[101:102], v[101:102], v[123:124]
	v_fma_f64 v[123:124], v[95:96], v[133:134], v[180:181]
	v_add_f64 v[103:104], v[103:104], v[111:112]
	s_clause 0x4
	buffer_load_dword v112, off, s[0:3], 0 offset:572
	buffer_load_dword v131, off, s[0:3], 0 offset:584
	;; [unrolled: 1-line block ×5, first 2 shown]
	s_waitcnt vmcnt(57) lgkmcnt(0)
	v_mul_f64 v[180:181], v[97:98], v[135:136]
	v_mul_f64 v[134:135], v[99:100], v[135:136]
	s_waitcnt vmcnt(56)
	v_fma_f64 v[119:120], v[1:2], v[121:122], -v[119:120]
	ds_read_b128 v[93:96], v150 offset:1040
	v_fma_f64 v[117:118], v[3:4], v[121:122], v[117:118]
	s_clause 0x2
	buffer_load_dword v132, off, s[0:3], 0 offset:588
	buffer_load_dword v122, off, s[0:3], 0 offset:564
	;; [unrolled: 1-line block ×3, first 2 shown]
	ds_read_b128 v[1:4], v150 offset:1056
	v_add_f64 v[101:102], v[101:102], v[127:128]
	v_add_f64 v[103:104], v[103:104], v[123:124]
	s_waitcnt vmcnt(58) lgkmcnt(1)
	v_mul_f64 v[127:128], v[95:96], v[139:140]
	s_waitcnt vmcnt(56)
	v_fma_f64 v[135:136], v[97:98], v[141:142], -v[134:135]
	v_mul_f64 v[123:124], v[93:94], v[139:140]
	v_add_f64 v[101:102], v[101:102], v[119:120]
	v_fma_f64 v[119:120], v[99:100], v[141:142], v[180:181]
	v_add_f64 v[103:104], v[103:104], v[117:118]
	s_clause 0x4
	buffer_load_dword v118, off, s[0:3], 0 offset:604
	buffer_load_dword v139, off, s[0:3], 0 offset:616
	;; [unrolled: 1-line block ×5, first 2 shown]
	s_waitcnt vmcnt(57) lgkmcnt(0)
	v_mul_f64 v[180:181], v[1:2], v[143:144]
	v_mul_f64 v[142:143], v[3:4], v[143:144]
	s_waitcnt vmcnt(56)
	v_fma_f64 v[127:128], v[93:94], v[129:130], -v[127:128]
	ds_read_b128 v[97:100], v150 offset:1072
	v_fma_f64 v[123:124], v[95:96], v[129:130], v[123:124]
	v_add_f64 v[101:102], v[101:102], v[135:136]
	v_add_f64 v[103:104], v[103:104], v[119:120]
	s_clause 0x2
	buffer_load_dword v140, off, s[0:3], 0 offset:620
	buffer_load_dword v120, off, s[0:3], 0 offset:596
	;; [unrolled: 1-line block ×3, first 2 shown]
	ds_read_b128 v[93:96], v150 offset:1088
	s_waitcnt vmcnt(58) lgkmcnt(1)
	v_mul_f64 v[135:136], v[99:100], v[145:146]
	s_waitcnt vmcnt(56)
	v_fma_f64 v[143:144], v[1:2], v[147:148], -v[142:143]
	v_mul_f64 v[129:130], v[97:98], v[145:146]
	v_add_f64 v[101:102], v[101:102], v[127:128]
	v_fma_f64 v[127:128], v[3:4], v[147:148], v[180:181]
	v_add_f64 v[103:104], v[103:104], v[123:124]
	s_clause 0x4
	buffer_load_dword v124, off, s[0:3], 0 offset:636
	buffer_load_dword v145, off, s[0:3], 0 offset:648
	;; [unrolled: 1-line block ×5, first 2 shown]
	s_waitcnt vmcnt(57) lgkmcnt(0)
	v_mul_f64 v[180:181], v[93:94], v[165:166]
	v_mul_f64 v[165:166], v[95:96], v[165:166]
	s_waitcnt vmcnt(56)
	v_fma_f64 v[135:136], v[97:98], v[137:138], -v[135:136]
	ds_read_b128 v[1:4], v150 offset:1104
	v_fma_f64 v[129:130], v[99:100], v[137:138], v[129:130]
	v_add_f64 v[101:102], v[101:102], v[143:144]
	v_add_f64 v[103:104], v[103:104], v[127:128]
	s_clause 0x2
	buffer_load_dword v146, off, s[0:3], 0 offset:652
	buffer_load_dword v128, off, s[0:3], 0 offset:628
	;; [unrolled: 1-line block ×3, first 2 shown]
	ds_read_b128 v[97:100], v150 offset:1120
	s_waitcnt vmcnt(58) lgkmcnt(1)
	v_mul_f64 v[143:144], v[3:4], v[167:168]
	s_waitcnt vmcnt(56)
	v_fma_f64 v[165:166], v[93:94], v[172:173], -v[165:166]
	v_mul_f64 v[137:138], v[1:2], v[167:168]
	v_add_f64 v[101:102], v[101:102], v[135:136]
	v_fma_f64 v[135:136], v[95:96], v[172:173], v[180:181]
	v_add_f64 v[103:104], v[103:104], v[129:130]
	s_clause 0x4
	buffer_load_dword v130, off, s[0:3], 0 offset:668
	buffer_load_dword v167, off, s[0:3], 0 offset:680
	;; [unrolled: 1-line block ×5, first 2 shown]
	ds_read_b128 v[93:96], v150 offset:1136
	s_waitcnt vmcnt(57) lgkmcnt(1)
	v_mul_f64 v[172:173], v[97:98], v[163:164]
	v_mul_f64 v[163:164], v[99:100], v[163:164]
	s_waitcnt vmcnt(56)
	v_fma_f64 v[143:144], v[1:2], v[169:170], -v[143:144]
	v_fma_f64 v[137:138], v[3:4], v[169:170], v[137:138]
	v_add_f64 v[101:102], v[101:102], v[165:166]
	v_add_f64 v[103:104], v[103:104], v[135:136]
	s_clause 0x2
	buffer_load_dword v168, off, s[0:3], 0 offset:684
	buffer_load_dword v136, off, s[0:3], 0 offset:660
	;; [unrolled: 1-line block ×3, first 2 shown]
	ds_read_b128 v[1:4], v150 offset:1152
	s_waitcnt vmcnt(58) lgkmcnt(1)
	v_mul_f64 v[169:170], v[95:96], v[176:177]
	v_mul_f64 v[165:166], v[93:94], v[176:177]
	s_waitcnt vmcnt(56)
	v_fma_f64 v[163:164], v[97:98], v[157:158], -v[163:164]
	v_add_f64 v[101:102], v[101:102], v[143:144]
	v_fma_f64 v[143:144], v[99:100], v[157:158], v[172:173]
	v_add_f64 v[103:104], v[103:104], v[137:138]
	s_clause 0x4
	buffer_load_dword v138, off, s[0:3], 0 offset:700
	buffer_load_dword v157, off, s[0:3], 0 offset:712
	;; [unrolled: 1-line block ×5, first 2 shown]
	ds_read_b128 v[97:100], v150 offset:1168
	s_waitcnt vmcnt(57) lgkmcnt(1)
	v_mul_f64 v[180:181], v[1:2], v[113:114]
	v_mul_f64 v[113:114], v[3:4], v[113:114]
	s_waitcnt vmcnt(56)
	v_fma_f64 v[169:170], v[93:94], v[178:179], -v[169:170]
	v_add_f64 v[101:102], v[101:102], v[163:164]
	v_fma_f64 v[163:164], v[95:96], v[178:179], v[165:166]
	v_add_f64 v[103:104], v[103:104], v[143:144]
	s_clause 0x2
	buffer_load_dword v158, off, s[0:3], 0 offset:716
	buffer_load_dword v144, off, s[0:3], 0 offset:692
	;; [unrolled: 1-line block ×3, first 2 shown]
	ds_read_b128 v[93:96], v150 offset:1184
	buffer_load_dword v177, off, s[0:3], 0 offset:708
	s_waitcnt vmcnt(59) lgkmcnt(1)
	v_mul_f64 v[165:166], v[97:98], v[159:160]
	v_mul_f64 v[159:160], v[99:100], v[159:160]
	s_waitcnt vmcnt(57)
	v_fma_f64 v[113:114], v[1:2], v[107:108], -v[113:114]
	v_fma_f64 v[107:108], v[3:4], v[107:108], v[180:181]
	ds_read_b128 v[1:4], v150 offset:1200
	v_add_f64 v[101:102], v[101:102], v[169:170]
	v_add_f64 v[103:104], v[103:104], v[163:164]
	s_waitcnt vmcnt(53) lgkmcnt(1)
	v_mul_f64 v[163:164], v[93:94], v[151:152]
	v_mul_f64 v[151:152], v[95:96], v[151:152]
	s_waitcnt vmcnt(52)
	v_fma_f64 v[159:160], v[97:98], v[174:175], -v[159:160]
	v_add_f64 v[101:102], v[101:102], v[113:114]
	v_fma_f64 v[113:114], v[99:100], v[174:175], v[165:166]
	v_add_f64 v[103:104], v[103:104], v[107:108]
	ds_read_b128 v[97:100], v150 offset:1216
	s_waitcnt vmcnt(51) lgkmcnt(1)
	v_mul_f64 v[107:108], v[1:2], v[153:154]
	v_mul_f64 v[153:154], v[3:4], v[153:154]
	s_waitcnt vmcnt(49)
	v_fma_f64 v[151:152], v[93:94], v[109:110], -v[151:152]
	v_fma_f64 v[109:110], v[95:96], v[109:110], v[163:164]
	v_add_f64 v[101:102], v[101:102], v[159:160]
	v_add_f64 v[103:104], v[103:104], v[113:114]
	s_clause 0x3
	buffer_load_dword v113, off, s[0:3], 0 offset:144
	buffer_load_dword v114, off, s[0:3], 0 offset:148
	;; [unrolled: 1-line block ×4, first 2 shown]
	ds_read_b128 v[93:96], v150 offset:1232
	s_waitcnt vmcnt(49) lgkmcnt(1)
	v_mul_f64 v[163:164], v[97:98], v[105:106]
	v_mul_f64 v[105:106], v[99:100], v[105:106]
	s_waitcnt vmcnt(48)
	v_fma_f64 v[153:154], v[1:2], v[161:162], -v[153:154]
	v_fma_f64 v[107:108], v[3:4], v[161:162], v[107:108]
	ds_read_b128 v[1:4], v150 offset:1248
	v_add_f64 v[101:102], v[101:102], v[151:152]
	v_add_f64 v[103:104], v[103:104], v[109:110]
	s_waitcnt vmcnt(47) lgkmcnt(1)
	v_mul_f64 v[109:110], v[93:94], v[125:126]
	v_mul_f64 v[125:126], v[95:96], v[125:126]
	s_waitcnt vmcnt(45)
	v_fma_f64 v[105:106], v[97:98], v[115:116], -v[105:106]
	v_fma_f64 v[115:116], v[99:100], v[115:116], v[163:164]
	ds_read_b128 v[97:100], v150 offset:1264
	v_add_f64 v[101:102], v[101:102], v[153:154]
	v_add_f64 v[103:104], v[103:104], v[107:108]
	s_waitcnt vmcnt(41) lgkmcnt(1)
	v_mul_f64 v[107:108], v[1:2], v[111:112]
	v_mul_f64 v[111:112], v[3:4], v[111:112]
	s_waitcnt vmcnt(40)
	v_fma_f64 v[125:126], v[93:94], v[155:156], -v[125:126]
	v_add_f64 v[101:102], v[101:102], v[105:106]
	v_fma_f64 v[105:106], v[95:96], v[155:156], v[109:110]
	v_add_f64 v[103:104], v[103:104], v[115:116]
	ds_read_b128 v[93:96], v150 offset:1280
	s_waitcnt vmcnt(39) lgkmcnt(1)
	v_mul_f64 v[115:116], v[99:100], v[131:132]
	v_mul_f64 v[109:110], v[97:98], v[131:132]
	s_waitcnt vmcnt(37)
	v_fma_f64 v[107:108], v[3:4], v[121:122], v[107:108]
	v_fma_f64 v[111:112], v[1:2], v[121:122], -v[111:112]
	ds_read_b128 v[1:4], v150 offset:1296
	v_add_f64 v[101:102], v[101:102], v[125:126]
	v_add_f64 v[103:104], v[103:104], v[105:106]
	s_waitcnt vmcnt(33) lgkmcnt(1)
	v_mul_f64 v[105:106], v[93:94], v[117:118]
	v_mul_f64 v[117:118], v[95:96], v[117:118]
	s_waitcnt vmcnt(32)
	v_fma_f64 v[115:116], v[97:98], v[133:134], -v[115:116]
	v_fma_f64 v[109:110], v[99:100], v[133:134], v[109:110]
	ds_read_b128 v[97:100], v150 offset:1312
	v_add_f64 v[101:102], v[101:102], v[111:112]
	v_add_f64 v[103:104], v[103:104], v[107:108]
	s_waitcnt vmcnt(31) lgkmcnt(1)
	v_mul_f64 v[111:112], v[3:4], v[139:140]
	v_mul_f64 v[107:108], v[1:2], v[139:140]
	s_waitcnt vmcnt(29)
	v_fma_f64 v[117:118], v[93:94], v[119:120], -v[117:118]
	v_fma_f64 v[105:106], v[95:96], v[119:120], v[105:106]
	ds_read_b128 v[93:96], v150 offset:1328
	v_add_f64 v[101:102], v[101:102], v[115:116]
	v_add_f64 v[103:104], v[103:104], v[109:110]
	s_waitcnt vmcnt(25) lgkmcnt(1)
	v_mul_f64 v[115:116], v[99:100], v[123:124]
	s_waitcnt vmcnt(24)
	v_fma_f64 v[111:112], v[1:2], v[141:142], -v[111:112]
	v_mul_f64 v[109:110], v[97:98], v[123:124]
	v_fma_f64 v[107:108], v[3:4], v[141:142], v[107:108]
	ds_read_b128 v[1:4], v150 offset:1344
	v_add_f64 v[101:102], v[101:102], v[117:118]
	v_add_f64 v[103:104], v[103:104], v[105:106]
	s_waitcnt vmcnt(23) lgkmcnt(1)
	v_mul_f64 v[117:118], v[95:96], v[145:146]
	v_mul_f64 v[105:106], v[93:94], v[145:146]
	s_waitcnt vmcnt(21)
	v_fma_f64 v[115:116], v[97:98], v[127:128], -v[115:116]
	v_fma_f64 v[109:110], v[99:100], v[127:128], v[109:110]
	ds_read_b128 v[97:100], v150 offset:1360
	v_add_f64 v[101:102], v[101:102], v[111:112]
	v_add_f64 v[103:104], v[103:104], v[107:108]
	s_waitcnt vmcnt(17) lgkmcnt(1)
	v_mul_f64 v[111:112], v[3:4], v[129:130]
	s_waitcnt vmcnt(16)
	v_fma_f64 v[117:118], v[93:94], v[147:148], -v[117:118]
	v_mul_f64 v[107:108], v[1:2], v[129:130]
	v_fma_f64 v[105:106], v[95:96], v[147:148], v[105:106]
	ds_read_b128 v[93:96], v150 offset:1376
	v_add_f64 v[101:102], v[101:102], v[115:116]
	v_add_f64 v[103:104], v[103:104], v[109:110]
	s_waitcnt vmcnt(15) lgkmcnt(1)
	v_mul_f64 v[115:116], v[99:100], v[167:168]
	v_mul_f64 v[109:110], v[97:98], v[167:168]
	s_waitcnt vmcnt(13)
	v_fma_f64 v[111:112], v[1:2], v[135:136], -v[111:112]
	v_fma_f64 v[107:108], v[3:4], v[135:136], v[107:108]
	ds_read_b128 v[1:4], v150 offset:1392
	v_add_f64 v[101:102], v[101:102], v[117:118]
	v_add_f64 v[103:104], v[103:104], v[105:106]
	s_waitcnt vmcnt(9) lgkmcnt(1)
	v_mul_f64 v[117:118], v[95:96], v[137:138]
	s_waitcnt vmcnt(8)
	v_fma_f64 v[97:98], v[97:98], v[171:172], -v[115:116]
	v_mul_f64 v[105:106], v[93:94], v[137:138]
	v_fma_f64 v[99:100], v[99:100], v[171:172], v[109:110]
	v_add_f64 v[101:102], v[101:102], v[111:112]
	v_add_f64 v[103:104], v[103:104], v[107:108]
	s_waitcnt vmcnt(7) lgkmcnt(0)
	v_mul_f64 v[109:110], v[3:4], v[157:158]
	v_mul_f64 v[107:108], v[1:2], v[157:158]
	s_waitcnt vmcnt(5)
	v_fma_f64 v[93:94], v[93:94], v[143:144], -v[117:118]
	v_fma_f64 v[95:96], v[95:96], v[143:144], v[105:106]
	v_add_f64 v[97:98], v[101:102], v[97:98]
	v_add_f64 v[99:100], v[103:104], v[99:100]
	s_waitcnt vmcnt(4)
	v_fma_f64 v[1:2], v[1:2], v[176:177], -v[109:110]
	v_fma_f64 v[3:4], v[3:4], v[176:177], v[107:108]
	v_add_f64 v[93:94], v[97:98], v[93:94]
	v_add_f64 v[95:96], v[99:100], v[95:96]
	;; [unrolled: 1-line block ×4, first 2 shown]
	s_waitcnt vmcnt(2)
	v_add_f64 v[1:2], v[113:114], -v[1:2]
	s_waitcnt vmcnt(0)
	v_add_f64 v[3:4], v[159:160], -v[3:4]
	buffer_store_dword v2, off, s[0:3], 0 offset:148
	buffer_store_dword v1, off, s[0:3], 0 offset:144
	;; [unrolled: 1-line block ×4, first 2 shown]
	v_cmpx_lt_u32_e32 7, v0
	s_cbranch_execz .LBB107_263
; %bb.262:
	v_mov_b32_e32 v4, s49
	s_clause 0x3
	buffer_load_dword v1, v4, s[0:3], 0 offen
	buffer_load_dword v2, v4, s[0:3], 0 offen offset:4
	buffer_load_dword v3, v4, s[0:3], 0 offen offset:8
	;; [unrolled: 1-line block ×3, first 2 shown]
	buffer_store_dword v150, off, s[0:3], 0 offset:128
	buffer_store_dword v150, off, s[0:3], 0 offset:132
	;; [unrolled: 1-line block ×4, first 2 shown]
	s_waitcnt vmcnt(0)
	ds_write_b128 v149, v[1:4]
.LBB107_263:
	s_or_b32 exec_lo, exec_lo, s4
	s_waitcnt lgkmcnt(0)
	s_waitcnt_vscnt null, 0x0
	s_barrier
	buffer_gl0_inv
	s_clause 0x37
	buffer_load_dword v97, off, s[0:3], 0 offset:152
	buffer_load_dword v98, off, s[0:3], 0 offset:156
	;; [unrolled: 1-line block ×56, first 2 shown]
	ds_read_b128 v[151:154], v150 offset:832
	s_clause 0x2
	buffer_load_dword v146, off, s[0:3], 0 offset:380
	buffer_load_dword v148, off, s[0:3], 0 offset:356
	;; [unrolled: 1-line block ×3, first 2 shown]
	ds_read_b128 v[155:158], v150 offset:848
	s_clause 0x4
	buffer_load_dword v166, off, s[0:3], 0 offset:396
	buffer_load_dword v167, off, s[0:3], 0 offset:408
	;; [unrolled: 1-line block ×5, first 2 shown]
	ds_read_b128 v[159:162], v150 offset:864
	s_clause 0x2
	buffer_load_dword v168, off, s[0:3], 0 offset:412
	buffer_load_dword v173, off, s[0:3], 0 offset:388
	;; [unrolled: 1-line block ×3, first 2 shown]
	s_mov_b32 s4, exec_lo
	s_waitcnt vmcnt(62) lgkmcnt(2)
	v_mul_f64 v[163:164], v[153:154], v[97:98]
	v_mul_f64 v[97:98], v[151:152], v[97:98]
	s_waitcnt lgkmcnt(1)
	v_mul_f64 v[170:171], v[157:158], v[93:94]
	s_waitcnt vmcnt(59) lgkmcnt(0)
	v_mul_f64 v[174:175], v[161:162], v[3:4]
	v_fma_f64 v[151:152], v[151:152], v[95:96], -v[163:164]
	v_mul_f64 v[163:164], v[155:156], v[93:94]
	v_fma_f64 v[97:98], v[153:154], v[95:96], v[97:98]
	s_waitcnt vmcnt(57)
	v_fma_f64 v[155:156], v[155:156], v[1:2], -v[170:171]
	ds_read_b128 v[93:96], v150 offset:880
	v_mul_f64 v[153:154], v[159:160], v[3:4]
	s_waitcnt vmcnt(51)
	v_fma_f64 v[159:160], v[159:160], v[113:114], -v[174:175]
	v_add_f64 v[151:152], v[151:152], 0
	v_fma_f64 v[157:158], v[157:158], v[1:2], v[163:164]
	v_add_f64 v[97:98], v[97:98], 0
	s_clause 0x4
	buffer_load_dword v164, off, s[0:3], 0 offset:428
	buffer_load_dword v176, off, s[0:3], 0 offset:440
	;; [unrolled: 1-line block ×5, first 2 shown]
	s_waitcnt lgkmcnt(0)
	v_mul_f64 v[179:180], v[93:94], v[101:102]
	v_mul_f64 v[101:102], v[95:96], v[101:102]
	ds_read_b128 v[1:4], v150 offset:896
	v_fma_f64 v[113:114], v[161:162], v[113:114], v[153:154]
	v_add_f64 v[155:156], v[151:152], v[155:156]
	v_add_f64 v[97:98], v[97:98], v[157:158]
	s_clause 0x2
	buffer_load_dword v177, off, s[0:3], 0 offset:444
	buffer_load_dword v158, off, s[0:3], 0 offset:420
	;; [unrolled: 1-line block ×3, first 2 shown]
	s_waitcnt vmcnt(58) lgkmcnt(0)
	v_mul_f64 v[161:162], v[1:2], v[105:106]
	v_mul_f64 v[105:106], v[3:4], v[105:106]
	s_waitcnt vmcnt(56)
	v_fma_f64 v[101:102], v[93:94], v[107:108], -v[101:102]
	ds_read_b128 v[151:154], v150 offset:912
	v_fma_f64 v[107:108], v[95:96], v[107:108], v[179:180]
	v_add_f64 v[155:156], v[155:156], v[159:160]
	v_add_f64 v[97:98], v[97:98], v[113:114]
	s_clause 0x4
	buffer_load_dword v114, off, s[0:3], 0 offset:460
	buffer_load_dword v159, off, s[0:3], 0 offset:472
	;; [unrolled: 1-line block ×5, first 2 shown]
	ds_read_b128 v[93:96], v150 offset:928
	s_waitcnt vmcnt(57) lgkmcnt(1)
	v_mul_f64 v[180:181], v[151:152], v[109:110]
	v_mul_f64 v[109:110], v[153:154], v[109:110]
	s_waitcnt vmcnt(56)
	v_fma_f64 v[105:106], v[1:2], v[99:100], -v[105:106]
	v_fma_f64 v[99:100], v[3:4], v[99:100], v[161:162]
	v_add_f64 v[101:102], v[155:156], v[101:102]
	v_add_f64 v[97:98], v[97:98], v[107:108]
	s_clause 0x2
	buffer_load_dword v160, off, s[0:3], 0 offset:476
	buffer_load_dword v108, off, s[0:3], 0 offset:452
	;; [unrolled: 1-line block ×3, first 2 shown]
	s_waitcnt vmcnt(58) lgkmcnt(0)
	v_mul_f64 v[155:156], v[93:94], v[115:116]
	v_mul_f64 v[115:116], v[95:96], v[115:116]
	s_waitcnt vmcnt(56)
	v_fma_f64 v[109:110], v[151:152], v[117:118], -v[109:110]
	ds_read_b128 v[1:4], v150 offset:944
	v_add_f64 v[101:102], v[101:102], v[105:106]
	v_fma_f64 v[105:106], v[153:154], v[117:118], v[180:181]
	v_add_f64 v[117:118], v[97:98], v[99:100]
	s_clause 0x4
	buffer_load_dword v152, off, s[0:3], 0 offset:492
	buffer_load_dword v153, off, s[0:3], 0 offset:504
	;; [unrolled: 1-line block ×5, first 2 shown]
	ds_read_b128 v[97:100], v150 offset:960
	s_waitcnt vmcnt(57) lgkmcnt(1)
	v_mul_f64 v[180:181], v[1:2], v[119:120]
	v_mul_f64 v[119:120], v[3:4], v[119:120]
	s_waitcnt vmcnt(56)
	v_fma_f64 v[115:116], v[93:94], v[103:104], -v[115:116]
	v_fma_f64 v[103:104], v[95:96], v[103:104], v[155:156]
	v_add_f64 v[101:102], v[101:102], v[109:110]
	s_clause 0x2
	buffer_load_dword v154, off, s[0:3], 0 offset:508
	buffer_load_dword v110, off, s[0:3], 0 offset:484
	;; [unrolled: 1-line block ×3, first 2 shown]
	v_add_f64 v[105:106], v[117:118], v[105:106]
	s_waitcnt vmcnt(58) lgkmcnt(0)
	v_mul_f64 v[117:118], v[97:98], v[123:124]
	v_mul_f64 v[123:124], v[99:100], v[123:124]
	ds_read_b128 v[93:96], v150 offset:976
	s_waitcnt vmcnt(56)
	v_fma_f64 v[119:120], v[1:2], v[125:126], -v[119:120]
	v_add_f64 v[101:102], v[101:102], v[115:116]
	v_fma_f64 v[115:116], v[3:4], v[125:126], v[180:181]
	v_add_f64 v[103:104], v[105:106], v[103:104]
	s_clause 0x4
	buffer_load_dword v106, off, s[0:3], 0 offset:524
	buffer_load_dword v125, off, s[0:3], 0 offset:536
	;; [unrolled: 1-line block ×5, first 2 shown]
	s_waitcnt vmcnt(57) lgkmcnt(0)
	v_mul_f64 v[180:181], v[93:94], v[127:128]
	v_mul_f64 v[127:128], v[95:96], v[127:128]
	s_waitcnt vmcnt(56)
	v_fma_f64 v[123:124], v[97:98], v[111:112], -v[123:124]
	ds_read_b128 v[1:4], v150 offset:992
	v_fma_f64 v[111:112], v[99:100], v[111:112], v[117:118]
	v_add_f64 v[101:102], v[101:102], v[119:120]
	v_add_f64 v[103:104], v[103:104], v[115:116]
	s_clause 0x2
	buffer_load_dword v126, off, s[0:3], 0 offset:540
	buffer_load_dword v116, off, s[0:3], 0 offset:516
	;; [unrolled: 1-line block ×3, first 2 shown]
	ds_read_b128 v[97:100], v150 offset:1008
	s_waitcnt vmcnt(58) lgkmcnt(1)
	v_mul_f64 v[119:120], v[3:4], v[131:132]
	s_waitcnt vmcnt(56)
	v_fma_f64 v[127:128], v[93:94], v[133:134], -v[127:128]
	v_mul_f64 v[117:118], v[1:2], v[131:132]
	v_add_f64 v[101:102], v[101:102], v[123:124]
	v_fma_f64 v[123:124], v[95:96], v[133:134], v[180:181]
	v_add_f64 v[103:104], v[103:104], v[111:112]
	s_clause 0x4
	buffer_load_dword v112, off, s[0:3], 0 offset:556
	buffer_load_dword v131, off, s[0:3], 0 offset:568
	;; [unrolled: 1-line block ×5, first 2 shown]
	s_waitcnt vmcnt(57) lgkmcnt(0)
	v_mul_f64 v[180:181], v[97:98], v[135:136]
	v_mul_f64 v[134:135], v[99:100], v[135:136]
	s_waitcnt vmcnt(56)
	v_fma_f64 v[119:120], v[1:2], v[121:122], -v[119:120]
	ds_read_b128 v[93:96], v150 offset:1024
	v_fma_f64 v[117:118], v[3:4], v[121:122], v[117:118]
	s_clause 0x2
	buffer_load_dword v132, off, s[0:3], 0 offset:572
	buffer_load_dword v122, off, s[0:3], 0 offset:548
	;; [unrolled: 1-line block ×3, first 2 shown]
	ds_read_b128 v[1:4], v150 offset:1040
	v_add_f64 v[101:102], v[101:102], v[127:128]
	v_add_f64 v[103:104], v[103:104], v[123:124]
	s_waitcnt vmcnt(58) lgkmcnt(1)
	v_mul_f64 v[127:128], v[95:96], v[139:140]
	s_waitcnt vmcnt(56)
	v_fma_f64 v[135:136], v[97:98], v[141:142], -v[134:135]
	v_mul_f64 v[123:124], v[93:94], v[139:140]
	v_add_f64 v[101:102], v[101:102], v[119:120]
	v_fma_f64 v[119:120], v[99:100], v[141:142], v[180:181]
	v_add_f64 v[103:104], v[103:104], v[117:118]
	s_clause 0x4
	buffer_load_dword v118, off, s[0:3], 0 offset:588
	buffer_load_dword v139, off, s[0:3], 0 offset:600
	;; [unrolled: 1-line block ×5, first 2 shown]
	s_waitcnt vmcnt(57) lgkmcnt(0)
	v_mul_f64 v[180:181], v[1:2], v[143:144]
	v_mul_f64 v[142:143], v[3:4], v[143:144]
	s_waitcnt vmcnt(56)
	v_fma_f64 v[127:128], v[93:94], v[129:130], -v[127:128]
	ds_read_b128 v[97:100], v150 offset:1056
	v_fma_f64 v[123:124], v[95:96], v[129:130], v[123:124]
	v_add_f64 v[101:102], v[101:102], v[135:136]
	v_add_f64 v[103:104], v[103:104], v[119:120]
	s_clause 0x2
	buffer_load_dword v140, off, s[0:3], 0 offset:604
	buffer_load_dword v120, off, s[0:3], 0 offset:580
	;; [unrolled: 1-line block ×3, first 2 shown]
	ds_read_b128 v[93:96], v150 offset:1072
	s_waitcnt vmcnt(58) lgkmcnt(1)
	v_mul_f64 v[135:136], v[99:100], v[145:146]
	s_waitcnt vmcnt(56)
	v_fma_f64 v[143:144], v[1:2], v[147:148], -v[142:143]
	v_mul_f64 v[129:130], v[97:98], v[145:146]
	v_add_f64 v[101:102], v[101:102], v[127:128]
	v_fma_f64 v[127:128], v[3:4], v[147:148], v[180:181]
	v_add_f64 v[103:104], v[103:104], v[123:124]
	s_clause 0x4
	buffer_load_dword v124, off, s[0:3], 0 offset:620
	buffer_load_dword v145, off, s[0:3], 0 offset:632
	buffer_load_dword v147, off, s[0:3], 0 offset:624
	buffer_load_dword v123, off, s[0:3], 0 offset:616
	buffer_load_dword v142, off, s[0:3], 0 offset:596
	s_waitcnt vmcnt(57) lgkmcnt(0)
	v_mul_f64 v[180:181], v[93:94], v[165:166]
	v_mul_f64 v[165:166], v[95:96], v[165:166]
	s_waitcnt vmcnt(56)
	v_fma_f64 v[135:136], v[97:98], v[137:138], -v[135:136]
	ds_read_b128 v[1:4], v150 offset:1088
	v_fma_f64 v[129:130], v[99:100], v[137:138], v[129:130]
	v_add_f64 v[101:102], v[101:102], v[143:144]
	v_add_f64 v[103:104], v[103:104], v[127:128]
	s_clause 0x2
	buffer_load_dword v146, off, s[0:3], 0 offset:636
	buffer_load_dword v128, off, s[0:3], 0 offset:612
	;; [unrolled: 1-line block ×3, first 2 shown]
	ds_read_b128 v[97:100], v150 offset:1104
	s_waitcnt vmcnt(58) lgkmcnt(1)
	v_mul_f64 v[143:144], v[3:4], v[167:168]
	s_waitcnt vmcnt(56)
	v_fma_f64 v[165:166], v[93:94], v[172:173], -v[165:166]
	v_mul_f64 v[137:138], v[1:2], v[167:168]
	v_add_f64 v[101:102], v[101:102], v[135:136]
	v_fma_f64 v[135:136], v[95:96], v[172:173], v[180:181]
	v_add_f64 v[103:104], v[103:104], v[129:130]
	s_clause 0x4
	buffer_load_dword v130, off, s[0:3], 0 offset:652
	buffer_load_dword v167, off, s[0:3], 0 offset:664
	;; [unrolled: 1-line block ×5, first 2 shown]
	ds_read_b128 v[93:96], v150 offset:1120
	s_waitcnt vmcnt(57) lgkmcnt(1)
	v_mul_f64 v[172:173], v[97:98], v[163:164]
	v_mul_f64 v[163:164], v[99:100], v[163:164]
	s_waitcnt vmcnt(56)
	v_fma_f64 v[143:144], v[1:2], v[169:170], -v[143:144]
	v_fma_f64 v[137:138], v[3:4], v[169:170], v[137:138]
	v_add_f64 v[101:102], v[101:102], v[165:166]
	v_add_f64 v[103:104], v[103:104], v[135:136]
	s_clause 0x2
	buffer_load_dword v168, off, s[0:3], 0 offset:668
	buffer_load_dword v136, off, s[0:3], 0 offset:644
	;; [unrolled: 1-line block ×3, first 2 shown]
	ds_read_b128 v[1:4], v150 offset:1136
	s_waitcnt vmcnt(58) lgkmcnt(1)
	v_mul_f64 v[169:170], v[95:96], v[176:177]
	v_mul_f64 v[165:166], v[93:94], v[176:177]
	s_waitcnt vmcnt(56)
	v_fma_f64 v[163:164], v[97:98], v[157:158], -v[163:164]
	v_add_f64 v[101:102], v[101:102], v[143:144]
	v_fma_f64 v[143:144], v[99:100], v[157:158], v[172:173]
	v_add_f64 v[103:104], v[103:104], v[137:138]
	s_clause 0x4
	buffer_load_dword v138, off, s[0:3], 0 offset:684
	buffer_load_dword v157, off, s[0:3], 0 offset:696
	;; [unrolled: 1-line block ×5, first 2 shown]
	ds_read_b128 v[97:100], v150 offset:1152
	s_waitcnt vmcnt(57) lgkmcnt(1)
	v_mul_f64 v[180:181], v[1:2], v[113:114]
	v_mul_f64 v[113:114], v[3:4], v[113:114]
	s_waitcnt vmcnt(56)
	v_fma_f64 v[169:170], v[93:94], v[178:179], -v[169:170]
	v_add_f64 v[101:102], v[101:102], v[163:164]
	v_fma_f64 v[163:164], v[95:96], v[178:179], v[165:166]
	v_add_f64 v[103:104], v[103:104], v[143:144]
	s_clause 0x2
	buffer_load_dword v158, off, s[0:3], 0 offset:700
	buffer_load_dword v144, off, s[0:3], 0 offset:676
	;; [unrolled: 1-line block ×3, first 2 shown]
	ds_read_b128 v[93:96], v150 offset:1168
	s_waitcnt vmcnt(58) lgkmcnt(1)
	v_mul_f64 v[165:166], v[97:98], v[159:160]
	v_mul_f64 v[159:160], v[99:100], v[159:160]
	s_waitcnt vmcnt(56)
	v_fma_f64 v[113:114], v[1:2], v[107:108], -v[113:114]
	v_fma_f64 v[107:108], v[3:4], v[107:108], v[180:181]
	v_add_f64 v[101:102], v[101:102], v[169:170]
	v_add_f64 v[103:104], v[103:104], v[163:164]
	s_clause 0x2
	buffer_load_dword v164, off, s[0:3], 0 offset:716
	buffer_load_dword v163, off, s[0:3], 0 offset:712
	;; [unrolled: 1-line block ×3, first 2 shown]
	ds_read_b128 v[1:4], v150 offset:1184
	s_waitcnt vmcnt(55) lgkmcnt(1)
	v_mul_f64 v[169:170], v[93:94], v[151:152]
	v_mul_f64 v[151:152], v[95:96], v[151:152]
	s_waitcnt vmcnt(54)
	v_fma_f64 v[159:160], v[97:98], v[174:175], -v[159:160]
	v_add_f64 v[101:102], v[101:102], v[113:114]
	v_fma_f64 v[113:114], v[99:100], v[174:175], v[165:166]
	v_add_f64 v[103:104], v[103:104], v[107:108]
	s_clause 0x1
	buffer_load_dword v108, off, s[0:3], 0 offset:708
	buffer_load_dword v107, off, s[0:3], 0 offset:704
	ds_read_b128 v[97:100], v150 offset:1200
	s_waitcnt vmcnt(55) lgkmcnt(1)
	v_mul_f64 v[165:166], v[1:2], v[153:154]
	v_mul_f64 v[153:154], v[3:4], v[153:154]
	s_waitcnt vmcnt(53)
	v_fma_f64 v[151:152], v[93:94], v[109:110], -v[151:152]
	v_fma_f64 v[109:110], v[95:96], v[109:110], v[169:170]
	ds_read_b128 v[93:96], v150 offset:1216
	v_add_f64 v[101:102], v[101:102], v[159:160]
	v_add_f64 v[103:104], v[103:104], v[113:114]
	s_waitcnt vmcnt(49) lgkmcnt(1)
	v_mul_f64 v[113:114], v[97:98], v[105:106]
	v_mul_f64 v[105:106], v[99:100], v[105:106]
	s_waitcnt vmcnt(48)
	v_fma_f64 v[153:154], v[1:2], v[161:162], -v[153:154]
	v_add_f64 v[101:102], v[101:102], v[151:152]
	v_fma_f64 v[151:152], v[3:4], v[161:162], v[165:166]
	v_add_f64 v[103:104], v[103:104], v[109:110]
	s_clause 0x3
	buffer_load_dword v109, off, s[0:3], 0 offset:128
	buffer_load_dword v110, off, s[0:3], 0 offset:132
	;; [unrolled: 1-line block ×4, first 2 shown]
	ds_read_b128 v[1:4], v150 offset:1232
	s_waitcnt vmcnt(51) lgkmcnt(1)
	v_mul_f64 v[161:162], v[93:94], v[125:126]
	v_mul_f64 v[125:126], v[95:96], v[125:126]
	s_waitcnt vmcnt(49)
	v_fma_f64 v[105:106], v[97:98], v[115:116], -v[105:106]
	v_fma_f64 v[113:114], v[99:100], v[115:116], v[113:114]
	ds_read_b128 v[97:100], v150 offset:1248
	v_add_f64 v[101:102], v[101:102], v[153:154]
	v_add_f64 v[103:104], v[103:104], v[151:152]
	s_waitcnt vmcnt(45) lgkmcnt(1)
	v_mul_f64 v[115:116], v[1:2], v[111:112]
	v_mul_f64 v[111:112], v[3:4], v[111:112]
	s_waitcnt vmcnt(44)
	v_fma_f64 v[125:126], v[93:94], v[155:156], -v[125:126]
	v_add_f64 v[101:102], v[101:102], v[105:106]
	v_fma_f64 v[105:106], v[95:96], v[155:156], v[161:162]
	v_add_f64 v[103:104], v[103:104], v[113:114]
	s_waitcnt vmcnt(43) lgkmcnt(0)
	v_mul_f64 v[113:114], v[97:98], v[131:132]
	v_mul_f64 v[131:132], v[99:100], v[131:132]
	ds_read_b128 v[93:96], v150 offset:1264
	s_waitcnt vmcnt(41)
	v_fma_f64 v[115:116], v[3:4], v[121:122], v[115:116]
	v_fma_f64 v[111:112], v[1:2], v[121:122], -v[111:112]
	ds_read_b128 v[1:4], v150 offset:1280
	v_add_f64 v[101:102], v[101:102], v[125:126]
	v_add_f64 v[103:104], v[103:104], v[105:106]
	s_waitcnt vmcnt(37) lgkmcnt(1)
	v_mul_f64 v[105:106], v[93:94], v[117:118]
	v_mul_f64 v[117:118], v[95:96], v[117:118]
	s_waitcnt vmcnt(36)
	v_fma_f64 v[121:122], v[97:98], v[133:134], -v[131:132]
	v_add_f64 v[101:102], v[101:102], v[111:112]
	v_fma_f64 v[111:112], v[99:100], v[133:134], v[113:114]
	v_add_f64 v[103:104], v[103:104], v[115:116]
	ds_read_b128 v[97:100], v150 offset:1296
	s_waitcnt vmcnt(35) lgkmcnt(1)
	v_mul_f64 v[115:116], v[3:4], v[139:140]
	v_mul_f64 v[113:114], v[1:2], v[139:140]
	s_waitcnt vmcnt(33)
	v_fma_f64 v[117:118], v[93:94], v[119:120], -v[117:118]
	v_fma_f64 v[105:106], v[95:96], v[119:120], v[105:106]
	ds_read_b128 v[93:96], v150 offset:1312
	v_add_f64 v[101:102], v[101:102], v[121:122]
	v_add_f64 v[103:104], v[103:104], v[111:112]
	s_waitcnt vmcnt(29) lgkmcnt(1)
	v_mul_f64 v[119:120], v[99:100], v[123:124]
	s_waitcnt vmcnt(28)
	v_fma_f64 v[115:116], v[1:2], v[141:142], -v[115:116]
	v_mul_f64 v[111:112], v[97:98], v[123:124]
	v_fma_f64 v[113:114], v[3:4], v[141:142], v[113:114]
	ds_read_b128 v[1:4], v150 offset:1328
	v_add_f64 v[101:102], v[101:102], v[117:118]
	v_add_f64 v[103:104], v[103:104], v[105:106]
	s_waitcnt vmcnt(27) lgkmcnt(1)
	v_mul_f64 v[117:118], v[95:96], v[145:146]
	v_mul_f64 v[105:106], v[93:94], v[145:146]
	s_waitcnt vmcnt(25)
	v_fma_f64 v[119:120], v[97:98], v[127:128], -v[119:120]
	v_fma_f64 v[111:112], v[99:100], v[127:128], v[111:112]
	ds_read_b128 v[97:100], v150 offset:1344
	v_add_f64 v[101:102], v[101:102], v[115:116]
	v_add_f64 v[103:104], v[103:104], v[113:114]
	s_waitcnt vmcnt(21) lgkmcnt(1)
	v_mul_f64 v[115:116], v[3:4], v[129:130]
	s_waitcnt vmcnt(20)
	v_fma_f64 v[117:118], v[93:94], v[147:148], -v[117:118]
	v_mul_f64 v[113:114], v[1:2], v[129:130]
	v_fma_f64 v[105:106], v[95:96], v[147:148], v[105:106]
	ds_read_b128 v[93:96], v150 offset:1360
	v_add_f64 v[101:102], v[101:102], v[119:120]
	v_add_f64 v[103:104], v[103:104], v[111:112]
	;; [unrolled: 18-line block ×3, first 2 shown]
	s_waitcnt vmcnt(11) lgkmcnt(1)
	v_mul_f64 v[115:116], v[3:4], v[157:158]
	v_mul_f64 v[113:114], v[1:2], v[157:158]
	s_waitcnt vmcnt(9)
	v_fma_f64 v[93:94], v[93:94], v[143:144], -v[117:118]
	v_fma_f64 v[95:96], v[95:96], v[143:144], v[105:106]
	v_add_f64 v[101:102], v[101:102], v[119:120]
	v_add_f64 v[103:104], v[103:104], v[111:112]
	s_waitcnt vmcnt(7) lgkmcnt(0)
	v_mul_f64 v[111:112], v[99:100], v[163:164]
	s_waitcnt vmcnt(6)
	v_fma_f64 v[1:2], v[1:2], v[176:177], -v[115:116]
	v_mul_f64 v[105:106], v[97:98], v[163:164]
	v_fma_f64 v[3:4], v[3:4], v[176:177], v[113:114]
	v_add_f64 v[93:94], v[101:102], v[93:94]
	v_add_f64 v[95:96], v[103:104], v[95:96]
	s_waitcnt vmcnt(4)
	v_fma_f64 v[97:98], v[97:98], v[107:108], -v[111:112]
	v_add_f64 v[1:2], v[93:94], v[1:2]
	v_fma_f64 v[93:94], v[99:100], v[107:108], v[105:106]
	v_add_f64 v[3:4], v[95:96], v[3:4]
	v_add_f64 v[1:2], v[1:2], v[97:98]
	;; [unrolled: 1-line block ×3, first 2 shown]
	s_waitcnt vmcnt(2)
	v_add_f64 v[1:2], v[109:110], -v[1:2]
	s_waitcnt vmcnt(0)
	v_add_f64 v[3:4], v[159:160], -v[3:4]
	buffer_store_dword v2, off, s[0:3], 0 offset:132
	buffer_store_dword v1, off, s[0:3], 0 offset:128
	;; [unrolled: 1-line block ×4, first 2 shown]
	v_cmpx_lt_u32_e32 6, v0
	s_cbranch_execz .LBB107_265
; %bb.264:
	v_mov_b32_e32 v4, s50
	v_mov_b32_e32 v93, 0
	s_clause 0x3
	buffer_load_dword v1, v4, s[0:3], 0 offen
	buffer_load_dword v2, v4, s[0:3], 0 offen offset:4
	buffer_load_dword v3, v4, s[0:3], 0 offen offset:8
	;; [unrolled: 1-line block ×3, first 2 shown]
	buffer_store_dword v93, off, s[0:3], 0 offset:112
	buffer_store_dword v93, off, s[0:3], 0 offset:116
	;; [unrolled: 1-line block ×4, first 2 shown]
	s_waitcnt vmcnt(0)
	ds_write_b128 v149, v[1:4]
.LBB107_265:
	s_or_b32 exec_lo, exec_lo, s4
	s_waitcnt lgkmcnt(0)
	s_waitcnt_vscnt null, 0x0
	s_barrier
	buffer_gl0_inv
	s_clause 0x37
	buffer_load_dword v97, off, s[0:3], 0 offset:136
	buffer_load_dword v98, off, s[0:3], 0 offset:140
	;; [unrolled: 1-line block ×56, first 2 shown]
	v_mov_b32_e32 v150, 0
	s_mov_b32 s4, exec_lo
	ds_read_b128 v[151:154], v150 offset:816
	s_clause 0x2
	buffer_load_dword v146, off, s[0:3], 0 offset:364
	buffer_load_dword v148, off, s[0:3], 0 offset:340
	;; [unrolled: 1-line block ×3, first 2 shown]
	ds_read_b128 v[155:158], v150 offset:832
	s_clause 0x4
	buffer_load_dword v166, off, s[0:3], 0 offset:380
	buffer_load_dword v167, off, s[0:3], 0 offset:392
	buffer_load_dword v169, off, s[0:3], 0 offset:384
	buffer_load_dword v165, off, s[0:3], 0 offset:376
	buffer_load_dword v138, off, s[0:3], 0 offset:356
	ds_read_b128 v[159:162], v150 offset:848
	s_clause 0x2
	buffer_load_dword v168, off, s[0:3], 0 offset:396
	buffer_load_dword v173, off, s[0:3], 0 offset:372
	;; [unrolled: 1-line block ×3, first 2 shown]
	s_waitcnt vmcnt(62) lgkmcnt(2)
	v_mul_f64 v[163:164], v[153:154], v[97:98]
	v_mul_f64 v[97:98], v[151:152], v[97:98]
	s_waitcnt lgkmcnt(1)
	v_mul_f64 v[170:171], v[157:158], v[93:94]
	s_waitcnt vmcnt(59) lgkmcnt(0)
	v_mul_f64 v[174:175], v[161:162], v[3:4]
	v_fma_f64 v[151:152], v[151:152], v[95:96], -v[163:164]
	v_mul_f64 v[163:164], v[155:156], v[93:94]
	v_fma_f64 v[97:98], v[153:154], v[95:96], v[97:98]
	s_waitcnt vmcnt(57)
	v_fma_f64 v[155:156], v[155:156], v[1:2], -v[170:171]
	ds_read_b128 v[93:96], v150 offset:864
	v_mul_f64 v[153:154], v[159:160], v[3:4]
	s_waitcnt vmcnt(51)
	v_fma_f64 v[159:160], v[159:160], v[113:114], -v[174:175]
	v_add_f64 v[151:152], v[151:152], 0
	v_fma_f64 v[157:158], v[157:158], v[1:2], v[163:164]
	v_add_f64 v[97:98], v[97:98], 0
	s_clause 0x4
	buffer_load_dword v164, off, s[0:3], 0 offset:412
	buffer_load_dword v176, off, s[0:3], 0 offset:424
	;; [unrolled: 1-line block ×5, first 2 shown]
	s_waitcnt lgkmcnt(0)
	v_mul_f64 v[179:180], v[93:94], v[101:102]
	v_mul_f64 v[101:102], v[95:96], v[101:102]
	ds_read_b128 v[1:4], v150 offset:880
	v_fma_f64 v[113:114], v[161:162], v[113:114], v[153:154]
	v_add_f64 v[155:156], v[151:152], v[155:156]
	v_add_f64 v[97:98], v[97:98], v[157:158]
	s_clause 0x2
	buffer_load_dword v177, off, s[0:3], 0 offset:428
	buffer_load_dword v158, off, s[0:3], 0 offset:404
	buffer_load_dword v157, off, s[0:3], 0 offset:400
	s_waitcnt vmcnt(58) lgkmcnt(0)
	v_mul_f64 v[161:162], v[1:2], v[105:106]
	v_mul_f64 v[105:106], v[3:4], v[105:106]
	s_waitcnt vmcnt(56)
	v_fma_f64 v[101:102], v[93:94], v[107:108], -v[101:102]
	ds_read_b128 v[151:154], v150 offset:896
	v_fma_f64 v[107:108], v[95:96], v[107:108], v[179:180]
	v_add_f64 v[155:156], v[155:156], v[159:160]
	v_add_f64 v[97:98], v[97:98], v[113:114]
	s_clause 0x4
	buffer_load_dword v114, off, s[0:3], 0 offset:444
	buffer_load_dword v159, off, s[0:3], 0 offset:456
	;; [unrolled: 1-line block ×5, first 2 shown]
	ds_read_b128 v[93:96], v150 offset:912
	s_waitcnt vmcnt(57) lgkmcnt(1)
	v_mul_f64 v[180:181], v[151:152], v[109:110]
	v_mul_f64 v[109:110], v[153:154], v[109:110]
	s_waitcnt vmcnt(56)
	v_fma_f64 v[105:106], v[1:2], v[99:100], -v[105:106]
	v_fma_f64 v[99:100], v[3:4], v[99:100], v[161:162]
	v_add_f64 v[101:102], v[155:156], v[101:102]
	v_add_f64 v[97:98], v[97:98], v[107:108]
	s_clause 0x2
	buffer_load_dword v160, off, s[0:3], 0 offset:460
	buffer_load_dword v108, off, s[0:3], 0 offset:436
	;; [unrolled: 1-line block ×3, first 2 shown]
	s_waitcnt vmcnt(58) lgkmcnt(0)
	v_mul_f64 v[155:156], v[93:94], v[115:116]
	v_mul_f64 v[115:116], v[95:96], v[115:116]
	s_waitcnt vmcnt(56)
	v_fma_f64 v[109:110], v[151:152], v[117:118], -v[109:110]
	ds_read_b128 v[1:4], v150 offset:928
	v_add_f64 v[101:102], v[101:102], v[105:106]
	v_fma_f64 v[105:106], v[153:154], v[117:118], v[180:181]
	v_add_f64 v[117:118], v[97:98], v[99:100]
	s_clause 0x4
	buffer_load_dword v152, off, s[0:3], 0 offset:476
	buffer_load_dword v153, off, s[0:3], 0 offset:488
	;; [unrolled: 1-line block ×5, first 2 shown]
	ds_read_b128 v[97:100], v150 offset:944
	s_waitcnt vmcnt(57) lgkmcnt(1)
	v_mul_f64 v[180:181], v[1:2], v[119:120]
	v_mul_f64 v[119:120], v[3:4], v[119:120]
	s_waitcnt vmcnt(56)
	v_fma_f64 v[115:116], v[93:94], v[103:104], -v[115:116]
	v_fma_f64 v[103:104], v[95:96], v[103:104], v[155:156]
	v_add_f64 v[101:102], v[101:102], v[109:110]
	s_clause 0x2
	buffer_load_dword v154, off, s[0:3], 0 offset:492
	buffer_load_dword v110, off, s[0:3], 0 offset:468
	;; [unrolled: 1-line block ×3, first 2 shown]
	v_add_f64 v[105:106], v[117:118], v[105:106]
	s_waitcnt vmcnt(58) lgkmcnt(0)
	v_mul_f64 v[117:118], v[97:98], v[123:124]
	v_mul_f64 v[123:124], v[99:100], v[123:124]
	ds_read_b128 v[93:96], v150 offset:960
	s_waitcnt vmcnt(56)
	v_fma_f64 v[119:120], v[1:2], v[125:126], -v[119:120]
	v_add_f64 v[101:102], v[101:102], v[115:116]
	v_fma_f64 v[115:116], v[3:4], v[125:126], v[180:181]
	v_add_f64 v[103:104], v[105:106], v[103:104]
	s_clause 0x4
	buffer_load_dword v106, off, s[0:3], 0 offset:508
	buffer_load_dword v125, off, s[0:3], 0 offset:520
	;; [unrolled: 1-line block ×5, first 2 shown]
	s_waitcnt vmcnt(57) lgkmcnt(0)
	v_mul_f64 v[180:181], v[93:94], v[127:128]
	v_mul_f64 v[127:128], v[95:96], v[127:128]
	s_waitcnt vmcnt(56)
	v_fma_f64 v[123:124], v[97:98], v[111:112], -v[123:124]
	ds_read_b128 v[1:4], v150 offset:976
	v_fma_f64 v[111:112], v[99:100], v[111:112], v[117:118]
	v_add_f64 v[101:102], v[101:102], v[119:120]
	v_add_f64 v[103:104], v[103:104], v[115:116]
	s_clause 0x2
	buffer_load_dword v126, off, s[0:3], 0 offset:524
	buffer_load_dword v116, off, s[0:3], 0 offset:500
	;; [unrolled: 1-line block ×3, first 2 shown]
	ds_read_b128 v[97:100], v150 offset:992
	s_waitcnt vmcnt(58) lgkmcnt(1)
	v_mul_f64 v[119:120], v[3:4], v[131:132]
	s_waitcnt vmcnt(56)
	v_fma_f64 v[127:128], v[93:94], v[133:134], -v[127:128]
	v_mul_f64 v[117:118], v[1:2], v[131:132]
	v_add_f64 v[101:102], v[101:102], v[123:124]
	v_fma_f64 v[123:124], v[95:96], v[133:134], v[180:181]
	v_add_f64 v[103:104], v[103:104], v[111:112]
	s_clause 0x4
	buffer_load_dword v112, off, s[0:3], 0 offset:540
	buffer_load_dword v131, off, s[0:3], 0 offset:552
	;; [unrolled: 1-line block ×5, first 2 shown]
	s_waitcnt vmcnt(57) lgkmcnt(0)
	v_mul_f64 v[180:181], v[97:98], v[135:136]
	v_mul_f64 v[134:135], v[99:100], v[135:136]
	s_waitcnt vmcnt(56)
	v_fma_f64 v[119:120], v[1:2], v[121:122], -v[119:120]
	ds_read_b128 v[93:96], v150 offset:1008
	v_fma_f64 v[117:118], v[3:4], v[121:122], v[117:118]
	s_clause 0x2
	buffer_load_dword v132, off, s[0:3], 0 offset:556
	buffer_load_dword v122, off, s[0:3], 0 offset:532
	;; [unrolled: 1-line block ×3, first 2 shown]
	ds_read_b128 v[1:4], v150 offset:1024
	v_add_f64 v[101:102], v[101:102], v[127:128]
	v_add_f64 v[103:104], v[103:104], v[123:124]
	s_waitcnt vmcnt(58) lgkmcnt(1)
	v_mul_f64 v[127:128], v[95:96], v[139:140]
	s_waitcnt vmcnt(56)
	v_fma_f64 v[135:136], v[97:98], v[141:142], -v[134:135]
	v_mul_f64 v[123:124], v[93:94], v[139:140]
	v_add_f64 v[101:102], v[101:102], v[119:120]
	v_fma_f64 v[119:120], v[99:100], v[141:142], v[180:181]
	v_add_f64 v[103:104], v[103:104], v[117:118]
	s_clause 0x4
	buffer_load_dword v118, off, s[0:3], 0 offset:572
	buffer_load_dword v139, off, s[0:3], 0 offset:584
	;; [unrolled: 1-line block ×5, first 2 shown]
	s_waitcnt vmcnt(57) lgkmcnt(0)
	v_mul_f64 v[180:181], v[1:2], v[143:144]
	v_mul_f64 v[142:143], v[3:4], v[143:144]
	s_waitcnt vmcnt(56)
	v_fma_f64 v[127:128], v[93:94], v[129:130], -v[127:128]
	ds_read_b128 v[97:100], v150 offset:1040
	v_fma_f64 v[123:124], v[95:96], v[129:130], v[123:124]
	v_add_f64 v[101:102], v[101:102], v[135:136]
	v_add_f64 v[103:104], v[103:104], v[119:120]
	s_clause 0x2
	buffer_load_dword v140, off, s[0:3], 0 offset:588
	buffer_load_dword v120, off, s[0:3], 0 offset:564
	;; [unrolled: 1-line block ×3, first 2 shown]
	ds_read_b128 v[93:96], v150 offset:1056
	s_waitcnt vmcnt(58) lgkmcnt(1)
	v_mul_f64 v[135:136], v[99:100], v[145:146]
	s_waitcnt vmcnt(56)
	v_fma_f64 v[143:144], v[1:2], v[147:148], -v[142:143]
	v_mul_f64 v[129:130], v[97:98], v[145:146]
	v_add_f64 v[101:102], v[101:102], v[127:128]
	v_fma_f64 v[127:128], v[3:4], v[147:148], v[180:181]
	v_add_f64 v[103:104], v[103:104], v[123:124]
	s_clause 0x4
	buffer_load_dword v124, off, s[0:3], 0 offset:604
	buffer_load_dword v145, off, s[0:3], 0 offset:616
	;; [unrolled: 1-line block ×5, first 2 shown]
	s_waitcnt vmcnt(57) lgkmcnt(0)
	v_mul_f64 v[180:181], v[93:94], v[165:166]
	v_mul_f64 v[165:166], v[95:96], v[165:166]
	s_waitcnt vmcnt(56)
	v_fma_f64 v[135:136], v[97:98], v[137:138], -v[135:136]
	ds_read_b128 v[1:4], v150 offset:1072
	v_fma_f64 v[129:130], v[99:100], v[137:138], v[129:130]
	v_add_f64 v[101:102], v[101:102], v[143:144]
	v_add_f64 v[103:104], v[103:104], v[127:128]
	s_clause 0x2
	buffer_load_dword v146, off, s[0:3], 0 offset:620
	buffer_load_dword v128, off, s[0:3], 0 offset:596
	;; [unrolled: 1-line block ×3, first 2 shown]
	ds_read_b128 v[97:100], v150 offset:1088
	s_waitcnt vmcnt(58) lgkmcnt(1)
	v_mul_f64 v[143:144], v[3:4], v[167:168]
	s_waitcnt vmcnt(56)
	v_fma_f64 v[165:166], v[93:94], v[172:173], -v[165:166]
	v_mul_f64 v[137:138], v[1:2], v[167:168]
	v_add_f64 v[101:102], v[101:102], v[135:136]
	v_fma_f64 v[135:136], v[95:96], v[172:173], v[180:181]
	v_add_f64 v[103:104], v[103:104], v[129:130]
	s_clause 0x4
	buffer_load_dword v130, off, s[0:3], 0 offset:636
	buffer_load_dword v167, off, s[0:3], 0 offset:648
	;; [unrolled: 1-line block ×5, first 2 shown]
	ds_read_b128 v[93:96], v150 offset:1104
	s_waitcnt vmcnt(57) lgkmcnt(1)
	v_mul_f64 v[172:173], v[97:98], v[163:164]
	v_mul_f64 v[163:164], v[99:100], v[163:164]
	s_waitcnt vmcnt(56)
	v_fma_f64 v[143:144], v[1:2], v[169:170], -v[143:144]
	v_fma_f64 v[137:138], v[3:4], v[169:170], v[137:138]
	v_add_f64 v[101:102], v[101:102], v[165:166]
	v_add_f64 v[103:104], v[103:104], v[135:136]
	s_clause 0x2
	buffer_load_dword v168, off, s[0:3], 0 offset:652
	buffer_load_dword v136, off, s[0:3], 0 offset:628
	;; [unrolled: 1-line block ×3, first 2 shown]
	ds_read_b128 v[1:4], v150 offset:1120
	s_waitcnt vmcnt(58) lgkmcnt(1)
	v_mul_f64 v[169:170], v[95:96], v[176:177]
	v_mul_f64 v[165:166], v[93:94], v[176:177]
	s_waitcnt vmcnt(56)
	v_fma_f64 v[163:164], v[97:98], v[157:158], -v[163:164]
	v_add_f64 v[101:102], v[101:102], v[143:144]
	v_fma_f64 v[143:144], v[99:100], v[157:158], v[172:173]
	v_add_f64 v[103:104], v[103:104], v[137:138]
	s_clause 0x4
	buffer_load_dword v138, off, s[0:3], 0 offset:668
	buffer_load_dword v157, off, s[0:3], 0 offset:680
	;; [unrolled: 1-line block ×5, first 2 shown]
	ds_read_b128 v[97:100], v150 offset:1136
	s_waitcnt vmcnt(57) lgkmcnt(1)
	v_mul_f64 v[180:181], v[1:2], v[113:114]
	v_mul_f64 v[113:114], v[3:4], v[113:114]
	s_waitcnt vmcnt(56)
	v_fma_f64 v[169:170], v[93:94], v[178:179], -v[169:170]
	v_add_f64 v[101:102], v[101:102], v[163:164]
	v_fma_f64 v[163:164], v[95:96], v[178:179], v[165:166]
	v_add_f64 v[103:104], v[103:104], v[143:144]
	s_clause 0x2
	buffer_load_dword v158, off, s[0:3], 0 offset:684
	buffer_load_dword v144, off, s[0:3], 0 offset:660
	;; [unrolled: 1-line block ×3, first 2 shown]
	ds_read_b128 v[93:96], v150 offset:1152
	s_waitcnt vmcnt(58) lgkmcnt(1)
	v_mul_f64 v[165:166], v[97:98], v[159:160]
	v_mul_f64 v[159:160], v[99:100], v[159:160]
	s_waitcnt vmcnt(56)
	v_fma_f64 v[113:114], v[1:2], v[107:108], -v[113:114]
	v_fma_f64 v[107:108], v[3:4], v[107:108], v[180:181]
	v_add_f64 v[101:102], v[101:102], v[169:170]
	v_add_f64 v[103:104], v[103:104], v[163:164]
	s_clause 0x4
	buffer_load_dword v164, off, s[0:3], 0 offset:700
	buffer_load_dword v169, off, s[0:3], 0 offset:712
	;; [unrolled: 1-line block ×5, first 2 shown]
	ds_read_b128 v[1:4], v150 offset:1168
	s_waitcnt vmcnt(57) lgkmcnt(1)
	v_mul_f64 v[178:179], v[93:94], v[151:152]
	v_mul_f64 v[151:152], v[95:96], v[151:152]
	s_waitcnt vmcnt(56)
	v_fma_f64 v[159:160], v[97:98], v[174:175], -v[159:160]
	v_add_f64 v[101:102], v[101:102], v[113:114]
	v_fma_f64 v[113:114], v[99:100], v[174:175], v[165:166]
	v_add_f64 v[103:104], v[103:104], v[107:108]
	s_clause 0x2
	buffer_load_dword v170, off, s[0:3], 0 offset:716
	buffer_load_dword v108, off, s[0:3], 0 offset:692
	;; [unrolled: 1-line block ×3, first 2 shown]
	ds_read_b128 v[97:100], v150 offset:1184
	buffer_load_dword v174, off, s[0:3], 0 offset:708
	s_waitcnt vmcnt(59) lgkmcnt(1)
	v_mul_f64 v[165:166], v[1:2], v[153:154]
	v_mul_f64 v[153:154], v[3:4], v[153:154]
	s_waitcnt vmcnt(57)
	v_fma_f64 v[151:152], v[93:94], v[109:110], -v[151:152]
	v_fma_f64 v[109:110], v[95:96], v[109:110], v[178:179]
	ds_read_b128 v[93:96], v150 offset:1200
	v_add_f64 v[101:102], v[101:102], v[159:160]
	v_add_f64 v[103:104], v[103:104], v[113:114]
	s_waitcnt vmcnt(53) lgkmcnt(1)
	v_mul_f64 v[113:114], v[97:98], v[105:106]
	v_mul_f64 v[105:106], v[99:100], v[105:106]
	s_waitcnt vmcnt(52)
	v_fma_f64 v[153:154], v[1:2], v[161:162], -v[153:154]
	v_add_f64 v[101:102], v[101:102], v[151:152]
	v_fma_f64 v[151:152], v[3:4], v[161:162], v[165:166]
	v_add_f64 v[103:104], v[103:104], v[109:110]
	ds_read_b128 v[1:4], v150 offset:1216
	s_waitcnt vmcnt(51) lgkmcnt(1)
	v_mul_f64 v[109:110], v[93:94], v[125:126]
	v_mul_f64 v[125:126], v[95:96], v[125:126]
	s_waitcnt vmcnt(49)
	v_fma_f64 v[105:106], v[97:98], v[115:116], -v[105:106]
	v_fma_f64 v[113:114], v[99:100], v[115:116], v[113:114]
	v_add_f64 v[101:102], v[101:102], v[153:154]
	v_add_f64 v[103:104], v[103:104], v[151:152]
	s_clause 0x3
	buffer_load_dword v115, off, s[0:3], 0 offset:112
	buffer_load_dword v116, off, s[0:3], 0 offset:116
	buffer_load_dword v151, off, s[0:3], 0 offset:120
	buffer_load_dword v152, off, s[0:3], 0 offset:124
	ds_read_b128 v[97:100], v150 offset:1232
	s_waitcnt vmcnt(49) lgkmcnt(1)
	v_mul_f64 v[153:154], v[1:2], v[111:112]
	v_mul_f64 v[111:112], v[3:4], v[111:112]
	s_waitcnt vmcnt(48)
	v_fma_f64 v[125:126], v[93:94], v[155:156], -v[125:126]
	v_add_f64 v[101:102], v[101:102], v[105:106]
	v_fma_f64 v[105:106], v[95:96], v[155:156], v[109:110]
	v_add_f64 v[103:104], v[103:104], v[113:114]
	ds_read_b128 v[93:96], v150 offset:1248
	s_waitcnt vmcnt(47) lgkmcnt(1)
	v_mul_f64 v[113:114], v[99:100], v[131:132]
	v_mul_f64 v[109:110], v[97:98], v[131:132]
	s_waitcnt vmcnt(45)
	v_fma_f64 v[111:112], v[1:2], v[121:122], -v[111:112]
	v_fma_f64 v[121:122], v[3:4], v[121:122], v[153:154]
	ds_read_b128 v[1:4], v150 offset:1264
	v_add_f64 v[101:102], v[101:102], v[125:126]
	v_add_f64 v[103:104], v[103:104], v[105:106]
	s_waitcnt vmcnt(41) lgkmcnt(1)
	v_mul_f64 v[105:106], v[93:94], v[117:118]
	v_mul_f64 v[117:118], v[95:96], v[117:118]
	s_waitcnt vmcnt(40)
	v_fma_f64 v[113:114], v[97:98], v[133:134], -v[113:114]
	v_fma_f64 v[109:110], v[99:100], v[133:134], v[109:110]
	ds_read_b128 v[97:100], v150 offset:1280
	v_add_f64 v[101:102], v[101:102], v[111:112]
	v_add_f64 v[103:104], v[103:104], v[121:122]
	;; [unrolled: 9-line block ×3, first 2 shown]
	s_waitcnt vmcnt(33) lgkmcnt(1)
	v_mul_f64 v[113:114], v[99:100], v[123:124]
	s_waitcnt vmcnt(32)
	v_fma_f64 v[119:120], v[1:2], v[141:142], -v[121:122]
	v_mul_f64 v[109:110], v[97:98], v[123:124]
	v_fma_f64 v[111:112], v[3:4], v[141:142], v[111:112]
	ds_read_b128 v[1:4], v150 offset:1312
	v_add_f64 v[101:102], v[101:102], v[117:118]
	v_add_f64 v[103:104], v[103:104], v[105:106]
	s_waitcnt vmcnt(31) lgkmcnt(1)
	v_mul_f64 v[117:118], v[95:96], v[145:146]
	v_mul_f64 v[105:106], v[93:94], v[145:146]
	s_waitcnt vmcnt(29)
	v_fma_f64 v[113:114], v[97:98], v[127:128], -v[113:114]
	v_fma_f64 v[109:110], v[99:100], v[127:128], v[109:110]
	ds_read_b128 v[97:100], v150 offset:1328
	v_add_f64 v[101:102], v[101:102], v[119:120]
	v_add_f64 v[103:104], v[103:104], v[111:112]
	s_waitcnt vmcnt(25) lgkmcnt(1)
	v_mul_f64 v[119:120], v[3:4], v[129:130]
	s_waitcnt vmcnt(24)
	v_fma_f64 v[117:118], v[93:94], v[147:148], -v[117:118]
	v_mul_f64 v[111:112], v[1:2], v[129:130]
	v_fma_f64 v[105:106], v[95:96], v[147:148], v[105:106]
	ds_read_b128 v[93:96], v150 offset:1344
	v_add_f64 v[101:102], v[101:102], v[113:114]
	v_add_f64 v[103:104], v[103:104], v[109:110]
	s_waitcnt vmcnt(23) lgkmcnt(1)
	v_mul_f64 v[113:114], v[99:100], v[167:168]
	v_mul_f64 v[109:110], v[97:98], v[167:168]
	s_waitcnt vmcnt(21)
	v_fma_f64 v[119:120], v[1:2], v[135:136], -v[119:120]
	v_fma_f64 v[111:112], v[3:4], v[135:136], v[111:112]
	ds_read_b128 v[1:4], v150 offset:1360
	v_add_f64 v[101:102], v[101:102], v[117:118]
	v_add_f64 v[103:104], v[103:104], v[105:106]
	;; [unrolled: 18-line block ×3, first 2 shown]
	s_waitcnt vmcnt(9) lgkmcnt(1)
	v_mul_f64 v[113:114], v[99:100], v[163:164]
	s_waitcnt vmcnt(8)
	v_fma_f64 v[1:2], v[1:2], v[176:177], -v[119:120]
	v_mul_f64 v[109:110], v[97:98], v[163:164]
	v_fma_f64 v[3:4], v[3:4], v[176:177], v[111:112]
	v_add_f64 v[101:102], v[101:102], v[117:118]
	v_add_f64 v[103:104], v[103:104], v[105:106]
	s_waitcnt vmcnt(7) lgkmcnt(0)
	v_mul_f64 v[111:112], v[95:96], v[169:170]
	v_mul_f64 v[105:106], v[93:94], v[169:170]
	s_waitcnt vmcnt(5)
	v_fma_f64 v[97:98], v[97:98], v[107:108], -v[113:114]
	v_fma_f64 v[99:100], v[99:100], v[107:108], v[109:110]
	v_add_f64 v[1:2], v[101:102], v[1:2]
	v_add_f64 v[3:4], v[103:104], v[3:4]
	s_waitcnt vmcnt(4)
	v_fma_f64 v[93:94], v[93:94], v[173:174], -v[111:112]
	v_fma_f64 v[95:96], v[95:96], v[173:174], v[105:106]
	v_add_f64 v[1:2], v[1:2], v[97:98]
	v_add_f64 v[3:4], v[3:4], v[99:100]
	;; [unrolled: 1-line block ×4, first 2 shown]
	s_waitcnt vmcnt(2)
	v_add_f64 v[1:2], v[115:116], -v[1:2]
	s_waitcnt vmcnt(0)
	v_add_f64 v[3:4], v[151:152], -v[3:4]
	buffer_store_dword v2, off, s[0:3], 0 offset:116
	buffer_store_dword v1, off, s[0:3], 0 offset:112
	;; [unrolled: 1-line block ×4, first 2 shown]
	v_cmpx_lt_u32_e32 5, v0
	s_cbranch_execz .LBB107_267
; %bb.266:
	v_mov_b32_e32 v4, s51
	s_clause 0x3
	buffer_load_dword v1, v4, s[0:3], 0 offen
	buffer_load_dword v2, v4, s[0:3], 0 offen offset:4
	buffer_load_dword v3, v4, s[0:3], 0 offen offset:8
	;; [unrolled: 1-line block ×3, first 2 shown]
	buffer_store_dword v150, off, s[0:3], 0 offset:96
	buffer_store_dword v150, off, s[0:3], 0 offset:100
	;; [unrolled: 1-line block ×4, first 2 shown]
	s_waitcnt vmcnt(0)
	ds_write_b128 v149, v[1:4]
.LBB107_267:
	s_or_b32 exec_lo, exec_lo, s4
	s_waitcnt lgkmcnt(0)
	s_waitcnt_vscnt null, 0x0
	s_barrier
	buffer_gl0_inv
	s_clause 0x37
	buffer_load_dword v97, off, s[0:3], 0 offset:120
	buffer_load_dword v98, off, s[0:3], 0 offset:124
	;; [unrolled: 1-line block ×56, first 2 shown]
	ds_read_b128 v[151:154], v150 offset:800
	s_clause 0x2
	buffer_load_dword v146, off, s[0:3], 0 offset:348
	buffer_load_dword v148, off, s[0:3], 0 offset:324
	;; [unrolled: 1-line block ×3, first 2 shown]
	ds_read_b128 v[155:158], v150 offset:816
	s_clause 0x4
	buffer_load_dword v166, off, s[0:3], 0 offset:364
	buffer_load_dword v167, off, s[0:3], 0 offset:376
	;; [unrolled: 1-line block ×5, first 2 shown]
	ds_read_b128 v[159:162], v150 offset:832
	s_clause 0x2
	buffer_load_dword v168, off, s[0:3], 0 offset:380
	buffer_load_dword v173, off, s[0:3], 0 offset:356
	buffer_load_dword v172, off, s[0:3], 0 offset:352
	s_mov_b32 s4, exec_lo
	s_waitcnt vmcnt(62) lgkmcnt(2)
	v_mul_f64 v[163:164], v[153:154], v[97:98]
	v_mul_f64 v[97:98], v[151:152], v[97:98]
	s_waitcnt lgkmcnt(1)
	v_mul_f64 v[170:171], v[157:158], v[93:94]
	s_waitcnt vmcnt(59) lgkmcnt(0)
	v_mul_f64 v[174:175], v[161:162], v[3:4]
	v_fma_f64 v[151:152], v[151:152], v[95:96], -v[163:164]
	v_mul_f64 v[163:164], v[155:156], v[93:94]
	v_fma_f64 v[97:98], v[153:154], v[95:96], v[97:98]
	s_waitcnt vmcnt(57)
	v_fma_f64 v[155:156], v[155:156], v[1:2], -v[170:171]
	ds_read_b128 v[93:96], v150 offset:848
	v_mul_f64 v[153:154], v[159:160], v[3:4]
	s_waitcnt vmcnt(51)
	v_fma_f64 v[159:160], v[159:160], v[113:114], -v[174:175]
	v_add_f64 v[151:152], v[151:152], 0
	v_fma_f64 v[157:158], v[157:158], v[1:2], v[163:164]
	v_add_f64 v[97:98], v[97:98], 0
	s_clause 0x4
	buffer_load_dword v164, off, s[0:3], 0 offset:396
	buffer_load_dword v176, off, s[0:3], 0 offset:408
	;; [unrolled: 1-line block ×5, first 2 shown]
	s_waitcnt lgkmcnt(0)
	v_mul_f64 v[179:180], v[93:94], v[101:102]
	v_mul_f64 v[101:102], v[95:96], v[101:102]
	ds_read_b128 v[1:4], v150 offset:864
	v_fma_f64 v[113:114], v[161:162], v[113:114], v[153:154]
	v_add_f64 v[155:156], v[151:152], v[155:156]
	v_add_f64 v[97:98], v[97:98], v[157:158]
	s_clause 0x2
	buffer_load_dword v177, off, s[0:3], 0 offset:412
	buffer_load_dword v158, off, s[0:3], 0 offset:388
	;; [unrolled: 1-line block ×3, first 2 shown]
	s_waitcnt vmcnt(58) lgkmcnt(0)
	v_mul_f64 v[161:162], v[1:2], v[105:106]
	v_mul_f64 v[105:106], v[3:4], v[105:106]
	s_waitcnt vmcnt(56)
	v_fma_f64 v[101:102], v[93:94], v[107:108], -v[101:102]
	ds_read_b128 v[151:154], v150 offset:880
	v_fma_f64 v[107:108], v[95:96], v[107:108], v[179:180]
	v_add_f64 v[155:156], v[155:156], v[159:160]
	v_add_f64 v[97:98], v[97:98], v[113:114]
	s_clause 0x4
	buffer_load_dword v114, off, s[0:3], 0 offset:428
	buffer_load_dword v159, off, s[0:3], 0 offset:440
	;; [unrolled: 1-line block ×5, first 2 shown]
	ds_read_b128 v[93:96], v150 offset:896
	s_waitcnt vmcnt(57) lgkmcnt(1)
	v_mul_f64 v[180:181], v[151:152], v[109:110]
	v_mul_f64 v[109:110], v[153:154], v[109:110]
	s_waitcnt vmcnt(56)
	v_fma_f64 v[105:106], v[1:2], v[99:100], -v[105:106]
	v_fma_f64 v[99:100], v[3:4], v[99:100], v[161:162]
	v_add_f64 v[101:102], v[155:156], v[101:102]
	v_add_f64 v[97:98], v[97:98], v[107:108]
	s_clause 0x2
	buffer_load_dword v160, off, s[0:3], 0 offset:444
	buffer_load_dword v108, off, s[0:3], 0 offset:420
	;; [unrolled: 1-line block ×3, first 2 shown]
	s_waitcnt vmcnt(58) lgkmcnt(0)
	v_mul_f64 v[155:156], v[93:94], v[115:116]
	v_mul_f64 v[115:116], v[95:96], v[115:116]
	s_waitcnt vmcnt(56)
	v_fma_f64 v[109:110], v[151:152], v[117:118], -v[109:110]
	ds_read_b128 v[1:4], v150 offset:912
	v_add_f64 v[101:102], v[101:102], v[105:106]
	v_fma_f64 v[105:106], v[153:154], v[117:118], v[180:181]
	v_add_f64 v[117:118], v[97:98], v[99:100]
	s_clause 0x4
	buffer_load_dword v152, off, s[0:3], 0 offset:460
	buffer_load_dword v153, off, s[0:3], 0 offset:472
	;; [unrolled: 1-line block ×5, first 2 shown]
	ds_read_b128 v[97:100], v150 offset:928
	s_waitcnt vmcnt(57) lgkmcnt(1)
	v_mul_f64 v[180:181], v[1:2], v[119:120]
	v_mul_f64 v[119:120], v[3:4], v[119:120]
	s_waitcnt vmcnt(56)
	v_fma_f64 v[115:116], v[93:94], v[103:104], -v[115:116]
	v_fma_f64 v[103:104], v[95:96], v[103:104], v[155:156]
	v_add_f64 v[101:102], v[101:102], v[109:110]
	s_clause 0x2
	buffer_load_dword v154, off, s[0:3], 0 offset:476
	buffer_load_dword v110, off, s[0:3], 0 offset:452
	;; [unrolled: 1-line block ×3, first 2 shown]
	v_add_f64 v[105:106], v[117:118], v[105:106]
	s_waitcnt vmcnt(58) lgkmcnt(0)
	v_mul_f64 v[117:118], v[97:98], v[123:124]
	v_mul_f64 v[123:124], v[99:100], v[123:124]
	ds_read_b128 v[93:96], v150 offset:944
	s_waitcnt vmcnt(56)
	v_fma_f64 v[119:120], v[1:2], v[125:126], -v[119:120]
	v_add_f64 v[101:102], v[101:102], v[115:116]
	v_fma_f64 v[115:116], v[3:4], v[125:126], v[180:181]
	v_add_f64 v[103:104], v[105:106], v[103:104]
	s_clause 0x4
	buffer_load_dword v106, off, s[0:3], 0 offset:492
	buffer_load_dword v125, off, s[0:3], 0 offset:504
	;; [unrolled: 1-line block ×5, first 2 shown]
	s_waitcnt vmcnt(57) lgkmcnt(0)
	v_mul_f64 v[180:181], v[93:94], v[127:128]
	v_mul_f64 v[127:128], v[95:96], v[127:128]
	s_waitcnt vmcnt(56)
	v_fma_f64 v[123:124], v[97:98], v[111:112], -v[123:124]
	ds_read_b128 v[1:4], v150 offset:960
	v_fma_f64 v[111:112], v[99:100], v[111:112], v[117:118]
	v_add_f64 v[101:102], v[101:102], v[119:120]
	v_add_f64 v[103:104], v[103:104], v[115:116]
	s_clause 0x2
	buffer_load_dword v126, off, s[0:3], 0 offset:508
	buffer_load_dword v116, off, s[0:3], 0 offset:484
	;; [unrolled: 1-line block ×3, first 2 shown]
	ds_read_b128 v[97:100], v150 offset:976
	s_waitcnt vmcnt(58) lgkmcnt(1)
	v_mul_f64 v[119:120], v[3:4], v[131:132]
	s_waitcnt vmcnt(56)
	v_fma_f64 v[127:128], v[93:94], v[133:134], -v[127:128]
	v_mul_f64 v[117:118], v[1:2], v[131:132]
	v_add_f64 v[101:102], v[101:102], v[123:124]
	v_fma_f64 v[123:124], v[95:96], v[133:134], v[180:181]
	v_add_f64 v[103:104], v[103:104], v[111:112]
	s_clause 0x4
	buffer_load_dword v112, off, s[0:3], 0 offset:524
	buffer_load_dword v131, off, s[0:3], 0 offset:536
	;; [unrolled: 1-line block ×5, first 2 shown]
	s_waitcnt vmcnt(57) lgkmcnt(0)
	v_mul_f64 v[180:181], v[97:98], v[135:136]
	v_mul_f64 v[134:135], v[99:100], v[135:136]
	s_waitcnt vmcnt(56)
	v_fma_f64 v[119:120], v[1:2], v[121:122], -v[119:120]
	ds_read_b128 v[93:96], v150 offset:992
	v_fma_f64 v[117:118], v[3:4], v[121:122], v[117:118]
	s_clause 0x2
	buffer_load_dword v132, off, s[0:3], 0 offset:540
	buffer_load_dword v122, off, s[0:3], 0 offset:516
	;; [unrolled: 1-line block ×3, first 2 shown]
	ds_read_b128 v[1:4], v150 offset:1008
	v_add_f64 v[101:102], v[101:102], v[127:128]
	v_add_f64 v[103:104], v[103:104], v[123:124]
	s_waitcnt vmcnt(58) lgkmcnt(1)
	v_mul_f64 v[127:128], v[95:96], v[139:140]
	s_waitcnt vmcnt(56)
	v_fma_f64 v[135:136], v[97:98], v[141:142], -v[134:135]
	v_mul_f64 v[123:124], v[93:94], v[139:140]
	v_add_f64 v[101:102], v[101:102], v[119:120]
	v_fma_f64 v[119:120], v[99:100], v[141:142], v[180:181]
	v_add_f64 v[103:104], v[103:104], v[117:118]
	s_clause 0x4
	buffer_load_dword v118, off, s[0:3], 0 offset:556
	buffer_load_dword v139, off, s[0:3], 0 offset:568
	;; [unrolled: 1-line block ×5, first 2 shown]
	s_waitcnt vmcnt(57) lgkmcnt(0)
	v_mul_f64 v[180:181], v[1:2], v[143:144]
	v_mul_f64 v[142:143], v[3:4], v[143:144]
	s_waitcnt vmcnt(56)
	v_fma_f64 v[127:128], v[93:94], v[129:130], -v[127:128]
	ds_read_b128 v[97:100], v150 offset:1024
	v_fma_f64 v[123:124], v[95:96], v[129:130], v[123:124]
	v_add_f64 v[101:102], v[101:102], v[135:136]
	v_add_f64 v[103:104], v[103:104], v[119:120]
	s_clause 0x2
	buffer_load_dword v140, off, s[0:3], 0 offset:572
	buffer_load_dword v120, off, s[0:3], 0 offset:548
	;; [unrolled: 1-line block ×3, first 2 shown]
	ds_read_b128 v[93:96], v150 offset:1040
	s_waitcnt vmcnt(58) lgkmcnt(1)
	v_mul_f64 v[135:136], v[99:100], v[145:146]
	s_waitcnt vmcnt(56)
	v_fma_f64 v[143:144], v[1:2], v[147:148], -v[142:143]
	v_mul_f64 v[129:130], v[97:98], v[145:146]
	v_add_f64 v[101:102], v[101:102], v[127:128]
	v_fma_f64 v[127:128], v[3:4], v[147:148], v[180:181]
	v_add_f64 v[103:104], v[103:104], v[123:124]
	s_clause 0x4
	buffer_load_dword v124, off, s[0:3], 0 offset:588
	buffer_load_dword v145, off, s[0:3], 0 offset:600
	buffer_load_dword v147, off, s[0:3], 0 offset:592
	buffer_load_dword v123, off, s[0:3], 0 offset:584
	buffer_load_dword v142, off, s[0:3], 0 offset:564
	s_waitcnt vmcnt(57) lgkmcnt(0)
	v_mul_f64 v[180:181], v[93:94], v[165:166]
	v_mul_f64 v[165:166], v[95:96], v[165:166]
	s_waitcnt vmcnt(56)
	v_fma_f64 v[135:136], v[97:98], v[137:138], -v[135:136]
	ds_read_b128 v[1:4], v150 offset:1056
	v_fma_f64 v[129:130], v[99:100], v[137:138], v[129:130]
	v_add_f64 v[101:102], v[101:102], v[143:144]
	v_add_f64 v[103:104], v[103:104], v[127:128]
	s_clause 0x2
	buffer_load_dword v146, off, s[0:3], 0 offset:604
	buffer_load_dword v128, off, s[0:3], 0 offset:580
	;; [unrolled: 1-line block ×3, first 2 shown]
	ds_read_b128 v[97:100], v150 offset:1072
	s_waitcnt vmcnt(58) lgkmcnt(1)
	v_mul_f64 v[143:144], v[3:4], v[167:168]
	s_waitcnt vmcnt(56)
	v_fma_f64 v[165:166], v[93:94], v[172:173], -v[165:166]
	v_mul_f64 v[137:138], v[1:2], v[167:168]
	v_add_f64 v[101:102], v[101:102], v[135:136]
	v_fma_f64 v[135:136], v[95:96], v[172:173], v[180:181]
	v_add_f64 v[103:104], v[103:104], v[129:130]
	s_clause 0x4
	buffer_load_dword v130, off, s[0:3], 0 offset:620
	buffer_load_dword v167, off, s[0:3], 0 offset:632
	;; [unrolled: 1-line block ×5, first 2 shown]
	ds_read_b128 v[93:96], v150 offset:1088
	s_waitcnt vmcnt(57) lgkmcnt(1)
	v_mul_f64 v[172:173], v[97:98], v[163:164]
	v_mul_f64 v[163:164], v[99:100], v[163:164]
	s_waitcnt vmcnt(56)
	v_fma_f64 v[143:144], v[1:2], v[169:170], -v[143:144]
	v_fma_f64 v[137:138], v[3:4], v[169:170], v[137:138]
	v_add_f64 v[101:102], v[101:102], v[165:166]
	v_add_f64 v[103:104], v[103:104], v[135:136]
	s_clause 0x2
	buffer_load_dword v168, off, s[0:3], 0 offset:636
	buffer_load_dword v136, off, s[0:3], 0 offset:612
	;; [unrolled: 1-line block ×3, first 2 shown]
	ds_read_b128 v[1:4], v150 offset:1104
	s_waitcnt vmcnt(58) lgkmcnt(1)
	v_mul_f64 v[169:170], v[95:96], v[176:177]
	v_mul_f64 v[165:166], v[93:94], v[176:177]
	s_waitcnt vmcnt(56)
	v_fma_f64 v[163:164], v[97:98], v[157:158], -v[163:164]
	v_add_f64 v[101:102], v[101:102], v[143:144]
	v_fma_f64 v[143:144], v[99:100], v[157:158], v[172:173]
	v_add_f64 v[103:104], v[103:104], v[137:138]
	s_clause 0x4
	buffer_load_dword v138, off, s[0:3], 0 offset:652
	buffer_load_dword v157, off, s[0:3], 0 offset:664
	buffer_load_dword v176, off, s[0:3], 0 offset:656
	buffer_load_dword v137, off, s[0:3], 0 offset:648
	buffer_load_dword v172, off, s[0:3], 0 offset:628
	ds_read_b128 v[97:100], v150 offset:1120
	s_waitcnt vmcnt(57) lgkmcnt(1)
	v_mul_f64 v[180:181], v[1:2], v[113:114]
	v_mul_f64 v[113:114], v[3:4], v[113:114]
	s_waitcnt vmcnt(56)
	v_fma_f64 v[169:170], v[93:94], v[178:179], -v[169:170]
	v_add_f64 v[101:102], v[101:102], v[163:164]
	v_fma_f64 v[163:164], v[95:96], v[178:179], v[165:166]
	v_add_f64 v[103:104], v[103:104], v[143:144]
	s_clause 0x2
	buffer_load_dword v158, off, s[0:3], 0 offset:668
	buffer_load_dword v144, off, s[0:3], 0 offset:644
	;; [unrolled: 1-line block ×3, first 2 shown]
	ds_read_b128 v[93:96], v150 offset:1136
	s_waitcnt vmcnt(58) lgkmcnt(1)
	v_mul_f64 v[165:166], v[97:98], v[159:160]
	v_mul_f64 v[159:160], v[99:100], v[159:160]
	s_waitcnt vmcnt(56)
	v_fma_f64 v[113:114], v[1:2], v[107:108], -v[113:114]
	v_fma_f64 v[107:108], v[3:4], v[107:108], v[180:181]
	v_add_f64 v[101:102], v[101:102], v[169:170]
	v_add_f64 v[103:104], v[103:104], v[163:164]
	s_clause 0x4
	buffer_load_dword v164, off, s[0:3], 0 offset:684
	buffer_load_dword v169, off, s[0:3], 0 offset:696
	buffer_load_dword v173, off, s[0:3], 0 offset:688
	buffer_load_dword v163, off, s[0:3], 0 offset:680
	buffer_load_dword v177, off, s[0:3], 0 offset:660
	ds_read_b128 v[1:4], v150 offset:1152
	s_waitcnt vmcnt(57) lgkmcnt(1)
	v_mul_f64 v[178:179], v[93:94], v[151:152]
	v_mul_f64 v[151:152], v[95:96], v[151:152]
	s_waitcnt vmcnt(56)
	v_fma_f64 v[159:160], v[97:98], v[174:175], -v[159:160]
	v_add_f64 v[101:102], v[101:102], v[113:114]
	v_fma_f64 v[113:114], v[99:100], v[174:175], v[165:166]
	v_add_f64 v[103:104], v[103:104], v[107:108]
	s_clause 0x2
	buffer_load_dword v170, off, s[0:3], 0 offset:700
	buffer_load_dword v108, off, s[0:3], 0 offset:676
	;; [unrolled: 1-line block ×3, first 2 shown]
	ds_read_b128 v[97:100], v150 offset:1168
	s_waitcnt vmcnt(58) lgkmcnt(1)
	v_mul_f64 v[165:166], v[1:2], v[153:154]
	v_mul_f64 v[153:154], v[3:4], v[153:154]
	s_waitcnt vmcnt(56)
	v_fma_f64 v[151:152], v[93:94], v[109:110], -v[151:152]
	v_fma_f64 v[109:110], v[95:96], v[109:110], v[178:179]
	v_add_f64 v[101:102], v[101:102], v[159:160]
	v_add_f64 v[103:104], v[103:104], v[113:114]
	s_clause 0x2
	buffer_load_dword v114, off, s[0:3], 0 offset:716
	buffer_load_dword v113, off, s[0:3], 0 offset:712
	;; [unrolled: 1-line block ×3, first 2 shown]
	ds_read_b128 v[93:96], v150 offset:1184
	s_waitcnt vmcnt(55) lgkmcnt(1)
	v_mul_f64 v[159:160], v[97:98], v[105:106]
	v_mul_f64 v[105:106], v[99:100], v[105:106]
	s_waitcnt vmcnt(54)
	v_fma_f64 v[153:154], v[1:2], v[161:162], -v[153:154]
	v_add_f64 v[101:102], v[101:102], v[151:152]
	v_fma_f64 v[151:152], v[3:4], v[161:162], v[165:166]
	v_add_f64 v[103:104], v[103:104], v[109:110]
	s_clause 0x1
	buffer_load_dword v110, off, s[0:3], 0 offset:708
	buffer_load_dword v109, off, s[0:3], 0 offset:704
	ds_read_b128 v[1:4], v150 offset:1200
	s_waitcnt vmcnt(55) lgkmcnt(1)
	v_mul_f64 v[161:162], v[93:94], v[125:126]
	v_mul_f64 v[125:126], v[95:96], v[125:126]
	s_waitcnt vmcnt(53)
	v_fma_f64 v[105:106], v[97:98], v[115:116], -v[105:106]
	v_fma_f64 v[115:116], v[99:100], v[115:116], v[159:160]
	ds_read_b128 v[97:100], v150 offset:1216
	v_add_f64 v[101:102], v[101:102], v[153:154]
	v_add_f64 v[103:104], v[103:104], v[151:152]
	s_waitcnt vmcnt(49) lgkmcnt(1)
	v_mul_f64 v[151:152], v[1:2], v[111:112]
	v_mul_f64 v[111:112], v[3:4], v[111:112]
	s_waitcnt vmcnt(48)
	v_fma_f64 v[125:126], v[93:94], v[155:156], -v[125:126]
	v_add_f64 v[101:102], v[101:102], v[105:106]
	v_fma_f64 v[105:106], v[95:96], v[155:156], v[161:162]
	v_add_f64 v[103:104], v[103:104], v[115:116]
	s_clause 0x3
	buffer_load_dword v115, off, s[0:3], 0 offset:96
	buffer_load_dword v116, off, s[0:3], 0 offset:100
	;; [unrolled: 1-line block ×4, first 2 shown]
	s_waitcnt vmcnt(51) lgkmcnt(0)
	v_mul_f64 v[155:156], v[97:98], v[131:132]
	v_mul_f64 v[131:132], v[99:100], v[131:132]
	ds_read_b128 v[93:96], v150 offset:1232
	s_waitcnt vmcnt(49)
	v_fma_f64 v[111:112], v[1:2], v[121:122], -v[111:112]
	v_fma_f64 v[121:122], v[3:4], v[121:122], v[151:152]
	ds_read_b128 v[1:4], v150 offset:1248
	v_add_f64 v[101:102], v[101:102], v[125:126]
	v_add_f64 v[103:104], v[103:104], v[105:106]
	s_waitcnt vmcnt(45) lgkmcnt(1)
	v_mul_f64 v[105:106], v[93:94], v[117:118]
	v_mul_f64 v[117:118], v[95:96], v[117:118]
	s_waitcnt vmcnt(44)
	v_fma_f64 v[125:126], v[97:98], v[133:134], -v[131:132]
	v_add_f64 v[101:102], v[101:102], v[111:112]
	v_fma_f64 v[111:112], v[99:100], v[133:134], v[155:156]
	v_add_f64 v[103:104], v[103:104], v[121:122]
	ds_read_b128 v[97:100], v150 offset:1264
	s_waitcnt vmcnt(43) lgkmcnt(1)
	v_mul_f64 v[131:132], v[3:4], v[139:140]
	v_mul_f64 v[121:122], v[1:2], v[139:140]
	s_waitcnt vmcnt(41)
	v_fma_f64 v[117:118], v[93:94], v[119:120], -v[117:118]
	v_fma_f64 v[105:106], v[95:96], v[119:120], v[105:106]
	ds_read_b128 v[93:96], v150 offset:1280
	v_add_f64 v[101:102], v[101:102], v[125:126]
	v_add_f64 v[103:104], v[103:104], v[111:112]
	s_waitcnt vmcnt(37) lgkmcnt(1)
	v_mul_f64 v[111:112], v[97:98], v[123:124]
	v_mul_f64 v[119:120], v[99:100], v[123:124]
	s_waitcnt vmcnt(36)
	v_fma_f64 v[123:124], v[1:2], v[141:142], -v[131:132]
	v_add_f64 v[101:102], v[101:102], v[117:118]
	v_fma_f64 v[117:118], v[3:4], v[141:142], v[121:122]
	v_add_f64 v[103:104], v[103:104], v[105:106]
	ds_read_b128 v[1:4], v150 offset:1296
	s_waitcnt vmcnt(35) lgkmcnt(1)
	v_mul_f64 v[121:122], v[95:96], v[145:146]
	v_mul_f64 v[105:106], v[93:94], v[145:146]
	s_waitcnt vmcnt(33)
	v_fma_f64 v[119:120], v[97:98], v[127:128], -v[119:120]
	v_fma_f64 v[111:112], v[99:100], v[127:128], v[111:112]
	ds_read_b128 v[97:100], v150 offset:1312
	v_add_f64 v[101:102], v[101:102], v[123:124]
	v_add_f64 v[103:104], v[103:104], v[117:118]
	s_waitcnt vmcnt(29) lgkmcnt(1)
	v_mul_f64 v[123:124], v[3:4], v[129:130]
	s_waitcnt vmcnt(28)
	v_fma_f64 v[121:122], v[93:94], v[147:148], -v[121:122]
	v_mul_f64 v[117:118], v[1:2], v[129:130]
	v_fma_f64 v[105:106], v[95:96], v[147:148], v[105:106]
	ds_read_b128 v[93:96], v150 offset:1328
	v_add_f64 v[101:102], v[101:102], v[119:120]
	v_add_f64 v[103:104], v[103:104], v[111:112]
	s_waitcnt vmcnt(27) lgkmcnt(1)
	v_mul_f64 v[119:120], v[99:100], v[167:168]
	v_mul_f64 v[111:112], v[97:98], v[167:168]
	s_waitcnt vmcnt(25)
	v_fma_f64 v[123:124], v[1:2], v[135:136], -v[123:124]
	v_fma_f64 v[117:118], v[3:4], v[135:136], v[117:118]
	ds_read_b128 v[1:4], v150 offset:1344
	v_add_f64 v[101:102], v[101:102], v[121:122]
	v_add_f64 v[103:104], v[103:104], v[105:106]
	s_waitcnt vmcnt(21) lgkmcnt(1)
	v_mul_f64 v[121:122], v[95:96], v[137:138]
	s_waitcnt vmcnt(20)
	v_fma_f64 v[119:120], v[97:98], v[171:172], -v[119:120]
	v_mul_f64 v[105:106], v[93:94], v[137:138]
	v_fma_f64 v[111:112], v[99:100], v[171:172], v[111:112]
	ds_read_b128 v[97:100], v150 offset:1360
	v_add_f64 v[101:102], v[101:102], v[123:124]
	v_add_f64 v[103:104], v[103:104], v[117:118]
	;; [unrolled: 18-line block ×3, first 2 shown]
	s_waitcnt vmcnt(11) lgkmcnt(1)
	v_mul_f64 v[121:122], v[95:96], v[169:170]
	v_mul_f64 v[105:106], v[93:94], v[169:170]
	s_waitcnt vmcnt(9)
	v_fma_f64 v[97:98], v[97:98], v[107:108], -v[119:120]
	v_fma_f64 v[99:100], v[99:100], v[107:108], v[111:112]
	v_add_f64 v[101:102], v[101:102], v[123:124]
	v_add_f64 v[103:104], v[103:104], v[117:118]
	s_waitcnt vmcnt(7) lgkmcnt(0)
	v_mul_f64 v[111:112], v[3:4], v[113:114]
	s_waitcnt vmcnt(6)
	v_fma_f64 v[93:94], v[93:94], v[173:174], -v[121:122]
	v_mul_f64 v[107:108], v[1:2], v[113:114]
	v_fma_f64 v[95:96], v[95:96], v[173:174], v[105:106]
	v_add_f64 v[97:98], v[101:102], v[97:98]
	v_add_f64 v[99:100], v[103:104], v[99:100]
	s_waitcnt vmcnt(4)
	v_fma_f64 v[1:2], v[1:2], v[109:110], -v[111:112]
	v_fma_f64 v[3:4], v[3:4], v[109:110], v[107:108]
	v_add_f64 v[93:94], v[97:98], v[93:94]
	v_add_f64 v[95:96], v[99:100], v[95:96]
	;; [unrolled: 1-line block ×4, first 2 shown]
	s_waitcnt vmcnt(2)
	v_add_f64 v[1:2], v[115:116], -v[1:2]
	s_waitcnt vmcnt(0)
	v_add_f64 v[3:4], v[153:154], -v[3:4]
	buffer_store_dword v2, off, s[0:3], 0 offset:100
	buffer_store_dword v1, off, s[0:3], 0 offset:96
	;; [unrolled: 1-line block ×4, first 2 shown]
	v_cmpx_lt_u32_e32 4, v0
	s_cbranch_execz .LBB107_269
; %bb.268:
	v_mov_b32_e32 v4, s52
	v_mov_b32_e32 v93, 0
	s_clause 0x3
	buffer_load_dword v1, v4, s[0:3], 0 offen
	buffer_load_dword v2, v4, s[0:3], 0 offen offset:4
	buffer_load_dword v3, v4, s[0:3], 0 offen offset:8
	;; [unrolled: 1-line block ×3, first 2 shown]
	buffer_store_dword v93, off, s[0:3], 0 offset:80
	buffer_store_dword v93, off, s[0:3], 0 offset:84
	;; [unrolled: 1-line block ×4, first 2 shown]
	s_waitcnt vmcnt(0)
	ds_write_b128 v149, v[1:4]
.LBB107_269:
	s_or_b32 exec_lo, exec_lo, s4
	s_waitcnt lgkmcnt(0)
	s_waitcnt_vscnt null, 0x0
	s_barrier
	buffer_gl0_inv
	s_clause 0x37
	buffer_load_dword v97, off, s[0:3], 0 offset:104
	buffer_load_dword v98, off, s[0:3], 0 offset:108
	;; [unrolled: 1-line block ×56, first 2 shown]
	v_mov_b32_e32 v150, 0
	s_mov_b32 s4, exec_lo
	ds_read_b128 v[151:154], v150 offset:784
	s_clause 0x2
	buffer_load_dword v146, off, s[0:3], 0 offset:332
	buffer_load_dword v148, off, s[0:3], 0 offset:308
	;; [unrolled: 1-line block ×3, first 2 shown]
	ds_read_b128 v[155:158], v150 offset:800
	s_clause 0x4
	buffer_load_dword v166, off, s[0:3], 0 offset:348
	buffer_load_dword v167, off, s[0:3], 0 offset:360
	;; [unrolled: 1-line block ×5, first 2 shown]
	ds_read_b128 v[159:162], v150 offset:816
	s_clause 0x2
	buffer_load_dword v168, off, s[0:3], 0 offset:364
	buffer_load_dword v173, off, s[0:3], 0 offset:340
	;; [unrolled: 1-line block ×3, first 2 shown]
	s_waitcnt vmcnt(62) lgkmcnt(2)
	v_mul_f64 v[163:164], v[153:154], v[97:98]
	v_mul_f64 v[97:98], v[151:152], v[97:98]
	s_waitcnt lgkmcnt(1)
	v_mul_f64 v[170:171], v[157:158], v[93:94]
	s_waitcnt vmcnt(59) lgkmcnt(0)
	v_mul_f64 v[174:175], v[161:162], v[3:4]
	v_fma_f64 v[151:152], v[151:152], v[95:96], -v[163:164]
	v_mul_f64 v[163:164], v[155:156], v[93:94]
	v_fma_f64 v[97:98], v[153:154], v[95:96], v[97:98]
	s_waitcnt vmcnt(57)
	v_fma_f64 v[155:156], v[155:156], v[1:2], -v[170:171]
	ds_read_b128 v[93:96], v150 offset:832
	v_mul_f64 v[153:154], v[159:160], v[3:4]
	s_waitcnt vmcnt(51)
	v_fma_f64 v[159:160], v[159:160], v[113:114], -v[174:175]
	v_add_f64 v[151:152], v[151:152], 0
	v_fma_f64 v[157:158], v[157:158], v[1:2], v[163:164]
	v_add_f64 v[97:98], v[97:98], 0
	s_clause 0x4
	buffer_load_dword v164, off, s[0:3], 0 offset:380
	buffer_load_dword v176, off, s[0:3], 0 offset:392
	;; [unrolled: 1-line block ×5, first 2 shown]
	s_waitcnt lgkmcnt(0)
	v_mul_f64 v[179:180], v[93:94], v[101:102]
	v_mul_f64 v[101:102], v[95:96], v[101:102]
	ds_read_b128 v[1:4], v150 offset:848
	v_fma_f64 v[113:114], v[161:162], v[113:114], v[153:154]
	v_add_f64 v[155:156], v[151:152], v[155:156]
	v_add_f64 v[97:98], v[97:98], v[157:158]
	s_clause 0x2
	buffer_load_dword v177, off, s[0:3], 0 offset:396
	buffer_load_dword v158, off, s[0:3], 0 offset:372
	;; [unrolled: 1-line block ×3, first 2 shown]
	s_waitcnt vmcnt(58) lgkmcnt(0)
	v_mul_f64 v[161:162], v[1:2], v[105:106]
	v_mul_f64 v[105:106], v[3:4], v[105:106]
	s_waitcnt vmcnt(56)
	v_fma_f64 v[101:102], v[93:94], v[107:108], -v[101:102]
	ds_read_b128 v[151:154], v150 offset:864
	v_fma_f64 v[107:108], v[95:96], v[107:108], v[179:180]
	v_add_f64 v[155:156], v[155:156], v[159:160]
	v_add_f64 v[97:98], v[97:98], v[113:114]
	s_clause 0x4
	buffer_load_dword v114, off, s[0:3], 0 offset:412
	buffer_load_dword v159, off, s[0:3], 0 offset:424
	;; [unrolled: 1-line block ×5, first 2 shown]
	ds_read_b128 v[93:96], v150 offset:880
	s_waitcnt vmcnt(57) lgkmcnt(1)
	v_mul_f64 v[180:181], v[151:152], v[109:110]
	v_mul_f64 v[109:110], v[153:154], v[109:110]
	s_waitcnt vmcnt(56)
	v_fma_f64 v[105:106], v[1:2], v[99:100], -v[105:106]
	v_fma_f64 v[99:100], v[3:4], v[99:100], v[161:162]
	v_add_f64 v[101:102], v[155:156], v[101:102]
	v_add_f64 v[97:98], v[97:98], v[107:108]
	s_clause 0x2
	buffer_load_dword v160, off, s[0:3], 0 offset:428
	buffer_load_dword v108, off, s[0:3], 0 offset:404
	buffer_load_dword v107, off, s[0:3], 0 offset:400
	s_waitcnt vmcnt(58) lgkmcnt(0)
	v_mul_f64 v[155:156], v[93:94], v[115:116]
	v_mul_f64 v[115:116], v[95:96], v[115:116]
	s_waitcnt vmcnt(56)
	v_fma_f64 v[109:110], v[151:152], v[117:118], -v[109:110]
	ds_read_b128 v[1:4], v150 offset:896
	v_add_f64 v[101:102], v[101:102], v[105:106]
	v_fma_f64 v[105:106], v[153:154], v[117:118], v[180:181]
	v_add_f64 v[117:118], v[97:98], v[99:100]
	s_clause 0x4
	buffer_load_dword v152, off, s[0:3], 0 offset:444
	buffer_load_dword v153, off, s[0:3], 0 offset:456
	;; [unrolled: 1-line block ×5, first 2 shown]
	ds_read_b128 v[97:100], v150 offset:912
	s_waitcnt vmcnt(57) lgkmcnt(1)
	v_mul_f64 v[180:181], v[1:2], v[119:120]
	v_mul_f64 v[119:120], v[3:4], v[119:120]
	s_waitcnt vmcnt(56)
	v_fma_f64 v[115:116], v[93:94], v[103:104], -v[115:116]
	v_fma_f64 v[103:104], v[95:96], v[103:104], v[155:156]
	v_add_f64 v[101:102], v[101:102], v[109:110]
	s_clause 0x2
	buffer_load_dword v154, off, s[0:3], 0 offset:460
	buffer_load_dword v110, off, s[0:3], 0 offset:436
	;; [unrolled: 1-line block ×3, first 2 shown]
	v_add_f64 v[105:106], v[117:118], v[105:106]
	s_waitcnt vmcnt(58) lgkmcnt(0)
	v_mul_f64 v[117:118], v[97:98], v[123:124]
	v_mul_f64 v[123:124], v[99:100], v[123:124]
	ds_read_b128 v[93:96], v150 offset:928
	s_waitcnt vmcnt(56)
	v_fma_f64 v[119:120], v[1:2], v[125:126], -v[119:120]
	v_add_f64 v[101:102], v[101:102], v[115:116]
	v_fma_f64 v[115:116], v[3:4], v[125:126], v[180:181]
	v_add_f64 v[103:104], v[105:106], v[103:104]
	s_clause 0x4
	buffer_load_dword v106, off, s[0:3], 0 offset:476
	buffer_load_dword v125, off, s[0:3], 0 offset:488
	;; [unrolled: 1-line block ×5, first 2 shown]
	s_waitcnt vmcnt(57) lgkmcnt(0)
	v_mul_f64 v[180:181], v[93:94], v[127:128]
	v_mul_f64 v[127:128], v[95:96], v[127:128]
	s_waitcnt vmcnt(56)
	v_fma_f64 v[123:124], v[97:98], v[111:112], -v[123:124]
	ds_read_b128 v[1:4], v150 offset:944
	v_fma_f64 v[111:112], v[99:100], v[111:112], v[117:118]
	v_add_f64 v[101:102], v[101:102], v[119:120]
	v_add_f64 v[103:104], v[103:104], v[115:116]
	s_clause 0x2
	buffer_load_dword v126, off, s[0:3], 0 offset:492
	buffer_load_dword v116, off, s[0:3], 0 offset:468
	;; [unrolled: 1-line block ×3, first 2 shown]
	ds_read_b128 v[97:100], v150 offset:960
	s_waitcnt vmcnt(58) lgkmcnt(1)
	v_mul_f64 v[119:120], v[3:4], v[131:132]
	s_waitcnt vmcnt(56)
	v_fma_f64 v[127:128], v[93:94], v[133:134], -v[127:128]
	v_mul_f64 v[117:118], v[1:2], v[131:132]
	v_add_f64 v[101:102], v[101:102], v[123:124]
	v_fma_f64 v[123:124], v[95:96], v[133:134], v[180:181]
	v_add_f64 v[103:104], v[103:104], v[111:112]
	s_clause 0x4
	buffer_load_dword v112, off, s[0:3], 0 offset:508
	buffer_load_dword v131, off, s[0:3], 0 offset:520
	;; [unrolled: 1-line block ×5, first 2 shown]
	s_waitcnt vmcnt(57) lgkmcnt(0)
	v_mul_f64 v[180:181], v[97:98], v[135:136]
	v_mul_f64 v[134:135], v[99:100], v[135:136]
	s_waitcnt vmcnt(56)
	v_fma_f64 v[119:120], v[1:2], v[121:122], -v[119:120]
	ds_read_b128 v[93:96], v150 offset:976
	v_fma_f64 v[117:118], v[3:4], v[121:122], v[117:118]
	s_clause 0x2
	buffer_load_dword v132, off, s[0:3], 0 offset:524
	buffer_load_dword v122, off, s[0:3], 0 offset:500
	;; [unrolled: 1-line block ×3, first 2 shown]
	ds_read_b128 v[1:4], v150 offset:992
	v_add_f64 v[101:102], v[101:102], v[127:128]
	v_add_f64 v[103:104], v[103:104], v[123:124]
	s_waitcnt vmcnt(58) lgkmcnt(1)
	v_mul_f64 v[127:128], v[95:96], v[139:140]
	s_waitcnt vmcnt(56)
	v_fma_f64 v[135:136], v[97:98], v[141:142], -v[134:135]
	v_mul_f64 v[123:124], v[93:94], v[139:140]
	v_add_f64 v[101:102], v[101:102], v[119:120]
	v_fma_f64 v[119:120], v[99:100], v[141:142], v[180:181]
	v_add_f64 v[103:104], v[103:104], v[117:118]
	s_clause 0x4
	buffer_load_dword v118, off, s[0:3], 0 offset:540
	buffer_load_dword v139, off, s[0:3], 0 offset:552
	;; [unrolled: 1-line block ×5, first 2 shown]
	s_waitcnt vmcnt(57) lgkmcnt(0)
	v_mul_f64 v[180:181], v[1:2], v[143:144]
	v_mul_f64 v[142:143], v[3:4], v[143:144]
	s_waitcnt vmcnt(56)
	v_fma_f64 v[127:128], v[93:94], v[129:130], -v[127:128]
	ds_read_b128 v[97:100], v150 offset:1008
	v_fma_f64 v[123:124], v[95:96], v[129:130], v[123:124]
	v_add_f64 v[101:102], v[101:102], v[135:136]
	v_add_f64 v[103:104], v[103:104], v[119:120]
	s_clause 0x2
	buffer_load_dword v140, off, s[0:3], 0 offset:556
	buffer_load_dword v120, off, s[0:3], 0 offset:532
	buffer_load_dword v119, off, s[0:3], 0 offset:528
	ds_read_b128 v[93:96], v150 offset:1024
	s_waitcnt vmcnt(58) lgkmcnt(1)
	v_mul_f64 v[135:136], v[99:100], v[145:146]
	s_waitcnt vmcnt(56)
	v_fma_f64 v[143:144], v[1:2], v[147:148], -v[142:143]
	v_mul_f64 v[129:130], v[97:98], v[145:146]
	v_add_f64 v[101:102], v[101:102], v[127:128]
	v_fma_f64 v[127:128], v[3:4], v[147:148], v[180:181]
	v_add_f64 v[103:104], v[103:104], v[123:124]
	s_clause 0x4
	buffer_load_dword v124, off, s[0:3], 0 offset:572
	buffer_load_dword v145, off, s[0:3], 0 offset:584
	buffer_load_dword v147, off, s[0:3], 0 offset:576
	buffer_load_dword v123, off, s[0:3], 0 offset:568
	buffer_load_dword v142, off, s[0:3], 0 offset:548
	s_waitcnt vmcnt(57) lgkmcnt(0)
	v_mul_f64 v[180:181], v[93:94], v[165:166]
	v_mul_f64 v[165:166], v[95:96], v[165:166]
	s_waitcnt vmcnt(56)
	v_fma_f64 v[135:136], v[97:98], v[137:138], -v[135:136]
	ds_read_b128 v[1:4], v150 offset:1040
	v_fma_f64 v[129:130], v[99:100], v[137:138], v[129:130]
	v_add_f64 v[101:102], v[101:102], v[143:144]
	v_add_f64 v[103:104], v[103:104], v[127:128]
	s_clause 0x2
	buffer_load_dword v146, off, s[0:3], 0 offset:588
	buffer_load_dword v128, off, s[0:3], 0 offset:564
	;; [unrolled: 1-line block ×3, first 2 shown]
	ds_read_b128 v[97:100], v150 offset:1056
	s_waitcnt vmcnt(58) lgkmcnt(1)
	v_mul_f64 v[143:144], v[3:4], v[167:168]
	s_waitcnt vmcnt(56)
	v_fma_f64 v[165:166], v[93:94], v[172:173], -v[165:166]
	v_mul_f64 v[137:138], v[1:2], v[167:168]
	v_add_f64 v[101:102], v[101:102], v[135:136]
	v_fma_f64 v[135:136], v[95:96], v[172:173], v[180:181]
	v_add_f64 v[103:104], v[103:104], v[129:130]
	s_clause 0x4
	buffer_load_dword v130, off, s[0:3], 0 offset:604
	buffer_load_dword v167, off, s[0:3], 0 offset:616
	;; [unrolled: 1-line block ×5, first 2 shown]
	ds_read_b128 v[93:96], v150 offset:1072
	s_waitcnt vmcnt(57) lgkmcnt(1)
	v_mul_f64 v[172:173], v[97:98], v[163:164]
	v_mul_f64 v[163:164], v[99:100], v[163:164]
	s_waitcnt vmcnt(56)
	v_fma_f64 v[143:144], v[1:2], v[169:170], -v[143:144]
	v_fma_f64 v[137:138], v[3:4], v[169:170], v[137:138]
	v_add_f64 v[101:102], v[101:102], v[165:166]
	v_add_f64 v[103:104], v[103:104], v[135:136]
	s_clause 0x2
	buffer_load_dword v168, off, s[0:3], 0 offset:620
	buffer_load_dword v136, off, s[0:3], 0 offset:596
	;; [unrolled: 1-line block ×3, first 2 shown]
	ds_read_b128 v[1:4], v150 offset:1088
	s_waitcnt vmcnt(58) lgkmcnt(1)
	v_mul_f64 v[169:170], v[95:96], v[176:177]
	v_mul_f64 v[165:166], v[93:94], v[176:177]
	s_waitcnt vmcnt(56)
	v_fma_f64 v[163:164], v[97:98], v[157:158], -v[163:164]
	v_add_f64 v[101:102], v[101:102], v[143:144]
	v_fma_f64 v[143:144], v[99:100], v[157:158], v[172:173]
	v_add_f64 v[103:104], v[103:104], v[137:138]
	s_clause 0x4
	buffer_load_dword v138, off, s[0:3], 0 offset:636
	buffer_load_dword v157, off, s[0:3], 0 offset:648
	;; [unrolled: 1-line block ×5, first 2 shown]
	ds_read_b128 v[97:100], v150 offset:1104
	s_waitcnt vmcnt(57) lgkmcnt(1)
	v_mul_f64 v[180:181], v[1:2], v[113:114]
	v_mul_f64 v[113:114], v[3:4], v[113:114]
	s_waitcnt vmcnt(56)
	v_fma_f64 v[169:170], v[93:94], v[178:179], -v[169:170]
	v_add_f64 v[101:102], v[101:102], v[163:164]
	v_fma_f64 v[163:164], v[95:96], v[178:179], v[165:166]
	v_add_f64 v[103:104], v[103:104], v[143:144]
	s_clause 0x2
	buffer_load_dword v158, off, s[0:3], 0 offset:652
	buffer_load_dword v144, off, s[0:3], 0 offset:628
	;; [unrolled: 1-line block ×3, first 2 shown]
	ds_read_b128 v[93:96], v150 offset:1120
	s_waitcnt vmcnt(58) lgkmcnt(1)
	v_mul_f64 v[165:166], v[97:98], v[159:160]
	v_mul_f64 v[159:160], v[99:100], v[159:160]
	s_waitcnt vmcnt(56)
	v_fma_f64 v[113:114], v[1:2], v[107:108], -v[113:114]
	v_fma_f64 v[107:108], v[3:4], v[107:108], v[180:181]
	v_add_f64 v[101:102], v[101:102], v[169:170]
	v_add_f64 v[103:104], v[103:104], v[163:164]
	s_clause 0x4
	buffer_load_dword v164, off, s[0:3], 0 offset:668
	buffer_load_dword v169, off, s[0:3], 0 offset:680
	;; [unrolled: 1-line block ×5, first 2 shown]
	ds_read_b128 v[1:4], v150 offset:1136
	s_waitcnt vmcnt(57) lgkmcnt(1)
	v_mul_f64 v[178:179], v[93:94], v[151:152]
	v_mul_f64 v[151:152], v[95:96], v[151:152]
	s_waitcnt vmcnt(56)
	v_fma_f64 v[159:160], v[97:98], v[174:175], -v[159:160]
	v_add_f64 v[101:102], v[101:102], v[113:114]
	v_fma_f64 v[113:114], v[99:100], v[174:175], v[165:166]
	v_add_f64 v[103:104], v[103:104], v[107:108]
	s_clause 0x2
	buffer_load_dword v170, off, s[0:3], 0 offset:684
	buffer_load_dword v108, off, s[0:3], 0 offset:660
	buffer_load_dword v107, off, s[0:3], 0 offset:656
	ds_read_b128 v[97:100], v150 offset:1152
	s_waitcnt vmcnt(58) lgkmcnt(1)
	v_mul_f64 v[165:166], v[1:2], v[153:154]
	v_mul_f64 v[153:154], v[3:4], v[153:154]
	s_waitcnt vmcnt(56)
	v_fma_f64 v[151:152], v[93:94], v[109:110], -v[151:152]
	v_fma_f64 v[109:110], v[95:96], v[109:110], v[178:179]
	v_add_f64 v[101:102], v[101:102], v[159:160]
	v_add_f64 v[103:104], v[103:104], v[113:114]
	s_clause 0x4
	buffer_load_dword v114, off, s[0:3], 0 offset:700
	buffer_load_dword v159, off, s[0:3], 0 offset:712
	;; [unrolled: 1-line block ×5, first 2 shown]
	ds_read_b128 v[93:96], v150 offset:1168
	s_waitcnt vmcnt(57) lgkmcnt(1)
	v_mul_f64 v[179:180], v[97:98], v[105:106]
	v_mul_f64 v[105:106], v[99:100], v[105:106]
	s_waitcnt vmcnt(56)
	v_fma_f64 v[153:154], v[1:2], v[161:162], -v[153:154]
	v_add_f64 v[101:102], v[101:102], v[151:152]
	v_fma_f64 v[151:152], v[3:4], v[161:162], v[165:166]
	v_add_f64 v[103:104], v[103:104], v[109:110]
	s_clause 0x2
	buffer_load_dword v160, off, s[0:3], 0 offset:716
	buffer_load_dword v110, off, s[0:3], 0 offset:692
	;; [unrolled: 1-line block ×3, first 2 shown]
	ds_read_b128 v[1:4], v150 offset:1184
	s_waitcnt vmcnt(58) lgkmcnt(1)
	v_mul_f64 v[161:162], v[93:94], v[125:126]
	v_mul_f64 v[125:126], v[95:96], v[125:126]
	s_waitcnt vmcnt(56)
	v_fma_f64 v[105:106], v[97:98], v[115:116], -v[105:106]
	v_fma_f64 v[115:116], v[99:100], v[115:116], v[179:180]
	buffer_load_dword v179, off, s[0:3], 0 offset:708
	ds_read_b128 v[97:100], v150 offset:1200
	v_add_f64 v[101:102], v[101:102], v[153:154]
	v_add_f64 v[103:104], v[103:104], v[151:152]
	s_waitcnt vmcnt(53) lgkmcnt(1)
	v_mul_f64 v[151:152], v[1:2], v[111:112]
	v_mul_f64 v[111:112], v[3:4], v[111:112]
	s_waitcnt vmcnt(52)
	v_fma_f64 v[125:126], v[93:94], v[155:156], -v[125:126]
	v_add_f64 v[101:102], v[101:102], v[105:106]
	v_fma_f64 v[105:106], v[95:96], v[155:156], v[161:162]
	v_add_f64 v[103:104], v[103:104], v[115:116]
	s_waitcnt vmcnt(51) lgkmcnt(0)
	v_mul_f64 v[115:116], v[97:98], v[131:132]
	v_mul_f64 v[131:132], v[99:100], v[131:132]
	ds_read_b128 v[93:96], v150 offset:1216
	s_waitcnt vmcnt(49)
	v_fma_f64 v[111:112], v[1:2], v[121:122], -v[111:112]
	v_fma_f64 v[121:122], v[3:4], v[121:122], v[151:152]
	v_add_f64 v[101:102], v[101:102], v[125:126]
	v_add_f64 v[103:104], v[103:104], v[105:106]
	s_clause 0x3
	buffer_load_dword v105, off, s[0:3], 0 offset:80
	buffer_load_dword v106, off, s[0:3], 0 offset:84
	;; [unrolled: 1-line block ×4, first 2 shown]
	ds_read_b128 v[1:4], v150 offset:1232
	s_waitcnt vmcnt(49) lgkmcnt(1)
	v_mul_f64 v[151:152], v[93:94], v[117:118]
	v_mul_f64 v[117:118], v[95:96], v[117:118]
	s_waitcnt vmcnt(48)
	v_fma_f64 v[131:132], v[97:98], v[133:134], -v[131:132]
	v_add_f64 v[101:102], v[101:102], v[111:112]
	v_fma_f64 v[111:112], v[99:100], v[133:134], v[115:116]
	v_add_f64 v[103:104], v[103:104], v[121:122]
	ds_read_b128 v[97:100], v150 offset:1248
	s_waitcnt vmcnt(47) lgkmcnt(1)
	v_mul_f64 v[121:122], v[3:4], v[139:140]
	v_mul_f64 v[115:116], v[1:2], v[139:140]
	s_waitcnt vmcnt(45)
	v_fma_f64 v[117:118], v[93:94], v[119:120], -v[117:118]
	v_fma_f64 v[119:120], v[95:96], v[119:120], v[151:152]
	ds_read_b128 v[93:96], v150 offset:1264
	v_add_f64 v[101:102], v[101:102], v[131:132]
	v_add_f64 v[103:104], v[103:104], v[111:112]
	s_waitcnt vmcnt(41) lgkmcnt(1)
	v_mul_f64 v[111:112], v[97:98], v[123:124]
	v_mul_f64 v[123:124], v[99:100], v[123:124]
	s_waitcnt vmcnt(40)
	v_fma_f64 v[121:122], v[1:2], v[141:142], -v[121:122]
	v_fma_f64 v[115:116], v[3:4], v[141:142], v[115:116]
	ds_read_b128 v[1:4], v150 offset:1280
	v_add_f64 v[101:102], v[101:102], v[117:118]
	v_add_f64 v[103:104], v[103:104], v[119:120]
	;; [unrolled: 9-line block ×3, first 2 shown]
	s_waitcnt vmcnt(33) lgkmcnt(1)
	v_mul_f64 v[121:122], v[3:4], v[129:130]
	s_waitcnt vmcnt(32)
	v_fma_f64 v[119:120], v[93:94], v[147:148], -v[119:120]
	v_mul_f64 v[115:116], v[1:2], v[129:130]
	v_fma_f64 v[117:118], v[95:96], v[147:148], v[117:118]
	ds_read_b128 v[93:96], v150 offset:1312
	v_add_f64 v[101:102], v[101:102], v[123:124]
	v_add_f64 v[103:104], v[103:104], v[111:112]
	s_waitcnt vmcnt(31) lgkmcnt(1)
	v_mul_f64 v[123:124], v[99:100], v[167:168]
	v_mul_f64 v[111:112], v[97:98], v[167:168]
	s_waitcnt vmcnt(29)
	v_fma_f64 v[121:122], v[1:2], v[135:136], -v[121:122]
	v_fma_f64 v[115:116], v[3:4], v[135:136], v[115:116]
	ds_read_b128 v[1:4], v150 offset:1328
	v_add_f64 v[101:102], v[101:102], v[119:120]
	v_add_f64 v[103:104], v[103:104], v[117:118]
	s_waitcnt vmcnt(25) lgkmcnt(1)
	v_mul_f64 v[119:120], v[95:96], v[137:138]
	s_waitcnt vmcnt(24)
	v_fma_f64 v[123:124], v[97:98], v[171:172], -v[123:124]
	v_mul_f64 v[117:118], v[93:94], v[137:138]
	v_fma_f64 v[111:112], v[99:100], v[171:172], v[111:112]
	ds_read_b128 v[97:100], v150 offset:1344
	v_add_f64 v[101:102], v[101:102], v[121:122]
	v_add_f64 v[103:104], v[103:104], v[115:116]
	s_waitcnt vmcnt(23) lgkmcnt(1)
	v_mul_f64 v[121:122], v[3:4], v[157:158]
	v_mul_f64 v[115:116], v[1:2], v[157:158]
	s_waitcnt vmcnt(21)
	v_fma_f64 v[119:120], v[93:94], v[143:144], -v[119:120]
	v_fma_f64 v[117:118], v[95:96], v[143:144], v[117:118]
	ds_read_b128 v[93:96], v150 offset:1360
	v_add_f64 v[101:102], v[101:102], v[123:124]
	v_add_f64 v[103:104], v[103:104], v[111:112]
	;; [unrolled: 18-line block ×3, first 2 shown]
	s_waitcnt vmcnt(9) lgkmcnt(1)
	v_mul_f64 v[111:112], v[1:2], v[113:114]
	v_mul_f64 v[113:114], v[3:4], v[113:114]
	s_waitcnt vmcnt(8)
	v_fma_f64 v[93:94], v[93:94], v[173:174], -v[119:120]
	v_fma_f64 v[95:96], v[95:96], v[173:174], v[117:118]
	v_add_f64 v[101:102], v[101:102], v[123:124]
	v_add_f64 v[103:104], v[103:104], v[107:108]
	s_waitcnt vmcnt(7) lgkmcnt(0)
	v_mul_f64 v[115:116], v[99:100], v[159:160]
	v_mul_f64 v[107:108], v[97:98], v[159:160]
	s_waitcnt vmcnt(5)
	v_fma_f64 v[1:2], v[1:2], v[109:110], -v[113:114]
	v_fma_f64 v[3:4], v[3:4], v[109:110], v[111:112]
	v_add_f64 v[93:94], v[101:102], v[93:94]
	v_add_f64 v[95:96], v[103:104], v[95:96]
	s_waitcnt vmcnt(4)
	v_fma_f64 v[97:98], v[97:98], v[178:179], -v[115:116]
	v_add_f64 v[1:2], v[93:94], v[1:2]
	v_fma_f64 v[93:94], v[99:100], v[178:179], v[107:108]
	v_add_f64 v[3:4], v[95:96], v[3:4]
	v_add_f64 v[1:2], v[1:2], v[97:98]
	;; [unrolled: 1-line block ×3, first 2 shown]
	s_waitcnt vmcnt(2)
	v_add_f64 v[1:2], v[105:106], -v[1:2]
	s_waitcnt vmcnt(0)
	v_add_f64 v[3:4], v[125:126], -v[3:4]
	buffer_store_dword v2, off, s[0:3], 0 offset:84
	buffer_store_dword v1, off, s[0:3], 0 offset:80
	buffer_store_dword v4, off, s[0:3], 0 offset:92
	buffer_store_dword v3, off, s[0:3], 0 offset:88
	v_cmpx_lt_u32_e32 3, v0
	s_cbranch_execz .LBB107_271
; %bb.270:
	v_mov_b32_e32 v4, s53
	s_clause 0x3
	buffer_load_dword v1, v4, s[0:3], 0 offen
	buffer_load_dword v2, v4, s[0:3], 0 offen offset:4
	buffer_load_dword v3, v4, s[0:3], 0 offen offset:8
	;; [unrolled: 1-line block ×3, first 2 shown]
	buffer_store_dword v150, off, s[0:3], 0 offset:64
	buffer_store_dword v150, off, s[0:3], 0 offset:68
	;; [unrolled: 1-line block ×4, first 2 shown]
	s_waitcnt vmcnt(0)
	ds_write_b128 v149, v[1:4]
.LBB107_271:
	s_or_b32 exec_lo, exec_lo, s4
	s_waitcnt lgkmcnt(0)
	s_waitcnt_vscnt null, 0x0
	s_barrier
	buffer_gl0_inv
	s_clause 0x37
	buffer_load_dword v97, off, s[0:3], 0 offset:88
	buffer_load_dword v98, off, s[0:3], 0 offset:92
	;; [unrolled: 1-line block ×56, first 2 shown]
	ds_read_b128 v[151:154], v150 offset:768
	s_clause 0x2
	buffer_load_dword v146, off, s[0:3], 0 offset:316
	buffer_load_dword v148, off, s[0:3], 0 offset:292
	;; [unrolled: 1-line block ×3, first 2 shown]
	ds_read_b128 v[155:158], v150 offset:784
	s_clause 0x4
	buffer_load_dword v166, off, s[0:3], 0 offset:332
	buffer_load_dword v167, off, s[0:3], 0 offset:344
	;; [unrolled: 1-line block ×5, first 2 shown]
	ds_read_b128 v[159:162], v150 offset:800
	s_clause 0x2
	buffer_load_dword v168, off, s[0:3], 0 offset:348
	buffer_load_dword v173, off, s[0:3], 0 offset:324
	;; [unrolled: 1-line block ×3, first 2 shown]
	s_mov_b32 s4, exec_lo
	s_waitcnt vmcnt(62) lgkmcnt(2)
	v_mul_f64 v[163:164], v[153:154], v[97:98]
	v_mul_f64 v[97:98], v[151:152], v[97:98]
	s_waitcnt lgkmcnt(1)
	v_mul_f64 v[170:171], v[157:158], v[93:94]
	s_waitcnt vmcnt(59) lgkmcnt(0)
	v_mul_f64 v[174:175], v[161:162], v[3:4]
	v_fma_f64 v[151:152], v[151:152], v[95:96], -v[163:164]
	v_mul_f64 v[163:164], v[155:156], v[93:94]
	v_fma_f64 v[97:98], v[153:154], v[95:96], v[97:98]
	s_waitcnt vmcnt(57)
	v_fma_f64 v[155:156], v[155:156], v[1:2], -v[170:171]
	ds_read_b128 v[93:96], v150 offset:816
	v_mul_f64 v[153:154], v[159:160], v[3:4]
	s_waitcnt vmcnt(51)
	v_fma_f64 v[159:160], v[159:160], v[113:114], -v[174:175]
	v_add_f64 v[151:152], v[151:152], 0
	v_fma_f64 v[157:158], v[157:158], v[1:2], v[163:164]
	v_add_f64 v[97:98], v[97:98], 0
	s_clause 0x4
	buffer_load_dword v164, off, s[0:3], 0 offset:364
	buffer_load_dword v176, off, s[0:3], 0 offset:376
	;; [unrolled: 1-line block ×5, first 2 shown]
	s_waitcnt lgkmcnt(0)
	v_mul_f64 v[179:180], v[93:94], v[101:102]
	v_mul_f64 v[101:102], v[95:96], v[101:102]
	ds_read_b128 v[1:4], v150 offset:832
	v_fma_f64 v[113:114], v[161:162], v[113:114], v[153:154]
	v_add_f64 v[155:156], v[151:152], v[155:156]
	v_add_f64 v[97:98], v[97:98], v[157:158]
	s_clause 0x2
	buffer_load_dword v177, off, s[0:3], 0 offset:380
	buffer_load_dword v158, off, s[0:3], 0 offset:356
	;; [unrolled: 1-line block ×3, first 2 shown]
	s_waitcnt vmcnt(58) lgkmcnt(0)
	v_mul_f64 v[161:162], v[1:2], v[105:106]
	v_mul_f64 v[105:106], v[3:4], v[105:106]
	s_waitcnt vmcnt(56)
	v_fma_f64 v[101:102], v[93:94], v[107:108], -v[101:102]
	ds_read_b128 v[151:154], v150 offset:848
	v_fma_f64 v[107:108], v[95:96], v[107:108], v[179:180]
	v_add_f64 v[155:156], v[155:156], v[159:160]
	v_add_f64 v[97:98], v[97:98], v[113:114]
	s_clause 0x4
	buffer_load_dword v114, off, s[0:3], 0 offset:396
	buffer_load_dword v159, off, s[0:3], 0 offset:408
	;; [unrolled: 1-line block ×5, first 2 shown]
	ds_read_b128 v[93:96], v150 offset:864
	s_waitcnt vmcnt(57) lgkmcnt(1)
	v_mul_f64 v[180:181], v[151:152], v[109:110]
	v_mul_f64 v[109:110], v[153:154], v[109:110]
	s_waitcnt vmcnt(56)
	v_fma_f64 v[105:106], v[1:2], v[99:100], -v[105:106]
	v_fma_f64 v[99:100], v[3:4], v[99:100], v[161:162]
	v_add_f64 v[101:102], v[155:156], v[101:102]
	v_add_f64 v[97:98], v[97:98], v[107:108]
	s_clause 0x2
	buffer_load_dword v160, off, s[0:3], 0 offset:412
	buffer_load_dword v108, off, s[0:3], 0 offset:388
	;; [unrolled: 1-line block ×3, first 2 shown]
	s_waitcnt vmcnt(58) lgkmcnt(0)
	v_mul_f64 v[155:156], v[93:94], v[115:116]
	v_mul_f64 v[115:116], v[95:96], v[115:116]
	s_waitcnt vmcnt(56)
	v_fma_f64 v[109:110], v[151:152], v[117:118], -v[109:110]
	ds_read_b128 v[1:4], v150 offset:880
	v_add_f64 v[101:102], v[101:102], v[105:106]
	v_fma_f64 v[105:106], v[153:154], v[117:118], v[180:181]
	v_add_f64 v[117:118], v[97:98], v[99:100]
	s_clause 0x4
	buffer_load_dword v152, off, s[0:3], 0 offset:428
	buffer_load_dword v153, off, s[0:3], 0 offset:440
	;; [unrolled: 1-line block ×5, first 2 shown]
	ds_read_b128 v[97:100], v150 offset:896
	s_waitcnt vmcnt(57) lgkmcnt(1)
	v_mul_f64 v[180:181], v[1:2], v[119:120]
	v_mul_f64 v[119:120], v[3:4], v[119:120]
	s_waitcnt vmcnt(56)
	v_fma_f64 v[115:116], v[93:94], v[103:104], -v[115:116]
	v_fma_f64 v[103:104], v[95:96], v[103:104], v[155:156]
	v_add_f64 v[101:102], v[101:102], v[109:110]
	s_clause 0x2
	buffer_load_dword v154, off, s[0:3], 0 offset:444
	buffer_load_dword v110, off, s[0:3], 0 offset:420
	;; [unrolled: 1-line block ×3, first 2 shown]
	v_add_f64 v[105:106], v[117:118], v[105:106]
	s_waitcnt vmcnt(58) lgkmcnt(0)
	v_mul_f64 v[117:118], v[97:98], v[123:124]
	v_mul_f64 v[123:124], v[99:100], v[123:124]
	ds_read_b128 v[93:96], v150 offset:912
	s_waitcnt vmcnt(56)
	v_fma_f64 v[119:120], v[1:2], v[125:126], -v[119:120]
	v_add_f64 v[101:102], v[101:102], v[115:116]
	v_fma_f64 v[115:116], v[3:4], v[125:126], v[180:181]
	v_add_f64 v[103:104], v[105:106], v[103:104]
	s_clause 0x4
	buffer_load_dword v106, off, s[0:3], 0 offset:460
	buffer_load_dword v125, off, s[0:3], 0 offset:472
	;; [unrolled: 1-line block ×5, first 2 shown]
	s_waitcnt vmcnt(57) lgkmcnt(0)
	v_mul_f64 v[180:181], v[93:94], v[127:128]
	v_mul_f64 v[127:128], v[95:96], v[127:128]
	s_waitcnt vmcnt(56)
	v_fma_f64 v[123:124], v[97:98], v[111:112], -v[123:124]
	ds_read_b128 v[1:4], v150 offset:928
	v_fma_f64 v[111:112], v[99:100], v[111:112], v[117:118]
	v_add_f64 v[101:102], v[101:102], v[119:120]
	v_add_f64 v[103:104], v[103:104], v[115:116]
	s_clause 0x2
	buffer_load_dword v126, off, s[0:3], 0 offset:476
	buffer_load_dword v116, off, s[0:3], 0 offset:452
	;; [unrolled: 1-line block ×3, first 2 shown]
	ds_read_b128 v[97:100], v150 offset:944
	s_waitcnt vmcnt(58) lgkmcnt(1)
	v_mul_f64 v[119:120], v[3:4], v[131:132]
	s_waitcnt vmcnt(56)
	v_fma_f64 v[127:128], v[93:94], v[133:134], -v[127:128]
	v_mul_f64 v[117:118], v[1:2], v[131:132]
	v_add_f64 v[101:102], v[101:102], v[123:124]
	v_fma_f64 v[123:124], v[95:96], v[133:134], v[180:181]
	v_add_f64 v[103:104], v[103:104], v[111:112]
	s_clause 0x4
	buffer_load_dword v112, off, s[0:3], 0 offset:492
	buffer_load_dword v131, off, s[0:3], 0 offset:504
	;; [unrolled: 1-line block ×5, first 2 shown]
	s_waitcnt vmcnt(57) lgkmcnt(0)
	v_mul_f64 v[180:181], v[97:98], v[135:136]
	v_mul_f64 v[134:135], v[99:100], v[135:136]
	s_waitcnt vmcnt(56)
	v_fma_f64 v[119:120], v[1:2], v[121:122], -v[119:120]
	ds_read_b128 v[93:96], v150 offset:960
	v_fma_f64 v[117:118], v[3:4], v[121:122], v[117:118]
	s_clause 0x2
	buffer_load_dword v132, off, s[0:3], 0 offset:508
	buffer_load_dword v122, off, s[0:3], 0 offset:484
	;; [unrolled: 1-line block ×3, first 2 shown]
	ds_read_b128 v[1:4], v150 offset:976
	v_add_f64 v[101:102], v[101:102], v[127:128]
	v_add_f64 v[103:104], v[103:104], v[123:124]
	s_waitcnt vmcnt(58) lgkmcnt(1)
	v_mul_f64 v[127:128], v[95:96], v[139:140]
	s_waitcnt vmcnt(56)
	v_fma_f64 v[135:136], v[97:98], v[141:142], -v[134:135]
	v_mul_f64 v[123:124], v[93:94], v[139:140]
	v_add_f64 v[101:102], v[101:102], v[119:120]
	v_fma_f64 v[119:120], v[99:100], v[141:142], v[180:181]
	v_add_f64 v[103:104], v[103:104], v[117:118]
	s_clause 0x4
	buffer_load_dword v118, off, s[0:3], 0 offset:524
	buffer_load_dword v139, off, s[0:3], 0 offset:536
	;; [unrolled: 1-line block ×5, first 2 shown]
	s_waitcnt vmcnt(57) lgkmcnt(0)
	v_mul_f64 v[180:181], v[1:2], v[143:144]
	v_mul_f64 v[142:143], v[3:4], v[143:144]
	s_waitcnt vmcnt(56)
	v_fma_f64 v[127:128], v[93:94], v[129:130], -v[127:128]
	ds_read_b128 v[97:100], v150 offset:992
	v_fma_f64 v[123:124], v[95:96], v[129:130], v[123:124]
	v_add_f64 v[101:102], v[101:102], v[135:136]
	v_add_f64 v[103:104], v[103:104], v[119:120]
	s_clause 0x2
	buffer_load_dword v140, off, s[0:3], 0 offset:540
	buffer_load_dword v120, off, s[0:3], 0 offset:516
	buffer_load_dword v119, off, s[0:3], 0 offset:512
	ds_read_b128 v[93:96], v150 offset:1008
	s_waitcnt vmcnt(58) lgkmcnt(1)
	v_mul_f64 v[135:136], v[99:100], v[145:146]
	s_waitcnt vmcnt(56)
	v_fma_f64 v[143:144], v[1:2], v[147:148], -v[142:143]
	v_mul_f64 v[129:130], v[97:98], v[145:146]
	v_add_f64 v[101:102], v[101:102], v[127:128]
	v_fma_f64 v[127:128], v[3:4], v[147:148], v[180:181]
	v_add_f64 v[103:104], v[103:104], v[123:124]
	s_clause 0x4
	buffer_load_dword v124, off, s[0:3], 0 offset:556
	buffer_load_dword v145, off, s[0:3], 0 offset:568
	;; [unrolled: 1-line block ×5, first 2 shown]
	s_waitcnt vmcnt(57) lgkmcnt(0)
	v_mul_f64 v[180:181], v[93:94], v[165:166]
	v_mul_f64 v[165:166], v[95:96], v[165:166]
	s_waitcnt vmcnt(56)
	v_fma_f64 v[135:136], v[97:98], v[137:138], -v[135:136]
	ds_read_b128 v[1:4], v150 offset:1024
	v_fma_f64 v[129:130], v[99:100], v[137:138], v[129:130]
	v_add_f64 v[101:102], v[101:102], v[143:144]
	v_add_f64 v[103:104], v[103:104], v[127:128]
	s_clause 0x2
	buffer_load_dword v146, off, s[0:3], 0 offset:572
	buffer_load_dword v128, off, s[0:3], 0 offset:548
	;; [unrolled: 1-line block ×3, first 2 shown]
	ds_read_b128 v[97:100], v150 offset:1040
	s_waitcnt vmcnt(58) lgkmcnt(1)
	v_mul_f64 v[143:144], v[3:4], v[167:168]
	s_waitcnt vmcnt(56)
	v_fma_f64 v[165:166], v[93:94], v[172:173], -v[165:166]
	v_mul_f64 v[137:138], v[1:2], v[167:168]
	v_add_f64 v[101:102], v[101:102], v[135:136]
	v_fma_f64 v[135:136], v[95:96], v[172:173], v[180:181]
	v_add_f64 v[103:104], v[103:104], v[129:130]
	s_clause 0x4
	buffer_load_dword v130, off, s[0:3], 0 offset:588
	buffer_load_dword v167, off, s[0:3], 0 offset:600
	;; [unrolled: 1-line block ×5, first 2 shown]
	ds_read_b128 v[93:96], v150 offset:1056
	s_waitcnt vmcnt(57) lgkmcnt(1)
	v_mul_f64 v[172:173], v[97:98], v[163:164]
	v_mul_f64 v[163:164], v[99:100], v[163:164]
	s_waitcnt vmcnt(56)
	v_fma_f64 v[143:144], v[1:2], v[169:170], -v[143:144]
	v_fma_f64 v[137:138], v[3:4], v[169:170], v[137:138]
	v_add_f64 v[101:102], v[101:102], v[165:166]
	v_add_f64 v[103:104], v[103:104], v[135:136]
	s_clause 0x2
	buffer_load_dword v168, off, s[0:3], 0 offset:604
	buffer_load_dword v136, off, s[0:3], 0 offset:580
	;; [unrolled: 1-line block ×3, first 2 shown]
	ds_read_b128 v[1:4], v150 offset:1072
	s_waitcnt vmcnt(58) lgkmcnt(1)
	v_mul_f64 v[169:170], v[95:96], v[176:177]
	v_mul_f64 v[165:166], v[93:94], v[176:177]
	s_waitcnt vmcnt(56)
	v_fma_f64 v[163:164], v[97:98], v[157:158], -v[163:164]
	v_add_f64 v[101:102], v[101:102], v[143:144]
	v_fma_f64 v[143:144], v[99:100], v[157:158], v[172:173]
	v_add_f64 v[103:104], v[103:104], v[137:138]
	s_clause 0x4
	buffer_load_dword v138, off, s[0:3], 0 offset:620
	buffer_load_dword v157, off, s[0:3], 0 offset:632
	buffer_load_dword v176, off, s[0:3], 0 offset:624
	buffer_load_dword v137, off, s[0:3], 0 offset:616
	buffer_load_dword v172, off, s[0:3], 0 offset:596
	ds_read_b128 v[97:100], v150 offset:1088
	s_waitcnt vmcnt(57) lgkmcnt(1)
	v_mul_f64 v[180:181], v[1:2], v[113:114]
	v_mul_f64 v[113:114], v[3:4], v[113:114]
	s_waitcnt vmcnt(56)
	v_fma_f64 v[169:170], v[93:94], v[178:179], -v[169:170]
	v_add_f64 v[101:102], v[101:102], v[163:164]
	v_fma_f64 v[163:164], v[95:96], v[178:179], v[165:166]
	v_add_f64 v[103:104], v[103:104], v[143:144]
	s_clause 0x2
	buffer_load_dword v158, off, s[0:3], 0 offset:636
	buffer_load_dword v144, off, s[0:3], 0 offset:612
	buffer_load_dword v143, off, s[0:3], 0 offset:608
	ds_read_b128 v[93:96], v150 offset:1104
	s_waitcnt vmcnt(58) lgkmcnt(1)
	v_mul_f64 v[165:166], v[97:98], v[159:160]
	v_mul_f64 v[159:160], v[99:100], v[159:160]
	s_waitcnt vmcnt(56)
	v_fma_f64 v[113:114], v[1:2], v[107:108], -v[113:114]
	v_fma_f64 v[107:108], v[3:4], v[107:108], v[180:181]
	v_add_f64 v[101:102], v[101:102], v[169:170]
	v_add_f64 v[103:104], v[103:104], v[163:164]
	s_clause 0x4
	buffer_load_dword v164, off, s[0:3], 0 offset:652
	buffer_load_dword v169, off, s[0:3], 0 offset:664
	buffer_load_dword v173, off, s[0:3], 0 offset:656
	buffer_load_dword v163, off, s[0:3], 0 offset:648
	buffer_load_dword v177, off, s[0:3], 0 offset:628
	ds_read_b128 v[1:4], v150 offset:1120
	s_waitcnt vmcnt(57) lgkmcnt(1)
	v_mul_f64 v[178:179], v[93:94], v[151:152]
	v_mul_f64 v[151:152], v[95:96], v[151:152]
	s_waitcnt vmcnt(56)
	v_fma_f64 v[159:160], v[97:98], v[174:175], -v[159:160]
	v_add_f64 v[101:102], v[101:102], v[113:114]
	v_fma_f64 v[113:114], v[99:100], v[174:175], v[165:166]
	v_add_f64 v[103:104], v[103:104], v[107:108]
	s_clause 0x2
	buffer_load_dword v170, off, s[0:3], 0 offset:668
	buffer_load_dword v108, off, s[0:3], 0 offset:644
	buffer_load_dword v107, off, s[0:3], 0 offset:640
	ds_read_b128 v[97:100], v150 offset:1136
	s_waitcnt vmcnt(58) lgkmcnt(1)
	v_mul_f64 v[165:166], v[1:2], v[153:154]
	v_mul_f64 v[153:154], v[3:4], v[153:154]
	s_waitcnt vmcnt(56)
	v_fma_f64 v[151:152], v[93:94], v[109:110], -v[151:152]
	v_fma_f64 v[109:110], v[95:96], v[109:110], v[178:179]
	v_add_f64 v[101:102], v[101:102], v[159:160]
	;; [unrolled: 28-line block ×3, first 2 shown]
	v_add_f64 v[103:104], v[103:104], v[151:152]
	s_clause 0x2
	buffer_load_dword v152, off, s[0:3], 0 offset:716
	buffer_load_dword v151, off, s[0:3], 0 offset:712
	;; [unrolled: 1-line block ×3, first 2 shown]
	ds_read_b128 v[97:100], v150 offset:1184
	s_waitcnt vmcnt(55) lgkmcnt(1)
	v_mul_f64 v[153:154], v[1:2], v[111:112]
	v_mul_f64 v[111:112], v[3:4], v[111:112]
	s_waitcnt vmcnt(54)
	v_fma_f64 v[125:126], v[93:94], v[155:156], -v[125:126]
	v_add_f64 v[101:102], v[101:102], v[105:106]
	v_fma_f64 v[105:106], v[95:96], v[155:156], v[161:162]
	v_add_f64 v[103:104], v[103:104], v[115:116]
	s_clause 0x1
	buffer_load_dword v116, off, s[0:3], 0 offset:708
	buffer_load_dword v115, off, s[0:3], 0 offset:704
	s_waitcnt vmcnt(55) lgkmcnt(0)
	v_mul_f64 v[155:156], v[97:98], v[131:132]
	v_mul_f64 v[131:132], v[99:100], v[131:132]
	ds_read_b128 v[93:96], v150 offset:1200
	s_waitcnt vmcnt(53)
	v_fma_f64 v[111:112], v[1:2], v[121:122], -v[111:112]
	v_fma_f64 v[121:122], v[3:4], v[121:122], v[153:154]
	ds_read_b128 v[1:4], v150 offset:1216
	v_add_f64 v[101:102], v[101:102], v[125:126]
	v_add_f64 v[103:104], v[103:104], v[105:106]
	s_waitcnt vmcnt(49) lgkmcnt(1)
	v_mul_f64 v[105:106], v[93:94], v[117:118]
	v_mul_f64 v[117:118], v[95:96], v[117:118]
	s_waitcnt vmcnt(48)
	v_fma_f64 v[125:126], v[97:98], v[133:134], -v[131:132]
	v_add_f64 v[101:102], v[101:102], v[111:112]
	v_fma_f64 v[111:112], v[99:100], v[133:134], v[155:156]
	v_add_f64 v[103:104], v[103:104], v[121:122]
	s_clause 0x3
	buffer_load_dword v121, off, s[0:3], 0 offset:64
	buffer_load_dword v122, off, s[0:3], 0 offset:68
	;; [unrolled: 1-line block ×4, first 2 shown]
	ds_read_b128 v[97:100], v150 offset:1232
	s_waitcnt vmcnt(51) lgkmcnt(1)
	v_mul_f64 v[133:134], v[1:2], v[139:140]
	v_mul_f64 v[139:140], v[3:4], v[139:140]
	s_waitcnt vmcnt(49)
	v_fma_f64 v[117:118], v[93:94], v[119:120], -v[117:118]
	v_fma_f64 v[105:106], v[95:96], v[119:120], v[105:106]
	ds_read_b128 v[93:96], v150 offset:1248
	v_add_f64 v[101:102], v[101:102], v[125:126]
	v_add_f64 v[103:104], v[103:104], v[111:112]
	s_waitcnt vmcnt(45) lgkmcnt(1)
	v_mul_f64 v[111:112], v[97:98], v[123:124]
	v_mul_f64 v[119:120], v[99:100], v[123:124]
	s_waitcnt vmcnt(44)
	v_fma_f64 v[123:124], v[1:2], v[141:142], -v[139:140]
	v_add_f64 v[101:102], v[101:102], v[117:118]
	v_fma_f64 v[117:118], v[3:4], v[141:142], v[133:134]
	v_add_f64 v[103:104], v[103:104], v[105:106]
	ds_read_b128 v[1:4], v150 offset:1264
	s_waitcnt vmcnt(43) lgkmcnt(1)
	v_mul_f64 v[125:126], v[95:96], v[145:146]
	v_mul_f64 v[105:106], v[93:94], v[145:146]
	s_waitcnt vmcnt(41)
	v_fma_f64 v[119:120], v[97:98], v[127:128], -v[119:120]
	v_fma_f64 v[111:112], v[99:100], v[127:128], v[111:112]
	ds_read_b128 v[97:100], v150 offset:1280
	v_add_f64 v[101:102], v[101:102], v[123:124]
	v_add_f64 v[103:104], v[103:104], v[117:118]
	s_waitcnt vmcnt(37) lgkmcnt(1)
	v_mul_f64 v[123:124], v[3:4], v[129:130]
	s_waitcnt vmcnt(36)
	v_fma_f64 v[125:126], v[93:94], v[147:148], -v[125:126]
	v_mul_f64 v[117:118], v[1:2], v[129:130]
	v_fma_f64 v[105:106], v[95:96], v[147:148], v[105:106]
	ds_read_b128 v[93:96], v150 offset:1296
	v_add_f64 v[101:102], v[101:102], v[119:120]
	v_add_f64 v[103:104], v[103:104], v[111:112]
	s_waitcnt vmcnt(35) lgkmcnt(1)
	v_mul_f64 v[119:120], v[99:100], v[167:168]
	v_mul_f64 v[111:112], v[97:98], v[167:168]
	s_waitcnt vmcnt(33)
	v_fma_f64 v[123:124], v[1:2], v[135:136], -v[123:124]
	v_fma_f64 v[117:118], v[3:4], v[135:136], v[117:118]
	ds_read_b128 v[1:4], v150 offset:1312
	v_add_f64 v[101:102], v[101:102], v[125:126]
	v_add_f64 v[103:104], v[103:104], v[105:106]
	s_waitcnt vmcnt(29) lgkmcnt(1)
	v_mul_f64 v[125:126], v[95:96], v[137:138]
	s_waitcnt vmcnt(28)
	v_fma_f64 v[119:120], v[97:98], v[171:172], -v[119:120]
	v_mul_f64 v[105:106], v[93:94], v[137:138]
	v_fma_f64 v[111:112], v[99:100], v[171:172], v[111:112]
	ds_read_b128 v[97:100], v150 offset:1328
	v_add_f64 v[101:102], v[101:102], v[123:124]
	v_add_f64 v[103:104], v[103:104], v[117:118]
	;; [unrolled: 18-line block ×3, first 2 shown]
	s_waitcnt vmcnt(19) lgkmcnt(1)
	v_mul_f64 v[125:126], v[95:96], v[169:170]
	v_mul_f64 v[105:106], v[93:94], v[169:170]
	s_waitcnt vmcnt(17)
	v_fma_f64 v[119:120], v[97:98], v[107:108], -v[119:120]
	v_fma_f64 v[107:108], v[99:100], v[107:108], v[111:112]
	ds_read_b128 v[97:100], v150 offset:1376
	v_add_f64 v[101:102], v[101:102], v[123:124]
	v_add_f64 v[103:104], v[103:104], v[117:118]
	s_waitcnt vmcnt(13) lgkmcnt(1)
	v_mul_f64 v[111:112], v[1:2], v[113:114]
	v_mul_f64 v[113:114], v[3:4], v[113:114]
	s_waitcnt vmcnt(12)
	v_fma_f64 v[117:118], v[93:94], v[173:174], -v[125:126]
	v_fma_f64 v[105:106], v[95:96], v[173:174], v[105:106]
	ds_read_b128 v[93:96], v150 offset:1392
	v_add_f64 v[101:102], v[101:102], v[119:120]
	v_add_f64 v[103:104], v[103:104], v[107:108]
	s_waitcnt vmcnt(11) lgkmcnt(1)
	v_mul_f64 v[119:120], v[99:100], v[159:160]
	v_mul_f64 v[107:108], v[97:98], v[159:160]
	s_waitcnt vmcnt(9)
	v_fma_f64 v[1:2], v[1:2], v[109:110], -v[113:114]
	v_fma_f64 v[3:4], v[3:4], v[109:110], v[111:112]
	v_add_f64 v[101:102], v[101:102], v[117:118]
	v_add_f64 v[103:104], v[103:104], v[105:106]
	s_waitcnt vmcnt(7) lgkmcnt(0)
	v_mul_f64 v[109:110], v[95:96], v[151:152]
	s_waitcnt vmcnt(6)
	v_fma_f64 v[97:98], v[97:98], v[178:179], -v[119:120]
	v_mul_f64 v[105:106], v[93:94], v[151:152]
	v_fma_f64 v[99:100], v[99:100], v[178:179], v[107:108]
	v_add_f64 v[1:2], v[101:102], v[1:2]
	v_add_f64 v[3:4], v[103:104], v[3:4]
	s_waitcnt vmcnt(4)
	v_fma_f64 v[93:94], v[93:94], v[115:116], -v[109:110]
	v_fma_f64 v[95:96], v[95:96], v[115:116], v[105:106]
	v_add_f64 v[1:2], v[1:2], v[97:98]
	v_add_f64 v[3:4], v[3:4], v[99:100]
	;; [unrolled: 1-line block ×4, first 2 shown]
	s_waitcnt vmcnt(2)
	v_add_f64 v[1:2], v[121:122], -v[1:2]
	s_waitcnt vmcnt(0)
	v_add_f64 v[3:4], v[131:132], -v[3:4]
	buffer_store_dword v2, off, s[0:3], 0 offset:68
	buffer_store_dword v1, off, s[0:3], 0 offset:64
	;; [unrolled: 1-line block ×4, first 2 shown]
	v_cmpx_lt_u32_e32 2, v0
	s_cbranch_execz .LBB107_273
; %bb.272:
	v_mov_b32_e32 v4, s54
	v_mov_b32_e32 v93, 0
	s_clause 0x3
	buffer_load_dword v1, v4, s[0:3], 0 offen
	buffer_load_dword v2, v4, s[0:3], 0 offen offset:4
	buffer_load_dword v3, v4, s[0:3], 0 offen offset:8
	;; [unrolled: 1-line block ×3, first 2 shown]
	buffer_store_dword v93, off, s[0:3], 0 offset:48
	buffer_store_dword v93, off, s[0:3], 0 offset:52
	;; [unrolled: 1-line block ×4, first 2 shown]
	s_waitcnt vmcnt(0)
	ds_write_b128 v149, v[1:4]
.LBB107_273:
	s_or_b32 exec_lo, exec_lo, s4
	s_waitcnt lgkmcnt(0)
	s_waitcnt_vscnt null, 0x0
	s_barrier
	buffer_gl0_inv
	s_clause 0x37
	buffer_load_dword v97, off, s[0:3], 0 offset:72
	buffer_load_dword v98, off, s[0:3], 0 offset:76
	buffer_load_dword v93, off, s[0:3], 0 offset:88
	buffer_load_dword v94, off, s[0:3], 0 offset:92
	buffer_load_dword v95, off, s[0:3], 0 offset:64
	buffer_load_dword v96, off, s[0:3], 0 offset:68
	buffer_load_dword v3, off, s[0:3], 0 offset:104
	buffer_load_dword v4, off, s[0:3], 0 offset:108
	buffer_load_dword v1, off, s[0:3], 0 offset:80
	buffer_load_dword v2, off, s[0:3], 0 offset:84
	buffer_load_dword v102, off, s[0:3], 0 offset:124
	buffer_load_dword v105, off, s[0:3], 0 offset:136
	buffer_load_dword v99, off, s[0:3], 0 offset:128
	buffer_load_dword v101, off, s[0:3], 0 offset:120
	buffer_load_dword v113, off, s[0:3], 0 offset:96
	buffer_load_dword v114, off, s[0:3], 0 offset:100
	buffer_load_dword v106, off, s[0:3], 0 offset:140
	buffer_load_dword v108, off, s[0:3], 0 offset:116
	buffer_load_dword v107, off, s[0:3], 0 offset:112
	buffer_load_dword v110, off, s[0:3], 0 offset:156
	buffer_load_dword v115, off, s[0:3], 0 offset:168
	buffer_load_dword v103, off, s[0:3], 0 offset:160
	buffer_load_dword v109, off, s[0:3], 0 offset:152
	buffer_load_dword v100, off, s[0:3], 0 offset:132
	buffer_load_dword v116, off, s[0:3], 0 offset:172
	buffer_load_dword v118, off, s[0:3], 0 offset:148
	buffer_load_dword v117, off, s[0:3], 0 offset:144
	buffer_load_dword v120, off, s[0:3], 0 offset:188
	buffer_load_dword v123, off, s[0:3], 0 offset:200
	buffer_load_dword v111, off, s[0:3], 0 offset:192
	buffer_load_dword v119, off, s[0:3], 0 offset:184
	buffer_load_dword v104, off, s[0:3], 0 offset:164
	buffer_load_dword v124, off, s[0:3], 0 offset:204
	buffer_load_dword v126, off, s[0:3], 0 offset:180
	buffer_load_dword v125, off, s[0:3], 0 offset:176
	buffer_load_dword v128, off, s[0:3], 0 offset:220
	buffer_load_dword v131, off, s[0:3], 0 offset:232
	buffer_load_dword v121, off, s[0:3], 0 offset:224
	buffer_load_dword v127, off, s[0:3], 0 offset:216
	buffer_load_dword v112, off, s[0:3], 0 offset:196
	buffer_load_dword v132, off, s[0:3], 0 offset:236
	buffer_load_dword v134, off, s[0:3], 0 offset:212
	buffer_load_dword v133, off, s[0:3], 0 offset:208
	buffer_load_dword v136, off, s[0:3], 0 offset:252
	buffer_load_dword v139, off, s[0:3], 0 offset:264
	buffer_load_dword v129, off, s[0:3], 0 offset:256
	buffer_load_dword v135, off, s[0:3], 0 offset:248
	buffer_load_dword v122, off, s[0:3], 0 offset:228
	buffer_load_dword v140, off, s[0:3], 0 offset:268
	buffer_load_dword v142, off, s[0:3], 0 offset:244
	buffer_load_dword v141, off, s[0:3], 0 offset:240
	buffer_load_dword v144, off, s[0:3], 0 offset:284
	buffer_load_dword v145, off, s[0:3], 0 offset:296
	buffer_load_dword v137, off, s[0:3], 0 offset:288
	buffer_load_dword v143, off, s[0:3], 0 offset:280
	buffer_load_dword v130, off, s[0:3], 0 offset:260
	v_mov_b32_e32 v150, 0
	s_mov_b32 s4, exec_lo
	ds_read_b128 v[151:154], v150 offset:752
	s_clause 0x2
	buffer_load_dword v146, off, s[0:3], 0 offset:300
	buffer_load_dword v148, off, s[0:3], 0 offset:276
	;; [unrolled: 1-line block ×3, first 2 shown]
	ds_read_b128 v[155:158], v150 offset:768
	s_clause 0x4
	buffer_load_dword v166, off, s[0:3], 0 offset:316
	buffer_load_dword v167, off, s[0:3], 0 offset:328
	;; [unrolled: 1-line block ×5, first 2 shown]
	ds_read_b128 v[159:162], v150 offset:784
	s_clause 0x2
	buffer_load_dword v168, off, s[0:3], 0 offset:332
	buffer_load_dword v173, off, s[0:3], 0 offset:308
	;; [unrolled: 1-line block ×3, first 2 shown]
	s_waitcnt vmcnt(62) lgkmcnt(2)
	v_mul_f64 v[163:164], v[153:154], v[97:98]
	v_mul_f64 v[97:98], v[151:152], v[97:98]
	s_waitcnt lgkmcnt(1)
	v_mul_f64 v[170:171], v[157:158], v[93:94]
	s_waitcnt vmcnt(59) lgkmcnt(0)
	v_mul_f64 v[174:175], v[161:162], v[3:4]
	v_fma_f64 v[151:152], v[151:152], v[95:96], -v[163:164]
	v_mul_f64 v[163:164], v[155:156], v[93:94]
	v_fma_f64 v[97:98], v[153:154], v[95:96], v[97:98]
	s_waitcnt vmcnt(57)
	v_fma_f64 v[155:156], v[155:156], v[1:2], -v[170:171]
	ds_read_b128 v[93:96], v150 offset:800
	v_mul_f64 v[153:154], v[159:160], v[3:4]
	s_waitcnt vmcnt(51)
	v_fma_f64 v[159:160], v[159:160], v[113:114], -v[174:175]
	v_add_f64 v[151:152], v[151:152], 0
	v_fma_f64 v[157:158], v[157:158], v[1:2], v[163:164]
	v_add_f64 v[97:98], v[97:98], 0
	s_clause 0x4
	buffer_load_dword v164, off, s[0:3], 0 offset:348
	buffer_load_dword v176, off, s[0:3], 0 offset:360
	buffer_load_dword v178, off, s[0:3], 0 offset:352
	buffer_load_dword v163, off, s[0:3], 0 offset:344
	buffer_load_dword v170, off, s[0:3], 0 offset:324
	s_waitcnt lgkmcnt(0)
	v_mul_f64 v[179:180], v[93:94], v[101:102]
	v_mul_f64 v[101:102], v[95:96], v[101:102]
	ds_read_b128 v[1:4], v150 offset:816
	v_fma_f64 v[113:114], v[161:162], v[113:114], v[153:154]
	v_add_f64 v[155:156], v[151:152], v[155:156]
	v_add_f64 v[97:98], v[97:98], v[157:158]
	s_clause 0x2
	buffer_load_dword v177, off, s[0:3], 0 offset:364
	buffer_load_dword v158, off, s[0:3], 0 offset:340
	;; [unrolled: 1-line block ×3, first 2 shown]
	s_waitcnt vmcnt(58) lgkmcnt(0)
	v_mul_f64 v[161:162], v[1:2], v[105:106]
	v_mul_f64 v[105:106], v[3:4], v[105:106]
	s_waitcnt vmcnt(56)
	v_fma_f64 v[101:102], v[93:94], v[107:108], -v[101:102]
	ds_read_b128 v[151:154], v150 offset:832
	v_fma_f64 v[107:108], v[95:96], v[107:108], v[179:180]
	v_add_f64 v[155:156], v[155:156], v[159:160]
	v_add_f64 v[97:98], v[97:98], v[113:114]
	s_clause 0x4
	buffer_load_dword v114, off, s[0:3], 0 offset:380
	buffer_load_dword v159, off, s[0:3], 0 offset:392
	;; [unrolled: 1-line block ×5, first 2 shown]
	ds_read_b128 v[93:96], v150 offset:848
	s_waitcnt vmcnt(57) lgkmcnt(1)
	v_mul_f64 v[180:181], v[151:152], v[109:110]
	v_mul_f64 v[109:110], v[153:154], v[109:110]
	s_waitcnt vmcnt(56)
	v_fma_f64 v[105:106], v[1:2], v[99:100], -v[105:106]
	v_fma_f64 v[99:100], v[3:4], v[99:100], v[161:162]
	v_add_f64 v[101:102], v[155:156], v[101:102]
	v_add_f64 v[97:98], v[97:98], v[107:108]
	s_clause 0x2
	buffer_load_dword v160, off, s[0:3], 0 offset:396
	buffer_load_dword v108, off, s[0:3], 0 offset:372
	;; [unrolled: 1-line block ×3, first 2 shown]
	s_waitcnt vmcnt(58) lgkmcnt(0)
	v_mul_f64 v[155:156], v[93:94], v[115:116]
	v_mul_f64 v[115:116], v[95:96], v[115:116]
	s_waitcnt vmcnt(56)
	v_fma_f64 v[109:110], v[151:152], v[117:118], -v[109:110]
	ds_read_b128 v[1:4], v150 offset:864
	v_add_f64 v[101:102], v[101:102], v[105:106]
	v_fma_f64 v[105:106], v[153:154], v[117:118], v[180:181]
	v_add_f64 v[117:118], v[97:98], v[99:100]
	s_clause 0x4
	buffer_load_dword v152, off, s[0:3], 0 offset:412
	buffer_load_dword v153, off, s[0:3], 0 offset:424
	;; [unrolled: 1-line block ×5, first 2 shown]
	ds_read_b128 v[97:100], v150 offset:880
	s_waitcnt vmcnt(57) lgkmcnt(1)
	v_mul_f64 v[180:181], v[1:2], v[119:120]
	v_mul_f64 v[119:120], v[3:4], v[119:120]
	s_waitcnt vmcnt(56)
	v_fma_f64 v[115:116], v[93:94], v[103:104], -v[115:116]
	v_fma_f64 v[103:104], v[95:96], v[103:104], v[155:156]
	v_add_f64 v[101:102], v[101:102], v[109:110]
	s_clause 0x2
	buffer_load_dword v154, off, s[0:3], 0 offset:428
	buffer_load_dword v110, off, s[0:3], 0 offset:404
	;; [unrolled: 1-line block ×3, first 2 shown]
	v_add_f64 v[105:106], v[117:118], v[105:106]
	s_waitcnt vmcnt(58) lgkmcnt(0)
	v_mul_f64 v[117:118], v[97:98], v[123:124]
	v_mul_f64 v[123:124], v[99:100], v[123:124]
	ds_read_b128 v[93:96], v150 offset:896
	s_waitcnt vmcnt(56)
	v_fma_f64 v[119:120], v[1:2], v[125:126], -v[119:120]
	v_add_f64 v[101:102], v[101:102], v[115:116]
	v_fma_f64 v[115:116], v[3:4], v[125:126], v[180:181]
	v_add_f64 v[103:104], v[105:106], v[103:104]
	s_clause 0x4
	buffer_load_dword v106, off, s[0:3], 0 offset:444
	buffer_load_dword v125, off, s[0:3], 0 offset:456
	buffer_load_dword v155, off, s[0:3], 0 offset:448
	buffer_load_dword v105, off, s[0:3], 0 offset:440
	buffer_load_dword v162, off, s[0:3], 0 offset:420
	s_waitcnt vmcnt(57) lgkmcnt(0)
	v_mul_f64 v[180:181], v[93:94], v[127:128]
	v_mul_f64 v[127:128], v[95:96], v[127:128]
	s_waitcnt vmcnt(56)
	v_fma_f64 v[123:124], v[97:98], v[111:112], -v[123:124]
	ds_read_b128 v[1:4], v150 offset:912
	v_fma_f64 v[111:112], v[99:100], v[111:112], v[117:118]
	v_add_f64 v[101:102], v[101:102], v[119:120]
	v_add_f64 v[103:104], v[103:104], v[115:116]
	s_clause 0x2
	buffer_load_dword v126, off, s[0:3], 0 offset:460
	buffer_load_dword v116, off, s[0:3], 0 offset:436
	;; [unrolled: 1-line block ×3, first 2 shown]
	ds_read_b128 v[97:100], v150 offset:928
	s_waitcnt vmcnt(58) lgkmcnt(1)
	v_mul_f64 v[119:120], v[3:4], v[131:132]
	s_waitcnt vmcnt(56)
	v_fma_f64 v[127:128], v[93:94], v[133:134], -v[127:128]
	v_mul_f64 v[117:118], v[1:2], v[131:132]
	v_add_f64 v[101:102], v[101:102], v[123:124]
	v_fma_f64 v[123:124], v[95:96], v[133:134], v[180:181]
	v_add_f64 v[103:104], v[103:104], v[111:112]
	s_clause 0x4
	buffer_load_dword v112, off, s[0:3], 0 offset:476
	buffer_load_dword v131, off, s[0:3], 0 offset:488
	;; [unrolled: 1-line block ×5, first 2 shown]
	s_waitcnt vmcnt(57) lgkmcnt(0)
	v_mul_f64 v[180:181], v[97:98], v[135:136]
	v_mul_f64 v[134:135], v[99:100], v[135:136]
	s_waitcnt vmcnt(56)
	v_fma_f64 v[119:120], v[1:2], v[121:122], -v[119:120]
	ds_read_b128 v[93:96], v150 offset:944
	v_fma_f64 v[117:118], v[3:4], v[121:122], v[117:118]
	s_clause 0x2
	buffer_load_dword v132, off, s[0:3], 0 offset:492
	buffer_load_dword v122, off, s[0:3], 0 offset:468
	;; [unrolled: 1-line block ×3, first 2 shown]
	ds_read_b128 v[1:4], v150 offset:960
	v_add_f64 v[101:102], v[101:102], v[127:128]
	v_add_f64 v[103:104], v[103:104], v[123:124]
	s_waitcnt vmcnt(58) lgkmcnt(1)
	v_mul_f64 v[127:128], v[95:96], v[139:140]
	s_waitcnt vmcnt(56)
	v_fma_f64 v[135:136], v[97:98], v[141:142], -v[134:135]
	v_mul_f64 v[123:124], v[93:94], v[139:140]
	v_add_f64 v[101:102], v[101:102], v[119:120]
	v_fma_f64 v[119:120], v[99:100], v[141:142], v[180:181]
	v_add_f64 v[103:104], v[103:104], v[117:118]
	s_clause 0x4
	buffer_load_dword v118, off, s[0:3], 0 offset:508
	buffer_load_dword v139, off, s[0:3], 0 offset:520
	;; [unrolled: 1-line block ×5, first 2 shown]
	s_waitcnt vmcnt(57) lgkmcnt(0)
	v_mul_f64 v[180:181], v[1:2], v[143:144]
	v_mul_f64 v[142:143], v[3:4], v[143:144]
	s_waitcnt vmcnt(56)
	v_fma_f64 v[127:128], v[93:94], v[129:130], -v[127:128]
	ds_read_b128 v[97:100], v150 offset:976
	v_fma_f64 v[123:124], v[95:96], v[129:130], v[123:124]
	v_add_f64 v[101:102], v[101:102], v[135:136]
	v_add_f64 v[103:104], v[103:104], v[119:120]
	s_clause 0x2
	buffer_load_dword v140, off, s[0:3], 0 offset:524
	buffer_load_dword v120, off, s[0:3], 0 offset:500
	buffer_load_dword v119, off, s[0:3], 0 offset:496
	ds_read_b128 v[93:96], v150 offset:992
	s_waitcnt vmcnt(58) lgkmcnt(1)
	v_mul_f64 v[135:136], v[99:100], v[145:146]
	s_waitcnt vmcnt(56)
	v_fma_f64 v[143:144], v[1:2], v[147:148], -v[142:143]
	v_mul_f64 v[129:130], v[97:98], v[145:146]
	v_add_f64 v[101:102], v[101:102], v[127:128]
	v_fma_f64 v[127:128], v[3:4], v[147:148], v[180:181]
	v_add_f64 v[103:104], v[103:104], v[123:124]
	s_clause 0x4
	buffer_load_dword v124, off, s[0:3], 0 offset:540
	buffer_load_dword v145, off, s[0:3], 0 offset:552
	;; [unrolled: 1-line block ×5, first 2 shown]
	s_waitcnt vmcnt(57) lgkmcnt(0)
	v_mul_f64 v[180:181], v[93:94], v[165:166]
	v_mul_f64 v[165:166], v[95:96], v[165:166]
	s_waitcnt vmcnt(56)
	v_fma_f64 v[135:136], v[97:98], v[137:138], -v[135:136]
	ds_read_b128 v[1:4], v150 offset:1008
	v_fma_f64 v[129:130], v[99:100], v[137:138], v[129:130]
	v_add_f64 v[101:102], v[101:102], v[143:144]
	v_add_f64 v[103:104], v[103:104], v[127:128]
	s_clause 0x2
	buffer_load_dword v146, off, s[0:3], 0 offset:556
	buffer_load_dword v128, off, s[0:3], 0 offset:532
	;; [unrolled: 1-line block ×3, first 2 shown]
	ds_read_b128 v[97:100], v150 offset:1024
	s_waitcnt vmcnt(58) lgkmcnt(1)
	v_mul_f64 v[143:144], v[3:4], v[167:168]
	s_waitcnt vmcnt(56)
	v_fma_f64 v[165:166], v[93:94], v[172:173], -v[165:166]
	v_mul_f64 v[137:138], v[1:2], v[167:168]
	v_add_f64 v[101:102], v[101:102], v[135:136]
	v_fma_f64 v[135:136], v[95:96], v[172:173], v[180:181]
	v_add_f64 v[103:104], v[103:104], v[129:130]
	s_clause 0x4
	buffer_load_dword v130, off, s[0:3], 0 offset:572
	buffer_load_dword v167, off, s[0:3], 0 offset:584
	;; [unrolled: 1-line block ×5, first 2 shown]
	ds_read_b128 v[93:96], v150 offset:1040
	s_waitcnt vmcnt(57) lgkmcnt(1)
	v_mul_f64 v[172:173], v[97:98], v[163:164]
	v_mul_f64 v[163:164], v[99:100], v[163:164]
	s_waitcnt vmcnt(56)
	v_fma_f64 v[143:144], v[1:2], v[169:170], -v[143:144]
	v_fma_f64 v[137:138], v[3:4], v[169:170], v[137:138]
	v_add_f64 v[101:102], v[101:102], v[165:166]
	v_add_f64 v[103:104], v[103:104], v[135:136]
	s_clause 0x2
	buffer_load_dword v168, off, s[0:3], 0 offset:588
	buffer_load_dword v136, off, s[0:3], 0 offset:564
	buffer_load_dword v135, off, s[0:3], 0 offset:560
	ds_read_b128 v[1:4], v150 offset:1056
	s_waitcnt vmcnt(58) lgkmcnt(1)
	v_mul_f64 v[169:170], v[95:96], v[176:177]
	v_mul_f64 v[165:166], v[93:94], v[176:177]
	s_waitcnt vmcnt(56)
	v_fma_f64 v[163:164], v[97:98], v[157:158], -v[163:164]
	v_add_f64 v[101:102], v[101:102], v[143:144]
	v_fma_f64 v[143:144], v[99:100], v[157:158], v[172:173]
	v_add_f64 v[103:104], v[103:104], v[137:138]
	s_clause 0x4
	buffer_load_dword v138, off, s[0:3], 0 offset:604
	buffer_load_dword v157, off, s[0:3], 0 offset:616
	buffer_load_dword v176, off, s[0:3], 0 offset:608
	buffer_load_dword v137, off, s[0:3], 0 offset:600
	buffer_load_dword v172, off, s[0:3], 0 offset:580
	ds_read_b128 v[97:100], v150 offset:1072
	s_waitcnt vmcnt(57) lgkmcnt(1)
	v_mul_f64 v[180:181], v[1:2], v[113:114]
	v_mul_f64 v[113:114], v[3:4], v[113:114]
	s_waitcnt vmcnt(56)
	v_fma_f64 v[169:170], v[93:94], v[178:179], -v[169:170]
	v_add_f64 v[101:102], v[101:102], v[163:164]
	v_fma_f64 v[163:164], v[95:96], v[178:179], v[165:166]
	v_add_f64 v[103:104], v[103:104], v[143:144]
	s_clause 0x2
	buffer_load_dword v158, off, s[0:3], 0 offset:620
	buffer_load_dword v144, off, s[0:3], 0 offset:596
	buffer_load_dword v143, off, s[0:3], 0 offset:592
	ds_read_b128 v[93:96], v150 offset:1088
	s_waitcnt vmcnt(58) lgkmcnt(1)
	v_mul_f64 v[165:166], v[97:98], v[159:160]
	v_mul_f64 v[159:160], v[99:100], v[159:160]
	s_waitcnt vmcnt(56)
	v_fma_f64 v[113:114], v[1:2], v[107:108], -v[113:114]
	v_fma_f64 v[107:108], v[3:4], v[107:108], v[180:181]
	v_add_f64 v[101:102], v[101:102], v[169:170]
	v_add_f64 v[103:104], v[103:104], v[163:164]
	s_clause 0x4
	buffer_load_dword v164, off, s[0:3], 0 offset:636
	buffer_load_dword v169, off, s[0:3], 0 offset:648
	buffer_load_dword v173, off, s[0:3], 0 offset:640
	buffer_load_dword v163, off, s[0:3], 0 offset:632
	buffer_load_dword v177, off, s[0:3], 0 offset:612
	ds_read_b128 v[1:4], v150 offset:1104
	s_waitcnt vmcnt(57) lgkmcnt(1)
	v_mul_f64 v[178:179], v[93:94], v[151:152]
	v_mul_f64 v[151:152], v[95:96], v[151:152]
	s_waitcnt vmcnt(56)
	v_fma_f64 v[159:160], v[97:98], v[174:175], -v[159:160]
	v_add_f64 v[101:102], v[101:102], v[113:114]
	v_fma_f64 v[113:114], v[99:100], v[174:175], v[165:166]
	v_add_f64 v[103:104], v[103:104], v[107:108]
	s_clause 0x2
	buffer_load_dword v170, off, s[0:3], 0 offset:652
	buffer_load_dword v108, off, s[0:3], 0 offset:628
	buffer_load_dword v107, off, s[0:3], 0 offset:624
	ds_read_b128 v[97:100], v150 offset:1120
	s_waitcnt vmcnt(58) lgkmcnt(1)
	v_mul_f64 v[165:166], v[1:2], v[153:154]
	v_mul_f64 v[153:154], v[3:4], v[153:154]
	s_waitcnt vmcnt(56)
	v_fma_f64 v[151:152], v[93:94], v[109:110], -v[151:152]
	v_fma_f64 v[109:110], v[95:96], v[109:110], v[178:179]
	v_add_f64 v[101:102], v[101:102], v[159:160]
	;; [unrolled: 28-line block ×3, first 2 shown]
	v_add_f64 v[103:104], v[103:104], v[151:152]
	s_clause 0x4
	buffer_load_dword v152, off, s[0:3], 0 offset:700
	buffer_load_dword v153, off, s[0:3], 0 offset:712
	;; [unrolled: 1-line block ×5, first 2 shown]
	ds_read_b128 v[97:100], v150 offset:1168
	s_waitcnt vmcnt(57) lgkmcnt(1)
	v_mul_f64 v[180:181], v[1:2], v[111:112]
	v_mul_f64 v[111:112], v[3:4], v[111:112]
	s_waitcnt vmcnt(56)
	v_fma_f64 v[125:126], v[93:94], v[155:156], -v[125:126]
	v_add_f64 v[101:102], v[101:102], v[105:106]
	v_fma_f64 v[105:106], v[95:96], v[155:156], v[161:162]
	v_add_f64 v[103:104], v[103:104], v[115:116]
	s_clause 0x2
	buffer_load_dword v154, off, s[0:3], 0 offset:716
	buffer_load_dword v116, off, s[0:3], 0 offset:692
	;; [unrolled: 1-line block ×3, first 2 shown]
	s_waitcnt vmcnt(58) lgkmcnt(0)
	v_mul_f64 v[155:156], v[97:98], v[131:132]
	v_mul_f64 v[131:132], v[99:100], v[131:132]
	ds_read_b128 v[93:96], v150 offset:1184
	buffer_load_dword v166, off, s[0:3], 0 offset:708
	s_waitcnt vmcnt(57)
	v_fma_f64 v[111:112], v[1:2], v[121:122], -v[111:112]
	v_fma_f64 v[121:122], v[3:4], v[121:122], v[180:181]
	ds_read_b128 v[1:4], v150 offset:1200
	v_add_f64 v[101:102], v[101:102], v[125:126]
	v_add_f64 v[103:104], v[103:104], v[105:106]
	s_waitcnt vmcnt(53) lgkmcnt(1)
	v_mul_f64 v[105:106], v[93:94], v[117:118]
	v_mul_f64 v[117:118], v[95:96], v[117:118]
	s_waitcnt vmcnt(52)
	v_fma_f64 v[125:126], v[97:98], v[133:134], -v[131:132]
	v_add_f64 v[101:102], v[101:102], v[111:112]
	v_fma_f64 v[111:112], v[99:100], v[133:134], v[155:156]
	v_add_f64 v[103:104], v[103:104], v[121:122]
	ds_read_b128 v[97:100], v150 offset:1216
	s_waitcnt vmcnt(51) lgkmcnt(1)
	v_mul_f64 v[131:132], v[3:4], v[139:140]
	v_mul_f64 v[121:122], v[1:2], v[139:140]
	s_waitcnt vmcnt(49)
	v_fma_f64 v[117:118], v[93:94], v[119:120], -v[117:118]
	v_fma_f64 v[105:106], v[95:96], v[119:120], v[105:106]
	v_add_f64 v[101:102], v[101:102], v[125:126]
	v_add_f64 v[103:104], v[103:104], v[111:112]
	s_clause 0x3
	buffer_load_dword v111, off, s[0:3], 0 offset:48
	buffer_load_dword v112, off, s[0:3], 0 offset:52
	;; [unrolled: 1-line block ×4, first 2 shown]
	ds_read_b128 v[93:96], v150 offset:1232
	s_waitcnt vmcnt(49) lgkmcnt(1)
	v_mul_f64 v[125:126], v[97:98], v[123:124]
	v_mul_f64 v[123:124], v[99:100], v[123:124]
	s_waitcnt vmcnt(48)
	v_fma_f64 v[131:132], v[1:2], v[141:142], -v[131:132]
	v_add_f64 v[101:102], v[101:102], v[117:118]
	v_fma_f64 v[117:118], v[3:4], v[141:142], v[121:122]
	v_add_f64 v[103:104], v[103:104], v[105:106]
	ds_read_b128 v[1:4], v150 offset:1248
	s_waitcnt vmcnt(47) lgkmcnt(1)
	v_mul_f64 v[121:122], v[95:96], v[145:146]
	v_mul_f64 v[105:106], v[93:94], v[145:146]
	s_waitcnt vmcnt(45)
	v_fma_f64 v[123:124], v[97:98], v[127:128], -v[123:124]
	v_fma_f64 v[125:126], v[99:100], v[127:128], v[125:126]
	ds_read_b128 v[97:100], v150 offset:1264
	v_add_f64 v[101:102], v[101:102], v[131:132]
	v_add_f64 v[103:104], v[103:104], v[117:118]
	s_waitcnt vmcnt(41) lgkmcnt(1)
	v_mul_f64 v[127:128], v[3:4], v[129:130]
	s_waitcnt vmcnt(40)
	v_fma_f64 v[121:122], v[93:94], v[147:148], -v[121:122]
	v_mul_f64 v[117:118], v[1:2], v[129:130]
	v_fma_f64 v[105:106], v[95:96], v[147:148], v[105:106]
	ds_read_b128 v[93:96], v150 offset:1280
	v_add_f64 v[101:102], v[101:102], v[123:124]
	v_add_f64 v[103:104], v[103:104], v[125:126]
	s_waitcnt vmcnt(39) lgkmcnt(1)
	v_mul_f64 v[125:126], v[99:100], v[167:168]
	v_mul_f64 v[123:124], v[97:98], v[167:168]
	s_waitcnt vmcnt(37)
	v_fma_f64 v[127:128], v[1:2], v[135:136], -v[127:128]
	v_fma_f64 v[117:118], v[3:4], v[135:136], v[117:118]
	ds_read_b128 v[1:4], v150 offset:1296
	v_add_f64 v[101:102], v[101:102], v[121:122]
	v_add_f64 v[103:104], v[103:104], v[105:106]
	s_waitcnt vmcnt(33) lgkmcnt(1)
	v_mul_f64 v[121:122], v[95:96], v[137:138]
	s_waitcnt vmcnt(32)
	v_fma_f64 v[125:126], v[97:98], v[171:172], -v[125:126]
	v_mul_f64 v[105:106], v[93:94], v[137:138]
	v_fma_f64 v[123:124], v[99:100], v[171:172], v[123:124]
	ds_read_b128 v[97:100], v150 offset:1312
	v_add_f64 v[101:102], v[101:102], v[127:128]
	v_add_f64 v[103:104], v[103:104], v[117:118]
	s_waitcnt vmcnt(31) lgkmcnt(1)
	v_mul_f64 v[127:128], v[3:4], v[157:158]
	v_mul_f64 v[117:118], v[1:2], v[157:158]
	s_waitcnt vmcnt(29)
	v_fma_f64 v[121:122], v[93:94], v[143:144], -v[121:122]
	v_fma_f64 v[105:106], v[95:96], v[143:144], v[105:106]
	ds_read_b128 v[93:96], v150 offset:1328
	v_add_f64 v[101:102], v[101:102], v[125:126]
	v_add_f64 v[103:104], v[103:104], v[123:124]
	s_waitcnt vmcnt(25) lgkmcnt(1)
	v_mul_f64 v[125:126], v[99:100], v[163:164]
	s_waitcnt vmcnt(24)
	v_fma_f64 v[127:128], v[1:2], v[176:177], -v[127:128]
	v_mul_f64 v[123:124], v[97:98], v[163:164]
	v_fma_f64 v[117:118], v[3:4], v[176:177], v[117:118]
	ds_read_b128 v[1:4], v150 offset:1344
	v_add_f64 v[101:102], v[101:102], v[121:122]
	v_add_f64 v[103:104], v[103:104], v[105:106]
	s_waitcnt vmcnt(23) lgkmcnt(1)
	v_mul_f64 v[121:122], v[95:96], v[169:170]
	v_mul_f64 v[105:106], v[93:94], v[169:170]
	s_waitcnt vmcnt(21)
	v_fma_f64 v[125:126], v[97:98], v[107:108], -v[125:126]
	v_fma_f64 v[107:108], v[99:100], v[107:108], v[123:124]
	ds_read_b128 v[97:100], v150 offset:1360
	v_add_f64 v[101:102], v[101:102], v[127:128]
	v_add_f64 v[103:104], v[103:104], v[117:118]
	s_waitcnt vmcnt(17) lgkmcnt(1)
	v_mul_f64 v[117:118], v[1:2], v[113:114]
	v_mul_f64 v[113:114], v[3:4], v[113:114]
	s_waitcnt vmcnt(16)
	v_fma_f64 v[121:122], v[93:94], v[173:174], -v[121:122]
	v_fma_f64 v[105:106], v[95:96], v[173:174], v[105:106]
	ds_read_b128 v[93:96], v150 offset:1376
	v_add_f64 v[101:102], v[101:102], v[125:126]
	v_add_f64 v[103:104], v[103:104], v[107:108]
	;; [unrolled: 9-line block ×3, first 2 shown]
	s_waitcnt vmcnt(9) lgkmcnt(1)
	v_mul_f64 v[117:118], v[95:96], v[151:152]
	s_waitcnt vmcnt(8)
	v_fma_f64 v[97:98], v[97:98], v[178:179], -v[123:124]
	v_mul_f64 v[105:106], v[93:94], v[151:152]
	v_fma_f64 v[99:100], v[99:100], v[178:179], v[107:108]
	v_add_f64 v[101:102], v[101:102], v[113:114]
	v_add_f64 v[103:104], v[103:104], v[109:110]
	s_waitcnt vmcnt(7) lgkmcnt(0)
	v_mul_f64 v[109:110], v[3:4], v[153:154]
	v_mul_f64 v[107:108], v[1:2], v[153:154]
	s_waitcnt vmcnt(5)
	v_fma_f64 v[93:94], v[93:94], v[115:116], -v[117:118]
	v_fma_f64 v[95:96], v[95:96], v[115:116], v[105:106]
	v_add_f64 v[97:98], v[101:102], v[97:98]
	v_add_f64 v[99:100], v[103:104], v[99:100]
	s_waitcnt vmcnt(4)
	v_fma_f64 v[1:2], v[1:2], v[165:166], -v[109:110]
	v_fma_f64 v[3:4], v[3:4], v[165:166], v[107:108]
	v_add_f64 v[93:94], v[97:98], v[93:94]
	v_add_f64 v[95:96], v[99:100], v[95:96]
	;; [unrolled: 1-line block ×4, first 2 shown]
	s_waitcnt vmcnt(2)
	v_add_f64 v[1:2], v[111:112], -v[1:2]
	s_waitcnt vmcnt(0)
	v_add_f64 v[3:4], v[119:120], -v[3:4]
	buffer_store_dword v2, off, s[0:3], 0 offset:52
	buffer_store_dword v1, off, s[0:3], 0 offset:48
	buffer_store_dword v4, off, s[0:3], 0 offset:60
	buffer_store_dword v3, off, s[0:3], 0 offset:56
	v_cmpx_lt_u32_e32 1, v0
	s_cbranch_execz .LBB107_275
; %bb.274:
	v_mov_b32_e32 v4, s55
	s_clause 0x3
	buffer_load_dword v1, v4, s[0:3], 0 offen
	buffer_load_dword v2, v4, s[0:3], 0 offen offset:4
	buffer_load_dword v3, v4, s[0:3], 0 offen offset:8
	;; [unrolled: 1-line block ×3, first 2 shown]
	buffer_store_dword v150, off, s[0:3], 0 offset:32
	buffer_store_dword v150, off, s[0:3], 0 offset:36
	;; [unrolled: 1-line block ×4, first 2 shown]
	s_waitcnt vmcnt(0)
	ds_write_b128 v149, v[1:4]
.LBB107_275:
	s_or_b32 exec_lo, exec_lo, s4
	s_waitcnt lgkmcnt(0)
	s_waitcnt_vscnt null, 0x0
	s_barrier
	buffer_gl0_inv
	s_clause 0x37
	buffer_load_dword v97, off, s[0:3], 0 offset:56
	buffer_load_dword v98, off, s[0:3], 0 offset:60
	;; [unrolled: 1-line block ×56, first 2 shown]
	ds_read_b128 v[151:154], v150 offset:736
	s_clause 0x2
	buffer_load_dword v146, off, s[0:3], 0 offset:284
	buffer_load_dword v148, off, s[0:3], 0 offset:260
	buffer_load_dword v147, off, s[0:3], 0 offset:256
	ds_read_b128 v[155:158], v150 offset:752
	s_clause 0x4
	buffer_load_dword v166, off, s[0:3], 0 offset:300
	buffer_load_dword v167, off, s[0:3], 0 offset:312
	;; [unrolled: 1-line block ×5, first 2 shown]
	ds_read_b128 v[159:162], v150 offset:768
	s_clause 0x2
	buffer_load_dword v168, off, s[0:3], 0 offset:316
	buffer_load_dword v173, off, s[0:3], 0 offset:292
	;; [unrolled: 1-line block ×3, first 2 shown]
	s_mov_b32 s4, exec_lo
	s_waitcnt vmcnt(62) lgkmcnt(2)
	v_mul_f64 v[163:164], v[153:154], v[97:98]
	v_mul_f64 v[97:98], v[151:152], v[97:98]
	s_waitcnt lgkmcnt(1)
	v_mul_f64 v[170:171], v[157:158], v[93:94]
	s_waitcnt vmcnt(59) lgkmcnt(0)
	v_mul_f64 v[174:175], v[161:162], v[3:4]
	v_fma_f64 v[151:152], v[151:152], v[95:96], -v[163:164]
	v_mul_f64 v[163:164], v[155:156], v[93:94]
	v_fma_f64 v[97:98], v[153:154], v[95:96], v[97:98]
	s_waitcnt vmcnt(57)
	v_fma_f64 v[155:156], v[155:156], v[1:2], -v[170:171]
	ds_read_b128 v[93:96], v150 offset:784
	v_mul_f64 v[153:154], v[159:160], v[3:4]
	s_waitcnt vmcnt(51)
	v_fma_f64 v[159:160], v[159:160], v[113:114], -v[174:175]
	v_add_f64 v[151:152], v[151:152], 0
	v_fma_f64 v[157:158], v[157:158], v[1:2], v[163:164]
	v_add_f64 v[97:98], v[97:98], 0
	s_clause 0x4
	buffer_load_dword v164, off, s[0:3], 0 offset:332
	buffer_load_dword v176, off, s[0:3], 0 offset:344
	;; [unrolled: 1-line block ×5, first 2 shown]
	s_waitcnt lgkmcnt(0)
	v_mul_f64 v[179:180], v[93:94], v[101:102]
	v_mul_f64 v[101:102], v[95:96], v[101:102]
	ds_read_b128 v[1:4], v150 offset:800
	v_fma_f64 v[113:114], v[161:162], v[113:114], v[153:154]
	v_add_f64 v[155:156], v[151:152], v[155:156]
	v_add_f64 v[97:98], v[97:98], v[157:158]
	s_clause 0x2
	buffer_load_dword v177, off, s[0:3], 0 offset:348
	buffer_load_dword v158, off, s[0:3], 0 offset:324
	;; [unrolled: 1-line block ×3, first 2 shown]
	s_waitcnt vmcnt(58) lgkmcnt(0)
	v_mul_f64 v[161:162], v[1:2], v[105:106]
	v_mul_f64 v[105:106], v[3:4], v[105:106]
	s_waitcnt vmcnt(56)
	v_fma_f64 v[101:102], v[93:94], v[107:108], -v[101:102]
	ds_read_b128 v[151:154], v150 offset:816
	v_fma_f64 v[107:108], v[95:96], v[107:108], v[179:180]
	v_add_f64 v[155:156], v[155:156], v[159:160]
	v_add_f64 v[97:98], v[97:98], v[113:114]
	s_clause 0x4
	buffer_load_dword v114, off, s[0:3], 0 offset:364
	buffer_load_dword v159, off, s[0:3], 0 offset:376
	;; [unrolled: 1-line block ×5, first 2 shown]
	ds_read_b128 v[93:96], v150 offset:832
	s_waitcnt vmcnt(57) lgkmcnt(1)
	v_mul_f64 v[180:181], v[151:152], v[109:110]
	v_mul_f64 v[109:110], v[153:154], v[109:110]
	s_waitcnt vmcnt(56)
	v_fma_f64 v[105:106], v[1:2], v[99:100], -v[105:106]
	v_fma_f64 v[99:100], v[3:4], v[99:100], v[161:162]
	v_add_f64 v[101:102], v[155:156], v[101:102]
	v_add_f64 v[97:98], v[97:98], v[107:108]
	s_clause 0x2
	buffer_load_dword v160, off, s[0:3], 0 offset:380
	buffer_load_dword v108, off, s[0:3], 0 offset:356
	;; [unrolled: 1-line block ×3, first 2 shown]
	s_waitcnt vmcnt(58) lgkmcnt(0)
	v_mul_f64 v[155:156], v[93:94], v[115:116]
	v_mul_f64 v[115:116], v[95:96], v[115:116]
	s_waitcnt vmcnt(56)
	v_fma_f64 v[109:110], v[151:152], v[117:118], -v[109:110]
	ds_read_b128 v[1:4], v150 offset:848
	v_add_f64 v[101:102], v[101:102], v[105:106]
	v_fma_f64 v[105:106], v[153:154], v[117:118], v[180:181]
	v_add_f64 v[117:118], v[97:98], v[99:100]
	s_clause 0x4
	buffer_load_dword v152, off, s[0:3], 0 offset:396
	buffer_load_dword v153, off, s[0:3], 0 offset:408
	;; [unrolled: 1-line block ×5, first 2 shown]
	ds_read_b128 v[97:100], v150 offset:864
	s_waitcnt vmcnt(57) lgkmcnt(1)
	v_mul_f64 v[180:181], v[1:2], v[119:120]
	v_mul_f64 v[119:120], v[3:4], v[119:120]
	s_waitcnt vmcnt(56)
	v_fma_f64 v[115:116], v[93:94], v[103:104], -v[115:116]
	v_fma_f64 v[103:104], v[95:96], v[103:104], v[155:156]
	v_add_f64 v[101:102], v[101:102], v[109:110]
	s_clause 0x2
	buffer_load_dword v154, off, s[0:3], 0 offset:412
	buffer_load_dword v110, off, s[0:3], 0 offset:388
	;; [unrolled: 1-line block ×3, first 2 shown]
	v_add_f64 v[105:106], v[117:118], v[105:106]
	s_waitcnt vmcnt(58) lgkmcnt(0)
	v_mul_f64 v[117:118], v[97:98], v[123:124]
	v_mul_f64 v[123:124], v[99:100], v[123:124]
	ds_read_b128 v[93:96], v150 offset:880
	s_waitcnt vmcnt(56)
	v_fma_f64 v[119:120], v[1:2], v[125:126], -v[119:120]
	v_add_f64 v[101:102], v[101:102], v[115:116]
	v_fma_f64 v[115:116], v[3:4], v[125:126], v[180:181]
	v_add_f64 v[103:104], v[105:106], v[103:104]
	s_clause 0x4
	buffer_load_dword v106, off, s[0:3], 0 offset:428
	buffer_load_dword v125, off, s[0:3], 0 offset:440
	buffer_load_dword v155, off, s[0:3], 0 offset:432
	buffer_load_dword v105, off, s[0:3], 0 offset:424
	buffer_load_dword v162, off, s[0:3], 0 offset:404
	s_waitcnt vmcnt(57) lgkmcnt(0)
	v_mul_f64 v[180:181], v[93:94], v[127:128]
	v_mul_f64 v[127:128], v[95:96], v[127:128]
	s_waitcnt vmcnt(56)
	v_fma_f64 v[123:124], v[97:98], v[111:112], -v[123:124]
	ds_read_b128 v[1:4], v150 offset:896
	v_fma_f64 v[111:112], v[99:100], v[111:112], v[117:118]
	v_add_f64 v[101:102], v[101:102], v[119:120]
	v_add_f64 v[103:104], v[103:104], v[115:116]
	s_clause 0x2
	buffer_load_dword v126, off, s[0:3], 0 offset:444
	buffer_load_dword v116, off, s[0:3], 0 offset:420
	;; [unrolled: 1-line block ×3, first 2 shown]
	ds_read_b128 v[97:100], v150 offset:912
	s_waitcnt vmcnt(58) lgkmcnt(1)
	v_mul_f64 v[119:120], v[3:4], v[131:132]
	s_waitcnt vmcnt(56)
	v_fma_f64 v[127:128], v[93:94], v[133:134], -v[127:128]
	v_mul_f64 v[117:118], v[1:2], v[131:132]
	v_add_f64 v[101:102], v[101:102], v[123:124]
	v_fma_f64 v[123:124], v[95:96], v[133:134], v[180:181]
	v_add_f64 v[103:104], v[103:104], v[111:112]
	s_clause 0x4
	buffer_load_dword v112, off, s[0:3], 0 offset:460
	buffer_load_dword v131, off, s[0:3], 0 offset:472
	;; [unrolled: 1-line block ×5, first 2 shown]
	s_waitcnt vmcnt(57) lgkmcnt(0)
	v_mul_f64 v[180:181], v[97:98], v[135:136]
	v_mul_f64 v[134:135], v[99:100], v[135:136]
	s_waitcnt vmcnt(56)
	v_fma_f64 v[119:120], v[1:2], v[121:122], -v[119:120]
	ds_read_b128 v[93:96], v150 offset:928
	v_fma_f64 v[117:118], v[3:4], v[121:122], v[117:118]
	s_clause 0x2
	buffer_load_dword v132, off, s[0:3], 0 offset:476
	buffer_load_dword v122, off, s[0:3], 0 offset:452
	;; [unrolled: 1-line block ×3, first 2 shown]
	ds_read_b128 v[1:4], v150 offset:944
	v_add_f64 v[101:102], v[101:102], v[127:128]
	v_add_f64 v[103:104], v[103:104], v[123:124]
	s_waitcnt vmcnt(58) lgkmcnt(1)
	v_mul_f64 v[127:128], v[95:96], v[139:140]
	s_waitcnt vmcnt(56)
	v_fma_f64 v[135:136], v[97:98], v[141:142], -v[134:135]
	v_mul_f64 v[123:124], v[93:94], v[139:140]
	v_add_f64 v[101:102], v[101:102], v[119:120]
	v_fma_f64 v[119:120], v[99:100], v[141:142], v[180:181]
	v_add_f64 v[103:104], v[103:104], v[117:118]
	s_clause 0x4
	buffer_load_dword v118, off, s[0:3], 0 offset:492
	buffer_load_dword v139, off, s[0:3], 0 offset:504
	;; [unrolled: 1-line block ×5, first 2 shown]
	s_waitcnt vmcnt(57) lgkmcnt(0)
	v_mul_f64 v[180:181], v[1:2], v[143:144]
	v_mul_f64 v[142:143], v[3:4], v[143:144]
	s_waitcnt vmcnt(56)
	v_fma_f64 v[127:128], v[93:94], v[129:130], -v[127:128]
	ds_read_b128 v[97:100], v150 offset:960
	v_fma_f64 v[123:124], v[95:96], v[129:130], v[123:124]
	v_add_f64 v[101:102], v[101:102], v[135:136]
	v_add_f64 v[103:104], v[103:104], v[119:120]
	s_clause 0x2
	buffer_load_dword v140, off, s[0:3], 0 offset:508
	buffer_load_dword v120, off, s[0:3], 0 offset:484
	;; [unrolled: 1-line block ×3, first 2 shown]
	ds_read_b128 v[93:96], v150 offset:976
	s_waitcnt vmcnt(58) lgkmcnt(1)
	v_mul_f64 v[135:136], v[99:100], v[145:146]
	s_waitcnt vmcnt(56)
	v_fma_f64 v[143:144], v[1:2], v[147:148], -v[142:143]
	v_mul_f64 v[129:130], v[97:98], v[145:146]
	v_add_f64 v[101:102], v[101:102], v[127:128]
	v_fma_f64 v[127:128], v[3:4], v[147:148], v[180:181]
	v_add_f64 v[103:104], v[103:104], v[123:124]
	s_clause 0x4
	buffer_load_dword v124, off, s[0:3], 0 offset:524
	buffer_load_dword v145, off, s[0:3], 0 offset:536
	;; [unrolled: 1-line block ×5, first 2 shown]
	s_waitcnt vmcnt(57) lgkmcnt(0)
	v_mul_f64 v[180:181], v[93:94], v[165:166]
	v_mul_f64 v[165:166], v[95:96], v[165:166]
	s_waitcnt vmcnt(56)
	v_fma_f64 v[135:136], v[97:98], v[137:138], -v[135:136]
	ds_read_b128 v[1:4], v150 offset:992
	v_fma_f64 v[129:130], v[99:100], v[137:138], v[129:130]
	v_add_f64 v[101:102], v[101:102], v[143:144]
	v_add_f64 v[103:104], v[103:104], v[127:128]
	s_clause 0x2
	buffer_load_dword v146, off, s[0:3], 0 offset:540
	buffer_load_dword v128, off, s[0:3], 0 offset:516
	;; [unrolled: 1-line block ×3, first 2 shown]
	ds_read_b128 v[97:100], v150 offset:1008
	s_waitcnt vmcnt(58) lgkmcnt(1)
	v_mul_f64 v[143:144], v[3:4], v[167:168]
	s_waitcnt vmcnt(56)
	v_fma_f64 v[165:166], v[93:94], v[172:173], -v[165:166]
	v_mul_f64 v[137:138], v[1:2], v[167:168]
	v_add_f64 v[101:102], v[101:102], v[135:136]
	v_fma_f64 v[135:136], v[95:96], v[172:173], v[180:181]
	v_add_f64 v[103:104], v[103:104], v[129:130]
	s_clause 0x4
	buffer_load_dword v130, off, s[0:3], 0 offset:556
	buffer_load_dword v167, off, s[0:3], 0 offset:568
	;; [unrolled: 1-line block ×5, first 2 shown]
	ds_read_b128 v[93:96], v150 offset:1024
	s_waitcnt vmcnt(57) lgkmcnt(1)
	v_mul_f64 v[172:173], v[97:98], v[163:164]
	v_mul_f64 v[163:164], v[99:100], v[163:164]
	s_waitcnt vmcnt(56)
	v_fma_f64 v[143:144], v[1:2], v[169:170], -v[143:144]
	v_fma_f64 v[137:138], v[3:4], v[169:170], v[137:138]
	v_add_f64 v[101:102], v[101:102], v[165:166]
	v_add_f64 v[103:104], v[103:104], v[135:136]
	s_clause 0x2
	buffer_load_dword v168, off, s[0:3], 0 offset:572
	buffer_load_dword v136, off, s[0:3], 0 offset:548
	buffer_load_dword v135, off, s[0:3], 0 offset:544
	ds_read_b128 v[1:4], v150 offset:1040
	s_waitcnt vmcnt(58) lgkmcnt(1)
	v_mul_f64 v[169:170], v[95:96], v[176:177]
	v_mul_f64 v[165:166], v[93:94], v[176:177]
	s_waitcnt vmcnt(56)
	v_fma_f64 v[163:164], v[97:98], v[157:158], -v[163:164]
	v_add_f64 v[101:102], v[101:102], v[143:144]
	v_fma_f64 v[143:144], v[99:100], v[157:158], v[172:173]
	v_add_f64 v[103:104], v[103:104], v[137:138]
	s_clause 0x4
	buffer_load_dword v138, off, s[0:3], 0 offset:588
	buffer_load_dword v157, off, s[0:3], 0 offset:600
	buffer_load_dword v176, off, s[0:3], 0 offset:592
	buffer_load_dword v137, off, s[0:3], 0 offset:584
	buffer_load_dword v172, off, s[0:3], 0 offset:564
	ds_read_b128 v[97:100], v150 offset:1056
	s_waitcnt vmcnt(57) lgkmcnt(1)
	v_mul_f64 v[180:181], v[1:2], v[113:114]
	v_mul_f64 v[113:114], v[3:4], v[113:114]
	s_waitcnt vmcnt(56)
	v_fma_f64 v[169:170], v[93:94], v[178:179], -v[169:170]
	v_add_f64 v[101:102], v[101:102], v[163:164]
	v_fma_f64 v[163:164], v[95:96], v[178:179], v[165:166]
	v_add_f64 v[103:104], v[103:104], v[143:144]
	s_clause 0x2
	buffer_load_dword v158, off, s[0:3], 0 offset:604
	buffer_load_dword v144, off, s[0:3], 0 offset:580
	buffer_load_dword v143, off, s[0:3], 0 offset:576
	ds_read_b128 v[93:96], v150 offset:1072
	s_waitcnt vmcnt(58) lgkmcnt(1)
	v_mul_f64 v[165:166], v[97:98], v[159:160]
	v_mul_f64 v[159:160], v[99:100], v[159:160]
	s_waitcnt vmcnt(56)
	v_fma_f64 v[113:114], v[1:2], v[107:108], -v[113:114]
	v_fma_f64 v[107:108], v[3:4], v[107:108], v[180:181]
	v_add_f64 v[101:102], v[101:102], v[169:170]
	v_add_f64 v[103:104], v[103:104], v[163:164]
	s_clause 0x4
	buffer_load_dword v164, off, s[0:3], 0 offset:620
	buffer_load_dword v169, off, s[0:3], 0 offset:632
	buffer_load_dword v173, off, s[0:3], 0 offset:624
	buffer_load_dword v163, off, s[0:3], 0 offset:616
	buffer_load_dword v177, off, s[0:3], 0 offset:596
	ds_read_b128 v[1:4], v150 offset:1088
	s_waitcnt vmcnt(57) lgkmcnt(1)
	v_mul_f64 v[178:179], v[93:94], v[151:152]
	v_mul_f64 v[151:152], v[95:96], v[151:152]
	s_waitcnt vmcnt(56)
	v_fma_f64 v[159:160], v[97:98], v[174:175], -v[159:160]
	v_add_f64 v[101:102], v[101:102], v[113:114]
	v_fma_f64 v[113:114], v[99:100], v[174:175], v[165:166]
	v_add_f64 v[103:104], v[103:104], v[107:108]
	s_clause 0x2
	buffer_load_dword v170, off, s[0:3], 0 offset:636
	buffer_load_dword v108, off, s[0:3], 0 offset:612
	buffer_load_dword v107, off, s[0:3], 0 offset:608
	ds_read_b128 v[97:100], v150 offset:1104
	s_waitcnt vmcnt(58) lgkmcnt(1)
	v_mul_f64 v[165:166], v[1:2], v[153:154]
	v_mul_f64 v[153:154], v[3:4], v[153:154]
	s_waitcnt vmcnt(56)
	v_fma_f64 v[151:152], v[93:94], v[109:110], -v[151:152]
	v_fma_f64 v[109:110], v[95:96], v[109:110], v[178:179]
	v_add_f64 v[101:102], v[101:102], v[159:160]
	;; [unrolled: 28-line block ×3, first 2 shown]
	v_add_f64 v[103:104], v[103:104], v[151:152]
	s_clause 0x4
	buffer_load_dword v152, off, s[0:3], 0 offset:684
	buffer_load_dword v153, off, s[0:3], 0 offset:696
	;; [unrolled: 1-line block ×5, first 2 shown]
	ds_read_b128 v[97:100], v150 offset:1152
	s_waitcnt vmcnt(57) lgkmcnt(1)
	v_mul_f64 v[180:181], v[1:2], v[111:112]
	v_mul_f64 v[111:112], v[3:4], v[111:112]
	s_waitcnt vmcnt(56)
	v_fma_f64 v[125:126], v[93:94], v[155:156], -v[125:126]
	v_add_f64 v[101:102], v[101:102], v[105:106]
	v_fma_f64 v[105:106], v[95:96], v[155:156], v[161:162]
	v_add_f64 v[103:104], v[103:104], v[115:116]
	s_clause 0x2
	buffer_load_dword v154, off, s[0:3], 0 offset:700
	buffer_load_dword v116, off, s[0:3], 0 offset:676
	;; [unrolled: 1-line block ×3, first 2 shown]
	s_waitcnt vmcnt(58) lgkmcnt(0)
	v_mul_f64 v[155:156], v[97:98], v[131:132]
	v_mul_f64 v[131:132], v[99:100], v[131:132]
	ds_read_b128 v[93:96], v150 offset:1168
	s_waitcnt vmcnt(56)
	v_fma_f64 v[111:112], v[1:2], v[121:122], -v[111:112]
	v_fma_f64 v[121:122], v[3:4], v[121:122], v[180:181]
	v_add_f64 v[101:102], v[101:102], v[125:126]
	v_add_f64 v[103:104], v[103:104], v[105:106]
	s_clause 0x2
	buffer_load_dword v106, off, s[0:3], 0 offset:716
	buffer_load_dword v105, off, s[0:3], 0 offset:712
	;; [unrolled: 1-line block ×3, first 2 shown]
	ds_read_b128 v[1:4], v150 offset:1184
	s_waitcnt vmcnt(55) lgkmcnt(1)
	v_mul_f64 v[125:126], v[93:94], v[117:118]
	v_mul_f64 v[117:118], v[95:96], v[117:118]
	s_waitcnt vmcnt(54)
	v_fma_f64 v[131:132], v[97:98], v[133:134], -v[131:132]
	v_add_f64 v[101:102], v[101:102], v[111:112]
	v_fma_f64 v[111:112], v[99:100], v[133:134], v[155:156]
	v_add_f64 v[103:104], v[103:104], v[121:122]
	s_clause 0x1
	buffer_load_dword v122, off, s[0:3], 0 offset:708
	buffer_load_dword v121, off, s[0:3], 0 offset:704
	ds_read_b128 v[97:100], v150 offset:1200
	s_waitcnt vmcnt(55) lgkmcnt(1)
	v_mul_f64 v[133:134], v[1:2], v[139:140]
	v_mul_f64 v[139:140], v[3:4], v[139:140]
	s_waitcnt vmcnt(53)
	v_fma_f64 v[117:118], v[93:94], v[119:120], -v[117:118]
	v_fma_f64 v[119:120], v[95:96], v[119:120], v[125:126]
	ds_read_b128 v[93:96], v150 offset:1216
	v_add_f64 v[101:102], v[101:102], v[131:132]
	v_add_f64 v[103:104], v[103:104], v[111:112]
	s_waitcnt vmcnt(49) lgkmcnt(1)
	v_mul_f64 v[111:112], v[97:98], v[123:124]
	v_mul_f64 v[123:124], v[99:100], v[123:124]
	s_waitcnt vmcnt(48)
	v_fma_f64 v[125:126], v[1:2], v[141:142], -v[139:140]
	v_add_f64 v[101:102], v[101:102], v[117:118]
	v_fma_f64 v[117:118], v[3:4], v[141:142], v[133:134]
	v_add_f64 v[103:104], v[103:104], v[119:120]
	s_clause 0x3
	buffer_load_dword v119, off, s[0:3], 0 offset:32
	buffer_load_dword v120, off, s[0:3], 0 offset:36
	;; [unrolled: 1-line block ×4, first 2 shown]
	ds_read_b128 v[1:4], v150 offset:1232
	s_waitcnt vmcnt(51) lgkmcnt(1)
	v_mul_f64 v[139:140], v[95:96], v[145:146]
	v_mul_f64 v[133:134], v[93:94], v[145:146]
	s_waitcnt vmcnt(49)
	v_fma_f64 v[123:124], v[97:98], v[127:128], -v[123:124]
	v_fma_f64 v[111:112], v[99:100], v[127:128], v[111:112]
	ds_read_b128 v[97:100], v150 offset:1248
	v_add_f64 v[101:102], v[101:102], v[125:126]
	v_add_f64 v[103:104], v[103:104], v[117:118]
	s_waitcnt vmcnt(45) lgkmcnt(1)
	v_mul_f64 v[125:126], v[3:4], v[129:130]
	s_waitcnt vmcnt(44)
	v_fma_f64 v[127:128], v[93:94], v[147:148], -v[139:140]
	v_mul_f64 v[117:118], v[1:2], v[129:130]
	v_add_f64 v[101:102], v[101:102], v[123:124]
	v_fma_f64 v[123:124], v[95:96], v[147:148], v[133:134]
	v_add_f64 v[103:104], v[103:104], v[111:112]
	ds_read_b128 v[93:96], v150 offset:1264
	s_waitcnt vmcnt(43) lgkmcnt(1)
	v_mul_f64 v[129:130], v[99:100], v[167:168]
	v_mul_f64 v[111:112], v[97:98], v[167:168]
	s_waitcnt vmcnt(41)
	v_fma_f64 v[125:126], v[1:2], v[135:136], -v[125:126]
	v_fma_f64 v[117:118], v[3:4], v[135:136], v[117:118]
	ds_read_b128 v[1:4], v150 offset:1280
	v_add_f64 v[101:102], v[101:102], v[127:128]
	v_add_f64 v[103:104], v[103:104], v[123:124]
	s_waitcnt vmcnt(37) lgkmcnt(1)
	v_mul_f64 v[127:128], v[95:96], v[137:138]
	s_waitcnt vmcnt(36)
	v_fma_f64 v[129:130], v[97:98], v[171:172], -v[129:130]
	v_mul_f64 v[123:124], v[93:94], v[137:138]
	v_fma_f64 v[111:112], v[99:100], v[171:172], v[111:112]
	ds_read_b128 v[97:100], v150 offset:1296
	v_add_f64 v[101:102], v[101:102], v[125:126]
	v_add_f64 v[103:104], v[103:104], v[117:118]
	s_waitcnt vmcnt(35) lgkmcnt(1)
	v_mul_f64 v[125:126], v[3:4], v[157:158]
	v_mul_f64 v[117:118], v[1:2], v[157:158]
	s_waitcnt vmcnt(33)
	v_fma_f64 v[127:128], v[93:94], v[143:144], -v[127:128]
	v_fma_f64 v[123:124], v[95:96], v[143:144], v[123:124]
	ds_read_b128 v[93:96], v150 offset:1312
	v_add_f64 v[101:102], v[101:102], v[129:130]
	v_add_f64 v[103:104], v[103:104], v[111:112]
	s_waitcnt vmcnt(29) lgkmcnt(1)
	v_mul_f64 v[129:130], v[99:100], v[163:164]
	s_waitcnt vmcnt(28)
	v_fma_f64 v[125:126], v[1:2], v[176:177], -v[125:126]
	v_mul_f64 v[111:112], v[97:98], v[163:164]
	v_fma_f64 v[117:118], v[3:4], v[176:177], v[117:118]
	ds_read_b128 v[1:4], v150 offset:1328
	v_add_f64 v[101:102], v[101:102], v[127:128]
	v_add_f64 v[103:104], v[103:104], v[123:124]
	s_waitcnt vmcnt(27) lgkmcnt(1)
	v_mul_f64 v[127:128], v[95:96], v[169:170]
	v_mul_f64 v[123:124], v[93:94], v[169:170]
	s_waitcnt vmcnt(25)
	v_fma_f64 v[129:130], v[97:98], v[107:108], -v[129:130]
	v_fma_f64 v[107:108], v[99:100], v[107:108], v[111:112]
	ds_read_b128 v[97:100], v150 offset:1344
	v_add_f64 v[101:102], v[101:102], v[125:126]
	v_add_f64 v[103:104], v[103:104], v[117:118]
	s_waitcnt vmcnt(21) lgkmcnt(1)
	v_mul_f64 v[111:112], v[1:2], v[113:114]
	v_mul_f64 v[113:114], v[3:4], v[113:114]
	s_waitcnt vmcnt(20)
	v_fma_f64 v[117:118], v[93:94], v[173:174], -v[127:128]
	;; [unrolled: 9-line block ×3, first 2 shown]
	v_fma_f64 v[109:110], v[3:4], v[109:110], v[111:112]
	ds_read_b128 v[1:4], v150 offset:1376
	v_add_f64 v[101:102], v[101:102], v[117:118]
	v_add_f64 v[103:104], v[103:104], v[123:124]
	s_waitcnt vmcnt(13) lgkmcnt(1)
	v_mul_f64 v[117:118], v[95:96], v[151:152]
	s_waitcnt vmcnt(12)
	v_fma_f64 v[123:124], v[97:98], v[178:179], -v[125:126]
	v_mul_f64 v[111:112], v[93:94], v[151:152]
	v_fma_f64 v[107:108], v[99:100], v[178:179], v[107:108]
	ds_read_b128 v[97:100], v150 offset:1392
	v_add_f64 v[101:102], v[101:102], v[113:114]
	v_add_f64 v[103:104], v[103:104], v[109:110]
	s_waitcnt vmcnt(11) lgkmcnt(1)
	v_mul_f64 v[113:114], v[3:4], v[153:154]
	v_mul_f64 v[109:110], v[1:2], v[153:154]
	s_waitcnt vmcnt(9)
	v_fma_f64 v[93:94], v[93:94], v[115:116], -v[117:118]
	v_fma_f64 v[95:96], v[95:96], v[115:116], v[111:112]
	v_add_f64 v[101:102], v[101:102], v[123:124]
	v_add_f64 v[103:104], v[103:104], v[107:108]
	s_waitcnt vmcnt(7) lgkmcnt(0)
	v_mul_f64 v[107:108], v[97:98], v[105:106]
	v_mul_f64 v[105:106], v[99:100], v[105:106]
	s_waitcnt vmcnt(6)
	v_fma_f64 v[1:2], v[1:2], v[165:166], -v[113:114]
	v_fma_f64 v[3:4], v[3:4], v[165:166], v[109:110]
	v_add_f64 v[93:94], v[101:102], v[93:94]
	v_add_f64 v[95:96], v[103:104], v[95:96]
	s_waitcnt vmcnt(4)
	v_fma_f64 v[97:98], v[97:98], v[121:122], -v[105:106]
	v_add_f64 v[1:2], v[93:94], v[1:2]
	v_fma_f64 v[93:94], v[99:100], v[121:122], v[107:108]
	v_add_f64 v[3:4], v[95:96], v[3:4]
	v_add_f64 v[1:2], v[1:2], v[97:98]
	;; [unrolled: 1-line block ×3, first 2 shown]
	s_waitcnt vmcnt(2)
	v_add_f64 v[1:2], v[119:120], -v[1:2]
	s_waitcnt vmcnt(0)
	v_add_f64 v[3:4], v[131:132], -v[3:4]
	buffer_store_dword v2, off, s[0:3], 0 offset:36
	buffer_store_dword v1, off, s[0:3], 0 offset:32
	;; [unrolled: 1-line block ×4, first 2 shown]
	v_cmpx_ne_u32_e32 0, v0
	s_cbranch_execz .LBB107_277
; %bb.276:
	s_clause 0x3
	buffer_load_dword v0, off, s[0:3], 0 offset:16
	buffer_load_dword v1, off, s[0:3], 0 offset:20
	;; [unrolled: 1-line block ×4, first 2 shown]
	v_mov_b32_e32 v4, 0
	buffer_store_dword v4, off, s[0:3], 0 offset:16
	buffer_store_dword v4, off, s[0:3], 0 offset:20
	;; [unrolled: 1-line block ×4, first 2 shown]
	s_waitcnt vmcnt(0)
	ds_write_b128 v149, v[0:3]
.LBB107_277:
	s_or_b32 exec_lo, exec_lo, s4
	s_waitcnt lgkmcnt(0)
	s_waitcnt_vscnt null, 0x0
	s_barrier
	buffer_gl0_inv
	s_clause 0x37
	buffer_load_dword v97, off, s[0:3], 0 offset:40
	buffer_load_dword v98, off, s[0:3], 0 offset:44
	;; [unrolled: 1-line block ×56, first 2 shown]
	v_mov_b32_e32 v4, 0
	s_and_b32 vcc_lo, exec_lo, s56
	ds_read_b128 v[149:152], v4 offset:720
	s_clause 0x2
	buffer_load_dword v146, off, s[0:3], 0 offset:268
	buffer_load_dword v148, off, s[0:3], 0 offset:244
	;; [unrolled: 1-line block ×3, first 2 shown]
	ds_read_b128 v[153:156], v4 offset:736
	s_clause 0x4
	buffer_load_dword v164, off, s[0:3], 0 offset:284
	buffer_load_dword v165, off, s[0:3], 0 offset:296
	;; [unrolled: 1-line block ×5, first 2 shown]
	ds_read_b128 v[157:160], v4 offset:752
	s_clause 0x2
	buffer_load_dword v166, off, s[0:3], 0 offset:300
	buffer_load_dword v171, off, s[0:3], 0 offset:276
	;; [unrolled: 1-line block ×3, first 2 shown]
	s_waitcnt vmcnt(62) lgkmcnt(2)
	v_mul_f64 v[161:162], v[151:152], v[97:98]
	v_mul_f64 v[97:98], v[149:150], v[97:98]
	s_waitcnt lgkmcnt(1)
	v_mul_f64 v[168:169], v[155:156], v[93:94]
	s_waitcnt vmcnt(59) lgkmcnt(0)
	v_mul_f64 v[172:173], v[159:160], v[2:3]
	v_fma_f64 v[149:150], v[149:150], v[95:96], -v[161:162]
	v_mul_f64 v[161:162], v[153:154], v[93:94]
	v_fma_f64 v[97:98], v[151:152], v[95:96], v[97:98]
	s_waitcnt vmcnt(57)
	v_fma_f64 v[153:154], v[153:154], v[0:1], -v[168:169]
	ds_read_b128 v[93:96], v4 offset:768
	v_mul_f64 v[151:152], v[157:158], v[2:3]
	s_waitcnt vmcnt(51)
	v_fma_f64 v[157:158], v[157:158], v[113:114], -v[172:173]
	v_add_f64 v[149:150], v[149:150], 0
	v_fma_f64 v[155:156], v[155:156], v[0:1], v[161:162]
	v_add_f64 v[97:98], v[97:98], 0
	s_clause 0x4
	buffer_load_dword v162, off, s[0:3], 0 offset:316
	buffer_load_dword v174, off, s[0:3], 0 offset:328
	;; [unrolled: 1-line block ×5, first 2 shown]
	s_waitcnt lgkmcnt(0)
	v_mul_f64 v[177:178], v[93:94], v[101:102]
	v_mul_f64 v[101:102], v[95:96], v[101:102]
	ds_read_b128 v[0:3], v4 offset:784
	v_fma_f64 v[113:114], v[159:160], v[113:114], v[151:152]
	v_add_f64 v[153:154], v[149:150], v[153:154]
	v_add_f64 v[97:98], v[97:98], v[155:156]
	s_clause 0x2
	buffer_load_dword v175, off, s[0:3], 0 offset:332
	buffer_load_dword v156, off, s[0:3], 0 offset:308
	;; [unrolled: 1-line block ×3, first 2 shown]
	s_waitcnt vmcnt(58) lgkmcnt(0)
	v_mul_f64 v[159:160], v[0:1], v[105:106]
	v_mul_f64 v[105:106], v[2:3], v[105:106]
	s_waitcnt vmcnt(56)
	v_fma_f64 v[101:102], v[93:94], v[107:108], -v[101:102]
	ds_read_b128 v[149:152], v4 offset:800
	v_fma_f64 v[107:108], v[95:96], v[107:108], v[177:178]
	v_add_f64 v[153:154], v[153:154], v[157:158]
	v_add_f64 v[97:98], v[97:98], v[113:114]
	s_clause 0x4
	buffer_load_dword v114, off, s[0:3], 0 offset:348
	buffer_load_dword v157, off, s[0:3], 0 offset:360
	;; [unrolled: 1-line block ×5, first 2 shown]
	ds_read_b128 v[93:96], v4 offset:816
	s_waitcnt vmcnt(57) lgkmcnt(1)
	v_mul_f64 v[178:179], v[149:150], v[109:110]
	v_mul_f64 v[109:110], v[151:152], v[109:110]
	s_waitcnt vmcnt(56)
	v_fma_f64 v[105:106], v[0:1], v[99:100], -v[105:106]
	v_fma_f64 v[99:100], v[2:3], v[99:100], v[159:160]
	v_add_f64 v[101:102], v[153:154], v[101:102]
	v_add_f64 v[97:98], v[97:98], v[107:108]
	s_clause 0x2
	buffer_load_dword v158, off, s[0:3], 0 offset:364
	buffer_load_dword v108, off, s[0:3], 0 offset:340
	;; [unrolled: 1-line block ×3, first 2 shown]
	s_waitcnt vmcnt(58) lgkmcnt(0)
	v_mul_f64 v[153:154], v[93:94], v[115:116]
	v_mul_f64 v[115:116], v[95:96], v[115:116]
	s_waitcnt vmcnt(56)
	v_fma_f64 v[109:110], v[149:150], v[117:118], -v[109:110]
	ds_read_b128 v[0:3], v4 offset:832
	v_add_f64 v[101:102], v[101:102], v[105:106]
	v_fma_f64 v[105:106], v[151:152], v[117:118], v[178:179]
	v_add_f64 v[117:118], v[97:98], v[99:100]
	s_clause 0x4
	buffer_load_dword v150, off, s[0:3], 0 offset:380
	buffer_load_dword v151, off, s[0:3], 0 offset:392
	;; [unrolled: 1-line block ×5, first 2 shown]
	ds_read_b128 v[97:100], v4 offset:848
	s_waitcnt vmcnt(57) lgkmcnt(1)
	v_mul_f64 v[178:179], v[0:1], v[119:120]
	v_mul_f64 v[119:120], v[2:3], v[119:120]
	s_waitcnt vmcnt(56)
	v_fma_f64 v[115:116], v[93:94], v[103:104], -v[115:116]
	v_fma_f64 v[103:104], v[95:96], v[103:104], v[153:154]
	v_add_f64 v[101:102], v[101:102], v[109:110]
	s_clause 0x2
	buffer_load_dword v152, off, s[0:3], 0 offset:396
	buffer_load_dword v110, off, s[0:3], 0 offset:372
	;; [unrolled: 1-line block ×3, first 2 shown]
	v_add_f64 v[105:106], v[117:118], v[105:106]
	s_waitcnt vmcnt(58) lgkmcnt(0)
	v_mul_f64 v[117:118], v[97:98], v[123:124]
	v_mul_f64 v[123:124], v[99:100], v[123:124]
	ds_read_b128 v[93:96], v4 offset:864
	s_waitcnt vmcnt(56)
	v_fma_f64 v[119:120], v[0:1], v[125:126], -v[119:120]
	v_add_f64 v[101:102], v[101:102], v[115:116]
	v_fma_f64 v[115:116], v[2:3], v[125:126], v[178:179]
	v_add_f64 v[103:104], v[105:106], v[103:104]
	s_clause 0x4
	buffer_load_dword v106, off, s[0:3], 0 offset:412
	buffer_load_dword v125, off, s[0:3], 0 offset:424
	;; [unrolled: 1-line block ×5, first 2 shown]
	s_waitcnt vmcnt(57) lgkmcnt(0)
	v_mul_f64 v[178:179], v[93:94], v[127:128]
	v_mul_f64 v[127:128], v[95:96], v[127:128]
	s_waitcnt vmcnt(56)
	v_fma_f64 v[123:124], v[97:98], v[111:112], -v[123:124]
	ds_read_b128 v[0:3], v4 offset:880
	v_fma_f64 v[111:112], v[99:100], v[111:112], v[117:118]
	v_add_f64 v[101:102], v[101:102], v[119:120]
	v_add_f64 v[103:104], v[103:104], v[115:116]
	s_clause 0x2
	buffer_load_dword v126, off, s[0:3], 0 offset:428
	buffer_load_dword v116, off, s[0:3], 0 offset:404
	;; [unrolled: 1-line block ×3, first 2 shown]
	ds_read_b128 v[97:100], v4 offset:896
	s_waitcnt vmcnt(58) lgkmcnt(1)
	v_mul_f64 v[119:120], v[2:3], v[131:132]
	s_waitcnt vmcnt(56)
	v_fma_f64 v[127:128], v[93:94], v[133:134], -v[127:128]
	v_mul_f64 v[117:118], v[0:1], v[131:132]
	v_add_f64 v[101:102], v[101:102], v[123:124]
	v_fma_f64 v[123:124], v[95:96], v[133:134], v[178:179]
	v_add_f64 v[103:104], v[103:104], v[111:112]
	s_clause 0x4
	buffer_load_dword v112, off, s[0:3], 0 offset:444
	buffer_load_dword v131, off, s[0:3], 0 offset:456
	;; [unrolled: 1-line block ×5, first 2 shown]
	s_waitcnt vmcnt(57) lgkmcnt(0)
	v_mul_f64 v[178:179], v[97:98], v[135:136]
	v_mul_f64 v[134:135], v[99:100], v[135:136]
	s_waitcnt vmcnt(56)
	v_fma_f64 v[119:120], v[0:1], v[121:122], -v[119:120]
	ds_read_b128 v[93:96], v4 offset:912
	v_fma_f64 v[117:118], v[2:3], v[121:122], v[117:118]
	s_clause 0x2
	buffer_load_dword v132, off, s[0:3], 0 offset:460
	buffer_load_dword v122, off, s[0:3], 0 offset:436
	;; [unrolled: 1-line block ×3, first 2 shown]
	ds_read_b128 v[0:3], v4 offset:928
	v_add_f64 v[101:102], v[101:102], v[127:128]
	v_add_f64 v[103:104], v[103:104], v[123:124]
	s_waitcnt vmcnt(58) lgkmcnt(1)
	v_mul_f64 v[127:128], v[95:96], v[139:140]
	s_waitcnt vmcnt(56)
	v_fma_f64 v[135:136], v[97:98], v[141:142], -v[134:135]
	v_mul_f64 v[123:124], v[93:94], v[139:140]
	v_add_f64 v[101:102], v[101:102], v[119:120]
	v_fma_f64 v[119:120], v[99:100], v[141:142], v[178:179]
	v_add_f64 v[103:104], v[103:104], v[117:118]
	s_clause 0x4
	buffer_load_dword v118, off, s[0:3], 0 offset:476
	buffer_load_dword v139, off, s[0:3], 0 offset:488
	;; [unrolled: 1-line block ×5, first 2 shown]
	s_waitcnt vmcnt(57) lgkmcnt(0)
	v_mul_f64 v[178:179], v[0:1], v[143:144]
	v_mul_f64 v[142:143], v[2:3], v[143:144]
	s_waitcnt vmcnt(56)
	v_fma_f64 v[127:128], v[93:94], v[129:130], -v[127:128]
	ds_read_b128 v[97:100], v4 offset:944
	v_fma_f64 v[123:124], v[95:96], v[129:130], v[123:124]
	v_add_f64 v[101:102], v[101:102], v[135:136]
	v_add_f64 v[103:104], v[103:104], v[119:120]
	s_clause 0x2
	buffer_load_dword v140, off, s[0:3], 0 offset:492
	buffer_load_dword v120, off, s[0:3], 0 offset:468
	;; [unrolled: 1-line block ×3, first 2 shown]
	ds_read_b128 v[93:96], v4 offset:960
	s_waitcnt vmcnt(58) lgkmcnt(1)
	v_mul_f64 v[135:136], v[99:100], v[145:146]
	s_waitcnt vmcnt(56)
	v_fma_f64 v[143:144], v[0:1], v[147:148], -v[142:143]
	v_mul_f64 v[129:130], v[97:98], v[145:146]
	v_add_f64 v[101:102], v[101:102], v[127:128]
	v_fma_f64 v[127:128], v[2:3], v[147:148], v[178:179]
	v_add_f64 v[103:104], v[103:104], v[123:124]
	s_clause 0x4
	buffer_load_dword v124, off, s[0:3], 0 offset:508
	buffer_load_dword v145, off, s[0:3], 0 offset:520
	;; [unrolled: 1-line block ×5, first 2 shown]
	s_waitcnt vmcnt(57) lgkmcnt(0)
	v_mul_f64 v[178:179], v[93:94], v[163:164]
	v_mul_f64 v[163:164], v[95:96], v[163:164]
	s_waitcnt vmcnt(56)
	v_fma_f64 v[135:136], v[97:98], v[137:138], -v[135:136]
	ds_read_b128 v[0:3], v4 offset:976
	v_fma_f64 v[129:130], v[99:100], v[137:138], v[129:130]
	v_add_f64 v[101:102], v[101:102], v[143:144]
	v_add_f64 v[103:104], v[103:104], v[127:128]
	s_clause 0x2
	buffer_load_dword v146, off, s[0:3], 0 offset:524
	buffer_load_dword v128, off, s[0:3], 0 offset:500
	;; [unrolled: 1-line block ×3, first 2 shown]
	ds_read_b128 v[97:100], v4 offset:992
	s_waitcnt vmcnt(58) lgkmcnt(1)
	v_mul_f64 v[143:144], v[2:3], v[165:166]
	s_waitcnt vmcnt(56)
	v_fma_f64 v[163:164], v[93:94], v[170:171], -v[163:164]
	v_mul_f64 v[137:138], v[0:1], v[165:166]
	v_add_f64 v[101:102], v[101:102], v[135:136]
	v_fma_f64 v[135:136], v[95:96], v[170:171], v[178:179]
	v_add_f64 v[103:104], v[103:104], v[129:130]
	s_clause 0x4
	buffer_load_dword v130, off, s[0:3], 0 offset:540
	buffer_load_dword v165, off, s[0:3], 0 offset:552
	;; [unrolled: 1-line block ×5, first 2 shown]
	ds_read_b128 v[93:96], v4 offset:1008
	s_waitcnt vmcnt(57) lgkmcnt(1)
	v_mul_f64 v[170:171], v[97:98], v[161:162]
	v_mul_f64 v[161:162], v[99:100], v[161:162]
	s_waitcnt vmcnt(56)
	v_fma_f64 v[143:144], v[0:1], v[167:168], -v[143:144]
	v_fma_f64 v[137:138], v[2:3], v[167:168], v[137:138]
	v_add_f64 v[101:102], v[101:102], v[163:164]
	v_add_f64 v[103:104], v[103:104], v[135:136]
	s_clause 0x2
	buffer_load_dword v166, off, s[0:3], 0 offset:556
	buffer_load_dword v136, off, s[0:3], 0 offset:532
	;; [unrolled: 1-line block ×3, first 2 shown]
	ds_read_b128 v[0:3], v4 offset:1024
	s_waitcnt vmcnt(58) lgkmcnt(1)
	v_mul_f64 v[167:168], v[95:96], v[174:175]
	v_mul_f64 v[163:164], v[93:94], v[174:175]
	s_waitcnt vmcnt(56)
	v_fma_f64 v[161:162], v[97:98], v[155:156], -v[161:162]
	v_add_f64 v[101:102], v[101:102], v[143:144]
	v_fma_f64 v[143:144], v[99:100], v[155:156], v[170:171]
	v_add_f64 v[103:104], v[103:104], v[137:138]
	s_clause 0x4
	buffer_load_dword v138, off, s[0:3], 0 offset:572
	buffer_load_dword v155, off, s[0:3], 0 offset:584
	buffer_load_dword v174, off, s[0:3], 0 offset:576
	buffer_load_dword v137, off, s[0:3], 0 offset:568
	buffer_load_dword v170, off, s[0:3], 0 offset:548
	ds_read_b128 v[97:100], v4 offset:1040
	s_waitcnt vmcnt(57) lgkmcnt(1)
	v_mul_f64 v[178:179], v[0:1], v[113:114]
	v_mul_f64 v[113:114], v[2:3], v[113:114]
	s_waitcnt vmcnt(56)
	v_fma_f64 v[167:168], v[93:94], v[176:177], -v[167:168]
	v_add_f64 v[101:102], v[101:102], v[161:162]
	v_fma_f64 v[161:162], v[95:96], v[176:177], v[163:164]
	v_add_f64 v[103:104], v[103:104], v[143:144]
	s_clause 0x2
	buffer_load_dword v156, off, s[0:3], 0 offset:588
	buffer_load_dword v144, off, s[0:3], 0 offset:564
	buffer_load_dword v143, off, s[0:3], 0 offset:560
	ds_read_b128 v[93:96], v4 offset:1056
	s_waitcnt vmcnt(58) lgkmcnt(1)
	v_mul_f64 v[163:164], v[97:98], v[157:158]
	v_mul_f64 v[157:158], v[99:100], v[157:158]
	s_waitcnt vmcnt(56)
	v_fma_f64 v[113:114], v[0:1], v[107:108], -v[113:114]
	v_fma_f64 v[107:108], v[2:3], v[107:108], v[178:179]
	v_add_f64 v[101:102], v[101:102], v[167:168]
	v_add_f64 v[103:104], v[103:104], v[161:162]
	s_clause 0x4
	buffer_load_dword v162, off, s[0:3], 0 offset:604
	buffer_load_dword v167, off, s[0:3], 0 offset:616
	buffer_load_dword v171, off, s[0:3], 0 offset:608
	buffer_load_dword v161, off, s[0:3], 0 offset:600
	buffer_load_dword v175, off, s[0:3], 0 offset:580
	ds_read_b128 v[0:3], v4 offset:1072
	s_waitcnt vmcnt(57) lgkmcnt(1)
	v_mul_f64 v[176:177], v[93:94], v[149:150]
	v_mul_f64 v[149:150], v[95:96], v[149:150]
	s_waitcnt vmcnt(56)
	v_fma_f64 v[157:158], v[97:98], v[172:173], -v[157:158]
	v_add_f64 v[101:102], v[101:102], v[113:114]
	v_fma_f64 v[113:114], v[99:100], v[172:173], v[163:164]
	v_add_f64 v[103:104], v[103:104], v[107:108]
	s_clause 0x2
	buffer_load_dword v168, off, s[0:3], 0 offset:620
	buffer_load_dword v108, off, s[0:3], 0 offset:596
	buffer_load_dword v107, off, s[0:3], 0 offset:592
	ds_read_b128 v[97:100], v4 offset:1088
	s_waitcnt vmcnt(58) lgkmcnt(1)
	v_mul_f64 v[163:164], v[0:1], v[151:152]
	v_mul_f64 v[151:152], v[2:3], v[151:152]
	s_waitcnt vmcnt(56)
	v_fma_f64 v[149:150], v[93:94], v[109:110], -v[149:150]
	v_fma_f64 v[109:110], v[95:96], v[109:110], v[176:177]
	v_add_f64 v[101:102], v[101:102], v[157:158]
	;; [unrolled: 28-line block ×3, first 2 shown]
	v_add_f64 v[103:104], v[103:104], v[149:150]
	s_clause 0x4
	buffer_load_dword v150, off, s[0:3], 0 offset:668
	buffer_load_dword v151, off, s[0:3], 0 offset:680
	;; [unrolled: 1-line block ×5, first 2 shown]
	ds_read_b128 v[97:100], v4 offset:1136
	s_waitcnt vmcnt(57) lgkmcnt(1)
	v_mul_f64 v[178:179], v[0:1], v[111:112]
	v_mul_f64 v[111:112], v[2:3], v[111:112]
	s_waitcnt vmcnt(56)
	v_fma_f64 v[125:126], v[93:94], v[153:154], -v[125:126]
	v_add_f64 v[101:102], v[101:102], v[105:106]
	v_fma_f64 v[105:106], v[95:96], v[153:154], v[159:160]
	v_add_f64 v[103:104], v[103:104], v[115:116]
	s_clause 0x2
	buffer_load_dword v152, off, s[0:3], 0 offset:684
	buffer_load_dword v116, off, s[0:3], 0 offset:660
	;; [unrolled: 1-line block ×3, first 2 shown]
	s_waitcnt vmcnt(58) lgkmcnt(0)
	v_mul_f64 v[153:154], v[97:98], v[131:132]
	v_mul_f64 v[131:132], v[99:100], v[131:132]
	ds_read_b128 v[93:96], v4 offset:1152
	s_waitcnt vmcnt(56)
	v_fma_f64 v[111:112], v[0:1], v[121:122], -v[111:112]
	v_fma_f64 v[121:122], v[2:3], v[121:122], v[178:179]
	v_add_f64 v[101:102], v[101:102], v[125:126]
	v_add_f64 v[103:104], v[103:104], v[105:106]
	s_clause 0x4
	buffer_load_dword v106, off, s[0:3], 0 offset:700
	buffer_load_dword v125, off, s[0:3], 0 offset:712
	;; [unrolled: 1-line block ×5, first 2 shown]
	ds_read_b128 v[0:3], v4 offset:1168
	s_waitcnt vmcnt(57) lgkmcnt(1)
	v_mul_f64 v[178:179], v[93:94], v[117:118]
	v_mul_f64 v[117:118], v[95:96], v[117:118]
	s_waitcnt vmcnt(56)
	v_fma_f64 v[131:132], v[97:98], v[133:134], -v[131:132]
	v_add_f64 v[101:102], v[101:102], v[111:112]
	v_fma_f64 v[111:112], v[99:100], v[133:134], v[153:154]
	v_add_f64 v[103:104], v[103:104], v[121:122]
	s_clause 0x2
	buffer_load_dword v126, off, s[0:3], 0 offset:716
	buffer_load_dword v122, off, s[0:3], 0 offset:692
	;; [unrolled: 1-line block ×3, first 2 shown]
	ds_read_b128 v[97:100], v4 offset:1184
	buffer_load_dword v160, off, s[0:3], 0 offset:708
	s_waitcnt vmcnt(59) lgkmcnt(1)
	v_mul_f64 v[133:134], v[0:1], v[139:140]
	v_mul_f64 v[139:140], v[2:3], v[139:140]
	s_waitcnt vmcnt(57)
	v_fma_f64 v[117:118], v[93:94], v[119:120], -v[117:118]
	v_fma_f64 v[119:120], v[95:96], v[119:120], v[178:179]
	ds_read_b128 v[93:96], v4 offset:1200
	v_add_f64 v[101:102], v[101:102], v[131:132]
	v_add_f64 v[103:104], v[103:104], v[111:112]
	s_waitcnt vmcnt(53) lgkmcnt(1)
	v_mul_f64 v[111:112], v[97:98], v[123:124]
	v_mul_f64 v[123:124], v[99:100], v[123:124]
	s_waitcnt vmcnt(52)
	v_fma_f64 v[131:132], v[0:1], v[141:142], -v[139:140]
	v_add_f64 v[101:102], v[101:102], v[117:118]
	v_fma_f64 v[117:118], v[2:3], v[141:142], v[133:134]
	v_add_f64 v[103:104], v[103:104], v[119:120]
	ds_read_b128 v[0:3], v4 offset:1216
	s_waitcnt vmcnt(51) lgkmcnt(1)
	v_mul_f64 v[133:134], v[95:96], v[145:146]
	v_mul_f64 v[119:120], v[93:94], v[145:146]
	s_waitcnt vmcnt(49)
	v_fma_f64 v[123:124], v[97:98], v[127:128], -v[123:124]
	v_fma_f64 v[111:112], v[99:100], v[127:128], v[111:112]
	v_add_f64 v[101:102], v[101:102], v[131:132]
	v_add_f64 v[103:104], v[103:104], v[117:118]
	s_clause 0x3
	buffer_load_dword v117, off, s[0:3], 0 offset:16
	buffer_load_dword v118, off, s[0:3], 0 offset:20
	;; [unrolled: 1-line block ×4, first 2 shown]
	ds_read_b128 v[97:100], v4 offset:1232
	s_waitcnt vmcnt(49) lgkmcnt(1)
	v_mul_f64 v[131:132], v[0:1], v[129:130]
	v_mul_f64 v[129:130], v[2:3], v[129:130]
	s_waitcnt vmcnt(48)
	v_fma_f64 v[133:134], v[93:94], v[147:148], -v[133:134]
	v_fma_f64 v[119:120], v[95:96], v[147:148], v[119:120]
	ds_read_b128 v[93:96], v4 offset:1248
	v_add_f64 v[101:102], v[101:102], v[123:124]
	v_add_f64 v[103:104], v[103:104], v[111:112]
	s_waitcnt vmcnt(47) lgkmcnt(1)
	v_mul_f64 v[123:124], v[99:100], v[165:166]
	v_mul_f64 v[111:112], v[97:98], v[165:166]
	s_waitcnt vmcnt(45)
	v_fma_f64 v[129:130], v[0:1], v[135:136], -v[129:130]
	v_fma_f64 v[131:132], v[2:3], v[135:136], v[131:132]
	ds_read_b128 v[0:3], v4 offset:1264
	v_add_f64 v[101:102], v[101:102], v[133:134]
	v_add_f64 v[103:104], v[103:104], v[119:120]
	s_waitcnt vmcnt(41) lgkmcnt(1)
	v_mul_f64 v[133:134], v[95:96], v[137:138]
	s_waitcnt vmcnt(40)
	v_fma_f64 v[123:124], v[97:98], v[169:170], -v[123:124]
	v_mul_f64 v[119:120], v[93:94], v[137:138]
	v_fma_f64 v[111:112], v[99:100], v[169:170], v[111:112]
	ds_read_b128 v[97:100], v4 offset:1280
	v_add_f64 v[101:102], v[101:102], v[129:130]
	v_add_f64 v[103:104], v[103:104], v[131:132]
	s_waitcnt vmcnt(39) lgkmcnt(1)
	v_mul_f64 v[131:132], v[2:3], v[155:156]
	v_mul_f64 v[129:130], v[0:1], v[155:156]
	s_waitcnt vmcnt(37)
	v_fma_f64 v[133:134], v[93:94], v[143:144], -v[133:134]
	v_fma_f64 v[119:120], v[95:96], v[143:144], v[119:120]
	ds_read_b128 v[93:96], v4 offset:1296
	v_add_f64 v[101:102], v[101:102], v[123:124]
	v_add_f64 v[103:104], v[103:104], v[111:112]
	s_waitcnt vmcnt(33) lgkmcnt(1)
	v_mul_f64 v[123:124], v[99:100], v[161:162]
	s_waitcnt vmcnt(32)
	v_fma_f64 v[131:132], v[0:1], v[174:175], -v[131:132]
	v_mul_f64 v[111:112], v[97:98], v[161:162]
	v_fma_f64 v[129:130], v[2:3], v[174:175], v[129:130]
	ds_read_b128 v[0:3], v4 offset:1312
	v_add_f64 v[101:102], v[101:102], v[133:134]
	v_add_f64 v[103:104], v[103:104], v[119:120]
	s_waitcnt vmcnt(31) lgkmcnt(1)
	v_mul_f64 v[133:134], v[95:96], v[167:168]
	v_mul_f64 v[119:120], v[93:94], v[167:168]
	s_waitcnt vmcnt(29)
	v_fma_f64 v[123:124], v[97:98], v[107:108], -v[123:124]
	v_fma_f64 v[107:108], v[99:100], v[107:108], v[111:112]
	ds_read_b128 v[97:100], v4 offset:1328
	v_add_f64 v[101:102], v[101:102], v[131:132]
	v_add_f64 v[103:104], v[103:104], v[129:130]
	s_waitcnt vmcnt(25) lgkmcnt(1)
	v_mul_f64 v[111:112], v[0:1], v[113:114]
	v_mul_f64 v[113:114], v[2:3], v[113:114]
	s_waitcnt vmcnt(24)
	v_fma_f64 v[129:130], v[93:94], v[171:172], -v[133:134]
	v_fma_f64 v[119:120], v[95:96], v[171:172], v[119:120]
	ds_read_b128 v[93:96], v4 offset:1344
	v_add_f64 v[101:102], v[101:102], v[123:124]
	v_add_f64 v[103:104], v[103:104], v[107:108]
	s_waitcnt vmcnt(23) lgkmcnt(1)
	v_mul_f64 v[123:124], v[99:100], v[157:158]
	v_mul_f64 v[107:108], v[97:98], v[157:158]
	s_waitcnt vmcnt(21)
	v_fma_f64 v[113:114], v[0:1], v[109:110], -v[113:114]
	v_fma_f64 v[109:110], v[2:3], v[109:110], v[111:112]
	ds_read_b128 v[0:3], v4 offset:1360
	v_add_f64 v[101:102], v[101:102], v[129:130]
	v_add_f64 v[103:104], v[103:104], v[119:120]
	s_waitcnt vmcnt(17) lgkmcnt(1)
	v_mul_f64 v[119:120], v[95:96], v[149:150]
	s_waitcnt vmcnt(16)
	v_fma_f64 v[123:124], v[97:98], v[176:177], -v[123:124]
	v_mul_f64 v[111:112], v[93:94], v[149:150]
	v_fma_f64 v[107:108], v[99:100], v[176:177], v[107:108]
	ds_read_b128 v[97:100], v4 offset:1376
	v_add_f64 v[101:102], v[101:102], v[113:114]
	v_add_f64 v[103:104], v[103:104], v[109:110]
	s_waitcnt vmcnt(15) lgkmcnt(1)
	v_mul_f64 v[113:114], v[2:3], v[151:152]
	v_mul_f64 v[109:110], v[0:1], v[151:152]
	s_waitcnt vmcnt(13)
	v_fma_f64 v[119:120], v[93:94], v[115:116], -v[119:120]
	v_fma_f64 v[111:112], v[95:96], v[115:116], v[111:112]
	ds_read_b128 v[93:96], v4 offset:1392
	v_add_f64 v[101:102], v[101:102], v[123:124]
	v_add_f64 v[103:104], v[103:104], v[107:108]
	s_waitcnt vmcnt(9) lgkmcnt(1)
	v_mul_f64 v[107:108], v[97:98], v[105:106]
	v_mul_f64 v[105:106], v[99:100], v[105:106]
	s_waitcnt vmcnt(8)
	v_fma_f64 v[0:1], v[0:1], v[163:164], -v[113:114]
	v_fma_f64 v[2:3], v[2:3], v[163:164], v[109:110]
	v_add_f64 v[101:102], v[101:102], v[119:120]
	v_add_f64 v[103:104], v[103:104], v[111:112]
	s_waitcnt vmcnt(7) lgkmcnt(0)
	v_mul_f64 v[111:112], v[95:96], v[125:126]
	v_mul_f64 v[109:110], v[93:94], v[125:126]
	s_waitcnt vmcnt(5)
	v_fma_f64 v[97:98], v[97:98], v[121:122], -v[105:106]
	v_fma_f64 v[99:100], v[99:100], v[121:122], v[107:108]
	v_add_f64 v[0:1], v[101:102], v[0:1]
	v_add_f64 v[2:3], v[103:104], v[2:3]
	s_waitcnt vmcnt(4)
	v_fma_f64 v[93:94], v[93:94], v[159:160], -v[111:112]
	v_fma_f64 v[95:96], v[95:96], v[159:160], v[109:110]
	v_add_f64 v[0:1], v[0:1], v[97:98]
	v_add_f64 v[2:3], v[2:3], v[99:100]
	;; [unrolled: 1-line block ×4, first 2 shown]
	s_waitcnt vmcnt(2)
	v_add_f64 v[0:1], v[117:118], -v[0:1]
	s_waitcnt vmcnt(0)
	v_add_f64 v[2:3], v[127:128], -v[2:3]
	buffer_store_dword v1, off, s[0:3], 0 offset:20
	buffer_store_dword v0, off, s[0:3], 0 offset:16
	;; [unrolled: 1-line block ×4, first 2 shown]
	s_cbranch_vccz .LBB107_364
; %bb.278:
	global_load_dword v0, v4, s[12:13] offset:168
	s_waitcnt vmcnt(0)
	v_add_nc_u32_e32 v0, -1, v0
	v_cmp_ne_u32_e32 vcc_lo, 42, v0
	s_cbranch_vccz .LBB107_280
; %bb.279:
	v_lshlrev_b32_e32 v0, 4, v0
	v_mov_b32_e32 v1, s9
	v_add_nc_u32_e32 v0, 16, v0
	s_clause 0x7
	buffer_load_dword v2, v0, s[0:3], 0 offen
	buffer_load_dword v3, v0, s[0:3], 0 offen offset:4
	buffer_load_dword v4, v0, s[0:3], 0 offen offset:8
	;; [unrolled: 1-line block ×6, first 2 shown]
	buffer_load_dword v97, v1, s[0:3], 0 offen
	s_waitcnt vmcnt(7)
	buffer_store_dword v2, v1, s[0:3], 0 offen
	s_waitcnt vmcnt(6)
	buffer_store_dword v3, v1, s[0:3], 0 offen offset:4
	s_waitcnt vmcnt(5)
	buffer_store_dword v4, v1, s[0:3], 0 offen offset:8
	s_waitcnt vmcnt(4)
	buffer_store_dword v93, v1, s[0:3], 0 offen offset:12
	s_waitcnt vmcnt(3)
	buffer_store_dword v94, v0, s[0:3], 0 offen offset:12
	s_waitcnt vmcnt(2)
	buffer_store_dword v95, v0, s[0:3], 0 offen offset:8
	s_waitcnt vmcnt(1)
	buffer_store_dword v96, v0, s[0:3], 0 offen offset:4
	s_waitcnt vmcnt(0)
	buffer_store_dword v97, v0, s[0:3], 0 offen
.LBB107_280:
	v_mov_b32_e32 v0, 0
	global_load_dword v1, v0, s[12:13] offset:164
	s_waitcnt vmcnt(0)
	v_add_nc_u32_e32 v1, -1, v1
	v_cmp_eq_u32_e32 vcc_lo, 41, v1
	s_cbranch_vccnz .LBB107_282
; %bb.281:
	v_lshlrev_b32_e32 v1, 4, v1
	v_mov_b32_e32 v2, s14
	v_add_nc_u32_e32 v1, 16, v1
	s_clause 0x7
	buffer_load_dword v3, v1, s[0:3], 0 offen
	buffer_load_dword v4, v1, s[0:3], 0 offen offset:4
	buffer_load_dword v93, v1, s[0:3], 0 offen offset:8
	;; [unrolled: 1-line block ×6, first 2 shown]
	buffer_load_dword v98, v2, s[0:3], 0 offen
	s_waitcnt vmcnt(7)
	buffer_store_dword v3, v2, s[0:3], 0 offen
	s_waitcnt vmcnt(6)
	buffer_store_dword v4, v2, s[0:3], 0 offen offset:4
	s_waitcnt vmcnt(5)
	buffer_store_dword v93, v2, s[0:3], 0 offen offset:8
	;; [unrolled: 2-line block ×6, first 2 shown]
	s_waitcnt vmcnt(0)
	buffer_store_dword v98, v1, s[0:3], 0 offen
.LBB107_282:
	global_load_dword v0, v0, s[12:13] offset:160
	s_waitcnt vmcnt(0)
	v_add_nc_u32_e32 v0, -1, v0
	v_cmp_eq_u32_e32 vcc_lo, 40, v0
	s_cbranch_vccnz .LBB107_284
; %bb.283:
	v_lshlrev_b32_e32 v0, 4, v0
	v_mov_b32_e32 v1, s15
	v_add_nc_u32_e32 v0, 16, v0
	s_clause 0x7
	buffer_load_dword v2, v0, s[0:3], 0 offen
	buffer_load_dword v3, v0, s[0:3], 0 offen offset:4
	buffer_load_dword v4, v0, s[0:3], 0 offen offset:8
	;; [unrolled: 1-line block ×6, first 2 shown]
	buffer_load_dword v97, v1, s[0:3], 0 offen
	s_waitcnt vmcnt(7)
	buffer_store_dword v2, v1, s[0:3], 0 offen
	s_waitcnt vmcnt(6)
	buffer_store_dword v3, v1, s[0:3], 0 offen offset:4
	s_waitcnt vmcnt(5)
	buffer_store_dword v4, v1, s[0:3], 0 offen offset:8
	;; [unrolled: 2-line block ×6, first 2 shown]
	s_waitcnt vmcnt(0)
	buffer_store_dword v97, v0, s[0:3], 0 offen
.LBB107_284:
	v_mov_b32_e32 v0, 0
	global_load_dword v1, v0, s[12:13] offset:156
	s_waitcnt vmcnt(0)
	v_add_nc_u32_e32 v1, -1, v1
	v_cmp_eq_u32_e32 vcc_lo, 39, v1
	s_cbranch_vccnz .LBB107_286
; %bb.285:
	v_lshlrev_b32_e32 v1, 4, v1
	v_mov_b32_e32 v2, s16
	v_add_nc_u32_e32 v1, 16, v1
	s_clause 0x7
	buffer_load_dword v3, v1, s[0:3], 0 offen
	buffer_load_dword v4, v1, s[0:3], 0 offen offset:4
	buffer_load_dword v93, v1, s[0:3], 0 offen offset:8
	;; [unrolled: 1-line block ×6, first 2 shown]
	buffer_load_dword v98, v2, s[0:3], 0 offen
	s_waitcnt vmcnt(7)
	buffer_store_dword v3, v2, s[0:3], 0 offen
	s_waitcnt vmcnt(6)
	buffer_store_dword v4, v2, s[0:3], 0 offen offset:4
	s_waitcnt vmcnt(5)
	buffer_store_dword v93, v2, s[0:3], 0 offen offset:8
	;; [unrolled: 2-line block ×6, first 2 shown]
	s_waitcnt vmcnt(0)
	buffer_store_dword v98, v1, s[0:3], 0 offen
.LBB107_286:
	global_load_dword v0, v0, s[12:13] offset:152
	s_waitcnt vmcnt(0)
	v_add_nc_u32_e32 v0, -1, v0
	v_cmp_eq_u32_e32 vcc_lo, 38, v0
	s_cbranch_vccnz .LBB107_288
; %bb.287:
	v_lshlrev_b32_e32 v0, 4, v0
	v_mov_b32_e32 v1, s17
	v_add_nc_u32_e32 v0, 16, v0
	s_clause 0x7
	buffer_load_dword v2, v0, s[0:3], 0 offen
	buffer_load_dword v3, v0, s[0:3], 0 offen offset:4
	buffer_load_dword v4, v0, s[0:3], 0 offen offset:8
	;; [unrolled: 1-line block ×6, first 2 shown]
	buffer_load_dword v97, v1, s[0:3], 0 offen
	s_waitcnt vmcnt(7)
	buffer_store_dword v2, v1, s[0:3], 0 offen
	s_waitcnt vmcnt(6)
	buffer_store_dword v3, v1, s[0:3], 0 offen offset:4
	s_waitcnt vmcnt(5)
	buffer_store_dword v4, v1, s[0:3], 0 offen offset:8
	;; [unrolled: 2-line block ×6, first 2 shown]
	s_waitcnt vmcnt(0)
	buffer_store_dword v97, v0, s[0:3], 0 offen
.LBB107_288:
	v_mov_b32_e32 v0, 0
	global_load_dword v1, v0, s[12:13] offset:148
	s_waitcnt vmcnt(0)
	v_add_nc_u32_e32 v1, -1, v1
	v_cmp_eq_u32_e32 vcc_lo, 37, v1
	s_cbranch_vccnz .LBB107_290
; %bb.289:
	v_lshlrev_b32_e32 v1, 4, v1
	v_mov_b32_e32 v2, s18
	v_add_nc_u32_e32 v1, 16, v1
	s_clause 0x7
	buffer_load_dword v3, v1, s[0:3], 0 offen
	buffer_load_dword v4, v1, s[0:3], 0 offen offset:4
	buffer_load_dword v93, v1, s[0:3], 0 offen offset:8
	;; [unrolled: 1-line block ×6, first 2 shown]
	buffer_load_dword v98, v2, s[0:3], 0 offen
	s_waitcnt vmcnt(7)
	buffer_store_dword v3, v2, s[0:3], 0 offen
	s_waitcnt vmcnt(6)
	buffer_store_dword v4, v2, s[0:3], 0 offen offset:4
	s_waitcnt vmcnt(5)
	buffer_store_dword v93, v2, s[0:3], 0 offen offset:8
	;; [unrolled: 2-line block ×6, first 2 shown]
	s_waitcnt vmcnt(0)
	buffer_store_dword v98, v1, s[0:3], 0 offen
.LBB107_290:
	global_load_dword v0, v0, s[12:13] offset:144
	s_waitcnt vmcnt(0)
	v_add_nc_u32_e32 v0, -1, v0
	v_cmp_eq_u32_e32 vcc_lo, 36, v0
	s_cbranch_vccnz .LBB107_292
; %bb.291:
	v_lshlrev_b32_e32 v0, 4, v0
	v_mov_b32_e32 v1, s19
	v_add_nc_u32_e32 v0, 16, v0
	s_clause 0x7
	buffer_load_dword v2, v0, s[0:3], 0 offen
	buffer_load_dword v3, v0, s[0:3], 0 offen offset:4
	buffer_load_dword v4, v0, s[0:3], 0 offen offset:8
	;; [unrolled: 1-line block ×6, first 2 shown]
	buffer_load_dword v97, v1, s[0:3], 0 offen
	s_waitcnt vmcnt(7)
	buffer_store_dword v2, v1, s[0:3], 0 offen
	s_waitcnt vmcnt(6)
	buffer_store_dword v3, v1, s[0:3], 0 offen offset:4
	s_waitcnt vmcnt(5)
	buffer_store_dword v4, v1, s[0:3], 0 offen offset:8
	;; [unrolled: 2-line block ×6, first 2 shown]
	s_waitcnt vmcnt(0)
	buffer_store_dword v97, v0, s[0:3], 0 offen
.LBB107_292:
	v_mov_b32_e32 v0, 0
	global_load_dword v1, v0, s[12:13] offset:140
	s_waitcnt vmcnt(0)
	v_add_nc_u32_e32 v1, -1, v1
	v_cmp_eq_u32_e32 vcc_lo, 35, v1
	s_cbranch_vccnz .LBB107_294
; %bb.293:
	v_lshlrev_b32_e32 v1, 4, v1
	v_mov_b32_e32 v2, s20
	v_add_nc_u32_e32 v1, 16, v1
	s_clause 0x7
	buffer_load_dword v3, v1, s[0:3], 0 offen
	buffer_load_dword v4, v1, s[0:3], 0 offen offset:4
	buffer_load_dword v93, v1, s[0:3], 0 offen offset:8
	;; [unrolled: 1-line block ×6, first 2 shown]
	buffer_load_dword v98, v2, s[0:3], 0 offen
	s_waitcnt vmcnt(7)
	buffer_store_dword v3, v2, s[0:3], 0 offen
	s_waitcnt vmcnt(6)
	buffer_store_dword v4, v2, s[0:3], 0 offen offset:4
	s_waitcnt vmcnt(5)
	buffer_store_dword v93, v2, s[0:3], 0 offen offset:8
	;; [unrolled: 2-line block ×6, first 2 shown]
	s_waitcnt vmcnt(0)
	buffer_store_dword v98, v1, s[0:3], 0 offen
.LBB107_294:
	global_load_dword v0, v0, s[12:13] offset:136
	s_waitcnt vmcnt(0)
	v_add_nc_u32_e32 v0, -1, v0
	v_cmp_eq_u32_e32 vcc_lo, 34, v0
	s_cbranch_vccnz .LBB107_296
; %bb.295:
	v_lshlrev_b32_e32 v0, 4, v0
	v_mov_b32_e32 v1, s21
	v_add_nc_u32_e32 v0, 16, v0
	s_clause 0x7
	buffer_load_dword v2, v0, s[0:3], 0 offen
	buffer_load_dword v3, v0, s[0:3], 0 offen offset:4
	buffer_load_dword v4, v0, s[0:3], 0 offen offset:8
	;; [unrolled: 1-line block ×6, first 2 shown]
	buffer_load_dword v97, v1, s[0:3], 0 offen
	s_waitcnt vmcnt(7)
	buffer_store_dword v2, v1, s[0:3], 0 offen
	s_waitcnt vmcnt(6)
	buffer_store_dword v3, v1, s[0:3], 0 offen offset:4
	s_waitcnt vmcnt(5)
	buffer_store_dword v4, v1, s[0:3], 0 offen offset:8
	;; [unrolled: 2-line block ×6, first 2 shown]
	s_waitcnt vmcnt(0)
	buffer_store_dword v97, v0, s[0:3], 0 offen
.LBB107_296:
	v_mov_b32_e32 v0, 0
	global_load_dword v1, v0, s[12:13] offset:132
	s_waitcnt vmcnt(0)
	v_add_nc_u32_e32 v1, -1, v1
	v_cmp_eq_u32_e32 vcc_lo, 33, v1
	s_cbranch_vccnz .LBB107_298
; %bb.297:
	v_lshlrev_b32_e32 v1, 4, v1
	v_mov_b32_e32 v2, s22
	v_add_nc_u32_e32 v1, 16, v1
	s_clause 0x7
	buffer_load_dword v3, v1, s[0:3], 0 offen
	buffer_load_dword v4, v1, s[0:3], 0 offen offset:4
	buffer_load_dword v93, v1, s[0:3], 0 offen offset:8
	;; [unrolled: 1-line block ×6, first 2 shown]
	buffer_load_dword v98, v2, s[0:3], 0 offen
	s_waitcnt vmcnt(7)
	buffer_store_dword v3, v2, s[0:3], 0 offen
	s_waitcnt vmcnt(6)
	buffer_store_dword v4, v2, s[0:3], 0 offen offset:4
	s_waitcnt vmcnt(5)
	buffer_store_dword v93, v2, s[0:3], 0 offen offset:8
	;; [unrolled: 2-line block ×6, first 2 shown]
	s_waitcnt vmcnt(0)
	buffer_store_dword v98, v1, s[0:3], 0 offen
.LBB107_298:
	global_load_dword v0, v0, s[12:13] offset:128
	s_waitcnt vmcnt(0)
	v_add_nc_u32_e32 v0, -1, v0
	v_cmp_eq_u32_e32 vcc_lo, 32, v0
	s_cbranch_vccnz .LBB107_300
; %bb.299:
	v_lshlrev_b32_e32 v0, 4, v0
	v_mov_b32_e32 v1, s23
	v_add_nc_u32_e32 v0, 16, v0
	s_clause 0x7
	buffer_load_dword v2, v0, s[0:3], 0 offen
	buffer_load_dword v3, v0, s[0:3], 0 offen offset:4
	buffer_load_dword v4, v0, s[0:3], 0 offen offset:8
	;; [unrolled: 1-line block ×6, first 2 shown]
	buffer_load_dword v97, v1, s[0:3], 0 offen
	s_waitcnt vmcnt(7)
	buffer_store_dword v2, v1, s[0:3], 0 offen
	s_waitcnt vmcnt(6)
	buffer_store_dword v3, v1, s[0:3], 0 offen offset:4
	s_waitcnt vmcnt(5)
	buffer_store_dword v4, v1, s[0:3], 0 offen offset:8
	;; [unrolled: 2-line block ×6, first 2 shown]
	s_waitcnt vmcnt(0)
	buffer_store_dword v97, v0, s[0:3], 0 offen
.LBB107_300:
	v_mov_b32_e32 v0, 0
	global_load_dword v1, v0, s[12:13] offset:124
	s_waitcnt vmcnt(0)
	v_add_nc_u32_e32 v1, -1, v1
	v_cmp_eq_u32_e32 vcc_lo, 31, v1
	s_cbranch_vccnz .LBB107_302
; %bb.301:
	v_lshlrev_b32_e32 v1, 4, v1
	v_mov_b32_e32 v2, s24
	v_add_nc_u32_e32 v1, 16, v1
	s_clause 0x7
	buffer_load_dword v3, v1, s[0:3], 0 offen
	buffer_load_dword v4, v1, s[0:3], 0 offen offset:4
	buffer_load_dword v93, v1, s[0:3], 0 offen offset:8
	;; [unrolled: 1-line block ×6, first 2 shown]
	buffer_load_dword v98, v2, s[0:3], 0 offen
	s_waitcnt vmcnt(7)
	buffer_store_dword v3, v2, s[0:3], 0 offen
	s_waitcnt vmcnt(6)
	buffer_store_dword v4, v2, s[0:3], 0 offen offset:4
	s_waitcnt vmcnt(5)
	buffer_store_dword v93, v2, s[0:3], 0 offen offset:8
	s_waitcnt vmcnt(4)
	buffer_store_dword v94, v2, s[0:3], 0 offen offset:12
	s_waitcnt vmcnt(3)
	buffer_store_dword v95, v1, s[0:3], 0 offen offset:12
	s_waitcnt vmcnt(2)
	buffer_store_dword v96, v1, s[0:3], 0 offen offset:8
	s_waitcnt vmcnt(1)
	buffer_store_dword v97, v1, s[0:3], 0 offen offset:4
	s_waitcnt vmcnt(0)
	buffer_store_dword v98, v1, s[0:3], 0 offen
.LBB107_302:
	global_load_dword v0, v0, s[12:13] offset:120
	s_waitcnt vmcnt(0)
	v_add_nc_u32_e32 v0, -1, v0
	v_cmp_eq_u32_e32 vcc_lo, 30, v0
	s_cbranch_vccnz .LBB107_304
; %bb.303:
	v_lshlrev_b32_e32 v0, 4, v0
	v_mov_b32_e32 v1, s25
	v_add_nc_u32_e32 v0, 16, v0
	s_clause 0x7
	buffer_load_dword v2, v0, s[0:3], 0 offen
	buffer_load_dword v3, v0, s[0:3], 0 offen offset:4
	buffer_load_dword v4, v0, s[0:3], 0 offen offset:8
	;; [unrolled: 1-line block ×6, first 2 shown]
	buffer_load_dword v97, v1, s[0:3], 0 offen
	s_waitcnt vmcnt(7)
	buffer_store_dword v2, v1, s[0:3], 0 offen
	s_waitcnt vmcnt(6)
	buffer_store_dword v3, v1, s[0:3], 0 offen offset:4
	s_waitcnt vmcnt(5)
	buffer_store_dword v4, v1, s[0:3], 0 offen offset:8
	;; [unrolled: 2-line block ×6, first 2 shown]
	s_waitcnt vmcnt(0)
	buffer_store_dword v97, v0, s[0:3], 0 offen
.LBB107_304:
	v_mov_b32_e32 v0, 0
	global_load_dword v1, v0, s[12:13] offset:116
	s_waitcnt vmcnt(0)
	v_add_nc_u32_e32 v1, -1, v1
	v_cmp_eq_u32_e32 vcc_lo, 29, v1
	s_cbranch_vccnz .LBB107_306
; %bb.305:
	v_lshlrev_b32_e32 v1, 4, v1
	v_mov_b32_e32 v2, s26
	v_add_nc_u32_e32 v1, 16, v1
	s_clause 0x7
	buffer_load_dword v3, v1, s[0:3], 0 offen
	buffer_load_dword v4, v1, s[0:3], 0 offen offset:4
	buffer_load_dword v93, v1, s[0:3], 0 offen offset:8
	;; [unrolled: 1-line block ×6, first 2 shown]
	buffer_load_dword v98, v2, s[0:3], 0 offen
	s_waitcnt vmcnt(7)
	buffer_store_dword v3, v2, s[0:3], 0 offen
	s_waitcnt vmcnt(6)
	buffer_store_dword v4, v2, s[0:3], 0 offen offset:4
	s_waitcnt vmcnt(5)
	buffer_store_dword v93, v2, s[0:3], 0 offen offset:8
	;; [unrolled: 2-line block ×6, first 2 shown]
	s_waitcnt vmcnt(0)
	buffer_store_dword v98, v1, s[0:3], 0 offen
.LBB107_306:
	global_load_dword v0, v0, s[12:13] offset:112
	s_waitcnt vmcnt(0)
	v_add_nc_u32_e32 v0, -1, v0
	v_cmp_eq_u32_e32 vcc_lo, 28, v0
	s_cbranch_vccnz .LBB107_308
; %bb.307:
	v_lshlrev_b32_e32 v0, 4, v0
	v_mov_b32_e32 v1, s27
	v_add_nc_u32_e32 v0, 16, v0
	s_clause 0x7
	buffer_load_dword v2, v0, s[0:3], 0 offen
	buffer_load_dword v3, v0, s[0:3], 0 offen offset:4
	buffer_load_dword v4, v0, s[0:3], 0 offen offset:8
	;; [unrolled: 1-line block ×6, first 2 shown]
	buffer_load_dword v97, v1, s[0:3], 0 offen
	s_waitcnt vmcnt(7)
	buffer_store_dword v2, v1, s[0:3], 0 offen
	s_waitcnt vmcnt(6)
	buffer_store_dword v3, v1, s[0:3], 0 offen offset:4
	s_waitcnt vmcnt(5)
	buffer_store_dword v4, v1, s[0:3], 0 offen offset:8
	;; [unrolled: 2-line block ×6, first 2 shown]
	s_waitcnt vmcnt(0)
	buffer_store_dword v97, v0, s[0:3], 0 offen
.LBB107_308:
	v_mov_b32_e32 v0, 0
	global_load_dword v1, v0, s[12:13] offset:108
	s_waitcnt vmcnt(0)
	v_add_nc_u32_e32 v1, -1, v1
	v_cmp_eq_u32_e32 vcc_lo, 27, v1
	s_cbranch_vccnz .LBB107_310
; %bb.309:
	v_lshlrev_b32_e32 v1, 4, v1
	v_mov_b32_e32 v2, s28
	v_add_nc_u32_e32 v1, 16, v1
	s_clause 0x7
	buffer_load_dword v3, v1, s[0:3], 0 offen
	buffer_load_dword v4, v1, s[0:3], 0 offen offset:4
	buffer_load_dword v93, v1, s[0:3], 0 offen offset:8
	;; [unrolled: 1-line block ×6, first 2 shown]
	buffer_load_dword v98, v2, s[0:3], 0 offen
	s_waitcnt vmcnt(7)
	buffer_store_dword v3, v2, s[0:3], 0 offen
	s_waitcnt vmcnt(6)
	buffer_store_dword v4, v2, s[0:3], 0 offen offset:4
	s_waitcnt vmcnt(5)
	buffer_store_dword v93, v2, s[0:3], 0 offen offset:8
	;; [unrolled: 2-line block ×6, first 2 shown]
	s_waitcnt vmcnt(0)
	buffer_store_dword v98, v1, s[0:3], 0 offen
.LBB107_310:
	global_load_dword v0, v0, s[12:13] offset:104
	s_waitcnt vmcnt(0)
	v_add_nc_u32_e32 v0, -1, v0
	v_cmp_eq_u32_e32 vcc_lo, 26, v0
	s_cbranch_vccnz .LBB107_312
; %bb.311:
	v_lshlrev_b32_e32 v0, 4, v0
	v_mov_b32_e32 v1, s29
	v_add_nc_u32_e32 v0, 16, v0
	s_clause 0x7
	buffer_load_dword v2, v0, s[0:3], 0 offen
	buffer_load_dword v3, v0, s[0:3], 0 offen offset:4
	buffer_load_dword v4, v0, s[0:3], 0 offen offset:8
	;; [unrolled: 1-line block ×6, first 2 shown]
	buffer_load_dword v97, v1, s[0:3], 0 offen
	s_waitcnt vmcnt(7)
	buffer_store_dword v2, v1, s[0:3], 0 offen
	s_waitcnt vmcnt(6)
	buffer_store_dword v3, v1, s[0:3], 0 offen offset:4
	s_waitcnt vmcnt(5)
	buffer_store_dword v4, v1, s[0:3], 0 offen offset:8
	;; [unrolled: 2-line block ×6, first 2 shown]
	s_waitcnt vmcnt(0)
	buffer_store_dword v97, v0, s[0:3], 0 offen
.LBB107_312:
	v_mov_b32_e32 v0, 0
	global_load_dword v1, v0, s[12:13] offset:100
	s_waitcnt vmcnt(0)
	v_add_nc_u32_e32 v1, -1, v1
	v_cmp_eq_u32_e32 vcc_lo, 25, v1
	s_cbranch_vccnz .LBB107_314
; %bb.313:
	v_lshlrev_b32_e32 v1, 4, v1
	v_mov_b32_e32 v2, s30
	v_add_nc_u32_e32 v1, 16, v1
	s_clause 0x7
	buffer_load_dword v3, v1, s[0:3], 0 offen
	buffer_load_dword v4, v1, s[0:3], 0 offen offset:4
	buffer_load_dword v93, v1, s[0:3], 0 offen offset:8
	;; [unrolled: 1-line block ×6, first 2 shown]
	buffer_load_dword v98, v2, s[0:3], 0 offen
	s_waitcnt vmcnt(7)
	buffer_store_dword v3, v2, s[0:3], 0 offen
	s_waitcnt vmcnt(6)
	buffer_store_dword v4, v2, s[0:3], 0 offen offset:4
	s_waitcnt vmcnt(5)
	buffer_store_dword v93, v2, s[0:3], 0 offen offset:8
	;; [unrolled: 2-line block ×6, first 2 shown]
	s_waitcnt vmcnt(0)
	buffer_store_dword v98, v1, s[0:3], 0 offen
.LBB107_314:
	global_load_dword v0, v0, s[12:13] offset:96
	s_waitcnt vmcnt(0)
	v_add_nc_u32_e32 v0, -1, v0
	v_cmp_eq_u32_e32 vcc_lo, 24, v0
	s_cbranch_vccnz .LBB107_316
; %bb.315:
	v_lshlrev_b32_e32 v0, 4, v0
	v_mov_b32_e32 v1, s31
	v_add_nc_u32_e32 v0, 16, v0
	s_clause 0x7
	buffer_load_dword v2, v0, s[0:3], 0 offen
	buffer_load_dword v3, v0, s[0:3], 0 offen offset:4
	buffer_load_dword v4, v0, s[0:3], 0 offen offset:8
	;; [unrolled: 1-line block ×6, first 2 shown]
	buffer_load_dword v97, v1, s[0:3], 0 offen
	s_waitcnt vmcnt(7)
	buffer_store_dword v2, v1, s[0:3], 0 offen
	s_waitcnt vmcnt(6)
	buffer_store_dword v3, v1, s[0:3], 0 offen offset:4
	s_waitcnt vmcnt(5)
	buffer_store_dword v4, v1, s[0:3], 0 offen offset:8
	;; [unrolled: 2-line block ×6, first 2 shown]
	s_waitcnt vmcnt(0)
	buffer_store_dword v97, v0, s[0:3], 0 offen
.LBB107_316:
	v_mov_b32_e32 v0, 0
	global_load_dword v1, v0, s[12:13] offset:92
	s_waitcnt vmcnt(0)
	v_add_nc_u32_e32 v1, -1, v1
	v_cmp_eq_u32_e32 vcc_lo, 23, v1
	s_cbranch_vccnz .LBB107_318
; %bb.317:
	v_lshlrev_b32_e32 v1, 4, v1
	v_mov_b32_e32 v2, s33
	v_add_nc_u32_e32 v1, 16, v1
	s_clause 0x7
	buffer_load_dword v3, v1, s[0:3], 0 offen
	buffer_load_dword v4, v1, s[0:3], 0 offen offset:4
	buffer_load_dword v93, v1, s[0:3], 0 offen offset:8
	;; [unrolled: 1-line block ×6, first 2 shown]
	buffer_load_dword v98, v2, s[0:3], 0 offen
	s_waitcnt vmcnt(7)
	buffer_store_dword v3, v2, s[0:3], 0 offen
	s_waitcnt vmcnt(6)
	buffer_store_dword v4, v2, s[0:3], 0 offen offset:4
	s_waitcnt vmcnt(5)
	buffer_store_dword v93, v2, s[0:3], 0 offen offset:8
	;; [unrolled: 2-line block ×6, first 2 shown]
	s_waitcnt vmcnt(0)
	buffer_store_dword v98, v1, s[0:3], 0 offen
.LBB107_318:
	global_load_dword v0, v0, s[12:13] offset:88
	s_waitcnt vmcnt(0)
	v_add_nc_u32_e32 v0, -1, v0
	v_cmp_eq_u32_e32 vcc_lo, 22, v0
	s_cbranch_vccnz .LBB107_320
; %bb.319:
	v_lshlrev_b32_e32 v0, 4, v0
	v_mov_b32_e32 v1, s34
	v_add_nc_u32_e32 v0, 16, v0
	s_clause 0x7
	buffer_load_dword v2, v0, s[0:3], 0 offen
	buffer_load_dword v3, v0, s[0:3], 0 offen offset:4
	buffer_load_dword v4, v0, s[0:3], 0 offen offset:8
	;; [unrolled: 1-line block ×6, first 2 shown]
	buffer_load_dword v97, v1, s[0:3], 0 offen
	s_waitcnt vmcnt(7)
	buffer_store_dword v2, v1, s[0:3], 0 offen
	s_waitcnt vmcnt(6)
	buffer_store_dword v3, v1, s[0:3], 0 offen offset:4
	s_waitcnt vmcnt(5)
	buffer_store_dword v4, v1, s[0:3], 0 offen offset:8
	;; [unrolled: 2-line block ×6, first 2 shown]
	s_waitcnt vmcnt(0)
	buffer_store_dword v97, v0, s[0:3], 0 offen
.LBB107_320:
	v_mov_b32_e32 v0, 0
	global_load_dword v1, v0, s[12:13] offset:84
	s_waitcnt vmcnt(0)
	v_add_nc_u32_e32 v1, -1, v1
	v_cmp_eq_u32_e32 vcc_lo, 21, v1
	s_cbranch_vccnz .LBB107_322
; %bb.321:
	v_lshlrev_b32_e32 v1, 4, v1
	v_mov_b32_e32 v2, s35
	v_add_nc_u32_e32 v1, 16, v1
	s_clause 0x7
	buffer_load_dword v3, v1, s[0:3], 0 offen
	buffer_load_dword v4, v1, s[0:3], 0 offen offset:4
	buffer_load_dword v93, v1, s[0:3], 0 offen offset:8
	;; [unrolled: 1-line block ×6, first 2 shown]
	buffer_load_dword v98, v2, s[0:3], 0 offen
	s_waitcnt vmcnt(7)
	buffer_store_dword v3, v2, s[0:3], 0 offen
	s_waitcnt vmcnt(6)
	buffer_store_dword v4, v2, s[0:3], 0 offen offset:4
	s_waitcnt vmcnt(5)
	buffer_store_dword v93, v2, s[0:3], 0 offen offset:8
	;; [unrolled: 2-line block ×6, first 2 shown]
	s_waitcnt vmcnt(0)
	buffer_store_dword v98, v1, s[0:3], 0 offen
.LBB107_322:
	global_load_dword v0, v0, s[12:13] offset:80
	s_waitcnt vmcnt(0)
	v_add_nc_u32_e32 v0, -1, v0
	v_cmp_eq_u32_e32 vcc_lo, 20, v0
	s_cbranch_vccnz .LBB107_324
; %bb.323:
	v_lshlrev_b32_e32 v0, 4, v0
	v_mov_b32_e32 v1, s36
	v_add_nc_u32_e32 v0, 16, v0
	s_clause 0x7
	buffer_load_dword v2, v0, s[0:3], 0 offen
	buffer_load_dword v3, v0, s[0:3], 0 offen offset:4
	buffer_load_dword v4, v0, s[0:3], 0 offen offset:8
	;; [unrolled: 1-line block ×6, first 2 shown]
	buffer_load_dword v97, v1, s[0:3], 0 offen
	s_waitcnt vmcnt(7)
	buffer_store_dword v2, v1, s[0:3], 0 offen
	s_waitcnt vmcnt(6)
	buffer_store_dword v3, v1, s[0:3], 0 offen offset:4
	s_waitcnt vmcnt(5)
	buffer_store_dword v4, v1, s[0:3], 0 offen offset:8
	;; [unrolled: 2-line block ×6, first 2 shown]
	s_waitcnt vmcnt(0)
	buffer_store_dword v97, v0, s[0:3], 0 offen
.LBB107_324:
	v_mov_b32_e32 v0, 0
	global_load_dword v1, v0, s[12:13] offset:76
	s_waitcnt vmcnt(0)
	v_add_nc_u32_e32 v1, -1, v1
	v_cmp_eq_u32_e32 vcc_lo, 19, v1
	s_cbranch_vccnz .LBB107_326
; %bb.325:
	v_lshlrev_b32_e32 v1, 4, v1
	v_mov_b32_e32 v2, s37
	v_add_nc_u32_e32 v1, 16, v1
	s_clause 0x7
	buffer_load_dword v3, v1, s[0:3], 0 offen
	buffer_load_dword v4, v1, s[0:3], 0 offen offset:4
	buffer_load_dword v93, v1, s[0:3], 0 offen offset:8
	;; [unrolled: 1-line block ×6, first 2 shown]
	buffer_load_dword v98, v2, s[0:3], 0 offen
	s_waitcnt vmcnt(7)
	buffer_store_dword v3, v2, s[0:3], 0 offen
	s_waitcnt vmcnt(6)
	buffer_store_dword v4, v2, s[0:3], 0 offen offset:4
	s_waitcnt vmcnt(5)
	buffer_store_dword v93, v2, s[0:3], 0 offen offset:8
	;; [unrolled: 2-line block ×6, first 2 shown]
	s_waitcnt vmcnt(0)
	buffer_store_dword v98, v1, s[0:3], 0 offen
.LBB107_326:
	global_load_dword v0, v0, s[12:13] offset:72
	s_waitcnt vmcnt(0)
	v_add_nc_u32_e32 v0, -1, v0
	v_cmp_eq_u32_e32 vcc_lo, 18, v0
	s_cbranch_vccnz .LBB107_328
; %bb.327:
	v_lshlrev_b32_e32 v0, 4, v0
	v_mov_b32_e32 v1, s38
	v_add_nc_u32_e32 v0, 16, v0
	s_clause 0x7
	buffer_load_dword v2, v0, s[0:3], 0 offen
	buffer_load_dword v3, v0, s[0:3], 0 offen offset:4
	buffer_load_dword v4, v0, s[0:3], 0 offen offset:8
	;; [unrolled: 1-line block ×6, first 2 shown]
	buffer_load_dword v97, v1, s[0:3], 0 offen
	s_waitcnt vmcnt(7)
	buffer_store_dword v2, v1, s[0:3], 0 offen
	s_waitcnt vmcnt(6)
	buffer_store_dword v3, v1, s[0:3], 0 offen offset:4
	s_waitcnt vmcnt(5)
	buffer_store_dword v4, v1, s[0:3], 0 offen offset:8
	;; [unrolled: 2-line block ×6, first 2 shown]
	s_waitcnt vmcnt(0)
	buffer_store_dword v97, v0, s[0:3], 0 offen
.LBB107_328:
	v_mov_b32_e32 v0, 0
	global_load_dword v1, v0, s[12:13] offset:68
	s_waitcnt vmcnt(0)
	v_add_nc_u32_e32 v1, -1, v1
	v_cmp_eq_u32_e32 vcc_lo, 17, v1
	s_cbranch_vccnz .LBB107_330
; %bb.329:
	v_lshlrev_b32_e32 v1, 4, v1
	v_mov_b32_e32 v2, s39
	v_add_nc_u32_e32 v1, 16, v1
	s_clause 0x7
	buffer_load_dword v3, v1, s[0:3], 0 offen
	buffer_load_dword v4, v1, s[0:3], 0 offen offset:4
	buffer_load_dword v93, v1, s[0:3], 0 offen offset:8
	;; [unrolled: 1-line block ×6, first 2 shown]
	buffer_load_dword v98, v2, s[0:3], 0 offen
	s_waitcnt vmcnt(7)
	buffer_store_dword v3, v2, s[0:3], 0 offen
	s_waitcnt vmcnt(6)
	buffer_store_dword v4, v2, s[0:3], 0 offen offset:4
	s_waitcnt vmcnt(5)
	buffer_store_dword v93, v2, s[0:3], 0 offen offset:8
	;; [unrolled: 2-line block ×6, first 2 shown]
	s_waitcnt vmcnt(0)
	buffer_store_dword v98, v1, s[0:3], 0 offen
.LBB107_330:
	global_load_dword v0, v0, s[12:13] offset:64
	s_waitcnt vmcnt(0)
	v_add_nc_u32_e32 v0, -1, v0
	v_cmp_eq_u32_e32 vcc_lo, 16, v0
	s_cbranch_vccnz .LBB107_332
; %bb.331:
	v_lshlrev_b32_e32 v0, 4, v0
	v_mov_b32_e32 v1, s40
	v_add_nc_u32_e32 v0, 16, v0
	s_clause 0x7
	buffer_load_dword v2, v0, s[0:3], 0 offen
	buffer_load_dword v3, v0, s[0:3], 0 offen offset:4
	buffer_load_dword v4, v0, s[0:3], 0 offen offset:8
	;; [unrolled: 1-line block ×6, first 2 shown]
	buffer_load_dword v97, v1, s[0:3], 0 offen
	s_waitcnt vmcnt(7)
	buffer_store_dword v2, v1, s[0:3], 0 offen
	s_waitcnt vmcnt(6)
	buffer_store_dword v3, v1, s[0:3], 0 offen offset:4
	s_waitcnt vmcnt(5)
	buffer_store_dword v4, v1, s[0:3], 0 offen offset:8
	;; [unrolled: 2-line block ×6, first 2 shown]
	s_waitcnt vmcnt(0)
	buffer_store_dword v97, v0, s[0:3], 0 offen
.LBB107_332:
	v_mov_b32_e32 v0, 0
	global_load_dword v1, v0, s[12:13] offset:60
	s_waitcnt vmcnt(0)
	v_add_nc_u32_e32 v1, -1, v1
	v_cmp_eq_u32_e32 vcc_lo, 15, v1
	s_cbranch_vccnz .LBB107_334
; %bb.333:
	v_lshlrev_b32_e32 v1, 4, v1
	v_mov_b32_e32 v2, s41
	v_add_nc_u32_e32 v1, 16, v1
	s_clause 0x7
	buffer_load_dword v3, v1, s[0:3], 0 offen
	buffer_load_dword v4, v1, s[0:3], 0 offen offset:4
	buffer_load_dword v93, v1, s[0:3], 0 offen offset:8
	;; [unrolled: 1-line block ×6, first 2 shown]
	buffer_load_dword v98, v2, s[0:3], 0 offen
	s_waitcnt vmcnt(7)
	buffer_store_dword v3, v2, s[0:3], 0 offen
	s_waitcnt vmcnt(6)
	buffer_store_dword v4, v2, s[0:3], 0 offen offset:4
	s_waitcnt vmcnt(5)
	buffer_store_dword v93, v2, s[0:3], 0 offen offset:8
	;; [unrolled: 2-line block ×6, first 2 shown]
	s_waitcnt vmcnt(0)
	buffer_store_dword v98, v1, s[0:3], 0 offen
.LBB107_334:
	global_load_dword v0, v0, s[12:13] offset:56
	s_waitcnt vmcnt(0)
	v_add_nc_u32_e32 v0, -1, v0
	v_cmp_eq_u32_e32 vcc_lo, 14, v0
	s_cbranch_vccnz .LBB107_336
; %bb.335:
	v_lshlrev_b32_e32 v0, 4, v0
	v_mov_b32_e32 v1, s42
	v_add_nc_u32_e32 v0, 16, v0
	s_clause 0x7
	buffer_load_dword v2, v0, s[0:3], 0 offen
	buffer_load_dword v3, v0, s[0:3], 0 offen offset:4
	buffer_load_dword v4, v0, s[0:3], 0 offen offset:8
	;; [unrolled: 1-line block ×6, first 2 shown]
	buffer_load_dword v97, v1, s[0:3], 0 offen
	s_waitcnt vmcnt(7)
	buffer_store_dword v2, v1, s[0:3], 0 offen
	s_waitcnt vmcnt(6)
	buffer_store_dword v3, v1, s[0:3], 0 offen offset:4
	s_waitcnt vmcnt(5)
	buffer_store_dword v4, v1, s[0:3], 0 offen offset:8
	;; [unrolled: 2-line block ×6, first 2 shown]
	s_waitcnt vmcnt(0)
	buffer_store_dword v97, v0, s[0:3], 0 offen
.LBB107_336:
	v_mov_b32_e32 v0, 0
	global_load_dword v1, v0, s[12:13] offset:52
	s_waitcnt vmcnt(0)
	v_add_nc_u32_e32 v1, -1, v1
	v_cmp_eq_u32_e32 vcc_lo, 13, v1
	s_cbranch_vccnz .LBB107_338
; %bb.337:
	v_lshlrev_b32_e32 v1, 4, v1
	v_mov_b32_e32 v2, s43
	v_add_nc_u32_e32 v1, 16, v1
	s_clause 0x7
	buffer_load_dword v3, v1, s[0:3], 0 offen
	buffer_load_dword v4, v1, s[0:3], 0 offen offset:4
	buffer_load_dword v93, v1, s[0:3], 0 offen offset:8
	;; [unrolled: 1-line block ×6, first 2 shown]
	buffer_load_dword v98, v2, s[0:3], 0 offen
	s_waitcnt vmcnt(7)
	buffer_store_dword v3, v2, s[0:3], 0 offen
	s_waitcnt vmcnt(6)
	buffer_store_dword v4, v2, s[0:3], 0 offen offset:4
	s_waitcnt vmcnt(5)
	buffer_store_dword v93, v2, s[0:3], 0 offen offset:8
	;; [unrolled: 2-line block ×6, first 2 shown]
	s_waitcnt vmcnt(0)
	buffer_store_dword v98, v1, s[0:3], 0 offen
.LBB107_338:
	global_load_dword v0, v0, s[12:13] offset:48
	s_waitcnt vmcnt(0)
	v_add_nc_u32_e32 v0, -1, v0
	v_cmp_eq_u32_e32 vcc_lo, 12, v0
	s_cbranch_vccnz .LBB107_340
; %bb.339:
	v_lshlrev_b32_e32 v0, 4, v0
	v_mov_b32_e32 v1, s44
	v_add_nc_u32_e32 v0, 16, v0
	s_clause 0x7
	buffer_load_dword v2, v0, s[0:3], 0 offen
	buffer_load_dword v3, v0, s[0:3], 0 offen offset:4
	buffer_load_dword v4, v0, s[0:3], 0 offen offset:8
	;; [unrolled: 1-line block ×6, first 2 shown]
	buffer_load_dword v97, v1, s[0:3], 0 offen
	s_waitcnt vmcnt(7)
	buffer_store_dword v2, v1, s[0:3], 0 offen
	s_waitcnt vmcnt(6)
	buffer_store_dword v3, v1, s[0:3], 0 offen offset:4
	s_waitcnt vmcnt(5)
	buffer_store_dword v4, v1, s[0:3], 0 offen offset:8
	;; [unrolled: 2-line block ×6, first 2 shown]
	s_waitcnt vmcnt(0)
	buffer_store_dword v97, v0, s[0:3], 0 offen
.LBB107_340:
	v_mov_b32_e32 v0, 0
	global_load_dword v1, v0, s[12:13] offset:44
	s_waitcnt vmcnt(0)
	v_add_nc_u32_e32 v1, -1, v1
	v_cmp_eq_u32_e32 vcc_lo, 11, v1
	s_cbranch_vccnz .LBB107_342
; %bb.341:
	v_lshlrev_b32_e32 v1, 4, v1
	v_mov_b32_e32 v2, s45
	v_add_nc_u32_e32 v1, 16, v1
	s_clause 0x7
	buffer_load_dword v3, v1, s[0:3], 0 offen
	buffer_load_dword v4, v1, s[0:3], 0 offen offset:4
	buffer_load_dword v93, v1, s[0:3], 0 offen offset:8
	;; [unrolled: 1-line block ×6, first 2 shown]
	buffer_load_dword v98, v2, s[0:3], 0 offen
	s_waitcnt vmcnt(7)
	buffer_store_dword v3, v2, s[0:3], 0 offen
	s_waitcnt vmcnt(6)
	buffer_store_dword v4, v2, s[0:3], 0 offen offset:4
	s_waitcnt vmcnt(5)
	buffer_store_dword v93, v2, s[0:3], 0 offen offset:8
	;; [unrolled: 2-line block ×6, first 2 shown]
	s_waitcnt vmcnt(0)
	buffer_store_dword v98, v1, s[0:3], 0 offen
.LBB107_342:
	global_load_dword v0, v0, s[12:13] offset:40
	s_waitcnt vmcnt(0)
	v_add_nc_u32_e32 v0, -1, v0
	v_cmp_eq_u32_e32 vcc_lo, 10, v0
	s_cbranch_vccnz .LBB107_344
; %bb.343:
	v_lshlrev_b32_e32 v0, 4, v0
	v_mov_b32_e32 v1, s46
	v_add_nc_u32_e32 v0, 16, v0
	s_clause 0x7
	buffer_load_dword v2, v0, s[0:3], 0 offen
	buffer_load_dword v3, v0, s[0:3], 0 offen offset:4
	buffer_load_dword v4, v0, s[0:3], 0 offen offset:8
	;; [unrolled: 1-line block ×6, first 2 shown]
	buffer_load_dword v97, v1, s[0:3], 0 offen
	s_waitcnt vmcnt(7)
	buffer_store_dword v2, v1, s[0:3], 0 offen
	s_waitcnt vmcnt(6)
	buffer_store_dword v3, v1, s[0:3], 0 offen offset:4
	s_waitcnt vmcnt(5)
	buffer_store_dword v4, v1, s[0:3], 0 offen offset:8
	;; [unrolled: 2-line block ×6, first 2 shown]
	s_waitcnt vmcnt(0)
	buffer_store_dword v97, v0, s[0:3], 0 offen
.LBB107_344:
	v_mov_b32_e32 v0, 0
	global_load_dword v1, v0, s[12:13] offset:36
	s_waitcnt vmcnt(0)
	v_add_nc_u32_e32 v1, -1, v1
	v_cmp_eq_u32_e32 vcc_lo, 9, v1
	s_cbranch_vccnz .LBB107_346
; %bb.345:
	v_lshlrev_b32_e32 v1, 4, v1
	v_mov_b32_e32 v2, s47
	v_add_nc_u32_e32 v1, 16, v1
	s_clause 0x7
	buffer_load_dword v3, v1, s[0:3], 0 offen
	buffer_load_dword v4, v1, s[0:3], 0 offen offset:4
	buffer_load_dword v93, v1, s[0:3], 0 offen offset:8
	buffer_load_dword v94, v1, s[0:3], 0 offen offset:12
	buffer_load_dword v95, v2, s[0:3], 0 offen offset:12
	buffer_load_dword v96, v2, s[0:3], 0 offen offset:8
	buffer_load_dword v97, v2, s[0:3], 0 offen offset:4
	buffer_load_dword v98, v2, s[0:3], 0 offen
	s_waitcnt vmcnt(7)
	buffer_store_dword v3, v2, s[0:3], 0 offen
	s_waitcnt vmcnt(6)
	buffer_store_dword v4, v2, s[0:3], 0 offen offset:4
	s_waitcnt vmcnt(5)
	buffer_store_dword v93, v2, s[0:3], 0 offen offset:8
	;; [unrolled: 2-line block ×6, first 2 shown]
	s_waitcnt vmcnt(0)
	buffer_store_dword v98, v1, s[0:3], 0 offen
.LBB107_346:
	global_load_dword v0, v0, s[12:13] offset:32
	s_waitcnt vmcnt(0)
	v_add_nc_u32_e32 v0, -1, v0
	v_cmp_eq_u32_e32 vcc_lo, 8, v0
	s_cbranch_vccnz .LBB107_348
; %bb.347:
	v_lshlrev_b32_e32 v0, 4, v0
	v_mov_b32_e32 v1, s48
	v_add_nc_u32_e32 v0, 16, v0
	s_clause 0x7
	buffer_load_dword v2, v0, s[0:3], 0 offen
	buffer_load_dword v3, v0, s[0:3], 0 offen offset:4
	buffer_load_dword v4, v0, s[0:3], 0 offen offset:8
	;; [unrolled: 1-line block ×6, first 2 shown]
	buffer_load_dword v97, v1, s[0:3], 0 offen
	s_waitcnt vmcnt(7)
	buffer_store_dword v2, v1, s[0:3], 0 offen
	s_waitcnt vmcnt(6)
	buffer_store_dword v3, v1, s[0:3], 0 offen offset:4
	s_waitcnt vmcnt(5)
	buffer_store_dword v4, v1, s[0:3], 0 offen offset:8
	;; [unrolled: 2-line block ×6, first 2 shown]
	s_waitcnt vmcnt(0)
	buffer_store_dword v97, v0, s[0:3], 0 offen
.LBB107_348:
	v_mov_b32_e32 v0, 0
	global_load_dword v1, v0, s[12:13] offset:28
	s_waitcnt vmcnt(0)
	v_add_nc_u32_e32 v1, -1, v1
	v_cmp_eq_u32_e32 vcc_lo, 7, v1
	s_cbranch_vccnz .LBB107_350
; %bb.349:
	v_lshlrev_b32_e32 v1, 4, v1
	v_mov_b32_e32 v2, s49
	v_add_nc_u32_e32 v1, 16, v1
	s_clause 0x7
	buffer_load_dword v3, v1, s[0:3], 0 offen
	buffer_load_dword v4, v1, s[0:3], 0 offen offset:4
	buffer_load_dword v93, v1, s[0:3], 0 offen offset:8
	;; [unrolled: 1-line block ×6, first 2 shown]
	buffer_load_dword v98, v2, s[0:3], 0 offen
	s_waitcnt vmcnt(7)
	buffer_store_dword v3, v2, s[0:3], 0 offen
	s_waitcnt vmcnt(6)
	buffer_store_dword v4, v2, s[0:3], 0 offen offset:4
	s_waitcnt vmcnt(5)
	buffer_store_dword v93, v2, s[0:3], 0 offen offset:8
	;; [unrolled: 2-line block ×6, first 2 shown]
	s_waitcnt vmcnt(0)
	buffer_store_dword v98, v1, s[0:3], 0 offen
.LBB107_350:
	global_load_dword v0, v0, s[12:13] offset:24
	s_waitcnt vmcnt(0)
	v_add_nc_u32_e32 v0, -1, v0
	v_cmp_eq_u32_e32 vcc_lo, 6, v0
	s_cbranch_vccnz .LBB107_352
; %bb.351:
	v_lshlrev_b32_e32 v0, 4, v0
	v_mov_b32_e32 v1, s50
	v_add_nc_u32_e32 v0, 16, v0
	s_clause 0x7
	buffer_load_dword v2, v0, s[0:3], 0 offen
	buffer_load_dword v3, v0, s[0:3], 0 offen offset:4
	buffer_load_dword v4, v0, s[0:3], 0 offen offset:8
	;; [unrolled: 1-line block ×6, first 2 shown]
	buffer_load_dword v97, v1, s[0:3], 0 offen
	s_waitcnt vmcnt(7)
	buffer_store_dword v2, v1, s[0:3], 0 offen
	s_waitcnt vmcnt(6)
	buffer_store_dword v3, v1, s[0:3], 0 offen offset:4
	s_waitcnt vmcnt(5)
	buffer_store_dword v4, v1, s[0:3], 0 offen offset:8
	s_waitcnt vmcnt(4)
	buffer_store_dword v93, v1, s[0:3], 0 offen offset:12
	s_waitcnt vmcnt(3)
	buffer_store_dword v94, v0, s[0:3], 0 offen offset:12
	s_waitcnt vmcnt(2)
	buffer_store_dword v95, v0, s[0:3], 0 offen offset:8
	s_waitcnt vmcnt(1)
	buffer_store_dword v96, v0, s[0:3], 0 offen offset:4
	s_waitcnt vmcnt(0)
	buffer_store_dword v97, v0, s[0:3], 0 offen
.LBB107_352:
	v_mov_b32_e32 v0, 0
	global_load_dword v1, v0, s[12:13] offset:20
	s_waitcnt vmcnt(0)
	v_add_nc_u32_e32 v1, -1, v1
	v_cmp_eq_u32_e32 vcc_lo, 5, v1
	s_cbranch_vccnz .LBB107_354
; %bb.353:
	v_lshlrev_b32_e32 v1, 4, v1
	v_mov_b32_e32 v2, s51
	v_add_nc_u32_e32 v1, 16, v1
	s_clause 0x7
	buffer_load_dword v3, v1, s[0:3], 0 offen
	buffer_load_dword v4, v1, s[0:3], 0 offen offset:4
	buffer_load_dword v93, v1, s[0:3], 0 offen offset:8
	;; [unrolled: 1-line block ×6, first 2 shown]
	buffer_load_dword v98, v2, s[0:3], 0 offen
	s_waitcnt vmcnt(7)
	buffer_store_dword v3, v2, s[0:3], 0 offen
	s_waitcnt vmcnt(6)
	buffer_store_dword v4, v2, s[0:3], 0 offen offset:4
	s_waitcnt vmcnt(5)
	buffer_store_dword v93, v2, s[0:3], 0 offen offset:8
	;; [unrolled: 2-line block ×6, first 2 shown]
	s_waitcnt vmcnt(0)
	buffer_store_dword v98, v1, s[0:3], 0 offen
.LBB107_354:
	global_load_dword v0, v0, s[12:13] offset:16
	s_waitcnt vmcnt(0)
	v_add_nc_u32_e32 v0, -1, v0
	v_cmp_eq_u32_e32 vcc_lo, 4, v0
	s_cbranch_vccnz .LBB107_356
; %bb.355:
	v_lshlrev_b32_e32 v0, 4, v0
	v_mov_b32_e32 v1, s52
	v_add_nc_u32_e32 v0, 16, v0
	s_clause 0x7
	buffer_load_dword v2, v0, s[0:3], 0 offen
	buffer_load_dword v3, v0, s[0:3], 0 offen offset:4
	buffer_load_dword v4, v0, s[0:3], 0 offen offset:8
	;; [unrolled: 1-line block ×6, first 2 shown]
	buffer_load_dword v97, v1, s[0:3], 0 offen
	s_waitcnt vmcnt(7)
	buffer_store_dword v2, v1, s[0:3], 0 offen
	s_waitcnt vmcnt(6)
	buffer_store_dword v3, v1, s[0:3], 0 offen offset:4
	s_waitcnt vmcnt(5)
	buffer_store_dword v4, v1, s[0:3], 0 offen offset:8
	;; [unrolled: 2-line block ×6, first 2 shown]
	s_waitcnt vmcnt(0)
	buffer_store_dword v97, v0, s[0:3], 0 offen
.LBB107_356:
	v_mov_b32_e32 v0, 0
	global_load_dword v1, v0, s[12:13] offset:12
	s_waitcnt vmcnt(0)
	v_add_nc_u32_e32 v1, -1, v1
	v_cmp_eq_u32_e32 vcc_lo, 3, v1
	s_cbranch_vccnz .LBB107_358
; %bb.357:
	v_lshlrev_b32_e32 v1, 4, v1
	v_mov_b32_e32 v2, s53
	v_add_nc_u32_e32 v1, 16, v1
	s_clause 0x7
	buffer_load_dword v3, v1, s[0:3], 0 offen
	buffer_load_dword v4, v1, s[0:3], 0 offen offset:4
	buffer_load_dword v93, v1, s[0:3], 0 offen offset:8
	buffer_load_dword v94, v1, s[0:3], 0 offen offset:12
	buffer_load_dword v95, v2, s[0:3], 0 offen offset:12
	buffer_load_dword v96, v2, s[0:3], 0 offen offset:8
	buffer_load_dword v97, v2, s[0:3], 0 offen offset:4
	buffer_load_dword v98, v2, s[0:3], 0 offen
	s_waitcnt vmcnt(7)
	buffer_store_dword v3, v2, s[0:3], 0 offen
	s_waitcnt vmcnt(6)
	buffer_store_dword v4, v2, s[0:3], 0 offen offset:4
	s_waitcnt vmcnt(5)
	buffer_store_dword v93, v2, s[0:3], 0 offen offset:8
	;; [unrolled: 2-line block ×6, first 2 shown]
	s_waitcnt vmcnt(0)
	buffer_store_dword v98, v1, s[0:3], 0 offen
.LBB107_358:
	global_load_dword v0, v0, s[12:13] offset:8
	s_waitcnt vmcnt(0)
	v_add_nc_u32_e32 v0, -1, v0
	v_cmp_eq_u32_e32 vcc_lo, 2, v0
	s_cbranch_vccnz .LBB107_360
; %bb.359:
	v_lshlrev_b32_e32 v0, 4, v0
	v_mov_b32_e32 v1, s54
	v_add_nc_u32_e32 v0, 16, v0
	s_clause 0x7
	buffer_load_dword v2, v0, s[0:3], 0 offen
	buffer_load_dword v3, v0, s[0:3], 0 offen offset:4
	buffer_load_dword v4, v0, s[0:3], 0 offen offset:8
	;; [unrolled: 1-line block ×6, first 2 shown]
	buffer_load_dword v97, v1, s[0:3], 0 offen
	s_waitcnt vmcnt(7)
	buffer_store_dword v2, v1, s[0:3], 0 offen
	s_waitcnt vmcnt(6)
	buffer_store_dword v3, v1, s[0:3], 0 offen offset:4
	s_waitcnt vmcnt(5)
	buffer_store_dword v4, v1, s[0:3], 0 offen offset:8
	;; [unrolled: 2-line block ×6, first 2 shown]
	s_waitcnt vmcnt(0)
	buffer_store_dword v97, v0, s[0:3], 0 offen
.LBB107_360:
	v_mov_b32_e32 v0, 0
	global_load_dword v1, v0, s[12:13] offset:4
	s_waitcnt vmcnt(0)
	v_add_nc_u32_e32 v1, -1, v1
	v_cmp_eq_u32_e32 vcc_lo, 1, v1
	s_cbranch_vccnz .LBB107_362
; %bb.361:
	v_lshlrev_b32_e32 v1, 4, v1
	v_mov_b32_e32 v2, s55
	v_add_nc_u32_e32 v1, 16, v1
	s_clause 0x7
	buffer_load_dword v3, v1, s[0:3], 0 offen
	buffer_load_dword v4, v1, s[0:3], 0 offen offset:4
	buffer_load_dword v93, v1, s[0:3], 0 offen offset:8
	;; [unrolled: 1-line block ×6, first 2 shown]
	buffer_load_dword v98, v2, s[0:3], 0 offen
	s_waitcnt vmcnt(7)
	buffer_store_dword v3, v2, s[0:3], 0 offen
	s_waitcnt vmcnt(6)
	buffer_store_dword v4, v2, s[0:3], 0 offen offset:4
	s_waitcnt vmcnt(5)
	buffer_store_dword v93, v2, s[0:3], 0 offen offset:8
	;; [unrolled: 2-line block ×6, first 2 shown]
	s_waitcnt vmcnt(0)
	buffer_store_dword v98, v1, s[0:3], 0 offen
.LBB107_362:
	global_load_dword v0, v0, s[12:13]
	s_waitcnt vmcnt(0)
	v_add_nc_u32_e32 v0, -1, v0
	v_cmp_eq_u32_e32 vcc_lo, 0, v0
	s_cbranch_vccnz .LBB107_364
; %bb.363:
	v_lshlrev_b32_e32 v0, 4, v0
	v_add_nc_u32_e32 v0, 16, v0
	s_clause 0x7
	buffer_load_dword v1, v0, s[0:3], 0 offen
	buffer_load_dword v2, v0, s[0:3], 0 offen offset:4
	buffer_load_dword v3, v0, s[0:3], 0 offen offset:8
	;; [unrolled: 1-line block ×3, first 2 shown]
	buffer_load_dword v93, off, s[0:3], 0 offset:28
	buffer_load_dword v94, off, s[0:3], 0 offset:24
	;; [unrolled: 1-line block ×4, first 2 shown]
	s_waitcnt vmcnt(7)
	buffer_store_dword v1, off, s[0:3], 0 offset:16
	s_waitcnt vmcnt(6)
	buffer_store_dword v2, off, s[0:3], 0 offset:20
	;; [unrolled: 2-line block ×4, first 2 shown]
	s_waitcnt vmcnt(3)
	buffer_store_dword v93, v0, s[0:3], 0 offen offset:12
	s_waitcnt vmcnt(2)
	buffer_store_dword v94, v0, s[0:3], 0 offen offset:8
	s_waitcnt vmcnt(1)
	buffer_store_dword v95, v0, s[0:3], 0 offen offset:4
	s_waitcnt vmcnt(0)
	buffer_store_dword v96, v0, s[0:3], 0 offen
.LBB107_364:
	s_clause 0x3
	buffer_load_dword v0, off, s[0:3], 0 offset:16
	buffer_load_dword v1, off, s[0:3], 0 offset:20
	;; [unrolled: 1-line block ×4, first 2 shown]
	v_mov_b32_e32 v4, s55
	s_waitcnt vmcnt(0)
	flat_store_dwordx4 v[5:6], v[0:3]
	s_clause 0x3
	buffer_load_dword v0, v4, s[0:3], 0 offen
	buffer_load_dword v1, v4, s[0:3], 0 offen offset:4
	buffer_load_dword v2, v4, s[0:3], 0 offen offset:8
	buffer_load_dword v3, v4, s[0:3], 0 offen offset:12
	v_mov_b32_e32 v4, s54
	s_waitcnt vmcnt(0)
	flat_store_dwordx4 v[59:60], v[0:3]
	s_clause 0x3
	buffer_load_dword v0, v4, s[0:3], 0 offen
	buffer_load_dword v1, v4, s[0:3], 0 offen offset:4
	buffer_load_dword v2, v4, s[0:3], 0 offen offset:8
	buffer_load_dword v3, v4, s[0:3], 0 offen offset:12
	;; [unrolled: 8-line block ×43, first 2 shown]
	s_waitcnt vmcnt(0)
	flat_store_dwordx4 v[91:92], v[0:3]
	s_endpgm
	.section	.rodata,"a",@progbits
	.p2align	6, 0x0
	.amdhsa_kernel _ZN9rocsolver6v33100L18getri_kernel_smallILi44E19rocblas_complex_numIdEPKPS3_EEvT1_iilPiilS8_bb
		.amdhsa_group_segment_fixed_size 1416
		.amdhsa_private_segment_fixed_size 736
		.amdhsa_kernarg_size 60
		.amdhsa_user_sgpr_count 6
		.amdhsa_user_sgpr_private_segment_buffer 1
		.amdhsa_user_sgpr_dispatch_ptr 0
		.amdhsa_user_sgpr_queue_ptr 0
		.amdhsa_user_sgpr_kernarg_segment_ptr 1
		.amdhsa_user_sgpr_dispatch_id 0
		.amdhsa_user_sgpr_flat_scratch_init 0
		.amdhsa_user_sgpr_private_segment_size 0
		.amdhsa_wavefront_size32 1
		.amdhsa_uses_dynamic_stack 0
		.amdhsa_system_sgpr_private_segment_wavefront_offset 1
		.amdhsa_system_sgpr_workgroup_id_x 1
		.amdhsa_system_sgpr_workgroup_id_y 0
		.amdhsa_system_sgpr_workgroup_id_z 0
		.amdhsa_system_sgpr_workgroup_info 0
		.amdhsa_system_vgpr_workitem_id 0
		.amdhsa_next_free_vgpr 183
		.amdhsa_next_free_sgpr 77
		.amdhsa_reserve_vcc 1
		.amdhsa_reserve_flat_scratch 0
		.amdhsa_float_round_mode_32 0
		.amdhsa_float_round_mode_16_64 0
		.amdhsa_float_denorm_mode_32 3
		.amdhsa_float_denorm_mode_16_64 3
		.amdhsa_dx10_clamp 1
		.amdhsa_ieee_mode 1
		.amdhsa_fp16_overflow 0
		.amdhsa_workgroup_processor_mode 1
		.amdhsa_memory_ordered 1
		.amdhsa_forward_progress 1
		.amdhsa_shared_vgpr_count 0
		.amdhsa_exception_fp_ieee_invalid_op 0
		.amdhsa_exception_fp_denorm_src 0
		.amdhsa_exception_fp_ieee_div_zero 0
		.amdhsa_exception_fp_ieee_overflow 0
		.amdhsa_exception_fp_ieee_underflow 0
		.amdhsa_exception_fp_ieee_inexact 0
		.amdhsa_exception_int_div_zero 0
	.end_amdhsa_kernel
	.section	.text._ZN9rocsolver6v33100L18getri_kernel_smallILi44E19rocblas_complex_numIdEPKPS3_EEvT1_iilPiilS8_bb,"axG",@progbits,_ZN9rocsolver6v33100L18getri_kernel_smallILi44E19rocblas_complex_numIdEPKPS3_EEvT1_iilPiilS8_bb,comdat
.Lfunc_end107:
	.size	_ZN9rocsolver6v33100L18getri_kernel_smallILi44E19rocblas_complex_numIdEPKPS3_EEvT1_iilPiilS8_bb, .Lfunc_end107-_ZN9rocsolver6v33100L18getri_kernel_smallILi44E19rocblas_complex_numIdEPKPS3_EEvT1_iilPiilS8_bb
                                        ; -- End function
	.set _ZN9rocsolver6v33100L18getri_kernel_smallILi44E19rocblas_complex_numIdEPKPS3_EEvT1_iilPiilS8_bb.num_vgpr, 183
	.set _ZN9rocsolver6v33100L18getri_kernel_smallILi44E19rocblas_complex_numIdEPKPS3_EEvT1_iilPiilS8_bb.num_agpr, 0
	.set _ZN9rocsolver6v33100L18getri_kernel_smallILi44E19rocblas_complex_numIdEPKPS3_EEvT1_iilPiilS8_bb.numbered_sgpr, 77
	.set _ZN9rocsolver6v33100L18getri_kernel_smallILi44E19rocblas_complex_numIdEPKPS3_EEvT1_iilPiilS8_bb.num_named_barrier, 0
	.set _ZN9rocsolver6v33100L18getri_kernel_smallILi44E19rocblas_complex_numIdEPKPS3_EEvT1_iilPiilS8_bb.private_seg_size, 736
	.set _ZN9rocsolver6v33100L18getri_kernel_smallILi44E19rocblas_complex_numIdEPKPS3_EEvT1_iilPiilS8_bb.uses_vcc, 1
	.set _ZN9rocsolver6v33100L18getri_kernel_smallILi44E19rocblas_complex_numIdEPKPS3_EEvT1_iilPiilS8_bb.uses_flat_scratch, 0
	.set _ZN9rocsolver6v33100L18getri_kernel_smallILi44E19rocblas_complex_numIdEPKPS3_EEvT1_iilPiilS8_bb.has_dyn_sized_stack, 0
	.set _ZN9rocsolver6v33100L18getri_kernel_smallILi44E19rocblas_complex_numIdEPKPS3_EEvT1_iilPiilS8_bb.has_recursion, 0
	.set _ZN9rocsolver6v33100L18getri_kernel_smallILi44E19rocblas_complex_numIdEPKPS3_EEvT1_iilPiilS8_bb.has_indirect_call, 0
	.section	.AMDGPU.csdata,"",@progbits
; Kernel info:
; codeLenInByte = 134116
; TotalNumSgprs: 79
; NumVgprs: 183
; ScratchSize: 736
; MemoryBound: 0
; FloatMode: 240
; IeeeMode: 1
; LDSByteSize: 1416 bytes/workgroup (compile time only)
; SGPRBlocks: 0
; VGPRBlocks: 22
; NumSGPRsForWavesPerEU: 79
; NumVGPRsForWavesPerEU: 183
; Occupancy: 5
; WaveLimiterHint : 1
; COMPUTE_PGM_RSRC2:SCRATCH_EN: 1
; COMPUTE_PGM_RSRC2:USER_SGPR: 6
; COMPUTE_PGM_RSRC2:TRAP_HANDLER: 0
; COMPUTE_PGM_RSRC2:TGID_X_EN: 1
; COMPUTE_PGM_RSRC2:TGID_Y_EN: 0
; COMPUTE_PGM_RSRC2:TGID_Z_EN: 0
; COMPUTE_PGM_RSRC2:TIDIG_COMP_CNT: 0
	.section	.text._ZN9rocsolver6v33100L18getri_kernel_smallILi45E19rocblas_complex_numIdEPKPS3_EEvT1_iilPiilS8_bb,"axG",@progbits,_ZN9rocsolver6v33100L18getri_kernel_smallILi45E19rocblas_complex_numIdEPKPS3_EEvT1_iilPiilS8_bb,comdat
	.globl	_ZN9rocsolver6v33100L18getri_kernel_smallILi45E19rocblas_complex_numIdEPKPS3_EEvT1_iilPiilS8_bb ; -- Begin function _ZN9rocsolver6v33100L18getri_kernel_smallILi45E19rocblas_complex_numIdEPKPS3_EEvT1_iilPiilS8_bb
	.p2align	8
	.type	_ZN9rocsolver6v33100L18getri_kernel_smallILi45E19rocblas_complex_numIdEPKPS3_EEvT1_iilPiilS8_bb,@function
_ZN9rocsolver6v33100L18getri_kernel_smallILi45E19rocblas_complex_numIdEPKPS3_EEvT1_iilPiilS8_bb: ; @_ZN9rocsolver6v33100L18getri_kernel_smallILi45E19rocblas_complex_numIdEPKPS3_EEvT1_iilPiilS8_bb
; %bb.0:
	s_add_u32 s0, s0, s7
	s_addc_u32 s1, s1, 0
	s_mov_b32 s7, exec_lo
	v_cmpx_gt_u32_e32 45, v0
	s_cbranch_execz .LBB108_194
; %bb.1:
	s_clause 0x2
	s_load_dword s16, s[4:5], 0x38
	s_load_dwordx2 s[12:13], s[4:5], 0x0
	s_load_dwordx4 s[8:11], s[4:5], 0x28
	s_waitcnt lgkmcnt(0)
	s_bitcmp1_b32 s16, 8
	s_cselect_b32 s57, -1, 0
	s_ashr_i32 s7, s6, 31
	s_lshl_b64 s[14:15], s[6:7], 3
	s_add_u32 s12, s12, s14
	s_addc_u32 s13, s13, s15
	s_load_dwordx2 s[14:15], s[12:13], 0x0
	s_bfe_u32 s12, s16, 0x10008
	s_cmp_eq_u32 s12, 0
                                        ; implicit-def: $sgpr12_sgpr13
	s_cbranch_scc1 .LBB108_3
; %bb.2:
	s_clause 0x1
	s_load_dword s12, s[4:5], 0x20
	s_load_dwordx2 s[16:17], s[4:5], 0x18
	s_mul_i32 s13, s8, s7
	s_mul_hi_u32 s18, s8, s6
	s_mul_i32 s9, s9, s6
	s_add_i32 s13, s18, s13
	s_mul_i32 s8, s8, s6
	s_add_i32 s9, s13, s9
	s_lshl_b64 s[8:9], s[8:9], 2
	s_waitcnt lgkmcnt(0)
	s_ashr_i32 s13, s12, 31
	s_add_u32 s16, s16, s8
	s_addc_u32 s17, s17, s9
	s_lshl_b64 s[8:9], s[12:13], 2
	s_add_u32 s12, s16, s8
	s_addc_u32 s13, s17, s9
.LBB108_3:
	s_clause 0x1
	s_load_dwordx2 s[8:9], s[4:5], 0x8
	s_load_dword s58, s[4:5], 0x38
	v_lshlrev_b32_e32 v101, 4, v0
	s_movk_i32 s16, 0xa0
	s_movk_i32 s17, 0xb0
	s_movk_i32 s18, 0xc0
	s_movk_i32 s19, 0xd0
	s_movk_i32 s20, 0xe0
	s_movk_i32 s21, 0xf0
	s_movk_i32 s22, 0x100
	s_movk_i32 s23, 0x110
	s_movk_i32 s24, 0x120
	s_movk_i32 s25, 0x130
	s_movk_i32 s26, 0x140
	s_movk_i32 s27, 0x150
	s_movk_i32 s28, 0x160
	s_movk_i32 s29, 0x170
	s_movk_i32 s30, 0x180
	s_movk_i32 s31, 0x190
	s_movk_i32 s59, 0x1a0
	s_waitcnt lgkmcnt(0)
	s_ashr_i32 s5, s8, 31
	s_mov_b32 s4, s8
	v_add3_u32 v7, s9, s9, v0
	s_lshl_b64 s[4:5], s[4:5], 4
	s_movk_i32 s60, 0x1b0
	s_add_u32 s8, s14, s4
	s_addc_u32 s14, s15, s5
	v_add_co_u32 v5, s4, s8, v101
	v_add_co_ci_u32_e64 v6, null, s14, 0, s4
	s_mov_b32 s4, s9
	s_ashr_i32 s5, s9, 31
	v_ashrrev_i32_e32 v8, 31, v7
	flat_load_dwordx4 v[1:4], v[5:6]
	s_lshl_b64 s[4:5], s[4:5], 4
	s_movk_i32 s15, 0x90
	v_add_co_u32 v59, vcc_lo, v5, s4
	v_add_co_ci_u32_e64 v60, null, s5, v6, vcc_lo
	v_lshlrev_b64 v[8:9], 4, v[7:8]
	v_add_nc_u32_e32 v7, s9, v7
	s_movk_i32 s4, 0x50
	s_movk_i32 s61, 0x1c0
	;; [unrolled: 1-line block ×4, first 2 shown]
	v_add_co_u32 v57, vcc_lo, s8, v8
	v_add_co_ci_u32_e64 v58, null, s14, v9, vcc_lo
	v_ashrrev_i32_e32 v8, 31, v7
	s_movk_i32 s64, 0x1f0
	s_movk_i32 s65, 0x200
	s_movk_i32 s66, 0x210
	s_movk_i32 s67, 0x220
	v_lshlrev_b64 v[8:9], 4, v[7:8]
	v_add_nc_u32_e32 v7, s9, v7
	s_movk_i32 s68, 0x230
	s_movk_i32 s69, 0x240
	s_movk_i32 s70, 0x250
	s_movk_i32 s71, 0x260
	v_add_co_u32 v53, vcc_lo, s8, v8
	v_add_co_ci_u32_e64 v54, null, s14, v9, vcc_lo
	v_ashrrev_i32_e32 v8, 31, v7
	s_movk_i32 s72, 0x270
	s_movk_i32 s73, 0x280
	;; [unrolled: 1-line block ×4, first 2 shown]
	v_lshlrev_b64 v[8:9], 4, v[7:8]
	v_add_nc_u32_e32 v7, s9, v7
	s_movk_i32 s76, 0x2b0
	s_movk_i32 s77, 0x2c0
	s_add_i32 s52, s4, 16
	s_add_i32 s48, s15, 16
	v_add_co_u32 v51, vcc_lo, s8, v8
	v_add_co_ci_u32_e64 v52, null, s14, v9, vcc_lo
	v_ashrrev_i32_e32 v8, 31, v7
	s_add_i32 s47, s16, 16
	s_add_i32 s46, s17, 16
	s_add_i32 s45, s18, 16
	s_add_i32 s44, s19, 16
	v_lshlrev_b64 v[8:9], 4, v[7:8]
	v_add_nc_u32_e32 v7, s9, v7
	s_add_i32 s43, s20, 16
	s_add_i32 s42, s21, 16
	s_add_i32 s41, s22, 16
	s_add_i32 s40, s23, 16
	v_add_co_u32 v49, vcc_lo, s8, v8
	v_add_co_ci_u32_e64 v50, null, s14, v9, vcc_lo
	v_ashrrev_i32_e32 v8, 31, v7
	s_add_i32 s39, s24, 16
	s_add_i32 s38, s25, 16
	s_add_i32 s37, s26, 16
	s_add_i32 s36, s27, 16
	v_lshlrev_b64 v[8:9], 4, v[7:8]
	v_add_nc_u32_e32 v7, s9, v7
	s_add_i32 s35, s28, 16
	s_add_i32 s34, s29, 16
	s_add_i32 s33, s30, 16
	s_add_i32 s31, s31, 16
	v_add_co_u32 v47, vcc_lo, s8, v8
	v_add_co_ci_u32_e64 v48, null, s14, v9, vcc_lo
	v_ashrrev_i32_e32 v8, 31, v7
	s_add_i32 s30, s59, 16
	s_add_i32 s29, s60, 16
	s_add_i32 s28, s61, 16
	s_add_i32 s27, s62, 16
	v_lshlrev_b64 v[8:9], 4, v[7:8]
	v_add_nc_u32_e32 v7, s9, v7
	s_add_i32 s26, s63, 16
	s_add_i32 s25, s64, 16
	s_add_i32 s24, s65, 16
	s_add_i32 s23, s66, 16
	v_add_co_u32 v45, vcc_lo, s8, v8
	v_add_co_ci_u32_e64 v46, null, s14, v9, vcc_lo
	v_ashrrev_i32_e32 v8, 31, v7
	s_add_i32 s22, s67, 16
	s_add_i32 s21, s68, 16
	s_add_i32 s20, s69, 16
	s_add_i32 s19, s70, 16
	v_lshlrev_b64 v[8:9], 4, v[7:8]
	v_add_nc_u32_e32 v7, s9, v7
	s_add_i32 s18, s71, 16
	s_add_i32 s17, s72, 16
	s_add_i32 s16, s73, 16
	s_add_i32 s15, s74, 16
	v_add_co_u32 v43, vcc_lo, s8, v8
	v_add_co_ci_u32_e64 v44, null, s14, v9, vcc_lo
	v_ashrrev_i32_e32 v8, 31, v7
	s_mov_b32 s5, -1
	s_mov_b32 s56, 32
	s_mov_b32 s55, 48
	;; [unrolled: 1-line block ×3, first 2 shown]
	v_lshlrev_b64 v[8:9], 4, v[7:8]
	v_add_nc_u32_e32 v7, s9, v7
	s_movk_i32 s53, 0x50
	s_waitcnt vmcnt(0) lgkmcnt(0)
	buffer_store_dword v4, off, s[0:3], 0 offset:28
	buffer_store_dword v3, off, s[0:3], 0 offset:24
	buffer_store_dword v2, off, s[0:3], 0 offset:20
	buffer_store_dword v1, off, s[0:3], 0 offset:16
	flat_load_dwordx4 v[1:4], v[59:60]
	v_add_co_u32 v41, vcc_lo, s8, v8
	v_add_co_ci_u32_e64 v42, null, s14, v9, vcc_lo
	v_ashrrev_i32_e32 v8, 31, v7
	s_waitcnt vmcnt(0) lgkmcnt(0)
	buffer_store_dword v4, off, s[0:3], 0 offset:44
	buffer_store_dword v3, off, s[0:3], 0 offset:40
	buffer_store_dword v2, off, s[0:3], 0 offset:36
	buffer_store_dword v1, off, s[0:3], 0 offset:32
	flat_load_dwordx4 v[1:4], v[57:58]
	v_lshlrev_b64 v[8:9], 4, v[7:8]
	v_add_nc_u32_e32 v7, s9, v7
	s_waitcnt vmcnt(0) lgkmcnt(0)
	buffer_store_dword v4, off, s[0:3], 0 offset:60
	buffer_store_dword v3, off, s[0:3], 0 offset:56
	buffer_store_dword v2, off, s[0:3], 0 offset:52
	buffer_store_dword v1, off, s[0:3], 0 offset:48
	flat_load_dwordx4 v[1:4], v[53:54]
	v_add_co_u32 v39, vcc_lo, s8, v8
	v_add_co_ci_u32_e64 v40, null, s14, v9, vcc_lo
	v_ashrrev_i32_e32 v8, 31, v7
	s_waitcnt vmcnt(0) lgkmcnt(0)
	buffer_store_dword v4, off, s[0:3], 0 offset:76
	buffer_store_dword v3, off, s[0:3], 0 offset:72
	buffer_store_dword v2, off, s[0:3], 0 offset:68
	buffer_store_dword v1, off, s[0:3], 0 offset:64
	flat_load_dwordx4 v[1:4], v[51:52]
	v_lshlrev_b64 v[8:9], 4, v[7:8]
	v_add_nc_u32_e32 v7, s9, v7
	;; [unrolled: 17-line block ×8, first 2 shown]
	s_waitcnt vmcnt(0) lgkmcnt(0)
	buffer_store_dword v4, off, s[0:3], 0 offset:284
	buffer_store_dword v3, off, s[0:3], 0 offset:280
	;; [unrolled: 1-line block ×4, first 2 shown]
	v_add_co_u32 v23, vcc_lo, s8, v8
	v_add_co_ci_u32_e64 v24, null, s14, v9, vcc_lo
	v_ashrrev_i32_e32 v8, 31, v7
	flat_load_dwordx4 v[1:4], v[23:24]
	s_waitcnt vmcnt(0) lgkmcnt(0)
	buffer_store_dword v4, off, s[0:3], 0 offset:300
	buffer_store_dword v3, off, s[0:3], 0 offset:296
	buffer_store_dword v2, off, s[0:3], 0 offset:292
	buffer_store_dword v1, off, s[0:3], 0 offset:288
	v_lshlrev_b64 v[8:9], 4, v[7:8]
	v_add_nc_u32_e32 v7, s9, v7
	v_add_co_u32 v21, vcc_lo, s8, v8
	v_add_co_ci_u32_e64 v22, null, s14, v9, vcc_lo
	v_ashrrev_i32_e32 v8, 31, v7
	flat_load_dwordx4 v[1:4], v[21:22]
	s_waitcnt vmcnt(0) lgkmcnt(0)
	buffer_store_dword v4, off, s[0:3], 0 offset:316
	buffer_store_dword v3, off, s[0:3], 0 offset:312
	buffer_store_dword v2, off, s[0:3], 0 offset:308
	buffer_store_dword v1, off, s[0:3], 0 offset:304
	v_lshlrev_b64 v[8:9], 4, v[7:8]
	v_add_nc_u32_e32 v7, s9, v7
	;; [unrolled: 11-line block ×6, first 2 shown]
	v_add_co_u32 v11, vcc_lo, s8, v8
	v_add_co_ci_u32_e64 v12, null, s14, v9, vcc_lo
	v_ashrrev_i32_e32 v8, 31, v7
	v_add_nc_u32_e32 v35, s9, v7
	flat_load_dwordx4 v[1:4], v[11:12]
	s_waitcnt vmcnt(0) lgkmcnt(0)
	buffer_store_dword v4, off, s[0:3], 0 offset:396
	buffer_store_dword v3, off, s[0:3], 0 offset:392
	;; [unrolled: 1-line block ×4, first 2 shown]
	v_lshlrev_b64 v[9:10], 4, v[7:8]
	v_ashrrev_i32_e32 v36, 31, v35
	v_add_nc_u32_e32 v55, s9, v35
	v_add_co_u32 v9, vcc_lo, s8, v9
	v_add_co_ci_u32_e64 v10, null, s14, v10, vcc_lo
	v_lshlrev_b64 v[7:8], 4, v[35:36]
	v_ashrrev_i32_e32 v56, 31, v55
	v_add_nc_u32_e32 v61, s9, v55
	flat_load_dwordx4 v[1:4], v[9:10]
	s_waitcnt vmcnt(0) lgkmcnt(0)
	buffer_store_dword v4, off, s[0:3], 0 offset:412
	buffer_store_dword v3, off, s[0:3], 0 offset:408
	buffer_store_dword v2, off, s[0:3], 0 offset:404
	buffer_store_dword v1, off, s[0:3], 0 offset:400
	v_add_co_u32 v7, vcc_lo, s8, v7
	v_add_co_ci_u32_e64 v8, null, s14, v8, vcc_lo
	v_lshlrev_b64 v[35:36], 4, v[55:56]
	v_ashrrev_i32_e32 v62, 31, v61
	v_add_nc_u32_e32 v63, s9, v61
	flat_load_dwordx4 v[1:4], v[7:8]
	s_waitcnt vmcnt(0) lgkmcnt(0)
	buffer_store_dword v4, off, s[0:3], 0 offset:428
	buffer_store_dword v3, off, s[0:3], 0 offset:424
	buffer_store_dword v2, off, s[0:3], 0 offset:420
	buffer_store_dword v1, off, s[0:3], 0 offset:416
	;; [unrolled: 11-line block ×17, first 2 shown]
	v_add_co_u32 v87, vcc_lo, s8, v87
	v_add_co_ci_u32_e64 v88, null, s14, v88, vcc_lo
	v_lshlrev_b64 v[89:90], 4, v[91:92]
	v_ashrrev_i32_e32 v94, 31, v93
	flat_load_dwordx4 v[1:4], v[87:88]
	s_waitcnt vmcnt(0) lgkmcnt(0)
	buffer_store_dword v4, off, s[0:3], 0 offset:684
	buffer_store_dword v3, off, s[0:3], 0 offset:680
	buffer_store_dword v2, off, s[0:3], 0 offset:676
	buffer_store_dword v1, off, s[0:3], 0 offset:672
	v_add_co_u32 v89, vcc_lo, s8, v89
	v_add_co_ci_u32_e64 v90, null, s14, v90, vcc_lo
	v_lshlrev_b64 v[91:92], 4, v[93:94]
	v_add_nc_u32_e32 v93, s9, v93
	s_movk_i32 s9, 0x70
	flat_load_dwordx4 v[1:4], v[89:90]
	s_add_i32 s50, s9, 16
	s_add_i32 s9, s76, 16
	v_add_co_u32 v91, vcc_lo, s8, v91
	v_add_co_ci_u32_e64 v92, null, s14, v92, vcc_lo
	v_ashrrev_i32_e32 v94, 31, v93
	s_waitcnt vmcnt(0) lgkmcnt(0)
	buffer_store_dword v4, off, s[0:3], 0 offset:700
	buffer_store_dword v3, off, s[0:3], 0 offset:696
	;; [unrolled: 1-line block ×4, first 2 shown]
	flat_load_dwordx4 v[1:4], v[91:92]
	v_lshlrev_b64 v[93:94], 4, v[93:94]
	s_waitcnt vmcnt(0) lgkmcnt(0)
	buffer_store_dword v4, off, s[0:3], 0 offset:716
	buffer_store_dword v3, off, s[0:3], 0 offset:712
	;; [unrolled: 1-line block ×4, first 2 shown]
	v_add_co_u32 v93, vcc_lo, s8, v93
	v_add_co_ci_u32_e64 v94, null, s14, v94, vcc_lo
	s_movk_i32 s8, 0x60
	s_movk_i32 s14, 0x80
	s_add_i32 s51, s8, 16
	flat_load_dwordx4 v[1:4], v[93:94]
	s_add_i32 s49, s14, 16
	s_add_i32 s14, s75, 16
	;; [unrolled: 1-line block ×3, first 2 shown]
	s_bitcmp0_b32 s58, 0
	s_waitcnt vmcnt(0) lgkmcnt(0)
	buffer_store_dword v4, off, s[0:3], 0 offset:732
	buffer_store_dword v3, off, s[0:3], 0 offset:728
	;; [unrolled: 1-line block ×4, first 2 shown]
	s_cbranch_scc1 .LBB108_192
; %bb.4:
	v_cmp_eq_u32_e64 s4, 0, v0
	s_and_saveexec_b32 s5, s4
; %bb.5:
	v_mov_b32_e32 v1, 0
	ds_write_b32 v1, v1 offset:1440
; %bb.6:
	s_or_b32 exec_lo, exec_lo, s5
	v_lshl_add_u32 v102, v0, 4, 16
	s_waitcnt lgkmcnt(0)
	s_waitcnt_vscnt null, 0x0
	s_barrier
	buffer_gl0_inv
	s_clause 0x3
	buffer_load_dword v1, v102, s[0:3], 0 offen
	buffer_load_dword v2, v102, s[0:3], 0 offen offset:4
	buffer_load_dword v3, v102, s[0:3], 0 offen offset:8
	;; [unrolled: 1-line block ×3, first 2 shown]
	s_waitcnt vmcnt(2)
	v_cmp_eq_f64_e32 vcc_lo, 0, v[1:2]
	s_waitcnt vmcnt(0)
	v_cmp_eq_f64_e64 s5, 0, v[3:4]
	s_and_b32 s5, vcc_lo, s5
	s_and_saveexec_b32 s58, s5
	s_cbranch_execz .LBB108_10
; %bb.7:
	v_mov_b32_e32 v1, 0
	s_mov_b32 s59, 0
	ds_read_b32 v2, v1 offset:1440
	s_waitcnt lgkmcnt(0)
	v_readfirstlane_b32 s5, v2
	v_add_nc_u32_e32 v2, 1, v0
	s_cmp_eq_u32 s5, 0
	v_cmp_gt_i32_e32 vcc_lo, s5, v2
	s_cselect_b32 s60, -1, 0
	s_or_b32 s60, s60, vcc_lo
	s_and_b32 exec_lo, exec_lo, s60
	s_cbranch_execz .LBB108_10
; %bb.8:
	v_mov_b32_e32 v3, s5
.LBB108_9:                              ; =>This Inner Loop Header: Depth=1
	ds_cmpst_rtn_b32 v3, v1, v3, v2 offset:1440
	s_waitcnt lgkmcnt(0)
	v_cmp_ne_u32_e32 vcc_lo, 0, v3
	v_cmp_le_i32_e64 s5, v3, v2
	s_and_b32 s5, vcc_lo, s5
	s_and_b32 s5, exec_lo, s5
	s_or_b32 s59, s5, s59
	s_andn2_b32 exec_lo, exec_lo, s59
	s_cbranch_execnz .LBB108_9
.LBB108_10:
	s_or_b32 exec_lo, exec_lo, s58
	v_mov_b32_e32 v1, 0
	s_barrier
	buffer_gl0_inv
	ds_read_b32 v2, v1 offset:1440
	s_and_saveexec_b32 s5, s4
	s_cbranch_execz .LBB108_12
; %bb.11:
	s_lshl_b64 s[58:59], s[6:7], 2
	s_add_u32 s58, s10, s58
	s_addc_u32 s59, s11, s59
	s_waitcnt lgkmcnt(0)
	global_store_dword v1, v2, s[58:59]
.LBB108_12:
	s_or_b32 exec_lo, exec_lo, s5
	s_waitcnt lgkmcnt(0)
	v_cmp_ne_u32_e32 vcc_lo, 0, v2
	s_mov_b32 s5, 0
	s_cbranch_vccnz .LBB108_192
; %bb.13:
	s_clause 0x3
	buffer_load_dword v97, v102, s[0:3], 0 offen
	buffer_load_dword v98, v102, s[0:3], 0 offen offset:4
	buffer_load_dword v99, v102, s[0:3], 0 offen offset:8
	;; [unrolled: 1-line block ×3, first 2 shown]
                                        ; implicit-def: $vgpr95_vgpr96
                                        ; implicit-def: $vgpr3_vgpr4
	s_waitcnt vmcnt(0)
	v_cmp_ngt_f64_e64 s5, |v[97:98]|, |v[99:100]|
	s_and_saveexec_b32 s58, s5
	s_xor_b32 s5, exec_lo, s58
	s_cbranch_execz .LBB108_15
; %bb.14:
	v_div_scale_f64 v[1:2], null, v[99:100], v[99:100], v[97:98]
	v_div_scale_f64 v[103:104], vcc_lo, v[97:98], v[99:100], v[97:98]
	v_rcp_f64_e32 v[3:4], v[1:2]
	v_fma_f64 v[95:96], -v[1:2], v[3:4], 1.0
	v_fma_f64 v[3:4], v[3:4], v[95:96], v[3:4]
	v_fma_f64 v[95:96], -v[1:2], v[3:4], 1.0
	v_fma_f64 v[3:4], v[3:4], v[95:96], v[3:4]
	v_mul_f64 v[95:96], v[103:104], v[3:4]
	v_fma_f64 v[1:2], -v[1:2], v[95:96], v[103:104]
	v_div_fmas_f64 v[1:2], v[1:2], v[3:4], v[95:96]
	v_div_fixup_f64 v[1:2], v[1:2], v[99:100], v[97:98]
	v_fma_f64 v[3:4], v[97:98], v[1:2], v[99:100]
	v_div_scale_f64 v[95:96], null, v[3:4], v[3:4], 1.0
	v_div_scale_f64 v[103:104], vcc_lo, 1.0, v[3:4], 1.0
	v_rcp_f64_e32 v[97:98], v[95:96]
	v_fma_f64 v[99:100], -v[95:96], v[97:98], 1.0
	v_fma_f64 v[97:98], v[97:98], v[99:100], v[97:98]
	v_fma_f64 v[99:100], -v[95:96], v[97:98], 1.0
	v_fma_f64 v[97:98], v[97:98], v[99:100], v[97:98]
	v_mul_f64 v[99:100], v[103:104], v[97:98]
	v_fma_f64 v[95:96], -v[95:96], v[99:100], v[103:104]
	v_div_fmas_f64 v[95:96], v[95:96], v[97:98], v[99:100]
                                        ; implicit-def: $vgpr97_vgpr98
                                        ; implicit-def: $vgpr99_vgpr100
	v_div_fixup_f64 v[3:4], v[95:96], v[3:4], 1.0
	v_mul_f64 v[95:96], v[1:2], v[3:4]
	v_xor_b32_e32 v4, 0x80000000, v4
	v_xor_b32_e32 v2, 0x80000000, v96
	v_mov_b32_e32 v1, v95
.LBB108_15:
	s_andn2_saveexec_b32 s5, s5
	s_cbranch_execz .LBB108_17
; %bb.16:
	v_div_scale_f64 v[1:2], null, v[97:98], v[97:98], v[99:100]
	v_div_scale_f64 v[103:104], vcc_lo, v[99:100], v[97:98], v[99:100]
	v_rcp_f64_e32 v[3:4], v[1:2]
	v_fma_f64 v[95:96], -v[1:2], v[3:4], 1.0
	v_fma_f64 v[3:4], v[3:4], v[95:96], v[3:4]
	v_fma_f64 v[95:96], -v[1:2], v[3:4], 1.0
	v_fma_f64 v[3:4], v[3:4], v[95:96], v[3:4]
	v_mul_f64 v[95:96], v[103:104], v[3:4]
	v_fma_f64 v[1:2], -v[1:2], v[95:96], v[103:104]
	v_div_fmas_f64 v[1:2], v[1:2], v[3:4], v[95:96]
	v_div_fixup_f64 v[1:2], v[1:2], v[97:98], v[99:100]
	v_fma_f64 v[3:4], v[99:100], v[1:2], v[97:98]
	v_div_scale_f64 v[95:96], null, v[3:4], v[3:4], 1.0
	v_rcp_f64_e32 v[97:98], v[95:96]
	v_fma_f64 v[99:100], -v[95:96], v[97:98], 1.0
	v_fma_f64 v[97:98], v[97:98], v[99:100], v[97:98]
	v_fma_f64 v[99:100], -v[95:96], v[97:98], 1.0
	v_fma_f64 v[97:98], v[97:98], v[99:100], v[97:98]
	v_div_scale_f64 v[99:100], vcc_lo, 1.0, v[3:4], 1.0
	v_mul_f64 v[103:104], v[99:100], v[97:98]
	v_fma_f64 v[95:96], -v[95:96], v[103:104], v[99:100]
	v_div_fmas_f64 v[95:96], v[95:96], v[97:98], v[103:104]
	v_div_fixup_f64 v[95:96], v[95:96], v[3:4], 1.0
	v_mul_f64 v[3:4], v[1:2], -v[95:96]
	v_xor_b32_e32 v2, 0x80000000, v96
	v_mov_b32_e32 v1, v95
.LBB108_17:
	s_or_b32 exec_lo, exec_lo, s5
	v_mov_b32_e32 v100, s56
	buffer_store_dword v96, v102, s[0:3], 0 offen offset:4
	buffer_store_dword v95, v102, s[0:3], 0 offen
	buffer_store_dword v4, v102, s[0:3], 0 offen offset:12
	buffer_store_dword v3, v102, s[0:3], 0 offen offset:8
	v_xor_b32_e32 v4, 0x80000000, v4
	v_add_nc_u32_e32 v95, 0x2d0, v101
	s_clause 0x3
	buffer_load_dword v99, v100, s[0:3], 0 offen offset:12
	buffer_load_dword v98, v100, s[0:3], 0 offen offset:8
	;; [unrolled: 1-line block ×3, first 2 shown]
	buffer_load_dword v96, v100, s[0:3], 0 offen
	ds_write_b128 v101, v[1:4]
	s_waitcnt vmcnt(0)
	ds_write_b128 v101, v[96:99] offset:720
	s_waitcnt lgkmcnt(0)
	s_waitcnt_vscnt null, 0x0
	s_barrier
	buffer_gl0_inv
	s_and_saveexec_b32 s5, s4
	s_cbranch_execz .LBB108_19
; %bb.18:
	s_clause 0x3
	buffer_load_dword v103, v102, s[0:3], 0 offen offset:8
	buffer_load_dword v104, v102, s[0:3], 0 offen offset:12
	buffer_load_dword v105, v102, s[0:3], 0 offen
	buffer_load_dword v106, v102, s[0:3], 0 offen offset:4
	ds_read_b128 v[1:4], v95
	v_mov_b32_e32 v96, 0
	ds_read_b128 v[96:99], v96 offset:16
	s_waitcnt vmcnt(2) lgkmcnt(1)
	v_mul_f64 v[107:108], v[1:2], v[103:104]
	v_mul_f64 v[103:104], v[3:4], v[103:104]
	s_waitcnt vmcnt(0)
	v_fma_f64 v[3:4], v[3:4], v[105:106], v[107:108]
	v_fma_f64 v[1:2], v[1:2], v[105:106], -v[103:104]
	v_add_f64 v[3:4], v[3:4], 0
	v_add_f64 v[1:2], v[1:2], 0
	s_waitcnt lgkmcnt(0)
	v_mul_f64 v[103:104], v[3:4], v[98:99]
	v_mul_f64 v[98:99], v[1:2], v[98:99]
	v_fma_f64 v[1:2], v[1:2], v[96:97], -v[103:104]
	v_fma_f64 v[3:4], v[3:4], v[96:97], v[98:99]
	buffer_store_dword v1, off, s[0:3], 0 offset:32
	buffer_store_dword v2, off, s[0:3], 0 offset:36
	;; [unrolled: 1-line block ×4, first 2 shown]
.LBB108_19:
	s_or_b32 exec_lo, exec_lo, s5
	v_mov_b32_e32 v4, s55
	s_waitcnt_vscnt null, 0x0
	s_barrier
	buffer_gl0_inv
	s_mov_b32 s5, exec_lo
	s_clause 0x3
	buffer_load_dword v1, v4, s[0:3], 0 offen
	buffer_load_dword v2, v4, s[0:3], 0 offen offset:4
	buffer_load_dword v3, v4, s[0:3], 0 offen offset:8
	;; [unrolled: 1-line block ×3, first 2 shown]
	s_waitcnt vmcnt(0)
	ds_write_b128 v95, v[1:4]
	s_waitcnt lgkmcnt(0)
	s_barrier
	buffer_gl0_inv
	v_cmpx_gt_u32_e32 2, v0
	s_cbranch_execz .LBB108_23
; %bb.20:
	s_clause 0x3
	buffer_load_dword v96, v102, s[0:3], 0 offen offset:8
	buffer_load_dword v97, v102, s[0:3], 0 offen offset:12
	buffer_load_dword v98, v102, s[0:3], 0 offen
	buffer_load_dword v99, v102, s[0:3], 0 offen offset:4
	ds_read_b128 v[1:4], v95
	s_waitcnt vmcnt(2) lgkmcnt(0)
	v_mul_f64 v[102:103], v[3:4], v[96:97]
	v_mul_f64 v[96:97], v[1:2], v[96:97]
	s_waitcnt vmcnt(0)
	v_fma_f64 v[1:2], v[1:2], v[98:99], -v[102:103]
	v_fma_f64 v[3:4], v[3:4], v[98:99], v[96:97]
	v_add_f64 v[1:2], v[1:2], 0
	v_add_f64 v[3:4], v[3:4], 0
	s_and_saveexec_b32 s58, s4
	s_cbranch_execz .LBB108_22
; %bb.21:
	s_clause 0x3
	buffer_load_dword v102, off, s[0:3], 0 offset:40
	buffer_load_dword v103, off, s[0:3], 0 offset:44
	;; [unrolled: 1-line block ×4, first 2 shown]
	v_mov_b32_e32 v96, 0
	ds_read_b128 v[96:99], v96 offset:736
	s_waitcnt vmcnt(2) lgkmcnt(0)
	v_mul_f64 v[106:107], v[96:97], v[102:103]
	v_mul_f64 v[102:103], v[98:99], v[102:103]
	s_waitcnt vmcnt(0)
	v_fma_f64 v[98:99], v[98:99], v[104:105], v[106:107]
	v_fma_f64 v[96:97], v[96:97], v[104:105], -v[102:103]
	v_add_f64 v[3:4], v[3:4], v[98:99]
	v_add_f64 v[1:2], v[1:2], v[96:97]
.LBB108_22:
	s_or_b32 exec_lo, exec_lo, s58
	v_mov_b32_e32 v96, 0
	ds_read_b128 v[96:99], v96 offset:32
	s_waitcnt lgkmcnt(0)
	v_mul_f64 v[102:103], v[3:4], v[98:99]
	v_mul_f64 v[98:99], v[1:2], v[98:99]
	v_fma_f64 v[1:2], v[1:2], v[96:97], -v[102:103]
	v_fma_f64 v[3:4], v[3:4], v[96:97], v[98:99]
	buffer_store_dword v2, off, s[0:3], 0 offset:52
	buffer_store_dword v1, off, s[0:3], 0 offset:48
	;; [unrolled: 1-line block ×4, first 2 shown]
.LBB108_23:
	s_or_b32 exec_lo, exec_lo, s5
	v_mov_b32_e32 v4, s54
	s_waitcnt_vscnt null, 0x0
	s_barrier
	buffer_gl0_inv
	v_add_nc_u32_e32 v96, -1, v0
	s_clause 0x3
	buffer_load_dword v1, v4, s[0:3], 0 offen
	buffer_load_dword v2, v4, s[0:3], 0 offen offset:4
	buffer_load_dword v3, v4, s[0:3], 0 offen offset:8
	;; [unrolled: 1-line block ×3, first 2 shown]
	s_mov_b32 s4, exec_lo
	s_waitcnt vmcnt(0)
	ds_write_b128 v95, v[1:4]
	s_waitcnt lgkmcnt(0)
	s_barrier
	buffer_gl0_inv
	v_cmpx_gt_u32_e32 3, v0
	s_cbranch_execz .LBB108_27
; %bb.24:
	v_mov_b32_e32 v1, 0
	v_mov_b32_e32 v3, 0
	v_add_nc_u32_e32 v97, -1, v0
	v_add_nc_u32_e32 v98, 0x2d0, v101
	v_mov_b32_e32 v2, 0
	v_mov_b32_e32 v4, 0
	v_add_nc_u32_e32 v99, 16, v101
	s_mov_b32 s5, 0
	.p2align	6
.LBB108_25:                             ; =>This Inner Loop Header: Depth=1
	s_clause 0x3
	buffer_load_dword v106, v99, s[0:3], 0 offen offset:8
	buffer_load_dword v107, v99, s[0:3], 0 offen offset:12
	buffer_load_dword v108, v99, s[0:3], 0 offen
	buffer_load_dword v109, v99, s[0:3], 0 offen offset:4
	ds_read_b128 v[102:105], v98
	v_add_nc_u32_e32 v97, 1, v97
	v_add_nc_u32_e32 v98, 16, v98
	;; [unrolled: 1-line block ×3, first 2 shown]
	v_cmp_lt_u32_e32 vcc_lo, 1, v97
	s_or_b32 s5, vcc_lo, s5
	s_waitcnt vmcnt(2) lgkmcnt(0)
	v_mul_f64 v[110:111], v[104:105], v[106:107]
	v_mul_f64 v[106:107], v[102:103], v[106:107]
	s_waitcnt vmcnt(0)
	v_fma_f64 v[102:103], v[102:103], v[108:109], -v[110:111]
	v_fma_f64 v[104:105], v[104:105], v[108:109], v[106:107]
	v_add_f64 v[3:4], v[3:4], v[102:103]
	v_add_f64 v[1:2], v[1:2], v[104:105]
	s_andn2_b32 exec_lo, exec_lo, s5
	s_cbranch_execnz .LBB108_25
; %bb.26:
	s_or_b32 exec_lo, exec_lo, s5
	v_mov_b32_e32 v97, 0
	ds_read_b128 v[97:100], v97 offset:48
	s_waitcnt lgkmcnt(0)
	v_mul_f64 v[102:103], v[1:2], v[99:100]
	v_mul_f64 v[99:100], v[3:4], v[99:100]
	v_fma_f64 v[3:4], v[3:4], v[97:98], -v[102:103]
	v_fma_f64 v[1:2], v[1:2], v[97:98], v[99:100]
	buffer_store_dword v4, off, s[0:3], 0 offset:68
	buffer_store_dword v3, off, s[0:3], 0 offset:64
	;; [unrolled: 1-line block ×4, first 2 shown]
.LBB108_27:
	s_or_b32 exec_lo, exec_lo, s4
	v_mov_b32_e32 v4, s53
	s_waitcnt_vscnt null, 0x0
	s_barrier
	buffer_gl0_inv
	s_mov_b32 s4, exec_lo
	s_clause 0x3
	buffer_load_dword v1, v4, s[0:3], 0 offen
	buffer_load_dword v2, v4, s[0:3], 0 offen offset:4
	buffer_load_dword v3, v4, s[0:3], 0 offen offset:8
	;; [unrolled: 1-line block ×3, first 2 shown]
	s_waitcnt vmcnt(0)
	ds_write_b128 v95, v[1:4]
	s_waitcnt lgkmcnt(0)
	s_barrier
	buffer_gl0_inv
	v_cmpx_gt_u32_e32 4, v0
	s_cbranch_execz .LBB108_31
; %bb.28:
	v_mov_b32_e32 v1, 0
	v_mov_b32_e32 v3, 0
	v_add_nc_u32_e32 v97, -1, v0
	v_add_nc_u32_e32 v98, 0x2d0, v101
	v_mov_b32_e32 v2, 0
	v_mov_b32_e32 v4, 0
	v_add_nc_u32_e32 v99, 16, v101
	s_mov_b32 s5, 0
	.p2align	6
.LBB108_29:                             ; =>This Inner Loop Header: Depth=1
	s_clause 0x3
	buffer_load_dword v106, v99, s[0:3], 0 offen offset:8
	buffer_load_dword v107, v99, s[0:3], 0 offen offset:12
	buffer_load_dword v108, v99, s[0:3], 0 offen
	buffer_load_dword v109, v99, s[0:3], 0 offen offset:4
	ds_read_b128 v[102:105], v98
	v_add_nc_u32_e32 v97, 1, v97
	v_add_nc_u32_e32 v98, 16, v98
	;; [unrolled: 1-line block ×3, first 2 shown]
	v_cmp_lt_u32_e32 vcc_lo, 2, v97
	s_or_b32 s5, vcc_lo, s5
	s_waitcnt vmcnt(2) lgkmcnt(0)
	v_mul_f64 v[110:111], v[104:105], v[106:107]
	v_mul_f64 v[106:107], v[102:103], v[106:107]
	s_waitcnt vmcnt(0)
	v_fma_f64 v[102:103], v[102:103], v[108:109], -v[110:111]
	v_fma_f64 v[104:105], v[104:105], v[108:109], v[106:107]
	v_add_f64 v[3:4], v[3:4], v[102:103]
	v_add_f64 v[1:2], v[1:2], v[104:105]
	s_andn2_b32 exec_lo, exec_lo, s5
	s_cbranch_execnz .LBB108_29
; %bb.30:
	s_or_b32 exec_lo, exec_lo, s5
	v_mov_b32_e32 v97, 0
	ds_read_b128 v[97:100], v97 offset:64
	s_waitcnt lgkmcnt(0)
	v_mul_f64 v[102:103], v[1:2], v[99:100]
	v_mul_f64 v[99:100], v[3:4], v[99:100]
	v_fma_f64 v[3:4], v[3:4], v[97:98], -v[102:103]
	v_fma_f64 v[1:2], v[1:2], v[97:98], v[99:100]
	buffer_store_dword v4, off, s[0:3], 0 offset:84
	buffer_store_dword v3, off, s[0:3], 0 offset:80
	buffer_store_dword v2, off, s[0:3], 0 offset:92
	buffer_store_dword v1, off, s[0:3], 0 offset:88
.LBB108_31:
	s_or_b32 exec_lo, exec_lo, s4
	v_mov_b32_e32 v4, s52
	s_waitcnt_vscnt null, 0x0
	s_barrier
	buffer_gl0_inv
	s_mov_b32 s4, exec_lo
	s_clause 0x3
	buffer_load_dword v1, v4, s[0:3], 0 offen
	buffer_load_dword v2, v4, s[0:3], 0 offen offset:4
	buffer_load_dword v3, v4, s[0:3], 0 offen offset:8
	;; [unrolled: 1-line block ×3, first 2 shown]
	s_waitcnt vmcnt(0)
	ds_write_b128 v95, v[1:4]
	s_waitcnt lgkmcnt(0)
	s_barrier
	buffer_gl0_inv
	v_cmpx_gt_u32_e32 5, v0
	s_cbranch_execz .LBB108_35
; %bb.32:
	v_mov_b32_e32 v1, 0
	v_mov_b32_e32 v3, 0
	v_add_nc_u32_e32 v97, -1, v0
	v_add_nc_u32_e32 v98, 0x2d0, v101
	v_mov_b32_e32 v2, 0
	v_mov_b32_e32 v4, 0
	v_add_nc_u32_e32 v99, 16, v101
	s_mov_b32 s5, 0
	.p2align	6
.LBB108_33:                             ; =>This Inner Loop Header: Depth=1
	s_clause 0x3
	buffer_load_dword v106, v99, s[0:3], 0 offen offset:8
	buffer_load_dword v107, v99, s[0:3], 0 offen offset:12
	buffer_load_dword v108, v99, s[0:3], 0 offen
	buffer_load_dword v109, v99, s[0:3], 0 offen offset:4
	ds_read_b128 v[102:105], v98
	v_add_nc_u32_e32 v97, 1, v97
	v_add_nc_u32_e32 v98, 16, v98
	;; [unrolled: 1-line block ×3, first 2 shown]
	v_cmp_lt_u32_e32 vcc_lo, 3, v97
	s_or_b32 s5, vcc_lo, s5
	s_waitcnt vmcnt(2) lgkmcnt(0)
	v_mul_f64 v[110:111], v[104:105], v[106:107]
	v_mul_f64 v[106:107], v[102:103], v[106:107]
	s_waitcnt vmcnt(0)
	v_fma_f64 v[102:103], v[102:103], v[108:109], -v[110:111]
	v_fma_f64 v[104:105], v[104:105], v[108:109], v[106:107]
	v_add_f64 v[3:4], v[3:4], v[102:103]
	v_add_f64 v[1:2], v[1:2], v[104:105]
	s_andn2_b32 exec_lo, exec_lo, s5
	s_cbranch_execnz .LBB108_33
; %bb.34:
	s_or_b32 exec_lo, exec_lo, s5
	v_mov_b32_e32 v97, 0
	ds_read_b128 v[97:100], v97 offset:80
	s_waitcnt lgkmcnt(0)
	v_mul_f64 v[102:103], v[1:2], v[99:100]
	v_mul_f64 v[99:100], v[3:4], v[99:100]
	v_fma_f64 v[3:4], v[3:4], v[97:98], -v[102:103]
	v_fma_f64 v[1:2], v[1:2], v[97:98], v[99:100]
	buffer_store_dword v4, off, s[0:3], 0 offset:100
	buffer_store_dword v3, off, s[0:3], 0 offset:96
	;; [unrolled: 1-line block ×4, first 2 shown]
.LBB108_35:
	s_or_b32 exec_lo, exec_lo, s4
	v_mov_b32_e32 v4, s51
	s_waitcnt_vscnt null, 0x0
	s_barrier
	buffer_gl0_inv
	s_mov_b32 s4, exec_lo
	s_clause 0x3
	buffer_load_dword v1, v4, s[0:3], 0 offen
	buffer_load_dword v2, v4, s[0:3], 0 offen offset:4
	buffer_load_dword v3, v4, s[0:3], 0 offen offset:8
	;; [unrolled: 1-line block ×3, first 2 shown]
	s_waitcnt vmcnt(0)
	ds_write_b128 v95, v[1:4]
	s_waitcnt lgkmcnt(0)
	s_barrier
	buffer_gl0_inv
	v_cmpx_gt_u32_e32 6, v0
	s_cbranch_execz .LBB108_39
; %bb.36:
	v_mov_b32_e32 v1, 0
	v_mov_b32_e32 v3, 0
	v_add_nc_u32_e32 v97, -1, v0
	v_add_nc_u32_e32 v98, 0x2d0, v101
	v_mov_b32_e32 v2, 0
	v_mov_b32_e32 v4, 0
	v_add_nc_u32_e32 v99, 16, v101
	s_mov_b32 s5, 0
	.p2align	6
.LBB108_37:                             ; =>This Inner Loop Header: Depth=1
	s_clause 0x3
	buffer_load_dword v106, v99, s[0:3], 0 offen offset:8
	buffer_load_dword v107, v99, s[0:3], 0 offen offset:12
	buffer_load_dword v108, v99, s[0:3], 0 offen
	buffer_load_dword v109, v99, s[0:3], 0 offen offset:4
	ds_read_b128 v[102:105], v98
	v_add_nc_u32_e32 v97, 1, v97
	v_add_nc_u32_e32 v98, 16, v98
	;; [unrolled: 1-line block ×3, first 2 shown]
	v_cmp_lt_u32_e32 vcc_lo, 4, v97
	s_or_b32 s5, vcc_lo, s5
	s_waitcnt vmcnt(2) lgkmcnt(0)
	v_mul_f64 v[110:111], v[104:105], v[106:107]
	v_mul_f64 v[106:107], v[102:103], v[106:107]
	s_waitcnt vmcnt(0)
	v_fma_f64 v[102:103], v[102:103], v[108:109], -v[110:111]
	v_fma_f64 v[104:105], v[104:105], v[108:109], v[106:107]
	v_add_f64 v[3:4], v[3:4], v[102:103]
	v_add_f64 v[1:2], v[1:2], v[104:105]
	s_andn2_b32 exec_lo, exec_lo, s5
	s_cbranch_execnz .LBB108_37
; %bb.38:
	s_or_b32 exec_lo, exec_lo, s5
	v_mov_b32_e32 v97, 0
	ds_read_b128 v[97:100], v97 offset:96
	s_waitcnt lgkmcnt(0)
	v_mul_f64 v[102:103], v[1:2], v[99:100]
	v_mul_f64 v[99:100], v[3:4], v[99:100]
	v_fma_f64 v[3:4], v[3:4], v[97:98], -v[102:103]
	v_fma_f64 v[1:2], v[1:2], v[97:98], v[99:100]
	buffer_store_dword v4, off, s[0:3], 0 offset:116
	buffer_store_dword v3, off, s[0:3], 0 offset:112
	;; [unrolled: 1-line block ×4, first 2 shown]
.LBB108_39:
	s_or_b32 exec_lo, exec_lo, s4
	v_mov_b32_e32 v4, s50
	s_waitcnt_vscnt null, 0x0
	s_barrier
	buffer_gl0_inv
	s_mov_b32 s4, exec_lo
	s_clause 0x3
	buffer_load_dword v1, v4, s[0:3], 0 offen
	buffer_load_dword v2, v4, s[0:3], 0 offen offset:4
	buffer_load_dword v3, v4, s[0:3], 0 offen offset:8
	;; [unrolled: 1-line block ×3, first 2 shown]
	s_waitcnt vmcnt(0)
	ds_write_b128 v95, v[1:4]
	s_waitcnt lgkmcnt(0)
	s_barrier
	buffer_gl0_inv
	v_cmpx_gt_u32_e32 7, v0
	s_cbranch_execz .LBB108_43
; %bb.40:
	v_mov_b32_e32 v1, 0
	v_mov_b32_e32 v3, 0
	v_add_nc_u32_e32 v97, -1, v0
	v_add_nc_u32_e32 v98, 0x2d0, v101
	v_mov_b32_e32 v2, 0
	v_mov_b32_e32 v4, 0
	v_add_nc_u32_e32 v99, 16, v101
	s_mov_b32 s5, 0
	.p2align	6
.LBB108_41:                             ; =>This Inner Loop Header: Depth=1
	s_clause 0x3
	buffer_load_dword v106, v99, s[0:3], 0 offen offset:8
	buffer_load_dword v107, v99, s[0:3], 0 offen offset:12
	buffer_load_dword v108, v99, s[0:3], 0 offen
	buffer_load_dword v109, v99, s[0:3], 0 offen offset:4
	ds_read_b128 v[102:105], v98
	v_add_nc_u32_e32 v97, 1, v97
	v_add_nc_u32_e32 v98, 16, v98
	v_add_nc_u32_e32 v99, 16, v99
	v_cmp_lt_u32_e32 vcc_lo, 5, v97
	s_or_b32 s5, vcc_lo, s5
	s_waitcnt vmcnt(2) lgkmcnt(0)
	v_mul_f64 v[110:111], v[104:105], v[106:107]
	v_mul_f64 v[106:107], v[102:103], v[106:107]
	s_waitcnt vmcnt(0)
	v_fma_f64 v[102:103], v[102:103], v[108:109], -v[110:111]
	v_fma_f64 v[104:105], v[104:105], v[108:109], v[106:107]
	v_add_f64 v[3:4], v[3:4], v[102:103]
	v_add_f64 v[1:2], v[1:2], v[104:105]
	s_andn2_b32 exec_lo, exec_lo, s5
	s_cbranch_execnz .LBB108_41
; %bb.42:
	s_or_b32 exec_lo, exec_lo, s5
	v_mov_b32_e32 v97, 0
	ds_read_b128 v[97:100], v97 offset:112
	s_waitcnt lgkmcnt(0)
	v_mul_f64 v[102:103], v[1:2], v[99:100]
	v_mul_f64 v[99:100], v[3:4], v[99:100]
	v_fma_f64 v[3:4], v[3:4], v[97:98], -v[102:103]
	v_fma_f64 v[1:2], v[1:2], v[97:98], v[99:100]
	buffer_store_dword v4, off, s[0:3], 0 offset:132
	buffer_store_dword v3, off, s[0:3], 0 offset:128
	;; [unrolled: 1-line block ×4, first 2 shown]
.LBB108_43:
	s_or_b32 exec_lo, exec_lo, s4
	v_mov_b32_e32 v4, s49
	s_waitcnt_vscnt null, 0x0
	s_barrier
	buffer_gl0_inv
	s_mov_b32 s4, exec_lo
	s_clause 0x3
	buffer_load_dword v1, v4, s[0:3], 0 offen
	buffer_load_dword v2, v4, s[0:3], 0 offen offset:4
	buffer_load_dword v3, v4, s[0:3], 0 offen offset:8
	;; [unrolled: 1-line block ×3, first 2 shown]
	s_waitcnt vmcnt(0)
	ds_write_b128 v95, v[1:4]
	s_waitcnt lgkmcnt(0)
	s_barrier
	buffer_gl0_inv
	v_cmpx_gt_u32_e32 8, v0
	s_cbranch_execz .LBB108_47
; %bb.44:
	v_mov_b32_e32 v1, 0
	v_mov_b32_e32 v3, 0
	v_add_nc_u32_e32 v97, -1, v0
	v_add_nc_u32_e32 v98, 0x2d0, v101
	v_mov_b32_e32 v2, 0
	v_mov_b32_e32 v4, 0
	v_add_nc_u32_e32 v99, 16, v101
	s_mov_b32 s5, 0
	.p2align	6
.LBB108_45:                             ; =>This Inner Loop Header: Depth=1
	s_clause 0x3
	buffer_load_dword v106, v99, s[0:3], 0 offen offset:8
	buffer_load_dword v107, v99, s[0:3], 0 offen offset:12
	buffer_load_dword v108, v99, s[0:3], 0 offen
	buffer_load_dword v109, v99, s[0:3], 0 offen offset:4
	ds_read_b128 v[102:105], v98
	v_add_nc_u32_e32 v97, 1, v97
	v_add_nc_u32_e32 v98, 16, v98
	;; [unrolled: 1-line block ×3, first 2 shown]
	v_cmp_lt_u32_e32 vcc_lo, 6, v97
	s_or_b32 s5, vcc_lo, s5
	s_waitcnt vmcnt(2) lgkmcnt(0)
	v_mul_f64 v[110:111], v[104:105], v[106:107]
	v_mul_f64 v[106:107], v[102:103], v[106:107]
	s_waitcnt vmcnt(0)
	v_fma_f64 v[102:103], v[102:103], v[108:109], -v[110:111]
	v_fma_f64 v[104:105], v[104:105], v[108:109], v[106:107]
	v_add_f64 v[3:4], v[3:4], v[102:103]
	v_add_f64 v[1:2], v[1:2], v[104:105]
	s_andn2_b32 exec_lo, exec_lo, s5
	s_cbranch_execnz .LBB108_45
; %bb.46:
	s_or_b32 exec_lo, exec_lo, s5
	v_mov_b32_e32 v97, 0
	ds_read_b128 v[97:100], v97 offset:128
	s_waitcnt lgkmcnt(0)
	v_mul_f64 v[102:103], v[1:2], v[99:100]
	v_mul_f64 v[99:100], v[3:4], v[99:100]
	v_fma_f64 v[3:4], v[3:4], v[97:98], -v[102:103]
	v_fma_f64 v[1:2], v[1:2], v[97:98], v[99:100]
	buffer_store_dword v4, off, s[0:3], 0 offset:148
	buffer_store_dword v3, off, s[0:3], 0 offset:144
	;; [unrolled: 1-line block ×4, first 2 shown]
.LBB108_47:
	s_or_b32 exec_lo, exec_lo, s4
	v_mov_b32_e32 v4, s48
	s_waitcnt_vscnt null, 0x0
	s_barrier
	buffer_gl0_inv
	s_mov_b32 s4, exec_lo
	s_clause 0x3
	buffer_load_dword v1, v4, s[0:3], 0 offen
	buffer_load_dword v2, v4, s[0:3], 0 offen offset:4
	buffer_load_dword v3, v4, s[0:3], 0 offen offset:8
	;; [unrolled: 1-line block ×3, first 2 shown]
	s_waitcnt vmcnt(0)
	ds_write_b128 v95, v[1:4]
	s_waitcnt lgkmcnt(0)
	s_barrier
	buffer_gl0_inv
	v_cmpx_gt_u32_e32 9, v0
	s_cbranch_execz .LBB108_51
; %bb.48:
	v_mov_b32_e32 v1, 0
	v_mov_b32_e32 v3, 0
	v_add_nc_u32_e32 v97, -1, v0
	v_add_nc_u32_e32 v98, 0x2d0, v101
	v_mov_b32_e32 v2, 0
	v_mov_b32_e32 v4, 0
	v_add_nc_u32_e32 v99, 16, v101
	s_mov_b32 s5, 0
	.p2align	6
.LBB108_49:                             ; =>This Inner Loop Header: Depth=1
	s_clause 0x3
	buffer_load_dword v106, v99, s[0:3], 0 offen offset:8
	buffer_load_dword v107, v99, s[0:3], 0 offen offset:12
	buffer_load_dword v108, v99, s[0:3], 0 offen
	buffer_load_dword v109, v99, s[0:3], 0 offen offset:4
	ds_read_b128 v[102:105], v98
	v_add_nc_u32_e32 v97, 1, v97
	v_add_nc_u32_e32 v98, 16, v98
	;; [unrolled: 1-line block ×3, first 2 shown]
	v_cmp_lt_u32_e32 vcc_lo, 7, v97
	s_or_b32 s5, vcc_lo, s5
	s_waitcnt vmcnt(2) lgkmcnt(0)
	v_mul_f64 v[110:111], v[104:105], v[106:107]
	v_mul_f64 v[106:107], v[102:103], v[106:107]
	s_waitcnt vmcnt(0)
	v_fma_f64 v[102:103], v[102:103], v[108:109], -v[110:111]
	v_fma_f64 v[104:105], v[104:105], v[108:109], v[106:107]
	v_add_f64 v[3:4], v[3:4], v[102:103]
	v_add_f64 v[1:2], v[1:2], v[104:105]
	s_andn2_b32 exec_lo, exec_lo, s5
	s_cbranch_execnz .LBB108_49
; %bb.50:
	s_or_b32 exec_lo, exec_lo, s5
	v_mov_b32_e32 v97, 0
	ds_read_b128 v[97:100], v97 offset:144
	s_waitcnt lgkmcnt(0)
	v_mul_f64 v[102:103], v[1:2], v[99:100]
	v_mul_f64 v[99:100], v[3:4], v[99:100]
	v_fma_f64 v[3:4], v[3:4], v[97:98], -v[102:103]
	v_fma_f64 v[1:2], v[1:2], v[97:98], v[99:100]
	buffer_store_dword v4, off, s[0:3], 0 offset:164
	buffer_store_dword v3, off, s[0:3], 0 offset:160
	;; [unrolled: 1-line block ×4, first 2 shown]
.LBB108_51:
	s_or_b32 exec_lo, exec_lo, s4
	v_mov_b32_e32 v4, s47
	s_waitcnt_vscnt null, 0x0
	s_barrier
	buffer_gl0_inv
	s_mov_b32 s4, exec_lo
	s_clause 0x3
	buffer_load_dword v1, v4, s[0:3], 0 offen
	buffer_load_dword v2, v4, s[0:3], 0 offen offset:4
	buffer_load_dword v3, v4, s[0:3], 0 offen offset:8
	;; [unrolled: 1-line block ×3, first 2 shown]
	s_waitcnt vmcnt(0)
	ds_write_b128 v95, v[1:4]
	s_waitcnt lgkmcnt(0)
	s_barrier
	buffer_gl0_inv
	v_cmpx_gt_u32_e32 10, v0
	s_cbranch_execz .LBB108_55
; %bb.52:
	v_mov_b32_e32 v1, 0
	v_mov_b32_e32 v3, 0
	v_add_nc_u32_e32 v97, -1, v0
	v_add_nc_u32_e32 v98, 0x2d0, v101
	v_mov_b32_e32 v2, 0
	v_mov_b32_e32 v4, 0
	v_add_nc_u32_e32 v99, 16, v101
	s_mov_b32 s5, 0
	.p2align	6
.LBB108_53:                             ; =>This Inner Loop Header: Depth=1
	s_clause 0x3
	buffer_load_dword v106, v99, s[0:3], 0 offen offset:8
	buffer_load_dword v107, v99, s[0:3], 0 offen offset:12
	buffer_load_dword v108, v99, s[0:3], 0 offen
	buffer_load_dword v109, v99, s[0:3], 0 offen offset:4
	ds_read_b128 v[102:105], v98
	v_add_nc_u32_e32 v97, 1, v97
	v_add_nc_u32_e32 v98, 16, v98
	v_add_nc_u32_e32 v99, 16, v99
	v_cmp_lt_u32_e32 vcc_lo, 8, v97
	s_or_b32 s5, vcc_lo, s5
	s_waitcnt vmcnt(2) lgkmcnt(0)
	v_mul_f64 v[110:111], v[104:105], v[106:107]
	v_mul_f64 v[106:107], v[102:103], v[106:107]
	s_waitcnt vmcnt(0)
	v_fma_f64 v[102:103], v[102:103], v[108:109], -v[110:111]
	v_fma_f64 v[104:105], v[104:105], v[108:109], v[106:107]
	v_add_f64 v[3:4], v[3:4], v[102:103]
	v_add_f64 v[1:2], v[1:2], v[104:105]
	s_andn2_b32 exec_lo, exec_lo, s5
	s_cbranch_execnz .LBB108_53
; %bb.54:
	s_or_b32 exec_lo, exec_lo, s5
	v_mov_b32_e32 v97, 0
	ds_read_b128 v[97:100], v97 offset:160
	s_waitcnt lgkmcnt(0)
	v_mul_f64 v[102:103], v[1:2], v[99:100]
	v_mul_f64 v[99:100], v[3:4], v[99:100]
	v_fma_f64 v[3:4], v[3:4], v[97:98], -v[102:103]
	v_fma_f64 v[1:2], v[1:2], v[97:98], v[99:100]
	buffer_store_dword v4, off, s[0:3], 0 offset:180
	buffer_store_dword v3, off, s[0:3], 0 offset:176
	;; [unrolled: 1-line block ×4, first 2 shown]
.LBB108_55:
	s_or_b32 exec_lo, exec_lo, s4
	v_mov_b32_e32 v4, s46
	s_waitcnt_vscnt null, 0x0
	s_barrier
	buffer_gl0_inv
	s_mov_b32 s4, exec_lo
	s_clause 0x3
	buffer_load_dword v1, v4, s[0:3], 0 offen
	buffer_load_dword v2, v4, s[0:3], 0 offen offset:4
	buffer_load_dword v3, v4, s[0:3], 0 offen offset:8
	;; [unrolled: 1-line block ×3, first 2 shown]
	s_waitcnt vmcnt(0)
	ds_write_b128 v95, v[1:4]
	s_waitcnt lgkmcnt(0)
	s_barrier
	buffer_gl0_inv
	v_cmpx_gt_u32_e32 11, v0
	s_cbranch_execz .LBB108_59
; %bb.56:
	v_mov_b32_e32 v1, 0
	v_mov_b32_e32 v3, 0
	v_add_nc_u32_e32 v97, -1, v0
	v_add_nc_u32_e32 v98, 0x2d0, v101
	v_mov_b32_e32 v2, 0
	v_mov_b32_e32 v4, 0
	v_add_nc_u32_e32 v99, 16, v101
	s_mov_b32 s5, 0
	.p2align	6
.LBB108_57:                             ; =>This Inner Loop Header: Depth=1
	s_clause 0x3
	buffer_load_dword v106, v99, s[0:3], 0 offen offset:8
	buffer_load_dword v107, v99, s[0:3], 0 offen offset:12
	buffer_load_dword v108, v99, s[0:3], 0 offen
	buffer_load_dword v109, v99, s[0:3], 0 offen offset:4
	ds_read_b128 v[102:105], v98
	v_add_nc_u32_e32 v97, 1, v97
	v_add_nc_u32_e32 v98, 16, v98
	;; [unrolled: 1-line block ×3, first 2 shown]
	v_cmp_lt_u32_e32 vcc_lo, 9, v97
	s_or_b32 s5, vcc_lo, s5
	s_waitcnt vmcnt(2) lgkmcnt(0)
	v_mul_f64 v[110:111], v[104:105], v[106:107]
	v_mul_f64 v[106:107], v[102:103], v[106:107]
	s_waitcnt vmcnt(0)
	v_fma_f64 v[102:103], v[102:103], v[108:109], -v[110:111]
	v_fma_f64 v[104:105], v[104:105], v[108:109], v[106:107]
	v_add_f64 v[3:4], v[3:4], v[102:103]
	v_add_f64 v[1:2], v[1:2], v[104:105]
	s_andn2_b32 exec_lo, exec_lo, s5
	s_cbranch_execnz .LBB108_57
; %bb.58:
	s_or_b32 exec_lo, exec_lo, s5
	v_mov_b32_e32 v97, 0
	ds_read_b128 v[97:100], v97 offset:176
	s_waitcnt lgkmcnt(0)
	v_mul_f64 v[102:103], v[1:2], v[99:100]
	v_mul_f64 v[99:100], v[3:4], v[99:100]
	v_fma_f64 v[3:4], v[3:4], v[97:98], -v[102:103]
	v_fma_f64 v[1:2], v[1:2], v[97:98], v[99:100]
	buffer_store_dword v4, off, s[0:3], 0 offset:196
	buffer_store_dword v3, off, s[0:3], 0 offset:192
	;; [unrolled: 1-line block ×4, first 2 shown]
.LBB108_59:
	s_or_b32 exec_lo, exec_lo, s4
	v_mov_b32_e32 v4, s45
	s_waitcnt_vscnt null, 0x0
	s_barrier
	buffer_gl0_inv
	s_mov_b32 s4, exec_lo
	s_clause 0x3
	buffer_load_dword v1, v4, s[0:3], 0 offen
	buffer_load_dword v2, v4, s[0:3], 0 offen offset:4
	buffer_load_dword v3, v4, s[0:3], 0 offen offset:8
	;; [unrolled: 1-line block ×3, first 2 shown]
	s_waitcnt vmcnt(0)
	ds_write_b128 v95, v[1:4]
	s_waitcnt lgkmcnt(0)
	s_barrier
	buffer_gl0_inv
	v_cmpx_gt_u32_e32 12, v0
	s_cbranch_execz .LBB108_63
; %bb.60:
	v_mov_b32_e32 v1, 0
	v_mov_b32_e32 v3, 0
	v_add_nc_u32_e32 v97, -1, v0
	v_add_nc_u32_e32 v98, 0x2d0, v101
	v_mov_b32_e32 v2, 0
	v_mov_b32_e32 v4, 0
	v_add_nc_u32_e32 v99, 16, v101
	s_mov_b32 s5, 0
	.p2align	6
.LBB108_61:                             ; =>This Inner Loop Header: Depth=1
	s_clause 0x3
	buffer_load_dword v106, v99, s[0:3], 0 offen offset:8
	buffer_load_dword v107, v99, s[0:3], 0 offen offset:12
	buffer_load_dword v108, v99, s[0:3], 0 offen
	buffer_load_dword v109, v99, s[0:3], 0 offen offset:4
	ds_read_b128 v[102:105], v98
	v_add_nc_u32_e32 v97, 1, v97
	v_add_nc_u32_e32 v98, 16, v98
	;; [unrolled: 1-line block ×3, first 2 shown]
	v_cmp_lt_u32_e32 vcc_lo, 10, v97
	s_or_b32 s5, vcc_lo, s5
	s_waitcnt vmcnt(2) lgkmcnt(0)
	v_mul_f64 v[110:111], v[104:105], v[106:107]
	v_mul_f64 v[106:107], v[102:103], v[106:107]
	s_waitcnt vmcnt(0)
	v_fma_f64 v[102:103], v[102:103], v[108:109], -v[110:111]
	v_fma_f64 v[104:105], v[104:105], v[108:109], v[106:107]
	v_add_f64 v[3:4], v[3:4], v[102:103]
	v_add_f64 v[1:2], v[1:2], v[104:105]
	s_andn2_b32 exec_lo, exec_lo, s5
	s_cbranch_execnz .LBB108_61
; %bb.62:
	s_or_b32 exec_lo, exec_lo, s5
	v_mov_b32_e32 v97, 0
	ds_read_b128 v[97:100], v97 offset:192
	s_waitcnt lgkmcnt(0)
	v_mul_f64 v[102:103], v[1:2], v[99:100]
	v_mul_f64 v[99:100], v[3:4], v[99:100]
	v_fma_f64 v[3:4], v[3:4], v[97:98], -v[102:103]
	v_fma_f64 v[1:2], v[1:2], v[97:98], v[99:100]
	buffer_store_dword v4, off, s[0:3], 0 offset:212
	buffer_store_dword v3, off, s[0:3], 0 offset:208
	;; [unrolled: 1-line block ×4, first 2 shown]
.LBB108_63:
	s_or_b32 exec_lo, exec_lo, s4
	v_mov_b32_e32 v4, s44
	s_waitcnt_vscnt null, 0x0
	s_barrier
	buffer_gl0_inv
	s_mov_b32 s4, exec_lo
	s_clause 0x3
	buffer_load_dword v1, v4, s[0:3], 0 offen
	buffer_load_dword v2, v4, s[0:3], 0 offen offset:4
	buffer_load_dword v3, v4, s[0:3], 0 offen offset:8
	;; [unrolled: 1-line block ×3, first 2 shown]
	s_waitcnt vmcnt(0)
	ds_write_b128 v95, v[1:4]
	s_waitcnt lgkmcnt(0)
	s_barrier
	buffer_gl0_inv
	v_cmpx_gt_u32_e32 13, v0
	s_cbranch_execz .LBB108_67
; %bb.64:
	v_mov_b32_e32 v1, 0
	v_mov_b32_e32 v3, 0
	v_add_nc_u32_e32 v97, -1, v0
	v_add_nc_u32_e32 v98, 0x2d0, v101
	v_mov_b32_e32 v2, 0
	v_mov_b32_e32 v4, 0
	v_add_nc_u32_e32 v99, 16, v101
	s_mov_b32 s5, 0
	.p2align	6
.LBB108_65:                             ; =>This Inner Loop Header: Depth=1
	s_clause 0x3
	buffer_load_dword v106, v99, s[0:3], 0 offen offset:8
	buffer_load_dword v107, v99, s[0:3], 0 offen offset:12
	buffer_load_dword v108, v99, s[0:3], 0 offen
	buffer_load_dword v109, v99, s[0:3], 0 offen offset:4
	ds_read_b128 v[102:105], v98
	v_add_nc_u32_e32 v97, 1, v97
	v_add_nc_u32_e32 v98, 16, v98
	;; [unrolled: 1-line block ×3, first 2 shown]
	v_cmp_lt_u32_e32 vcc_lo, 11, v97
	s_or_b32 s5, vcc_lo, s5
	s_waitcnt vmcnt(2) lgkmcnt(0)
	v_mul_f64 v[110:111], v[104:105], v[106:107]
	v_mul_f64 v[106:107], v[102:103], v[106:107]
	s_waitcnt vmcnt(0)
	v_fma_f64 v[102:103], v[102:103], v[108:109], -v[110:111]
	v_fma_f64 v[104:105], v[104:105], v[108:109], v[106:107]
	v_add_f64 v[3:4], v[3:4], v[102:103]
	v_add_f64 v[1:2], v[1:2], v[104:105]
	s_andn2_b32 exec_lo, exec_lo, s5
	s_cbranch_execnz .LBB108_65
; %bb.66:
	s_or_b32 exec_lo, exec_lo, s5
	v_mov_b32_e32 v97, 0
	ds_read_b128 v[97:100], v97 offset:208
	s_waitcnt lgkmcnt(0)
	v_mul_f64 v[102:103], v[1:2], v[99:100]
	v_mul_f64 v[99:100], v[3:4], v[99:100]
	v_fma_f64 v[3:4], v[3:4], v[97:98], -v[102:103]
	v_fma_f64 v[1:2], v[1:2], v[97:98], v[99:100]
	buffer_store_dword v4, off, s[0:3], 0 offset:228
	buffer_store_dword v3, off, s[0:3], 0 offset:224
	buffer_store_dword v2, off, s[0:3], 0 offset:236
	buffer_store_dword v1, off, s[0:3], 0 offset:232
.LBB108_67:
	s_or_b32 exec_lo, exec_lo, s4
	v_mov_b32_e32 v4, s43
	s_waitcnt_vscnt null, 0x0
	s_barrier
	buffer_gl0_inv
	s_mov_b32 s4, exec_lo
	s_clause 0x3
	buffer_load_dword v1, v4, s[0:3], 0 offen
	buffer_load_dword v2, v4, s[0:3], 0 offen offset:4
	buffer_load_dword v3, v4, s[0:3], 0 offen offset:8
	;; [unrolled: 1-line block ×3, first 2 shown]
	s_waitcnt vmcnt(0)
	ds_write_b128 v95, v[1:4]
	s_waitcnt lgkmcnt(0)
	s_barrier
	buffer_gl0_inv
	v_cmpx_gt_u32_e32 14, v0
	s_cbranch_execz .LBB108_71
; %bb.68:
	v_mov_b32_e32 v1, 0
	v_mov_b32_e32 v3, 0
	v_add_nc_u32_e32 v97, -1, v0
	v_add_nc_u32_e32 v98, 0x2d0, v101
	v_mov_b32_e32 v2, 0
	v_mov_b32_e32 v4, 0
	v_add_nc_u32_e32 v99, 16, v101
	s_mov_b32 s5, 0
	.p2align	6
.LBB108_69:                             ; =>This Inner Loop Header: Depth=1
	s_clause 0x3
	buffer_load_dword v106, v99, s[0:3], 0 offen offset:8
	buffer_load_dword v107, v99, s[0:3], 0 offen offset:12
	buffer_load_dword v108, v99, s[0:3], 0 offen
	buffer_load_dword v109, v99, s[0:3], 0 offen offset:4
	ds_read_b128 v[102:105], v98
	v_add_nc_u32_e32 v97, 1, v97
	v_add_nc_u32_e32 v98, 16, v98
	v_add_nc_u32_e32 v99, 16, v99
	v_cmp_lt_u32_e32 vcc_lo, 12, v97
	s_or_b32 s5, vcc_lo, s5
	s_waitcnt vmcnt(2) lgkmcnt(0)
	v_mul_f64 v[110:111], v[104:105], v[106:107]
	v_mul_f64 v[106:107], v[102:103], v[106:107]
	s_waitcnt vmcnt(0)
	v_fma_f64 v[102:103], v[102:103], v[108:109], -v[110:111]
	v_fma_f64 v[104:105], v[104:105], v[108:109], v[106:107]
	v_add_f64 v[3:4], v[3:4], v[102:103]
	v_add_f64 v[1:2], v[1:2], v[104:105]
	s_andn2_b32 exec_lo, exec_lo, s5
	s_cbranch_execnz .LBB108_69
; %bb.70:
	s_or_b32 exec_lo, exec_lo, s5
	v_mov_b32_e32 v97, 0
	ds_read_b128 v[97:100], v97 offset:224
	s_waitcnt lgkmcnt(0)
	v_mul_f64 v[102:103], v[1:2], v[99:100]
	v_mul_f64 v[99:100], v[3:4], v[99:100]
	v_fma_f64 v[3:4], v[3:4], v[97:98], -v[102:103]
	v_fma_f64 v[1:2], v[1:2], v[97:98], v[99:100]
	buffer_store_dword v4, off, s[0:3], 0 offset:244
	buffer_store_dword v3, off, s[0:3], 0 offset:240
	;; [unrolled: 1-line block ×4, first 2 shown]
.LBB108_71:
	s_or_b32 exec_lo, exec_lo, s4
	v_mov_b32_e32 v4, s42
	s_waitcnt_vscnt null, 0x0
	s_barrier
	buffer_gl0_inv
	s_mov_b32 s4, exec_lo
	s_clause 0x3
	buffer_load_dword v1, v4, s[0:3], 0 offen
	buffer_load_dword v2, v4, s[0:3], 0 offen offset:4
	buffer_load_dword v3, v4, s[0:3], 0 offen offset:8
	;; [unrolled: 1-line block ×3, first 2 shown]
	s_waitcnt vmcnt(0)
	ds_write_b128 v95, v[1:4]
	s_waitcnt lgkmcnt(0)
	s_barrier
	buffer_gl0_inv
	v_cmpx_gt_u32_e32 15, v0
	s_cbranch_execz .LBB108_75
; %bb.72:
	v_mov_b32_e32 v1, 0
	v_mov_b32_e32 v3, 0
	v_add_nc_u32_e32 v97, -1, v0
	v_add_nc_u32_e32 v98, 0x2d0, v101
	v_mov_b32_e32 v2, 0
	v_mov_b32_e32 v4, 0
	v_add_nc_u32_e32 v99, 16, v101
	s_mov_b32 s5, 0
	.p2align	6
.LBB108_73:                             ; =>This Inner Loop Header: Depth=1
	s_clause 0x3
	buffer_load_dword v106, v99, s[0:3], 0 offen offset:8
	buffer_load_dword v107, v99, s[0:3], 0 offen offset:12
	buffer_load_dword v108, v99, s[0:3], 0 offen
	buffer_load_dword v109, v99, s[0:3], 0 offen offset:4
	ds_read_b128 v[102:105], v98
	v_add_nc_u32_e32 v97, 1, v97
	v_add_nc_u32_e32 v98, 16, v98
	;; [unrolled: 1-line block ×3, first 2 shown]
	v_cmp_lt_u32_e32 vcc_lo, 13, v97
	s_or_b32 s5, vcc_lo, s5
	s_waitcnt vmcnt(2) lgkmcnt(0)
	v_mul_f64 v[110:111], v[104:105], v[106:107]
	v_mul_f64 v[106:107], v[102:103], v[106:107]
	s_waitcnt vmcnt(0)
	v_fma_f64 v[102:103], v[102:103], v[108:109], -v[110:111]
	v_fma_f64 v[104:105], v[104:105], v[108:109], v[106:107]
	v_add_f64 v[3:4], v[3:4], v[102:103]
	v_add_f64 v[1:2], v[1:2], v[104:105]
	s_andn2_b32 exec_lo, exec_lo, s5
	s_cbranch_execnz .LBB108_73
; %bb.74:
	s_or_b32 exec_lo, exec_lo, s5
	v_mov_b32_e32 v97, 0
	ds_read_b128 v[97:100], v97 offset:240
	s_waitcnt lgkmcnt(0)
	v_mul_f64 v[102:103], v[1:2], v[99:100]
	v_mul_f64 v[99:100], v[3:4], v[99:100]
	v_fma_f64 v[3:4], v[3:4], v[97:98], -v[102:103]
	v_fma_f64 v[1:2], v[1:2], v[97:98], v[99:100]
	buffer_store_dword v4, off, s[0:3], 0 offset:260
	buffer_store_dword v3, off, s[0:3], 0 offset:256
	;; [unrolled: 1-line block ×4, first 2 shown]
.LBB108_75:
	s_or_b32 exec_lo, exec_lo, s4
	v_mov_b32_e32 v4, s41
	s_waitcnt_vscnt null, 0x0
	s_barrier
	buffer_gl0_inv
	s_mov_b32 s4, exec_lo
	s_clause 0x3
	buffer_load_dword v1, v4, s[0:3], 0 offen
	buffer_load_dword v2, v4, s[0:3], 0 offen offset:4
	buffer_load_dword v3, v4, s[0:3], 0 offen offset:8
	;; [unrolled: 1-line block ×3, first 2 shown]
	s_waitcnt vmcnt(0)
	ds_write_b128 v95, v[1:4]
	s_waitcnt lgkmcnt(0)
	s_barrier
	buffer_gl0_inv
	v_cmpx_gt_u32_e32 16, v0
	s_cbranch_execz .LBB108_79
; %bb.76:
	v_mov_b32_e32 v1, 0
	v_mov_b32_e32 v3, 0
	v_add_nc_u32_e32 v97, -1, v0
	v_add_nc_u32_e32 v98, 0x2d0, v101
	v_mov_b32_e32 v2, 0
	v_mov_b32_e32 v4, 0
	v_add_nc_u32_e32 v99, 16, v101
	s_mov_b32 s5, 0
	.p2align	6
.LBB108_77:                             ; =>This Inner Loop Header: Depth=1
	s_clause 0x3
	buffer_load_dword v106, v99, s[0:3], 0 offen offset:8
	buffer_load_dword v107, v99, s[0:3], 0 offen offset:12
	buffer_load_dword v108, v99, s[0:3], 0 offen
	buffer_load_dword v109, v99, s[0:3], 0 offen offset:4
	ds_read_b128 v[102:105], v98
	v_add_nc_u32_e32 v97, 1, v97
	v_add_nc_u32_e32 v98, 16, v98
	;; [unrolled: 1-line block ×3, first 2 shown]
	v_cmp_lt_u32_e32 vcc_lo, 14, v97
	s_or_b32 s5, vcc_lo, s5
	s_waitcnt vmcnt(2) lgkmcnt(0)
	v_mul_f64 v[110:111], v[104:105], v[106:107]
	v_mul_f64 v[106:107], v[102:103], v[106:107]
	s_waitcnt vmcnt(0)
	v_fma_f64 v[102:103], v[102:103], v[108:109], -v[110:111]
	v_fma_f64 v[104:105], v[104:105], v[108:109], v[106:107]
	v_add_f64 v[3:4], v[3:4], v[102:103]
	v_add_f64 v[1:2], v[1:2], v[104:105]
	s_andn2_b32 exec_lo, exec_lo, s5
	s_cbranch_execnz .LBB108_77
; %bb.78:
	s_or_b32 exec_lo, exec_lo, s5
	v_mov_b32_e32 v97, 0
	ds_read_b128 v[97:100], v97 offset:256
	s_waitcnt lgkmcnt(0)
	v_mul_f64 v[102:103], v[1:2], v[99:100]
	v_mul_f64 v[99:100], v[3:4], v[99:100]
	v_fma_f64 v[3:4], v[3:4], v[97:98], -v[102:103]
	v_fma_f64 v[1:2], v[1:2], v[97:98], v[99:100]
	buffer_store_dword v4, off, s[0:3], 0 offset:276
	buffer_store_dword v3, off, s[0:3], 0 offset:272
	;; [unrolled: 1-line block ×4, first 2 shown]
.LBB108_79:
	s_or_b32 exec_lo, exec_lo, s4
	v_mov_b32_e32 v4, s40
	s_waitcnt_vscnt null, 0x0
	s_barrier
	buffer_gl0_inv
	s_mov_b32 s4, exec_lo
	s_clause 0x3
	buffer_load_dword v1, v4, s[0:3], 0 offen
	buffer_load_dword v2, v4, s[0:3], 0 offen offset:4
	buffer_load_dword v3, v4, s[0:3], 0 offen offset:8
	;; [unrolled: 1-line block ×3, first 2 shown]
	s_waitcnt vmcnt(0)
	ds_write_b128 v95, v[1:4]
	s_waitcnt lgkmcnt(0)
	s_barrier
	buffer_gl0_inv
	v_cmpx_gt_u32_e32 17, v0
	s_cbranch_execz .LBB108_83
; %bb.80:
	v_mov_b32_e32 v1, 0
	v_mov_b32_e32 v3, 0
	v_add_nc_u32_e32 v97, -1, v0
	v_add_nc_u32_e32 v98, 0x2d0, v101
	v_mov_b32_e32 v2, 0
	v_mov_b32_e32 v4, 0
	v_add_nc_u32_e32 v99, 16, v101
	s_mov_b32 s5, 0
	.p2align	6
.LBB108_81:                             ; =>This Inner Loop Header: Depth=1
	s_clause 0x3
	buffer_load_dword v106, v99, s[0:3], 0 offen offset:8
	buffer_load_dword v107, v99, s[0:3], 0 offen offset:12
	buffer_load_dword v108, v99, s[0:3], 0 offen
	buffer_load_dword v109, v99, s[0:3], 0 offen offset:4
	ds_read_b128 v[102:105], v98
	v_add_nc_u32_e32 v97, 1, v97
	v_add_nc_u32_e32 v98, 16, v98
	;; [unrolled: 1-line block ×3, first 2 shown]
	v_cmp_lt_u32_e32 vcc_lo, 15, v97
	s_or_b32 s5, vcc_lo, s5
	s_waitcnt vmcnt(2) lgkmcnt(0)
	v_mul_f64 v[110:111], v[104:105], v[106:107]
	v_mul_f64 v[106:107], v[102:103], v[106:107]
	s_waitcnt vmcnt(0)
	v_fma_f64 v[102:103], v[102:103], v[108:109], -v[110:111]
	v_fma_f64 v[104:105], v[104:105], v[108:109], v[106:107]
	v_add_f64 v[3:4], v[3:4], v[102:103]
	v_add_f64 v[1:2], v[1:2], v[104:105]
	s_andn2_b32 exec_lo, exec_lo, s5
	s_cbranch_execnz .LBB108_81
; %bb.82:
	s_or_b32 exec_lo, exec_lo, s5
	v_mov_b32_e32 v97, 0
	ds_read_b128 v[97:100], v97 offset:272
	s_waitcnt lgkmcnt(0)
	v_mul_f64 v[102:103], v[1:2], v[99:100]
	v_mul_f64 v[99:100], v[3:4], v[99:100]
	v_fma_f64 v[3:4], v[3:4], v[97:98], -v[102:103]
	v_fma_f64 v[1:2], v[1:2], v[97:98], v[99:100]
	buffer_store_dword v4, off, s[0:3], 0 offset:292
	buffer_store_dword v3, off, s[0:3], 0 offset:288
	;; [unrolled: 1-line block ×4, first 2 shown]
.LBB108_83:
	s_or_b32 exec_lo, exec_lo, s4
	v_mov_b32_e32 v4, s39
	s_waitcnt_vscnt null, 0x0
	s_barrier
	buffer_gl0_inv
	s_mov_b32 s4, exec_lo
	s_clause 0x3
	buffer_load_dword v1, v4, s[0:3], 0 offen
	buffer_load_dword v2, v4, s[0:3], 0 offen offset:4
	buffer_load_dword v3, v4, s[0:3], 0 offen offset:8
	;; [unrolled: 1-line block ×3, first 2 shown]
	s_waitcnt vmcnt(0)
	ds_write_b128 v95, v[1:4]
	s_waitcnt lgkmcnt(0)
	s_barrier
	buffer_gl0_inv
	v_cmpx_gt_u32_e32 18, v0
	s_cbranch_execz .LBB108_87
; %bb.84:
	v_mov_b32_e32 v1, 0
	v_mov_b32_e32 v3, 0
	v_add_nc_u32_e32 v97, -1, v0
	v_add_nc_u32_e32 v98, 0x2d0, v101
	v_mov_b32_e32 v2, 0
	v_mov_b32_e32 v4, 0
	v_add_nc_u32_e32 v99, 16, v101
	s_mov_b32 s5, 0
	.p2align	6
.LBB108_85:                             ; =>This Inner Loop Header: Depth=1
	s_clause 0x3
	buffer_load_dword v106, v99, s[0:3], 0 offen offset:8
	buffer_load_dword v107, v99, s[0:3], 0 offen offset:12
	buffer_load_dword v108, v99, s[0:3], 0 offen
	buffer_load_dword v109, v99, s[0:3], 0 offen offset:4
	ds_read_b128 v[102:105], v98
	v_add_nc_u32_e32 v97, 1, v97
	v_add_nc_u32_e32 v98, 16, v98
	;; [unrolled: 1-line block ×3, first 2 shown]
	v_cmp_lt_u32_e32 vcc_lo, 16, v97
	s_or_b32 s5, vcc_lo, s5
	s_waitcnt vmcnt(2) lgkmcnt(0)
	v_mul_f64 v[110:111], v[104:105], v[106:107]
	v_mul_f64 v[106:107], v[102:103], v[106:107]
	s_waitcnt vmcnt(0)
	v_fma_f64 v[102:103], v[102:103], v[108:109], -v[110:111]
	v_fma_f64 v[104:105], v[104:105], v[108:109], v[106:107]
	v_add_f64 v[3:4], v[3:4], v[102:103]
	v_add_f64 v[1:2], v[1:2], v[104:105]
	s_andn2_b32 exec_lo, exec_lo, s5
	s_cbranch_execnz .LBB108_85
; %bb.86:
	s_or_b32 exec_lo, exec_lo, s5
	v_mov_b32_e32 v97, 0
	ds_read_b128 v[97:100], v97 offset:288
	s_waitcnt lgkmcnt(0)
	v_mul_f64 v[102:103], v[1:2], v[99:100]
	v_mul_f64 v[99:100], v[3:4], v[99:100]
	v_fma_f64 v[3:4], v[3:4], v[97:98], -v[102:103]
	v_fma_f64 v[1:2], v[1:2], v[97:98], v[99:100]
	buffer_store_dword v4, off, s[0:3], 0 offset:308
	buffer_store_dword v3, off, s[0:3], 0 offset:304
	;; [unrolled: 1-line block ×4, first 2 shown]
.LBB108_87:
	s_or_b32 exec_lo, exec_lo, s4
	v_mov_b32_e32 v4, s38
	s_waitcnt_vscnt null, 0x0
	s_barrier
	buffer_gl0_inv
	s_mov_b32 s4, exec_lo
	s_clause 0x3
	buffer_load_dword v1, v4, s[0:3], 0 offen
	buffer_load_dword v2, v4, s[0:3], 0 offen offset:4
	buffer_load_dword v3, v4, s[0:3], 0 offen offset:8
	;; [unrolled: 1-line block ×3, first 2 shown]
	s_waitcnt vmcnt(0)
	ds_write_b128 v95, v[1:4]
	s_waitcnt lgkmcnt(0)
	s_barrier
	buffer_gl0_inv
	v_cmpx_gt_u32_e32 19, v0
	s_cbranch_execz .LBB108_91
; %bb.88:
	v_mov_b32_e32 v1, 0
	v_mov_b32_e32 v3, 0
	v_add_nc_u32_e32 v97, -1, v0
	v_add_nc_u32_e32 v98, 0x2d0, v101
	v_mov_b32_e32 v2, 0
	v_mov_b32_e32 v4, 0
	v_add_nc_u32_e32 v99, 16, v101
	s_mov_b32 s5, 0
	.p2align	6
.LBB108_89:                             ; =>This Inner Loop Header: Depth=1
	s_clause 0x3
	buffer_load_dword v106, v99, s[0:3], 0 offen offset:8
	buffer_load_dword v107, v99, s[0:3], 0 offen offset:12
	buffer_load_dword v108, v99, s[0:3], 0 offen
	buffer_load_dword v109, v99, s[0:3], 0 offen offset:4
	ds_read_b128 v[102:105], v98
	v_add_nc_u32_e32 v97, 1, v97
	v_add_nc_u32_e32 v98, 16, v98
	v_add_nc_u32_e32 v99, 16, v99
	v_cmp_lt_u32_e32 vcc_lo, 17, v97
	s_or_b32 s5, vcc_lo, s5
	s_waitcnt vmcnt(2) lgkmcnt(0)
	v_mul_f64 v[110:111], v[104:105], v[106:107]
	v_mul_f64 v[106:107], v[102:103], v[106:107]
	s_waitcnt vmcnt(0)
	v_fma_f64 v[102:103], v[102:103], v[108:109], -v[110:111]
	v_fma_f64 v[104:105], v[104:105], v[108:109], v[106:107]
	v_add_f64 v[3:4], v[3:4], v[102:103]
	v_add_f64 v[1:2], v[1:2], v[104:105]
	s_andn2_b32 exec_lo, exec_lo, s5
	s_cbranch_execnz .LBB108_89
; %bb.90:
	s_or_b32 exec_lo, exec_lo, s5
	v_mov_b32_e32 v97, 0
	ds_read_b128 v[97:100], v97 offset:304
	s_waitcnt lgkmcnt(0)
	v_mul_f64 v[102:103], v[1:2], v[99:100]
	v_mul_f64 v[99:100], v[3:4], v[99:100]
	v_fma_f64 v[3:4], v[3:4], v[97:98], -v[102:103]
	v_fma_f64 v[1:2], v[1:2], v[97:98], v[99:100]
	buffer_store_dword v4, off, s[0:3], 0 offset:324
	buffer_store_dword v3, off, s[0:3], 0 offset:320
	;; [unrolled: 1-line block ×4, first 2 shown]
.LBB108_91:
	s_or_b32 exec_lo, exec_lo, s4
	v_mov_b32_e32 v4, s37
	s_waitcnt_vscnt null, 0x0
	s_barrier
	buffer_gl0_inv
	s_mov_b32 s4, exec_lo
	s_clause 0x3
	buffer_load_dword v1, v4, s[0:3], 0 offen
	buffer_load_dword v2, v4, s[0:3], 0 offen offset:4
	buffer_load_dword v3, v4, s[0:3], 0 offen offset:8
	;; [unrolled: 1-line block ×3, first 2 shown]
	s_waitcnt vmcnt(0)
	ds_write_b128 v95, v[1:4]
	s_waitcnt lgkmcnt(0)
	s_barrier
	buffer_gl0_inv
	v_cmpx_gt_u32_e32 20, v0
	s_cbranch_execz .LBB108_95
; %bb.92:
	v_mov_b32_e32 v1, 0
	v_mov_b32_e32 v3, 0
	v_add_nc_u32_e32 v97, -1, v0
	v_add_nc_u32_e32 v98, 0x2d0, v101
	v_mov_b32_e32 v2, 0
	v_mov_b32_e32 v4, 0
	v_add_nc_u32_e32 v99, 16, v101
	s_mov_b32 s5, 0
	.p2align	6
.LBB108_93:                             ; =>This Inner Loop Header: Depth=1
	s_clause 0x3
	buffer_load_dword v106, v99, s[0:3], 0 offen offset:8
	buffer_load_dword v107, v99, s[0:3], 0 offen offset:12
	buffer_load_dword v108, v99, s[0:3], 0 offen
	buffer_load_dword v109, v99, s[0:3], 0 offen offset:4
	ds_read_b128 v[102:105], v98
	v_add_nc_u32_e32 v97, 1, v97
	v_add_nc_u32_e32 v98, 16, v98
	;; [unrolled: 1-line block ×3, first 2 shown]
	v_cmp_lt_u32_e32 vcc_lo, 18, v97
	s_or_b32 s5, vcc_lo, s5
	s_waitcnt vmcnt(2) lgkmcnt(0)
	v_mul_f64 v[110:111], v[104:105], v[106:107]
	v_mul_f64 v[106:107], v[102:103], v[106:107]
	s_waitcnt vmcnt(0)
	v_fma_f64 v[102:103], v[102:103], v[108:109], -v[110:111]
	v_fma_f64 v[104:105], v[104:105], v[108:109], v[106:107]
	v_add_f64 v[3:4], v[3:4], v[102:103]
	v_add_f64 v[1:2], v[1:2], v[104:105]
	s_andn2_b32 exec_lo, exec_lo, s5
	s_cbranch_execnz .LBB108_93
; %bb.94:
	s_or_b32 exec_lo, exec_lo, s5
	v_mov_b32_e32 v97, 0
	ds_read_b128 v[97:100], v97 offset:320
	s_waitcnt lgkmcnt(0)
	v_mul_f64 v[102:103], v[1:2], v[99:100]
	v_mul_f64 v[99:100], v[3:4], v[99:100]
	v_fma_f64 v[3:4], v[3:4], v[97:98], -v[102:103]
	v_fma_f64 v[1:2], v[1:2], v[97:98], v[99:100]
	buffer_store_dword v4, off, s[0:3], 0 offset:340
	buffer_store_dword v3, off, s[0:3], 0 offset:336
	;; [unrolled: 1-line block ×4, first 2 shown]
.LBB108_95:
	s_or_b32 exec_lo, exec_lo, s4
	v_mov_b32_e32 v4, s36
	s_waitcnt_vscnt null, 0x0
	s_barrier
	buffer_gl0_inv
	s_mov_b32 s4, exec_lo
	s_clause 0x3
	buffer_load_dword v1, v4, s[0:3], 0 offen
	buffer_load_dword v2, v4, s[0:3], 0 offen offset:4
	buffer_load_dword v3, v4, s[0:3], 0 offen offset:8
	;; [unrolled: 1-line block ×3, first 2 shown]
	s_waitcnt vmcnt(0)
	ds_write_b128 v95, v[1:4]
	s_waitcnt lgkmcnt(0)
	s_barrier
	buffer_gl0_inv
	v_cmpx_gt_u32_e32 21, v0
	s_cbranch_execz .LBB108_99
; %bb.96:
	v_mov_b32_e32 v1, 0
	v_mov_b32_e32 v3, 0
	v_add_nc_u32_e32 v97, -1, v0
	v_add_nc_u32_e32 v98, 0x2d0, v101
	v_mov_b32_e32 v2, 0
	v_mov_b32_e32 v4, 0
	v_add_nc_u32_e32 v99, 16, v101
	s_mov_b32 s5, 0
	.p2align	6
.LBB108_97:                             ; =>This Inner Loop Header: Depth=1
	s_clause 0x3
	buffer_load_dword v106, v99, s[0:3], 0 offen offset:8
	buffer_load_dword v107, v99, s[0:3], 0 offen offset:12
	buffer_load_dword v108, v99, s[0:3], 0 offen
	buffer_load_dword v109, v99, s[0:3], 0 offen offset:4
	ds_read_b128 v[102:105], v98
	v_add_nc_u32_e32 v97, 1, v97
	v_add_nc_u32_e32 v98, 16, v98
	;; [unrolled: 1-line block ×3, first 2 shown]
	v_cmp_lt_u32_e32 vcc_lo, 19, v97
	s_or_b32 s5, vcc_lo, s5
	s_waitcnt vmcnt(2) lgkmcnt(0)
	v_mul_f64 v[110:111], v[104:105], v[106:107]
	v_mul_f64 v[106:107], v[102:103], v[106:107]
	s_waitcnt vmcnt(0)
	v_fma_f64 v[102:103], v[102:103], v[108:109], -v[110:111]
	v_fma_f64 v[104:105], v[104:105], v[108:109], v[106:107]
	v_add_f64 v[3:4], v[3:4], v[102:103]
	v_add_f64 v[1:2], v[1:2], v[104:105]
	s_andn2_b32 exec_lo, exec_lo, s5
	s_cbranch_execnz .LBB108_97
; %bb.98:
	s_or_b32 exec_lo, exec_lo, s5
	v_mov_b32_e32 v97, 0
	ds_read_b128 v[97:100], v97 offset:336
	s_waitcnt lgkmcnt(0)
	v_mul_f64 v[102:103], v[1:2], v[99:100]
	v_mul_f64 v[99:100], v[3:4], v[99:100]
	v_fma_f64 v[3:4], v[3:4], v[97:98], -v[102:103]
	v_fma_f64 v[1:2], v[1:2], v[97:98], v[99:100]
	buffer_store_dword v4, off, s[0:3], 0 offset:356
	buffer_store_dword v3, off, s[0:3], 0 offset:352
	;; [unrolled: 1-line block ×4, first 2 shown]
.LBB108_99:
	s_or_b32 exec_lo, exec_lo, s4
	v_mov_b32_e32 v4, s35
	s_waitcnt_vscnt null, 0x0
	s_barrier
	buffer_gl0_inv
	s_mov_b32 s4, exec_lo
	s_clause 0x3
	buffer_load_dword v1, v4, s[0:3], 0 offen
	buffer_load_dword v2, v4, s[0:3], 0 offen offset:4
	buffer_load_dword v3, v4, s[0:3], 0 offen offset:8
	;; [unrolled: 1-line block ×3, first 2 shown]
	s_waitcnt vmcnt(0)
	ds_write_b128 v95, v[1:4]
	s_waitcnt lgkmcnt(0)
	s_barrier
	buffer_gl0_inv
	v_cmpx_gt_u32_e32 22, v0
	s_cbranch_execz .LBB108_103
; %bb.100:
	v_mov_b32_e32 v1, 0
	v_mov_b32_e32 v3, 0
	v_add_nc_u32_e32 v97, -1, v0
	v_add_nc_u32_e32 v98, 0x2d0, v101
	v_mov_b32_e32 v2, 0
	v_mov_b32_e32 v4, 0
	v_add_nc_u32_e32 v99, 16, v101
	s_mov_b32 s5, 0
	.p2align	6
.LBB108_101:                            ; =>This Inner Loop Header: Depth=1
	s_clause 0x3
	buffer_load_dword v106, v99, s[0:3], 0 offen offset:8
	buffer_load_dword v107, v99, s[0:3], 0 offen offset:12
	buffer_load_dword v108, v99, s[0:3], 0 offen
	buffer_load_dword v109, v99, s[0:3], 0 offen offset:4
	ds_read_b128 v[102:105], v98
	v_add_nc_u32_e32 v97, 1, v97
	v_add_nc_u32_e32 v98, 16, v98
	;; [unrolled: 1-line block ×3, first 2 shown]
	v_cmp_lt_u32_e32 vcc_lo, 20, v97
	s_or_b32 s5, vcc_lo, s5
	s_waitcnt vmcnt(2) lgkmcnt(0)
	v_mul_f64 v[110:111], v[104:105], v[106:107]
	v_mul_f64 v[106:107], v[102:103], v[106:107]
	s_waitcnt vmcnt(0)
	v_fma_f64 v[102:103], v[102:103], v[108:109], -v[110:111]
	v_fma_f64 v[104:105], v[104:105], v[108:109], v[106:107]
	v_add_f64 v[3:4], v[3:4], v[102:103]
	v_add_f64 v[1:2], v[1:2], v[104:105]
	s_andn2_b32 exec_lo, exec_lo, s5
	s_cbranch_execnz .LBB108_101
; %bb.102:
	s_or_b32 exec_lo, exec_lo, s5
	v_mov_b32_e32 v97, 0
	ds_read_b128 v[97:100], v97 offset:352
	s_waitcnt lgkmcnt(0)
	v_mul_f64 v[102:103], v[1:2], v[99:100]
	v_mul_f64 v[99:100], v[3:4], v[99:100]
	v_fma_f64 v[3:4], v[3:4], v[97:98], -v[102:103]
	v_fma_f64 v[1:2], v[1:2], v[97:98], v[99:100]
	buffer_store_dword v4, off, s[0:3], 0 offset:372
	buffer_store_dword v3, off, s[0:3], 0 offset:368
	;; [unrolled: 1-line block ×4, first 2 shown]
.LBB108_103:
	s_or_b32 exec_lo, exec_lo, s4
	v_mov_b32_e32 v4, s34
	s_waitcnt_vscnt null, 0x0
	s_barrier
	buffer_gl0_inv
	s_mov_b32 s4, exec_lo
	s_clause 0x3
	buffer_load_dword v1, v4, s[0:3], 0 offen
	buffer_load_dword v2, v4, s[0:3], 0 offen offset:4
	buffer_load_dword v3, v4, s[0:3], 0 offen offset:8
	buffer_load_dword v4, v4, s[0:3], 0 offen offset:12
	s_waitcnt vmcnt(0)
	ds_write_b128 v95, v[1:4]
	s_waitcnt lgkmcnt(0)
	s_barrier
	buffer_gl0_inv
	v_cmpx_gt_u32_e32 23, v0
	s_cbranch_execz .LBB108_107
; %bb.104:
	v_mov_b32_e32 v1, 0
	v_mov_b32_e32 v3, 0
	v_add_nc_u32_e32 v97, -1, v0
	v_add_nc_u32_e32 v98, 0x2d0, v101
	v_mov_b32_e32 v2, 0
	v_mov_b32_e32 v4, 0
	v_add_nc_u32_e32 v99, 16, v101
	s_mov_b32 s5, 0
	.p2align	6
.LBB108_105:                            ; =>This Inner Loop Header: Depth=1
	s_clause 0x3
	buffer_load_dword v106, v99, s[0:3], 0 offen offset:8
	buffer_load_dword v107, v99, s[0:3], 0 offen offset:12
	buffer_load_dword v108, v99, s[0:3], 0 offen
	buffer_load_dword v109, v99, s[0:3], 0 offen offset:4
	ds_read_b128 v[102:105], v98
	v_add_nc_u32_e32 v97, 1, v97
	v_add_nc_u32_e32 v98, 16, v98
	;; [unrolled: 1-line block ×3, first 2 shown]
	v_cmp_lt_u32_e32 vcc_lo, 21, v97
	s_or_b32 s5, vcc_lo, s5
	s_waitcnt vmcnt(2) lgkmcnt(0)
	v_mul_f64 v[110:111], v[104:105], v[106:107]
	v_mul_f64 v[106:107], v[102:103], v[106:107]
	s_waitcnt vmcnt(0)
	v_fma_f64 v[102:103], v[102:103], v[108:109], -v[110:111]
	v_fma_f64 v[104:105], v[104:105], v[108:109], v[106:107]
	v_add_f64 v[3:4], v[3:4], v[102:103]
	v_add_f64 v[1:2], v[1:2], v[104:105]
	s_andn2_b32 exec_lo, exec_lo, s5
	s_cbranch_execnz .LBB108_105
; %bb.106:
	s_or_b32 exec_lo, exec_lo, s5
	v_mov_b32_e32 v97, 0
	ds_read_b128 v[97:100], v97 offset:368
	s_waitcnt lgkmcnt(0)
	v_mul_f64 v[102:103], v[1:2], v[99:100]
	v_mul_f64 v[99:100], v[3:4], v[99:100]
	v_fma_f64 v[3:4], v[3:4], v[97:98], -v[102:103]
	v_fma_f64 v[1:2], v[1:2], v[97:98], v[99:100]
	buffer_store_dword v4, off, s[0:3], 0 offset:388
	buffer_store_dword v3, off, s[0:3], 0 offset:384
	;; [unrolled: 1-line block ×4, first 2 shown]
.LBB108_107:
	s_or_b32 exec_lo, exec_lo, s4
	v_mov_b32_e32 v4, s33
	s_waitcnt_vscnt null, 0x0
	s_barrier
	buffer_gl0_inv
	s_mov_b32 s4, exec_lo
	s_clause 0x3
	buffer_load_dword v1, v4, s[0:3], 0 offen
	buffer_load_dword v2, v4, s[0:3], 0 offen offset:4
	buffer_load_dword v3, v4, s[0:3], 0 offen offset:8
	;; [unrolled: 1-line block ×3, first 2 shown]
	s_waitcnt vmcnt(0)
	ds_write_b128 v95, v[1:4]
	s_waitcnt lgkmcnt(0)
	s_barrier
	buffer_gl0_inv
	v_cmpx_gt_u32_e32 24, v0
	s_cbranch_execz .LBB108_111
; %bb.108:
	v_mov_b32_e32 v1, 0
	v_mov_b32_e32 v3, 0
	v_add_nc_u32_e32 v97, -1, v0
	v_add_nc_u32_e32 v98, 0x2d0, v101
	v_mov_b32_e32 v2, 0
	v_mov_b32_e32 v4, 0
	v_add_nc_u32_e32 v99, 16, v101
	s_mov_b32 s5, 0
	.p2align	6
.LBB108_109:                            ; =>This Inner Loop Header: Depth=1
	s_clause 0x3
	buffer_load_dword v106, v99, s[0:3], 0 offen offset:8
	buffer_load_dword v107, v99, s[0:3], 0 offen offset:12
	buffer_load_dword v108, v99, s[0:3], 0 offen
	buffer_load_dword v109, v99, s[0:3], 0 offen offset:4
	ds_read_b128 v[102:105], v98
	v_add_nc_u32_e32 v97, 1, v97
	v_add_nc_u32_e32 v98, 16, v98
	;; [unrolled: 1-line block ×3, first 2 shown]
	v_cmp_lt_u32_e32 vcc_lo, 22, v97
	s_or_b32 s5, vcc_lo, s5
	s_waitcnt vmcnt(2) lgkmcnt(0)
	v_mul_f64 v[110:111], v[104:105], v[106:107]
	v_mul_f64 v[106:107], v[102:103], v[106:107]
	s_waitcnt vmcnt(0)
	v_fma_f64 v[102:103], v[102:103], v[108:109], -v[110:111]
	v_fma_f64 v[104:105], v[104:105], v[108:109], v[106:107]
	v_add_f64 v[3:4], v[3:4], v[102:103]
	v_add_f64 v[1:2], v[1:2], v[104:105]
	s_andn2_b32 exec_lo, exec_lo, s5
	s_cbranch_execnz .LBB108_109
; %bb.110:
	s_or_b32 exec_lo, exec_lo, s5
	v_mov_b32_e32 v97, 0
	ds_read_b128 v[97:100], v97 offset:384
	s_waitcnt lgkmcnt(0)
	v_mul_f64 v[102:103], v[1:2], v[99:100]
	v_mul_f64 v[99:100], v[3:4], v[99:100]
	v_fma_f64 v[3:4], v[3:4], v[97:98], -v[102:103]
	v_fma_f64 v[1:2], v[1:2], v[97:98], v[99:100]
	buffer_store_dword v4, off, s[0:3], 0 offset:404
	buffer_store_dword v3, off, s[0:3], 0 offset:400
	;; [unrolled: 1-line block ×4, first 2 shown]
.LBB108_111:
	s_or_b32 exec_lo, exec_lo, s4
	v_mov_b32_e32 v4, s31
	s_waitcnt_vscnt null, 0x0
	s_barrier
	buffer_gl0_inv
	s_mov_b32 s4, exec_lo
	s_clause 0x3
	buffer_load_dword v1, v4, s[0:3], 0 offen
	buffer_load_dword v2, v4, s[0:3], 0 offen offset:4
	buffer_load_dword v3, v4, s[0:3], 0 offen offset:8
	;; [unrolled: 1-line block ×3, first 2 shown]
	s_waitcnt vmcnt(0)
	ds_write_b128 v95, v[1:4]
	s_waitcnt lgkmcnt(0)
	s_barrier
	buffer_gl0_inv
	v_cmpx_gt_u32_e32 25, v0
	s_cbranch_execz .LBB108_115
; %bb.112:
	v_mov_b32_e32 v1, 0
	v_mov_b32_e32 v3, 0
	v_add_nc_u32_e32 v97, -1, v0
	v_add_nc_u32_e32 v98, 0x2d0, v101
	v_mov_b32_e32 v2, 0
	v_mov_b32_e32 v4, 0
	v_add_nc_u32_e32 v99, 16, v101
	s_mov_b32 s5, 0
	.p2align	6
.LBB108_113:                            ; =>This Inner Loop Header: Depth=1
	s_clause 0x3
	buffer_load_dword v106, v99, s[0:3], 0 offen offset:8
	buffer_load_dword v107, v99, s[0:3], 0 offen offset:12
	buffer_load_dword v108, v99, s[0:3], 0 offen
	buffer_load_dword v109, v99, s[0:3], 0 offen offset:4
	ds_read_b128 v[102:105], v98
	v_add_nc_u32_e32 v97, 1, v97
	v_add_nc_u32_e32 v98, 16, v98
	;; [unrolled: 1-line block ×3, first 2 shown]
	v_cmp_lt_u32_e32 vcc_lo, 23, v97
	s_or_b32 s5, vcc_lo, s5
	s_waitcnt vmcnt(2) lgkmcnt(0)
	v_mul_f64 v[110:111], v[104:105], v[106:107]
	v_mul_f64 v[106:107], v[102:103], v[106:107]
	s_waitcnt vmcnt(0)
	v_fma_f64 v[102:103], v[102:103], v[108:109], -v[110:111]
	v_fma_f64 v[104:105], v[104:105], v[108:109], v[106:107]
	v_add_f64 v[3:4], v[3:4], v[102:103]
	v_add_f64 v[1:2], v[1:2], v[104:105]
	s_andn2_b32 exec_lo, exec_lo, s5
	s_cbranch_execnz .LBB108_113
; %bb.114:
	s_or_b32 exec_lo, exec_lo, s5
	v_mov_b32_e32 v97, 0
	ds_read_b128 v[97:100], v97 offset:400
	s_waitcnt lgkmcnt(0)
	v_mul_f64 v[102:103], v[1:2], v[99:100]
	v_mul_f64 v[99:100], v[3:4], v[99:100]
	v_fma_f64 v[3:4], v[3:4], v[97:98], -v[102:103]
	v_fma_f64 v[1:2], v[1:2], v[97:98], v[99:100]
	buffer_store_dword v4, off, s[0:3], 0 offset:420
	buffer_store_dword v3, off, s[0:3], 0 offset:416
	;; [unrolled: 1-line block ×4, first 2 shown]
.LBB108_115:
	s_or_b32 exec_lo, exec_lo, s4
	v_mov_b32_e32 v4, s30
	s_waitcnt_vscnt null, 0x0
	s_barrier
	buffer_gl0_inv
	s_mov_b32 s4, exec_lo
	s_clause 0x3
	buffer_load_dword v1, v4, s[0:3], 0 offen
	buffer_load_dword v2, v4, s[0:3], 0 offen offset:4
	buffer_load_dword v3, v4, s[0:3], 0 offen offset:8
	;; [unrolled: 1-line block ×3, first 2 shown]
	s_waitcnt vmcnt(0)
	ds_write_b128 v95, v[1:4]
	s_waitcnt lgkmcnt(0)
	s_barrier
	buffer_gl0_inv
	v_cmpx_gt_u32_e32 26, v0
	s_cbranch_execz .LBB108_119
; %bb.116:
	v_mov_b32_e32 v1, 0
	v_mov_b32_e32 v3, 0
	v_add_nc_u32_e32 v97, -1, v0
	v_add_nc_u32_e32 v98, 0x2d0, v101
	v_mov_b32_e32 v2, 0
	v_mov_b32_e32 v4, 0
	v_add_nc_u32_e32 v99, 16, v101
	s_mov_b32 s5, 0
	.p2align	6
.LBB108_117:                            ; =>This Inner Loop Header: Depth=1
	s_clause 0x3
	buffer_load_dword v106, v99, s[0:3], 0 offen offset:8
	buffer_load_dword v107, v99, s[0:3], 0 offen offset:12
	buffer_load_dword v108, v99, s[0:3], 0 offen
	buffer_load_dword v109, v99, s[0:3], 0 offen offset:4
	ds_read_b128 v[102:105], v98
	v_add_nc_u32_e32 v97, 1, v97
	v_add_nc_u32_e32 v98, 16, v98
	;; [unrolled: 1-line block ×3, first 2 shown]
	v_cmp_lt_u32_e32 vcc_lo, 24, v97
	s_or_b32 s5, vcc_lo, s5
	s_waitcnt vmcnt(2) lgkmcnt(0)
	v_mul_f64 v[110:111], v[104:105], v[106:107]
	v_mul_f64 v[106:107], v[102:103], v[106:107]
	s_waitcnt vmcnt(0)
	v_fma_f64 v[102:103], v[102:103], v[108:109], -v[110:111]
	v_fma_f64 v[104:105], v[104:105], v[108:109], v[106:107]
	v_add_f64 v[3:4], v[3:4], v[102:103]
	v_add_f64 v[1:2], v[1:2], v[104:105]
	s_andn2_b32 exec_lo, exec_lo, s5
	s_cbranch_execnz .LBB108_117
; %bb.118:
	s_or_b32 exec_lo, exec_lo, s5
	v_mov_b32_e32 v97, 0
	ds_read_b128 v[97:100], v97 offset:416
	s_waitcnt lgkmcnt(0)
	v_mul_f64 v[102:103], v[1:2], v[99:100]
	v_mul_f64 v[99:100], v[3:4], v[99:100]
	v_fma_f64 v[3:4], v[3:4], v[97:98], -v[102:103]
	v_fma_f64 v[1:2], v[1:2], v[97:98], v[99:100]
	buffer_store_dword v4, off, s[0:3], 0 offset:436
	buffer_store_dword v3, off, s[0:3], 0 offset:432
	;; [unrolled: 1-line block ×4, first 2 shown]
.LBB108_119:
	s_or_b32 exec_lo, exec_lo, s4
	v_mov_b32_e32 v4, s29
	s_waitcnt_vscnt null, 0x0
	s_barrier
	buffer_gl0_inv
	s_mov_b32 s4, exec_lo
	s_clause 0x3
	buffer_load_dword v1, v4, s[0:3], 0 offen
	buffer_load_dword v2, v4, s[0:3], 0 offen offset:4
	buffer_load_dword v3, v4, s[0:3], 0 offen offset:8
	buffer_load_dword v4, v4, s[0:3], 0 offen offset:12
	s_waitcnt vmcnt(0)
	ds_write_b128 v95, v[1:4]
	s_waitcnt lgkmcnt(0)
	s_barrier
	buffer_gl0_inv
	v_cmpx_gt_u32_e32 27, v0
	s_cbranch_execz .LBB108_123
; %bb.120:
	v_mov_b32_e32 v1, 0
	v_mov_b32_e32 v3, 0
	v_add_nc_u32_e32 v97, -1, v0
	v_add_nc_u32_e32 v98, 0x2d0, v101
	v_mov_b32_e32 v2, 0
	v_mov_b32_e32 v4, 0
	v_add_nc_u32_e32 v99, 16, v101
	s_mov_b32 s5, 0
	.p2align	6
.LBB108_121:                            ; =>This Inner Loop Header: Depth=1
	s_clause 0x3
	buffer_load_dword v106, v99, s[0:3], 0 offen offset:8
	buffer_load_dword v107, v99, s[0:3], 0 offen offset:12
	buffer_load_dword v108, v99, s[0:3], 0 offen
	buffer_load_dword v109, v99, s[0:3], 0 offen offset:4
	ds_read_b128 v[102:105], v98
	v_add_nc_u32_e32 v97, 1, v97
	v_add_nc_u32_e32 v98, 16, v98
	;; [unrolled: 1-line block ×3, first 2 shown]
	v_cmp_lt_u32_e32 vcc_lo, 25, v97
	s_or_b32 s5, vcc_lo, s5
	s_waitcnt vmcnt(2) lgkmcnt(0)
	v_mul_f64 v[110:111], v[104:105], v[106:107]
	v_mul_f64 v[106:107], v[102:103], v[106:107]
	s_waitcnt vmcnt(0)
	v_fma_f64 v[102:103], v[102:103], v[108:109], -v[110:111]
	v_fma_f64 v[104:105], v[104:105], v[108:109], v[106:107]
	v_add_f64 v[3:4], v[3:4], v[102:103]
	v_add_f64 v[1:2], v[1:2], v[104:105]
	s_andn2_b32 exec_lo, exec_lo, s5
	s_cbranch_execnz .LBB108_121
; %bb.122:
	s_or_b32 exec_lo, exec_lo, s5
	v_mov_b32_e32 v97, 0
	ds_read_b128 v[97:100], v97 offset:432
	s_waitcnt lgkmcnt(0)
	v_mul_f64 v[102:103], v[1:2], v[99:100]
	v_mul_f64 v[99:100], v[3:4], v[99:100]
	v_fma_f64 v[3:4], v[3:4], v[97:98], -v[102:103]
	v_fma_f64 v[1:2], v[1:2], v[97:98], v[99:100]
	buffer_store_dword v4, off, s[0:3], 0 offset:452
	buffer_store_dword v3, off, s[0:3], 0 offset:448
	;; [unrolled: 1-line block ×4, first 2 shown]
.LBB108_123:
	s_or_b32 exec_lo, exec_lo, s4
	v_mov_b32_e32 v4, s28
	s_waitcnt_vscnt null, 0x0
	s_barrier
	buffer_gl0_inv
	s_mov_b32 s4, exec_lo
	s_clause 0x3
	buffer_load_dword v1, v4, s[0:3], 0 offen
	buffer_load_dword v2, v4, s[0:3], 0 offen offset:4
	buffer_load_dword v3, v4, s[0:3], 0 offen offset:8
	buffer_load_dword v4, v4, s[0:3], 0 offen offset:12
	s_waitcnt vmcnt(0)
	ds_write_b128 v95, v[1:4]
	s_waitcnt lgkmcnt(0)
	s_barrier
	buffer_gl0_inv
	v_cmpx_gt_u32_e32 28, v0
	s_cbranch_execz .LBB108_127
; %bb.124:
	v_mov_b32_e32 v1, 0
	v_mov_b32_e32 v3, 0
	v_add_nc_u32_e32 v97, -1, v0
	v_add_nc_u32_e32 v98, 0x2d0, v101
	v_mov_b32_e32 v2, 0
	v_mov_b32_e32 v4, 0
	v_add_nc_u32_e32 v99, 16, v101
	s_mov_b32 s5, 0
	.p2align	6
.LBB108_125:                            ; =>This Inner Loop Header: Depth=1
	s_clause 0x3
	buffer_load_dword v106, v99, s[0:3], 0 offen offset:8
	buffer_load_dword v107, v99, s[0:3], 0 offen offset:12
	buffer_load_dword v108, v99, s[0:3], 0 offen
	buffer_load_dword v109, v99, s[0:3], 0 offen offset:4
	ds_read_b128 v[102:105], v98
	v_add_nc_u32_e32 v97, 1, v97
	v_add_nc_u32_e32 v98, 16, v98
	v_add_nc_u32_e32 v99, 16, v99
	v_cmp_lt_u32_e32 vcc_lo, 26, v97
	s_or_b32 s5, vcc_lo, s5
	s_waitcnt vmcnt(2) lgkmcnt(0)
	v_mul_f64 v[110:111], v[104:105], v[106:107]
	v_mul_f64 v[106:107], v[102:103], v[106:107]
	s_waitcnt vmcnt(0)
	v_fma_f64 v[102:103], v[102:103], v[108:109], -v[110:111]
	v_fma_f64 v[104:105], v[104:105], v[108:109], v[106:107]
	v_add_f64 v[3:4], v[3:4], v[102:103]
	v_add_f64 v[1:2], v[1:2], v[104:105]
	s_andn2_b32 exec_lo, exec_lo, s5
	s_cbranch_execnz .LBB108_125
; %bb.126:
	s_or_b32 exec_lo, exec_lo, s5
	v_mov_b32_e32 v97, 0
	ds_read_b128 v[97:100], v97 offset:448
	s_waitcnt lgkmcnt(0)
	v_mul_f64 v[102:103], v[1:2], v[99:100]
	v_mul_f64 v[99:100], v[3:4], v[99:100]
	v_fma_f64 v[3:4], v[3:4], v[97:98], -v[102:103]
	v_fma_f64 v[1:2], v[1:2], v[97:98], v[99:100]
	buffer_store_dword v4, off, s[0:3], 0 offset:468
	buffer_store_dword v3, off, s[0:3], 0 offset:464
	;; [unrolled: 1-line block ×4, first 2 shown]
.LBB108_127:
	s_or_b32 exec_lo, exec_lo, s4
	v_mov_b32_e32 v4, s27
	s_waitcnt_vscnt null, 0x0
	s_barrier
	buffer_gl0_inv
	s_mov_b32 s4, exec_lo
	s_clause 0x3
	buffer_load_dword v1, v4, s[0:3], 0 offen
	buffer_load_dword v2, v4, s[0:3], 0 offen offset:4
	buffer_load_dword v3, v4, s[0:3], 0 offen offset:8
	;; [unrolled: 1-line block ×3, first 2 shown]
	s_waitcnt vmcnt(0)
	ds_write_b128 v95, v[1:4]
	s_waitcnt lgkmcnt(0)
	s_barrier
	buffer_gl0_inv
	v_cmpx_gt_u32_e32 29, v0
	s_cbranch_execz .LBB108_131
; %bb.128:
	v_mov_b32_e32 v1, 0
	v_mov_b32_e32 v3, 0
	v_add_nc_u32_e32 v97, -1, v0
	v_add_nc_u32_e32 v98, 0x2d0, v101
	v_mov_b32_e32 v2, 0
	v_mov_b32_e32 v4, 0
	v_add_nc_u32_e32 v99, 16, v101
	s_mov_b32 s5, 0
	.p2align	6
.LBB108_129:                            ; =>This Inner Loop Header: Depth=1
	s_clause 0x3
	buffer_load_dword v106, v99, s[0:3], 0 offen offset:8
	buffer_load_dword v107, v99, s[0:3], 0 offen offset:12
	buffer_load_dword v108, v99, s[0:3], 0 offen
	buffer_load_dword v109, v99, s[0:3], 0 offen offset:4
	ds_read_b128 v[102:105], v98
	v_add_nc_u32_e32 v97, 1, v97
	v_add_nc_u32_e32 v98, 16, v98
	;; [unrolled: 1-line block ×3, first 2 shown]
	v_cmp_lt_u32_e32 vcc_lo, 27, v97
	s_or_b32 s5, vcc_lo, s5
	s_waitcnt vmcnt(2) lgkmcnt(0)
	v_mul_f64 v[110:111], v[104:105], v[106:107]
	v_mul_f64 v[106:107], v[102:103], v[106:107]
	s_waitcnt vmcnt(0)
	v_fma_f64 v[102:103], v[102:103], v[108:109], -v[110:111]
	v_fma_f64 v[104:105], v[104:105], v[108:109], v[106:107]
	v_add_f64 v[3:4], v[3:4], v[102:103]
	v_add_f64 v[1:2], v[1:2], v[104:105]
	s_andn2_b32 exec_lo, exec_lo, s5
	s_cbranch_execnz .LBB108_129
; %bb.130:
	s_or_b32 exec_lo, exec_lo, s5
	v_mov_b32_e32 v97, 0
	ds_read_b128 v[97:100], v97 offset:464
	s_waitcnt lgkmcnt(0)
	v_mul_f64 v[102:103], v[1:2], v[99:100]
	v_mul_f64 v[99:100], v[3:4], v[99:100]
	v_fma_f64 v[3:4], v[3:4], v[97:98], -v[102:103]
	v_fma_f64 v[1:2], v[1:2], v[97:98], v[99:100]
	buffer_store_dword v4, off, s[0:3], 0 offset:484
	buffer_store_dword v3, off, s[0:3], 0 offset:480
	;; [unrolled: 1-line block ×4, first 2 shown]
.LBB108_131:
	s_or_b32 exec_lo, exec_lo, s4
	v_mov_b32_e32 v4, s26
	s_waitcnt_vscnt null, 0x0
	s_barrier
	buffer_gl0_inv
	s_mov_b32 s4, exec_lo
	s_clause 0x3
	buffer_load_dword v1, v4, s[0:3], 0 offen
	buffer_load_dword v2, v4, s[0:3], 0 offen offset:4
	buffer_load_dword v3, v4, s[0:3], 0 offen offset:8
	;; [unrolled: 1-line block ×3, first 2 shown]
	s_waitcnt vmcnt(0)
	ds_write_b128 v95, v[1:4]
	s_waitcnt lgkmcnt(0)
	s_barrier
	buffer_gl0_inv
	v_cmpx_gt_u32_e32 30, v0
	s_cbranch_execz .LBB108_135
; %bb.132:
	v_mov_b32_e32 v1, 0
	v_mov_b32_e32 v3, 0
	v_add_nc_u32_e32 v97, -1, v0
	v_add_nc_u32_e32 v98, 0x2d0, v101
	v_mov_b32_e32 v2, 0
	v_mov_b32_e32 v4, 0
	v_add_nc_u32_e32 v99, 16, v101
	s_mov_b32 s5, 0
	.p2align	6
.LBB108_133:                            ; =>This Inner Loop Header: Depth=1
	s_clause 0x3
	buffer_load_dword v106, v99, s[0:3], 0 offen offset:8
	buffer_load_dword v107, v99, s[0:3], 0 offen offset:12
	buffer_load_dword v108, v99, s[0:3], 0 offen
	buffer_load_dword v109, v99, s[0:3], 0 offen offset:4
	ds_read_b128 v[102:105], v98
	v_add_nc_u32_e32 v97, 1, v97
	v_add_nc_u32_e32 v98, 16, v98
	;; [unrolled: 1-line block ×3, first 2 shown]
	v_cmp_lt_u32_e32 vcc_lo, 28, v97
	s_or_b32 s5, vcc_lo, s5
	s_waitcnt vmcnt(2) lgkmcnt(0)
	v_mul_f64 v[110:111], v[104:105], v[106:107]
	v_mul_f64 v[106:107], v[102:103], v[106:107]
	s_waitcnt vmcnt(0)
	v_fma_f64 v[102:103], v[102:103], v[108:109], -v[110:111]
	v_fma_f64 v[104:105], v[104:105], v[108:109], v[106:107]
	v_add_f64 v[3:4], v[3:4], v[102:103]
	v_add_f64 v[1:2], v[1:2], v[104:105]
	s_andn2_b32 exec_lo, exec_lo, s5
	s_cbranch_execnz .LBB108_133
; %bb.134:
	s_or_b32 exec_lo, exec_lo, s5
	v_mov_b32_e32 v97, 0
	ds_read_b128 v[97:100], v97 offset:480
	s_waitcnt lgkmcnt(0)
	v_mul_f64 v[102:103], v[1:2], v[99:100]
	v_mul_f64 v[99:100], v[3:4], v[99:100]
	v_fma_f64 v[3:4], v[3:4], v[97:98], -v[102:103]
	v_fma_f64 v[1:2], v[1:2], v[97:98], v[99:100]
	buffer_store_dword v4, off, s[0:3], 0 offset:500
	buffer_store_dword v3, off, s[0:3], 0 offset:496
	buffer_store_dword v2, off, s[0:3], 0 offset:508
	buffer_store_dword v1, off, s[0:3], 0 offset:504
.LBB108_135:
	s_or_b32 exec_lo, exec_lo, s4
	v_mov_b32_e32 v4, s25
	s_waitcnt_vscnt null, 0x0
	s_barrier
	buffer_gl0_inv
	s_mov_b32 s4, exec_lo
	s_clause 0x3
	buffer_load_dword v1, v4, s[0:3], 0 offen
	buffer_load_dword v2, v4, s[0:3], 0 offen offset:4
	buffer_load_dword v3, v4, s[0:3], 0 offen offset:8
	;; [unrolled: 1-line block ×3, first 2 shown]
	s_waitcnt vmcnt(0)
	ds_write_b128 v95, v[1:4]
	s_waitcnt lgkmcnt(0)
	s_barrier
	buffer_gl0_inv
	v_cmpx_gt_u32_e32 31, v0
	s_cbranch_execz .LBB108_139
; %bb.136:
	v_mov_b32_e32 v1, 0
	v_mov_b32_e32 v3, 0
	v_add_nc_u32_e32 v97, -1, v0
	v_add_nc_u32_e32 v98, 0x2d0, v101
	v_mov_b32_e32 v2, 0
	v_mov_b32_e32 v4, 0
	v_add_nc_u32_e32 v99, 16, v101
	s_mov_b32 s5, 0
	.p2align	6
.LBB108_137:                            ; =>This Inner Loop Header: Depth=1
	s_clause 0x3
	buffer_load_dword v106, v99, s[0:3], 0 offen offset:8
	buffer_load_dword v107, v99, s[0:3], 0 offen offset:12
	buffer_load_dword v108, v99, s[0:3], 0 offen
	buffer_load_dword v109, v99, s[0:3], 0 offen offset:4
	ds_read_b128 v[102:105], v98
	v_add_nc_u32_e32 v97, 1, v97
	v_add_nc_u32_e32 v98, 16, v98
	;; [unrolled: 1-line block ×3, first 2 shown]
	v_cmp_lt_u32_e32 vcc_lo, 29, v97
	s_or_b32 s5, vcc_lo, s5
	s_waitcnt vmcnt(2) lgkmcnt(0)
	v_mul_f64 v[110:111], v[104:105], v[106:107]
	v_mul_f64 v[106:107], v[102:103], v[106:107]
	s_waitcnt vmcnt(0)
	v_fma_f64 v[102:103], v[102:103], v[108:109], -v[110:111]
	v_fma_f64 v[104:105], v[104:105], v[108:109], v[106:107]
	v_add_f64 v[3:4], v[3:4], v[102:103]
	v_add_f64 v[1:2], v[1:2], v[104:105]
	s_andn2_b32 exec_lo, exec_lo, s5
	s_cbranch_execnz .LBB108_137
; %bb.138:
	s_or_b32 exec_lo, exec_lo, s5
	v_mov_b32_e32 v97, 0
	ds_read_b128 v[97:100], v97 offset:496
	s_waitcnt lgkmcnt(0)
	v_mul_f64 v[102:103], v[1:2], v[99:100]
	v_mul_f64 v[99:100], v[3:4], v[99:100]
	v_fma_f64 v[3:4], v[3:4], v[97:98], -v[102:103]
	v_fma_f64 v[1:2], v[1:2], v[97:98], v[99:100]
	buffer_store_dword v4, off, s[0:3], 0 offset:516
	buffer_store_dword v3, off, s[0:3], 0 offset:512
	;; [unrolled: 1-line block ×4, first 2 shown]
.LBB108_139:
	s_or_b32 exec_lo, exec_lo, s4
	v_mov_b32_e32 v4, s24
	s_waitcnt_vscnt null, 0x0
	s_barrier
	buffer_gl0_inv
	s_mov_b32 s4, exec_lo
	s_clause 0x3
	buffer_load_dword v1, v4, s[0:3], 0 offen
	buffer_load_dword v2, v4, s[0:3], 0 offen offset:4
	buffer_load_dword v3, v4, s[0:3], 0 offen offset:8
	;; [unrolled: 1-line block ×3, first 2 shown]
	s_waitcnt vmcnt(0)
	ds_write_b128 v95, v[1:4]
	s_waitcnt lgkmcnt(0)
	s_barrier
	buffer_gl0_inv
	v_cmpx_gt_u32_e32 32, v0
	s_cbranch_execz .LBB108_143
; %bb.140:
	v_mov_b32_e32 v1, 0
	v_mov_b32_e32 v3, 0
	v_add_nc_u32_e32 v97, -1, v0
	v_add_nc_u32_e32 v98, 0x2d0, v101
	v_mov_b32_e32 v2, 0
	v_mov_b32_e32 v4, 0
	v_add_nc_u32_e32 v99, 16, v101
	s_mov_b32 s5, 0
	.p2align	6
.LBB108_141:                            ; =>This Inner Loop Header: Depth=1
	s_clause 0x3
	buffer_load_dword v106, v99, s[0:3], 0 offen offset:8
	buffer_load_dword v107, v99, s[0:3], 0 offen offset:12
	buffer_load_dword v108, v99, s[0:3], 0 offen
	buffer_load_dword v109, v99, s[0:3], 0 offen offset:4
	ds_read_b128 v[102:105], v98
	v_add_nc_u32_e32 v97, 1, v97
	v_add_nc_u32_e32 v98, 16, v98
	v_add_nc_u32_e32 v99, 16, v99
	v_cmp_lt_u32_e32 vcc_lo, 30, v97
	s_or_b32 s5, vcc_lo, s5
	s_waitcnt vmcnt(2) lgkmcnt(0)
	v_mul_f64 v[110:111], v[104:105], v[106:107]
	v_mul_f64 v[106:107], v[102:103], v[106:107]
	s_waitcnt vmcnt(0)
	v_fma_f64 v[102:103], v[102:103], v[108:109], -v[110:111]
	v_fma_f64 v[104:105], v[104:105], v[108:109], v[106:107]
	v_add_f64 v[3:4], v[3:4], v[102:103]
	v_add_f64 v[1:2], v[1:2], v[104:105]
	s_andn2_b32 exec_lo, exec_lo, s5
	s_cbranch_execnz .LBB108_141
; %bb.142:
	s_or_b32 exec_lo, exec_lo, s5
	v_mov_b32_e32 v97, 0
	ds_read_b128 v[97:100], v97 offset:512
	s_waitcnt lgkmcnt(0)
	v_mul_f64 v[102:103], v[1:2], v[99:100]
	v_mul_f64 v[99:100], v[3:4], v[99:100]
	v_fma_f64 v[3:4], v[3:4], v[97:98], -v[102:103]
	v_fma_f64 v[1:2], v[1:2], v[97:98], v[99:100]
	buffer_store_dword v4, off, s[0:3], 0 offset:532
	buffer_store_dword v3, off, s[0:3], 0 offset:528
	;; [unrolled: 1-line block ×4, first 2 shown]
.LBB108_143:
	s_or_b32 exec_lo, exec_lo, s4
	v_mov_b32_e32 v4, s23
	s_waitcnt_vscnt null, 0x0
	s_barrier
	buffer_gl0_inv
	s_mov_b32 s4, exec_lo
	s_clause 0x3
	buffer_load_dword v1, v4, s[0:3], 0 offen
	buffer_load_dword v2, v4, s[0:3], 0 offen offset:4
	buffer_load_dword v3, v4, s[0:3], 0 offen offset:8
	;; [unrolled: 1-line block ×3, first 2 shown]
	s_waitcnt vmcnt(0)
	ds_write_b128 v95, v[1:4]
	s_waitcnt lgkmcnt(0)
	s_barrier
	buffer_gl0_inv
	v_cmpx_gt_u32_e32 33, v0
	s_cbranch_execz .LBB108_147
; %bb.144:
	v_mov_b32_e32 v1, 0
	v_mov_b32_e32 v3, 0
	v_add_nc_u32_e32 v97, -1, v0
	v_add_nc_u32_e32 v98, 0x2d0, v101
	v_mov_b32_e32 v2, 0
	v_mov_b32_e32 v4, 0
	v_add_nc_u32_e32 v99, 16, v101
	s_mov_b32 s5, 0
	.p2align	6
.LBB108_145:                            ; =>This Inner Loop Header: Depth=1
	s_clause 0x3
	buffer_load_dword v106, v99, s[0:3], 0 offen offset:8
	buffer_load_dword v107, v99, s[0:3], 0 offen offset:12
	buffer_load_dword v108, v99, s[0:3], 0 offen
	buffer_load_dword v109, v99, s[0:3], 0 offen offset:4
	ds_read_b128 v[102:105], v98
	v_add_nc_u32_e32 v97, 1, v97
	v_add_nc_u32_e32 v98, 16, v98
	;; [unrolled: 1-line block ×3, first 2 shown]
	v_cmp_lt_u32_e32 vcc_lo, 31, v97
	s_or_b32 s5, vcc_lo, s5
	s_waitcnt vmcnt(2) lgkmcnt(0)
	v_mul_f64 v[110:111], v[104:105], v[106:107]
	v_mul_f64 v[106:107], v[102:103], v[106:107]
	s_waitcnt vmcnt(0)
	v_fma_f64 v[102:103], v[102:103], v[108:109], -v[110:111]
	v_fma_f64 v[104:105], v[104:105], v[108:109], v[106:107]
	v_add_f64 v[3:4], v[3:4], v[102:103]
	v_add_f64 v[1:2], v[1:2], v[104:105]
	s_andn2_b32 exec_lo, exec_lo, s5
	s_cbranch_execnz .LBB108_145
; %bb.146:
	s_or_b32 exec_lo, exec_lo, s5
	v_mov_b32_e32 v97, 0
	ds_read_b128 v[97:100], v97 offset:528
	s_waitcnt lgkmcnt(0)
	v_mul_f64 v[102:103], v[1:2], v[99:100]
	v_mul_f64 v[99:100], v[3:4], v[99:100]
	v_fma_f64 v[3:4], v[3:4], v[97:98], -v[102:103]
	v_fma_f64 v[1:2], v[1:2], v[97:98], v[99:100]
	buffer_store_dword v4, off, s[0:3], 0 offset:548
	buffer_store_dword v3, off, s[0:3], 0 offset:544
	;; [unrolled: 1-line block ×4, first 2 shown]
.LBB108_147:
	s_or_b32 exec_lo, exec_lo, s4
	v_mov_b32_e32 v4, s22
	s_waitcnt_vscnt null, 0x0
	s_barrier
	buffer_gl0_inv
	s_mov_b32 s4, exec_lo
	s_clause 0x3
	buffer_load_dword v1, v4, s[0:3], 0 offen
	buffer_load_dword v2, v4, s[0:3], 0 offen offset:4
	buffer_load_dword v3, v4, s[0:3], 0 offen offset:8
	buffer_load_dword v4, v4, s[0:3], 0 offen offset:12
	s_waitcnt vmcnt(0)
	ds_write_b128 v95, v[1:4]
	s_waitcnt lgkmcnt(0)
	s_barrier
	buffer_gl0_inv
	v_cmpx_gt_u32_e32 34, v0
	s_cbranch_execz .LBB108_151
; %bb.148:
	v_mov_b32_e32 v1, 0
	v_mov_b32_e32 v3, 0
	v_add_nc_u32_e32 v97, -1, v0
	v_add_nc_u32_e32 v98, 0x2d0, v101
	v_mov_b32_e32 v2, 0
	v_mov_b32_e32 v4, 0
	v_add_nc_u32_e32 v99, 16, v101
	s_mov_b32 s5, 0
	.p2align	6
.LBB108_149:                            ; =>This Inner Loop Header: Depth=1
	s_clause 0x3
	buffer_load_dword v106, v99, s[0:3], 0 offen offset:8
	buffer_load_dword v107, v99, s[0:3], 0 offen offset:12
	buffer_load_dword v108, v99, s[0:3], 0 offen
	buffer_load_dword v109, v99, s[0:3], 0 offen offset:4
	ds_read_b128 v[102:105], v98
	v_add_nc_u32_e32 v97, 1, v97
	v_add_nc_u32_e32 v98, 16, v98
	;; [unrolled: 1-line block ×3, first 2 shown]
	v_cmp_lt_u32_e32 vcc_lo, 32, v97
	s_or_b32 s5, vcc_lo, s5
	s_waitcnt vmcnt(2) lgkmcnt(0)
	v_mul_f64 v[110:111], v[104:105], v[106:107]
	v_mul_f64 v[106:107], v[102:103], v[106:107]
	s_waitcnt vmcnt(0)
	v_fma_f64 v[102:103], v[102:103], v[108:109], -v[110:111]
	v_fma_f64 v[104:105], v[104:105], v[108:109], v[106:107]
	v_add_f64 v[3:4], v[3:4], v[102:103]
	v_add_f64 v[1:2], v[1:2], v[104:105]
	s_andn2_b32 exec_lo, exec_lo, s5
	s_cbranch_execnz .LBB108_149
; %bb.150:
	s_or_b32 exec_lo, exec_lo, s5
	v_mov_b32_e32 v97, 0
	ds_read_b128 v[97:100], v97 offset:544
	s_waitcnt lgkmcnt(0)
	v_mul_f64 v[102:103], v[1:2], v[99:100]
	v_mul_f64 v[99:100], v[3:4], v[99:100]
	v_fma_f64 v[3:4], v[3:4], v[97:98], -v[102:103]
	v_fma_f64 v[1:2], v[1:2], v[97:98], v[99:100]
	buffer_store_dword v4, off, s[0:3], 0 offset:564
	buffer_store_dword v3, off, s[0:3], 0 offset:560
	;; [unrolled: 1-line block ×4, first 2 shown]
.LBB108_151:
	s_or_b32 exec_lo, exec_lo, s4
	v_mov_b32_e32 v4, s21
	s_waitcnt_vscnt null, 0x0
	s_barrier
	buffer_gl0_inv
	s_mov_b32 s4, exec_lo
	s_clause 0x3
	buffer_load_dword v1, v4, s[0:3], 0 offen
	buffer_load_dword v2, v4, s[0:3], 0 offen offset:4
	buffer_load_dword v3, v4, s[0:3], 0 offen offset:8
	;; [unrolled: 1-line block ×3, first 2 shown]
	s_waitcnt vmcnt(0)
	ds_write_b128 v95, v[1:4]
	s_waitcnt lgkmcnt(0)
	s_barrier
	buffer_gl0_inv
	v_cmpx_gt_u32_e32 35, v0
	s_cbranch_execz .LBB108_155
; %bb.152:
	v_mov_b32_e32 v1, 0
	v_mov_b32_e32 v3, 0
	v_add_nc_u32_e32 v97, -1, v0
	v_add_nc_u32_e32 v98, 0x2d0, v101
	v_mov_b32_e32 v2, 0
	v_mov_b32_e32 v4, 0
	v_add_nc_u32_e32 v99, 16, v101
	s_mov_b32 s5, 0
	.p2align	6
.LBB108_153:                            ; =>This Inner Loop Header: Depth=1
	s_clause 0x3
	buffer_load_dword v106, v99, s[0:3], 0 offen offset:8
	buffer_load_dword v107, v99, s[0:3], 0 offen offset:12
	buffer_load_dword v108, v99, s[0:3], 0 offen
	buffer_load_dword v109, v99, s[0:3], 0 offen offset:4
	ds_read_b128 v[102:105], v98
	v_add_nc_u32_e32 v97, 1, v97
	v_add_nc_u32_e32 v98, 16, v98
	v_add_nc_u32_e32 v99, 16, v99
	v_cmp_lt_u32_e32 vcc_lo, 33, v97
	s_or_b32 s5, vcc_lo, s5
	s_waitcnt vmcnt(2) lgkmcnt(0)
	v_mul_f64 v[110:111], v[104:105], v[106:107]
	v_mul_f64 v[106:107], v[102:103], v[106:107]
	s_waitcnt vmcnt(0)
	v_fma_f64 v[102:103], v[102:103], v[108:109], -v[110:111]
	v_fma_f64 v[104:105], v[104:105], v[108:109], v[106:107]
	v_add_f64 v[3:4], v[3:4], v[102:103]
	v_add_f64 v[1:2], v[1:2], v[104:105]
	s_andn2_b32 exec_lo, exec_lo, s5
	s_cbranch_execnz .LBB108_153
; %bb.154:
	s_or_b32 exec_lo, exec_lo, s5
	v_mov_b32_e32 v97, 0
	ds_read_b128 v[97:100], v97 offset:560
	s_waitcnt lgkmcnt(0)
	v_mul_f64 v[102:103], v[1:2], v[99:100]
	v_mul_f64 v[99:100], v[3:4], v[99:100]
	v_fma_f64 v[3:4], v[3:4], v[97:98], -v[102:103]
	v_fma_f64 v[1:2], v[1:2], v[97:98], v[99:100]
	buffer_store_dword v4, off, s[0:3], 0 offset:580
	buffer_store_dword v3, off, s[0:3], 0 offset:576
	;; [unrolled: 1-line block ×4, first 2 shown]
.LBB108_155:
	s_or_b32 exec_lo, exec_lo, s4
	v_mov_b32_e32 v4, s20
	s_waitcnt_vscnt null, 0x0
	s_barrier
	buffer_gl0_inv
	s_mov_b32 s4, exec_lo
	s_clause 0x3
	buffer_load_dword v1, v4, s[0:3], 0 offen
	buffer_load_dword v2, v4, s[0:3], 0 offen offset:4
	buffer_load_dword v3, v4, s[0:3], 0 offen offset:8
	;; [unrolled: 1-line block ×3, first 2 shown]
	s_waitcnt vmcnt(0)
	ds_write_b128 v95, v[1:4]
	s_waitcnt lgkmcnt(0)
	s_barrier
	buffer_gl0_inv
	v_cmpx_gt_u32_e32 36, v0
	s_cbranch_execz .LBB108_159
; %bb.156:
	v_mov_b32_e32 v1, 0
	v_mov_b32_e32 v3, 0
	v_add_nc_u32_e32 v97, -1, v0
	v_add_nc_u32_e32 v98, 0x2d0, v101
	v_mov_b32_e32 v2, 0
	v_mov_b32_e32 v4, 0
	v_add_nc_u32_e32 v99, 16, v101
	s_mov_b32 s5, 0
	.p2align	6
.LBB108_157:                            ; =>This Inner Loop Header: Depth=1
	s_clause 0x3
	buffer_load_dword v106, v99, s[0:3], 0 offen offset:8
	buffer_load_dword v107, v99, s[0:3], 0 offen offset:12
	buffer_load_dword v108, v99, s[0:3], 0 offen
	buffer_load_dword v109, v99, s[0:3], 0 offen offset:4
	ds_read_b128 v[102:105], v98
	v_add_nc_u32_e32 v97, 1, v97
	v_add_nc_u32_e32 v98, 16, v98
	;; [unrolled: 1-line block ×3, first 2 shown]
	v_cmp_lt_u32_e32 vcc_lo, 34, v97
	s_or_b32 s5, vcc_lo, s5
	s_waitcnt vmcnt(2) lgkmcnt(0)
	v_mul_f64 v[110:111], v[104:105], v[106:107]
	v_mul_f64 v[106:107], v[102:103], v[106:107]
	s_waitcnt vmcnt(0)
	v_fma_f64 v[102:103], v[102:103], v[108:109], -v[110:111]
	v_fma_f64 v[104:105], v[104:105], v[108:109], v[106:107]
	v_add_f64 v[3:4], v[3:4], v[102:103]
	v_add_f64 v[1:2], v[1:2], v[104:105]
	s_andn2_b32 exec_lo, exec_lo, s5
	s_cbranch_execnz .LBB108_157
; %bb.158:
	s_or_b32 exec_lo, exec_lo, s5
	v_mov_b32_e32 v97, 0
	ds_read_b128 v[97:100], v97 offset:576
	s_waitcnt lgkmcnt(0)
	v_mul_f64 v[102:103], v[1:2], v[99:100]
	v_mul_f64 v[99:100], v[3:4], v[99:100]
	v_fma_f64 v[3:4], v[3:4], v[97:98], -v[102:103]
	v_fma_f64 v[1:2], v[1:2], v[97:98], v[99:100]
	buffer_store_dword v4, off, s[0:3], 0 offset:596
	buffer_store_dword v3, off, s[0:3], 0 offset:592
	;; [unrolled: 1-line block ×4, first 2 shown]
.LBB108_159:
	s_or_b32 exec_lo, exec_lo, s4
	v_mov_b32_e32 v4, s19
	s_waitcnt_vscnt null, 0x0
	s_barrier
	buffer_gl0_inv
	s_mov_b32 s4, exec_lo
	s_clause 0x3
	buffer_load_dword v1, v4, s[0:3], 0 offen
	buffer_load_dword v2, v4, s[0:3], 0 offen offset:4
	buffer_load_dword v3, v4, s[0:3], 0 offen offset:8
	;; [unrolled: 1-line block ×3, first 2 shown]
	s_waitcnt vmcnt(0)
	ds_write_b128 v95, v[1:4]
	s_waitcnt lgkmcnt(0)
	s_barrier
	buffer_gl0_inv
	v_cmpx_gt_u32_e32 37, v0
	s_cbranch_execz .LBB108_163
; %bb.160:
	v_mov_b32_e32 v1, 0
	v_mov_b32_e32 v3, 0
	v_add_nc_u32_e32 v97, -1, v0
	v_add_nc_u32_e32 v98, 0x2d0, v101
	v_mov_b32_e32 v2, 0
	v_mov_b32_e32 v4, 0
	v_add_nc_u32_e32 v99, 16, v101
	s_mov_b32 s5, 0
	.p2align	6
.LBB108_161:                            ; =>This Inner Loop Header: Depth=1
	s_clause 0x3
	buffer_load_dword v106, v99, s[0:3], 0 offen offset:8
	buffer_load_dword v107, v99, s[0:3], 0 offen offset:12
	buffer_load_dword v108, v99, s[0:3], 0 offen
	buffer_load_dword v109, v99, s[0:3], 0 offen offset:4
	ds_read_b128 v[102:105], v98
	v_add_nc_u32_e32 v97, 1, v97
	v_add_nc_u32_e32 v98, 16, v98
	;; [unrolled: 1-line block ×3, first 2 shown]
	v_cmp_lt_u32_e32 vcc_lo, 35, v97
	s_or_b32 s5, vcc_lo, s5
	s_waitcnt vmcnt(2) lgkmcnt(0)
	v_mul_f64 v[110:111], v[104:105], v[106:107]
	v_mul_f64 v[106:107], v[102:103], v[106:107]
	s_waitcnt vmcnt(0)
	v_fma_f64 v[102:103], v[102:103], v[108:109], -v[110:111]
	v_fma_f64 v[104:105], v[104:105], v[108:109], v[106:107]
	v_add_f64 v[3:4], v[3:4], v[102:103]
	v_add_f64 v[1:2], v[1:2], v[104:105]
	s_andn2_b32 exec_lo, exec_lo, s5
	s_cbranch_execnz .LBB108_161
; %bb.162:
	s_or_b32 exec_lo, exec_lo, s5
	v_mov_b32_e32 v97, 0
	ds_read_b128 v[97:100], v97 offset:592
	s_waitcnt lgkmcnt(0)
	v_mul_f64 v[102:103], v[1:2], v[99:100]
	v_mul_f64 v[99:100], v[3:4], v[99:100]
	v_fma_f64 v[3:4], v[3:4], v[97:98], -v[102:103]
	v_fma_f64 v[1:2], v[1:2], v[97:98], v[99:100]
	buffer_store_dword v4, off, s[0:3], 0 offset:612
	buffer_store_dword v3, off, s[0:3], 0 offset:608
	;; [unrolled: 1-line block ×4, first 2 shown]
.LBB108_163:
	s_or_b32 exec_lo, exec_lo, s4
	v_mov_b32_e32 v4, s18
	s_waitcnt_vscnt null, 0x0
	s_barrier
	buffer_gl0_inv
	s_mov_b32 s4, exec_lo
	s_clause 0x3
	buffer_load_dword v1, v4, s[0:3], 0 offen
	buffer_load_dword v2, v4, s[0:3], 0 offen offset:4
	buffer_load_dword v3, v4, s[0:3], 0 offen offset:8
	;; [unrolled: 1-line block ×3, first 2 shown]
	s_waitcnt vmcnt(0)
	ds_write_b128 v95, v[1:4]
	s_waitcnt lgkmcnt(0)
	s_barrier
	buffer_gl0_inv
	v_cmpx_gt_u32_e32 38, v0
	s_cbranch_execz .LBB108_167
; %bb.164:
	v_mov_b32_e32 v1, 0
	v_mov_b32_e32 v3, 0
	v_add_nc_u32_e32 v97, -1, v0
	v_add_nc_u32_e32 v98, 0x2d0, v101
	v_mov_b32_e32 v2, 0
	v_mov_b32_e32 v4, 0
	v_add_nc_u32_e32 v99, 16, v101
	s_mov_b32 s5, 0
	.p2align	6
.LBB108_165:                            ; =>This Inner Loop Header: Depth=1
	s_clause 0x3
	buffer_load_dword v106, v99, s[0:3], 0 offen offset:8
	buffer_load_dword v107, v99, s[0:3], 0 offen offset:12
	buffer_load_dword v108, v99, s[0:3], 0 offen
	buffer_load_dword v109, v99, s[0:3], 0 offen offset:4
	ds_read_b128 v[102:105], v98
	v_add_nc_u32_e32 v97, 1, v97
	v_add_nc_u32_e32 v98, 16, v98
	;; [unrolled: 1-line block ×3, first 2 shown]
	v_cmp_lt_u32_e32 vcc_lo, 36, v97
	s_or_b32 s5, vcc_lo, s5
	s_waitcnt vmcnt(2) lgkmcnt(0)
	v_mul_f64 v[110:111], v[104:105], v[106:107]
	v_mul_f64 v[106:107], v[102:103], v[106:107]
	s_waitcnt vmcnt(0)
	v_fma_f64 v[102:103], v[102:103], v[108:109], -v[110:111]
	v_fma_f64 v[104:105], v[104:105], v[108:109], v[106:107]
	v_add_f64 v[3:4], v[3:4], v[102:103]
	v_add_f64 v[1:2], v[1:2], v[104:105]
	s_andn2_b32 exec_lo, exec_lo, s5
	s_cbranch_execnz .LBB108_165
; %bb.166:
	s_or_b32 exec_lo, exec_lo, s5
	v_mov_b32_e32 v97, 0
	ds_read_b128 v[97:100], v97 offset:608
	s_waitcnt lgkmcnt(0)
	v_mul_f64 v[102:103], v[1:2], v[99:100]
	v_mul_f64 v[99:100], v[3:4], v[99:100]
	v_fma_f64 v[3:4], v[3:4], v[97:98], -v[102:103]
	v_fma_f64 v[1:2], v[1:2], v[97:98], v[99:100]
	buffer_store_dword v4, off, s[0:3], 0 offset:628
	buffer_store_dword v3, off, s[0:3], 0 offset:624
	;; [unrolled: 1-line block ×4, first 2 shown]
.LBB108_167:
	s_or_b32 exec_lo, exec_lo, s4
	v_mov_b32_e32 v4, s17
	s_waitcnt_vscnt null, 0x0
	s_barrier
	buffer_gl0_inv
	s_mov_b32 s4, exec_lo
	s_clause 0x3
	buffer_load_dword v1, v4, s[0:3], 0 offen
	buffer_load_dword v2, v4, s[0:3], 0 offen offset:4
	buffer_load_dword v3, v4, s[0:3], 0 offen offset:8
	;; [unrolled: 1-line block ×3, first 2 shown]
	s_waitcnt vmcnt(0)
	ds_write_b128 v95, v[1:4]
	s_waitcnt lgkmcnt(0)
	s_barrier
	buffer_gl0_inv
	v_cmpx_gt_u32_e32 39, v0
	s_cbranch_execz .LBB108_171
; %bb.168:
	v_mov_b32_e32 v1, 0
	v_mov_b32_e32 v3, 0
	v_add_nc_u32_e32 v97, -1, v0
	v_add_nc_u32_e32 v98, 0x2d0, v101
	v_mov_b32_e32 v2, 0
	v_mov_b32_e32 v4, 0
	v_add_nc_u32_e32 v99, 16, v101
	s_mov_b32 s5, 0
	.p2align	6
.LBB108_169:                            ; =>This Inner Loop Header: Depth=1
	s_clause 0x3
	buffer_load_dword v106, v99, s[0:3], 0 offen offset:8
	buffer_load_dword v107, v99, s[0:3], 0 offen offset:12
	buffer_load_dword v108, v99, s[0:3], 0 offen
	buffer_load_dword v109, v99, s[0:3], 0 offen offset:4
	ds_read_b128 v[102:105], v98
	v_add_nc_u32_e32 v97, 1, v97
	v_add_nc_u32_e32 v98, 16, v98
	v_add_nc_u32_e32 v99, 16, v99
	v_cmp_lt_u32_e32 vcc_lo, 37, v97
	s_or_b32 s5, vcc_lo, s5
	s_waitcnt vmcnt(2) lgkmcnt(0)
	v_mul_f64 v[110:111], v[104:105], v[106:107]
	v_mul_f64 v[106:107], v[102:103], v[106:107]
	s_waitcnt vmcnt(0)
	v_fma_f64 v[102:103], v[102:103], v[108:109], -v[110:111]
	v_fma_f64 v[104:105], v[104:105], v[108:109], v[106:107]
	v_add_f64 v[3:4], v[3:4], v[102:103]
	v_add_f64 v[1:2], v[1:2], v[104:105]
	s_andn2_b32 exec_lo, exec_lo, s5
	s_cbranch_execnz .LBB108_169
; %bb.170:
	s_or_b32 exec_lo, exec_lo, s5
	v_mov_b32_e32 v97, 0
	ds_read_b128 v[97:100], v97 offset:624
	s_waitcnt lgkmcnt(0)
	v_mul_f64 v[102:103], v[1:2], v[99:100]
	v_mul_f64 v[99:100], v[3:4], v[99:100]
	v_fma_f64 v[3:4], v[3:4], v[97:98], -v[102:103]
	v_fma_f64 v[1:2], v[1:2], v[97:98], v[99:100]
	buffer_store_dword v4, off, s[0:3], 0 offset:644
	buffer_store_dword v3, off, s[0:3], 0 offset:640
	;; [unrolled: 1-line block ×4, first 2 shown]
.LBB108_171:
	s_or_b32 exec_lo, exec_lo, s4
	v_mov_b32_e32 v4, s16
	s_waitcnt_vscnt null, 0x0
	s_barrier
	buffer_gl0_inv
	s_mov_b32 s4, exec_lo
	s_clause 0x3
	buffer_load_dword v1, v4, s[0:3], 0 offen
	buffer_load_dword v2, v4, s[0:3], 0 offen offset:4
	buffer_load_dword v3, v4, s[0:3], 0 offen offset:8
	;; [unrolled: 1-line block ×3, first 2 shown]
	s_waitcnt vmcnt(0)
	ds_write_b128 v95, v[1:4]
	s_waitcnt lgkmcnt(0)
	s_barrier
	buffer_gl0_inv
	v_cmpx_gt_u32_e32 40, v0
	s_cbranch_execz .LBB108_175
; %bb.172:
	v_mov_b32_e32 v1, 0
	v_mov_b32_e32 v3, 0
	v_add_nc_u32_e32 v97, -1, v0
	v_add_nc_u32_e32 v98, 0x2d0, v101
	v_mov_b32_e32 v2, 0
	v_mov_b32_e32 v4, 0
	v_add_nc_u32_e32 v99, 16, v101
	s_mov_b32 s5, 0
	.p2align	6
.LBB108_173:                            ; =>This Inner Loop Header: Depth=1
	s_clause 0x3
	buffer_load_dword v106, v99, s[0:3], 0 offen offset:8
	buffer_load_dword v107, v99, s[0:3], 0 offen offset:12
	buffer_load_dword v108, v99, s[0:3], 0 offen
	buffer_load_dword v109, v99, s[0:3], 0 offen offset:4
	ds_read_b128 v[102:105], v98
	v_add_nc_u32_e32 v97, 1, v97
	v_add_nc_u32_e32 v98, 16, v98
	;; [unrolled: 1-line block ×3, first 2 shown]
	v_cmp_lt_u32_e32 vcc_lo, 38, v97
	s_or_b32 s5, vcc_lo, s5
	s_waitcnt vmcnt(2) lgkmcnt(0)
	v_mul_f64 v[110:111], v[104:105], v[106:107]
	v_mul_f64 v[106:107], v[102:103], v[106:107]
	s_waitcnt vmcnt(0)
	v_fma_f64 v[102:103], v[102:103], v[108:109], -v[110:111]
	v_fma_f64 v[104:105], v[104:105], v[108:109], v[106:107]
	v_add_f64 v[3:4], v[3:4], v[102:103]
	v_add_f64 v[1:2], v[1:2], v[104:105]
	s_andn2_b32 exec_lo, exec_lo, s5
	s_cbranch_execnz .LBB108_173
; %bb.174:
	s_or_b32 exec_lo, exec_lo, s5
	v_mov_b32_e32 v97, 0
	ds_read_b128 v[97:100], v97 offset:640
	s_waitcnt lgkmcnt(0)
	v_mul_f64 v[102:103], v[1:2], v[99:100]
	v_mul_f64 v[99:100], v[3:4], v[99:100]
	v_fma_f64 v[3:4], v[3:4], v[97:98], -v[102:103]
	v_fma_f64 v[1:2], v[1:2], v[97:98], v[99:100]
	buffer_store_dword v4, off, s[0:3], 0 offset:660
	buffer_store_dword v3, off, s[0:3], 0 offset:656
	;; [unrolled: 1-line block ×4, first 2 shown]
.LBB108_175:
	s_or_b32 exec_lo, exec_lo, s4
	v_mov_b32_e32 v4, s15
	s_waitcnt_vscnt null, 0x0
	s_barrier
	buffer_gl0_inv
	s_mov_b32 s4, exec_lo
	s_clause 0x3
	buffer_load_dword v1, v4, s[0:3], 0 offen
	buffer_load_dword v2, v4, s[0:3], 0 offen offset:4
	buffer_load_dword v3, v4, s[0:3], 0 offen offset:8
	buffer_load_dword v4, v4, s[0:3], 0 offen offset:12
	s_waitcnt vmcnt(0)
	ds_write_b128 v95, v[1:4]
	s_waitcnt lgkmcnt(0)
	s_barrier
	buffer_gl0_inv
	v_cmpx_gt_u32_e32 41, v0
	s_cbranch_execz .LBB108_179
; %bb.176:
	v_mov_b32_e32 v1, 0
	v_mov_b32_e32 v3, 0
	v_add_nc_u32_e32 v97, -1, v0
	v_add_nc_u32_e32 v98, 0x2d0, v101
	v_mov_b32_e32 v2, 0
	v_mov_b32_e32 v4, 0
	v_add_nc_u32_e32 v99, 16, v101
	s_mov_b32 s5, 0
	.p2align	6
.LBB108_177:                            ; =>This Inner Loop Header: Depth=1
	s_clause 0x3
	buffer_load_dword v106, v99, s[0:3], 0 offen offset:8
	buffer_load_dword v107, v99, s[0:3], 0 offen offset:12
	buffer_load_dword v108, v99, s[0:3], 0 offen
	buffer_load_dword v109, v99, s[0:3], 0 offen offset:4
	ds_read_b128 v[102:105], v98
	v_add_nc_u32_e32 v97, 1, v97
	v_add_nc_u32_e32 v98, 16, v98
	;; [unrolled: 1-line block ×3, first 2 shown]
	v_cmp_lt_u32_e32 vcc_lo, 39, v97
	s_or_b32 s5, vcc_lo, s5
	s_waitcnt vmcnt(2) lgkmcnt(0)
	v_mul_f64 v[110:111], v[104:105], v[106:107]
	v_mul_f64 v[106:107], v[102:103], v[106:107]
	s_waitcnt vmcnt(0)
	v_fma_f64 v[102:103], v[102:103], v[108:109], -v[110:111]
	v_fma_f64 v[104:105], v[104:105], v[108:109], v[106:107]
	v_add_f64 v[3:4], v[3:4], v[102:103]
	v_add_f64 v[1:2], v[1:2], v[104:105]
	s_andn2_b32 exec_lo, exec_lo, s5
	s_cbranch_execnz .LBB108_177
; %bb.178:
	s_or_b32 exec_lo, exec_lo, s5
	v_mov_b32_e32 v97, 0
	ds_read_b128 v[97:100], v97 offset:656
	s_waitcnt lgkmcnt(0)
	v_mul_f64 v[102:103], v[1:2], v[99:100]
	v_mul_f64 v[99:100], v[3:4], v[99:100]
	v_fma_f64 v[3:4], v[3:4], v[97:98], -v[102:103]
	v_fma_f64 v[1:2], v[1:2], v[97:98], v[99:100]
	buffer_store_dword v4, off, s[0:3], 0 offset:676
	buffer_store_dword v3, off, s[0:3], 0 offset:672
	;; [unrolled: 1-line block ×4, first 2 shown]
.LBB108_179:
	s_or_b32 exec_lo, exec_lo, s4
	v_mov_b32_e32 v4, s14
	s_waitcnt_vscnt null, 0x0
	s_barrier
	buffer_gl0_inv
	s_mov_b32 s4, exec_lo
	s_clause 0x3
	buffer_load_dword v1, v4, s[0:3], 0 offen
	buffer_load_dword v2, v4, s[0:3], 0 offen offset:4
	buffer_load_dword v3, v4, s[0:3], 0 offen offset:8
	buffer_load_dword v4, v4, s[0:3], 0 offen offset:12
	s_waitcnt vmcnt(0)
	ds_write_b128 v95, v[1:4]
	s_waitcnt lgkmcnt(0)
	s_barrier
	buffer_gl0_inv
	v_cmpx_gt_u32_e32 42, v0
	s_cbranch_execz .LBB108_183
; %bb.180:
	v_mov_b32_e32 v1, 0
	v_mov_b32_e32 v3, 0
	v_add_nc_u32_e32 v97, -1, v0
	v_add_nc_u32_e32 v98, 0x2d0, v101
	v_mov_b32_e32 v2, 0
	v_mov_b32_e32 v4, 0
	v_add_nc_u32_e32 v99, 16, v101
	s_mov_b32 s5, 0
	.p2align	6
.LBB108_181:                            ; =>This Inner Loop Header: Depth=1
	s_clause 0x3
	buffer_load_dword v106, v99, s[0:3], 0 offen offset:8
	buffer_load_dword v107, v99, s[0:3], 0 offen offset:12
	buffer_load_dword v108, v99, s[0:3], 0 offen
	buffer_load_dword v109, v99, s[0:3], 0 offen offset:4
	ds_read_b128 v[102:105], v98
	v_add_nc_u32_e32 v97, 1, v97
	v_add_nc_u32_e32 v98, 16, v98
	;; [unrolled: 1-line block ×3, first 2 shown]
	v_cmp_lt_u32_e32 vcc_lo, 40, v97
	s_or_b32 s5, vcc_lo, s5
	s_waitcnt vmcnt(2) lgkmcnt(0)
	v_mul_f64 v[110:111], v[104:105], v[106:107]
	v_mul_f64 v[106:107], v[102:103], v[106:107]
	s_waitcnt vmcnt(0)
	v_fma_f64 v[102:103], v[102:103], v[108:109], -v[110:111]
	v_fma_f64 v[104:105], v[104:105], v[108:109], v[106:107]
	v_add_f64 v[3:4], v[3:4], v[102:103]
	v_add_f64 v[1:2], v[1:2], v[104:105]
	s_andn2_b32 exec_lo, exec_lo, s5
	s_cbranch_execnz .LBB108_181
; %bb.182:
	s_or_b32 exec_lo, exec_lo, s5
	v_mov_b32_e32 v97, 0
	ds_read_b128 v[97:100], v97 offset:672
	s_waitcnt lgkmcnt(0)
	v_mul_f64 v[102:103], v[1:2], v[99:100]
	v_mul_f64 v[99:100], v[3:4], v[99:100]
	v_fma_f64 v[3:4], v[3:4], v[97:98], -v[102:103]
	v_fma_f64 v[1:2], v[1:2], v[97:98], v[99:100]
	buffer_store_dword v4, off, s[0:3], 0 offset:692
	buffer_store_dword v3, off, s[0:3], 0 offset:688
	buffer_store_dword v2, off, s[0:3], 0 offset:700
	buffer_store_dword v1, off, s[0:3], 0 offset:696
.LBB108_183:
	s_or_b32 exec_lo, exec_lo, s4
	v_mov_b32_e32 v4, s9
	s_waitcnt_vscnt null, 0x0
	s_barrier
	buffer_gl0_inv
	s_mov_b32 s4, exec_lo
	s_clause 0x3
	buffer_load_dword v1, v4, s[0:3], 0 offen
	buffer_load_dword v2, v4, s[0:3], 0 offen offset:4
	buffer_load_dword v3, v4, s[0:3], 0 offen offset:8
	buffer_load_dword v4, v4, s[0:3], 0 offen offset:12
	s_waitcnt vmcnt(0)
	ds_write_b128 v95, v[1:4]
	s_waitcnt lgkmcnt(0)
	s_barrier
	buffer_gl0_inv
	v_cmpx_gt_u32_e32 43, v0
	s_cbranch_execz .LBB108_187
; %bb.184:
	v_mov_b32_e32 v1, 0
	v_mov_b32_e32 v3, 0
	v_add_nc_u32_e32 v97, -1, v0
	v_add_nc_u32_e32 v98, 0x2d0, v101
	v_mov_b32_e32 v2, 0
	v_mov_b32_e32 v4, 0
	v_add_nc_u32_e32 v99, 16, v101
	s_mov_b32 s5, 0
	.p2align	6
.LBB108_185:                            ; =>This Inner Loop Header: Depth=1
	s_clause 0x3
	buffer_load_dword v106, v99, s[0:3], 0 offen offset:8
	buffer_load_dword v107, v99, s[0:3], 0 offen offset:12
	buffer_load_dword v108, v99, s[0:3], 0 offen
	buffer_load_dword v109, v99, s[0:3], 0 offen offset:4
	ds_read_b128 v[102:105], v98
	v_add_nc_u32_e32 v97, 1, v97
	v_add_nc_u32_e32 v98, 16, v98
	;; [unrolled: 1-line block ×3, first 2 shown]
	v_cmp_lt_u32_e32 vcc_lo, 41, v97
	s_or_b32 s5, vcc_lo, s5
	s_waitcnt vmcnt(2) lgkmcnt(0)
	v_mul_f64 v[110:111], v[104:105], v[106:107]
	v_mul_f64 v[106:107], v[102:103], v[106:107]
	s_waitcnt vmcnt(0)
	v_fma_f64 v[102:103], v[102:103], v[108:109], -v[110:111]
	v_fma_f64 v[104:105], v[104:105], v[108:109], v[106:107]
	v_add_f64 v[3:4], v[3:4], v[102:103]
	v_add_f64 v[1:2], v[1:2], v[104:105]
	s_andn2_b32 exec_lo, exec_lo, s5
	s_cbranch_execnz .LBB108_185
; %bb.186:
	s_or_b32 exec_lo, exec_lo, s5
	v_mov_b32_e32 v97, 0
	ds_read_b128 v[97:100], v97 offset:688
	s_waitcnt lgkmcnt(0)
	v_mul_f64 v[102:103], v[1:2], v[99:100]
	v_mul_f64 v[99:100], v[3:4], v[99:100]
	v_fma_f64 v[3:4], v[3:4], v[97:98], -v[102:103]
	v_fma_f64 v[1:2], v[1:2], v[97:98], v[99:100]
	buffer_store_dword v4, off, s[0:3], 0 offset:708
	buffer_store_dword v3, off, s[0:3], 0 offset:704
	;; [unrolled: 1-line block ×4, first 2 shown]
.LBB108_187:
	s_or_b32 exec_lo, exec_lo, s4
	v_mov_b32_e32 v4, s8
	s_waitcnt_vscnt null, 0x0
	s_barrier
	buffer_gl0_inv
	s_mov_b32 s4, exec_lo
	s_clause 0x3
	buffer_load_dword v1, v4, s[0:3], 0 offen
	buffer_load_dword v2, v4, s[0:3], 0 offen offset:4
	buffer_load_dword v3, v4, s[0:3], 0 offen offset:8
	;; [unrolled: 1-line block ×3, first 2 shown]
	s_waitcnt vmcnt(0)
	ds_write_b128 v95, v[1:4]
	s_waitcnt lgkmcnt(0)
	s_barrier
	buffer_gl0_inv
	v_cmpx_ne_u32_e32 44, v0
	s_cbranch_execz .LBB108_191
; %bb.188:
	v_mov_b32_e32 v1, 0
	v_mov_b32_e32 v3, 0
	;; [unrolled: 1-line block ×4, first 2 shown]
	v_add_nc_u32_e32 v97, 16, v101
	s_mov_b32 s5, 0
	.p2align	6
.LBB108_189:                            ; =>This Inner Loop Header: Depth=1
	s_clause 0x3
	buffer_load_dword v102, v97, s[0:3], 0 offen offset:8
	buffer_load_dword v103, v97, s[0:3], 0 offen offset:12
	buffer_load_dword v104, v97, s[0:3], 0 offen
	buffer_load_dword v105, v97, s[0:3], 0 offen offset:4
	ds_read_b128 v[98:101], v95
	v_add_nc_u32_e32 v96, 1, v96
	v_add_nc_u32_e32 v95, 16, v95
	;; [unrolled: 1-line block ×3, first 2 shown]
	v_cmp_lt_u32_e32 vcc_lo, 42, v96
	s_or_b32 s5, vcc_lo, s5
	s_waitcnt vmcnt(2) lgkmcnt(0)
	v_mul_f64 v[106:107], v[100:101], v[102:103]
	v_mul_f64 v[102:103], v[98:99], v[102:103]
	s_waitcnt vmcnt(0)
	v_fma_f64 v[98:99], v[98:99], v[104:105], -v[106:107]
	v_fma_f64 v[100:101], v[100:101], v[104:105], v[102:103]
	v_add_f64 v[3:4], v[3:4], v[98:99]
	v_add_f64 v[1:2], v[1:2], v[100:101]
	s_andn2_b32 exec_lo, exec_lo, s5
	s_cbranch_execnz .LBB108_189
; %bb.190:
	s_or_b32 exec_lo, exec_lo, s5
	v_mov_b32_e32 v95, 0
	ds_read_b128 v[95:98], v95 offset:704
	s_waitcnt lgkmcnt(0)
	v_mul_f64 v[99:100], v[1:2], v[97:98]
	v_mul_f64 v[97:98], v[3:4], v[97:98]
	v_fma_f64 v[3:4], v[3:4], v[95:96], -v[99:100]
	v_fma_f64 v[1:2], v[1:2], v[95:96], v[97:98]
	buffer_store_dword v4, off, s[0:3], 0 offset:724
	buffer_store_dword v3, off, s[0:3], 0 offset:720
	;; [unrolled: 1-line block ×4, first 2 shown]
.LBB108_191:
	s_or_b32 exec_lo, exec_lo, s4
	s_mov_b32 s5, -1
	s_waitcnt_vscnt null, 0x0
	s_barrier
	buffer_gl0_inv
.LBB108_192:
	s_and_b32 vcc_lo, exec_lo, s5
	s_cbranch_vccz .LBB108_194
; %bb.193:
	s_lshl_b64 s[4:5], s[6:7], 2
	v_mov_b32_e32 v1, 0
	s_add_u32 s4, s10, s4
	s_addc_u32 s5, s11, s5
	global_load_dword v1, v1, s[4:5]
	s_waitcnt vmcnt(0)
	v_cmp_ne_u32_e32 vcc_lo, 0, v1
	s_cbranch_vccz .LBB108_195
.LBB108_194:
	s_endpgm
.LBB108_195:
	v_lshl_add_u32 v151, v0, 4, 0x2d0
	s_mov_b32 s4, exec_lo
	v_cmpx_eq_u32_e32 44, v0
	s_cbranch_execz .LBB108_197
; %bb.196:
	v_mov_b32_e32 v4, s9
	v_mov_b32_e32 v95, 0
	s_clause 0x3
	buffer_load_dword v1, v4, s[0:3], 0 offen
	buffer_load_dword v2, v4, s[0:3], 0 offen offset:4
	buffer_load_dword v3, v4, s[0:3], 0 offen offset:8
	;; [unrolled: 1-line block ×3, first 2 shown]
	buffer_store_dword v95, off, s[0:3], 0 offset:704
	buffer_store_dword v95, off, s[0:3], 0 offset:708
	buffer_store_dword v95, off, s[0:3], 0 offset:712
	buffer_store_dword v95, off, s[0:3], 0 offset:716
	s_waitcnt vmcnt(0)
	ds_write_b128 v151, v[1:4]
.LBB108_197:
	s_or_b32 exec_lo, exec_lo, s4
	s_waitcnt lgkmcnt(0)
	s_waitcnt_vscnt null, 0x0
	s_barrier
	buffer_gl0_inv
	s_clause 0x7
	buffer_load_dword v2, off, s[0:3], 0 offset:728
	buffer_load_dword v3, off, s[0:3], 0 offset:732
	;; [unrolled: 1-line block ×8, first 2 shown]
	v_mov_b32_e32 v1, 0
	s_mov_b32 s4, exec_lo
	ds_read_b128 v[95:98], v1 offset:1424
	s_waitcnt vmcnt(6) lgkmcnt(0)
	v_mul_f64 v[105:106], v[97:98], v[2:3]
	v_mul_f64 v[2:3], v[95:96], v[2:3]
	s_waitcnt vmcnt(4)
	v_fma_f64 v[95:96], v[95:96], v[99:100], -v[105:106]
	v_fma_f64 v[2:3], v[97:98], v[99:100], v[2:3]
	v_add_f64 v[95:96], v[95:96], 0
	v_add_f64 v[2:3], v[2:3], 0
	s_waitcnt vmcnt(2)
	v_add_f64 v[95:96], v[101:102], -v[95:96]
	s_waitcnt vmcnt(0)
	v_add_f64 v[2:3], v[103:104], -v[2:3]
	buffer_store_dword v95, off, s[0:3], 0 offset:704
	buffer_store_dword v96, off, s[0:3], 0 offset:708
	;; [unrolled: 1-line block ×4, first 2 shown]
	v_cmpx_lt_u32_e32 42, v0
	s_cbranch_execz .LBB108_199
; %bb.198:
	v_mov_b32_e32 v2, s14
	s_clause 0x3
	buffer_load_dword v95, v2, s[0:3], 0 offen
	buffer_load_dword v96, v2, s[0:3], 0 offen offset:4
	buffer_load_dword v97, v2, s[0:3], 0 offen offset:8
	;; [unrolled: 1-line block ×3, first 2 shown]
	buffer_store_dword v1, off, s[0:3], 0 offset:688
	buffer_store_dword v1, off, s[0:3], 0 offset:692
	;; [unrolled: 1-line block ×4, first 2 shown]
	s_waitcnt vmcnt(0)
	ds_write_b128 v151, v[95:98]
.LBB108_199:
	s_or_b32 exec_lo, exec_lo, s4
	s_waitcnt lgkmcnt(0)
	s_waitcnt_vscnt null, 0x0
	s_barrier
	buffer_gl0_inv
	s_clause 0xb
	buffer_load_dword v99, off, s[0:3], 0 offset:712
	buffer_load_dword v100, off, s[0:3], 0 offset:716
	;; [unrolled: 1-line block ×12, first 2 shown]
	ds_read_b128 v[95:98], v1 offset:1408
	ds_read_b128 v[1:4], v1 offset:1424
	s_mov_b32 s4, exec_lo
	s_waitcnt vmcnt(10) lgkmcnt(1)
	v_mul_f64 v[111:112], v[97:98], v[99:100]
	v_mul_f64 v[99:100], v[95:96], v[99:100]
	s_waitcnt vmcnt(8) lgkmcnt(0)
	v_mul_f64 v[113:114], v[3:4], v[101:102]
	v_mul_f64 v[101:102], v[1:2], v[101:102]
	s_waitcnt vmcnt(6)
	v_fma_f64 v[95:96], v[95:96], v[103:104], -v[111:112]
	v_fma_f64 v[97:98], v[97:98], v[103:104], v[99:100]
	s_waitcnt vmcnt(4)
	v_fma_f64 v[1:2], v[1:2], v[105:106], -v[113:114]
	v_fma_f64 v[3:4], v[3:4], v[105:106], v[101:102]
	v_add_f64 v[95:96], v[95:96], 0
	v_add_f64 v[97:98], v[97:98], 0
	;; [unrolled: 1-line block ×4, first 2 shown]
	s_waitcnt vmcnt(2)
	v_add_f64 v[1:2], v[107:108], -v[1:2]
	s_waitcnt vmcnt(0)
	v_add_f64 v[3:4], v[109:110], -v[3:4]
	buffer_store_dword v1, off, s[0:3], 0 offset:688
	buffer_store_dword v2, off, s[0:3], 0 offset:692
	;; [unrolled: 1-line block ×4, first 2 shown]
	v_cmpx_lt_u32_e32 41, v0
	s_cbranch_execz .LBB108_201
; %bb.200:
	v_mov_b32_e32 v4, s15
	v_mov_b32_e32 v95, 0
	s_clause 0x3
	buffer_load_dword v1, v4, s[0:3], 0 offen
	buffer_load_dword v2, v4, s[0:3], 0 offen offset:4
	buffer_load_dword v3, v4, s[0:3], 0 offen offset:8
	;; [unrolled: 1-line block ×3, first 2 shown]
	buffer_store_dword v95, off, s[0:3], 0 offset:672
	buffer_store_dword v95, off, s[0:3], 0 offset:676
	;; [unrolled: 1-line block ×4, first 2 shown]
	s_waitcnt vmcnt(0)
	ds_write_b128 v151, v[1:4]
.LBB108_201:
	s_or_b32 exec_lo, exec_lo, s4
	s_waitcnt lgkmcnt(0)
	s_waitcnt_vscnt null, 0x0
	s_barrier
	buffer_gl0_inv
	s_clause 0xf
	buffer_load_dword v2, off, s[0:3], 0 offset:696
	buffer_load_dword v3, off, s[0:3], 0 offset:700
	;; [unrolled: 1-line block ×16, first 2 shown]
	v_mov_b32_e32 v1, 0
	ds_read_b128 v[95:98], v1 offset:1392
	ds_read_b128 v[99:102], v1 offset:1408
	;; [unrolled: 1-line block ×3, first 2 shown]
	s_mov_b32 s4, exec_lo
	s_waitcnt vmcnt(14) lgkmcnt(2)
	v_mul_f64 v[121:122], v[97:98], v[2:3]
	v_mul_f64 v[2:3], v[95:96], v[2:3]
	s_waitcnt vmcnt(12) lgkmcnt(1)
	v_mul_f64 v[123:124], v[101:102], v[107:108]
	v_mul_f64 v[107:108], v[99:100], v[107:108]
	s_waitcnt vmcnt(10)
	v_fma_f64 v[95:96], v[95:96], v[109:110], -v[121:122]
	v_fma_f64 v[2:3], v[97:98], v[109:110], v[2:3]
	s_waitcnt vmcnt(8) lgkmcnt(0)
	v_mul_f64 v[109:110], v[105:106], v[111:112]
	s_waitcnt vmcnt(6)
	v_fma_f64 v[99:100], v[99:100], v[113:114], -v[123:124]
	v_mul_f64 v[97:98], v[103:104], v[111:112]
	v_fma_f64 v[101:102], v[101:102], v[113:114], v[107:108]
	v_add_f64 v[95:96], v[95:96], 0
	v_add_f64 v[2:3], v[2:3], 0
	s_waitcnt vmcnt(4)
	v_fma_f64 v[103:104], v[103:104], v[115:116], -v[109:110]
	v_fma_f64 v[97:98], v[105:106], v[115:116], v[97:98]
	v_add_f64 v[95:96], v[95:96], v[99:100]
	v_add_f64 v[2:3], v[2:3], v[101:102]
	;; [unrolled: 1-line block ×4, first 2 shown]
	s_waitcnt vmcnt(2)
	v_add_f64 v[95:96], v[117:118], -v[95:96]
	s_waitcnt vmcnt(0)
	v_add_f64 v[2:3], v[119:120], -v[2:3]
	buffer_store_dword v95, off, s[0:3], 0 offset:672
	buffer_store_dword v96, off, s[0:3], 0 offset:676
	;; [unrolled: 1-line block ×4, first 2 shown]
	v_cmpx_lt_u32_e32 40, v0
	s_cbranch_execz .LBB108_203
; %bb.202:
	v_mov_b32_e32 v2, s16
	s_clause 0x3
	buffer_load_dword v95, v2, s[0:3], 0 offen
	buffer_load_dword v96, v2, s[0:3], 0 offen offset:4
	buffer_load_dword v97, v2, s[0:3], 0 offen offset:8
	;; [unrolled: 1-line block ×3, first 2 shown]
	buffer_store_dword v1, off, s[0:3], 0 offset:656
	buffer_store_dword v1, off, s[0:3], 0 offset:660
	;; [unrolled: 1-line block ×4, first 2 shown]
	s_waitcnt vmcnt(0)
	ds_write_b128 v151, v[95:98]
.LBB108_203:
	s_or_b32 exec_lo, exec_lo, s4
	s_waitcnt lgkmcnt(0)
	s_waitcnt_vscnt null, 0x0
	s_barrier
	buffer_gl0_inv
	s_clause 0x13
	buffer_load_dword v2, off, s[0:3], 0 offset:680
	buffer_load_dword v3, off, s[0:3], 0 offset:684
	;; [unrolled: 1-line block ×20, first 2 shown]
	ds_read_b128 v[95:98], v1 offset:1376
	ds_read_b128 v[99:102], v1 offset:1392
	ds_read_b128 v[103:106], v1 offset:1408
	s_mov_b32 s4, exec_lo
	s_waitcnt vmcnt(18) lgkmcnt(2)
	v_mul_f64 v[125:126], v[97:98], v[2:3]
	v_mul_f64 v[2:3], v[95:96], v[2:3]
	s_waitcnt vmcnt(16) lgkmcnt(1)
	v_mul_f64 v[127:128], v[101:102], v[107:108]
	v_mul_f64 v[107:108], v[99:100], v[107:108]
	s_waitcnt vmcnt(14)
	v_fma_f64 v[95:96], v[95:96], v[109:110], -v[125:126]
	v_fma_f64 v[97:98], v[97:98], v[109:110], v[2:3]
	s_waitcnt vmcnt(12) lgkmcnt(0)
	v_mul_f64 v[109:110], v[103:104], v[111:112]
	v_mul_f64 v[111:112], v[105:106], v[111:112]
	s_waitcnt vmcnt(10)
	v_fma_f64 v[99:100], v[99:100], v[113:114], -v[127:128]
	ds_read_b128 v[1:4], v1 offset:1424
	v_fma_f64 v[101:102], v[101:102], v[113:114], v[107:108]
	v_add_f64 v[95:96], v[95:96], 0
	v_add_f64 v[97:98], v[97:98], 0
	s_waitcnt vmcnt(8) lgkmcnt(0)
	v_mul_f64 v[113:114], v[3:4], v[115:116]
	s_waitcnt vmcnt(6)
	v_fma_f64 v[103:104], v[103:104], v[117:118], -v[111:112]
	v_mul_f64 v[107:108], v[1:2], v[115:116]
	v_add_f64 v[95:96], v[95:96], v[99:100]
	v_fma_f64 v[99:100], v[105:106], v[117:118], v[109:110]
	v_add_f64 v[97:98], v[97:98], v[101:102]
	s_waitcnt vmcnt(4)
	v_fma_f64 v[1:2], v[1:2], v[119:120], -v[113:114]
	v_fma_f64 v[3:4], v[3:4], v[119:120], v[107:108]
	v_add_f64 v[95:96], v[95:96], v[103:104]
	v_add_f64 v[97:98], v[97:98], v[99:100]
	;; [unrolled: 1-line block ×4, first 2 shown]
	s_waitcnt vmcnt(2)
	v_add_f64 v[1:2], v[121:122], -v[1:2]
	s_waitcnt vmcnt(0)
	v_add_f64 v[3:4], v[123:124], -v[3:4]
	buffer_store_dword v1, off, s[0:3], 0 offset:656
	buffer_store_dword v2, off, s[0:3], 0 offset:660
	buffer_store_dword v3, off, s[0:3], 0 offset:664
	buffer_store_dword v4, off, s[0:3], 0 offset:668
	v_cmpx_lt_u32_e32 39, v0
	s_cbranch_execz .LBB108_205
; %bb.204:
	v_mov_b32_e32 v4, s17
	v_mov_b32_e32 v95, 0
	s_clause 0x3
	buffer_load_dword v1, v4, s[0:3], 0 offen
	buffer_load_dword v2, v4, s[0:3], 0 offen offset:4
	buffer_load_dword v3, v4, s[0:3], 0 offen offset:8
	;; [unrolled: 1-line block ×3, first 2 shown]
	buffer_store_dword v95, off, s[0:3], 0 offset:640
	buffer_store_dword v95, off, s[0:3], 0 offset:644
	;; [unrolled: 1-line block ×4, first 2 shown]
	s_waitcnt vmcnt(0)
	ds_write_b128 v151, v[1:4]
.LBB108_205:
	s_or_b32 exec_lo, exec_lo, s4
	s_waitcnt lgkmcnt(0)
	s_waitcnt_vscnt null, 0x0
	s_barrier
	buffer_gl0_inv
	s_clause 0x17
	buffer_load_dword v2, off, s[0:3], 0 offset:664
	buffer_load_dword v3, off, s[0:3], 0 offset:668
	;; [unrolled: 1-line block ×24, first 2 shown]
	v_mov_b32_e32 v1, 0
	ds_read_b128 v[95:98], v1 offset:1360
	ds_read_b128 v[99:102], v1 offset:1376
	;; [unrolled: 1-line block ×3, first 2 shown]
	s_mov_b32 s4, exec_lo
	s_waitcnt vmcnt(22) lgkmcnt(2)
	v_mul_f64 v[129:130], v[97:98], v[2:3]
	v_mul_f64 v[2:3], v[95:96], v[2:3]
	s_waitcnt vmcnt(20) lgkmcnt(1)
	v_mul_f64 v[131:132], v[101:102], v[107:108]
	v_mul_f64 v[107:108], v[99:100], v[107:108]
	s_waitcnt vmcnt(18)
	v_fma_f64 v[129:130], v[95:96], v[109:110], -v[129:130]
	v_fma_f64 v[2:3], v[97:98], v[109:110], v[2:3]
	ds_read_b128 v[95:98], v1 offset:1408
	s_waitcnt vmcnt(16) lgkmcnt(1)
	v_mul_f64 v[109:110], v[103:104], v[111:112]
	v_mul_f64 v[111:112], v[105:106], v[111:112]
	s_waitcnt vmcnt(14)
	v_fma_f64 v[131:132], v[99:100], v[113:114], -v[131:132]
	v_fma_f64 v[107:108], v[101:102], v[113:114], v[107:108]
	ds_read_b128 v[99:102], v1 offset:1424
	s_waitcnt vmcnt(10) lgkmcnt(1)
	v_mul_f64 v[113:114], v[95:96], v[115:116]
	v_add_f64 v[129:130], v[129:130], 0
	v_add_f64 v[2:3], v[2:3], 0
	v_mul_f64 v[115:116], v[97:98], v[115:116]
	s_waitcnt vmcnt(8)
	v_fma_f64 v[103:104], v[103:104], v[121:122], -v[111:112]
	v_fma_f64 v[105:106], v[105:106], v[121:122], v[109:110]
	s_waitcnt vmcnt(7) lgkmcnt(0)
	v_mul_f64 v[109:110], v[101:102], v[117:118]
	s_waitcnt vmcnt(5)
	v_fma_f64 v[97:98], v[97:98], v[123:124], v[113:114]
	v_add_f64 v[111:112], v[129:130], v[131:132]
	v_add_f64 v[2:3], v[2:3], v[107:108]
	v_fma_f64 v[95:96], v[95:96], v[123:124], -v[115:116]
	v_mul_f64 v[107:108], v[99:100], v[117:118]
	s_waitcnt vmcnt(4)
	v_fma_f64 v[99:100], v[99:100], v[119:120], -v[109:110]
	v_add_f64 v[103:104], v[111:112], v[103:104]
	v_add_f64 v[2:3], v[2:3], v[105:106]
	v_fma_f64 v[101:102], v[101:102], v[119:120], v[107:108]
	v_add_f64 v[95:96], v[103:104], v[95:96]
	v_add_f64 v[2:3], v[2:3], v[97:98]
	;; [unrolled: 1-line block ×4, first 2 shown]
	s_waitcnt vmcnt(2)
	v_add_f64 v[95:96], v[125:126], -v[95:96]
	s_waitcnt vmcnt(0)
	v_add_f64 v[2:3], v[127:128], -v[2:3]
	buffer_store_dword v96, off, s[0:3], 0 offset:644
	buffer_store_dword v95, off, s[0:3], 0 offset:640
	;; [unrolled: 1-line block ×4, first 2 shown]
	v_cmpx_lt_u32_e32 38, v0
	s_cbranch_execz .LBB108_207
; %bb.206:
	v_mov_b32_e32 v2, s18
	s_clause 0x3
	buffer_load_dword v95, v2, s[0:3], 0 offen
	buffer_load_dword v96, v2, s[0:3], 0 offen offset:4
	buffer_load_dword v97, v2, s[0:3], 0 offen offset:8
	;; [unrolled: 1-line block ×3, first 2 shown]
	buffer_store_dword v1, off, s[0:3], 0 offset:624
	buffer_store_dword v1, off, s[0:3], 0 offset:628
	;; [unrolled: 1-line block ×4, first 2 shown]
	s_waitcnt vmcnt(0)
	ds_write_b128 v151, v[95:98]
.LBB108_207:
	s_or_b32 exec_lo, exec_lo, s4
	s_waitcnt lgkmcnt(0)
	s_waitcnt_vscnt null, 0x0
	s_barrier
	buffer_gl0_inv
	s_clause 0x1b
	buffer_load_dword v2, off, s[0:3], 0 offset:648
	buffer_load_dword v3, off, s[0:3], 0 offset:652
	buffer_load_dword v107, off, s[0:3], 0 offset:664
	buffer_load_dword v108, off, s[0:3], 0 offset:668
	buffer_load_dword v109, off, s[0:3], 0 offset:640
	buffer_load_dword v110, off, s[0:3], 0 offset:644
	buffer_load_dword v111, off, s[0:3], 0 offset:680
	buffer_load_dword v112, off, s[0:3], 0 offset:684
	buffer_load_dword v113, off, s[0:3], 0 offset:656
	buffer_load_dword v114, off, s[0:3], 0 offset:660
	buffer_load_dword v116, off, s[0:3], 0 offset:700
	buffer_load_dword v117, off, s[0:3], 0 offset:712
	buffer_load_dword v119, off, s[0:3], 0 offset:704
	buffer_load_dword v115, off, s[0:3], 0 offset:696
	buffer_load_dword v121, off, s[0:3], 0 offset:672
	buffer_load_dword v122, off, s[0:3], 0 offset:676
	buffer_load_dword v118, off, s[0:3], 0 offset:716
	buffer_load_dword v124, off, s[0:3], 0 offset:692
	buffer_load_dword v123, off, s[0:3], 0 offset:688
	buffer_load_dword v126, off, s[0:3], 0 offset:732
	buffer_load_dword v125, off, s[0:3], 0 offset:728
	buffer_load_dword v120, off, s[0:3], 0 offset:708
	buffer_load_dword v128, off, s[0:3], 0 offset:724
	buffer_load_dword v127, off, s[0:3], 0 offset:720
	buffer_load_dword v129, off, s[0:3], 0 offset:624
	buffer_load_dword v130, off, s[0:3], 0 offset:628
	buffer_load_dword v131, off, s[0:3], 0 offset:632
	buffer_load_dword v132, off, s[0:3], 0 offset:636
	ds_read_b128 v[95:98], v1 offset:1344
	ds_read_b128 v[99:102], v1 offset:1360
	;; [unrolled: 1-line block ×3, first 2 shown]
	s_mov_b32 s4, exec_lo
	s_waitcnt vmcnt(26) lgkmcnt(2)
	v_mul_f64 v[133:134], v[97:98], v[2:3]
	v_mul_f64 v[2:3], v[95:96], v[2:3]
	s_waitcnt vmcnt(24) lgkmcnt(1)
	v_mul_f64 v[135:136], v[101:102], v[107:108]
	v_mul_f64 v[107:108], v[99:100], v[107:108]
	s_waitcnt vmcnt(22)
	v_fma_f64 v[133:134], v[95:96], v[109:110], -v[133:134]
	v_fma_f64 v[2:3], v[97:98], v[109:110], v[2:3]
	ds_read_b128 v[95:98], v1 offset:1392
	s_waitcnt vmcnt(20) lgkmcnt(1)
	v_mul_f64 v[109:110], v[103:104], v[111:112]
	v_mul_f64 v[111:112], v[105:106], v[111:112]
	s_waitcnt vmcnt(18)
	v_fma_f64 v[135:136], v[99:100], v[113:114], -v[135:136]
	v_fma_f64 v[107:108], v[101:102], v[113:114], v[107:108]
	ds_read_b128 v[99:102], v1 offset:1408
	s_waitcnt vmcnt(14) lgkmcnt(1)
	v_mul_f64 v[113:114], v[95:96], v[115:116]
	v_add_f64 v[133:134], v[133:134], 0
	v_add_f64 v[2:3], v[2:3], 0
	v_mul_f64 v[115:116], v[97:98], v[115:116]
	s_waitcnt vmcnt(12)
	v_fma_f64 v[103:104], v[103:104], v[121:122], -v[111:112]
	v_fma_f64 v[105:106], v[105:106], v[121:122], v[109:110]
	s_waitcnt vmcnt(11) lgkmcnt(0)
	v_mul_f64 v[109:110], v[99:100], v[117:118]
	v_mul_f64 v[117:118], v[101:102], v[117:118]
	s_waitcnt vmcnt(9)
	v_fma_f64 v[97:98], v[97:98], v[123:124], v[113:114]
	v_add_f64 v[111:112], v[133:134], v[135:136]
	v_add_f64 v[107:108], v[2:3], v[107:108]
	v_fma_f64 v[95:96], v[95:96], v[123:124], -v[115:116]
	ds_read_b128 v[1:4], v1 offset:1424
	s_waitcnt vmcnt(6)
	v_fma_f64 v[101:102], v[101:102], v[119:120], v[109:110]
	v_fma_f64 v[99:100], v[99:100], v[119:120], -v[117:118]
	v_add_f64 v[103:104], v[111:112], v[103:104]
	v_add_f64 v[105:106], v[107:108], v[105:106]
	s_waitcnt lgkmcnt(0)
	v_mul_f64 v[111:112], v[3:4], v[125:126]
	v_mul_f64 v[107:108], v[1:2], v[125:126]
	v_add_f64 v[95:96], v[103:104], v[95:96]
	v_add_f64 v[97:98], v[105:106], v[97:98]
	s_waitcnt vmcnt(4)
	v_fma_f64 v[1:2], v[1:2], v[127:128], -v[111:112]
	v_fma_f64 v[3:4], v[3:4], v[127:128], v[107:108]
	v_add_f64 v[95:96], v[95:96], v[99:100]
	v_add_f64 v[97:98], v[97:98], v[101:102]
	;; [unrolled: 1-line block ×4, first 2 shown]
	s_waitcnt vmcnt(2)
	v_add_f64 v[1:2], v[129:130], -v[1:2]
	s_waitcnt vmcnt(0)
	v_add_f64 v[3:4], v[131:132], -v[3:4]
	buffer_store_dword v2, off, s[0:3], 0 offset:628
	buffer_store_dword v1, off, s[0:3], 0 offset:624
	;; [unrolled: 1-line block ×4, first 2 shown]
	v_cmpx_lt_u32_e32 37, v0
	s_cbranch_execz .LBB108_209
; %bb.208:
	v_mov_b32_e32 v4, s19
	v_mov_b32_e32 v95, 0
	s_clause 0x3
	buffer_load_dword v1, v4, s[0:3], 0 offen
	buffer_load_dword v2, v4, s[0:3], 0 offen offset:4
	buffer_load_dword v3, v4, s[0:3], 0 offen offset:8
	;; [unrolled: 1-line block ×3, first 2 shown]
	buffer_store_dword v95, off, s[0:3], 0 offset:608
	buffer_store_dword v95, off, s[0:3], 0 offset:612
	;; [unrolled: 1-line block ×4, first 2 shown]
	s_waitcnt vmcnt(0)
	ds_write_b128 v151, v[1:4]
.LBB108_209:
	s_or_b32 exec_lo, exec_lo, s4
	s_waitcnt lgkmcnt(0)
	s_waitcnt_vscnt null, 0x0
	s_barrier
	buffer_gl0_inv
	s_clause 0x1f
	buffer_load_dword v2, off, s[0:3], 0 offset:632
	buffer_load_dword v3, off, s[0:3], 0 offset:636
	;; [unrolled: 1-line block ×32, first 2 shown]
	v_mov_b32_e32 v1, 0
	ds_read_b128 v[95:98], v1 offset:1328
	ds_read_b128 v[99:102], v1 offset:1344
	;; [unrolled: 1-line block ×3, first 2 shown]
	s_mov_b32 s4, exec_lo
	s_waitcnt vmcnt(30) lgkmcnt(2)
	v_mul_f64 v[137:138], v[97:98], v[2:3]
	v_mul_f64 v[2:3], v[95:96], v[2:3]
	s_waitcnt vmcnt(28) lgkmcnt(1)
	v_mul_f64 v[139:140], v[101:102], v[107:108]
	v_mul_f64 v[107:108], v[99:100], v[107:108]
	s_waitcnt vmcnt(26)
	v_fma_f64 v[137:138], v[95:96], v[109:110], -v[137:138]
	v_fma_f64 v[2:3], v[97:98], v[109:110], v[2:3]
	ds_read_b128 v[95:98], v1 offset:1376
	s_waitcnt vmcnt(24) lgkmcnt(1)
	v_mul_f64 v[109:110], v[103:104], v[111:112]
	v_mul_f64 v[111:112], v[105:106], v[111:112]
	s_waitcnt vmcnt(22)
	v_fma_f64 v[139:140], v[99:100], v[113:114], -v[139:140]
	v_fma_f64 v[107:108], v[101:102], v[113:114], v[107:108]
	ds_read_b128 v[99:102], v1 offset:1392
	s_waitcnt vmcnt(18) lgkmcnt(1)
	v_mul_f64 v[113:114], v[95:96], v[115:116]
	v_add_f64 v[137:138], v[137:138], 0
	v_add_f64 v[2:3], v[2:3], 0
	v_mul_f64 v[115:116], v[97:98], v[115:116]
	s_waitcnt vmcnt(16)
	v_fma_f64 v[111:112], v[103:104], v[121:122], -v[111:112]
	v_fma_f64 v[109:110], v[105:106], v[121:122], v[109:110]
	ds_read_b128 v[103:106], v1 offset:1408
	s_waitcnt vmcnt(13)
	v_fma_f64 v[113:114], v[97:98], v[123:124], v[113:114]
	v_add_f64 v[137:138], v[137:138], v[139:140]
	v_add_f64 v[2:3], v[2:3], v[107:108]
	s_waitcnt lgkmcnt(1)
	v_mul_f64 v[107:108], v[99:100], v[117:118]
	v_mul_f64 v[117:118], v[101:102], v[117:118]
	v_fma_f64 v[115:116], v[95:96], v[123:124], -v[115:116]
	s_waitcnt vmcnt(9) lgkmcnt(0)
	v_mul_f64 v[121:122], v[105:106], v[125:126]
	ds_read_b128 v[95:98], v1 offset:1424
	v_add_f64 v[111:112], v[137:138], v[111:112]
	v_add_f64 v[2:3], v[2:3], v[109:110]
	v_mul_f64 v[109:110], v[103:104], v[125:126]
	s_waitcnt vmcnt(8)
	v_fma_f64 v[99:100], v[99:100], v[119:120], -v[117:118]
	v_fma_f64 v[101:102], v[101:102], v[119:120], v[107:108]
	s_waitcnt vmcnt(5)
	v_fma_f64 v[103:104], v[103:104], v[131:132], -v[121:122]
	s_waitcnt lgkmcnt(0)
	v_mul_f64 v[107:108], v[95:96], v[127:128]
	v_add_f64 v[111:112], v[111:112], v[115:116]
	v_add_f64 v[2:3], v[2:3], v[113:114]
	v_mul_f64 v[113:114], v[97:98], v[127:128]
	v_fma_f64 v[105:106], v[105:106], v[131:132], v[109:110]
	s_waitcnt vmcnt(4)
	v_fma_f64 v[97:98], v[97:98], v[129:130], v[107:108]
	v_add_f64 v[99:100], v[111:112], v[99:100]
	v_add_f64 v[2:3], v[2:3], v[101:102]
	v_fma_f64 v[95:96], v[95:96], v[129:130], -v[113:114]
	v_add_f64 v[99:100], v[99:100], v[103:104]
	v_add_f64 v[2:3], v[2:3], v[105:106]
	;; [unrolled: 1-line block ×4, first 2 shown]
	s_waitcnt vmcnt(2)
	v_add_f64 v[95:96], v[133:134], -v[95:96]
	s_waitcnt vmcnt(0)
	v_add_f64 v[2:3], v[135:136], -v[2:3]
	buffer_store_dword v96, off, s[0:3], 0 offset:612
	buffer_store_dword v95, off, s[0:3], 0 offset:608
	;; [unrolled: 1-line block ×4, first 2 shown]
	v_cmpx_lt_u32_e32 36, v0
	s_cbranch_execz .LBB108_211
; %bb.210:
	v_mov_b32_e32 v2, s20
	s_clause 0x3
	buffer_load_dword v95, v2, s[0:3], 0 offen
	buffer_load_dword v96, v2, s[0:3], 0 offen offset:4
	buffer_load_dword v97, v2, s[0:3], 0 offen offset:8
	;; [unrolled: 1-line block ×3, first 2 shown]
	buffer_store_dword v1, off, s[0:3], 0 offset:592
	buffer_store_dword v1, off, s[0:3], 0 offset:596
	;; [unrolled: 1-line block ×4, first 2 shown]
	s_waitcnt vmcnt(0)
	ds_write_b128 v151, v[95:98]
.LBB108_211:
	s_or_b32 exec_lo, exec_lo, s4
	s_waitcnt lgkmcnt(0)
	s_waitcnt_vscnt null, 0x0
	s_barrier
	buffer_gl0_inv
	s_clause 0x23
	buffer_load_dword v2, off, s[0:3], 0 offset:616
	buffer_load_dword v3, off, s[0:3], 0 offset:620
	;; [unrolled: 1-line block ×36, first 2 shown]
	ds_read_b128 v[95:98], v1 offset:1312
	ds_read_b128 v[99:102], v1 offset:1328
	;; [unrolled: 1-line block ×3, first 2 shown]
	s_mov_b32 s4, exec_lo
	s_waitcnt vmcnt(34) lgkmcnt(2)
	v_mul_f64 v[141:142], v[97:98], v[2:3]
	v_mul_f64 v[2:3], v[95:96], v[2:3]
	s_waitcnt vmcnt(32) lgkmcnt(1)
	v_mul_f64 v[143:144], v[101:102], v[107:108]
	v_mul_f64 v[107:108], v[99:100], v[107:108]
	s_waitcnt vmcnt(30)
	v_fma_f64 v[141:142], v[95:96], v[109:110], -v[141:142]
	v_fma_f64 v[2:3], v[97:98], v[109:110], v[2:3]
	ds_read_b128 v[95:98], v1 offset:1360
	s_waitcnt vmcnt(28) lgkmcnt(1)
	v_mul_f64 v[109:110], v[103:104], v[111:112]
	v_mul_f64 v[111:112], v[105:106], v[111:112]
	s_waitcnt vmcnt(26)
	v_fma_f64 v[143:144], v[99:100], v[113:114], -v[143:144]
	v_fma_f64 v[107:108], v[101:102], v[113:114], v[107:108]
	ds_read_b128 v[99:102], v1 offset:1376
	s_waitcnt vmcnt(22) lgkmcnt(1)
	v_mul_f64 v[113:114], v[95:96], v[115:116]
	v_add_f64 v[141:142], v[141:142], 0
	v_add_f64 v[2:3], v[2:3], 0
	v_mul_f64 v[115:116], v[97:98], v[115:116]
	s_waitcnt vmcnt(20)
	v_fma_f64 v[111:112], v[103:104], v[121:122], -v[111:112]
	v_fma_f64 v[109:110], v[105:106], v[121:122], v[109:110]
	ds_read_b128 v[103:106], v1 offset:1392
	s_waitcnt vmcnt(17)
	v_fma_f64 v[113:114], v[97:98], v[123:124], v[113:114]
	v_add_f64 v[141:142], v[141:142], v[143:144]
	v_add_f64 v[2:3], v[2:3], v[107:108]
	s_waitcnt lgkmcnt(1)
	v_mul_f64 v[107:108], v[99:100], v[117:118]
	v_mul_f64 v[117:118], v[101:102], v[117:118]
	v_fma_f64 v[115:116], v[95:96], v[123:124], -v[115:116]
	s_waitcnt vmcnt(13) lgkmcnt(0)
	v_mul_f64 v[121:122], v[105:106], v[125:126]
	ds_read_b128 v[95:98], v1 offset:1408
	v_add_f64 v[111:112], v[141:142], v[111:112]
	v_add_f64 v[2:3], v[2:3], v[109:110]
	v_mul_f64 v[109:110], v[103:104], v[125:126]
	s_waitcnt vmcnt(12)
	v_fma_f64 v[99:100], v[99:100], v[119:120], -v[117:118]
	v_fma_f64 v[101:102], v[101:102], v[119:120], v[107:108]
	s_waitcnt vmcnt(9)
	v_fma_f64 v[103:104], v[103:104], v[131:132], -v[121:122]
	v_add_f64 v[111:112], v[111:112], v[115:116]
	v_add_f64 v[107:108], v[2:3], v[113:114]
	s_waitcnt lgkmcnt(0)
	v_mul_f64 v[115:116], v[97:98], v[127:128]
	ds_read_b128 v[1:4], v1 offset:1424
	v_mul_f64 v[113:114], v[95:96], v[127:128]
	v_fma_f64 v[105:106], v[105:106], v[131:132], v[109:110]
	v_add_f64 v[99:100], v[111:112], v[99:100]
	v_add_f64 v[101:102], v[107:108], v[101:102]
	s_waitcnt vmcnt(7) lgkmcnt(0)
	v_mul_f64 v[109:110], v[3:4], v[133:134]
	s_waitcnt vmcnt(6)
	v_fma_f64 v[95:96], v[95:96], v[129:130], -v[115:116]
	v_mul_f64 v[107:108], v[1:2], v[133:134]
	v_fma_f64 v[97:98], v[97:98], v[129:130], v[113:114]
	v_add_f64 v[99:100], v[99:100], v[103:104]
	v_add_f64 v[101:102], v[101:102], v[105:106]
	s_waitcnt vmcnt(4)
	v_fma_f64 v[1:2], v[1:2], v[135:136], -v[109:110]
	v_fma_f64 v[3:4], v[3:4], v[135:136], v[107:108]
	v_add_f64 v[95:96], v[99:100], v[95:96]
	v_add_f64 v[97:98], v[101:102], v[97:98]
	;; [unrolled: 1-line block ×4, first 2 shown]
	s_waitcnt vmcnt(2)
	v_add_f64 v[1:2], v[137:138], -v[1:2]
	s_waitcnt vmcnt(0)
	v_add_f64 v[3:4], v[139:140], -v[3:4]
	buffer_store_dword v2, off, s[0:3], 0 offset:596
	buffer_store_dword v1, off, s[0:3], 0 offset:592
	;; [unrolled: 1-line block ×4, first 2 shown]
	v_cmpx_lt_u32_e32 35, v0
	s_cbranch_execz .LBB108_213
; %bb.212:
	v_mov_b32_e32 v4, s21
	v_mov_b32_e32 v95, 0
	s_clause 0x3
	buffer_load_dword v1, v4, s[0:3], 0 offen
	buffer_load_dword v2, v4, s[0:3], 0 offen offset:4
	buffer_load_dword v3, v4, s[0:3], 0 offen offset:8
	;; [unrolled: 1-line block ×3, first 2 shown]
	buffer_store_dword v95, off, s[0:3], 0 offset:576
	buffer_store_dword v95, off, s[0:3], 0 offset:580
	;; [unrolled: 1-line block ×4, first 2 shown]
	s_waitcnt vmcnt(0)
	ds_write_b128 v151, v[1:4]
.LBB108_213:
	s_or_b32 exec_lo, exec_lo, s4
	s_waitcnt lgkmcnt(0)
	s_waitcnt_vscnt null, 0x0
	s_barrier
	buffer_gl0_inv
	s_clause 0x27
	buffer_load_dword v2, off, s[0:3], 0 offset:600
	buffer_load_dword v3, off, s[0:3], 0 offset:604
	;; [unrolled: 1-line block ×40, first 2 shown]
	v_mov_b32_e32 v1, 0
	ds_read_b128 v[95:98], v1 offset:1296
	ds_read_b128 v[99:102], v1 offset:1312
	;; [unrolled: 1-line block ×3, first 2 shown]
	s_mov_b32 s4, exec_lo
	s_waitcnt vmcnt(38) lgkmcnt(2)
	v_mul_f64 v[145:146], v[97:98], v[2:3]
	v_mul_f64 v[2:3], v[95:96], v[2:3]
	s_waitcnt vmcnt(36) lgkmcnt(1)
	v_mul_f64 v[147:148], v[101:102], v[107:108]
	v_mul_f64 v[107:108], v[99:100], v[107:108]
	s_waitcnt vmcnt(34)
	v_fma_f64 v[145:146], v[95:96], v[109:110], -v[145:146]
	v_fma_f64 v[2:3], v[97:98], v[109:110], v[2:3]
	ds_read_b128 v[95:98], v1 offset:1344
	s_waitcnt vmcnt(32) lgkmcnt(1)
	v_mul_f64 v[109:110], v[103:104], v[111:112]
	v_mul_f64 v[111:112], v[105:106], v[111:112]
	s_waitcnt vmcnt(30)
	v_fma_f64 v[147:148], v[99:100], v[113:114], -v[147:148]
	v_fma_f64 v[107:108], v[101:102], v[113:114], v[107:108]
	ds_read_b128 v[99:102], v1 offset:1360
	s_waitcnt vmcnt(26) lgkmcnt(1)
	v_mul_f64 v[113:114], v[95:96], v[115:116]
	v_add_f64 v[145:146], v[145:146], 0
	v_add_f64 v[2:3], v[2:3], 0
	v_mul_f64 v[115:116], v[97:98], v[115:116]
	s_waitcnt vmcnt(24)
	v_fma_f64 v[111:112], v[103:104], v[121:122], -v[111:112]
	v_fma_f64 v[109:110], v[105:106], v[121:122], v[109:110]
	ds_read_b128 v[103:106], v1 offset:1376
	s_waitcnt vmcnt(21)
	v_fma_f64 v[113:114], v[97:98], v[123:124], v[113:114]
	v_add_f64 v[145:146], v[145:146], v[147:148]
	v_add_f64 v[2:3], v[2:3], v[107:108]
	s_waitcnt lgkmcnt(1)
	v_mul_f64 v[107:108], v[99:100], v[117:118]
	v_mul_f64 v[117:118], v[101:102], v[117:118]
	v_fma_f64 v[115:116], v[95:96], v[123:124], -v[115:116]
	s_waitcnt vmcnt(17) lgkmcnt(0)
	v_mul_f64 v[121:122], v[105:106], v[125:126]
	ds_read_b128 v[95:98], v1 offset:1392
	v_add_f64 v[111:112], v[145:146], v[111:112]
	v_add_f64 v[2:3], v[2:3], v[109:110]
	v_mul_f64 v[109:110], v[103:104], v[125:126]
	s_waitcnt vmcnt(16)
	v_fma_f64 v[117:118], v[99:100], v[119:120], -v[117:118]
	v_fma_f64 v[107:108], v[101:102], v[119:120], v[107:108]
	ds_read_b128 v[99:102], v1 offset:1408
	s_waitcnt vmcnt(13)
	v_fma_f64 v[119:120], v[103:104], v[131:132], -v[121:122]
	v_add_f64 v[111:112], v[111:112], v[115:116]
	v_add_f64 v[2:3], v[2:3], v[113:114]
	s_waitcnt lgkmcnt(1)
	v_mul_f64 v[115:116], v[97:98], v[127:128]
	v_mul_f64 v[113:114], v[95:96], v[127:128]
	v_fma_f64 v[109:110], v[105:106], v[131:132], v[109:110]
	ds_read_b128 v[103:106], v1 offset:1424
	v_add_f64 v[111:112], v[111:112], v[117:118]
	v_add_f64 v[2:3], v[2:3], v[107:108]
	s_waitcnt vmcnt(9) lgkmcnt(1)
	v_mul_f64 v[117:118], v[101:102], v[133:134]
	s_waitcnt vmcnt(8)
	v_fma_f64 v[95:96], v[95:96], v[129:130], -v[115:116]
	v_mul_f64 v[107:108], v[99:100], v[133:134]
	v_fma_f64 v[97:98], v[97:98], v[129:130], v[113:114]
	s_waitcnt vmcnt(7) lgkmcnt(0)
	v_mul_f64 v[113:114], v[105:106], v[135:136]
	v_add_f64 v[111:112], v[111:112], v[119:120]
	v_add_f64 v[2:3], v[2:3], v[109:110]
	s_waitcnt vmcnt(5)
	v_fma_f64 v[99:100], v[99:100], v[139:140], -v[117:118]
	v_mul_f64 v[109:110], v[103:104], v[135:136]
	v_fma_f64 v[101:102], v[101:102], v[139:140], v[107:108]
	v_add_f64 v[95:96], v[111:112], v[95:96]
	v_add_f64 v[2:3], v[2:3], v[97:98]
	s_waitcnt vmcnt(4)
	v_fma_f64 v[97:98], v[103:104], v[137:138], -v[113:114]
	v_add_f64 v[95:96], v[95:96], v[99:100]
	v_fma_f64 v[99:100], v[105:106], v[137:138], v[109:110]
	v_add_f64 v[2:3], v[2:3], v[101:102]
	v_add_f64 v[95:96], v[95:96], v[97:98]
	;; [unrolled: 1-line block ×3, first 2 shown]
	s_waitcnt vmcnt(2)
	v_add_f64 v[95:96], v[141:142], -v[95:96]
	s_waitcnt vmcnt(0)
	v_add_f64 v[2:3], v[143:144], -v[2:3]
	buffer_store_dword v96, off, s[0:3], 0 offset:580
	buffer_store_dword v95, off, s[0:3], 0 offset:576
	;; [unrolled: 1-line block ×4, first 2 shown]
	v_cmpx_lt_u32_e32 34, v0
	s_cbranch_execz .LBB108_215
; %bb.214:
	v_mov_b32_e32 v2, s22
	s_clause 0x3
	buffer_load_dword v95, v2, s[0:3], 0 offen
	buffer_load_dword v96, v2, s[0:3], 0 offen offset:4
	buffer_load_dword v97, v2, s[0:3], 0 offen offset:8
	;; [unrolled: 1-line block ×3, first 2 shown]
	buffer_store_dword v1, off, s[0:3], 0 offset:560
	buffer_store_dword v1, off, s[0:3], 0 offset:564
	;; [unrolled: 1-line block ×4, first 2 shown]
	s_waitcnt vmcnt(0)
	ds_write_b128 v151, v[95:98]
.LBB108_215:
	s_or_b32 exec_lo, exec_lo, s4
	s_waitcnt lgkmcnt(0)
	s_waitcnt_vscnt null, 0x0
	s_barrier
	buffer_gl0_inv
	s_clause 0x2b
	buffer_load_dword v2, off, s[0:3], 0 offset:584
	buffer_load_dword v3, off, s[0:3], 0 offset:588
	;; [unrolled: 1-line block ×44, first 2 shown]
	ds_read_b128 v[95:98], v1 offset:1280
	ds_read_b128 v[99:102], v1 offset:1296
	;; [unrolled: 1-line block ×3, first 2 shown]
	s_mov_b32 s4, exec_lo
	s_waitcnt vmcnt(42) lgkmcnt(2)
	v_mul_f64 v[149:150], v[97:98], v[2:3]
	v_mul_f64 v[2:3], v[95:96], v[2:3]
	s_waitcnt vmcnt(40) lgkmcnt(1)
	v_mul_f64 v[152:153], v[101:102], v[107:108]
	v_mul_f64 v[107:108], v[99:100], v[107:108]
	s_waitcnt vmcnt(38)
	v_fma_f64 v[149:150], v[95:96], v[109:110], -v[149:150]
	v_fma_f64 v[2:3], v[97:98], v[109:110], v[2:3]
	ds_read_b128 v[95:98], v1 offset:1328
	s_waitcnt vmcnt(36) lgkmcnt(1)
	v_mul_f64 v[109:110], v[103:104], v[111:112]
	v_mul_f64 v[111:112], v[105:106], v[111:112]
	s_waitcnt vmcnt(34)
	v_fma_f64 v[152:153], v[99:100], v[113:114], -v[152:153]
	v_fma_f64 v[107:108], v[101:102], v[113:114], v[107:108]
	ds_read_b128 v[99:102], v1 offset:1344
	s_waitcnt vmcnt(30) lgkmcnt(1)
	v_mul_f64 v[113:114], v[95:96], v[115:116]
	v_add_f64 v[149:150], v[149:150], 0
	v_add_f64 v[2:3], v[2:3], 0
	v_mul_f64 v[115:116], v[97:98], v[115:116]
	s_waitcnt vmcnt(28)
	v_fma_f64 v[111:112], v[103:104], v[121:122], -v[111:112]
	v_fma_f64 v[109:110], v[105:106], v[121:122], v[109:110]
	ds_read_b128 v[103:106], v1 offset:1360
	s_waitcnt vmcnt(25)
	v_fma_f64 v[113:114], v[97:98], v[123:124], v[113:114]
	v_add_f64 v[149:150], v[149:150], v[152:153]
	v_add_f64 v[2:3], v[2:3], v[107:108]
	s_waitcnt lgkmcnt(1)
	v_mul_f64 v[107:108], v[99:100], v[117:118]
	v_mul_f64 v[117:118], v[101:102], v[117:118]
	v_fma_f64 v[115:116], v[95:96], v[123:124], -v[115:116]
	s_waitcnt vmcnt(21) lgkmcnt(0)
	v_mul_f64 v[121:122], v[105:106], v[125:126]
	ds_read_b128 v[95:98], v1 offset:1376
	v_add_f64 v[111:112], v[149:150], v[111:112]
	v_add_f64 v[2:3], v[2:3], v[109:110]
	v_mul_f64 v[109:110], v[103:104], v[125:126]
	s_waitcnt vmcnt(20)
	v_fma_f64 v[117:118], v[99:100], v[119:120], -v[117:118]
	v_fma_f64 v[107:108], v[101:102], v[119:120], v[107:108]
	ds_read_b128 v[99:102], v1 offset:1392
	s_waitcnt vmcnt(17)
	v_fma_f64 v[119:120], v[103:104], v[131:132], -v[121:122]
	v_add_f64 v[111:112], v[111:112], v[115:116]
	v_add_f64 v[2:3], v[2:3], v[113:114]
	s_waitcnt lgkmcnt(1)
	v_mul_f64 v[115:116], v[97:98], v[127:128]
	v_mul_f64 v[113:114], v[95:96], v[127:128]
	v_fma_f64 v[109:110], v[105:106], v[131:132], v[109:110]
	ds_read_b128 v[103:106], v1 offset:1408
	v_add_f64 v[111:112], v[111:112], v[117:118]
	v_add_f64 v[2:3], v[2:3], v[107:108]
	s_waitcnt vmcnt(13) lgkmcnt(1)
	v_mul_f64 v[117:118], v[101:102], v[133:134]
	s_waitcnt vmcnt(12)
	v_fma_f64 v[95:96], v[95:96], v[129:130], -v[115:116]
	v_mul_f64 v[107:108], v[99:100], v[133:134]
	v_fma_f64 v[97:98], v[97:98], v[129:130], v[113:114]
	s_waitcnt vmcnt(11) lgkmcnt(0)
	v_mul_f64 v[115:116], v[105:106], v[135:136]
	v_mul_f64 v[113:114], v[103:104], v[135:136]
	v_add_f64 v[111:112], v[111:112], v[119:120]
	v_add_f64 v[109:110], v[2:3], v[109:110]
	s_waitcnt vmcnt(9)
	v_fma_f64 v[99:100], v[99:100], v[139:140], -v[117:118]
	ds_read_b128 v[1:4], v1 offset:1424
	v_fma_f64 v[101:102], v[101:102], v[139:140], v[107:108]
	s_waitcnt vmcnt(6)
	v_fma_f64 v[103:104], v[103:104], v[137:138], -v[115:116]
	v_add_f64 v[95:96], v[111:112], v[95:96]
	v_add_f64 v[97:98], v[109:110], v[97:98]
	s_waitcnt lgkmcnt(0)
	v_mul_f64 v[109:110], v[3:4], v[141:142]
	v_mul_f64 v[107:108], v[1:2], v[141:142]
	v_add_f64 v[95:96], v[95:96], v[99:100]
	v_fma_f64 v[99:100], v[105:106], v[137:138], v[113:114]
	v_add_f64 v[97:98], v[97:98], v[101:102]
	s_waitcnt vmcnt(4)
	v_fma_f64 v[1:2], v[1:2], v[143:144], -v[109:110]
	v_fma_f64 v[3:4], v[3:4], v[143:144], v[107:108]
	v_add_f64 v[95:96], v[95:96], v[103:104]
	v_add_f64 v[97:98], v[97:98], v[99:100]
	;; [unrolled: 1-line block ×4, first 2 shown]
	s_waitcnt vmcnt(2)
	v_add_f64 v[1:2], v[145:146], -v[1:2]
	s_waitcnt vmcnt(0)
	v_add_f64 v[3:4], v[147:148], -v[3:4]
	buffer_store_dword v2, off, s[0:3], 0 offset:564
	buffer_store_dword v1, off, s[0:3], 0 offset:560
	;; [unrolled: 1-line block ×4, first 2 shown]
	v_cmpx_lt_u32_e32 33, v0
	s_cbranch_execz .LBB108_217
; %bb.216:
	v_mov_b32_e32 v4, s23
	v_mov_b32_e32 v95, 0
	s_clause 0x3
	buffer_load_dword v1, v4, s[0:3], 0 offen
	buffer_load_dword v2, v4, s[0:3], 0 offen offset:4
	buffer_load_dword v3, v4, s[0:3], 0 offen offset:8
	;; [unrolled: 1-line block ×3, first 2 shown]
	buffer_store_dword v95, off, s[0:3], 0 offset:544
	buffer_store_dword v95, off, s[0:3], 0 offset:548
	;; [unrolled: 1-line block ×4, first 2 shown]
	s_waitcnt vmcnt(0)
	ds_write_b128 v151, v[1:4]
.LBB108_217:
	s_or_b32 exec_lo, exec_lo, s4
	s_waitcnt lgkmcnt(0)
	s_waitcnt_vscnt null, 0x0
	s_barrier
	buffer_gl0_inv
	s_clause 0x2f
	buffer_load_dword v2, off, s[0:3], 0 offset:568
	buffer_load_dword v3, off, s[0:3], 0 offset:572
	;; [unrolled: 1-line block ×48, first 2 shown]
	v_mov_b32_e32 v1, 0
	ds_read_b128 v[95:98], v1 offset:1264
	ds_read_b128 v[99:102], v1 offset:1280
	;; [unrolled: 1-line block ×3, first 2 shown]
	s_mov_b32 s4, exec_lo
	s_waitcnt vmcnt(46) lgkmcnt(2)
	v_mul_f64 v[154:155], v[97:98], v[2:3]
	v_mul_f64 v[2:3], v[95:96], v[2:3]
	s_waitcnt vmcnt(44) lgkmcnt(1)
	v_mul_f64 v[156:157], v[101:102], v[107:108]
	v_mul_f64 v[107:108], v[99:100], v[107:108]
	s_waitcnt vmcnt(42)
	v_fma_f64 v[154:155], v[95:96], v[109:110], -v[154:155]
	v_fma_f64 v[2:3], v[97:98], v[109:110], v[2:3]
	ds_read_b128 v[95:98], v1 offset:1312
	s_waitcnt vmcnt(40) lgkmcnt(1)
	v_mul_f64 v[109:110], v[103:104], v[111:112]
	v_mul_f64 v[111:112], v[105:106], v[111:112]
	s_waitcnt vmcnt(38)
	v_fma_f64 v[156:157], v[99:100], v[113:114], -v[156:157]
	v_fma_f64 v[107:108], v[101:102], v[113:114], v[107:108]
	ds_read_b128 v[99:102], v1 offset:1328
	s_waitcnt vmcnt(34) lgkmcnt(1)
	v_mul_f64 v[113:114], v[95:96], v[115:116]
	v_add_f64 v[154:155], v[154:155], 0
	v_add_f64 v[2:3], v[2:3], 0
	v_mul_f64 v[115:116], v[97:98], v[115:116]
	s_waitcnt vmcnt(32)
	v_fma_f64 v[111:112], v[103:104], v[121:122], -v[111:112]
	v_fma_f64 v[109:110], v[105:106], v[121:122], v[109:110]
	ds_read_b128 v[103:106], v1 offset:1344
	s_waitcnt vmcnt(29)
	v_fma_f64 v[113:114], v[97:98], v[123:124], v[113:114]
	v_add_f64 v[154:155], v[154:155], v[156:157]
	v_add_f64 v[2:3], v[2:3], v[107:108]
	s_waitcnt lgkmcnt(1)
	v_mul_f64 v[107:108], v[99:100], v[117:118]
	v_mul_f64 v[117:118], v[101:102], v[117:118]
	v_fma_f64 v[115:116], v[95:96], v[123:124], -v[115:116]
	s_waitcnt vmcnt(25) lgkmcnt(0)
	v_mul_f64 v[121:122], v[105:106], v[125:126]
	ds_read_b128 v[95:98], v1 offset:1360
	v_add_f64 v[111:112], v[154:155], v[111:112]
	v_add_f64 v[2:3], v[2:3], v[109:110]
	v_mul_f64 v[109:110], v[103:104], v[125:126]
	s_waitcnt vmcnt(24)
	v_fma_f64 v[117:118], v[99:100], v[119:120], -v[117:118]
	v_fma_f64 v[107:108], v[101:102], v[119:120], v[107:108]
	ds_read_b128 v[99:102], v1 offset:1376
	s_waitcnt vmcnt(21)
	v_fma_f64 v[119:120], v[103:104], v[131:132], -v[121:122]
	v_add_f64 v[111:112], v[111:112], v[115:116]
	v_add_f64 v[2:3], v[2:3], v[113:114]
	s_waitcnt lgkmcnt(1)
	v_mul_f64 v[115:116], v[97:98], v[127:128]
	v_mul_f64 v[113:114], v[95:96], v[127:128]
	v_fma_f64 v[109:110], v[105:106], v[131:132], v[109:110]
	ds_read_b128 v[103:106], v1 offset:1392
	v_add_f64 v[111:112], v[111:112], v[117:118]
	v_add_f64 v[2:3], v[2:3], v[107:108]
	s_waitcnt vmcnt(17) lgkmcnt(1)
	v_mul_f64 v[117:118], v[101:102], v[133:134]
	s_waitcnt vmcnt(16)
	v_fma_f64 v[115:116], v[95:96], v[129:130], -v[115:116]
	v_mul_f64 v[107:108], v[99:100], v[133:134]
	v_fma_f64 v[113:114], v[97:98], v[129:130], v[113:114]
	ds_read_b128 v[95:98], v1 offset:1408
	v_add_f64 v[111:112], v[111:112], v[119:120]
	v_add_f64 v[2:3], v[2:3], v[109:110]
	s_waitcnt vmcnt(15) lgkmcnt(1)
	v_mul_f64 v[119:120], v[105:106], v[135:136]
	s_waitcnt vmcnt(13)
	v_fma_f64 v[117:118], v[99:100], v[139:140], -v[117:118]
	;; [unrolled: 9-line block ×3, first 2 shown]
	v_mul_f64 v[113:114], v[95:96], v[141:142]
	v_fma_f64 v[105:106], v[105:106], v[137:138], v[109:110]
	s_waitcnt vmcnt(7) lgkmcnt(0)
	v_mul_f64 v[109:110], v[101:102], v[143:144]
	v_add_f64 v[111:112], v[111:112], v[117:118]
	v_add_f64 v[2:3], v[2:3], v[107:108]
	s_waitcnt vmcnt(5)
	v_fma_f64 v[95:96], v[95:96], v[147:148], -v[115:116]
	v_mul_f64 v[107:108], v[99:100], v[143:144]
	v_fma_f64 v[97:98], v[97:98], v[147:148], v[113:114]
	s_waitcnt vmcnt(4)
	v_fma_f64 v[99:100], v[99:100], v[145:146], -v[109:110]
	v_add_f64 v[103:104], v[111:112], v[103:104]
	v_add_f64 v[2:3], v[2:3], v[105:106]
	v_fma_f64 v[101:102], v[101:102], v[145:146], v[107:108]
	v_add_f64 v[95:96], v[103:104], v[95:96]
	v_add_f64 v[2:3], v[2:3], v[97:98]
	;; [unrolled: 1-line block ×4, first 2 shown]
	s_waitcnt vmcnt(2)
	v_add_f64 v[95:96], v[149:150], -v[95:96]
	s_waitcnt vmcnt(0)
	v_add_f64 v[2:3], v[152:153], -v[2:3]
	buffer_store_dword v96, off, s[0:3], 0 offset:548
	buffer_store_dword v95, off, s[0:3], 0 offset:544
	;; [unrolled: 1-line block ×4, first 2 shown]
	v_cmpx_lt_u32_e32 32, v0
	s_cbranch_execz .LBB108_219
; %bb.218:
	v_mov_b32_e32 v2, s24
	s_clause 0x3
	buffer_load_dword v95, v2, s[0:3], 0 offen
	buffer_load_dword v96, v2, s[0:3], 0 offen offset:4
	buffer_load_dword v97, v2, s[0:3], 0 offen offset:8
	;; [unrolled: 1-line block ×3, first 2 shown]
	buffer_store_dword v1, off, s[0:3], 0 offset:528
	buffer_store_dword v1, off, s[0:3], 0 offset:532
	;; [unrolled: 1-line block ×4, first 2 shown]
	s_waitcnt vmcnt(0)
	ds_write_b128 v151, v[95:98]
.LBB108_219:
	s_or_b32 exec_lo, exec_lo, s4
	s_waitcnt lgkmcnt(0)
	s_waitcnt_vscnt null, 0x0
	s_barrier
	buffer_gl0_inv
	s_clause 0x2f
	buffer_load_dword v2, off, s[0:3], 0 offset:552
	buffer_load_dword v3, off, s[0:3], 0 offset:556
	;; [unrolled: 1-line block ×48, first 2 shown]
	ds_read_b128 v[95:98], v1 offset:1248
	s_clause 0x3
	buffer_load_dword v154, off, s[0:3], 0 offset:528
	buffer_load_dword v155, off, s[0:3], 0 offset:532
	;; [unrolled: 1-line block ×4, first 2 shown]
	ds_read_b128 v[99:102], v1 offset:1264
	ds_read_b128 v[103:106], v1 offset:1280
	s_mov_b32 s4, exec_lo
	s_waitcnt vmcnt(50) lgkmcnt(2)
	v_mul_f64 v[158:159], v[97:98], v[2:3]
	v_mul_f64 v[2:3], v[95:96], v[2:3]
	s_waitcnt vmcnt(48) lgkmcnt(1)
	v_mul_f64 v[160:161], v[101:102], v[107:108]
	v_mul_f64 v[107:108], v[99:100], v[107:108]
	s_waitcnt vmcnt(46)
	v_fma_f64 v[158:159], v[95:96], v[109:110], -v[158:159]
	v_fma_f64 v[2:3], v[97:98], v[109:110], v[2:3]
	s_waitcnt vmcnt(44) lgkmcnt(0)
	v_mul_f64 v[109:110], v[103:104], v[111:112]
	v_mul_f64 v[111:112], v[105:106], v[111:112]
	s_waitcnt vmcnt(42)
	v_fma_f64 v[160:161], v[99:100], v[113:114], -v[160:161]
	ds_read_b128 v[95:98], v1 offset:1296
	v_fma_f64 v[107:108], v[101:102], v[113:114], v[107:108]
	ds_read_b128 v[99:102], v1 offset:1312
	v_add_f64 v[158:159], v[158:159], 0
	v_add_f64 v[2:3], v[2:3], 0
	s_waitcnt vmcnt(38)
	v_fma_f64 v[109:110], v[105:106], v[117:118], v[109:110]
	s_waitcnt lgkmcnt(1)
	v_mul_f64 v[113:114], v[95:96], v[115:116]
	v_mul_f64 v[115:116], v[97:98], v[115:116]
	v_fma_f64 v[111:112], v[103:104], v[117:118], -v[111:112]
	s_waitcnt vmcnt(36) lgkmcnt(0)
	v_mul_f64 v[117:118], v[101:102], v[119:120]
	ds_read_b128 v[103:106], v1 offset:1328
	v_add_f64 v[158:159], v[158:159], v[160:161]
	v_add_f64 v[2:3], v[2:3], v[107:108]
	v_mul_f64 v[107:108], v[99:100], v[119:120]
	s_waitcnt vmcnt(34)
	v_fma_f64 v[113:114], v[97:98], v[121:122], v[113:114]
	v_fma_f64 v[115:116], v[95:96], v[121:122], -v[115:116]
	ds_read_b128 v[95:98], v1 offset:1344
	s_waitcnt vmcnt(32) lgkmcnt(1)
	v_mul_f64 v[119:120], v[105:106], v[123:124]
	s_waitcnt vmcnt(30)
	v_fma_f64 v[117:118], v[99:100], v[125:126], -v[117:118]
	v_add_f64 v[111:112], v[158:159], v[111:112]
	v_add_f64 v[2:3], v[2:3], v[109:110]
	v_mul_f64 v[109:110], v[103:104], v[123:124]
	v_fma_f64 v[107:108], v[101:102], v[125:126], v[107:108]
	ds_read_b128 v[99:102], v1 offset:1360
	s_waitcnt vmcnt(26)
	v_fma_f64 v[119:120], v[103:104], v[129:130], -v[119:120]
	v_add_f64 v[111:112], v[111:112], v[115:116]
	v_add_f64 v[2:3], v[2:3], v[113:114]
	s_waitcnt lgkmcnt(1)
	v_mul_f64 v[115:116], v[97:98], v[127:128]
	v_mul_f64 v[113:114], v[95:96], v[127:128]
	v_fma_f64 v[109:110], v[105:106], v[129:130], v[109:110]
	ds_read_b128 v[103:106], v1 offset:1376
	v_add_f64 v[111:112], v[111:112], v[117:118]
	v_add_f64 v[2:3], v[2:3], v[107:108]
	s_waitcnt vmcnt(24) lgkmcnt(1)
	v_mul_f64 v[117:118], v[101:102], v[131:132]
	s_waitcnt vmcnt(22)
	v_fma_f64 v[115:116], v[95:96], v[133:134], -v[115:116]
	v_mul_f64 v[107:108], v[99:100], v[131:132]
	v_fma_f64 v[113:114], v[97:98], v[133:134], v[113:114]
	ds_read_b128 v[95:98], v1 offset:1392
	v_add_f64 v[111:112], v[111:112], v[119:120]
	v_add_f64 v[2:3], v[2:3], v[109:110]
	s_waitcnt vmcnt(20) lgkmcnt(1)
	v_mul_f64 v[119:120], v[105:106], v[135:136]
	s_waitcnt vmcnt(18)
	v_fma_f64 v[117:118], v[99:100], v[137:138], -v[117:118]
	;; [unrolled: 9-line block ×3, first 2 shown]
	v_mul_f64 v[113:114], v[95:96], v[139:140]
	v_fma_f64 v[105:106], v[105:106], v[141:142], v[109:110]
	s_waitcnt vmcnt(12) lgkmcnt(0)
	v_mul_f64 v[109:110], v[99:100], v[143:144]
	v_add_f64 v[111:112], v[111:112], v[117:118]
	v_add_f64 v[107:108], v[2:3], v[107:108]
	v_mul_f64 v[117:118], v[101:102], v[143:144]
	s_waitcnt vmcnt(10)
	v_fma_f64 v[95:96], v[95:96], v[145:146], -v[115:116]
	ds_read_b128 v[1:4], v1 offset:1424
	v_fma_f64 v[97:98], v[97:98], v[145:146], v[113:114]
	s_waitcnt vmcnt(6)
	v_fma_f64 v[101:102], v[101:102], v[149:150], v[109:110]
	v_add_f64 v[103:104], v[111:112], v[103:104]
	v_add_f64 v[105:106], v[107:108], v[105:106]
	s_waitcnt lgkmcnt(0)
	v_mul_f64 v[111:112], v[3:4], v[147:148]
	v_fma_f64 v[99:100], v[99:100], v[149:150], -v[117:118]
	v_mul_f64 v[107:108], v[1:2], v[147:148]
	v_add_f64 v[95:96], v[103:104], v[95:96]
	v_add_f64 v[97:98], v[105:106], v[97:98]
	s_waitcnt vmcnt(4)
	v_fma_f64 v[1:2], v[1:2], v[152:153], -v[111:112]
	v_fma_f64 v[3:4], v[3:4], v[152:153], v[107:108]
	v_add_f64 v[95:96], v[95:96], v[99:100]
	v_add_f64 v[97:98], v[97:98], v[101:102]
	;; [unrolled: 1-line block ×4, first 2 shown]
	s_waitcnt vmcnt(2)
	v_add_f64 v[1:2], v[154:155], -v[1:2]
	s_waitcnt vmcnt(0)
	v_add_f64 v[3:4], v[156:157], -v[3:4]
	buffer_store_dword v2, off, s[0:3], 0 offset:532
	buffer_store_dword v1, off, s[0:3], 0 offset:528
	;; [unrolled: 1-line block ×4, first 2 shown]
	v_cmpx_lt_u32_e32 31, v0
	s_cbranch_execz .LBB108_221
; %bb.220:
	v_mov_b32_e32 v4, s25
	v_mov_b32_e32 v95, 0
	s_clause 0x3
	buffer_load_dword v1, v4, s[0:3], 0 offen
	buffer_load_dword v2, v4, s[0:3], 0 offen offset:4
	buffer_load_dword v3, v4, s[0:3], 0 offen offset:8
	;; [unrolled: 1-line block ×3, first 2 shown]
	buffer_store_dword v95, off, s[0:3], 0 offset:512
	buffer_store_dword v95, off, s[0:3], 0 offset:516
	;; [unrolled: 1-line block ×4, first 2 shown]
	s_waitcnt vmcnt(0)
	ds_write_b128 v151, v[1:4]
.LBB108_221:
	s_or_b32 exec_lo, exec_lo, s4
	s_waitcnt lgkmcnt(0)
	s_waitcnt_vscnt null, 0x0
	s_barrier
	buffer_gl0_inv
	s_clause 0x33
	buffer_load_dword v2, off, s[0:3], 0 offset:536
	buffer_load_dword v3, off, s[0:3], 0 offset:540
	;; [unrolled: 1-line block ×52, first 2 shown]
	v_mov_b32_e32 v1, 0
	ds_read_b128 v[95:98], v1 offset:1232
	ds_read_b128 v[99:102], v1 offset:1248
	s_clause 0x3
	buffer_load_dword v160, off, s[0:3], 0 offset:512
	buffer_load_dword v161, off, s[0:3], 0 offset:516
	;; [unrolled: 1-line block ×4, first 2 shown]
	ds_read_b128 v[103:106], v1 offset:1264
	s_mov_b32 s4, exec_lo
	s_waitcnt vmcnt(54) lgkmcnt(2)
	v_mul_f64 v[158:159], v[97:98], v[2:3]
	v_mul_f64 v[2:3], v[95:96], v[2:3]
	s_waitcnt vmcnt(52) lgkmcnt(1)
	v_mul_f64 v[164:165], v[101:102], v[107:108]
	v_mul_f64 v[107:108], v[99:100], v[107:108]
	s_waitcnt vmcnt(50)
	v_fma_f64 v[158:159], v[95:96], v[109:110], -v[158:159]
	v_fma_f64 v[2:3], v[97:98], v[109:110], v[2:3]
	ds_read_b128 v[95:98], v1 offset:1280
	s_waitcnt vmcnt(48) lgkmcnt(1)
	v_mul_f64 v[109:110], v[103:104], v[111:112]
	v_mul_f64 v[111:112], v[105:106], v[111:112]
	s_waitcnt vmcnt(46)
	v_fma_f64 v[164:165], v[99:100], v[113:114], -v[164:165]
	v_fma_f64 v[107:108], v[101:102], v[113:114], v[107:108]
	ds_read_b128 v[99:102], v1 offset:1296
	s_waitcnt vmcnt(42) lgkmcnt(1)
	v_mul_f64 v[113:114], v[95:96], v[115:116]
	v_add_f64 v[158:159], v[158:159], 0
	v_add_f64 v[2:3], v[2:3], 0
	v_mul_f64 v[115:116], v[97:98], v[115:116]
	s_waitcnt vmcnt(40)
	v_fma_f64 v[111:112], v[103:104], v[121:122], -v[111:112]
	v_fma_f64 v[109:110], v[105:106], v[121:122], v[109:110]
	ds_read_b128 v[103:106], v1 offset:1312
	s_waitcnt vmcnt(37)
	v_fma_f64 v[113:114], v[97:98], v[123:124], v[113:114]
	v_add_f64 v[158:159], v[158:159], v[164:165]
	v_add_f64 v[2:3], v[2:3], v[107:108]
	s_waitcnt lgkmcnt(1)
	v_mul_f64 v[107:108], v[99:100], v[117:118]
	v_mul_f64 v[117:118], v[101:102], v[117:118]
	v_fma_f64 v[115:116], v[95:96], v[123:124], -v[115:116]
	s_waitcnt vmcnt(33) lgkmcnt(0)
	v_mul_f64 v[121:122], v[105:106], v[125:126]
	ds_read_b128 v[95:98], v1 offset:1328
	v_add_f64 v[111:112], v[158:159], v[111:112]
	v_add_f64 v[2:3], v[2:3], v[109:110]
	v_mul_f64 v[109:110], v[103:104], v[125:126]
	s_waitcnt vmcnt(32)
	v_fma_f64 v[117:118], v[99:100], v[119:120], -v[117:118]
	v_fma_f64 v[107:108], v[101:102], v[119:120], v[107:108]
	ds_read_b128 v[99:102], v1 offset:1344
	s_waitcnt vmcnt(29)
	v_fma_f64 v[119:120], v[103:104], v[131:132], -v[121:122]
	v_add_f64 v[111:112], v[111:112], v[115:116]
	v_add_f64 v[2:3], v[2:3], v[113:114]
	s_waitcnt lgkmcnt(1)
	v_mul_f64 v[115:116], v[97:98], v[127:128]
	v_mul_f64 v[113:114], v[95:96], v[127:128]
	v_fma_f64 v[109:110], v[105:106], v[131:132], v[109:110]
	ds_read_b128 v[103:106], v1 offset:1360
	v_add_f64 v[111:112], v[111:112], v[117:118]
	v_add_f64 v[2:3], v[2:3], v[107:108]
	s_waitcnt vmcnt(25) lgkmcnt(1)
	v_mul_f64 v[117:118], v[101:102], v[133:134]
	s_waitcnt vmcnt(24)
	v_fma_f64 v[115:116], v[95:96], v[129:130], -v[115:116]
	v_mul_f64 v[107:108], v[99:100], v[133:134]
	v_fma_f64 v[113:114], v[97:98], v[129:130], v[113:114]
	ds_read_b128 v[95:98], v1 offset:1376
	v_add_f64 v[111:112], v[111:112], v[119:120]
	v_add_f64 v[2:3], v[2:3], v[109:110]
	s_waitcnt vmcnt(23) lgkmcnt(1)
	v_mul_f64 v[119:120], v[105:106], v[135:136]
	s_waitcnt vmcnt(21)
	v_fma_f64 v[117:118], v[99:100], v[139:140], -v[117:118]
	;; [unrolled: 9-line block ×5, first 2 shown]
	v_mul_f64 v[109:110], v[103:104], v[149:150]
	v_fma_f64 v[101:102], v[101:102], v[145:146], v[107:108]
	s_waitcnt vmcnt(7) lgkmcnt(0)
	v_mul_f64 v[107:108], v[95:96], v[152:153]
	v_add_f64 v[111:112], v[111:112], v[115:116]
	v_add_f64 v[2:3], v[2:3], v[113:114]
	v_mul_f64 v[113:114], v[97:98], v[152:153]
	s_waitcnt vmcnt(5)
	v_fma_f64 v[103:104], v[103:104], v[156:157], -v[119:120]
	v_fma_f64 v[105:106], v[105:106], v[156:157], v[109:110]
	s_waitcnt vmcnt(4)
	v_fma_f64 v[97:98], v[97:98], v[154:155], v[107:108]
	v_add_f64 v[99:100], v[111:112], v[99:100]
	v_add_f64 v[2:3], v[2:3], v[101:102]
	v_fma_f64 v[95:96], v[95:96], v[154:155], -v[113:114]
	v_add_f64 v[99:100], v[99:100], v[103:104]
	v_add_f64 v[2:3], v[2:3], v[105:106]
	;; [unrolled: 1-line block ×4, first 2 shown]
	s_waitcnt vmcnt(2)
	v_add_f64 v[95:96], v[160:161], -v[95:96]
	s_waitcnt vmcnt(0)
	v_add_f64 v[2:3], v[162:163], -v[2:3]
	buffer_store_dword v96, off, s[0:3], 0 offset:516
	buffer_store_dword v95, off, s[0:3], 0 offset:512
	buffer_store_dword v3, off, s[0:3], 0 offset:524
	buffer_store_dword v2, off, s[0:3], 0 offset:520
	v_cmpx_lt_u32_e32 30, v0
	s_cbranch_execz .LBB108_223
; %bb.222:
	v_mov_b32_e32 v2, s26
	s_clause 0x3
	buffer_load_dword v95, v2, s[0:3], 0 offen
	buffer_load_dword v96, v2, s[0:3], 0 offen offset:4
	buffer_load_dword v97, v2, s[0:3], 0 offen offset:8
	;; [unrolled: 1-line block ×3, first 2 shown]
	buffer_store_dword v1, off, s[0:3], 0 offset:496
	buffer_store_dword v1, off, s[0:3], 0 offset:500
	;; [unrolled: 1-line block ×4, first 2 shown]
	s_waitcnt vmcnt(0)
	ds_write_b128 v151, v[95:98]
.LBB108_223:
	s_or_b32 exec_lo, exec_lo, s4
	s_waitcnt lgkmcnt(0)
	s_waitcnt_vscnt null, 0x0
	s_barrier
	buffer_gl0_inv
	s_clause 0x35
	buffer_load_dword v2, off, s[0:3], 0 offset:520
	buffer_load_dword v3, off, s[0:3], 0 offset:524
	;; [unrolled: 1-line block ×54, first 2 shown]
	ds_read_b128 v[95:98], v1 offset:1216
	s_clause 0x1
	buffer_load_dword v161, off, s[0:3], 0 offset:724
	buffer_load_dword v160, off, s[0:3], 0 offset:720
	ds_read_b128 v[99:102], v1 offset:1232
	ds_read_b128 v[103:106], v1 offset:1248
	s_mov_b32 s4, exec_lo
	s_waitcnt vmcnt(54) lgkmcnt(2)
	v_mul_f64 v[162:163], v[97:98], v[2:3]
	v_mul_f64 v[2:3], v[95:96], v[2:3]
	s_waitcnt vmcnt(52) lgkmcnt(1)
	v_mul_f64 v[164:165], v[101:102], v[107:108]
	v_mul_f64 v[107:108], v[99:100], v[107:108]
	;; [unrolled: 3-line block ×3, first 2 shown]
	v_fma_f64 v[162:163], v[95:96], v[109:110], -v[162:163]
	v_fma_f64 v[2:3], v[97:98], v[109:110], v[2:3]
	s_clause 0x3
	buffer_load_dword v109, off, s[0:3], 0 offset:496
	buffer_load_dword v110, off, s[0:3], 0 offset:500
	buffer_load_dword v166, off, s[0:3], 0 offset:504
	buffer_load_dword v167, off, s[0:3], 0 offset:508
	s_waitcnt vmcnt(50)
	v_fma_f64 v[164:165], v[99:100], v[113:114], -v[164:165]
	ds_read_b128 v[95:98], v1 offset:1264
	v_fma_f64 v[107:108], v[101:102], v[113:114], v[107:108]
	ds_read_b128 v[99:102], v1 offset:1280
	s_waitcnt vmcnt(44)
	v_fma_f64 v[111:112], v[103:104], v[121:122], -v[111:112]
	v_fma_f64 v[121:122], v[105:106], v[121:122], v[168:169]
	ds_read_b128 v[103:106], v1 offset:1296
	v_add_f64 v[162:163], v[162:163], 0
	v_add_f64 v[2:3], v[2:3], 0
	s_waitcnt lgkmcnt(2)
	v_mul_f64 v[113:114], v[95:96], v[115:116]
	v_mul_f64 v[115:116], v[97:98], v[115:116]
	v_add_f64 v[162:163], v[162:163], v[164:165]
	v_add_f64 v[2:3], v[2:3], v[107:108]
	s_waitcnt vmcnt(43) lgkmcnt(1)
	v_mul_f64 v[107:108], v[99:100], v[117:118]
	v_mul_f64 v[117:118], v[101:102], v[117:118]
	s_waitcnt vmcnt(41)
	v_fma_f64 v[115:116], v[95:96], v[123:124], -v[115:116]
	v_fma_f64 v[113:114], v[97:98], v[123:124], v[113:114]
	ds_read_b128 v[95:98], v1 offset:1312
	s_waitcnt vmcnt(37) lgkmcnt(1)
	v_mul_f64 v[123:124], v[105:106], v[125:126]
	v_add_f64 v[111:112], v[162:163], v[111:112]
	v_add_f64 v[2:3], v[2:3], v[121:122]
	v_mul_f64 v[121:122], v[103:104], v[125:126]
	s_waitcnt vmcnt(36)
	v_fma_f64 v[117:118], v[99:100], v[119:120], -v[117:118]
	v_fma_f64 v[107:108], v[101:102], v[119:120], v[107:108]
	ds_read_b128 v[99:102], v1 offset:1328
	s_waitcnt vmcnt(33)
	v_fma_f64 v[119:120], v[103:104], v[131:132], -v[123:124]
	v_add_f64 v[111:112], v[111:112], v[115:116]
	v_add_f64 v[2:3], v[2:3], v[113:114]
	s_waitcnt lgkmcnt(1)
	v_mul_f64 v[115:116], v[97:98], v[127:128]
	v_mul_f64 v[113:114], v[95:96], v[127:128]
	v_add_f64 v[111:112], v[111:112], v[117:118]
	v_fma_f64 v[117:118], v[105:106], v[131:132], v[121:122]
	v_add_f64 v[2:3], v[2:3], v[107:108]
	ds_read_b128 v[103:106], v1 offset:1344
	s_waitcnt vmcnt(29) lgkmcnt(1)
	v_mul_f64 v[121:122], v[101:102], v[133:134]
	s_waitcnt vmcnt(28)
	v_fma_f64 v[115:116], v[95:96], v[129:130], -v[115:116]
	v_mul_f64 v[107:108], v[99:100], v[133:134]
	v_fma_f64 v[113:114], v[97:98], v[129:130], v[113:114]
	ds_read_b128 v[95:98], v1 offset:1360
	v_add_f64 v[111:112], v[111:112], v[119:120]
	s_waitcnt vmcnt(27) lgkmcnt(1)
	v_mul_f64 v[119:120], v[105:106], v[135:136]
	v_add_f64 v[2:3], v[2:3], v[117:118]
	v_mul_f64 v[117:118], v[103:104], v[135:136]
	s_waitcnt vmcnt(25)
	v_fma_f64 v[121:122], v[99:100], v[139:140], -v[121:122]
	v_fma_f64 v[107:108], v[101:102], v[139:140], v[107:108]
	ds_read_b128 v[99:102], v1 offset:1376
	v_add_f64 v[111:112], v[111:112], v[115:116]
	s_waitcnt vmcnt(21) lgkmcnt(1)
	v_mul_f64 v[115:116], v[97:98], v[141:142]
	v_add_f64 v[2:3], v[2:3], v[113:114]
	s_waitcnt vmcnt(20)
	v_fma_f64 v[119:120], v[103:104], v[137:138], -v[119:120]
	v_mul_f64 v[113:114], v[95:96], v[141:142]
	v_fma_f64 v[117:118], v[105:106], v[137:138], v[117:118]
	ds_read_b128 v[103:106], v1 offset:1392
	v_add_f64 v[111:112], v[111:112], v[121:122]
	s_waitcnt vmcnt(19) lgkmcnt(1)
	v_mul_f64 v[121:122], v[101:102], v[143:144]
	v_add_f64 v[2:3], v[2:3], v[107:108]
	s_waitcnt vmcnt(17)
	v_fma_f64 v[115:116], v[95:96], v[147:148], -v[115:116]
	v_mul_f64 v[107:108], v[99:100], v[143:144]
	;; [unrolled: 9-line block ×3, first 2 shown]
	v_fma_f64 v[101:102], v[101:102], v[145:146], v[107:108]
	v_add_f64 v[111:112], v[111:112], v[115:116]
	s_waitcnt vmcnt(11) lgkmcnt(0)
	v_mul_f64 v[115:116], v[97:98], v[152:153]
	v_add_f64 v[107:108], v[2:3], v[113:114]
	s_waitcnt vmcnt(9)
	v_fma_f64 v[103:104], v[103:104], v[156:157], -v[119:120]
	ds_read_b128 v[1:4], v1 offset:1424
	v_mul_f64 v[113:114], v[95:96], v[152:153]
	v_fma_f64 v[105:106], v[105:106], v[156:157], v[117:118]
	v_add_f64 v[99:100], v[111:112], v[99:100]
	s_waitcnt vmcnt(6)
	v_fma_f64 v[95:96], v[95:96], v[154:155], -v[115:116]
	v_add_f64 v[101:102], v[107:108], v[101:102]
	s_waitcnt lgkmcnt(0)
	v_mul_f64 v[111:112], v[3:4], v[158:159]
	v_mul_f64 v[107:108], v[1:2], v[158:159]
	v_fma_f64 v[97:98], v[97:98], v[154:155], v[113:114]
	v_add_f64 v[99:100], v[99:100], v[103:104]
	v_add_f64 v[101:102], v[101:102], v[105:106]
	s_waitcnt vmcnt(4)
	v_fma_f64 v[1:2], v[1:2], v[160:161], -v[111:112]
	v_fma_f64 v[3:4], v[3:4], v[160:161], v[107:108]
	v_add_f64 v[95:96], v[99:100], v[95:96]
	v_add_f64 v[97:98], v[101:102], v[97:98]
	;; [unrolled: 1-line block ×4, first 2 shown]
	s_waitcnt vmcnt(2)
	v_add_f64 v[1:2], v[109:110], -v[1:2]
	s_waitcnt vmcnt(0)
	v_add_f64 v[3:4], v[166:167], -v[3:4]
	buffer_store_dword v2, off, s[0:3], 0 offset:500
	buffer_store_dword v1, off, s[0:3], 0 offset:496
	;; [unrolled: 1-line block ×4, first 2 shown]
	v_cmpx_lt_u32_e32 29, v0
	s_cbranch_execz .LBB108_225
; %bb.224:
	v_mov_b32_e32 v4, s27
	v_mov_b32_e32 v95, 0
	s_clause 0x3
	buffer_load_dword v1, v4, s[0:3], 0 offen
	buffer_load_dword v2, v4, s[0:3], 0 offen offset:4
	buffer_load_dword v3, v4, s[0:3], 0 offen offset:8
	;; [unrolled: 1-line block ×3, first 2 shown]
	buffer_store_dword v95, off, s[0:3], 0 offset:480
	buffer_store_dword v95, off, s[0:3], 0 offset:484
	;; [unrolled: 1-line block ×4, first 2 shown]
	s_waitcnt vmcnt(0)
	ds_write_b128 v151, v[1:4]
.LBB108_225:
	s_or_b32 exec_lo, exec_lo, s4
	s_waitcnt lgkmcnt(0)
	s_waitcnt_vscnt null, 0x0
	s_barrier
	buffer_gl0_inv
	s_clause 0x37
	buffer_load_dword v2, off, s[0:3], 0 offset:504
	buffer_load_dword v3, off, s[0:3], 0 offset:508
	;; [unrolled: 1-line block ×56, first 2 shown]
	v_mov_b32_e32 v1, 0
	s_mov_b32 s4, exec_lo
	ds_read_b128 v[95:98], v1 offset:1200
	s_clause 0x2
	buffer_load_dword v161, off, s[0:3], 0 offset:732
	buffer_load_dword v165, off, s[0:3], 0 offset:708
	;; [unrolled: 1-line block ×3, first 2 shown]
	ds_read_b128 v[99:102], v1 offset:1216
	ds_read_b128 v[103:106], v1 offset:1232
	buffer_load_dword v163, off, s[0:3], 0 offset:724
	s_waitcnt vmcnt(58) lgkmcnt(2)
	v_mul_f64 v[166:167], v[97:98], v[2:3]
	v_mul_f64 v[2:3], v[95:96], v[2:3]
	s_waitcnt vmcnt(56) lgkmcnt(1)
	v_mul_f64 v[168:169], v[101:102], v[107:108]
	v_mul_f64 v[107:108], v[99:100], v[107:108]
	s_waitcnt vmcnt(54)
	v_fma_f64 v[166:167], v[95:96], v[109:110], -v[166:167]
	v_fma_f64 v[2:3], v[97:98], v[109:110], v[2:3]
	s_waitcnt vmcnt(52) lgkmcnt(0)
	v_mul_f64 v[109:110], v[103:104], v[111:112]
	v_mul_f64 v[111:112], v[105:106], v[111:112]
	s_waitcnt vmcnt(50)
	v_fma_f64 v[168:169], v[99:100], v[113:114], -v[168:169]
	ds_read_b128 v[95:98], v1 offset:1248
	v_fma_f64 v[107:108], v[101:102], v[113:114], v[107:108]
	s_clause 0x3
	buffer_load_dword v113, off, s[0:3], 0 offset:480
	buffer_load_dword v114, off, s[0:3], 0 offset:484
	;; [unrolled: 1-line block ×4, first 2 shown]
	ds_read_b128 v[99:102], v1 offset:1264
	v_add_f64 v[166:167], v[166:167], 0
	v_add_f64 v[2:3], v[2:3], 0
	s_waitcnt vmcnt(48)
	v_fma_f64 v[109:110], v[105:106], v[121:122], v[109:110]
	s_waitcnt lgkmcnt(1)
	v_mul_f64 v[172:173], v[95:96], v[115:116]
	v_mul_f64 v[115:116], v[97:98], v[115:116]
	v_fma_f64 v[111:112], v[103:104], v[121:122], -v[111:112]
	ds_read_b128 v[103:106], v1 offset:1280
	v_add_f64 v[166:167], v[166:167], v[168:169]
	v_add_f64 v[2:3], v[2:3], v[107:108]
	s_waitcnt vmcnt(47) lgkmcnt(1)
	v_mul_f64 v[107:108], v[99:100], v[117:118]
	v_mul_f64 v[117:118], v[101:102], v[117:118]
	s_waitcnt vmcnt(45)
	v_fma_f64 v[115:116], v[95:96], v[123:124], -v[115:116]
	v_fma_f64 v[121:122], v[97:98], v[123:124], v[172:173]
	s_waitcnt vmcnt(41) lgkmcnt(0)
	v_mul_f64 v[123:124], v[105:106], v[125:126]
	ds_read_b128 v[95:98], v1 offset:1296
	v_add_f64 v[111:112], v[166:167], v[111:112]
	v_add_f64 v[2:3], v[2:3], v[109:110]
	v_mul_f64 v[109:110], v[103:104], v[125:126]
	s_waitcnt vmcnt(40)
	v_fma_f64 v[117:118], v[99:100], v[119:120], -v[117:118]
	v_fma_f64 v[107:108], v[101:102], v[119:120], v[107:108]
	ds_read_b128 v[99:102], v1 offset:1312
	s_waitcnt vmcnt(39) lgkmcnt(1)
	v_mul_f64 v[119:120], v[97:98], v[127:128]
	v_add_f64 v[111:112], v[111:112], v[115:116]
	v_add_f64 v[2:3], v[2:3], v[121:122]
	s_waitcnt vmcnt(37)
	v_fma_f64 v[121:122], v[103:104], v[131:132], -v[123:124]
	v_mul_f64 v[115:116], v[95:96], v[127:128]
	v_fma_f64 v[109:110], v[105:106], v[131:132], v[109:110]
	ds_read_b128 v[103:106], v1 offset:1328
	s_waitcnt vmcnt(32)
	v_fma_f64 v[119:120], v[95:96], v[129:130], -v[119:120]
	v_add_f64 v[111:112], v[111:112], v[117:118]
	v_add_f64 v[2:3], v[2:3], v[107:108]
	s_waitcnt lgkmcnt(1)
	v_mul_f64 v[117:118], v[101:102], v[133:134]
	v_mul_f64 v[107:108], v[99:100], v[133:134]
	v_fma_f64 v[115:116], v[97:98], v[129:130], v[115:116]
	ds_read_b128 v[95:98], v1 offset:1344
	v_add_f64 v[111:112], v[111:112], v[121:122]
	v_add_f64 v[2:3], v[2:3], v[109:110]
	s_waitcnt vmcnt(31) lgkmcnt(1)
	v_mul_f64 v[121:122], v[105:106], v[135:136]
	s_waitcnt vmcnt(29)
	v_fma_f64 v[117:118], v[99:100], v[139:140], -v[117:118]
	v_mul_f64 v[109:110], v[103:104], v[135:136]
	v_fma_f64 v[107:108], v[101:102], v[139:140], v[107:108]
	ds_read_b128 v[99:102], v1 offset:1360
	v_add_f64 v[111:112], v[111:112], v[119:120]
	v_add_f64 v[2:3], v[2:3], v[115:116]
	s_waitcnt vmcnt(25) lgkmcnt(1)
	v_mul_f64 v[119:120], v[97:98], v[141:142]
	s_waitcnt vmcnt(24)
	v_fma_f64 v[121:122], v[103:104], v[137:138], -v[121:122]
	;; [unrolled: 9-line block ×6, first 2 shown]
	v_mul_f64 v[107:108], v[99:100], v[158:159]
	v_fma_f64 v[97:98], v[97:98], v[154:155], v[115:116]
	s_waitcnt vmcnt(7) lgkmcnt(0)
	v_mul_f64 v[115:116], v[105:106], v[160:161]
	v_add_f64 v[111:112], v[111:112], v[121:122]
	v_add_f64 v[2:3], v[2:3], v[109:110]
	s_waitcnt vmcnt(5)
	v_fma_f64 v[99:100], v[99:100], v[164:165], -v[117:118]
	v_mul_f64 v[109:110], v[103:104], v[160:161]
	v_fma_f64 v[101:102], v[101:102], v[164:165], v[107:108]
	v_add_f64 v[95:96], v[111:112], v[95:96]
	v_add_f64 v[2:3], v[2:3], v[97:98]
	s_waitcnt vmcnt(4)
	v_fma_f64 v[97:98], v[103:104], v[162:163], -v[115:116]
	v_add_f64 v[95:96], v[95:96], v[99:100]
	v_fma_f64 v[99:100], v[105:106], v[162:163], v[109:110]
	v_add_f64 v[2:3], v[2:3], v[101:102]
	v_add_f64 v[95:96], v[95:96], v[97:98]
	v_add_f64 v[2:3], v[2:3], v[99:100]
	s_waitcnt vmcnt(2)
	v_add_f64 v[95:96], v[113:114], -v[95:96]
	s_waitcnt vmcnt(0)
	v_add_f64 v[2:3], v[170:171], -v[2:3]
	buffer_store_dword v96, off, s[0:3], 0 offset:484
	buffer_store_dword v95, off, s[0:3], 0 offset:480
	;; [unrolled: 1-line block ×4, first 2 shown]
	v_cmpx_lt_u32_e32 28, v0
	s_cbranch_execz .LBB108_227
; %bb.226:
	v_mov_b32_e32 v2, s28
	s_clause 0x3
	buffer_load_dword v95, v2, s[0:3], 0 offen
	buffer_load_dword v96, v2, s[0:3], 0 offen offset:4
	buffer_load_dword v97, v2, s[0:3], 0 offen offset:8
	;; [unrolled: 1-line block ×3, first 2 shown]
	buffer_store_dword v1, off, s[0:3], 0 offset:464
	buffer_store_dword v1, off, s[0:3], 0 offset:468
	;; [unrolled: 1-line block ×4, first 2 shown]
	s_waitcnt vmcnt(0)
	ds_write_b128 v151, v[95:98]
.LBB108_227:
	s_or_b32 exec_lo, exec_lo, s4
	s_waitcnt lgkmcnt(0)
	s_waitcnt_vscnt null, 0x0
	s_barrier
	buffer_gl0_inv
	s_clause 0x37
	buffer_load_dword v2, off, s[0:3], 0 offset:488
	buffer_load_dword v3, off, s[0:3], 0 offset:492
	;; [unrolled: 1-line block ×56, first 2 shown]
	ds_read_b128 v[95:98], v1 offset:1184
	s_clause 0x2
	buffer_load_dword v161, off, s[0:3], 0 offset:716
	buffer_load_dword v165, off, s[0:3], 0 offset:692
	;; [unrolled: 1-line block ×3, first 2 shown]
	ds_read_b128 v[99:102], v1 offset:1200
	s_clause 0x2
	buffer_load_dword v169, off, s[0:3], 0 offset:732
	buffer_load_dword v168, off, s[0:3], 0 offset:728
	;; [unrolled: 1-line block ×3, first 2 shown]
	ds_read_b128 v[103:106], v1 offset:1216
	s_mov_b32 s4, exec_lo
	s_waitcnt vmcnt(60) lgkmcnt(2)
	v_mul_f64 v[166:167], v[97:98], v[2:3]
	v_mul_f64 v[2:3], v[95:96], v[2:3]
	s_waitcnt vmcnt(58) lgkmcnt(1)
	v_mul_f64 v[170:171], v[101:102], v[107:108]
	v_mul_f64 v[107:108], v[99:100], v[107:108]
	;; [unrolled: 3-line block ×3, first 2 shown]
	v_fma_f64 v[166:167], v[95:96], v[109:110], -v[166:167]
	v_fma_f64 v[2:3], v[97:98], v[109:110], v[2:3]
	s_clause 0x1
	buffer_load_dword v110, off, s[0:3], 0 offset:724
	buffer_load_dword v109, off, s[0:3], 0 offset:720
	s_waitcnt vmcnt(54)
	v_fma_f64 v[170:171], v[99:100], v[113:114], -v[170:171]
	ds_read_b128 v[95:98], v1 offset:1232
	v_fma_f64 v[107:108], v[101:102], v[113:114], v[107:108]
	ds_read_b128 v[99:102], v1 offset:1248
	s_waitcnt vmcnt(48)
	v_fma_f64 v[111:112], v[103:104], v[121:122], -v[111:112]
	v_fma_f64 v[121:122], v[105:106], v[121:122], v[172:173]
	v_add_f64 v[166:167], v[166:167], 0
	v_add_f64 v[2:3], v[2:3], 0
	s_waitcnt lgkmcnt(1)
	v_mul_f64 v[113:114], v[95:96], v[115:116]
	v_mul_f64 v[115:116], v[97:98], v[115:116]
	s_waitcnt vmcnt(47) lgkmcnt(0)
	v_mul_f64 v[172:173], v[99:100], v[117:118]
	v_mul_f64 v[117:118], v[101:102], v[117:118]
	v_add_f64 v[166:167], v[166:167], v[170:171]
	v_add_f64 v[2:3], v[2:3], v[107:108]
	s_clause 0x3
	buffer_load_dword v107, off, s[0:3], 0 offset:464
	buffer_load_dword v108, off, s[0:3], 0 offset:468
	;; [unrolled: 1-line block ×4, first 2 shown]
	s_waitcnt vmcnt(49)
	v_fma_f64 v[115:116], v[95:96], v[123:124], -v[115:116]
	ds_read_b128 v[103:106], v1 offset:1264
	v_fma_f64 v[113:114], v[97:98], v[123:124], v[113:114]
	ds_read_b128 v[95:98], v1 offset:1280
	s_waitcnt vmcnt(44)
	v_fma_f64 v[117:118], v[99:100], v[119:120], -v[117:118]
	v_add_f64 v[111:112], v[166:167], v[111:112]
	v_add_f64 v[2:3], v[2:3], v[121:122]
	s_waitcnt lgkmcnt(1)
	v_mul_f64 v[123:124], v[105:106], v[125:126]
	v_mul_f64 v[121:122], v[103:104], v[125:126]
	v_add_f64 v[111:112], v[111:112], v[115:116]
	v_fma_f64 v[115:116], v[101:102], v[119:120], v[172:173]
	v_add_f64 v[2:3], v[2:3], v[113:114]
	s_waitcnt vmcnt(43) lgkmcnt(0)
	v_mul_f64 v[119:120], v[97:98], v[127:128]
	s_waitcnt vmcnt(41)
	v_fma_f64 v[123:124], v[103:104], v[131:132], -v[123:124]
	ds_read_b128 v[99:102], v1 offset:1296
	v_mul_f64 v[113:114], v[95:96], v[127:128]
	v_add_f64 v[111:112], v[111:112], v[117:118]
	v_fma_f64 v[117:118], v[105:106], v[131:132], v[121:122]
	v_add_f64 v[2:3], v[2:3], v[115:116]
	ds_read_b128 v[103:106], v1 offset:1312
	s_waitcnt vmcnt(37) lgkmcnt(1)
	v_mul_f64 v[121:122], v[101:102], v[133:134]
	s_waitcnt vmcnt(36)
	v_fma_f64 v[119:120], v[95:96], v[129:130], -v[119:120]
	v_mul_f64 v[115:116], v[99:100], v[133:134]
	v_fma_f64 v[113:114], v[97:98], v[129:130], v[113:114]
	ds_read_b128 v[95:98], v1 offset:1328
	v_add_f64 v[111:112], v[111:112], v[123:124]
	s_waitcnt vmcnt(35) lgkmcnt(1)
	v_mul_f64 v[123:124], v[105:106], v[135:136]
	v_add_f64 v[2:3], v[2:3], v[117:118]
	v_mul_f64 v[117:118], v[103:104], v[135:136]
	s_waitcnt vmcnt(33)
	v_fma_f64 v[121:122], v[99:100], v[139:140], -v[121:122]
	v_fma_f64 v[115:116], v[101:102], v[139:140], v[115:116]
	ds_read_b128 v[99:102], v1 offset:1344
	v_add_f64 v[111:112], v[111:112], v[119:120]
	s_waitcnt vmcnt(29) lgkmcnt(1)
	v_mul_f64 v[119:120], v[97:98], v[141:142]
	v_add_f64 v[2:3], v[2:3], v[113:114]
	s_waitcnt vmcnt(28)
	v_fma_f64 v[123:124], v[103:104], v[137:138], -v[123:124]
	v_mul_f64 v[113:114], v[95:96], v[141:142]
	v_fma_f64 v[117:118], v[105:106], v[137:138], v[117:118]
	ds_read_b128 v[103:106], v1 offset:1360
	v_add_f64 v[111:112], v[111:112], v[121:122]
	s_waitcnt vmcnt(27) lgkmcnt(1)
	v_mul_f64 v[121:122], v[101:102], v[143:144]
	v_add_f64 v[2:3], v[2:3], v[115:116]
	s_waitcnt vmcnt(25)
	v_fma_f64 v[119:120], v[95:96], v[147:148], -v[119:120]
	v_mul_f64 v[115:116], v[99:100], v[143:144]
	;; [unrolled: 9-line block ×5, first 2 shown]
	v_fma_f64 v[97:98], v[97:98], v[154:155], v[113:114]
	s_waitcnt vmcnt(11) lgkmcnt(0)
	v_mul_f64 v[119:120], v[105:106], v[160:161]
	v_add_f64 v[111:112], v[111:112], v[123:124]
	s_waitcnt vmcnt(9)
	v_fma_f64 v[99:100], v[99:100], v[164:165], -v[121:122]
	v_add_f64 v[113:114], v[2:3], v[117:118]
	ds_read_b128 v[1:4], v1 offset:1424
	v_mul_f64 v[117:118], v[103:104], v[160:161]
	v_fma_f64 v[101:102], v[101:102], v[164:165], v[115:116]
	s_waitcnt vmcnt(6)
	v_fma_f64 v[103:104], v[103:104], v[162:163], -v[119:120]
	v_add_f64 v[95:96], v[111:112], v[95:96]
	s_waitcnt lgkmcnt(0)
	v_mul_f64 v[111:112], v[1:2], v[168:169]
	v_add_f64 v[97:98], v[113:114], v[97:98]
	v_mul_f64 v[113:114], v[3:4], v[168:169]
	v_add_f64 v[95:96], v[95:96], v[99:100]
	v_fma_f64 v[99:100], v[105:106], v[162:163], v[117:118]
	v_add_f64 v[97:98], v[97:98], v[101:102]
	s_waitcnt vmcnt(4)
	v_fma_f64 v[1:2], v[1:2], v[109:110], -v[113:114]
	v_fma_f64 v[3:4], v[3:4], v[109:110], v[111:112]
	v_add_f64 v[95:96], v[95:96], v[103:104]
	v_add_f64 v[97:98], v[97:98], v[99:100]
	;; [unrolled: 1-line block ×4, first 2 shown]
	s_waitcnt vmcnt(2)
	v_add_f64 v[1:2], v[107:108], -v[1:2]
	s_waitcnt vmcnt(0)
	v_add_f64 v[3:4], v[170:171], -v[3:4]
	buffer_store_dword v2, off, s[0:3], 0 offset:468
	buffer_store_dword v1, off, s[0:3], 0 offset:464
	;; [unrolled: 1-line block ×4, first 2 shown]
	v_cmpx_lt_u32_e32 27, v0
	s_cbranch_execz .LBB108_229
; %bb.228:
	v_mov_b32_e32 v4, s29
	v_mov_b32_e32 v95, 0
	s_clause 0x3
	buffer_load_dword v1, v4, s[0:3], 0 offen
	buffer_load_dword v2, v4, s[0:3], 0 offen offset:4
	buffer_load_dword v3, v4, s[0:3], 0 offen offset:8
	buffer_load_dword v4, v4, s[0:3], 0 offen offset:12
	buffer_store_dword v95, off, s[0:3], 0 offset:448
	buffer_store_dword v95, off, s[0:3], 0 offset:452
	;; [unrolled: 1-line block ×4, first 2 shown]
	s_waitcnt vmcnt(0)
	ds_write_b128 v151, v[1:4]
.LBB108_229:
	s_or_b32 exec_lo, exec_lo, s4
	s_waitcnt lgkmcnt(0)
	s_waitcnt_vscnt null, 0x0
	s_barrier
	buffer_gl0_inv
	s_clause 0x37
	buffer_load_dword v2, off, s[0:3], 0 offset:472
	buffer_load_dword v3, off, s[0:3], 0 offset:476
	;; [unrolled: 1-line block ×56, first 2 shown]
	v_mov_b32_e32 v1, 0
	s_mov_b32 s4, exec_lo
	ds_read_b128 v[95:98], v1 offset:1168
	s_clause 0x2
	buffer_load_dword v161, off, s[0:3], 0 offset:700
	buffer_load_dword v165, off, s[0:3], 0 offset:676
	;; [unrolled: 1-line block ×3, first 2 shown]
	ds_read_b128 v[99:102], v1 offset:1184
	s_clause 0x4
	buffer_load_dword v169, off, s[0:3], 0 offset:716
	buffer_load_dword v170, off, s[0:3], 0 offset:728
	;; [unrolled: 1-line block ×5, first 2 shown]
	ds_read_b128 v[103:106], v1 offset:1200
	s_waitcnt vmcnt(62) lgkmcnt(2)
	v_mul_f64 v[166:167], v[97:98], v[2:3]
	v_mul_f64 v[2:3], v[95:96], v[2:3]
	s_waitcnt vmcnt(60) lgkmcnt(1)
	v_mul_f64 v[173:174], v[101:102], v[107:108]
	v_mul_f64 v[107:108], v[99:100], v[107:108]
	;; [unrolled: 3-line block ×3, first 2 shown]
	v_fma_f64 v[166:167], v[95:96], v[109:110], -v[166:167]
	v_fma_f64 v[2:3], v[97:98], v[109:110], v[2:3]
	s_clause 0x2
	buffer_load_dword v171, off, s[0:3], 0 offset:732
	buffer_load_dword v110, off, s[0:3], 0 offset:708
	;; [unrolled: 1-line block ×3, first 2 shown]
	s_waitcnt vmcnt(57)
	v_fma_f64 v[177:178], v[99:100], v[113:114], -v[173:174]
	ds_read_b128 v[95:98], v1 offset:1216
	v_fma_f64 v[107:108], v[101:102], v[113:114], v[107:108]
	buffer_load_dword v173, off, s[0:3], 0 offset:724
	ds_read_b128 v[99:102], v1 offset:1232
	s_waitcnt vmcnt(52)
	v_fma_f64 v[111:112], v[103:104], v[121:122], -v[111:112]
	v_fma_f64 v[121:122], v[105:106], v[121:122], v[175:176]
	ds_read_b128 v[103:106], v1 offset:1248
	v_add_f64 v[166:167], v[166:167], 0
	v_add_f64 v[2:3], v[2:3], 0
	s_waitcnt lgkmcnt(2)
	v_mul_f64 v[113:114], v[95:96], v[115:116]
	v_mul_f64 v[115:116], v[97:98], v[115:116]
	v_add_f64 v[166:167], v[166:167], v[177:178]
	v_add_f64 v[2:3], v[2:3], v[107:108]
	s_waitcnt vmcnt(51) lgkmcnt(1)
	v_mul_f64 v[107:108], v[99:100], v[117:118]
	v_mul_f64 v[117:118], v[101:102], v[117:118]
	s_waitcnt vmcnt(49)
	v_fma_f64 v[115:116], v[95:96], v[123:124], -v[115:116]
	v_fma_f64 v[113:114], v[97:98], v[123:124], v[113:114]
	v_add_f64 v[111:112], v[166:167], v[111:112]
	v_add_f64 v[2:3], v[2:3], v[121:122]
	s_clause 0x3
	buffer_load_dword v121, off, s[0:3], 0 offset:448
	buffer_load_dword v122, off, s[0:3], 0 offset:452
	;; [unrolled: 1-line block ×4, first 2 shown]
	s_waitcnt vmcnt(49) lgkmcnt(0)
	v_mul_f64 v[166:167], v[103:104], v[125:126]
	v_mul_f64 v[125:126], v[105:106], v[125:126]
	s_waitcnt vmcnt(48)
	v_fma_f64 v[117:118], v[99:100], v[119:120], -v[117:118]
	ds_read_b128 v[95:98], v1 offset:1264
	v_fma_f64 v[107:108], v[101:102], v[119:120], v[107:108]
	ds_read_b128 v[99:102], v1 offset:1280
	v_add_f64 v[111:112], v[111:112], v[115:116]
	v_add_f64 v[2:3], v[2:3], v[113:114]
	s_waitcnt vmcnt(47) lgkmcnt(1)
	v_mul_f64 v[115:116], v[97:98], v[127:128]
	s_waitcnt vmcnt(45)
	v_fma_f64 v[119:120], v[103:104], v[131:132], -v[125:126]
	v_mul_f64 v[113:114], v[95:96], v[127:128]
	s_waitcnt vmcnt(41) lgkmcnt(0)
	v_mul_f64 v[125:126], v[101:102], v[133:134]
	v_add_f64 v[111:112], v[111:112], v[117:118]
	v_fma_f64 v[117:118], v[105:106], v[131:132], v[166:167]
	v_add_f64 v[2:3], v[2:3], v[107:108]
	ds_read_b128 v[103:106], v1 offset:1296
	s_waitcnt vmcnt(40)
	v_fma_f64 v[115:116], v[95:96], v[129:130], -v[115:116]
	v_mul_f64 v[107:108], v[99:100], v[133:134]
	v_fma_f64 v[113:114], v[97:98], v[129:130], v[113:114]
	ds_read_b128 v[95:98], v1 offset:1312
	s_waitcnt vmcnt(37)
	v_fma_f64 v[125:126], v[99:100], v[139:140], -v[125:126]
	v_add_f64 v[111:112], v[111:112], v[119:120]
	s_waitcnt lgkmcnt(1)
	v_mul_f64 v[119:120], v[105:106], v[135:136]
	v_add_f64 v[2:3], v[2:3], v[117:118]
	v_mul_f64 v[117:118], v[103:104], v[135:136]
	v_fma_f64 v[107:108], v[101:102], v[139:140], v[107:108]
	ds_read_b128 v[99:102], v1 offset:1328
	v_add_f64 v[111:112], v[111:112], v[115:116]
	s_waitcnt vmcnt(33) lgkmcnt(1)
	v_mul_f64 v[115:116], v[97:98], v[141:142]
	v_add_f64 v[2:3], v[2:3], v[113:114]
	s_waitcnt vmcnt(32)
	v_fma_f64 v[119:120], v[103:104], v[137:138], -v[119:120]
	v_mul_f64 v[113:114], v[95:96], v[141:142]
	v_fma_f64 v[117:118], v[105:106], v[137:138], v[117:118]
	ds_read_b128 v[103:106], v1 offset:1344
	v_add_f64 v[111:112], v[111:112], v[125:126]
	s_waitcnt vmcnt(31) lgkmcnt(1)
	v_mul_f64 v[125:126], v[101:102], v[143:144]
	v_add_f64 v[2:3], v[2:3], v[107:108]
	s_waitcnt vmcnt(29)
	v_fma_f64 v[115:116], v[95:96], v[147:148], -v[115:116]
	;; [unrolled: 9-line block ×7, first 2 shown]
	v_mul_f64 v[113:114], v[95:96], v[168:169]
	v_fma_f64 v[105:106], v[105:106], v[162:163], v[117:118]
	v_add_f64 v[111:112], v[111:112], v[125:126]
	v_add_f64 v[2:3], v[2:3], v[107:108]
	s_waitcnt vmcnt(7) lgkmcnt(0)
	v_mul_f64 v[117:118], v[101:102], v[170:171]
	v_mul_f64 v[107:108], v[99:100], v[170:171]
	s_waitcnt vmcnt(5)
	v_fma_f64 v[95:96], v[95:96], v[109:110], -v[115:116]
	v_fma_f64 v[97:98], v[97:98], v[109:110], v[113:114]
	v_add_f64 v[103:104], v[111:112], v[103:104]
	v_add_f64 v[2:3], v[2:3], v[105:106]
	s_waitcnt vmcnt(4)
	v_fma_f64 v[99:100], v[99:100], v[172:173], -v[117:118]
	v_fma_f64 v[101:102], v[101:102], v[172:173], v[107:108]
	v_add_f64 v[95:96], v[103:104], v[95:96]
	v_add_f64 v[2:3], v[2:3], v[97:98]
	;; [unrolled: 1-line block ×4, first 2 shown]
	s_waitcnt vmcnt(2)
	v_add_f64 v[95:96], v[121:122], -v[95:96]
	s_waitcnt vmcnt(0)
	v_add_f64 v[2:3], v[123:124], -v[2:3]
	buffer_store_dword v96, off, s[0:3], 0 offset:452
	buffer_store_dword v95, off, s[0:3], 0 offset:448
	;; [unrolled: 1-line block ×4, first 2 shown]
	v_cmpx_lt_u32_e32 26, v0
	s_cbranch_execz .LBB108_231
; %bb.230:
	v_mov_b32_e32 v2, s30
	s_clause 0x3
	buffer_load_dword v95, v2, s[0:3], 0 offen
	buffer_load_dword v96, v2, s[0:3], 0 offen offset:4
	buffer_load_dword v97, v2, s[0:3], 0 offen offset:8
	;; [unrolled: 1-line block ×3, first 2 shown]
	buffer_store_dword v1, off, s[0:3], 0 offset:432
	buffer_store_dword v1, off, s[0:3], 0 offset:436
	;; [unrolled: 1-line block ×4, first 2 shown]
	s_waitcnt vmcnt(0)
	ds_write_b128 v151, v[95:98]
.LBB108_231:
	s_or_b32 exec_lo, exec_lo, s4
	s_waitcnt lgkmcnt(0)
	s_waitcnt_vscnt null, 0x0
	s_barrier
	buffer_gl0_inv
	s_clause 0x37
	buffer_load_dword v2, off, s[0:3], 0 offset:456
	buffer_load_dword v3, off, s[0:3], 0 offset:460
	;; [unrolled: 1-line block ×56, first 2 shown]
	ds_read_b128 v[95:98], v1 offset:1152
	s_clause 0x2
	buffer_load_dword v161, off, s[0:3], 0 offset:684
	buffer_load_dword v165, off, s[0:3], 0 offset:660
	;; [unrolled: 1-line block ×3, first 2 shown]
	ds_read_b128 v[99:102], v1 offset:1168
	s_clause 0x4
	buffer_load_dword v169, off, s[0:3], 0 offset:700
	buffer_load_dword v170, off, s[0:3], 0 offset:712
	;; [unrolled: 1-line block ×5, first 2 shown]
	ds_read_b128 v[103:106], v1 offset:1184
	s_mov_b32 s4, exec_lo
	s_waitcnt vmcnt(62) lgkmcnt(2)
	v_mul_f64 v[166:167], v[97:98], v[2:3]
	v_mul_f64 v[2:3], v[95:96], v[2:3]
	s_waitcnt vmcnt(60) lgkmcnt(1)
	v_mul_f64 v[173:174], v[101:102], v[107:108]
	v_mul_f64 v[107:108], v[99:100], v[107:108]
	;; [unrolled: 3-line block ×3, first 2 shown]
	v_fma_f64 v[166:167], v[95:96], v[109:110], -v[166:167]
	v_fma_f64 v[2:3], v[97:98], v[109:110], v[2:3]
	s_clause 0x2
	buffer_load_dword v171, off, s[0:3], 0 offset:716
	buffer_load_dword v110, off, s[0:3], 0 offset:692
	;; [unrolled: 1-line block ×3, first 2 shown]
	s_waitcnt vmcnt(57)
	v_fma_f64 v[177:178], v[99:100], v[113:114], -v[173:174]
	ds_read_b128 v[95:98], v1 offset:1200
	v_fma_f64 v[107:108], v[101:102], v[113:114], v[107:108]
	s_clause 0x2
	buffer_load_dword v114, off, s[0:3], 0 offset:732
	buffer_load_dword v113, off, s[0:3], 0 offset:728
	;; [unrolled: 1-line block ×3, first 2 shown]
	s_waitcnt vmcnt(54)
	v_fma_f64 v[111:112], v[103:104], v[121:122], -v[111:112]
	ds_read_b128 v[99:102], v1 offset:1216
	v_fma_f64 v[121:122], v[105:106], v[121:122], v[175:176]
	v_add_f64 v[166:167], v[166:167], 0
	v_add_f64 v[2:3], v[2:3], 0
	s_waitcnt lgkmcnt(1)
	v_mul_f64 v[179:180], v[95:96], v[115:116]
	v_mul_f64 v[115:116], v[97:98], v[115:116]
	s_waitcnt vmcnt(53) lgkmcnt(0)
	v_mul_f64 v[174:175], v[99:100], v[117:118]
	v_mul_f64 v[117:118], v[101:102], v[117:118]
	v_add_f64 v[166:167], v[166:167], v[177:178]
	v_add_f64 v[2:3], v[2:3], v[107:108]
	s_clause 0x1
	buffer_load_dword v108, off, s[0:3], 0 offset:724
	buffer_load_dword v107, off, s[0:3], 0 offset:720
	s_waitcnt vmcnt(53)
	v_fma_f64 v[115:116], v[95:96], v[123:124], -v[115:116]
	ds_read_b128 v[103:106], v1 offset:1232
	v_fma_f64 v[123:124], v[97:98], v[123:124], v[179:180]
	ds_read_b128 v[95:98], v1 offset:1248
	s_waitcnt vmcnt(48)
	v_fma_f64 v[117:118], v[99:100], v[119:120], -v[117:118]
	v_add_f64 v[111:112], v[166:167], v[111:112]
	v_add_f64 v[2:3], v[2:3], v[121:122]
	s_waitcnt lgkmcnt(1)
	v_mul_f64 v[121:122], v[103:104], v[125:126]
	v_mul_f64 v[125:126], v[105:106], v[125:126]
	s_waitcnt vmcnt(47) lgkmcnt(0)
	v_mul_f64 v[166:167], v[95:96], v[127:128]
	v_mul_f64 v[127:128], v[97:98], v[127:128]
	v_add_f64 v[111:112], v[111:112], v[115:116]
	v_fma_f64 v[115:116], v[101:102], v[119:120], v[174:175]
	v_add_f64 v[2:3], v[2:3], v[123:124]
	s_clause 0x3
	buffer_load_dword v119, off, s[0:3], 0 offset:432
	buffer_load_dword v120, off, s[0:3], 0 offset:436
	;; [unrolled: 1-line block ×4, first 2 shown]
	s_waitcnt vmcnt(49)
	v_fma_f64 v[125:126], v[103:104], v[131:132], -v[125:126]
	ds_read_b128 v[99:102], v1 offset:1264
	s_waitcnt vmcnt(44)
	v_fma_f64 v[127:128], v[95:96], v[129:130], -v[127:128]
	v_add_f64 v[111:112], v[111:112], v[117:118]
	v_fma_f64 v[117:118], v[105:106], v[131:132], v[121:122]
	v_add_f64 v[2:3], v[2:3], v[115:116]
	ds_read_b128 v[103:106], v1 offset:1280
	s_waitcnt lgkmcnt(1)
	v_mul_f64 v[121:122], v[101:102], v[133:134]
	v_mul_f64 v[115:116], v[99:100], v[133:134]
	v_add_f64 v[111:112], v[111:112], v[125:126]
	v_fma_f64 v[125:126], v[97:98], v[129:130], v[166:167]
	v_add_f64 v[2:3], v[2:3], v[117:118]
	s_waitcnt vmcnt(43) lgkmcnt(0)
	v_mul_f64 v[129:130], v[105:106], v[135:136]
	s_waitcnt vmcnt(41)
	v_fma_f64 v[121:122], v[99:100], v[139:140], -v[121:122]
	ds_read_b128 v[95:98], v1 offset:1296
	v_mul_f64 v[117:118], v[103:104], v[135:136]
	v_fma_f64 v[115:116], v[101:102], v[139:140], v[115:116]
	ds_read_b128 v[99:102], v1 offset:1312
	v_add_f64 v[111:112], v[111:112], v[127:128]
	v_add_f64 v[2:3], v[2:3], v[125:126]
	s_waitcnt vmcnt(37) lgkmcnt(1)
	v_mul_f64 v[127:128], v[97:98], v[141:142]
	s_waitcnt vmcnt(36)
	v_fma_f64 v[129:130], v[103:104], v[137:138], -v[129:130]
	v_mul_f64 v[125:126], v[95:96], v[141:142]
	v_fma_f64 v[117:118], v[105:106], v[137:138], v[117:118]
	ds_read_b128 v[103:106], v1 offset:1328
	v_add_f64 v[111:112], v[111:112], v[121:122]
	s_waitcnt vmcnt(35) lgkmcnt(1)
	v_mul_f64 v[121:122], v[101:102], v[143:144]
	v_add_f64 v[2:3], v[2:3], v[115:116]
	s_waitcnt vmcnt(33)
	v_fma_f64 v[127:128], v[95:96], v[147:148], -v[127:128]
	v_mul_f64 v[115:116], v[99:100], v[143:144]
	v_fma_f64 v[125:126], v[97:98], v[147:148], v[125:126]
	ds_read_b128 v[95:98], v1 offset:1344
	v_add_f64 v[111:112], v[111:112], v[129:130]
	s_waitcnt vmcnt(29) lgkmcnt(1)
	v_mul_f64 v[129:130], v[105:106], v[149:150]
	v_add_f64 v[2:3], v[2:3], v[117:118]
	s_waitcnt vmcnt(28)
	v_fma_f64 v[121:122], v[99:100], v[145:146], -v[121:122]
	v_mul_f64 v[117:118], v[103:104], v[149:150]
	v_fma_f64 v[115:116], v[101:102], v[145:146], v[115:116]
	ds_read_b128 v[99:102], v1 offset:1360
	v_add_f64 v[111:112], v[111:112], v[127:128]
	s_waitcnt vmcnt(27) lgkmcnt(1)
	v_mul_f64 v[127:128], v[97:98], v[152:153]
	v_add_f64 v[2:3], v[2:3], v[125:126]
	s_waitcnt vmcnt(25)
	v_fma_f64 v[129:130], v[103:104], v[156:157], -v[129:130]
	v_mul_f64 v[125:126], v[95:96], v[152:153]
	v_fma_f64 v[117:118], v[105:106], v[156:157], v[117:118]
	ds_read_b128 v[103:106], v1 offset:1376
	v_add_f64 v[111:112], v[111:112], v[121:122]
	s_waitcnt vmcnt(21) lgkmcnt(1)
	v_mul_f64 v[121:122], v[101:102], v[158:159]
	v_add_f64 v[2:3], v[2:3], v[115:116]
	s_waitcnt vmcnt(20)
	v_fma_f64 v[127:128], v[95:96], v[154:155], -v[127:128]
	v_mul_f64 v[115:116], v[99:100], v[158:159]
	v_fma_f64 v[125:126], v[97:98], v[154:155], v[125:126]
	ds_read_b128 v[95:98], v1 offset:1392
	v_add_f64 v[111:112], v[111:112], v[129:130]
	s_waitcnt vmcnt(19) lgkmcnt(1)
	v_mul_f64 v[129:130], v[105:106], v[160:161]
	v_add_f64 v[2:3], v[2:3], v[117:118]
	s_waitcnt vmcnt(17)
	v_fma_f64 v[121:122], v[99:100], v[164:165], -v[121:122]
	v_mul_f64 v[117:118], v[103:104], v[160:161]
	v_fma_f64 v[115:116], v[101:102], v[164:165], v[115:116]
	ds_read_b128 v[99:102], v1 offset:1408
	v_add_f64 v[111:112], v[111:112], v[127:128]
	s_waitcnt vmcnt(13) lgkmcnt(1)
	v_mul_f64 v[127:128], v[97:98], v[168:169]
	v_add_f64 v[2:3], v[2:3], v[125:126]
	s_waitcnt vmcnt(12)
	v_fma_f64 v[103:104], v[103:104], v[162:163], -v[129:130]
	v_mul_f64 v[125:126], v[95:96], v[168:169]
	v_fma_f64 v[105:106], v[105:106], v[162:163], v[117:118]
	v_add_f64 v[111:112], v[111:112], v[121:122]
	v_add_f64 v[115:116], v[2:3], v[115:116]
	ds_read_b128 v[1:4], v1 offset:1424
	s_waitcnt vmcnt(11) lgkmcnt(1)
	v_mul_f64 v[121:122], v[101:102], v[170:171]
	v_mul_f64 v[117:118], v[99:100], v[170:171]
	s_waitcnt vmcnt(9)
	v_fma_f64 v[95:96], v[95:96], v[109:110], -v[127:128]
	v_fma_f64 v[97:98], v[97:98], v[109:110], v[125:126]
	v_add_f64 v[103:104], v[111:112], v[103:104]
	s_waitcnt vmcnt(7) lgkmcnt(0)
	v_mul_f64 v[111:112], v[3:4], v[113:114]
	v_add_f64 v[105:106], v[115:116], v[105:106]
	v_mul_f64 v[109:110], v[1:2], v[113:114]
	s_waitcnt vmcnt(6)
	v_fma_f64 v[99:100], v[99:100], v[172:173], -v[121:122]
	v_fma_f64 v[101:102], v[101:102], v[172:173], v[117:118]
	v_add_f64 v[95:96], v[103:104], v[95:96]
	v_add_f64 v[97:98], v[105:106], v[97:98]
	s_waitcnt vmcnt(4)
	v_fma_f64 v[1:2], v[1:2], v[107:108], -v[111:112]
	v_fma_f64 v[3:4], v[3:4], v[107:108], v[109:110]
	v_add_f64 v[95:96], v[95:96], v[99:100]
	v_add_f64 v[97:98], v[97:98], v[101:102]
	;; [unrolled: 1-line block ×4, first 2 shown]
	s_waitcnt vmcnt(2)
	v_add_f64 v[1:2], v[119:120], -v[1:2]
	s_waitcnt vmcnt(0)
	v_add_f64 v[3:4], v[123:124], -v[3:4]
	buffer_store_dword v2, off, s[0:3], 0 offset:436
	buffer_store_dword v1, off, s[0:3], 0 offset:432
	;; [unrolled: 1-line block ×4, first 2 shown]
	v_cmpx_lt_u32_e32 25, v0
	s_cbranch_execz .LBB108_233
; %bb.232:
	v_mov_b32_e32 v4, s31
	v_mov_b32_e32 v95, 0
	s_clause 0x3
	buffer_load_dword v1, v4, s[0:3], 0 offen
	buffer_load_dword v2, v4, s[0:3], 0 offen offset:4
	buffer_load_dword v3, v4, s[0:3], 0 offen offset:8
	;; [unrolled: 1-line block ×3, first 2 shown]
	buffer_store_dword v95, off, s[0:3], 0 offset:416
	buffer_store_dword v95, off, s[0:3], 0 offset:420
	;; [unrolled: 1-line block ×4, first 2 shown]
	s_waitcnt vmcnt(0)
	ds_write_b128 v151, v[1:4]
.LBB108_233:
	s_or_b32 exec_lo, exec_lo, s4
	s_waitcnt lgkmcnt(0)
	s_waitcnt_vscnt null, 0x0
	s_barrier
	buffer_gl0_inv
	s_clause 0x37
	buffer_load_dword v2, off, s[0:3], 0 offset:440
	buffer_load_dword v3, off, s[0:3], 0 offset:444
	;; [unrolled: 1-line block ×56, first 2 shown]
	v_mov_b32_e32 v1, 0
	s_mov_b32 s4, exec_lo
	ds_read_b128 v[95:98], v1 offset:1136
	s_clause 0x2
	buffer_load_dword v161, off, s[0:3], 0 offset:668
	buffer_load_dword v165, off, s[0:3], 0 offset:644
	buffer_load_dword v164, off, s[0:3], 0 offset:640
	ds_read_b128 v[99:102], v1 offset:1152
	s_clause 0x4
	buffer_load_dword v169, off, s[0:3], 0 offset:684
	buffer_load_dword v170, off, s[0:3], 0 offset:696
	;; [unrolled: 1-line block ×5, first 2 shown]
	ds_read_b128 v[103:106], v1 offset:1168
	s_waitcnt vmcnt(62) lgkmcnt(2)
	v_mul_f64 v[166:167], v[97:98], v[2:3]
	v_mul_f64 v[2:3], v[95:96], v[2:3]
	s_waitcnt vmcnt(60) lgkmcnt(1)
	v_mul_f64 v[173:174], v[101:102], v[107:108]
	v_mul_f64 v[107:108], v[99:100], v[107:108]
	s_waitcnt vmcnt(56) lgkmcnt(0)
	v_mul_f64 v[175:176], v[103:104], v[111:112]
	v_mul_f64 v[111:112], v[105:106], v[111:112]
	v_fma_f64 v[166:167], v[95:96], v[109:110], -v[166:167]
	v_fma_f64 v[2:3], v[97:98], v[109:110], v[2:3]
	s_clause 0x2
	buffer_load_dword v171, off, s[0:3], 0 offset:700
	buffer_load_dword v110, off, s[0:3], 0 offset:676
	;; [unrolled: 1-line block ×3, first 2 shown]
	s_waitcnt vmcnt(57)
	v_fma_f64 v[177:178], v[99:100], v[113:114], -v[173:174]
	ds_read_b128 v[95:98], v1 offset:1184
	v_fma_f64 v[107:108], v[101:102], v[113:114], v[107:108]
	s_clause 0x4
	buffer_load_dword v114, off, s[0:3], 0 offset:716
	buffer_load_dword v174, off, s[0:3], 0 offset:728
	buffer_load_dword v179, off, s[0:3], 0 offset:720
	buffer_load_dword v113, off, s[0:3], 0 offset:712
	buffer_load_dword v173, off, s[0:3], 0 offset:692
	s_waitcnt vmcnt(56)
	v_fma_f64 v[111:112], v[103:104], v[121:122], -v[111:112]
	ds_read_b128 v[99:102], v1 offset:1200
	v_fma_f64 v[121:122], v[105:106], v[121:122], v[175:176]
	v_add_f64 v[166:167], v[166:167], 0
	v_add_f64 v[2:3], v[2:3], 0
	s_waitcnt lgkmcnt(1)
	v_mul_f64 v[180:181], v[95:96], v[115:116]
	v_mul_f64 v[115:116], v[97:98], v[115:116]
	v_add_f64 v[166:167], v[166:167], v[177:178]
	v_add_f64 v[2:3], v[2:3], v[107:108]
	s_clause 0x2
	buffer_load_dword v175, off, s[0:3], 0 offset:732
	buffer_load_dword v108, off, s[0:3], 0 offset:708
	;; [unrolled: 1-line block ×3, first 2 shown]
	s_waitcnt vmcnt(58) lgkmcnt(0)
	v_mul_f64 v[176:177], v[99:100], v[117:118]
	v_mul_f64 v[117:118], v[101:102], v[117:118]
	s_waitcnt vmcnt(56)
	v_fma_f64 v[115:116], v[95:96], v[123:124], -v[115:116]
	ds_read_b128 v[103:106], v1 offset:1216
	v_fma_f64 v[123:124], v[97:98], v[123:124], v[180:181]
	buffer_load_dword v180, off, s[0:3], 0 offset:724
	ds_read_b128 v[95:98], v1 offset:1232
	v_add_f64 v[111:112], v[166:167], v[111:112]
	v_add_f64 v[2:3], v[2:3], v[121:122]
	s_waitcnt vmcnt(53) lgkmcnt(1)
	v_mul_f64 v[121:122], v[103:104], v[125:126]
	v_mul_f64 v[125:126], v[105:106], v[125:126]
	s_waitcnt vmcnt(52)
	v_fma_f64 v[117:118], v[99:100], v[119:120], -v[117:118]
	v_add_f64 v[111:112], v[111:112], v[115:116]
	v_fma_f64 v[115:116], v[101:102], v[119:120], v[176:177]
	v_add_f64 v[2:3], v[2:3], v[123:124]
	s_waitcnt vmcnt(51) lgkmcnt(0)
	v_mul_f64 v[123:124], v[97:98], v[127:128]
	ds_read_b128 v[99:102], v1 offset:1248
	s_waitcnt vmcnt(49)
	v_fma_f64 v[125:126], v[103:104], v[131:132], -v[125:126]
	v_mul_f64 v[119:120], v[95:96], v[127:128]
	v_add_f64 v[111:112], v[111:112], v[117:118]
	v_fma_f64 v[117:118], v[105:106], v[131:132], v[121:122]
	v_add_f64 v[2:3], v[2:3], v[115:116]
	s_clause 0x3
	buffer_load_dword v115, off, s[0:3], 0 offset:416
	buffer_load_dword v116, off, s[0:3], 0 offset:420
	;; [unrolled: 1-line block ×4, first 2 shown]
	s_waitcnt vmcnt(49) lgkmcnt(0)
	v_mul_f64 v[131:132], v[101:102], v[133:134]
	s_waitcnt vmcnt(48)
	v_fma_f64 v[123:124], v[95:96], v[129:130], -v[123:124]
	ds_read_b128 v[103:106], v1 offset:1264
	v_mul_f64 v[127:128], v[99:100], v[133:134]
	v_fma_f64 v[119:120], v[97:98], v[129:130], v[119:120]
	ds_read_b128 v[95:98], v1 offset:1280
	v_add_f64 v[111:112], v[111:112], v[125:126]
	v_add_f64 v[2:3], v[2:3], v[117:118]
	s_waitcnt vmcnt(47) lgkmcnt(1)
	v_mul_f64 v[125:126], v[105:106], v[135:136]
	s_waitcnt vmcnt(45)
	v_fma_f64 v[129:130], v[99:100], v[139:140], -v[131:132]
	v_mul_f64 v[117:118], v[103:104], v[135:136]
	v_add_f64 v[111:112], v[111:112], v[123:124]
	v_fma_f64 v[123:124], v[101:102], v[139:140], v[127:128]
	v_add_f64 v[2:3], v[2:3], v[119:120]
	s_waitcnt vmcnt(41) lgkmcnt(0)
	v_mul_f64 v[127:128], v[97:98], v[141:142]
	s_waitcnt vmcnt(40)
	v_fma_f64 v[125:126], v[103:104], v[137:138], -v[125:126]
	ds_read_b128 v[99:102], v1 offset:1296
	v_mul_f64 v[119:120], v[95:96], v[141:142]
	v_fma_f64 v[117:118], v[105:106], v[137:138], v[117:118]
	ds_read_b128 v[103:106], v1 offset:1312
	v_add_f64 v[111:112], v[111:112], v[129:130]
	v_add_f64 v[2:3], v[2:3], v[123:124]
	s_waitcnt vmcnt(39) lgkmcnt(1)
	v_mul_f64 v[129:130], v[101:102], v[143:144]
	s_waitcnt vmcnt(37)
	v_fma_f64 v[127:128], v[95:96], v[147:148], -v[127:128]
	v_mul_f64 v[123:124], v[99:100], v[143:144]
	v_fma_f64 v[119:120], v[97:98], v[147:148], v[119:120]
	ds_read_b128 v[95:98], v1 offset:1328
	v_add_f64 v[111:112], v[111:112], v[125:126]
	s_waitcnt vmcnt(33) lgkmcnt(1)
	v_mul_f64 v[125:126], v[105:106], v[149:150]
	v_add_f64 v[2:3], v[2:3], v[117:118]
	s_waitcnt vmcnt(32)
	v_fma_f64 v[129:130], v[99:100], v[145:146], -v[129:130]
	v_mul_f64 v[117:118], v[103:104], v[149:150]
	v_fma_f64 v[123:124], v[101:102], v[145:146], v[123:124]
	ds_read_b128 v[99:102], v1 offset:1344
	v_add_f64 v[111:112], v[111:112], v[127:128]
	s_waitcnt vmcnt(31) lgkmcnt(1)
	v_mul_f64 v[127:128], v[97:98], v[152:153]
	v_add_f64 v[2:3], v[2:3], v[119:120]
	;; [unrolled: 9-line block ×5, first 2 shown]
	s_waitcnt vmcnt(16)
	v_fma_f64 v[125:126], v[103:104], v[162:163], -v[125:126]
	v_mul_f64 v[119:120], v[95:96], v[168:169]
	v_fma_f64 v[117:118], v[105:106], v[162:163], v[117:118]
	ds_read_b128 v[103:106], v1 offset:1408
	v_add_f64 v[111:112], v[111:112], v[129:130]
	v_add_f64 v[2:3], v[2:3], v[123:124]
	s_waitcnt vmcnt(15) lgkmcnt(1)
	v_mul_f64 v[129:130], v[101:102], v[170:171]
	v_mul_f64 v[123:124], v[99:100], v[170:171]
	s_waitcnt vmcnt(13)
	v_fma_f64 v[127:128], v[95:96], v[109:110], -v[127:128]
	v_fma_f64 v[109:110], v[97:98], v[109:110], v[119:120]
	ds_read_b128 v[95:98], v1 offset:1424
	v_add_f64 v[111:112], v[111:112], v[125:126]
	v_add_f64 v[2:3], v[2:3], v[117:118]
	s_waitcnt vmcnt(9) lgkmcnt(1)
	v_mul_f64 v[117:118], v[103:104], v[113:114]
	v_mul_f64 v[113:114], v[105:106], v[113:114]
	s_waitcnt vmcnt(8)
	v_fma_f64 v[99:100], v[99:100], v[172:173], -v[129:130]
	v_fma_f64 v[101:102], v[101:102], v[172:173], v[123:124]
	v_add_f64 v[111:112], v[111:112], v[127:128]
	v_add_f64 v[2:3], v[2:3], v[109:110]
	s_waitcnt vmcnt(7) lgkmcnt(0)
	v_mul_f64 v[119:120], v[97:98], v[174:175]
	v_mul_f64 v[109:110], v[95:96], v[174:175]
	s_waitcnt vmcnt(5)
	v_fma_f64 v[103:104], v[103:104], v[107:108], -v[113:114]
	v_fma_f64 v[105:106], v[105:106], v[107:108], v[117:118]
	v_add_f64 v[99:100], v[111:112], v[99:100]
	v_add_f64 v[2:3], v[2:3], v[101:102]
	s_waitcnt vmcnt(4)
	v_fma_f64 v[95:96], v[95:96], v[179:180], -v[119:120]
	v_fma_f64 v[97:98], v[97:98], v[179:180], v[109:110]
	v_add_f64 v[99:100], v[99:100], v[103:104]
	v_add_f64 v[2:3], v[2:3], v[105:106]
	;; [unrolled: 1-line block ×4, first 2 shown]
	s_waitcnt vmcnt(2)
	v_add_f64 v[95:96], v[115:116], -v[95:96]
	s_waitcnt vmcnt(0)
	v_add_f64 v[2:3], v[121:122], -v[2:3]
	buffer_store_dword v96, off, s[0:3], 0 offset:420
	buffer_store_dword v95, off, s[0:3], 0 offset:416
	;; [unrolled: 1-line block ×4, first 2 shown]
	v_cmpx_lt_u32_e32 24, v0
	s_cbranch_execz .LBB108_235
; %bb.234:
	v_mov_b32_e32 v2, s33
	s_clause 0x3
	buffer_load_dword v95, v2, s[0:3], 0 offen
	buffer_load_dword v96, v2, s[0:3], 0 offen offset:4
	buffer_load_dword v97, v2, s[0:3], 0 offen offset:8
	;; [unrolled: 1-line block ×3, first 2 shown]
	buffer_store_dword v1, off, s[0:3], 0 offset:400
	buffer_store_dword v1, off, s[0:3], 0 offset:404
	;; [unrolled: 1-line block ×4, first 2 shown]
	s_waitcnt vmcnt(0)
	ds_write_b128 v151, v[95:98]
.LBB108_235:
	s_or_b32 exec_lo, exec_lo, s4
	s_waitcnt lgkmcnt(0)
	s_waitcnt_vscnt null, 0x0
	s_barrier
	buffer_gl0_inv
	s_clause 0x37
	buffer_load_dword v2, off, s[0:3], 0 offset:424
	buffer_load_dword v3, off, s[0:3], 0 offset:428
	;; [unrolled: 1-line block ×56, first 2 shown]
	ds_read_b128 v[95:98], v1 offset:1120
	s_clause 0x2
	buffer_load_dword v161, off, s[0:3], 0 offset:652
	buffer_load_dword v165, off, s[0:3], 0 offset:628
	;; [unrolled: 1-line block ×3, first 2 shown]
	ds_read_b128 v[99:102], v1 offset:1136
	s_clause 0x4
	buffer_load_dword v169, off, s[0:3], 0 offset:668
	buffer_load_dword v170, off, s[0:3], 0 offset:680
	;; [unrolled: 1-line block ×5, first 2 shown]
	ds_read_b128 v[103:106], v1 offset:1152
	s_mov_b32 s4, exec_lo
	s_waitcnt vmcnt(62) lgkmcnt(2)
	v_mul_f64 v[166:167], v[97:98], v[2:3]
	v_mul_f64 v[2:3], v[95:96], v[2:3]
	s_waitcnt vmcnt(60) lgkmcnt(1)
	v_mul_f64 v[173:174], v[101:102], v[107:108]
	v_mul_f64 v[107:108], v[99:100], v[107:108]
	;; [unrolled: 3-line block ×3, first 2 shown]
	v_fma_f64 v[166:167], v[95:96], v[109:110], -v[166:167]
	v_fma_f64 v[2:3], v[97:98], v[109:110], v[2:3]
	s_clause 0x2
	buffer_load_dword v171, off, s[0:3], 0 offset:684
	buffer_load_dword v110, off, s[0:3], 0 offset:660
	;; [unrolled: 1-line block ×3, first 2 shown]
	s_waitcnt vmcnt(57)
	v_fma_f64 v[177:178], v[99:100], v[113:114], -v[173:174]
	ds_read_b128 v[95:98], v1 offset:1168
	v_fma_f64 v[107:108], v[101:102], v[113:114], v[107:108]
	s_clause 0x4
	buffer_load_dword v114, off, s[0:3], 0 offset:700
	buffer_load_dword v174, off, s[0:3], 0 offset:712
	;; [unrolled: 1-line block ×5, first 2 shown]
	s_waitcnt vmcnt(56)
	v_fma_f64 v[111:112], v[103:104], v[121:122], -v[111:112]
	ds_read_b128 v[99:102], v1 offset:1184
	v_fma_f64 v[121:122], v[105:106], v[121:122], v[175:176]
	v_add_f64 v[166:167], v[166:167], 0
	v_add_f64 v[2:3], v[2:3], 0
	s_waitcnt lgkmcnt(1)
	v_mul_f64 v[180:181], v[95:96], v[115:116]
	v_mul_f64 v[115:116], v[97:98], v[115:116]
	v_add_f64 v[166:167], v[166:167], v[177:178]
	v_add_f64 v[2:3], v[2:3], v[107:108]
	s_clause 0x2
	buffer_load_dword v175, off, s[0:3], 0 offset:716
	buffer_load_dword v108, off, s[0:3], 0 offset:692
	;; [unrolled: 1-line block ×3, first 2 shown]
	s_waitcnt vmcnt(58) lgkmcnt(0)
	v_mul_f64 v[176:177], v[99:100], v[117:118]
	v_mul_f64 v[117:118], v[101:102], v[117:118]
	s_waitcnt vmcnt(56)
	v_fma_f64 v[115:116], v[95:96], v[123:124], -v[115:116]
	ds_read_b128 v[103:106], v1 offset:1200
	v_fma_f64 v[123:124], v[97:98], v[123:124], v[180:181]
	v_add_f64 v[111:112], v[166:167], v[111:112]
	v_add_f64 v[2:3], v[2:3], v[121:122]
	s_clause 0x2
	buffer_load_dword v122, off, s[0:3], 0 offset:732
	buffer_load_dword v121, off, s[0:3], 0 offset:728
	;; [unrolled: 1-line block ×3, first 2 shown]
	ds_read_b128 v[95:98], v1 offset:1216
	s_waitcnt vmcnt(55) lgkmcnt(1)
	v_mul_f64 v[166:167], v[103:104], v[125:126]
	v_mul_f64 v[125:126], v[105:106], v[125:126]
	s_waitcnt vmcnt(54)
	v_fma_f64 v[117:118], v[99:100], v[119:120], -v[117:118]
	v_add_f64 v[111:112], v[111:112], v[115:116]
	v_fma_f64 v[115:116], v[101:102], v[119:120], v[176:177]
	v_add_f64 v[2:3], v[2:3], v[123:124]
	s_clause 0x1
	buffer_load_dword v120, off, s[0:3], 0 offset:724
	buffer_load_dword v119, off, s[0:3], 0 offset:720
	s_waitcnt vmcnt(55) lgkmcnt(0)
	v_mul_f64 v[123:124], v[95:96], v[127:128]
	v_mul_f64 v[127:128], v[97:98], v[127:128]
	s_waitcnt vmcnt(53)
	v_fma_f64 v[125:126], v[103:104], v[131:132], -v[125:126]
	ds_read_b128 v[99:102], v1 offset:1232
	v_add_f64 v[111:112], v[111:112], v[117:118]
	v_fma_f64 v[117:118], v[105:106], v[131:132], v[166:167]
	v_add_f64 v[2:3], v[2:3], v[115:116]
	ds_read_b128 v[103:106], v1 offset:1248
	s_waitcnt vmcnt(48)
	v_fma_f64 v[123:124], v[97:98], v[129:130], v[123:124]
	s_waitcnt lgkmcnt(1)
	v_mul_f64 v[131:132], v[101:102], v[133:134]
	v_fma_f64 v[127:128], v[95:96], v[129:130], -v[127:128]
	v_mul_f64 v[115:116], v[99:100], v[133:134]
	v_add_f64 v[111:112], v[111:112], v[125:126]
	s_waitcnt vmcnt(47) lgkmcnt(0)
	v_mul_f64 v[133:134], v[105:106], v[135:136]
	v_add_f64 v[2:3], v[2:3], v[117:118]
	s_clause 0x3
	buffer_load_dword v117, off, s[0:3], 0 offset:400
	buffer_load_dword v118, off, s[0:3], 0 offset:404
	buffer_load_dword v125, off, s[0:3], 0 offset:408
	buffer_load_dword v126, off, s[0:3], 0 offset:412
	ds_read_b128 v[95:98], v1 offset:1264
	s_waitcnt vmcnt(49)
	v_fma_f64 v[131:132], v[99:100], v[139:140], -v[131:132]
	v_mul_f64 v[129:130], v[103:104], v[135:136]
	v_fma_f64 v[115:116], v[101:102], v[139:140], v[115:116]
	ds_read_b128 v[99:102], v1 offset:1280
	v_add_f64 v[111:112], v[111:112], v[127:128]
	s_waitcnt vmcnt(44)
	v_fma_f64 v[133:134], v[103:104], v[137:138], -v[133:134]
	v_add_f64 v[2:3], v[2:3], v[123:124]
	s_waitcnt lgkmcnt(1)
	v_mul_f64 v[127:128], v[97:98], v[141:142]
	v_mul_f64 v[123:124], v[95:96], v[141:142]
	v_fma_f64 v[129:130], v[105:106], v[137:138], v[129:130]
	ds_read_b128 v[103:106], v1 offset:1296
	v_add_f64 v[111:112], v[111:112], v[131:132]
	s_waitcnt vmcnt(43) lgkmcnt(1)
	v_mul_f64 v[131:132], v[101:102], v[143:144]
	v_add_f64 v[2:3], v[2:3], v[115:116]
	s_waitcnt vmcnt(41)
	v_fma_f64 v[127:128], v[95:96], v[147:148], -v[127:128]
	v_mul_f64 v[115:116], v[99:100], v[143:144]
	v_fma_f64 v[123:124], v[97:98], v[147:148], v[123:124]
	ds_read_b128 v[95:98], v1 offset:1312
	v_add_f64 v[111:112], v[111:112], v[133:134]
	s_waitcnt vmcnt(37) lgkmcnt(1)
	v_mul_f64 v[133:134], v[105:106], v[149:150]
	v_add_f64 v[2:3], v[2:3], v[129:130]
	s_waitcnt vmcnt(36)
	v_fma_f64 v[131:132], v[99:100], v[145:146], -v[131:132]
	;; [unrolled: 9-line block ×6, first 2 shown]
	v_mul_f64 v[123:124], v[95:96], v[168:169]
	v_fma_f64 v[129:130], v[105:106], v[162:163], v[129:130]
	ds_read_b128 v[103:106], v1 offset:1392
	v_add_f64 v[111:112], v[111:112], v[131:132]
	v_add_f64 v[2:3], v[2:3], v[115:116]
	s_waitcnt vmcnt(19) lgkmcnt(1)
	v_mul_f64 v[131:132], v[101:102], v[170:171]
	v_mul_f64 v[115:116], v[99:100], v[170:171]
	s_waitcnt vmcnt(17)
	v_fma_f64 v[127:128], v[95:96], v[109:110], -v[127:128]
	v_fma_f64 v[109:110], v[97:98], v[109:110], v[123:124]
	ds_read_b128 v[95:98], v1 offset:1408
	s_waitcnt vmcnt(13) lgkmcnt(1)
	v_mul_f64 v[123:124], v[103:104], v[113:114]
	v_mul_f64 v[113:114], v[105:106], v[113:114]
	v_add_f64 v[111:112], v[111:112], v[133:134]
	v_add_f64 v[2:3], v[2:3], v[129:130]
	s_waitcnt vmcnt(12)
	v_fma_f64 v[99:100], v[99:100], v[172:173], -v[131:132]
	v_fma_f64 v[101:102], v[101:102], v[172:173], v[115:116]
	v_add_f64 v[111:112], v[111:112], v[127:128]
	v_add_f64 v[109:110], v[2:3], v[109:110]
	ds_read_b128 v[1:4], v1 offset:1424
	s_waitcnt vmcnt(11) lgkmcnt(1)
	v_mul_f64 v[127:128], v[97:98], v[174:175]
	v_mul_f64 v[115:116], v[95:96], v[174:175]
	s_waitcnt vmcnt(9)
	v_fma_f64 v[103:104], v[103:104], v[107:108], -v[113:114]
	v_fma_f64 v[105:106], v[105:106], v[107:108], v[123:124]
	v_add_f64 v[99:100], v[111:112], v[99:100]
	v_add_f64 v[101:102], v[109:110], v[101:102]
	s_waitcnt vmcnt(7) lgkmcnt(0)
	v_mul_f64 v[109:110], v[3:4], v[121:122]
	s_waitcnt vmcnt(6)
	v_fma_f64 v[95:96], v[95:96], v[179:180], -v[127:128]
	v_mul_f64 v[107:108], v[1:2], v[121:122]
	v_fma_f64 v[97:98], v[97:98], v[179:180], v[115:116]
	v_add_f64 v[99:100], v[99:100], v[103:104]
	v_add_f64 v[101:102], v[101:102], v[105:106]
	s_waitcnt vmcnt(4)
	v_fma_f64 v[1:2], v[1:2], v[119:120], -v[109:110]
	v_fma_f64 v[3:4], v[3:4], v[119:120], v[107:108]
	v_add_f64 v[95:96], v[99:100], v[95:96]
	v_add_f64 v[97:98], v[101:102], v[97:98]
	;; [unrolled: 1-line block ×4, first 2 shown]
	s_waitcnt vmcnt(2)
	v_add_f64 v[1:2], v[117:118], -v[1:2]
	s_waitcnt vmcnt(0)
	v_add_f64 v[3:4], v[125:126], -v[3:4]
	buffer_store_dword v2, off, s[0:3], 0 offset:404
	buffer_store_dword v1, off, s[0:3], 0 offset:400
	;; [unrolled: 1-line block ×4, first 2 shown]
	v_cmpx_lt_u32_e32 23, v0
	s_cbranch_execz .LBB108_237
; %bb.236:
	v_mov_b32_e32 v4, s34
	v_mov_b32_e32 v95, 0
	s_clause 0x3
	buffer_load_dword v1, v4, s[0:3], 0 offen
	buffer_load_dword v2, v4, s[0:3], 0 offen offset:4
	buffer_load_dword v3, v4, s[0:3], 0 offen offset:8
	;; [unrolled: 1-line block ×3, first 2 shown]
	buffer_store_dword v95, off, s[0:3], 0 offset:384
	buffer_store_dword v95, off, s[0:3], 0 offset:388
	;; [unrolled: 1-line block ×4, first 2 shown]
	s_waitcnt vmcnt(0)
	ds_write_b128 v151, v[1:4]
.LBB108_237:
	s_or_b32 exec_lo, exec_lo, s4
	s_waitcnt lgkmcnt(0)
	s_waitcnt_vscnt null, 0x0
	s_barrier
	buffer_gl0_inv
	s_clause 0x37
	buffer_load_dword v2, off, s[0:3], 0 offset:408
	buffer_load_dword v3, off, s[0:3], 0 offset:412
	;; [unrolled: 1-line block ×56, first 2 shown]
	v_mov_b32_e32 v1, 0
	s_mov_b32 s4, exec_lo
	ds_read_b128 v[95:98], v1 offset:1104
	s_clause 0x2
	buffer_load_dword v161, off, s[0:3], 0 offset:636
	buffer_load_dword v165, off, s[0:3], 0 offset:612
	;; [unrolled: 1-line block ×3, first 2 shown]
	ds_read_b128 v[99:102], v1 offset:1120
	s_clause 0x4
	buffer_load_dword v169, off, s[0:3], 0 offset:652
	buffer_load_dword v170, off, s[0:3], 0 offset:664
	;; [unrolled: 1-line block ×5, first 2 shown]
	ds_read_b128 v[103:106], v1 offset:1136
	s_waitcnt vmcnt(62) lgkmcnt(2)
	v_mul_f64 v[166:167], v[97:98], v[2:3]
	v_mul_f64 v[2:3], v[95:96], v[2:3]
	s_waitcnt vmcnt(60) lgkmcnt(1)
	v_mul_f64 v[173:174], v[101:102], v[107:108]
	v_mul_f64 v[107:108], v[99:100], v[107:108]
	;; [unrolled: 3-line block ×3, first 2 shown]
	v_fma_f64 v[166:167], v[95:96], v[109:110], -v[166:167]
	v_fma_f64 v[2:3], v[97:98], v[109:110], v[2:3]
	s_clause 0x2
	buffer_load_dword v171, off, s[0:3], 0 offset:668
	buffer_load_dword v110, off, s[0:3], 0 offset:644
	;; [unrolled: 1-line block ×3, first 2 shown]
	s_waitcnt vmcnt(57)
	v_fma_f64 v[177:178], v[99:100], v[113:114], -v[173:174]
	ds_read_b128 v[95:98], v1 offset:1152
	v_fma_f64 v[107:108], v[101:102], v[113:114], v[107:108]
	s_clause 0x4
	buffer_load_dword v114, off, s[0:3], 0 offset:684
	buffer_load_dword v174, off, s[0:3], 0 offset:696
	;; [unrolled: 1-line block ×5, first 2 shown]
	s_waitcnt vmcnt(56)
	v_fma_f64 v[111:112], v[103:104], v[121:122], -v[111:112]
	ds_read_b128 v[99:102], v1 offset:1168
	v_fma_f64 v[121:122], v[105:106], v[121:122], v[175:176]
	v_add_f64 v[166:167], v[166:167], 0
	v_add_f64 v[2:3], v[2:3], 0
	s_waitcnt lgkmcnt(1)
	v_mul_f64 v[180:181], v[95:96], v[115:116]
	v_mul_f64 v[115:116], v[97:98], v[115:116]
	v_add_f64 v[166:167], v[166:167], v[177:178]
	v_add_f64 v[2:3], v[2:3], v[107:108]
	s_clause 0x2
	buffer_load_dword v175, off, s[0:3], 0 offset:700
	buffer_load_dword v108, off, s[0:3], 0 offset:676
	;; [unrolled: 1-line block ×3, first 2 shown]
	s_waitcnt vmcnt(58) lgkmcnt(0)
	v_mul_f64 v[176:177], v[99:100], v[117:118]
	v_mul_f64 v[117:118], v[101:102], v[117:118]
	s_waitcnt vmcnt(56)
	v_fma_f64 v[115:116], v[95:96], v[123:124], -v[115:116]
	ds_read_b128 v[103:106], v1 offset:1184
	v_fma_f64 v[123:124], v[97:98], v[123:124], v[180:181]
	v_add_f64 v[111:112], v[166:167], v[111:112]
	v_add_f64 v[2:3], v[2:3], v[121:122]
	s_clause 0x4
	buffer_load_dword v122, off, s[0:3], 0 offset:716
	buffer_load_dword v166, off, s[0:3], 0 offset:728
	;; [unrolled: 1-line block ×5, first 2 shown]
	ds_read_b128 v[95:98], v1 offset:1200
	s_waitcnt vmcnt(57) lgkmcnt(1)
	v_mul_f64 v[182:183], v[103:104], v[125:126]
	v_mul_f64 v[125:126], v[105:106], v[125:126]
	s_waitcnt vmcnt(56)
	v_fma_f64 v[117:118], v[99:100], v[119:120], -v[117:118]
	v_add_f64 v[111:112], v[111:112], v[115:116]
	v_fma_f64 v[115:116], v[101:102], v[119:120], v[176:177]
	v_add_f64 v[2:3], v[2:3], v[123:124]
	s_clause 0x2
	buffer_load_dword v167, off, s[0:3], 0 offset:732
	buffer_load_dword v120, off, s[0:3], 0 offset:708
	;; [unrolled: 1-line block ×3, first 2 shown]
	s_waitcnt vmcnt(58) lgkmcnt(0)
	v_mul_f64 v[123:124], v[95:96], v[127:128]
	v_mul_f64 v[127:128], v[97:98], v[127:128]
	s_waitcnt vmcnt(56)
	v_fma_f64 v[125:126], v[103:104], v[131:132], -v[125:126]
	ds_read_b128 v[99:102], v1 offset:1216
	v_add_f64 v[111:112], v[111:112], v[117:118]
	v_fma_f64 v[117:118], v[105:106], v[131:132], v[182:183]
	v_add_f64 v[2:3], v[2:3], v[115:116]
	buffer_load_dword v182, off, s[0:3], 0 offset:724
	ds_read_b128 v[103:106], v1 offset:1232
	s_waitcnt vmcnt(53) lgkmcnt(1)
	v_mul_f64 v[131:132], v[101:102], v[133:134]
	s_waitcnt vmcnt(52)
	v_fma_f64 v[127:128], v[95:96], v[129:130], -v[127:128]
	v_mul_f64 v[115:116], v[99:100], v[133:134]
	v_fma_f64 v[123:124], v[97:98], v[129:130], v[123:124]
	ds_read_b128 v[95:98], v1 offset:1248
	v_add_f64 v[111:112], v[111:112], v[125:126]
	v_add_f64 v[2:3], v[2:3], v[117:118]
	s_waitcnt vmcnt(51) lgkmcnt(1)
	v_mul_f64 v[125:126], v[105:106], v[135:136]
	v_mul_f64 v[117:118], v[103:104], v[135:136]
	s_waitcnt vmcnt(49)
	v_fma_f64 v[129:130], v[99:100], v[139:140], -v[131:132]
	v_fma_f64 v[115:116], v[101:102], v[139:140], v[115:116]
	s_waitcnt vmcnt(45) lgkmcnt(0)
	v_mul_f64 v[133:134], v[97:98], v[141:142]
	v_mul_f64 v[131:132], v[95:96], v[141:142]
	v_add_f64 v[111:112], v[111:112], v[127:128]
	v_add_f64 v[2:3], v[2:3], v[123:124]
	s_clause 0x3
	buffer_load_dword v123, off, s[0:3], 0 offset:384
	buffer_load_dword v124, off, s[0:3], 0 offset:388
	;; [unrolled: 1-line block ×4, first 2 shown]
	s_waitcnt vmcnt(48)
	v_fma_f64 v[125:126], v[103:104], v[137:138], -v[125:126]
	ds_read_b128 v[99:102], v1 offset:1264
	v_fma_f64 v[117:118], v[105:106], v[137:138], v[117:118]
	ds_read_b128 v[103:106], v1 offset:1280
	s_waitcnt vmcnt(45)
	v_fma_f64 v[133:134], v[95:96], v[147:148], -v[133:134]
	v_add_f64 v[111:112], v[111:112], v[129:130]
	v_add_f64 v[2:3], v[2:3], v[115:116]
	s_waitcnt lgkmcnt(1)
	v_mul_f64 v[129:130], v[101:102], v[143:144]
	v_mul_f64 v[115:116], v[99:100], v[143:144]
	v_add_f64 v[111:112], v[111:112], v[125:126]
	v_fma_f64 v[125:126], v[97:98], v[147:148], v[131:132]
	v_add_f64 v[2:3], v[2:3], v[117:118]
	s_waitcnt vmcnt(41) lgkmcnt(0)
	v_mul_f64 v[131:132], v[105:106], v[149:150]
	s_waitcnt vmcnt(40)
	v_fma_f64 v[129:130], v[99:100], v[145:146], -v[129:130]
	ds_read_b128 v[95:98], v1 offset:1296
	v_mul_f64 v[117:118], v[103:104], v[149:150]
	v_fma_f64 v[115:116], v[101:102], v[145:146], v[115:116]
	ds_read_b128 v[99:102], v1 offset:1312
	v_add_f64 v[111:112], v[111:112], v[133:134]
	v_add_f64 v[2:3], v[2:3], v[125:126]
	s_waitcnt vmcnt(39) lgkmcnt(1)
	v_mul_f64 v[133:134], v[97:98], v[152:153]
	s_waitcnt vmcnt(37)
	v_fma_f64 v[131:132], v[103:104], v[156:157], -v[131:132]
	v_mul_f64 v[125:126], v[95:96], v[152:153]
	v_fma_f64 v[117:118], v[105:106], v[156:157], v[117:118]
	ds_read_b128 v[103:106], v1 offset:1328
	v_add_f64 v[111:112], v[111:112], v[129:130]
	s_waitcnt vmcnt(33) lgkmcnt(1)
	v_mul_f64 v[129:130], v[101:102], v[158:159]
	v_add_f64 v[2:3], v[2:3], v[115:116]
	s_waitcnt vmcnt(32)
	v_fma_f64 v[133:134], v[95:96], v[154:155], -v[133:134]
	v_mul_f64 v[115:116], v[99:100], v[158:159]
	v_fma_f64 v[125:126], v[97:98], v[154:155], v[125:126]
	ds_read_b128 v[95:98], v1 offset:1344
	v_add_f64 v[111:112], v[111:112], v[131:132]
	s_waitcnt vmcnt(31) lgkmcnt(1)
	v_mul_f64 v[131:132], v[105:106], v[160:161]
	v_add_f64 v[2:3], v[2:3], v[117:118]
	;; [unrolled: 9-line block ×3, first 2 shown]
	s_waitcnt vmcnt(24)
	v_fma_f64 v[131:132], v[103:104], v[162:163], -v[131:132]
	v_mul_f64 v[125:126], v[95:96], v[168:169]
	v_fma_f64 v[117:118], v[105:106], v[162:163], v[117:118]
	ds_read_b128 v[103:106], v1 offset:1376
	v_add_f64 v[111:112], v[111:112], v[129:130]
	v_add_f64 v[2:3], v[2:3], v[115:116]
	s_waitcnt vmcnt(23) lgkmcnt(1)
	v_mul_f64 v[129:130], v[101:102], v[170:171]
	v_mul_f64 v[115:116], v[99:100], v[170:171]
	s_waitcnt vmcnt(21)
	v_fma_f64 v[133:134], v[95:96], v[109:110], -v[133:134]
	v_fma_f64 v[109:110], v[97:98], v[109:110], v[125:126]
	ds_read_b128 v[95:98], v1 offset:1392
	v_add_f64 v[111:112], v[111:112], v[131:132]
	v_add_f64 v[2:3], v[2:3], v[117:118]
	s_waitcnt vmcnt(17) lgkmcnt(1)
	v_mul_f64 v[117:118], v[103:104], v[113:114]
	v_mul_f64 v[113:114], v[105:106], v[113:114]
	s_waitcnt vmcnt(16)
	v_fma_f64 v[125:126], v[99:100], v[172:173], -v[129:130]
	;; [unrolled: 9-line block ×3, first 2 shown]
	v_fma_f64 v[107:108], v[105:106], v[107:108], v[117:118]
	ds_read_b128 v[103:106], v1 offset:1424
	v_add_f64 v[111:112], v[111:112], v[125:126]
	v_add_f64 v[2:3], v[2:3], v[115:116]
	s_waitcnt vmcnt(9) lgkmcnt(1)
	v_mul_f64 v[117:118], v[101:102], v[121:122]
	s_waitcnt vmcnt(8)
	v_fma_f64 v[95:96], v[95:96], v[179:180], -v[129:130]
	v_mul_f64 v[115:116], v[99:100], v[121:122]
	v_fma_f64 v[97:98], v[97:98], v[179:180], v[109:110]
	v_add_f64 v[111:112], v[111:112], v[113:114]
	v_add_f64 v[2:3], v[2:3], v[107:108]
	s_waitcnt vmcnt(7) lgkmcnt(0)
	v_mul_f64 v[109:110], v[105:106], v[166:167]
	v_mul_f64 v[107:108], v[103:104], v[166:167]
	s_waitcnt vmcnt(5)
	v_fma_f64 v[99:100], v[99:100], v[119:120], -v[117:118]
	v_fma_f64 v[101:102], v[101:102], v[119:120], v[115:116]
	v_add_f64 v[95:96], v[111:112], v[95:96]
	v_add_f64 v[2:3], v[2:3], v[97:98]
	s_waitcnt vmcnt(4)
	v_fma_f64 v[97:98], v[103:104], v[181:182], -v[109:110]
	v_add_f64 v[95:96], v[95:96], v[99:100]
	v_fma_f64 v[99:100], v[105:106], v[181:182], v[107:108]
	v_add_f64 v[2:3], v[2:3], v[101:102]
	v_add_f64 v[95:96], v[95:96], v[97:98]
	;; [unrolled: 1-line block ×3, first 2 shown]
	s_waitcnt vmcnt(2)
	v_add_f64 v[95:96], v[123:124], -v[95:96]
	s_waitcnt vmcnt(0)
	v_add_f64 v[2:3], v[127:128], -v[2:3]
	buffer_store_dword v96, off, s[0:3], 0 offset:388
	buffer_store_dword v95, off, s[0:3], 0 offset:384
	;; [unrolled: 1-line block ×4, first 2 shown]
	v_cmpx_lt_u32_e32 22, v0
	s_cbranch_execz .LBB108_239
; %bb.238:
	v_mov_b32_e32 v2, s35
	s_clause 0x3
	buffer_load_dword v95, v2, s[0:3], 0 offen
	buffer_load_dword v96, v2, s[0:3], 0 offen offset:4
	buffer_load_dword v97, v2, s[0:3], 0 offen offset:8
	;; [unrolled: 1-line block ×3, first 2 shown]
	buffer_store_dword v1, off, s[0:3], 0 offset:368
	buffer_store_dword v1, off, s[0:3], 0 offset:372
	;; [unrolled: 1-line block ×4, first 2 shown]
	s_waitcnt vmcnt(0)
	ds_write_b128 v151, v[95:98]
.LBB108_239:
	s_or_b32 exec_lo, exec_lo, s4
	s_waitcnt lgkmcnt(0)
	s_waitcnt_vscnt null, 0x0
	s_barrier
	buffer_gl0_inv
	s_clause 0x37
	buffer_load_dword v2, off, s[0:3], 0 offset:392
	buffer_load_dword v3, off, s[0:3], 0 offset:396
	;; [unrolled: 1-line block ×56, first 2 shown]
	ds_read_b128 v[95:98], v1 offset:1088
	s_clause 0x2
	buffer_load_dword v161, off, s[0:3], 0 offset:620
	buffer_load_dword v165, off, s[0:3], 0 offset:596
	;; [unrolled: 1-line block ×3, first 2 shown]
	ds_read_b128 v[99:102], v1 offset:1104
	s_clause 0x4
	buffer_load_dword v169, off, s[0:3], 0 offset:636
	buffer_load_dword v170, off, s[0:3], 0 offset:648
	;; [unrolled: 1-line block ×5, first 2 shown]
	ds_read_b128 v[103:106], v1 offset:1120
	s_mov_b32 s4, exec_lo
	s_waitcnt vmcnt(62) lgkmcnt(2)
	v_mul_f64 v[166:167], v[97:98], v[2:3]
	v_mul_f64 v[2:3], v[95:96], v[2:3]
	s_waitcnt vmcnt(60) lgkmcnt(1)
	v_mul_f64 v[173:174], v[101:102], v[107:108]
	v_mul_f64 v[107:108], v[99:100], v[107:108]
	;; [unrolled: 3-line block ×3, first 2 shown]
	v_fma_f64 v[166:167], v[95:96], v[109:110], -v[166:167]
	v_fma_f64 v[2:3], v[97:98], v[109:110], v[2:3]
	s_clause 0x2
	buffer_load_dword v171, off, s[0:3], 0 offset:652
	buffer_load_dword v110, off, s[0:3], 0 offset:628
	;; [unrolled: 1-line block ×3, first 2 shown]
	s_waitcnt vmcnt(57)
	v_fma_f64 v[177:178], v[99:100], v[113:114], -v[173:174]
	ds_read_b128 v[95:98], v1 offset:1136
	v_fma_f64 v[107:108], v[101:102], v[113:114], v[107:108]
	s_clause 0x4
	buffer_load_dword v114, off, s[0:3], 0 offset:668
	buffer_load_dword v174, off, s[0:3], 0 offset:680
	;; [unrolled: 1-line block ×5, first 2 shown]
	s_waitcnt vmcnt(56)
	v_fma_f64 v[111:112], v[103:104], v[121:122], -v[111:112]
	ds_read_b128 v[99:102], v1 offset:1152
	v_fma_f64 v[121:122], v[105:106], v[121:122], v[175:176]
	v_add_f64 v[166:167], v[166:167], 0
	v_add_f64 v[2:3], v[2:3], 0
	s_waitcnt lgkmcnt(1)
	v_mul_f64 v[180:181], v[95:96], v[115:116]
	v_mul_f64 v[115:116], v[97:98], v[115:116]
	v_add_f64 v[166:167], v[166:167], v[177:178]
	v_add_f64 v[2:3], v[2:3], v[107:108]
	s_clause 0x2
	buffer_load_dword v175, off, s[0:3], 0 offset:684
	buffer_load_dword v108, off, s[0:3], 0 offset:660
	;; [unrolled: 1-line block ×3, first 2 shown]
	s_waitcnt vmcnt(58) lgkmcnt(0)
	v_mul_f64 v[176:177], v[99:100], v[117:118]
	v_mul_f64 v[117:118], v[101:102], v[117:118]
	s_waitcnt vmcnt(56)
	v_fma_f64 v[115:116], v[95:96], v[123:124], -v[115:116]
	ds_read_b128 v[103:106], v1 offset:1168
	v_fma_f64 v[123:124], v[97:98], v[123:124], v[180:181]
	v_add_f64 v[111:112], v[166:167], v[111:112]
	v_add_f64 v[2:3], v[2:3], v[121:122]
	s_clause 0x4
	buffer_load_dword v122, off, s[0:3], 0 offset:700
	buffer_load_dword v166, off, s[0:3], 0 offset:712
	;; [unrolled: 1-line block ×5, first 2 shown]
	ds_read_b128 v[95:98], v1 offset:1184
	s_waitcnt vmcnt(57) lgkmcnt(1)
	v_mul_f64 v[182:183], v[103:104], v[125:126]
	v_mul_f64 v[125:126], v[105:106], v[125:126]
	s_waitcnt vmcnt(56)
	v_fma_f64 v[117:118], v[99:100], v[119:120], -v[117:118]
	v_add_f64 v[111:112], v[111:112], v[115:116]
	v_fma_f64 v[115:116], v[101:102], v[119:120], v[176:177]
	v_add_f64 v[2:3], v[2:3], v[123:124]
	s_clause 0x2
	buffer_load_dword v167, off, s[0:3], 0 offset:716
	buffer_load_dword v120, off, s[0:3], 0 offset:692
	;; [unrolled: 1-line block ×3, first 2 shown]
	s_waitcnt vmcnt(58) lgkmcnt(0)
	v_mul_f64 v[123:124], v[95:96], v[127:128]
	v_mul_f64 v[127:128], v[97:98], v[127:128]
	s_waitcnt vmcnt(56)
	v_fma_f64 v[125:126], v[103:104], v[131:132], -v[125:126]
	ds_read_b128 v[99:102], v1 offset:1200
	v_add_f64 v[111:112], v[111:112], v[117:118]
	v_fma_f64 v[117:118], v[105:106], v[131:132], v[182:183]
	v_add_f64 v[2:3], v[2:3], v[115:116]
	s_clause 0x2
	buffer_load_dword v116, off, s[0:3], 0 offset:732
	buffer_load_dword v115, off, s[0:3], 0 offset:728
	;; [unrolled: 1-line block ×3, first 2 shown]
	ds_read_b128 v[103:106], v1 offset:1216
	s_waitcnt vmcnt(55) lgkmcnt(1)
	v_mul_f64 v[131:132], v[99:100], v[133:134]
	v_mul_f64 v[133:134], v[101:102], v[133:134]
	s_waitcnt vmcnt(54)
	v_fma_f64 v[127:128], v[95:96], v[129:130], -v[127:128]
	v_fma_f64 v[123:124], v[97:98], v[129:130], v[123:124]
	v_add_f64 v[111:112], v[111:112], v[125:126]
	v_add_f64 v[2:3], v[2:3], v[117:118]
	s_clause 0x1
	buffer_load_dword v118, off, s[0:3], 0 offset:724
	buffer_load_dword v117, off, s[0:3], 0 offset:720
	s_waitcnt vmcnt(55) lgkmcnt(0)
	v_mul_f64 v[129:130], v[105:106], v[135:136]
	ds_read_b128 v[95:98], v1 offset:1232
	s_waitcnt vmcnt(53)
	v_fma_f64 v[133:134], v[99:100], v[139:140], -v[133:134]
	v_mul_f64 v[125:126], v[103:104], v[135:136]
	v_add_f64 v[111:112], v[111:112], v[127:128]
	v_fma_f64 v[127:128], v[101:102], v[139:140], v[131:132]
	v_add_f64 v[2:3], v[2:3], v[123:124]
	ds_read_b128 v[99:102], v1 offset:1248
	s_waitcnt vmcnt(49) lgkmcnt(1)
	v_mul_f64 v[131:132], v[97:98], v[141:142]
	s_waitcnt vmcnt(48)
	v_fma_f64 v[129:130], v[103:104], v[137:138], -v[129:130]
	v_mul_f64 v[123:124], v[95:96], v[141:142]
	v_fma_f64 v[125:126], v[105:106], v[137:138], v[125:126]
	v_add_f64 v[111:112], v[111:112], v[133:134]
	s_waitcnt vmcnt(47) lgkmcnt(0)
	v_mul_f64 v[137:138], v[101:102], v[143:144]
	v_add_f64 v[2:3], v[2:3], v[127:128]
	s_clause 0x3
	buffer_load_dword v127, off, s[0:3], 0 offset:368
	buffer_load_dword v128, off, s[0:3], 0 offset:372
	;; [unrolled: 1-line block ×4, first 2 shown]
	s_waitcnt vmcnt(49)
	v_fma_f64 v[131:132], v[95:96], v[147:148], -v[131:132]
	ds_read_b128 v[103:106], v1 offset:1264
	v_mul_f64 v[135:136], v[99:100], v[143:144]
	v_fma_f64 v[123:124], v[97:98], v[147:148], v[123:124]
	ds_read_b128 v[95:98], v1 offset:1280
	v_add_f64 v[111:112], v[111:112], v[129:130]
	s_waitcnt vmcnt(44)
	v_fma_f64 v[137:138], v[99:100], v[145:146], -v[137:138]
	v_add_f64 v[2:3], v[2:3], v[125:126]
	s_waitcnt lgkmcnt(1)
	v_mul_f64 v[129:130], v[105:106], v[149:150]
	v_mul_f64 v[125:126], v[103:104], v[149:150]
	v_add_f64 v[111:112], v[111:112], v[131:132]
	v_fma_f64 v[131:132], v[101:102], v[145:146], v[135:136]
	v_add_f64 v[2:3], v[2:3], v[123:124]
	s_waitcnt vmcnt(43) lgkmcnt(0)
	v_mul_f64 v[135:136], v[97:98], v[152:153]
	s_waitcnt vmcnt(41)
	v_fma_f64 v[129:130], v[103:104], v[156:157], -v[129:130]
	ds_read_b128 v[99:102], v1 offset:1296
	v_mul_f64 v[123:124], v[95:96], v[152:153]
	v_fma_f64 v[125:126], v[105:106], v[156:157], v[125:126]
	ds_read_b128 v[103:106], v1 offset:1312
	v_add_f64 v[111:112], v[111:112], v[137:138]
	v_add_f64 v[2:3], v[2:3], v[131:132]
	s_waitcnt vmcnt(37) lgkmcnt(1)
	v_mul_f64 v[137:138], v[101:102], v[158:159]
	s_waitcnt vmcnt(36)
	v_fma_f64 v[135:136], v[95:96], v[154:155], -v[135:136]
	v_mul_f64 v[131:132], v[99:100], v[158:159]
	v_fma_f64 v[123:124], v[97:98], v[154:155], v[123:124]
	ds_read_b128 v[95:98], v1 offset:1328
	v_add_f64 v[111:112], v[111:112], v[129:130]
	s_waitcnt vmcnt(35) lgkmcnt(1)
	v_mul_f64 v[129:130], v[105:106], v[160:161]
	v_add_f64 v[2:3], v[2:3], v[125:126]
	s_waitcnt vmcnt(33)
	v_fma_f64 v[137:138], v[99:100], v[164:165], -v[137:138]
	v_mul_f64 v[125:126], v[103:104], v[160:161]
	v_fma_f64 v[131:132], v[101:102], v[164:165], v[131:132]
	ds_read_b128 v[99:102], v1 offset:1344
	v_add_f64 v[111:112], v[111:112], v[135:136]
	s_waitcnt vmcnt(29) lgkmcnt(1)
	v_mul_f64 v[135:136], v[97:98], v[168:169]
	v_add_f64 v[2:3], v[2:3], v[123:124]
	s_waitcnt vmcnt(28)
	v_fma_f64 v[129:130], v[103:104], v[162:163], -v[129:130]
	v_mul_f64 v[123:124], v[95:96], v[168:169]
	v_fma_f64 v[125:126], v[105:106], v[162:163], v[125:126]
	ds_read_b128 v[103:106], v1 offset:1360
	v_add_f64 v[111:112], v[111:112], v[137:138]
	v_add_f64 v[2:3], v[2:3], v[131:132]
	s_waitcnt vmcnt(27) lgkmcnt(1)
	v_mul_f64 v[137:138], v[101:102], v[170:171]
	v_mul_f64 v[131:132], v[99:100], v[170:171]
	s_waitcnt vmcnt(25)
	v_fma_f64 v[135:136], v[95:96], v[109:110], -v[135:136]
	v_fma_f64 v[109:110], v[97:98], v[109:110], v[123:124]
	ds_read_b128 v[95:98], v1 offset:1376
	s_waitcnt vmcnt(21) lgkmcnt(1)
	v_mul_f64 v[123:124], v[103:104], v[113:114]
	v_mul_f64 v[113:114], v[105:106], v[113:114]
	v_add_f64 v[111:112], v[111:112], v[129:130]
	v_add_f64 v[2:3], v[2:3], v[125:126]
	s_waitcnt vmcnt(20)
	v_fma_f64 v[125:126], v[99:100], v[172:173], -v[137:138]
	v_fma_f64 v[129:130], v[101:102], v[172:173], v[131:132]
	ds_read_b128 v[99:102], v1 offset:1392
	v_add_f64 v[111:112], v[111:112], v[135:136]
	v_add_f64 v[2:3], v[2:3], v[109:110]
	s_waitcnt vmcnt(19) lgkmcnt(1)
	v_mul_f64 v[131:132], v[97:98], v[174:175]
	v_mul_f64 v[109:110], v[95:96], v[174:175]
	s_waitcnt vmcnt(17)
	v_fma_f64 v[113:114], v[103:104], v[107:108], -v[113:114]
	v_fma_f64 v[107:108], v[105:106], v[107:108], v[123:124]
	ds_read_b128 v[103:106], v1 offset:1408
	v_add_f64 v[111:112], v[111:112], v[125:126]
	v_add_f64 v[2:3], v[2:3], v[129:130]
	s_waitcnt vmcnt(13) lgkmcnt(1)
	v_mul_f64 v[123:124], v[99:100], v[121:122]
	v_mul_f64 v[121:122], v[101:102], v[121:122]
	s_waitcnt vmcnt(12)
	v_fma_f64 v[95:96], v[95:96], v[179:180], -v[131:132]
	v_fma_f64 v[97:98], v[97:98], v[179:180], v[109:110]
	v_add_f64 v[111:112], v[111:112], v[113:114]
	v_add_f64 v[107:108], v[2:3], v[107:108]
	ds_read_b128 v[1:4], v1 offset:1424
	s_waitcnt vmcnt(11) lgkmcnt(1)
	v_mul_f64 v[113:114], v[105:106], v[166:167]
	v_mul_f64 v[109:110], v[103:104], v[166:167]
	s_waitcnt vmcnt(9)
	v_fma_f64 v[99:100], v[99:100], v[119:120], -v[121:122]
	v_fma_f64 v[101:102], v[101:102], v[119:120], v[123:124]
	v_add_f64 v[95:96], v[111:112], v[95:96]
	v_add_f64 v[97:98], v[107:108], v[97:98]
	s_waitcnt vmcnt(7) lgkmcnt(0)
	v_mul_f64 v[111:112], v[3:4], v[115:116]
	s_waitcnt vmcnt(6)
	v_fma_f64 v[103:104], v[103:104], v[181:182], -v[113:114]
	v_mul_f64 v[107:108], v[1:2], v[115:116]
	v_add_f64 v[95:96], v[95:96], v[99:100]
	v_fma_f64 v[99:100], v[105:106], v[181:182], v[109:110]
	v_add_f64 v[97:98], v[97:98], v[101:102]
	s_waitcnt vmcnt(4)
	v_fma_f64 v[1:2], v[1:2], v[117:118], -v[111:112]
	v_fma_f64 v[3:4], v[3:4], v[117:118], v[107:108]
	v_add_f64 v[95:96], v[95:96], v[103:104]
	v_add_f64 v[97:98], v[97:98], v[99:100]
	v_add_f64 v[1:2], v[95:96], v[1:2]
	v_add_f64 v[3:4], v[97:98], v[3:4]
	s_waitcnt vmcnt(2)
	v_add_f64 v[1:2], v[127:128], -v[1:2]
	s_waitcnt vmcnt(0)
	v_add_f64 v[3:4], v[133:134], -v[3:4]
	buffer_store_dword v2, off, s[0:3], 0 offset:372
	buffer_store_dword v1, off, s[0:3], 0 offset:368
	buffer_store_dword v4, off, s[0:3], 0 offset:380
	buffer_store_dword v3, off, s[0:3], 0 offset:376
	v_cmpx_lt_u32_e32 21, v0
	s_cbranch_execz .LBB108_241
; %bb.240:
	v_mov_b32_e32 v4, s36
	v_mov_b32_e32 v95, 0
	s_clause 0x3
	buffer_load_dword v1, v4, s[0:3], 0 offen
	buffer_load_dword v2, v4, s[0:3], 0 offen offset:4
	buffer_load_dword v3, v4, s[0:3], 0 offen offset:8
	;; [unrolled: 1-line block ×3, first 2 shown]
	buffer_store_dword v95, off, s[0:3], 0 offset:352
	buffer_store_dword v95, off, s[0:3], 0 offset:356
	;; [unrolled: 1-line block ×4, first 2 shown]
	s_waitcnt vmcnt(0)
	ds_write_b128 v151, v[1:4]
.LBB108_241:
	s_or_b32 exec_lo, exec_lo, s4
	s_waitcnt lgkmcnt(0)
	s_waitcnt_vscnt null, 0x0
	s_barrier
	buffer_gl0_inv
	s_clause 0x37
	buffer_load_dword v2, off, s[0:3], 0 offset:376
	buffer_load_dword v3, off, s[0:3], 0 offset:380
	;; [unrolled: 1-line block ×56, first 2 shown]
	v_mov_b32_e32 v1, 0
	s_mov_b32 s4, exec_lo
	ds_read_b128 v[95:98], v1 offset:1072
	s_clause 0x2
	buffer_load_dword v161, off, s[0:3], 0 offset:604
	buffer_load_dword v165, off, s[0:3], 0 offset:580
	;; [unrolled: 1-line block ×3, first 2 shown]
	ds_read_b128 v[99:102], v1 offset:1088
	s_clause 0x4
	buffer_load_dword v169, off, s[0:3], 0 offset:620
	buffer_load_dword v170, off, s[0:3], 0 offset:632
	;; [unrolled: 1-line block ×5, first 2 shown]
	ds_read_b128 v[103:106], v1 offset:1104
	s_waitcnt vmcnt(62) lgkmcnt(2)
	v_mul_f64 v[166:167], v[97:98], v[2:3]
	v_mul_f64 v[2:3], v[95:96], v[2:3]
	s_waitcnt vmcnt(60) lgkmcnt(1)
	v_mul_f64 v[173:174], v[101:102], v[107:108]
	v_mul_f64 v[107:108], v[99:100], v[107:108]
	s_waitcnt vmcnt(56) lgkmcnt(0)
	v_mul_f64 v[175:176], v[103:104], v[111:112]
	v_mul_f64 v[111:112], v[105:106], v[111:112]
	v_fma_f64 v[166:167], v[95:96], v[109:110], -v[166:167]
	v_fma_f64 v[2:3], v[97:98], v[109:110], v[2:3]
	s_clause 0x2
	buffer_load_dword v171, off, s[0:3], 0 offset:636
	buffer_load_dword v110, off, s[0:3], 0 offset:612
	;; [unrolled: 1-line block ×3, first 2 shown]
	s_waitcnt vmcnt(57)
	v_fma_f64 v[177:178], v[99:100], v[113:114], -v[173:174]
	ds_read_b128 v[95:98], v1 offset:1120
	v_fma_f64 v[107:108], v[101:102], v[113:114], v[107:108]
	s_clause 0x4
	buffer_load_dword v114, off, s[0:3], 0 offset:652
	buffer_load_dword v174, off, s[0:3], 0 offset:664
	;; [unrolled: 1-line block ×5, first 2 shown]
	s_waitcnt vmcnt(56)
	v_fma_f64 v[111:112], v[103:104], v[121:122], -v[111:112]
	ds_read_b128 v[99:102], v1 offset:1136
	v_fma_f64 v[121:122], v[105:106], v[121:122], v[175:176]
	v_add_f64 v[166:167], v[166:167], 0
	v_add_f64 v[2:3], v[2:3], 0
	s_waitcnt lgkmcnt(1)
	v_mul_f64 v[180:181], v[95:96], v[115:116]
	v_mul_f64 v[115:116], v[97:98], v[115:116]
	v_add_f64 v[166:167], v[166:167], v[177:178]
	v_add_f64 v[2:3], v[2:3], v[107:108]
	s_clause 0x2
	buffer_load_dword v175, off, s[0:3], 0 offset:668
	buffer_load_dword v108, off, s[0:3], 0 offset:644
	;; [unrolled: 1-line block ×3, first 2 shown]
	s_waitcnt vmcnt(58) lgkmcnt(0)
	v_mul_f64 v[176:177], v[99:100], v[117:118]
	v_mul_f64 v[117:118], v[101:102], v[117:118]
	s_waitcnt vmcnt(56)
	v_fma_f64 v[115:116], v[95:96], v[123:124], -v[115:116]
	ds_read_b128 v[103:106], v1 offset:1152
	v_fma_f64 v[123:124], v[97:98], v[123:124], v[180:181]
	v_add_f64 v[111:112], v[166:167], v[111:112]
	v_add_f64 v[2:3], v[2:3], v[121:122]
	s_clause 0x4
	buffer_load_dword v122, off, s[0:3], 0 offset:684
	buffer_load_dword v166, off, s[0:3], 0 offset:696
	;; [unrolled: 1-line block ×5, first 2 shown]
	ds_read_b128 v[95:98], v1 offset:1168
	s_waitcnt vmcnt(57) lgkmcnt(1)
	v_mul_f64 v[182:183], v[103:104], v[125:126]
	v_mul_f64 v[125:126], v[105:106], v[125:126]
	s_waitcnt vmcnt(56)
	v_fma_f64 v[117:118], v[99:100], v[119:120], -v[117:118]
	v_add_f64 v[111:112], v[111:112], v[115:116]
	v_fma_f64 v[115:116], v[101:102], v[119:120], v[176:177]
	v_add_f64 v[2:3], v[2:3], v[123:124]
	s_clause 0x2
	buffer_load_dword v167, off, s[0:3], 0 offset:700
	buffer_load_dword v120, off, s[0:3], 0 offset:676
	;; [unrolled: 1-line block ×3, first 2 shown]
	s_waitcnt vmcnt(58) lgkmcnt(0)
	v_mul_f64 v[123:124], v[95:96], v[127:128]
	v_mul_f64 v[127:128], v[97:98], v[127:128]
	s_waitcnt vmcnt(56)
	v_fma_f64 v[125:126], v[103:104], v[131:132], -v[125:126]
	ds_read_b128 v[99:102], v1 offset:1184
	v_add_f64 v[111:112], v[111:112], v[117:118]
	v_fma_f64 v[117:118], v[105:106], v[131:132], v[182:183]
	v_add_f64 v[2:3], v[2:3], v[115:116]
	s_clause 0x4
	buffer_load_dword v116, off, s[0:3], 0 offset:716
	buffer_load_dword v131, off, s[0:3], 0 offset:728
	buffer_load_dword v176, off, s[0:3], 0 offset:720
	buffer_load_dword v115, off, s[0:3], 0 offset:712
	buffer_load_dword v182, off, s[0:3], 0 offset:692
	ds_read_b128 v[103:106], v1 offset:1200
	s_waitcnt vmcnt(57) lgkmcnt(1)
	v_mul_f64 v[177:178], v[99:100], v[133:134]
	v_mul_f64 v[133:134], v[101:102], v[133:134]
	s_waitcnt vmcnt(56)
	v_fma_f64 v[127:128], v[95:96], v[129:130], -v[127:128]
	v_fma_f64 v[123:124], v[97:98], v[129:130], v[123:124]
	v_add_f64 v[111:112], v[111:112], v[125:126]
	v_add_f64 v[2:3], v[2:3], v[117:118]
	s_clause 0x2
	buffer_load_dword v132, off, s[0:3], 0 offset:732
	buffer_load_dword v118, off, s[0:3], 0 offset:708
	;; [unrolled: 1-line block ×3, first 2 shown]
	s_waitcnt vmcnt(58) lgkmcnt(0)
	v_mul_f64 v[129:130], v[105:106], v[135:136]
	ds_read_b128 v[95:98], v1 offset:1216
	s_waitcnt vmcnt(56)
	v_fma_f64 v[133:134], v[99:100], v[139:140], -v[133:134]
	v_mul_f64 v[125:126], v[103:104], v[135:136]
	v_add_f64 v[111:112], v[111:112], v[127:128]
	v_fma_f64 v[127:128], v[101:102], v[139:140], v[177:178]
	v_add_f64 v[2:3], v[2:3], v[123:124]
	buffer_load_dword v177, off, s[0:3], 0 offset:724
	ds_read_b128 v[99:102], v1 offset:1232
	s_waitcnt vmcnt(53) lgkmcnt(1)
	v_mul_f64 v[135:136], v[97:98], v[141:142]
	s_waitcnt vmcnt(52)
	v_fma_f64 v[129:130], v[103:104], v[137:138], -v[129:130]
	v_mul_f64 v[123:124], v[95:96], v[141:142]
	v_fma_f64 v[125:126], v[105:106], v[137:138], v[125:126]
	ds_read_b128 v[103:106], v1 offset:1248
	v_add_f64 v[111:112], v[111:112], v[133:134]
	v_add_f64 v[2:3], v[2:3], v[127:128]
	s_waitcnt vmcnt(51) lgkmcnt(1)
	v_mul_f64 v[133:134], v[101:102], v[143:144]
	v_mul_f64 v[127:128], v[99:100], v[143:144]
	s_waitcnt vmcnt(49)
	v_fma_f64 v[135:136], v[95:96], v[147:148], -v[135:136]
	v_fma_f64 v[123:124], v[97:98], v[147:148], v[123:124]
	s_waitcnt vmcnt(45) lgkmcnt(0)
	v_mul_f64 v[139:140], v[105:106], v[149:150]
	v_mul_f64 v[137:138], v[103:104], v[149:150]
	v_add_f64 v[111:112], v[111:112], v[129:130]
	v_add_f64 v[2:3], v[2:3], v[125:126]
	s_clause 0x3
	buffer_load_dword v125, off, s[0:3], 0 offset:352
	buffer_load_dword v126, off, s[0:3], 0 offset:356
	;; [unrolled: 1-line block ×4, first 2 shown]
	s_waitcnt vmcnt(48)
	v_fma_f64 v[133:134], v[99:100], v[145:146], -v[133:134]
	ds_read_b128 v[95:98], v1 offset:1264
	v_fma_f64 v[127:128], v[101:102], v[145:146], v[127:128]
	ds_read_b128 v[99:102], v1 offset:1280
	s_waitcnt vmcnt(45)
	v_fma_f64 v[139:140], v[103:104], v[156:157], -v[139:140]
	v_add_f64 v[111:112], v[111:112], v[135:136]
	v_add_f64 v[2:3], v[2:3], v[123:124]
	s_waitcnt lgkmcnt(1)
	v_mul_f64 v[135:136], v[97:98], v[152:153]
	v_mul_f64 v[123:124], v[95:96], v[152:153]
	v_add_f64 v[111:112], v[111:112], v[133:134]
	v_fma_f64 v[133:134], v[105:106], v[156:157], v[137:138]
	v_add_f64 v[2:3], v[2:3], v[127:128]
	s_waitcnt vmcnt(41) lgkmcnt(0)
	v_mul_f64 v[137:138], v[101:102], v[158:159]
	s_waitcnt vmcnt(40)
	v_fma_f64 v[135:136], v[95:96], v[154:155], -v[135:136]
	ds_read_b128 v[103:106], v1 offset:1296
	v_mul_f64 v[127:128], v[99:100], v[158:159]
	v_fma_f64 v[123:124], v[97:98], v[154:155], v[123:124]
	ds_read_b128 v[95:98], v1 offset:1312
	v_add_f64 v[111:112], v[111:112], v[139:140]
	v_add_f64 v[2:3], v[2:3], v[133:134]
	s_waitcnt vmcnt(39) lgkmcnt(1)
	v_mul_f64 v[139:140], v[105:106], v[160:161]
	s_waitcnt vmcnt(37)
	v_fma_f64 v[137:138], v[99:100], v[164:165], -v[137:138]
	v_mul_f64 v[133:134], v[103:104], v[160:161]
	v_fma_f64 v[127:128], v[101:102], v[164:165], v[127:128]
	ds_read_b128 v[99:102], v1 offset:1328
	v_add_f64 v[111:112], v[111:112], v[135:136]
	s_waitcnt vmcnt(33) lgkmcnt(1)
	v_mul_f64 v[135:136], v[97:98], v[168:169]
	v_add_f64 v[2:3], v[2:3], v[123:124]
	s_waitcnt vmcnt(32)
	v_fma_f64 v[139:140], v[103:104], v[162:163], -v[139:140]
	v_mul_f64 v[123:124], v[95:96], v[168:169]
	v_fma_f64 v[133:134], v[105:106], v[162:163], v[133:134]
	ds_read_b128 v[103:106], v1 offset:1344
	v_add_f64 v[111:112], v[111:112], v[137:138]
	v_add_f64 v[2:3], v[2:3], v[127:128]
	s_waitcnt vmcnt(31) lgkmcnt(1)
	v_mul_f64 v[137:138], v[101:102], v[170:171]
	v_mul_f64 v[127:128], v[99:100], v[170:171]
	s_waitcnt vmcnt(29)
	v_fma_f64 v[135:136], v[95:96], v[109:110], -v[135:136]
	v_fma_f64 v[109:110], v[97:98], v[109:110], v[123:124]
	ds_read_b128 v[95:98], v1 offset:1360
	s_waitcnt vmcnt(25) lgkmcnt(1)
	v_mul_f64 v[123:124], v[103:104], v[113:114]
	v_mul_f64 v[113:114], v[105:106], v[113:114]
	v_add_f64 v[111:112], v[111:112], v[139:140]
	v_add_f64 v[2:3], v[2:3], v[133:134]
	s_waitcnt vmcnt(24)
	v_fma_f64 v[133:134], v[99:100], v[172:173], -v[137:138]
	v_fma_f64 v[127:128], v[101:102], v[172:173], v[127:128]
	ds_read_b128 v[99:102], v1 offset:1376
	v_add_f64 v[111:112], v[111:112], v[135:136]
	v_add_f64 v[2:3], v[2:3], v[109:110]
	s_waitcnt vmcnt(23) lgkmcnt(1)
	v_mul_f64 v[135:136], v[97:98], v[174:175]
	v_mul_f64 v[109:110], v[95:96], v[174:175]
	s_waitcnt vmcnt(21)
	v_fma_f64 v[113:114], v[103:104], v[107:108], -v[113:114]
	v_fma_f64 v[107:108], v[105:106], v[107:108], v[123:124]
	ds_read_b128 v[103:106], v1 offset:1392
	v_add_f64 v[111:112], v[111:112], v[133:134]
	v_add_f64 v[2:3], v[2:3], v[127:128]
	s_waitcnt vmcnt(17) lgkmcnt(1)
	v_mul_f64 v[123:124], v[99:100], v[121:122]
	v_mul_f64 v[121:122], v[101:102], v[121:122]
	;; [unrolled: 9-line block ×4, first 2 shown]
	s_waitcnt vmcnt(8)
	v_fma_f64 v[103:104], v[103:104], v[181:182], -v[113:114]
	v_fma_f64 v[105:106], v[105:106], v[181:182], v[107:108]
	v_add_f64 v[111:112], v[111:112], v[121:122]
	v_add_f64 v[2:3], v[2:3], v[119:120]
	s_waitcnt vmcnt(7) lgkmcnt(0)
	v_mul_f64 v[113:114], v[101:102], v[131:132]
	v_mul_f64 v[107:108], v[99:100], v[131:132]
	s_waitcnt vmcnt(5)
	v_fma_f64 v[95:96], v[95:96], v[117:118], -v[115:116]
	v_fma_f64 v[97:98], v[97:98], v[117:118], v[109:110]
	v_add_f64 v[103:104], v[111:112], v[103:104]
	v_add_f64 v[2:3], v[2:3], v[105:106]
	s_waitcnt vmcnt(4)
	v_fma_f64 v[99:100], v[99:100], v[176:177], -v[113:114]
	v_fma_f64 v[101:102], v[101:102], v[176:177], v[107:108]
	v_add_f64 v[95:96], v[103:104], v[95:96]
	v_add_f64 v[2:3], v[2:3], v[97:98]
	;; [unrolled: 1-line block ×4, first 2 shown]
	s_waitcnt vmcnt(2)
	v_add_f64 v[95:96], v[125:126], -v[95:96]
	s_waitcnt vmcnt(0)
	v_add_f64 v[2:3], v[129:130], -v[2:3]
	buffer_store_dword v96, off, s[0:3], 0 offset:356
	buffer_store_dword v95, off, s[0:3], 0 offset:352
	;; [unrolled: 1-line block ×4, first 2 shown]
	v_cmpx_lt_u32_e32 20, v0
	s_cbranch_execz .LBB108_243
; %bb.242:
	v_mov_b32_e32 v2, s37
	s_clause 0x3
	buffer_load_dword v95, v2, s[0:3], 0 offen
	buffer_load_dword v96, v2, s[0:3], 0 offen offset:4
	buffer_load_dword v97, v2, s[0:3], 0 offen offset:8
	;; [unrolled: 1-line block ×3, first 2 shown]
	buffer_store_dword v1, off, s[0:3], 0 offset:336
	buffer_store_dword v1, off, s[0:3], 0 offset:340
	;; [unrolled: 1-line block ×4, first 2 shown]
	s_waitcnt vmcnt(0)
	ds_write_b128 v151, v[95:98]
.LBB108_243:
	s_or_b32 exec_lo, exec_lo, s4
	s_waitcnt lgkmcnt(0)
	s_waitcnt_vscnt null, 0x0
	s_barrier
	buffer_gl0_inv
	s_clause 0x37
	buffer_load_dword v2, off, s[0:3], 0 offset:360
	buffer_load_dword v3, off, s[0:3], 0 offset:364
	;; [unrolled: 1-line block ×56, first 2 shown]
	ds_read_b128 v[95:98], v1 offset:1056
	s_clause 0x2
	buffer_load_dword v161, off, s[0:3], 0 offset:588
	buffer_load_dword v165, off, s[0:3], 0 offset:564
	;; [unrolled: 1-line block ×3, first 2 shown]
	ds_read_b128 v[99:102], v1 offset:1072
	s_clause 0x4
	buffer_load_dword v169, off, s[0:3], 0 offset:604
	buffer_load_dword v170, off, s[0:3], 0 offset:616
	;; [unrolled: 1-line block ×5, first 2 shown]
	ds_read_b128 v[103:106], v1 offset:1088
	s_mov_b32 s4, exec_lo
	s_waitcnt vmcnt(62) lgkmcnt(2)
	v_mul_f64 v[166:167], v[97:98], v[2:3]
	v_mul_f64 v[2:3], v[95:96], v[2:3]
	s_waitcnt vmcnt(60) lgkmcnt(1)
	v_mul_f64 v[173:174], v[101:102], v[107:108]
	v_mul_f64 v[107:108], v[99:100], v[107:108]
	;; [unrolled: 3-line block ×3, first 2 shown]
	v_fma_f64 v[166:167], v[95:96], v[109:110], -v[166:167]
	v_fma_f64 v[2:3], v[97:98], v[109:110], v[2:3]
	s_clause 0x2
	buffer_load_dword v171, off, s[0:3], 0 offset:620
	buffer_load_dword v110, off, s[0:3], 0 offset:596
	;; [unrolled: 1-line block ×3, first 2 shown]
	s_waitcnt vmcnt(57)
	v_fma_f64 v[177:178], v[99:100], v[113:114], -v[173:174]
	ds_read_b128 v[95:98], v1 offset:1104
	v_fma_f64 v[107:108], v[101:102], v[113:114], v[107:108]
	s_clause 0x4
	buffer_load_dword v114, off, s[0:3], 0 offset:636
	buffer_load_dword v174, off, s[0:3], 0 offset:648
	;; [unrolled: 1-line block ×5, first 2 shown]
	s_waitcnt vmcnt(56)
	v_fma_f64 v[111:112], v[103:104], v[121:122], -v[111:112]
	ds_read_b128 v[99:102], v1 offset:1120
	v_fma_f64 v[121:122], v[105:106], v[121:122], v[175:176]
	v_add_f64 v[166:167], v[166:167], 0
	v_add_f64 v[2:3], v[2:3], 0
	s_waitcnt lgkmcnt(1)
	v_mul_f64 v[180:181], v[95:96], v[115:116]
	v_mul_f64 v[115:116], v[97:98], v[115:116]
	v_add_f64 v[166:167], v[166:167], v[177:178]
	v_add_f64 v[2:3], v[2:3], v[107:108]
	s_clause 0x2
	buffer_load_dword v175, off, s[0:3], 0 offset:652
	buffer_load_dword v108, off, s[0:3], 0 offset:628
	;; [unrolled: 1-line block ×3, first 2 shown]
	s_waitcnt vmcnt(58) lgkmcnt(0)
	v_mul_f64 v[176:177], v[99:100], v[117:118]
	v_mul_f64 v[117:118], v[101:102], v[117:118]
	s_waitcnt vmcnt(56)
	v_fma_f64 v[115:116], v[95:96], v[123:124], -v[115:116]
	ds_read_b128 v[103:106], v1 offset:1136
	v_fma_f64 v[123:124], v[97:98], v[123:124], v[180:181]
	v_add_f64 v[111:112], v[166:167], v[111:112]
	v_add_f64 v[2:3], v[2:3], v[121:122]
	s_clause 0x4
	buffer_load_dword v122, off, s[0:3], 0 offset:668
	buffer_load_dword v166, off, s[0:3], 0 offset:680
	;; [unrolled: 1-line block ×5, first 2 shown]
	ds_read_b128 v[95:98], v1 offset:1152
	s_waitcnt vmcnt(57) lgkmcnt(1)
	v_mul_f64 v[182:183], v[103:104], v[125:126]
	v_mul_f64 v[125:126], v[105:106], v[125:126]
	s_waitcnt vmcnt(56)
	v_fma_f64 v[117:118], v[99:100], v[119:120], -v[117:118]
	v_add_f64 v[111:112], v[111:112], v[115:116]
	v_fma_f64 v[115:116], v[101:102], v[119:120], v[176:177]
	v_add_f64 v[2:3], v[2:3], v[123:124]
	s_clause 0x2
	buffer_load_dword v167, off, s[0:3], 0 offset:684
	buffer_load_dword v120, off, s[0:3], 0 offset:660
	;; [unrolled: 1-line block ×3, first 2 shown]
	s_waitcnt vmcnt(58) lgkmcnt(0)
	v_mul_f64 v[123:124], v[95:96], v[127:128]
	v_mul_f64 v[127:128], v[97:98], v[127:128]
	s_waitcnt vmcnt(56)
	v_fma_f64 v[125:126], v[103:104], v[131:132], -v[125:126]
	ds_read_b128 v[99:102], v1 offset:1168
	v_add_f64 v[111:112], v[111:112], v[117:118]
	v_fma_f64 v[117:118], v[105:106], v[131:132], v[182:183]
	v_add_f64 v[2:3], v[2:3], v[115:116]
	s_clause 0x4
	buffer_load_dword v116, off, s[0:3], 0 offset:700
	buffer_load_dword v131, off, s[0:3], 0 offset:712
	buffer_load_dword v176, off, s[0:3], 0 offset:704
	buffer_load_dword v115, off, s[0:3], 0 offset:696
	buffer_load_dword v182, off, s[0:3], 0 offset:676
	ds_read_b128 v[103:106], v1 offset:1184
	s_waitcnt vmcnt(57) lgkmcnt(1)
	v_mul_f64 v[177:178], v[99:100], v[133:134]
	v_mul_f64 v[133:134], v[101:102], v[133:134]
	s_waitcnt vmcnt(56)
	v_fma_f64 v[127:128], v[95:96], v[129:130], -v[127:128]
	v_fma_f64 v[123:124], v[97:98], v[129:130], v[123:124]
	v_add_f64 v[111:112], v[111:112], v[125:126]
	v_add_f64 v[2:3], v[2:3], v[117:118]
	s_clause 0x2
	buffer_load_dword v132, off, s[0:3], 0 offset:716
	buffer_load_dword v118, off, s[0:3], 0 offset:692
	;; [unrolled: 1-line block ×3, first 2 shown]
	s_waitcnt vmcnt(58) lgkmcnt(0)
	v_mul_f64 v[129:130], v[105:106], v[135:136]
	ds_read_b128 v[95:98], v1 offset:1200
	s_waitcnt vmcnt(56)
	v_fma_f64 v[133:134], v[99:100], v[139:140], -v[133:134]
	v_mul_f64 v[125:126], v[103:104], v[135:136]
	v_add_f64 v[111:112], v[111:112], v[127:128]
	v_fma_f64 v[127:128], v[101:102], v[139:140], v[177:178]
	v_add_f64 v[2:3], v[2:3], v[123:124]
	s_clause 0x2
	buffer_load_dword v124, off, s[0:3], 0 offset:732
	buffer_load_dword v123, off, s[0:3], 0 offset:728
	;; [unrolled: 1-line block ×3, first 2 shown]
	s_waitcnt vmcnt(55) lgkmcnt(0)
	v_mul_f64 v[139:140], v[97:98], v[141:142]
	s_waitcnt vmcnt(54)
	v_fma_f64 v[129:130], v[103:104], v[137:138], -v[129:130]
	ds_read_b128 v[99:102], v1 offset:1216
	v_mul_f64 v[135:136], v[95:96], v[141:142]
	v_fma_f64 v[125:126], v[105:106], v[137:138], v[125:126]
	v_add_f64 v[111:112], v[111:112], v[133:134]
	v_add_f64 v[2:3], v[2:3], v[127:128]
	s_clause 0x1
	buffer_load_dword v128, off, s[0:3], 0 offset:724
	buffer_load_dword v127, off, s[0:3], 0 offset:720
	s_waitcnt vmcnt(55) lgkmcnt(0)
	v_mul_f64 v[137:138], v[101:102], v[143:144]
	s_waitcnt vmcnt(53)
	v_fma_f64 v[139:140], v[95:96], v[147:148], -v[139:140]
	ds_read_b128 v[103:106], v1 offset:1232
	v_mul_f64 v[133:134], v[99:100], v[143:144]
	v_add_f64 v[111:112], v[111:112], v[129:130]
	v_fma_f64 v[129:130], v[97:98], v[147:148], v[135:136]
	v_add_f64 v[2:3], v[2:3], v[125:126]
	ds_read_b128 v[95:98], v1 offset:1248
	s_waitcnt vmcnt(49) lgkmcnt(1)
	v_mul_f64 v[135:136], v[105:106], v[149:150]
	s_waitcnt vmcnt(48)
	v_fma_f64 v[137:138], v[99:100], v[145:146], -v[137:138]
	v_mul_f64 v[125:126], v[103:104], v[149:150]
	v_fma_f64 v[133:134], v[101:102], v[145:146], v[133:134]
	v_add_f64 v[111:112], v[111:112], v[139:140]
	s_waitcnt vmcnt(47) lgkmcnt(0)
	v_mul_f64 v[143:144], v[97:98], v[152:153]
	v_add_f64 v[2:3], v[2:3], v[129:130]
	s_clause 0x3
	buffer_load_dword v129, off, s[0:3], 0 offset:336
	buffer_load_dword v130, off, s[0:3], 0 offset:340
	;; [unrolled: 1-line block ×4, first 2 shown]
	s_waitcnt vmcnt(49)
	v_fma_f64 v[135:136], v[103:104], v[156:157], -v[135:136]
	ds_read_b128 v[99:102], v1 offset:1264
	v_mul_f64 v[141:142], v[95:96], v[152:153]
	v_fma_f64 v[125:126], v[105:106], v[156:157], v[125:126]
	ds_read_b128 v[103:106], v1 offset:1280
	v_add_f64 v[111:112], v[111:112], v[137:138]
	s_waitcnt vmcnt(44)
	v_fma_f64 v[143:144], v[95:96], v[154:155], -v[143:144]
	v_add_f64 v[2:3], v[2:3], v[133:134]
	s_waitcnt lgkmcnt(1)
	v_mul_f64 v[137:138], v[101:102], v[158:159]
	v_mul_f64 v[133:134], v[99:100], v[158:159]
	v_add_f64 v[111:112], v[111:112], v[135:136]
	v_fma_f64 v[135:136], v[97:98], v[154:155], v[141:142]
	v_add_f64 v[2:3], v[2:3], v[125:126]
	s_waitcnt vmcnt(43) lgkmcnt(0)
	v_mul_f64 v[141:142], v[105:106], v[160:161]
	s_waitcnt vmcnt(41)
	v_fma_f64 v[137:138], v[99:100], v[164:165], -v[137:138]
	ds_read_b128 v[95:98], v1 offset:1296
	v_mul_f64 v[125:126], v[103:104], v[160:161]
	v_fma_f64 v[133:134], v[101:102], v[164:165], v[133:134]
	ds_read_b128 v[99:102], v1 offset:1312
	v_add_f64 v[111:112], v[111:112], v[143:144]
	v_add_f64 v[2:3], v[2:3], v[135:136]
	s_waitcnt vmcnt(37) lgkmcnt(1)
	v_mul_f64 v[143:144], v[97:98], v[168:169]
	s_waitcnt vmcnt(36)
	v_fma_f64 v[141:142], v[103:104], v[162:163], -v[141:142]
	v_mul_f64 v[135:136], v[95:96], v[168:169]
	v_fma_f64 v[125:126], v[105:106], v[162:163], v[125:126]
	ds_read_b128 v[103:106], v1 offset:1328
	v_add_f64 v[111:112], v[111:112], v[137:138]
	v_add_f64 v[2:3], v[2:3], v[133:134]
	s_waitcnt vmcnt(35) lgkmcnt(1)
	v_mul_f64 v[137:138], v[101:102], v[170:171]
	v_mul_f64 v[133:134], v[99:100], v[170:171]
	s_waitcnt vmcnt(33)
	v_fma_f64 v[143:144], v[95:96], v[109:110], -v[143:144]
	v_fma_f64 v[109:110], v[97:98], v[109:110], v[135:136]
	ds_read_b128 v[95:98], v1 offset:1344
	v_add_f64 v[111:112], v[111:112], v[141:142]
	v_add_f64 v[2:3], v[2:3], v[125:126]
	s_waitcnt vmcnt(29) lgkmcnt(1)
	v_mul_f64 v[125:126], v[103:104], v[113:114]
	v_mul_f64 v[113:114], v[105:106], v[113:114]
	s_waitcnt vmcnt(28)
	v_fma_f64 v[135:136], v[99:100], v[172:173], -v[137:138]
	;; [unrolled: 9-line block ×6, first 2 shown]
	v_fma_f64 v[105:106], v[105:106], v[181:182], v[107:108]
	v_add_f64 v[111:112], v[111:112], v[121:122]
	v_add_f64 v[107:108], v[2:3], v[119:120]
	ds_read_b128 v[1:4], v1 offset:1424
	s_waitcnt vmcnt(11) lgkmcnt(1)
	v_mul_f64 v[119:120], v[101:102], v[131:132]
	v_mul_f64 v[113:114], v[99:100], v[131:132]
	s_waitcnt vmcnt(9)
	v_fma_f64 v[95:96], v[95:96], v[117:118], -v[115:116]
	v_fma_f64 v[97:98], v[97:98], v[117:118], v[109:110]
	v_add_f64 v[103:104], v[111:112], v[103:104]
	v_add_f64 v[105:106], v[107:108], v[105:106]
	s_waitcnt vmcnt(7) lgkmcnt(0)
	v_mul_f64 v[109:110], v[3:4], v[123:124]
	s_waitcnt vmcnt(6)
	v_fma_f64 v[99:100], v[99:100], v[176:177], -v[119:120]
	v_mul_f64 v[107:108], v[1:2], v[123:124]
	v_fma_f64 v[101:102], v[101:102], v[176:177], v[113:114]
	v_add_f64 v[95:96], v[103:104], v[95:96]
	v_add_f64 v[97:98], v[105:106], v[97:98]
	s_waitcnt vmcnt(4)
	v_fma_f64 v[1:2], v[1:2], v[127:128], -v[109:110]
	v_fma_f64 v[3:4], v[3:4], v[127:128], v[107:108]
	v_add_f64 v[95:96], v[95:96], v[99:100]
	v_add_f64 v[97:98], v[97:98], v[101:102]
	;; [unrolled: 1-line block ×4, first 2 shown]
	s_waitcnt vmcnt(2)
	v_add_f64 v[1:2], v[129:130], -v[1:2]
	s_waitcnt vmcnt(0)
	v_add_f64 v[3:4], v[139:140], -v[3:4]
	buffer_store_dword v2, off, s[0:3], 0 offset:340
	buffer_store_dword v1, off, s[0:3], 0 offset:336
	;; [unrolled: 1-line block ×4, first 2 shown]
	v_cmpx_lt_u32_e32 19, v0
	s_cbranch_execz .LBB108_245
; %bb.244:
	v_mov_b32_e32 v4, s38
	v_mov_b32_e32 v95, 0
	s_clause 0x3
	buffer_load_dword v1, v4, s[0:3], 0 offen
	buffer_load_dword v2, v4, s[0:3], 0 offen offset:4
	buffer_load_dword v3, v4, s[0:3], 0 offen offset:8
	;; [unrolled: 1-line block ×3, first 2 shown]
	buffer_store_dword v95, off, s[0:3], 0 offset:320
	buffer_store_dword v95, off, s[0:3], 0 offset:324
	;; [unrolled: 1-line block ×4, first 2 shown]
	s_waitcnt vmcnt(0)
	ds_write_b128 v151, v[1:4]
.LBB108_245:
	s_or_b32 exec_lo, exec_lo, s4
	s_waitcnt lgkmcnt(0)
	s_waitcnt_vscnt null, 0x0
	s_barrier
	buffer_gl0_inv
	s_clause 0x37
	buffer_load_dword v2, off, s[0:3], 0 offset:344
	buffer_load_dword v3, off, s[0:3], 0 offset:348
	;; [unrolled: 1-line block ×56, first 2 shown]
	v_mov_b32_e32 v1, 0
	s_mov_b32 s4, exec_lo
	ds_read_b128 v[95:98], v1 offset:1040
	s_clause 0x2
	buffer_load_dword v161, off, s[0:3], 0 offset:572
	buffer_load_dword v165, off, s[0:3], 0 offset:548
	;; [unrolled: 1-line block ×3, first 2 shown]
	ds_read_b128 v[99:102], v1 offset:1056
	s_clause 0x4
	buffer_load_dword v169, off, s[0:3], 0 offset:588
	buffer_load_dword v170, off, s[0:3], 0 offset:600
	;; [unrolled: 1-line block ×5, first 2 shown]
	ds_read_b128 v[103:106], v1 offset:1072
	s_waitcnt vmcnt(62) lgkmcnt(2)
	v_mul_f64 v[166:167], v[97:98], v[2:3]
	v_mul_f64 v[2:3], v[95:96], v[2:3]
	s_waitcnt vmcnt(60) lgkmcnt(1)
	v_mul_f64 v[173:174], v[101:102], v[107:108]
	v_mul_f64 v[107:108], v[99:100], v[107:108]
	;; [unrolled: 3-line block ×3, first 2 shown]
	v_fma_f64 v[166:167], v[95:96], v[109:110], -v[166:167]
	v_fma_f64 v[2:3], v[97:98], v[109:110], v[2:3]
	s_clause 0x2
	buffer_load_dword v171, off, s[0:3], 0 offset:604
	buffer_load_dword v110, off, s[0:3], 0 offset:580
	;; [unrolled: 1-line block ×3, first 2 shown]
	s_waitcnt vmcnt(57)
	v_fma_f64 v[177:178], v[99:100], v[113:114], -v[173:174]
	ds_read_b128 v[95:98], v1 offset:1088
	v_fma_f64 v[107:108], v[101:102], v[113:114], v[107:108]
	s_clause 0x4
	buffer_load_dword v114, off, s[0:3], 0 offset:620
	buffer_load_dword v174, off, s[0:3], 0 offset:632
	;; [unrolled: 1-line block ×5, first 2 shown]
	s_waitcnt vmcnt(56)
	v_fma_f64 v[111:112], v[103:104], v[121:122], -v[111:112]
	ds_read_b128 v[99:102], v1 offset:1104
	v_fma_f64 v[121:122], v[105:106], v[121:122], v[175:176]
	v_add_f64 v[166:167], v[166:167], 0
	v_add_f64 v[2:3], v[2:3], 0
	s_waitcnt lgkmcnt(1)
	v_mul_f64 v[180:181], v[95:96], v[115:116]
	v_mul_f64 v[115:116], v[97:98], v[115:116]
	v_add_f64 v[166:167], v[166:167], v[177:178]
	v_add_f64 v[2:3], v[2:3], v[107:108]
	s_clause 0x2
	buffer_load_dword v175, off, s[0:3], 0 offset:636
	buffer_load_dword v108, off, s[0:3], 0 offset:612
	;; [unrolled: 1-line block ×3, first 2 shown]
	s_waitcnt vmcnt(58) lgkmcnt(0)
	v_mul_f64 v[176:177], v[99:100], v[117:118]
	v_mul_f64 v[117:118], v[101:102], v[117:118]
	s_waitcnt vmcnt(56)
	v_fma_f64 v[115:116], v[95:96], v[123:124], -v[115:116]
	ds_read_b128 v[103:106], v1 offset:1120
	v_fma_f64 v[123:124], v[97:98], v[123:124], v[180:181]
	v_add_f64 v[111:112], v[166:167], v[111:112]
	v_add_f64 v[2:3], v[2:3], v[121:122]
	s_clause 0x4
	buffer_load_dword v122, off, s[0:3], 0 offset:652
	buffer_load_dword v166, off, s[0:3], 0 offset:664
	;; [unrolled: 1-line block ×5, first 2 shown]
	ds_read_b128 v[95:98], v1 offset:1136
	s_waitcnt vmcnt(57) lgkmcnt(1)
	v_mul_f64 v[182:183], v[103:104], v[125:126]
	v_mul_f64 v[125:126], v[105:106], v[125:126]
	s_waitcnt vmcnt(56)
	v_fma_f64 v[117:118], v[99:100], v[119:120], -v[117:118]
	v_add_f64 v[111:112], v[111:112], v[115:116]
	v_fma_f64 v[115:116], v[101:102], v[119:120], v[176:177]
	v_add_f64 v[2:3], v[2:3], v[123:124]
	s_clause 0x2
	buffer_load_dword v167, off, s[0:3], 0 offset:668
	buffer_load_dword v120, off, s[0:3], 0 offset:644
	;; [unrolled: 1-line block ×3, first 2 shown]
	s_waitcnt vmcnt(58) lgkmcnt(0)
	v_mul_f64 v[123:124], v[95:96], v[127:128]
	v_mul_f64 v[127:128], v[97:98], v[127:128]
	s_waitcnt vmcnt(56)
	v_fma_f64 v[125:126], v[103:104], v[131:132], -v[125:126]
	ds_read_b128 v[99:102], v1 offset:1152
	v_add_f64 v[111:112], v[111:112], v[117:118]
	v_fma_f64 v[117:118], v[105:106], v[131:132], v[182:183]
	v_add_f64 v[2:3], v[2:3], v[115:116]
	s_clause 0x4
	buffer_load_dword v116, off, s[0:3], 0 offset:684
	buffer_load_dword v131, off, s[0:3], 0 offset:696
	;; [unrolled: 1-line block ×5, first 2 shown]
	ds_read_b128 v[103:106], v1 offset:1168
	s_waitcnt vmcnt(57) lgkmcnt(1)
	v_mul_f64 v[177:178], v[99:100], v[133:134]
	v_mul_f64 v[133:134], v[101:102], v[133:134]
	s_waitcnt vmcnt(56)
	v_fma_f64 v[127:128], v[95:96], v[129:130], -v[127:128]
	v_fma_f64 v[123:124], v[97:98], v[129:130], v[123:124]
	v_add_f64 v[111:112], v[111:112], v[125:126]
	v_add_f64 v[2:3], v[2:3], v[117:118]
	s_clause 0x2
	buffer_load_dword v132, off, s[0:3], 0 offset:700
	buffer_load_dword v118, off, s[0:3], 0 offset:676
	;; [unrolled: 1-line block ×3, first 2 shown]
	s_waitcnt vmcnt(58) lgkmcnt(0)
	v_mul_f64 v[129:130], v[105:106], v[135:136]
	ds_read_b128 v[95:98], v1 offset:1184
	s_waitcnt vmcnt(56)
	v_fma_f64 v[133:134], v[99:100], v[139:140], -v[133:134]
	v_mul_f64 v[125:126], v[103:104], v[135:136]
	v_add_f64 v[111:112], v[111:112], v[127:128]
	v_fma_f64 v[127:128], v[101:102], v[139:140], v[177:178]
	v_add_f64 v[2:3], v[2:3], v[123:124]
	s_clause 0x4
	buffer_load_dword v124, off, s[0:3], 0 offset:716
	buffer_load_dword v135, off, s[0:3], 0 offset:728
	;; [unrolled: 1-line block ×5, first 2 shown]
	s_waitcnt vmcnt(57) lgkmcnt(0)
	v_mul_f64 v[183:184], v[95:96], v[141:142]
	v_mul_f64 v[140:141], v[97:98], v[141:142]
	s_waitcnt vmcnt(56)
	v_fma_f64 v[129:130], v[103:104], v[137:138], -v[129:130]
	ds_read_b128 v[99:102], v1 offset:1200
	v_fma_f64 v[125:126], v[105:106], v[137:138], v[125:126]
	v_add_f64 v[111:112], v[111:112], v[133:134]
	v_add_f64 v[2:3], v[2:3], v[127:128]
	s_clause 0x2
	buffer_load_dword v136, off, s[0:3], 0 offset:732
	buffer_load_dword v128, off, s[0:3], 0 offset:708
	;; [unrolled: 1-line block ×3, first 2 shown]
	ds_read_b128 v[103:106], v1 offset:1216
	s_waitcnt vmcnt(58) lgkmcnt(1)
	v_mul_f64 v[137:138], v[101:102], v[143:144]
	s_waitcnt vmcnt(56)
	v_fma_f64 v[141:142], v[95:96], v[147:148], -v[140:141]
	v_mul_f64 v[133:134], v[99:100], v[143:144]
	buffer_load_dword v140, off, s[0:3], 0 offset:724
	v_add_f64 v[111:112], v[111:112], v[129:130]
	v_fma_f64 v[129:130], v[97:98], v[147:148], v[183:184]
	v_add_f64 v[2:3], v[2:3], v[125:126]
	ds_read_b128 v[95:98], v1 offset:1232
	s_waitcnt vmcnt(53) lgkmcnt(1)
	v_mul_f64 v[143:144], v[105:106], v[149:150]
	s_waitcnt vmcnt(52)
	v_fma_f64 v[137:138], v[99:100], v[145:146], -v[137:138]
	v_mul_f64 v[125:126], v[103:104], v[149:150]
	v_fma_f64 v[133:134], v[101:102], v[145:146], v[133:134]
	ds_read_b128 v[99:102], v1 offset:1248
	v_add_f64 v[111:112], v[111:112], v[141:142]
	s_waitcnt vmcnt(51) lgkmcnt(1)
	v_mul_f64 v[141:142], v[97:98], v[152:153]
	v_add_f64 v[2:3], v[2:3], v[129:130]
	v_mul_f64 v[129:130], v[95:96], v[152:153]
	s_waitcnt vmcnt(49)
	v_fma_f64 v[143:144], v[103:104], v[156:157], -v[143:144]
	v_fma_f64 v[125:126], v[105:106], v[156:157], v[125:126]
	s_waitcnt vmcnt(45) lgkmcnt(0)
	v_mul_f64 v[147:148], v[101:102], v[158:159]
	v_mul_f64 v[145:146], v[99:100], v[158:159]
	v_add_f64 v[111:112], v[111:112], v[137:138]
	s_waitcnt vmcnt(44)
	v_fma_f64 v[141:142], v[95:96], v[154:155], -v[141:142]
	v_add_f64 v[2:3], v[2:3], v[133:134]
	s_clause 0x3
	buffer_load_dword v133, off, s[0:3], 0 offset:320
	buffer_load_dword v134, off, s[0:3], 0 offset:324
	;; [unrolled: 1-line block ×4, first 2 shown]
	ds_read_b128 v[103:106], v1 offset:1264
	v_fma_f64 v[129:130], v[97:98], v[154:155], v[129:130]
	ds_read_b128 v[95:98], v1 offset:1280
	s_waitcnt vmcnt(45)
	v_fma_f64 v[147:148], v[99:100], v[164:165], -v[147:148]
	v_add_f64 v[111:112], v[111:112], v[143:144]
	v_add_f64 v[2:3], v[2:3], v[125:126]
	s_waitcnt lgkmcnt(1)
	v_mul_f64 v[143:144], v[105:106], v[160:161]
	v_mul_f64 v[125:126], v[103:104], v[160:161]
	v_add_f64 v[111:112], v[111:112], v[141:142]
	v_fma_f64 v[141:142], v[101:102], v[164:165], v[145:146]
	v_add_f64 v[2:3], v[2:3], v[129:130]
	s_waitcnt vmcnt(41) lgkmcnt(0)
	v_mul_f64 v[145:146], v[97:98], v[168:169]
	s_waitcnt vmcnt(40)
	v_fma_f64 v[143:144], v[103:104], v[162:163], -v[143:144]
	ds_read_b128 v[99:102], v1 offset:1296
	v_mul_f64 v[129:130], v[95:96], v[168:169]
	v_fma_f64 v[125:126], v[105:106], v[162:163], v[125:126]
	ds_read_b128 v[103:106], v1 offset:1312
	v_add_f64 v[111:112], v[111:112], v[147:148]
	v_add_f64 v[2:3], v[2:3], v[141:142]
	s_waitcnt vmcnt(39) lgkmcnt(1)
	v_mul_f64 v[147:148], v[101:102], v[170:171]
	v_mul_f64 v[141:142], v[99:100], v[170:171]
	s_waitcnt vmcnt(37)
	v_fma_f64 v[145:146], v[95:96], v[109:110], -v[145:146]
	v_fma_f64 v[109:110], v[97:98], v[109:110], v[129:130]
	ds_read_b128 v[95:98], v1 offset:1328
	v_add_f64 v[111:112], v[111:112], v[143:144]
	v_add_f64 v[2:3], v[2:3], v[125:126]
	s_waitcnt vmcnt(33) lgkmcnt(1)
	v_mul_f64 v[125:126], v[103:104], v[113:114]
	v_mul_f64 v[113:114], v[105:106], v[113:114]
	s_waitcnt vmcnt(32)
	v_fma_f64 v[129:130], v[99:100], v[172:173], -v[147:148]
	v_fma_f64 v[141:142], v[101:102], v[172:173], v[141:142]
	ds_read_b128 v[99:102], v1 offset:1344
	v_add_f64 v[111:112], v[111:112], v[145:146]
	v_add_f64 v[2:3], v[2:3], v[109:110]
	s_waitcnt vmcnt(31) lgkmcnt(1)
	v_mul_f64 v[143:144], v[97:98], v[174:175]
	v_mul_f64 v[109:110], v[95:96], v[174:175]
	s_waitcnt vmcnt(29)
	v_fma_f64 v[113:114], v[103:104], v[107:108], -v[113:114]
	v_fma_f64 v[107:108], v[105:106], v[107:108], v[125:126]
	ds_read_b128 v[103:106], v1 offset:1360
	v_add_f64 v[111:112], v[111:112], v[129:130]
	v_add_f64 v[2:3], v[2:3], v[141:142]
	s_waitcnt vmcnt(25) lgkmcnt(1)
	v_mul_f64 v[125:126], v[99:100], v[121:122]
	v_mul_f64 v[121:122], v[101:102], v[121:122]
	s_waitcnt vmcnt(24)
	v_fma_f64 v[129:130], v[95:96], v[179:180], -v[143:144]
	v_fma_f64 v[109:110], v[97:98], v[179:180], v[109:110]
	ds_read_b128 v[95:98], v1 offset:1376
	v_add_f64 v[111:112], v[111:112], v[113:114]
	v_add_f64 v[2:3], v[2:3], v[107:108]
	s_waitcnt vmcnt(23) lgkmcnt(1)
	v_mul_f64 v[113:114], v[105:106], v[166:167]
	v_mul_f64 v[107:108], v[103:104], v[166:167]
	s_waitcnt vmcnt(21)
	v_fma_f64 v[121:122], v[99:100], v[119:120], -v[121:122]
	v_fma_f64 v[119:120], v[101:102], v[119:120], v[125:126]
	ds_read_b128 v[99:102], v1 offset:1392
	v_add_f64 v[111:112], v[111:112], v[129:130]
	v_add_f64 v[2:3], v[2:3], v[109:110]
	s_waitcnt vmcnt(17) lgkmcnt(1)
	v_mul_f64 v[109:110], v[95:96], v[115:116]
	v_mul_f64 v[115:116], v[97:98], v[115:116]
	s_waitcnt vmcnt(16)
	v_fma_f64 v[113:114], v[103:104], v[181:182], -v[113:114]
	v_fma_f64 v[107:108], v[105:106], v[181:182], v[107:108]
	ds_read_b128 v[103:106], v1 offset:1408
	v_add_f64 v[111:112], v[111:112], v[121:122]
	v_add_f64 v[2:3], v[2:3], v[119:120]
	s_waitcnt vmcnt(15) lgkmcnt(1)
	v_mul_f64 v[121:122], v[101:102], v[131:132]
	v_mul_f64 v[119:120], v[99:100], v[131:132]
	s_waitcnt vmcnt(13)
	v_fma_f64 v[115:116], v[95:96], v[117:118], -v[115:116]
	v_fma_f64 v[109:110], v[97:98], v[117:118], v[109:110]
	ds_read_b128 v[95:98], v1 offset:1424
	v_add_f64 v[111:112], v[111:112], v[113:114]
	v_add_f64 v[2:3], v[2:3], v[107:108]
	s_waitcnt vmcnt(9) lgkmcnt(1)
	v_mul_f64 v[113:114], v[105:106], v[123:124]
	s_waitcnt vmcnt(8)
	v_fma_f64 v[99:100], v[99:100], v[176:177], -v[121:122]
	v_mul_f64 v[107:108], v[103:104], v[123:124]
	v_fma_f64 v[101:102], v[101:102], v[176:177], v[119:120]
	v_add_f64 v[111:112], v[111:112], v[115:116]
	v_add_f64 v[2:3], v[2:3], v[109:110]
	s_waitcnt vmcnt(7) lgkmcnt(0)
	v_mul_f64 v[115:116], v[97:98], v[135:136]
	v_mul_f64 v[109:110], v[95:96], v[135:136]
	s_waitcnt vmcnt(5)
	v_fma_f64 v[103:104], v[103:104], v[127:128], -v[113:114]
	v_fma_f64 v[105:106], v[105:106], v[127:128], v[107:108]
	v_add_f64 v[99:100], v[111:112], v[99:100]
	v_add_f64 v[2:3], v[2:3], v[101:102]
	s_waitcnt vmcnt(4)
	v_fma_f64 v[95:96], v[95:96], v[139:140], -v[115:116]
	v_fma_f64 v[97:98], v[97:98], v[139:140], v[109:110]
	v_add_f64 v[99:100], v[99:100], v[103:104]
	v_add_f64 v[2:3], v[2:3], v[105:106]
	;; [unrolled: 1-line block ×4, first 2 shown]
	s_waitcnt vmcnt(2)
	v_add_f64 v[95:96], v[133:134], -v[95:96]
	s_waitcnt vmcnt(0)
	v_add_f64 v[2:3], v[137:138], -v[2:3]
	buffer_store_dword v96, off, s[0:3], 0 offset:324
	buffer_store_dword v95, off, s[0:3], 0 offset:320
	;; [unrolled: 1-line block ×4, first 2 shown]
	v_cmpx_lt_u32_e32 18, v0
	s_cbranch_execz .LBB108_247
; %bb.246:
	v_mov_b32_e32 v2, s39
	s_clause 0x3
	buffer_load_dword v95, v2, s[0:3], 0 offen
	buffer_load_dword v96, v2, s[0:3], 0 offen offset:4
	buffer_load_dword v97, v2, s[0:3], 0 offen offset:8
	;; [unrolled: 1-line block ×3, first 2 shown]
	buffer_store_dword v1, off, s[0:3], 0 offset:304
	buffer_store_dword v1, off, s[0:3], 0 offset:308
	;; [unrolled: 1-line block ×4, first 2 shown]
	s_waitcnt vmcnt(0)
	ds_write_b128 v151, v[95:98]
.LBB108_247:
	s_or_b32 exec_lo, exec_lo, s4
	s_waitcnt lgkmcnt(0)
	s_waitcnt_vscnt null, 0x0
	s_barrier
	buffer_gl0_inv
	s_clause 0x37
	buffer_load_dword v2, off, s[0:3], 0 offset:328
	buffer_load_dword v3, off, s[0:3], 0 offset:332
	;; [unrolled: 1-line block ×56, first 2 shown]
	ds_read_b128 v[95:98], v1 offset:1024
	s_clause 0x2
	buffer_load_dword v161, off, s[0:3], 0 offset:556
	buffer_load_dword v165, off, s[0:3], 0 offset:532
	;; [unrolled: 1-line block ×3, first 2 shown]
	ds_read_b128 v[99:102], v1 offset:1040
	s_clause 0x4
	buffer_load_dword v169, off, s[0:3], 0 offset:572
	buffer_load_dword v170, off, s[0:3], 0 offset:584
	;; [unrolled: 1-line block ×5, first 2 shown]
	ds_read_b128 v[103:106], v1 offset:1056
	s_mov_b32 s4, exec_lo
	s_waitcnt vmcnt(62) lgkmcnt(2)
	v_mul_f64 v[166:167], v[97:98], v[2:3]
	v_mul_f64 v[2:3], v[95:96], v[2:3]
	s_waitcnt vmcnt(60) lgkmcnt(1)
	v_mul_f64 v[173:174], v[101:102], v[107:108]
	v_mul_f64 v[107:108], v[99:100], v[107:108]
	;; [unrolled: 3-line block ×3, first 2 shown]
	v_fma_f64 v[166:167], v[95:96], v[109:110], -v[166:167]
	v_fma_f64 v[2:3], v[97:98], v[109:110], v[2:3]
	s_clause 0x2
	buffer_load_dword v171, off, s[0:3], 0 offset:588
	buffer_load_dword v110, off, s[0:3], 0 offset:564
	;; [unrolled: 1-line block ×3, first 2 shown]
	s_waitcnt vmcnt(57)
	v_fma_f64 v[177:178], v[99:100], v[113:114], -v[173:174]
	ds_read_b128 v[95:98], v1 offset:1072
	v_fma_f64 v[107:108], v[101:102], v[113:114], v[107:108]
	s_clause 0x4
	buffer_load_dword v114, off, s[0:3], 0 offset:604
	buffer_load_dword v174, off, s[0:3], 0 offset:616
	;; [unrolled: 1-line block ×5, first 2 shown]
	s_waitcnt vmcnt(56)
	v_fma_f64 v[111:112], v[103:104], v[121:122], -v[111:112]
	ds_read_b128 v[99:102], v1 offset:1088
	v_fma_f64 v[121:122], v[105:106], v[121:122], v[175:176]
	v_add_f64 v[166:167], v[166:167], 0
	v_add_f64 v[2:3], v[2:3], 0
	s_waitcnt lgkmcnt(1)
	v_mul_f64 v[180:181], v[95:96], v[115:116]
	v_mul_f64 v[115:116], v[97:98], v[115:116]
	v_add_f64 v[166:167], v[166:167], v[177:178]
	v_add_f64 v[2:3], v[2:3], v[107:108]
	s_clause 0x2
	buffer_load_dword v175, off, s[0:3], 0 offset:620
	buffer_load_dword v108, off, s[0:3], 0 offset:596
	;; [unrolled: 1-line block ×3, first 2 shown]
	s_waitcnt vmcnt(58) lgkmcnt(0)
	v_mul_f64 v[176:177], v[99:100], v[117:118]
	v_mul_f64 v[117:118], v[101:102], v[117:118]
	s_waitcnt vmcnt(56)
	v_fma_f64 v[115:116], v[95:96], v[123:124], -v[115:116]
	ds_read_b128 v[103:106], v1 offset:1104
	v_fma_f64 v[123:124], v[97:98], v[123:124], v[180:181]
	v_add_f64 v[111:112], v[166:167], v[111:112]
	v_add_f64 v[2:3], v[2:3], v[121:122]
	s_clause 0x4
	buffer_load_dword v122, off, s[0:3], 0 offset:636
	buffer_load_dword v166, off, s[0:3], 0 offset:648
	;; [unrolled: 1-line block ×5, first 2 shown]
	ds_read_b128 v[95:98], v1 offset:1120
	s_waitcnt vmcnt(57) lgkmcnt(1)
	v_mul_f64 v[182:183], v[103:104], v[125:126]
	v_mul_f64 v[125:126], v[105:106], v[125:126]
	s_waitcnt vmcnt(56)
	v_fma_f64 v[117:118], v[99:100], v[119:120], -v[117:118]
	v_add_f64 v[111:112], v[111:112], v[115:116]
	v_fma_f64 v[115:116], v[101:102], v[119:120], v[176:177]
	v_add_f64 v[2:3], v[2:3], v[123:124]
	s_clause 0x2
	buffer_load_dword v167, off, s[0:3], 0 offset:652
	buffer_load_dword v120, off, s[0:3], 0 offset:628
	;; [unrolled: 1-line block ×3, first 2 shown]
	s_waitcnt vmcnt(58) lgkmcnt(0)
	v_mul_f64 v[123:124], v[95:96], v[127:128]
	v_mul_f64 v[127:128], v[97:98], v[127:128]
	s_waitcnt vmcnt(56)
	v_fma_f64 v[125:126], v[103:104], v[131:132], -v[125:126]
	ds_read_b128 v[99:102], v1 offset:1136
	v_add_f64 v[111:112], v[111:112], v[117:118]
	v_fma_f64 v[117:118], v[105:106], v[131:132], v[182:183]
	v_add_f64 v[2:3], v[2:3], v[115:116]
	s_clause 0x4
	buffer_load_dword v116, off, s[0:3], 0 offset:668
	buffer_load_dword v131, off, s[0:3], 0 offset:680
	buffer_load_dword v176, off, s[0:3], 0 offset:672
	buffer_load_dword v115, off, s[0:3], 0 offset:664
	buffer_load_dword v182, off, s[0:3], 0 offset:644
	ds_read_b128 v[103:106], v1 offset:1152
	s_waitcnt vmcnt(57) lgkmcnt(1)
	v_mul_f64 v[177:178], v[99:100], v[133:134]
	v_mul_f64 v[133:134], v[101:102], v[133:134]
	s_waitcnt vmcnt(56)
	v_fma_f64 v[127:128], v[95:96], v[129:130], -v[127:128]
	v_fma_f64 v[123:124], v[97:98], v[129:130], v[123:124]
	v_add_f64 v[111:112], v[111:112], v[125:126]
	v_add_f64 v[2:3], v[2:3], v[117:118]
	s_clause 0x2
	buffer_load_dword v132, off, s[0:3], 0 offset:684
	buffer_load_dword v118, off, s[0:3], 0 offset:660
	;; [unrolled: 1-line block ×3, first 2 shown]
	s_waitcnt vmcnt(58) lgkmcnt(0)
	v_mul_f64 v[129:130], v[105:106], v[135:136]
	ds_read_b128 v[95:98], v1 offset:1168
	s_waitcnt vmcnt(56)
	v_fma_f64 v[133:134], v[99:100], v[139:140], -v[133:134]
	v_mul_f64 v[125:126], v[103:104], v[135:136]
	v_add_f64 v[111:112], v[111:112], v[127:128]
	v_fma_f64 v[127:128], v[101:102], v[139:140], v[177:178]
	v_add_f64 v[2:3], v[2:3], v[123:124]
	s_clause 0x4
	buffer_load_dword v124, off, s[0:3], 0 offset:700
	buffer_load_dword v135, off, s[0:3], 0 offset:712
	;; [unrolled: 1-line block ×5, first 2 shown]
	s_waitcnt vmcnt(57) lgkmcnt(0)
	v_mul_f64 v[183:184], v[95:96], v[141:142]
	v_mul_f64 v[140:141], v[97:98], v[141:142]
	s_waitcnt vmcnt(56)
	v_fma_f64 v[129:130], v[103:104], v[137:138], -v[129:130]
	ds_read_b128 v[99:102], v1 offset:1184
	v_fma_f64 v[125:126], v[105:106], v[137:138], v[125:126]
	v_add_f64 v[111:112], v[111:112], v[133:134]
	v_add_f64 v[2:3], v[2:3], v[127:128]
	s_clause 0x2
	buffer_load_dword v136, off, s[0:3], 0 offset:716
	buffer_load_dword v128, off, s[0:3], 0 offset:692
	buffer_load_dword v127, off, s[0:3], 0 offset:688
	ds_read_b128 v[103:106], v1 offset:1200
	s_waitcnt vmcnt(58) lgkmcnt(1)
	v_mul_f64 v[137:138], v[101:102], v[143:144]
	s_waitcnt vmcnt(56)
	v_fma_f64 v[141:142], v[95:96], v[147:148], -v[140:141]
	v_mul_f64 v[133:134], v[99:100], v[143:144]
	v_add_f64 v[111:112], v[111:112], v[129:130]
	v_fma_f64 v[129:130], v[97:98], v[147:148], v[183:184]
	v_add_f64 v[2:3], v[2:3], v[125:126]
	s_clause 0x2
	buffer_load_dword v126, off, s[0:3], 0 offset:732
	buffer_load_dword v125, off, s[0:3], 0 offset:728
	;; [unrolled: 1-line block ×3, first 2 shown]
	s_waitcnt vmcnt(55) lgkmcnt(0)
	v_mul_f64 v[147:148], v[105:106], v[149:150]
	s_waitcnt vmcnt(54)
	v_fma_f64 v[137:138], v[99:100], v[145:146], -v[137:138]
	ds_read_b128 v[95:98], v1 offset:1216
	v_mul_f64 v[143:144], v[103:104], v[149:150]
	v_fma_f64 v[133:134], v[101:102], v[145:146], v[133:134]
	v_add_f64 v[111:112], v[111:112], v[141:142]
	v_add_f64 v[2:3], v[2:3], v[129:130]
	s_clause 0x1
	buffer_load_dword v130, off, s[0:3], 0 offset:724
	buffer_load_dword v129, off, s[0:3], 0 offset:720
	s_waitcnt vmcnt(55) lgkmcnt(0)
	v_mul_f64 v[145:146], v[97:98], v[152:153]
	s_waitcnt vmcnt(53)
	v_fma_f64 v[147:148], v[103:104], v[156:157], -v[147:148]
	ds_read_b128 v[99:102], v1 offset:1232
	v_mul_f64 v[141:142], v[95:96], v[152:153]
	v_add_f64 v[111:112], v[111:112], v[137:138]
	v_fma_f64 v[137:138], v[105:106], v[156:157], v[143:144]
	v_add_f64 v[2:3], v[2:3], v[133:134]
	ds_read_b128 v[103:106], v1 offset:1248
	s_waitcnt vmcnt(49) lgkmcnt(1)
	v_mul_f64 v[143:144], v[101:102], v[158:159]
	s_waitcnt vmcnt(48)
	v_fma_f64 v[145:146], v[95:96], v[154:155], -v[145:146]
	v_mul_f64 v[133:134], v[99:100], v[158:159]
	v_fma_f64 v[141:142], v[97:98], v[154:155], v[141:142]
	v_add_f64 v[111:112], v[111:112], v[147:148]
	s_waitcnt vmcnt(47) lgkmcnt(0)
	v_mul_f64 v[152:153], v[105:106], v[160:161]
	v_add_f64 v[2:3], v[2:3], v[137:138]
	s_clause 0x3
	buffer_load_dword v137, off, s[0:3], 0 offset:304
	buffer_load_dword v138, off, s[0:3], 0 offset:308
	;; [unrolled: 1-line block ×4, first 2 shown]
	s_waitcnt vmcnt(49)
	v_fma_f64 v[143:144], v[99:100], v[164:165], -v[143:144]
	ds_read_b128 v[95:98], v1 offset:1264
	v_mul_f64 v[149:150], v[103:104], v[160:161]
	v_fma_f64 v[133:134], v[101:102], v[164:165], v[133:134]
	ds_read_b128 v[99:102], v1 offset:1280
	v_add_f64 v[111:112], v[111:112], v[145:146]
	s_waitcnt vmcnt(44)
	v_fma_f64 v[152:153], v[103:104], v[162:163], -v[152:153]
	v_add_f64 v[2:3], v[2:3], v[141:142]
	s_waitcnt lgkmcnt(1)
	v_mul_f64 v[145:146], v[97:98], v[168:169]
	v_mul_f64 v[141:142], v[95:96], v[168:169]
	v_add_f64 v[111:112], v[111:112], v[143:144]
	v_fma_f64 v[143:144], v[105:106], v[162:163], v[149:150]
	v_add_f64 v[2:3], v[2:3], v[133:134]
	ds_read_b128 v[103:106], v1 offset:1296
	s_waitcnt vmcnt(43) lgkmcnt(1)
	v_mul_f64 v[149:150], v[101:102], v[170:171]
	v_mul_f64 v[133:134], v[99:100], v[170:171]
	s_waitcnt vmcnt(41)
	v_fma_f64 v[145:146], v[95:96], v[109:110], -v[145:146]
	v_fma_f64 v[109:110], v[97:98], v[109:110], v[141:142]
	ds_read_b128 v[95:98], v1 offset:1312
	v_add_f64 v[111:112], v[111:112], v[152:153]
	s_waitcnt vmcnt(37) lgkmcnt(1)
	v_mul_f64 v[141:142], v[103:104], v[113:114]
	v_add_f64 v[2:3], v[2:3], v[143:144]
	v_mul_f64 v[113:114], v[105:106], v[113:114]
	s_waitcnt vmcnt(36)
	v_fma_f64 v[143:144], v[99:100], v[172:173], -v[149:150]
	v_fma_f64 v[133:134], v[101:102], v[172:173], v[133:134]
	ds_read_b128 v[99:102], v1 offset:1328
	v_add_f64 v[111:112], v[111:112], v[145:146]
	v_add_f64 v[2:3], v[2:3], v[109:110]
	s_waitcnt vmcnt(35) lgkmcnt(1)
	v_mul_f64 v[145:146], v[97:98], v[174:175]
	v_mul_f64 v[109:110], v[95:96], v[174:175]
	s_waitcnt vmcnt(33)
	v_fma_f64 v[113:114], v[103:104], v[107:108], -v[113:114]
	v_fma_f64 v[107:108], v[105:106], v[107:108], v[141:142]
	ds_read_b128 v[103:106], v1 offset:1344
	v_add_f64 v[111:112], v[111:112], v[143:144]
	v_add_f64 v[2:3], v[2:3], v[133:134]
	s_waitcnt vmcnt(29) lgkmcnt(1)
	v_mul_f64 v[133:134], v[99:100], v[121:122]
	;; [unrolled: 9-line block ×6, first 2 shown]
	s_waitcnt vmcnt(12)
	v_fma_f64 v[99:100], v[99:100], v[176:177], -v[121:122]
	v_mul_f64 v[107:108], v[103:104], v[123:124]
	v_fma_f64 v[101:102], v[101:102], v[176:177], v[119:120]
	v_add_f64 v[111:112], v[111:112], v[115:116]
	v_add_f64 v[109:110], v[2:3], v[109:110]
	ds_read_b128 v[1:4], v1 offset:1424
	s_waitcnt vmcnt(11) lgkmcnt(1)
	v_mul_f64 v[117:118], v[97:98], v[135:136]
	v_mul_f64 v[115:116], v[95:96], v[135:136]
	s_waitcnt vmcnt(9)
	v_fma_f64 v[103:104], v[103:104], v[127:128], -v[113:114]
	v_fma_f64 v[105:106], v[105:106], v[127:128], v[107:108]
	v_add_f64 v[99:100], v[111:112], v[99:100]
	v_add_f64 v[101:102], v[109:110], v[101:102]
	s_waitcnt vmcnt(7) lgkmcnt(0)
	v_mul_f64 v[109:110], v[3:4], v[125:126]
	s_waitcnt vmcnt(6)
	v_fma_f64 v[95:96], v[95:96], v[139:140], -v[117:118]
	v_mul_f64 v[107:108], v[1:2], v[125:126]
	v_fma_f64 v[97:98], v[97:98], v[139:140], v[115:116]
	v_add_f64 v[99:100], v[99:100], v[103:104]
	v_add_f64 v[101:102], v[101:102], v[105:106]
	s_waitcnt vmcnt(4)
	v_fma_f64 v[1:2], v[1:2], v[129:130], -v[109:110]
	v_fma_f64 v[3:4], v[3:4], v[129:130], v[107:108]
	v_add_f64 v[95:96], v[99:100], v[95:96]
	v_add_f64 v[97:98], v[101:102], v[97:98]
	;; [unrolled: 1-line block ×4, first 2 shown]
	s_waitcnt vmcnt(2)
	v_add_f64 v[1:2], v[137:138], -v[1:2]
	s_waitcnt vmcnt(0)
	v_add_f64 v[3:4], v[147:148], -v[3:4]
	buffer_store_dword v2, off, s[0:3], 0 offset:308
	buffer_store_dword v1, off, s[0:3], 0 offset:304
	buffer_store_dword v4, off, s[0:3], 0 offset:316
	buffer_store_dword v3, off, s[0:3], 0 offset:312
	v_cmpx_lt_u32_e32 17, v0
	s_cbranch_execz .LBB108_249
; %bb.248:
	v_mov_b32_e32 v4, s40
	v_mov_b32_e32 v95, 0
	s_clause 0x3
	buffer_load_dword v1, v4, s[0:3], 0 offen
	buffer_load_dword v2, v4, s[0:3], 0 offen offset:4
	buffer_load_dword v3, v4, s[0:3], 0 offen offset:8
	;; [unrolled: 1-line block ×3, first 2 shown]
	buffer_store_dword v95, off, s[0:3], 0 offset:288
	buffer_store_dword v95, off, s[0:3], 0 offset:292
	;; [unrolled: 1-line block ×4, first 2 shown]
	s_waitcnt vmcnt(0)
	ds_write_b128 v151, v[1:4]
.LBB108_249:
	s_or_b32 exec_lo, exec_lo, s4
	s_waitcnt lgkmcnt(0)
	s_waitcnt_vscnt null, 0x0
	s_barrier
	buffer_gl0_inv
	s_clause 0x37
	buffer_load_dword v2, off, s[0:3], 0 offset:312
	buffer_load_dword v3, off, s[0:3], 0 offset:316
	;; [unrolled: 1-line block ×56, first 2 shown]
	v_mov_b32_e32 v1, 0
	s_mov_b32 s4, exec_lo
	ds_read_b128 v[95:98], v1 offset:1008
	s_clause 0x2
	buffer_load_dword v161, off, s[0:3], 0 offset:540
	buffer_load_dword v165, off, s[0:3], 0 offset:516
	;; [unrolled: 1-line block ×3, first 2 shown]
	ds_read_b128 v[99:102], v1 offset:1024
	s_clause 0x4
	buffer_load_dword v169, off, s[0:3], 0 offset:556
	buffer_load_dword v170, off, s[0:3], 0 offset:568
	;; [unrolled: 1-line block ×5, first 2 shown]
	ds_read_b128 v[103:106], v1 offset:1040
	s_waitcnt vmcnt(62) lgkmcnt(2)
	v_mul_f64 v[166:167], v[97:98], v[2:3]
	v_mul_f64 v[2:3], v[95:96], v[2:3]
	s_waitcnt vmcnt(60) lgkmcnt(1)
	v_mul_f64 v[173:174], v[101:102], v[107:108]
	v_mul_f64 v[107:108], v[99:100], v[107:108]
	;; [unrolled: 3-line block ×3, first 2 shown]
	v_fma_f64 v[166:167], v[95:96], v[109:110], -v[166:167]
	v_fma_f64 v[2:3], v[97:98], v[109:110], v[2:3]
	s_clause 0x2
	buffer_load_dword v171, off, s[0:3], 0 offset:572
	buffer_load_dword v110, off, s[0:3], 0 offset:548
	;; [unrolled: 1-line block ×3, first 2 shown]
	s_waitcnt vmcnt(57)
	v_fma_f64 v[177:178], v[99:100], v[113:114], -v[173:174]
	ds_read_b128 v[95:98], v1 offset:1056
	v_fma_f64 v[107:108], v[101:102], v[113:114], v[107:108]
	s_clause 0x4
	buffer_load_dword v114, off, s[0:3], 0 offset:588
	buffer_load_dword v174, off, s[0:3], 0 offset:600
	;; [unrolled: 1-line block ×5, first 2 shown]
	s_waitcnt vmcnt(56)
	v_fma_f64 v[111:112], v[103:104], v[121:122], -v[111:112]
	ds_read_b128 v[99:102], v1 offset:1072
	v_fma_f64 v[121:122], v[105:106], v[121:122], v[175:176]
	v_add_f64 v[166:167], v[166:167], 0
	v_add_f64 v[2:3], v[2:3], 0
	s_waitcnt lgkmcnt(1)
	v_mul_f64 v[180:181], v[95:96], v[115:116]
	v_mul_f64 v[115:116], v[97:98], v[115:116]
	v_add_f64 v[166:167], v[166:167], v[177:178]
	v_add_f64 v[2:3], v[2:3], v[107:108]
	s_clause 0x2
	buffer_load_dword v175, off, s[0:3], 0 offset:604
	buffer_load_dword v108, off, s[0:3], 0 offset:580
	;; [unrolled: 1-line block ×3, first 2 shown]
	s_waitcnt vmcnt(58) lgkmcnt(0)
	v_mul_f64 v[176:177], v[99:100], v[117:118]
	v_mul_f64 v[117:118], v[101:102], v[117:118]
	s_waitcnt vmcnt(56)
	v_fma_f64 v[115:116], v[95:96], v[123:124], -v[115:116]
	ds_read_b128 v[103:106], v1 offset:1088
	v_fma_f64 v[123:124], v[97:98], v[123:124], v[180:181]
	v_add_f64 v[111:112], v[166:167], v[111:112]
	v_add_f64 v[2:3], v[2:3], v[121:122]
	s_clause 0x4
	buffer_load_dword v122, off, s[0:3], 0 offset:620
	buffer_load_dword v166, off, s[0:3], 0 offset:632
	;; [unrolled: 1-line block ×5, first 2 shown]
	ds_read_b128 v[95:98], v1 offset:1104
	s_waitcnt vmcnt(57) lgkmcnt(1)
	v_mul_f64 v[182:183], v[103:104], v[125:126]
	v_mul_f64 v[125:126], v[105:106], v[125:126]
	s_waitcnt vmcnt(56)
	v_fma_f64 v[117:118], v[99:100], v[119:120], -v[117:118]
	v_add_f64 v[111:112], v[111:112], v[115:116]
	v_fma_f64 v[115:116], v[101:102], v[119:120], v[176:177]
	v_add_f64 v[2:3], v[2:3], v[123:124]
	s_clause 0x2
	buffer_load_dword v167, off, s[0:3], 0 offset:636
	buffer_load_dword v120, off, s[0:3], 0 offset:612
	;; [unrolled: 1-line block ×3, first 2 shown]
	s_waitcnt vmcnt(58) lgkmcnt(0)
	v_mul_f64 v[123:124], v[95:96], v[127:128]
	v_mul_f64 v[127:128], v[97:98], v[127:128]
	s_waitcnt vmcnt(56)
	v_fma_f64 v[125:126], v[103:104], v[131:132], -v[125:126]
	ds_read_b128 v[99:102], v1 offset:1120
	v_add_f64 v[111:112], v[111:112], v[117:118]
	v_fma_f64 v[117:118], v[105:106], v[131:132], v[182:183]
	v_add_f64 v[2:3], v[2:3], v[115:116]
	s_clause 0x4
	buffer_load_dword v116, off, s[0:3], 0 offset:652
	buffer_load_dword v131, off, s[0:3], 0 offset:664
	;; [unrolled: 1-line block ×5, first 2 shown]
	ds_read_b128 v[103:106], v1 offset:1136
	s_waitcnt vmcnt(57) lgkmcnt(1)
	v_mul_f64 v[177:178], v[99:100], v[133:134]
	v_mul_f64 v[133:134], v[101:102], v[133:134]
	s_waitcnt vmcnt(56)
	v_fma_f64 v[127:128], v[95:96], v[129:130], -v[127:128]
	v_fma_f64 v[123:124], v[97:98], v[129:130], v[123:124]
	v_add_f64 v[111:112], v[111:112], v[125:126]
	v_add_f64 v[2:3], v[2:3], v[117:118]
	s_clause 0x2
	buffer_load_dword v132, off, s[0:3], 0 offset:668
	buffer_load_dword v118, off, s[0:3], 0 offset:644
	;; [unrolled: 1-line block ×3, first 2 shown]
	s_waitcnt vmcnt(58) lgkmcnt(0)
	v_mul_f64 v[129:130], v[105:106], v[135:136]
	ds_read_b128 v[95:98], v1 offset:1152
	s_waitcnt vmcnt(56)
	v_fma_f64 v[133:134], v[99:100], v[139:140], -v[133:134]
	v_mul_f64 v[125:126], v[103:104], v[135:136]
	v_add_f64 v[111:112], v[111:112], v[127:128]
	v_fma_f64 v[127:128], v[101:102], v[139:140], v[177:178]
	v_add_f64 v[2:3], v[2:3], v[123:124]
	s_clause 0x4
	buffer_load_dword v124, off, s[0:3], 0 offset:684
	buffer_load_dword v135, off, s[0:3], 0 offset:696
	;; [unrolled: 1-line block ×5, first 2 shown]
	s_waitcnt vmcnt(57) lgkmcnt(0)
	v_mul_f64 v[183:184], v[95:96], v[141:142]
	v_mul_f64 v[140:141], v[97:98], v[141:142]
	s_waitcnt vmcnt(56)
	v_fma_f64 v[129:130], v[103:104], v[137:138], -v[129:130]
	ds_read_b128 v[99:102], v1 offset:1168
	v_fma_f64 v[125:126], v[105:106], v[137:138], v[125:126]
	v_add_f64 v[111:112], v[111:112], v[133:134]
	v_add_f64 v[2:3], v[2:3], v[127:128]
	s_clause 0x2
	buffer_load_dword v136, off, s[0:3], 0 offset:700
	buffer_load_dword v128, off, s[0:3], 0 offset:676
	;; [unrolled: 1-line block ×3, first 2 shown]
	ds_read_b128 v[103:106], v1 offset:1184
	s_waitcnt vmcnt(58) lgkmcnt(1)
	v_mul_f64 v[137:138], v[101:102], v[143:144]
	s_waitcnt vmcnt(56)
	v_fma_f64 v[141:142], v[95:96], v[147:148], -v[140:141]
	v_mul_f64 v[133:134], v[99:100], v[143:144]
	v_add_f64 v[111:112], v[111:112], v[129:130]
	v_fma_f64 v[129:130], v[97:98], v[147:148], v[183:184]
	v_add_f64 v[2:3], v[2:3], v[125:126]
	s_clause 0x4
	buffer_load_dword v126, off, s[0:3], 0 offset:716
	buffer_load_dword v143, off, s[0:3], 0 offset:728
	;; [unrolled: 1-line block ×5, first 2 shown]
	s_waitcnt vmcnt(57) lgkmcnt(0)
	v_mul_f64 v[183:184], v[103:104], v[149:150]
	v_mul_f64 v[148:149], v[105:106], v[149:150]
	s_waitcnt vmcnt(56)
	v_fma_f64 v[137:138], v[99:100], v[145:146], -v[137:138]
	ds_read_b128 v[95:98], v1 offset:1200
	v_fma_f64 v[133:134], v[101:102], v[145:146], v[133:134]
	v_add_f64 v[111:112], v[111:112], v[141:142]
	v_add_f64 v[2:3], v[2:3], v[129:130]
	s_clause 0x2
	buffer_load_dword v144, off, s[0:3], 0 offset:732
	buffer_load_dword v130, off, s[0:3], 0 offset:708
	;; [unrolled: 1-line block ×3, first 2 shown]
	ds_read_b128 v[99:102], v1 offset:1216
	s_waitcnt vmcnt(58) lgkmcnt(1)
	v_mul_f64 v[145:146], v[97:98], v[152:153]
	s_waitcnt vmcnt(56)
	v_fma_f64 v[149:150], v[103:104], v[156:157], -v[148:149]
	v_mul_f64 v[141:142], v[95:96], v[152:153]
	buffer_load_dword v148, off, s[0:3], 0 offset:724
	v_add_f64 v[111:112], v[111:112], v[137:138]
	v_fma_f64 v[137:138], v[105:106], v[156:157], v[183:184]
	v_add_f64 v[2:3], v[2:3], v[133:134]
	ds_read_b128 v[103:106], v1 offset:1232
	s_waitcnt vmcnt(53) lgkmcnt(1)
	v_mul_f64 v[152:153], v[101:102], v[158:159]
	s_waitcnt vmcnt(52)
	v_fma_f64 v[145:146], v[95:96], v[154:155], -v[145:146]
	v_mul_f64 v[133:134], v[99:100], v[158:159]
	v_fma_f64 v[141:142], v[97:98], v[154:155], v[141:142]
	ds_read_b128 v[95:98], v1 offset:1248
	v_add_f64 v[111:112], v[111:112], v[149:150]
	s_waitcnt vmcnt(51) lgkmcnt(1)
	v_mul_f64 v[149:150], v[105:106], v[160:161]
	v_add_f64 v[2:3], v[2:3], v[137:138]
	v_mul_f64 v[137:138], v[103:104], v[160:161]
	s_waitcnt vmcnt(49)
	v_fma_f64 v[152:153], v[99:100], v[164:165], -v[152:153]
	v_fma_f64 v[133:134], v[101:102], v[164:165], v[133:134]
	s_waitcnt vmcnt(45) lgkmcnt(0)
	v_mul_f64 v[156:157], v[97:98], v[168:169]
	v_mul_f64 v[154:155], v[95:96], v[168:169]
	v_add_f64 v[111:112], v[111:112], v[145:146]
	s_waitcnt vmcnt(44)
	v_fma_f64 v[149:150], v[103:104], v[162:163], -v[149:150]
	v_add_f64 v[2:3], v[2:3], v[141:142]
	s_clause 0x3
	buffer_load_dword v141, off, s[0:3], 0 offset:288
	buffer_load_dword v142, off, s[0:3], 0 offset:292
	buffer_load_dword v145, off, s[0:3], 0 offset:296
	buffer_load_dword v146, off, s[0:3], 0 offset:300
	ds_read_b128 v[99:102], v1 offset:1264
	v_fma_f64 v[137:138], v[105:106], v[162:163], v[137:138]
	ds_read_b128 v[103:106], v1 offset:1280
	v_add_f64 v[111:112], v[111:112], v[152:153]
	v_add_f64 v[2:3], v[2:3], v[133:134]
	s_waitcnt vmcnt(47) lgkmcnt(1)
	v_mul_f64 v[152:153], v[101:102], v[170:171]
	v_mul_f64 v[133:134], v[99:100], v[170:171]
	s_waitcnt vmcnt(45)
	v_fma_f64 v[156:157], v[95:96], v[109:110], -v[156:157]
	v_fma_f64 v[109:110], v[97:98], v[109:110], v[154:155]
	ds_read_b128 v[95:98], v1 offset:1296
	v_add_f64 v[111:112], v[111:112], v[149:150]
	v_add_f64 v[2:3], v[2:3], v[137:138]
	s_waitcnt vmcnt(41) lgkmcnt(1)
	v_mul_f64 v[137:138], v[103:104], v[113:114]
	v_mul_f64 v[113:114], v[105:106], v[113:114]
	s_waitcnt vmcnt(40)
	v_fma_f64 v[149:150], v[99:100], v[172:173], -v[152:153]
	;; [unrolled: 9-line block ×7, first 2 shown]
	v_fma_f64 v[109:110], v[97:98], v[117:118], v[109:110]
	ds_read_b128 v[95:98], v1 offset:1392
	v_add_f64 v[111:112], v[111:112], v[113:114]
	v_add_f64 v[2:3], v[2:3], v[107:108]
	s_waitcnt vmcnt(17) lgkmcnt(1)
	v_mul_f64 v[113:114], v[105:106], v[123:124]
	s_waitcnt vmcnt(16)
	v_fma_f64 v[117:118], v[99:100], v[176:177], -v[121:122]
	v_mul_f64 v[107:108], v[103:104], v[123:124]
	v_add_f64 v[111:112], v[111:112], v[115:116]
	v_fma_f64 v[115:116], v[101:102], v[176:177], v[119:120]
	v_add_f64 v[2:3], v[2:3], v[109:110]
	ds_read_b128 v[99:102], v1 offset:1408
	s_waitcnt vmcnt(15) lgkmcnt(1)
	v_mul_f64 v[119:120], v[97:98], v[135:136]
	v_mul_f64 v[109:110], v[95:96], v[135:136]
	s_waitcnt vmcnt(13)
	v_fma_f64 v[113:114], v[103:104], v[127:128], -v[113:114]
	v_fma_f64 v[107:108], v[105:106], v[127:128], v[107:108]
	ds_read_b128 v[103:106], v1 offset:1424
	v_add_f64 v[111:112], v[111:112], v[117:118]
	v_add_f64 v[2:3], v[2:3], v[115:116]
	s_waitcnt vmcnt(9) lgkmcnt(1)
	v_mul_f64 v[117:118], v[101:102], v[125:126]
	s_waitcnt vmcnt(8)
	v_fma_f64 v[95:96], v[95:96], v[139:140], -v[119:120]
	v_mul_f64 v[115:116], v[99:100], v[125:126]
	v_fma_f64 v[97:98], v[97:98], v[139:140], v[109:110]
	v_add_f64 v[111:112], v[111:112], v[113:114]
	v_add_f64 v[2:3], v[2:3], v[107:108]
	s_waitcnt vmcnt(7) lgkmcnt(0)
	v_mul_f64 v[109:110], v[105:106], v[143:144]
	v_mul_f64 v[107:108], v[103:104], v[143:144]
	s_waitcnt vmcnt(5)
	v_fma_f64 v[99:100], v[99:100], v[129:130], -v[117:118]
	v_fma_f64 v[101:102], v[101:102], v[129:130], v[115:116]
	v_add_f64 v[95:96], v[111:112], v[95:96]
	v_add_f64 v[2:3], v[2:3], v[97:98]
	s_waitcnt vmcnt(4)
	v_fma_f64 v[97:98], v[103:104], v[147:148], -v[109:110]
	v_add_f64 v[95:96], v[95:96], v[99:100]
	v_fma_f64 v[99:100], v[105:106], v[147:148], v[107:108]
	v_add_f64 v[2:3], v[2:3], v[101:102]
	v_add_f64 v[95:96], v[95:96], v[97:98]
	;; [unrolled: 1-line block ×3, first 2 shown]
	s_waitcnt vmcnt(2)
	v_add_f64 v[95:96], v[141:142], -v[95:96]
	s_waitcnt vmcnt(0)
	v_add_f64 v[2:3], v[145:146], -v[2:3]
	buffer_store_dword v96, off, s[0:3], 0 offset:292
	buffer_store_dword v95, off, s[0:3], 0 offset:288
	;; [unrolled: 1-line block ×4, first 2 shown]
	v_cmpx_lt_u32_e32 16, v0
	s_cbranch_execz .LBB108_251
; %bb.250:
	v_mov_b32_e32 v2, s41
	s_clause 0x3
	buffer_load_dword v95, v2, s[0:3], 0 offen
	buffer_load_dword v96, v2, s[0:3], 0 offen offset:4
	buffer_load_dword v97, v2, s[0:3], 0 offen offset:8
	;; [unrolled: 1-line block ×3, first 2 shown]
	buffer_store_dword v1, off, s[0:3], 0 offset:272
	buffer_store_dword v1, off, s[0:3], 0 offset:276
	;; [unrolled: 1-line block ×4, first 2 shown]
	s_waitcnt vmcnt(0)
	ds_write_b128 v151, v[95:98]
.LBB108_251:
	s_or_b32 exec_lo, exec_lo, s4
	s_waitcnt lgkmcnt(0)
	s_waitcnt_vscnt null, 0x0
	s_barrier
	buffer_gl0_inv
	s_clause 0x37
	buffer_load_dword v2, off, s[0:3], 0 offset:296
	buffer_load_dword v3, off, s[0:3], 0 offset:300
	;; [unrolled: 1-line block ×56, first 2 shown]
	ds_read_b128 v[95:98], v1 offset:992
	s_clause 0x2
	buffer_load_dword v161, off, s[0:3], 0 offset:524
	buffer_load_dword v165, off, s[0:3], 0 offset:500
	;; [unrolled: 1-line block ×3, first 2 shown]
	ds_read_b128 v[99:102], v1 offset:1008
	s_clause 0x4
	buffer_load_dword v169, off, s[0:3], 0 offset:540
	buffer_load_dword v170, off, s[0:3], 0 offset:552
	buffer_load_dword v172, off, s[0:3], 0 offset:544
	buffer_load_dword v168, off, s[0:3], 0 offset:536
	buffer_load_dword v163, off, s[0:3], 0 offset:516
	ds_read_b128 v[103:106], v1 offset:1024
	s_mov_b32 s4, exec_lo
	s_waitcnt vmcnt(62) lgkmcnt(2)
	v_mul_f64 v[166:167], v[97:98], v[2:3]
	v_mul_f64 v[2:3], v[95:96], v[2:3]
	s_waitcnt vmcnt(60) lgkmcnt(1)
	v_mul_f64 v[173:174], v[101:102], v[107:108]
	v_mul_f64 v[107:108], v[99:100], v[107:108]
	;; [unrolled: 3-line block ×3, first 2 shown]
	v_fma_f64 v[166:167], v[95:96], v[109:110], -v[166:167]
	v_fma_f64 v[2:3], v[97:98], v[109:110], v[2:3]
	s_clause 0x2
	buffer_load_dword v171, off, s[0:3], 0 offset:556
	buffer_load_dword v110, off, s[0:3], 0 offset:532
	;; [unrolled: 1-line block ×3, first 2 shown]
	s_waitcnt vmcnt(57)
	v_fma_f64 v[177:178], v[99:100], v[113:114], -v[173:174]
	ds_read_b128 v[95:98], v1 offset:1040
	v_fma_f64 v[107:108], v[101:102], v[113:114], v[107:108]
	s_clause 0x4
	buffer_load_dword v114, off, s[0:3], 0 offset:572
	buffer_load_dword v174, off, s[0:3], 0 offset:584
	;; [unrolled: 1-line block ×5, first 2 shown]
	s_waitcnt vmcnt(56)
	v_fma_f64 v[111:112], v[103:104], v[121:122], -v[111:112]
	ds_read_b128 v[99:102], v1 offset:1056
	v_fma_f64 v[121:122], v[105:106], v[121:122], v[175:176]
	v_add_f64 v[166:167], v[166:167], 0
	v_add_f64 v[2:3], v[2:3], 0
	s_waitcnt lgkmcnt(1)
	v_mul_f64 v[180:181], v[95:96], v[115:116]
	v_mul_f64 v[115:116], v[97:98], v[115:116]
	v_add_f64 v[166:167], v[166:167], v[177:178]
	v_add_f64 v[2:3], v[2:3], v[107:108]
	s_clause 0x2
	buffer_load_dword v175, off, s[0:3], 0 offset:588
	buffer_load_dword v108, off, s[0:3], 0 offset:564
	;; [unrolled: 1-line block ×3, first 2 shown]
	s_waitcnt vmcnt(58) lgkmcnt(0)
	v_mul_f64 v[176:177], v[99:100], v[117:118]
	v_mul_f64 v[117:118], v[101:102], v[117:118]
	s_waitcnt vmcnt(56)
	v_fma_f64 v[115:116], v[95:96], v[123:124], -v[115:116]
	ds_read_b128 v[103:106], v1 offset:1072
	v_fma_f64 v[123:124], v[97:98], v[123:124], v[180:181]
	v_add_f64 v[111:112], v[166:167], v[111:112]
	v_add_f64 v[2:3], v[2:3], v[121:122]
	s_clause 0x4
	buffer_load_dword v122, off, s[0:3], 0 offset:604
	buffer_load_dword v166, off, s[0:3], 0 offset:616
	;; [unrolled: 1-line block ×5, first 2 shown]
	ds_read_b128 v[95:98], v1 offset:1088
	s_waitcnt vmcnt(57) lgkmcnt(1)
	v_mul_f64 v[182:183], v[103:104], v[125:126]
	v_mul_f64 v[125:126], v[105:106], v[125:126]
	s_waitcnt vmcnt(56)
	v_fma_f64 v[117:118], v[99:100], v[119:120], -v[117:118]
	v_add_f64 v[111:112], v[111:112], v[115:116]
	v_fma_f64 v[115:116], v[101:102], v[119:120], v[176:177]
	v_add_f64 v[2:3], v[2:3], v[123:124]
	s_clause 0x2
	buffer_load_dword v167, off, s[0:3], 0 offset:620
	buffer_load_dword v120, off, s[0:3], 0 offset:596
	;; [unrolled: 1-line block ×3, first 2 shown]
	s_waitcnt vmcnt(58) lgkmcnt(0)
	v_mul_f64 v[123:124], v[95:96], v[127:128]
	v_mul_f64 v[127:128], v[97:98], v[127:128]
	s_waitcnt vmcnt(56)
	v_fma_f64 v[125:126], v[103:104], v[131:132], -v[125:126]
	ds_read_b128 v[99:102], v1 offset:1104
	v_add_f64 v[111:112], v[111:112], v[117:118]
	v_fma_f64 v[117:118], v[105:106], v[131:132], v[182:183]
	v_add_f64 v[2:3], v[2:3], v[115:116]
	s_clause 0x4
	buffer_load_dword v116, off, s[0:3], 0 offset:636
	buffer_load_dword v131, off, s[0:3], 0 offset:648
	;; [unrolled: 1-line block ×5, first 2 shown]
	ds_read_b128 v[103:106], v1 offset:1120
	s_waitcnt vmcnt(57) lgkmcnt(1)
	v_mul_f64 v[177:178], v[99:100], v[133:134]
	v_mul_f64 v[133:134], v[101:102], v[133:134]
	s_waitcnt vmcnt(56)
	v_fma_f64 v[127:128], v[95:96], v[129:130], -v[127:128]
	v_fma_f64 v[123:124], v[97:98], v[129:130], v[123:124]
	v_add_f64 v[111:112], v[111:112], v[125:126]
	v_add_f64 v[2:3], v[2:3], v[117:118]
	s_clause 0x2
	buffer_load_dword v132, off, s[0:3], 0 offset:652
	buffer_load_dword v118, off, s[0:3], 0 offset:628
	;; [unrolled: 1-line block ×3, first 2 shown]
	s_waitcnt vmcnt(58) lgkmcnt(0)
	v_mul_f64 v[129:130], v[105:106], v[135:136]
	ds_read_b128 v[95:98], v1 offset:1136
	s_waitcnt vmcnt(56)
	v_fma_f64 v[133:134], v[99:100], v[139:140], -v[133:134]
	v_mul_f64 v[125:126], v[103:104], v[135:136]
	v_add_f64 v[111:112], v[111:112], v[127:128]
	v_fma_f64 v[127:128], v[101:102], v[139:140], v[177:178]
	v_add_f64 v[2:3], v[2:3], v[123:124]
	s_clause 0x4
	buffer_load_dword v124, off, s[0:3], 0 offset:668
	buffer_load_dword v135, off, s[0:3], 0 offset:680
	;; [unrolled: 1-line block ×5, first 2 shown]
	s_waitcnt vmcnt(57) lgkmcnt(0)
	v_mul_f64 v[183:184], v[95:96], v[141:142]
	v_mul_f64 v[140:141], v[97:98], v[141:142]
	s_waitcnt vmcnt(56)
	v_fma_f64 v[129:130], v[103:104], v[137:138], -v[129:130]
	ds_read_b128 v[99:102], v1 offset:1152
	v_fma_f64 v[125:126], v[105:106], v[137:138], v[125:126]
	v_add_f64 v[111:112], v[111:112], v[133:134]
	v_add_f64 v[2:3], v[2:3], v[127:128]
	s_clause 0x2
	buffer_load_dword v136, off, s[0:3], 0 offset:684
	buffer_load_dword v128, off, s[0:3], 0 offset:660
	;; [unrolled: 1-line block ×3, first 2 shown]
	ds_read_b128 v[103:106], v1 offset:1168
	s_waitcnt vmcnt(58) lgkmcnt(1)
	v_mul_f64 v[137:138], v[101:102], v[143:144]
	s_waitcnt vmcnt(56)
	v_fma_f64 v[141:142], v[95:96], v[147:148], -v[140:141]
	v_mul_f64 v[133:134], v[99:100], v[143:144]
	v_add_f64 v[111:112], v[111:112], v[129:130]
	v_fma_f64 v[129:130], v[97:98], v[147:148], v[183:184]
	v_add_f64 v[2:3], v[2:3], v[125:126]
	s_clause 0x4
	buffer_load_dword v126, off, s[0:3], 0 offset:700
	buffer_load_dword v143, off, s[0:3], 0 offset:712
	;; [unrolled: 1-line block ×5, first 2 shown]
	s_waitcnt vmcnt(57) lgkmcnt(0)
	v_mul_f64 v[183:184], v[103:104], v[149:150]
	v_mul_f64 v[148:149], v[105:106], v[149:150]
	s_waitcnt vmcnt(56)
	v_fma_f64 v[137:138], v[99:100], v[145:146], -v[137:138]
	ds_read_b128 v[95:98], v1 offset:1184
	v_fma_f64 v[133:134], v[101:102], v[145:146], v[133:134]
	v_add_f64 v[111:112], v[111:112], v[141:142]
	v_add_f64 v[2:3], v[2:3], v[129:130]
	s_clause 0x2
	buffer_load_dword v144, off, s[0:3], 0 offset:716
	buffer_load_dword v130, off, s[0:3], 0 offset:692
	;; [unrolled: 1-line block ×3, first 2 shown]
	ds_read_b128 v[99:102], v1 offset:1200
	s_waitcnt vmcnt(58) lgkmcnt(1)
	v_mul_f64 v[145:146], v[97:98], v[152:153]
	s_waitcnt vmcnt(56)
	v_fma_f64 v[149:150], v[103:104], v[156:157], -v[148:149]
	v_mul_f64 v[141:142], v[95:96], v[152:153]
	v_add_f64 v[111:112], v[111:112], v[137:138]
	v_fma_f64 v[137:138], v[105:106], v[156:157], v[183:184]
	v_add_f64 v[2:3], v[2:3], v[133:134]
	s_clause 0x2
	buffer_load_dword v134, off, s[0:3], 0 offset:732
	buffer_load_dword v133, off, s[0:3], 0 offset:728
	;; [unrolled: 1-line block ×3, first 2 shown]
	s_waitcnt vmcnt(55) lgkmcnt(0)
	v_mul_f64 v[156:157], v[101:102], v[158:159]
	s_waitcnt vmcnt(54)
	v_fma_f64 v[145:146], v[95:96], v[154:155], -v[145:146]
	ds_read_b128 v[103:106], v1 offset:1216
	v_mul_f64 v[152:153], v[99:100], v[158:159]
	v_fma_f64 v[141:142], v[97:98], v[154:155], v[141:142]
	v_add_f64 v[111:112], v[111:112], v[149:150]
	v_add_f64 v[2:3], v[2:3], v[137:138]
	s_clause 0x1
	buffer_load_dword v138, off, s[0:3], 0 offset:724
	buffer_load_dword v137, off, s[0:3], 0 offset:720
	s_waitcnt vmcnt(55) lgkmcnt(0)
	v_mul_f64 v[154:155], v[105:106], v[160:161]
	s_waitcnt vmcnt(53)
	v_fma_f64 v[156:157], v[99:100], v[164:165], -v[156:157]
	ds_read_b128 v[95:98], v1 offset:1232
	v_mul_f64 v[149:150], v[103:104], v[160:161]
	v_add_f64 v[111:112], v[111:112], v[145:146]
	v_fma_f64 v[145:146], v[101:102], v[164:165], v[152:153]
	v_add_f64 v[2:3], v[2:3], v[141:142]
	ds_read_b128 v[99:102], v1 offset:1248
	s_waitcnt vmcnt(49) lgkmcnt(1)
	v_mul_f64 v[152:153], v[97:98], v[168:169]
	s_waitcnt vmcnt(48)
	v_fma_f64 v[154:155], v[103:104], v[162:163], -v[154:155]
	v_mul_f64 v[141:142], v[95:96], v[168:169]
	v_fma_f64 v[149:150], v[105:106], v[162:163], v[149:150]
	v_add_f64 v[111:112], v[111:112], v[156:157]
	v_add_f64 v[2:3], v[2:3], v[145:146]
	s_clause 0x3
	buffer_load_dword v145, off, s[0:3], 0 offset:272
	buffer_load_dword v146, off, s[0:3], 0 offset:276
	;; [unrolled: 1-line block ×4, first 2 shown]
	ds_read_b128 v[103:106], v1 offset:1264
	s_waitcnt vmcnt(51) lgkmcnt(1)
	v_mul_f64 v[160:161], v[101:102], v[170:171]
	v_mul_f64 v[158:159], v[99:100], v[170:171]
	s_waitcnt vmcnt(49)
	v_fma_f64 v[152:153], v[95:96], v[109:110], -v[152:153]
	v_fma_f64 v[109:110], v[97:98], v[109:110], v[141:142]
	ds_read_b128 v[95:98], v1 offset:1280
	v_add_f64 v[111:112], v[111:112], v[154:155]
	v_add_f64 v[2:3], v[2:3], v[149:150]
	s_waitcnt vmcnt(45) lgkmcnt(1)
	v_mul_f64 v[141:142], v[103:104], v[113:114]
	v_mul_f64 v[113:114], v[105:106], v[113:114]
	s_waitcnt vmcnt(44)
	v_fma_f64 v[149:150], v[99:100], v[172:173], -v[160:161]
	v_add_f64 v[111:112], v[111:112], v[152:153]
	v_fma_f64 v[152:153], v[101:102], v[172:173], v[158:159]
	v_add_f64 v[2:3], v[2:3], v[109:110]
	ds_read_b128 v[99:102], v1 offset:1296
	s_waitcnt vmcnt(43) lgkmcnt(1)
	v_mul_f64 v[154:155], v[97:98], v[174:175]
	v_mul_f64 v[109:110], v[95:96], v[174:175]
	s_waitcnt vmcnt(41)
	v_fma_f64 v[113:114], v[103:104], v[107:108], -v[113:114]
	v_fma_f64 v[107:108], v[105:106], v[107:108], v[141:142]
	ds_read_b128 v[103:106], v1 offset:1312
	v_add_f64 v[111:112], v[111:112], v[149:150]
	v_add_f64 v[2:3], v[2:3], v[152:153]
	s_waitcnt vmcnt(37) lgkmcnt(1)
	v_mul_f64 v[141:142], v[99:100], v[121:122]
	v_mul_f64 v[121:122], v[101:102], v[121:122]
	s_waitcnt vmcnt(36)
	v_fma_f64 v[149:150], v[95:96], v[179:180], -v[154:155]
	v_fma_f64 v[109:110], v[97:98], v[179:180], v[109:110]
	ds_read_b128 v[95:98], v1 offset:1328
	v_add_f64 v[111:112], v[111:112], v[113:114]
	v_add_f64 v[2:3], v[2:3], v[107:108]
	;; [unrolled: 9-line block ×5, first 2 shown]
	s_waitcnt vmcnt(21) lgkmcnt(1)
	v_mul_f64 v[113:114], v[105:106], v[123:124]
	s_waitcnt vmcnt(20)
	v_fma_f64 v[117:118], v[99:100], v[176:177], -v[121:122]
	v_mul_f64 v[107:108], v[103:104], v[123:124]
	v_add_f64 v[111:112], v[111:112], v[115:116]
	v_fma_f64 v[115:116], v[101:102], v[176:177], v[119:120]
	v_add_f64 v[2:3], v[2:3], v[109:110]
	ds_read_b128 v[99:102], v1 offset:1392
	s_waitcnt vmcnt(19) lgkmcnt(1)
	v_mul_f64 v[119:120], v[97:98], v[135:136]
	v_mul_f64 v[109:110], v[95:96], v[135:136]
	s_waitcnt vmcnt(17)
	v_fma_f64 v[113:114], v[103:104], v[127:128], -v[113:114]
	v_fma_f64 v[107:108], v[105:106], v[127:128], v[107:108]
	ds_read_b128 v[103:106], v1 offset:1408
	v_add_f64 v[111:112], v[111:112], v[117:118]
	v_add_f64 v[2:3], v[2:3], v[115:116]
	s_waitcnt vmcnt(13) lgkmcnt(1)
	v_mul_f64 v[117:118], v[101:102], v[125:126]
	s_waitcnt vmcnt(12)
	v_fma_f64 v[95:96], v[95:96], v[139:140], -v[119:120]
	v_mul_f64 v[115:116], v[99:100], v[125:126]
	v_fma_f64 v[97:98], v[97:98], v[139:140], v[109:110]
	v_add_f64 v[111:112], v[111:112], v[113:114]
	v_add_f64 v[107:108], v[2:3], v[107:108]
	ds_read_b128 v[1:4], v1 offset:1424
	s_waitcnt vmcnt(11) lgkmcnt(1)
	v_mul_f64 v[113:114], v[105:106], v[143:144]
	v_mul_f64 v[109:110], v[103:104], v[143:144]
	s_waitcnt vmcnt(9)
	v_fma_f64 v[99:100], v[99:100], v[129:130], -v[117:118]
	v_fma_f64 v[101:102], v[101:102], v[129:130], v[115:116]
	v_add_f64 v[95:96], v[111:112], v[95:96]
	v_add_f64 v[97:98], v[107:108], v[97:98]
	s_waitcnt vmcnt(7) lgkmcnt(0)
	v_mul_f64 v[111:112], v[3:4], v[133:134]
	s_waitcnt vmcnt(6)
	v_fma_f64 v[103:104], v[103:104], v[147:148], -v[113:114]
	v_mul_f64 v[107:108], v[1:2], v[133:134]
	v_add_f64 v[95:96], v[95:96], v[99:100]
	v_fma_f64 v[99:100], v[105:106], v[147:148], v[109:110]
	v_add_f64 v[97:98], v[97:98], v[101:102]
	s_waitcnt vmcnt(4)
	v_fma_f64 v[1:2], v[1:2], v[137:138], -v[111:112]
	v_fma_f64 v[3:4], v[3:4], v[137:138], v[107:108]
	v_add_f64 v[95:96], v[95:96], v[103:104]
	v_add_f64 v[97:98], v[97:98], v[99:100]
	;; [unrolled: 1-line block ×4, first 2 shown]
	s_waitcnt vmcnt(2)
	v_add_f64 v[1:2], v[145:146], -v[1:2]
	s_waitcnt vmcnt(0)
	v_add_f64 v[3:4], v[156:157], -v[3:4]
	buffer_store_dword v2, off, s[0:3], 0 offset:276
	buffer_store_dword v1, off, s[0:3], 0 offset:272
	;; [unrolled: 1-line block ×4, first 2 shown]
	v_cmpx_lt_u32_e32 15, v0
	s_cbranch_execz .LBB108_253
; %bb.252:
	v_mov_b32_e32 v4, s42
	v_mov_b32_e32 v95, 0
	s_clause 0x3
	buffer_load_dword v1, v4, s[0:3], 0 offen
	buffer_load_dword v2, v4, s[0:3], 0 offen offset:4
	buffer_load_dword v3, v4, s[0:3], 0 offen offset:8
	;; [unrolled: 1-line block ×3, first 2 shown]
	buffer_store_dword v95, off, s[0:3], 0 offset:256
	buffer_store_dword v95, off, s[0:3], 0 offset:260
	;; [unrolled: 1-line block ×4, first 2 shown]
	s_waitcnt vmcnt(0)
	ds_write_b128 v151, v[1:4]
.LBB108_253:
	s_or_b32 exec_lo, exec_lo, s4
	s_waitcnt lgkmcnt(0)
	s_waitcnt_vscnt null, 0x0
	s_barrier
	buffer_gl0_inv
	s_clause 0x37
	buffer_load_dword v99, off, s[0:3], 0 offset:280
	buffer_load_dword v100, off, s[0:3], 0 offset:284
	;; [unrolled: 1-line block ×56, first 2 shown]
	v_mov_b32_e32 v101, 0
	s_mov_b32 s4, exec_lo
	ds_read_b128 v[95:98], v101 offset:976
	s_clause 0x2
	buffer_load_dword v161, off, s[0:3], 0 offset:508
	buffer_load_dword v165, off, s[0:3], 0 offset:484
	;; [unrolled: 1-line block ×3, first 2 shown]
	ds_read_b128 v[102:105], v101 offset:992
	s_clause 0x4
	buffer_load_dword v169, off, s[0:3], 0 offset:524
	buffer_load_dword v170, off, s[0:3], 0 offset:536
	;; [unrolled: 1-line block ×5, first 2 shown]
	ds_read_b128 v[106:109], v101 offset:1008
	s_waitcnt vmcnt(62) lgkmcnt(2)
	v_mul_f64 v[166:167], v[97:98], v[99:100]
	v_mul_f64 v[99:100], v[95:96], v[99:100]
	s_waitcnt vmcnt(60) lgkmcnt(1)
	v_mul_f64 v[173:174], v[104:105], v[110:111]
	v_mul_f64 v[110:111], v[102:103], v[110:111]
	;; [unrolled: 3-line block ×3, first 2 shown]
	v_fma_f64 v[166:167], v[95:96], v[112:113], -v[166:167]
	v_fma_f64 v[99:100], v[97:98], v[112:113], v[99:100]
	s_clause 0x2
	buffer_load_dword v171, off, s[0:3], 0 offset:540
	buffer_load_dword v113, off, s[0:3], 0 offset:516
	;; [unrolled: 1-line block ×3, first 2 shown]
	s_waitcnt vmcnt(57)
	v_fma_f64 v[102:103], v[102:103], v[1:2], -v[173:174]
	ds_read_b128 v[95:98], v101 offset:1024
	v_fma_f64 v[104:105], v[104:105], v[1:2], v[110:111]
	s_clause 0x4
	buffer_load_dword v111, off, s[0:3], 0 offset:556
	buffer_load_dword v174, off, s[0:3], 0 offset:568
	;; [unrolled: 1-line block ×5, first 2 shown]
	s_waitcnt vmcnt(56)
	v_fma_f64 v[106:107], v[106:107], v[120:121], -v[177:178]
	ds_read_b128 v[1:4], v101 offset:1040
	v_fma_f64 v[108:109], v[108:109], v[120:121], v[175:176]
	s_clause 0x2
	buffer_load_dword v175, off, s[0:3], 0 offset:572
	buffer_load_dword v121, off, s[0:3], 0 offset:548
	;; [unrolled: 1-line block ×3, first 2 shown]
	v_add_f64 v[166:167], v[166:167], 0
	v_add_f64 v[99:100], v[99:100], 0
	s_waitcnt lgkmcnt(1)
	v_mul_f64 v[180:181], v[95:96], v[114:115]
	v_mul_f64 v[114:115], v[97:98], v[114:115]
	s_waitcnt vmcnt(58) lgkmcnt(0)
	v_mul_f64 v[176:177], v[1:2], v[116:117]
	v_mul_f64 v[116:117], v[3:4], v[116:117]
	v_add_f64 v[166:167], v[166:167], v[102:103]
	v_add_f64 v[99:100], v[99:100], v[104:105]
	ds_read_b128 v[102:105], v101 offset:1056
	s_waitcnt vmcnt(56)
	v_fma_f64 v[114:115], v[95:96], v[122:123], -v[114:115]
	v_fma_f64 v[122:123], v[97:98], v[122:123], v[180:181]
	s_waitcnt vmcnt(51)
	v_fma_f64 v[116:117], v[1:2], v[118:119], -v[116:117]
	s_waitcnt lgkmcnt(0)
	v_mul_f64 v[182:183], v[102:103], v[124:125]
	v_add_f64 v[106:107], v[166:167], v[106:107]
	v_add_f64 v[99:100], v[99:100], v[108:109]
	s_clause 0x4
	buffer_load_dword v109, off, s[0:3], 0 offset:588
	buffer_load_dword v166, off, s[0:3], 0 offset:600
	;; [unrolled: 1-line block ×5, first 2 shown]
	v_mul_f64 v[124:125], v[104:105], v[124:125]
	ds_read_b128 v[95:98], v101 offset:1072
	v_add_f64 v[106:107], v[106:107], v[114:115]
	v_fma_f64 v[114:115], v[3:4], v[118:119], v[176:177]
	v_add_f64 v[99:100], v[99:100], v[122:123]
	s_clause 0x2
	buffer_load_dword v167, off, s[0:3], 0 offset:604
	buffer_load_dword v119, off, s[0:3], 0 offset:580
	;; [unrolled: 1-line block ×3, first 2 shown]
	s_waitcnt vmcnt(58) lgkmcnt(0)
	v_mul_f64 v[122:123], v[95:96], v[126:127]
	v_mul_f64 v[126:127], v[97:98], v[126:127]
	s_waitcnt vmcnt(56)
	v_fma_f64 v[124:125], v[102:103], v[130:131], -v[124:125]
	ds_read_b128 v[1:4], v101 offset:1088
	v_add_f64 v[106:107], v[106:107], v[116:117]
	v_fma_f64 v[116:117], v[104:105], v[130:131], v[182:183]
	v_add_f64 v[99:100], v[99:100], v[114:115]
	s_clause 0x4
	buffer_load_dword v115, off, s[0:3], 0 offset:620
	buffer_load_dword v130, off, s[0:3], 0 offset:632
	;; [unrolled: 1-line block ×5, first 2 shown]
	ds_read_b128 v[102:105], v101 offset:1104
	s_waitcnt vmcnt(57) lgkmcnt(1)
	v_mul_f64 v[177:178], v[1:2], v[132:133]
	v_mul_f64 v[132:133], v[3:4], v[132:133]
	s_waitcnt vmcnt(56)
	v_fma_f64 v[126:127], v[95:96], v[128:129], -v[126:127]
	v_fma_f64 v[122:123], v[97:98], v[128:129], v[122:123]
	v_add_f64 v[106:107], v[106:107], v[124:125]
	v_add_f64 v[99:100], v[99:100], v[116:117]
	s_clause 0x2
	buffer_load_dword v131, off, s[0:3], 0 offset:636
	buffer_load_dword v117, off, s[0:3], 0 offset:612
	;; [unrolled: 1-line block ×3, first 2 shown]
	s_waitcnt vmcnt(58) lgkmcnt(0)
	v_mul_f64 v[128:129], v[104:105], v[134:135]
	ds_read_b128 v[95:98], v101 offset:1120
	s_waitcnt vmcnt(56)
	v_fma_f64 v[132:133], v[1:2], v[138:139], -v[132:133]
	v_mul_f64 v[124:125], v[102:103], v[134:135]
	v_add_f64 v[106:107], v[106:107], v[126:127]
	v_fma_f64 v[126:127], v[3:4], v[138:139], v[177:178]
	v_add_f64 v[99:100], v[99:100], v[122:123]
	s_clause 0x4
	buffer_load_dword v123, off, s[0:3], 0 offset:652
	buffer_load_dword v134, off, s[0:3], 0 offset:664
	buffer_load_dword v138, off, s[0:3], 0 offset:656
	buffer_load_dword v122, off, s[0:3], 0 offset:648
	buffer_load_dword v177, off, s[0:3], 0 offset:628
	s_waitcnt vmcnt(57) lgkmcnt(0)
	v_mul_f64 v[183:184], v[95:96], v[140:141]
	v_mul_f64 v[139:140], v[97:98], v[140:141]
	s_waitcnt vmcnt(56)
	v_fma_f64 v[128:129], v[102:103], v[136:137], -v[128:129]
	ds_read_b128 v[1:4], v101 offset:1136
	v_fma_f64 v[124:125], v[104:105], v[136:137], v[124:125]
	v_add_f64 v[106:107], v[106:107], v[132:133]
	v_add_f64 v[99:100], v[99:100], v[126:127]
	s_clause 0x2
	buffer_load_dword v135, off, s[0:3], 0 offset:668
	buffer_load_dword v127, off, s[0:3], 0 offset:644
	buffer_load_dword v126, off, s[0:3], 0 offset:640
	ds_read_b128 v[102:105], v101 offset:1152
	s_waitcnt vmcnt(58) lgkmcnt(1)
	v_mul_f64 v[136:137], v[3:4], v[142:143]
	s_waitcnt vmcnt(56)
	v_fma_f64 v[140:141], v[95:96], v[146:147], -v[139:140]
	v_mul_f64 v[132:133], v[1:2], v[142:143]
	v_add_f64 v[106:107], v[106:107], v[128:129]
	v_fma_f64 v[128:129], v[97:98], v[146:147], v[183:184]
	v_add_f64 v[99:100], v[99:100], v[124:125]
	s_clause 0x4
	buffer_load_dword v125, off, s[0:3], 0 offset:684
	buffer_load_dword v142, off, s[0:3], 0 offset:696
	buffer_load_dword v146, off, s[0:3], 0 offset:688
	buffer_load_dword v124, off, s[0:3], 0 offset:680
	buffer_load_dword v139, off, s[0:3], 0 offset:660
	s_waitcnt vmcnt(57) lgkmcnt(0)
	v_mul_f64 v[183:184], v[102:103], v[148:149]
	v_mul_f64 v[147:148], v[104:105], v[148:149]
	s_waitcnt vmcnt(56)
	v_fma_f64 v[136:137], v[1:2], v[144:145], -v[136:137]
	ds_read_b128 v[95:98], v101 offset:1168
	v_fma_f64 v[132:133], v[3:4], v[144:145], v[132:133]
	v_add_f64 v[106:107], v[106:107], v[140:141]
	v_add_f64 v[99:100], v[99:100], v[128:129]
	s_clause 0x2
	buffer_load_dword v143, off, s[0:3], 0 offset:700
	buffer_load_dword v129, off, s[0:3], 0 offset:676
	buffer_load_dword v128, off, s[0:3], 0 offset:672
	ds_read_b128 v[1:4], v101 offset:1184
	s_waitcnt vmcnt(58) lgkmcnt(1)
	v_mul_f64 v[144:145], v[97:98], v[152:153]
	;; [unrolled: 28-line block ×3, first 2 shown]
	s_waitcnt vmcnt(56)
	v_fma_f64 v[158:159], v[1:2], v[164:165], -v[157:158]
	v_mul_f64 v[148:149], v[102:103], v[160:161]
	buffer_load_dword v157, off, s[0:3], 0 offset:724
	v_add_f64 v[106:107], v[106:107], v[144:145]
	v_fma_f64 v[144:145], v[3:4], v[164:165], v[183:184]
	v_add_f64 v[99:100], v[99:100], v[140:141]
	ds_read_b128 v[1:4], v101 offset:1232
	s_waitcnt vmcnt(53) lgkmcnt(1)
	v_mul_f64 v[160:161], v[97:98], v[168:169]
	s_waitcnt vmcnt(52)
	v_fma_f64 v[154:155], v[102:103], v[162:163], -v[154:155]
	v_mul_f64 v[140:141], v[95:96], v[168:169]
	v_fma_f64 v[148:149], v[104:105], v[162:163], v[148:149]
	ds_read_b128 v[102:105], v101 offset:1248
	v_add_f64 v[106:107], v[106:107], v[158:159]
	v_add_f64 v[99:100], v[99:100], v[144:145]
	s_waitcnt vmcnt(51) lgkmcnt(1)
	v_mul_f64 v[158:159], v[3:4], v[170:171]
	v_mul_f64 v[144:145], v[1:2], v[170:171]
	s_waitcnt vmcnt(49)
	v_fma_f64 v[160:161], v[95:96], v[112:113], -v[160:161]
	v_fma_f64 v[112:113], v[97:98], v[112:113], v[140:141]
	v_add_f64 v[106:107], v[106:107], v[154:155]
	s_waitcnt vmcnt(45) lgkmcnt(0)
	v_mul_f64 v[154:155], v[102:103], v[110:111]
	v_add_f64 v[99:100], v[99:100], v[148:149]
	s_clause 0x3
	buffer_load_dword v140, off, s[0:3], 0 offset:256
	buffer_load_dword v141, off, s[0:3], 0 offset:260
	;; [unrolled: 1-line block ×4, first 2 shown]
	v_mul_f64 v[110:111], v[104:105], v[110:111]
	ds_read_b128 v[95:98], v101 offset:1264
	s_waitcnt vmcnt(48)
	v_fma_f64 v[158:159], v[1:2], v[172:173], -v[158:159]
	v_fma_f64 v[144:145], v[3:4], v[172:173], v[144:145]
	ds_read_b128 v[1:4], v101 offset:1280
	v_add_f64 v[106:107], v[106:107], v[160:161]
	v_add_f64 v[99:100], v[99:100], v[112:113]
	s_waitcnt vmcnt(47) lgkmcnt(1)
	v_mul_f64 v[160:161], v[97:98], v[174:175]
	s_waitcnt vmcnt(45)
	v_fma_f64 v[110:111], v[102:103], v[120:121], -v[110:111]
	v_mul_f64 v[112:113], v[95:96], v[174:175]
	v_fma_f64 v[120:121], v[104:105], v[120:121], v[154:155]
	ds_read_b128 v[102:105], v101 offset:1296
	v_add_f64 v[106:107], v[106:107], v[158:159]
	v_add_f64 v[99:100], v[99:100], v[144:145]
	s_waitcnt vmcnt(41) lgkmcnt(1)
	v_mul_f64 v[144:145], v[1:2], v[108:109]
	v_mul_f64 v[108:109], v[3:4], v[108:109]
	s_waitcnt vmcnt(40)
	v_fma_f64 v[154:155], v[95:96], v[179:180], -v[160:161]
	v_add_f64 v[106:107], v[106:107], v[110:111]
	v_fma_f64 v[110:111], v[97:98], v[179:180], v[112:113]
	v_add_f64 v[99:100], v[99:100], v[120:121]
	ds_read_b128 v[95:98], v101 offset:1312
	s_waitcnt vmcnt(39) lgkmcnt(1)
	v_mul_f64 v[120:121], v[104:105], v[166:167]
	v_mul_f64 v[112:113], v[102:103], v[166:167]
	s_waitcnt vmcnt(37)
	v_fma_f64 v[108:109], v[1:2], v[118:119], -v[108:109]
	v_fma_f64 v[118:119], v[3:4], v[118:119], v[144:145]
	ds_read_b128 v[1:4], v101 offset:1328
	v_add_f64 v[106:107], v[106:107], v[154:155]
	v_add_f64 v[99:100], v[99:100], v[110:111]
	s_waitcnt vmcnt(33) lgkmcnt(1)
	v_mul_f64 v[110:111], v[95:96], v[114:115]
	v_mul_f64 v[114:115], v[97:98], v[114:115]
	s_waitcnt vmcnt(32)
	v_fma_f64 v[120:121], v[102:103], v[181:182], -v[120:121]
	v_add_f64 v[106:107], v[106:107], v[108:109]
	v_fma_f64 v[108:109], v[104:105], v[181:182], v[112:113]
	v_add_f64 v[99:100], v[99:100], v[118:119]
	ds_read_b128 v[102:105], v101 offset:1344
	s_waitcnt vmcnt(31) lgkmcnt(1)
	v_mul_f64 v[118:119], v[3:4], v[130:131]
	v_mul_f64 v[112:113], v[1:2], v[130:131]
	s_waitcnt vmcnt(29)
	v_fma_f64 v[114:115], v[95:96], v[116:117], -v[114:115]
	v_fma_f64 v[110:111], v[97:98], v[116:117], v[110:111]
	ds_read_b128 v[95:98], v101 offset:1360
	v_add_f64 v[106:107], v[106:107], v[120:121]
	v_add_f64 v[99:100], v[99:100], v[108:109]
	s_waitcnt vmcnt(25) lgkmcnt(1)
	v_mul_f64 v[116:117], v[104:105], v[122:123]
	s_waitcnt vmcnt(24)
	v_fma_f64 v[118:119], v[1:2], v[176:177], -v[118:119]
	v_mul_f64 v[108:109], v[102:103], v[122:123]
	v_fma_f64 v[112:113], v[3:4], v[176:177], v[112:113]
	ds_read_b128 v[1:4], v101 offset:1376
	v_add_f64 v[106:107], v[106:107], v[114:115]
	v_add_f64 v[99:100], v[99:100], v[110:111]
	s_waitcnt vmcnt(23) lgkmcnt(1)
	v_mul_f64 v[114:115], v[97:98], v[134:135]
	v_mul_f64 v[110:111], v[95:96], v[134:135]
	s_waitcnt vmcnt(21)
	v_fma_f64 v[116:117], v[102:103], v[126:127], -v[116:117]
	v_fma_f64 v[108:109], v[104:105], v[126:127], v[108:109]
	ds_read_b128 v[102:105], v101 offset:1392
	v_add_f64 v[106:107], v[106:107], v[118:119]
	v_add_f64 v[99:100], v[99:100], v[112:113]
	s_waitcnt vmcnt(17) lgkmcnt(1)
	v_mul_f64 v[118:119], v[3:4], v[124:125]
	s_waitcnt vmcnt(16)
	v_fma_f64 v[114:115], v[95:96], v[138:139], -v[114:115]
	v_mul_f64 v[112:113], v[1:2], v[124:125]
	v_fma_f64 v[110:111], v[97:98], v[138:139], v[110:111]
	ds_read_b128 v[95:98], v101 offset:1408
	v_add_f64 v[106:107], v[106:107], v[116:117]
	v_add_f64 v[99:100], v[99:100], v[108:109]
	s_waitcnt vmcnt(15) lgkmcnt(1)
	v_mul_f64 v[116:117], v[104:105], v[142:143]
	v_mul_f64 v[108:109], v[102:103], v[142:143]
	s_waitcnt vmcnt(13)
	v_fma_f64 v[118:119], v[1:2], v[128:129], -v[118:119]
	v_fma_f64 v[112:113], v[3:4], v[128:129], v[112:113]
	ds_read_b128 v[1:4], v101 offset:1424
	v_add_f64 v[106:107], v[106:107], v[114:115]
	v_add_f64 v[99:100], v[99:100], v[110:111]
	s_waitcnt vmcnt(9) lgkmcnt(1)
	v_mul_f64 v[114:115], v[97:98], v[132:133]
	s_waitcnt vmcnt(8)
	v_fma_f64 v[102:103], v[102:103], v[146:147], -v[116:117]
	v_mul_f64 v[110:111], v[95:96], v[132:133]
	v_fma_f64 v[104:105], v[104:105], v[146:147], v[108:109]
	v_add_f64 v[106:107], v[106:107], v[118:119]
	v_add_f64 v[99:100], v[99:100], v[112:113]
	s_waitcnt vmcnt(7) lgkmcnt(0)
	v_mul_f64 v[112:113], v[3:4], v[152:153]
	v_mul_f64 v[108:109], v[1:2], v[152:153]
	s_waitcnt vmcnt(5)
	v_fma_f64 v[95:96], v[95:96], v[136:137], -v[114:115]
	v_fma_f64 v[97:98], v[97:98], v[136:137], v[110:111]
	v_add_f64 v[102:103], v[106:107], v[102:103]
	v_add_f64 v[99:100], v[99:100], v[104:105]
	s_waitcnt vmcnt(4)
	v_fma_f64 v[1:2], v[1:2], v[156:157], -v[112:113]
	v_fma_f64 v[3:4], v[3:4], v[156:157], v[108:109]
	v_add_f64 v[95:96], v[102:103], v[95:96]
	v_add_f64 v[97:98], v[99:100], v[97:98]
	;; [unrolled: 1-line block ×4, first 2 shown]
	s_waitcnt vmcnt(2)
	v_add_f64 v[1:2], v[140:141], -v[1:2]
	s_waitcnt vmcnt(0)
	v_add_f64 v[3:4], v[148:149], -v[3:4]
	buffer_store_dword v2, off, s[0:3], 0 offset:260
	buffer_store_dword v1, off, s[0:3], 0 offset:256
	buffer_store_dword v4, off, s[0:3], 0 offset:268
	buffer_store_dword v3, off, s[0:3], 0 offset:264
	v_cmpx_lt_u32_e32 14, v0
	s_cbranch_execz .LBB108_255
; %bb.254:
	v_mov_b32_e32 v4, s43
	s_clause 0x3
	buffer_load_dword v1, v4, s[0:3], 0 offen
	buffer_load_dword v2, v4, s[0:3], 0 offen offset:4
	buffer_load_dword v3, v4, s[0:3], 0 offen offset:8
	;; [unrolled: 1-line block ×3, first 2 shown]
	buffer_store_dword v101, off, s[0:3], 0 offset:240
	buffer_store_dword v101, off, s[0:3], 0 offset:244
	;; [unrolled: 1-line block ×4, first 2 shown]
	s_waitcnt vmcnt(0)
	ds_write_b128 v151, v[1:4]
.LBB108_255:
	s_or_b32 exec_lo, exec_lo, s4
	s_waitcnt lgkmcnt(0)
	s_waitcnt_vscnt null, 0x0
	s_barrier
	buffer_gl0_inv
	s_clause 0x37
	buffer_load_dword v99, off, s[0:3], 0 offset:264
	buffer_load_dword v100, off, s[0:3], 0 offset:268
	;; [unrolled: 1-line block ×56, first 2 shown]
	ds_read_b128 v[102:105], v101 offset:960
	s_clause 0x2
	buffer_load_dword v161, off, s[0:3], 0 offset:492
	buffer_load_dword v165, off, s[0:3], 0 offset:468
	;; [unrolled: 1-line block ×3, first 2 shown]
	ds_read_b128 v[106:109], v101 offset:976
	s_clause 0x4
	buffer_load_dword v169, off, s[0:3], 0 offset:508
	buffer_load_dword v170, off, s[0:3], 0 offset:520
	;; [unrolled: 1-line block ×5, first 2 shown]
	ds_read_b128 v[110:113], v101 offset:992
	s_clause 0x2
	buffer_load_dword v171, off, s[0:3], 0 offset:524
	buffer_load_dword v176, off, s[0:3], 0 offset:500
	;; [unrolled: 1-line block ×3, first 2 shown]
	s_mov_b32 s4, exec_lo
	s_waitcnt vmcnt(62) lgkmcnt(2)
	v_mul_f64 v[166:167], v[104:105], v[99:100]
	v_mul_f64 v[99:100], v[102:103], v[99:100]
	s_waitcnt lgkmcnt(1)
	v_mul_f64 v[173:174], v[108:109], v[95:96]
	s_waitcnt vmcnt(59) lgkmcnt(0)
	v_mul_f64 v[177:178], v[112:113], v[3:4]
	v_fma_f64 v[102:103], v[102:103], v[97:98], -v[166:167]
	v_mul_f64 v[166:167], v[106:107], v[95:96]
	v_fma_f64 v[99:100], v[104:105], v[97:98], v[99:100]
	s_waitcnt vmcnt(57)
	v_fma_f64 v[106:107], v[106:107], v[1:2], -v[173:174]
	ds_read_b128 v[95:98], v101 offset:1008
	v_mul_f64 v[104:105], v[110:111], v[3:4]
	s_waitcnt vmcnt(51)
	v_fma_f64 v[110:111], v[110:111], v[120:121], -v[177:178]
	v_add_f64 v[102:103], v[102:103], 0
	v_fma_f64 v[108:109], v[108:109], v[1:2], v[166:167]
	v_add_f64 v[99:100], v[99:100], 0
	s_clause 0x4
	buffer_load_dword v167, off, s[0:3], 0 offset:540
	buffer_load_dword v179, off, s[0:3], 0 offset:552
	;; [unrolled: 1-line block ×5, first 2 shown]
	s_waitcnt lgkmcnt(0)
	v_mul_f64 v[182:183], v[95:96], v[114:115]
	v_mul_f64 v[114:115], v[97:98], v[114:115]
	ds_read_b128 v[1:4], v101 offset:1024
	v_fma_f64 v[112:113], v[112:113], v[120:121], v[104:105]
	v_add_f64 v[106:107], v[102:103], v[106:107]
	v_add_f64 v[99:100], v[99:100], v[108:109]
	s_clause 0x2
	buffer_load_dword v180, off, s[0:3], 0 offset:556
	buffer_load_dword v109, off, s[0:3], 0 offset:532
	;; [unrolled: 1-line block ×3, first 2 shown]
	s_waitcnt vmcnt(58) lgkmcnt(0)
	v_mul_f64 v[120:121], v[1:2], v[116:117]
	v_mul_f64 v[116:117], v[3:4], v[116:117]
	s_waitcnt vmcnt(56)
	v_fma_f64 v[114:115], v[95:96], v[122:123], -v[114:115]
	ds_read_b128 v[102:105], v101 offset:1040
	v_add_f64 v[106:107], v[106:107], v[110:111]
	v_fma_f64 v[110:111], v[97:98], v[122:123], v[182:183]
	v_add_f64 v[99:100], v[99:100], v[112:113]
	s_clause 0x4
	buffer_load_dword v113, off, s[0:3], 0 offset:572
	buffer_load_dword v122, off, s[0:3], 0 offset:584
	;; [unrolled: 1-line block ×5, first 2 shown]
	ds_read_b128 v[95:98], v101 offset:1056
	s_waitcnt vmcnt(57) lgkmcnt(1)
	v_mul_f64 v[183:184], v[102:103], v[124:125]
	v_mul_f64 v[124:125], v[104:105], v[124:125]
	s_waitcnt vmcnt(56)
	v_fma_f64 v[116:117], v[1:2], v[118:119], -v[116:117]
	v_add_f64 v[106:107], v[106:107], v[114:115]
	v_fma_f64 v[114:115], v[3:4], v[118:119], v[120:121]
	v_add_f64 v[99:100], v[99:100], v[110:111]
	s_clause 0x2
	buffer_load_dword v123, off, s[0:3], 0 offset:588
	buffer_load_dword v111, off, s[0:3], 0 offset:564
	buffer_load_dword v110, off, s[0:3], 0 offset:560
	s_waitcnt vmcnt(58) lgkmcnt(0)
	v_mul_f64 v[120:121], v[97:98], v[126:127]
	ds_read_b128 v[1:4], v101 offset:1072
	s_waitcnt vmcnt(56)
	v_fma_f64 v[124:125], v[102:103], v[130:131], -v[124:125]
	v_mul_f64 v[118:119], v[95:96], v[126:127]
	v_add_f64 v[106:107], v[106:107], v[116:117]
	v_fma_f64 v[116:117], v[104:105], v[130:131], v[183:184]
	v_add_f64 v[99:100], v[99:100], v[114:115]
	s_clause 0x4
	buffer_load_dword v115, off, s[0:3], 0 offset:604
	buffer_load_dword v126, off, s[0:3], 0 offset:616
	buffer_load_dword v130, off, s[0:3], 0 offset:608
	buffer_load_dword v114, off, s[0:3], 0 offset:600
	buffer_load_dword v178, off, s[0:3], 0 offset:580
	s_waitcnt vmcnt(57) lgkmcnt(0)
	v_mul_f64 v[183:184], v[1:2], v[132:133]
	v_mul_f64 v[131:132], v[3:4], v[132:133]
	s_waitcnt vmcnt(56)
	v_fma_f64 v[120:121], v[95:96], v[128:129], -v[120:121]
	ds_read_b128 v[102:105], v101 offset:1088
	v_fma_f64 v[118:119], v[97:98], v[128:129], v[118:119]
	v_add_f64 v[106:107], v[106:107], v[124:125]
	v_add_f64 v[99:100], v[99:100], v[116:117]
	s_clause 0x2
	buffer_load_dword v127, off, s[0:3], 0 offset:620
	buffer_load_dword v117, off, s[0:3], 0 offset:596
	buffer_load_dword v116, off, s[0:3], 0 offset:592
	ds_read_b128 v[95:98], v101 offset:1104
	s_waitcnt vmcnt(58) lgkmcnt(1)
	v_mul_f64 v[128:129], v[104:105], v[134:135]
	s_waitcnt vmcnt(56)
	v_fma_f64 v[132:133], v[1:2], v[138:139], -v[131:132]
	v_mul_f64 v[124:125], v[102:103], v[134:135]
	v_add_f64 v[106:107], v[106:107], v[120:121]
	v_fma_f64 v[120:121], v[3:4], v[138:139], v[183:184]
	v_add_f64 v[99:100], v[99:100], v[118:119]
	s_clause 0x4
	buffer_load_dword v119, off, s[0:3], 0 offset:636
	buffer_load_dword v134, off, s[0:3], 0 offset:648
	buffer_load_dword v138, off, s[0:3], 0 offset:640
	buffer_load_dword v118, off, s[0:3], 0 offset:632
	buffer_load_dword v131, off, s[0:3], 0 offset:612
	s_waitcnt vmcnt(57) lgkmcnt(0)
	v_mul_f64 v[183:184], v[95:96], v[140:141]
	v_mul_f64 v[139:140], v[97:98], v[140:141]
	s_waitcnt vmcnt(56)
	v_fma_f64 v[128:129], v[102:103], v[136:137], -v[128:129]
	ds_read_b128 v[1:4], v101 offset:1120
	v_fma_f64 v[124:125], v[104:105], v[136:137], v[124:125]
	v_add_f64 v[106:107], v[106:107], v[132:133]
	v_add_f64 v[99:100], v[99:100], v[120:121]
	s_clause 0x2
	buffer_load_dword v135, off, s[0:3], 0 offset:652
	buffer_load_dword v121, off, s[0:3], 0 offset:628
	buffer_load_dword v120, off, s[0:3], 0 offset:624
	ds_read_b128 v[102:105], v101 offset:1136
	s_waitcnt vmcnt(58) lgkmcnt(1)
	v_mul_f64 v[136:137], v[3:4], v[142:143]
	;; [unrolled: 28-line block ×4, first 2 shown]
	s_waitcnt vmcnt(56)
	v_fma_f64 v[158:159], v[1:2], v[164:165], -v[157:158]
	v_mul_f64 v[148:149], v[102:103], v[160:161]
	v_add_f64 v[106:107], v[106:107], v[144:145]
	v_fma_f64 v[144:145], v[3:4], v[164:165], v[183:184]
	v_add_f64 v[99:100], v[99:100], v[140:141]
	s_clause 0x2
	buffer_load_dword v141, off, s[0:3], 0 offset:732
	buffer_load_dword v140, off, s[0:3], 0 offset:728
	;; [unrolled: 1-line block ×3, first 2 shown]
	s_waitcnt vmcnt(55) lgkmcnt(0)
	v_mul_f64 v[164:165], v[97:98], v[168:169]
	s_waitcnt vmcnt(54)
	v_fma_f64 v[154:155], v[102:103], v[162:163], -v[154:155]
	ds_read_b128 v[1:4], v101 offset:1216
	v_mul_f64 v[160:161], v[95:96], v[168:169]
	v_fma_f64 v[148:149], v[104:105], v[162:163], v[148:149]
	v_add_f64 v[106:107], v[106:107], v[158:159]
	v_add_f64 v[99:100], v[99:100], v[144:145]
	s_clause 0x1
	buffer_load_dword v145, off, s[0:3], 0 offset:724
	buffer_load_dword v144, off, s[0:3], 0 offset:720
	s_waitcnt vmcnt(55) lgkmcnt(0)
	v_mul_f64 v[162:163], v[3:4], v[170:171]
	s_waitcnt vmcnt(53)
	v_fma_f64 v[164:165], v[95:96], v[175:176], -v[164:165]
	ds_read_b128 v[102:105], v101 offset:1232
	v_mul_f64 v[158:159], v[1:2], v[170:171]
	v_add_f64 v[106:107], v[106:107], v[154:155]
	v_fma_f64 v[154:155], v[97:98], v[175:176], v[160:161]
	v_add_f64 v[99:100], v[99:100], v[148:149]
	ds_read_b128 v[95:98], v101 offset:1248
	s_waitcnt vmcnt(49) lgkmcnt(1)
	v_mul_f64 v[160:161], v[104:105], v[166:167]
	s_waitcnt vmcnt(48)
	v_fma_f64 v[162:163], v[1:2], v[172:173], -v[162:163]
	v_mul_f64 v[148:149], v[102:103], v[166:167]
	v_fma_f64 v[158:159], v[3:4], v[172:173], v[158:159]
	v_add_f64 v[106:107], v[106:107], v[164:165]
	v_add_f64 v[99:100], v[99:100], v[154:155]
	s_clause 0x3
	buffer_load_dword v154, off, s[0:3], 0 offset:240
	buffer_load_dword v155, off, s[0:3], 0 offset:244
	;; [unrolled: 1-line block ×4, first 2 shown]
	ds_read_b128 v[1:4], v101 offset:1264
	s_waitcnt vmcnt(51) lgkmcnt(1)
	v_mul_f64 v[168:169], v[97:98], v[179:180]
	v_mul_f64 v[166:167], v[95:96], v[179:180]
	s_waitcnt vmcnt(49)
	v_fma_f64 v[160:161], v[102:103], v[108:109], -v[160:161]
	v_fma_f64 v[108:109], v[104:105], v[108:109], v[148:149]
	ds_read_b128 v[102:105], v101 offset:1280
	v_add_f64 v[106:107], v[106:107], v[162:163]
	v_add_f64 v[99:100], v[99:100], v[158:159]
	s_waitcnt vmcnt(45) lgkmcnt(1)
	v_mul_f64 v[148:149], v[1:2], v[112:113]
	v_mul_f64 v[112:113], v[3:4], v[112:113]
	s_waitcnt vmcnt(44)
	v_fma_f64 v[158:159], v[95:96], v[181:182], -v[168:169]
	v_add_f64 v[106:107], v[106:107], v[160:161]
	v_fma_f64 v[160:161], v[97:98], v[181:182], v[166:167]
	v_add_f64 v[99:100], v[99:100], v[108:109]
	ds_read_b128 v[95:98], v101 offset:1296
	s_waitcnt vmcnt(43) lgkmcnt(1)
	v_mul_f64 v[108:109], v[102:103], v[122:123]
	v_mul_f64 v[122:123], v[104:105], v[122:123]
	s_waitcnt vmcnt(41)
	v_fma_f64 v[112:113], v[1:2], v[110:111], -v[112:113]
	v_fma_f64 v[110:111], v[3:4], v[110:111], v[148:149]
	ds_read_b128 v[1:4], v101 offset:1312
	v_add_f64 v[106:107], v[106:107], v[158:159]
	v_add_f64 v[99:100], v[99:100], v[160:161]
	s_waitcnt vmcnt(37) lgkmcnt(1)
	v_mul_f64 v[148:149], v[95:96], v[114:115]
	v_mul_f64 v[114:115], v[97:98], v[114:115]
	s_waitcnt vmcnt(36)
	v_fma_f64 v[122:123], v[102:103], v[177:178], -v[122:123]
	v_fma_f64 v[108:109], v[104:105], v[177:178], v[108:109]
	ds_read_b128 v[102:105], v101 offset:1328
	v_add_f64 v[106:107], v[106:107], v[112:113]
	v_add_f64 v[99:100], v[99:100], v[110:111]
	;; [unrolled: 9-line block ×5, first 2 shown]
	s_waitcnt vmcnt(21) lgkmcnt(1)
	v_mul_f64 v[112:113], v[3:4], v[124:125]
	s_waitcnt vmcnt(20)
	v_fma_f64 v[116:117], v[95:96], v[138:139], -v[116:117]
	v_mul_f64 v[110:111], v[1:2], v[124:125]
	v_fma_f64 v[114:115], v[97:98], v[138:139], v[114:115]
	ds_read_b128 v[95:98], v101 offset:1392
	v_add_f64 v[106:107], v[106:107], v[118:119]
	v_add_f64 v[99:100], v[99:100], v[108:109]
	s_waitcnt vmcnt(19) lgkmcnt(1)
	v_mul_f64 v[118:119], v[104:105], v[142:143]
	v_mul_f64 v[108:109], v[102:103], v[142:143]
	s_waitcnt vmcnt(17)
	v_fma_f64 v[112:113], v[1:2], v[128:129], -v[112:113]
	v_fma_f64 v[110:111], v[3:4], v[128:129], v[110:111]
	ds_read_b128 v[1:4], v101 offset:1408
	v_add_f64 v[106:107], v[106:107], v[116:117]
	v_add_f64 v[99:100], v[99:100], v[114:115]
	s_waitcnt vmcnt(13) lgkmcnt(1)
	v_mul_f64 v[116:117], v[97:98], v[132:133]
	s_waitcnt vmcnt(12)
	v_fma_f64 v[118:119], v[102:103], v[146:147], -v[118:119]
	v_mul_f64 v[114:115], v[95:96], v[132:133]
	v_fma_f64 v[103:104], v[104:105], v[146:147], v[108:109]
	v_add_f64 v[106:107], v[106:107], v[112:113]
	v_add_f64 v[108:109], v[99:100], v[110:111]
	ds_read_b128 v[99:102], v101 offset:1424
	s_waitcnt vmcnt(11) lgkmcnt(1)
	v_mul_f64 v[112:113], v[3:4], v[152:153]
	v_mul_f64 v[110:111], v[1:2], v[152:153]
	s_waitcnt vmcnt(9)
	v_fma_f64 v[95:96], v[95:96], v[136:137], -v[116:117]
	v_fma_f64 v[97:98], v[97:98], v[136:137], v[114:115]
	v_add_f64 v[105:106], v[106:107], v[118:119]
	v_add_f64 v[103:104], v[108:109], v[103:104]
	s_waitcnt vmcnt(7) lgkmcnt(0)
	v_mul_f64 v[114:115], v[101:102], v[140:141]
	s_waitcnt vmcnt(6)
	v_fma_f64 v[1:2], v[1:2], v[156:157], -v[112:113]
	v_mul_f64 v[107:108], v[99:100], v[140:141]
	v_fma_f64 v[3:4], v[3:4], v[156:157], v[110:111]
	v_add_f64 v[95:96], v[105:106], v[95:96]
	v_add_f64 v[97:98], v[103:104], v[97:98]
	s_waitcnt vmcnt(4)
	v_fma_f64 v[99:100], v[99:100], v[144:145], -v[114:115]
	v_add_f64 v[1:2], v[95:96], v[1:2]
	v_fma_f64 v[95:96], v[101:102], v[144:145], v[107:108]
	v_add_f64 v[3:4], v[97:98], v[3:4]
	v_add_f64 v[1:2], v[1:2], v[99:100]
	;; [unrolled: 1-line block ×3, first 2 shown]
	s_waitcnt vmcnt(2)
	v_add_f64 v[1:2], v[154:155], -v[1:2]
	s_waitcnt vmcnt(0)
	v_add_f64 v[3:4], v[164:165], -v[3:4]
	buffer_store_dword v2, off, s[0:3], 0 offset:244
	buffer_store_dword v1, off, s[0:3], 0 offset:240
	buffer_store_dword v4, off, s[0:3], 0 offset:252
	buffer_store_dword v3, off, s[0:3], 0 offset:248
	v_cmpx_lt_u32_e32 13, v0
	s_cbranch_execz .LBB108_257
; %bb.256:
	v_mov_b32_e32 v4, s44
	v_mov_b32_e32 v95, 0
	s_clause 0x3
	buffer_load_dword v1, v4, s[0:3], 0 offen
	buffer_load_dword v2, v4, s[0:3], 0 offen offset:4
	buffer_load_dword v3, v4, s[0:3], 0 offen offset:8
	;; [unrolled: 1-line block ×3, first 2 shown]
	buffer_store_dword v95, off, s[0:3], 0 offset:224
	buffer_store_dword v95, off, s[0:3], 0 offset:228
	;; [unrolled: 1-line block ×4, first 2 shown]
	s_waitcnt vmcnt(0)
	ds_write_b128 v151, v[1:4]
.LBB108_257:
	s_or_b32 exec_lo, exec_lo, s4
	s_waitcnt lgkmcnt(0)
	s_waitcnt_vscnt null, 0x0
	s_barrier
	buffer_gl0_inv
	s_clause 0x37
	buffer_load_dword v99, off, s[0:3], 0 offset:248
	buffer_load_dword v100, off, s[0:3], 0 offset:252
	buffer_load_dword v95, off, s[0:3], 0 offset:264
	buffer_load_dword v96, off, s[0:3], 0 offset:268
	buffer_load_dword v97, off, s[0:3], 0 offset:240
	buffer_load_dword v98, off, s[0:3], 0 offset:244
	buffer_load_dword v3, off, s[0:3], 0 offset:280
	buffer_load_dword v4, off, s[0:3], 0 offset:284
	buffer_load_dword v1, off, s[0:3], 0 offset:256
	buffer_load_dword v2, off, s[0:3], 0 offset:260
	buffer_load_dword v104, off, s[0:3], 0 offset:300
	buffer_load_dword v120, off, s[0:3], 0 offset:312
	buffer_load_dword v101, off, s[0:3], 0 offset:304
	buffer_load_dword v103, off, s[0:3], 0 offset:296
	buffer_load_dword v122, off, s[0:3], 0 offset:272
	buffer_load_dword v123, off, s[0:3], 0 offset:276
	buffer_load_dword v121, off, s[0:3], 0 offset:316
	buffer_load_dword v125, off, s[0:3], 0 offset:292
	buffer_load_dword v124, off, s[0:3], 0 offset:288
	buffer_load_dword v127, off, s[0:3], 0 offset:332
	buffer_load_dword v128, off, s[0:3], 0 offset:344
	buffer_load_dword v105, off, s[0:3], 0 offset:336
	buffer_load_dword v126, off, s[0:3], 0 offset:328
	buffer_load_dword v102, off, s[0:3], 0 offset:308
	buffer_load_dword v129, off, s[0:3], 0 offset:348
	buffer_load_dword v131, off, s[0:3], 0 offset:324
	buffer_load_dword v130, off, s[0:3], 0 offset:320
	buffer_load_dword v133, off, s[0:3], 0 offset:364
	buffer_load_dword v134, off, s[0:3], 0 offset:376
	buffer_load_dword v136, off, s[0:3], 0 offset:368
	buffer_load_dword v132, off, s[0:3], 0 offset:360
	buffer_load_dword v106, off, s[0:3], 0 offset:340
	buffer_load_dword v135, off, s[0:3], 0 offset:380
	buffer_load_dword v139, off, s[0:3], 0 offset:356
	buffer_load_dword v138, off, s[0:3], 0 offset:352
	buffer_load_dword v141, off, s[0:3], 0 offset:396
	buffer_load_dword v142, off, s[0:3], 0 offset:408
	buffer_load_dword v144, off, s[0:3], 0 offset:400
	buffer_load_dword v140, off, s[0:3], 0 offset:392
	buffer_load_dword v137, off, s[0:3], 0 offset:372
	buffer_load_dword v143, off, s[0:3], 0 offset:412
	buffer_load_dword v147, off, s[0:3], 0 offset:388
	buffer_load_dword v146, off, s[0:3], 0 offset:384
	buffer_load_dword v149, off, s[0:3], 0 offset:428
	buffer_load_dword v152, off, s[0:3], 0 offset:440
	buffer_load_dword v154, off, s[0:3], 0 offset:432
	buffer_load_dword v148, off, s[0:3], 0 offset:424
	buffer_load_dword v145, off, s[0:3], 0 offset:404
	buffer_load_dword v153, off, s[0:3], 0 offset:444
	buffer_load_dword v157, off, s[0:3], 0 offset:420
	buffer_load_dword v156, off, s[0:3], 0 offset:416
	buffer_load_dword v159, off, s[0:3], 0 offset:460
	buffer_load_dword v160, off, s[0:3], 0 offset:472
	buffer_load_dword v162, off, s[0:3], 0 offset:464
	buffer_load_dword v158, off, s[0:3], 0 offset:456
	buffer_load_dword v155, off, s[0:3], 0 offset:436
	v_mov_b32_e32 v119, 0
	s_mov_b32 s4, exec_lo
	ds_read_b128 v[107:110], v119 offset:944
	s_clause 0x2
	buffer_load_dword v161, off, s[0:3], 0 offset:476
	buffer_load_dword v165, off, s[0:3], 0 offset:452
	;; [unrolled: 1-line block ×3, first 2 shown]
	ds_read_b128 v[111:114], v119 offset:960
	s_clause 0x4
	buffer_load_dword v169, off, s[0:3], 0 offset:492
	buffer_load_dword v170, off, s[0:3], 0 offset:504
	buffer_load_dword v172, off, s[0:3], 0 offset:496
	buffer_load_dword v168, off, s[0:3], 0 offset:488
	buffer_load_dword v163, off, s[0:3], 0 offset:468
	ds_read_b128 v[115:118], v119 offset:976
	s_clause 0x2
	buffer_load_dword v171, off, s[0:3], 0 offset:508
	buffer_load_dword v176, off, s[0:3], 0 offset:484
	;; [unrolled: 1-line block ×3, first 2 shown]
	s_waitcnt vmcnt(62) lgkmcnt(2)
	v_mul_f64 v[166:167], v[109:110], v[99:100]
	v_mul_f64 v[99:100], v[107:108], v[99:100]
	s_waitcnt lgkmcnt(1)
	v_mul_f64 v[173:174], v[113:114], v[95:96]
	s_waitcnt vmcnt(59) lgkmcnt(0)
	v_mul_f64 v[177:178], v[117:118], v[3:4]
	v_fma_f64 v[107:108], v[107:108], v[97:98], -v[166:167]
	v_mul_f64 v[166:167], v[111:112], v[95:96]
	v_fma_f64 v[99:100], v[109:110], v[97:98], v[99:100]
	s_waitcnt vmcnt(57)
	v_fma_f64 v[111:112], v[111:112], v[1:2], -v[173:174]
	ds_read_b128 v[95:98], v119 offset:992
	v_mul_f64 v[109:110], v[115:116], v[3:4]
	s_waitcnt vmcnt(51)
	v_fma_f64 v[115:116], v[115:116], v[122:123], -v[177:178]
	v_add_f64 v[107:108], v[107:108], 0
	v_fma_f64 v[113:114], v[113:114], v[1:2], v[166:167]
	v_add_f64 v[99:100], v[99:100], 0
	s_clause 0x4
	buffer_load_dword v167, off, s[0:3], 0 offset:524
	buffer_load_dword v179, off, s[0:3], 0 offset:536
	;; [unrolled: 1-line block ×5, first 2 shown]
	s_waitcnt lgkmcnt(0)
	v_mul_f64 v[182:183], v[95:96], v[103:104]
	v_mul_f64 v[103:104], v[97:98], v[103:104]
	ds_read_b128 v[1:4], v119 offset:1008
	v_fma_f64 v[117:118], v[117:118], v[122:123], v[109:110]
	v_add_f64 v[111:112], v[107:108], v[111:112]
	v_add_f64 v[99:100], v[99:100], v[113:114]
	s_clause 0x2
	buffer_load_dword v180, off, s[0:3], 0 offset:540
	buffer_load_dword v114, off, s[0:3], 0 offset:516
	;; [unrolled: 1-line block ×3, first 2 shown]
	s_waitcnt vmcnt(58) lgkmcnt(0)
	v_mul_f64 v[122:123], v[1:2], v[120:121]
	v_mul_f64 v[120:121], v[3:4], v[120:121]
	s_waitcnt vmcnt(56)
	v_fma_f64 v[103:104], v[95:96], v[124:125], -v[103:104]
	ds_read_b128 v[107:110], v119 offset:1024
	v_add_f64 v[111:112], v[111:112], v[115:116]
	v_fma_f64 v[115:116], v[97:98], v[124:125], v[182:183]
	v_add_f64 v[99:100], v[99:100], v[117:118]
	s_clause 0x4
	buffer_load_dword v118, off, s[0:3], 0 offset:556
	buffer_load_dword v124, off, s[0:3], 0 offset:568
	;; [unrolled: 1-line block ×5, first 2 shown]
	ds_read_b128 v[95:98], v119 offset:1040
	s_waitcnt vmcnt(57) lgkmcnt(1)
	v_mul_f64 v[183:184], v[107:108], v[126:127]
	v_mul_f64 v[126:127], v[109:110], v[126:127]
	s_waitcnt vmcnt(56)
	v_fma_f64 v[120:121], v[1:2], v[101:102], -v[120:121]
	v_fma_f64 v[101:102], v[3:4], v[101:102], v[122:123]
	v_add_f64 v[103:104], v[111:112], v[103:104]
	s_clause 0x2
	buffer_load_dword v125, off, s[0:3], 0 offset:572
	buffer_load_dword v112, off, s[0:3], 0 offset:548
	buffer_load_dword v111, off, s[0:3], 0 offset:544
	v_add_f64 v[99:100], v[99:100], v[115:116]
	s_waitcnt vmcnt(58) lgkmcnt(0)
	v_mul_f64 v[122:123], v[97:98], v[128:129]
	ds_read_b128 v[1:4], v119 offset:1056
	v_mul_f64 v[115:116], v[95:96], v[128:129]
	s_waitcnt vmcnt(56)
	v_fma_f64 v[107:108], v[107:108], v[130:131], -v[126:127]
	v_fma_f64 v[109:110], v[109:110], v[130:131], v[183:184]
	s_clause 0x4
	buffer_load_dword v127, off, s[0:3], 0 offset:588
	buffer_load_dword v128, off, s[0:3], 0 offset:600
	;; [unrolled: 1-line block ×5, first 2 shown]
	v_add_f64 v[103:104], v[103:104], v[120:121]
	v_add_f64 v[120:121], v[99:100], v[101:102]
	s_waitcnt vmcnt(57) lgkmcnt(0)
	v_mul_f64 v[183:184], v[1:2], v[132:133]
	v_mul_f64 v[131:132], v[3:4], v[132:133]
	s_waitcnt vmcnt(56)
	v_fma_f64 v[122:123], v[95:96], v[105:106], -v[122:123]
	ds_read_b128 v[99:102], v119 offset:1072
	v_fma_f64 v[105:106], v[97:98], v[105:106], v[115:116]
	v_add_f64 v[103:104], v[103:104], v[107:108]
	v_add_f64 v[107:108], v[120:121], v[109:110]
	s_clause 0x2
	buffer_load_dword v129, off, s[0:3], 0 offset:604
	buffer_load_dword v110, off, s[0:3], 0 offset:580
	;; [unrolled: 1-line block ×3, first 2 shown]
	s_waitcnt vmcnt(58) lgkmcnt(0)
	v_mul_f64 v[120:121], v[101:102], v[134:135]
	s_waitcnt vmcnt(56)
	v_fma_f64 v[132:133], v[1:2], v[138:139], -v[131:132]
	ds_read_b128 v[95:98], v119 offset:1088
	v_mul_f64 v[115:116], v[99:100], v[134:135]
	v_add_f64 v[103:104], v[103:104], v[122:123]
	v_fma_f64 v[122:123], v[3:4], v[138:139], v[183:184]
	v_add_f64 v[105:106], v[107:108], v[105:106]
	s_clause 0x4
	buffer_load_dword v108, off, s[0:3], 0 offset:620
	buffer_load_dword v134, off, s[0:3], 0 offset:632
	buffer_load_dword v138, off, s[0:3], 0 offset:624
	buffer_load_dword v107, off, s[0:3], 0 offset:616
	buffer_load_dword v131, off, s[0:3], 0 offset:596
	s_waitcnt vmcnt(57) lgkmcnt(0)
	v_mul_f64 v[183:184], v[95:96], v[140:141]
	v_mul_f64 v[139:140], v[97:98], v[140:141]
	s_waitcnt vmcnt(56)
	v_fma_f64 v[120:121], v[99:100], v[136:137], -v[120:121]
	ds_read_b128 v[1:4], v119 offset:1104
	v_fma_f64 v[115:116], v[101:102], v[136:137], v[115:116]
	v_add_f64 v[103:104], v[103:104], v[132:133]
	v_add_f64 v[105:106], v[105:106], v[122:123]
	s_clause 0x2
	buffer_load_dword v135, off, s[0:3], 0 offset:636
	buffer_load_dword v123, off, s[0:3], 0 offset:612
	buffer_load_dword v122, off, s[0:3], 0 offset:608
	ds_read_b128 v[99:102], v119 offset:1120
	s_waitcnt vmcnt(58) lgkmcnt(1)
	v_mul_f64 v[136:137], v[3:4], v[142:143]
	s_waitcnt vmcnt(56)
	v_fma_f64 v[140:141], v[95:96], v[146:147], -v[139:140]
	v_mul_f64 v[132:133], v[1:2], v[142:143]
	v_add_f64 v[103:104], v[103:104], v[120:121]
	v_fma_f64 v[120:121], v[97:98], v[146:147], v[183:184]
	v_add_f64 v[105:106], v[105:106], v[115:116]
	s_clause 0x4
	buffer_load_dword v116, off, s[0:3], 0 offset:652
	buffer_load_dword v142, off, s[0:3], 0 offset:664
	buffer_load_dword v146, off, s[0:3], 0 offset:656
	buffer_load_dword v115, off, s[0:3], 0 offset:648
	buffer_load_dword v139, off, s[0:3], 0 offset:628
	s_waitcnt vmcnt(57) lgkmcnt(0)
	v_mul_f64 v[183:184], v[99:100], v[148:149]
	v_mul_f64 v[147:148], v[101:102], v[148:149]
	s_waitcnt vmcnt(56)
	v_fma_f64 v[136:137], v[1:2], v[144:145], -v[136:137]
	ds_read_b128 v[95:98], v119 offset:1136
	v_fma_f64 v[132:133], v[3:4], v[144:145], v[132:133]
	v_add_f64 v[103:104], v[103:104], v[140:141]
	v_add_f64 v[105:106], v[105:106], v[120:121]
	s_clause 0x2
	buffer_load_dword v143, off, s[0:3], 0 offset:668
	buffer_load_dword v121, off, s[0:3], 0 offset:644
	buffer_load_dword v120, off, s[0:3], 0 offset:640
	ds_read_b128 v[1:4], v119 offset:1152
	s_waitcnt vmcnt(58) lgkmcnt(1)
	v_mul_f64 v[144:145], v[97:98], v[152:153]
	s_waitcnt vmcnt(56)
	v_fma_f64 v[148:149], v[99:100], v[156:157], -v[147:148]
	;; [unrolled: 28-line block ×4, first 2 shown]
	v_mul_f64 v[158:159], v[1:2], v[170:171]
	buffer_load_dword v165, off, s[0:3], 0 offset:724
	v_add_f64 v[103:104], v[103:104], v[154:155]
	v_fma_f64 v[154:155], v[97:98], v[175:176], v[183:184]
	v_add_f64 v[105:106], v[105:106], v[148:149]
	ds_read_b128 v[95:98], v119 offset:1232
	s_waitcnt vmcnt(53) lgkmcnt(1)
	v_mul_f64 v[148:149], v[99:100], v[166:167]
	v_mul_f64 v[166:167], v[101:102], v[166:167]
	s_waitcnt vmcnt(52)
	v_fma_f64 v[162:163], v[1:2], v[172:173], -v[162:163]
	v_fma_f64 v[158:159], v[3:4], v[172:173], v[158:159]
	ds_read_b128 v[1:4], v119 offset:1248
	v_add_f64 v[103:104], v[103:104], v[168:169]
	v_add_f64 v[105:106], v[105:106], v[154:155]
	s_waitcnt vmcnt(51) lgkmcnt(1)
	v_mul_f64 v[168:169], v[97:98], v[179:180]
	v_mul_f64 v[154:155], v[95:96], v[179:180]
	s_waitcnt vmcnt(49)
	v_fma_f64 v[166:167], v[99:100], v[113:114], -v[166:167]
	v_fma_f64 v[113:114], v[101:102], v[113:114], v[148:149]
	v_add_f64 v[103:104], v[103:104], v[162:163]
	v_add_f64 v[105:106], v[105:106], v[158:159]
	s_clause 0x3
	buffer_load_dword v148, off, s[0:3], 0 offset:224
	buffer_load_dword v149, off, s[0:3], 0 offset:228
	;; [unrolled: 1-line block ×4, first 2 shown]
	ds_read_b128 v[99:102], v119 offset:1264
	s_waitcnt vmcnt(49) lgkmcnt(1)
	v_mul_f64 v[162:163], v[1:2], v[117:118]
	v_mul_f64 v[117:118], v[3:4], v[117:118]
	s_waitcnt vmcnt(48)
	v_fma_f64 v[168:169], v[95:96], v[181:182], -v[168:169]
	v_fma_f64 v[154:155], v[97:98], v[181:182], v[154:155]
	ds_read_b128 v[95:98], v119 offset:1280
	v_add_f64 v[103:104], v[103:104], v[166:167]
	v_add_f64 v[105:106], v[105:106], v[113:114]
	s_waitcnt vmcnt(47) lgkmcnt(1)
	v_mul_f64 v[113:114], v[99:100], v[124:125]
	v_mul_f64 v[124:125], v[101:102], v[124:125]
	s_waitcnt vmcnt(45)
	v_fma_f64 v[117:118], v[1:2], v[111:112], -v[117:118]
	v_fma_f64 v[111:112], v[3:4], v[111:112], v[162:163]
	ds_read_b128 v[1:4], v119 offset:1296
	v_add_f64 v[103:104], v[103:104], v[168:169]
	v_add_f64 v[105:106], v[105:106], v[154:155]
	s_waitcnt vmcnt(41) lgkmcnt(1)
	v_mul_f64 v[154:155], v[95:96], v[126:127]
	v_mul_f64 v[126:127], v[97:98], v[126:127]
	s_waitcnt vmcnt(40)
	v_fma_f64 v[113:114], v[101:102], v[177:178], v[113:114]
	v_fma_f64 v[124:125], v[99:100], v[177:178], -v[124:125]
	ds_read_b128 v[99:102], v119 offset:1312
	v_add_f64 v[103:104], v[103:104], v[117:118]
	v_add_f64 v[105:106], v[105:106], v[111:112]
	s_waitcnt vmcnt(39) lgkmcnt(1)
	v_mul_f64 v[117:118], v[3:4], v[128:129]
	v_mul_f64 v[111:112], v[1:2], v[128:129]
	s_waitcnt vmcnt(37)
	v_fma_f64 v[126:127], v[95:96], v[109:110], -v[126:127]
	v_fma_f64 v[109:110], v[97:98], v[109:110], v[154:155]
	ds_read_b128 v[95:98], v119 offset:1328
	v_add_f64 v[103:104], v[103:104], v[124:125]
	v_add_f64 v[105:106], v[105:106], v[113:114]
	s_waitcnt vmcnt(33) lgkmcnt(1)
	v_mul_f64 v[113:114], v[99:100], v[107:108]
	v_mul_f64 v[107:108], v[101:102], v[107:108]
	s_waitcnt vmcnt(32)
	v_fma_f64 v[117:118], v[1:2], v[130:131], -v[117:118]
	v_fma_f64 v[111:112], v[3:4], v[130:131], v[111:112]
	;; [unrolled: 9-line block ×3, first 2 shown]
	ds_read_b128 v[99:102], v119 offset:1360
	v_add_f64 v[103:104], v[103:104], v[117:118]
	v_add_f64 v[105:106], v[105:106], v[111:112]
	s_waitcnt vmcnt(25) lgkmcnt(1)
	v_mul_f64 v[111:112], v[1:2], v[115:116]
	v_mul_f64 v[115:116], v[3:4], v[115:116]
	s_waitcnt vmcnt(24)
	v_fma_f64 v[117:118], v[95:96], v[138:139], -v[124:125]
	v_add_f64 v[103:104], v[103:104], v[107:108]
	v_fma_f64 v[107:108], v[97:98], v[138:139], v[109:110]
	v_add_f64 v[105:106], v[105:106], v[113:114]
	ds_read_b128 v[95:98], v119 offset:1376
	s_waitcnt vmcnt(23) lgkmcnt(1)
	v_mul_f64 v[113:114], v[101:102], v[142:143]
	v_mul_f64 v[109:110], v[99:100], v[142:143]
	s_waitcnt vmcnt(21)
	v_fma_f64 v[115:116], v[1:2], v[120:121], -v[115:116]
	v_fma_f64 v[111:112], v[3:4], v[120:121], v[111:112]
	ds_read_b128 v[1:4], v119 offset:1392
	v_add_f64 v[103:104], v[103:104], v[117:118]
	v_add_f64 v[105:106], v[105:106], v[107:108]
	s_waitcnt vmcnt(17) lgkmcnt(1)
	v_mul_f64 v[117:118], v[97:98], v[132:133]
	s_waitcnt vmcnt(16)
	v_fma_f64 v[113:114], v[99:100], v[146:147], -v[113:114]
	v_mul_f64 v[107:108], v[95:96], v[132:133]
	v_fma_f64 v[109:110], v[101:102], v[146:147], v[109:110]
	ds_read_b128 v[99:102], v119 offset:1408
	v_add_f64 v[103:104], v[103:104], v[115:116]
	v_add_f64 v[105:106], v[105:106], v[111:112]
	s_waitcnt vmcnt(15) lgkmcnt(1)
	v_mul_f64 v[115:116], v[3:4], v[152:153]
	v_mul_f64 v[111:112], v[1:2], v[152:153]
	s_waitcnt vmcnt(13)
	v_fma_f64 v[117:118], v[95:96], v[136:137], -v[117:118]
	v_fma_f64 v[107:108], v[97:98], v[136:137], v[107:108]
	ds_read_b128 v[95:98], v119 offset:1424
	v_add_f64 v[103:104], v[103:104], v[113:114]
	v_add_f64 v[105:106], v[105:106], v[109:110]
	s_waitcnt vmcnt(9) lgkmcnt(1)
	v_mul_f64 v[113:114], v[101:102], v[140:141]
	s_waitcnt vmcnt(8)
	v_fma_f64 v[1:2], v[1:2], v[156:157], -v[115:116]
	v_mul_f64 v[109:110], v[99:100], v[140:141]
	v_fma_f64 v[3:4], v[3:4], v[156:157], v[111:112]
	v_add_f64 v[103:104], v[103:104], v[117:118]
	v_add_f64 v[105:106], v[105:106], v[107:108]
	s_waitcnt vmcnt(7) lgkmcnt(0)
	v_mul_f64 v[111:112], v[97:98], v[160:161]
	v_mul_f64 v[107:108], v[95:96], v[160:161]
	s_waitcnt vmcnt(5)
	v_fma_f64 v[99:100], v[99:100], v[144:145], -v[113:114]
	v_fma_f64 v[101:102], v[101:102], v[144:145], v[109:110]
	v_add_f64 v[1:2], v[103:104], v[1:2]
	v_add_f64 v[3:4], v[105:106], v[3:4]
	s_waitcnt vmcnt(4)
	v_fma_f64 v[95:96], v[95:96], v[164:165], -v[111:112]
	v_fma_f64 v[97:98], v[97:98], v[164:165], v[107:108]
	v_add_f64 v[1:2], v[1:2], v[99:100]
	v_add_f64 v[3:4], v[3:4], v[101:102]
	;; [unrolled: 1-line block ×4, first 2 shown]
	s_waitcnt vmcnt(2)
	v_add_f64 v[1:2], v[148:149], -v[1:2]
	s_waitcnt vmcnt(0)
	v_add_f64 v[3:4], v[158:159], -v[3:4]
	buffer_store_dword v2, off, s[0:3], 0 offset:228
	buffer_store_dword v1, off, s[0:3], 0 offset:224
	;; [unrolled: 1-line block ×4, first 2 shown]
	v_cmpx_lt_u32_e32 12, v0
	s_cbranch_execz .LBB108_259
; %bb.258:
	v_mov_b32_e32 v4, s45
	s_clause 0x3
	buffer_load_dword v1, v4, s[0:3], 0 offen
	buffer_load_dword v2, v4, s[0:3], 0 offen offset:4
	buffer_load_dword v3, v4, s[0:3], 0 offen offset:8
	buffer_load_dword v4, v4, s[0:3], 0 offen offset:12
	buffer_store_dword v119, off, s[0:3], 0 offset:208
	buffer_store_dword v119, off, s[0:3], 0 offset:212
	;; [unrolled: 1-line block ×4, first 2 shown]
	s_waitcnt vmcnt(0)
	ds_write_b128 v151, v[1:4]
.LBB108_259:
	s_or_b32 exec_lo, exec_lo, s4
	s_waitcnt lgkmcnt(0)
	s_waitcnt_vscnt null, 0x0
	s_barrier
	buffer_gl0_inv
	s_clause 0x37
	buffer_load_dword v99, off, s[0:3], 0 offset:232
	buffer_load_dword v100, off, s[0:3], 0 offset:236
	;; [unrolled: 1-line block ×56, first 2 shown]
	ds_read_b128 v[120:123], v119 offset:928
	s_clause 0x2
	buffer_load_dword v161, off, s[0:3], 0 offset:460
	buffer_load_dword v165, off, s[0:3], 0 offset:436
	;; [unrolled: 1-line block ×3, first 2 shown]
	ds_read_b128 v[124:127], v119 offset:944
	s_clause 0x4
	buffer_load_dword v169, off, s[0:3], 0 offset:476
	buffer_load_dword v170, off, s[0:3], 0 offset:488
	;; [unrolled: 1-line block ×5, first 2 shown]
	ds_read_b128 v[128:131], v119 offset:960
	s_clause 0x2
	buffer_load_dword v171, off, s[0:3], 0 offset:492
	buffer_load_dword v176, off, s[0:3], 0 offset:468
	;; [unrolled: 1-line block ×3, first 2 shown]
	s_mov_b32 s4, exec_lo
	s_waitcnt vmcnt(62) lgkmcnt(2)
	v_mul_f64 v[166:167], v[122:123], v[99:100]
	v_mul_f64 v[99:100], v[120:121], v[99:100]
	s_waitcnt lgkmcnt(1)
	v_mul_f64 v[173:174], v[126:127], v[95:96]
	s_waitcnt vmcnt(59) lgkmcnt(0)
	v_mul_f64 v[177:178], v[130:131], v[3:4]
	v_fma_f64 v[120:121], v[120:121], v[97:98], -v[166:167]
	v_mul_f64 v[166:167], v[124:125], v[95:96]
	v_fma_f64 v[99:100], v[122:123], v[97:98], v[99:100]
	s_waitcnt vmcnt(57)
	v_fma_f64 v[124:125], v[124:125], v[1:2], -v[173:174]
	ds_read_b128 v[95:98], v119 offset:976
	v_mul_f64 v[122:123], v[128:129], v[3:4]
	s_waitcnt vmcnt(51)
	v_fma_f64 v[128:129], v[128:129], v[115:116], -v[177:178]
	v_add_f64 v[120:121], v[120:121], 0
	v_fma_f64 v[126:127], v[126:127], v[1:2], v[166:167]
	v_add_f64 v[99:100], v[99:100], 0
	s_clause 0x4
	buffer_load_dword v167, off, s[0:3], 0 offset:508
	buffer_load_dword v179, off, s[0:3], 0 offset:520
	;; [unrolled: 1-line block ×5, first 2 shown]
	s_waitcnt lgkmcnt(0)
	v_mul_f64 v[182:183], v[95:96], v[103:104]
	v_mul_f64 v[103:104], v[97:98], v[103:104]
	ds_read_b128 v[1:4], v119 offset:992
	v_fma_f64 v[115:116], v[130:131], v[115:116], v[122:123]
	v_add_f64 v[124:125], v[120:121], v[124:125]
	v_add_f64 v[99:100], v[99:100], v[126:127]
	s_clause 0x2
	buffer_load_dword v180, off, s[0:3], 0 offset:524
	buffer_load_dword v127, off, s[0:3], 0 offset:500
	;; [unrolled: 1-line block ×3, first 2 shown]
	s_waitcnt vmcnt(58) lgkmcnt(0)
	v_mul_f64 v[130:131], v[1:2], v[107:108]
	v_mul_f64 v[107:108], v[3:4], v[107:108]
	s_waitcnt vmcnt(56)
	v_fma_f64 v[103:104], v[95:96], v[109:110], -v[103:104]
	ds_read_b128 v[120:123], v119 offset:1008
	v_fma_f64 v[109:110], v[97:98], v[109:110], v[182:183]
	v_add_f64 v[124:125], v[124:125], v[128:129]
	v_add_f64 v[99:100], v[99:100], v[115:116]
	s_clause 0x4
	buffer_load_dword v116, off, s[0:3], 0 offset:540
	buffer_load_dword v128, off, s[0:3], 0 offset:552
	;; [unrolled: 1-line block ×5, first 2 shown]
	ds_read_b128 v[95:98], v119 offset:1024
	s_waitcnt vmcnt(57) lgkmcnt(1)
	v_mul_f64 v[183:184], v[120:121], v[111:112]
	v_mul_f64 v[111:112], v[122:123], v[111:112]
	s_waitcnt vmcnt(56)
	v_fma_f64 v[107:108], v[1:2], v[101:102], -v[107:108]
	v_fma_f64 v[101:102], v[3:4], v[101:102], v[130:131]
	v_add_f64 v[103:104], v[124:125], v[103:104]
	v_add_f64 v[99:100], v[99:100], v[109:110]
	s_clause 0x2
	buffer_load_dword v129, off, s[0:3], 0 offset:556
	buffer_load_dword v110, off, s[0:3], 0 offset:532
	;; [unrolled: 1-line block ×3, first 2 shown]
	s_waitcnt vmcnt(58) lgkmcnt(0)
	v_mul_f64 v[124:125], v[95:96], v[117:118]
	v_mul_f64 v[117:118], v[97:98], v[117:118]
	s_waitcnt vmcnt(56)
	v_fma_f64 v[111:112], v[120:121], v[132:133], -v[111:112]
	ds_read_b128 v[1:4], v119 offset:1040
	v_add_f64 v[103:104], v[103:104], v[107:108]
	v_fma_f64 v[107:108], v[122:123], v[132:133], v[183:184]
	v_add_f64 v[120:121], v[99:100], v[101:102]
	s_clause 0x4
	buffer_load_dword v123, off, s[0:3], 0 offset:572
	buffer_load_dword v130, off, s[0:3], 0 offset:584
	buffer_load_dword v132, off, s[0:3], 0 offset:576
	buffer_load_dword v122, off, s[0:3], 0 offset:568
	buffer_load_dword v178, off, s[0:3], 0 offset:548
	ds_read_b128 v[99:102], v119 offset:1056
	s_waitcnt vmcnt(57) lgkmcnt(1)
	v_mul_f64 v[183:184], v[1:2], v[134:135]
	v_mul_f64 v[133:134], v[3:4], v[134:135]
	s_waitcnt vmcnt(56)
	v_fma_f64 v[117:118], v[95:96], v[105:106], -v[117:118]
	v_fma_f64 v[105:106], v[97:98], v[105:106], v[124:125]
	v_add_f64 v[103:104], v[103:104], v[111:112]
	s_clause 0x2
	buffer_load_dword v131, off, s[0:3], 0 offset:588
	buffer_load_dword v112, off, s[0:3], 0 offset:564
	;; [unrolled: 1-line block ×3, first 2 shown]
	v_add_f64 v[107:108], v[120:121], v[107:108]
	s_waitcnt vmcnt(58) lgkmcnt(0)
	v_mul_f64 v[124:125], v[101:102], v[136:137]
	ds_read_b128 v[95:98], v119 offset:1072
	v_mul_f64 v[120:121], v[99:100], v[136:137]
	s_waitcnt vmcnt(56)
	v_fma_f64 v[134:135], v[1:2], v[138:139], -v[133:134]
	v_add_f64 v[103:104], v[103:104], v[117:118]
	v_fma_f64 v[117:118], v[3:4], v[138:139], v[183:184]
	v_add_f64 v[105:106], v[107:108], v[105:106]
	s_clause 0x4
	buffer_load_dword v108, off, s[0:3], 0 offset:604
	buffer_load_dword v136, off, s[0:3], 0 offset:616
	buffer_load_dword v138, off, s[0:3], 0 offset:608
	buffer_load_dword v107, off, s[0:3], 0 offset:600
	buffer_load_dword v133, off, s[0:3], 0 offset:580
	s_waitcnt vmcnt(57) lgkmcnt(0)
	v_mul_f64 v[183:184], v[95:96], v[140:141]
	v_mul_f64 v[139:140], v[97:98], v[140:141]
	s_waitcnt vmcnt(56)
	v_fma_f64 v[124:125], v[99:100], v[113:114], -v[124:125]
	ds_read_b128 v[1:4], v119 offset:1088
	v_fma_f64 v[113:114], v[101:102], v[113:114], v[120:121]
	v_add_f64 v[103:104], v[103:104], v[134:135]
	v_add_f64 v[105:106], v[105:106], v[117:118]
	s_clause 0x2
	buffer_load_dword v137, off, s[0:3], 0 offset:620
	buffer_load_dword v118, off, s[0:3], 0 offset:596
	buffer_load_dword v117, off, s[0:3], 0 offset:592
	ds_read_b128 v[99:102], v119 offset:1104
	s_waitcnt vmcnt(58) lgkmcnt(1)
	v_mul_f64 v[134:135], v[3:4], v[142:143]
	s_waitcnt vmcnt(56)
	v_fma_f64 v[140:141], v[95:96], v[146:147], -v[139:140]
	v_mul_f64 v[120:121], v[1:2], v[142:143]
	v_add_f64 v[103:104], v[103:104], v[124:125]
	v_fma_f64 v[124:125], v[97:98], v[146:147], v[183:184]
	v_add_f64 v[105:106], v[105:106], v[113:114]
	s_clause 0x4
	buffer_load_dword v114, off, s[0:3], 0 offset:636
	buffer_load_dword v142, off, s[0:3], 0 offset:648
	buffer_load_dword v146, off, s[0:3], 0 offset:640
	buffer_load_dword v113, off, s[0:3], 0 offset:632
	buffer_load_dword v139, off, s[0:3], 0 offset:612
	s_waitcnt vmcnt(57) lgkmcnt(0)
	v_mul_f64 v[183:184], v[99:100], v[148:149]
	v_mul_f64 v[147:148], v[101:102], v[148:149]
	s_waitcnt vmcnt(56)
	v_fma_f64 v[134:135], v[1:2], v[144:145], -v[134:135]
	ds_read_b128 v[95:98], v119 offset:1120
	v_fma_f64 v[120:121], v[3:4], v[144:145], v[120:121]
	v_add_f64 v[103:104], v[103:104], v[140:141]
	v_add_f64 v[105:106], v[105:106], v[124:125]
	s_clause 0x2
	buffer_load_dword v143, off, s[0:3], 0 offset:652
	buffer_load_dword v125, off, s[0:3], 0 offset:628
	buffer_load_dword v124, off, s[0:3], 0 offset:624
	ds_read_b128 v[1:4], v119 offset:1136
	s_waitcnt vmcnt(58) lgkmcnt(1)
	v_mul_f64 v[144:145], v[97:98], v[152:153]
	s_waitcnt vmcnt(56)
	v_fma_f64 v[148:149], v[99:100], v[156:157], -v[147:148]
	v_mul_f64 v[140:141], v[95:96], v[152:153]
	;; [unrolled: 28-line block ×4, first 2 shown]
	v_add_f64 v[103:104], v[103:104], v[154:155]
	v_fma_f64 v[154:155], v[97:98], v[175:176], v[183:184]
	v_add_f64 v[105:106], v[105:106], v[148:149]
	s_clause 0x2
	buffer_load_dword v149, off, s[0:3], 0 offset:732
	buffer_load_dword v148, off, s[0:3], 0 offset:728
	;; [unrolled: 1-line block ×3, first 2 shown]
	ds_read_b128 v[95:98], v119 offset:1216
	s_waitcnt vmcnt(55) lgkmcnt(1)
	v_mul_f64 v[170:171], v[99:100], v[166:167]
	v_mul_f64 v[166:167], v[101:102], v[166:167]
	s_waitcnt vmcnt(54)
	v_fma_f64 v[162:163], v[1:2], v[172:173], -v[162:163]
	v_fma_f64 v[158:159], v[3:4], v[172:173], v[158:159]
	v_add_f64 v[103:104], v[103:104], v[168:169]
	v_add_f64 v[105:106], v[105:106], v[154:155]
	s_clause 0x1
	buffer_load_dword v155, off, s[0:3], 0 offset:724
	buffer_load_dword v154, off, s[0:3], 0 offset:720
	ds_read_b128 v[1:4], v119 offset:1232
	s_waitcnt vmcnt(55) lgkmcnt(1)
	v_mul_f64 v[172:173], v[97:98], v[179:180]
	v_mul_f64 v[168:169], v[95:96], v[179:180]
	s_waitcnt vmcnt(53)
	v_fma_f64 v[166:167], v[99:100], v[126:127], -v[166:167]
	v_fma_f64 v[126:127], v[101:102], v[126:127], v[170:171]
	ds_read_b128 v[99:102], v119 offset:1248
	v_add_f64 v[103:104], v[103:104], v[162:163]
	v_add_f64 v[105:106], v[105:106], v[158:159]
	s_waitcnt vmcnt(49) lgkmcnt(1)
	v_mul_f64 v[158:159], v[1:2], v[115:116]
	v_mul_f64 v[115:116], v[3:4], v[115:116]
	s_waitcnt vmcnt(48)
	v_fma_f64 v[162:163], v[95:96], v[181:182], -v[172:173]
	v_add_f64 v[103:104], v[103:104], v[166:167]
	v_fma_f64 v[166:167], v[97:98], v[181:182], v[168:169]
	v_add_f64 v[105:106], v[105:106], v[126:127]
	s_clause 0x3
	buffer_load_dword v126, off, s[0:3], 0 offset:208
	buffer_load_dword v127, off, s[0:3], 0 offset:212
	;; [unrolled: 1-line block ×4, first 2 shown]
	ds_read_b128 v[95:98], v119 offset:1264
	s_waitcnt vmcnt(51) lgkmcnt(1)
	v_mul_f64 v[170:171], v[99:100], v[128:129]
	v_mul_f64 v[128:129], v[101:102], v[128:129]
	s_waitcnt vmcnt(49)
	v_fma_f64 v[115:116], v[1:2], v[109:110], -v[115:116]
	v_fma_f64 v[109:110], v[3:4], v[109:110], v[158:159]
	ds_read_b128 v[1:4], v119 offset:1280
	v_add_f64 v[103:104], v[103:104], v[162:163]
	v_add_f64 v[105:106], v[105:106], v[166:167]
	s_waitcnt vmcnt(45) lgkmcnt(1)
	v_mul_f64 v[158:159], v[95:96], v[122:123]
	v_mul_f64 v[122:123], v[97:98], v[122:123]
	s_waitcnt vmcnt(44)
	v_fma_f64 v[128:129], v[99:100], v[177:178], -v[128:129]
	v_add_f64 v[103:104], v[103:104], v[115:116]
	v_fma_f64 v[115:116], v[101:102], v[177:178], v[170:171]
	v_add_f64 v[105:106], v[105:106], v[109:110]
	ds_read_b128 v[99:102], v119 offset:1296
	s_waitcnt vmcnt(43) lgkmcnt(1)
	v_mul_f64 v[109:110], v[1:2], v[130:131]
	v_mul_f64 v[130:131], v[3:4], v[130:131]
	s_waitcnt vmcnt(41)
	v_fma_f64 v[122:123], v[95:96], v[111:112], -v[122:123]
	v_fma_f64 v[111:112], v[97:98], v[111:112], v[158:159]
	ds_read_b128 v[95:98], v119 offset:1312
	v_add_f64 v[103:104], v[103:104], v[128:129]
	v_add_f64 v[105:106], v[105:106], v[115:116]
	s_waitcnt vmcnt(37) lgkmcnt(1)
	v_mul_f64 v[115:116], v[99:100], v[107:108]
	v_mul_f64 v[107:108], v[101:102], v[107:108]
	s_waitcnt vmcnt(36)
	v_fma_f64 v[128:129], v[1:2], v[132:133], -v[130:131]
	v_fma_f64 v[109:110], v[3:4], v[132:133], v[109:110]
	ds_read_b128 v[1:4], v119 offset:1328
	v_add_f64 v[103:104], v[103:104], v[122:123]
	v_add_f64 v[105:106], v[105:106], v[111:112]
	s_waitcnt vmcnt(35) lgkmcnt(1)
	v_mul_f64 v[122:123], v[97:98], v[136:137]
	v_mul_f64 v[111:112], v[95:96], v[136:137]
	s_waitcnt vmcnt(33)
	v_fma_f64 v[107:108], v[99:100], v[117:118], -v[107:108]
	v_fma_f64 v[115:116], v[101:102], v[117:118], v[115:116]
	ds_read_b128 v[99:102], v119 offset:1344
	v_add_f64 v[103:104], v[103:104], v[128:129]
	v_add_f64 v[105:106], v[105:106], v[109:110]
	s_waitcnt vmcnt(29) lgkmcnt(1)
	v_mul_f64 v[109:110], v[1:2], v[113:114]
	v_mul_f64 v[113:114], v[3:4], v[113:114]
	s_waitcnt vmcnt(28)
	v_fma_f64 v[117:118], v[95:96], v[138:139], -v[122:123]
	v_add_f64 v[103:104], v[103:104], v[107:108]
	v_fma_f64 v[107:108], v[97:98], v[138:139], v[111:112]
	v_add_f64 v[105:106], v[105:106], v[115:116]
	ds_read_b128 v[95:98], v119 offset:1360
	s_waitcnt vmcnt(27) lgkmcnt(1)
	v_mul_f64 v[115:116], v[101:102], v[142:143]
	v_mul_f64 v[111:112], v[99:100], v[142:143]
	s_waitcnt vmcnt(25)
	v_fma_f64 v[113:114], v[1:2], v[124:125], -v[113:114]
	v_fma_f64 v[109:110], v[3:4], v[124:125], v[109:110]
	ds_read_b128 v[1:4], v119 offset:1376
	v_add_f64 v[103:104], v[103:104], v[117:118]
	v_add_f64 v[105:106], v[105:106], v[107:108]
	s_waitcnt vmcnt(21) lgkmcnt(1)
	v_mul_f64 v[117:118], v[97:98], v[120:121]
	s_waitcnt vmcnt(20)
	v_fma_f64 v[115:116], v[99:100], v[146:147], -v[115:116]
	v_mul_f64 v[107:108], v[95:96], v[120:121]
	v_fma_f64 v[111:112], v[101:102], v[146:147], v[111:112]
	ds_read_b128 v[99:102], v119 offset:1392
	v_add_f64 v[103:104], v[103:104], v[113:114]
	v_add_f64 v[105:106], v[105:106], v[109:110]
	s_waitcnt vmcnt(19) lgkmcnt(1)
	v_mul_f64 v[113:114], v[3:4], v[152:153]
	v_mul_f64 v[109:110], v[1:2], v[152:153]
	s_waitcnt vmcnt(17)
	v_fma_f64 v[117:118], v[95:96], v[134:135], -v[117:118]
	v_fma_f64 v[107:108], v[97:98], v[134:135], v[107:108]
	ds_read_b128 v[95:98], v119 offset:1408
	v_add_f64 v[103:104], v[103:104], v[115:116]
	v_add_f64 v[105:106], v[105:106], v[111:112]
	s_waitcnt vmcnt(13) lgkmcnt(1)
	v_mul_f64 v[115:116], v[101:102], v[140:141]
	s_waitcnt vmcnt(12)
	v_fma_f64 v[113:114], v[1:2], v[156:157], -v[113:114]
	v_mul_f64 v[111:112], v[99:100], v[140:141]
	v_fma_f64 v[109:110], v[3:4], v[156:157], v[109:110]
	ds_read_b128 v[1:4], v119 offset:1424
	v_add_f64 v[103:104], v[103:104], v[117:118]
	v_add_f64 v[105:106], v[105:106], v[107:108]
	s_waitcnt vmcnt(11) lgkmcnt(1)
	v_mul_f64 v[117:118], v[97:98], v[160:161]
	v_mul_f64 v[107:108], v[95:96], v[160:161]
	s_waitcnt vmcnt(9)
	v_fma_f64 v[99:100], v[99:100], v[144:145], -v[115:116]
	v_fma_f64 v[101:102], v[101:102], v[144:145], v[111:112]
	v_add_f64 v[103:104], v[103:104], v[113:114]
	v_add_f64 v[105:106], v[105:106], v[109:110]
	s_waitcnt vmcnt(7) lgkmcnt(0)
	v_mul_f64 v[111:112], v[3:4], v[148:149]
	s_waitcnt vmcnt(6)
	v_fma_f64 v[95:96], v[95:96], v[164:165], -v[117:118]
	v_mul_f64 v[109:110], v[1:2], v[148:149]
	v_fma_f64 v[97:98], v[97:98], v[164:165], v[107:108]
	v_add_f64 v[99:100], v[103:104], v[99:100]
	v_add_f64 v[101:102], v[105:106], v[101:102]
	s_waitcnt vmcnt(4)
	v_fma_f64 v[1:2], v[1:2], v[154:155], -v[111:112]
	v_fma_f64 v[3:4], v[3:4], v[154:155], v[109:110]
	v_add_f64 v[95:96], v[99:100], v[95:96]
	v_add_f64 v[97:98], v[101:102], v[97:98]
	;; [unrolled: 1-line block ×4, first 2 shown]
	s_waitcnt vmcnt(2)
	v_add_f64 v[1:2], v[126:127], -v[1:2]
	s_waitcnt vmcnt(0)
	v_add_f64 v[3:4], v[168:169], -v[3:4]
	buffer_store_dword v2, off, s[0:3], 0 offset:212
	buffer_store_dword v1, off, s[0:3], 0 offset:208
	;; [unrolled: 1-line block ×4, first 2 shown]
	v_cmpx_lt_u32_e32 11, v0
	s_cbranch_execz .LBB108_261
; %bb.260:
	v_mov_b32_e32 v4, s46
	v_mov_b32_e32 v95, 0
	s_clause 0x3
	buffer_load_dword v1, v4, s[0:3], 0 offen
	buffer_load_dword v2, v4, s[0:3], 0 offen offset:4
	buffer_load_dword v3, v4, s[0:3], 0 offen offset:8
	;; [unrolled: 1-line block ×3, first 2 shown]
	buffer_store_dword v95, off, s[0:3], 0 offset:192
	buffer_store_dword v95, off, s[0:3], 0 offset:196
	;; [unrolled: 1-line block ×4, first 2 shown]
	s_waitcnt vmcnt(0)
	ds_write_b128 v151, v[1:4]
.LBB108_261:
	s_or_b32 exec_lo, exec_lo, s4
	s_waitcnt lgkmcnt(0)
	s_waitcnt_vscnt null, 0x0
	s_barrier
	buffer_gl0_inv
	s_clause 0x37
	buffer_load_dword v99, off, s[0:3], 0 offset:216
	buffer_load_dword v100, off, s[0:3], 0 offset:220
	;; [unrolled: 1-line block ×56, first 2 shown]
	v_mov_b32_e32 v141, 0
	s_mov_b32 s4, exec_lo
	ds_read_b128 v[129:132], v141 offset:912
	s_clause 0x2
	buffer_load_dword v161, off, s[0:3], 0 offset:444
	buffer_load_dword v165, off, s[0:3], 0 offset:420
	;; [unrolled: 1-line block ×3, first 2 shown]
	ds_read_b128 v[133:136], v141 offset:928
	s_clause 0x4
	buffer_load_dword v169, off, s[0:3], 0 offset:460
	buffer_load_dword v170, off, s[0:3], 0 offset:472
	;; [unrolled: 1-line block ×5, first 2 shown]
	ds_read_b128 v[137:140], v141 offset:944
	s_clause 0x2
	buffer_load_dword v171, off, s[0:3], 0 offset:476
	buffer_load_dword v176, off, s[0:3], 0 offset:452
	;; [unrolled: 1-line block ×3, first 2 shown]
	s_waitcnt vmcnt(62) lgkmcnt(2)
	v_mul_f64 v[166:167], v[131:132], v[99:100]
	v_mul_f64 v[99:100], v[129:130], v[99:100]
	s_waitcnt lgkmcnt(1)
	v_mul_f64 v[173:174], v[135:136], v[95:96]
	s_waitcnt vmcnt(59) lgkmcnt(0)
	v_mul_f64 v[177:178], v[139:140], v[3:4]
	v_fma_f64 v[129:130], v[129:130], v[97:98], -v[166:167]
	v_mul_f64 v[166:167], v[133:134], v[95:96]
	v_fma_f64 v[99:100], v[131:132], v[97:98], v[99:100]
	s_waitcnt vmcnt(57)
	v_fma_f64 v[133:134], v[133:134], v[1:2], -v[173:174]
	ds_read_b128 v[95:98], v141 offset:960
	v_mul_f64 v[131:132], v[137:138], v[3:4]
	s_waitcnt vmcnt(51)
	v_fma_f64 v[137:138], v[137:138], v[115:116], -v[177:178]
	v_add_f64 v[129:130], v[129:130], 0
	v_fma_f64 v[135:136], v[135:136], v[1:2], v[166:167]
	v_add_f64 v[99:100], v[99:100], 0
	s_clause 0x4
	buffer_load_dword v167, off, s[0:3], 0 offset:492
	buffer_load_dword v179, off, s[0:3], 0 offset:504
	;; [unrolled: 1-line block ×5, first 2 shown]
	s_waitcnt lgkmcnt(0)
	v_mul_f64 v[182:183], v[95:96], v[103:104]
	v_mul_f64 v[103:104], v[97:98], v[103:104]
	ds_read_b128 v[1:4], v141 offset:976
	v_fma_f64 v[115:116], v[139:140], v[115:116], v[131:132]
	v_add_f64 v[133:134], v[129:130], v[133:134]
	v_add_f64 v[99:100], v[99:100], v[135:136]
	s_clause 0x2
	buffer_load_dword v180, off, s[0:3], 0 offset:508
	buffer_load_dword v136, off, s[0:3], 0 offset:484
	;; [unrolled: 1-line block ×3, first 2 shown]
	s_waitcnt vmcnt(58) lgkmcnt(0)
	v_mul_f64 v[139:140], v[1:2], v[107:108]
	v_mul_f64 v[107:108], v[3:4], v[107:108]
	s_waitcnt vmcnt(56)
	v_fma_f64 v[103:104], v[95:96], v[109:110], -v[103:104]
	ds_read_b128 v[129:132], v141 offset:992
	v_fma_f64 v[109:110], v[97:98], v[109:110], v[182:183]
	v_add_f64 v[133:134], v[133:134], v[137:138]
	v_add_f64 v[99:100], v[99:100], v[115:116]
	s_clause 0x4
	buffer_load_dword v116, off, s[0:3], 0 offset:524
	buffer_load_dword v137, off, s[0:3], 0 offset:536
	;; [unrolled: 1-line block ×5, first 2 shown]
	ds_read_b128 v[95:98], v141 offset:1008
	s_waitcnt vmcnt(57) lgkmcnt(1)
	v_mul_f64 v[183:184], v[129:130], v[111:112]
	v_mul_f64 v[111:112], v[131:132], v[111:112]
	s_waitcnt vmcnt(56)
	v_fma_f64 v[107:108], v[1:2], v[101:102], -v[107:108]
	v_fma_f64 v[101:102], v[3:4], v[101:102], v[139:140]
	v_add_f64 v[103:104], v[133:134], v[103:104]
	v_add_f64 v[99:100], v[99:100], v[109:110]
	s_clause 0x2
	buffer_load_dword v138, off, s[0:3], 0 offset:540
	buffer_load_dword v110, off, s[0:3], 0 offset:516
	;; [unrolled: 1-line block ×3, first 2 shown]
	s_waitcnt vmcnt(58) lgkmcnt(0)
	v_mul_f64 v[133:134], v[95:96], v[117:118]
	v_mul_f64 v[117:118], v[97:98], v[117:118]
	s_waitcnt vmcnt(56)
	v_fma_f64 v[111:112], v[129:130], v[119:120], -v[111:112]
	ds_read_b128 v[1:4], v141 offset:1024
	v_add_f64 v[103:104], v[103:104], v[107:108]
	v_fma_f64 v[107:108], v[131:132], v[119:120], v[183:184]
	v_add_f64 v[119:120], v[99:100], v[101:102]
	s_clause 0x4
	buffer_load_dword v130, off, s[0:3], 0 offset:556
	buffer_load_dword v131, off, s[0:3], 0 offset:568
	;; [unrolled: 1-line block ×5, first 2 shown]
	ds_read_b128 v[99:102], v141 offset:1040
	s_waitcnt vmcnt(57) lgkmcnt(1)
	v_mul_f64 v[183:184], v[1:2], v[121:122]
	v_mul_f64 v[121:122], v[3:4], v[121:122]
	s_waitcnt vmcnt(56)
	v_fma_f64 v[117:118], v[95:96], v[105:106], -v[117:118]
	v_fma_f64 v[105:106], v[97:98], v[105:106], v[133:134]
	v_add_f64 v[103:104], v[103:104], v[111:112]
	s_clause 0x2
	buffer_load_dword v132, off, s[0:3], 0 offset:572
	buffer_load_dword v112, off, s[0:3], 0 offset:548
	;; [unrolled: 1-line block ×3, first 2 shown]
	v_add_f64 v[107:108], v[119:120], v[107:108]
	s_waitcnt vmcnt(58) lgkmcnt(0)
	v_mul_f64 v[119:120], v[99:100], v[125:126]
	v_mul_f64 v[125:126], v[101:102], v[125:126]
	ds_read_b128 v[95:98], v141 offset:1056
	s_waitcnt vmcnt(56)
	v_fma_f64 v[121:122], v[1:2], v[127:128], -v[121:122]
	v_add_f64 v[103:104], v[103:104], v[117:118]
	v_fma_f64 v[117:118], v[3:4], v[127:128], v[183:184]
	v_add_f64 v[105:106], v[107:108], v[105:106]
	s_clause 0x4
	buffer_load_dword v108, off, s[0:3], 0 offset:588
	buffer_load_dword v127, off, s[0:3], 0 offset:600
	;; [unrolled: 1-line block ×5, first 2 shown]
	s_waitcnt vmcnt(57) lgkmcnt(0)
	v_mul_f64 v[183:184], v[95:96], v[142:143]
	v_mul_f64 v[142:143], v[97:98], v[142:143]
	s_waitcnt vmcnt(56)
	v_fma_f64 v[125:126], v[99:100], v[113:114], -v[125:126]
	ds_read_b128 v[1:4], v141 offset:1072
	v_fma_f64 v[113:114], v[101:102], v[113:114], v[119:120]
	v_add_f64 v[103:104], v[103:104], v[121:122]
	v_add_f64 v[105:106], v[105:106], v[117:118]
	s_clause 0x2
	buffer_load_dword v128, off, s[0:3], 0 offset:604
	buffer_load_dword v118, off, s[0:3], 0 offset:580
	;; [unrolled: 1-line block ×3, first 2 shown]
	ds_read_b128 v[99:102], v141 offset:1088
	s_waitcnt vmcnt(58) lgkmcnt(1)
	v_mul_f64 v[121:122], v[3:4], v[144:145]
	s_waitcnt vmcnt(56)
	v_fma_f64 v[142:143], v[95:96], v[146:147], -v[142:143]
	v_mul_f64 v[119:120], v[1:2], v[144:145]
	v_add_f64 v[103:104], v[103:104], v[125:126]
	v_fma_f64 v[125:126], v[97:98], v[146:147], v[183:184]
	v_add_f64 v[105:106], v[105:106], v[113:114]
	s_clause 0x4
	buffer_load_dword v114, off, s[0:3], 0 offset:620
	buffer_load_dword v144, off, s[0:3], 0 offset:632
	;; [unrolled: 1-line block ×5, first 2 shown]
	s_waitcnt vmcnt(57) lgkmcnt(0)
	v_mul_f64 v[183:184], v[99:100], v[148:149]
	v_mul_f64 v[147:148], v[101:102], v[148:149]
	s_waitcnt vmcnt(56)
	v_fma_f64 v[121:122], v[1:2], v[123:124], -v[121:122]
	ds_read_b128 v[95:98], v141 offset:1104
	v_fma_f64 v[119:120], v[3:4], v[123:124], v[119:120]
	s_clause 0x2
	buffer_load_dword v145, off, s[0:3], 0 offset:636
	buffer_load_dword v124, off, s[0:3], 0 offset:612
	;; [unrolled: 1-line block ×3, first 2 shown]
	ds_read_b128 v[1:4], v141 offset:1120
	v_add_f64 v[103:104], v[103:104], v[142:143]
	v_add_f64 v[105:106], v[105:106], v[125:126]
	s_waitcnt vmcnt(58) lgkmcnt(1)
	v_mul_f64 v[142:143], v[97:98], v[152:153]
	s_waitcnt vmcnt(56)
	v_fma_f64 v[148:149], v[99:100], v[156:157], -v[147:148]
	v_mul_f64 v[125:126], v[95:96], v[152:153]
	v_add_f64 v[103:104], v[103:104], v[121:122]
	v_fma_f64 v[121:122], v[101:102], v[156:157], v[183:184]
	v_add_f64 v[105:106], v[105:106], v[119:120]
	s_clause 0x4
	buffer_load_dword v120, off, s[0:3], 0 offset:652
	buffer_load_dword v152, off, s[0:3], 0 offset:664
	buffer_load_dword v156, off, s[0:3], 0 offset:656
	buffer_load_dword v119, off, s[0:3], 0 offset:648
	buffer_load_dword v147, off, s[0:3], 0 offset:628
	s_waitcnt vmcnt(57) lgkmcnt(0)
	v_mul_f64 v[183:184], v[1:2], v[158:159]
	v_mul_f64 v[157:158], v[3:4], v[158:159]
	s_waitcnt vmcnt(56)
	v_fma_f64 v[142:143], v[95:96], v[154:155], -v[142:143]
	ds_read_b128 v[99:102], v141 offset:1136
	v_fma_f64 v[125:126], v[97:98], v[154:155], v[125:126]
	v_add_f64 v[103:104], v[103:104], v[148:149]
	v_add_f64 v[105:106], v[105:106], v[121:122]
	s_clause 0x2
	buffer_load_dword v153, off, s[0:3], 0 offset:668
	buffer_load_dword v122, off, s[0:3], 0 offset:644
	;; [unrolled: 1-line block ×3, first 2 shown]
	ds_read_b128 v[95:98], v141 offset:1152
	s_waitcnt vmcnt(58) lgkmcnt(1)
	v_mul_f64 v[154:155], v[101:102], v[160:161]
	s_waitcnt vmcnt(56)
	v_fma_f64 v[158:159], v[1:2], v[164:165], -v[157:158]
	v_mul_f64 v[148:149], v[99:100], v[160:161]
	v_add_f64 v[103:104], v[103:104], v[142:143]
	v_fma_f64 v[142:143], v[3:4], v[164:165], v[183:184]
	v_add_f64 v[105:106], v[105:106], v[125:126]
	s_clause 0x4
	buffer_load_dword v126, off, s[0:3], 0 offset:684
	buffer_load_dword v160, off, s[0:3], 0 offset:696
	;; [unrolled: 1-line block ×5, first 2 shown]
	s_waitcnt vmcnt(57) lgkmcnt(0)
	v_mul_f64 v[183:184], v[95:96], v[168:169]
	v_mul_f64 v[168:169], v[97:98], v[168:169]
	s_waitcnt vmcnt(56)
	v_fma_f64 v[154:155], v[99:100], v[162:163], -v[154:155]
	ds_read_b128 v[1:4], v141 offset:1168
	v_fma_f64 v[148:149], v[101:102], v[162:163], v[148:149]
	v_add_f64 v[103:104], v[103:104], v[158:159]
	v_add_f64 v[105:106], v[105:106], v[142:143]
	s_clause 0x2
	buffer_load_dword v161, off, s[0:3], 0 offset:700
	buffer_load_dword v143, off, s[0:3], 0 offset:676
	;; [unrolled: 1-line block ×3, first 2 shown]
	ds_read_b128 v[99:102], v141 offset:1184
	s_waitcnt vmcnt(58) lgkmcnt(1)
	v_mul_f64 v[162:163], v[3:4], v[170:171]
	s_waitcnt vmcnt(56)
	v_fma_f64 v[168:169], v[95:96], v[175:176], -v[168:169]
	v_mul_f64 v[158:159], v[1:2], v[170:171]
	v_add_f64 v[103:104], v[103:104], v[154:155]
	v_fma_f64 v[154:155], v[97:98], v[175:176], v[183:184]
	v_add_f64 v[105:106], v[105:106], v[148:149]
	s_clause 0x4
	buffer_load_dword v149, off, s[0:3], 0 offset:716
	buffer_load_dword v170, off, s[0:3], 0 offset:728
	;; [unrolled: 1-line block ×5, first 2 shown]
	ds_read_b128 v[95:98], v141 offset:1200
	s_waitcnt vmcnt(57) lgkmcnt(1)
	v_mul_f64 v[175:176], v[99:100], v[166:167]
	v_mul_f64 v[166:167], v[101:102], v[166:167]
	s_waitcnt vmcnt(56)
	v_fma_f64 v[162:163], v[1:2], v[172:173], -v[162:163]
	v_fma_f64 v[158:159], v[3:4], v[172:173], v[158:159]
	v_add_f64 v[103:104], v[103:104], v[168:169]
	v_add_f64 v[105:106], v[105:106], v[154:155]
	s_clause 0x2
	buffer_load_dword v171, off, s[0:3], 0 offset:732
	buffer_load_dword v155, off, s[0:3], 0 offset:708
	buffer_load_dword v154, off, s[0:3], 0 offset:704
	ds_read_b128 v[1:4], v141 offset:1216
	s_waitcnt vmcnt(58) lgkmcnt(1)
	v_mul_f64 v[172:173], v[97:98], v[179:180]
	v_mul_f64 v[168:169], v[95:96], v[179:180]
	s_waitcnt vmcnt(56)
	v_fma_f64 v[166:167], v[99:100], v[135:136], -v[166:167]
	v_fma_f64 v[135:136], v[101:102], v[135:136], v[175:176]
	buffer_load_dword v175, off, s[0:3], 0 offset:724
	ds_read_b128 v[99:102], v141 offset:1232
	v_add_f64 v[103:104], v[103:104], v[162:163]
	v_add_f64 v[105:106], v[105:106], v[158:159]
	s_waitcnt vmcnt(53) lgkmcnt(1)
	v_mul_f64 v[158:159], v[1:2], v[115:116]
	v_mul_f64 v[115:116], v[3:4], v[115:116]
	s_waitcnt vmcnt(52)
	v_fma_f64 v[162:163], v[95:96], v[181:182], -v[172:173]
	v_add_f64 v[103:104], v[103:104], v[166:167]
	v_fma_f64 v[166:167], v[97:98], v[181:182], v[168:169]
	v_add_f64 v[105:106], v[105:106], v[135:136]
	ds_read_b128 v[95:98], v141 offset:1248
	s_waitcnt vmcnt(51) lgkmcnt(1)
	v_mul_f64 v[135:136], v[99:100], v[137:138]
	v_mul_f64 v[137:138], v[101:102], v[137:138]
	s_waitcnt vmcnt(49)
	v_fma_f64 v[115:116], v[1:2], v[109:110], -v[115:116]
	v_fma_f64 v[109:110], v[3:4], v[109:110], v[158:159]
	v_add_f64 v[103:104], v[103:104], v[162:163]
	s_clause 0x3
	buffer_load_dword v158, off, s[0:3], 0 offset:192
	buffer_load_dword v159, off, s[0:3], 0 offset:196
	;; [unrolled: 1-line block ×4, first 2 shown]
	v_add_f64 v[105:106], v[105:106], v[166:167]
	ds_read_b128 v[1:4], v141 offset:1264
	s_waitcnt vmcnt(49) lgkmcnt(1)
	v_mul_f64 v[166:167], v[95:96], v[129:130]
	v_mul_f64 v[129:130], v[97:98], v[129:130]
	s_waitcnt vmcnt(48)
	v_fma_f64 v[137:138], v[99:100], v[177:178], -v[137:138]
	v_add_f64 v[103:104], v[103:104], v[115:116]
	v_fma_f64 v[115:116], v[101:102], v[177:178], v[135:136]
	v_add_f64 v[105:106], v[105:106], v[109:110]
	ds_read_b128 v[99:102], v141 offset:1280
	s_waitcnt vmcnt(47) lgkmcnt(1)
	v_mul_f64 v[109:110], v[1:2], v[131:132]
	v_mul_f64 v[131:132], v[3:4], v[131:132]
	s_waitcnt vmcnt(45)
	v_fma_f64 v[129:130], v[95:96], v[111:112], -v[129:130]
	v_fma_f64 v[111:112], v[97:98], v[111:112], v[166:167]
	ds_read_b128 v[95:98], v141 offset:1296
	v_add_f64 v[103:104], v[103:104], v[137:138]
	v_add_f64 v[105:106], v[105:106], v[115:116]
	s_waitcnt vmcnt(41) lgkmcnt(1)
	v_mul_f64 v[115:116], v[99:100], v[107:108]
	v_mul_f64 v[107:108], v[101:102], v[107:108]
	s_waitcnt vmcnt(40)
	v_fma_f64 v[131:132], v[1:2], v[139:140], -v[131:132]
	v_fma_f64 v[109:110], v[3:4], v[139:140], v[109:110]
	ds_read_b128 v[1:4], v141 offset:1312
	v_add_f64 v[103:104], v[103:104], v[129:130]
	v_add_f64 v[105:106], v[105:106], v[111:112]
	;; [unrolled: 9-line block ×3, first 2 shown]
	s_waitcnt vmcnt(33) lgkmcnt(1)
	v_mul_f64 v[109:110], v[1:2], v[113:114]
	v_mul_f64 v[113:114], v[3:4], v[113:114]
	s_waitcnt vmcnt(32)
	v_fma_f64 v[117:118], v[95:96], v[133:134], -v[127:128]
	v_add_f64 v[103:104], v[103:104], v[107:108]
	v_fma_f64 v[107:108], v[97:98], v[133:134], v[111:112]
	v_add_f64 v[105:106], v[105:106], v[115:116]
	ds_read_b128 v[95:98], v141 offset:1344
	s_waitcnt vmcnt(31) lgkmcnt(1)
	v_mul_f64 v[115:116], v[101:102], v[144:145]
	v_mul_f64 v[111:112], v[99:100], v[144:145]
	s_waitcnt vmcnt(29)
	v_fma_f64 v[109:110], v[3:4], v[123:124], v[109:110]
	v_fma_f64 v[113:114], v[1:2], v[123:124], -v[113:114]
	ds_read_b128 v[1:4], v141 offset:1360
	v_add_f64 v[103:104], v[103:104], v[117:118]
	v_add_f64 v[105:106], v[105:106], v[107:108]
	s_waitcnt vmcnt(25) lgkmcnt(1)
	v_mul_f64 v[117:118], v[97:98], v[119:120]
	s_waitcnt vmcnt(24)
	v_fma_f64 v[115:116], v[99:100], v[146:147], -v[115:116]
	v_mul_f64 v[107:108], v[95:96], v[119:120]
	v_fma_f64 v[111:112], v[101:102], v[146:147], v[111:112]
	ds_read_b128 v[99:102], v141 offset:1376
	v_add_f64 v[103:104], v[103:104], v[113:114]
	v_add_f64 v[105:106], v[105:106], v[109:110]
	s_waitcnt vmcnt(23) lgkmcnt(1)
	v_mul_f64 v[113:114], v[3:4], v[152:153]
	v_mul_f64 v[109:110], v[1:2], v[152:153]
	s_waitcnt vmcnt(21)
	v_fma_f64 v[117:118], v[95:96], v[121:122], -v[117:118]
	v_fma_f64 v[107:108], v[97:98], v[121:122], v[107:108]
	ds_read_b128 v[95:98], v141 offset:1392
	v_add_f64 v[103:104], v[103:104], v[115:116]
	v_add_f64 v[105:106], v[105:106], v[111:112]
	s_waitcnt vmcnt(17) lgkmcnt(1)
	v_mul_f64 v[115:116], v[101:102], v[125:126]
	s_waitcnt vmcnt(16)
	v_fma_f64 v[113:114], v[1:2], v[156:157], -v[113:114]
	v_mul_f64 v[111:112], v[99:100], v[125:126]
	v_fma_f64 v[109:110], v[3:4], v[156:157], v[109:110]
	ds_read_b128 v[1:4], v141 offset:1408
	v_add_f64 v[103:104], v[103:104], v[117:118]
	v_add_f64 v[105:106], v[105:106], v[107:108]
	s_waitcnt vmcnt(15) lgkmcnt(1)
	v_mul_f64 v[117:118], v[97:98], v[160:161]
	v_mul_f64 v[107:108], v[95:96], v[160:161]
	s_waitcnt vmcnt(13)
	v_fma_f64 v[115:116], v[99:100], v[142:143], -v[115:116]
	v_fma_f64 v[111:112], v[101:102], v[142:143], v[111:112]
	ds_read_b128 v[99:102], v141 offset:1424
	v_add_f64 v[103:104], v[103:104], v[113:114]
	v_add_f64 v[105:106], v[105:106], v[109:110]
	s_waitcnt vmcnt(9) lgkmcnt(1)
	v_mul_f64 v[113:114], v[3:4], v[148:149]
	s_waitcnt vmcnt(8)
	v_fma_f64 v[95:96], v[95:96], v[164:165], -v[117:118]
	v_mul_f64 v[109:110], v[1:2], v[148:149]
	v_fma_f64 v[97:98], v[97:98], v[164:165], v[107:108]
	v_add_f64 v[103:104], v[103:104], v[115:116]
	v_add_f64 v[105:106], v[105:106], v[111:112]
	s_waitcnt vmcnt(7) lgkmcnt(0)
	v_mul_f64 v[111:112], v[101:102], v[170:171]
	v_mul_f64 v[107:108], v[99:100], v[170:171]
	s_waitcnt vmcnt(5)
	v_fma_f64 v[1:2], v[1:2], v[154:155], -v[113:114]
	v_fma_f64 v[3:4], v[3:4], v[154:155], v[109:110]
	v_add_f64 v[95:96], v[103:104], v[95:96]
	v_add_f64 v[97:98], v[105:106], v[97:98]
	s_waitcnt vmcnt(4)
	v_fma_f64 v[99:100], v[99:100], v[174:175], -v[111:112]
	v_add_f64 v[1:2], v[95:96], v[1:2]
	v_fma_f64 v[95:96], v[101:102], v[174:175], v[107:108]
	v_add_f64 v[3:4], v[97:98], v[3:4]
	v_add_f64 v[1:2], v[1:2], v[99:100]
	;; [unrolled: 1-line block ×3, first 2 shown]
	s_waitcnt vmcnt(2)
	v_add_f64 v[1:2], v[158:159], -v[1:2]
	s_waitcnt vmcnt(0)
	v_add_f64 v[3:4], v[162:163], -v[3:4]
	buffer_store_dword v2, off, s[0:3], 0 offset:196
	buffer_store_dword v1, off, s[0:3], 0 offset:192
	;; [unrolled: 1-line block ×4, first 2 shown]
	v_cmpx_lt_u32_e32 10, v0
	s_cbranch_execz .LBB108_263
; %bb.262:
	v_mov_b32_e32 v4, s47
	s_clause 0x3
	buffer_load_dword v1, v4, s[0:3], 0 offen
	buffer_load_dword v2, v4, s[0:3], 0 offen offset:4
	buffer_load_dword v3, v4, s[0:3], 0 offen offset:8
	;; [unrolled: 1-line block ×3, first 2 shown]
	buffer_store_dword v141, off, s[0:3], 0 offset:176
	buffer_store_dword v141, off, s[0:3], 0 offset:180
	;; [unrolled: 1-line block ×4, first 2 shown]
	s_waitcnt vmcnt(0)
	ds_write_b128 v151, v[1:4]
.LBB108_263:
	s_or_b32 exec_lo, exec_lo, s4
	s_waitcnt lgkmcnt(0)
	s_waitcnt_vscnt null, 0x0
	s_barrier
	buffer_gl0_inv
	s_clause 0x37
	buffer_load_dword v99, off, s[0:3], 0 offset:200
	buffer_load_dword v100, off, s[0:3], 0 offset:204
	;; [unrolled: 1-line block ×56, first 2 shown]
	ds_read_b128 v[142:145], v141 offset:896
	s_clause 0x2
	buffer_load_dword v163, off, s[0:3], 0 offset:428
	buffer_load_dword v165, off, s[0:3], 0 offset:404
	;; [unrolled: 1-line block ×3, first 2 shown]
	ds_read_b128 v[146:149], v141 offset:912
	s_clause 0x4
	buffer_load_dword v169, off, s[0:3], 0 offset:444
	buffer_load_dword v170, off, s[0:3], 0 offset:456
	;; [unrolled: 1-line block ×5, first 2 shown]
	ds_read_b128 v[152:155], v141 offset:928
	s_clause 0x2
	buffer_load_dword v171, off, s[0:3], 0 offset:460
	buffer_load_dword v176, off, s[0:3], 0 offset:436
	;; [unrolled: 1-line block ×3, first 2 shown]
	s_mov_b32 s4, exec_lo
	s_waitcnt vmcnt(62) lgkmcnt(2)
	v_mul_f64 v[166:167], v[144:145], v[99:100]
	v_mul_f64 v[99:100], v[142:143], v[99:100]
	s_waitcnt lgkmcnt(1)
	v_mul_f64 v[173:174], v[148:149], v[95:96]
	s_waitcnt vmcnt(59) lgkmcnt(0)
	v_mul_f64 v[177:178], v[154:155], v[3:4]
	v_fma_f64 v[142:143], v[142:143], v[97:98], -v[166:167]
	v_mul_f64 v[166:167], v[146:147], v[95:96]
	v_fma_f64 v[99:100], v[144:145], v[97:98], v[99:100]
	s_waitcnt vmcnt(57)
	v_fma_f64 v[146:147], v[146:147], v[1:2], -v[173:174]
	ds_read_b128 v[95:98], v141 offset:944
	v_mul_f64 v[144:145], v[152:153], v[3:4]
	s_waitcnt vmcnt(51)
	v_fma_f64 v[152:153], v[152:153], v[115:116], -v[177:178]
	v_add_f64 v[142:143], v[142:143], 0
	v_fma_f64 v[148:149], v[148:149], v[1:2], v[166:167]
	v_add_f64 v[99:100], v[99:100], 0
	s_clause 0x4
	buffer_load_dword v167, off, s[0:3], 0 offset:476
	buffer_load_dword v179, off, s[0:3], 0 offset:488
	;; [unrolled: 1-line block ×5, first 2 shown]
	s_waitcnt lgkmcnt(0)
	v_mul_f64 v[182:183], v[95:96], v[103:104]
	v_mul_f64 v[103:104], v[97:98], v[103:104]
	ds_read_b128 v[1:4], v141 offset:960
	v_fma_f64 v[115:116], v[154:155], v[115:116], v[144:145]
	v_add_f64 v[146:147], v[142:143], v[146:147]
	v_add_f64 v[99:100], v[99:100], v[148:149]
	s_clause 0x2
	buffer_load_dword v180, off, s[0:3], 0 offset:492
	buffer_load_dword v149, off, s[0:3], 0 offset:468
	;; [unrolled: 1-line block ×3, first 2 shown]
	s_waitcnt vmcnt(58) lgkmcnt(0)
	v_mul_f64 v[154:155], v[1:2], v[107:108]
	v_mul_f64 v[107:108], v[3:4], v[107:108]
	s_waitcnt vmcnt(56)
	v_fma_f64 v[103:104], v[95:96], v[109:110], -v[103:104]
	ds_read_b128 v[142:145], v141 offset:976
	v_fma_f64 v[109:110], v[97:98], v[109:110], v[182:183]
	v_add_f64 v[146:147], v[146:147], v[152:153]
	v_add_f64 v[99:100], v[99:100], v[115:116]
	s_clause 0x4
	buffer_load_dword v116, off, s[0:3], 0 offset:508
	buffer_load_dword v152, off, s[0:3], 0 offset:520
	;; [unrolled: 1-line block ×5, first 2 shown]
	ds_read_b128 v[95:98], v141 offset:992
	s_waitcnt vmcnt(57) lgkmcnt(1)
	v_mul_f64 v[183:184], v[142:143], v[111:112]
	v_mul_f64 v[111:112], v[144:145], v[111:112]
	s_waitcnt vmcnt(56)
	v_fma_f64 v[107:108], v[1:2], v[101:102], -v[107:108]
	v_fma_f64 v[101:102], v[3:4], v[101:102], v[154:155]
	v_add_f64 v[103:104], v[146:147], v[103:104]
	v_add_f64 v[99:100], v[99:100], v[109:110]
	s_clause 0x2
	buffer_load_dword v153, off, s[0:3], 0 offset:524
	buffer_load_dword v110, off, s[0:3], 0 offset:500
	;; [unrolled: 1-line block ×3, first 2 shown]
	s_waitcnt vmcnt(58) lgkmcnt(0)
	v_mul_f64 v[146:147], v[95:96], v[117:118]
	v_mul_f64 v[117:118], v[97:98], v[117:118]
	s_waitcnt vmcnt(56)
	v_fma_f64 v[111:112], v[142:143], v[119:120], -v[111:112]
	ds_read_b128 v[1:4], v141 offset:1008
	v_add_f64 v[103:104], v[103:104], v[107:108]
	v_fma_f64 v[107:108], v[144:145], v[119:120], v[183:184]
	v_add_f64 v[119:120], v[99:100], v[101:102]
	s_clause 0x4
	buffer_load_dword v143, off, s[0:3], 0 offset:540
	buffer_load_dword v144, off, s[0:3], 0 offset:552
	;; [unrolled: 1-line block ×5, first 2 shown]
	ds_read_b128 v[99:102], v141 offset:1024
	s_waitcnt vmcnt(57) lgkmcnt(1)
	v_mul_f64 v[183:184], v[1:2], v[121:122]
	v_mul_f64 v[121:122], v[3:4], v[121:122]
	s_waitcnt vmcnt(56)
	v_fma_f64 v[117:118], v[95:96], v[105:106], -v[117:118]
	v_fma_f64 v[105:106], v[97:98], v[105:106], v[146:147]
	v_add_f64 v[103:104], v[103:104], v[111:112]
	s_clause 0x2
	buffer_load_dword v145, off, s[0:3], 0 offset:556
	buffer_load_dword v112, off, s[0:3], 0 offset:532
	;; [unrolled: 1-line block ×3, first 2 shown]
	v_add_f64 v[107:108], v[119:120], v[107:108]
	s_waitcnt vmcnt(58) lgkmcnt(0)
	v_mul_f64 v[119:120], v[99:100], v[125:126]
	v_mul_f64 v[125:126], v[101:102], v[125:126]
	ds_read_b128 v[95:98], v141 offset:1040
	s_waitcnt vmcnt(56)
	v_fma_f64 v[121:122], v[1:2], v[127:128], -v[121:122]
	v_add_f64 v[103:104], v[103:104], v[117:118]
	v_fma_f64 v[117:118], v[3:4], v[127:128], v[183:184]
	v_add_f64 v[105:106], v[107:108], v[105:106]
	s_clause 0x4
	buffer_load_dword v108, off, s[0:3], 0 offset:572
	buffer_load_dword v127, off, s[0:3], 0 offset:584
	;; [unrolled: 1-line block ×5, first 2 shown]
	s_waitcnt vmcnt(57) lgkmcnt(0)
	v_mul_f64 v[183:184], v[95:96], v[129:130]
	v_mul_f64 v[129:130], v[97:98], v[129:130]
	s_waitcnt vmcnt(56)
	v_fma_f64 v[125:126], v[99:100], v[113:114], -v[125:126]
	ds_read_b128 v[1:4], v141 offset:1056
	v_fma_f64 v[113:114], v[101:102], v[113:114], v[119:120]
	v_add_f64 v[103:104], v[103:104], v[121:122]
	v_add_f64 v[105:106], v[105:106], v[117:118]
	s_clause 0x2
	buffer_load_dword v128, off, s[0:3], 0 offset:588
	buffer_load_dword v118, off, s[0:3], 0 offset:564
	;; [unrolled: 1-line block ×3, first 2 shown]
	ds_read_b128 v[99:102], v141 offset:1072
	s_waitcnt vmcnt(58) lgkmcnt(1)
	v_mul_f64 v[121:122], v[3:4], v[133:134]
	s_waitcnt vmcnt(56)
	v_fma_f64 v[129:130], v[95:96], v[135:136], -v[129:130]
	v_mul_f64 v[119:120], v[1:2], v[133:134]
	v_add_f64 v[103:104], v[103:104], v[125:126]
	v_fma_f64 v[125:126], v[97:98], v[135:136], v[183:184]
	v_add_f64 v[105:106], v[105:106], v[113:114]
	s_clause 0x4
	buffer_load_dword v114, off, s[0:3], 0 offset:604
	buffer_load_dword v133, off, s[0:3], 0 offset:616
	;; [unrolled: 1-line block ×5, first 2 shown]
	s_waitcnt vmcnt(57) lgkmcnt(0)
	v_mul_f64 v[183:184], v[99:100], v[137:138]
	v_mul_f64 v[136:137], v[101:102], v[137:138]
	s_waitcnt vmcnt(56)
	v_fma_f64 v[121:122], v[1:2], v[123:124], -v[121:122]
	ds_read_b128 v[95:98], v141 offset:1088
	v_fma_f64 v[119:120], v[3:4], v[123:124], v[119:120]
	s_clause 0x2
	buffer_load_dword v134, off, s[0:3], 0 offset:620
	buffer_load_dword v124, off, s[0:3], 0 offset:596
	;; [unrolled: 1-line block ×3, first 2 shown]
	ds_read_b128 v[1:4], v141 offset:1104
	v_add_f64 v[103:104], v[103:104], v[129:130]
	v_add_f64 v[105:106], v[105:106], v[125:126]
	s_waitcnt vmcnt(58) lgkmcnt(1)
	v_mul_f64 v[129:130], v[97:98], v[156:157]
	s_waitcnt vmcnt(56)
	v_fma_f64 v[137:138], v[99:100], v[158:159], -v[136:137]
	v_mul_f64 v[125:126], v[95:96], v[156:157]
	v_add_f64 v[103:104], v[103:104], v[121:122]
	v_fma_f64 v[121:122], v[101:102], v[158:159], v[183:184]
	v_add_f64 v[105:106], v[105:106], v[119:120]
	s_clause 0x4
	buffer_load_dword v120, off, s[0:3], 0 offset:636
	buffer_load_dword v156, off, s[0:3], 0 offset:648
	buffer_load_dword v158, off, s[0:3], 0 offset:640
	buffer_load_dword v119, off, s[0:3], 0 offset:632
	buffer_load_dword v136, off, s[0:3], 0 offset:612
	s_waitcnt vmcnt(57) lgkmcnt(0)
	v_mul_f64 v[183:184], v[1:2], v[160:161]
	v_mul_f64 v[159:160], v[3:4], v[160:161]
	s_waitcnt vmcnt(56)
	v_fma_f64 v[129:130], v[95:96], v[131:132], -v[129:130]
	ds_read_b128 v[99:102], v141 offset:1120
	v_fma_f64 v[125:126], v[97:98], v[131:132], v[125:126]
	v_add_f64 v[103:104], v[103:104], v[137:138]
	v_add_f64 v[105:106], v[105:106], v[121:122]
	s_clause 0x2
	buffer_load_dword v157, off, s[0:3], 0 offset:652
	buffer_load_dword v122, off, s[0:3], 0 offset:628
	;; [unrolled: 1-line block ×3, first 2 shown]
	ds_read_b128 v[95:98], v141 offset:1136
	s_waitcnt vmcnt(58) lgkmcnt(1)
	v_mul_f64 v[137:138], v[101:102], v[162:163]
	s_waitcnt vmcnt(56)
	v_fma_f64 v[160:161], v[1:2], v[164:165], -v[159:160]
	v_mul_f64 v[131:132], v[99:100], v[162:163]
	v_add_f64 v[103:104], v[103:104], v[129:130]
	v_fma_f64 v[129:130], v[3:4], v[164:165], v[183:184]
	v_add_f64 v[105:106], v[105:106], v[125:126]
	s_clause 0x4
	buffer_load_dword v126, off, s[0:3], 0 offset:668
	buffer_load_dword v162, off, s[0:3], 0 offset:680
	;; [unrolled: 1-line block ×5, first 2 shown]
	s_waitcnt vmcnt(57) lgkmcnt(0)
	v_mul_f64 v[183:184], v[95:96], v[168:169]
	v_mul_f64 v[168:169], v[97:98], v[168:169]
	s_waitcnt vmcnt(56)
	v_fma_f64 v[137:138], v[99:100], v[139:140], -v[137:138]
	ds_read_b128 v[1:4], v141 offset:1152
	v_fma_f64 v[131:132], v[101:102], v[139:140], v[131:132]
	v_add_f64 v[103:104], v[103:104], v[160:161]
	v_add_f64 v[105:106], v[105:106], v[129:130]
	s_clause 0x2
	buffer_load_dword v163, off, s[0:3], 0 offset:684
	buffer_load_dword v130, off, s[0:3], 0 offset:660
	;; [unrolled: 1-line block ×3, first 2 shown]
	ds_read_b128 v[99:102], v141 offset:1168
	s_waitcnt vmcnt(58) lgkmcnt(1)
	v_mul_f64 v[160:161], v[3:4], v[170:171]
	s_waitcnt vmcnt(56)
	v_fma_f64 v[168:169], v[95:96], v[175:176], -v[168:169]
	v_mul_f64 v[139:140], v[1:2], v[170:171]
	v_add_f64 v[103:104], v[103:104], v[137:138]
	v_fma_f64 v[137:138], v[97:98], v[175:176], v[183:184]
	v_add_f64 v[105:106], v[105:106], v[131:132]
	s_clause 0x4
	buffer_load_dword v132, off, s[0:3], 0 offset:700
	buffer_load_dword v170, off, s[0:3], 0 offset:712
	;; [unrolled: 1-line block ×5, first 2 shown]
	ds_read_b128 v[95:98], v141 offset:1184
	s_waitcnt vmcnt(57) lgkmcnt(1)
	v_mul_f64 v[175:176], v[99:100], v[166:167]
	v_mul_f64 v[166:167], v[101:102], v[166:167]
	s_waitcnt vmcnt(56)
	v_fma_f64 v[160:161], v[1:2], v[172:173], -v[160:161]
	v_fma_f64 v[139:140], v[3:4], v[172:173], v[139:140]
	v_add_f64 v[103:104], v[103:104], v[168:169]
	v_add_f64 v[105:106], v[105:106], v[137:138]
	s_clause 0x2
	buffer_load_dword v171, off, s[0:3], 0 offset:716
	buffer_load_dword v138, off, s[0:3], 0 offset:692
	;; [unrolled: 1-line block ×3, first 2 shown]
	ds_read_b128 v[1:4], v141 offset:1200
	s_waitcnt vmcnt(58) lgkmcnt(1)
	v_mul_f64 v[172:173], v[97:98], v[179:180]
	v_mul_f64 v[168:169], v[95:96], v[179:180]
	s_waitcnt vmcnt(56)
	v_fma_f64 v[166:167], v[99:100], v[148:149], -v[166:167]
	v_fma_f64 v[148:149], v[101:102], v[148:149], v[175:176]
	v_add_f64 v[103:104], v[103:104], v[160:161]
	v_add_f64 v[105:106], v[105:106], v[139:140]
	s_clause 0x2
	buffer_load_dword v140, off, s[0:3], 0 offset:732
	buffer_load_dword v139, off, s[0:3], 0 offset:728
	buffer_load_dword v175, off, s[0:3], 0 offset:708
	ds_read_b128 v[99:102], v141 offset:1216
	s_waitcnt vmcnt(55) lgkmcnt(1)
	v_mul_f64 v[160:161], v[1:2], v[115:116]
	v_mul_f64 v[115:116], v[3:4], v[115:116]
	s_waitcnt vmcnt(54)
	v_fma_f64 v[172:173], v[95:96], v[181:182], -v[172:173]
	v_add_f64 v[103:104], v[103:104], v[166:167]
	v_fma_f64 v[166:167], v[97:98], v[181:182], v[168:169]
	v_add_f64 v[105:106], v[105:106], v[148:149]
	s_clause 0x1
	buffer_load_dword v149, off, s[0:3], 0 offset:724
	buffer_load_dword v148, off, s[0:3], 0 offset:720
	ds_read_b128 v[95:98], v141 offset:1232
	s_waitcnt vmcnt(55) lgkmcnt(1)
	v_mul_f64 v[168:169], v[99:100], v[152:153]
	v_mul_f64 v[152:153], v[101:102], v[152:153]
	s_waitcnt vmcnt(53)
	v_fma_f64 v[115:116], v[1:2], v[109:110], -v[115:116]
	v_fma_f64 v[109:110], v[3:4], v[109:110], v[160:161]
	ds_read_b128 v[1:4], v141 offset:1248
	v_add_f64 v[103:104], v[103:104], v[172:173]
	v_add_f64 v[105:106], v[105:106], v[166:167]
	s_waitcnt vmcnt(49) lgkmcnt(1)
	v_mul_f64 v[160:161], v[95:96], v[142:143]
	v_mul_f64 v[142:143], v[97:98], v[142:143]
	s_waitcnt vmcnt(48)
	v_fma_f64 v[152:153], v[99:100], v[177:178], -v[152:153]
	v_add_f64 v[103:104], v[103:104], v[115:116]
	v_fma_f64 v[115:116], v[101:102], v[177:178], v[168:169]
	v_add_f64 v[105:106], v[105:106], v[109:110]
	s_clause 0x3
	buffer_load_dword v109, off, s[0:3], 0 offset:176
	buffer_load_dword v110, off, s[0:3], 0 offset:180
	;; [unrolled: 1-line block ×4, first 2 shown]
	ds_read_b128 v[99:102], v141 offset:1264
	s_waitcnt vmcnt(51) lgkmcnt(1)
	v_mul_f64 v[168:169], v[1:2], v[144:145]
	v_mul_f64 v[144:145], v[3:4], v[144:145]
	s_waitcnt vmcnt(49)
	v_fma_f64 v[142:143], v[95:96], v[111:112], -v[142:143]
	v_fma_f64 v[111:112], v[97:98], v[111:112], v[160:161]
	ds_read_b128 v[95:98], v141 offset:1280
	v_add_f64 v[103:104], v[103:104], v[152:153]
	v_add_f64 v[105:106], v[105:106], v[115:116]
	s_waitcnt vmcnt(45) lgkmcnt(1)
	v_mul_f64 v[115:116], v[99:100], v[107:108]
	v_mul_f64 v[107:108], v[101:102], v[107:108]
	s_waitcnt vmcnt(44)
	v_fma_f64 v[144:145], v[1:2], v[154:155], -v[144:145]
	v_add_f64 v[103:104], v[103:104], v[142:143]
	v_fma_f64 v[142:143], v[3:4], v[154:155], v[168:169]
	v_add_f64 v[105:106], v[105:106], v[111:112]
	ds_read_b128 v[1:4], v141 offset:1296
	s_waitcnt vmcnt(43) lgkmcnt(1)
	v_mul_f64 v[111:112], v[95:96], v[127:128]
	v_mul_f64 v[127:128], v[97:98], v[127:128]
	s_waitcnt vmcnt(41)
	v_fma_f64 v[107:108], v[99:100], v[117:118], -v[107:108]
	v_fma_f64 v[115:116], v[101:102], v[117:118], v[115:116]
	ds_read_b128 v[99:102], v141 offset:1312
	v_add_f64 v[103:104], v[103:104], v[144:145]
	v_add_f64 v[105:106], v[105:106], v[142:143]
	s_waitcnt vmcnt(37) lgkmcnt(1)
	v_mul_f64 v[117:118], v[1:2], v[113:114]
	v_mul_f64 v[113:114], v[3:4], v[113:114]
	s_waitcnt vmcnt(36)
	v_fma_f64 v[127:128], v[95:96], v[146:147], -v[127:128]
	v_add_f64 v[103:104], v[103:104], v[107:108]
	v_fma_f64 v[107:108], v[97:98], v[146:147], v[111:112]
	v_add_f64 v[105:106], v[105:106], v[115:116]
	s_waitcnt vmcnt(35) lgkmcnt(0)
	v_mul_f64 v[115:116], v[101:102], v[133:134]
	ds_read_b128 v[95:98], v141 offset:1328
	v_mul_f64 v[111:112], v[99:100], v[133:134]
	s_waitcnt vmcnt(33)
	v_fma_f64 v[117:118], v[3:4], v[123:124], v[117:118]
	v_fma_f64 v[113:114], v[1:2], v[123:124], -v[113:114]
	ds_read_b128 v[1:4], v141 offset:1344
	v_add_f64 v[103:104], v[103:104], v[127:128]
	v_add_f64 v[105:106], v[105:106], v[107:108]
	s_waitcnt vmcnt(29) lgkmcnt(1)
	v_mul_f64 v[107:108], v[95:96], v[119:120]
	v_mul_f64 v[119:120], v[97:98], v[119:120]
	s_waitcnt vmcnt(28)
	v_fma_f64 v[115:116], v[99:100], v[135:136], -v[115:116]
	v_fma_f64 v[111:112], v[101:102], v[135:136], v[111:112]
	ds_read_b128 v[99:102], v141 offset:1360
	v_add_f64 v[103:104], v[103:104], v[113:114]
	v_add_f64 v[105:106], v[105:106], v[117:118]
	s_waitcnt vmcnt(27) lgkmcnt(1)
	v_mul_f64 v[117:118], v[3:4], v[156:157]
	v_mul_f64 v[113:114], v[1:2], v[156:157]
	s_waitcnt vmcnt(25)
	v_fma_f64 v[119:120], v[95:96], v[121:122], -v[119:120]
	v_fma_f64 v[107:108], v[97:98], v[121:122], v[107:108]
	ds_read_b128 v[95:98], v141 offset:1376
	v_add_f64 v[103:104], v[103:104], v[115:116]
	v_add_f64 v[105:106], v[105:106], v[111:112]
	s_waitcnt vmcnt(21) lgkmcnt(1)
	v_mul_f64 v[115:116], v[101:102], v[125:126]
	s_waitcnt vmcnt(20)
	v_fma_f64 v[117:118], v[1:2], v[158:159], -v[117:118]
	v_mul_f64 v[111:112], v[99:100], v[125:126]
	v_fma_f64 v[113:114], v[3:4], v[158:159], v[113:114]
	ds_read_b128 v[1:4], v141 offset:1392
	v_add_f64 v[103:104], v[103:104], v[119:120]
	v_add_f64 v[105:106], v[105:106], v[107:108]
	s_waitcnt vmcnt(19) lgkmcnt(1)
	v_mul_f64 v[119:120], v[97:98], v[162:163]
	v_mul_f64 v[107:108], v[95:96], v[162:163]
	s_waitcnt vmcnt(17)
	v_fma_f64 v[115:116], v[99:100], v[129:130], -v[115:116]
	v_fma_f64 v[111:112], v[101:102], v[129:130], v[111:112]
	ds_read_b128 v[99:102], v141 offset:1408
	v_add_f64 v[103:104], v[103:104], v[117:118]
	v_add_f64 v[105:106], v[105:106], v[113:114]
	s_waitcnt vmcnt(13) lgkmcnt(1)
	v_mul_f64 v[117:118], v[3:4], v[131:132]
	s_waitcnt vmcnt(12)
	v_fma_f64 v[119:120], v[95:96], v[164:165], -v[119:120]
	v_mul_f64 v[113:114], v[1:2], v[131:132]
	v_fma_f64 v[107:108], v[97:98], v[164:165], v[107:108]
	ds_read_b128 v[95:98], v141 offset:1424
	v_add_f64 v[103:104], v[103:104], v[115:116]
	v_add_f64 v[105:106], v[105:106], v[111:112]
	s_waitcnt vmcnt(11) lgkmcnt(1)
	v_mul_f64 v[115:116], v[101:102], v[170:171]
	v_mul_f64 v[111:112], v[99:100], v[170:171]
	s_waitcnt vmcnt(9)
	v_fma_f64 v[1:2], v[1:2], v[137:138], -v[117:118]
	v_fma_f64 v[3:4], v[3:4], v[137:138], v[113:114]
	v_add_f64 v[103:104], v[103:104], v[119:120]
	v_add_f64 v[105:106], v[105:106], v[107:108]
	s_waitcnt vmcnt(7) lgkmcnt(0)
	v_mul_f64 v[113:114], v[97:98], v[139:140]
	s_waitcnt vmcnt(6)
	v_fma_f64 v[99:100], v[99:100], v[174:175], -v[115:116]
	v_mul_f64 v[107:108], v[95:96], v[139:140]
	v_fma_f64 v[101:102], v[101:102], v[174:175], v[111:112]
	v_add_f64 v[1:2], v[103:104], v[1:2]
	v_add_f64 v[3:4], v[105:106], v[3:4]
	s_waitcnt vmcnt(4)
	v_fma_f64 v[95:96], v[95:96], v[148:149], -v[113:114]
	v_fma_f64 v[97:98], v[97:98], v[148:149], v[107:108]
	v_add_f64 v[1:2], v[1:2], v[99:100]
	v_add_f64 v[3:4], v[3:4], v[101:102]
	;; [unrolled: 1-line block ×4, first 2 shown]
	s_waitcnt vmcnt(2)
	v_add_f64 v[1:2], v[109:110], -v[1:2]
	s_waitcnt vmcnt(0)
	v_add_f64 v[3:4], v[166:167], -v[3:4]
	buffer_store_dword v2, off, s[0:3], 0 offset:180
	buffer_store_dword v1, off, s[0:3], 0 offset:176
	;; [unrolled: 1-line block ×4, first 2 shown]
	v_cmpx_lt_u32_e32 9, v0
	s_cbranch_execz .LBB108_265
; %bb.264:
	v_mov_b32_e32 v4, s48
	v_mov_b32_e32 v95, 0
	s_clause 0x3
	buffer_load_dword v1, v4, s[0:3], 0 offen
	buffer_load_dword v2, v4, s[0:3], 0 offen offset:4
	buffer_load_dword v3, v4, s[0:3], 0 offen offset:8
	;; [unrolled: 1-line block ×3, first 2 shown]
	buffer_store_dword v95, off, s[0:3], 0 offset:160
	buffer_store_dword v95, off, s[0:3], 0 offset:164
	;; [unrolled: 1-line block ×4, first 2 shown]
	s_waitcnt vmcnt(0)
	ds_write_b128 v151, v[1:4]
.LBB108_265:
	s_or_b32 exec_lo, exec_lo, s4
	s_waitcnt lgkmcnt(0)
	s_waitcnt_vscnt null, 0x0
	s_barrier
	buffer_gl0_inv
	s_clause 0x37
	buffer_load_dword v99, off, s[0:3], 0 offset:184
	buffer_load_dword v100, off, s[0:3], 0 offset:188
	;; [unrolled: 1-line block ×56, first 2 shown]
	v_mov_b32_e32 v152, 0
	s_mov_b32 s4, exec_lo
	ds_read_b128 v[153:156], v152 offset:880
	s_clause 0x2
	buffer_load_dword v148, off, s[0:3], 0 offset:412
	buffer_load_dword v150, off, s[0:3], 0 offset:388
	;; [unrolled: 1-line block ×3, first 2 shown]
	ds_read_b128 v[157:160], v152 offset:896
	s_clause 0x4
	buffer_load_dword v168, off, s[0:3], 0 offset:428
	buffer_load_dword v169, off, s[0:3], 0 offset:440
	;; [unrolled: 1-line block ×5, first 2 shown]
	ds_read_b128 v[161:164], v152 offset:912
	s_clause 0x2
	buffer_load_dword v170, off, s[0:3], 0 offset:444
	buffer_load_dword v175, off, s[0:3], 0 offset:420
	;; [unrolled: 1-line block ×3, first 2 shown]
	s_waitcnt vmcnt(62) lgkmcnt(2)
	v_mul_f64 v[165:166], v[155:156], v[99:100]
	v_mul_f64 v[99:100], v[153:154], v[99:100]
	s_waitcnt lgkmcnt(1)
	v_mul_f64 v[172:173], v[159:160], v[95:96]
	s_waitcnt vmcnt(59) lgkmcnt(0)
	v_mul_f64 v[176:177], v[163:164], v[3:4]
	v_fma_f64 v[153:154], v[153:154], v[97:98], -v[165:166]
	v_mul_f64 v[165:166], v[157:158], v[95:96]
	v_fma_f64 v[99:100], v[155:156], v[97:98], v[99:100]
	s_waitcnt vmcnt(57)
	v_fma_f64 v[157:158], v[157:158], v[1:2], -v[172:173]
	ds_read_b128 v[95:98], v152 offset:928
	v_mul_f64 v[155:156], v[161:162], v[3:4]
	s_waitcnt vmcnt(51)
	v_fma_f64 v[161:162], v[161:162], v[115:116], -v[176:177]
	v_add_f64 v[153:154], v[153:154], 0
	v_fma_f64 v[159:160], v[159:160], v[1:2], v[165:166]
	v_add_f64 v[99:100], v[99:100], 0
	s_clause 0x4
	buffer_load_dword v166, off, s[0:3], 0 offset:460
	buffer_load_dword v178, off, s[0:3], 0 offset:472
	;; [unrolled: 1-line block ×5, first 2 shown]
	s_waitcnt lgkmcnt(0)
	v_mul_f64 v[181:182], v[95:96], v[103:104]
	v_mul_f64 v[103:104], v[97:98], v[103:104]
	ds_read_b128 v[1:4], v152 offset:944
	v_fma_f64 v[115:116], v[163:164], v[115:116], v[155:156]
	v_add_f64 v[157:158], v[153:154], v[157:158]
	v_add_f64 v[99:100], v[99:100], v[159:160]
	s_clause 0x2
	buffer_load_dword v179, off, s[0:3], 0 offset:476
	buffer_load_dword v160, off, s[0:3], 0 offset:452
	;; [unrolled: 1-line block ×3, first 2 shown]
	s_waitcnt vmcnt(58) lgkmcnt(0)
	v_mul_f64 v[163:164], v[1:2], v[107:108]
	v_mul_f64 v[107:108], v[3:4], v[107:108]
	s_waitcnt vmcnt(56)
	v_fma_f64 v[103:104], v[95:96], v[109:110], -v[103:104]
	ds_read_b128 v[153:156], v152 offset:960
	v_fma_f64 v[109:110], v[97:98], v[109:110], v[181:182]
	v_add_f64 v[157:158], v[157:158], v[161:162]
	v_add_f64 v[99:100], v[99:100], v[115:116]
	s_clause 0x4
	buffer_load_dword v116, off, s[0:3], 0 offset:492
	buffer_load_dword v161, off, s[0:3], 0 offset:504
	buffer_load_dword v176, off, s[0:3], 0 offset:496
	buffer_load_dword v115, off, s[0:3], 0 offset:488
	buffer_load_dword v181, off, s[0:3], 0 offset:468
	ds_read_b128 v[95:98], v152 offset:976
	s_waitcnt vmcnt(57) lgkmcnt(1)
	v_mul_f64 v[182:183], v[153:154], v[111:112]
	v_mul_f64 v[111:112], v[155:156], v[111:112]
	s_waitcnt vmcnt(56)
	v_fma_f64 v[107:108], v[1:2], v[101:102], -v[107:108]
	v_fma_f64 v[101:102], v[3:4], v[101:102], v[163:164]
	v_add_f64 v[103:104], v[157:158], v[103:104]
	v_add_f64 v[99:100], v[99:100], v[109:110]
	s_clause 0x2
	buffer_load_dword v162, off, s[0:3], 0 offset:508
	buffer_load_dword v110, off, s[0:3], 0 offset:484
	;; [unrolled: 1-line block ×3, first 2 shown]
	s_waitcnt vmcnt(58) lgkmcnt(0)
	v_mul_f64 v[157:158], v[95:96], v[117:118]
	v_mul_f64 v[117:118], v[97:98], v[117:118]
	s_waitcnt vmcnt(56)
	v_fma_f64 v[111:112], v[153:154], v[119:120], -v[111:112]
	ds_read_b128 v[1:4], v152 offset:992
	v_add_f64 v[103:104], v[103:104], v[107:108]
	v_fma_f64 v[107:108], v[155:156], v[119:120], v[182:183]
	v_add_f64 v[119:120], v[99:100], v[101:102]
	s_clause 0x4
	buffer_load_dword v154, off, s[0:3], 0 offset:524
	buffer_load_dword v155, off, s[0:3], 0 offset:536
	buffer_load_dword v163, off, s[0:3], 0 offset:528
	buffer_load_dword v153, off, s[0:3], 0 offset:520
	buffer_load_dword v177, off, s[0:3], 0 offset:500
	ds_read_b128 v[99:102], v152 offset:1008
	s_waitcnt vmcnt(57) lgkmcnt(1)
	v_mul_f64 v[182:183], v[1:2], v[121:122]
	v_mul_f64 v[121:122], v[3:4], v[121:122]
	s_waitcnt vmcnt(56)
	v_fma_f64 v[117:118], v[95:96], v[105:106], -v[117:118]
	v_fma_f64 v[105:106], v[97:98], v[105:106], v[157:158]
	v_add_f64 v[103:104], v[103:104], v[111:112]
	s_clause 0x2
	buffer_load_dword v156, off, s[0:3], 0 offset:540
	buffer_load_dword v112, off, s[0:3], 0 offset:516
	;; [unrolled: 1-line block ×3, first 2 shown]
	v_add_f64 v[107:108], v[119:120], v[107:108]
	s_waitcnt vmcnt(58) lgkmcnt(0)
	v_mul_f64 v[119:120], v[99:100], v[125:126]
	v_mul_f64 v[125:126], v[101:102], v[125:126]
	ds_read_b128 v[95:98], v152 offset:1024
	s_waitcnt vmcnt(56)
	v_fma_f64 v[121:122], v[1:2], v[127:128], -v[121:122]
	v_add_f64 v[103:104], v[103:104], v[117:118]
	v_fma_f64 v[117:118], v[3:4], v[127:128], v[182:183]
	v_add_f64 v[105:106], v[107:108], v[105:106]
	s_clause 0x4
	buffer_load_dword v108, off, s[0:3], 0 offset:556
	buffer_load_dword v127, off, s[0:3], 0 offset:568
	;; [unrolled: 1-line block ×5, first 2 shown]
	s_waitcnt vmcnt(57) lgkmcnt(0)
	v_mul_f64 v[182:183], v[95:96], v[129:130]
	v_mul_f64 v[129:130], v[97:98], v[129:130]
	s_waitcnt vmcnt(56)
	v_fma_f64 v[125:126], v[99:100], v[113:114], -v[125:126]
	ds_read_b128 v[1:4], v152 offset:1040
	v_fma_f64 v[113:114], v[101:102], v[113:114], v[119:120]
	v_add_f64 v[103:104], v[103:104], v[121:122]
	v_add_f64 v[105:106], v[105:106], v[117:118]
	s_clause 0x2
	buffer_load_dword v128, off, s[0:3], 0 offset:572
	buffer_load_dword v118, off, s[0:3], 0 offset:548
	;; [unrolled: 1-line block ×3, first 2 shown]
	ds_read_b128 v[99:102], v152 offset:1056
	s_waitcnt vmcnt(58) lgkmcnt(1)
	v_mul_f64 v[121:122], v[3:4], v[133:134]
	s_waitcnt vmcnt(56)
	v_fma_f64 v[129:130], v[95:96], v[135:136], -v[129:130]
	v_mul_f64 v[119:120], v[1:2], v[133:134]
	v_add_f64 v[103:104], v[103:104], v[125:126]
	v_fma_f64 v[125:126], v[97:98], v[135:136], v[182:183]
	v_add_f64 v[105:106], v[105:106], v[113:114]
	s_clause 0x4
	buffer_load_dword v114, off, s[0:3], 0 offset:588
	buffer_load_dword v133, off, s[0:3], 0 offset:600
	;; [unrolled: 1-line block ×5, first 2 shown]
	s_waitcnt vmcnt(57) lgkmcnt(0)
	v_mul_f64 v[182:183], v[99:100], v[137:138]
	v_mul_f64 v[136:137], v[101:102], v[137:138]
	s_waitcnt vmcnt(56)
	v_fma_f64 v[121:122], v[1:2], v[123:124], -v[121:122]
	ds_read_b128 v[95:98], v152 offset:1072
	v_fma_f64 v[119:120], v[3:4], v[123:124], v[119:120]
	s_clause 0x2
	buffer_load_dword v134, off, s[0:3], 0 offset:604
	buffer_load_dword v124, off, s[0:3], 0 offset:580
	;; [unrolled: 1-line block ×3, first 2 shown]
	ds_read_b128 v[1:4], v152 offset:1088
	v_add_f64 v[103:104], v[103:104], v[129:130]
	v_add_f64 v[105:106], v[105:106], v[125:126]
	s_waitcnt vmcnt(58) lgkmcnt(1)
	v_mul_f64 v[129:130], v[97:98], v[141:142]
	s_waitcnt vmcnt(56)
	v_fma_f64 v[137:138], v[99:100], v[143:144], -v[136:137]
	v_mul_f64 v[125:126], v[95:96], v[141:142]
	v_add_f64 v[103:104], v[103:104], v[121:122]
	v_fma_f64 v[121:122], v[101:102], v[143:144], v[182:183]
	v_add_f64 v[105:106], v[105:106], v[119:120]
	s_clause 0x4
	buffer_load_dword v120, off, s[0:3], 0 offset:620
	buffer_load_dword v141, off, s[0:3], 0 offset:632
	;; [unrolled: 1-line block ×5, first 2 shown]
	s_waitcnt vmcnt(57) lgkmcnt(0)
	v_mul_f64 v[182:183], v[1:2], v[145:146]
	v_mul_f64 v[144:145], v[3:4], v[145:146]
	s_waitcnt vmcnt(56)
	v_fma_f64 v[129:130], v[95:96], v[131:132], -v[129:130]
	ds_read_b128 v[99:102], v152 offset:1104
	v_fma_f64 v[125:126], v[97:98], v[131:132], v[125:126]
	v_add_f64 v[103:104], v[103:104], v[137:138]
	v_add_f64 v[105:106], v[105:106], v[121:122]
	s_clause 0x2
	buffer_load_dword v142, off, s[0:3], 0 offset:636
	buffer_load_dword v122, off, s[0:3], 0 offset:612
	;; [unrolled: 1-line block ×3, first 2 shown]
	ds_read_b128 v[95:98], v152 offset:1120
	s_waitcnt vmcnt(58) lgkmcnt(1)
	v_mul_f64 v[137:138], v[101:102], v[147:148]
	s_waitcnt vmcnt(56)
	v_fma_f64 v[145:146], v[1:2], v[149:150], -v[144:145]
	v_mul_f64 v[131:132], v[99:100], v[147:148]
	v_add_f64 v[103:104], v[103:104], v[129:130]
	v_fma_f64 v[129:130], v[3:4], v[149:150], v[182:183]
	v_add_f64 v[105:106], v[105:106], v[125:126]
	s_clause 0x4
	buffer_load_dword v126, off, s[0:3], 0 offset:652
	buffer_load_dword v147, off, s[0:3], 0 offset:664
	;; [unrolled: 1-line block ×5, first 2 shown]
	s_waitcnt vmcnt(57) lgkmcnt(0)
	v_mul_f64 v[182:183], v[95:96], v[167:168]
	v_mul_f64 v[167:168], v[97:98], v[167:168]
	s_waitcnt vmcnt(56)
	v_fma_f64 v[137:138], v[99:100], v[139:140], -v[137:138]
	ds_read_b128 v[1:4], v152 offset:1136
	v_fma_f64 v[131:132], v[101:102], v[139:140], v[131:132]
	v_add_f64 v[103:104], v[103:104], v[145:146]
	v_add_f64 v[105:106], v[105:106], v[129:130]
	s_clause 0x2
	buffer_load_dword v148, off, s[0:3], 0 offset:668
	buffer_load_dword v130, off, s[0:3], 0 offset:644
	;; [unrolled: 1-line block ×3, first 2 shown]
	ds_read_b128 v[99:102], v152 offset:1152
	s_waitcnt vmcnt(58) lgkmcnt(1)
	v_mul_f64 v[145:146], v[3:4], v[169:170]
	s_waitcnt vmcnt(56)
	v_fma_f64 v[167:168], v[95:96], v[174:175], -v[167:168]
	v_mul_f64 v[139:140], v[1:2], v[169:170]
	v_add_f64 v[103:104], v[103:104], v[137:138]
	v_fma_f64 v[137:138], v[97:98], v[174:175], v[182:183]
	v_add_f64 v[105:106], v[105:106], v[131:132]
	s_clause 0x4
	buffer_load_dword v132, off, s[0:3], 0 offset:684
	buffer_load_dword v169, off, s[0:3], 0 offset:696
	buffer_load_dword v173, off, s[0:3], 0 offset:688
	buffer_load_dword v131, off, s[0:3], 0 offset:680
	buffer_load_dword v150, off, s[0:3], 0 offset:660
	ds_read_b128 v[95:98], v152 offset:1168
	s_waitcnt vmcnt(57) lgkmcnt(1)
	v_mul_f64 v[174:175], v[99:100], v[165:166]
	v_mul_f64 v[165:166], v[101:102], v[165:166]
	s_waitcnt vmcnt(56)
	v_fma_f64 v[145:146], v[1:2], v[171:172], -v[145:146]
	v_fma_f64 v[139:140], v[3:4], v[171:172], v[139:140]
	v_add_f64 v[103:104], v[103:104], v[167:168]
	v_add_f64 v[105:106], v[105:106], v[137:138]
	s_clause 0x2
	buffer_load_dword v170, off, s[0:3], 0 offset:700
	buffer_load_dword v138, off, s[0:3], 0 offset:676
	;; [unrolled: 1-line block ×3, first 2 shown]
	ds_read_b128 v[1:4], v152 offset:1184
	s_waitcnt vmcnt(58) lgkmcnt(1)
	v_mul_f64 v[171:172], v[97:98], v[178:179]
	v_mul_f64 v[167:168], v[95:96], v[178:179]
	s_waitcnt vmcnt(56)
	v_fma_f64 v[165:166], v[99:100], v[159:160], -v[165:166]
	v_add_f64 v[103:104], v[103:104], v[145:146]
	v_fma_f64 v[145:146], v[101:102], v[159:160], v[174:175]
	v_add_f64 v[105:106], v[105:106], v[139:140]
	s_clause 0x4
	buffer_load_dword v140, off, s[0:3], 0 offset:716
	buffer_load_dword v159, off, s[0:3], 0 offset:728
	;; [unrolled: 1-line block ×5, first 2 shown]
	ds_read_b128 v[99:102], v152 offset:1200
	s_waitcnt vmcnt(57) lgkmcnt(1)
	v_mul_f64 v[182:183], v[1:2], v[115:116]
	v_mul_f64 v[115:116], v[3:4], v[115:116]
	s_waitcnt vmcnt(56)
	v_fma_f64 v[171:172], v[95:96], v[180:181], -v[171:172]
	v_add_f64 v[103:104], v[103:104], v[165:166]
	v_fma_f64 v[165:166], v[97:98], v[180:181], v[167:168]
	v_add_f64 v[105:106], v[105:106], v[145:146]
	s_clause 0x2
	buffer_load_dword v160, off, s[0:3], 0 offset:732
	buffer_load_dword v146, off, s[0:3], 0 offset:708
	;; [unrolled: 1-line block ×3, first 2 shown]
	ds_read_b128 v[95:98], v152 offset:1216
	buffer_load_dword v179, off, s[0:3], 0 offset:724
	s_waitcnt vmcnt(59) lgkmcnt(1)
	v_mul_f64 v[167:168], v[99:100], v[161:162]
	v_mul_f64 v[161:162], v[101:102], v[161:162]
	s_waitcnt vmcnt(57)
	v_fma_f64 v[115:116], v[1:2], v[109:110], -v[115:116]
	v_fma_f64 v[109:110], v[3:4], v[109:110], v[182:183]
	ds_read_b128 v[1:4], v152 offset:1232
	v_add_f64 v[103:104], v[103:104], v[171:172]
	v_add_f64 v[105:106], v[105:106], v[165:166]
	s_waitcnt vmcnt(53) lgkmcnt(1)
	v_mul_f64 v[165:166], v[95:96], v[153:154]
	v_mul_f64 v[153:154], v[97:98], v[153:154]
	s_waitcnt vmcnt(52)
	v_fma_f64 v[161:162], v[99:100], v[176:177], -v[161:162]
	v_add_f64 v[103:104], v[103:104], v[115:116]
	v_fma_f64 v[115:116], v[101:102], v[176:177], v[167:168]
	v_add_f64 v[105:106], v[105:106], v[109:110]
	ds_read_b128 v[99:102], v152 offset:1248
	s_waitcnt vmcnt(51) lgkmcnt(1)
	v_mul_f64 v[109:110], v[1:2], v[155:156]
	v_mul_f64 v[155:156], v[3:4], v[155:156]
	s_waitcnt vmcnt(49)
	v_fma_f64 v[153:154], v[95:96], v[111:112], -v[153:154]
	v_fma_f64 v[111:112], v[97:98], v[111:112], v[165:166]
	v_add_f64 v[103:104], v[103:104], v[161:162]
	v_add_f64 v[105:106], v[105:106], v[115:116]
	s_clause 0x3
	buffer_load_dword v115, off, s[0:3], 0 offset:160
	buffer_load_dword v116, off, s[0:3], 0 offset:164
	;; [unrolled: 1-line block ×4, first 2 shown]
	ds_read_b128 v[95:98], v152 offset:1264
	s_waitcnt vmcnt(49) lgkmcnt(1)
	v_mul_f64 v[165:166], v[99:100], v[107:108]
	v_mul_f64 v[107:108], v[101:102], v[107:108]
	s_waitcnt vmcnt(48)
	v_fma_f64 v[155:156], v[1:2], v[163:164], -v[155:156]
	v_fma_f64 v[109:110], v[3:4], v[163:164], v[109:110]
	ds_read_b128 v[1:4], v152 offset:1280
	v_add_f64 v[103:104], v[103:104], v[153:154]
	v_add_f64 v[105:106], v[105:106], v[111:112]
	s_waitcnt vmcnt(47) lgkmcnt(1)
	v_mul_f64 v[111:112], v[95:96], v[127:128]
	v_mul_f64 v[127:128], v[97:98], v[127:128]
	s_waitcnt vmcnt(45)
	v_fma_f64 v[107:108], v[99:100], v[117:118], -v[107:108]
	v_fma_f64 v[117:118], v[101:102], v[117:118], v[165:166]
	ds_read_b128 v[99:102], v152 offset:1296
	v_add_f64 v[103:104], v[103:104], v[155:156]
	v_add_f64 v[105:106], v[105:106], v[109:110]
	s_waitcnt vmcnt(41) lgkmcnt(1)
	v_mul_f64 v[109:110], v[1:2], v[113:114]
	v_mul_f64 v[113:114], v[3:4], v[113:114]
	s_waitcnt vmcnt(40)
	v_fma_f64 v[127:128], v[95:96], v[157:158], -v[127:128]
	v_add_f64 v[103:104], v[103:104], v[107:108]
	v_fma_f64 v[107:108], v[97:98], v[157:158], v[111:112]
	v_add_f64 v[105:106], v[105:106], v[117:118]
	ds_read_b128 v[95:98], v152 offset:1312
	s_waitcnt vmcnt(39) lgkmcnt(1)
	v_mul_f64 v[117:118], v[101:102], v[133:134]
	v_mul_f64 v[111:112], v[99:100], v[133:134]
	s_waitcnt vmcnt(37)
	v_fma_f64 v[109:110], v[3:4], v[123:124], v[109:110]
	v_fma_f64 v[113:114], v[1:2], v[123:124], -v[113:114]
	ds_read_b128 v[1:4], v152 offset:1328
	v_add_f64 v[103:104], v[103:104], v[127:128]
	v_add_f64 v[105:106], v[105:106], v[107:108]
	s_waitcnt vmcnt(33) lgkmcnt(1)
	v_mul_f64 v[107:108], v[95:96], v[119:120]
	v_mul_f64 v[119:120], v[97:98], v[119:120]
	s_waitcnt vmcnt(32)
	v_fma_f64 v[117:118], v[99:100], v[135:136], -v[117:118]
	v_fma_f64 v[111:112], v[101:102], v[135:136], v[111:112]
	ds_read_b128 v[99:102], v152 offset:1344
	v_add_f64 v[103:104], v[103:104], v[113:114]
	v_add_f64 v[105:106], v[105:106], v[109:110]
	s_waitcnt vmcnt(31) lgkmcnt(1)
	v_mul_f64 v[113:114], v[3:4], v[141:142]
	v_mul_f64 v[109:110], v[1:2], v[141:142]
	s_waitcnt vmcnt(29)
	v_fma_f64 v[119:120], v[95:96], v[121:122], -v[119:120]
	v_fma_f64 v[107:108], v[97:98], v[121:122], v[107:108]
	ds_read_b128 v[95:98], v152 offset:1360
	v_add_f64 v[103:104], v[103:104], v[117:118]
	v_add_f64 v[105:106], v[105:106], v[111:112]
	s_waitcnt vmcnt(25) lgkmcnt(1)
	v_mul_f64 v[117:118], v[101:102], v[125:126]
	s_waitcnt vmcnt(24)
	v_fma_f64 v[113:114], v[1:2], v[143:144], -v[113:114]
	v_mul_f64 v[111:112], v[99:100], v[125:126]
	v_fma_f64 v[109:110], v[3:4], v[143:144], v[109:110]
	ds_read_b128 v[1:4], v152 offset:1376
	v_add_f64 v[103:104], v[103:104], v[119:120]
	v_add_f64 v[105:106], v[105:106], v[107:108]
	s_waitcnt vmcnt(23) lgkmcnt(1)
	v_mul_f64 v[119:120], v[97:98], v[147:148]
	v_mul_f64 v[107:108], v[95:96], v[147:148]
	s_waitcnt vmcnt(21)
	v_fma_f64 v[117:118], v[99:100], v[129:130], -v[117:118]
	v_fma_f64 v[111:112], v[101:102], v[129:130], v[111:112]
	ds_read_b128 v[99:102], v152 offset:1392
	v_add_f64 v[103:104], v[103:104], v[113:114]
	v_add_f64 v[105:106], v[105:106], v[109:110]
	s_waitcnt vmcnt(17) lgkmcnt(1)
	v_mul_f64 v[113:114], v[3:4], v[131:132]
	s_waitcnt vmcnt(16)
	v_fma_f64 v[119:120], v[95:96], v[149:150], -v[119:120]
	v_mul_f64 v[109:110], v[1:2], v[131:132]
	;; [unrolled: 18-line block ×3, first 2 shown]
	v_fma_f64 v[101:102], v[101:102], v[173:174], v[111:112]
	v_add_f64 v[103:104], v[103:104], v[113:114]
	v_add_f64 v[105:106], v[105:106], v[109:110]
	s_waitcnt vmcnt(7) lgkmcnt(0)
	v_mul_f64 v[111:112], v[3:4], v[159:160]
	v_mul_f64 v[109:110], v[1:2], v[159:160]
	s_waitcnt vmcnt(5)
	v_fma_f64 v[95:96], v[95:96], v[145:146], -v[119:120]
	v_fma_f64 v[97:98], v[97:98], v[145:146], v[107:108]
	v_add_f64 v[99:100], v[103:104], v[99:100]
	v_add_f64 v[101:102], v[105:106], v[101:102]
	s_waitcnt vmcnt(4)
	v_fma_f64 v[1:2], v[1:2], v[178:179], -v[111:112]
	v_fma_f64 v[3:4], v[3:4], v[178:179], v[109:110]
	v_add_f64 v[95:96], v[99:100], v[95:96]
	v_add_f64 v[97:98], v[101:102], v[97:98]
	;; [unrolled: 1-line block ×4, first 2 shown]
	s_waitcnt vmcnt(2)
	v_add_f64 v[1:2], v[115:116], -v[1:2]
	s_waitcnt vmcnt(0)
	v_add_f64 v[3:4], v[161:162], -v[3:4]
	buffer_store_dword v2, off, s[0:3], 0 offset:164
	buffer_store_dword v1, off, s[0:3], 0 offset:160
	buffer_store_dword v4, off, s[0:3], 0 offset:172
	buffer_store_dword v3, off, s[0:3], 0 offset:168
	v_cmpx_lt_u32_e32 8, v0
	s_cbranch_execz .LBB108_267
; %bb.266:
	v_mov_b32_e32 v4, s49
	s_clause 0x3
	buffer_load_dword v1, v4, s[0:3], 0 offen
	buffer_load_dword v2, v4, s[0:3], 0 offen offset:4
	buffer_load_dword v3, v4, s[0:3], 0 offen offset:8
	;; [unrolled: 1-line block ×3, first 2 shown]
	buffer_store_dword v152, off, s[0:3], 0 offset:144
	buffer_store_dword v152, off, s[0:3], 0 offset:148
	;; [unrolled: 1-line block ×4, first 2 shown]
	s_waitcnt vmcnt(0)
	ds_write_b128 v151, v[1:4]
.LBB108_267:
	s_or_b32 exec_lo, exec_lo, s4
	s_waitcnt lgkmcnt(0)
	s_waitcnt_vscnt null, 0x0
	s_barrier
	buffer_gl0_inv
	s_clause 0x37
	buffer_load_dword v99, off, s[0:3], 0 offset:168
	buffer_load_dword v100, off, s[0:3], 0 offset:172
	buffer_load_dword v95, off, s[0:3], 0 offset:184
	buffer_load_dword v96, off, s[0:3], 0 offset:188
	buffer_load_dword v97, off, s[0:3], 0 offset:160
	buffer_load_dword v98, off, s[0:3], 0 offset:164
	buffer_load_dword v3, off, s[0:3], 0 offset:200
	buffer_load_dword v4, off, s[0:3], 0 offset:204
	buffer_load_dword v1, off, s[0:3], 0 offset:176
	buffer_load_dword v2, off, s[0:3], 0 offset:180
	buffer_load_dword v104, off, s[0:3], 0 offset:220
	buffer_load_dword v107, off, s[0:3], 0 offset:232
	buffer_load_dword v101, off, s[0:3], 0 offset:224
	buffer_load_dword v103, off, s[0:3], 0 offset:216
	buffer_load_dword v115, off, s[0:3], 0 offset:192
	buffer_load_dword v116, off, s[0:3], 0 offset:196
	buffer_load_dword v108, off, s[0:3], 0 offset:236
	buffer_load_dword v110, off, s[0:3], 0 offset:212
	buffer_load_dword v109, off, s[0:3], 0 offset:208
	buffer_load_dword v112, off, s[0:3], 0 offset:252
	buffer_load_dword v117, off, s[0:3], 0 offset:264
	buffer_load_dword v105, off, s[0:3], 0 offset:256
	buffer_load_dword v111, off, s[0:3], 0 offset:248
	buffer_load_dword v102, off, s[0:3], 0 offset:228
	buffer_load_dword v118, off, s[0:3], 0 offset:268
	buffer_load_dword v120, off, s[0:3], 0 offset:244
	buffer_load_dword v119, off, s[0:3], 0 offset:240
	buffer_load_dword v122, off, s[0:3], 0 offset:284
	buffer_load_dword v125, off, s[0:3], 0 offset:296
	buffer_load_dword v113, off, s[0:3], 0 offset:288
	buffer_load_dword v121, off, s[0:3], 0 offset:280
	buffer_load_dword v106, off, s[0:3], 0 offset:260
	buffer_load_dword v126, off, s[0:3], 0 offset:300
	buffer_load_dword v128, off, s[0:3], 0 offset:276
	buffer_load_dword v127, off, s[0:3], 0 offset:272
	buffer_load_dword v130, off, s[0:3], 0 offset:316
	buffer_load_dword v133, off, s[0:3], 0 offset:328
	buffer_load_dword v123, off, s[0:3], 0 offset:320
	buffer_load_dword v129, off, s[0:3], 0 offset:312
	buffer_load_dword v114, off, s[0:3], 0 offset:292
	buffer_load_dword v134, off, s[0:3], 0 offset:332
	buffer_load_dword v136, off, s[0:3], 0 offset:308
	buffer_load_dword v135, off, s[0:3], 0 offset:304
	buffer_load_dword v138, off, s[0:3], 0 offset:348
	buffer_load_dword v141, off, s[0:3], 0 offset:360
	buffer_load_dword v131, off, s[0:3], 0 offset:352
	buffer_load_dword v137, off, s[0:3], 0 offset:344
	buffer_load_dword v124, off, s[0:3], 0 offset:324
	buffer_load_dword v142, off, s[0:3], 0 offset:364
	buffer_load_dword v144, off, s[0:3], 0 offset:340
	buffer_load_dword v143, off, s[0:3], 0 offset:336
	buffer_load_dword v146, off, s[0:3], 0 offset:380
	buffer_load_dword v147, off, s[0:3], 0 offset:392
	buffer_load_dword v139, off, s[0:3], 0 offset:384
	buffer_load_dword v145, off, s[0:3], 0 offset:376
	buffer_load_dword v132, off, s[0:3], 0 offset:356
	ds_read_b128 v[153:156], v152 offset:864
	s_clause 0x2
	buffer_load_dword v148, off, s[0:3], 0 offset:396
	buffer_load_dword v150, off, s[0:3], 0 offset:372
	;; [unrolled: 1-line block ×3, first 2 shown]
	ds_read_b128 v[157:160], v152 offset:880
	s_clause 0x4
	buffer_load_dword v168, off, s[0:3], 0 offset:412
	buffer_load_dword v169, off, s[0:3], 0 offset:424
	;; [unrolled: 1-line block ×5, first 2 shown]
	ds_read_b128 v[161:164], v152 offset:896
	s_clause 0x2
	buffer_load_dword v170, off, s[0:3], 0 offset:428
	buffer_load_dword v175, off, s[0:3], 0 offset:404
	;; [unrolled: 1-line block ×3, first 2 shown]
	s_mov_b32 s4, exec_lo
	s_waitcnt vmcnt(62) lgkmcnt(2)
	v_mul_f64 v[165:166], v[155:156], v[99:100]
	v_mul_f64 v[99:100], v[153:154], v[99:100]
	s_waitcnt lgkmcnt(1)
	v_mul_f64 v[172:173], v[159:160], v[95:96]
	s_waitcnt vmcnt(59) lgkmcnt(0)
	v_mul_f64 v[176:177], v[163:164], v[3:4]
	v_fma_f64 v[153:154], v[153:154], v[97:98], -v[165:166]
	v_mul_f64 v[165:166], v[157:158], v[95:96]
	v_fma_f64 v[99:100], v[155:156], v[97:98], v[99:100]
	s_waitcnt vmcnt(57)
	v_fma_f64 v[157:158], v[157:158], v[1:2], -v[172:173]
	ds_read_b128 v[95:98], v152 offset:912
	v_mul_f64 v[155:156], v[161:162], v[3:4]
	s_waitcnt vmcnt(51)
	v_fma_f64 v[161:162], v[161:162], v[115:116], -v[176:177]
	v_add_f64 v[153:154], v[153:154], 0
	v_fma_f64 v[159:160], v[159:160], v[1:2], v[165:166]
	v_add_f64 v[99:100], v[99:100], 0
	s_clause 0x4
	buffer_load_dword v166, off, s[0:3], 0 offset:444
	buffer_load_dword v178, off, s[0:3], 0 offset:456
	;; [unrolled: 1-line block ×5, first 2 shown]
	s_waitcnt lgkmcnt(0)
	v_mul_f64 v[181:182], v[95:96], v[103:104]
	v_mul_f64 v[103:104], v[97:98], v[103:104]
	ds_read_b128 v[1:4], v152 offset:928
	v_fma_f64 v[115:116], v[163:164], v[115:116], v[155:156]
	v_add_f64 v[157:158], v[153:154], v[157:158]
	v_add_f64 v[99:100], v[99:100], v[159:160]
	s_clause 0x2
	buffer_load_dword v179, off, s[0:3], 0 offset:460
	buffer_load_dword v160, off, s[0:3], 0 offset:436
	;; [unrolled: 1-line block ×3, first 2 shown]
	s_waitcnt vmcnt(58) lgkmcnt(0)
	v_mul_f64 v[163:164], v[1:2], v[107:108]
	v_mul_f64 v[107:108], v[3:4], v[107:108]
	s_waitcnt vmcnt(56)
	v_fma_f64 v[103:104], v[95:96], v[109:110], -v[103:104]
	ds_read_b128 v[153:156], v152 offset:944
	v_fma_f64 v[109:110], v[97:98], v[109:110], v[181:182]
	v_add_f64 v[157:158], v[157:158], v[161:162]
	v_add_f64 v[99:100], v[99:100], v[115:116]
	s_clause 0x4
	buffer_load_dword v116, off, s[0:3], 0 offset:476
	buffer_load_dword v161, off, s[0:3], 0 offset:488
	;; [unrolled: 1-line block ×5, first 2 shown]
	ds_read_b128 v[95:98], v152 offset:960
	s_waitcnt vmcnt(57) lgkmcnt(1)
	v_mul_f64 v[182:183], v[153:154], v[111:112]
	v_mul_f64 v[111:112], v[155:156], v[111:112]
	s_waitcnt vmcnt(56)
	v_fma_f64 v[107:108], v[1:2], v[101:102], -v[107:108]
	v_fma_f64 v[101:102], v[3:4], v[101:102], v[163:164]
	v_add_f64 v[103:104], v[157:158], v[103:104]
	v_add_f64 v[99:100], v[99:100], v[109:110]
	s_clause 0x2
	buffer_load_dword v162, off, s[0:3], 0 offset:492
	buffer_load_dword v110, off, s[0:3], 0 offset:468
	buffer_load_dword v109, off, s[0:3], 0 offset:464
	s_waitcnt vmcnt(58) lgkmcnt(0)
	v_mul_f64 v[157:158], v[95:96], v[117:118]
	v_mul_f64 v[117:118], v[97:98], v[117:118]
	s_waitcnt vmcnt(56)
	v_fma_f64 v[111:112], v[153:154], v[119:120], -v[111:112]
	ds_read_b128 v[1:4], v152 offset:976
	v_add_f64 v[103:104], v[103:104], v[107:108]
	v_fma_f64 v[107:108], v[155:156], v[119:120], v[182:183]
	v_add_f64 v[119:120], v[99:100], v[101:102]
	s_clause 0x4
	buffer_load_dword v154, off, s[0:3], 0 offset:508
	buffer_load_dword v155, off, s[0:3], 0 offset:520
	;; [unrolled: 1-line block ×5, first 2 shown]
	ds_read_b128 v[99:102], v152 offset:992
	s_waitcnt vmcnt(57) lgkmcnt(1)
	v_mul_f64 v[182:183], v[1:2], v[121:122]
	v_mul_f64 v[121:122], v[3:4], v[121:122]
	s_waitcnt vmcnt(56)
	v_fma_f64 v[117:118], v[95:96], v[105:106], -v[117:118]
	v_fma_f64 v[105:106], v[97:98], v[105:106], v[157:158]
	v_add_f64 v[103:104], v[103:104], v[111:112]
	s_clause 0x2
	buffer_load_dword v156, off, s[0:3], 0 offset:524
	buffer_load_dword v112, off, s[0:3], 0 offset:500
	;; [unrolled: 1-line block ×3, first 2 shown]
	v_add_f64 v[107:108], v[119:120], v[107:108]
	s_waitcnt vmcnt(58) lgkmcnt(0)
	v_mul_f64 v[119:120], v[99:100], v[125:126]
	v_mul_f64 v[125:126], v[101:102], v[125:126]
	ds_read_b128 v[95:98], v152 offset:1008
	s_waitcnt vmcnt(56)
	v_fma_f64 v[121:122], v[1:2], v[127:128], -v[121:122]
	v_add_f64 v[103:104], v[103:104], v[117:118]
	v_fma_f64 v[117:118], v[3:4], v[127:128], v[182:183]
	v_add_f64 v[105:106], v[107:108], v[105:106]
	s_clause 0x4
	buffer_load_dword v108, off, s[0:3], 0 offset:540
	buffer_load_dword v127, off, s[0:3], 0 offset:552
	;; [unrolled: 1-line block ×5, first 2 shown]
	s_waitcnt vmcnt(57) lgkmcnt(0)
	v_mul_f64 v[182:183], v[95:96], v[129:130]
	v_mul_f64 v[129:130], v[97:98], v[129:130]
	s_waitcnt vmcnt(56)
	v_fma_f64 v[125:126], v[99:100], v[113:114], -v[125:126]
	ds_read_b128 v[1:4], v152 offset:1024
	v_fma_f64 v[113:114], v[101:102], v[113:114], v[119:120]
	v_add_f64 v[103:104], v[103:104], v[121:122]
	v_add_f64 v[105:106], v[105:106], v[117:118]
	s_clause 0x2
	buffer_load_dword v128, off, s[0:3], 0 offset:556
	buffer_load_dword v118, off, s[0:3], 0 offset:532
	;; [unrolled: 1-line block ×3, first 2 shown]
	ds_read_b128 v[99:102], v152 offset:1040
	s_waitcnt vmcnt(58) lgkmcnt(1)
	v_mul_f64 v[121:122], v[3:4], v[133:134]
	s_waitcnt vmcnt(56)
	v_fma_f64 v[129:130], v[95:96], v[135:136], -v[129:130]
	v_mul_f64 v[119:120], v[1:2], v[133:134]
	v_add_f64 v[103:104], v[103:104], v[125:126]
	v_fma_f64 v[125:126], v[97:98], v[135:136], v[182:183]
	v_add_f64 v[105:106], v[105:106], v[113:114]
	s_clause 0x4
	buffer_load_dword v114, off, s[0:3], 0 offset:572
	buffer_load_dword v133, off, s[0:3], 0 offset:584
	;; [unrolled: 1-line block ×5, first 2 shown]
	s_waitcnt vmcnt(57) lgkmcnt(0)
	v_mul_f64 v[182:183], v[99:100], v[137:138]
	v_mul_f64 v[136:137], v[101:102], v[137:138]
	s_waitcnt vmcnt(56)
	v_fma_f64 v[121:122], v[1:2], v[123:124], -v[121:122]
	ds_read_b128 v[95:98], v152 offset:1056
	v_fma_f64 v[119:120], v[3:4], v[123:124], v[119:120]
	s_clause 0x2
	buffer_load_dword v134, off, s[0:3], 0 offset:588
	buffer_load_dword v124, off, s[0:3], 0 offset:564
	;; [unrolled: 1-line block ×3, first 2 shown]
	ds_read_b128 v[1:4], v152 offset:1072
	v_add_f64 v[103:104], v[103:104], v[129:130]
	v_add_f64 v[105:106], v[105:106], v[125:126]
	s_waitcnt vmcnt(58) lgkmcnt(1)
	v_mul_f64 v[129:130], v[97:98], v[141:142]
	s_waitcnt vmcnt(56)
	v_fma_f64 v[137:138], v[99:100], v[143:144], -v[136:137]
	v_mul_f64 v[125:126], v[95:96], v[141:142]
	v_add_f64 v[103:104], v[103:104], v[121:122]
	v_fma_f64 v[121:122], v[101:102], v[143:144], v[182:183]
	v_add_f64 v[105:106], v[105:106], v[119:120]
	s_clause 0x4
	buffer_load_dword v120, off, s[0:3], 0 offset:604
	buffer_load_dword v141, off, s[0:3], 0 offset:616
	;; [unrolled: 1-line block ×5, first 2 shown]
	s_waitcnt vmcnt(57) lgkmcnt(0)
	v_mul_f64 v[182:183], v[1:2], v[145:146]
	v_mul_f64 v[144:145], v[3:4], v[145:146]
	s_waitcnt vmcnt(56)
	v_fma_f64 v[129:130], v[95:96], v[131:132], -v[129:130]
	ds_read_b128 v[99:102], v152 offset:1088
	v_fma_f64 v[125:126], v[97:98], v[131:132], v[125:126]
	v_add_f64 v[103:104], v[103:104], v[137:138]
	v_add_f64 v[105:106], v[105:106], v[121:122]
	s_clause 0x2
	buffer_load_dword v142, off, s[0:3], 0 offset:620
	buffer_load_dword v122, off, s[0:3], 0 offset:596
	;; [unrolled: 1-line block ×3, first 2 shown]
	ds_read_b128 v[95:98], v152 offset:1104
	s_waitcnt vmcnt(58) lgkmcnt(1)
	v_mul_f64 v[137:138], v[101:102], v[147:148]
	s_waitcnt vmcnt(56)
	v_fma_f64 v[145:146], v[1:2], v[149:150], -v[144:145]
	v_mul_f64 v[131:132], v[99:100], v[147:148]
	v_add_f64 v[103:104], v[103:104], v[129:130]
	v_fma_f64 v[129:130], v[3:4], v[149:150], v[182:183]
	v_add_f64 v[105:106], v[105:106], v[125:126]
	s_clause 0x4
	buffer_load_dword v126, off, s[0:3], 0 offset:636
	buffer_load_dword v147, off, s[0:3], 0 offset:648
	;; [unrolled: 1-line block ×5, first 2 shown]
	s_waitcnt vmcnt(57) lgkmcnt(0)
	v_mul_f64 v[182:183], v[95:96], v[167:168]
	v_mul_f64 v[167:168], v[97:98], v[167:168]
	s_waitcnt vmcnt(56)
	v_fma_f64 v[137:138], v[99:100], v[139:140], -v[137:138]
	ds_read_b128 v[1:4], v152 offset:1120
	v_fma_f64 v[131:132], v[101:102], v[139:140], v[131:132]
	v_add_f64 v[103:104], v[103:104], v[145:146]
	v_add_f64 v[105:106], v[105:106], v[129:130]
	s_clause 0x2
	buffer_load_dword v148, off, s[0:3], 0 offset:652
	buffer_load_dword v130, off, s[0:3], 0 offset:628
	;; [unrolled: 1-line block ×3, first 2 shown]
	ds_read_b128 v[99:102], v152 offset:1136
	s_waitcnt vmcnt(58) lgkmcnt(1)
	v_mul_f64 v[145:146], v[3:4], v[169:170]
	s_waitcnt vmcnt(56)
	v_fma_f64 v[167:168], v[95:96], v[174:175], -v[167:168]
	v_mul_f64 v[139:140], v[1:2], v[169:170]
	v_add_f64 v[103:104], v[103:104], v[137:138]
	v_fma_f64 v[137:138], v[97:98], v[174:175], v[182:183]
	v_add_f64 v[105:106], v[105:106], v[131:132]
	s_clause 0x4
	buffer_load_dword v132, off, s[0:3], 0 offset:668
	buffer_load_dword v169, off, s[0:3], 0 offset:680
	;; [unrolled: 1-line block ×5, first 2 shown]
	ds_read_b128 v[95:98], v152 offset:1152
	s_waitcnt vmcnt(57) lgkmcnt(1)
	v_mul_f64 v[174:175], v[99:100], v[165:166]
	v_mul_f64 v[165:166], v[101:102], v[165:166]
	s_waitcnt vmcnt(56)
	v_fma_f64 v[145:146], v[1:2], v[171:172], -v[145:146]
	v_fma_f64 v[139:140], v[3:4], v[171:172], v[139:140]
	v_add_f64 v[103:104], v[103:104], v[167:168]
	v_add_f64 v[105:106], v[105:106], v[137:138]
	s_clause 0x2
	buffer_load_dword v170, off, s[0:3], 0 offset:684
	buffer_load_dword v138, off, s[0:3], 0 offset:660
	;; [unrolled: 1-line block ×3, first 2 shown]
	ds_read_b128 v[1:4], v152 offset:1168
	s_waitcnt vmcnt(58) lgkmcnt(1)
	v_mul_f64 v[171:172], v[97:98], v[178:179]
	v_mul_f64 v[167:168], v[95:96], v[178:179]
	s_waitcnt vmcnt(56)
	v_fma_f64 v[165:166], v[99:100], v[159:160], -v[165:166]
	v_add_f64 v[103:104], v[103:104], v[145:146]
	v_fma_f64 v[145:146], v[101:102], v[159:160], v[174:175]
	v_add_f64 v[105:106], v[105:106], v[139:140]
	s_clause 0x4
	buffer_load_dword v140, off, s[0:3], 0 offset:700
	buffer_load_dword v159, off, s[0:3], 0 offset:712
	;; [unrolled: 1-line block ×5, first 2 shown]
	ds_read_b128 v[99:102], v152 offset:1184
	s_waitcnt vmcnt(57) lgkmcnt(1)
	v_mul_f64 v[182:183], v[1:2], v[115:116]
	v_mul_f64 v[115:116], v[3:4], v[115:116]
	s_waitcnt vmcnt(56)
	v_fma_f64 v[171:172], v[95:96], v[180:181], -v[171:172]
	v_add_f64 v[103:104], v[103:104], v[165:166]
	v_fma_f64 v[165:166], v[97:98], v[180:181], v[167:168]
	v_add_f64 v[105:106], v[105:106], v[145:146]
	s_clause 0x2
	buffer_load_dword v160, off, s[0:3], 0 offset:716
	buffer_load_dword v146, off, s[0:3], 0 offset:692
	;; [unrolled: 1-line block ×3, first 2 shown]
	ds_read_b128 v[95:98], v152 offset:1200
	s_waitcnt vmcnt(58) lgkmcnt(1)
	v_mul_f64 v[167:168], v[99:100], v[161:162]
	v_mul_f64 v[161:162], v[101:102], v[161:162]
	s_waitcnt vmcnt(56)
	v_fma_f64 v[115:116], v[1:2], v[109:110], -v[115:116]
	v_fma_f64 v[109:110], v[3:4], v[109:110], v[182:183]
	v_add_f64 v[103:104], v[103:104], v[171:172]
	v_add_f64 v[105:106], v[105:106], v[165:166]
	s_clause 0x2
	buffer_load_dword v166, off, s[0:3], 0 offset:732
	buffer_load_dword v165, off, s[0:3], 0 offset:728
	buffer_load_dword v179, off, s[0:3], 0 offset:708
	ds_read_b128 v[1:4], v152 offset:1216
	s_waitcnt vmcnt(55) lgkmcnt(1)
	v_mul_f64 v[171:172], v[95:96], v[153:154]
	v_mul_f64 v[153:154], v[97:98], v[153:154]
	s_waitcnt vmcnt(54)
	v_fma_f64 v[161:162], v[99:100], v[176:177], -v[161:162]
	v_add_f64 v[103:104], v[103:104], v[115:116]
	v_fma_f64 v[115:116], v[101:102], v[176:177], v[167:168]
	v_add_f64 v[105:106], v[105:106], v[109:110]
	s_clause 0x1
	buffer_load_dword v110, off, s[0:3], 0 offset:724
	buffer_load_dword v109, off, s[0:3], 0 offset:720
	ds_read_b128 v[99:102], v152 offset:1232
	s_waitcnt vmcnt(55) lgkmcnt(1)
	v_mul_f64 v[167:168], v[1:2], v[155:156]
	v_mul_f64 v[155:156], v[3:4], v[155:156]
	s_waitcnt vmcnt(53)
	v_fma_f64 v[153:154], v[95:96], v[111:112], -v[153:154]
	v_fma_f64 v[111:112], v[97:98], v[111:112], v[171:172]
	ds_read_b128 v[95:98], v152 offset:1248
	v_add_f64 v[103:104], v[103:104], v[161:162]
	v_add_f64 v[105:106], v[105:106], v[115:116]
	s_waitcnt vmcnt(49) lgkmcnt(1)
	v_mul_f64 v[115:116], v[99:100], v[107:108]
	v_mul_f64 v[107:108], v[101:102], v[107:108]
	s_waitcnt vmcnt(48)
	v_fma_f64 v[155:156], v[1:2], v[163:164], -v[155:156]
	v_add_f64 v[103:104], v[103:104], v[153:154]
	v_fma_f64 v[153:154], v[3:4], v[163:164], v[167:168]
	v_add_f64 v[105:106], v[105:106], v[111:112]
	s_clause 0x3
	buffer_load_dword v111, off, s[0:3], 0 offset:144
	buffer_load_dword v112, off, s[0:3], 0 offset:148
	;; [unrolled: 1-line block ×4, first 2 shown]
	ds_read_b128 v[1:4], v152 offset:1264
	s_waitcnt vmcnt(51) lgkmcnt(1)
	v_mul_f64 v[163:164], v[95:96], v[127:128]
	v_mul_f64 v[127:128], v[97:98], v[127:128]
	s_waitcnt vmcnt(49)
	v_fma_f64 v[107:108], v[99:100], v[117:118], -v[107:108]
	v_fma_f64 v[115:116], v[101:102], v[117:118], v[115:116]
	ds_read_b128 v[99:102], v152 offset:1280
	v_add_f64 v[103:104], v[103:104], v[155:156]
	v_add_f64 v[105:106], v[105:106], v[153:154]
	s_waitcnt vmcnt(45) lgkmcnt(1)
	v_mul_f64 v[117:118], v[1:2], v[113:114]
	v_mul_f64 v[113:114], v[3:4], v[113:114]
	s_waitcnt vmcnt(44)
	v_fma_f64 v[127:128], v[95:96], v[157:158], -v[127:128]
	v_add_f64 v[103:104], v[103:104], v[107:108]
	v_fma_f64 v[107:108], v[97:98], v[157:158], v[163:164]
	v_add_f64 v[105:106], v[105:106], v[115:116]
	s_waitcnt vmcnt(43) lgkmcnt(0)
	v_mul_f64 v[115:116], v[99:100], v[133:134]
	v_mul_f64 v[133:134], v[101:102], v[133:134]
	ds_read_b128 v[95:98], v152 offset:1296
	s_waitcnt vmcnt(41)
	v_fma_f64 v[117:118], v[3:4], v[123:124], v[117:118]
	v_fma_f64 v[113:114], v[1:2], v[123:124], -v[113:114]
	ds_read_b128 v[1:4], v152 offset:1312
	v_add_f64 v[103:104], v[103:104], v[127:128]
	v_add_f64 v[105:106], v[105:106], v[107:108]
	s_waitcnt vmcnt(37) lgkmcnt(1)
	v_mul_f64 v[107:108], v[95:96], v[119:120]
	v_mul_f64 v[119:120], v[97:98], v[119:120]
	s_waitcnt vmcnt(36)
	v_fma_f64 v[123:124], v[99:100], v[135:136], -v[133:134]
	v_add_f64 v[103:104], v[103:104], v[113:114]
	v_fma_f64 v[113:114], v[101:102], v[135:136], v[115:116]
	v_add_f64 v[105:106], v[105:106], v[117:118]
	ds_read_b128 v[99:102], v152 offset:1328
	s_waitcnt vmcnt(35) lgkmcnt(1)
	v_mul_f64 v[117:118], v[3:4], v[141:142]
	v_mul_f64 v[115:116], v[1:2], v[141:142]
	s_waitcnt vmcnt(33)
	v_fma_f64 v[119:120], v[95:96], v[121:122], -v[119:120]
	v_fma_f64 v[107:108], v[97:98], v[121:122], v[107:108]
	ds_read_b128 v[95:98], v152 offset:1344
	v_add_f64 v[103:104], v[103:104], v[123:124]
	v_add_f64 v[105:106], v[105:106], v[113:114]
	s_waitcnt vmcnt(29) lgkmcnt(1)
	v_mul_f64 v[121:122], v[101:102], v[125:126]
	s_waitcnt vmcnt(28)
	v_fma_f64 v[117:118], v[1:2], v[143:144], -v[117:118]
	v_mul_f64 v[113:114], v[99:100], v[125:126]
	v_fma_f64 v[115:116], v[3:4], v[143:144], v[115:116]
	ds_read_b128 v[1:4], v152 offset:1360
	v_add_f64 v[103:104], v[103:104], v[119:120]
	v_add_f64 v[105:106], v[105:106], v[107:108]
	s_waitcnt vmcnt(27) lgkmcnt(1)
	v_mul_f64 v[119:120], v[97:98], v[147:148]
	v_mul_f64 v[107:108], v[95:96], v[147:148]
	s_waitcnt vmcnt(25)
	v_fma_f64 v[121:122], v[99:100], v[129:130], -v[121:122]
	v_fma_f64 v[113:114], v[101:102], v[129:130], v[113:114]
	ds_read_b128 v[99:102], v152 offset:1376
	v_add_f64 v[103:104], v[103:104], v[117:118]
	v_add_f64 v[105:106], v[105:106], v[115:116]
	s_waitcnt vmcnt(21) lgkmcnt(1)
	v_mul_f64 v[117:118], v[3:4], v[131:132]
	s_waitcnt vmcnt(20)
	v_fma_f64 v[119:120], v[95:96], v[149:150], -v[119:120]
	v_mul_f64 v[115:116], v[1:2], v[131:132]
	v_fma_f64 v[107:108], v[97:98], v[149:150], v[107:108]
	ds_read_b128 v[95:98], v152 offset:1392
	v_add_f64 v[103:104], v[103:104], v[121:122]
	v_add_f64 v[105:106], v[105:106], v[113:114]
	;; [unrolled: 18-line block ×3, first 2 shown]
	s_waitcnt vmcnt(11) lgkmcnt(1)
	v_mul_f64 v[117:118], v[3:4], v[159:160]
	v_mul_f64 v[115:116], v[1:2], v[159:160]
	s_waitcnt vmcnt(9)
	v_fma_f64 v[95:96], v[95:96], v[145:146], -v[119:120]
	v_fma_f64 v[97:98], v[97:98], v[145:146], v[107:108]
	v_add_f64 v[103:104], v[103:104], v[121:122]
	v_add_f64 v[105:106], v[105:106], v[113:114]
	s_waitcnt vmcnt(7) lgkmcnt(0)
	v_mul_f64 v[113:114], v[101:102], v[165:166]
	s_waitcnt vmcnt(6)
	v_fma_f64 v[1:2], v[1:2], v[178:179], -v[117:118]
	v_mul_f64 v[107:108], v[99:100], v[165:166]
	v_fma_f64 v[3:4], v[3:4], v[178:179], v[115:116]
	v_add_f64 v[95:96], v[103:104], v[95:96]
	v_add_f64 v[97:98], v[105:106], v[97:98]
	s_waitcnt vmcnt(4)
	v_fma_f64 v[99:100], v[99:100], v[109:110], -v[113:114]
	v_add_f64 v[1:2], v[95:96], v[1:2]
	v_fma_f64 v[95:96], v[101:102], v[109:110], v[107:108]
	v_add_f64 v[3:4], v[97:98], v[3:4]
	v_add_f64 v[1:2], v[1:2], v[99:100]
	;; [unrolled: 1-line block ×3, first 2 shown]
	s_waitcnt vmcnt(2)
	v_add_f64 v[1:2], v[111:112], -v[1:2]
	s_waitcnt vmcnt(0)
	v_add_f64 v[3:4], v[161:162], -v[3:4]
	buffer_store_dword v2, off, s[0:3], 0 offset:148
	buffer_store_dword v1, off, s[0:3], 0 offset:144
	;; [unrolled: 1-line block ×4, first 2 shown]
	v_cmpx_lt_u32_e32 7, v0
	s_cbranch_execz .LBB108_269
; %bb.268:
	v_mov_b32_e32 v4, s50
	v_mov_b32_e32 v95, 0
	s_clause 0x3
	buffer_load_dword v1, v4, s[0:3], 0 offen
	buffer_load_dword v2, v4, s[0:3], 0 offen offset:4
	buffer_load_dword v3, v4, s[0:3], 0 offen offset:8
	;; [unrolled: 1-line block ×3, first 2 shown]
	buffer_store_dword v95, off, s[0:3], 0 offset:128
	buffer_store_dword v95, off, s[0:3], 0 offset:132
	;; [unrolled: 1-line block ×4, first 2 shown]
	s_waitcnt vmcnt(0)
	ds_write_b128 v151, v[1:4]
.LBB108_269:
	s_or_b32 exec_lo, exec_lo, s4
	s_waitcnt lgkmcnt(0)
	s_waitcnt_vscnt null, 0x0
	s_barrier
	buffer_gl0_inv
	s_clause 0x37
	buffer_load_dword v99, off, s[0:3], 0 offset:152
	buffer_load_dword v100, off, s[0:3], 0 offset:156
	;; [unrolled: 1-line block ×56, first 2 shown]
	v_mov_b32_e32 v152, 0
	s_mov_b32 s4, exec_lo
	ds_read_b128 v[153:156], v152 offset:848
	s_clause 0x2
	buffer_load_dword v148, off, s[0:3], 0 offset:380
	buffer_load_dword v150, off, s[0:3], 0 offset:356
	;; [unrolled: 1-line block ×3, first 2 shown]
	ds_read_b128 v[157:160], v152 offset:864
	s_clause 0x4
	buffer_load_dword v168, off, s[0:3], 0 offset:396
	buffer_load_dword v169, off, s[0:3], 0 offset:408
	;; [unrolled: 1-line block ×5, first 2 shown]
	ds_read_b128 v[161:164], v152 offset:880
	s_clause 0x2
	buffer_load_dword v170, off, s[0:3], 0 offset:412
	buffer_load_dword v175, off, s[0:3], 0 offset:388
	;; [unrolled: 1-line block ×3, first 2 shown]
	s_waitcnt vmcnt(62) lgkmcnt(2)
	v_mul_f64 v[165:166], v[155:156], v[99:100]
	v_mul_f64 v[99:100], v[153:154], v[99:100]
	s_waitcnt lgkmcnt(1)
	v_mul_f64 v[172:173], v[159:160], v[95:96]
	s_waitcnt vmcnt(59) lgkmcnt(0)
	v_mul_f64 v[176:177], v[163:164], v[3:4]
	v_fma_f64 v[153:154], v[153:154], v[97:98], -v[165:166]
	v_mul_f64 v[165:166], v[157:158], v[95:96]
	v_fma_f64 v[99:100], v[155:156], v[97:98], v[99:100]
	s_waitcnt vmcnt(57)
	v_fma_f64 v[157:158], v[157:158], v[1:2], -v[172:173]
	ds_read_b128 v[95:98], v152 offset:896
	v_mul_f64 v[155:156], v[161:162], v[3:4]
	s_waitcnt vmcnt(51)
	v_fma_f64 v[161:162], v[161:162], v[115:116], -v[176:177]
	v_add_f64 v[153:154], v[153:154], 0
	v_fma_f64 v[159:160], v[159:160], v[1:2], v[165:166]
	v_add_f64 v[99:100], v[99:100], 0
	s_clause 0x4
	buffer_load_dword v166, off, s[0:3], 0 offset:428
	buffer_load_dword v178, off, s[0:3], 0 offset:440
	;; [unrolled: 1-line block ×5, first 2 shown]
	s_waitcnt lgkmcnt(0)
	v_mul_f64 v[181:182], v[95:96], v[103:104]
	v_mul_f64 v[103:104], v[97:98], v[103:104]
	ds_read_b128 v[1:4], v152 offset:912
	v_fma_f64 v[115:116], v[163:164], v[115:116], v[155:156]
	v_add_f64 v[157:158], v[153:154], v[157:158]
	v_add_f64 v[99:100], v[99:100], v[159:160]
	s_clause 0x2
	buffer_load_dword v179, off, s[0:3], 0 offset:444
	buffer_load_dword v160, off, s[0:3], 0 offset:420
	buffer_load_dword v159, off, s[0:3], 0 offset:416
	s_waitcnt vmcnt(58) lgkmcnt(0)
	v_mul_f64 v[163:164], v[1:2], v[107:108]
	v_mul_f64 v[107:108], v[3:4], v[107:108]
	s_waitcnt vmcnt(56)
	v_fma_f64 v[103:104], v[95:96], v[109:110], -v[103:104]
	ds_read_b128 v[153:156], v152 offset:928
	v_fma_f64 v[109:110], v[97:98], v[109:110], v[181:182]
	v_add_f64 v[157:158], v[157:158], v[161:162]
	v_add_f64 v[99:100], v[99:100], v[115:116]
	s_clause 0x4
	buffer_load_dword v116, off, s[0:3], 0 offset:460
	buffer_load_dword v161, off, s[0:3], 0 offset:472
	buffer_load_dword v176, off, s[0:3], 0 offset:464
	buffer_load_dword v115, off, s[0:3], 0 offset:456
	buffer_load_dword v181, off, s[0:3], 0 offset:436
	ds_read_b128 v[95:98], v152 offset:944
	s_waitcnt vmcnt(57) lgkmcnt(1)
	v_mul_f64 v[182:183], v[153:154], v[111:112]
	v_mul_f64 v[111:112], v[155:156], v[111:112]
	s_waitcnt vmcnt(56)
	v_fma_f64 v[107:108], v[1:2], v[101:102], -v[107:108]
	v_fma_f64 v[101:102], v[3:4], v[101:102], v[163:164]
	v_add_f64 v[103:104], v[157:158], v[103:104]
	v_add_f64 v[99:100], v[99:100], v[109:110]
	s_clause 0x2
	buffer_load_dword v162, off, s[0:3], 0 offset:476
	buffer_load_dword v110, off, s[0:3], 0 offset:452
	;; [unrolled: 1-line block ×3, first 2 shown]
	s_waitcnt vmcnt(58) lgkmcnt(0)
	v_mul_f64 v[157:158], v[95:96], v[117:118]
	v_mul_f64 v[117:118], v[97:98], v[117:118]
	s_waitcnt vmcnt(56)
	v_fma_f64 v[111:112], v[153:154], v[119:120], -v[111:112]
	ds_read_b128 v[1:4], v152 offset:960
	v_add_f64 v[103:104], v[103:104], v[107:108]
	v_fma_f64 v[107:108], v[155:156], v[119:120], v[182:183]
	v_add_f64 v[119:120], v[99:100], v[101:102]
	s_clause 0x4
	buffer_load_dword v154, off, s[0:3], 0 offset:492
	buffer_load_dword v155, off, s[0:3], 0 offset:504
	;; [unrolled: 1-line block ×5, first 2 shown]
	ds_read_b128 v[99:102], v152 offset:976
	s_waitcnt vmcnt(57) lgkmcnt(1)
	v_mul_f64 v[182:183], v[1:2], v[121:122]
	v_mul_f64 v[121:122], v[3:4], v[121:122]
	s_waitcnt vmcnt(56)
	v_fma_f64 v[117:118], v[95:96], v[105:106], -v[117:118]
	v_fma_f64 v[105:106], v[97:98], v[105:106], v[157:158]
	v_add_f64 v[103:104], v[103:104], v[111:112]
	s_clause 0x2
	buffer_load_dword v156, off, s[0:3], 0 offset:508
	buffer_load_dword v112, off, s[0:3], 0 offset:484
	;; [unrolled: 1-line block ×3, first 2 shown]
	v_add_f64 v[107:108], v[119:120], v[107:108]
	s_waitcnt vmcnt(58) lgkmcnt(0)
	v_mul_f64 v[119:120], v[99:100], v[125:126]
	v_mul_f64 v[125:126], v[101:102], v[125:126]
	ds_read_b128 v[95:98], v152 offset:992
	s_waitcnt vmcnt(56)
	v_fma_f64 v[121:122], v[1:2], v[127:128], -v[121:122]
	v_add_f64 v[103:104], v[103:104], v[117:118]
	v_fma_f64 v[117:118], v[3:4], v[127:128], v[182:183]
	v_add_f64 v[105:106], v[107:108], v[105:106]
	s_clause 0x4
	buffer_load_dword v108, off, s[0:3], 0 offset:524
	buffer_load_dword v127, off, s[0:3], 0 offset:536
	;; [unrolled: 1-line block ×5, first 2 shown]
	s_waitcnt vmcnt(57) lgkmcnt(0)
	v_mul_f64 v[182:183], v[95:96], v[129:130]
	v_mul_f64 v[129:130], v[97:98], v[129:130]
	s_waitcnt vmcnt(56)
	v_fma_f64 v[125:126], v[99:100], v[113:114], -v[125:126]
	ds_read_b128 v[1:4], v152 offset:1008
	v_fma_f64 v[113:114], v[101:102], v[113:114], v[119:120]
	v_add_f64 v[103:104], v[103:104], v[121:122]
	v_add_f64 v[105:106], v[105:106], v[117:118]
	s_clause 0x2
	buffer_load_dword v128, off, s[0:3], 0 offset:540
	buffer_load_dword v118, off, s[0:3], 0 offset:516
	buffer_load_dword v117, off, s[0:3], 0 offset:512
	ds_read_b128 v[99:102], v152 offset:1024
	s_waitcnt vmcnt(58) lgkmcnt(1)
	v_mul_f64 v[121:122], v[3:4], v[133:134]
	s_waitcnt vmcnt(56)
	v_fma_f64 v[129:130], v[95:96], v[135:136], -v[129:130]
	v_mul_f64 v[119:120], v[1:2], v[133:134]
	v_add_f64 v[103:104], v[103:104], v[125:126]
	v_fma_f64 v[125:126], v[97:98], v[135:136], v[182:183]
	v_add_f64 v[105:106], v[105:106], v[113:114]
	s_clause 0x4
	buffer_load_dword v114, off, s[0:3], 0 offset:556
	buffer_load_dword v133, off, s[0:3], 0 offset:568
	;; [unrolled: 1-line block ×5, first 2 shown]
	s_waitcnt vmcnt(57) lgkmcnt(0)
	v_mul_f64 v[182:183], v[99:100], v[137:138]
	v_mul_f64 v[136:137], v[101:102], v[137:138]
	s_waitcnt vmcnt(56)
	v_fma_f64 v[121:122], v[1:2], v[123:124], -v[121:122]
	ds_read_b128 v[95:98], v152 offset:1040
	v_fma_f64 v[119:120], v[3:4], v[123:124], v[119:120]
	s_clause 0x2
	buffer_load_dword v134, off, s[0:3], 0 offset:572
	buffer_load_dword v124, off, s[0:3], 0 offset:548
	;; [unrolled: 1-line block ×3, first 2 shown]
	ds_read_b128 v[1:4], v152 offset:1056
	v_add_f64 v[103:104], v[103:104], v[129:130]
	v_add_f64 v[105:106], v[105:106], v[125:126]
	s_waitcnt vmcnt(58) lgkmcnt(1)
	v_mul_f64 v[129:130], v[97:98], v[141:142]
	s_waitcnt vmcnt(56)
	v_fma_f64 v[137:138], v[99:100], v[143:144], -v[136:137]
	v_mul_f64 v[125:126], v[95:96], v[141:142]
	v_add_f64 v[103:104], v[103:104], v[121:122]
	v_fma_f64 v[121:122], v[101:102], v[143:144], v[182:183]
	v_add_f64 v[105:106], v[105:106], v[119:120]
	s_clause 0x4
	buffer_load_dword v120, off, s[0:3], 0 offset:588
	buffer_load_dword v141, off, s[0:3], 0 offset:600
	;; [unrolled: 1-line block ×5, first 2 shown]
	s_waitcnt vmcnt(57) lgkmcnt(0)
	v_mul_f64 v[182:183], v[1:2], v[145:146]
	v_mul_f64 v[144:145], v[3:4], v[145:146]
	s_waitcnt vmcnt(56)
	v_fma_f64 v[129:130], v[95:96], v[131:132], -v[129:130]
	ds_read_b128 v[99:102], v152 offset:1072
	v_fma_f64 v[125:126], v[97:98], v[131:132], v[125:126]
	v_add_f64 v[103:104], v[103:104], v[137:138]
	v_add_f64 v[105:106], v[105:106], v[121:122]
	s_clause 0x2
	buffer_load_dword v142, off, s[0:3], 0 offset:604
	buffer_load_dword v122, off, s[0:3], 0 offset:580
	;; [unrolled: 1-line block ×3, first 2 shown]
	ds_read_b128 v[95:98], v152 offset:1088
	s_waitcnt vmcnt(58) lgkmcnt(1)
	v_mul_f64 v[137:138], v[101:102], v[147:148]
	s_waitcnt vmcnt(56)
	v_fma_f64 v[145:146], v[1:2], v[149:150], -v[144:145]
	v_mul_f64 v[131:132], v[99:100], v[147:148]
	v_add_f64 v[103:104], v[103:104], v[129:130]
	v_fma_f64 v[129:130], v[3:4], v[149:150], v[182:183]
	v_add_f64 v[105:106], v[105:106], v[125:126]
	s_clause 0x4
	buffer_load_dword v126, off, s[0:3], 0 offset:620
	buffer_load_dword v147, off, s[0:3], 0 offset:632
	;; [unrolled: 1-line block ×5, first 2 shown]
	s_waitcnt vmcnt(57) lgkmcnt(0)
	v_mul_f64 v[182:183], v[95:96], v[167:168]
	v_mul_f64 v[167:168], v[97:98], v[167:168]
	s_waitcnt vmcnt(56)
	v_fma_f64 v[137:138], v[99:100], v[139:140], -v[137:138]
	ds_read_b128 v[1:4], v152 offset:1104
	v_fma_f64 v[131:132], v[101:102], v[139:140], v[131:132]
	v_add_f64 v[103:104], v[103:104], v[145:146]
	v_add_f64 v[105:106], v[105:106], v[129:130]
	s_clause 0x2
	buffer_load_dword v148, off, s[0:3], 0 offset:636
	buffer_load_dword v130, off, s[0:3], 0 offset:612
	;; [unrolled: 1-line block ×3, first 2 shown]
	ds_read_b128 v[99:102], v152 offset:1120
	s_waitcnt vmcnt(58) lgkmcnt(1)
	v_mul_f64 v[145:146], v[3:4], v[169:170]
	s_waitcnt vmcnt(56)
	v_fma_f64 v[167:168], v[95:96], v[174:175], -v[167:168]
	v_mul_f64 v[139:140], v[1:2], v[169:170]
	v_add_f64 v[103:104], v[103:104], v[137:138]
	v_fma_f64 v[137:138], v[97:98], v[174:175], v[182:183]
	v_add_f64 v[105:106], v[105:106], v[131:132]
	s_clause 0x4
	buffer_load_dword v132, off, s[0:3], 0 offset:652
	buffer_load_dword v169, off, s[0:3], 0 offset:664
	;; [unrolled: 1-line block ×5, first 2 shown]
	ds_read_b128 v[95:98], v152 offset:1136
	s_waitcnt vmcnt(57) lgkmcnt(1)
	v_mul_f64 v[174:175], v[99:100], v[165:166]
	v_mul_f64 v[165:166], v[101:102], v[165:166]
	s_waitcnt vmcnt(56)
	v_fma_f64 v[145:146], v[1:2], v[171:172], -v[145:146]
	v_fma_f64 v[139:140], v[3:4], v[171:172], v[139:140]
	v_add_f64 v[103:104], v[103:104], v[167:168]
	v_add_f64 v[105:106], v[105:106], v[137:138]
	s_clause 0x2
	buffer_load_dword v170, off, s[0:3], 0 offset:668
	buffer_load_dword v138, off, s[0:3], 0 offset:644
	;; [unrolled: 1-line block ×3, first 2 shown]
	ds_read_b128 v[1:4], v152 offset:1152
	s_waitcnt vmcnt(58) lgkmcnt(1)
	v_mul_f64 v[171:172], v[97:98], v[178:179]
	v_mul_f64 v[167:168], v[95:96], v[178:179]
	s_waitcnt vmcnt(56)
	v_fma_f64 v[165:166], v[99:100], v[159:160], -v[165:166]
	v_add_f64 v[103:104], v[103:104], v[145:146]
	v_fma_f64 v[145:146], v[101:102], v[159:160], v[174:175]
	v_add_f64 v[105:106], v[105:106], v[139:140]
	s_clause 0x4
	buffer_load_dword v140, off, s[0:3], 0 offset:684
	buffer_load_dword v159, off, s[0:3], 0 offset:696
	;; [unrolled: 1-line block ×5, first 2 shown]
	ds_read_b128 v[99:102], v152 offset:1168
	s_waitcnt vmcnt(57) lgkmcnt(1)
	v_mul_f64 v[182:183], v[1:2], v[115:116]
	v_mul_f64 v[115:116], v[3:4], v[115:116]
	s_waitcnt vmcnt(56)
	v_fma_f64 v[171:172], v[95:96], v[180:181], -v[171:172]
	v_add_f64 v[103:104], v[103:104], v[165:166]
	v_fma_f64 v[165:166], v[97:98], v[180:181], v[167:168]
	v_add_f64 v[105:106], v[105:106], v[145:146]
	s_clause 0x2
	buffer_load_dword v160, off, s[0:3], 0 offset:700
	buffer_load_dword v146, off, s[0:3], 0 offset:676
	;; [unrolled: 1-line block ×3, first 2 shown]
	ds_read_b128 v[95:98], v152 offset:1184
	s_waitcnt vmcnt(58) lgkmcnt(1)
	v_mul_f64 v[167:168], v[99:100], v[161:162]
	v_mul_f64 v[161:162], v[101:102], v[161:162]
	s_waitcnt vmcnt(56)
	v_fma_f64 v[115:116], v[1:2], v[109:110], -v[115:116]
	v_fma_f64 v[109:110], v[3:4], v[109:110], v[182:183]
	v_add_f64 v[103:104], v[103:104], v[171:172]
	v_add_f64 v[105:106], v[105:106], v[165:166]
	s_clause 0x4
	buffer_load_dword v166, off, s[0:3], 0 offset:716
	buffer_load_dword v171, off, s[0:3], 0 offset:728
	;; [unrolled: 1-line block ×5, first 2 shown]
	ds_read_b128 v[1:4], v152 offset:1200
	s_waitcnt vmcnt(57) lgkmcnt(1)
	v_mul_f64 v[180:181], v[95:96], v[153:154]
	v_mul_f64 v[153:154], v[97:98], v[153:154]
	s_waitcnt vmcnt(56)
	v_fma_f64 v[161:162], v[99:100], v[176:177], -v[161:162]
	v_add_f64 v[103:104], v[103:104], v[115:116]
	v_fma_f64 v[115:116], v[101:102], v[176:177], v[167:168]
	v_add_f64 v[105:106], v[105:106], v[109:110]
	s_clause 0x2
	buffer_load_dword v172, off, s[0:3], 0 offset:732
	buffer_load_dword v110, off, s[0:3], 0 offset:708
	;; [unrolled: 1-line block ×3, first 2 shown]
	ds_read_b128 v[99:102], v152 offset:1216
	buffer_load_dword v176, off, s[0:3], 0 offset:724
	s_waitcnt vmcnt(59) lgkmcnt(1)
	v_mul_f64 v[167:168], v[1:2], v[155:156]
	v_mul_f64 v[155:156], v[3:4], v[155:156]
	s_waitcnt vmcnt(57)
	v_fma_f64 v[153:154], v[95:96], v[111:112], -v[153:154]
	v_fma_f64 v[111:112], v[97:98], v[111:112], v[180:181]
	ds_read_b128 v[95:98], v152 offset:1232
	v_add_f64 v[103:104], v[103:104], v[161:162]
	v_add_f64 v[105:106], v[105:106], v[115:116]
	s_waitcnt vmcnt(53) lgkmcnt(1)
	v_mul_f64 v[115:116], v[99:100], v[107:108]
	v_mul_f64 v[107:108], v[101:102], v[107:108]
	s_waitcnt vmcnt(52)
	v_fma_f64 v[155:156], v[1:2], v[163:164], -v[155:156]
	v_add_f64 v[103:104], v[103:104], v[153:154]
	v_fma_f64 v[153:154], v[3:4], v[163:164], v[167:168]
	v_add_f64 v[105:106], v[105:106], v[111:112]
	ds_read_b128 v[1:4], v152 offset:1248
	s_waitcnt vmcnt(51) lgkmcnt(1)
	v_mul_f64 v[111:112], v[95:96], v[127:128]
	v_mul_f64 v[127:128], v[97:98], v[127:128]
	s_waitcnt vmcnt(49)
	v_fma_f64 v[107:108], v[99:100], v[117:118], -v[107:108]
	v_fma_f64 v[115:116], v[101:102], v[117:118], v[115:116]
	v_add_f64 v[103:104], v[103:104], v[155:156]
	v_add_f64 v[105:106], v[105:106], v[153:154]
	s_clause 0x3
	buffer_load_dword v117, off, s[0:3], 0 offset:128
	buffer_load_dword v118, off, s[0:3], 0 offset:132
	;; [unrolled: 1-line block ×4, first 2 shown]
	ds_read_b128 v[99:102], v152 offset:1264
	s_waitcnt vmcnt(49) lgkmcnt(1)
	v_mul_f64 v[155:156], v[1:2], v[113:114]
	v_mul_f64 v[113:114], v[3:4], v[113:114]
	s_waitcnt vmcnt(48)
	v_fma_f64 v[127:128], v[95:96], v[157:158], -v[127:128]
	v_add_f64 v[103:104], v[103:104], v[107:108]
	v_fma_f64 v[107:108], v[97:98], v[157:158], v[111:112]
	v_add_f64 v[105:106], v[105:106], v[115:116]
	ds_read_b128 v[95:98], v152 offset:1280
	s_waitcnt vmcnt(47) lgkmcnt(1)
	v_mul_f64 v[115:116], v[101:102], v[133:134]
	v_mul_f64 v[111:112], v[99:100], v[133:134]
	s_waitcnt vmcnt(45)
	v_fma_f64 v[113:114], v[1:2], v[123:124], -v[113:114]
	v_fma_f64 v[123:124], v[3:4], v[123:124], v[155:156]
	ds_read_b128 v[1:4], v152 offset:1296
	v_add_f64 v[103:104], v[103:104], v[127:128]
	v_add_f64 v[105:106], v[105:106], v[107:108]
	s_waitcnt vmcnt(41) lgkmcnt(1)
	v_mul_f64 v[107:108], v[95:96], v[119:120]
	v_mul_f64 v[119:120], v[97:98], v[119:120]
	s_waitcnt vmcnt(40)
	v_fma_f64 v[115:116], v[99:100], v[135:136], -v[115:116]
	v_fma_f64 v[111:112], v[101:102], v[135:136], v[111:112]
	ds_read_b128 v[99:102], v152 offset:1312
	v_add_f64 v[103:104], v[103:104], v[113:114]
	v_add_f64 v[105:106], v[105:106], v[123:124]
	;; [unrolled: 9-line block ×3, first 2 shown]
	s_waitcnt vmcnt(33) lgkmcnt(1)
	v_mul_f64 v[115:116], v[101:102], v[125:126]
	s_waitcnt vmcnt(32)
	v_fma_f64 v[121:122], v[1:2], v[143:144], -v[123:124]
	v_mul_f64 v[111:112], v[99:100], v[125:126]
	v_fma_f64 v[113:114], v[3:4], v[143:144], v[113:114]
	ds_read_b128 v[1:4], v152 offset:1344
	v_add_f64 v[103:104], v[103:104], v[119:120]
	v_add_f64 v[105:106], v[105:106], v[107:108]
	s_waitcnt vmcnt(31) lgkmcnt(1)
	v_mul_f64 v[119:120], v[97:98], v[147:148]
	v_mul_f64 v[107:108], v[95:96], v[147:148]
	s_waitcnt vmcnt(29)
	v_fma_f64 v[115:116], v[99:100], v[129:130], -v[115:116]
	v_fma_f64 v[111:112], v[101:102], v[129:130], v[111:112]
	ds_read_b128 v[99:102], v152 offset:1360
	v_add_f64 v[103:104], v[103:104], v[121:122]
	v_add_f64 v[105:106], v[105:106], v[113:114]
	s_waitcnt vmcnt(25) lgkmcnt(1)
	v_mul_f64 v[121:122], v[3:4], v[131:132]
	s_waitcnt vmcnt(24)
	v_fma_f64 v[119:120], v[95:96], v[149:150], -v[119:120]
	v_mul_f64 v[113:114], v[1:2], v[131:132]
	v_fma_f64 v[107:108], v[97:98], v[149:150], v[107:108]
	ds_read_b128 v[95:98], v152 offset:1376
	v_add_f64 v[103:104], v[103:104], v[115:116]
	v_add_f64 v[105:106], v[105:106], v[111:112]
	s_waitcnt vmcnt(23) lgkmcnt(1)
	v_mul_f64 v[115:116], v[101:102], v[169:170]
	v_mul_f64 v[111:112], v[99:100], v[169:170]
	s_waitcnt vmcnt(21)
	v_fma_f64 v[121:122], v[1:2], v[137:138], -v[121:122]
	v_fma_f64 v[113:114], v[3:4], v[137:138], v[113:114]
	ds_read_b128 v[1:4], v152 offset:1392
	v_add_f64 v[103:104], v[103:104], v[119:120]
	v_add_f64 v[105:106], v[105:106], v[107:108]
	;; [unrolled: 18-line block ×3, first 2 shown]
	s_waitcnt vmcnt(9) lgkmcnt(1)
	v_mul_f64 v[115:116], v[101:102], v[165:166]
	s_waitcnt vmcnt(8)
	v_fma_f64 v[1:2], v[1:2], v[178:179], -v[121:122]
	v_mul_f64 v[111:112], v[99:100], v[165:166]
	v_fma_f64 v[3:4], v[3:4], v[178:179], v[113:114]
	v_add_f64 v[103:104], v[103:104], v[119:120]
	v_add_f64 v[105:106], v[105:106], v[107:108]
	s_waitcnt vmcnt(7) lgkmcnt(0)
	v_mul_f64 v[113:114], v[97:98], v[171:172]
	v_mul_f64 v[107:108], v[95:96], v[171:172]
	s_waitcnt vmcnt(5)
	v_fma_f64 v[99:100], v[99:100], v[109:110], -v[115:116]
	v_fma_f64 v[101:102], v[101:102], v[109:110], v[111:112]
	v_add_f64 v[1:2], v[103:104], v[1:2]
	v_add_f64 v[3:4], v[105:106], v[3:4]
	s_waitcnt vmcnt(4)
	v_fma_f64 v[95:96], v[95:96], v[175:176], -v[113:114]
	v_fma_f64 v[97:98], v[97:98], v[175:176], v[107:108]
	v_add_f64 v[1:2], v[1:2], v[99:100]
	v_add_f64 v[3:4], v[3:4], v[101:102]
	;; [unrolled: 1-line block ×4, first 2 shown]
	s_waitcnt vmcnt(2)
	v_add_f64 v[1:2], v[117:118], -v[1:2]
	s_waitcnt vmcnt(0)
	v_add_f64 v[3:4], v[153:154], -v[3:4]
	buffer_store_dword v2, off, s[0:3], 0 offset:132
	buffer_store_dword v1, off, s[0:3], 0 offset:128
	;; [unrolled: 1-line block ×4, first 2 shown]
	v_cmpx_lt_u32_e32 6, v0
	s_cbranch_execz .LBB108_271
; %bb.270:
	v_mov_b32_e32 v4, s51
	s_clause 0x3
	buffer_load_dword v1, v4, s[0:3], 0 offen
	buffer_load_dword v2, v4, s[0:3], 0 offen offset:4
	buffer_load_dword v3, v4, s[0:3], 0 offen offset:8
	;; [unrolled: 1-line block ×3, first 2 shown]
	buffer_store_dword v152, off, s[0:3], 0 offset:112
	buffer_store_dword v152, off, s[0:3], 0 offset:116
	;; [unrolled: 1-line block ×4, first 2 shown]
	s_waitcnt vmcnt(0)
	ds_write_b128 v151, v[1:4]
.LBB108_271:
	s_or_b32 exec_lo, exec_lo, s4
	s_waitcnt lgkmcnt(0)
	s_waitcnt_vscnt null, 0x0
	s_barrier
	buffer_gl0_inv
	s_clause 0x37
	buffer_load_dword v99, off, s[0:3], 0 offset:136
	buffer_load_dword v100, off, s[0:3], 0 offset:140
	;; [unrolled: 1-line block ×56, first 2 shown]
	ds_read_b128 v[153:156], v152 offset:832
	s_clause 0x2
	buffer_load_dword v148, off, s[0:3], 0 offset:364
	buffer_load_dword v150, off, s[0:3], 0 offset:340
	;; [unrolled: 1-line block ×3, first 2 shown]
	ds_read_b128 v[157:160], v152 offset:848
	s_clause 0x4
	buffer_load_dword v168, off, s[0:3], 0 offset:380
	buffer_load_dword v169, off, s[0:3], 0 offset:392
	;; [unrolled: 1-line block ×5, first 2 shown]
	ds_read_b128 v[161:164], v152 offset:864
	s_clause 0x2
	buffer_load_dword v170, off, s[0:3], 0 offset:396
	buffer_load_dword v175, off, s[0:3], 0 offset:372
	;; [unrolled: 1-line block ×3, first 2 shown]
	s_mov_b32 s4, exec_lo
	s_waitcnt vmcnt(62) lgkmcnt(2)
	v_mul_f64 v[165:166], v[155:156], v[99:100]
	v_mul_f64 v[99:100], v[153:154], v[99:100]
	s_waitcnt lgkmcnt(1)
	v_mul_f64 v[172:173], v[159:160], v[95:96]
	s_waitcnt vmcnt(59) lgkmcnt(0)
	v_mul_f64 v[176:177], v[163:164], v[3:4]
	v_fma_f64 v[153:154], v[153:154], v[97:98], -v[165:166]
	v_mul_f64 v[165:166], v[157:158], v[95:96]
	v_fma_f64 v[99:100], v[155:156], v[97:98], v[99:100]
	s_waitcnt vmcnt(57)
	v_fma_f64 v[157:158], v[157:158], v[1:2], -v[172:173]
	ds_read_b128 v[95:98], v152 offset:880
	v_mul_f64 v[155:156], v[161:162], v[3:4]
	s_waitcnt vmcnt(51)
	v_fma_f64 v[161:162], v[161:162], v[115:116], -v[176:177]
	v_add_f64 v[153:154], v[153:154], 0
	v_fma_f64 v[159:160], v[159:160], v[1:2], v[165:166]
	v_add_f64 v[99:100], v[99:100], 0
	s_clause 0x4
	buffer_load_dword v166, off, s[0:3], 0 offset:412
	buffer_load_dword v178, off, s[0:3], 0 offset:424
	buffer_load_dword v180, off, s[0:3], 0 offset:416
	buffer_load_dword v165, off, s[0:3], 0 offset:408
	buffer_load_dword v172, off, s[0:3], 0 offset:388
	s_waitcnt lgkmcnt(0)
	v_mul_f64 v[181:182], v[95:96], v[103:104]
	v_mul_f64 v[103:104], v[97:98], v[103:104]
	ds_read_b128 v[1:4], v152 offset:896
	v_fma_f64 v[115:116], v[163:164], v[115:116], v[155:156]
	v_add_f64 v[157:158], v[153:154], v[157:158]
	v_add_f64 v[99:100], v[99:100], v[159:160]
	s_clause 0x2
	buffer_load_dword v179, off, s[0:3], 0 offset:428
	buffer_load_dword v160, off, s[0:3], 0 offset:404
	;; [unrolled: 1-line block ×3, first 2 shown]
	s_waitcnt vmcnt(58) lgkmcnt(0)
	v_mul_f64 v[163:164], v[1:2], v[107:108]
	v_mul_f64 v[107:108], v[3:4], v[107:108]
	s_waitcnt vmcnt(56)
	v_fma_f64 v[103:104], v[95:96], v[109:110], -v[103:104]
	ds_read_b128 v[153:156], v152 offset:912
	v_fma_f64 v[109:110], v[97:98], v[109:110], v[181:182]
	v_add_f64 v[157:158], v[157:158], v[161:162]
	v_add_f64 v[99:100], v[99:100], v[115:116]
	s_clause 0x4
	buffer_load_dword v116, off, s[0:3], 0 offset:444
	buffer_load_dword v161, off, s[0:3], 0 offset:456
	;; [unrolled: 1-line block ×5, first 2 shown]
	ds_read_b128 v[95:98], v152 offset:928
	s_waitcnt vmcnt(57) lgkmcnt(1)
	v_mul_f64 v[182:183], v[153:154], v[111:112]
	v_mul_f64 v[111:112], v[155:156], v[111:112]
	s_waitcnt vmcnt(56)
	v_fma_f64 v[107:108], v[1:2], v[101:102], -v[107:108]
	v_fma_f64 v[101:102], v[3:4], v[101:102], v[163:164]
	v_add_f64 v[103:104], v[157:158], v[103:104]
	v_add_f64 v[99:100], v[99:100], v[109:110]
	s_clause 0x2
	buffer_load_dword v162, off, s[0:3], 0 offset:460
	buffer_load_dword v110, off, s[0:3], 0 offset:436
	;; [unrolled: 1-line block ×3, first 2 shown]
	s_waitcnt vmcnt(58) lgkmcnt(0)
	v_mul_f64 v[157:158], v[95:96], v[117:118]
	v_mul_f64 v[117:118], v[97:98], v[117:118]
	s_waitcnt vmcnt(56)
	v_fma_f64 v[111:112], v[153:154], v[119:120], -v[111:112]
	ds_read_b128 v[1:4], v152 offset:944
	v_add_f64 v[103:104], v[103:104], v[107:108]
	v_fma_f64 v[107:108], v[155:156], v[119:120], v[182:183]
	v_add_f64 v[119:120], v[99:100], v[101:102]
	s_clause 0x4
	buffer_load_dword v154, off, s[0:3], 0 offset:476
	buffer_load_dword v155, off, s[0:3], 0 offset:488
	;; [unrolled: 1-line block ×5, first 2 shown]
	ds_read_b128 v[99:102], v152 offset:960
	s_waitcnt vmcnt(57) lgkmcnt(1)
	v_mul_f64 v[182:183], v[1:2], v[121:122]
	v_mul_f64 v[121:122], v[3:4], v[121:122]
	s_waitcnt vmcnt(56)
	v_fma_f64 v[117:118], v[95:96], v[105:106], -v[117:118]
	v_fma_f64 v[105:106], v[97:98], v[105:106], v[157:158]
	v_add_f64 v[103:104], v[103:104], v[111:112]
	s_clause 0x2
	buffer_load_dword v156, off, s[0:3], 0 offset:492
	buffer_load_dword v112, off, s[0:3], 0 offset:468
	;; [unrolled: 1-line block ×3, first 2 shown]
	v_add_f64 v[107:108], v[119:120], v[107:108]
	s_waitcnt vmcnt(58) lgkmcnt(0)
	v_mul_f64 v[119:120], v[99:100], v[125:126]
	v_mul_f64 v[125:126], v[101:102], v[125:126]
	ds_read_b128 v[95:98], v152 offset:976
	s_waitcnt vmcnt(56)
	v_fma_f64 v[121:122], v[1:2], v[127:128], -v[121:122]
	v_add_f64 v[103:104], v[103:104], v[117:118]
	v_fma_f64 v[117:118], v[3:4], v[127:128], v[182:183]
	v_add_f64 v[105:106], v[107:108], v[105:106]
	s_clause 0x4
	buffer_load_dword v108, off, s[0:3], 0 offset:508
	buffer_load_dword v127, off, s[0:3], 0 offset:520
	;; [unrolled: 1-line block ×5, first 2 shown]
	s_waitcnt vmcnt(57) lgkmcnt(0)
	v_mul_f64 v[182:183], v[95:96], v[129:130]
	v_mul_f64 v[129:130], v[97:98], v[129:130]
	s_waitcnt vmcnt(56)
	v_fma_f64 v[125:126], v[99:100], v[113:114], -v[125:126]
	ds_read_b128 v[1:4], v152 offset:992
	v_fma_f64 v[113:114], v[101:102], v[113:114], v[119:120]
	v_add_f64 v[103:104], v[103:104], v[121:122]
	v_add_f64 v[105:106], v[105:106], v[117:118]
	s_clause 0x2
	buffer_load_dword v128, off, s[0:3], 0 offset:524
	buffer_load_dword v118, off, s[0:3], 0 offset:500
	;; [unrolled: 1-line block ×3, first 2 shown]
	ds_read_b128 v[99:102], v152 offset:1008
	s_waitcnt vmcnt(58) lgkmcnt(1)
	v_mul_f64 v[121:122], v[3:4], v[133:134]
	s_waitcnt vmcnt(56)
	v_fma_f64 v[129:130], v[95:96], v[135:136], -v[129:130]
	v_mul_f64 v[119:120], v[1:2], v[133:134]
	v_add_f64 v[103:104], v[103:104], v[125:126]
	v_fma_f64 v[125:126], v[97:98], v[135:136], v[182:183]
	v_add_f64 v[105:106], v[105:106], v[113:114]
	s_clause 0x4
	buffer_load_dword v114, off, s[0:3], 0 offset:540
	buffer_load_dword v133, off, s[0:3], 0 offset:552
	;; [unrolled: 1-line block ×5, first 2 shown]
	s_waitcnt vmcnt(57) lgkmcnt(0)
	v_mul_f64 v[182:183], v[99:100], v[137:138]
	v_mul_f64 v[136:137], v[101:102], v[137:138]
	s_waitcnt vmcnt(56)
	v_fma_f64 v[121:122], v[1:2], v[123:124], -v[121:122]
	ds_read_b128 v[95:98], v152 offset:1024
	v_fma_f64 v[119:120], v[3:4], v[123:124], v[119:120]
	s_clause 0x2
	buffer_load_dword v134, off, s[0:3], 0 offset:556
	buffer_load_dword v124, off, s[0:3], 0 offset:532
	;; [unrolled: 1-line block ×3, first 2 shown]
	ds_read_b128 v[1:4], v152 offset:1040
	v_add_f64 v[103:104], v[103:104], v[129:130]
	v_add_f64 v[105:106], v[105:106], v[125:126]
	s_waitcnt vmcnt(58) lgkmcnt(1)
	v_mul_f64 v[129:130], v[97:98], v[141:142]
	s_waitcnt vmcnt(56)
	v_fma_f64 v[137:138], v[99:100], v[143:144], -v[136:137]
	v_mul_f64 v[125:126], v[95:96], v[141:142]
	v_add_f64 v[103:104], v[103:104], v[121:122]
	v_fma_f64 v[121:122], v[101:102], v[143:144], v[182:183]
	v_add_f64 v[105:106], v[105:106], v[119:120]
	s_clause 0x4
	buffer_load_dword v120, off, s[0:3], 0 offset:572
	buffer_load_dword v141, off, s[0:3], 0 offset:584
	;; [unrolled: 1-line block ×5, first 2 shown]
	s_waitcnt vmcnt(57) lgkmcnt(0)
	v_mul_f64 v[182:183], v[1:2], v[145:146]
	v_mul_f64 v[144:145], v[3:4], v[145:146]
	s_waitcnt vmcnt(56)
	v_fma_f64 v[129:130], v[95:96], v[131:132], -v[129:130]
	ds_read_b128 v[99:102], v152 offset:1056
	v_fma_f64 v[125:126], v[97:98], v[131:132], v[125:126]
	v_add_f64 v[103:104], v[103:104], v[137:138]
	v_add_f64 v[105:106], v[105:106], v[121:122]
	s_clause 0x2
	buffer_load_dword v142, off, s[0:3], 0 offset:588
	buffer_load_dword v122, off, s[0:3], 0 offset:564
	;; [unrolled: 1-line block ×3, first 2 shown]
	ds_read_b128 v[95:98], v152 offset:1072
	s_waitcnt vmcnt(58) lgkmcnt(1)
	v_mul_f64 v[137:138], v[101:102], v[147:148]
	s_waitcnt vmcnt(56)
	v_fma_f64 v[145:146], v[1:2], v[149:150], -v[144:145]
	v_mul_f64 v[131:132], v[99:100], v[147:148]
	v_add_f64 v[103:104], v[103:104], v[129:130]
	v_fma_f64 v[129:130], v[3:4], v[149:150], v[182:183]
	v_add_f64 v[105:106], v[105:106], v[125:126]
	s_clause 0x4
	buffer_load_dword v126, off, s[0:3], 0 offset:604
	buffer_load_dword v147, off, s[0:3], 0 offset:616
	;; [unrolled: 1-line block ×5, first 2 shown]
	s_waitcnt vmcnt(57) lgkmcnt(0)
	v_mul_f64 v[182:183], v[95:96], v[167:168]
	v_mul_f64 v[167:168], v[97:98], v[167:168]
	s_waitcnt vmcnt(56)
	v_fma_f64 v[137:138], v[99:100], v[139:140], -v[137:138]
	ds_read_b128 v[1:4], v152 offset:1088
	v_fma_f64 v[131:132], v[101:102], v[139:140], v[131:132]
	v_add_f64 v[103:104], v[103:104], v[145:146]
	v_add_f64 v[105:106], v[105:106], v[129:130]
	s_clause 0x2
	buffer_load_dword v148, off, s[0:3], 0 offset:620
	buffer_load_dword v130, off, s[0:3], 0 offset:596
	;; [unrolled: 1-line block ×3, first 2 shown]
	ds_read_b128 v[99:102], v152 offset:1104
	s_waitcnt vmcnt(58) lgkmcnt(1)
	v_mul_f64 v[145:146], v[3:4], v[169:170]
	s_waitcnt vmcnt(56)
	v_fma_f64 v[167:168], v[95:96], v[174:175], -v[167:168]
	v_mul_f64 v[139:140], v[1:2], v[169:170]
	v_add_f64 v[103:104], v[103:104], v[137:138]
	v_fma_f64 v[137:138], v[97:98], v[174:175], v[182:183]
	v_add_f64 v[105:106], v[105:106], v[131:132]
	s_clause 0x4
	buffer_load_dword v132, off, s[0:3], 0 offset:636
	buffer_load_dword v169, off, s[0:3], 0 offset:648
	;; [unrolled: 1-line block ×5, first 2 shown]
	ds_read_b128 v[95:98], v152 offset:1120
	s_waitcnt vmcnt(57) lgkmcnt(1)
	v_mul_f64 v[174:175], v[99:100], v[165:166]
	v_mul_f64 v[165:166], v[101:102], v[165:166]
	s_waitcnt vmcnt(56)
	v_fma_f64 v[145:146], v[1:2], v[171:172], -v[145:146]
	v_fma_f64 v[139:140], v[3:4], v[171:172], v[139:140]
	v_add_f64 v[103:104], v[103:104], v[167:168]
	v_add_f64 v[105:106], v[105:106], v[137:138]
	s_clause 0x2
	buffer_load_dword v170, off, s[0:3], 0 offset:652
	buffer_load_dword v138, off, s[0:3], 0 offset:628
	;; [unrolled: 1-line block ×3, first 2 shown]
	ds_read_b128 v[1:4], v152 offset:1136
	s_waitcnt vmcnt(58) lgkmcnt(1)
	v_mul_f64 v[171:172], v[97:98], v[178:179]
	v_mul_f64 v[167:168], v[95:96], v[178:179]
	s_waitcnt vmcnt(56)
	v_fma_f64 v[165:166], v[99:100], v[159:160], -v[165:166]
	v_add_f64 v[103:104], v[103:104], v[145:146]
	v_fma_f64 v[145:146], v[101:102], v[159:160], v[174:175]
	v_add_f64 v[105:106], v[105:106], v[139:140]
	s_clause 0x4
	buffer_load_dword v140, off, s[0:3], 0 offset:668
	buffer_load_dword v159, off, s[0:3], 0 offset:680
	;; [unrolled: 1-line block ×5, first 2 shown]
	ds_read_b128 v[99:102], v152 offset:1152
	s_waitcnt vmcnt(57) lgkmcnt(1)
	v_mul_f64 v[182:183], v[1:2], v[115:116]
	v_mul_f64 v[115:116], v[3:4], v[115:116]
	s_waitcnt vmcnt(56)
	v_fma_f64 v[171:172], v[95:96], v[180:181], -v[171:172]
	v_add_f64 v[103:104], v[103:104], v[165:166]
	v_fma_f64 v[165:166], v[97:98], v[180:181], v[167:168]
	v_add_f64 v[105:106], v[105:106], v[145:146]
	s_clause 0x2
	buffer_load_dword v160, off, s[0:3], 0 offset:684
	buffer_load_dword v146, off, s[0:3], 0 offset:660
	;; [unrolled: 1-line block ×3, first 2 shown]
	ds_read_b128 v[95:98], v152 offset:1168
	s_waitcnt vmcnt(58) lgkmcnt(1)
	v_mul_f64 v[167:168], v[99:100], v[161:162]
	v_mul_f64 v[161:162], v[101:102], v[161:162]
	s_waitcnt vmcnt(56)
	v_fma_f64 v[115:116], v[1:2], v[109:110], -v[115:116]
	v_fma_f64 v[109:110], v[3:4], v[109:110], v[182:183]
	v_add_f64 v[103:104], v[103:104], v[171:172]
	v_add_f64 v[105:106], v[105:106], v[165:166]
	s_clause 0x4
	buffer_load_dword v166, off, s[0:3], 0 offset:700
	buffer_load_dword v171, off, s[0:3], 0 offset:712
	;; [unrolled: 1-line block ×5, first 2 shown]
	ds_read_b128 v[1:4], v152 offset:1184
	s_waitcnt vmcnt(57) lgkmcnt(1)
	v_mul_f64 v[180:181], v[95:96], v[153:154]
	v_mul_f64 v[153:154], v[97:98], v[153:154]
	s_waitcnt vmcnt(56)
	v_fma_f64 v[161:162], v[99:100], v[176:177], -v[161:162]
	v_add_f64 v[103:104], v[103:104], v[115:116]
	v_fma_f64 v[115:116], v[101:102], v[176:177], v[167:168]
	v_add_f64 v[105:106], v[105:106], v[109:110]
	s_clause 0x2
	buffer_load_dword v172, off, s[0:3], 0 offset:716
	buffer_load_dword v110, off, s[0:3], 0 offset:692
	;; [unrolled: 1-line block ×3, first 2 shown]
	ds_read_b128 v[99:102], v152 offset:1200
	s_waitcnt vmcnt(58) lgkmcnt(1)
	v_mul_f64 v[167:168], v[1:2], v[155:156]
	v_mul_f64 v[155:156], v[3:4], v[155:156]
	s_waitcnt vmcnt(56)
	v_fma_f64 v[153:154], v[95:96], v[111:112], -v[153:154]
	v_fma_f64 v[111:112], v[97:98], v[111:112], v[180:181]
	v_add_f64 v[103:104], v[103:104], v[161:162]
	v_add_f64 v[105:106], v[105:106], v[115:116]
	s_clause 0x2
	buffer_load_dword v116, off, s[0:3], 0 offset:732
	buffer_load_dword v115, off, s[0:3], 0 offset:728
	;; [unrolled: 1-line block ×3, first 2 shown]
	ds_read_b128 v[95:98], v152 offset:1216
	s_waitcnt vmcnt(55) lgkmcnt(1)
	v_mul_f64 v[161:162], v[99:100], v[107:108]
	v_mul_f64 v[107:108], v[101:102], v[107:108]
	s_waitcnt vmcnt(54)
	v_fma_f64 v[155:156], v[1:2], v[163:164], -v[155:156]
	v_add_f64 v[103:104], v[103:104], v[153:154]
	v_fma_f64 v[153:154], v[3:4], v[163:164], v[167:168]
	v_add_f64 v[105:106], v[105:106], v[111:112]
	s_clause 0x1
	buffer_load_dword v112, off, s[0:3], 0 offset:724
	buffer_load_dword v111, off, s[0:3], 0 offset:720
	ds_read_b128 v[1:4], v152 offset:1232
	s_waitcnt vmcnt(55) lgkmcnt(1)
	v_mul_f64 v[163:164], v[95:96], v[127:128]
	v_mul_f64 v[127:128], v[97:98], v[127:128]
	s_waitcnt vmcnt(53)
	v_fma_f64 v[107:108], v[99:100], v[117:118], -v[107:108]
	v_fma_f64 v[117:118], v[101:102], v[117:118], v[161:162]
	ds_read_b128 v[99:102], v152 offset:1248
	v_add_f64 v[103:104], v[103:104], v[155:156]
	v_add_f64 v[105:106], v[105:106], v[153:154]
	s_waitcnt vmcnt(49) lgkmcnt(1)
	v_mul_f64 v[153:154], v[1:2], v[113:114]
	v_mul_f64 v[113:114], v[3:4], v[113:114]
	s_waitcnt vmcnt(48)
	v_fma_f64 v[127:128], v[95:96], v[157:158], -v[127:128]
	v_add_f64 v[103:104], v[103:104], v[107:108]
	v_fma_f64 v[107:108], v[97:98], v[157:158], v[163:164]
	v_add_f64 v[105:106], v[105:106], v[117:118]
	s_clause 0x3
	buffer_load_dword v117, off, s[0:3], 0 offset:112
	buffer_load_dword v118, off, s[0:3], 0 offset:116
	buffer_load_dword v155, off, s[0:3], 0 offset:120
	buffer_load_dword v156, off, s[0:3], 0 offset:124
	s_waitcnt vmcnt(51) lgkmcnt(0)
	v_mul_f64 v[157:158], v[99:100], v[133:134]
	v_mul_f64 v[133:134], v[101:102], v[133:134]
	ds_read_b128 v[95:98], v152 offset:1264
	s_waitcnt vmcnt(49)
	v_fma_f64 v[113:114], v[1:2], v[123:124], -v[113:114]
	v_fma_f64 v[123:124], v[3:4], v[123:124], v[153:154]
	ds_read_b128 v[1:4], v152 offset:1280
	v_add_f64 v[103:104], v[103:104], v[127:128]
	v_add_f64 v[105:106], v[105:106], v[107:108]
	s_waitcnt vmcnt(45) lgkmcnt(1)
	v_mul_f64 v[107:108], v[95:96], v[119:120]
	v_mul_f64 v[119:120], v[97:98], v[119:120]
	s_waitcnt vmcnt(44)
	v_fma_f64 v[127:128], v[99:100], v[135:136], -v[133:134]
	v_add_f64 v[103:104], v[103:104], v[113:114]
	v_fma_f64 v[113:114], v[101:102], v[135:136], v[157:158]
	v_add_f64 v[105:106], v[105:106], v[123:124]
	ds_read_b128 v[99:102], v152 offset:1296
	s_waitcnt vmcnt(43) lgkmcnt(1)
	v_mul_f64 v[133:134], v[3:4], v[141:142]
	v_mul_f64 v[123:124], v[1:2], v[141:142]
	s_waitcnt vmcnt(41)
	v_fma_f64 v[119:120], v[95:96], v[121:122], -v[119:120]
	v_fma_f64 v[107:108], v[97:98], v[121:122], v[107:108]
	ds_read_b128 v[95:98], v152 offset:1312
	v_add_f64 v[103:104], v[103:104], v[127:128]
	v_add_f64 v[105:106], v[105:106], v[113:114]
	s_waitcnt vmcnt(37) lgkmcnt(1)
	v_mul_f64 v[113:114], v[99:100], v[125:126]
	v_mul_f64 v[121:122], v[101:102], v[125:126]
	s_waitcnt vmcnt(36)
	v_fma_f64 v[125:126], v[1:2], v[143:144], -v[133:134]
	v_add_f64 v[103:104], v[103:104], v[119:120]
	v_fma_f64 v[119:120], v[3:4], v[143:144], v[123:124]
	v_add_f64 v[105:106], v[105:106], v[107:108]
	ds_read_b128 v[1:4], v152 offset:1328
	s_waitcnt vmcnt(35) lgkmcnt(1)
	v_mul_f64 v[123:124], v[97:98], v[147:148]
	v_mul_f64 v[107:108], v[95:96], v[147:148]
	s_waitcnt vmcnt(33)
	v_fma_f64 v[121:122], v[99:100], v[129:130], -v[121:122]
	v_fma_f64 v[113:114], v[101:102], v[129:130], v[113:114]
	ds_read_b128 v[99:102], v152 offset:1344
	v_add_f64 v[103:104], v[103:104], v[125:126]
	v_add_f64 v[105:106], v[105:106], v[119:120]
	s_waitcnt vmcnt(29) lgkmcnt(1)
	v_mul_f64 v[125:126], v[3:4], v[131:132]
	s_waitcnt vmcnt(28)
	v_fma_f64 v[123:124], v[95:96], v[149:150], -v[123:124]
	v_mul_f64 v[119:120], v[1:2], v[131:132]
	v_fma_f64 v[107:108], v[97:98], v[149:150], v[107:108]
	ds_read_b128 v[95:98], v152 offset:1360
	v_add_f64 v[103:104], v[103:104], v[121:122]
	v_add_f64 v[105:106], v[105:106], v[113:114]
	s_waitcnt vmcnt(27) lgkmcnt(1)
	v_mul_f64 v[121:122], v[101:102], v[169:170]
	v_mul_f64 v[113:114], v[99:100], v[169:170]
	s_waitcnt vmcnt(25)
	v_fma_f64 v[125:126], v[1:2], v[137:138], -v[125:126]
	v_fma_f64 v[119:120], v[3:4], v[137:138], v[119:120]
	ds_read_b128 v[1:4], v152 offset:1376
	v_add_f64 v[103:104], v[103:104], v[123:124]
	v_add_f64 v[105:106], v[105:106], v[107:108]
	s_waitcnt vmcnt(21) lgkmcnt(1)
	v_mul_f64 v[123:124], v[97:98], v[139:140]
	s_waitcnt vmcnt(20)
	v_fma_f64 v[121:122], v[99:100], v[173:174], -v[121:122]
	v_mul_f64 v[107:108], v[95:96], v[139:140]
	v_fma_f64 v[113:114], v[101:102], v[173:174], v[113:114]
	ds_read_b128 v[99:102], v152 offset:1392
	v_add_f64 v[103:104], v[103:104], v[125:126]
	v_add_f64 v[105:106], v[105:106], v[119:120]
	;; [unrolled: 18-line block ×3, first 2 shown]
	s_waitcnt vmcnt(11) lgkmcnt(1)
	v_mul_f64 v[123:124], v[97:98], v[171:172]
	v_mul_f64 v[107:108], v[95:96], v[171:172]
	s_waitcnt vmcnt(9)
	v_fma_f64 v[99:100], v[99:100], v[109:110], -v[121:122]
	v_fma_f64 v[101:102], v[101:102], v[109:110], v[113:114]
	v_add_f64 v[103:104], v[103:104], v[125:126]
	v_add_f64 v[105:106], v[105:106], v[119:120]
	s_waitcnt vmcnt(7) lgkmcnt(0)
	v_mul_f64 v[113:114], v[3:4], v[115:116]
	s_waitcnt vmcnt(6)
	v_fma_f64 v[95:96], v[95:96], v[175:176], -v[123:124]
	v_mul_f64 v[109:110], v[1:2], v[115:116]
	v_fma_f64 v[97:98], v[97:98], v[175:176], v[107:108]
	v_add_f64 v[99:100], v[103:104], v[99:100]
	v_add_f64 v[101:102], v[105:106], v[101:102]
	s_waitcnt vmcnt(4)
	v_fma_f64 v[1:2], v[1:2], v[111:112], -v[113:114]
	v_fma_f64 v[3:4], v[3:4], v[111:112], v[109:110]
	v_add_f64 v[95:96], v[99:100], v[95:96]
	v_add_f64 v[97:98], v[101:102], v[97:98]
	;; [unrolled: 1-line block ×4, first 2 shown]
	s_waitcnt vmcnt(2)
	v_add_f64 v[1:2], v[117:118], -v[1:2]
	s_waitcnt vmcnt(0)
	v_add_f64 v[3:4], v[155:156], -v[3:4]
	buffer_store_dword v2, off, s[0:3], 0 offset:116
	buffer_store_dword v1, off, s[0:3], 0 offset:112
	;; [unrolled: 1-line block ×4, first 2 shown]
	v_cmpx_lt_u32_e32 5, v0
	s_cbranch_execz .LBB108_273
; %bb.272:
	v_mov_b32_e32 v4, s52
	v_mov_b32_e32 v95, 0
	s_clause 0x3
	buffer_load_dword v1, v4, s[0:3], 0 offen
	buffer_load_dword v2, v4, s[0:3], 0 offen offset:4
	buffer_load_dword v3, v4, s[0:3], 0 offen offset:8
	;; [unrolled: 1-line block ×3, first 2 shown]
	buffer_store_dword v95, off, s[0:3], 0 offset:96
	buffer_store_dword v95, off, s[0:3], 0 offset:100
	;; [unrolled: 1-line block ×4, first 2 shown]
	s_waitcnt vmcnt(0)
	ds_write_b128 v151, v[1:4]
.LBB108_273:
	s_or_b32 exec_lo, exec_lo, s4
	s_waitcnt lgkmcnt(0)
	s_waitcnt_vscnt null, 0x0
	s_barrier
	buffer_gl0_inv
	s_clause 0x37
	buffer_load_dword v99, off, s[0:3], 0 offset:120
	buffer_load_dword v100, off, s[0:3], 0 offset:124
	;; [unrolled: 1-line block ×56, first 2 shown]
	v_mov_b32_e32 v152, 0
	s_mov_b32 s4, exec_lo
	ds_read_b128 v[153:156], v152 offset:816
	s_clause 0x2
	buffer_load_dword v148, off, s[0:3], 0 offset:348
	buffer_load_dword v150, off, s[0:3], 0 offset:324
	;; [unrolled: 1-line block ×3, first 2 shown]
	ds_read_b128 v[157:160], v152 offset:832
	s_clause 0x4
	buffer_load_dword v168, off, s[0:3], 0 offset:364
	buffer_load_dword v169, off, s[0:3], 0 offset:376
	;; [unrolled: 1-line block ×5, first 2 shown]
	ds_read_b128 v[161:164], v152 offset:848
	s_clause 0x2
	buffer_load_dword v170, off, s[0:3], 0 offset:380
	buffer_load_dword v175, off, s[0:3], 0 offset:356
	;; [unrolled: 1-line block ×3, first 2 shown]
	s_waitcnt vmcnt(62) lgkmcnt(2)
	v_mul_f64 v[165:166], v[155:156], v[99:100]
	v_mul_f64 v[99:100], v[153:154], v[99:100]
	s_waitcnt lgkmcnt(1)
	v_mul_f64 v[172:173], v[159:160], v[95:96]
	s_waitcnt vmcnt(59) lgkmcnt(0)
	v_mul_f64 v[176:177], v[163:164], v[3:4]
	v_fma_f64 v[153:154], v[153:154], v[97:98], -v[165:166]
	v_mul_f64 v[165:166], v[157:158], v[95:96]
	v_fma_f64 v[99:100], v[155:156], v[97:98], v[99:100]
	s_waitcnt vmcnt(57)
	v_fma_f64 v[157:158], v[157:158], v[1:2], -v[172:173]
	ds_read_b128 v[95:98], v152 offset:864
	v_mul_f64 v[155:156], v[161:162], v[3:4]
	s_waitcnt vmcnt(51)
	v_fma_f64 v[161:162], v[161:162], v[115:116], -v[176:177]
	v_add_f64 v[153:154], v[153:154], 0
	v_fma_f64 v[159:160], v[159:160], v[1:2], v[165:166]
	v_add_f64 v[99:100], v[99:100], 0
	s_clause 0x4
	buffer_load_dword v166, off, s[0:3], 0 offset:396
	buffer_load_dword v178, off, s[0:3], 0 offset:408
	;; [unrolled: 1-line block ×5, first 2 shown]
	s_waitcnt lgkmcnt(0)
	v_mul_f64 v[181:182], v[95:96], v[103:104]
	v_mul_f64 v[103:104], v[97:98], v[103:104]
	ds_read_b128 v[1:4], v152 offset:880
	v_fma_f64 v[115:116], v[163:164], v[115:116], v[155:156]
	v_add_f64 v[157:158], v[153:154], v[157:158]
	v_add_f64 v[99:100], v[99:100], v[159:160]
	s_clause 0x2
	buffer_load_dword v179, off, s[0:3], 0 offset:412
	buffer_load_dword v160, off, s[0:3], 0 offset:388
	;; [unrolled: 1-line block ×3, first 2 shown]
	s_waitcnt vmcnt(58) lgkmcnt(0)
	v_mul_f64 v[163:164], v[1:2], v[107:108]
	v_mul_f64 v[107:108], v[3:4], v[107:108]
	s_waitcnt vmcnt(56)
	v_fma_f64 v[103:104], v[95:96], v[109:110], -v[103:104]
	ds_read_b128 v[153:156], v152 offset:896
	v_fma_f64 v[109:110], v[97:98], v[109:110], v[181:182]
	v_add_f64 v[157:158], v[157:158], v[161:162]
	v_add_f64 v[99:100], v[99:100], v[115:116]
	s_clause 0x4
	buffer_load_dword v116, off, s[0:3], 0 offset:428
	buffer_load_dword v161, off, s[0:3], 0 offset:440
	buffer_load_dword v176, off, s[0:3], 0 offset:432
	buffer_load_dword v115, off, s[0:3], 0 offset:424
	buffer_load_dword v181, off, s[0:3], 0 offset:404
	ds_read_b128 v[95:98], v152 offset:912
	s_waitcnt vmcnt(57) lgkmcnt(1)
	v_mul_f64 v[182:183], v[153:154], v[111:112]
	v_mul_f64 v[111:112], v[155:156], v[111:112]
	s_waitcnt vmcnt(56)
	v_fma_f64 v[107:108], v[1:2], v[101:102], -v[107:108]
	v_fma_f64 v[101:102], v[3:4], v[101:102], v[163:164]
	v_add_f64 v[103:104], v[157:158], v[103:104]
	v_add_f64 v[99:100], v[99:100], v[109:110]
	s_clause 0x2
	buffer_load_dword v162, off, s[0:3], 0 offset:444
	buffer_load_dword v110, off, s[0:3], 0 offset:420
	buffer_load_dword v109, off, s[0:3], 0 offset:416
	s_waitcnt vmcnt(58) lgkmcnt(0)
	v_mul_f64 v[157:158], v[95:96], v[117:118]
	v_mul_f64 v[117:118], v[97:98], v[117:118]
	s_waitcnt vmcnt(56)
	v_fma_f64 v[111:112], v[153:154], v[119:120], -v[111:112]
	ds_read_b128 v[1:4], v152 offset:928
	v_add_f64 v[103:104], v[103:104], v[107:108]
	v_fma_f64 v[107:108], v[155:156], v[119:120], v[182:183]
	v_add_f64 v[119:120], v[99:100], v[101:102]
	s_clause 0x4
	buffer_load_dword v154, off, s[0:3], 0 offset:460
	buffer_load_dword v155, off, s[0:3], 0 offset:472
	;; [unrolled: 1-line block ×5, first 2 shown]
	ds_read_b128 v[99:102], v152 offset:944
	s_waitcnt vmcnt(57) lgkmcnt(1)
	v_mul_f64 v[182:183], v[1:2], v[121:122]
	v_mul_f64 v[121:122], v[3:4], v[121:122]
	s_waitcnt vmcnt(56)
	v_fma_f64 v[117:118], v[95:96], v[105:106], -v[117:118]
	v_fma_f64 v[105:106], v[97:98], v[105:106], v[157:158]
	v_add_f64 v[103:104], v[103:104], v[111:112]
	s_clause 0x2
	buffer_load_dword v156, off, s[0:3], 0 offset:476
	buffer_load_dword v112, off, s[0:3], 0 offset:452
	;; [unrolled: 1-line block ×3, first 2 shown]
	v_add_f64 v[107:108], v[119:120], v[107:108]
	s_waitcnt vmcnt(58) lgkmcnt(0)
	v_mul_f64 v[119:120], v[99:100], v[125:126]
	v_mul_f64 v[125:126], v[101:102], v[125:126]
	ds_read_b128 v[95:98], v152 offset:960
	s_waitcnt vmcnt(56)
	v_fma_f64 v[121:122], v[1:2], v[127:128], -v[121:122]
	v_add_f64 v[103:104], v[103:104], v[117:118]
	v_fma_f64 v[117:118], v[3:4], v[127:128], v[182:183]
	v_add_f64 v[105:106], v[107:108], v[105:106]
	s_clause 0x4
	buffer_load_dword v108, off, s[0:3], 0 offset:492
	buffer_load_dword v127, off, s[0:3], 0 offset:504
	buffer_load_dword v157, off, s[0:3], 0 offset:496
	buffer_load_dword v107, off, s[0:3], 0 offset:488
	buffer_load_dword v164, off, s[0:3], 0 offset:468
	s_waitcnt vmcnt(57) lgkmcnt(0)
	v_mul_f64 v[182:183], v[95:96], v[129:130]
	v_mul_f64 v[129:130], v[97:98], v[129:130]
	s_waitcnt vmcnt(56)
	v_fma_f64 v[125:126], v[99:100], v[113:114], -v[125:126]
	ds_read_b128 v[1:4], v152 offset:976
	v_fma_f64 v[113:114], v[101:102], v[113:114], v[119:120]
	v_add_f64 v[103:104], v[103:104], v[121:122]
	v_add_f64 v[105:106], v[105:106], v[117:118]
	s_clause 0x2
	buffer_load_dword v128, off, s[0:3], 0 offset:508
	buffer_load_dword v118, off, s[0:3], 0 offset:484
	buffer_load_dword v117, off, s[0:3], 0 offset:480
	ds_read_b128 v[99:102], v152 offset:992
	s_waitcnt vmcnt(58) lgkmcnt(1)
	v_mul_f64 v[121:122], v[3:4], v[133:134]
	s_waitcnt vmcnt(56)
	v_fma_f64 v[129:130], v[95:96], v[135:136], -v[129:130]
	v_mul_f64 v[119:120], v[1:2], v[133:134]
	v_add_f64 v[103:104], v[103:104], v[125:126]
	v_fma_f64 v[125:126], v[97:98], v[135:136], v[182:183]
	v_add_f64 v[105:106], v[105:106], v[113:114]
	s_clause 0x4
	buffer_load_dword v114, off, s[0:3], 0 offset:524
	buffer_load_dword v133, off, s[0:3], 0 offset:536
	;; [unrolled: 1-line block ×5, first 2 shown]
	s_waitcnt vmcnt(57) lgkmcnt(0)
	v_mul_f64 v[182:183], v[99:100], v[137:138]
	v_mul_f64 v[136:137], v[101:102], v[137:138]
	s_waitcnt vmcnt(56)
	v_fma_f64 v[121:122], v[1:2], v[123:124], -v[121:122]
	ds_read_b128 v[95:98], v152 offset:1008
	v_fma_f64 v[119:120], v[3:4], v[123:124], v[119:120]
	s_clause 0x2
	buffer_load_dword v134, off, s[0:3], 0 offset:540
	buffer_load_dword v124, off, s[0:3], 0 offset:516
	;; [unrolled: 1-line block ×3, first 2 shown]
	ds_read_b128 v[1:4], v152 offset:1024
	v_add_f64 v[103:104], v[103:104], v[129:130]
	v_add_f64 v[105:106], v[105:106], v[125:126]
	s_waitcnt vmcnt(58) lgkmcnt(1)
	v_mul_f64 v[129:130], v[97:98], v[141:142]
	s_waitcnt vmcnt(56)
	v_fma_f64 v[137:138], v[99:100], v[143:144], -v[136:137]
	v_mul_f64 v[125:126], v[95:96], v[141:142]
	v_add_f64 v[103:104], v[103:104], v[121:122]
	v_fma_f64 v[121:122], v[101:102], v[143:144], v[182:183]
	v_add_f64 v[105:106], v[105:106], v[119:120]
	s_clause 0x4
	buffer_load_dword v120, off, s[0:3], 0 offset:556
	buffer_load_dword v141, off, s[0:3], 0 offset:568
	;; [unrolled: 1-line block ×5, first 2 shown]
	s_waitcnt vmcnt(57) lgkmcnt(0)
	v_mul_f64 v[182:183], v[1:2], v[145:146]
	v_mul_f64 v[144:145], v[3:4], v[145:146]
	s_waitcnt vmcnt(56)
	v_fma_f64 v[129:130], v[95:96], v[131:132], -v[129:130]
	ds_read_b128 v[99:102], v152 offset:1040
	v_fma_f64 v[125:126], v[97:98], v[131:132], v[125:126]
	v_add_f64 v[103:104], v[103:104], v[137:138]
	v_add_f64 v[105:106], v[105:106], v[121:122]
	s_clause 0x2
	buffer_load_dword v142, off, s[0:3], 0 offset:572
	buffer_load_dword v122, off, s[0:3], 0 offset:548
	;; [unrolled: 1-line block ×3, first 2 shown]
	ds_read_b128 v[95:98], v152 offset:1056
	s_waitcnt vmcnt(58) lgkmcnt(1)
	v_mul_f64 v[137:138], v[101:102], v[147:148]
	s_waitcnt vmcnt(56)
	v_fma_f64 v[145:146], v[1:2], v[149:150], -v[144:145]
	v_mul_f64 v[131:132], v[99:100], v[147:148]
	v_add_f64 v[103:104], v[103:104], v[129:130]
	v_fma_f64 v[129:130], v[3:4], v[149:150], v[182:183]
	v_add_f64 v[105:106], v[105:106], v[125:126]
	s_clause 0x4
	buffer_load_dword v126, off, s[0:3], 0 offset:588
	buffer_load_dword v147, off, s[0:3], 0 offset:600
	;; [unrolled: 1-line block ×5, first 2 shown]
	s_waitcnt vmcnt(57) lgkmcnt(0)
	v_mul_f64 v[182:183], v[95:96], v[167:168]
	v_mul_f64 v[167:168], v[97:98], v[167:168]
	s_waitcnt vmcnt(56)
	v_fma_f64 v[137:138], v[99:100], v[139:140], -v[137:138]
	ds_read_b128 v[1:4], v152 offset:1072
	v_fma_f64 v[131:132], v[101:102], v[139:140], v[131:132]
	v_add_f64 v[103:104], v[103:104], v[145:146]
	v_add_f64 v[105:106], v[105:106], v[129:130]
	s_clause 0x2
	buffer_load_dword v148, off, s[0:3], 0 offset:604
	buffer_load_dword v130, off, s[0:3], 0 offset:580
	;; [unrolled: 1-line block ×3, first 2 shown]
	ds_read_b128 v[99:102], v152 offset:1088
	s_waitcnt vmcnt(58) lgkmcnt(1)
	v_mul_f64 v[145:146], v[3:4], v[169:170]
	s_waitcnt vmcnt(56)
	v_fma_f64 v[167:168], v[95:96], v[174:175], -v[167:168]
	v_mul_f64 v[139:140], v[1:2], v[169:170]
	v_add_f64 v[103:104], v[103:104], v[137:138]
	v_fma_f64 v[137:138], v[97:98], v[174:175], v[182:183]
	v_add_f64 v[105:106], v[105:106], v[131:132]
	s_clause 0x4
	buffer_load_dword v132, off, s[0:3], 0 offset:620
	buffer_load_dword v169, off, s[0:3], 0 offset:632
	;; [unrolled: 1-line block ×5, first 2 shown]
	ds_read_b128 v[95:98], v152 offset:1104
	s_waitcnt vmcnt(57) lgkmcnt(1)
	v_mul_f64 v[174:175], v[99:100], v[165:166]
	v_mul_f64 v[165:166], v[101:102], v[165:166]
	s_waitcnt vmcnt(56)
	v_fma_f64 v[145:146], v[1:2], v[171:172], -v[145:146]
	v_fma_f64 v[139:140], v[3:4], v[171:172], v[139:140]
	v_add_f64 v[103:104], v[103:104], v[167:168]
	v_add_f64 v[105:106], v[105:106], v[137:138]
	s_clause 0x2
	buffer_load_dword v170, off, s[0:3], 0 offset:636
	buffer_load_dword v138, off, s[0:3], 0 offset:612
	;; [unrolled: 1-line block ×3, first 2 shown]
	ds_read_b128 v[1:4], v152 offset:1120
	s_waitcnt vmcnt(58) lgkmcnt(1)
	v_mul_f64 v[171:172], v[97:98], v[178:179]
	v_mul_f64 v[167:168], v[95:96], v[178:179]
	s_waitcnt vmcnt(56)
	v_fma_f64 v[165:166], v[99:100], v[159:160], -v[165:166]
	v_add_f64 v[103:104], v[103:104], v[145:146]
	v_fma_f64 v[145:146], v[101:102], v[159:160], v[174:175]
	v_add_f64 v[105:106], v[105:106], v[139:140]
	s_clause 0x4
	buffer_load_dword v140, off, s[0:3], 0 offset:652
	buffer_load_dword v159, off, s[0:3], 0 offset:664
	;; [unrolled: 1-line block ×5, first 2 shown]
	ds_read_b128 v[99:102], v152 offset:1136
	s_waitcnt vmcnt(57) lgkmcnt(1)
	v_mul_f64 v[182:183], v[1:2], v[115:116]
	v_mul_f64 v[115:116], v[3:4], v[115:116]
	s_waitcnt vmcnt(56)
	v_fma_f64 v[171:172], v[95:96], v[180:181], -v[171:172]
	v_add_f64 v[103:104], v[103:104], v[165:166]
	v_fma_f64 v[165:166], v[97:98], v[180:181], v[167:168]
	v_add_f64 v[105:106], v[105:106], v[145:146]
	s_clause 0x2
	buffer_load_dword v160, off, s[0:3], 0 offset:668
	buffer_load_dword v146, off, s[0:3], 0 offset:644
	;; [unrolled: 1-line block ×3, first 2 shown]
	ds_read_b128 v[95:98], v152 offset:1152
	s_waitcnt vmcnt(58) lgkmcnt(1)
	v_mul_f64 v[167:168], v[99:100], v[161:162]
	v_mul_f64 v[161:162], v[101:102], v[161:162]
	s_waitcnt vmcnt(56)
	v_fma_f64 v[115:116], v[1:2], v[109:110], -v[115:116]
	v_fma_f64 v[109:110], v[3:4], v[109:110], v[182:183]
	v_add_f64 v[103:104], v[103:104], v[171:172]
	v_add_f64 v[105:106], v[105:106], v[165:166]
	s_clause 0x4
	buffer_load_dword v166, off, s[0:3], 0 offset:684
	buffer_load_dword v171, off, s[0:3], 0 offset:696
	;; [unrolled: 1-line block ×5, first 2 shown]
	ds_read_b128 v[1:4], v152 offset:1168
	s_waitcnt vmcnt(57) lgkmcnt(1)
	v_mul_f64 v[180:181], v[95:96], v[153:154]
	v_mul_f64 v[153:154], v[97:98], v[153:154]
	s_waitcnt vmcnt(56)
	v_fma_f64 v[161:162], v[99:100], v[176:177], -v[161:162]
	v_add_f64 v[103:104], v[103:104], v[115:116]
	v_fma_f64 v[115:116], v[101:102], v[176:177], v[167:168]
	v_add_f64 v[105:106], v[105:106], v[109:110]
	s_clause 0x2
	buffer_load_dword v172, off, s[0:3], 0 offset:700
	buffer_load_dword v110, off, s[0:3], 0 offset:676
	;; [unrolled: 1-line block ×3, first 2 shown]
	ds_read_b128 v[99:102], v152 offset:1184
	s_waitcnt vmcnt(58) lgkmcnt(1)
	v_mul_f64 v[167:168], v[1:2], v[155:156]
	v_mul_f64 v[155:156], v[3:4], v[155:156]
	s_waitcnt vmcnt(56)
	v_fma_f64 v[153:154], v[95:96], v[111:112], -v[153:154]
	v_fma_f64 v[111:112], v[97:98], v[111:112], v[180:181]
	v_add_f64 v[103:104], v[103:104], v[161:162]
	v_add_f64 v[105:106], v[105:106], v[115:116]
	s_clause 0x4
	buffer_load_dword v116, off, s[0:3], 0 offset:716
	buffer_load_dword v161, off, s[0:3], 0 offset:728
	;; [unrolled: 1-line block ×5, first 2 shown]
	ds_read_b128 v[95:98], v152 offset:1200
	s_waitcnt vmcnt(57) lgkmcnt(1)
	v_mul_f64 v[181:182], v[99:100], v[107:108]
	v_mul_f64 v[107:108], v[101:102], v[107:108]
	s_waitcnt vmcnt(56)
	v_fma_f64 v[155:156], v[1:2], v[163:164], -v[155:156]
	v_add_f64 v[103:104], v[103:104], v[153:154]
	v_fma_f64 v[153:154], v[3:4], v[163:164], v[167:168]
	v_add_f64 v[105:106], v[105:106], v[111:112]
	s_clause 0x2
	buffer_load_dword v162, off, s[0:3], 0 offset:732
	buffer_load_dword v112, off, s[0:3], 0 offset:708
	buffer_load_dword v111, off, s[0:3], 0 offset:704
	ds_read_b128 v[1:4], v152 offset:1216
	s_waitcnt vmcnt(58) lgkmcnt(1)
	v_mul_f64 v[163:164], v[95:96], v[127:128]
	v_mul_f64 v[127:128], v[97:98], v[127:128]
	s_waitcnt vmcnt(56)
	v_fma_f64 v[107:108], v[99:100], v[117:118], -v[107:108]
	v_fma_f64 v[117:118], v[101:102], v[117:118], v[181:182]
	buffer_load_dword v181, off, s[0:3], 0 offset:724
	ds_read_b128 v[99:102], v152 offset:1232
	v_add_f64 v[103:104], v[103:104], v[155:156]
	v_add_f64 v[105:106], v[105:106], v[153:154]
	s_waitcnt vmcnt(53) lgkmcnt(1)
	v_mul_f64 v[153:154], v[1:2], v[113:114]
	v_mul_f64 v[113:114], v[3:4], v[113:114]
	s_waitcnt vmcnt(52)
	v_fma_f64 v[127:128], v[95:96], v[157:158], -v[127:128]
	v_add_f64 v[103:104], v[103:104], v[107:108]
	v_fma_f64 v[107:108], v[97:98], v[157:158], v[163:164]
	v_add_f64 v[105:106], v[105:106], v[117:118]
	s_waitcnt vmcnt(51) lgkmcnt(0)
	v_mul_f64 v[117:118], v[99:100], v[133:134]
	v_mul_f64 v[133:134], v[101:102], v[133:134]
	ds_read_b128 v[95:98], v152 offset:1248
	s_waitcnt vmcnt(49)
	v_fma_f64 v[113:114], v[1:2], v[123:124], -v[113:114]
	v_fma_f64 v[123:124], v[3:4], v[123:124], v[153:154]
	v_add_f64 v[103:104], v[103:104], v[127:128]
	v_add_f64 v[105:106], v[105:106], v[107:108]
	s_clause 0x3
	buffer_load_dword v107, off, s[0:3], 0 offset:96
	buffer_load_dword v108, off, s[0:3], 0 offset:100
	;; [unrolled: 1-line block ×4, first 2 shown]
	ds_read_b128 v[1:4], v152 offset:1264
	s_waitcnt vmcnt(49) lgkmcnt(1)
	v_mul_f64 v[153:154], v[95:96], v[119:120]
	v_mul_f64 v[119:120], v[97:98], v[119:120]
	s_waitcnt vmcnt(48)
	v_fma_f64 v[133:134], v[99:100], v[135:136], -v[133:134]
	v_add_f64 v[103:104], v[103:104], v[113:114]
	v_fma_f64 v[113:114], v[101:102], v[135:136], v[117:118]
	v_add_f64 v[105:106], v[105:106], v[123:124]
	ds_read_b128 v[99:102], v152 offset:1280
	s_waitcnt vmcnt(47) lgkmcnt(1)
	v_mul_f64 v[123:124], v[3:4], v[141:142]
	v_mul_f64 v[117:118], v[1:2], v[141:142]
	s_waitcnt vmcnt(45)
	v_fma_f64 v[119:120], v[95:96], v[121:122], -v[119:120]
	v_fma_f64 v[121:122], v[97:98], v[121:122], v[153:154]
	ds_read_b128 v[95:98], v152 offset:1296
	v_add_f64 v[103:104], v[103:104], v[133:134]
	v_add_f64 v[105:106], v[105:106], v[113:114]
	s_waitcnt vmcnt(41) lgkmcnt(1)
	v_mul_f64 v[113:114], v[99:100], v[125:126]
	v_mul_f64 v[125:126], v[101:102], v[125:126]
	s_waitcnt vmcnt(40)
	v_fma_f64 v[123:124], v[1:2], v[143:144], -v[123:124]
	v_fma_f64 v[117:118], v[3:4], v[143:144], v[117:118]
	ds_read_b128 v[1:4], v152 offset:1312
	v_add_f64 v[103:104], v[103:104], v[119:120]
	v_add_f64 v[105:106], v[105:106], v[121:122]
	;; [unrolled: 9-line block ×3, first 2 shown]
	s_waitcnt vmcnt(33) lgkmcnt(1)
	v_mul_f64 v[123:124], v[3:4], v[131:132]
	s_waitcnt vmcnt(32)
	v_fma_f64 v[121:122], v[95:96], v[149:150], -v[121:122]
	v_mul_f64 v[117:118], v[1:2], v[131:132]
	v_fma_f64 v[119:120], v[97:98], v[149:150], v[119:120]
	ds_read_b128 v[95:98], v152 offset:1344
	v_add_f64 v[103:104], v[103:104], v[125:126]
	v_add_f64 v[105:106], v[105:106], v[113:114]
	s_waitcnt vmcnt(31) lgkmcnt(1)
	v_mul_f64 v[125:126], v[101:102], v[169:170]
	v_mul_f64 v[113:114], v[99:100], v[169:170]
	s_waitcnt vmcnt(29)
	v_fma_f64 v[123:124], v[1:2], v[137:138], -v[123:124]
	v_fma_f64 v[117:118], v[3:4], v[137:138], v[117:118]
	ds_read_b128 v[1:4], v152 offset:1360
	v_add_f64 v[103:104], v[103:104], v[121:122]
	v_add_f64 v[105:106], v[105:106], v[119:120]
	s_waitcnt vmcnt(25) lgkmcnt(1)
	v_mul_f64 v[121:122], v[97:98], v[139:140]
	s_waitcnt vmcnt(24)
	v_fma_f64 v[125:126], v[99:100], v[173:174], -v[125:126]
	v_mul_f64 v[119:120], v[95:96], v[139:140]
	v_fma_f64 v[113:114], v[101:102], v[173:174], v[113:114]
	ds_read_b128 v[99:102], v152 offset:1376
	v_add_f64 v[103:104], v[103:104], v[123:124]
	v_add_f64 v[105:106], v[105:106], v[117:118]
	s_waitcnt vmcnt(23) lgkmcnt(1)
	v_mul_f64 v[123:124], v[3:4], v[159:160]
	v_mul_f64 v[117:118], v[1:2], v[159:160]
	s_waitcnt vmcnt(21)
	v_fma_f64 v[121:122], v[95:96], v[145:146], -v[121:122]
	v_fma_f64 v[119:120], v[97:98], v[145:146], v[119:120]
	ds_read_b128 v[95:98], v152 offset:1392
	v_add_f64 v[103:104], v[103:104], v[125:126]
	v_add_f64 v[105:106], v[105:106], v[113:114]
	;; [unrolled: 18-line block ×3, first 2 shown]
	s_waitcnt vmcnt(9) lgkmcnt(1)
	v_mul_f64 v[113:114], v[1:2], v[115:116]
	v_mul_f64 v[115:116], v[3:4], v[115:116]
	s_waitcnt vmcnt(8)
	v_fma_f64 v[95:96], v[95:96], v[175:176], -v[121:122]
	v_fma_f64 v[97:98], v[97:98], v[175:176], v[119:120]
	v_add_f64 v[103:104], v[103:104], v[125:126]
	v_add_f64 v[105:106], v[105:106], v[109:110]
	s_waitcnt vmcnt(7) lgkmcnt(0)
	v_mul_f64 v[117:118], v[101:102], v[161:162]
	v_mul_f64 v[109:110], v[99:100], v[161:162]
	s_waitcnt vmcnt(5)
	v_fma_f64 v[1:2], v[1:2], v[111:112], -v[115:116]
	v_fma_f64 v[3:4], v[3:4], v[111:112], v[113:114]
	v_add_f64 v[95:96], v[103:104], v[95:96]
	v_add_f64 v[97:98], v[105:106], v[97:98]
	s_waitcnt vmcnt(4)
	v_fma_f64 v[99:100], v[99:100], v[180:181], -v[117:118]
	v_add_f64 v[1:2], v[95:96], v[1:2]
	v_fma_f64 v[95:96], v[101:102], v[180:181], v[109:110]
	v_add_f64 v[3:4], v[97:98], v[3:4]
	v_add_f64 v[1:2], v[1:2], v[99:100]
	;; [unrolled: 1-line block ×3, first 2 shown]
	s_waitcnt vmcnt(2)
	v_add_f64 v[1:2], v[107:108], -v[1:2]
	s_waitcnt vmcnt(0)
	v_add_f64 v[3:4], v[127:128], -v[3:4]
	buffer_store_dword v2, off, s[0:3], 0 offset:100
	buffer_store_dword v1, off, s[0:3], 0 offset:96
	;; [unrolled: 1-line block ×4, first 2 shown]
	v_cmpx_lt_u32_e32 4, v0
	s_cbranch_execz .LBB108_275
; %bb.274:
	v_mov_b32_e32 v4, s53
	s_clause 0x3
	buffer_load_dword v1, v4, s[0:3], 0 offen
	buffer_load_dword v2, v4, s[0:3], 0 offen offset:4
	buffer_load_dword v3, v4, s[0:3], 0 offen offset:8
	;; [unrolled: 1-line block ×3, first 2 shown]
	buffer_store_dword v152, off, s[0:3], 0 offset:80
	buffer_store_dword v152, off, s[0:3], 0 offset:84
	;; [unrolled: 1-line block ×4, first 2 shown]
	s_waitcnt vmcnt(0)
	ds_write_b128 v151, v[1:4]
.LBB108_275:
	s_or_b32 exec_lo, exec_lo, s4
	s_waitcnt lgkmcnt(0)
	s_waitcnt_vscnt null, 0x0
	s_barrier
	buffer_gl0_inv
	s_clause 0x37
	buffer_load_dword v99, off, s[0:3], 0 offset:104
	buffer_load_dword v100, off, s[0:3], 0 offset:108
	;; [unrolled: 1-line block ×56, first 2 shown]
	ds_read_b128 v[153:156], v152 offset:800
	s_clause 0x2
	buffer_load_dword v148, off, s[0:3], 0 offset:332
	buffer_load_dword v150, off, s[0:3], 0 offset:308
	;; [unrolled: 1-line block ×3, first 2 shown]
	ds_read_b128 v[157:160], v152 offset:816
	s_clause 0x4
	buffer_load_dword v168, off, s[0:3], 0 offset:348
	buffer_load_dword v169, off, s[0:3], 0 offset:360
	;; [unrolled: 1-line block ×5, first 2 shown]
	ds_read_b128 v[161:164], v152 offset:832
	s_clause 0x2
	buffer_load_dword v170, off, s[0:3], 0 offset:364
	buffer_load_dword v175, off, s[0:3], 0 offset:340
	;; [unrolled: 1-line block ×3, first 2 shown]
	s_mov_b32 s4, exec_lo
	s_waitcnt vmcnt(62) lgkmcnt(2)
	v_mul_f64 v[165:166], v[155:156], v[99:100]
	v_mul_f64 v[99:100], v[153:154], v[99:100]
	s_waitcnt lgkmcnt(1)
	v_mul_f64 v[172:173], v[159:160], v[95:96]
	s_waitcnt vmcnt(59) lgkmcnt(0)
	v_mul_f64 v[176:177], v[163:164], v[3:4]
	v_fma_f64 v[153:154], v[153:154], v[97:98], -v[165:166]
	v_mul_f64 v[165:166], v[157:158], v[95:96]
	v_fma_f64 v[99:100], v[155:156], v[97:98], v[99:100]
	s_waitcnt vmcnt(57)
	v_fma_f64 v[157:158], v[157:158], v[1:2], -v[172:173]
	ds_read_b128 v[95:98], v152 offset:848
	v_mul_f64 v[155:156], v[161:162], v[3:4]
	s_waitcnt vmcnt(51)
	v_fma_f64 v[161:162], v[161:162], v[115:116], -v[176:177]
	v_add_f64 v[153:154], v[153:154], 0
	v_fma_f64 v[159:160], v[159:160], v[1:2], v[165:166]
	v_add_f64 v[99:100], v[99:100], 0
	s_clause 0x4
	buffer_load_dword v166, off, s[0:3], 0 offset:380
	buffer_load_dword v178, off, s[0:3], 0 offset:392
	;; [unrolled: 1-line block ×5, first 2 shown]
	s_waitcnt lgkmcnt(0)
	v_mul_f64 v[181:182], v[95:96], v[103:104]
	v_mul_f64 v[103:104], v[97:98], v[103:104]
	ds_read_b128 v[1:4], v152 offset:864
	v_fma_f64 v[115:116], v[163:164], v[115:116], v[155:156]
	v_add_f64 v[157:158], v[153:154], v[157:158]
	v_add_f64 v[99:100], v[99:100], v[159:160]
	s_clause 0x2
	buffer_load_dword v179, off, s[0:3], 0 offset:396
	buffer_load_dword v160, off, s[0:3], 0 offset:372
	;; [unrolled: 1-line block ×3, first 2 shown]
	s_waitcnt vmcnt(58) lgkmcnt(0)
	v_mul_f64 v[163:164], v[1:2], v[107:108]
	v_mul_f64 v[107:108], v[3:4], v[107:108]
	s_waitcnt vmcnt(56)
	v_fma_f64 v[103:104], v[95:96], v[109:110], -v[103:104]
	ds_read_b128 v[153:156], v152 offset:880
	v_fma_f64 v[109:110], v[97:98], v[109:110], v[181:182]
	v_add_f64 v[157:158], v[157:158], v[161:162]
	v_add_f64 v[99:100], v[99:100], v[115:116]
	s_clause 0x4
	buffer_load_dword v116, off, s[0:3], 0 offset:412
	buffer_load_dword v161, off, s[0:3], 0 offset:424
	;; [unrolled: 1-line block ×5, first 2 shown]
	ds_read_b128 v[95:98], v152 offset:896
	s_waitcnt vmcnt(57) lgkmcnt(1)
	v_mul_f64 v[182:183], v[153:154], v[111:112]
	v_mul_f64 v[111:112], v[155:156], v[111:112]
	s_waitcnt vmcnt(56)
	v_fma_f64 v[107:108], v[1:2], v[101:102], -v[107:108]
	v_fma_f64 v[101:102], v[3:4], v[101:102], v[163:164]
	v_add_f64 v[103:104], v[157:158], v[103:104]
	v_add_f64 v[99:100], v[99:100], v[109:110]
	s_clause 0x2
	buffer_load_dword v162, off, s[0:3], 0 offset:428
	buffer_load_dword v110, off, s[0:3], 0 offset:404
	;; [unrolled: 1-line block ×3, first 2 shown]
	s_waitcnt vmcnt(58) lgkmcnt(0)
	v_mul_f64 v[157:158], v[95:96], v[117:118]
	v_mul_f64 v[117:118], v[97:98], v[117:118]
	s_waitcnt vmcnt(56)
	v_fma_f64 v[111:112], v[153:154], v[119:120], -v[111:112]
	ds_read_b128 v[1:4], v152 offset:912
	v_add_f64 v[103:104], v[103:104], v[107:108]
	v_fma_f64 v[107:108], v[155:156], v[119:120], v[182:183]
	v_add_f64 v[119:120], v[99:100], v[101:102]
	s_clause 0x4
	buffer_load_dword v154, off, s[0:3], 0 offset:444
	buffer_load_dword v155, off, s[0:3], 0 offset:456
	;; [unrolled: 1-line block ×5, first 2 shown]
	ds_read_b128 v[99:102], v152 offset:928
	s_waitcnt vmcnt(57) lgkmcnt(1)
	v_mul_f64 v[182:183], v[1:2], v[121:122]
	v_mul_f64 v[121:122], v[3:4], v[121:122]
	s_waitcnt vmcnt(56)
	v_fma_f64 v[117:118], v[95:96], v[105:106], -v[117:118]
	v_fma_f64 v[105:106], v[97:98], v[105:106], v[157:158]
	v_add_f64 v[103:104], v[103:104], v[111:112]
	s_clause 0x2
	buffer_load_dword v156, off, s[0:3], 0 offset:460
	buffer_load_dword v112, off, s[0:3], 0 offset:436
	buffer_load_dword v111, off, s[0:3], 0 offset:432
	v_add_f64 v[107:108], v[119:120], v[107:108]
	s_waitcnt vmcnt(58) lgkmcnt(0)
	v_mul_f64 v[119:120], v[99:100], v[125:126]
	v_mul_f64 v[125:126], v[101:102], v[125:126]
	ds_read_b128 v[95:98], v152 offset:944
	s_waitcnt vmcnt(56)
	v_fma_f64 v[121:122], v[1:2], v[127:128], -v[121:122]
	v_add_f64 v[103:104], v[103:104], v[117:118]
	v_fma_f64 v[117:118], v[3:4], v[127:128], v[182:183]
	v_add_f64 v[105:106], v[107:108], v[105:106]
	s_clause 0x4
	buffer_load_dword v108, off, s[0:3], 0 offset:476
	buffer_load_dword v127, off, s[0:3], 0 offset:488
	;; [unrolled: 1-line block ×5, first 2 shown]
	s_waitcnt vmcnt(57) lgkmcnt(0)
	v_mul_f64 v[182:183], v[95:96], v[129:130]
	v_mul_f64 v[129:130], v[97:98], v[129:130]
	s_waitcnt vmcnt(56)
	v_fma_f64 v[125:126], v[99:100], v[113:114], -v[125:126]
	ds_read_b128 v[1:4], v152 offset:960
	v_fma_f64 v[113:114], v[101:102], v[113:114], v[119:120]
	v_add_f64 v[103:104], v[103:104], v[121:122]
	v_add_f64 v[105:106], v[105:106], v[117:118]
	s_clause 0x2
	buffer_load_dword v128, off, s[0:3], 0 offset:492
	buffer_load_dword v118, off, s[0:3], 0 offset:468
	buffer_load_dword v117, off, s[0:3], 0 offset:464
	ds_read_b128 v[99:102], v152 offset:976
	s_waitcnt vmcnt(58) lgkmcnt(1)
	v_mul_f64 v[121:122], v[3:4], v[133:134]
	s_waitcnt vmcnt(56)
	v_fma_f64 v[129:130], v[95:96], v[135:136], -v[129:130]
	v_mul_f64 v[119:120], v[1:2], v[133:134]
	v_add_f64 v[103:104], v[103:104], v[125:126]
	v_fma_f64 v[125:126], v[97:98], v[135:136], v[182:183]
	v_add_f64 v[105:106], v[105:106], v[113:114]
	s_clause 0x4
	buffer_load_dword v114, off, s[0:3], 0 offset:508
	buffer_load_dword v133, off, s[0:3], 0 offset:520
	;; [unrolled: 1-line block ×5, first 2 shown]
	s_waitcnt vmcnt(57) lgkmcnt(0)
	v_mul_f64 v[182:183], v[99:100], v[137:138]
	v_mul_f64 v[136:137], v[101:102], v[137:138]
	s_waitcnt vmcnt(56)
	v_fma_f64 v[121:122], v[1:2], v[123:124], -v[121:122]
	ds_read_b128 v[95:98], v152 offset:992
	v_fma_f64 v[119:120], v[3:4], v[123:124], v[119:120]
	s_clause 0x2
	buffer_load_dword v134, off, s[0:3], 0 offset:524
	buffer_load_dword v124, off, s[0:3], 0 offset:500
	;; [unrolled: 1-line block ×3, first 2 shown]
	ds_read_b128 v[1:4], v152 offset:1008
	v_add_f64 v[103:104], v[103:104], v[129:130]
	v_add_f64 v[105:106], v[105:106], v[125:126]
	s_waitcnt vmcnt(58) lgkmcnt(1)
	v_mul_f64 v[129:130], v[97:98], v[141:142]
	s_waitcnt vmcnt(56)
	v_fma_f64 v[137:138], v[99:100], v[143:144], -v[136:137]
	v_mul_f64 v[125:126], v[95:96], v[141:142]
	v_add_f64 v[103:104], v[103:104], v[121:122]
	v_fma_f64 v[121:122], v[101:102], v[143:144], v[182:183]
	v_add_f64 v[105:106], v[105:106], v[119:120]
	s_clause 0x4
	buffer_load_dword v120, off, s[0:3], 0 offset:540
	buffer_load_dword v141, off, s[0:3], 0 offset:552
	;; [unrolled: 1-line block ×5, first 2 shown]
	s_waitcnt vmcnt(57) lgkmcnt(0)
	v_mul_f64 v[182:183], v[1:2], v[145:146]
	v_mul_f64 v[144:145], v[3:4], v[145:146]
	s_waitcnt vmcnt(56)
	v_fma_f64 v[129:130], v[95:96], v[131:132], -v[129:130]
	ds_read_b128 v[99:102], v152 offset:1024
	v_fma_f64 v[125:126], v[97:98], v[131:132], v[125:126]
	v_add_f64 v[103:104], v[103:104], v[137:138]
	v_add_f64 v[105:106], v[105:106], v[121:122]
	s_clause 0x2
	buffer_load_dword v142, off, s[0:3], 0 offset:556
	buffer_load_dword v122, off, s[0:3], 0 offset:532
	;; [unrolled: 1-line block ×3, first 2 shown]
	ds_read_b128 v[95:98], v152 offset:1040
	s_waitcnt vmcnt(58) lgkmcnt(1)
	v_mul_f64 v[137:138], v[101:102], v[147:148]
	s_waitcnt vmcnt(56)
	v_fma_f64 v[145:146], v[1:2], v[149:150], -v[144:145]
	v_mul_f64 v[131:132], v[99:100], v[147:148]
	v_add_f64 v[103:104], v[103:104], v[129:130]
	v_fma_f64 v[129:130], v[3:4], v[149:150], v[182:183]
	v_add_f64 v[105:106], v[105:106], v[125:126]
	s_clause 0x4
	buffer_load_dword v126, off, s[0:3], 0 offset:572
	buffer_load_dword v147, off, s[0:3], 0 offset:584
	;; [unrolled: 1-line block ×5, first 2 shown]
	s_waitcnt vmcnt(57) lgkmcnt(0)
	v_mul_f64 v[182:183], v[95:96], v[167:168]
	v_mul_f64 v[167:168], v[97:98], v[167:168]
	s_waitcnt vmcnt(56)
	v_fma_f64 v[137:138], v[99:100], v[139:140], -v[137:138]
	ds_read_b128 v[1:4], v152 offset:1056
	v_fma_f64 v[131:132], v[101:102], v[139:140], v[131:132]
	v_add_f64 v[103:104], v[103:104], v[145:146]
	v_add_f64 v[105:106], v[105:106], v[129:130]
	s_clause 0x2
	buffer_load_dword v148, off, s[0:3], 0 offset:588
	buffer_load_dword v130, off, s[0:3], 0 offset:564
	;; [unrolled: 1-line block ×3, first 2 shown]
	ds_read_b128 v[99:102], v152 offset:1072
	s_waitcnt vmcnt(58) lgkmcnt(1)
	v_mul_f64 v[145:146], v[3:4], v[169:170]
	s_waitcnt vmcnt(56)
	v_fma_f64 v[167:168], v[95:96], v[174:175], -v[167:168]
	v_mul_f64 v[139:140], v[1:2], v[169:170]
	v_add_f64 v[103:104], v[103:104], v[137:138]
	v_fma_f64 v[137:138], v[97:98], v[174:175], v[182:183]
	v_add_f64 v[105:106], v[105:106], v[131:132]
	s_clause 0x4
	buffer_load_dword v132, off, s[0:3], 0 offset:604
	buffer_load_dword v169, off, s[0:3], 0 offset:616
	;; [unrolled: 1-line block ×5, first 2 shown]
	ds_read_b128 v[95:98], v152 offset:1088
	s_waitcnt vmcnt(57) lgkmcnt(1)
	v_mul_f64 v[174:175], v[99:100], v[165:166]
	v_mul_f64 v[165:166], v[101:102], v[165:166]
	s_waitcnt vmcnt(56)
	v_fma_f64 v[145:146], v[1:2], v[171:172], -v[145:146]
	v_fma_f64 v[139:140], v[3:4], v[171:172], v[139:140]
	v_add_f64 v[103:104], v[103:104], v[167:168]
	v_add_f64 v[105:106], v[105:106], v[137:138]
	s_clause 0x2
	buffer_load_dword v170, off, s[0:3], 0 offset:620
	buffer_load_dword v138, off, s[0:3], 0 offset:596
	;; [unrolled: 1-line block ×3, first 2 shown]
	ds_read_b128 v[1:4], v152 offset:1104
	s_waitcnt vmcnt(58) lgkmcnt(1)
	v_mul_f64 v[171:172], v[97:98], v[178:179]
	v_mul_f64 v[167:168], v[95:96], v[178:179]
	s_waitcnt vmcnt(56)
	v_fma_f64 v[165:166], v[99:100], v[159:160], -v[165:166]
	v_add_f64 v[103:104], v[103:104], v[145:146]
	v_fma_f64 v[145:146], v[101:102], v[159:160], v[174:175]
	v_add_f64 v[105:106], v[105:106], v[139:140]
	s_clause 0x4
	buffer_load_dword v140, off, s[0:3], 0 offset:636
	buffer_load_dword v159, off, s[0:3], 0 offset:648
	buffer_load_dword v178, off, s[0:3], 0 offset:640
	buffer_load_dword v139, off, s[0:3], 0 offset:632
	buffer_load_dword v174, off, s[0:3], 0 offset:612
	ds_read_b128 v[99:102], v152 offset:1120
	s_waitcnt vmcnt(57) lgkmcnt(1)
	v_mul_f64 v[182:183], v[1:2], v[115:116]
	v_mul_f64 v[115:116], v[3:4], v[115:116]
	s_waitcnt vmcnt(56)
	v_fma_f64 v[171:172], v[95:96], v[180:181], -v[171:172]
	v_add_f64 v[103:104], v[103:104], v[165:166]
	v_fma_f64 v[165:166], v[97:98], v[180:181], v[167:168]
	v_add_f64 v[105:106], v[105:106], v[145:146]
	s_clause 0x2
	buffer_load_dword v160, off, s[0:3], 0 offset:652
	buffer_load_dword v146, off, s[0:3], 0 offset:628
	buffer_load_dword v145, off, s[0:3], 0 offset:624
	ds_read_b128 v[95:98], v152 offset:1136
	s_waitcnt vmcnt(58) lgkmcnt(1)
	v_mul_f64 v[167:168], v[99:100], v[161:162]
	v_mul_f64 v[161:162], v[101:102], v[161:162]
	s_waitcnt vmcnt(56)
	v_fma_f64 v[115:116], v[1:2], v[109:110], -v[115:116]
	v_fma_f64 v[109:110], v[3:4], v[109:110], v[182:183]
	v_add_f64 v[103:104], v[103:104], v[171:172]
	v_add_f64 v[105:106], v[105:106], v[165:166]
	s_clause 0x4
	buffer_load_dword v166, off, s[0:3], 0 offset:668
	buffer_load_dword v171, off, s[0:3], 0 offset:680
	buffer_load_dword v175, off, s[0:3], 0 offset:672
	buffer_load_dword v165, off, s[0:3], 0 offset:664
	buffer_load_dword v179, off, s[0:3], 0 offset:644
	ds_read_b128 v[1:4], v152 offset:1152
	s_waitcnt vmcnt(57) lgkmcnt(1)
	v_mul_f64 v[180:181], v[95:96], v[153:154]
	v_mul_f64 v[153:154], v[97:98], v[153:154]
	s_waitcnt vmcnt(56)
	v_fma_f64 v[161:162], v[99:100], v[176:177], -v[161:162]
	v_add_f64 v[103:104], v[103:104], v[115:116]
	v_fma_f64 v[115:116], v[101:102], v[176:177], v[167:168]
	v_add_f64 v[105:106], v[105:106], v[109:110]
	s_clause 0x2
	buffer_load_dword v172, off, s[0:3], 0 offset:684
	buffer_load_dword v110, off, s[0:3], 0 offset:660
	buffer_load_dword v109, off, s[0:3], 0 offset:656
	ds_read_b128 v[99:102], v152 offset:1168
	s_waitcnt vmcnt(58) lgkmcnt(1)
	v_mul_f64 v[167:168], v[1:2], v[155:156]
	v_mul_f64 v[155:156], v[3:4], v[155:156]
	s_waitcnt vmcnt(56)
	v_fma_f64 v[153:154], v[95:96], v[111:112], -v[153:154]
	v_fma_f64 v[111:112], v[97:98], v[111:112], v[180:181]
	v_add_f64 v[103:104], v[103:104], v[161:162]
	;; [unrolled: 28-line block ×3, first 2 shown]
	v_add_f64 v[105:106], v[105:106], v[153:154]
	s_clause 0x2
	buffer_load_dword v154, off, s[0:3], 0 offset:732
	buffer_load_dword v153, off, s[0:3], 0 offset:728
	;; [unrolled: 1-line block ×3, first 2 shown]
	ds_read_b128 v[99:102], v152 offset:1216
	s_waitcnt vmcnt(55) lgkmcnt(1)
	v_mul_f64 v[155:156], v[1:2], v[113:114]
	v_mul_f64 v[113:114], v[3:4], v[113:114]
	s_waitcnt vmcnt(54)
	v_fma_f64 v[127:128], v[95:96], v[157:158], -v[127:128]
	v_add_f64 v[103:104], v[103:104], v[107:108]
	v_fma_f64 v[107:108], v[97:98], v[157:158], v[163:164]
	v_add_f64 v[105:106], v[105:106], v[117:118]
	s_clause 0x1
	buffer_load_dword v118, off, s[0:3], 0 offset:724
	buffer_load_dword v117, off, s[0:3], 0 offset:720
	s_waitcnt vmcnt(55) lgkmcnt(0)
	v_mul_f64 v[157:158], v[99:100], v[133:134]
	v_mul_f64 v[133:134], v[101:102], v[133:134]
	ds_read_b128 v[95:98], v152 offset:1232
	s_waitcnt vmcnt(53)
	v_fma_f64 v[113:114], v[1:2], v[123:124], -v[113:114]
	v_fma_f64 v[123:124], v[3:4], v[123:124], v[155:156]
	ds_read_b128 v[1:4], v152 offset:1248
	v_add_f64 v[103:104], v[103:104], v[127:128]
	v_add_f64 v[105:106], v[105:106], v[107:108]
	s_waitcnt vmcnt(49) lgkmcnt(1)
	v_mul_f64 v[107:108], v[95:96], v[119:120]
	v_mul_f64 v[119:120], v[97:98], v[119:120]
	s_waitcnt vmcnt(48)
	v_fma_f64 v[127:128], v[99:100], v[135:136], -v[133:134]
	v_add_f64 v[103:104], v[103:104], v[113:114]
	v_fma_f64 v[113:114], v[101:102], v[135:136], v[157:158]
	v_add_f64 v[105:106], v[105:106], v[123:124]
	s_clause 0x3
	buffer_load_dword v123, off, s[0:3], 0 offset:80
	buffer_load_dword v124, off, s[0:3], 0 offset:84
	;; [unrolled: 1-line block ×4, first 2 shown]
	ds_read_b128 v[99:102], v152 offset:1264
	s_waitcnt vmcnt(51) lgkmcnt(1)
	v_mul_f64 v[135:136], v[1:2], v[141:142]
	v_mul_f64 v[141:142], v[3:4], v[141:142]
	s_waitcnt vmcnt(49)
	v_fma_f64 v[119:120], v[95:96], v[121:122], -v[119:120]
	v_fma_f64 v[107:108], v[97:98], v[121:122], v[107:108]
	ds_read_b128 v[95:98], v152 offset:1280
	v_add_f64 v[103:104], v[103:104], v[127:128]
	v_add_f64 v[105:106], v[105:106], v[113:114]
	s_waitcnt vmcnt(45) lgkmcnt(1)
	v_mul_f64 v[113:114], v[99:100], v[125:126]
	v_mul_f64 v[121:122], v[101:102], v[125:126]
	s_waitcnt vmcnt(44)
	v_fma_f64 v[125:126], v[1:2], v[143:144], -v[141:142]
	v_add_f64 v[103:104], v[103:104], v[119:120]
	v_fma_f64 v[119:120], v[3:4], v[143:144], v[135:136]
	v_add_f64 v[105:106], v[105:106], v[107:108]
	ds_read_b128 v[1:4], v152 offset:1296
	s_waitcnt vmcnt(43) lgkmcnt(1)
	v_mul_f64 v[127:128], v[97:98], v[147:148]
	v_mul_f64 v[107:108], v[95:96], v[147:148]
	s_waitcnt vmcnt(41)
	v_fma_f64 v[121:122], v[99:100], v[129:130], -v[121:122]
	v_fma_f64 v[113:114], v[101:102], v[129:130], v[113:114]
	ds_read_b128 v[99:102], v152 offset:1312
	v_add_f64 v[103:104], v[103:104], v[125:126]
	v_add_f64 v[105:106], v[105:106], v[119:120]
	s_waitcnt vmcnt(37) lgkmcnt(1)
	v_mul_f64 v[125:126], v[3:4], v[131:132]
	s_waitcnt vmcnt(36)
	v_fma_f64 v[127:128], v[95:96], v[149:150], -v[127:128]
	v_mul_f64 v[119:120], v[1:2], v[131:132]
	v_fma_f64 v[107:108], v[97:98], v[149:150], v[107:108]
	ds_read_b128 v[95:98], v152 offset:1328
	v_add_f64 v[103:104], v[103:104], v[121:122]
	v_add_f64 v[105:106], v[105:106], v[113:114]
	s_waitcnt vmcnt(35) lgkmcnt(1)
	v_mul_f64 v[121:122], v[101:102], v[169:170]
	v_mul_f64 v[113:114], v[99:100], v[169:170]
	s_waitcnt vmcnt(33)
	v_fma_f64 v[125:126], v[1:2], v[137:138], -v[125:126]
	v_fma_f64 v[119:120], v[3:4], v[137:138], v[119:120]
	ds_read_b128 v[1:4], v152 offset:1344
	v_add_f64 v[103:104], v[103:104], v[127:128]
	v_add_f64 v[105:106], v[105:106], v[107:108]
	s_waitcnt vmcnt(29) lgkmcnt(1)
	v_mul_f64 v[127:128], v[97:98], v[139:140]
	s_waitcnt vmcnt(28)
	v_fma_f64 v[121:122], v[99:100], v[173:174], -v[121:122]
	v_mul_f64 v[107:108], v[95:96], v[139:140]
	v_fma_f64 v[113:114], v[101:102], v[173:174], v[113:114]
	ds_read_b128 v[99:102], v152 offset:1360
	v_add_f64 v[103:104], v[103:104], v[125:126]
	v_add_f64 v[105:106], v[105:106], v[119:120]
	;; [unrolled: 18-line block ×3, first 2 shown]
	s_waitcnt vmcnt(19) lgkmcnt(1)
	v_mul_f64 v[127:128], v[97:98], v[171:172]
	v_mul_f64 v[107:108], v[95:96], v[171:172]
	s_waitcnt vmcnt(17)
	v_fma_f64 v[121:122], v[99:100], v[109:110], -v[121:122]
	v_fma_f64 v[109:110], v[101:102], v[109:110], v[113:114]
	ds_read_b128 v[99:102], v152 offset:1408
	v_add_f64 v[103:104], v[103:104], v[125:126]
	v_add_f64 v[105:106], v[105:106], v[119:120]
	s_waitcnt vmcnt(13) lgkmcnt(1)
	v_mul_f64 v[113:114], v[1:2], v[115:116]
	v_mul_f64 v[115:116], v[3:4], v[115:116]
	s_waitcnt vmcnt(12)
	v_fma_f64 v[119:120], v[95:96], v[175:176], -v[127:128]
	v_fma_f64 v[107:108], v[97:98], v[175:176], v[107:108]
	ds_read_b128 v[95:98], v152 offset:1424
	v_add_f64 v[103:104], v[103:104], v[121:122]
	v_add_f64 v[105:106], v[105:106], v[109:110]
	s_waitcnt vmcnt(11) lgkmcnt(1)
	v_mul_f64 v[121:122], v[101:102], v[161:162]
	v_mul_f64 v[109:110], v[99:100], v[161:162]
	s_waitcnt vmcnt(9)
	v_fma_f64 v[1:2], v[1:2], v[111:112], -v[115:116]
	v_fma_f64 v[3:4], v[3:4], v[111:112], v[113:114]
	v_add_f64 v[103:104], v[103:104], v[119:120]
	v_add_f64 v[105:106], v[105:106], v[107:108]
	s_waitcnt vmcnt(7) lgkmcnt(0)
	v_mul_f64 v[111:112], v[97:98], v[153:154]
	s_waitcnt vmcnt(6)
	v_fma_f64 v[99:100], v[99:100], v[180:181], -v[121:122]
	v_mul_f64 v[107:108], v[95:96], v[153:154]
	v_fma_f64 v[101:102], v[101:102], v[180:181], v[109:110]
	v_add_f64 v[1:2], v[103:104], v[1:2]
	v_add_f64 v[3:4], v[105:106], v[3:4]
	s_waitcnt vmcnt(4)
	v_fma_f64 v[95:96], v[95:96], v[117:118], -v[111:112]
	v_fma_f64 v[97:98], v[97:98], v[117:118], v[107:108]
	v_add_f64 v[1:2], v[1:2], v[99:100]
	v_add_f64 v[3:4], v[3:4], v[101:102]
	;; [unrolled: 1-line block ×4, first 2 shown]
	s_waitcnt vmcnt(2)
	v_add_f64 v[1:2], v[123:124], -v[1:2]
	s_waitcnt vmcnt(0)
	v_add_f64 v[3:4], v[133:134], -v[3:4]
	buffer_store_dword v2, off, s[0:3], 0 offset:84
	buffer_store_dword v1, off, s[0:3], 0 offset:80
	;; [unrolled: 1-line block ×4, first 2 shown]
	v_cmpx_lt_u32_e32 3, v0
	s_cbranch_execz .LBB108_277
; %bb.276:
	v_mov_b32_e32 v4, s54
	v_mov_b32_e32 v95, 0
	s_clause 0x3
	buffer_load_dword v1, v4, s[0:3], 0 offen
	buffer_load_dword v2, v4, s[0:3], 0 offen offset:4
	buffer_load_dword v3, v4, s[0:3], 0 offen offset:8
	;; [unrolled: 1-line block ×3, first 2 shown]
	buffer_store_dword v95, off, s[0:3], 0 offset:64
	buffer_store_dword v95, off, s[0:3], 0 offset:68
	;; [unrolled: 1-line block ×4, first 2 shown]
	s_waitcnt vmcnt(0)
	ds_write_b128 v151, v[1:4]
.LBB108_277:
	s_or_b32 exec_lo, exec_lo, s4
	s_waitcnt lgkmcnt(0)
	s_waitcnt_vscnt null, 0x0
	s_barrier
	buffer_gl0_inv
	s_clause 0x37
	buffer_load_dword v99, off, s[0:3], 0 offset:88
	buffer_load_dword v100, off, s[0:3], 0 offset:92
	;; [unrolled: 1-line block ×56, first 2 shown]
	v_mov_b32_e32 v152, 0
	s_mov_b32 s4, exec_lo
	ds_read_b128 v[153:156], v152 offset:784
	s_clause 0x2
	buffer_load_dword v148, off, s[0:3], 0 offset:316
	buffer_load_dword v150, off, s[0:3], 0 offset:292
	;; [unrolled: 1-line block ×3, first 2 shown]
	ds_read_b128 v[157:160], v152 offset:800
	s_clause 0x4
	buffer_load_dword v168, off, s[0:3], 0 offset:332
	buffer_load_dword v169, off, s[0:3], 0 offset:344
	;; [unrolled: 1-line block ×5, first 2 shown]
	ds_read_b128 v[161:164], v152 offset:816
	s_clause 0x2
	buffer_load_dword v170, off, s[0:3], 0 offset:348
	buffer_load_dword v175, off, s[0:3], 0 offset:324
	;; [unrolled: 1-line block ×3, first 2 shown]
	s_waitcnt vmcnt(62) lgkmcnt(2)
	v_mul_f64 v[165:166], v[155:156], v[99:100]
	v_mul_f64 v[99:100], v[153:154], v[99:100]
	s_waitcnt lgkmcnt(1)
	v_mul_f64 v[172:173], v[159:160], v[95:96]
	s_waitcnt vmcnt(59) lgkmcnt(0)
	v_mul_f64 v[176:177], v[163:164], v[3:4]
	v_fma_f64 v[153:154], v[153:154], v[97:98], -v[165:166]
	v_mul_f64 v[165:166], v[157:158], v[95:96]
	v_fma_f64 v[99:100], v[155:156], v[97:98], v[99:100]
	s_waitcnt vmcnt(57)
	v_fma_f64 v[157:158], v[157:158], v[1:2], -v[172:173]
	ds_read_b128 v[95:98], v152 offset:832
	v_mul_f64 v[155:156], v[161:162], v[3:4]
	s_waitcnt vmcnt(51)
	v_fma_f64 v[161:162], v[161:162], v[115:116], -v[176:177]
	v_add_f64 v[153:154], v[153:154], 0
	v_fma_f64 v[159:160], v[159:160], v[1:2], v[165:166]
	v_add_f64 v[99:100], v[99:100], 0
	s_clause 0x4
	buffer_load_dword v166, off, s[0:3], 0 offset:364
	buffer_load_dword v178, off, s[0:3], 0 offset:376
	;; [unrolled: 1-line block ×5, first 2 shown]
	s_waitcnt lgkmcnt(0)
	v_mul_f64 v[181:182], v[95:96], v[103:104]
	v_mul_f64 v[103:104], v[97:98], v[103:104]
	ds_read_b128 v[1:4], v152 offset:848
	v_fma_f64 v[115:116], v[163:164], v[115:116], v[155:156]
	v_add_f64 v[157:158], v[153:154], v[157:158]
	v_add_f64 v[99:100], v[99:100], v[159:160]
	s_clause 0x2
	buffer_load_dword v179, off, s[0:3], 0 offset:380
	buffer_load_dword v160, off, s[0:3], 0 offset:356
	;; [unrolled: 1-line block ×3, first 2 shown]
	s_waitcnt vmcnt(58) lgkmcnt(0)
	v_mul_f64 v[163:164], v[1:2], v[107:108]
	v_mul_f64 v[107:108], v[3:4], v[107:108]
	s_waitcnt vmcnt(56)
	v_fma_f64 v[103:104], v[95:96], v[109:110], -v[103:104]
	ds_read_b128 v[153:156], v152 offset:864
	v_fma_f64 v[109:110], v[97:98], v[109:110], v[181:182]
	v_add_f64 v[157:158], v[157:158], v[161:162]
	v_add_f64 v[99:100], v[99:100], v[115:116]
	s_clause 0x4
	buffer_load_dword v116, off, s[0:3], 0 offset:396
	buffer_load_dword v161, off, s[0:3], 0 offset:408
	;; [unrolled: 1-line block ×5, first 2 shown]
	ds_read_b128 v[95:98], v152 offset:880
	s_waitcnt vmcnt(57) lgkmcnt(1)
	v_mul_f64 v[182:183], v[153:154], v[111:112]
	v_mul_f64 v[111:112], v[155:156], v[111:112]
	s_waitcnt vmcnt(56)
	v_fma_f64 v[107:108], v[1:2], v[101:102], -v[107:108]
	v_fma_f64 v[101:102], v[3:4], v[101:102], v[163:164]
	v_add_f64 v[103:104], v[157:158], v[103:104]
	v_add_f64 v[99:100], v[99:100], v[109:110]
	s_clause 0x2
	buffer_load_dword v162, off, s[0:3], 0 offset:412
	buffer_load_dword v110, off, s[0:3], 0 offset:388
	;; [unrolled: 1-line block ×3, first 2 shown]
	s_waitcnt vmcnt(58) lgkmcnt(0)
	v_mul_f64 v[157:158], v[95:96], v[117:118]
	v_mul_f64 v[117:118], v[97:98], v[117:118]
	s_waitcnt vmcnt(56)
	v_fma_f64 v[111:112], v[153:154], v[119:120], -v[111:112]
	ds_read_b128 v[1:4], v152 offset:896
	v_add_f64 v[103:104], v[103:104], v[107:108]
	v_fma_f64 v[107:108], v[155:156], v[119:120], v[182:183]
	v_add_f64 v[119:120], v[99:100], v[101:102]
	s_clause 0x4
	buffer_load_dword v154, off, s[0:3], 0 offset:428
	buffer_load_dword v155, off, s[0:3], 0 offset:440
	;; [unrolled: 1-line block ×5, first 2 shown]
	ds_read_b128 v[99:102], v152 offset:912
	s_waitcnt vmcnt(57) lgkmcnt(1)
	v_mul_f64 v[182:183], v[1:2], v[121:122]
	v_mul_f64 v[121:122], v[3:4], v[121:122]
	s_waitcnt vmcnt(56)
	v_fma_f64 v[117:118], v[95:96], v[105:106], -v[117:118]
	v_fma_f64 v[105:106], v[97:98], v[105:106], v[157:158]
	v_add_f64 v[103:104], v[103:104], v[111:112]
	s_clause 0x2
	buffer_load_dword v156, off, s[0:3], 0 offset:444
	buffer_load_dword v112, off, s[0:3], 0 offset:420
	;; [unrolled: 1-line block ×3, first 2 shown]
	v_add_f64 v[107:108], v[119:120], v[107:108]
	s_waitcnt vmcnt(58) lgkmcnt(0)
	v_mul_f64 v[119:120], v[99:100], v[125:126]
	v_mul_f64 v[125:126], v[101:102], v[125:126]
	ds_read_b128 v[95:98], v152 offset:928
	s_waitcnt vmcnt(56)
	v_fma_f64 v[121:122], v[1:2], v[127:128], -v[121:122]
	v_add_f64 v[103:104], v[103:104], v[117:118]
	v_fma_f64 v[117:118], v[3:4], v[127:128], v[182:183]
	v_add_f64 v[105:106], v[107:108], v[105:106]
	s_clause 0x4
	buffer_load_dword v108, off, s[0:3], 0 offset:460
	buffer_load_dword v127, off, s[0:3], 0 offset:472
	;; [unrolled: 1-line block ×5, first 2 shown]
	s_waitcnt vmcnt(57) lgkmcnt(0)
	v_mul_f64 v[182:183], v[95:96], v[129:130]
	v_mul_f64 v[129:130], v[97:98], v[129:130]
	s_waitcnt vmcnt(56)
	v_fma_f64 v[125:126], v[99:100], v[113:114], -v[125:126]
	ds_read_b128 v[1:4], v152 offset:944
	v_fma_f64 v[113:114], v[101:102], v[113:114], v[119:120]
	v_add_f64 v[103:104], v[103:104], v[121:122]
	v_add_f64 v[105:106], v[105:106], v[117:118]
	s_clause 0x2
	buffer_load_dword v128, off, s[0:3], 0 offset:476
	buffer_load_dword v118, off, s[0:3], 0 offset:452
	;; [unrolled: 1-line block ×3, first 2 shown]
	ds_read_b128 v[99:102], v152 offset:960
	s_waitcnt vmcnt(58) lgkmcnt(1)
	v_mul_f64 v[121:122], v[3:4], v[133:134]
	s_waitcnt vmcnt(56)
	v_fma_f64 v[129:130], v[95:96], v[135:136], -v[129:130]
	v_mul_f64 v[119:120], v[1:2], v[133:134]
	v_add_f64 v[103:104], v[103:104], v[125:126]
	v_fma_f64 v[125:126], v[97:98], v[135:136], v[182:183]
	v_add_f64 v[105:106], v[105:106], v[113:114]
	s_clause 0x4
	buffer_load_dword v114, off, s[0:3], 0 offset:492
	buffer_load_dword v133, off, s[0:3], 0 offset:504
	;; [unrolled: 1-line block ×5, first 2 shown]
	s_waitcnt vmcnt(57) lgkmcnt(0)
	v_mul_f64 v[182:183], v[99:100], v[137:138]
	v_mul_f64 v[136:137], v[101:102], v[137:138]
	s_waitcnt vmcnt(56)
	v_fma_f64 v[121:122], v[1:2], v[123:124], -v[121:122]
	ds_read_b128 v[95:98], v152 offset:976
	v_fma_f64 v[119:120], v[3:4], v[123:124], v[119:120]
	s_clause 0x2
	buffer_load_dword v134, off, s[0:3], 0 offset:508
	buffer_load_dword v124, off, s[0:3], 0 offset:484
	;; [unrolled: 1-line block ×3, first 2 shown]
	ds_read_b128 v[1:4], v152 offset:992
	v_add_f64 v[103:104], v[103:104], v[129:130]
	v_add_f64 v[105:106], v[105:106], v[125:126]
	s_waitcnt vmcnt(58) lgkmcnt(1)
	v_mul_f64 v[129:130], v[97:98], v[141:142]
	s_waitcnt vmcnt(56)
	v_fma_f64 v[137:138], v[99:100], v[143:144], -v[136:137]
	v_mul_f64 v[125:126], v[95:96], v[141:142]
	v_add_f64 v[103:104], v[103:104], v[121:122]
	v_fma_f64 v[121:122], v[101:102], v[143:144], v[182:183]
	v_add_f64 v[105:106], v[105:106], v[119:120]
	s_clause 0x4
	buffer_load_dword v120, off, s[0:3], 0 offset:524
	buffer_load_dword v141, off, s[0:3], 0 offset:536
	;; [unrolled: 1-line block ×5, first 2 shown]
	s_waitcnt vmcnt(57) lgkmcnt(0)
	v_mul_f64 v[182:183], v[1:2], v[145:146]
	v_mul_f64 v[144:145], v[3:4], v[145:146]
	s_waitcnt vmcnt(56)
	v_fma_f64 v[129:130], v[95:96], v[131:132], -v[129:130]
	ds_read_b128 v[99:102], v152 offset:1008
	v_fma_f64 v[125:126], v[97:98], v[131:132], v[125:126]
	v_add_f64 v[103:104], v[103:104], v[137:138]
	v_add_f64 v[105:106], v[105:106], v[121:122]
	s_clause 0x2
	buffer_load_dword v142, off, s[0:3], 0 offset:540
	buffer_load_dword v122, off, s[0:3], 0 offset:516
	buffer_load_dword v121, off, s[0:3], 0 offset:512
	ds_read_b128 v[95:98], v152 offset:1024
	s_waitcnt vmcnt(58) lgkmcnt(1)
	v_mul_f64 v[137:138], v[101:102], v[147:148]
	s_waitcnt vmcnt(56)
	v_fma_f64 v[145:146], v[1:2], v[149:150], -v[144:145]
	v_mul_f64 v[131:132], v[99:100], v[147:148]
	v_add_f64 v[103:104], v[103:104], v[129:130]
	v_fma_f64 v[129:130], v[3:4], v[149:150], v[182:183]
	v_add_f64 v[105:106], v[105:106], v[125:126]
	s_clause 0x4
	buffer_load_dword v126, off, s[0:3], 0 offset:556
	buffer_load_dword v147, off, s[0:3], 0 offset:568
	;; [unrolled: 1-line block ×5, first 2 shown]
	s_waitcnt vmcnt(57) lgkmcnt(0)
	v_mul_f64 v[182:183], v[95:96], v[167:168]
	v_mul_f64 v[167:168], v[97:98], v[167:168]
	s_waitcnt vmcnt(56)
	v_fma_f64 v[137:138], v[99:100], v[139:140], -v[137:138]
	ds_read_b128 v[1:4], v152 offset:1040
	v_fma_f64 v[131:132], v[101:102], v[139:140], v[131:132]
	v_add_f64 v[103:104], v[103:104], v[145:146]
	v_add_f64 v[105:106], v[105:106], v[129:130]
	s_clause 0x2
	buffer_load_dword v148, off, s[0:3], 0 offset:572
	buffer_load_dword v130, off, s[0:3], 0 offset:548
	;; [unrolled: 1-line block ×3, first 2 shown]
	ds_read_b128 v[99:102], v152 offset:1056
	s_waitcnt vmcnt(58) lgkmcnt(1)
	v_mul_f64 v[145:146], v[3:4], v[169:170]
	s_waitcnt vmcnt(56)
	v_fma_f64 v[167:168], v[95:96], v[174:175], -v[167:168]
	v_mul_f64 v[139:140], v[1:2], v[169:170]
	v_add_f64 v[103:104], v[103:104], v[137:138]
	v_fma_f64 v[137:138], v[97:98], v[174:175], v[182:183]
	v_add_f64 v[105:106], v[105:106], v[131:132]
	s_clause 0x4
	buffer_load_dword v132, off, s[0:3], 0 offset:588
	buffer_load_dword v169, off, s[0:3], 0 offset:600
	;; [unrolled: 1-line block ×5, first 2 shown]
	ds_read_b128 v[95:98], v152 offset:1072
	s_waitcnt vmcnt(57) lgkmcnt(1)
	v_mul_f64 v[174:175], v[99:100], v[165:166]
	v_mul_f64 v[165:166], v[101:102], v[165:166]
	s_waitcnt vmcnt(56)
	v_fma_f64 v[145:146], v[1:2], v[171:172], -v[145:146]
	v_fma_f64 v[139:140], v[3:4], v[171:172], v[139:140]
	v_add_f64 v[103:104], v[103:104], v[167:168]
	v_add_f64 v[105:106], v[105:106], v[137:138]
	s_clause 0x2
	buffer_load_dword v170, off, s[0:3], 0 offset:604
	buffer_load_dword v138, off, s[0:3], 0 offset:580
	;; [unrolled: 1-line block ×3, first 2 shown]
	ds_read_b128 v[1:4], v152 offset:1088
	s_waitcnt vmcnt(58) lgkmcnt(1)
	v_mul_f64 v[171:172], v[97:98], v[178:179]
	v_mul_f64 v[167:168], v[95:96], v[178:179]
	s_waitcnt vmcnt(56)
	v_fma_f64 v[165:166], v[99:100], v[159:160], -v[165:166]
	v_add_f64 v[103:104], v[103:104], v[145:146]
	v_fma_f64 v[145:146], v[101:102], v[159:160], v[174:175]
	v_add_f64 v[105:106], v[105:106], v[139:140]
	s_clause 0x4
	buffer_load_dword v140, off, s[0:3], 0 offset:620
	buffer_load_dword v159, off, s[0:3], 0 offset:632
	buffer_load_dword v178, off, s[0:3], 0 offset:624
	buffer_load_dword v139, off, s[0:3], 0 offset:616
	buffer_load_dword v174, off, s[0:3], 0 offset:596
	ds_read_b128 v[99:102], v152 offset:1104
	s_waitcnt vmcnt(57) lgkmcnt(1)
	v_mul_f64 v[182:183], v[1:2], v[115:116]
	v_mul_f64 v[115:116], v[3:4], v[115:116]
	s_waitcnt vmcnt(56)
	v_fma_f64 v[171:172], v[95:96], v[180:181], -v[171:172]
	v_add_f64 v[103:104], v[103:104], v[165:166]
	v_fma_f64 v[165:166], v[97:98], v[180:181], v[167:168]
	v_add_f64 v[105:106], v[105:106], v[145:146]
	s_clause 0x2
	buffer_load_dword v160, off, s[0:3], 0 offset:636
	buffer_load_dword v146, off, s[0:3], 0 offset:612
	buffer_load_dword v145, off, s[0:3], 0 offset:608
	ds_read_b128 v[95:98], v152 offset:1120
	s_waitcnt vmcnt(58) lgkmcnt(1)
	v_mul_f64 v[167:168], v[99:100], v[161:162]
	v_mul_f64 v[161:162], v[101:102], v[161:162]
	s_waitcnt vmcnt(56)
	v_fma_f64 v[115:116], v[1:2], v[109:110], -v[115:116]
	v_fma_f64 v[109:110], v[3:4], v[109:110], v[182:183]
	v_add_f64 v[103:104], v[103:104], v[171:172]
	v_add_f64 v[105:106], v[105:106], v[165:166]
	s_clause 0x4
	buffer_load_dword v166, off, s[0:3], 0 offset:652
	buffer_load_dword v171, off, s[0:3], 0 offset:664
	buffer_load_dword v175, off, s[0:3], 0 offset:656
	buffer_load_dword v165, off, s[0:3], 0 offset:648
	buffer_load_dword v179, off, s[0:3], 0 offset:628
	ds_read_b128 v[1:4], v152 offset:1136
	s_waitcnt vmcnt(57) lgkmcnt(1)
	v_mul_f64 v[180:181], v[95:96], v[153:154]
	v_mul_f64 v[153:154], v[97:98], v[153:154]
	s_waitcnt vmcnt(56)
	v_fma_f64 v[161:162], v[99:100], v[176:177], -v[161:162]
	v_add_f64 v[103:104], v[103:104], v[115:116]
	v_fma_f64 v[115:116], v[101:102], v[176:177], v[167:168]
	v_add_f64 v[105:106], v[105:106], v[109:110]
	s_clause 0x2
	buffer_load_dword v172, off, s[0:3], 0 offset:668
	buffer_load_dword v110, off, s[0:3], 0 offset:644
	buffer_load_dword v109, off, s[0:3], 0 offset:640
	ds_read_b128 v[99:102], v152 offset:1152
	s_waitcnt vmcnt(58) lgkmcnt(1)
	v_mul_f64 v[167:168], v[1:2], v[155:156]
	v_mul_f64 v[155:156], v[3:4], v[155:156]
	s_waitcnt vmcnt(56)
	v_fma_f64 v[153:154], v[95:96], v[111:112], -v[153:154]
	v_fma_f64 v[111:112], v[97:98], v[111:112], v[180:181]
	v_add_f64 v[103:104], v[103:104], v[161:162]
	;; [unrolled: 28-line block ×3, first 2 shown]
	v_add_f64 v[105:106], v[105:106], v[153:154]
	s_clause 0x4
	buffer_load_dword v154, off, s[0:3], 0 offset:716
	buffer_load_dword v155, off, s[0:3], 0 offset:728
	;; [unrolled: 1-line block ×5, first 2 shown]
	ds_read_b128 v[99:102], v152 offset:1200
	s_waitcnt vmcnt(57) lgkmcnt(1)
	v_mul_f64 v[182:183], v[1:2], v[113:114]
	v_mul_f64 v[113:114], v[3:4], v[113:114]
	s_waitcnt vmcnt(56)
	v_fma_f64 v[127:128], v[95:96], v[157:158], -v[127:128]
	v_add_f64 v[103:104], v[103:104], v[107:108]
	v_fma_f64 v[107:108], v[97:98], v[157:158], v[163:164]
	v_add_f64 v[105:106], v[105:106], v[117:118]
	s_clause 0x2
	buffer_load_dword v156, off, s[0:3], 0 offset:732
	buffer_load_dword v118, off, s[0:3], 0 offset:708
	;; [unrolled: 1-line block ×3, first 2 shown]
	s_waitcnt vmcnt(58) lgkmcnt(0)
	v_mul_f64 v[157:158], v[99:100], v[133:134]
	v_mul_f64 v[133:134], v[101:102], v[133:134]
	ds_read_b128 v[95:98], v152 offset:1216
	buffer_load_dword v168, off, s[0:3], 0 offset:724
	s_waitcnt vmcnt(57)
	v_fma_f64 v[113:114], v[1:2], v[123:124], -v[113:114]
	v_fma_f64 v[123:124], v[3:4], v[123:124], v[182:183]
	ds_read_b128 v[1:4], v152 offset:1232
	v_add_f64 v[103:104], v[103:104], v[127:128]
	v_add_f64 v[105:106], v[105:106], v[107:108]
	s_waitcnt vmcnt(53) lgkmcnt(1)
	v_mul_f64 v[107:108], v[95:96], v[119:120]
	v_mul_f64 v[119:120], v[97:98], v[119:120]
	s_waitcnt vmcnt(52)
	v_fma_f64 v[127:128], v[99:100], v[135:136], -v[133:134]
	v_add_f64 v[103:104], v[103:104], v[113:114]
	v_fma_f64 v[113:114], v[101:102], v[135:136], v[157:158]
	v_add_f64 v[105:106], v[105:106], v[123:124]
	ds_read_b128 v[99:102], v152 offset:1248
	s_waitcnt vmcnt(51) lgkmcnt(1)
	v_mul_f64 v[133:134], v[3:4], v[141:142]
	v_mul_f64 v[123:124], v[1:2], v[141:142]
	s_waitcnt vmcnt(49)
	v_fma_f64 v[119:120], v[95:96], v[121:122], -v[119:120]
	v_fma_f64 v[107:108], v[97:98], v[121:122], v[107:108]
	v_add_f64 v[103:104], v[103:104], v[127:128]
	v_add_f64 v[105:106], v[105:106], v[113:114]
	s_clause 0x3
	buffer_load_dword v113, off, s[0:3], 0 offset:64
	buffer_load_dword v114, off, s[0:3], 0 offset:68
	;; [unrolled: 1-line block ×4, first 2 shown]
	ds_read_b128 v[95:98], v152 offset:1264
	s_waitcnt vmcnt(49) lgkmcnt(1)
	v_mul_f64 v[127:128], v[99:100], v[125:126]
	v_mul_f64 v[125:126], v[101:102], v[125:126]
	s_waitcnt vmcnt(48)
	v_fma_f64 v[133:134], v[1:2], v[143:144], -v[133:134]
	v_add_f64 v[103:104], v[103:104], v[119:120]
	v_fma_f64 v[119:120], v[3:4], v[143:144], v[123:124]
	v_add_f64 v[105:106], v[105:106], v[107:108]
	ds_read_b128 v[1:4], v152 offset:1280
	s_waitcnt vmcnt(47) lgkmcnt(1)
	v_mul_f64 v[123:124], v[97:98], v[147:148]
	v_mul_f64 v[107:108], v[95:96], v[147:148]
	s_waitcnt vmcnt(45)
	v_fma_f64 v[125:126], v[99:100], v[129:130], -v[125:126]
	v_fma_f64 v[127:128], v[101:102], v[129:130], v[127:128]
	ds_read_b128 v[99:102], v152 offset:1296
	v_add_f64 v[103:104], v[103:104], v[133:134]
	v_add_f64 v[105:106], v[105:106], v[119:120]
	s_waitcnt vmcnt(41) lgkmcnt(1)
	v_mul_f64 v[129:130], v[3:4], v[131:132]
	s_waitcnt vmcnt(40)
	v_fma_f64 v[123:124], v[95:96], v[149:150], -v[123:124]
	v_mul_f64 v[119:120], v[1:2], v[131:132]
	v_fma_f64 v[107:108], v[97:98], v[149:150], v[107:108]
	ds_read_b128 v[95:98], v152 offset:1312
	v_add_f64 v[103:104], v[103:104], v[125:126]
	v_add_f64 v[105:106], v[105:106], v[127:128]
	s_waitcnt vmcnt(39) lgkmcnt(1)
	v_mul_f64 v[127:128], v[101:102], v[169:170]
	v_mul_f64 v[125:126], v[99:100], v[169:170]
	s_waitcnt vmcnt(37)
	v_fma_f64 v[129:130], v[1:2], v[137:138], -v[129:130]
	v_fma_f64 v[119:120], v[3:4], v[137:138], v[119:120]
	ds_read_b128 v[1:4], v152 offset:1328
	v_add_f64 v[103:104], v[103:104], v[123:124]
	v_add_f64 v[105:106], v[105:106], v[107:108]
	s_waitcnt vmcnt(33) lgkmcnt(1)
	v_mul_f64 v[123:124], v[97:98], v[139:140]
	s_waitcnt vmcnt(32)
	v_fma_f64 v[127:128], v[99:100], v[173:174], -v[127:128]
	v_mul_f64 v[107:108], v[95:96], v[139:140]
	v_fma_f64 v[125:126], v[101:102], v[173:174], v[125:126]
	ds_read_b128 v[99:102], v152 offset:1344
	v_add_f64 v[103:104], v[103:104], v[129:130]
	v_add_f64 v[105:106], v[105:106], v[119:120]
	;; [unrolled: 18-line block ×3, first 2 shown]
	s_waitcnt vmcnt(23) lgkmcnt(1)
	v_mul_f64 v[123:124], v[97:98], v[171:172]
	v_mul_f64 v[107:108], v[95:96], v[171:172]
	s_waitcnt vmcnt(21)
	v_fma_f64 v[127:128], v[99:100], v[109:110], -v[127:128]
	v_fma_f64 v[109:110], v[101:102], v[109:110], v[125:126]
	ds_read_b128 v[99:102], v152 offset:1392
	v_add_f64 v[103:104], v[103:104], v[129:130]
	v_add_f64 v[105:106], v[105:106], v[119:120]
	s_waitcnt vmcnt(17) lgkmcnt(1)
	v_mul_f64 v[119:120], v[1:2], v[115:116]
	v_mul_f64 v[115:116], v[3:4], v[115:116]
	s_waitcnt vmcnt(16)
	v_fma_f64 v[123:124], v[95:96], v[175:176], -v[123:124]
	v_fma_f64 v[107:108], v[97:98], v[175:176], v[107:108]
	ds_read_b128 v[95:98], v152 offset:1408
	v_add_f64 v[103:104], v[103:104], v[127:128]
	v_add_f64 v[105:106], v[105:106], v[109:110]
	;; [unrolled: 9-line block ×3, first 2 shown]
	s_waitcnt vmcnt(9) lgkmcnt(1)
	v_mul_f64 v[119:120], v[97:98], v[153:154]
	s_waitcnt vmcnt(8)
	v_fma_f64 v[99:100], v[99:100], v[180:181], -v[125:126]
	v_mul_f64 v[107:108], v[95:96], v[153:154]
	v_fma_f64 v[101:102], v[101:102], v[180:181], v[109:110]
	v_add_f64 v[103:104], v[103:104], v[115:116]
	v_add_f64 v[105:106], v[105:106], v[111:112]
	s_waitcnt vmcnt(7) lgkmcnt(0)
	v_mul_f64 v[111:112], v[3:4], v[155:156]
	v_mul_f64 v[109:110], v[1:2], v[155:156]
	s_waitcnt vmcnt(5)
	v_fma_f64 v[95:96], v[95:96], v[117:118], -v[119:120]
	v_fma_f64 v[97:98], v[97:98], v[117:118], v[107:108]
	v_add_f64 v[99:100], v[103:104], v[99:100]
	v_add_f64 v[101:102], v[105:106], v[101:102]
	s_waitcnt vmcnt(4)
	v_fma_f64 v[1:2], v[1:2], v[167:168], -v[111:112]
	v_fma_f64 v[3:4], v[3:4], v[167:168], v[109:110]
	v_add_f64 v[95:96], v[99:100], v[95:96]
	v_add_f64 v[97:98], v[101:102], v[97:98]
	;; [unrolled: 1-line block ×4, first 2 shown]
	s_waitcnt vmcnt(2)
	v_add_f64 v[1:2], v[113:114], -v[1:2]
	s_waitcnt vmcnt(0)
	v_add_f64 v[3:4], v[121:122], -v[3:4]
	buffer_store_dword v2, off, s[0:3], 0 offset:68
	buffer_store_dword v1, off, s[0:3], 0 offset:64
	;; [unrolled: 1-line block ×4, first 2 shown]
	v_cmpx_lt_u32_e32 2, v0
	s_cbranch_execz .LBB108_279
; %bb.278:
	v_mov_b32_e32 v4, s55
	s_clause 0x3
	buffer_load_dword v1, v4, s[0:3], 0 offen
	buffer_load_dword v2, v4, s[0:3], 0 offen offset:4
	buffer_load_dword v3, v4, s[0:3], 0 offen offset:8
	buffer_load_dword v4, v4, s[0:3], 0 offen offset:12
	buffer_store_dword v152, off, s[0:3], 0 offset:48
	buffer_store_dword v152, off, s[0:3], 0 offset:52
	;; [unrolled: 1-line block ×4, first 2 shown]
	s_waitcnt vmcnt(0)
	ds_write_b128 v151, v[1:4]
.LBB108_279:
	s_or_b32 exec_lo, exec_lo, s4
	s_waitcnt lgkmcnt(0)
	s_waitcnt_vscnt null, 0x0
	s_barrier
	buffer_gl0_inv
	s_clause 0x37
	buffer_load_dword v99, off, s[0:3], 0 offset:72
	buffer_load_dword v100, off, s[0:3], 0 offset:76
	;; [unrolled: 1-line block ×56, first 2 shown]
	ds_read_b128 v[153:156], v152 offset:768
	s_clause 0x2
	buffer_load_dword v148, off, s[0:3], 0 offset:300
	buffer_load_dword v150, off, s[0:3], 0 offset:276
	buffer_load_dword v149, off, s[0:3], 0 offset:272
	ds_read_b128 v[157:160], v152 offset:784
	s_clause 0x4
	buffer_load_dword v168, off, s[0:3], 0 offset:316
	buffer_load_dword v169, off, s[0:3], 0 offset:328
	;; [unrolled: 1-line block ×5, first 2 shown]
	ds_read_b128 v[161:164], v152 offset:800
	s_clause 0x2
	buffer_load_dword v170, off, s[0:3], 0 offset:332
	buffer_load_dword v175, off, s[0:3], 0 offset:308
	;; [unrolled: 1-line block ×3, first 2 shown]
	s_mov_b32 s4, exec_lo
	s_waitcnt vmcnt(62) lgkmcnt(2)
	v_mul_f64 v[165:166], v[155:156], v[99:100]
	v_mul_f64 v[99:100], v[153:154], v[99:100]
	s_waitcnt lgkmcnt(1)
	v_mul_f64 v[172:173], v[159:160], v[95:96]
	s_waitcnt vmcnt(59) lgkmcnt(0)
	v_mul_f64 v[176:177], v[163:164], v[3:4]
	v_fma_f64 v[153:154], v[153:154], v[97:98], -v[165:166]
	v_mul_f64 v[165:166], v[157:158], v[95:96]
	v_fma_f64 v[99:100], v[155:156], v[97:98], v[99:100]
	s_waitcnt vmcnt(57)
	v_fma_f64 v[157:158], v[157:158], v[1:2], -v[172:173]
	ds_read_b128 v[95:98], v152 offset:816
	v_mul_f64 v[155:156], v[161:162], v[3:4]
	s_waitcnt vmcnt(51)
	v_fma_f64 v[161:162], v[161:162], v[115:116], -v[176:177]
	v_add_f64 v[153:154], v[153:154], 0
	v_fma_f64 v[159:160], v[159:160], v[1:2], v[165:166]
	v_add_f64 v[99:100], v[99:100], 0
	s_clause 0x4
	buffer_load_dword v166, off, s[0:3], 0 offset:348
	buffer_load_dword v178, off, s[0:3], 0 offset:360
	;; [unrolled: 1-line block ×5, first 2 shown]
	s_waitcnt lgkmcnt(0)
	v_mul_f64 v[181:182], v[95:96], v[103:104]
	v_mul_f64 v[103:104], v[97:98], v[103:104]
	ds_read_b128 v[1:4], v152 offset:832
	v_fma_f64 v[115:116], v[163:164], v[115:116], v[155:156]
	v_add_f64 v[157:158], v[153:154], v[157:158]
	v_add_f64 v[99:100], v[99:100], v[159:160]
	s_clause 0x2
	buffer_load_dword v179, off, s[0:3], 0 offset:364
	buffer_load_dword v160, off, s[0:3], 0 offset:340
	;; [unrolled: 1-line block ×3, first 2 shown]
	s_waitcnt vmcnt(58) lgkmcnt(0)
	v_mul_f64 v[163:164], v[1:2], v[107:108]
	v_mul_f64 v[107:108], v[3:4], v[107:108]
	s_waitcnt vmcnt(56)
	v_fma_f64 v[103:104], v[95:96], v[109:110], -v[103:104]
	ds_read_b128 v[153:156], v152 offset:848
	v_fma_f64 v[109:110], v[97:98], v[109:110], v[181:182]
	v_add_f64 v[157:158], v[157:158], v[161:162]
	v_add_f64 v[99:100], v[99:100], v[115:116]
	s_clause 0x4
	buffer_load_dword v116, off, s[0:3], 0 offset:380
	buffer_load_dword v161, off, s[0:3], 0 offset:392
	;; [unrolled: 1-line block ×5, first 2 shown]
	ds_read_b128 v[95:98], v152 offset:864
	s_waitcnt vmcnt(57) lgkmcnt(1)
	v_mul_f64 v[182:183], v[153:154], v[111:112]
	v_mul_f64 v[111:112], v[155:156], v[111:112]
	s_waitcnt vmcnt(56)
	v_fma_f64 v[107:108], v[1:2], v[101:102], -v[107:108]
	v_fma_f64 v[101:102], v[3:4], v[101:102], v[163:164]
	v_add_f64 v[103:104], v[157:158], v[103:104]
	v_add_f64 v[99:100], v[99:100], v[109:110]
	s_clause 0x2
	buffer_load_dword v162, off, s[0:3], 0 offset:396
	buffer_load_dword v110, off, s[0:3], 0 offset:372
	buffer_load_dword v109, off, s[0:3], 0 offset:368
	s_waitcnt vmcnt(58) lgkmcnt(0)
	v_mul_f64 v[157:158], v[95:96], v[117:118]
	v_mul_f64 v[117:118], v[97:98], v[117:118]
	s_waitcnt vmcnt(56)
	v_fma_f64 v[111:112], v[153:154], v[119:120], -v[111:112]
	ds_read_b128 v[1:4], v152 offset:880
	v_add_f64 v[103:104], v[103:104], v[107:108]
	v_fma_f64 v[107:108], v[155:156], v[119:120], v[182:183]
	v_add_f64 v[119:120], v[99:100], v[101:102]
	s_clause 0x4
	buffer_load_dword v154, off, s[0:3], 0 offset:412
	buffer_load_dword v155, off, s[0:3], 0 offset:424
	;; [unrolled: 1-line block ×5, first 2 shown]
	ds_read_b128 v[99:102], v152 offset:896
	s_waitcnt vmcnt(57) lgkmcnt(1)
	v_mul_f64 v[182:183], v[1:2], v[121:122]
	v_mul_f64 v[121:122], v[3:4], v[121:122]
	s_waitcnt vmcnt(56)
	v_fma_f64 v[117:118], v[95:96], v[105:106], -v[117:118]
	v_fma_f64 v[105:106], v[97:98], v[105:106], v[157:158]
	v_add_f64 v[103:104], v[103:104], v[111:112]
	s_clause 0x2
	buffer_load_dword v156, off, s[0:3], 0 offset:428
	buffer_load_dword v112, off, s[0:3], 0 offset:404
	;; [unrolled: 1-line block ×3, first 2 shown]
	v_add_f64 v[107:108], v[119:120], v[107:108]
	s_waitcnt vmcnt(58) lgkmcnt(0)
	v_mul_f64 v[119:120], v[99:100], v[125:126]
	v_mul_f64 v[125:126], v[101:102], v[125:126]
	ds_read_b128 v[95:98], v152 offset:912
	s_waitcnt vmcnt(56)
	v_fma_f64 v[121:122], v[1:2], v[127:128], -v[121:122]
	v_add_f64 v[103:104], v[103:104], v[117:118]
	v_fma_f64 v[117:118], v[3:4], v[127:128], v[182:183]
	v_add_f64 v[105:106], v[107:108], v[105:106]
	s_clause 0x4
	buffer_load_dword v108, off, s[0:3], 0 offset:444
	buffer_load_dword v127, off, s[0:3], 0 offset:456
	;; [unrolled: 1-line block ×5, first 2 shown]
	s_waitcnt vmcnt(57) lgkmcnt(0)
	v_mul_f64 v[182:183], v[95:96], v[129:130]
	v_mul_f64 v[129:130], v[97:98], v[129:130]
	s_waitcnt vmcnt(56)
	v_fma_f64 v[125:126], v[99:100], v[113:114], -v[125:126]
	ds_read_b128 v[1:4], v152 offset:928
	v_fma_f64 v[113:114], v[101:102], v[113:114], v[119:120]
	v_add_f64 v[103:104], v[103:104], v[121:122]
	v_add_f64 v[105:106], v[105:106], v[117:118]
	s_clause 0x2
	buffer_load_dword v128, off, s[0:3], 0 offset:460
	buffer_load_dword v118, off, s[0:3], 0 offset:436
	;; [unrolled: 1-line block ×3, first 2 shown]
	ds_read_b128 v[99:102], v152 offset:944
	s_waitcnt vmcnt(58) lgkmcnt(1)
	v_mul_f64 v[121:122], v[3:4], v[133:134]
	s_waitcnt vmcnt(56)
	v_fma_f64 v[129:130], v[95:96], v[135:136], -v[129:130]
	v_mul_f64 v[119:120], v[1:2], v[133:134]
	v_add_f64 v[103:104], v[103:104], v[125:126]
	v_fma_f64 v[125:126], v[97:98], v[135:136], v[182:183]
	v_add_f64 v[105:106], v[105:106], v[113:114]
	s_clause 0x4
	buffer_load_dword v114, off, s[0:3], 0 offset:476
	buffer_load_dword v133, off, s[0:3], 0 offset:488
	;; [unrolled: 1-line block ×5, first 2 shown]
	s_waitcnt vmcnt(57) lgkmcnt(0)
	v_mul_f64 v[182:183], v[99:100], v[137:138]
	v_mul_f64 v[136:137], v[101:102], v[137:138]
	s_waitcnt vmcnt(56)
	v_fma_f64 v[121:122], v[1:2], v[123:124], -v[121:122]
	ds_read_b128 v[95:98], v152 offset:960
	v_fma_f64 v[119:120], v[3:4], v[123:124], v[119:120]
	s_clause 0x2
	buffer_load_dword v134, off, s[0:3], 0 offset:492
	buffer_load_dword v124, off, s[0:3], 0 offset:468
	;; [unrolled: 1-line block ×3, first 2 shown]
	ds_read_b128 v[1:4], v152 offset:976
	v_add_f64 v[103:104], v[103:104], v[129:130]
	v_add_f64 v[105:106], v[105:106], v[125:126]
	s_waitcnt vmcnt(58) lgkmcnt(1)
	v_mul_f64 v[129:130], v[97:98], v[141:142]
	s_waitcnt vmcnt(56)
	v_fma_f64 v[137:138], v[99:100], v[143:144], -v[136:137]
	v_mul_f64 v[125:126], v[95:96], v[141:142]
	v_add_f64 v[103:104], v[103:104], v[121:122]
	v_fma_f64 v[121:122], v[101:102], v[143:144], v[182:183]
	v_add_f64 v[105:106], v[105:106], v[119:120]
	s_clause 0x4
	buffer_load_dword v120, off, s[0:3], 0 offset:508
	buffer_load_dword v141, off, s[0:3], 0 offset:520
	;; [unrolled: 1-line block ×5, first 2 shown]
	s_waitcnt vmcnt(57) lgkmcnt(0)
	v_mul_f64 v[182:183], v[1:2], v[145:146]
	v_mul_f64 v[144:145], v[3:4], v[145:146]
	s_waitcnt vmcnt(56)
	v_fma_f64 v[129:130], v[95:96], v[131:132], -v[129:130]
	ds_read_b128 v[99:102], v152 offset:992
	v_fma_f64 v[125:126], v[97:98], v[131:132], v[125:126]
	v_add_f64 v[103:104], v[103:104], v[137:138]
	v_add_f64 v[105:106], v[105:106], v[121:122]
	s_clause 0x2
	buffer_load_dword v142, off, s[0:3], 0 offset:524
	buffer_load_dword v122, off, s[0:3], 0 offset:500
	;; [unrolled: 1-line block ×3, first 2 shown]
	ds_read_b128 v[95:98], v152 offset:1008
	s_waitcnt vmcnt(58) lgkmcnt(1)
	v_mul_f64 v[137:138], v[101:102], v[147:148]
	s_waitcnt vmcnt(56)
	v_fma_f64 v[145:146], v[1:2], v[149:150], -v[144:145]
	v_mul_f64 v[131:132], v[99:100], v[147:148]
	v_add_f64 v[103:104], v[103:104], v[129:130]
	v_fma_f64 v[129:130], v[3:4], v[149:150], v[182:183]
	v_add_f64 v[105:106], v[105:106], v[125:126]
	s_clause 0x4
	buffer_load_dword v126, off, s[0:3], 0 offset:540
	buffer_load_dword v147, off, s[0:3], 0 offset:552
	;; [unrolled: 1-line block ×5, first 2 shown]
	s_waitcnt vmcnt(57) lgkmcnt(0)
	v_mul_f64 v[182:183], v[95:96], v[167:168]
	v_mul_f64 v[167:168], v[97:98], v[167:168]
	s_waitcnt vmcnt(56)
	v_fma_f64 v[137:138], v[99:100], v[139:140], -v[137:138]
	ds_read_b128 v[1:4], v152 offset:1024
	v_fma_f64 v[131:132], v[101:102], v[139:140], v[131:132]
	v_add_f64 v[103:104], v[103:104], v[145:146]
	v_add_f64 v[105:106], v[105:106], v[129:130]
	s_clause 0x2
	buffer_load_dword v148, off, s[0:3], 0 offset:556
	buffer_load_dword v130, off, s[0:3], 0 offset:532
	;; [unrolled: 1-line block ×3, first 2 shown]
	ds_read_b128 v[99:102], v152 offset:1040
	s_waitcnt vmcnt(58) lgkmcnt(1)
	v_mul_f64 v[145:146], v[3:4], v[169:170]
	s_waitcnt vmcnt(56)
	v_fma_f64 v[167:168], v[95:96], v[174:175], -v[167:168]
	v_mul_f64 v[139:140], v[1:2], v[169:170]
	v_add_f64 v[103:104], v[103:104], v[137:138]
	v_fma_f64 v[137:138], v[97:98], v[174:175], v[182:183]
	v_add_f64 v[105:106], v[105:106], v[131:132]
	s_clause 0x4
	buffer_load_dword v132, off, s[0:3], 0 offset:572
	buffer_load_dword v169, off, s[0:3], 0 offset:584
	;; [unrolled: 1-line block ×5, first 2 shown]
	ds_read_b128 v[95:98], v152 offset:1056
	s_waitcnt vmcnt(57) lgkmcnt(1)
	v_mul_f64 v[174:175], v[99:100], v[165:166]
	v_mul_f64 v[165:166], v[101:102], v[165:166]
	s_waitcnt vmcnt(56)
	v_fma_f64 v[145:146], v[1:2], v[171:172], -v[145:146]
	v_fma_f64 v[139:140], v[3:4], v[171:172], v[139:140]
	v_add_f64 v[103:104], v[103:104], v[167:168]
	v_add_f64 v[105:106], v[105:106], v[137:138]
	s_clause 0x2
	buffer_load_dword v170, off, s[0:3], 0 offset:588
	buffer_load_dword v138, off, s[0:3], 0 offset:564
	;; [unrolled: 1-line block ×3, first 2 shown]
	ds_read_b128 v[1:4], v152 offset:1072
	s_waitcnt vmcnt(58) lgkmcnt(1)
	v_mul_f64 v[171:172], v[97:98], v[178:179]
	v_mul_f64 v[167:168], v[95:96], v[178:179]
	s_waitcnt vmcnt(56)
	v_fma_f64 v[165:166], v[99:100], v[159:160], -v[165:166]
	v_add_f64 v[103:104], v[103:104], v[145:146]
	v_fma_f64 v[145:146], v[101:102], v[159:160], v[174:175]
	v_add_f64 v[105:106], v[105:106], v[139:140]
	s_clause 0x4
	buffer_load_dword v140, off, s[0:3], 0 offset:604
	buffer_load_dword v159, off, s[0:3], 0 offset:616
	buffer_load_dword v178, off, s[0:3], 0 offset:608
	buffer_load_dword v139, off, s[0:3], 0 offset:600
	buffer_load_dword v174, off, s[0:3], 0 offset:580
	ds_read_b128 v[99:102], v152 offset:1088
	s_waitcnt vmcnt(57) lgkmcnt(1)
	v_mul_f64 v[182:183], v[1:2], v[115:116]
	v_mul_f64 v[115:116], v[3:4], v[115:116]
	s_waitcnt vmcnt(56)
	v_fma_f64 v[171:172], v[95:96], v[180:181], -v[171:172]
	v_add_f64 v[103:104], v[103:104], v[165:166]
	v_fma_f64 v[165:166], v[97:98], v[180:181], v[167:168]
	v_add_f64 v[105:106], v[105:106], v[145:146]
	s_clause 0x2
	buffer_load_dword v160, off, s[0:3], 0 offset:620
	buffer_load_dword v146, off, s[0:3], 0 offset:596
	buffer_load_dword v145, off, s[0:3], 0 offset:592
	ds_read_b128 v[95:98], v152 offset:1104
	s_waitcnt vmcnt(58) lgkmcnt(1)
	v_mul_f64 v[167:168], v[99:100], v[161:162]
	v_mul_f64 v[161:162], v[101:102], v[161:162]
	s_waitcnt vmcnt(56)
	v_fma_f64 v[115:116], v[1:2], v[109:110], -v[115:116]
	v_fma_f64 v[109:110], v[3:4], v[109:110], v[182:183]
	v_add_f64 v[103:104], v[103:104], v[171:172]
	v_add_f64 v[105:106], v[105:106], v[165:166]
	s_clause 0x4
	buffer_load_dword v166, off, s[0:3], 0 offset:636
	buffer_load_dword v171, off, s[0:3], 0 offset:648
	buffer_load_dword v175, off, s[0:3], 0 offset:640
	buffer_load_dword v165, off, s[0:3], 0 offset:632
	buffer_load_dword v179, off, s[0:3], 0 offset:612
	ds_read_b128 v[1:4], v152 offset:1120
	s_waitcnt vmcnt(57) lgkmcnt(1)
	v_mul_f64 v[180:181], v[95:96], v[153:154]
	v_mul_f64 v[153:154], v[97:98], v[153:154]
	s_waitcnt vmcnt(56)
	v_fma_f64 v[161:162], v[99:100], v[176:177], -v[161:162]
	v_add_f64 v[103:104], v[103:104], v[115:116]
	v_fma_f64 v[115:116], v[101:102], v[176:177], v[167:168]
	v_add_f64 v[105:106], v[105:106], v[109:110]
	s_clause 0x2
	buffer_load_dword v172, off, s[0:3], 0 offset:652
	buffer_load_dword v110, off, s[0:3], 0 offset:628
	buffer_load_dword v109, off, s[0:3], 0 offset:624
	ds_read_b128 v[99:102], v152 offset:1136
	s_waitcnt vmcnt(58) lgkmcnt(1)
	v_mul_f64 v[167:168], v[1:2], v[155:156]
	v_mul_f64 v[155:156], v[3:4], v[155:156]
	s_waitcnt vmcnt(56)
	v_fma_f64 v[153:154], v[95:96], v[111:112], -v[153:154]
	v_fma_f64 v[111:112], v[97:98], v[111:112], v[180:181]
	v_add_f64 v[103:104], v[103:104], v[161:162]
	;; [unrolled: 28-line block ×3, first 2 shown]
	v_add_f64 v[105:106], v[105:106], v[153:154]
	s_clause 0x4
	buffer_load_dword v154, off, s[0:3], 0 offset:700
	buffer_load_dword v155, off, s[0:3], 0 offset:712
	;; [unrolled: 1-line block ×5, first 2 shown]
	ds_read_b128 v[99:102], v152 offset:1184
	s_waitcnt vmcnt(57) lgkmcnt(1)
	v_mul_f64 v[182:183], v[1:2], v[113:114]
	v_mul_f64 v[113:114], v[3:4], v[113:114]
	s_waitcnt vmcnt(56)
	v_fma_f64 v[127:128], v[95:96], v[157:158], -v[127:128]
	v_add_f64 v[103:104], v[103:104], v[107:108]
	v_fma_f64 v[107:108], v[97:98], v[157:158], v[163:164]
	v_add_f64 v[105:106], v[105:106], v[117:118]
	s_clause 0x2
	buffer_load_dword v156, off, s[0:3], 0 offset:716
	buffer_load_dword v118, off, s[0:3], 0 offset:692
	;; [unrolled: 1-line block ×3, first 2 shown]
	s_waitcnt vmcnt(58) lgkmcnt(0)
	v_mul_f64 v[157:158], v[99:100], v[133:134]
	v_mul_f64 v[133:134], v[101:102], v[133:134]
	ds_read_b128 v[95:98], v152 offset:1200
	s_waitcnt vmcnt(56)
	v_fma_f64 v[113:114], v[1:2], v[123:124], -v[113:114]
	v_fma_f64 v[123:124], v[3:4], v[123:124], v[182:183]
	v_add_f64 v[103:104], v[103:104], v[127:128]
	v_add_f64 v[105:106], v[105:106], v[107:108]
	s_clause 0x2
	buffer_load_dword v108, off, s[0:3], 0 offset:732
	buffer_load_dword v107, off, s[0:3], 0 offset:728
	;; [unrolled: 1-line block ×3, first 2 shown]
	ds_read_b128 v[1:4], v152 offset:1216
	s_waitcnt vmcnt(55) lgkmcnt(1)
	v_mul_f64 v[127:128], v[95:96], v[119:120]
	v_mul_f64 v[119:120], v[97:98], v[119:120]
	s_waitcnt vmcnt(54)
	v_fma_f64 v[133:134], v[99:100], v[135:136], -v[133:134]
	v_add_f64 v[103:104], v[103:104], v[113:114]
	v_fma_f64 v[113:114], v[101:102], v[135:136], v[157:158]
	v_add_f64 v[105:106], v[105:106], v[123:124]
	s_clause 0x1
	buffer_load_dword v124, off, s[0:3], 0 offset:724
	buffer_load_dword v123, off, s[0:3], 0 offset:720
	ds_read_b128 v[99:102], v152 offset:1232
	s_waitcnt vmcnt(55) lgkmcnt(1)
	v_mul_f64 v[135:136], v[1:2], v[141:142]
	v_mul_f64 v[141:142], v[3:4], v[141:142]
	s_waitcnt vmcnt(53)
	v_fma_f64 v[119:120], v[95:96], v[121:122], -v[119:120]
	v_fma_f64 v[121:122], v[97:98], v[121:122], v[127:128]
	ds_read_b128 v[95:98], v152 offset:1248
	v_add_f64 v[103:104], v[103:104], v[133:134]
	v_add_f64 v[105:106], v[105:106], v[113:114]
	s_waitcnt vmcnt(49) lgkmcnt(1)
	v_mul_f64 v[113:114], v[99:100], v[125:126]
	v_mul_f64 v[125:126], v[101:102], v[125:126]
	s_waitcnt vmcnt(48)
	v_fma_f64 v[127:128], v[1:2], v[143:144], -v[141:142]
	v_add_f64 v[103:104], v[103:104], v[119:120]
	v_fma_f64 v[119:120], v[3:4], v[143:144], v[135:136]
	v_add_f64 v[105:106], v[105:106], v[121:122]
	s_clause 0x3
	buffer_load_dword v121, off, s[0:3], 0 offset:48
	buffer_load_dword v122, off, s[0:3], 0 offset:52
	;; [unrolled: 1-line block ×4, first 2 shown]
	ds_read_b128 v[1:4], v152 offset:1264
	s_waitcnt vmcnt(51) lgkmcnt(1)
	v_mul_f64 v[141:142], v[97:98], v[147:148]
	v_mul_f64 v[135:136], v[95:96], v[147:148]
	s_waitcnt vmcnt(49)
	v_fma_f64 v[125:126], v[99:100], v[129:130], -v[125:126]
	v_fma_f64 v[113:114], v[101:102], v[129:130], v[113:114]
	ds_read_b128 v[99:102], v152 offset:1280
	v_add_f64 v[103:104], v[103:104], v[127:128]
	v_add_f64 v[105:106], v[105:106], v[119:120]
	s_waitcnt vmcnt(45) lgkmcnt(1)
	v_mul_f64 v[127:128], v[3:4], v[131:132]
	s_waitcnt vmcnt(44)
	v_fma_f64 v[129:130], v[95:96], v[149:150], -v[141:142]
	v_mul_f64 v[119:120], v[1:2], v[131:132]
	v_add_f64 v[103:104], v[103:104], v[125:126]
	v_fma_f64 v[125:126], v[97:98], v[149:150], v[135:136]
	v_add_f64 v[105:106], v[105:106], v[113:114]
	ds_read_b128 v[95:98], v152 offset:1296
	s_waitcnt vmcnt(43) lgkmcnt(1)
	v_mul_f64 v[131:132], v[101:102], v[169:170]
	v_mul_f64 v[113:114], v[99:100], v[169:170]
	s_waitcnt vmcnt(41)
	v_fma_f64 v[127:128], v[1:2], v[137:138], -v[127:128]
	v_fma_f64 v[119:120], v[3:4], v[137:138], v[119:120]
	ds_read_b128 v[1:4], v152 offset:1312
	v_add_f64 v[103:104], v[103:104], v[129:130]
	v_add_f64 v[105:106], v[105:106], v[125:126]
	s_waitcnt vmcnt(37) lgkmcnt(1)
	v_mul_f64 v[129:130], v[97:98], v[139:140]
	s_waitcnt vmcnt(36)
	v_fma_f64 v[131:132], v[99:100], v[173:174], -v[131:132]
	v_mul_f64 v[125:126], v[95:96], v[139:140]
	v_fma_f64 v[113:114], v[101:102], v[173:174], v[113:114]
	ds_read_b128 v[99:102], v152 offset:1328
	v_add_f64 v[103:104], v[103:104], v[127:128]
	v_add_f64 v[105:106], v[105:106], v[119:120]
	s_waitcnt vmcnt(35) lgkmcnt(1)
	v_mul_f64 v[127:128], v[3:4], v[159:160]
	v_mul_f64 v[119:120], v[1:2], v[159:160]
	s_waitcnt vmcnt(33)
	v_fma_f64 v[129:130], v[95:96], v[145:146], -v[129:130]
	v_fma_f64 v[125:126], v[97:98], v[145:146], v[125:126]
	ds_read_b128 v[95:98], v152 offset:1344
	v_add_f64 v[103:104], v[103:104], v[131:132]
	v_add_f64 v[105:106], v[105:106], v[113:114]
	s_waitcnt vmcnt(29) lgkmcnt(1)
	v_mul_f64 v[131:132], v[101:102], v[165:166]
	s_waitcnt vmcnt(28)
	v_fma_f64 v[127:128], v[1:2], v[178:179], -v[127:128]
	v_mul_f64 v[113:114], v[99:100], v[165:166]
	v_fma_f64 v[119:120], v[3:4], v[178:179], v[119:120]
	ds_read_b128 v[1:4], v152 offset:1360
	v_add_f64 v[103:104], v[103:104], v[129:130]
	v_add_f64 v[105:106], v[105:106], v[125:126]
	s_waitcnt vmcnt(27) lgkmcnt(1)
	v_mul_f64 v[129:130], v[97:98], v[171:172]
	v_mul_f64 v[125:126], v[95:96], v[171:172]
	s_waitcnt vmcnt(25)
	v_fma_f64 v[131:132], v[99:100], v[109:110], -v[131:132]
	v_fma_f64 v[109:110], v[101:102], v[109:110], v[113:114]
	ds_read_b128 v[99:102], v152 offset:1376
	v_add_f64 v[103:104], v[103:104], v[127:128]
	v_add_f64 v[105:106], v[105:106], v[119:120]
	s_waitcnt vmcnt(21) lgkmcnt(1)
	v_mul_f64 v[113:114], v[1:2], v[115:116]
	v_mul_f64 v[115:116], v[3:4], v[115:116]
	s_waitcnt vmcnt(20)
	v_fma_f64 v[119:120], v[95:96], v[175:176], -v[129:130]
	;; [unrolled: 9-line block ×3, first 2 shown]
	v_fma_f64 v[111:112], v[3:4], v[111:112], v[113:114]
	ds_read_b128 v[1:4], v152 offset:1408
	v_add_f64 v[103:104], v[103:104], v[119:120]
	v_add_f64 v[105:106], v[105:106], v[125:126]
	s_waitcnt vmcnt(13) lgkmcnt(1)
	v_mul_f64 v[119:120], v[97:98], v[153:154]
	s_waitcnt vmcnt(12)
	v_fma_f64 v[125:126], v[99:100], v[180:181], -v[127:128]
	v_mul_f64 v[113:114], v[95:96], v[153:154]
	v_fma_f64 v[109:110], v[101:102], v[180:181], v[109:110]
	ds_read_b128 v[99:102], v152 offset:1424
	v_add_f64 v[103:104], v[103:104], v[115:116]
	v_add_f64 v[105:106], v[105:106], v[111:112]
	s_waitcnt vmcnt(11) lgkmcnt(1)
	v_mul_f64 v[115:116], v[3:4], v[155:156]
	v_mul_f64 v[111:112], v[1:2], v[155:156]
	s_waitcnt vmcnt(9)
	v_fma_f64 v[95:96], v[95:96], v[117:118], -v[119:120]
	v_fma_f64 v[97:98], v[97:98], v[117:118], v[113:114]
	v_add_f64 v[103:104], v[103:104], v[125:126]
	v_add_f64 v[105:106], v[105:106], v[109:110]
	s_waitcnt vmcnt(7) lgkmcnt(0)
	v_mul_f64 v[109:110], v[99:100], v[107:108]
	v_mul_f64 v[107:108], v[101:102], v[107:108]
	s_waitcnt vmcnt(6)
	v_fma_f64 v[1:2], v[1:2], v[167:168], -v[115:116]
	v_fma_f64 v[3:4], v[3:4], v[167:168], v[111:112]
	v_add_f64 v[95:96], v[103:104], v[95:96]
	v_add_f64 v[97:98], v[105:106], v[97:98]
	s_waitcnt vmcnt(4)
	v_fma_f64 v[99:100], v[99:100], v[123:124], -v[107:108]
	v_add_f64 v[1:2], v[95:96], v[1:2]
	v_fma_f64 v[95:96], v[101:102], v[123:124], v[109:110]
	v_add_f64 v[3:4], v[97:98], v[3:4]
	v_add_f64 v[1:2], v[1:2], v[99:100]
	;; [unrolled: 1-line block ×3, first 2 shown]
	s_waitcnt vmcnt(2)
	v_add_f64 v[1:2], v[121:122], -v[1:2]
	s_waitcnt vmcnt(0)
	v_add_f64 v[3:4], v[133:134], -v[3:4]
	buffer_store_dword v2, off, s[0:3], 0 offset:52
	buffer_store_dword v1, off, s[0:3], 0 offset:48
	;; [unrolled: 1-line block ×4, first 2 shown]
	v_cmpx_lt_u32_e32 1, v0
	s_cbranch_execz .LBB108_281
; %bb.280:
	v_mov_b32_e32 v4, s56
	v_mov_b32_e32 v95, 0
	s_clause 0x3
	buffer_load_dword v1, v4, s[0:3], 0 offen
	buffer_load_dword v2, v4, s[0:3], 0 offen offset:4
	buffer_load_dword v3, v4, s[0:3], 0 offen offset:8
	;; [unrolled: 1-line block ×3, first 2 shown]
	buffer_store_dword v95, off, s[0:3], 0 offset:32
	buffer_store_dword v95, off, s[0:3], 0 offset:36
	;; [unrolled: 1-line block ×4, first 2 shown]
	s_waitcnt vmcnt(0)
	ds_write_b128 v151, v[1:4]
.LBB108_281:
	s_or_b32 exec_lo, exec_lo, s4
	s_waitcnt lgkmcnt(0)
	s_waitcnt_vscnt null, 0x0
	s_barrier
	buffer_gl0_inv
	s_clause 0x37
	buffer_load_dword v99, off, s[0:3], 0 offset:56
	buffer_load_dword v100, off, s[0:3], 0 offset:60
	;; [unrolled: 1-line block ×56, first 2 shown]
	v_mov_b32_e32 v152, 0
	s_mov_b32 s4, exec_lo
	ds_read_b128 v[153:156], v152 offset:752
	s_clause 0x2
	buffer_load_dword v148, off, s[0:3], 0 offset:284
	buffer_load_dword v150, off, s[0:3], 0 offset:260
	buffer_load_dword v149, off, s[0:3], 0 offset:256
	ds_read_b128 v[157:160], v152 offset:768
	s_clause 0x4
	buffer_load_dword v168, off, s[0:3], 0 offset:300
	buffer_load_dword v169, off, s[0:3], 0 offset:312
	;; [unrolled: 1-line block ×5, first 2 shown]
	ds_read_b128 v[161:164], v152 offset:784
	s_clause 0x2
	buffer_load_dword v170, off, s[0:3], 0 offset:316
	buffer_load_dword v175, off, s[0:3], 0 offset:292
	;; [unrolled: 1-line block ×3, first 2 shown]
	s_waitcnt vmcnt(62) lgkmcnt(2)
	v_mul_f64 v[165:166], v[155:156], v[99:100]
	v_mul_f64 v[99:100], v[153:154], v[99:100]
	s_waitcnt lgkmcnt(1)
	v_mul_f64 v[172:173], v[159:160], v[95:96]
	s_waitcnt vmcnt(59) lgkmcnt(0)
	v_mul_f64 v[176:177], v[163:164], v[3:4]
	v_fma_f64 v[153:154], v[153:154], v[97:98], -v[165:166]
	v_mul_f64 v[165:166], v[157:158], v[95:96]
	v_fma_f64 v[99:100], v[155:156], v[97:98], v[99:100]
	s_waitcnt vmcnt(57)
	v_fma_f64 v[157:158], v[157:158], v[1:2], -v[172:173]
	ds_read_b128 v[95:98], v152 offset:800
	v_mul_f64 v[155:156], v[161:162], v[3:4]
	s_waitcnt vmcnt(51)
	v_fma_f64 v[161:162], v[161:162], v[115:116], -v[176:177]
	v_add_f64 v[153:154], v[153:154], 0
	v_fma_f64 v[159:160], v[159:160], v[1:2], v[165:166]
	v_add_f64 v[99:100], v[99:100], 0
	s_clause 0x4
	buffer_load_dword v166, off, s[0:3], 0 offset:332
	buffer_load_dword v178, off, s[0:3], 0 offset:344
	;; [unrolled: 1-line block ×5, first 2 shown]
	s_waitcnt lgkmcnt(0)
	v_mul_f64 v[181:182], v[95:96], v[103:104]
	v_mul_f64 v[103:104], v[97:98], v[103:104]
	ds_read_b128 v[1:4], v152 offset:816
	v_fma_f64 v[115:116], v[163:164], v[115:116], v[155:156]
	v_add_f64 v[157:158], v[153:154], v[157:158]
	v_add_f64 v[99:100], v[99:100], v[159:160]
	s_clause 0x2
	buffer_load_dword v179, off, s[0:3], 0 offset:348
	buffer_load_dword v160, off, s[0:3], 0 offset:324
	;; [unrolled: 1-line block ×3, first 2 shown]
	s_waitcnt vmcnt(58) lgkmcnt(0)
	v_mul_f64 v[163:164], v[1:2], v[107:108]
	v_mul_f64 v[107:108], v[3:4], v[107:108]
	s_waitcnt vmcnt(56)
	v_fma_f64 v[103:104], v[95:96], v[109:110], -v[103:104]
	ds_read_b128 v[153:156], v152 offset:832
	v_fma_f64 v[109:110], v[97:98], v[109:110], v[181:182]
	v_add_f64 v[157:158], v[157:158], v[161:162]
	v_add_f64 v[99:100], v[99:100], v[115:116]
	s_clause 0x4
	buffer_load_dword v116, off, s[0:3], 0 offset:364
	buffer_load_dword v161, off, s[0:3], 0 offset:376
	;; [unrolled: 1-line block ×5, first 2 shown]
	ds_read_b128 v[95:98], v152 offset:848
	s_waitcnt vmcnt(57) lgkmcnt(1)
	v_mul_f64 v[182:183], v[153:154], v[111:112]
	v_mul_f64 v[111:112], v[155:156], v[111:112]
	s_waitcnt vmcnt(56)
	v_fma_f64 v[107:108], v[1:2], v[101:102], -v[107:108]
	v_fma_f64 v[101:102], v[3:4], v[101:102], v[163:164]
	v_add_f64 v[103:104], v[157:158], v[103:104]
	v_add_f64 v[99:100], v[99:100], v[109:110]
	s_clause 0x2
	buffer_load_dword v162, off, s[0:3], 0 offset:380
	buffer_load_dword v110, off, s[0:3], 0 offset:356
	;; [unrolled: 1-line block ×3, first 2 shown]
	s_waitcnt vmcnt(58) lgkmcnt(0)
	v_mul_f64 v[157:158], v[95:96], v[117:118]
	v_mul_f64 v[117:118], v[97:98], v[117:118]
	s_waitcnt vmcnt(56)
	v_fma_f64 v[111:112], v[153:154], v[119:120], -v[111:112]
	ds_read_b128 v[1:4], v152 offset:864
	v_add_f64 v[103:104], v[103:104], v[107:108]
	v_fma_f64 v[107:108], v[155:156], v[119:120], v[182:183]
	v_add_f64 v[119:120], v[99:100], v[101:102]
	s_clause 0x4
	buffer_load_dword v154, off, s[0:3], 0 offset:396
	buffer_load_dword v155, off, s[0:3], 0 offset:408
	;; [unrolled: 1-line block ×5, first 2 shown]
	ds_read_b128 v[99:102], v152 offset:880
	s_waitcnt vmcnt(57) lgkmcnt(1)
	v_mul_f64 v[182:183], v[1:2], v[121:122]
	v_mul_f64 v[121:122], v[3:4], v[121:122]
	s_waitcnt vmcnt(56)
	v_fma_f64 v[117:118], v[95:96], v[105:106], -v[117:118]
	v_fma_f64 v[105:106], v[97:98], v[105:106], v[157:158]
	v_add_f64 v[103:104], v[103:104], v[111:112]
	s_clause 0x2
	buffer_load_dword v156, off, s[0:3], 0 offset:412
	buffer_load_dword v112, off, s[0:3], 0 offset:388
	;; [unrolled: 1-line block ×3, first 2 shown]
	v_add_f64 v[107:108], v[119:120], v[107:108]
	s_waitcnt vmcnt(58) lgkmcnt(0)
	v_mul_f64 v[119:120], v[99:100], v[125:126]
	v_mul_f64 v[125:126], v[101:102], v[125:126]
	ds_read_b128 v[95:98], v152 offset:896
	s_waitcnt vmcnt(56)
	v_fma_f64 v[121:122], v[1:2], v[127:128], -v[121:122]
	v_add_f64 v[103:104], v[103:104], v[117:118]
	v_fma_f64 v[117:118], v[3:4], v[127:128], v[182:183]
	v_add_f64 v[105:106], v[107:108], v[105:106]
	s_clause 0x4
	buffer_load_dword v108, off, s[0:3], 0 offset:428
	buffer_load_dword v127, off, s[0:3], 0 offset:440
	buffer_load_dword v157, off, s[0:3], 0 offset:432
	buffer_load_dword v107, off, s[0:3], 0 offset:424
	buffer_load_dword v164, off, s[0:3], 0 offset:404
	s_waitcnt vmcnt(57) lgkmcnt(0)
	v_mul_f64 v[182:183], v[95:96], v[129:130]
	v_mul_f64 v[129:130], v[97:98], v[129:130]
	s_waitcnt vmcnt(56)
	v_fma_f64 v[125:126], v[99:100], v[113:114], -v[125:126]
	ds_read_b128 v[1:4], v152 offset:912
	v_fma_f64 v[113:114], v[101:102], v[113:114], v[119:120]
	v_add_f64 v[103:104], v[103:104], v[121:122]
	v_add_f64 v[105:106], v[105:106], v[117:118]
	s_clause 0x2
	buffer_load_dword v128, off, s[0:3], 0 offset:444
	buffer_load_dword v118, off, s[0:3], 0 offset:420
	;; [unrolled: 1-line block ×3, first 2 shown]
	ds_read_b128 v[99:102], v152 offset:928
	s_waitcnt vmcnt(58) lgkmcnt(1)
	v_mul_f64 v[121:122], v[3:4], v[133:134]
	s_waitcnt vmcnt(56)
	v_fma_f64 v[129:130], v[95:96], v[135:136], -v[129:130]
	v_mul_f64 v[119:120], v[1:2], v[133:134]
	v_add_f64 v[103:104], v[103:104], v[125:126]
	v_fma_f64 v[125:126], v[97:98], v[135:136], v[182:183]
	v_add_f64 v[105:106], v[105:106], v[113:114]
	s_clause 0x4
	buffer_load_dword v114, off, s[0:3], 0 offset:460
	buffer_load_dword v133, off, s[0:3], 0 offset:472
	;; [unrolled: 1-line block ×5, first 2 shown]
	s_waitcnt vmcnt(57) lgkmcnt(0)
	v_mul_f64 v[182:183], v[99:100], v[137:138]
	v_mul_f64 v[136:137], v[101:102], v[137:138]
	s_waitcnt vmcnt(56)
	v_fma_f64 v[121:122], v[1:2], v[123:124], -v[121:122]
	ds_read_b128 v[95:98], v152 offset:944
	v_fma_f64 v[119:120], v[3:4], v[123:124], v[119:120]
	s_clause 0x2
	buffer_load_dword v134, off, s[0:3], 0 offset:476
	buffer_load_dword v124, off, s[0:3], 0 offset:452
	;; [unrolled: 1-line block ×3, first 2 shown]
	ds_read_b128 v[1:4], v152 offset:960
	v_add_f64 v[103:104], v[103:104], v[129:130]
	v_add_f64 v[105:106], v[105:106], v[125:126]
	s_waitcnt vmcnt(58) lgkmcnt(1)
	v_mul_f64 v[129:130], v[97:98], v[141:142]
	s_waitcnt vmcnt(56)
	v_fma_f64 v[137:138], v[99:100], v[143:144], -v[136:137]
	v_mul_f64 v[125:126], v[95:96], v[141:142]
	v_add_f64 v[103:104], v[103:104], v[121:122]
	v_fma_f64 v[121:122], v[101:102], v[143:144], v[182:183]
	v_add_f64 v[105:106], v[105:106], v[119:120]
	s_clause 0x4
	buffer_load_dword v120, off, s[0:3], 0 offset:492
	buffer_load_dword v141, off, s[0:3], 0 offset:504
	;; [unrolled: 1-line block ×5, first 2 shown]
	s_waitcnt vmcnt(57) lgkmcnt(0)
	v_mul_f64 v[182:183], v[1:2], v[145:146]
	v_mul_f64 v[144:145], v[3:4], v[145:146]
	s_waitcnt vmcnt(56)
	v_fma_f64 v[129:130], v[95:96], v[131:132], -v[129:130]
	ds_read_b128 v[99:102], v152 offset:976
	v_fma_f64 v[125:126], v[97:98], v[131:132], v[125:126]
	v_add_f64 v[103:104], v[103:104], v[137:138]
	v_add_f64 v[105:106], v[105:106], v[121:122]
	s_clause 0x2
	buffer_load_dword v142, off, s[0:3], 0 offset:508
	buffer_load_dword v122, off, s[0:3], 0 offset:484
	;; [unrolled: 1-line block ×3, first 2 shown]
	ds_read_b128 v[95:98], v152 offset:992
	s_waitcnt vmcnt(58) lgkmcnt(1)
	v_mul_f64 v[137:138], v[101:102], v[147:148]
	s_waitcnt vmcnt(56)
	v_fma_f64 v[145:146], v[1:2], v[149:150], -v[144:145]
	v_mul_f64 v[131:132], v[99:100], v[147:148]
	v_add_f64 v[103:104], v[103:104], v[129:130]
	v_fma_f64 v[129:130], v[3:4], v[149:150], v[182:183]
	v_add_f64 v[105:106], v[105:106], v[125:126]
	s_clause 0x4
	buffer_load_dword v126, off, s[0:3], 0 offset:524
	buffer_load_dword v147, off, s[0:3], 0 offset:536
	;; [unrolled: 1-line block ×5, first 2 shown]
	s_waitcnt vmcnt(57) lgkmcnt(0)
	v_mul_f64 v[182:183], v[95:96], v[167:168]
	v_mul_f64 v[167:168], v[97:98], v[167:168]
	s_waitcnt vmcnt(56)
	v_fma_f64 v[137:138], v[99:100], v[139:140], -v[137:138]
	ds_read_b128 v[1:4], v152 offset:1008
	v_fma_f64 v[131:132], v[101:102], v[139:140], v[131:132]
	v_add_f64 v[103:104], v[103:104], v[145:146]
	v_add_f64 v[105:106], v[105:106], v[129:130]
	s_clause 0x2
	buffer_load_dword v148, off, s[0:3], 0 offset:540
	buffer_load_dword v130, off, s[0:3], 0 offset:516
	;; [unrolled: 1-line block ×3, first 2 shown]
	ds_read_b128 v[99:102], v152 offset:1024
	s_waitcnt vmcnt(58) lgkmcnt(1)
	v_mul_f64 v[145:146], v[3:4], v[169:170]
	s_waitcnt vmcnt(56)
	v_fma_f64 v[167:168], v[95:96], v[174:175], -v[167:168]
	v_mul_f64 v[139:140], v[1:2], v[169:170]
	v_add_f64 v[103:104], v[103:104], v[137:138]
	v_fma_f64 v[137:138], v[97:98], v[174:175], v[182:183]
	v_add_f64 v[105:106], v[105:106], v[131:132]
	s_clause 0x4
	buffer_load_dword v132, off, s[0:3], 0 offset:556
	buffer_load_dword v169, off, s[0:3], 0 offset:568
	;; [unrolled: 1-line block ×5, first 2 shown]
	ds_read_b128 v[95:98], v152 offset:1040
	s_waitcnt vmcnt(57) lgkmcnt(1)
	v_mul_f64 v[174:175], v[99:100], v[165:166]
	v_mul_f64 v[165:166], v[101:102], v[165:166]
	s_waitcnt vmcnt(56)
	v_fma_f64 v[145:146], v[1:2], v[171:172], -v[145:146]
	v_fma_f64 v[139:140], v[3:4], v[171:172], v[139:140]
	v_add_f64 v[103:104], v[103:104], v[167:168]
	v_add_f64 v[105:106], v[105:106], v[137:138]
	s_clause 0x2
	buffer_load_dword v170, off, s[0:3], 0 offset:572
	buffer_load_dword v138, off, s[0:3], 0 offset:548
	;; [unrolled: 1-line block ×3, first 2 shown]
	ds_read_b128 v[1:4], v152 offset:1056
	s_waitcnt vmcnt(58) lgkmcnt(1)
	v_mul_f64 v[171:172], v[97:98], v[178:179]
	v_mul_f64 v[167:168], v[95:96], v[178:179]
	s_waitcnt vmcnt(56)
	v_fma_f64 v[165:166], v[99:100], v[159:160], -v[165:166]
	v_add_f64 v[103:104], v[103:104], v[145:146]
	v_fma_f64 v[145:146], v[101:102], v[159:160], v[174:175]
	v_add_f64 v[105:106], v[105:106], v[139:140]
	s_clause 0x4
	buffer_load_dword v140, off, s[0:3], 0 offset:588
	buffer_load_dword v159, off, s[0:3], 0 offset:600
	buffer_load_dword v178, off, s[0:3], 0 offset:592
	buffer_load_dword v139, off, s[0:3], 0 offset:584
	buffer_load_dword v174, off, s[0:3], 0 offset:564
	ds_read_b128 v[99:102], v152 offset:1072
	s_waitcnt vmcnt(57) lgkmcnt(1)
	v_mul_f64 v[182:183], v[1:2], v[115:116]
	v_mul_f64 v[115:116], v[3:4], v[115:116]
	s_waitcnt vmcnt(56)
	v_fma_f64 v[171:172], v[95:96], v[180:181], -v[171:172]
	v_add_f64 v[103:104], v[103:104], v[165:166]
	v_fma_f64 v[165:166], v[97:98], v[180:181], v[167:168]
	v_add_f64 v[105:106], v[105:106], v[145:146]
	s_clause 0x2
	buffer_load_dword v160, off, s[0:3], 0 offset:604
	buffer_load_dword v146, off, s[0:3], 0 offset:580
	buffer_load_dword v145, off, s[0:3], 0 offset:576
	ds_read_b128 v[95:98], v152 offset:1088
	s_waitcnt vmcnt(58) lgkmcnt(1)
	v_mul_f64 v[167:168], v[99:100], v[161:162]
	v_mul_f64 v[161:162], v[101:102], v[161:162]
	s_waitcnt vmcnt(56)
	v_fma_f64 v[115:116], v[1:2], v[109:110], -v[115:116]
	v_fma_f64 v[109:110], v[3:4], v[109:110], v[182:183]
	v_add_f64 v[103:104], v[103:104], v[171:172]
	v_add_f64 v[105:106], v[105:106], v[165:166]
	s_clause 0x4
	buffer_load_dword v166, off, s[0:3], 0 offset:620
	buffer_load_dword v171, off, s[0:3], 0 offset:632
	buffer_load_dword v175, off, s[0:3], 0 offset:624
	buffer_load_dword v165, off, s[0:3], 0 offset:616
	buffer_load_dword v179, off, s[0:3], 0 offset:596
	ds_read_b128 v[1:4], v152 offset:1104
	s_waitcnt vmcnt(57) lgkmcnt(1)
	v_mul_f64 v[180:181], v[95:96], v[153:154]
	v_mul_f64 v[153:154], v[97:98], v[153:154]
	s_waitcnt vmcnt(56)
	v_fma_f64 v[161:162], v[99:100], v[176:177], -v[161:162]
	v_add_f64 v[103:104], v[103:104], v[115:116]
	v_fma_f64 v[115:116], v[101:102], v[176:177], v[167:168]
	v_add_f64 v[105:106], v[105:106], v[109:110]
	s_clause 0x2
	buffer_load_dword v172, off, s[0:3], 0 offset:636
	buffer_load_dword v110, off, s[0:3], 0 offset:612
	buffer_load_dword v109, off, s[0:3], 0 offset:608
	ds_read_b128 v[99:102], v152 offset:1120
	s_waitcnt vmcnt(58) lgkmcnt(1)
	v_mul_f64 v[167:168], v[1:2], v[155:156]
	v_mul_f64 v[155:156], v[3:4], v[155:156]
	s_waitcnt vmcnt(56)
	v_fma_f64 v[153:154], v[95:96], v[111:112], -v[153:154]
	v_fma_f64 v[111:112], v[97:98], v[111:112], v[180:181]
	v_add_f64 v[103:104], v[103:104], v[161:162]
	;; [unrolled: 28-line block ×3, first 2 shown]
	v_add_f64 v[105:106], v[105:106], v[153:154]
	s_clause 0x4
	buffer_load_dword v154, off, s[0:3], 0 offset:684
	buffer_load_dword v155, off, s[0:3], 0 offset:696
	;; [unrolled: 1-line block ×5, first 2 shown]
	ds_read_b128 v[99:102], v152 offset:1168
	s_waitcnt vmcnt(57) lgkmcnt(1)
	v_mul_f64 v[182:183], v[1:2], v[113:114]
	v_mul_f64 v[113:114], v[3:4], v[113:114]
	s_waitcnt vmcnt(56)
	v_fma_f64 v[127:128], v[95:96], v[157:158], -v[127:128]
	v_add_f64 v[103:104], v[103:104], v[107:108]
	v_fma_f64 v[107:108], v[97:98], v[157:158], v[163:164]
	v_add_f64 v[105:106], v[105:106], v[117:118]
	s_clause 0x2
	buffer_load_dword v156, off, s[0:3], 0 offset:700
	buffer_load_dword v118, off, s[0:3], 0 offset:676
	;; [unrolled: 1-line block ×3, first 2 shown]
	s_waitcnt vmcnt(58) lgkmcnt(0)
	v_mul_f64 v[157:158], v[99:100], v[133:134]
	v_mul_f64 v[133:134], v[101:102], v[133:134]
	ds_read_b128 v[95:98], v152 offset:1184
	s_waitcnt vmcnt(56)
	v_fma_f64 v[113:114], v[1:2], v[123:124], -v[113:114]
	v_fma_f64 v[123:124], v[3:4], v[123:124], v[182:183]
	v_add_f64 v[103:104], v[103:104], v[127:128]
	v_add_f64 v[105:106], v[105:106], v[107:108]
	s_clause 0x4
	buffer_load_dword v108, off, s[0:3], 0 offset:716
	buffer_load_dword v127, off, s[0:3], 0 offset:728
	;; [unrolled: 1-line block ×5, first 2 shown]
	ds_read_b128 v[1:4], v152 offset:1200
	s_waitcnt vmcnt(57) lgkmcnt(1)
	v_mul_f64 v[182:183], v[95:96], v[119:120]
	v_mul_f64 v[119:120], v[97:98], v[119:120]
	s_waitcnt vmcnt(56)
	v_fma_f64 v[133:134], v[99:100], v[135:136], -v[133:134]
	v_add_f64 v[103:104], v[103:104], v[113:114]
	v_fma_f64 v[113:114], v[101:102], v[135:136], v[157:158]
	v_add_f64 v[105:106], v[105:106], v[123:124]
	s_clause 0x2
	buffer_load_dword v128, off, s[0:3], 0 offset:732
	buffer_load_dword v124, off, s[0:3], 0 offset:708
	;; [unrolled: 1-line block ×3, first 2 shown]
	ds_read_b128 v[99:102], v152 offset:1216
	buffer_load_dword v164, off, s[0:3], 0 offset:724
	s_waitcnt vmcnt(59) lgkmcnt(1)
	v_mul_f64 v[135:136], v[1:2], v[141:142]
	v_mul_f64 v[141:142], v[3:4], v[141:142]
	s_waitcnt vmcnt(57)
	v_fma_f64 v[119:120], v[95:96], v[121:122], -v[119:120]
	v_fma_f64 v[121:122], v[97:98], v[121:122], v[182:183]
	ds_read_b128 v[95:98], v152 offset:1232
	v_add_f64 v[103:104], v[103:104], v[133:134]
	v_add_f64 v[105:106], v[105:106], v[113:114]
	s_waitcnt vmcnt(53) lgkmcnt(1)
	v_mul_f64 v[113:114], v[99:100], v[125:126]
	v_mul_f64 v[125:126], v[101:102], v[125:126]
	s_waitcnt vmcnt(52)
	v_fma_f64 v[133:134], v[1:2], v[143:144], -v[141:142]
	v_add_f64 v[103:104], v[103:104], v[119:120]
	v_fma_f64 v[119:120], v[3:4], v[143:144], v[135:136]
	v_add_f64 v[105:106], v[105:106], v[121:122]
	ds_read_b128 v[1:4], v152 offset:1248
	s_waitcnt vmcnt(51) lgkmcnt(1)
	v_mul_f64 v[135:136], v[97:98], v[147:148]
	v_mul_f64 v[121:122], v[95:96], v[147:148]
	s_waitcnt vmcnt(49)
	v_fma_f64 v[125:126], v[99:100], v[129:130], -v[125:126]
	v_fma_f64 v[113:114], v[101:102], v[129:130], v[113:114]
	v_add_f64 v[103:104], v[103:104], v[133:134]
	v_add_f64 v[105:106], v[105:106], v[119:120]
	s_clause 0x3
	buffer_load_dword v119, off, s[0:3], 0 offset:32
	buffer_load_dword v120, off, s[0:3], 0 offset:36
	;; [unrolled: 1-line block ×4, first 2 shown]
	ds_read_b128 v[99:102], v152 offset:1264
	s_waitcnt vmcnt(49) lgkmcnt(1)
	v_mul_f64 v[133:134], v[1:2], v[131:132]
	v_mul_f64 v[131:132], v[3:4], v[131:132]
	s_waitcnt vmcnt(48)
	v_fma_f64 v[135:136], v[95:96], v[149:150], -v[135:136]
	v_fma_f64 v[121:122], v[97:98], v[149:150], v[121:122]
	ds_read_b128 v[95:98], v152 offset:1280
	v_add_f64 v[103:104], v[103:104], v[125:126]
	v_add_f64 v[105:106], v[105:106], v[113:114]
	s_waitcnt vmcnt(47) lgkmcnt(1)
	v_mul_f64 v[125:126], v[101:102], v[169:170]
	v_mul_f64 v[113:114], v[99:100], v[169:170]
	s_waitcnt vmcnt(45)
	v_fma_f64 v[131:132], v[1:2], v[137:138], -v[131:132]
	v_fma_f64 v[133:134], v[3:4], v[137:138], v[133:134]
	ds_read_b128 v[1:4], v152 offset:1296
	v_add_f64 v[103:104], v[103:104], v[135:136]
	v_add_f64 v[105:106], v[105:106], v[121:122]
	s_waitcnt vmcnt(41) lgkmcnt(1)
	v_mul_f64 v[135:136], v[97:98], v[139:140]
	s_waitcnt vmcnt(40)
	v_fma_f64 v[125:126], v[99:100], v[173:174], -v[125:126]
	v_mul_f64 v[121:122], v[95:96], v[139:140]
	v_fma_f64 v[113:114], v[101:102], v[173:174], v[113:114]
	ds_read_b128 v[99:102], v152 offset:1312
	v_add_f64 v[103:104], v[103:104], v[131:132]
	v_add_f64 v[105:106], v[105:106], v[133:134]
	s_waitcnt vmcnt(39) lgkmcnt(1)
	v_mul_f64 v[133:134], v[3:4], v[159:160]
	v_mul_f64 v[131:132], v[1:2], v[159:160]
	s_waitcnt vmcnt(37)
	v_fma_f64 v[135:136], v[95:96], v[145:146], -v[135:136]
	v_fma_f64 v[121:122], v[97:98], v[145:146], v[121:122]
	ds_read_b128 v[95:98], v152 offset:1328
	v_add_f64 v[103:104], v[103:104], v[125:126]
	v_add_f64 v[105:106], v[105:106], v[113:114]
	s_waitcnt vmcnt(33) lgkmcnt(1)
	v_mul_f64 v[125:126], v[101:102], v[165:166]
	s_waitcnt vmcnt(32)
	v_fma_f64 v[133:134], v[1:2], v[178:179], -v[133:134]
	v_mul_f64 v[113:114], v[99:100], v[165:166]
	v_fma_f64 v[131:132], v[3:4], v[178:179], v[131:132]
	ds_read_b128 v[1:4], v152 offset:1344
	v_add_f64 v[103:104], v[103:104], v[135:136]
	v_add_f64 v[105:106], v[105:106], v[121:122]
	s_waitcnt vmcnt(31) lgkmcnt(1)
	v_mul_f64 v[135:136], v[97:98], v[171:172]
	v_mul_f64 v[121:122], v[95:96], v[171:172]
	s_waitcnt vmcnt(29)
	v_fma_f64 v[125:126], v[99:100], v[109:110], -v[125:126]
	v_fma_f64 v[109:110], v[101:102], v[109:110], v[113:114]
	ds_read_b128 v[99:102], v152 offset:1360
	v_add_f64 v[103:104], v[103:104], v[133:134]
	v_add_f64 v[105:106], v[105:106], v[131:132]
	s_waitcnt vmcnt(25) lgkmcnt(1)
	v_mul_f64 v[113:114], v[1:2], v[115:116]
	v_mul_f64 v[115:116], v[3:4], v[115:116]
	s_waitcnt vmcnt(24)
	v_fma_f64 v[131:132], v[95:96], v[175:176], -v[135:136]
	;; [unrolled: 9-line block ×3, first 2 shown]
	v_fma_f64 v[111:112], v[3:4], v[111:112], v[113:114]
	ds_read_b128 v[1:4], v152 offset:1392
	v_add_f64 v[103:104], v[103:104], v[131:132]
	v_add_f64 v[105:106], v[105:106], v[121:122]
	s_waitcnt vmcnt(17) lgkmcnt(1)
	v_mul_f64 v[121:122], v[97:98], v[153:154]
	s_waitcnt vmcnt(16)
	v_fma_f64 v[125:126], v[99:100], v[180:181], -v[125:126]
	v_mul_f64 v[113:114], v[95:96], v[153:154]
	v_fma_f64 v[109:110], v[101:102], v[180:181], v[109:110]
	ds_read_b128 v[99:102], v152 offset:1408
	v_add_f64 v[103:104], v[103:104], v[115:116]
	v_add_f64 v[105:106], v[105:106], v[111:112]
	s_waitcnt vmcnt(15) lgkmcnt(1)
	v_mul_f64 v[115:116], v[3:4], v[155:156]
	v_mul_f64 v[111:112], v[1:2], v[155:156]
	s_waitcnt vmcnt(13)
	v_fma_f64 v[121:122], v[95:96], v[117:118], -v[121:122]
	v_fma_f64 v[113:114], v[97:98], v[117:118], v[113:114]
	ds_read_b128 v[95:98], v152 offset:1424
	v_add_f64 v[103:104], v[103:104], v[125:126]
	v_add_f64 v[105:106], v[105:106], v[109:110]
	s_waitcnt vmcnt(9) lgkmcnt(1)
	v_mul_f64 v[109:110], v[99:100], v[107:108]
	v_mul_f64 v[107:108], v[101:102], v[107:108]
	s_waitcnt vmcnt(8)
	v_fma_f64 v[1:2], v[1:2], v[167:168], -v[115:116]
	v_fma_f64 v[3:4], v[3:4], v[167:168], v[111:112]
	v_add_f64 v[103:104], v[103:104], v[121:122]
	v_add_f64 v[105:106], v[105:106], v[113:114]
	s_waitcnt vmcnt(7) lgkmcnt(0)
	v_mul_f64 v[113:114], v[97:98], v[127:128]
	v_mul_f64 v[111:112], v[95:96], v[127:128]
	s_waitcnt vmcnt(5)
	v_fma_f64 v[99:100], v[99:100], v[123:124], -v[107:108]
	v_fma_f64 v[101:102], v[101:102], v[123:124], v[109:110]
	v_add_f64 v[1:2], v[103:104], v[1:2]
	v_add_f64 v[3:4], v[105:106], v[3:4]
	s_waitcnt vmcnt(4)
	v_fma_f64 v[95:96], v[95:96], v[163:164], -v[113:114]
	v_fma_f64 v[97:98], v[97:98], v[163:164], v[111:112]
	v_add_f64 v[1:2], v[1:2], v[99:100]
	v_add_f64 v[3:4], v[3:4], v[101:102]
	;; [unrolled: 1-line block ×4, first 2 shown]
	s_waitcnt vmcnt(2)
	v_add_f64 v[1:2], v[119:120], -v[1:2]
	s_waitcnt vmcnt(0)
	v_add_f64 v[3:4], v[129:130], -v[3:4]
	buffer_store_dword v2, off, s[0:3], 0 offset:36
	buffer_store_dword v1, off, s[0:3], 0 offset:32
	;; [unrolled: 1-line block ×4, first 2 shown]
	v_cmpx_ne_u32_e32 0, v0
	s_cbranch_execz .LBB108_283
; %bb.282:
	s_clause 0x3
	buffer_load_dword v0, off, s[0:3], 0 offset:16
	buffer_load_dword v1, off, s[0:3], 0 offset:20
	buffer_load_dword v2, off, s[0:3], 0 offset:24
	buffer_load_dword v3, off, s[0:3], 0 offset:28
	buffer_store_dword v152, off, s[0:3], 0 offset:16
	buffer_store_dword v152, off, s[0:3], 0 offset:20
	;; [unrolled: 1-line block ×4, first 2 shown]
	s_waitcnt vmcnt(0)
	ds_write_b128 v151, v[0:3]
.LBB108_283:
	s_or_b32 exec_lo, exec_lo, s4
	s_waitcnt lgkmcnt(0)
	s_waitcnt_vscnt null, 0x0
	s_barrier
	buffer_gl0_inv
	s_clause 0x37
	buffer_load_dword v99, off, s[0:3], 0 offset:40
	buffer_load_dword v100, off, s[0:3], 0 offset:44
	;; [unrolled: 1-line block ×56, first 2 shown]
	ds_read_b128 v[153:156], v152 offset:736
	s_clause 0x2
	buffer_load_dword v148, off, s[0:3], 0 offset:268
	buffer_load_dword v150, off, s[0:3], 0 offset:244
	;; [unrolled: 1-line block ×3, first 2 shown]
	ds_read_b128 v[157:160], v152 offset:752
	s_clause 0x4
	buffer_load_dword v168, off, s[0:3], 0 offset:284
	buffer_load_dword v169, off, s[0:3], 0 offset:296
	;; [unrolled: 1-line block ×5, first 2 shown]
	ds_read_b128 v[161:164], v152 offset:768
	s_clause 0x2
	buffer_load_dword v170, off, s[0:3], 0 offset:300
	buffer_load_dword v175, off, s[0:3], 0 offset:276
	;; [unrolled: 1-line block ×3, first 2 shown]
	s_and_b32 vcc_lo, exec_lo, s57
	s_waitcnt vmcnt(62) lgkmcnt(2)
	v_mul_f64 v[165:166], v[155:156], v[99:100]
	v_mul_f64 v[99:100], v[153:154], v[99:100]
	s_waitcnt lgkmcnt(1)
	v_mul_f64 v[172:173], v[159:160], v[95:96]
	s_waitcnt vmcnt(59) lgkmcnt(0)
	v_mul_f64 v[176:177], v[163:164], v[2:3]
	v_fma_f64 v[153:154], v[153:154], v[97:98], -v[165:166]
	v_mul_f64 v[165:166], v[157:158], v[95:96]
	v_fma_f64 v[99:100], v[155:156], v[97:98], v[99:100]
	s_waitcnt vmcnt(57)
	v_fma_f64 v[157:158], v[157:158], v[0:1], -v[172:173]
	ds_read_b128 v[95:98], v152 offset:784
	v_mul_f64 v[155:156], v[161:162], v[2:3]
	s_waitcnt vmcnt(51)
	v_fma_f64 v[161:162], v[161:162], v[115:116], -v[176:177]
	v_add_f64 v[153:154], v[153:154], 0
	v_fma_f64 v[159:160], v[159:160], v[0:1], v[165:166]
	v_add_f64 v[99:100], v[99:100], 0
	s_clause 0x4
	buffer_load_dword v166, off, s[0:3], 0 offset:316
	buffer_load_dword v178, off, s[0:3], 0 offset:328
	;; [unrolled: 1-line block ×5, first 2 shown]
	s_waitcnt lgkmcnt(0)
	v_mul_f64 v[181:182], v[95:96], v[103:104]
	v_mul_f64 v[103:104], v[97:98], v[103:104]
	ds_read_b128 v[0:3], v152 offset:800
	v_fma_f64 v[115:116], v[163:164], v[115:116], v[155:156]
	v_add_f64 v[157:158], v[153:154], v[157:158]
	v_add_f64 v[99:100], v[99:100], v[159:160]
	s_clause 0x2
	buffer_load_dword v179, off, s[0:3], 0 offset:332
	buffer_load_dword v160, off, s[0:3], 0 offset:308
	;; [unrolled: 1-line block ×3, first 2 shown]
	s_waitcnt vmcnt(58) lgkmcnt(0)
	v_mul_f64 v[163:164], v[0:1], v[107:108]
	v_mul_f64 v[107:108], v[2:3], v[107:108]
	s_waitcnt vmcnt(56)
	v_fma_f64 v[103:104], v[95:96], v[109:110], -v[103:104]
	ds_read_b128 v[153:156], v152 offset:816
	v_fma_f64 v[109:110], v[97:98], v[109:110], v[181:182]
	v_add_f64 v[157:158], v[157:158], v[161:162]
	v_add_f64 v[99:100], v[99:100], v[115:116]
	s_clause 0x4
	buffer_load_dword v116, off, s[0:3], 0 offset:348
	buffer_load_dword v161, off, s[0:3], 0 offset:360
	;; [unrolled: 1-line block ×5, first 2 shown]
	ds_read_b128 v[95:98], v152 offset:832
	s_waitcnt vmcnt(57) lgkmcnt(1)
	v_mul_f64 v[182:183], v[153:154], v[111:112]
	v_mul_f64 v[111:112], v[155:156], v[111:112]
	s_waitcnt vmcnt(56)
	v_fma_f64 v[107:108], v[0:1], v[101:102], -v[107:108]
	v_fma_f64 v[101:102], v[2:3], v[101:102], v[163:164]
	v_add_f64 v[103:104], v[157:158], v[103:104]
	v_add_f64 v[99:100], v[99:100], v[109:110]
	s_clause 0x2
	buffer_load_dword v162, off, s[0:3], 0 offset:364
	buffer_load_dword v110, off, s[0:3], 0 offset:340
	;; [unrolled: 1-line block ×3, first 2 shown]
	s_waitcnt vmcnt(58) lgkmcnt(0)
	v_mul_f64 v[157:158], v[95:96], v[117:118]
	v_mul_f64 v[117:118], v[97:98], v[117:118]
	s_waitcnt vmcnt(56)
	v_fma_f64 v[111:112], v[153:154], v[119:120], -v[111:112]
	ds_read_b128 v[0:3], v152 offset:848
	v_add_f64 v[103:104], v[103:104], v[107:108]
	v_fma_f64 v[107:108], v[155:156], v[119:120], v[182:183]
	v_add_f64 v[119:120], v[99:100], v[101:102]
	s_clause 0x4
	buffer_load_dword v154, off, s[0:3], 0 offset:380
	buffer_load_dword v155, off, s[0:3], 0 offset:392
	;; [unrolled: 1-line block ×5, first 2 shown]
	ds_read_b128 v[99:102], v152 offset:864
	s_waitcnt vmcnt(57) lgkmcnt(1)
	v_mul_f64 v[182:183], v[0:1], v[121:122]
	v_mul_f64 v[121:122], v[2:3], v[121:122]
	s_waitcnt vmcnt(56)
	v_fma_f64 v[117:118], v[95:96], v[105:106], -v[117:118]
	v_fma_f64 v[105:106], v[97:98], v[105:106], v[157:158]
	v_add_f64 v[103:104], v[103:104], v[111:112]
	s_clause 0x2
	buffer_load_dword v156, off, s[0:3], 0 offset:396
	buffer_load_dword v112, off, s[0:3], 0 offset:372
	;; [unrolled: 1-line block ×3, first 2 shown]
	v_add_f64 v[107:108], v[119:120], v[107:108]
	s_waitcnt vmcnt(58) lgkmcnt(0)
	v_mul_f64 v[119:120], v[99:100], v[125:126]
	v_mul_f64 v[125:126], v[101:102], v[125:126]
	ds_read_b128 v[95:98], v152 offset:880
	s_waitcnt vmcnt(56)
	v_fma_f64 v[121:122], v[0:1], v[127:128], -v[121:122]
	v_add_f64 v[103:104], v[103:104], v[117:118]
	v_fma_f64 v[117:118], v[2:3], v[127:128], v[182:183]
	v_add_f64 v[105:106], v[107:108], v[105:106]
	s_clause 0x4
	buffer_load_dword v108, off, s[0:3], 0 offset:412
	buffer_load_dword v127, off, s[0:3], 0 offset:424
	;; [unrolled: 1-line block ×5, first 2 shown]
	s_waitcnt vmcnt(57) lgkmcnt(0)
	v_mul_f64 v[182:183], v[95:96], v[129:130]
	v_mul_f64 v[129:130], v[97:98], v[129:130]
	s_waitcnt vmcnt(56)
	v_fma_f64 v[125:126], v[99:100], v[113:114], -v[125:126]
	ds_read_b128 v[0:3], v152 offset:896
	v_fma_f64 v[113:114], v[101:102], v[113:114], v[119:120]
	v_add_f64 v[103:104], v[103:104], v[121:122]
	v_add_f64 v[105:106], v[105:106], v[117:118]
	s_clause 0x2
	buffer_load_dword v128, off, s[0:3], 0 offset:428
	buffer_load_dword v118, off, s[0:3], 0 offset:404
	;; [unrolled: 1-line block ×3, first 2 shown]
	ds_read_b128 v[99:102], v152 offset:912
	s_waitcnt vmcnt(58) lgkmcnt(1)
	v_mul_f64 v[121:122], v[2:3], v[133:134]
	s_waitcnt vmcnt(56)
	v_fma_f64 v[129:130], v[95:96], v[135:136], -v[129:130]
	v_mul_f64 v[119:120], v[0:1], v[133:134]
	v_add_f64 v[103:104], v[103:104], v[125:126]
	v_fma_f64 v[125:126], v[97:98], v[135:136], v[182:183]
	v_add_f64 v[105:106], v[105:106], v[113:114]
	s_clause 0x4
	buffer_load_dword v114, off, s[0:3], 0 offset:444
	buffer_load_dword v133, off, s[0:3], 0 offset:456
	;; [unrolled: 1-line block ×5, first 2 shown]
	s_waitcnt vmcnt(57) lgkmcnt(0)
	v_mul_f64 v[182:183], v[99:100], v[137:138]
	v_mul_f64 v[136:137], v[101:102], v[137:138]
	s_waitcnt vmcnt(56)
	v_fma_f64 v[121:122], v[0:1], v[123:124], -v[121:122]
	ds_read_b128 v[95:98], v152 offset:928
	v_fma_f64 v[119:120], v[2:3], v[123:124], v[119:120]
	s_clause 0x2
	buffer_load_dword v134, off, s[0:3], 0 offset:460
	buffer_load_dword v124, off, s[0:3], 0 offset:436
	buffer_load_dword v123, off, s[0:3], 0 offset:432
	ds_read_b128 v[0:3], v152 offset:944
	v_add_f64 v[103:104], v[103:104], v[129:130]
	v_add_f64 v[105:106], v[105:106], v[125:126]
	s_waitcnt vmcnt(58) lgkmcnt(1)
	v_mul_f64 v[129:130], v[97:98], v[141:142]
	s_waitcnt vmcnt(56)
	v_fma_f64 v[137:138], v[99:100], v[143:144], -v[136:137]
	v_mul_f64 v[125:126], v[95:96], v[141:142]
	v_add_f64 v[103:104], v[103:104], v[121:122]
	v_fma_f64 v[121:122], v[101:102], v[143:144], v[182:183]
	v_add_f64 v[105:106], v[105:106], v[119:120]
	s_clause 0x4
	buffer_load_dword v120, off, s[0:3], 0 offset:476
	buffer_load_dword v141, off, s[0:3], 0 offset:488
	;; [unrolled: 1-line block ×5, first 2 shown]
	s_waitcnt vmcnt(57) lgkmcnt(0)
	v_mul_f64 v[182:183], v[0:1], v[145:146]
	v_mul_f64 v[144:145], v[2:3], v[145:146]
	s_waitcnt vmcnt(56)
	v_fma_f64 v[129:130], v[95:96], v[131:132], -v[129:130]
	ds_read_b128 v[99:102], v152 offset:960
	v_fma_f64 v[125:126], v[97:98], v[131:132], v[125:126]
	v_add_f64 v[103:104], v[103:104], v[137:138]
	v_add_f64 v[105:106], v[105:106], v[121:122]
	s_clause 0x2
	buffer_load_dword v142, off, s[0:3], 0 offset:492
	buffer_load_dword v122, off, s[0:3], 0 offset:468
	;; [unrolled: 1-line block ×3, first 2 shown]
	ds_read_b128 v[95:98], v152 offset:976
	s_waitcnt vmcnt(58) lgkmcnt(1)
	v_mul_f64 v[137:138], v[101:102], v[147:148]
	s_waitcnt vmcnt(56)
	v_fma_f64 v[145:146], v[0:1], v[149:150], -v[144:145]
	v_mul_f64 v[131:132], v[99:100], v[147:148]
	v_add_f64 v[103:104], v[103:104], v[129:130]
	v_fma_f64 v[129:130], v[2:3], v[149:150], v[182:183]
	v_add_f64 v[105:106], v[105:106], v[125:126]
	s_clause 0x4
	buffer_load_dword v126, off, s[0:3], 0 offset:508
	buffer_load_dword v147, off, s[0:3], 0 offset:520
	;; [unrolled: 1-line block ×5, first 2 shown]
	s_waitcnt vmcnt(57) lgkmcnt(0)
	v_mul_f64 v[150:151], v[95:96], v[167:168]
	v_mul_f64 v[167:168], v[97:98], v[167:168]
	s_waitcnt vmcnt(56)
	v_fma_f64 v[137:138], v[99:100], v[139:140], -v[137:138]
	ds_read_b128 v[0:3], v152 offset:992
	v_fma_f64 v[131:132], v[101:102], v[139:140], v[131:132]
	v_add_f64 v[103:104], v[103:104], v[145:146]
	v_add_f64 v[105:106], v[105:106], v[129:130]
	s_clause 0x2
	buffer_load_dword v148, off, s[0:3], 0 offset:524
	buffer_load_dword v130, off, s[0:3], 0 offset:500
	buffer_load_dword v129, off, s[0:3], 0 offset:496
	ds_read_b128 v[99:102], v152 offset:1008
	s_waitcnt vmcnt(58) lgkmcnt(1)
	v_mul_f64 v[145:146], v[2:3], v[169:170]
	s_waitcnt vmcnt(56)
	v_fma_f64 v[167:168], v[95:96], v[174:175], -v[167:168]
	v_mul_f64 v[139:140], v[0:1], v[169:170]
	v_add_f64 v[103:104], v[103:104], v[137:138]
	v_fma_f64 v[137:138], v[97:98], v[174:175], v[150:151]
	v_add_f64 v[105:106], v[105:106], v[131:132]
	s_clause 0x4
	buffer_load_dword v132, off, s[0:3], 0 offset:540
	buffer_load_dword v169, off, s[0:3], 0 offset:552
	;; [unrolled: 1-line block ×5, first 2 shown]
	ds_read_b128 v[95:98], v152 offset:1024
	s_waitcnt vmcnt(57) lgkmcnt(1)
	v_mul_f64 v[174:175], v[99:100], v[165:166]
	v_mul_f64 v[165:166], v[101:102], v[165:166]
	s_waitcnt vmcnt(56)
	v_fma_f64 v[145:146], v[0:1], v[171:172], -v[145:146]
	v_fma_f64 v[139:140], v[2:3], v[171:172], v[139:140]
	v_add_f64 v[103:104], v[103:104], v[167:168]
	v_add_f64 v[105:106], v[105:106], v[137:138]
	s_clause 0x2
	buffer_load_dword v170, off, s[0:3], 0 offset:556
	buffer_load_dword v138, off, s[0:3], 0 offset:532
	;; [unrolled: 1-line block ×3, first 2 shown]
	ds_read_b128 v[0:3], v152 offset:1040
	s_waitcnt vmcnt(58) lgkmcnt(1)
	v_mul_f64 v[171:172], v[97:98], v[178:179]
	v_mul_f64 v[167:168], v[95:96], v[178:179]
	s_waitcnt vmcnt(56)
	v_fma_f64 v[165:166], v[99:100], v[159:160], -v[165:166]
	v_add_f64 v[103:104], v[103:104], v[145:146]
	v_fma_f64 v[145:146], v[101:102], v[159:160], v[174:175]
	v_add_f64 v[105:106], v[105:106], v[139:140]
	s_clause 0x4
	buffer_load_dword v140, off, s[0:3], 0 offset:572
	buffer_load_dword v159, off, s[0:3], 0 offset:584
	buffer_load_dword v178, off, s[0:3], 0 offset:576
	buffer_load_dword v139, off, s[0:3], 0 offset:568
	buffer_load_dword v174, off, s[0:3], 0 offset:548
	ds_read_b128 v[99:102], v152 offset:1056
	s_waitcnt vmcnt(57) lgkmcnt(1)
	v_mul_f64 v[182:183], v[0:1], v[115:116]
	v_mul_f64 v[115:116], v[2:3], v[115:116]
	s_waitcnt vmcnt(56)
	v_fma_f64 v[171:172], v[95:96], v[180:181], -v[171:172]
	v_add_f64 v[103:104], v[103:104], v[165:166]
	v_fma_f64 v[165:166], v[97:98], v[180:181], v[167:168]
	v_add_f64 v[105:106], v[105:106], v[145:146]
	s_clause 0x2
	buffer_load_dword v160, off, s[0:3], 0 offset:588
	buffer_load_dword v146, off, s[0:3], 0 offset:564
	buffer_load_dword v145, off, s[0:3], 0 offset:560
	ds_read_b128 v[95:98], v152 offset:1072
	s_waitcnt vmcnt(58) lgkmcnt(1)
	v_mul_f64 v[167:168], v[99:100], v[161:162]
	v_mul_f64 v[161:162], v[101:102], v[161:162]
	s_waitcnt vmcnt(56)
	v_fma_f64 v[115:116], v[0:1], v[109:110], -v[115:116]
	v_fma_f64 v[109:110], v[2:3], v[109:110], v[182:183]
	v_add_f64 v[103:104], v[103:104], v[171:172]
	v_add_f64 v[105:106], v[105:106], v[165:166]
	s_clause 0x4
	buffer_load_dword v166, off, s[0:3], 0 offset:604
	buffer_load_dword v171, off, s[0:3], 0 offset:616
	buffer_load_dword v175, off, s[0:3], 0 offset:608
	buffer_load_dword v165, off, s[0:3], 0 offset:600
	buffer_load_dword v179, off, s[0:3], 0 offset:580
	ds_read_b128 v[0:3], v152 offset:1088
	s_waitcnt vmcnt(57) lgkmcnt(1)
	v_mul_f64 v[180:181], v[95:96], v[153:154]
	v_mul_f64 v[153:154], v[97:98], v[153:154]
	s_waitcnt vmcnt(56)
	v_fma_f64 v[161:162], v[99:100], v[176:177], -v[161:162]
	v_add_f64 v[103:104], v[103:104], v[115:116]
	v_fma_f64 v[115:116], v[101:102], v[176:177], v[167:168]
	v_add_f64 v[105:106], v[105:106], v[109:110]
	s_clause 0x2
	buffer_load_dword v172, off, s[0:3], 0 offset:620
	buffer_load_dword v110, off, s[0:3], 0 offset:596
	buffer_load_dword v109, off, s[0:3], 0 offset:592
	ds_read_b128 v[99:102], v152 offset:1104
	s_waitcnt vmcnt(58) lgkmcnt(1)
	v_mul_f64 v[167:168], v[0:1], v[155:156]
	v_mul_f64 v[155:156], v[2:3], v[155:156]
	s_waitcnt vmcnt(56)
	v_fma_f64 v[153:154], v[95:96], v[111:112], -v[153:154]
	v_fma_f64 v[111:112], v[97:98], v[111:112], v[180:181]
	v_add_f64 v[103:104], v[103:104], v[161:162]
	;; [unrolled: 28-line block ×3, first 2 shown]
	v_add_f64 v[105:106], v[105:106], v[153:154]
	s_clause 0x4
	buffer_load_dword v154, off, s[0:3], 0 offset:668
	buffer_load_dword v155, off, s[0:3], 0 offset:680
	;; [unrolled: 1-line block ×5, first 2 shown]
	ds_read_b128 v[99:102], v152 offset:1152
	s_waitcnt vmcnt(57) lgkmcnt(1)
	v_mul_f64 v[182:183], v[0:1], v[113:114]
	v_mul_f64 v[113:114], v[2:3], v[113:114]
	s_waitcnt vmcnt(56)
	v_fma_f64 v[127:128], v[95:96], v[157:158], -v[127:128]
	v_add_f64 v[103:104], v[103:104], v[107:108]
	v_fma_f64 v[107:108], v[97:98], v[157:158], v[163:164]
	v_add_f64 v[105:106], v[105:106], v[117:118]
	s_clause 0x2
	buffer_load_dword v156, off, s[0:3], 0 offset:684
	buffer_load_dword v118, off, s[0:3], 0 offset:660
	buffer_load_dword v117, off, s[0:3], 0 offset:656
	s_waitcnt vmcnt(58) lgkmcnt(0)
	v_mul_f64 v[157:158], v[99:100], v[133:134]
	v_mul_f64 v[133:134], v[101:102], v[133:134]
	ds_read_b128 v[95:98], v152 offset:1168
	s_waitcnt vmcnt(56)
	v_fma_f64 v[113:114], v[0:1], v[123:124], -v[113:114]
	v_fma_f64 v[123:124], v[2:3], v[123:124], v[182:183]
	v_add_f64 v[103:104], v[103:104], v[127:128]
	v_add_f64 v[105:106], v[105:106], v[107:108]
	s_clause 0x4
	buffer_load_dword v108, off, s[0:3], 0 offset:700
	buffer_load_dword v127, off, s[0:3], 0 offset:712
	;; [unrolled: 1-line block ×5, first 2 shown]
	ds_read_b128 v[0:3], v152 offset:1184
	s_waitcnt vmcnt(57) lgkmcnt(1)
	v_mul_f64 v[182:183], v[95:96], v[119:120]
	v_mul_f64 v[119:120], v[97:98], v[119:120]
	s_waitcnt vmcnt(56)
	v_fma_f64 v[133:134], v[99:100], v[135:136], -v[133:134]
	v_add_f64 v[103:104], v[103:104], v[113:114]
	v_fma_f64 v[113:114], v[101:102], v[135:136], v[157:158]
	v_add_f64 v[105:106], v[105:106], v[123:124]
	s_clause 0x2
	buffer_load_dword v128, off, s[0:3], 0 offset:716
	buffer_load_dword v124, off, s[0:3], 0 offset:692
	;; [unrolled: 1-line block ×3, first 2 shown]
	ds_read_b128 v[99:102], v152 offset:1200
	s_waitcnt vmcnt(58) lgkmcnt(1)
	v_mul_f64 v[135:136], v[0:1], v[141:142]
	v_mul_f64 v[141:142], v[2:3], v[141:142]
	s_waitcnt vmcnt(56)
	v_fma_f64 v[119:120], v[95:96], v[121:122], -v[119:120]
	v_fma_f64 v[121:122], v[97:98], v[121:122], v[182:183]
	v_add_f64 v[103:104], v[103:104], v[133:134]
	v_add_f64 v[105:106], v[105:106], v[113:114]
	s_clause 0x2
	buffer_load_dword v114, off, s[0:3], 0 offset:732
	buffer_load_dword v113, off, s[0:3], 0 offset:728
	;; [unrolled: 1-line block ×3, first 2 shown]
	ds_read_b128 v[95:98], v152 offset:1216
	s_waitcnt vmcnt(55) lgkmcnt(1)
	v_mul_f64 v[133:134], v[99:100], v[125:126]
	v_mul_f64 v[125:126], v[101:102], v[125:126]
	s_waitcnt vmcnt(54)
	v_fma_f64 v[141:142], v[0:1], v[143:144], -v[141:142]
	v_add_f64 v[103:104], v[103:104], v[119:120]
	v_fma_f64 v[119:120], v[2:3], v[143:144], v[135:136]
	v_add_f64 v[105:106], v[105:106], v[121:122]
	s_clause 0x1
	buffer_load_dword v122, off, s[0:3], 0 offset:724
	buffer_load_dword v121, off, s[0:3], 0 offset:720
	ds_read_b128 v[0:3], v152 offset:1232
	s_waitcnt vmcnt(55) lgkmcnt(1)
	v_mul_f64 v[143:144], v[97:98], v[147:148]
	v_mul_f64 v[135:136], v[95:96], v[147:148]
	s_waitcnt vmcnt(53)
	v_fma_f64 v[125:126], v[99:100], v[129:130], -v[125:126]
	v_fma_f64 v[129:130], v[101:102], v[129:130], v[133:134]
	ds_read_b128 v[99:102], v152 offset:1248
	v_add_f64 v[103:104], v[103:104], v[141:142]
	v_add_f64 v[105:106], v[105:106], v[119:120]
	s_waitcnt vmcnt(49) lgkmcnt(1)
	v_mul_f64 v[119:120], v[0:1], v[131:132]
	v_mul_f64 v[131:132], v[2:3], v[131:132]
	s_waitcnt vmcnt(48)
	v_fma_f64 v[133:134], v[95:96], v[149:150], -v[143:144]
	v_add_f64 v[103:104], v[103:104], v[125:126]
	v_fma_f64 v[125:126], v[97:98], v[149:150], v[135:136]
	v_add_f64 v[105:106], v[105:106], v[129:130]
	s_clause 0x3
	buffer_load_dword v129, off, s[0:3], 0 offset:16
	buffer_load_dword v130, off, s[0:3], 0 offset:20
	;; [unrolled: 1-line block ×4, first 2 shown]
	ds_read_b128 v[95:98], v152 offset:1264
	s_waitcnt vmcnt(51) lgkmcnt(1)
	v_mul_f64 v[143:144], v[101:102], v[169:170]
	v_mul_f64 v[141:142], v[99:100], v[169:170]
	s_waitcnt vmcnt(49)
	v_fma_f64 v[131:132], v[0:1], v[137:138], -v[131:132]
	v_fma_f64 v[119:120], v[2:3], v[137:138], v[119:120]
	ds_read_b128 v[0:3], v152 offset:1280
	v_add_f64 v[103:104], v[103:104], v[133:134]
	v_add_f64 v[105:106], v[105:106], v[125:126]
	s_waitcnt vmcnt(45) lgkmcnt(1)
	v_mul_f64 v[133:134], v[97:98], v[139:140]
	s_waitcnt vmcnt(44)
	v_fma_f64 v[137:138], v[99:100], v[173:174], -v[143:144]
	v_mul_f64 v[125:126], v[95:96], v[139:140]
	v_add_f64 v[103:104], v[103:104], v[131:132]
	v_fma_f64 v[131:132], v[101:102], v[173:174], v[141:142]
	v_add_f64 v[105:106], v[105:106], v[119:120]
	ds_read_b128 v[99:102], v152 offset:1296
	s_waitcnt vmcnt(43) lgkmcnt(1)
	v_mul_f64 v[139:140], v[2:3], v[159:160]
	v_mul_f64 v[119:120], v[0:1], v[159:160]
	s_waitcnt vmcnt(41)
	v_fma_f64 v[133:134], v[95:96], v[145:146], -v[133:134]
	v_fma_f64 v[125:126], v[97:98], v[145:146], v[125:126]
	ds_read_b128 v[95:98], v152 offset:1312
	v_add_f64 v[103:104], v[103:104], v[137:138]
	v_add_f64 v[105:106], v[105:106], v[131:132]
	s_waitcnt vmcnt(37) lgkmcnt(1)
	v_mul_f64 v[137:138], v[101:102], v[165:166]
	s_waitcnt vmcnt(36)
	v_fma_f64 v[139:140], v[0:1], v[178:179], -v[139:140]
	v_mul_f64 v[131:132], v[99:100], v[165:166]
	v_fma_f64 v[119:120], v[2:3], v[178:179], v[119:120]
	ds_read_b128 v[0:3], v152 offset:1328
	v_add_f64 v[103:104], v[103:104], v[133:134]
	v_add_f64 v[105:106], v[105:106], v[125:126]
	s_waitcnt vmcnt(35) lgkmcnt(1)
	v_mul_f64 v[133:134], v[97:98], v[171:172]
	v_mul_f64 v[125:126], v[95:96], v[171:172]
	s_waitcnt vmcnt(33)
	v_fma_f64 v[137:138], v[99:100], v[109:110], -v[137:138]
	v_fma_f64 v[109:110], v[101:102], v[109:110], v[131:132]
	ds_read_b128 v[99:102], v152 offset:1344
	v_add_f64 v[103:104], v[103:104], v[139:140]
	v_add_f64 v[105:106], v[105:106], v[119:120]
	s_waitcnt vmcnt(29) lgkmcnt(1)
	v_mul_f64 v[119:120], v[0:1], v[115:116]
	v_mul_f64 v[115:116], v[2:3], v[115:116]
	s_waitcnt vmcnt(28)
	v_fma_f64 v[131:132], v[95:96], v[175:176], -v[133:134]
	;; [unrolled: 9-line block ×3, first 2 shown]
	v_fma_f64 v[111:112], v[2:3], v[111:112], v[119:120]
	ds_read_b128 v[0:3], v152 offset:1376
	v_add_f64 v[103:104], v[103:104], v[131:132]
	v_add_f64 v[105:106], v[105:106], v[125:126]
	s_waitcnt vmcnt(21) lgkmcnt(1)
	v_mul_f64 v[125:126], v[97:98], v[153:154]
	s_waitcnt vmcnt(20)
	v_fma_f64 v[131:132], v[99:100], v[180:181], -v[133:134]
	v_mul_f64 v[119:120], v[95:96], v[153:154]
	v_fma_f64 v[109:110], v[101:102], v[180:181], v[109:110]
	ds_read_b128 v[99:102], v152 offset:1392
	v_add_f64 v[103:104], v[103:104], v[115:116]
	v_add_f64 v[105:106], v[105:106], v[111:112]
	s_waitcnt vmcnt(19) lgkmcnt(1)
	v_mul_f64 v[115:116], v[2:3], v[155:156]
	v_mul_f64 v[111:112], v[0:1], v[155:156]
	s_waitcnt vmcnt(17)
	v_fma_f64 v[125:126], v[95:96], v[117:118], -v[125:126]
	v_fma_f64 v[117:118], v[97:98], v[117:118], v[119:120]
	ds_read_b128 v[95:98], v152 offset:1408
	v_add_f64 v[103:104], v[103:104], v[131:132]
	v_add_f64 v[105:106], v[105:106], v[109:110]
	s_waitcnt vmcnt(13) lgkmcnt(1)
	v_mul_f64 v[109:110], v[99:100], v[107:108]
	v_mul_f64 v[107:108], v[101:102], v[107:108]
	s_waitcnt vmcnt(12)
	v_fma_f64 v[115:116], v[0:1], v[167:168], -v[115:116]
	;; [unrolled: 9-line block ×3, first 2 shown]
	v_fma_f64 v[101:102], v[101:102], v[123:124], v[109:110]
	v_add_f64 v[103:104], v[103:104], v[115:116]
	v_add_f64 v[105:106], v[105:106], v[111:112]
	s_waitcnt vmcnt(7) lgkmcnt(0)
	v_mul_f64 v[109:110], v[2:3], v[113:114]
	s_waitcnt vmcnt(6)
	v_fma_f64 v[95:96], v[95:96], v[163:164], -v[119:120]
	v_mul_f64 v[107:108], v[0:1], v[113:114]
	v_fma_f64 v[97:98], v[97:98], v[163:164], v[117:118]
	v_add_f64 v[99:100], v[103:104], v[99:100]
	v_add_f64 v[101:102], v[105:106], v[101:102]
	s_waitcnt vmcnt(4)
	v_fma_f64 v[0:1], v[0:1], v[121:122], -v[109:110]
	v_fma_f64 v[2:3], v[2:3], v[121:122], v[107:108]
	v_add_f64 v[95:96], v[99:100], v[95:96]
	v_add_f64 v[97:98], v[101:102], v[97:98]
	;; [unrolled: 1-line block ×4, first 2 shown]
	s_waitcnt vmcnt(2)
	v_add_f64 v[0:1], v[129:130], -v[0:1]
	s_waitcnt vmcnt(0)
	v_add_f64 v[2:3], v[135:136], -v[2:3]
	buffer_store_dword v1, off, s[0:3], 0 offset:20
	buffer_store_dword v0, off, s[0:3], 0 offset:16
	;; [unrolled: 1-line block ×4, first 2 shown]
	s_cbranch_vccz .LBB108_372
; %bb.284:
	v_mov_b32_e32 v0, 0
	global_load_dword v1, v0, s[12:13] offset:172
	s_waitcnt vmcnt(0)
	v_add_nc_u32_e32 v1, -1, v1
	v_cmp_ne_u32_e32 vcc_lo, 43, v1
	s_cbranch_vccz .LBB108_286
; %bb.285:
	v_lshlrev_b32_e32 v1, 4, v1
	v_mov_b32_e32 v2, s9
	v_add_nc_u32_e32 v1, 16, v1
	s_clause 0x7
	buffer_load_dword v3, v1, s[0:3], 0 offen
	buffer_load_dword v4, v1, s[0:3], 0 offen offset:4
	buffer_load_dword v95, v1, s[0:3], 0 offen offset:8
	;; [unrolled: 1-line block ×6, first 2 shown]
	buffer_load_dword v100, v2, s[0:3], 0 offen
	s_waitcnt vmcnt(7)
	buffer_store_dword v3, v2, s[0:3], 0 offen
	s_waitcnt vmcnt(6)
	buffer_store_dword v4, v2, s[0:3], 0 offen offset:4
	s_waitcnt vmcnt(5)
	buffer_store_dword v95, v2, s[0:3], 0 offen offset:8
	;; [unrolled: 2-line block ×6, first 2 shown]
	s_waitcnt vmcnt(0)
	buffer_store_dword v100, v1, s[0:3], 0 offen
.LBB108_286:
	global_load_dword v0, v0, s[12:13] offset:168
	s_waitcnt vmcnt(0)
	v_add_nc_u32_e32 v0, -1, v0
	v_cmp_eq_u32_e32 vcc_lo, 42, v0
	s_cbranch_vccnz .LBB108_288
; %bb.287:
	v_lshlrev_b32_e32 v0, 4, v0
	v_mov_b32_e32 v1, s14
	v_add_nc_u32_e32 v0, 16, v0
	s_clause 0x7
	buffer_load_dword v2, v0, s[0:3], 0 offen
	buffer_load_dword v3, v0, s[0:3], 0 offen offset:4
	buffer_load_dword v4, v0, s[0:3], 0 offen offset:8
	;; [unrolled: 1-line block ×6, first 2 shown]
	buffer_load_dword v99, v1, s[0:3], 0 offen
	s_waitcnt vmcnt(7)
	buffer_store_dword v2, v1, s[0:3], 0 offen
	s_waitcnt vmcnt(6)
	buffer_store_dword v3, v1, s[0:3], 0 offen offset:4
	s_waitcnt vmcnt(5)
	buffer_store_dword v4, v1, s[0:3], 0 offen offset:8
	;; [unrolled: 2-line block ×6, first 2 shown]
	s_waitcnt vmcnt(0)
	buffer_store_dword v99, v0, s[0:3], 0 offen
.LBB108_288:
	v_mov_b32_e32 v0, 0
	global_load_dword v1, v0, s[12:13] offset:164
	s_waitcnt vmcnt(0)
	v_add_nc_u32_e32 v1, -1, v1
	v_cmp_eq_u32_e32 vcc_lo, 41, v1
	s_cbranch_vccnz .LBB108_290
; %bb.289:
	v_lshlrev_b32_e32 v1, 4, v1
	v_mov_b32_e32 v2, s15
	v_add_nc_u32_e32 v1, 16, v1
	s_clause 0x7
	buffer_load_dword v3, v1, s[0:3], 0 offen
	buffer_load_dword v4, v1, s[0:3], 0 offen offset:4
	buffer_load_dword v95, v1, s[0:3], 0 offen offset:8
	;; [unrolled: 1-line block ×6, first 2 shown]
	buffer_load_dword v100, v2, s[0:3], 0 offen
	s_waitcnt vmcnt(7)
	buffer_store_dword v3, v2, s[0:3], 0 offen
	s_waitcnt vmcnt(6)
	buffer_store_dword v4, v2, s[0:3], 0 offen offset:4
	s_waitcnt vmcnt(5)
	buffer_store_dword v95, v2, s[0:3], 0 offen offset:8
	;; [unrolled: 2-line block ×6, first 2 shown]
	s_waitcnt vmcnt(0)
	buffer_store_dword v100, v1, s[0:3], 0 offen
.LBB108_290:
	global_load_dword v0, v0, s[12:13] offset:160
	s_waitcnt vmcnt(0)
	v_add_nc_u32_e32 v0, -1, v0
	v_cmp_eq_u32_e32 vcc_lo, 40, v0
	s_cbranch_vccnz .LBB108_292
; %bb.291:
	v_lshlrev_b32_e32 v0, 4, v0
	v_mov_b32_e32 v1, s16
	v_add_nc_u32_e32 v0, 16, v0
	s_clause 0x7
	buffer_load_dword v2, v0, s[0:3], 0 offen
	buffer_load_dword v3, v0, s[0:3], 0 offen offset:4
	buffer_load_dword v4, v0, s[0:3], 0 offen offset:8
	;; [unrolled: 1-line block ×6, first 2 shown]
	buffer_load_dword v99, v1, s[0:3], 0 offen
	s_waitcnt vmcnt(7)
	buffer_store_dword v2, v1, s[0:3], 0 offen
	s_waitcnt vmcnt(6)
	buffer_store_dword v3, v1, s[0:3], 0 offen offset:4
	s_waitcnt vmcnt(5)
	buffer_store_dword v4, v1, s[0:3], 0 offen offset:8
	;; [unrolled: 2-line block ×6, first 2 shown]
	s_waitcnt vmcnt(0)
	buffer_store_dword v99, v0, s[0:3], 0 offen
.LBB108_292:
	v_mov_b32_e32 v0, 0
	global_load_dword v1, v0, s[12:13] offset:156
	s_waitcnt vmcnt(0)
	v_add_nc_u32_e32 v1, -1, v1
	v_cmp_eq_u32_e32 vcc_lo, 39, v1
	s_cbranch_vccnz .LBB108_294
; %bb.293:
	v_lshlrev_b32_e32 v1, 4, v1
	v_mov_b32_e32 v2, s17
	v_add_nc_u32_e32 v1, 16, v1
	s_clause 0x7
	buffer_load_dword v3, v1, s[0:3], 0 offen
	buffer_load_dword v4, v1, s[0:3], 0 offen offset:4
	buffer_load_dword v95, v1, s[0:3], 0 offen offset:8
	;; [unrolled: 1-line block ×6, first 2 shown]
	buffer_load_dword v100, v2, s[0:3], 0 offen
	s_waitcnt vmcnt(7)
	buffer_store_dword v3, v2, s[0:3], 0 offen
	s_waitcnt vmcnt(6)
	buffer_store_dword v4, v2, s[0:3], 0 offen offset:4
	s_waitcnt vmcnt(5)
	buffer_store_dword v95, v2, s[0:3], 0 offen offset:8
	;; [unrolled: 2-line block ×6, first 2 shown]
	s_waitcnt vmcnt(0)
	buffer_store_dword v100, v1, s[0:3], 0 offen
.LBB108_294:
	global_load_dword v0, v0, s[12:13] offset:152
	s_waitcnt vmcnt(0)
	v_add_nc_u32_e32 v0, -1, v0
	v_cmp_eq_u32_e32 vcc_lo, 38, v0
	s_cbranch_vccnz .LBB108_296
; %bb.295:
	v_lshlrev_b32_e32 v0, 4, v0
	v_mov_b32_e32 v1, s18
	v_add_nc_u32_e32 v0, 16, v0
	s_clause 0x7
	buffer_load_dword v2, v0, s[0:3], 0 offen
	buffer_load_dword v3, v0, s[0:3], 0 offen offset:4
	buffer_load_dword v4, v0, s[0:3], 0 offen offset:8
	;; [unrolled: 1-line block ×6, first 2 shown]
	buffer_load_dword v99, v1, s[0:3], 0 offen
	s_waitcnt vmcnt(7)
	buffer_store_dword v2, v1, s[0:3], 0 offen
	s_waitcnt vmcnt(6)
	buffer_store_dword v3, v1, s[0:3], 0 offen offset:4
	s_waitcnt vmcnt(5)
	buffer_store_dword v4, v1, s[0:3], 0 offen offset:8
	s_waitcnt vmcnt(4)
	buffer_store_dword v95, v1, s[0:3], 0 offen offset:12
	s_waitcnt vmcnt(3)
	buffer_store_dword v96, v0, s[0:3], 0 offen offset:12
	s_waitcnt vmcnt(2)
	buffer_store_dword v97, v0, s[0:3], 0 offen offset:8
	s_waitcnt vmcnt(1)
	buffer_store_dword v98, v0, s[0:3], 0 offen offset:4
	s_waitcnt vmcnt(0)
	buffer_store_dword v99, v0, s[0:3], 0 offen
.LBB108_296:
	v_mov_b32_e32 v0, 0
	global_load_dword v1, v0, s[12:13] offset:148
	s_waitcnt vmcnt(0)
	v_add_nc_u32_e32 v1, -1, v1
	v_cmp_eq_u32_e32 vcc_lo, 37, v1
	s_cbranch_vccnz .LBB108_298
; %bb.297:
	v_lshlrev_b32_e32 v1, 4, v1
	v_mov_b32_e32 v2, s19
	v_add_nc_u32_e32 v1, 16, v1
	s_clause 0x7
	buffer_load_dword v3, v1, s[0:3], 0 offen
	buffer_load_dword v4, v1, s[0:3], 0 offen offset:4
	buffer_load_dword v95, v1, s[0:3], 0 offen offset:8
	;; [unrolled: 1-line block ×6, first 2 shown]
	buffer_load_dword v100, v2, s[0:3], 0 offen
	s_waitcnt vmcnt(7)
	buffer_store_dword v3, v2, s[0:3], 0 offen
	s_waitcnt vmcnt(6)
	buffer_store_dword v4, v2, s[0:3], 0 offen offset:4
	s_waitcnt vmcnt(5)
	buffer_store_dword v95, v2, s[0:3], 0 offen offset:8
	;; [unrolled: 2-line block ×6, first 2 shown]
	s_waitcnt vmcnt(0)
	buffer_store_dword v100, v1, s[0:3], 0 offen
.LBB108_298:
	global_load_dword v0, v0, s[12:13] offset:144
	s_waitcnt vmcnt(0)
	v_add_nc_u32_e32 v0, -1, v0
	v_cmp_eq_u32_e32 vcc_lo, 36, v0
	s_cbranch_vccnz .LBB108_300
; %bb.299:
	v_lshlrev_b32_e32 v0, 4, v0
	v_mov_b32_e32 v1, s20
	v_add_nc_u32_e32 v0, 16, v0
	s_clause 0x7
	buffer_load_dword v2, v0, s[0:3], 0 offen
	buffer_load_dword v3, v0, s[0:3], 0 offen offset:4
	buffer_load_dword v4, v0, s[0:3], 0 offen offset:8
	;; [unrolled: 1-line block ×6, first 2 shown]
	buffer_load_dword v99, v1, s[0:3], 0 offen
	s_waitcnt vmcnt(7)
	buffer_store_dword v2, v1, s[0:3], 0 offen
	s_waitcnt vmcnt(6)
	buffer_store_dword v3, v1, s[0:3], 0 offen offset:4
	s_waitcnt vmcnt(5)
	buffer_store_dword v4, v1, s[0:3], 0 offen offset:8
	s_waitcnt vmcnt(4)
	buffer_store_dword v95, v1, s[0:3], 0 offen offset:12
	s_waitcnt vmcnt(3)
	buffer_store_dword v96, v0, s[0:3], 0 offen offset:12
	s_waitcnt vmcnt(2)
	buffer_store_dword v97, v0, s[0:3], 0 offen offset:8
	s_waitcnt vmcnt(1)
	buffer_store_dword v98, v0, s[0:3], 0 offen offset:4
	s_waitcnt vmcnt(0)
	buffer_store_dword v99, v0, s[0:3], 0 offen
.LBB108_300:
	v_mov_b32_e32 v0, 0
	global_load_dword v1, v0, s[12:13] offset:140
	s_waitcnt vmcnt(0)
	v_add_nc_u32_e32 v1, -1, v1
	v_cmp_eq_u32_e32 vcc_lo, 35, v1
	s_cbranch_vccnz .LBB108_302
; %bb.301:
	v_lshlrev_b32_e32 v1, 4, v1
	v_mov_b32_e32 v2, s21
	v_add_nc_u32_e32 v1, 16, v1
	s_clause 0x7
	buffer_load_dword v3, v1, s[0:3], 0 offen
	buffer_load_dword v4, v1, s[0:3], 0 offen offset:4
	buffer_load_dword v95, v1, s[0:3], 0 offen offset:8
	;; [unrolled: 1-line block ×6, first 2 shown]
	buffer_load_dword v100, v2, s[0:3], 0 offen
	s_waitcnt vmcnt(7)
	buffer_store_dword v3, v2, s[0:3], 0 offen
	s_waitcnt vmcnt(6)
	buffer_store_dword v4, v2, s[0:3], 0 offen offset:4
	s_waitcnt vmcnt(5)
	buffer_store_dword v95, v2, s[0:3], 0 offen offset:8
	;; [unrolled: 2-line block ×6, first 2 shown]
	s_waitcnt vmcnt(0)
	buffer_store_dword v100, v1, s[0:3], 0 offen
.LBB108_302:
	global_load_dword v0, v0, s[12:13] offset:136
	s_waitcnt vmcnt(0)
	v_add_nc_u32_e32 v0, -1, v0
	v_cmp_eq_u32_e32 vcc_lo, 34, v0
	s_cbranch_vccnz .LBB108_304
; %bb.303:
	v_lshlrev_b32_e32 v0, 4, v0
	v_mov_b32_e32 v1, s22
	v_add_nc_u32_e32 v0, 16, v0
	s_clause 0x7
	buffer_load_dword v2, v0, s[0:3], 0 offen
	buffer_load_dword v3, v0, s[0:3], 0 offen offset:4
	buffer_load_dword v4, v0, s[0:3], 0 offen offset:8
	;; [unrolled: 1-line block ×6, first 2 shown]
	buffer_load_dword v99, v1, s[0:3], 0 offen
	s_waitcnt vmcnt(7)
	buffer_store_dword v2, v1, s[0:3], 0 offen
	s_waitcnt vmcnt(6)
	buffer_store_dword v3, v1, s[0:3], 0 offen offset:4
	s_waitcnt vmcnt(5)
	buffer_store_dword v4, v1, s[0:3], 0 offen offset:8
	;; [unrolled: 2-line block ×6, first 2 shown]
	s_waitcnt vmcnt(0)
	buffer_store_dword v99, v0, s[0:3], 0 offen
.LBB108_304:
	v_mov_b32_e32 v0, 0
	global_load_dword v1, v0, s[12:13] offset:132
	s_waitcnt vmcnt(0)
	v_add_nc_u32_e32 v1, -1, v1
	v_cmp_eq_u32_e32 vcc_lo, 33, v1
	s_cbranch_vccnz .LBB108_306
; %bb.305:
	v_lshlrev_b32_e32 v1, 4, v1
	v_mov_b32_e32 v2, s23
	v_add_nc_u32_e32 v1, 16, v1
	s_clause 0x7
	buffer_load_dword v3, v1, s[0:3], 0 offen
	buffer_load_dword v4, v1, s[0:3], 0 offen offset:4
	buffer_load_dword v95, v1, s[0:3], 0 offen offset:8
	;; [unrolled: 1-line block ×6, first 2 shown]
	buffer_load_dword v100, v2, s[0:3], 0 offen
	s_waitcnt vmcnt(7)
	buffer_store_dword v3, v2, s[0:3], 0 offen
	s_waitcnt vmcnt(6)
	buffer_store_dword v4, v2, s[0:3], 0 offen offset:4
	s_waitcnt vmcnt(5)
	buffer_store_dword v95, v2, s[0:3], 0 offen offset:8
	;; [unrolled: 2-line block ×6, first 2 shown]
	s_waitcnt vmcnt(0)
	buffer_store_dword v100, v1, s[0:3], 0 offen
.LBB108_306:
	global_load_dword v0, v0, s[12:13] offset:128
	s_waitcnt vmcnt(0)
	v_add_nc_u32_e32 v0, -1, v0
	v_cmp_eq_u32_e32 vcc_lo, 32, v0
	s_cbranch_vccnz .LBB108_308
; %bb.307:
	v_lshlrev_b32_e32 v0, 4, v0
	v_mov_b32_e32 v1, s24
	v_add_nc_u32_e32 v0, 16, v0
	s_clause 0x7
	buffer_load_dword v2, v0, s[0:3], 0 offen
	buffer_load_dword v3, v0, s[0:3], 0 offen offset:4
	buffer_load_dword v4, v0, s[0:3], 0 offen offset:8
	;; [unrolled: 1-line block ×6, first 2 shown]
	buffer_load_dword v99, v1, s[0:3], 0 offen
	s_waitcnt vmcnt(7)
	buffer_store_dword v2, v1, s[0:3], 0 offen
	s_waitcnt vmcnt(6)
	buffer_store_dword v3, v1, s[0:3], 0 offen offset:4
	s_waitcnt vmcnt(5)
	buffer_store_dword v4, v1, s[0:3], 0 offen offset:8
	;; [unrolled: 2-line block ×6, first 2 shown]
	s_waitcnt vmcnt(0)
	buffer_store_dword v99, v0, s[0:3], 0 offen
.LBB108_308:
	v_mov_b32_e32 v0, 0
	global_load_dword v1, v0, s[12:13] offset:124
	s_waitcnt vmcnt(0)
	v_add_nc_u32_e32 v1, -1, v1
	v_cmp_eq_u32_e32 vcc_lo, 31, v1
	s_cbranch_vccnz .LBB108_310
; %bb.309:
	v_lshlrev_b32_e32 v1, 4, v1
	v_mov_b32_e32 v2, s25
	v_add_nc_u32_e32 v1, 16, v1
	s_clause 0x7
	buffer_load_dword v3, v1, s[0:3], 0 offen
	buffer_load_dword v4, v1, s[0:3], 0 offen offset:4
	buffer_load_dword v95, v1, s[0:3], 0 offen offset:8
	;; [unrolled: 1-line block ×6, first 2 shown]
	buffer_load_dword v100, v2, s[0:3], 0 offen
	s_waitcnt vmcnt(7)
	buffer_store_dword v3, v2, s[0:3], 0 offen
	s_waitcnt vmcnt(6)
	buffer_store_dword v4, v2, s[0:3], 0 offen offset:4
	s_waitcnt vmcnt(5)
	buffer_store_dword v95, v2, s[0:3], 0 offen offset:8
	;; [unrolled: 2-line block ×6, first 2 shown]
	s_waitcnt vmcnt(0)
	buffer_store_dword v100, v1, s[0:3], 0 offen
.LBB108_310:
	global_load_dword v0, v0, s[12:13] offset:120
	s_waitcnt vmcnt(0)
	v_add_nc_u32_e32 v0, -1, v0
	v_cmp_eq_u32_e32 vcc_lo, 30, v0
	s_cbranch_vccnz .LBB108_312
; %bb.311:
	v_lshlrev_b32_e32 v0, 4, v0
	v_mov_b32_e32 v1, s26
	v_add_nc_u32_e32 v0, 16, v0
	s_clause 0x7
	buffer_load_dword v2, v0, s[0:3], 0 offen
	buffer_load_dword v3, v0, s[0:3], 0 offen offset:4
	buffer_load_dword v4, v0, s[0:3], 0 offen offset:8
	;; [unrolled: 1-line block ×6, first 2 shown]
	buffer_load_dword v99, v1, s[0:3], 0 offen
	s_waitcnt vmcnt(7)
	buffer_store_dword v2, v1, s[0:3], 0 offen
	s_waitcnt vmcnt(6)
	buffer_store_dword v3, v1, s[0:3], 0 offen offset:4
	s_waitcnt vmcnt(5)
	buffer_store_dword v4, v1, s[0:3], 0 offen offset:8
	;; [unrolled: 2-line block ×6, first 2 shown]
	s_waitcnt vmcnt(0)
	buffer_store_dword v99, v0, s[0:3], 0 offen
.LBB108_312:
	v_mov_b32_e32 v0, 0
	global_load_dword v1, v0, s[12:13] offset:116
	s_waitcnt vmcnt(0)
	v_add_nc_u32_e32 v1, -1, v1
	v_cmp_eq_u32_e32 vcc_lo, 29, v1
	s_cbranch_vccnz .LBB108_314
; %bb.313:
	v_lshlrev_b32_e32 v1, 4, v1
	v_mov_b32_e32 v2, s27
	v_add_nc_u32_e32 v1, 16, v1
	s_clause 0x7
	buffer_load_dword v3, v1, s[0:3], 0 offen
	buffer_load_dword v4, v1, s[0:3], 0 offen offset:4
	buffer_load_dword v95, v1, s[0:3], 0 offen offset:8
	;; [unrolled: 1-line block ×6, first 2 shown]
	buffer_load_dword v100, v2, s[0:3], 0 offen
	s_waitcnt vmcnt(7)
	buffer_store_dword v3, v2, s[0:3], 0 offen
	s_waitcnt vmcnt(6)
	buffer_store_dword v4, v2, s[0:3], 0 offen offset:4
	s_waitcnt vmcnt(5)
	buffer_store_dword v95, v2, s[0:3], 0 offen offset:8
	;; [unrolled: 2-line block ×6, first 2 shown]
	s_waitcnt vmcnt(0)
	buffer_store_dword v100, v1, s[0:3], 0 offen
.LBB108_314:
	global_load_dword v0, v0, s[12:13] offset:112
	s_waitcnt vmcnt(0)
	v_add_nc_u32_e32 v0, -1, v0
	v_cmp_eq_u32_e32 vcc_lo, 28, v0
	s_cbranch_vccnz .LBB108_316
; %bb.315:
	v_lshlrev_b32_e32 v0, 4, v0
	v_mov_b32_e32 v1, s28
	v_add_nc_u32_e32 v0, 16, v0
	s_clause 0x7
	buffer_load_dword v2, v0, s[0:3], 0 offen
	buffer_load_dword v3, v0, s[0:3], 0 offen offset:4
	buffer_load_dword v4, v0, s[0:3], 0 offen offset:8
	;; [unrolled: 1-line block ×6, first 2 shown]
	buffer_load_dword v99, v1, s[0:3], 0 offen
	s_waitcnt vmcnt(7)
	buffer_store_dword v2, v1, s[0:3], 0 offen
	s_waitcnt vmcnt(6)
	buffer_store_dword v3, v1, s[0:3], 0 offen offset:4
	s_waitcnt vmcnt(5)
	buffer_store_dword v4, v1, s[0:3], 0 offen offset:8
	;; [unrolled: 2-line block ×6, first 2 shown]
	s_waitcnt vmcnt(0)
	buffer_store_dword v99, v0, s[0:3], 0 offen
.LBB108_316:
	v_mov_b32_e32 v0, 0
	global_load_dword v1, v0, s[12:13] offset:108
	s_waitcnt vmcnt(0)
	v_add_nc_u32_e32 v1, -1, v1
	v_cmp_eq_u32_e32 vcc_lo, 27, v1
	s_cbranch_vccnz .LBB108_318
; %bb.317:
	v_lshlrev_b32_e32 v1, 4, v1
	v_mov_b32_e32 v2, s29
	v_add_nc_u32_e32 v1, 16, v1
	s_clause 0x7
	buffer_load_dword v3, v1, s[0:3], 0 offen
	buffer_load_dword v4, v1, s[0:3], 0 offen offset:4
	buffer_load_dword v95, v1, s[0:3], 0 offen offset:8
	;; [unrolled: 1-line block ×6, first 2 shown]
	buffer_load_dword v100, v2, s[0:3], 0 offen
	s_waitcnt vmcnt(7)
	buffer_store_dword v3, v2, s[0:3], 0 offen
	s_waitcnt vmcnt(6)
	buffer_store_dword v4, v2, s[0:3], 0 offen offset:4
	s_waitcnt vmcnt(5)
	buffer_store_dword v95, v2, s[0:3], 0 offen offset:8
	;; [unrolled: 2-line block ×6, first 2 shown]
	s_waitcnt vmcnt(0)
	buffer_store_dword v100, v1, s[0:3], 0 offen
.LBB108_318:
	global_load_dword v0, v0, s[12:13] offset:104
	s_waitcnt vmcnt(0)
	v_add_nc_u32_e32 v0, -1, v0
	v_cmp_eq_u32_e32 vcc_lo, 26, v0
	s_cbranch_vccnz .LBB108_320
; %bb.319:
	v_lshlrev_b32_e32 v0, 4, v0
	v_mov_b32_e32 v1, s30
	v_add_nc_u32_e32 v0, 16, v0
	s_clause 0x7
	buffer_load_dword v2, v0, s[0:3], 0 offen
	buffer_load_dword v3, v0, s[0:3], 0 offen offset:4
	buffer_load_dword v4, v0, s[0:3], 0 offen offset:8
	;; [unrolled: 1-line block ×6, first 2 shown]
	buffer_load_dword v99, v1, s[0:3], 0 offen
	s_waitcnt vmcnt(7)
	buffer_store_dword v2, v1, s[0:3], 0 offen
	s_waitcnt vmcnt(6)
	buffer_store_dword v3, v1, s[0:3], 0 offen offset:4
	s_waitcnt vmcnt(5)
	buffer_store_dword v4, v1, s[0:3], 0 offen offset:8
	;; [unrolled: 2-line block ×6, first 2 shown]
	s_waitcnt vmcnt(0)
	buffer_store_dword v99, v0, s[0:3], 0 offen
.LBB108_320:
	v_mov_b32_e32 v0, 0
	global_load_dword v1, v0, s[12:13] offset:100
	s_waitcnt vmcnt(0)
	v_add_nc_u32_e32 v1, -1, v1
	v_cmp_eq_u32_e32 vcc_lo, 25, v1
	s_cbranch_vccnz .LBB108_322
; %bb.321:
	v_lshlrev_b32_e32 v1, 4, v1
	v_mov_b32_e32 v2, s31
	v_add_nc_u32_e32 v1, 16, v1
	s_clause 0x7
	buffer_load_dword v3, v1, s[0:3], 0 offen
	buffer_load_dword v4, v1, s[0:3], 0 offen offset:4
	buffer_load_dword v95, v1, s[0:3], 0 offen offset:8
	;; [unrolled: 1-line block ×6, first 2 shown]
	buffer_load_dword v100, v2, s[0:3], 0 offen
	s_waitcnt vmcnt(7)
	buffer_store_dword v3, v2, s[0:3], 0 offen
	s_waitcnt vmcnt(6)
	buffer_store_dword v4, v2, s[0:3], 0 offen offset:4
	s_waitcnt vmcnt(5)
	buffer_store_dword v95, v2, s[0:3], 0 offen offset:8
	;; [unrolled: 2-line block ×6, first 2 shown]
	s_waitcnt vmcnt(0)
	buffer_store_dword v100, v1, s[0:3], 0 offen
.LBB108_322:
	global_load_dword v0, v0, s[12:13] offset:96
	s_waitcnt vmcnt(0)
	v_add_nc_u32_e32 v0, -1, v0
	v_cmp_eq_u32_e32 vcc_lo, 24, v0
	s_cbranch_vccnz .LBB108_324
; %bb.323:
	v_lshlrev_b32_e32 v0, 4, v0
	v_mov_b32_e32 v1, s33
	v_add_nc_u32_e32 v0, 16, v0
	s_clause 0x7
	buffer_load_dword v2, v0, s[0:3], 0 offen
	buffer_load_dword v3, v0, s[0:3], 0 offen offset:4
	buffer_load_dword v4, v0, s[0:3], 0 offen offset:8
	;; [unrolled: 1-line block ×6, first 2 shown]
	buffer_load_dword v99, v1, s[0:3], 0 offen
	s_waitcnt vmcnt(7)
	buffer_store_dword v2, v1, s[0:3], 0 offen
	s_waitcnt vmcnt(6)
	buffer_store_dword v3, v1, s[0:3], 0 offen offset:4
	s_waitcnt vmcnt(5)
	buffer_store_dword v4, v1, s[0:3], 0 offen offset:8
	;; [unrolled: 2-line block ×6, first 2 shown]
	s_waitcnt vmcnt(0)
	buffer_store_dword v99, v0, s[0:3], 0 offen
.LBB108_324:
	v_mov_b32_e32 v0, 0
	global_load_dword v1, v0, s[12:13] offset:92
	s_waitcnt vmcnt(0)
	v_add_nc_u32_e32 v1, -1, v1
	v_cmp_eq_u32_e32 vcc_lo, 23, v1
	s_cbranch_vccnz .LBB108_326
; %bb.325:
	v_lshlrev_b32_e32 v1, 4, v1
	v_mov_b32_e32 v2, s34
	v_add_nc_u32_e32 v1, 16, v1
	s_clause 0x7
	buffer_load_dword v3, v1, s[0:3], 0 offen
	buffer_load_dword v4, v1, s[0:3], 0 offen offset:4
	buffer_load_dword v95, v1, s[0:3], 0 offen offset:8
	;; [unrolled: 1-line block ×6, first 2 shown]
	buffer_load_dword v100, v2, s[0:3], 0 offen
	s_waitcnt vmcnt(7)
	buffer_store_dword v3, v2, s[0:3], 0 offen
	s_waitcnt vmcnt(6)
	buffer_store_dword v4, v2, s[0:3], 0 offen offset:4
	s_waitcnt vmcnt(5)
	buffer_store_dword v95, v2, s[0:3], 0 offen offset:8
	;; [unrolled: 2-line block ×6, first 2 shown]
	s_waitcnt vmcnt(0)
	buffer_store_dword v100, v1, s[0:3], 0 offen
.LBB108_326:
	global_load_dword v0, v0, s[12:13] offset:88
	s_waitcnt vmcnt(0)
	v_add_nc_u32_e32 v0, -1, v0
	v_cmp_eq_u32_e32 vcc_lo, 22, v0
	s_cbranch_vccnz .LBB108_328
; %bb.327:
	v_lshlrev_b32_e32 v0, 4, v0
	v_mov_b32_e32 v1, s35
	v_add_nc_u32_e32 v0, 16, v0
	s_clause 0x7
	buffer_load_dword v2, v0, s[0:3], 0 offen
	buffer_load_dword v3, v0, s[0:3], 0 offen offset:4
	buffer_load_dword v4, v0, s[0:3], 0 offen offset:8
	;; [unrolled: 1-line block ×6, first 2 shown]
	buffer_load_dword v99, v1, s[0:3], 0 offen
	s_waitcnt vmcnt(7)
	buffer_store_dword v2, v1, s[0:3], 0 offen
	s_waitcnt vmcnt(6)
	buffer_store_dword v3, v1, s[0:3], 0 offen offset:4
	s_waitcnt vmcnt(5)
	buffer_store_dword v4, v1, s[0:3], 0 offen offset:8
	;; [unrolled: 2-line block ×6, first 2 shown]
	s_waitcnt vmcnt(0)
	buffer_store_dword v99, v0, s[0:3], 0 offen
.LBB108_328:
	v_mov_b32_e32 v0, 0
	global_load_dword v1, v0, s[12:13] offset:84
	s_waitcnt vmcnt(0)
	v_add_nc_u32_e32 v1, -1, v1
	v_cmp_eq_u32_e32 vcc_lo, 21, v1
	s_cbranch_vccnz .LBB108_330
; %bb.329:
	v_lshlrev_b32_e32 v1, 4, v1
	v_mov_b32_e32 v2, s36
	v_add_nc_u32_e32 v1, 16, v1
	s_clause 0x7
	buffer_load_dword v3, v1, s[0:3], 0 offen
	buffer_load_dword v4, v1, s[0:3], 0 offen offset:4
	buffer_load_dword v95, v1, s[0:3], 0 offen offset:8
	;; [unrolled: 1-line block ×6, first 2 shown]
	buffer_load_dword v100, v2, s[0:3], 0 offen
	s_waitcnt vmcnt(7)
	buffer_store_dword v3, v2, s[0:3], 0 offen
	s_waitcnt vmcnt(6)
	buffer_store_dword v4, v2, s[0:3], 0 offen offset:4
	s_waitcnt vmcnt(5)
	buffer_store_dword v95, v2, s[0:3], 0 offen offset:8
	;; [unrolled: 2-line block ×6, first 2 shown]
	s_waitcnt vmcnt(0)
	buffer_store_dword v100, v1, s[0:3], 0 offen
.LBB108_330:
	global_load_dword v0, v0, s[12:13] offset:80
	s_waitcnt vmcnt(0)
	v_add_nc_u32_e32 v0, -1, v0
	v_cmp_eq_u32_e32 vcc_lo, 20, v0
	s_cbranch_vccnz .LBB108_332
; %bb.331:
	v_lshlrev_b32_e32 v0, 4, v0
	v_mov_b32_e32 v1, s37
	v_add_nc_u32_e32 v0, 16, v0
	s_clause 0x7
	buffer_load_dword v2, v0, s[0:3], 0 offen
	buffer_load_dword v3, v0, s[0:3], 0 offen offset:4
	buffer_load_dword v4, v0, s[0:3], 0 offen offset:8
	;; [unrolled: 1-line block ×6, first 2 shown]
	buffer_load_dword v99, v1, s[0:3], 0 offen
	s_waitcnt vmcnt(7)
	buffer_store_dword v2, v1, s[0:3], 0 offen
	s_waitcnt vmcnt(6)
	buffer_store_dword v3, v1, s[0:3], 0 offen offset:4
	s_waitcnt vmcnt(5)
	buffer_store_dword v4, v1, s[0:3], 0 offen offset:8
	;; [unrolled: 2-line block ×6, first 2 shown]
	s_waitcnt vmcnt(0)
	buffer_store_dword v99, v0, s[0:3], 0 offen
.LBB108_332:
	v_mov_b32_e32 v0, 0
	global_load_dword v1, v0, s[12:13] offset:76
	s_waitcnt vmcnt(0)
	v_add_nc_u32_e32 v1, -1, v1
	v_cmp_eq_u32_e32 vcc_lo, 19, v1
	s_cbranch_vccnz .LBB108_334
; %bb.333:
	v_lshlrev_b32_e32 v1, 4, v1
	v_mov_b32_e32 v2, s38
	v_add_nc_u32_e32 v1, 16, v1
	s_clause 0x7
	buffer_load_dword v3, v1, s[0:3], 0 offen
	buffer_load_dword v4, v1, s[0:3], 0 offen offset:4
	buffer_load_dword v95, v1, s[0:3], 0 offen offset:8
	;; [unrolled: 1-line block ×6, first 2 shown]
	buffer_load_dword v100, v2, s[0:3], 0 offen
	s_waitcnt vmcnt(7)
	buffer_store_dword v3, v2, s[0:3], 0 offen
	s_waitcnt vmcnt(6)
	buffer_store_dword v4, v2, s[0:3], 0 offen offset:4
	s_waitcnt vmcnt(5)
	buffer_store_dword v95, v2, s[0:3], 0 offen offset:8
	;; [unrolled: 2-line block ×6, first 2 shown]
	s_waitcnt vmcnt(0)
	buffer_store_dword v100, v1, s[0:3], 0 offen
.LBB108_334:
	global_load_dword v0, v0, s[12:13] offset:72
	s_waitcnt vmcnt(0)
	v_add_nc_u32_e32 v0, -1, v0
	v_cmp_eq_u32_e32 vcc_lo, 18, v0
	s_cbranch_vccnz .LBB108_336
; %bb.335:
	v_lshlrev_b32_e32 v0, 4, v0
	v_mov_b32_e32 v1, s39
	v_add_nc_u32_e32 v0, 16, v0
	s_clause 0x7
	buffer_load_dword v2, v0, s[0:3], 0 offen
	buffer_load_dword v3, v0, s[0:3], 0 offen offset:4
	buffer_load_dword v4, v0, s[0:3], 0 offen offset:8
	;; [unrolled: 1-line block ×6, first 2 shown]
	buffer_load_dword v99, v1, s[0:3], 0 offen
	s_waitcnt vmcnt(7)
	buffer_store_dword v2, v1, s[0:3], 0 offen
	s_waitcnt vmcnt(6)
	buffer_store_dword v3, v1, s[0:3], 0 offen offset:4
	s_waitcnt vmcnt(5)
	buffer_store_dword v4, v1, s[0:3], 0 offen offset:8
	;; [unrolled: 2-line block ×6, first 2 shown]
	s_waitcnt vmcnt(0)
	buffer_store_dword v99, v0, s[0:3], 0 offen
.LBB108_336:
	v_mov_b32_e32 v0, 0
	global_load_dword v1, v0, s[12:13] offset:68
	s_waitcnt vmcnt(0)
	v_add_nc_u32_e32 v1, -1, v1
	v_cmp_eq_u32_e32 vcc_lo, 17, v1
	s_cbranch_vccnz .LBB108_338
; %bb.337:
	v_lshlrev_b32_e32 v1, 4, v1
	v_mov_b32_e32 v2, s40
	v_add_nc_u32_e32 v1, 16, v1
	s_clause 0x7
	buffer_load_dword v3, v1, s[0:3], 0 offen
	buffer_load_dword v4, v1, s[0:3], 0 offen offset:4
	buffer_load_dword v95, v1, s[0:3], 0 offen offset:8
	;; [unrolled: 1-line block ×6, first 2 shown]
	buffer_load_dword v100, v2, s[0:3], 0 offen
	s_waitcnt vmcnt(7)
	buffer_store_dword v3, v2, s[0:3], 0 offen
	s_waitcnt vmcnt(6)
	buffer_store_dword v4, v2, s[0:3], 0 offen offset:4
	s_waitcnt vmcnt(5)
	buffer_store_dword v95, v2, s[0:3], 0 offen offset:8
	;; [unrolled: 2-line block ×6, first 2 shown]
	s_waitcnt vmcnt(0)
	buffer_store_dword v100, v1, s[0:3], 0 offen
.LBB108_338:
	global_load_dword v0, v0, s[12:13] offset:64
	s_waitcnt vmcnt(0)
	v_add_nc_u32_e32 v0, -1, v0
	v_cmp_eq_u32_e32 vcc_lo, 16, v0
	s_cbranch_vccnz .LBB108_340
; %bb.339:
	v_lshlrev_b32_e32 v0, 4, v0
	v_mov_b32_e32 v1, s41
	v_add_nc_u32_e32 v0, 16, v0
	s_clause 0x7
	buffer_load_dword v2, v0, s[0:3], 0 offen
	buffer_load_dword v3, v0, s[0:3], 0 offen offset:4
	buffer_load_dword v4, v0, s[0:3], 0 offen offset:8
	;; [unrolled: 1-line block ×6, first 2 shown]
	buffer_load_dword v99, v1, s[0:3], 0 offen
	s_waitcnt vmcnt(7)
	buffer_store_dword v2, v1, s[0:3], 0 offen
	s_waitcnt vmcnt(6)
	buffer_store_dword v3, v1, s[0:3], 0 offen offset:4
	s_waitcnt vmcnt(5)
	buffer_store_dword v4, v1, s[0:3], 0 offen offset:8
	;; [unrolled: 2-line block ×6, first 2 shown]
	s_waitcnt vmcnt(0)
	buffer_store_dword v99, v0, s[0:3], 0 offen
.LBB108_340:
	v_mov_b32_e32 v0, 0
	global_load_dword v1, v0, s[12:13] offset:60
	s_waitcnt vmcnt(0)
	v_add_nc_u32_e32 v1, -1, v1
	v_cmp_eq_u32_e32 vcc_lo, 15, v1
	s_cbranch_vccnz .LBB108_342
; %bb.341:
	v_lshlrev_b32_e32 v1, 4, v1
	v_mov_b32_e32 v2, s42
	v_add_nc_u32_e32 v1, 16, v1
	s_clause 0x7
	buffer_load_dword v3, v1, s[0:3], 0 offen
	buffer_load_dword v4, v1, s[0:3], 0 offen offset:4
	buffer_load_dword v95, v1, s[0:3], 0 offen offset:8
	;; [unrolled: 1-line block ×6, first 2 shown]
	buffer_load_dword v100, v2, s[0:3], 0 offen
	s_waitcnt vmcnt(7)
	buffer_store_dword v3, v2, s[0:3], 0 offen
	s_waitcnt vmcnt(6)
	buffer_store_dword v4, v2, s[0:3], 0 offen offset:4
	s_waitcnt vmcnt(5)
	buffer_store_dword v95, v2, s[0:3], 0 offen offset:8
	;; [unrolled: 2-line block ×6, first 2 shown]
	s_waitcnt vmcnt(0)
	buffer_store_dword v100, v1, s[0:3], 0 offen
.LBB108_342:
	global_load_dword v0, v0, s[12:13] offset:56
	s_waitcnt vmcnt(0)
	v_add_nc_u32_e32 v0, -1, v0
	v_cmp_eq_u32_e32 vcc_lo, 14, v0
	s_cbranch_vccnz .LBB108_344
; %bb.343:
	v_lshlrev_b32_e32 v0, 4, v0
	v_mov_b32_e32 v1, s43
	v_add_nc_u32_e32 v0, 16, v0
	s_clause 0x7
	buffer_load_dword v2, v0, s[0:3], 0 offen
	buffer_load_dword v3, v0, s[0:3], 0 offen offset:4
	buffer_load_dword v4, v0, s[0:3], 0 offen offset:8
	;; [unrolled: 1-line block ×6, first 2 shown]
	buffer_load_dword v99, v1, s[0:3], 0 offen
	s_waitcnt vmcnt(7)
	buffer_store_dword v2, v1, s[0:3], 0 offen
	s_waitcnt vmcnt(6)
	buffer_store_dword v3, v1, s[0:3], 0 offen offset:4
	s_waitcnt vmcnt(5)
	buffer_store_dword v4, v1, s[0:3], 0 offen offset:8
	s_waitcnt vmcnt(4)
	buffer_store_dword v95, v1, s[0:3], 0 offen offset:12
	s_waitcnt vmcnt(3)
	buffer_store_dword v96, v0, s[0:3], 0 offen offset:12
	s_waitcnt vmcnt(2)
	buffer_store_dword v97, v0, s[0:3], 0 offen offset:8
	s_waitcnt vmcnt(1)
	buffer_store_dword v98, v0, s[0:3], 0 offen offset:4
	s_waitcnt vmcnt(0)
	buffer_store_dword v99, v0, s[0:3], 0 offen
.LBB108_344:
	v_mov_b32_e32 v0, 0
	global_load_dword v1, v0, s[12:13] offset:52
	s_waitcnt vmcnt(0)
	v_add_nc_u32_e32 v1, -1, v1
	v_cmp_eq_u32_e32 vcc_lo, 13, v1
	s_cbranch_vccnz .LBB108_346
; %bb.345:
	v_lshlrev_b32_e32 v1, 4, v1
	v_mov_b32_e32 v2, s44
	v_add_nc_u32_e32 v1, 16, v1
	s_clause 0x7
	buffer_load_dword v3, v1, s[0:3], 0 offen
	buffer_load_dword v4, v1, s[0:3], 0 offen offset:4
	buffer_load_dword v95, v1, s[0:3], 0 offen offset:8
	;; [unrolled: 1-line block ×6, first 2 shown]
	buffer_load_dword v100, v2, s[0:3], 0 offen
	s_waitcnt vmcnt(7)
	buffer_store_dword v3, v2, s[0:3], 0 offen
	s_waitcnt vmcnt(6)
	buffer_store_dword v4, v2, s[0:3], 0 offen offset:4
	s_waitcnt vmcnt(5)
	buffer_store_dword v95, v2, s[0:3], 0 offen offset:8
	;; [unrolled: 2-line block ×6, first 2 shown]
	s_waitcnt vmcnt(0)
	buffer_store_dword v100, v1, s[0:3], 0 offen
.LBB108_346:
	global_load_dword v0, v0, s[12:13] offset:48
	s_waitcnt vmcnt(0)
	v_add_nc_u32_e32 v0, -1, v0
	v_cmp_eq_u32_e32 vcc_lo, 12, v0
	s_cbranch_vccnz .LBB108_348
; %bb.347:
	v_lshlrev_b32_e32 v0, 4, v0
	v_mov_b32_e32 v1, s45
	v_add_nc_u32_e32 v0, 16, v0
	s_clause 0x7
	buffer_load_dword v2, v0, s[0:3], 0 offen
	buffer_load_dword v3, v0, s[0:3], 0 offen offset:4
	buffer_load_dword v4, v0, s[0:3], 0 offen offset:8
	buffer_load_dword v95, v0, s[0:3], 0 offen offset:12
	buffer_load_dword v96, v1, s[0:3], 0 offen offset:12
	buffer_load_dword v97, v1, s[0:3], 0 offen offset:8
	buffer_load_dword v98, v1, s[0:3], 0 offen offset:4
	buffer_load_dword v99, v1, s[0:3], 0 offen
	s_waitcnt vmcnt(7)
	buffer_store_dword v2, v1, s[0:3], 0 offen
	s_waitcnt vmcnt(6)
	buffer_store_dword v3, v1, s[0:3], 0 offen offset:4
	s_waitcnt vmcnt(5)
	buffer_store_dword v4, v1, s[0:3], 0 offen offset:8
	;; [unrolled: 2-line block ×6, first 2 shown]
	s_waitcnt vmcnt(0)
	buffer_store_dword v99, v0, s[0:3], 0 offen
.LBB108_348:
	v_mov_b32_e32 v0, 0
	global_load_dword v1, v0, s[12:13] offset:44
	s_waitcnt vmcnt(0)
	v_add_nc_u32_e32 v1, -1, v1
	v_cmp_eq_u32_e32 vcc_lo, 11, v1
	s_cbranch_vccnz .LBB108_350
; %bb.349:
	v_lshlrev_b32_e32 v1, 4, v1
	v_mov_b32_e32 v2, s46
	v_add_nc_u32_e32 v1, 16, v1
	s_clause 0x7
	buffer_load_dword v3, v1, s[0:3], 0 offen
	buffer_load_dword v4, v1, s[0:3], 0 offen offset:4
	buffer_load_dword v95, v1, s[0:3], 0 offen offset:8
	;; [unrolled: 1-line block ×6, first 2 shown]
	buffer_load_dword v100, v2, s[0:3], 0 offen
	s_waitcnt vmcnt(7)
	buffer_store_dword v3, v2, s[0:3], 0 offen
	s_waitcnt vmcnt(6)
	buffer_store_dword v4, v2, s[0:3], 0 offen offset:4
	s_waitcnt vmcnt(5)
	buffer_store_dword v95, v2, s[0:3], 0 offen offset:8
	;; [unrolled: 2-line block ×6, first 2 shown]
	s_waitcnt vmcnt(0)
	buffer_store_dword v100, v1, s[0:3], 0 offen
.LBB108_350:
	global_load_dword v0, v0, s[12:13] offset:40
	s_waitcnt vmcnt(0)
	v_add_nc_u32_e32 v0, -1, v0
	v_cmp_eq_u32_e32 vcc_lo, 10, v0
	s_cbranch_vccnz .LBB108_352
; %bb.351:
	v_lshlrev_b32_e32 v0, 4, v0
	v_mov_b32_e32 v1, s47
	v_add_nc_u32_e32 v0, 16, v0
	s_clause 0x7
	buffer_load_dword v2, v0, s[0:3], 0 offen
	buffer_load_dword v3, v0, s[0:3], 0 offen offset:4
	buffer_load_dword v4, v0, s[0:3], 0 offen offset:8
	;; [unrolled: 1-line block ×6, first 2 shown]
	buffer_load_dword v99, v1, s[0:3], 0 offen
	s_waitcnt vmcnt(7)
	buffer_store_dword v2, v1, s[0:3], 0 offen
	s_waitcnt vmcnt(6)
	buffer_store_dword v3, v1, s[0:3], 0 offen offset:4
	s_waitcnt vmcnt(5)
	buffer_store_dword v4, v1, s[0:3], 0 offen offset:8
	;; [unrolled: 2-line block ×6, first 2 shown]
	s_waitcnt vmcnt(0)
	buffer_store_dword v99, v0, s[0:3], 0 offen
.LBB108_352:
	v_mov_b32_e32 v0, 0
	global_load_dword v1, v0, s[12:13] offset:36
	s_waitcnt vmcnt(0)
	v_add_nc_u32_e32 v1, -1, v1
	v_cmp_eq_u32_e32 vcc_lo, 9, v1
	s_cbranch_vccnz .LBB108_354
; %bb.353:
	v_lshlrev_b32_e32 v1, 4, v1
	v_mov_b32_e32 v2, s48
	v_add_nc_u32_e32 v1, 16, v1
	s_clause 0x7
	buffer_load_dword v3, v1, s[0:3], 0 offen
	buffer_load_dword v4, v1, s[0:3], 0 offen offset:4
	buffer_load_dword v95, v1, s[0:3], 0 offen offset:8
	;; [unrolled: 1-line block ×6, first 2 shown]
	buffer_load_dword v100, v2, s[0:3], 0 offen
	s_waitcnt vmcnt(7)
	buffer_store_dword v3, v2, s[0:3], 0 offen
	s_waitcnt vmcnt(6)
	buffer_store_dword v4, v2, s[0:3], 0 offen offset:4
	s_waitcnt vmcnt(5)
	buffer_store_dword v95, v2, s[0:3], 0 offen offset:8
	;; [unrolled: 2-line block ×6, first 2 shown]
	s_waitcnt vmcnt(0)
	buffer_store_dword v100, v1, s[0:3], 0 offen
.LBB108_354:
	global_load_dword v0, v0, s[12:13] offset:32
	s_waitcnt vmcnt(0)
	v_add_nc_u32_e32 v0, -1, v0
	v_cmp_eq_u32_e32 vcc_lo, 8, v0
	s_cbranch_vccnz .LBB108_356
; %bb.355:
	v_lshlrev_b32_e32 v0, 4, v0
	v_mov_b32_e32 v1, s49
	v_add_nc_u32_e32 v0, 16, v0
	s_clause 0x7
	buffer_load_dword v2, v0, s[0:3], 0 offen
	buffer_load_dword v3, v0, s[0:3], 0 offen offset:4
	buffer_load_dword v4, v0, s[0:3], 0 offen offset:8
	;; [unrolled: 1-line block ×6, first 2 shown]
	buffer_load_dword v99, v1, s[0:3], 0 offen
	s_waitcnt vmcnt(7)
	buffer_store_dword v2, v1, s[0:3], 0 offen
	s_waitcnt vmcnt(6)
	buffer_store_dword v3, v1, s[0:3], 0 offen offset:4
	s_waitcnt vmcnt(5)
	buffer_store_dword v4, v1, s[0:3], 0 offen offset:8
	;; [unrolled: 2-line block ×6, first 2 shown]
	s_waitcnt vmcnt(0)
	buffer_store_dword v99, v0, s[0:3], 0 offen
.LBB108_356:
	v_mov_b32_e32 v0, 0
	global_load_dword v1, v0, s[12:13] offset:28
	s_waitcnt vmcnt(0)
	v_add_nc_u32_e32 v1, -1, v1
	v_cmp_eq_u32_e32 vcc_lo, 7, v1
	s_cbranch_vccnz .LBB108_358
; %bb.357:
	v_lshlrev_b32_e32 v1, 4, v1
	v_mov_b32_e32 v2, s50
	v_add_nc_u32_e32 v1, 16, v1
	s_clause 0x7
	buffer_load_dword v3, v1, s[0:3], 0 offen
	buffer_load_dword v4, v1, s[0:3], 0 offen offset:4
	buffer_load_dword v95, v1, s[0:3], 0 offen offset:8
	;; [unrolled: 1-line block ×6, first 2 shown]
	buffer_load_dword v100, v2, s[0:3], 0 offen
	s_waitcnt vmcnt(7)
	buffer_store_dword v3, v2, s[0:3], 0 offen
	s_waitcnt vmcnt(6)
	buffer_store_dword v4, v2, s[0:3], 0 offen offset:4
	s_waitcnt vmcnt(5)
	buffer_store_dword v95, v2, s[0:3], 0 offen offset:8
	;; [unrolled: 2-line block ×6, first 2 shown]
	s_waitcnt vmcnt(0)
	buffer_store_dword v100, v1, s[0:3], 0 offen
.LBB108_358:
	global_load_dword v0, v0, s[12:13] offset:24
	s_waitcnt vmcnt(0)
	v_add_nc_u32_e32 v0, -1, v0
	v_cmp_eq_u32_e32 vcc_lo, 6, v0
	s_cbranch_vccnz .LBB108_360
; %bb.359:
	v_lshlrev_b32_e32 v0, 4, v0
	v_mov_b32_e32 v1, s51
	v_add_nc_u32_e32 v0, 16, v0
	s_clause 0x7
	buffer_load_dword v2, v0, s[0:3], 0 offen
	buffer_load_dword v3, v0, s[0:3], 0 offen offset:4
	buffer_load_dword v4, v0, s[0:3], 0 offen offset:8
	;; [unrolled: 1-line block ×6, first 2 shown]
	buffer_load_dword v99, v1, s[0:3], 0 offen
	s_waitcnt vmcnt(7)
	buffer_store_dword v2, v1, s[0:3], 0 offen
	s_waitcnt vmcnt(6)
	buffer_store_dword v3, v1, s[0:3], 0 offen offset:4
	s_waitcnt vmcnt(5)
	buffer_store_dword v4, v1, s[0:3], 0 offen offset:8
	;; [unrolled: 2-line block ×6, first 2 shown]
	s_waitcnt vmcnt(0)
	buffer_store_dword v99, v0, s[0:3], 0 offen
.LBB108_360:
	v_mov_b32_e32 v0, 0
	global_load_dword v1, v0, s[12:13] offset:20
	s_waitcnt vmcnt(0)
	v_add_nc_u32_e32 v1, -1, v1
	v_cmp_eq_u32_e32 vcc_lo, 5, v1
	s_cbranch_vccnz .LBB108_362
; %bb.361:
	v_lshlrev_b32_e32 v1, 4, v1
	v_mov_b32_e32 v2, s52
	v_add_nc_u32_e32 v1, 16, v1
	s_clause 0x7
	buffer_load_dword v3, v1, s[0:3], 0 offen
	buffer_load_dword v4, v1, s[0:3], 0 offen offset:4
	buffer_load_dword v95, v1, s[0:3], 0 offen offset:8
	;; [unrolled: 1-line block ×6, first 2 shown]
	buffer_load_dword v100, v2, s[0:3], 0 offen
	s_waitcnt vmcnt(7)
	buffer_store_dword v3, v2, s[0:3], 0 offen
	s_waitcnt vmcnt(6)
	buffer_store_dword v4, v2, s[0:3], 0 offen offset:4
	s_waitcnt vmcnt(5)
	buffer_store_dword v95, v2, s[0:3], 0 offen offset:8
	;; [unrolled: 2-line block ×6, first 2 shown]
	s_waitcnt vmcnt(0)
	buffer_store_dword v100, v1, s[0:3], 0 offen
.LBB108_362:
	global_load_dword v0, v0, s[12:13] offset:16
	s_waitcnt vmcnt(0)
	v_add_nc_u32_e32 v0, -1, v0
	v_cmp_eq_u32_e32 vcc_lo, 4, v0
	s_cbranch_vccnz .LBB108_364
; %bb.363:
	v_lshlrev_b32_e32 v0, 4, v0
	v_mov_b32_e32 v1, s53
	v_add_nc_u32_e32 v0, 16, v0
	s_clause 0x7
	buffer_load_dword v2, v0, s[0:3], 0 offen
	buffer_load_dword v3, v0, s[0:3], 0 offen offset:4
	buffer_load_dword v4, v0, s[0:3], 0 offen offset:8
	;; [unrolled: 1-line block ×6, first 2 shown]
	buffer_load_dword v99, v1, s[0:3], 0 offen
	s_waitcnt vmcnt(7)
	buffer_store_dword v2, v1, s[0:3], 0 offen
	s_waitcnt vmcnt(6)
	buffer_store_dword v3, v1, s[0:3], 0 offen offset:4
	s_waitcnt vmcnt(5)
	buffer_store_dword v4, v1, s[0:3], 0 offen offset:8
	;; [unrolled: 2-line block ×6, first 2 shown]
	s_waitcnt vmcnt(0)
	buffer_store_dword v99, v0, s[0:3], 0 offen
.LBB108_364:
	v_mov_b32_e32 v0, 0
	global_load_dword v1, v0, s[12:13] offset:12
	s_waitcnt vmcnt(0)
	v_add_nc_u32_e32 v1, -1, v1
	v_cmp_eq_u32_e32 vcc_lo, 3, v1
	s_cbranch_vccnz .LBB108_366
; %bb.365:
	v_lshlrev_b32_e32 v1, 4, v1
	v_mov_b32_e32 v2, s54
	v_add_nc_u32_e32 v1, 16, v1
	s_clause 0x7
	buffer_load_dword v3, v1, s[0:3], 0 offen
	buffer_load_dword v4, v1, s[0:3], 0 offen offset:4
	buffer_load_dword v95, v1, s[0:3], 0 offen offset:8
	;; [unrolled: 1-line block ×6, first 2 shown]
	buffer_load_dword v100, v2, s[0:3], 0 offen
	s_waitcnt vmcnt(7)
	buffer_store_dword v3, v2, s[0:3], 0 offen
	s_waitcnt vmcnt(6)
	buffer_store_dword v4, v2, s[0:3], 0 offen offset:4
	s_waitcnt vmcnt(5)
	buffer_store_dword v95, v2, s[0:3], 0 offen offset:8
	;; [unrolled: 2-line block ×6, first 2 shown]
	s_waitcnt vmcnt(0)
	buffer_store_dword v100, v1, s[0:3], 0 offen
.LBB108_366:
	global_load_dword v0, v0, s[12:13] offset:8
	s_waitcnt vmcnt(0)
	v_add_nc_u32_e32 v0, -1, v0
	v_cmp_eq_u32_e32 vcc_lo, 2, v0
	s_cbranch_vccnz .LBB108_368
; %bb.367:
	v_lshlrev_b32_e32 v0, 4, v0
	v_mov_b32_e32 v1, s55
	v_add_nc_u32_e32 v0, 16, v0
	s_clause 0x7
	buffer_load_dword v2, v0, s[0:3], 0 offen
	buffer_load_dword v3, v0, s[0:3], 0 offen offset:4
	buffer_load_dword v4, v0, s[0:3], 0 offen offset:8
	;; [unrolled: 1-line block ×6, first 2 shown]
	buffer_load_dword v99, v1, s[0:3], 0 offen
	s_waitcnt vmcnt(7)
	buffer_store_dword v2, v1, s[0:3], 0 offen
	s_waitcnt vmcnt(6)
	buffer_store_dword v3, v1, s[0:3], 0 offen offset:4
	s_waitcnt vmcnt(5)
	buffer_store_dword v4, v1, s[0:3], 0 offen offset:8
	;; [unrolled: 2-line block ×6, first 2 shown]
	s_waitcnt vmcnt(0)
	buffer_store_dword v99, v0, s[0:3], 0 offen
.LBB108_368:
	v_mov_b32_e32 v0, 0
	global_load_dword v1, v0, s[12:13] offset:4
	s_waitcnt vmcnt(0)
	v_add_nc_u32_e32 v1, -1, v1
	v_cmp_eq_u32_e32 vcc_lo, 1, v1
	s_cbranch_vccnz .LBB108_370
; %bb.369:
	v_lshlrev_b32_e32 v1, 4, v1
	v_mov_b32_e32 v2, s56
	v_add_nc_u32_e32 v1, 16, v1
	s_clause 0x7
	buffer_load_dword v3, v1, s[0:3], 0 offen
	buffer_load_dword v4, v1, s[0:3], 0 offen offset:4
	buffer_load_dword v95, v1, s[0:3], 0 offen offset:8
	;; [unrolled: 1-line block ×6, first 2 shown]
	buffer_load_dword v100, v2, s[0:3], 0 offen
	s_waitcnt vmcnt(7)
	buffer_store_dword v3, v2, s[0:3], 0 offen
	s_waitcnt vmcnt(6)
	buffer_store_dword v4, v2, s[0:3], 0 offen offset:4
	s_waitcnt vmcnt(5)
	buffer_store_dword v95, v2, s[0:3], 0 offen offset:8
	;; [unrolled: 2-line block ×6, first 2 shown]
	s_waitcnt vmcnt(0)
	buffer_store_dword v100, v1, s[0:3], 0 offen
.LBB108_370:
	global_load_dword v0, v0, s[12:13]
	s_waitcnt vmcnt(0)
	v_add_nc_u32_e32 v0, -1, v0
	v_cmp_eq_u32_e32 vcc_lo, 0, v0
	s_cbranch_vccnz .LBB108_372
; %bb.371:
	v_lshlrev_b32_e32 v0, 4, v0
	v_add_nc_u32_e32 v0, 16, v0
	s_clause 0x7
	buffer_load_dword v1, v0, s[0:3], 0 offen
	buffer_load_dword v2, v0, s[0:3], 0 offen offset:4
	buffer_load_dword v3, v0, s[0:3], 0 offen offset:8
	;; [unrolled: 1-line block ×3, first 2 shown]
	buffer_load_dword v95, off, s[0:3], 0 offset:28
	buffer_load_dword v96, off, s[0:3], 0 offset:24
	;; [unrolled: 1-line block ×4, first 2 shown]
	s_waitcnt vmcnt(7)
	buffer_store_dword v1, off, s[0:3], 0 offset:16
	s_waitcnt vmcnt(6)
	buffer_store_dword v2, off, s[0:3], 0 offset:20
	s_waitcnt vmcnt(5)
	buffer_store_dword v3, off, s[0:3], 0 offset:24
	s_waitcnt vmcnt(4)
	buffer_store_dword v4, off, s[0:3], 0 offset:28
	s_waitcnt vmcnt(3)
	buffer_store_dword v95, v0, s[0:3], 0 offen offset:12
	s_waitcnt vmcnt(2)
	buffer_store_dword v96, v0, s[0:3], 0 offen offset:8
	s_waitcnt vmcnt(1)
	buffer_store_dword v97, v0, s[0:3], 0 offen offset:4
	s_waitcnt vmcnt(0)
	buffer_store_dword v98, v0, s[0:3], 0 offen
.LBB108_372:
	s_clause 0x3
	buffer_load_dword v0, off, s[0:3], 0 offset:16
	buffer_load_dword v1, off, s[0:3], 0 offset:20
	;; [unrolled: 1-line block ×4, first 2 shown]
	v_mov_b32_e32 v4, s56
	s_waitcnt vmcnt(0)
	flat_store_dwordx4 v[5:6], v[0:3]
	s_clause 0x3
	buffer_load_dword v0, v4, s[0:3], 0 offen
	buffer_load_dword v1, v4, s[0:3], 0 offen offset:4
	buffer_load_dword v2, v4, s[0:3], 0 offen offset:8
	buffer_load_dword v3, v4, s[0:3], 0 offen offset:12
	v_mov_b32_e32 v4, s55
	s_waitcnt vmcnt(0)
	flat_store_dwordx4 v[59:60], v[0:3]
	s_clause 0x3
	buffer_load_dword v0, v4, s[0:3], 0 offen
	buffer_load_dword v1, v4, s[0:3], 0 offen offset:4
	buffer_load_dword v2, v4, s[0:3], 0 offen offset:8
	buffer_load_dword v3, v4, s[0:3], 0 offen offset:12
	;; [unrolled: 8-line block ×44, first 2 shown]
	s_waitcnt vmcnt(0)
	flat_store_dwordx4 v[93:94], v[0:3]
	s_endpgm
	.section	.rodata,"a",@progbits
	.p2align	6, 0x0
	.amdhsa_kernel _ZN9rocsolver6v33100L18getri_kernel_smallILi45E19rocblas_complex_numIdEPKPS3_EEvT1_iilPiilS8_bb
		.amdhsa_group_segment_fixed_size 1448
		.amdhsa_private_segment_fixed_size 752
		.amdhsa_kernarg_size 60
		.amdhsa_user_sgpr_count 6
		.amdhsa_user_sgpr_private_segment_buffer 1
		.amdhsa_user_sgpr_dispatch_ptr 0
		.amdhsa_user_sgpr_queue_ptr 0
		.amdhsa_user_sgpr_kernarg_segment_ptr 1
		.amdhsa_user_sgpr_dispatch_id 0
		.amdhsa_user_sgpr_flat_scratch_init 0
		.amdhsa_user_sgpr_private_segment_size 0
		.amdhsa_wavefront_size32 1
		.amdhsa_uses_dynamic_stack 0
		.amdhsa_system_sgpr_private_segment_wavefront_offset 1
		.amdhsa_system_sgpr_workgroup_id_x 1
		.amdhsa_system_sgpr_workgroup_id_y 0
		.amdhsa_system_sgpr_workgroup_id_z 0
		.amdhsa_system_sgpr_workgroup_info 0
		.amdhsa_system_vgpr_workitem_id 0
		.amdhsa_next_free_vgpr 185
		.amdhsa_next_free_sgpr 78
		.amdhsa_reserve_vcc 1
		.amdhsa_reserve_flat_scratch 0
		.amdhsa_float_round_mode_32 0
		.amdhsa_float_round_mode_16_64 0
		.amdhsa_float_denorm_mode_32 3
		.amdhsa_float_denorm_mode_16_64 3
		.amdhsa_dx10_clamp 1
		.amdhsa_ieee_mode 1
		.amdhsa_fp16_overflow 0
		.amdhsa_workgroup_processor_mode 1
		.amdhsa_memory_ordered 1
		.amdhsa_forward_progress 1
		.amdhsa_shared_vgpr_count 0
		.amdhsa_exception_fp_ieee_invalid_op 0
		.amdhsa_exception_fp_denorm_src 0
		.amdhsa_exception_fp_ieee_div_zero 0
		.amdhsa_exception_fp_ieee_overflow 0
		.amdhsa_exception_fp_ieee_underflow 0
		.amdhsa_exception_fp_ieee_inexact 0
		.amdhsa_exception_int_div_zero 0
	.end_amdhsa_kernel
	.section	.text._ZN9rocsolver6v33100L18getri_kernel_smallILi45E19rocblas_complex_numIdEPKPS3_EEvT1_iilPiilS8_bb,"axG",@progbits,_ZN9rocsolver6v33100L18getri_kernel_smallILi45E19rocblas_complex_numIdEPKPS3_EEvT1_iilPiilS8_bb,comdat
.Lfunc_end108:
	.size	_ZN9rocsolver6v33100L18getri_kernel_smallILi45E19rocblas_complex_numIdEPKPS3_EEvT1_iilPiilS8_bb, .Lfunc_end108-_ZN9rocsolver6v33100L18getri_kernel_smallILi45E19rocblas_complex_numIdEPKPS3_EEvT1_iilPiilS8_bb
                                        ; -- End function
	.set _ZN9rocsolver6v33100L18getri_kernel_smallILi45E19rocblas_complex_numIdEPKPS3_EEvT1_iilPiilS8_bb.num_vgpr, 185
	.set _ZN9rocsolver6v33100L18getri_kernel_smallILi45E19rocblas_complex_numIdEPKPS3_EEvT1_iilPiilS8_bb.num_agpr, 0
	.set _ZN9rocsolver6v33100L18getri_kernel_smallILi45E19rocblas_complex_numIdEPKPS3_EEvT1_iilPiilS8_bb.numbered_sgpr, 78
	.set _ZN9rocsolver6v33100L18getri_kernel_smallILi45E19rocblas_complex_numIdEPKPS3_EEvT1_iilPiilS8_bb.num_named_barrier, 0
	.set _ZN9rocsolver6v33100L18getri_kernel_smallILi45E19rocblas_complex_numIdEPKPS3_EEvT1_iilPiilS8_bb.private_seg_size, 752
	.set _ZN9rocsolver6v33100L18getri_kernel_smallILi45E19rocblas_complex_numIdEPKPS3_EEvT1_iilPiilS8_bb.uses_vcc, 1
	.set _ZN9rocsolver6v33100L18getri_kernel_smallILi45E19rocblas_complex_numIdEPKPS3_EEvT1_iilPiilS8_bb.uses_flat_scratch, 0
	.set _ZN9rocsolver6v33100L18getri_kernel_smallILi45E19rocblas_complex_numIdEPKPS3_EEvT1_iilPiilS8_bb.has_dyn_sized_stack, 0
	.set _ZN9rocsolver6v33100L18getri_kernel_smallILi45E19rocblas_complex_numIdEPKPS3_EEvT1_iilPiilS8_bb.has_recursion, 0
	.set _ZN9rocsolver6v33100L18getri_kernel_smallILi45E19rocblas_complex_numIdEPKPS3_EEvT1_iilPiilS8_bb.has_indirect_call, 0
	.section	.AMDGPU.csdata,"",@progbits
; Kernel info:
; codeLenInByte = 139380
; TotalNumSgprs: 80
; NumVgprs: 185
; ScratchSize: 752
; MemoryBound: 0
; FloatMode: 240
; IeeeMode: 1
; LDSByteSize: 1448 bytes/workgroup (compile time only)
; SGPRBlocks: 0
; VGPRBlocks: 23
; NumSGPRsForWavesPerEU: 80
; NumVGPRsForWavesPerEU: 185
; Occupancy: 5
; WaveLimiterHint : 1
; COMPUTE_PGM_RSRC2:SCRATCH_EN: 1
; COMPUTE_PGM_RSRC2:USER_SGPR: 6
; COMPUTE_PGM_RSRC2:TRAP_HANDLER: 0
; COMPUTE_PGM_RSRC2:TGID_X_EN: 1
; COMPUTE_PGM_RSRC2:TGID_Y_EN: 0
; COMPUTE_PGM_RSRC2:TGID_Z_EN: 0
; COMPUTE_PGM_RSRC2:TIDIG_COMP_CNT: 0
	.section	.text._ZN9rocsolver6v33100L18getri_kernel_smallILi46E19rocblas_complex_numIdEPKPS3_EEvT1_iilPiilS8_bb,"axG",@progbits,_ZN9rocsolver6v33100L18getri_kernel_smallILi46E19rocblas_complex_numIdEPKPS3_EEvT1_iilPiilS8_bb,comdat
	.globl	_ZN9rocsolver6v33100L18getri_kernel_smallILi46E19rocblas_complex_numIdEPKPS3_EEvT1_iilPiilS8_bb ; -- Begin function _ZN9rocsolver6v33100L18getri_kernel_smallILi46E19rocblas_complex_numIdEPKPS3_EEvT1_iilPiilS8_bb
	.p2align	8
	.type	_ZN9rocsolver6v33100L18getri_kernel_smallILi46E19rocblas_complex_numIdEPKPS3_EEvT1_iilPiilS8_bb,@function
_ZN9rocsolver6v33100L18getri_kernel_smallILi46E19rocblas_complex_numIdEPKPS3_EEvT1_iilPiilS8_bb: ; @_ZN9rocsolver6v33100L18getri_kernel_smallILi46E19rocblas_complex_numIdEPKPS3_EEvT1_iilPiilS8_bb
; %bb.0:
	s_add_u32 s0, s0, s7
	s_addc_u32 s1, s1, 0
	s_mov_b32 s7, exec_lo
	v_cmpx_gt_u32_e32 46, v0
	s_cbranch_execz .LBB109_198
; %bb.1:
	s_clause 0x2
	s_load_dword s16, s[4:5], 0x38
	s_load_dwordx2 s[12:13], s[4:5], 0x0
	s_load_dwordx4 s[8:11], s[4:5], 0x28
	s_waitcnt lgkmcnt(0)
	s_bitcmp1_b32 s16, 8
	s_cselect_b32 s58, -1, 0
	s_ashr_i32 s7, s6, 31
	s_lshl_b64 s[14:15], s[6:7], 3
	s_add_u32 s12, s12, s14
	s_addc_u32 s13, s13, s15
	s_load_dwordx2 s[14:15], s[12:13], 0x0
	s_bfe_u32 s12, s16, 0x10008
	s_cmp_eq_u32 s12, 0
                                        ; implicit-def: $sgpr12_sgpr13
	s_cbranch_scc1 .LBB109_3
; %bb.2:
	s_clause 0x1
	s_load_dword s12, s[4:5], 0x20
	s_load_dwordx2 s[16:17], s[4:5], 0x18
	s_mul_i32 s13, s8, s7
	s_mul_hi_u32 s18, s8, s6
	s_mul_i32 s9, s9, s6
	s_add_i32 s13, s18, s13
	s_mul_i32 s8, s8, s6
	s_add_i32 s9, s13, s9
	s_lshl_b64 s[8:9], s[8:9], 2
	s_waitcnt lgkmcnt(0)
	s_ashr_i32 s13, s12, 31
	s_add_u32 s16, s16, s8
	s_addc_u32 s17, s17, s9
	s_lshl_b64 s[8:9], s[12:13], 2
	s_add_u32 s12, s16, s8
	s_addc_u32 s13, s17, s9
.LBB109_3:
	s_clause 0x1
	s_load_dwordx2 s[8:9], s[4:5], 0x8
	s_load_dword s59, s[4:5], 0x38
	v_lshlrev_b32_e32 v103, 4, v0
	s_movk_i32 s16, 0xa0
	s_movk_i32 s17, 0xb0
	;; [unrolled: 1-line block ×17, first 2 shown]
	s_waitcnt lgkmcnt(0)
	s_ashr_i32 s5, s8, 31
	s_mov_b32 s4, s8
	v_add3_u32 v7, s9, s9, v0
	s_lshl_b64 s[4:5], s[4:5], 4
	s_movk_i32 s61, 0x1b0
	s_add_u32 s8, s14, s4
	s_addc_u32 s14, s15, s5
	v_add_co_u32 v5, s4, s8, v103
	v_add_co_ci_u32_e64 v6, null, s14, 0, s4
	s_mov_b32 s4, s9
	s_ashr_i32 s5, s9, 31
	v_ashrrev_i32_e32 v8, 31, v7
	flat_load_dwordx4 v[1:4], v[5:6]
	s_lshl_b64 s[4:5], s[4:5], 4
	s_movk_i32 s15, 0x90
	v_add_co_u32 v59, vcc_lo, v5, s4
	v_add_co_ci_u32_e64 v60, null, s5, v6, vcc_lo
	v_lshlrev_b64 v[8:9], 4, v[7:8]
	v_add_nc_u32_e32 v7, s9, v7
	s_movk_i32 s4, 0x50
	s_movk_i32 s62, 0x1c0
	;; [unrolled: 1-line block ×4, first 2 shown]
	v_add_co_u32 v57, vcc_lo, s8, v8
	v_add_co_ci_u32_e64 v58, null, s14, v9, vcc_lo
	v_ashrrev_i32_e32 v8, 31, v7
	s_movk_i32 s65, 0x1f0
	s_movk_i32 s66, 0x200
	;; [unrolled: 1-line block ×4, first 2 shown]
	v_lshlrev_b64 v[8:9], 4, v[7:8]
	v_add_nc_u32_e32 v7, s9, v7
	s_movk_i32 s69, 0x230
	s_movk_i32 s70, 0x240
	;; [unrolled: 1-line block ×4, first 2 shown]
	v_add_co_u32 v53, vcc_lo, s8, v8
	v_add_co_ci_u32_e64 v54, null, s14, v9, vcc_lo
	v_ashrrev_i32_e32 v8, 31, v7
	s_movk_i32 s73, 0x270
	s_movk_i32 s74, 0x280
	;; [unrolled: 1-line block ×4, first 2 shown]
	v_lshlrev_b64 v[8:9], 4, v[7:8]
	v_add_nc_u32_e32 v7, s9, v7
	s_movk_i32 s77, 0x2b0
	s_movk_i32 s78, 0x2c0
	;; [unrolled: 1-line block ×3, first 2 shown]
	s_add_i32 s53, s4, 16
	v_add_co_u32 v51, vcc_lo, s8, v8
	v_add_co_ci_u32_e64 v52, null, s14, v9, vcc_lo
	v_ashrrev_i32_e32 v8, 31, v7
	s_add_i32 s49, s15, 16
	s_add_i32 s48, s16, 16
	s_add_i32 s47, s17, 16
	s_add_i32 s46, s18, 16
	v_lshlrev_b64 v[8:9], 4, v[7:8]
	v_add_nc_u32_e32 v7, s9, v7
	s_add_i32 s45, s19, 16
	s_add_i32 s44, s20, 16
	s_add_i32 s43, s21, 16
	s_add_i32 s42, s22, 16
	v_add_co_u32 v49, vcc_lo, s8, v8
	v_add_co_ci_u32_e64 v50, null, s14, v9, vcc_lo
	v_ashrrev_i32_e32 v8, 31, v7
	s_add_i32 s41, s23, 16
	s_add_i32 s40, s24, 16
	s_add_i32 s39, s25, 16
	s_add_i32 s38, s26, 16
	v_lshlrev_b64 v[8:9], 4, v[7:8]
	v_add_nc_u32_e32 v7, s9, v7
	s_add_i32 s37, s27, 16
	s_add_i32 s36, s28, 16
	s_add_i32 s35, s29, 16
	;; [unrolled: 13-line block ×4, first 2 shown]
	s_add_i32 s17, s74, 16
	v_add_co_u32 v43, vcc_lo, s8, v8
	v_add_co_ci_u32_e64 v44, null, s14, v9, vcc_lo
	v_ashrrev_i32_e32 v8, 31, v7
	s_add_i32 s16, s75, 16
	s_add_i32 s15, s76, 16
	s_mov_b32 s5, -1
	s_mov_b32 s57, 32
	v_lshlrev_b64 v[8:9], 4, v[7:8]
	v_add_nc_u32_e32 v7, s9, v7
	s_mov_b32 s56, 48
	s_mov_b32 s55, 64
	s_movk_i32 s54, 0x50
	s_waitcnt vmcnt(0) lgkmcnt(0)
	buffer_store_dword v4, off, s[0:3], 0 offset:28
	buffer_store_dword v3, off, s[0:3], 0 offset:24
	buffer_store_dword v2, off, s[0:3], 0 offset:20
	buffer_store_dword v1, off, s[0:3], 0 offset:16
	flat_load_dwordx4 v[1:4], v[59:60]
	v_add_co_u32 v41, vcc_lo, s8, v8
	v_add_co_ci_u32_e64 v42, null, s14, v9, vcc_lo
	v_ashrrev_i32_e32 v8, 31, v7
	s_waitcnt vmcnt(0) lgkmcnt(0)
	buffer_store_dword v4, off, s[0:3], 0 offset:44
	buffer_store_dword v3, off, s[0:3], 0 offset:40
	buffer_store_dword v2, off, s[0:3], 0 offset:36
	buffer_store_dword v1, off, s[0:3], 0 offset:32
	flat_load_dwordx4 v[1:4], v[57:58]
	v_lshlrev_b64 v[8:9], 4, v[7:8]
	v_add_nc_u32_e32 v7, s9, v7
	s_waitcnt vmcnt(0) lgkmcnt(0)
	buffer_store_dword v4, off, s[0:3], 0 offset:60
	buffer_store_dword v3, off, s[0:3], 0 offset:56
	buffer_store_dword v2, off, s[0:3], 0 offset:52
	buffer_store_dword v1, off, s[0:3], 0 offset:48
	flat_load_dwordx4 v[1:4], v[53:54]
	v_add_co_u32 v39, vcc_lo, s8, v8
	v_add_co_ci_u32_e64 v40, null, s14, v9, vcc_lo
	v_ashrrev_i32_e32 v8, 31, v7
	s_waitcnt vmcnt(0) lgkmcnt(0)
	buffer_store_dword v4, off, s[0:3], 0 offset:76
	buffer_store_dword v3, off, s[0:3], 0 offset:72
	buffer_store_dword v2, off, s[0:3], 0 offset:68
	buffer_store_dword v1, off, s[0:3], 0 offset:64
	flat_load_dwordx4 v[1:4], v[51:52]
	v_lshlrev_b64 v[8:9], 4, v[7:8]
	v_add_nc_u32_e32 v7, s9, v7
	;; [unrolled: 17-line block ×8, first 2 shown]
	s_waitcnt vmcnt(0) lgkmcnt(0)
	buffer_store_dword v4, off, s[0:3], 0 offset:284
	buffer_store_dword v3, off, s[0:3], 0 offset:280
	;; [unrolled: 1-line block ×4, first 2 shown]
	v_add_co_u32 v23, vcc_lo, s8, v8
	v_add_co_ci_u32_e64 v24, null, s14, v9, vcc_lo
	v_ashrrev_i32_e32 v8, 31, v7
	flat_load_dwordx4 v[1:4], v[23:24]
	s_waitcnt vmcnt(0) lgkmcnt(0)
	buffer_store_dword v4, off, s[0:3], 0 offset:300
	buffer_store_dword v3, off, s[0:3], 0 offset:296
	buffer_store_dword v2, off, s[0:3], 0 offset:292
	buffer_store_dword v1, off, s[0:3], 0 offset:288
	v_lshlrev_b64 v[8:9], 4, v[7:8]
	v_add_nc_u32_e32 v7, s9, v7
	v_add_co_u32 v21, vcc_lo, s8, v8
	v_add_co_ci_u32_e64 v22, null, s14, v9, vcc_lo
	v_ashrrev_i32_e32 v8, 31, v7
	flat_load_dwordx4 v[1:4], v[21:22]
	s_waitcnt vmcnt(0) lgkmcnt(0)
	buffer_store_dword v4, off, s[0:3], 0 offset:316
	buffer_store_dword v3, off, s[0:3], 0 offset:312
	buffer_store_dword v2, off, s[0:3], 0 offset:308
	buffer_store_dword v1, off, s[0:3], 0 offset:304
	v_lshlrev_b64 v[8:9], 4, v[7:8]
	v_add_nc_u32_e32 v7, s9, v7
	;; [unrolled: 11-line block ×6, first 2 shown]
	v_add_co_u32 v11, vcc_lo, s8, v8
	v_add_co_ci_u32_e64 v12, null, s14, v9, vcc_lo
	v_ashrrev_i32_e32 v8, 31, v7
	v_add_nc_u32_e32 v35, s9, v7
	flat_load_dwordx4 v[1:4], v[11:12]
	s_waitcnt vmcnt(0) lgkmcnt(0)
	buffer_store_dword v4, off, s[0:3], 0 offset:396
	buffer_store_dword v3, off, s[0:3], 0 offset:392
	;; [unrolled: 1-line block ×4, first 2 shown]
	v_lshlrev_b64 v[9:10], 4, v[7:8]
	v_ashrrev_i32_e32 v36, 31, v35
	v_add_nc_u32_e32 v55, s9, v35
	v_add_co_u32 v9, vcc_lo, s8, v9
	v_add_co_ci_u32_e64 v10, null, s14, v10, vcc_lo
	v_lshlrev_b64 v[7:8], 4, v[35:36]
	v_ashrrev_i32_e32 v56, 31, v55
	v_add_nc_u32_e32 v61, s9, v55
	flat_load_dwordx4 v[1:4], v[9:10]
	s_waitcnt vmcnt(0) lgkmcnt(0)
	buffer_store_dword v4, off, s[0:3], 0 offset:412
	buffer_store_dword v3, off, s[0:3], 0 offset:408
	buffer_store_dword v2, off, s[0:3], 0 offset:404
	buffer_store_dword v1, off, s[0:3], 0 offset:400
	v_add_co_u32 v7, vcc_lo, s8, v7
	v_add_co_ci_u32_e64 v8, null, s14, v8, vcc_lo
	v_lshlrev_b64 v[35:36], 4, v[55:56]
	v_ashrrev_i32_e32 v62, 31, v61
	v_add_nc_u32_e32 v63, s9, v61
	flat_load_dwordx4 v[1:4], v[7:8]
	s_waitcnt vmcnt(0) lgkmcnt(0)
	buffer_store_dword v4, off, s[0:3], 0 offset:428
	buffer_store_dword v3, off, s[0:3], 0 offset:424
	buffer_store_dword v2, off, s[0:3], 0 offset:420
	buffer_store_dword v1, off, s[0:3], 0 offset:416
	;; [unrolled: 11-line block ×18, first 2 shown]
	v_add_co_u32 v89, vcc_lo, s8, v89
	v_add_co_ci_u32_e64 v90, null, s14, v90, vcc_lo
	v_lshlrev_b64 v[91:92], 4, v[93:94]
	v_ashrrev_i32_e32 v96, 31, v95
	flat_load_dwordx4 v[1:4], v[89:90]
	s_waitcnt vmcnt(0) lgkmcnt(0)
	buffer_store_dword v4, off, s[0:3], 0 offset:700
	buffer_store_dword v3, off, s[0:3], 0 offset:696
	;; [unrolled: 1-line block ×4, first 2 shown]
	v_add_co_u32 v91, vcc_lo, s8, v91
	v_add_co_ci_u32_e64 v92, null, s14, v92, vcc_lo
	v_lshlrev_b64 v[93:94], 4, v[95:96]
	v_add_nc_u32_e32 v95, s9, v95
	s_movk_i32 s9, 0x70
	flat_load_dwordx4 v[1:4], v[91:92]
	s_add_i32 s51, s9, 16
	s_add_i32 s9, s78, 16
	v_add_co_u32 v93, vcc_lo, s8, v93
	v_add_co_ci_u32_e64 v94, null, s14, v94, vcc_lo
	v_ashrrev_i32_e32 v96, 31, v95
	s_waitcnt vmcnt(0) lgkmcnt(0)
	buffer_store_dword v4, off, s[0:3], 0 offset:716
	buffer_store_dword v3, off, s[0:3], 0 offset:712
	;; [unrolled: 1-line block ×4, first 2 shown]
	flat_load_dwordx4 v[1:4], v[93:94]
	v_lshlrev_b64 v[95:96], 4, v[95:96]
	s_waitcnt vmcnt(0) lgkmcnt(0)
	buffer_store_dword v4, off, s[0:3], 0 offset:732
	buffer_store_dword v3, off, s[0:3], 0 offset:728
	;; [unrolled: 1-line block ×4, first 2 shown]
	v_add_co_u32 v95, vcc_lo, s8, v95
	v_add_co_ci_u32_e64 v96, null, s14, v96, vcc_lo
	s_movk_i32 s8, 0x60
	s_movk_i32 s14, 0x80
	s_add_i32 s52, s8, 16
	flat_load_dwordx4 v[1:4], v[95:96]
	s_add_i32 s50, s14, 16
	s_add_i32 s14, s77, 16
	;; [unrolled: 1-line block ×3, first 2 shown]
	s_bitcmp0_b32 s59, 0
	s_waitcnt vmcnt(0) lgkmcnt(0)
	buffer_store_dword v4, off, s[0:3], 0 offset:748
	buffer_store_dword v3, off, s[0:3], 0 offset:744
	;; [unrolled: 1-line block ×4, first 2 shown]
	s_cbranch_scc1 .LBB109_196
; %bb.4:
	v_cmp_eq_u32_e64 s4, 0, v0
	s_and_saveexec_b32 s5, s4
; %bb.5:
	v_mov_b32_e32 v1, 0
	ds_write_b32 v1, v1 offset:1472
; %bb.6:
	s_or_b32 exec_lo, exec_lo, s5
	v_lshl_add_u32 v104, v0, 4, 16
	s_waitcnt lgkmcnt(0)
	s_waitcnt_vscnt null, 0x0
	s_barrier
	buffer_gl0_inv
	s_clause 0x3
	buffer_load_dword v1, v104, s[0:3], 0 offen
	buffer_load_dword v2, v104, s[0:3], 0 offen offset:4
	buffer_load_dword v3, v104, s[0:3], 0 offen offset:8
	;; [unrolled: 1-line block ×3, first 2 shown]
	s_waitcnt vmcnt(2)
	v_cmp_eq_f64_e32 vcc_lo, 0, v[1:2]
	s_waitcnt vmcnt(0)
	v_cmp_eq_f64_e64 s5, 0, v[3:4]
	s_and_b32 s5, vcc_lo, s5
	s_and_saveexec_b32 s59, s5
	s_cbranch_execz .LBB109_10
; %bb.7:
	v_mov_b32_e32 v1, 0
	s_mov_b32 s60, 0
	ds_read_b32 v2, v1 offset:1472
	s_waitcnt lgkmcnt(0)
	v_readfirstlane_b32 s5, v2
	v_add_nc_u32_e32 v2, 1, v0
	s_cmp_eq_u32 s5, 0
	v_cmp_gt_i32_e32 vcc_lo, s5, v2
	s_cselect_b32 s61, -1, 0
	s_or_b32 s61, s61, vcc_lo
	s_and_b32 exec_lo, exec_lo, s61
	s_cbranch_execz .LBB109_10
; %bb.8:
	v_mov_b32_e32 v3, s5
.LBB109_9:                              ; =>This Inner Loop Header: Depth=1
	ds_cmpst_rtn_b32 v3, v1, v3, v2 offset:1472
	s_waitcnt lgkmcnt(0)
	v_cmp_ne_u32_e32 vcc_lo, 0, v3
	v_cmp_le_i32_e64 s5, v3, v2
	s_and_b32 s5, vcc_lo, s5
	s_and_b32 s5, exec_lo, s5
	s_or_b32 s60, s5, s60
	s_andn2_b32 exec_lo, exec_lo, s60
	s_cbranch_execnz .LBB109_9
.LBB109_10:
	s_or_b32 exec_lo, exec_lo, s59
	v_mov_b32_e32 v1, 0
	s_barrier
	buffer_gl0_inv
	ds_read_b32 v2, v1 offset:1472
	s_and_saveexec_b32 s5, s4
	s_cbranch_execz .LBB109_12
; %bb.11:
	s_lshl_b64 s[60:61], s[6:7], 2
	s_add_u32 s60, s10, s60
	s_addc_u32 s61, s11, s61
	s_waitcnt lgkmcnt(0)
	global_store_dword v1, v2, s[60:61]
.LBB109_12:
	s_or_b32 exec_lo, exec_lo, s5
	s_waitcnt lgkmcnt(0)
	v_cmp_ne_u32_e32 vcc_lo, 0, v2
	s_mov_b32 s5, 0
	s_cbranch_vccnz .LBB109_196
; %bb.13:
	s_clause 0x3
	buffer_load_dword v99, v104, s[0:3], 0 offen
	buffer_load_dword v100, v104, s[0:3], 0 offen offset:4
	buffer_load_dword v101, v104, s[0:3], 0 offen offset:8
	;; [unrolled: 1-line block ×3, first 2 shown]
                                        ; implicit-def: $vgpr97_vgpr98
                                        ; implicit-def: $vgpr3_vgpr4
	s_waitcnt vmcnt(0)
	v_cmp_ngt_f64_e64 s5, |v[99:100]|, |v[101:102]|
	s_and_saveexec_b32 s59, s5
	s_xor_b32 s5, exec_lo, s59
	s_cbranch_execz .LBB109_15
; %bb.14:
	v_div_scale_f64 v[1:2], null, v[101:102], v[101:102], v[99:100]
	v_div_scale_f64 v[105:106], vcc_lo, v[99:100], v[101:102], v[99:100]
	v_rcp_f64_e32 v[3:4], v[1:2]
	v_fma_f64 v[97:98], -v[1:2], v[3:4], 1.0
	v_fma_f64 v[3:4], v[3:4], v[97:98], v[3:4]
	v_fma_f64 v[97:98], -v[1:2], v[3:4], 1.0
	v_fma_f64 v[3:4], v[3:4], v[97:98], v[3:4]
	v_mul_f64 v[97:98], v[105:106], v[3:4]
	v_fma_f64 v[1:2], -v[1:2], v[97:98], v[105:106]
	v_div_fmas_f64 v[1:2], v[1:2], v[3:4], v[97:98]
	v_div_fixup_f64 v[1:2], v[1:2], v[101:102], v[99:100]
	v_fma_f64 v[3:4], v[99:100], v[1:2], v[101:102]
	v_div_scale_f64 v[97:98], null, v[3:4], v[3:4], 1.0
	v_div_scale_f64 v[105:106], vcc_lo, 1.0, v[3:4], 1.0
	v_rcp_f64_e32 v[99:100], v[97:98]
	v_fma_f64 v[101:102], -v[97:98], v[99:100], 1.0
	v_fma_f64 v[99:100], v[99:100], v[101:102], v[99:100]
	v_fma_f64 v[101:102], -v[97:98], v[99:100], 1.0
	v_fma_f64 v[99:100], v[99:100], v[101:102], v[99:100]
	v_mul_f64 v[101:102], v[105:106], v[99:100]
	v_fma_f64 v[97:98], -v[97:98], v[101:102], v[105:106]
	v_div_fmas_f64 v[97:98], v[97:98], v[99:100], v[101:102]
                                        ; implicit-def: $vgpr99_vgpr100
                                        ; implicit-def: $vgpr101_vgpr102
	v_div_fixup_f64 v[3:4], v[97:98], v[3:4], 1.0
	v_mul_f64 v[97:98], v[1:2], v[3:4]
	v_xor_b32_e32 v4, 0x80000000, v4
	v_xor_b32_e32 v2, 0x80000000, v98
	v_mov_b32_e32 v1, v97
.LBB109_15:
	s_andn2_saveexec_b32 s5, s5
	s_cbranch_execz .LBB109_17
; %bb.16:
	v_div_scale_f64 v[1:2], null, v[99:100], v[99:100], v[101:102]
	v_div_scale_f64 v[105:106], vcc_lo, v[101:102], v[99:100], v[101:102]
	v_rcp_f64_e32 v[3:4], v[1:2]
	v_fma_f64 v[97:98], -v[1:2], v[3:4], 1.0
	v_fma_f64 v[3:4], v[3:4], v[97:98], v[3:4]
	v_fma_f64 v[97:98], -v[1:2], v[3:4], 1.0
	v_fma_f64 v[3:4], v[3:4], v[97:98], v[3:4]
	v_mul_f64 v[97:98], v[105:106], v[3:4]
	v_fma_f64 v[1:2], -v[1:2], v[97:98], v[105:106]
	v_div_fmas_f64 v[1:2], v[1:2], v[3:4], v[97:98]
	v_div_fixup_f64 v[1:2], v[1:2], v[99:100], v[101:102]
	v_fma_f64 v[3:4], v[101:102], v[1:2], v[99:100]
	v_div_scale_f64 v[97:98], null, v[3:4], v[3:4], 1.0
	v_rcp_f64_e32 v[99:100], v[97:98]
	v_fma_f64 v[101:102], -v[97:98], v[99:100], 1.0
	v_fma_f64 v[99:100], v[99:100], v[101:102], v[99:100]
	v_fma_f64 v[101:102], -v[97:98], v[99:100], 1.0
	v_fma_f64 v[99:100], v[99:100], v[101:102], v[99:100]
	v_div_scale_f64 v[101:102], vcc_lo, 1.0, v[3:4], 1.0
	v_mul_f64 v[105:106], v[101:102], v[99:100]
	v_fma_f64 v[97:98], -v[97:98], v[105:106], v[101:102]
	v_div_fmas_f64 v[97:98], v[97:98], v[99:100], v[105:106]
	v_div_fixup_f64 v[97:98], v[97:98], v[3:4], 1.0
	v_mul_f64 v[3:4], v[1:2], -v[97:98]
	v_xor_b32_e32 v2, 0x80000000, v98
	v_mov_b32_e32 v1, v97
.LBB109_17:
	s_or_b32 exec_lo, exec_lo, s5
	v_mov_b32_e32 v102, s57
	buffer_store_dword v98, v104, s[0:3], 0 offen offset:4
	buffer_store_dword v97, v104, s[0:3], 0 offen
	buffer_store_dword v4, v104, s[0:3], 0 offen offset:12
	buffer_store_dword v3, v104, s[0:3], 0 offen offset:8
	v_xor_b32_e32 v4, 0x80000000, v4
	v_add_nc_u32_e32 v97, 0x2e0, v103
	s_clause 0x3
	buffer_load_dword v101, v102, s[0:3], 0 offen offset:12
	buffer_load_dword v100, v102, s[0:3], 0 offen offset:8
	;; [unrolled: 1-line block ×3, first 2 shown]
	buffer_load_dword v98, v102, s[0:3], 0 offen
	ds_write_b128 v103, v[1:4]
	s_waitcnt vmcnt(0)
	ds_write_b128 v103, v[98:101] offset:736
	s_waitcnt lgkmcnt(0)
	s_waitcnt_vscnt null, 0x0
	s_barrier
	buffer_gl0_inv
	s_and_saveexec_b32 s5, s4
	s_cbranch_execz .LBB109_19
; %bb.18:
	s_clause 0x3
	buffer_load_dword v105, v104, s[0:3], 0 offen offset:8
	buffer_load_dword v106, v104, s[0:3], 0 offen offset:12
	buffer_load_dword v107, v104, s[0:3], 0 offen
	buffer_load_dword v108, v104, s[0:3], 0 offen offset:4
	ds_read_b128 v[1:4], v97
	v_mov_b32_e32 v98, 0
	ds_read_b128 v[98:101], v98 offset:16
	s_waitcnt vmcnt(2) lgkmcnt(1)
	v_mul_f64 v[109:110], v[1:2], v[105:106]
	v_mul_f64 v[105:106], v[3:4], v[105:106]
	s_waitcnt vmcnt(0)
	v_fma_f64 v[3:4], v[3:4], v[107:108], v[109:110]
	v_fma_f64 v[1:2], v[1:2], v[107:108], -v[105:106]
	v_add_f64 v[3:4], v[3:4], 0
	v_add_f64 v[1:2], v[1:2], 0
	s_waitcnt lgkmcnt(0)
	v_mul_f64 v[105:106], v[3:4], v[100:101]
	v_mul_f64 v[100:101], v[1:2], v[100:101]
	v_fma_f64 v[1:2], v[1:2], v[98:99], -v[105:106]
	v_fma_f64 v[3:4], v[3:4], v[98:99], v[100:101]
	buffer_store_dword v1, off, s[0:3], 0 offset:32
	buffer_store_dword v2, off, s[0:3], 0 offset:36
	;; [unrolled: 1-line block ×4, first 2 shown]
.LBB109_19:
	s_or_b32 exec_lo, exec_lo, s5
	v_mov_b32_e32 v4, s56
	s_waitcnt_vscnt null, 0x0
	s_barrier
	buffer_gl0_inv
	s_mov_b32 s5, exec_lo
	s_clause 0x3
	buffer_load_dword v1, v4, s[0:3], 0 offen
	buffer_load_dword v2, v4, s[0:3], 0 offen offset:4
	buffer_load_dword v3, v4, s[0:3], 0 offen offset:8
	;; [unrolled: 1-line block ×3, first 2 shown]
	s_waitcnt vmcnt(0)
	ds_write_b128 v97, v[1:4]
	s_waitcnt lgkmcnt(0)
	s_barrier
	buffer_gl0_inv
	v_cmpx_gt_u32_e32 2, v0
	s_cbranch_execz .LBB109_23
; %bb.20:
	s_clause 0x3
	buffer_load_dword v98, v104, s[0:3], 0 offen offset:8
	buffer_load_dword v99, v104, s[0:3], 0 offen offset:12
	buffer_load_dword v100, v104, s[0:3], 0 offen
	buffer_load_dword v101, v104, s[0:3], 0 offen offset:4
	ds_read_b128 v[1:4], v97
	s_waitcnt vmcnt(2) lgkmcnt(0)
	v_mul_f64 v[104:105], v[3:4], v[98:99]
	v_mul_f64 v[98:99], v[1:2], v[98:99]
	s_waitcnt vmcnt(0)
	v_fma_f64 v[1:2], v[1:2], v[100:101], -v[104:105]
	v_fma_f64 v[3:4], v[3:4], v[100:101], v[98:99]
	v_add_f64 v[1:2], v[1:2], 0
	v_add_f64 v[3:4], v[3:4], 0
	s_and_saveexec_b32 s59, s4
	s_cbranch_execz .LBB109_22
; %bb.21:
	s_clause 0x3
	buffer_load_dword v104, off, s[0:3], 0 offset:40
	buffer_load_dword v105, off, s[0:3], 0 offset:44
	;; [unrolled: 1-line block ×4, first 2 shown]
	v_mov_b32_e32 v98, 0
	ds_read_b128 v[98:101], v98 offset:752
	s_waitcnt vmcnt(2) lgkmcnt(0)
	v_mul_f64 v[108:109], v[98:99], v[104:105]
	v_mul_f64 v[104:105], v[100:101], v[104:105]
	s_waitcnt vmcnt(0)
	v_fma_f64 v[100:101], v[100:101], v[106:107], v[108:109]
	v_fma_f64 v[98:99], v[98:99], v[106:107], -v[104:105]
	v_add_f64 v[3:4], v[3:4], v[100:101]
	v_add_f64 v[1:2], v[1:2], v[98:99]
.LBB109_22:
	s_or_b32 exec_lo, exec_lo, s59
	v_mov_b32_e32 v98, 0
	ds_read_b128 v[98:101], v98 offset:32
	s_waitcnt lgkmcnt(0)
	v_mul_f64 v[104:105], v[3:4], v[100:101]
	v_mul_f64 v[100:101], v[1:2], v[100:101]
	v_fma_f64 v[1:2], v[1:2], v[98:99], -v[104:105]
	v_fma_f64 v[3:4], v[3:4], v[98:99], v[100:101]
	buffer_store_dword v2, off, s[0:3], 0 offset:52
	buffer_store_dword v1, off, s[0:3], 0 offset:48
	;; [unrolled: 1-line block ×4, first 2 shown]
.LBB109_23:
	s_or_b32 exec_lo, exec_lo, s5
	v_mov_b32_e32 v4, s55
	s_waitcnt_vscnt null, 0x0
	s_barrier
	buffer_gl0_inv
	v_add_nc_u32_e32 v98, -1, v0
	s_clause 0x3
	buffer_load_dword v1, v4, s[0:3], 0 offen
	buffer_load_dword v2, v4, s[0:3], 0 offen offset:4
	buffer_load_dword v3, v4, s[0:3], 0 offen offset:8
	;; [unrolled: 1-line block ×3, first 2 shown]
	s_mov_b32 s4, exec_lo
	s_waitcnt vmcnt(0)
	ds_write_b128 v97, v[1:4]
	s_waitcnt lgkmcnt(0)
	s_barrier
	buffer_gl0_inv
	v_cmpx_gt_u32_e32 3, v0
	s_cbranch_execz .LBB109_27
; %bb.24:
	v_mov_b32_e32 v1, 0
	v_mov_b32_e32 v3, 0
	v_add_nc_u32_e32 v99, -1, v0
	v_add_nc_u32_e32 v100, 0x2e0, v103
	v_mov_b32_e32 v2, 0
	v_mov_b32_e32 v4, 0
	v_add_nc_u32_e32 v101, 16, v103
	s_mov_b32 s5, 0
	.p2align	6
.LBB109_25:                             ; =>This Inner Loop Header: Depth=1
	s_clause 0x3
	buffer_load_dword v108, v101, s[0:3], 0 offen offset:8
	buffer_load_dword v109, v101, s[0:3], 0 offen offset:12
	buffer_load_dword v110, v101, s[0:3], 0 offen
	buffer_load_dword v111, v101, s[0:3], 0 offen offset:4
	ds_read_b128 v[104:107], v100
	v_add_nc_u32_e32 v99, 1, v99
	v_add_nc_u32_e32 v100, 16, v100
	;; [unrolled: 1-line block ×3, first 2 shown]
	v_cmp_lt_u32_e32 vcc_lo, 1, v99
	s_or_b32 s5, vcc_lo, s5
	s_waitcnt vmcnt(2) lgkmcnt(0)
	v_mul_f64 v[112:113], v[106:107], v[108:109]
	v_mul_f64 v[108:109], v[104:105], v[108:109]
	s_waitcnt vmcnt(0)
	v_fma_f64 v[104:105], v[104:105], v[110:111], -v[112:113]
	v_fma_f64 v[106:107], v[106:107], v[110:111], v[108:109]
	v_add_f64 v[3:4], v[3:4], v[104:105]
	v_add_f64 v[1:2], v[1:2], v[106:107]
	s_andn2_b32 exec_lo, exec_lo, s5
	s_cbranch_execnz .LBB109_25
; %bb.26:
	s_or_b32 exec_lo, exec_lo, s5
	v_mov_b32_e32 v99, 0
	ds_read_b128 v[99:102], v99 offset:48
	s_waitcnt lgkmcnt(0)
	v_mul_f64 v[104:105], v[1:2], v[101:102]
	v_mul_f64 v[101:102], v[3:4], v[101:102]
	v_fma_f64 v[3:4], v[3:4], v[99:100], -v[104:105]
	v_fma_f64 v[1:2], v[1:2], v[99:100], v[101:102]
	buffer_store_dword v4, off, s[0:3], 0 offset:68
	buffer_store_dword v3, off, s[0:3], 0 offset:64
	buffer_store_dword v2, off, s[0:3], 0 offset:76
	buffer_store_dword v1, off, s[0:3], 0 offset:72
.LBB109_27:
	s_or_b32 exec_lo, exec_lo, s4
	v_mov_b32_e32 v4, s54
	s_waitcnt_vscnt null, 0x0
	s_barrier
	buffer_gl0_inv
	s_mov_b32 s4, exec_lo
	s_clause 0x3
	buffer_load_dword v1, v4, s[0:3], 0 offen
	buffer_load_dword v2, v4, s[0:3], 0 offen offset:4
	buffer_load_dword v3, v4, s[0:3], 0 offen offset:8
	;; [unrolled: 1-line block ×3, first 2 shown]
	s_waitcnt vmcnt(0)
	ds_write_b128 v97, v[1:4]
	s_waitcnt lgkmcnt(0)
	s_barrier
	buffer_gl0_inv
	v_cmpx_gt_u32_e32 4, v0
	s_cbranch_execz .LBB109_31
; %bb.28:
	v_mov_b32_e32 v1, 0
	v_mov_b32_e32 v3, 0
	v_add_nc_u32_e32 v99, -1, v0
	v_add_nc_u32_e32 v100, 0x2e0, v103
	v_mov_b32_e32 v2, 0
	v_mov_b32_e32 v4, 0
	v_add_nc_u32_e32 v101, 16, v103
	s_mov_b32 s5, 0
	.p2align	6
.LBB109_29:                             ; =>This Inner Loop Header: Depth=1
	s_clause 0x3
	buffer_load_dword v108, v101, s[0:3], 0 offen offset:8
	buffer_load_dword v109, v101, s[0:3], 0 offen offset:12
	buffer_load_dword v110, v101, s[0:3], 0 offen
	buffer_load_dword v111, v101, s[0:3], 0 offen offset:4
	ds_read_b128 v[104:107], v100
	v_add_nc_u32_e32 v99, 1, v99
	v_add_nc_u32_e32 v100, 16, v100
	;; [unrolled: 1-line block ×3, first 2 shown]
	v_cmp_lt_u32_e32 vcc_lo, 2, v99
	s_or_b32 s5, vcc_lo, s5
	s_waitcnt vmcnt(2) lgkmcnt(0)
	v_mul_f64 v[112:113], v[106:107], v[108:109]
	v_mul_f64 v[108:109], v[104:105], v[108:109]
	s_waitcnt vmcnt(0)
	v_fma_f64 v[104:105], v[104:105], v[110:111], -v[112:113]
	v_fma_f64 v[106:107], v[106:107], v[110:111], v[108:109]
	v_add_f64 v[3:4], v[3:4], v[104:105]
	v_add_f64 v[1:2], v[1:2], v[106:107]
	s_andn2_b32 exec_lo, exec_lo, s5
	s_cbranch_execnz .LBB109_29
; %bb.30:
	s_or_b32 exec_lo, exec_lo, s5
	v_mov_b32_e32 v99, 0
	ds_read_b128 v[99:102], v99 offset:64
	s_waitcnt lgkmcnt(0)
	v_mul_f64 v[104:105], v[1:2], v[101:102]
	v_mul_f64 v[101:102], v[3:4], v[101:102]
	v_fma_f64 v[3:4], v[3:4], v[99:100], -v[104:105]
	v_fma_f64 v[1:2], v[1:2], v[99:100], v[101:102]
	buffer_store_dword v4, off, s[0:3], 0 offset:84
	buffer_store_dword v3, off, s[0:3], 0 offset:80
	;; [unrolled: 1-line block ×4, first 2 shown]
.LBB109_31:
	s_or_b32 exec_lo, exec_lo, s4
	v_mov_b32_e32 v4, s53
	s_waitcnt_vscnt null, 0x0
	s_barrier
	buffer_gl0_inv
	s_mov_b32 s4, exec_lo
	s_clause 0x3
	buffer_load_dword v1, v4, s[0:3], 0 offen
	buffer_load_dword v2, v4, s[0:3], 0 offen offset:4
	buffer_load_dword v3, v4, s[0:3], 0 offen offset:8
	;; [unrolled: 1-line block ×3, first 2 shown]
	s_waitcnt vmcnt(0)
	ds_write_b128 v97, v[1:4]
	s_waitcnt lgkmcnt(0)
	s_barrier
	buffer_gl0_inv
	v_cmpx_gt_u32_e32 5, v0
	s_cbranch_execz .LBB109_35
; %bb.32:
	v_mov_b32_e32 v1, 0
	v_mov_b32_e32 v3, 0
	v_add_nc_u32_e32 v99, -1, v0
	v_add_nc_u32_e32 v100, 0x2e0, v103
	v_mov_b32_e32 v2, 0
	v_mov_b32_e32 v4, 0
	v_add_nc_u32_e32 v101, 16, v103
	s_mov_b32 s5, 0
	.p2align	6
.LBB109_33:                             ; =>This Inner Loop Header: Depth=1
	s_clause 0x3
	buffer_load_dword v108, v101, s[0:3], 0 offen offset:8
	buffer_load_dword v109, v101, s[0:3], 0 offen offset:12
	buffer_load_dword v110, v101, s[0:3], 0 offen
	buffer_load_dword v111, v101, s[0:3], 0 offen offset:4
	ds_read_b128 v[104:107], v100
	v_add_nc_u32_e32 v99, 1, v99
	v_add_nc_u32_e32 v100, 16, v100
	;; [unrolled: 1-line block ×3, first 2 shown]
	v_cmp_lt_u32_e32 vcc_lo, 3, v99
	s_or_b32 s5, vcc_lo, s5
	s_waitcnt vmcnt(2) lgkmcnt(0)
	v_mul_f64 v[112:113], v[106:107], v[108:109]
	v_mul_f64 v[108:109], v[104:105], v[108:109]
	s_waitcnt vmcnt(0)
	v_fma_f64 v[104:105], v[104:105], v[110:111], -v[112:113]
	v_fma_f64 v[106:107], v[106:107], v[110:111], v[108:109]
	v_add_f64 v[3:4], v[3:4], v[104:105]
	v_add_f64 v[1:2], v[1:2], v[106:107]
	s_andn2_b32 exec_lo, exec_lo, s5
	s_cbranch_execnz .LBB109_33
; %bb.34:
	s_or_b32 exec_lo, exec_lo, s5
	v_mov_b32_e32 v99, 0
	ds_read_b128 v[99:102], v99 offset:80
	s_waitcnt lgkmcnt(0)
	v_mul_f64 v[104:105], v[1:2], v[101:102]
	v_mul_f64 v[101:102], v[3:4], v[101:102]
	v_fma_f64 v[3:4], v[3:4], v[99:100], -v[104:105]
	v_fma_f64 v[1:2], v[1:2], v[99:100], v[101:102]
	buffer_store_dword v4, off, s[0:3], 0 offset:100
	buffer_store_dword v3, off, s[0:3], 0 offset:96
	;; [unrolled: 1-line block ×4, first 2 shown]
.LBB109_35:
	s_or_b32 exec_lo, exec_lo, s4
	v_mov_b32_e32 v4, s52
	s_waitcnt_vscnt null, 0x0
	s_barrier
	buffer_gl0_inv
	s_mov_b32 s4, exec_lo
	s_clause 0x3
	buffer_load_dword v1, v4, s[0:3], 0 offen
	buffer_load_dword v2, v4, s[0:3], 0 offen offset:4
	buffer_load_dword v3, v4, s[0:3], 0 offen offset:8
	;; [unrolled: 1-line block ×3, first 2 shown]
	s_waitcnt vmcnt(0)
	ds_write_b128 v97, v[1:4]
	s_waitcnt lgkmcnt(0)
	s_barrier
	buffer_gl0_inv
	v_cmpx_gt_u32_e32 6, v0
	s_cbranch_execz .LBB109_39
; %bb.36:
	v_mov_b32_e32 v1, 0
	v_mov_b32_e32 v3, 0
	v_add_nc_u32_e32 v99, -1, v0
	v_add_nc_u32_e32 v100, 0x2e0, v103
	v_mov_b32_e32 v2, 0
	v_mov_b32_e32 v4, 0
	v_add_nc_u32_e32 v101, 16, v103
	s_mov_b32 s5, 0
	.p2align	6
.LBB109_37:                             ; =>This Inner Loop Header: Depth=1
	s_clause 0x3
	buffer_load_dword v108, v101, s[0:3], 0 offen offset:8
	buffer_load_dword v109, v101, s[0:3], 0 offen offset:12
	buffer_load_dword v110, v101, s[0:3], 0 offen
	buffer_load_dword v111, v101, s[0:3], 0 offen offset:4
	ds_read_b128 v[104:107], v100
	v_add_nc_u32_e32 v99, 1, v99
	v_add_nc_u32_e32 v100, 16, v100
	;; [unrolled: 1-line block ×3, first 2 shown]
	v_cmp_lt_u32_e32 vcc_lo, 4, v99
	s_or_b32 s5, vcc_lo, s5
	s_waitcnt vmcnt(2) lgkmcnt(0)
	v_mul_f64 v[112:113], v[106:107], v[108:109]
	v_mul_f64 v[108:109], v[104:105], v[108:109]
	s_waitcnt vmcnt(0)
	v_fma_f64 v[104:105], v[104:105], v[110:111], -v[112:113]
	v_fma_f64 v[106:107], v[106:107], v[110:111], v[108:109]
	v_add_f64 v[3:4], v[3:4], v[104:105]
	v_add_f64 v[1:2], v[1:2], v[106:107]
	s_andn2_b32 exec_lo, exec_lo, s5
	s_cbranch_execnz .LBB109_37
; %bb.38:
	s_or_b32 exec_lo, exec_lo, s5
	v_mov_b32_e32 v99, 0
	ds_read_b128 v[99:102], v99 offset:96
	s_waitcnt lgkmcnt(0)
	v_mul_f64 v[104:105], v[1:2], v[101:102]
	v_mul_f64 v[101:102], v[3:4], v[101:102]
	v_fma_f64 v[3:4], v[3:4], v[99:100], -v[104:105]
	v_fma_f64 v[1:2], v[1:2], v[99:100], v[101:102]
	buffer_store_dword v4, off, s[0:3], 0 offset:116
	buffer_store_dword v3, off, s[0:3], 0 offset:112
	;; [unrolled: 1-line block ×4, first 2 shown]
.LBB109_39:
	s_or_b32 exec_lo, exec_lo, s4
	v_mov_b32_e32 v4, s51
	s_waitcnt_vscnt null, 0x0
	s_barrier
	buffer_gl0_inv
	s_mov_b32 s4, exec_lo
	s_clause 0x3
	buffer_load_dword v1, v4, s[0:3], 0 offen
	buffer_load_dword v2, v4, s[0:3], 0 offen offset:4
	buffer_load_dword v3, v4, s[0:3], 0 offen offset:8
	;; [unrolled: 1-line block ×3, first 2 shown]
	s_waitcnt vmcnt(0)
	ds_write_b128 v97, v[1:4]
	s_waitcnt lgkmcnt(0)
	s_barrier
	buffer_gl0_inv
	v_cmpx_gt_u32_e32 7, v0
	s_cbranch_execz .LBB109_43
; %bb.40:
	v_mov_b32_e32 v1, 0
	v_mov_b32_e32 v3, 0
	v_add_nc_u32_e32 v99, -1, v0
	v_add_nc_u32_e32 v100, 0x2e0, v103
	v_mov_b32_e32 v2, 0
	v_mov_b32_e32 v4, 0
	v_add_nc_u32_e32 v101, 16, v103
	s_mov_b32 s5, 0
	.p2align	6
.LBB109_41:                             ; =>This Inner Loop Header: Depth=1
	s_clause 0x3
	buffer_load_dword v108, v101, s[0:3], 0 offen offset:8
	buffer_load_dword v109, v101, s[0:3], 0 offen offset:12
	buffer_load_dword v110, v101, s[0:3], 0 offen
	buffer_load_dword v111, v101, s[0:3], 0 offen offset:4
	ds_read_b128 v[104:107], v100
	v_add_nc_u32_e32 v99, 1, v99
	v_add_nc_u32_e32 v100, 16, v100
	v_add_nc_u32_e32 v101, 16, v101
	v_cmp_lt_u32_e32 vcc_lo, 5, v99
	s_or_b32 s5, vcc_lo, s5
	s_waitcnt vmcnt(2) lgkmcnt(0)
	v_mul_f64 v[112:113], v[106:107], v[108:109]
	v_mul_f64 v[108:109], v[104:105], v[108:109]
	s_waitcnt vmcnt(0)
	v_fma_f64 v[104:105], v[104:105], v[110:111], -v[112:113]
	v_fma_f64 v[106:107], v[106:107], v[110:111], v[108:109]
	v_add_f64 v[3:4], v[3:4], v[104:105]
	v_add_f64 v[1:2], v[1:2], v[106:107]
	s_andn2_b32 exec_lo, exec_lo, s5
	s_cbranch_execnz .LBB109_41
; %bb.42:
	s_or_b32 exec_lo, exec_lo, s5
	v_mov_b32_e32 v99, 0
	ds_read_b128 v[99:102], v99 offset:112
	s_waitcnt lgkmcnt(0)
	v_mul_f64 v[104:105], v[1:2], v[101:102]
	v_mul_f64 v[101:102], v[3:4], v[101:102]
	v_fma_f64 v[3:4], v[3:4], v[99:100], -v[104:105]
	v_fma_f64 v[1:2], v[1:2], v[99:100], v[101:102]
	buffer_store_dword v4, off, s[0:3], 0 offset:132
	buffer_store_dword v3, off, s[0:3], 0 offset:128
	;; [unrolled: 1-line block ×4, first 2 shown]
.LBB109_43:
	s_or_b32 exec_lo, exec_lo, s4
	v_mov_b32_e32 v4, s50
	s_waitcnt_vscnt null, 0x0
	s_barrier
	buffer_gl0_inv
	s_mov_b32 s4, exec_lo
	s_clause 0x3
	buffer_load_dword v1, v4, s[0:3], 0 offen
	buffer_load_dword v2, v4, s[0:3], 0 offen offset:4
	buffer_load_dword v3, v4, s[0:3], 0 offen offset:8
	;; [unrolled: 1-line block ×3, first 2 shown]
	s_waitcnt vmcnt(0)
	ds_write_b128 v97, v[1:4]
	s_waitcnt lgkmcnt(0)
	s_barrier
	buffer_gl0_inv
	v_cmpx_gt_u32_e32 8, v0
	s_cbranch_execz .LBB109_47
; %bb.44:
	v_mov_b32_e32 v1, 0
	v_mov_b32_e32 v3, 0
	v_add_nc_u32_e32 v99, -1, v0
	v_add_nc_u32_e32 v100, 0x2e0, v103
	v_mov_b32_e32 v2, 0
	v_mov_b32_e32 v4, 0
	v_add_nc_u32_e32 v101, 16, v103
	s_mov_b32 s5, 0
	.p2align	6
.LBB109_45:                             ; =>This Inner Loop Header: Depth=1
	s_clause 0x3
	buffer_load_dword v108, v101, s[0:3], 0 offen offset:8
	buffer_load_dword v109, v101, s[0:3], 0 offen offset:12
	buffer_load_dword v110, v101, s[0:3], 0 offen
	buffer_load_dword v111, v101, s[0:3], 0 offen offset:4
	ds_read_b128 v[104:107], v100
	v_add_nc_u32_e32 v99, 1, v99
	v_add_nc_u32_e32 v100, 16, v100
	;; [unrolled: 1-line block ×3, first 2 shown]
	v_cmp_lt_u32_e32 vcc_lo, 6, v99
	s_or_b32 s5, vcc_lo, s5
	s_waitcnt vmcnt(2) lgkmcnt(0)
	v_mul_f64 v[112:113], v[106:107], v[108:109]
	v_mul_f64 v[108:109], v[104:105], v[108:109]
	s_waitcnt vmcnt(0)
	v_fma_f64 v[104:105], v[104:105], v[110:111], -v[112:113]
	v_fma_f64 v[106:107], v[106:107], v[110:111], v[108:109]
	v_add_f64 v[3:4], v[3:4], v[104:105]
	v_add_f64 v[1:2], v[1:2], v[106:107]
	s_andn2_b32 exec_lo, exec_lo, s5
	s_cbranch_execnz .LBB109_45
; %bb.46:
	s_or_b32 exec_lo, exec_lo, s5
	v_mov_b32_e32 v99, 0
	ds_read_b128 v[99:102], v99 offset:128
	s_waitcnt lgkmcnt(0)
	v_mul_f64 v[104:105], v[1:2], v[101:102]
	v_mul_f64 v[101:102], v[3:4], v[101:102]
	v_fma_f64 v[3:4], v[3:4], v[99:100], -v[104:105]
	v_fma_f64 v[1:2], v[1:2], v[99:100], v[101:102]
	buffer_store_dword v4, off, s[0:3], 0 offset:148
	buffer_store_dword v3, off, s[0:3], 0 offset:144
	;; [unrolled: 1-line block ×4, first 2 shown]
.LBB109_47:
	s_or_b32 exec_lo, exec_lo, s4
	v_mov_b32_e32 v4, s49
	s_waitcnt_vscnt null, 0x0
	s_barrier
	buffer_gl0_inv
	s_mov_b32 s4, exec_lo
	s_clause 0x3
	buffer_load_dword v1, v4, s[0:3], 0 offen
	buffer_load_dword v2, v4, s[0:3], 0 offen offset:4
	buffer_load_dword v3, v4, s[0:3], 0 offen offset:8
	;; [unrolled: 1-line block ×3, first 2 shown]
	s_waitcnt vmcnt(0)
	ds_write_b128 v97, v[1:4]
	s_waitcnt lgkmcnt(0)
	s_barrier
	buffer_gl0_inv
	v_cmpx_gt_u32_e32 9, v0
	s_cbranch_execz .LBB109_51
; %bb.48:
	v_mov_b32_e32 v1, 0
	v_mov_b32_e32 v3, 0
	v_add_nc_u32_e32 v99, -1, v0
	v_add_nc_u32_e32 v100, 0x2e0, v103
	v_mov_b32_e32 v2, 0
	v_mov_b32_e32 v4, 0
	v_add_nc_u32_e32 v101, 16, v103
	s_mov_b32 s5, 0
	.p2align	6
.LBB109_49:                             ; =>This Inner Loop Header: Depth=1
	s_clause 0x3
	buffer_load_dword v108, v101, s[0:3], 0 offen offset:8
	buffer_load_dword v109, v101, s[0:3], 0 offen offset:12
	buffer_load_dword v110, v101, s[0:3], 0 offen
	buffer_load_dword v111, v101, s[0:3], 0 offen offset:4
	ds_read_b128 v[104:107], v100
	v_add_nc_u32_e32 v99, 1, v99
	v_add_nc_u32_e32 v100, 16, v100
	;; [unrolled: 1-line block ×3, first 2 shown]
	v_cmp_lt_u32_e32 vcc_lo, 7, v99
	s_or_b32 s5, vcc_lo, s5
	s_waitcnt vmcnt(2) lgkmcnt(0)
	v_mul_f64 v[112:113], v[106:107], v[108:109]
	v_mul_f64 v[108:109], v[104:105], v[108:109]
	s_waitcnt vmcnt(0)
	v_fma_f64 v[104:105], v[104:105], v[110:111], -v[112:113]
	v_fma_f64 v[106:107], v[106:107], v[110:111], v[108:109]
	v_add_f64 v[3:4], v[3:4], v[104:105]
	v_add_f64 v[1:2], v[1:2], v[106:107]
	s_andn2_b32 exec_lo, exec_lo, s5
	s_cbranch_execnz .LBB109_49
; %bb.50:
	s_or_b32 exec_lo, exec_lo, s5
	v_mov_b32_e32 v99, 0
	ds_read_b128 v[99:102], v99 offset:144
	s_waitcnt lgkmcnt(0)
	v_mul_f64 v[104:105], v[1:2], v[101:102]
	v_mul_f64 v[101:102], v[3:4], v[101:102]
	v_fma_f64 v[3:4], v[3:4], v[99:100], -v[104:105]
	v_fma_f64 v[1:2], v[1:2], v[99:100], v[101:102]
	buffer_store_dword v4, off, s[0:3], 0 offset:164
	buffer_store_dword v3, off, s[0:3], 0 offset:160
	buffer_store_dword v2, off, s[0:3], 0 offset:172
	buffer_store_dword v1, off, s[0:3], 0 offset:168
.LBB109_51:
	s_or_b32 exec_lo, exec_lo, s4
	v_mov_b32_e32 v4, s48
	s_waitcnt_vscnt null, 0x0
	s_barrier
	buffer_gl0_inv
	s_mov_b32 s4, exec_lo
	s_clause 0x3
	buffer_load_dword v1, v4, s[0:3], 0 offen
	buffer_load_dword v2, v4, s[0:3], 0 offen offset:4
	buffer_load_dword v3, v4, s[0:3], 0 offen offset:8
	;; [unrolled: 1-line block ×3, first 2 shown]
	s_waitcnt vmcnt(0)
	ds_write_b128 v97, v[1:4]
	s_waitcnt lgkmcnt(0)
	s_barrier
	buffer_gl0_inv
	v_cmpx_gt_u32_e32 10, v0
	s_cbranch_execz .LBB109_55
; %bb.52:
	v_mov_b32_e32 v1, 0
	v_mov_b32_e32 v3, 0
	v_add_nc_u32_e32 v99, -1, v0
	v_add_nc_u32_e32 v100, 0x2e0, v103
	v_mov_b32_e32 v2, 0
	v_mov_b32_e32 v4, 0
	v_add_nc_u32_e32 v101, 16, v103
	s_mov_b32 s5, 0
	.p2align	6
.LBB109_53:                             ; =>This Inner Loop Header: Depth=1
	s_clause 0x3
	buffer_load_dword v108, v101, s[0:3], 0 offen offset:8
	buffer_load_dword v109, v101, s[0:3], 0 offen offset:12
	buffer_load_dword v110, v101, s[0:3], 0 offen
	buffer_load_dword v111, v101, s[0:3], 0 offen offset:4
	ds_read_b128 v[104:107], v100
	v_add_nc_u32_e32 v99, 1, v99
	v_add_nc_u32_e32 v100, 16, v100
	;; [unrolled: 1-line block ×3, first 2 shown]
	v_cmp_lt_u32_e32 vcc_lo, 8, v99
	s_or_b32 s5, vcc_lo, s5
	s_waitcnt vmcnt(2) lgkmcnt(0)
	v_mul_f64 v[112:113], v[106:107], v[108:109]
	v_mul_f64 v[108:109], v[104:105], v[108:109]
	s_waitcnt vmcnt(0)
	v_fma_f64 v[104:105], v[104:105], v[110:111], -v[112:113]
	v_fma_f64 v[106:107], v[106:107], v[110:111], v[108:109]
	v_add_f64 v[3:4], v[3:4], v[104:105]
	v_add_f64 v[1:2], v[1:2], v[106:107]
	s_andn2_b32 exec_lo, exec_lo, s5
	s_cbranch_execnz .LBB109_53
; %bb.54:
	s_or_b32 exec_lo, exec_lo, s5
	v_mov_b32_e32 v99, 0
	ds_read_b128 v[99:102], v99 offset:160
	s_waitcnt lgkmcnt(0)
	v_mul_f64 v[104:105], v[1:2], v[101:102]
	v_mul_f64 v[101:102], v[3:4], v[101:102]
	v_fma_f64 v[3:4], v[3:4], v[99:100], -v[104:105]
	v_fma_f64 v[1:2], v[1:2], v[99:100], v[101:102]
	buffer_store_dword v4, off, s[0:3], 0 offset:180
	buffer_store_dword v3, off, s[0:3], 0 offset:176
	;; [unrolled: 1-line block ×4, first 2 shown]
.LBB109_55:
	s_or_b32 exec_lo, exec_lo, s4
	v_mov_b32_e32 v4, s47
	s_waitcnt_vscnt null, 0x0
	s_barrier
	buffer_gl0_inv
	s_mov_b32 s4, exec_lo
	s_clause 0x3
	buffer_load_dword v1, v4, s[0:3], 0 offen
	buffer_load_dword v2, v4, s[0:3], 0 offen offset:4
	buffer_load_dword v3, v4, s[0:3], 0 offen offset:8
	;; [unrolled: 1-line block ×3, first 2 shown]
	s_waitcnt vmcnt(0)
	ds_write_b128 v97, v[1:4]
	s_waitcnt lgkmcnt(0)
	s_barrier
	buffer_gl0_inv
	v_cmpx_gt_u32_e32 11, v0
	s_cbranch_execz .LBB109_59
; %bb.56:
	v_mov_b32_e32 v1, 0
	v_mov_b32_e32 v3, 0
	v_add_nc_u32_e32 v99, -1, v0
	v_add_nc_u32_e32 v100, 0x2e0, v103
	v_mov_b32_e32 v2, 0
	v_mov_b32_e32 v4, 0
	v_add_nc_u32_e32 v101, 16, v103
	s_mov_b32 s5, 0
	.p2align	6
.LBB109_57:                             ; =>This Inner Loop Header: Depth=1
	s_clause 0x3
	buffer_load_dword v108, v101, s[0:3], 0 offen offset:8
	buffer_load_dword v109, v101, s[0:3], 0 offen offset:12
	buffer_load_dword v110, v101, s[0:3], 0 offen
	buffer_load_dword v111, v101, s[0:3], 0 offen offset:4
	ds_read_b128 v[104:107], v100
	v_add_nc_u32_e32 v99, 1, v99
	v_add_nc_u32_e32 v100, 16, v100
	;; [unrolled: 1-line block ×3, first 2 shown]
	v_cmp_lt_u32_e32 vcc_lo, 9, v99
	s_or_b32 s5, vcc_lo, s5
	s_waitcnt vmcnt(2) lgkmcnt(0)
	v_mul_f64 v[112:113], v[106:107], v[108:109]
	v_mul_f64 v[108:109], v[104:105], v[108:109]
	s_waitcnt vmcnt(0)
	v_fma_f64 v[104:105], v[104:105], v[110:111], -v[112:113]
	v_fma_f64 v[106:107], v[106:107], v[110:111], v[108:109]
	v_add_f64 v[3:4], v[3:4], v[104:105]
	v_add_f64 v[1:2], v[1:2], v[106:107]
	s_andn2_b32 exec_lo, exec_lo, s5
	s_cbranch_execnz .LBB109_57
; %bb.58:
	s_or_b32 exec_lo, exec_lo, s5
	v_mov_b32_e32 v99, 0
	ds_read_b128 v[99:102], v99 offset:176
	s_waitcnt lgkmcnt(0)
	v_mul_f64 v[104:105], v[1:2], v[101:102]
	v_mul_f64 v[101:102], v[3:4], v[101:102]
	v_fma_f64 v[3:4], v[3:4], v[99:100], -v[104:105]
	v_fma_f64 v[1:2], v[1:2], v[99:100], v[101:102]
	buffer_store_dword v4, off, s[0:3], 0 offset:196
	buffer_store_dword v3, off, s[0:3], 0 offset:192
	;; [unrolled: 1-line block ×4, first 2 shown]
.LBB109_59:
	s_or_b32 exec_lo, exec_lo, s4
	v_mov_b32_e32 v4, s46
	s_waitcnt_vscnt null, 0x0
	s_barrier
	buffer_gl0_inv
	s_mov_b32 s4, exec_lo
	s_clause 0x3
	buffer_load_dword v1, v4, s[0:3], 0 offen
	buffer_load_dword v2, v4, s[0:3], 0 offen offset:4
	buffer_load_dword v3, v4, s[0:3], 0 offen offset:8
	;; [unrolled: 1-line block ×3, first 2 shown]
	s_waitcnt vmcnt(0)
	ds_write_b128 v97, v[1:4]
	s_waitcnt lgkmcnt(0)
	s_barrier
	buffer_gl0_inv
	v_cmpx_gt_u32_e32 12, v0
	s_cbranch_execz .LBB109_63
; %bb.60:
	v_mov_b32_e32 v1, 0
	v_mov_b32_e32 v3, 0
	v_add_nc_u32_e32 v99, -1, v0
	v_add_nc_u32_e32 v100, 0x2e0, v103
	v_mov_b32_e32 v2, 0
	v_mov_b32_e32 v4, 0
	v_add_nc_u32_e32 v101, 16, v103
	s_mov_b32 s5, 0
	.p2align	6
.LBB109_61:                             ; =>This Inner Loop Header: Depth=1
	s_clause 0x3
	buffer_load_dword v108, v101, s[0:3], 0 offen offset:8
	buffer_load_dword v109, v101, s[0:3], 0 offen offset:12
	buffer_load_dword v110, v101, s[0:3], 0 offen
	buffer_load_dword v111, v101, s[0:3], 0 offen offset:4
	ds_read_b128 v[104:107], v100
	v_add_nc_u32_e32 v99, 1, v99
	v_add_nc_u32_e32 v100, 16, v100
	;; [unrolled: 1-line block ×3, first 2 shown]
	v_cmp_lt_u32_e32 vcc_lo, 10, v99
	s_or_b32 s5, vcc_lo, s5
	s_waitcnt vmcnt(2) lgkmcnt(0)
	v_mul_f64 v[112:113], v[106:107], v[108:109]
	v_mul_f64 v[108:109], v[104:105], v[108:109]
	s_waitcnt vmcnt(0)
	v_fma_f64 v[104:105], v[104:105], v[110:111], -v[112:113]
	v_fma_f64 v[106:107], v[106:107], v[110:111], v[108:109]
	v_add_f64 v[3:4], v[3:4], v[104:105]
	v_add_f64 v[1:2], v[1:2], v[106:107]
	s_andn2_b32 exec_lo, exec_lo, s5
	s_cbranch_execnz .LBB109_61
; %bb.62:
	s_or_b32 exec_lo, exec_lo, s5
	v_mov_b32_e32 v99, 0
	ds_read_b128 v[99:102], v99 offset:192
	s_waitcnt lgkmcnt(0)
	v_mul_f64 v[104:105], v[1:2], v[101:102]
	v_mul_f64 v[101:102], v[3:4], v[101:102]
	v_fma_f64 v[3:4], v[3:4], v[99:100], -v[104:105]
	v_fma_f64 v[1:2], v[1:2], v[99:100], v[101:102]
	buffer_store_dword v4, off, s[0:3], 0 offset:212
	buffer_store_dword v3, off, s[0:3], 0 offset:208
	;; [unrolled: 1-line block ×4, first 2 shown]
.LBB109_63:
	s_or_b32 exec_lo, exec_lo, s4
	v_mov_b32_e32 v4, s45
	s_waitcnt_vscnt null, 0x0
	s_barrier
	buffer_gl0_inv
	s_mov_b32 s4, exec_lo
	s_clause 0x3
	buffer_load_dword v1, v4, s[0:3], 0 offen
	buffer_load_dword v2, v4, s[0:3], 0 offen offset:4
	buffer_load_dword v3, v4, s[0:3], 0 offen offset:8
	;; [unrolled: 1-line block ×3, first 2 shown]
	s_waitcnt vmcnt(0)
	ds_write_b128 v97, v[1:4]
	s_waitcnt lgkmcnt(0)
	s_barrier
	buffer_gl0_inv
	v_cmpx_gt_u32_e32 13, v0
	s_cbranch_execz .LBB109_67
; %bb.64:
	v_mov_b32_e32 v1, 0
	v_mov_b32_e32 v3, 0
	v_add_nc_u32_e32 v99, -1, v0
	v_add_nc_u32_e32 v100, 0x2e0, v103
	v_mov_b32_e32 v2, 0
	v_mov_b32_e32 v4, 0
	v_add_nc_u32_e32 v101, 16, v103
	s_mov_b32 s5, 0
	.p2align	6
.LBB109_65:                             ; =>This Inner Loop Header: Depth=1
	s_clause 0x3
	buffer_load_dword v108, v101, s[0:3], 0 offen offset:8
	buffer_load_dword v109, v101, s[0:3], 0 offen offset:12
	buffer_load_dword v110, v101, s[0:3], 0 offen
	buffer_load_dword v111, v101, s[0:3], 0 offen offset:4
	ds_read_b128 v[104:107], v100
	v_add_nc_u32_e32 v99, 1, v99
	v_add_nc_u32_e32 v100, 16, v100
	;; [unrolled: 1-line block ×3, first 2 shown]
	v_cmp_lt_u32_e32 vcc_lo, 11, v99
	s_or_b32 s5, vcc_lo, s5
	s_waitcnt vmcnt(2) lgkmcnt(0)
	v_mul_f64 v[112:113], v[106:107], v[108:109]
	v_mul_f64 v[108:109], v[104:105], v[108:109]
	s_waitcnt vmcnt(0)
	v_fma_f64 v[104:105], v[104:105], v[110:111], -v[112:113]
	v_fma_f64 v[106:107], v[106:107], v[110:111], v[108:109]
	v_add_f64 v[3:4], v[3:4], v[104:105]
	v_add_f64 v[1:2], v[1:2], v[106:107]
	s_andn2_b32 exec_lo, exec_lo, s5
	s_cbranch_execnz .LBB109_65
; %bb.66:
	s_or_b32 exec_lo, exec_lo, s5
	v_mov_b32_e32 v99, 0
	ds_read_b128 v[99:102], v99 offset:208
	s_waitcnt lgkmcnt(0)
	v_mul_f64 v[104:105], v[1:2], v[101:102]
	v_mul_f64 v[101:102], v[3:4], v[101:102]
	v_fma_f64 v[3:4], v[3:4], v[99:100], -v[104:105]
	v_fma_f64 v[1:2], v[1:2], v[99:100], v[101:102]
	buffer_store_dword v4, off, s[0:3], 0 offset:228
	buffer_store_dword v3, off, s[0:3], 0 offset:224
	;; [unrolled: 1-line block ×4, first 2 shown]
.LBB109_67:
	s_or_b32 exec_lo, exec_lo, s4
	v_mov_b32_e32 v4, s44
	s_waitcnt_vscnt null, 0x0
	s_barrier
	buffer_gl0_inv
	s_mov_b32 s4, exec_lo
	s_clause 0x3
	buffer_load_dword v1, v4, s[0:3], 0 offen
	buffer_load_dword v2, v4, s[0:3], 0 offen offset:4
	buffer_load_dword v3, v4, s[0:3], 0 offen offset:8
	;; [unrolled: 1-line block ×3, first 2 shown]
	s_waitcnt vmcnt(0)
	ds_write_b128 v97, v[1:4]
	s_waitcnt lgkmcnt(0)
	s_barrier
	buffer_gl0_inv
	v_cmpx_gt_u32_e32 14, v0
	s_cbranch_execz .LBB109_71
; %bb.68:
	v_mov_b32_e32 v1, 0
	v_mov_b32_e32 v3, 0
	v_add_nc_u32_e32 v99, -1, v0
	v_add_nc_u32_e32 v100, 0x2e0, v103
	v_mov_b32_e32 v2, 0
	v_mov_b32_e32 v4, 0
	v_add_nc_u32_e32 v101, 16, v103
	s_mov_b32 s5, 0
	.p2align	6
.LBB109_69:                             ; =>This Inner Loop Header: Depth=1
	s_clause 0x3
	buffer_load_dword v108, v101, s[0:3], 0 offen offset:8
	buffer_load_dword v109, v101, s[0:3], 0 offen offset:12
	buffer_load_dword v110, v101, s[0:3], 0 offen
	buffer_load_dword v111, v101, s[0:3], 0 offen offset:4
	ds_read_b128 v[104:107], v100
	v_add_nc_u32_e32 v99, 1, v99
	v_add_nc_u32_e32 v100, 16, v100
	;; [unrolled: 1-line block ×3, first 2 shown]
	v_cmp_lt_u32_e32 vcc_lo, 12, v99
	s_or_b32 s5, vcc_lo, s5
	s_waitcnt vmcnt(2) lgkmcnt(0)
	v_mul_f64 v[112:113], v[106:107], v[108:109]
	v_mul_f64 v[108:109], v[104:105], v[108:109]
	s_waitcnt vmcnt(0)
	v_fma_f64 v[104:105], v[104:105], v[110:111], -v[112:113]
	v_fma_f64 v[106:107], v[106:107], v[110:111], v[108:109]
	v_add_f64 v[3:4], v[3:4], v[104:105]
	v_add_f64 v[1:2], v[1:2], v[106:107]
	s_andn2_b32 exec_lo, exec_lo, s5
	s_cbranch_execnz .LBB109_69
; %bb.70:
	s_or_b32 exec_lo, exec_lo, s5
	v_mov_b32_e32 v99, 0
	ds_read_b128 v[99:102], v99 offset:224
	s_waitcnt lgkmcnt(0)
	v_mul_f64 v[104:105], v[1:2], v[101:102]
	v_mul_f64 v[101:102], v[3:4], v[101:102]
	v_fma_f64 v[3:4], v[3:4], v[99:100], -v[104:105]
	v_fma_f64 v[1:2], v[1:2], v[99:100], v[101:102]
	buffer_store_dword v4, off, s[0:3], 0 offset:244
	buffer_store_dword v3, off, s[0:3], 0 offset:240
	;; [unrolled: 1-line block ×4, first 2 shown]
.LBB109_71:
	s_or_b32 exec_lo, exec_lo, s4
	v_mov_b32_e32 v4, s43
	s_waitcnt_vscnt null, 0x0
	s_barrier
	buffer_gl0_inv
	s_mov_b32 s4, exec_lo
	s_clause 0x3
	buffer_load_dword v1, v4, s[0:3], 0 offen
	buffer_load_dword v2, v4, s[0:3], 0 offen offset:4
	buffer_load_dword v3, v4, s[0:3], 0 offen offset:8
	;; [unrolled: 1-line block ×3, first 2 shown]
	s_waitcnt vmcnt(0)
	ds_write_b128 v97, v[1:4]
	s_waitcnt lgkmcnt(0)
	s_barrier
	buffer_gl0_inv
	v_cmpx_gt_u32_e32 15, v0
	s_cbranch_execz .LBB109_75
; %bb.72:
	v_mov_b32_e32 v1, 0
	v_mov_b32_e32 v3, 0
	v_add_nc_u32_e32 v99, -1, v0
	v_add_nc_u32_e32 v100, 0x2e0, v103
	v_mov_b32_e32 v2, 0
	v_mov_b32_e32 v4, 0
	v_add_nc_u32_e32 v101, 16, v103
	s_mov_b32 s5, 0
	.p2align	6
.LBB109_73:                             ; =>This Inner Loop Header: Depth=1
	s_clause 0x3
	buffer_load_dword v108, v101, s[0:3], 0 offen offset:8
	buffer_load_dword v109, v101, s[0:3], 0 offen offset:12
	buffer_load_dword v110, v101, s[0:3], 0 offen
	buffer_load_dword v111, v101, s[0:3], 0 offen offset:4
	ds_read_b128 v[104:107], v100
	v_add_nc_u32_e32 v99, 1, v99
	v_add_nc_u32_e32 v100, 16, v100
	;; [unrolled: 1-line block ×3, first 2 shown]
	v_cmp_lt_u32_e32 vcc_lo, 13, v99
	s_or_b32 s5, vcc_lo, s5
	s_waitcnt vmcnt(2) lgkmcnt(0)
	v_mul_f64 v[112:113], v[106:107], v[108:109]
	v_mul_f64 v[108:109], v[104:105], v[108:109]
	s_waitcnt vmcnt(0)
	v_fma_f64 v[104:105], v[104:105], v[110:111], -v[112:113]
	v_fma_f64 v[106:107], v[106:107], v[110:111], v[108:109]
	v_add_f64 v[3:4], v[3:4], v[104:105]
	v_add_f64 v[1:2], v[1:2], v[106:107]
	s_andn2_b32 exec_lo, exec_lo, s5
	s_cbranch_execnz .LBB109_73
; %bb.74:
	s_or_b32 exec_lo, exec_lo, s5
	v_mov_b32_e32 v99, 0
	ds_read_b128 v[99:102], v99 offset:240
	s_waitcnt lgkmcnt(0)
	v_mul_f64 v[104:105], v[1:2], v[101:102]
	v_mul_f64 v[101:102], v[3:4], v[101:102]
	v_fma_f64 v[3:4], v[3:4], v[99:100], -v[104:105]
	v_fma_f64 v[1:2], v[1:2], v[99:100], v[101:102]
	buffer_store_dword v4, off, s[0:3], 0 offset:260
	buffer_store_dword v3, off, s[0:3], 0 offset:256
	buffer_store_dword v2, off, s[0:3], 0 offset:268
	buffer_store_dword v1, off, s[0:3], 0 offset:264
.LBB109_75:
	s_or_b32 exec_lo, exec_lo, s4
	v_mov_b32_e32 v4, s42
	s_waitcnt_vscnt null, 0x0
	s_barrier
	buffer_gl0_inv
	s_mov_b32 s4, exec_lo
	s_clause 0x3
	buffer_load_dword v1, v4, s[0:3], 0 offen
	buffer_load_dword v2, v4, s[0:3], 0 offen offset:4
	buffer_load_dword v3, v4, s[0:3], 0 offen offset:8
	;; [unrolled: 1-line block ×3, first 2 shown]
	s_waitcnt vmcnt(0)
	ds_write_b128 v97, v[1:4]
	s_waitcnt lgkmcnt(0)
	s_barrier
	buffer_gl0_inv
	v_cmpx_gt_u32_e32 16, v0
	s_cbranch_execz .LBB109_79
; %bb.76:
	v_mov_b32_e32 v1, 0
	v_mov_b32_e32 v3, 0
	v_add_nc_u32_e32 v99, -1, v0
	v_add_nc_u32_e32 v100, 0x2e0, v103
	v_mov_b32_e32 v2, 0
	v_mov_b32_e32 v4, 0
	v_add_nc_u32_e32 v101, 16, v103
	s_mov_b32 s5, 0
	.p2align	6
.LBB109_77:                             ; =>This Inner Loop Header: Depth=1
	s_clause 0x3
	buffer_load_dword v108, v101, s[0:3], 0 offen offset:8
	buffer_load_dword v109, v101, s[0:3], 0 offen offset:12
	buffer_load_dword v110, v101, s[0:3], 0 offen
	buffer_load_dword v111, v101, s[0:3], 0 offen offset:4
	ds_read_b128 v[104:107], v100
	v_add_nc_u32_e32 v99, 1, v99
	v_add_nc_u32_e32 v100, 16, v100
	;; [unrolled: 1-line block ×3, first 2 shown]
	v_cmp_lt_u32_e32 vcc_lo, 14, v99
	s_or_b32 s5, vcc_lo, s5
	s_waitcnt vmcnt(2) lgkmcnt(0)
	v_mul_f64 v[112:113], v[106:107], v[108:109]
	v_mul_f64 v[108:109], v[104:105], v[108:109]
	s_waitcnt vmcnt(0)
	v_fma_f64 v[104:105], v[104:105], v[110:111], -v[112:113]
	v_fma_f64 v[106:107], v[106:107], v[110:111], v[108:109]
	v_add_f64 v[3:4], v[3:4], v[104:105]
	v_add_f64 v[1:2], v[1:2], v[106:107]
	s_andn2_b32 exec_lo, exec_lo, s5
	s_cbranch_execnz .LBB109_77
; %bb.78:
	s_or_b32 exec_lo, exec_lo, s5
	v_mov_b32_e32 v99, 0
	ds_read_b128 v[99:102], v99 offset:256
	s_waitcnt lgkmcnt(0)
	v_mul_f64 v[104:105], v[1:2], v[101:102]
	v_mul_f64 v[101:102], v[3:4], v[101:102]
	v_fma_f64 v[3:4], v[3:4], v[99:100], -v[104:105]
	v_fma_f64 v[1:2], v[1:2], v[99:100], v[101:102]
	buffer_store_dword v4, off, s[0:3], 0 offset:276
	buffer_store_dword v3, off, s[0:3], 0 offset:272
	buffer_store_dword v2, off, s[0:3], 0 offset:284
	buffer_store_dword v1, off, s[0:3], 0 offset:280
.LBB109_79:
	s_or_b32 exec_lo, exec_lo, s4
	v_mov_b32_e32 v4, s41
	s_waitcnt_vscnt null, 0x0
	s_barrier
	buffer_gl0_inv
	s_mov_b32 s4, exec_lo
	s_clause 0x3
	buffer_load_dword v1, v4, s[0:3], 0 offen
	buffer_load_dword v2, v4, s[0:3], 0 offen offset:4
	buffer_load_dword v3, v4, s[0:3], 0 offen offset:8
	;; [unrolled: 1-line block ×3, first 2 shown]
	s_waitcnt vmcnt(0)
	ds_write_b128 v97, v[1:4]
	s_waitcnt lgkmcnt(0)
	s_barrier
	buffer_gl0_inv
	v_cmpx_gt_u32_e32 17, v0
	s_cbranch_execz .LBB109_83
; %bb.80:
	v_mov_b32_e32 v1, 0
	v_mov_b32_e32 v3, 0
	v_add_nc_u32_e32 v99, -1, v0
	v_add_nc_u32_e32 v100, 0x2e0, v103
	v_mov_b32_e32 v2, 0
	v_mov_b32_e32 v4, 0
	v_add_nc_u32_e32 v101, 16, v103
	s_mov_b32 s5, 0
	.p2align	6
.LBB109_81:                             ; =>This Inner Loop Header: Depth=1
	s_clause 0x3
	buffer_load_dword v108, v101, s[0:3], 0 offen offset:8
	buffer_load_dword v109, v101, s[0:3], 0 offen offset:12
	buffer_load_dword v110, v101, s[0:3], 0 offen
	buffer_load_dword v111, v101, s[0:3], 0 offen offset:4
	ds_read_b128 v[104:107], v100
	v_add_nc_u32_e32 v99, 1, v99
	v_add_nc_u32_e32 v100, 16, v100
	;; [unrolled: 1-line block ×3, first 2 shown]
	v_cmp_lt_u32_e32 vcc_lo, 15, v99
	s_or_b32 s5, vcc_lo, s5
	s_waitcnt vmcnt(2) lgkmcnt(0)
	v_mul_f64 v[112:113], v[106:107], v[108:109]
	v_mul_f64 v[108:109], v[104:105], v[108:109]
	s_waitcnt vmcnt(0)
	v_fma_f64 v[104:105], v[104:105], v[110:111], -v[112:113]
	v_fma_f64 v[106:107], v[106:107], v[110:111], v[108:109]
	v_add_f64 v[3:4], v[3:4], v[104:105]
	v_add_f64 v[1:2], v[1:2], v[106:107]
	s_andn2_b32 exec_lo, exec_lo, s5
	s_cbranch_execnz .LBB109_81
; %bb.82:
	s_or_b32 exec_lo, exec_lo, s5
	v_mov_b32_e32 v99, 0
	ds_read_b128 v[99:102], v99 offset:272
	s_waitcnt lgkmcnt(0)
	v_mul_f64 v[104:105], v[1:2], v[101:102]
	v_mul_f64 v[101:102], v[3:4], v[101:102]
	v_fma_f64 v[3:4], v[3:4], v[99:100], -v[104:105]
	v_fma_f64 v[1:2], v[1:2], v[99:100], v[101:102]
	buffer_store_dword v4, off, s[0:3], 0 offset:292
	buffer_store_dword v3, off, s[0:3], 0 offset:288
	;; [unrolled: 1-line block ×4, first 2 shown]
.LBB109_83:
	s_or_b32 exec_lo, exec_lo, s4
	v_mov_b32_e32 v4, s40
	s_waitcnt_vscnt null, 0x0
	s_barrier
	buffer_gl0_inv
	s_mov_b32 s4, exec_lo
	s_clause 0x3
	buffer_load_dword v1, v4, s[0:3], 0 offen
	buffer_load_dword v2, v4, s[0:3], 0 offen offset:4
	buffer_load_dword v3, v4, s[0:3], 0 offen offset:8
	;; [unrolled: 1-line block ×3, first 2 shown]
	s_waitcnt vmcnt(0)
	ds_write_b128 v97, v[1:4]
	s_waitcnt lgkmcnt(0)
	s_barrier
	buffer_gl0_inv
	v_cmpx_gt_u32_e32 18, v0
	s_cbranch_execz .LBB109_87
; %bb.84:
	v_mov_b32_e32 v1, 0
	v_mov_b32_e32 v3, 0
	v_add_nc_u32_e32 v99, -1, v0
	v_add_nc_u32_e32 v100, 0x2e0, v103
	v_mov_b32_e32 v2, 0
	v_mov_b32_e32 v4, 0
	v_add_nc_u32_e32 v101, 16, v103
	s_mov_b32 s5, 0
	.p2align	6
.LBB109_85:                             ; =>This Inner Loop Header: Depth=1
	s_clause 0x3
	buffer_load_dword v108, v101, s[0:3], 0 offen offset:8
	buffer_load_dword v109, v101, s[0:3], 0 offen offset:12
	buffer_load_dword v110, v101, s[0:3], 0 offen
	buffer_load_dword v111, v101, s[0:3], 0 offen offset:4
	ds_read_b128 v[104:107], v100
	v_add_nc_u32_e32 v99, 1, v99
	v_add_nc_u32_e32 v100, 16, v100
	;; [unrolled: 1-line block ×3, first 2 shown]
	v_cmp_lt_u32_e32 vcc_lo, 16, v99
	s_or_b32 s5, vcc_lo, s5
	s_waitcnt vmcnt(2) lgkmcnt(0)
	v_mul_f64 v[112:113], v[106:107], v[108:109]
	v_mul_f64 v[108:109], v[104:105], v[108:109]
	s_waitcnt vmcnt(0)
	v_fma_f64 v[104:105], v[104:105], v[110:111], -v[112:113]
	v_fma_f64 v[106:107], v[106:107], v[110:111], v[108:109]
	v_add_f64 v[3:4], v[3:4], v[104:105]
	v_add_f64 v[1:2], v[1:2], v[106:107]
	s_andn2_b32 exec_lo, exec_lo, s5
	s_cbranch_execnz .LBB109_85
; %bb.86:
	s_or_b32 exec_lo, exec_lo, s5
	v_mov_b32_e32 v99, 0
	ds_read_b128 v[99:102], v99 offset:288
	s_waitcnt lgkmcnt(0)
	v_mul_f64 v[104:105], v[1:2], v[101:102]
	v_mul_f64 v[101:102], v[3:4], v[101:102]
	v_fma_f64 v[3:4], v[3:4], v[99:100], -v[104:105]
	v_fma_f64 v[1:2], v[1:2], v[99:100], v[101:102]
	buffer_store_dword v4, off, s[0:3], 0 offset:308
	buffer_store_dword v3, off, s[0:3], 0 offset:304
	;; [unrolled: 1-line block ×4, first 2 shown]
.LBB109_87:
	s_or_b32 exec_lo, exec_lo, s4
	v_mov_b32_e32 v4, s39
	s_waitcnt_vscnt null, 0x0
	s_barrier
	buffer_gl0_inv
	s_mov_b32 s4, exec_lo
	s_clause 0x3
	buffer_load_dword v1, v4, s[0:3], 0 offen
	buffer_load_dword v2, v4, s[0:3], 0 offen offset:4
	buffer_load_dword v3, v4, s[0:3], 0 offen offset:8
	;; [unrolled: 1-line block ×3, first 2 shown]
	s_waitcnt vmcnt(0)
	ds_write_b128 v97, v[1:4]
	s_waitcnt lgkmcnt(0)
	s_barrier
	buffer_gl0_inv
	v_cmpx_gt_u32_e32 19, v0
	s_cbranch_execz .LBB109_91
; %bb.88:
	v_mov_b32_e32 v1, 0
	v_mov_b32_e32 v3, 0
	v_add_nc_u32_e32 v99, -1, v0
	v_add_nc_u32_e32 v100, 0x2e0, v103
	v_mov_b32_e32 v2, 0
	v_mov_b32_e32 v4, 0
	v_add_nc_u32_e32 v101, 16, v103
	s_mov_b32 s5, 0
	.p2align	6
.LBB109_89:                             ; =>This Inner Loop Header: Depth=1
	s_clause 0x3
	buffer_load_dword v108, v101, s[0:3], 0 offen offset:8
	buffer_load_dword v109, v101, s[0:3], 0 offen offset:12
	buffer_load_dword v110, v101, s[0:3], 0 offen
	buffer_load_dword v111, v101, s[0:3], 0 offen offset:4
	ds_read_b128 v[104:107], v100
	v_add_nc_u32_e32 v99, 1, v99
	v_add_nc_u32_e32 v100, 16, v100
	;; [unrolled: 1-line block ×3, first 2 shown]
	v_cmp_lt_u32_e32 vcc_lo, 17, v99
	s_or_b32 s5, vcc_lo, s5
	s_waitcnt vmcnt(2) lgkmcnt(0)
	v_mul_f64 v[112:113], v[106:107], v[108:109]
	v_mul_f64 v[108:109], v[104:105], v[108:109]
	s_waitcnt vmcnt(0)
	v_fma_f64 v[104:105], v[104:105], v[110:111], -v[112:113]
	v_fma_f64 v[106:107], v[106:107], v[110:111], v[108:109]
	v_add_f64 v[3:4], v[3:4], v[104:105]
	v_add_f64 v[1:2], v[1:2], v[106:107]
	s_andn2_b32 exec_lo, exec_lo, s5
	s_cbranch_execnz .LBB109_89
; %bb.90:
	s_or_b32 exec_lo, exec_lo, s5
	v_mov_b32_e32 v99, 0
	ds_read_b128 v[99:102], v99 offset:304
	s_waitcnt lgkmcnt(0)
	v_mul_f64 v[104:105], v[1:2], v[101:102]
	v_mul_f64 v[101:102], v[3:4], v[101:102]
	v_fma_f64 v[3:4], v[3:4], v[99:100], -v[104:105]
	v_fma_f64 v[1:2], v[1:2], v[99:100], v[101:102]
	buffer_store_dword v4, off, s[0:3], 0 offset:324
	buffer_store_dword v3, off, s[0:3], 0 offset:320
	;; [unrolled: 1-line block ×4, first 2 shown]
.LBB109_91:
	s_or_b32 exec_lo, exec_lo, s4
	v_mov_b32_e32 v4, s38
	s_waitcnt_vscnt null, 0x0
	s_barrier
	buffer_gl0_inv
	s_mov_b32 s4, exec_lo
	s_clause 0x3
	buffer_load_dword v1, v4, s[0:3], 0 offen
	buffer_load_dword v2, v4, s[0:3], 0 offen offset:4
	buffer_load_dword v3, v4, s[0:3], 0 offen offset:8
	;; [unrolled: 1-line block ×3, first 2 shown]
	s_waitcnt vmcnt(0)
	ds_write_b128 v97, v[1:4]
	s_waitcnt lgkmcnt(0)
	s_barrier
	buffer_gl0_inv
	v_cmpx_gt_u32_e32 20, v0
	s_cbranch_execz .LBB109_95
; %bb.92:
	v_mov_b32_e32 v1, 0
	v_mov_b32_e32 v3, 0
	v_add_nc_u32_e32 v99, -1, v0
	v_add_nc_u32_e32 v100, 0x2e0, v103
	v_mov_b32_e32 v2, 0
	v_mov_b32_e32 v4, 0
	v_add_nc_u32_e32 v101, 16, v103
	s_mov_b32 s5, 0
	.p2align	6
.LBB109_93:                             ; =>This Inner Loop Header: Depth=1
	s_clause 0x3
	buffer_load_dword v108, v101, s[0:3], 0 offen offset:8
	buffer_load_dword v109, v101, s[0:3], 0 offen offset:12
	buffer_load_dword v110, v101, s[0:3], 0 offen
	buffer_load_dword v111, v101, s[0:3], 0 offen offset:4
	ds_read_b128 v[104:107], v100
	v_add_nc_u32_e32 v99, 1, v99
	v_add_nc_u32_e32 v100, 16, v100
	;; [unrolled: 1-line block ×3, first 2 shown]
	v_cmp_lt_u32_e32 vcc_lo, 18, v99
	s_or_b32 s5, vcc_lo, s5
	s_waitcnt vmcnt(2) lgkmcnt(0)
	v_mul_f64 v[112:113], v[106:107], v[108:109]
	v_mul_f64 v[108:109], v[104:105], v[108:109]
	s_waitcnt vmcnt(0)
	v_fma_f64 v[104:105], v[104:105], v[110:111], -v[112:113]
	v_fma_f64 v[106:107], v[106:107], v[110:111], v[108:109]
	v_add_f64 v[3:4], v[3:4], v[104:105]
	v_add_f64 v[1:2], v[1:2], v[106:107]
	s_andn2_b32 exec_lo, exec_lo, s5
	s_cbranch_execnz .LBB109_93
; %bb.94:
	s_or_b32 exec_lo, exec_lo, s5
	v_mov_b32_e32 v99, 0
	ds_read_b128 v[99:102], v99 offset:320
	s_waitcnt lgkmcnt(0)
	v_mul_f64 v[104:105], v[1:2], v[101:102]
	v_mul_f64 v[101:102], v[3:4], v[101:102]
	v_fma_f64 v[3:4], v[3:4], v[99:100], -v[104:105]
	v_fma_f64 v[1:2], v[1:2], v[99:100], v[101:102]
	buffer_store_dword v4, off, s[0:3], 0 offset:340
	buffer_store_dword v3, off, s[0:3], 0 offset:336
	;; [unrolled: 1-line block ×4, first 2 shown]
.LBB109_95:
	s_or_b32 exec_lo, exec_lo, s4
	v_mov_b32_e32 v4, s37
	s_waitcnt_vscnt null, 0x0
	s_barrier
	buffer_gl0_inv
	s_mov_b32 s4, exec_lo
	s_clause 0x3
	buffer_load_dword v1, v4, s[0:3], 0 offen
	buffer_load_dword v2, v4, s[0:3], 0 offen offset:4
	buffer_load_dword v3, v4, s[0:3], 0 offen offset:8
	;; [unrolled: 1-line block ×3, first 2 shown]
	s_waitcnt vmcnt(0)
	ds_write_b128 v97, v[1:4]
	s_waitcnt lgkmcnt(0)
	s_barrier
	buffer_gl0_inv
	v_cmpx_gt_u32_e32 21, v0
	s_cbranch_execz .LBB109_99
; %bb.96:
	v_mov_b32_e32 v1, 0
	v_mov_b32_e32 v3, 0
	v_add_nc_u32_e32 v99, -1, v0
	v_add_nc_u32_e32 v100, 0x2e0, v103
	v_mov_b32_e32 v2, 0
	v_mov_b32_e32 v4, 0
	v_add_nc_u32_e32 v101, 16, v103
	s_mov_b32 s5, 0
	.p2align	6
.LBB109_97:                             ; =>This Inner Loop Header: Depth=1
	s_clause 0x3
	buffer_load_dword v108, v101, s[0:3], 0 offen offset:8
	buffer_load_dword v109, v101, s[0:3], 0 offen offset:12
	buffer_load_dword v110, v101, s[0:3], 0 offen
	buffer_load_dword v111, v101, s[0:3], 0 offen offset:4
	ds_read_b128 v[104:107], v100
	v_add_nc_u32_e32 v99, 1, v99
	v_add_nc_u32_e32 v100, 16, v100
	;; [unrolled: 1-line block ×3, first 2 shown]
	v_cmp_lt_u32_e32 vcc_lo, 19, v99
	s_or_b32 s5, vcc_lo, s5
	s_waitcnt vmcnt(2) lgkmcnt(0)
	v_mul_f64 v[112:113], v[106:107], v[108:109]
	v_mul_f64 v[108:109], v[104:105], v[108:109]
	s_waitcnt vmcnt(0)
	v_fma_f64 v[104:105], v[104:105], v[110:111], -v[112:113]
	v_fma_f64 v[106:107], v[106:107], v[110:111], v[108:109]
	v_add_f64 v[3:4], v[3:4], v[104:105]
	v_add_f64 v[1:2], v[1:2], v[106:107]
	s_andn2_b32 exec_lo, exec_lo, s5
	s_cbranch_execnz .LBB109_97
; %bb.98:
	s_or_b32 exec_lo, exec_lo, s5
	v_mov_b32_e32 v99, 0
	ds_read_b128 v[99:102], v99 offset:336
	s_waitcnt lgkmcnt(0)
	v_mul_f64 v[104:105], v[1:2], v[101:102]
	v_mul_f64 v[101:102], v[3:4], v[101:102]
	v_fma_f64 v[3:4], v[3:4], v[99:100], -v[104:105]
	v_fma_f64 v[1:2], v[1:2], v[99:100], v[101:102]
	buffer_store_dword v4, off, s[0:3], 0 offset:356
	buffer_store_dword v3, off, s[0:3], 0 offset:352
	;; [unrolled: 1-line block ×4, first 2 shown]
.LBB109_99:
	s_or_b32 exec_lo, exec_lo, s4
	v_mov_b32_e32 v4, s36
	s_waitcnt_vscnt null, 0x0
	s_barrier
	buffer_gl0_inv
	s_mov_b32 s4, exec_lo
	s_clause 0x3
	buffer_load_dword v1, v4, s[0:3], 0 offen
	buffer_load_dword v2, v4, s[0:3], 0 offen offset:4
	buffer_load_dword v3, v4, s[0:3], 0 offen offset:8
	;; [unrolled: 1-line block ×3, first 2 shown]
	s_waitcnt vmcnt(0)
	ds_write_b128 v97, v[1:4]
	s_waitcnt lgkmcnt(0)
	s_barrier
	buffer_gl0_inv
	v_cmpx_gt_u32_e32 22, v0
	s_cbranch_execz .LBB109_103
; %bb.100:
	v_mov_b32_e32 v1, 0
	v_mov_b32_e32 v3, 0
	v_add_nc_u32_e32 v99, -1, v0
	v_add_nc_u32_e32 v100, 0x2e0, v103
	v_mov_b32_e32 v2, 0
	v_mov_b32_e32 v4, 0
	v_add_nc_u32_e32 v101, 16, v103
	s_mov_b32 s5, 0
	.p2align	6
.LBB109_101:                            ; =>This Inner Loop Header: Depth=1
	s_clause 0x3
	buffer_load_dword v108, v101, s[0:3], 0 offen offset:8
	buffer_load_dword v109, v101, s[0:3], 0 offen offset:12
	buffer_load_dword v110, v101, s[0:3], 0 offen
	buffer_load_dword v111, v101, s[0:3], 0 offen offset:4
	ds_read_b128 v[104:107], v100
	v_add_nc_u32_e32 v99, 1, v99
	v_add_nc_u32_e32 v100, 16, v100
	;; [unrolled: 1-line block ×3, first 2 shown]
	v_cmp_lt_u32_e32 vcc_lo, 20, v99
	s_or_b32 s5, vcc_lo, s5
	s_waitcnt vmcnt(2) lgkmcnt(0)
	v_mul_f64 v[112:113], v[106:107], v[108:109]
	v_mul_f64 v[108:109], v[104:105], v[108:109]
	s_waitcnt vmcnt(0)
	v_fma_f64 v[104:105], v[104:105], v[110:111], -v[112:113]
	v_fma_f64 v[106:107], v[106:107], v[110:111], v[108:109]
	v_add_f64 v[3:4], v[3:4], v[104:105]
	v_add_f64 v[1:2], v[1:2], v[106:107]
	s_andn2_b32 exec_lo, exec_lo, s5
	s_cbranch_execnz .LBB109_101
; %bb.102:
	s_or_b32 exec_lo, exec_lo, s5
	v_mov_b32_e32 v99, 0
	ds_read_b128 v[99:102], v99 offset:352
	s_waitcnt lgkmcnt(0)
	v_mul_f64 v[104:105], v[1:2], v[101:102]
	v_mul_f64 v[101:102], v[3:4], v[101:102]
	v_fma_f64 v[3:4], v[3:4], v[99:100], -v[104:105]
	v_fma_f64 v[1:2], v[1:2], v[99:100], v[101:102]
	buffer_store_dword v4, off, s[0:3], 0 offset:372
	buffer_store_dword v3, off, s[0:3], 0 offset:368
	;; [unrolled: 1-line block ×4, first 2 shown]
.LBB109_103:
	s_or_b32 exec_lo, exec_lo, s4
	v_mov_b32_e32 v4, s35
	s_waitcnt_vscnt null, 0x0
	s_barrier
	buffer_gl0_inv
	s_mov_b32 s4, exec_lo
	s_clause 0x3
	buffer_load_dword v1, v4, s[0:3], 0 offen
	buffer_load_dword v2, v4, s[0:3], 0 offen offset:4
	buffer_load_dword v3, v4, s[0:3], 0 offen offset:8
	;; [unrolled: 1-line block ×3, first 2 shown]
	s_waitcnt vmcnt(0)
	ds_write_b128 v97, v[1:4]
	s_waitcnt lgkmcnt(0)
	s_barrier
	buffer_gl0_inv
	v_cmpx_gt_u32_e32 23, v0
	s_cbranch_execz .LBB109_107
; %bb.104:
	v_mov_b32_e32 v1, 0
	v_mov_b32_e32 v3, 0
	v_add_nc_u32_e32 v99, -1, v0
	v_add_nc_u32_e32 v100, 0x2e0, v103
	v_mov_b32_e32 v2, 0
	v_mov_b32_e32 v4, 0
	v_add_nc_u32_e32 v101, 16, v103
	s_mov_b32 s5, 0
	.p2align	6
.LBB109_105:                            ; =>This Inner Loop Header: Depth=1
	s_clause 0x3
	buffer_load_dword v108, v101, s[0:3], 0 offen offset:8
	buffer_load_dword v109, v101, s[0:3], 0 offen offset:12
	buffer_load_dword v110, v101, s[0:3], 0 offen
	buffer_load_dword v111, v101, s[0:3], 0 offen offset:4
	ds_read_b128 v[104:107], v100
	v_add_nc_u32_e32 v99, 1, v99
	v_add_nc_u32_e32 v100, 16, v100
	;; [unrolled: 1-line block ×3, first 2 shown]
	v_cmp_lt_u32_e32 vcc_lo, 21, v99
	s_or_b32 s5, vcc_lo, s5
	s_waitcnt vmcnt(2) lgkmcnt(0)
	v_mul_f64 v[112:113], v[106:107], v[108:109]
	v_mul_f64 v[108:109], v[104:105], v[108:109]
	s_waitcnt vmcnt(0)
	v_fma_f64 v[104:105], v[104:105], v[110:111], -v[112:113]
	v_fma_f64 v[106:107], v[106:107], v[110:111], v[108:109]
	v_add_f64 v[3:4], v[3:4], v[104:105]
	v_add_f64 v[1:2], v[1:2], v[106:107]
	s_andn2_b32 exec_lo, exec_lo, s5
	s_cbranch_execnz .LBB109_105
; %bb.106:
	s_or_b32 exec_lo, exec_lo, s5
	v_mov_b32_e32 v99, 0
	ds_read_b128 v[99:102], v99 offset:368
	s_waitcnt lgkmcnt(0)
	v_mul_f64 v[104:105], v[1:2], v[101:102]
	v_mul_f64 v[101:102], v[3:4], v[101:102]
	v_fma_f64 v[3:4], v[3:4], v[99:100], -v[104:105]
	v_fma_f64 v[1:2], v[1:2], v[99:100], v[101:102]
	buffer_store_dword v4, off, s[0:3], 0 offset:388
	buffer_store_dword v3, off, s[0:3], 0 offset:384
	;; [unrolled: 1-line block ×4, first 2 shown]
.LBB109_107:
	s_or_b32 exec_lo, exec_lo, s4
	v_mov_b32_e32 v4, s34
	s_waitcnt_vscnt null, 0x0
	s_barrier
	buffer_gl0_inv
	s_mov_b32 s4, exec_lo
	s_clause 0x3
	buffer_load_dword v1, v4, s[0:3], 0 offen
	buffer_load_dword v2, v4, s[0:3], 0 offen offset:4
	buffer_load_dword v3, v4, s[0:3], 0 offen offset:8
	;; [unrolled: 1-line block ×3, first 2 shown]
	s_waitcnt vmcnt(0)
	ds_write_b128 v97, v[1:4]
	s_waitcnt lgkmcnt(0)
	s_barrier
	buffer_gl0_inv
	v_cmpx_gt_u32_e32 24, v0
	s_cbranch_execz .LBB109_111
; %bb.108:
	v_mov_b32_e32 v1, 0
	v_mov_b32_e32 v3, 0
	v_add_nc_u32_e32 v99, -1, v0
	v_add_nc_u32_e32 v100, 0x2e0, v103
	v_mov_b32_e32 v2, 0
	v_mov_b32_e32 v4, 0
	v_add_nc_u32_e32 v101, 16, v103
	s_mov_b32 s5, 0
	.p2align	6
.LBB109_109:                            ; =>This Inner Loop Header: Depth=1
	s_clause 0x3
	buffer_load_dword v108, v101, s[0:3], 0 offen offset:8
	buffer_load_dword v109, v101, s[0:3], 0 offen offset:12
	buffer_load_dword v110, v101, s[0:3], 0 offen
	buffer_load_dword v111, v101, s[0:3], 0 offen offset:4
	ds_read_b128 v[104:107], v100
	v_add_nc_u32_e32 v99, 1, v99
	v_add_nc_u32_e32 v100, 16, v100
	v_add_nc_u32_e32 v101, 16, v101
	v_cmp_lt_u32_e32 vcc_lo, 22, v99
	s_or_b32 s5, vcc_lo, s5
	s_waitcnt vmcnt(2) lgkmcnt(0)
	v_mul_f64 v[112:113], v[106:107], v[108:109]
	v_mul_f64 v[108:109], v[104:105], v[108:109]
	s_waitcnt vmcnt(0)
	v_fma_f64 v[104:105], v[104:105], v[110:111], -v[112:113]
	v_fma_f64 v[106:107], v[106:107], v[110:111], v[108:109]
	v_add_f64 v[3:4], v[3:4], v[104:105]
	v_add_f64 v[1:2], v[1:2], v[106:107]
	s_andn2_b32 exec_lo, exec_lo, s5
	s_cbranch_execnz .LBB109_109
; %bb.110:
	s_or_b32 exec_lo, exec_lo, s5
	v_mov_b32_e32 v99, 0
	ds_read_b128 v[99:102], v99 offset:384
	s_waitcnt lgkmcnt(0)
	v_mul_f64 v[104:105], v[1:2], v[101:102]
	v_mul_f64 v[101:102], v[3:4], v[101:102]
	v_fma_f64 v[3:4], v[3:4], v[99:100], -v[104:105]
	v_fma_f64 v[1:2], v[1:2], v[99:100], v[101:102]
	buffer_store_dword v4, off, s[0:3], 0 offset:404
	buffer_store_dword v3, off, s[0:3], 0 offset:400
	;; [unrolled: 1-line block ×4, first 2 shown]
.LBB109_111:
	s_or_b32 exec_lo, exec_lo, s4
	v_mov_b32_e32 v4, s33
	s_waitcnt_vscnt null, 0x0
	s_barrier
	buffer_gl0_inv
	s_mov_b32 s4, exec_lo
	s_clause 0x3
	buffer_load_dword v1, v4, s[0:3], 0 offen
	buffer_load_dword v2, v4, s[0:3], 0 offen offset:4
	buffer_load_dword v3, v4, s[0:3], 0 offen offset:8
	;; [unrolled: 1-line block ×3, first 2 shown]
	s_waitcnt vmcnt(0)
	ds_write_b128 v97, v[1:4]
	s_waitcnt lgkmcnt(0)
	s_barrier
	buffer_gl0_inv
	v_cmpx_gt_u32_e32 25, v0
	s_cbranch_execz .LBB109_115
; %bb.112:
	v_mov_b32_e32 v1, 0
	v_mov_b32_e32 v3, 0
	v_add_nc_u32_e32 v99, -1, v0
	v_add_nc_u32_e32 v100, 0x2e0, v103
	v_mov_b32_e32 v2, 0
	v_mov_b32_e32 v4, 0
	v_add_nc_u32_e32 v101, 16, v103
	s_mov_b32 s5, 0
	.p2align	6
.LBB109_113:                            ; =>This Inner Loop Header: Depth=1
	s_clause 0x3
	buffer_load_dword v108, v101, s[0:3], 0 offen offset:8
	buffer_load_dword v109, v101, s[0:3], 0 offen offset:12
	buffer_load_dword v110, v101, s[0:3], 0 offen
	buffer_load_dword v111, v101, s[0:3], 0 offen offset:4
	ds_read_b128 v[104:107], v100
	v_add_nc_u32_e32 v99, 1, v99
	v_add_nc_u32_e32 v100, 16, v100
	;; [unrolled: 1-line block ×3, first 2 shown]
	v_cmp_lt_u32_e32 vcc_lo, 23, v99
	s_or_b32 s5, vcc_lo, s5
	s_waitcnt vmcnt(2) lgkmcnt(0)
	v_mul_f64 v[112:113], v[106:107], v[108:109]
	v_mul_f64 v[108:109], v[104:105], v[108:109]
	s_waitcnt vmcnt(0)
	v_fma_f64 v[104:105], v[104:105], v[110:111], -v[112:113]
	v_fma_f64 v[106:107], v[106:107], v[110:111], v[108:109]
	v_add_f64 v[3:4], v[3:4], v[104:105]
	v_add_f64 v[1:2], v[1:2], v[106:107]
	s_andn2_b32 exec_lo, exec_lo, s5
	s_cbranch_execnz .LBB109_113
; %bb.114:
	s_or_b32 exec_lo, exec_lo, s5
	v_mov_b32_e32 v99, 0
	ds_read_b128 v[99:102], v99 offset:400
	s_waitcnt lgkmcnt(0)
	v_mul_f64 v[104:105], v[1:2], v[101:102]
	v_mul_f64 v[101:102], v[3:4], v[101:102]
	v_fma_f64 v[3:4], v[3:4], v[99:100], -v[104:105]
	v_fma_f64 v[1:2], v[1:2], v[99:100], v[101:102]
	buffer_store_dword v4, off, s[0:3], 0 offset:420
	buffer_store_dword v3, off, s[0:3], 0 offset:416
	;; [unrolled: 1-line block ×4, first 2 shown]
.LBB109_115:
	s_or_b32 exec_lo, exec_lo, s4
	v_mov_b32_e32 v4, s31
	s_waitcnt_vscnt null, 0x0
	s_barrier
	buffer_gl0_inv
	s_mov_b32 s4, exec_lo
	s_clause 0x3
	buffer_load_dword v1, v4, s[0:3], 0 offen
	buffer_load_dword v2, v4, s[0:3], 0 offen offset:4
	buffer_load_dword v3, v4, s[0:3], 0 offen offset:8
	;; [unrolled: 1-line block ×3, first 2 shown]
	s_waitcnt vmcnt(0)
	ds_write_b128 v97, v[1:4]
	s_waitcnt lgkmcnt(0)
	s_barrier
	buffer_gl0_inv
	v_cmpx_gt_u32_e32 26, v0
	s_cbranch_execz .LBB109_119
; %bb.116:
	v_mov_b32_e32 v1, 0
	v_mov_b32_e32 v3, 0
	v_add_nc_u32_e32 v99, -1, v0
	v_add_nc_u32_e32 v100, 0x2e0, v103
	v_mov_b32_e32 v2, 0
	v_mov_b32_e32 v4, 0
	v_add_nc_u32_e32 v101, 16, v103
	s_mov_b32 s5, 0
	.p2align	6
.LBB109_117:                            ; =>This Inner Loop Header: Depth=1
	s_clause 0x3
	buffer_load_dword v108, v101, s[0:3], 0 offen offset:8
	buffer_load_dword v109, v101, s[0:3], 0 offen offset:12
	buffer_load_dword v110, v101, s[0:3], 0 offen
	buffer_load_dword v111, v101, s[0:3], 0 offen offset:4
	ds_read_b128 v[104:107], v100
	v_add_nc_u32_e32 v99, 1, v99
	v_add_nc_u32_e32 v100, 16, v100
	;; [unrolled: 1-line block ×3, first 2 shown]
	v_cmp_lt_u32_e32 vcc_lo, 24, v99
	s_or_b32 s5, vcc_lo, s5
	s_waitcnt vmcnt(2) lgkmcnt(0)
	v_mul_f64 v[112:113], v[106:107], v[108:109]
	v_mul_f64 v[108:109], v[104:105], v[108:109]
	s_waitcnt vmcnt(0)
	v_fma_f64 v[104:105], v[104:105], v[110:111], -v[112:113]
	v_fma_f64 v[106:107], v[106:107], v[110:111], v[108:109]
	v_add_f64 v[3:4], v[3:4], v[104:105]
	v_add_f64 v[1:2], v[1:2], v[106:107]
	s_andn2_b32 exec_lo, exec_lo, s5
	s_cbranch_execnz .LBB109_117
; %bb.118:
	s_or_b32 exec_lo, exec_lo, s5
	v_mov_b32_e32 v99, 0
	ds_read_b128 v[99:102], v99 offset:416
	s_waitcnt lgkmcnt(0)
	v_mul_f64 v[104:105], v[1:2], v[101:102]
	v_mul_f64 v[101:102], v[3:4], v[101:102]
	v_fma_f64 v[3:4], v[3:4], v[99:100], -v[104:105]
	v_fma_f64 v[1:2], v[1:2], v[99:100], v[101:102]
	buffer_store_dword v4, off, s[0:3], 0 offset:436
	buffer_store_dword v3, off, s[0:3], 0 offset:432
	;; [unrolled: 1-line block ×4, first 2 shown]
.LBB109_119:
	s_or_b32 exec_lo, exec_lo, s4
	v_mov_b32_e32 v4, s30
	s_waitcnt_vscnt null, 0x0
	s_barrier
	buffer_gl0_inv
	s_mov_b32 s4, exec_lo
	s_clause 0x3
	buffer_load_dword v1, v4, s[0:3], 0 offen
	buffer_load_dword v2, v4, s[0:3], 0 offen offset:4
	buffer_load_dword v3, v4, s[0:3], 0 offen offset:8
	;; [unrolled: 1-line block ×3, first 2 shown]
	s_waitcnt vmcnt(0)
	ds_write_b128 v97, v[1:4]
	s_waitcnt lgkmcnt(0)
	s_barrier
	buffer_gl0_inv
	v_cmpx_gt_u32_e32 27, v0
	s_cbranch_execz .LBB109_123
; %bb.120:
	v_mov_b32_e32 v1, 0
	v_mov_b32_e32 v3, 0
	v_add_nc_u32_e32 v99, -1, v0
	v_add_nc_u32_e32 v100, 0x2e0, v103
	v_mov_b32_e32 v2, 0
	v_mov_b32_e32 v4, 0
	v_add_nc_u32_e32 v101, 16, v103
	s_mov_b32 s5, 0
	.p2align	6
.LBB109_121:                            ; =>This Inner Loop Header: Depth=1
	s_clause 0x3
	buffer_load_dword v108, v101, s[0:3], 0 offen offset:8
	buffer_load_dword v109, v101, s[0:3], 0 offen offset:12
	buffer_load_dword v110, v101, s[0:3], 0 offen
	buffer_load_dword v111, v101, s[0:3], 0 offen offset:4
	ds_read_b128 v[104:107], v100
	v_add_nc_u32_e32 v99, 1, v99
	v_add_nc_u32_e32 v100, 16, v100
	;; [unrolled: 1-line block ×3, first 2 shown]
	v_cmp_lt_u32_e32 vcc_lo, 25, v99
	s_or_b32 s5, vcc_lo, s5
	s_waitcnt vmcnt(2) lgkmcnt(0)
	v_mul_f64 v[112:113], v[106:107], v[108:109]
	v_mul_f64 v[108:109], v[104:105], v[108:109]
	s_waitcnt vmcnt(0)
	v_fma_f64 v[104:105], v[104:105], v[110:111], -v[112:113]
	v_fma_f64 v[106:107], v[106:107], v[110:111], v[108:109]
	v_add_f64 v[3:4], v[3:4], v[104:105]
	v_add_f64 v[1:2], v[1:2], v[106:107]
	s_andn2_b32 exec_lo, exec_lo, s5
	s_cbranch_execnz .LBB109_121
; %bb.122:
	s_or_b32 exec_lo, exec_lo, s5
	v_mov_b32_e32 v99, 0
	ds_read_b128 v[99:102], v99 offset:432
	s_waitcnt lgkmcnt(0)
	v_mul_f64 v[104:105], v[1:2], v[101:102]
	v_mul_f64 v[101:102], v[3:4], v[101:102]
	v_fma_f64 v[3:4], v[3:4], v[99:100], -v[104:105]
	v_fma_f64 v[1:2], v[1:2], v[99:100], v[101:102]
	buffer_store_dword v4, off, s[0:3], 0 offset:452
	buffer_store_dword v3, off, s[0:3], 0 offset:448
	buffer_store_dword v2, off, s[0:3], 0 offset:460
	buffer_store_dword v1, off, s[0:3], 0 offset:456
.LBB109_123:
	s_or_b32 exec_lo, exec_lo, s4
	v_mov_b32_e32 v4, s29
	s_waitcnt_vscnt null, 0x0
	s_barrier
	buffer_gl0_inv
	s_mov_b32 s4, exec_lo
	s_clause 0x3
	buffer_load_dword v1, v4, s[0:3], 0 offen
	buffer_load_dword v2, v4, s[0:3], 0 offen offset:4
	buffer_load_dword v3, v4, s[0:3], 0 offen offset:8
	;; [unrolled: 1-line block ×3, first 2 shown]
	s_waitcnt vmcnt(0)
	ds_write_b128 v97, v[1:4]
	s_waitcnt lgkmcnt(0)
	s_barrier
	buffer_gl0_inv
	v_cmpx_gt_u32_e32 28, v0
	s_cbranch_execz .LBB109_127
; %bb.124:
	v_mov_b32_e32 v1, 0
	v_mov_b32_e32 v3, 0
	v_add_nc_u32_e32 v99, -1, v0
	v_add_nc_u32_e32 v100, 0x2e0, v103
	v_mov_b32_e32 v2, 0
	v_mov_b32_e32 v4, 0
	v_add_nc_u32_e32 v101, 16, v103
	s_mov_b32 s5, 0
	.p2align	6
.LBB109_125:                            ; =>This Inner Loop Header: Depth=1
	s_clause 0x3
	buffer_load_dword v108, v101, s[0:3], 0 offen offset:8
	buffer_load_dword v109, v101, s[0:3], 0 offen offset:12
	buffer_load_dword v110, v101, s[0:3], 0 offen
	buffer_load_dword v111, v101, s[0:3], 0 offen offset:4
	ds_read_b128 v[104:107], v100
	v_add_nc_u32_e32 v99, 1, v99
	v_add_nc_u32_e32 v100, 16, v100
	;; [unrolled: 1-line block ×3, first 2 shown]
	v_cmp_lt_u32_e32 vcc_lo, 26, v99
	s_or_b32 s5, vcc_lo, s5
	s_waitcnt vmcnt(2) lgkmcnt(0)
	v_mul_f64 v[112:113], v[106:107], v[108:109]
	v_mul_f64 v[108:109], v[104:105], v[108:109]
	s_waitcnt vmcnt(0)
	v_fma_f64 v[104:105], v[104:105], v[110:111], -v[112:113]
	v_fma_f64 v[106:107], v[106:107], v[110:111], v[108:109]
	v_add_f64 v[3:4], v[3:4], v[104:105]
	v_add_f64 v[1:2], v[1:2], v[106:107]
	s_andn2_b32 exec_lo, exec_lo, s5
	s_cbranch_execnz .LBB109_125
; %bb.126:
	s_or_b32 exec_lo, exec_lo, s5
	v_mov_b32_e32 v99, 0
	ds_read_b128 v[99:102], v99 offset:448
	s_waitcnt lgkmcnt(0)
	v_mul_f64 v[104:105], v[1:2], v[101:102]
	v_mul_f64 v[101:102], v[3:4], v[101:102]
	v_fma_f64 v[3:4], v[3:4], v[99:100], -v[104:105]
	v_fma_f64 v[1:2], v[1:2], v[99:100], v[101:102]
	buffer_store_dword v4, off, s[0:3], 0 offset:468
	buffer_store_dword v3, off, s[0:3], 0 offset:464
	;; [unrolled: 1-line block ×4, first 2 shown]
.LBB109_127:
	s_or_b32 exec_lo, exec_lo, s4
	v_mov_b32_e32 v4, s28
	s_waitcnt_vscnt null, 0x0
	s_barrier
	buffer_gl0_inv
	s_mov_b32 s4, exec_lo
	s_clause 0x3
	buffer_load_dword v1, v4, s[0:3], 0 offen
	buffer_load_dword v2, v4, s[0:3], 0 offen offset:4
	buffer_load_dword v3, v4, s[0:3], 0 offen offset:8
	;; [unrolled: 1-line block ×3, first 2 shown]
	s_waitcnt vmcnt(0)
	ds_write_b128 v97, v[1:4]
	s_waitcnt lgkmcnt(0)
	s_barrier
	buffer_gl0_inv
	v_cmpx_gt_u32_e32 29, v0
	s_cbranch_execz .LBB109_131
; %bb.128:
	v_mov_b32_e32 v1, 0
	v_mov_b32_e32 v3, 0
	v_add_nc_u32_e32 v99, -1, v0
	v_add_nc_u32_e32 v100, 0x2e0, v103
	v_mov_b32_e32 v2, 0
	v_mov_b32_e32 v4, 0
	v_add_nc_u32_e32 v101, 16, v103
	s_mov_b32 s5, 0
	.p2align	6
.LBB109_129:                            ; =>This Inner Loop Header: Depth=1
	s_clause 0x3
	buffer_load_dword v108, v101, s[0:3], 0 offen offset:8
	buffer_load_dword v109, v101, s[0:3], 0 offen offset:12
	buffer_load_dword v110, v101, s[0:3], 0 offen
	buffer_load_dword v111, v101, s[0:3], 0 offen offset:4
	ds_read_b128 v[104:107], v100
	v_add_nc_u32_e32 v99, 1, v99
	v_add_nc_u32_e32 v100, 16, v100
	;; [unrolled: 1-line block ×3, first 2 shown]
	v_cmp_lt_u32_e32 vcc_lo, 27, v99
	s_or_b32 s5, vcc_lo, s5
	s_waitcnt vmcnt(2) lgkmcnt(0)
	v_mul_f64 v[112:113], v[106:107], v[108:109]
	v_mul_f64 v[108:109], v[104:105], v[108:109]
	s_waitcnt vmcnt(0)
	v_fma_f64 v[104:105], v[104:105], v[110:111], -v[112:113]
	v_fma_f64 v[106:107], v[106:107], v[110:111], v[108:109]
	v_add_f64 v[3:4], v[3:4], v[104:105]
	v_add_f64 v[1:2], v[1:2], v[106:107]
	s_andn2_b32 exec_lo, exec_lo, s5
	s_cbranch_execnz .LBB109_129
; %bb.130:
	s_or_b32 exec_lo, exec_lo, s5
	v_mov_b32_e32 v99, 0
	ds_read_b128 v[99:102], v99 offset:464
	s_waitcnt lgkmcnt(0)
	v_mul_f64 v[104:105], v[1:2], v[101:102]
	v_mul_f64 v[101:102], v[3:4], v[101:102]
	v_fma_f64 v[3:4], v[3:4], v[99:100], -v[104:105]
	v_fma_f64 v[1:2], v[1:2], v[99:100], v[101:102]
	buffer_store_dword v4, off, s[0:3], 0 offset:484
	buffer_store_dword v3, off, s[0:3], 0 offset:480
	;; [unrolled: 1-line block ×4, first 2 shown]
.LBB109_131:
	s_or_b32 exec_lo, exec_lo, s4
	v_mov_b32_e32 v4, s27
	s_waitcnt_vscnt null, 0x0
	s_barrier
	buffer_gl0_inv
	s_mov_b32 s4, exec_lo
	s_clause 0x3
	buffer_load_dword v1, v4, s[0:3], 0 offen
	buffer_load_dword v2, v4, s[0:3], 0 offen offset:4
	buffer_load_dword v3, v4, s[0:3], 0 offen offset:8
	;; [unrolled: 1-line block ×3, first 2 shown]
	s_waitcnt vmcnt(0)
	ds_write_b128 v97, v[1:4]
	s_waitcnt lgkmcnt(0)
	s_barrier
	buffer_gl0_inv
	v_cmpx_gt_u32_e32 30, v0
	s_cbranch_execz .LBB109_135
; %bb.132:
	v_mov_b32_e32 v1, 0
	v_mov_b32_e32 v3, 0
	v_add_nc_u32_e32 v99, -1, v0
	v_add_nc_u32_e32 v100, 0x2e0, v103
	v_mov_b32_e32 v2, 0
	v_mov_b32_e32 v4, 0
	v_add_nc_u32_e32 v101, 16, v103
	s_mov_b32 s5, 0
	.p2align	6
.LBB109_133:                            ; =>This Inner Loop Header: Depth=1
	s_clause 0x3
	buffer_load_dword v108, v101, s[0:3], 0 offen offset:8
	buffer_load_dword v109, v101, s[0:3], 0 offen offset:12
	buffer_load_dword v110, v101, s[0:3], 0 offen
	buffer_load_dword v111, v101, s[0:3], 0 offen offset:4
	ds_read_b128 v[104:107], v100
	v_add_nc_u32_e32 v99, 1, v99
	v_add_nc_u32_e32 v100, 16, v100
	;; [unrolled: 1-line block ×3, first 2 shown]
	v_cmp_lt_u32_e32 vcc_lo, 28, v99
	s_or_b32 s5, vcc_lo, s5
	s_waitcnt vmcnt(2) lgkmcnt(0)
	v_mul_f64 v[112:113], v[106:107], v[108:109]
	v_mul_f64 v[108:109], v[104:105], v[108:109]
	s_waitcnt vmcnt(0)
	v_fma_f64 v[104:105], v[104:105], v[110:111], -v[112:113]
	v_fma_f64 v[106:107], v[106:107], v[110:111], v[108:109]
	v_add_f64 v[3:4], v[3:4], v[104:105]
	v_add_f64 v[1:2], v[1:2], v[106:107]
	s_andn2_b32 exec_lo, exec_lo, s5
	s_cbranch_execnz .LBB109_133
; %bb.134:
	s_or_b32 exec_lo, exec_lo, s5
	v_mov_b32_e32 v99, 0
	ds_read_b128 v[99:102], v99 offset:480
	s_waitcnt lgkmcnt(0)
	v_mul_f64 v[104:105], v[1:2], v[101:102]
	v_mul_f64 v[101:102], v[3:4], v[101:102]
	v_fma_f64 v[3:4], v[3:4], v[99:100], -v[104:105]
	v_fma_f64 v[1:2], v[1:2], v[99:100], v[101:102]
	buffer_store_dword v4, off, s[0:3], 0 offset:500
	buffer_store_dword v3, off, s[0:3], 0 offset:496
	;; [unrolled: 1-line block ×4, first 2 shown]
.LBB109_135:
	s_or_b32 exec_lo, exec_lo, s4
	v_mov_b32_e32 v4, s26
	s_waitcnt_vscnt null, 0x0
	s_barrier
	buffer_gl0_inv
	s_mov_b32 s4, exec_lo
	s_clause 0x3
	buffer_load_dword v1, v4, s[0:3], 0 offen
	buffer_load_dword v2, v4, s[0:3], 0 offen offset:4
	buffer_load_dword v3, v4, s[0:3], 0 offen offset:8
	;; [unrolled: 1-line block ×3, first 2 shown]
	s_waitcnt vmcnt(0)
	ds_write_b128 v97, v[1:4]
	s_waitcnt lgkmcnt(0)
	s_barrier
	buffer_gl0_inv
	v_cmpx_gt_u32_e32 31, v0
	s_cbranch_execz .LBB109_139
; %bb.136:
	v_mov_b32_e32 v1, 0
	v_mov_b32_e32 v3, 0
	v_add_nc_u32_e32 v99, -1, v0
	v_add_nc_u32_e32 v100, 0x2e0, v103
	v_mov_b32_e32 v2, 0
	v_mov_b32_e32 v4, 0
	v_add_nc_u32_e32 v101, 16, v103
	s_mov_b32 s5, 0
	.p2align	6
.LBB109_137:                            ; =>This Inner Loop Header: Depth=1
	s_clause 0x3
	buffer_load_dword v108, v101, s[0:3], 0 offen offset:8
	buffer_load_dword v109, v101, s[0:3], 0 offen offset:12
	buffer_load_dword v110, v101, s[0:3], 0 offen
	buffer_load_dword v111, v101, s[0:3], 0 offen offset:4
	ds_read_b128 v[104:107], v100
	v_add_nc_u32_e32 v99, 1, v99
	v_add_nc_u32_e32 v100, 16, v100
	;; [unrolled: 1-line block ×3, first 2 shown]
	v_cmp_lt_u32_e32 vcc_lo, 29, v99
	s_or_b32 s5, vcc_lo, s5
	s_waitcnt vmcnt(2) lgkmcnt(0)
	v_mul_f64 v[112:113], v[106:107], v[108:109]
	v_mul_f64 v[108:109], v[104:105], v[108:109]
	s_waitcnt vmcnt(0)
	v_fma_f64 v[104:105], v[104:105], v[110:111], -v[112:113]
	v_fma_f64 v[106:107], v[106:107], v[110:111], v[108:109]
	v_add_f64 v[3:4], v[3:4], v[104:105]
	v_add_f64 v[1:2], v[1:2], v[106:107]
	s_andn2_b32 exec_lo, exec_lo, s5
	s_cbranch_execnz .LBB109_137
; %bb.138:
	s_or_b32 exec_lo, exec_lo, s5
	v_mov_b32_e32 v99, 0
	ds_read_b128 v[99:102], v99 offset:496
	s_waitcnt lgkmcnt(0)
	v_mul_f64 v[104:105], v[1:2], v[101:102]
	v_mul_f64 v[101:102], v[3:4], v[101:102]
	v_fma_f64 v[3:4], v[3:4], v[99:100], -v[104:105]
	v_fma_f64 v[1:2], v[1:2], v[99:100], v[101:102]
	buffer_store_dword v4, off, s[0:3], 0 offset:516
	buffer_store_dword v3, off, s[0:3], 0 offset:512
	;; [unrolled: 1-line block ×4, first 2 shown]
.LBB109_139:
	s_or_b32 exec_lo, exec_lo, s4
	v_mov_b32_e32 v4, s25
	s_waitcnt_vscnt null, 0x0
	s_barrier
	buffer_gl0_inv
	s_mov_b32 s4, exec_lo
	s_clause 0x3
	buffer_load_dword v1, v4, s[0:3], 0 offen
	buffer_load_dword v2, v4, s[0:3], 0 offen offset:4
	buffer_load_dword v3, v4, s[0:3], 0 offen offset:8
	buffer_load_dword v4, v4, s[0:3], 0 offen offset:12
	s_waitcnt vmcnt(0)
	ds_write_b128 v97, v[1:4]
	s_waitcnt lgkmcnt(0)
	s_barrier
	buffer_gl0_inv
	v_cmpx_gt_u32_e32 32, v0
	s_cbranch_execz .LBB109_143
; %bb.140:
	v_mov_b32_e32 v1, 0
	v_mov_b32_e32 v3, 0
	v_add_nc_u32_e32 v99, -1, v0
	v_add_nc_u32_e32 v100, 0x2e0, v103
	v_mov_b32_e32 v2, 0
	v_mov_b32_e32 v4, 0
	v_add_nc_u32_e32 v101, 16, v103
	s_mov_b32 s5, 0
	.p2align	6
.LBB109_141:                            ; =>This Inner Loop Header: Depth=1
	s_clause 0x3
	buffer_load_dword v108, v101, s[0:3], 0 offen offset:8
	buffer_load_dword v109, v101, s[0:3], 0 offen offset:12
	buffer_load_dword v110, v101, s[0:3], 0 offen
	buffer_load_dword v111, v101, s[0:3], 0 offen offset:4
	ds_read_b128 v[104:107], v100
	v_add_nc_u32_e32 v99, 1, v99
	v_add_nc_u32_e32 v100, 16, v100
	;; [unrolled: 1-line block ×3, first 2 shown]
	v_cmp_lt_u32_e32 vcc_lo, 30, v99
	s_or_b32 s5, vcc_lo, s5
	s_waitcnt vmcnt(2) lgkmcnt(0)
	v_mul_f64 v[112:113], v[106:107], v[108:109]
	v_mul_f64 v[108:109], v[104:105], v[108:109]
	s_waitcnt vmcnt(0)
	v_fma_f64 v[104:105], v[104:105], v[110:111], -v[112:113]
	v_fma_f64 v[106:107], v[106:107], v[110:111], v[108:109]
	v_add_f64 v[3:4], v[3:4], v[104:105]
	v_add_f64 v[1:2], v[1:2], v[106:107]
	s_andn2_b32 exec_lo, exec_lo, s5
	s_cbranch_execnz .LBB109_141
; %bb.142:
	s_or_b32 exec_lo, exec_lo, s5
	v_mov_b32_e32 v99, 0
	ds_read_b128 v[99:102], v99 offset:512
	s_waitcnt lgkmcnt(0)
	v_mul_f64 v[104:105], v[1:2], v[101:102]
	v_mul_f64 v[101:102], v[3:4], v[101:102]
	v_fma_f64 v[3:4], v[3:4], v[99:100], -v[104:105]
	v_fma_f64 v[1:2], v[1:2], v[99:100], v[101:102]
	buffer_store_dword v4, off, s[0:3], 0 offset:532
	buffer_store_dword v3, off, s[0:3], 0 offset:528
	buffer_store_dword v2, off, s[0:3], 0 offset:540
	buffer_store_dword v1, off, s[0:3], 0 offset:536
.LBB109_143:
	s_or_b32 exec_lo, exec_lo, s4
	v_mov_b32_e32 v4, s24
	s_waitcnt_vscnt null, 0x0
	s_barrier
	buffer_gl0_inv
	s_mov_b32 s4, exec_lo
	s_clause 0x3
	buffer_load_dword v1, v4, s[0:3], 0 offen
	buffer_load_dword v2, v4, s[0:3], 0 offen offset:4
	buffer_load_dword v3, v4, s[0:3], 0 offen offset:8
	;; [unrolled: 1-line block ×3, first 2 shown]
	s_waitcnt vmcnt(0)
	ds_write_b128 v97, v[1:4]
	s_waitcnt lgkmcnt(0)
	s_barrier
	buffer_gl0_inv
	v_cmpx_gt_u32_e32 33, v0
	s_cbranch_execz .LBB109_147
; %bb.144:
	v_mov_b32_e32 v1, 0
	v_mov_b32_e32 v3, 0
	v_add_nc_u32_e32 v99, -1, v0
	v_add_nc_u32_e32 v100, 0x2e0, v103
	v_mov_b32_e32 v2, 0
	v_mov_b32_e32 v4, 0
	v_add_nc_u32_e32 v101, 16, v103
	s_mov_b32 s5, 0
	.p2align	6
.LBB109_145:                            ; =>This Inner Loop Header: Depth=1
	s_clause 0x3
	buffer_load_dword v108, v101, s[0:3], 0 offen offset:8
	buffer_load_dword v109, v101, s[0:3], 0 offen offset:12
	buffer_load_dword v110, v101, s[0:3], 0 offen
	buffer_load_dword v111, v101, s[0:3], 0 offen offset:4
	ds_read_b128 v[104:107], v100
	v_add_nc_u32_e32 v99, 1, v99
	v_add_nc_u32_e32 v100, 16, v100
	v_add_nc_u32_e32 v101, 16, v101
	v_cmp_lt_u32_e32 vcc_lo, 31, v99
	s_or_b32 s5, vcc_lo, s5
	s_waitcnt vmcnt(2) lgkmcnt(0)
	v_mul_f64 v[112:113], v[106:107], v[108:109]
	v_mul_f64 v[108:109], v[104:105], v[108:109]
	s_waitcnt vmcnt(0)
	v_fma_f64 v[104:105], v[104:105], v[110:111], -v[112:113]
	v_fma_f64 v[106:107], v[106:107], v[110:111], v[108:109]
	v_add_f64 v[3:4], v[3:4], v[104:105]
	v_add_f64 v[1:2], v[1:2], v[106:107]
	s_andn2_b32 exec_lo, exec_lo, s5
	s_cbranch_execnz .LBB109_145
; %bb.146:
	s_or_b32 exec_lo, exec_lo, s5
	v_mov_b32_e32 v99, 0
	ds_read_b128 v[99:102], v99 offset:528
	s_waitcnt lgkmcnt(0)
	v_mul_f64 v[104:105], v[1:2], v[101:102]
	v_mul_f64 v[101:102], v[3:4], v[101:102]
	v_fma_f64 v[3:4], v[3:4], v[99:100], -v[104:105]
	v_fma_f64 v[1:2], v[1:2], v[99:100], v[101:102]
	buffer_store_dword v4, off, s[0:3], 0 offset:548
	buffer_store_dword v3, off, s[0:3], 0 offset:544
	;; [unrolled: 1-line block ×4, first 2 shown]
.LBB109_147:
	s_or_b32 exec_lo, exec_lo, s4
	v_mov_b32_e32 v4, s23
	s_waitcnt_vscnt null, 0x0
	s_barrier
	buffer_gl0_inv
	s_mov_b32 s4, exec_lo
	s_clause 0x3
	buffer_load_dword v1, v4, s[0:3], 0 offen
	buffer_load_dword v2, v4, s[0:3], 0 offen offset:4
	buffer_load_dword v3, v4, s[0:3], 0 offen offset:8
	;; [unrolled: 1-line block ×3, first 2 shown]
	s_waitcnt vmcnt(0)
	ds_write_b128 v97, v[1:4]
	s_waitcnt lgkmcnt(0)
	s_barrier
	buffer_gl0_inv
	v_cmpx_gt_u32_e32 34, v0
	s_cbranch_execz .LBB109_151
; %bb.148:
	v_mov_b32_e32 v1, 0
	v_mov_b32_e32 v3, 0
	v_add_nc_u32_e32 v99, -1, v0
	v_add_nc_u32_e32 v100, 0x2e0, v103
	v_mov_b32_e32 v2, 0
	v_mov_b32_e32 v4, 0
	v_add_nc_u32_e32 v101, 16, v103
	s_mov_b32 s5, 0
	.p2align	6
.LBB109_149:                            ; =>This Inner Loop Header: Depth=1
	s_clause 0x3
	buffer_load_dword v108, v101, s[0:3], 0 offen offset:8
	buffer_load_dword v109, v101, s[0:3], 0 offen offset:12
	buffer_load_dword v110, v101, s[0:3], 0 offen
	buffer_load_dword v111, v101, s[0:3], 0 offen offset:4
	ds_read_b128 v[104:107], v100
	v_add_nc_u32_e32 v99, 1, v99
	v_add_nc_u32_e32 v100, 16, v100
	;; [unrolled: 1-line block ×3, first 2 shown]
	v_cmp_lt_u32_e32 vcc_lo, 32, v99
	s_or_b32 s5, vcc_lo, s5
	s_waitcnt vmcnt(2) lgkmcnt(0)
	v_mul_f64 v[112:113], v[106:107], v[108:109]
	v_mul_f64 v[108:109], v[104:105], v[108:109]
	s_waitcnt vmcnt(0)
	v_fma_f64 v[104:105], v[104:105], v[110:111], -v[112:113]
	v_fma_f64 v[106:107], v[106:107], v[110:111], v[108:109]
	v_add_f64 v[3:4], v[3:4], v[104:105]
	v_add_f64 v[1:2], v[1:2], v[106:107]
	s_andn2_b32 exec_lo, exec_lo, s5
	s_cbranch_execnz .LBB109_149
; %bb.150:
	s_or_b32 exec_lo, exec_lo, s5
	v_mov_b32_e32 v99, 0
	ds_read_b128 v[99:102], v99 offset:544
	s_waitcnt lgkmcnt(0)
	v_mul_f64 v[104:105], v[1:2], v[101:102]
	v_mul_f64 v[101:102], v[3:4], v[101:102]
	v_fma_f64 v[3:4], v[3:4], v[99:100], -v[104:105]
	v_fma_f64 v[1:2], v[1:2], v[99:100], v[101:102]
	buffer_store_dword v4, off, s[0:3], 0 offset:564
	buffer_store_dword v3, off, s[0:3], 0 offset:560
	;; [unrolled: 1-line block ×4, first 2 shown]
.LBB109_151:
	s_or_b32 exec_lo, exec_lo, s4
	v_mov_b32_e32 v4, s22
	s_waitcnt_vscnt null, 0x0
	s_barrier
	buffer_gl0_inv
	s_mov_b32 s4, exec_lo
	s_clause 0x3
	buffer_load_dword v1, v4, s[0:3], 0 offen
	buffer_load_dword v2, v4, s[0:3], 0 offen offset:4
	buffer_load_dword v3, v4, s[0:3], 0 offen offset:8
	;; [unrolled: 1-line block ×3, first 2 shown]
	s_waitcnt vmcnt(0)
	ds_write_b128 v97, v[1:4]
	s_waitcnt lgkmcnt(0)
	s_barrier
	buffer_gl0_inv
	v_cmpx_gt_u32_e32 35, v0
	s_cbranch_execz .LBB109_155
; %bb.152:
	v_mov_b32_e32 v1, 0
	v_mov_b32_e32 v3, 0
	v_add_nc_u32_e32 v99, -1, v0
	v_add_nc_u32_e32 v100, 0x2e0, v103
	v_mov_b32_e32 v2, 0
	v_mov_b32_e32 v4, 0
	v_add_nc_u32_e32 v101, 16, v103
	s_mov_b32 s5, 0
	.p2align	6
.LBB109_153:                            ; =>This Inner Loop Header: Depth=1
	s_clause 0x3
	buffer_load_dword v108, v101, s[0:3], 0 offen offset:8
	buffer_load_dword v109, v101, s[0:3], 0 offen offset:12
	buffer_load_dword v110, v101, s[0:3], 0 offen
	buffer_load_dword v111, v101, s[0:3], 0 offen offset:4
	ds_read_b128 v[104:107], v100
	v_add_nc_u32_e32 v99, 1, v99
	v_add_nc_u32_e32 v100, 16, v100
	;; [unrolled: 1-line block ×3, first 2 shown]
	v_cmp_lt_u32_e32 vcc_lo, 33, v99
	s_or_b32 s5, vcc_lo, s5
	s_waitcnt vmcnt(2) lgkmcnt(0)
	v_mul_f64 v[112:113], v[106:107], v[108:109]
	v_mul_f64 v[108:109], v[104:105], v[108:109]
	s_waitcnt vmcnt(0)
	v_fma_f64 v[104:105], v[104:105], v[110:111], -v[112:113]
	v_fma_f64 v[106:107], v[106:107], v[110:111], v[108:109]
	v_add_f64 v[3:4], v[3:4], v[104:105]
	v_add_f64 v[1:2], v[1:2], v[106:107]
	s_andn2_b32 exec_lo, exec_lo, s5
	s_cbranch_execnz .LBB109_153
; %bb.154:
	s_or_b32 exec_lo, exec_lo, s5
	v_mov_b32_e32 v99, 0
	ds_read_b128 v[99:102], v99 offset:560
	s_waitcnt lgkmcnt(0)
	v_mul_f64 v[104:105], v[1:2], v[101:102]
	v_mul_f64 v[101:102], v[3:4], v[101:102]
	v_fma_f64 v[3:4], v[3:4], v[99:100], -v[104:105]
	v_fma_f64 v[1:2], v[1:2], v[99:100], v[101:102]
	buffer_store_dword v4, off, s[0:3], 0 offset:580
	buffer_store_dword v3, off, s[0:3], 0 offset:576
	buffer_store_dword v2, off, s[0:3], 0 offset:588
	buffer_store_dword v1, off, s[0:3], 0 offset:584
.LBB109_155:
	s_or_b32 exec_lo, exec_lo, s4
	v_mov_b32_e32 v4, s21
	s_waitcnt_vscnt null, 0x0
	s_barrier
	buffer_gl0_inv
	s_mov_b32 s4, exec_lo
	s_clause 0x3
	buffer_load_dword v1, v4, s[0:3], 0 offen
	buffer_load_dword v2, v4, s[0:3], 0 offen offset:4
	buffer_load_dword v3, v4, s[0:3], 0 offen offset:8
	;; [unrolled: 1-line block ×3, first 2 shown]
	s_waitcnt vmcnt(0)
	ds_write_b128 v97, v[1:4]
	s_waitcnt lgkmcnt(0)
	s_barrier
	buffer_gl0_inv
	v_cmpx_gt_u32_e32 36, v0
	s_cbranch_execz .LBB109_159
; %bb.156:
	v_mov_b32_e32 v1, 0
	v_mov_b32_e32 v3, 0
	v_add_nc_u32_e32 v99, -1, v0
	v_add_nc_u32_e32 v100, 0x2e0, v103
	v_mov_b32_e32 v2, 0
	v_mov_b32_e32 v4, 0
	v_add_nc_u32_e32 v101, 16, v103
	s_mov_b32 s5, 0
	.p2align	6
.LBB109_157:                            ; =>This Inner Loop Header: Depth=1
	s_clause 0x3
	buffer_load_dword v108, v101, s[0:3], 0 offen offset:8
	buffer_load_dword v109, v101, s[0:3], 0 offen offset:12
	buffer_load_dword v110, v101, s[0:3], 0 offen
	buffer_load_dword v111, v101, s[0:3], 0 offen offset:4
	ds_read_b128 v[104:107], v100
	v_add_nc_u32_e32 v99, 1, v99
	v_add_nc_u32_e32 v100, 16, v100
	;; [unrolled: 1-line block ×3, first 2 shown]
	v_cmp_lt_u32_e32 vcc_lo, 34, v99
	s_or_b32 s5, vcc_lo, s5
	s_waitcnt vmcnt(2) lgkmcnt(0)
	v_mul_f64 v[112:113], v[106:107], v[108:109]
	v_mul_f64 v[108:109], v[104:105], v[108:109]
	s_waitcnt vmcnt(0)
	v_fma_f64 v[104:105], v[104:105], v[110:111], -v[112:113]
	v_fma_f64 v[106:107], v[106:107], v[110:111], v[108:109]
	v_add_f64 v[3:4], v[3:4], v[104:105]
	v_add_f64 v[1:2], v[1:2], v[106:107]
	s_andn2_b32 exec_lo, exec_lo, s5
	s_cbranch_execnz .LBB109_157
; %bb.158:
	s_or_b32 exec_lo, exec_lo, s5
	v_mov_b32_e32 v99, 0
	ds_read_b128 v[99:102], v99 offset:576
	s_waitcnt lgkmcnt(0)
	v_mul_f64 v[104:105], v[1:2], v[101:102]
	v_mul_f64 v[101:102], v[3:4], v[101:102]
	v_fma_f64 v[3:4], v[3:4], v[99:100], -v[104:105]
	v_fma_f64 v[1:2], v[1:2], v[99:100], v[101:102]
	buffer_store_dword v4, off, s[0:3], 0 offset:596
	buffer_store_dword v3, off, s[0:3], 0 offset:592
	;; [unrolled: 1-line block ×4, first 2 shown]
.LBB109_159:
	s_or_b32 exec_lo, exec_lo, s4
	v_mov_b32_e32 v4, s20
	s_waitcnt_vscnt null, 0x0
	s_barrier
	buffer_gl0_inv
	s_mov_b32 s4, exec_lo
	s_clause 0x3
	buffer_load_dword v1, v4, s[0:3], 0 offen
	buffer_load_dword v2, v4, s[0:3], 0 offen offset:4
	buffer_load_dword v3, v4, s[0:3], 0 offen offset:8
	;; [unrolled: 1-line block ×3, first 2 shown]
	s_waitcnt vmcnt(0)
	ds_write_b128 v97, v[1:4]
	s_waitcnt lgkmcnt(0)
	s_barrier
	buffer_gl0_inv
	v_cmpx_gt_u32_e32 37, v0
	s_cbranch_execz .LBB109_163
; %bb.160:
	v_mov_b32_e32 v1, 0
	v_mov_b32_e32 v3, 0
	v_add_nc_u32_e32 v99, -1, v0
	v_add_nc_u32_e32 v100, 0x2e0, v103
	v_mov_b32_e32 v2, 0
	v_mov_b32_e32 v4, 0
	v_add_nc_u32_e32 v101, 16, v103
	s_mov_b32 s5, 0
	.p2align	6
.LBB109_161:                            ; =>This Inner Loop Header: Depth=1
	s_clause 0x3
	buffer_load_dword v108, v101, s[0:3], 0 offen offset:8
	buffer_load_dword v109, v101, s[0:3], 0 offen offset:12
	buffer_load_dword v110, v101, s[0:3], 0 offen
	buffer_load_dword v111, v101, s[0:3], 0 offen offset:4
	ds_read_b128 v[104:107], v100
	v_add_nc_u32_e32 v99, 1, v99
	v_add_nc_u32_e32 v100, 16, v100
	;; [unrolled: 1-line block ×3, first 2 shown]
	v_cmp_lt_u32_e32 vcc_lo, 35, v99
	s_or_b32 s5, vcc_lo, s5
	s_waitcnt vmcnt(2) lgkmcnt(0)
	v_mul_f64 v[112:113], v[106:107], v[108:109]
	v_mul_f64 v[108:109], v[104:105], v[108:109]
	s_waitcnt vmcnt(0)
	v_fma_f64 v[104:105], v[104:105], v[110:111], -v[112:113]
	v_fma_f64 v[106:107], v[106:107], v[110:111], v[108:109]
	v_add_f64 v[3:4], v[3:4], v[104:105]
	v_add_f64 v[1:2], v[1:2], v[106:107]
	s_andn2_b32 exec_lo, exec_lo, s5
	s_cbranch_execnz .LBB109_161
; %bb.162:
	s_or_b32 exec_lo, exec_lo, s5
	v_mov_b32_e32 v99, 0
	ds_read_b128 v[99:102], v99 offset:592
	s_waitcnt lgkmcnt(0)
	v_mul_f64 v[104:105], v[1:2], v[101:102]
	v_mul_f64 v[101:102], v[3:4], v[101:102]
	v_fma_f64 v[3:4], v[3:4], v[99:100], -v[104:105]
	v_fma_f64 v[1:2], v[1:2], v[99:100], v[101:102]
	buffer_store_dword v4, off, s[0:3], 0 offset:612
	buffer_store_dword v3, off, s[0:3], 0 offset:608
	;; [unrolled: 1-line block ×4, first 2 shown]
.LBB109_163:
	s_or_b32 exec_lo, exec_lo, s4
	v_mov_b32_e32 v4, s19
	s_waitcnt_vscnt null, 0x0
	s_barrier
	buffer_gl0_inv
	s_mov_b32 s4, exec_lo
	s_clause 0x3
	buffer_load_dword v1, v4, s[0:3], 0 offen
	buffer_load_dword v2, v4, s[0:3], 0 offen offset:4
	buffer_load_dword v3, v4, s[0:3], 0 offen offset:8
	;; [unrolled: 1-line block ×3, first 2 shown]
	s_waitcnt vmcnt(0)
	ds_write_b128 v97, v[1:4]
	s_waitcnt lgkmcnt(0)
	s_barrier
	buffer_gl0_inv
	v_cmpx_gt_u32_e32 38, v0
	s_cbranch_execz .LBB109_167
; %bb.164:
	v_mov_b32_e32 v1, 0
	v_mov_b32_e32 v3, 0
	v_add_nc_u32_e32 v99, -1, v0
	v_add_nc_u32_e32 v100, 0x2e0, v103
	v_mov_b32_e32 v2, 0
	v_mov_b32_e32 v4, 0
	v_add_nc_u32_e32 v101, 16, v103
	s_mov_b32 s5, 0
	.p2align	6
.LBB109_165:                            ; =>This Inner Loop Header: Depth=1
	s_clause 0x3
	buffer_load_dword v108, v101, s[0:3], 0 offen offset:8
	buffer_load_dword v109, v101, s[0:3], 0 offen offset:12
	buffer_load_dword v110, v101, s[0:3], 0 offen
	buffer_load_dword v111, v101, s[0:3], 0 offen offset:4
	ds_read_b128 v[104:107], v100
	v_add_nc_u32_e32 v99, 1, v99
	v_add_nc_u32_e32 v100, 16, v100
	;; [unrolled: 1-line block ×3, first 2 shown]
	v_cmp_lt_u32_e32 vcc_lo, 36, v99
	s_or_b32 s5, vcc_lo, s5
	s_waitcnt vmcnt(2) lgkmcnt(0)
	v_mul_f64 v[112:113], v[106:107], v[108:109]
	v_mul_f64 v[108:109], v[104:105], v[108:109]
	s_waitcnt vmcnt(0)
	v_fma_f64 v[104:105], v[104:105], v[110:111], -v[112:113]
	v_fma_f64 v[106:107], v[106:107], v[110:111], v[108:109]
	v_add_f64 v[3:4], v[3:4], v[104:105]
	v_add_f64 v[1:2], v[1:2], v[106:107]
	s_andn2_b32 exec_lo, exec_lo, s5
	s_cbranch_execnz .LBB109_165
; %bb.166:
	s_or_b32 exec_lo, exec_lo, s5
	v_mov_b32_e32 v99, 0
	ds_read_b128 v[99:102], v99 offset:608
	s_waitcnt lgkmcnt(0)
	v_mul_f64 v[104:105], v[1:2], v[101:102]
	v_mul_f64 v[101:102], v[3:4], v[101:102]
	v_fma_f64 v[3:4], v[3:4], v[99:100], -v[104:105]
	v_fma_f64 v[1:2], v[1:2], v[99:100], v[101:102]
	buffer_store_dword v4, off, s[0:3], 0 offset:628
	buffer_store_dword v3, off, s[0:3], 0 offset:624
	buffer_store_dword v2, off, s[0:3], 0 offset:636
	buffer_store_dword v1, off, s[0:3], 0 offset:632
.LBB109_167:
	s_or_b32 exec_lo, exec_lo, s4
	v_mov_b32_e32 v4, s18
	s_waitcnt_vscnt null, 0x0
	s_barrier
	buffer_gl0_inv
	s_mov_b32 s4, exec_lo
	s_clause 0x3
	buffer_load_dword v1, v4, s[0:3], 0 offen
	buffer_load_dword v2, v4, s[0:3], 0 offen offset:4
	buffer_load_dword v3, v4, s[0:3], 0 offen offset:8
	;; [unrolled: 1-line block ×3, first 2 shown]
	s_waitcnt vmcnt(0)
	ds_write_b128 v97, v[1:4]
	s_waitcnt lgkmcnt(0)
	s_barrier
	buffer_gl0_inv
	v_cmpx_gt_u32_e32 39, v0
	s_cbranch_execz .LBB109_171
; %bb.168:
	v_mov_b32_e32 v1, 0
	v_mov_b32_e32 v3, 0
	v_add_nc_u32_e32 v99, -1, v0
	v_add_nc_u32_e32 v100, 0x2e0, v103
	v_mov_b32_e32 v2, 0
	v_mov_b32_e32 v4, 0
	v_add_nc_u32_e32 v101, 16, v103
	s_mov_b32 s5, 0
	.p2align	6
.LBB109_169:                            ; =>This Inner Loop Header: Depth=1
	s_clause 0x3
	buffer_load_dword v108, v101, s[0:3], 0 offen offset:8
	buffer_load_dword v109, v101, s[0:3], 0 offen offset:12
	buffer_load_dword v110, v101, s[0:3], 0 offen
	buffer_load_dword v111, v101, s[0:3], 0 offen offset:4
	ds_read_b128 v[104:107], v100
	v_add_nc_u32_e32 v99, 1, v99
	v_add_nc_u32_e32 v100, 16, v100
	;; [unrolled: 1-line block ×3, first 2 shown]
	v_cmp_lt_u32_e32 vcc_lo, 37, v99
	s_or_b32 s5, vcc_lo, s5
	s_waitcnt vmcnt(2) lgkmcnt(0)
	v_mul_f64 v[112:113], v[106:107], v[108:109]
	v_mul_f64 v[108:109], v[104:105], v[108:109]
	s_waitcnt vmcnt(0)
	v_fma_f64 v[104:105], v[104:105], v[110:111], -v[112:113]
	v_fma_f64 v[106:107], v[106:107], v[110:111], v[108:109]
	v_add_f64 v[3:4], v[3:4], v[104:105]
	v_add_f64 v[1:2], v[1:2], v[106:107]
	s_andn2_b32 exec_lo, exec_lo, s5
	s_cbranch_execnz .LBB109_169
; %bb.170:
	s_or_b32 exec_lo, exec_lo, s5
	v_mov_b32_e32 v99, 0
	ds_read_b128 v[99:102], v99 offset:624
	s_waitcnt lgkmcnt(0)
	v_mul_f64 v[104:105], v[1:2], v[101:102]
	v_mul_f64 v[101:102], v[3:4], v[101:102]
	v_fma_f64 v[3:4], v[3:4], v[99:100], -v[104:105]
	v_fma_f64 v[1:2], v[1:2], v[99:100], v[101:102]
	buffer_store_dword v4, off, s[0:3], 0 offset:644
	buffer_store_dword v3, off, s[0:3], 0 offset:640
	;; [unrolled: 1-line block ×4, first 2 shown]
.LBB109_171:
	s_or_b32 exec_lo, exec_lo, s4
	v_mov_b32_e32 v4, s17
	s_waitcnt_vscnt null, 0x0
	s_barrier
	buffer_gl0_inv
	s_mov_b32 s4, exec_lo
	s_clause 0x3
	buffer_load_dword v1, v4, s[0:3], 0 offen
	buffer_load_dword v2, v4, s[0:3], 0 offen offset:4
	buffer_load_dword v3, v4, s[0:3], 0 offen offset:8
	;; [unrolled: 1-line block ×3, first 2 shown]
	s_waitcnt vmcnt(0)
	ds_write_b128 v97, v[1:4]
	s_waitcnt lgkmcnt(0)
	s_barrier
	buffer_gl0_inv
	v_cmpx_gt_u32_e32 40, v0
	s_cbranch_execz .LBB109_175
; %bb.172:
	v_mov_b32_e32 v1, 0
	v_mov_b32_e32 v3, 0
	v_add_nc_u32_e32 v99, -1, v0
	v_add_nc_u32_e32 v100, 0x2e0, v103
	v_mov_b32_e32 v2, 0
	v_mov_b32_e32 v4, 0
	v_add_nc_u32_e32 v101, 16, v103
	s_mov_b32 s5, 0
	.p2align	6
.LBB109_173:                            ; =>This Inner Loop Header: Depth=1
	s_clause 0x3
	buffer_load_dword v108, v101, s[0:3], 0 offen offset:8
	buffer_load_dword v109, v101, s[0:3], 0 offen offset:12
	buffer_load_dword v110, v101, s[0:3], 0 offen
	buffer_load_dword v111, v101, s[0:3], 0 offen offset:4
	ds_read_b128 v[104:107], v100
	v_add_nc_u32_e32 v99, 1, v99
	v_add_nc_u32_e32 v100, 16, v100
	v_add_nc_u32_e32 v101, 16, v101
	v_cmp_lt_u32_e32 vcc_lo, 38, v99
	s_or_b32 s5, vcc_lo, s5
	s_waitcnt vmcnt(2) lgkmcnt(0)
	v_mul_f64 v[112:113], v[106:107], v[108:109]
	v_mul_f64 v[108:109], v[104:105], v[108:109]
	s_waitcnt vmcnt(0)
	v_fma_f64 v[104:105], v[104:105], v[110:111], -v[112:113]
	v_fma_f64 v[106:107], v[106:107], v[110:111], v[108:109]
	v_add_f64 v[3:4], v[3:4], v[104:105]
	v_add_f64 v[1:2], v[1:2], v[106:107]
	s_andn2_b32 exec_lo, exec_lo, s5
	s_cbranch_execnz .LBB109_173
; %bb.174:
	s_or_b32 exec_lo, exec_lo, s5
	v_mov_b32_e32 v99, 0
	ds_read_b128 v[99:102], v99 offset:640
	s_waitcnt lgkmcnt(0)
	v_mul_f64 v[104:105], v[1:2], v[101:102]
	v_mul_f64 v[101:102], v[3:4], v[101:102]
	v_fma_f64 v[3:4], v[3:4], v[99:100], -v[104:105]
	v_fma_f64 v[1:2], v[1:2], v[99:100], v[101:102]
	buffer_store_dword v4, off, s[0:3], 0 offset:660
	buffer_store_dword v3, off, s[0:3], 0 offset:656
	;; [unrolled: 1-line block ×4, first 2 shown]
.LBB109_175:
	s_or_b32 exec_lo, exec_lo, s4
	v_mov_b32_e32 v4, s16
	s_waitcnt_vscnt null, 0x0
	s_barrier
	buffer_gl0_inv
	s_mov_b32 s4, exec_lo
	s_clause 0x3
	buffer_load_dword v1, v4, s[0:3], 0 offen
	buffer_load_dword v2, v4, s[0:3], 0 offen offset:4
	buffer_load_dword v3, v4, s[0:3], 0 offen offset:8
	;; [unrolled: 1-line block ×3, first 2 shown]
	s_waitcnt vmcnt(0)
	ds_write_b128 v97, v[1:4]
	s_waitcnt lgkmcnt(0)
	s_barrier
	buffer_gl0_inv
	v_cmpx_gt_u32_e32 41, v0
	s_cbranch_execz .LBB109_179
; %bb.176:
	v_mov_b32_e32 v1, 0
	v_mov_b32_e32 v3, 0
	v_add_nc_u32_e32 v99, -1, v0
	v_add_nc_u32_e32 v100, 0x2e0, v103
	v_mov_b32_e32 v2, 0
	v_mov_b32_e32 v4, 0
	v_add_nc_u32_e32 v101, 16, v103
	s_mov_b32 s5, 0
	.p2align	6
.LBB109_177:                            ; =>This Inner Loop Header: Depth=1
	s_clause 0x3
	buffer_load_dword v108, v101, s[0:3], 0 offen offset:8
	buffer_load_dword v109, v101, s[0:3], 0 offen offset:12
	buffer_load_dword v110, v101, s[0:3], 0 offen
	buffer_load_dword v111, v101, s[0:3], 0 offen offset:4
	ds_read_b128 v[104:107], v100
	v_add_nc_u32_e32 v99, 1, v99
	v_add_nc_u32_e32 v100, 16, v100
	;; [unrolled: 1-line block ×3, first 2 shown]
	v_cmp_lt_u32_e32 vcc_lo, 39, v99
	s_or_b32 s5, vcc_lo, s5
	s_waitcnt vmcnt(2) lgkmcnt(0)
	v_mul_f64 v[112:113], v[106:107], v[108:109]
	v_mul_f64 v[108:109], v[104:105], v[108:109]
	s_waitcnt vmcnt(0)
	v_fma_f64 v[104:105], v[104:105], v[110:111], -v[112:113]
	v_fma_f64 v[106:107], v[106:107], v[110:111], v[108:109]
	v_add_f64 v[3:4], v[3:4], v[104:105]
	v_add_f64 v[1:2], v[1:2], v[106:107]
	s_andn2_b32 exec_lo, exec_lo, s5
	s_cbranch_execnz .LBB109_177
; %bb.178:
	s_or_b32 exec_lo, exec_lo, s5
	v_mov_b32_e32 v99, 0
	ds_read_b128 v[99:102], v99 offset:656
	s_waitcnt lgkmcnt(0)
	v_mul_f64 v[104:105], v[1:2], v[101:102]
	v_mul_f64 v[101:102], v[3:4], v[101:102]
	v_fma_f64 v[3:4], v[3:4], v[99:100], -v[104:105]
	v_fma_f64 v[1:2], v[1:2], v[99:100], v[101:102]
	buffer_store_dword v4, off, s[0:3], 0 offset:676
	buffer_store_dword v3, off, s[0:3], 0 offset:672
	;; [unrolled: 1-line block ×4, first 2 shown]
.LBB109_179:
	s_or_b32 exec_lo, exec_lo, s4
	v_mov_b32_e32 v4, s15
	s_waitcnt_vscnt null, 0x0
	s_barrier
	buffer_gl0_inv
	s_mov_b32 s4, exec_lo
	s_clause 0x3
	buffer_load_dword v1, v4, s[0:3], 0 offen
	buffer_load_dword v2, v4, s[0:3], 0 offen offset:4
	buffer_load_dword v3, v4, s[0:3], 0 offen offset:8
	;; [unrolled: 1-line block ×3, first 2 shown]
	s_waitcnt vmcnt(0)
	ds_write_b128 v97, v[1:4]
	s_waitcnt lgkmcnt(0)
	s_barrier
	buffer_gl0_inv
	v_cmpx_gt_u32_e32 42, v0
	s_cbranch_execz .LBB109_183
; %bb.180:
	v_mov_b32_e32 v1, 0
	v_mov_b32_e32 v3, 0
	v_add_nc_u32_e32 v99, -1, v0
	v_add_nc_u32_e32 v100, 0x2e0, v103
	v_mov_b32_e32 v2, 0
	v_mov_b32_e32 v4, 0
	v_add_nc_u32_e32 v101, 16, v103
	s_mov_b32 s5, 0
	.p2align	6
.LBB109_181:                            ; =>This Inner Loop Header: Depth=1
	s_clause 0x3
	buffer_load_dword v108, v101, s[0:3], 0 offen offset:8
	buffer_load_dword v109, v101, s[0:3], 0 offen offset:12
	buffer_load_dword v110, v101, s[0:3], 0 offen
	buffer_load_dword v111, v101, s[0:3], 0 offen offset:4
	ds_read_b128 v[104:107], v100
	v_add_nc_u32_e32 v99, 1, v99
	v_add_nc_u32_e32 v100, 16, v100
	;; [unrolled: 1-line block ×3, first 2 shown]
	v_cmp_lt_u32_e32 vcc_lo, 40, v99
	s_or_b32 s5, vcc_lo, s5
	s_waitcnt vmcnt(2) lgkmcnt(0)
	v_mul_f64 v[112:113], v[106:107], v[108:109]
	v_mul_f64 v[108:109], v[104:105], v[108:109]
	s_waitcnt vmcnt(0)
	v_fma_f64 v[104:105], v[104:105], v[110:111], -v[112:113]
	v_fma_f64 v[106:107], v[106:107], v[110:111], v[108:109]
	v_add_f64 v[3:4], v[3:4], v[104:105]
	v_add_f64 v[1:2], v[1:2], v[106:107]
	s_andn2_b32 exec_lo, exec_lo, s5
	s_cbranch_execnz .LBB109_181
; %bb.182:
	s_or_b32 exec_lo, exec_lo, s5
	v_mov_b32_e32 v99, 0
	ds_read_b128 v[99:102], v99 offset:672
	s_waitcnt lgkmcnt(0)
	v_mul_f64 v[104:105], v[1:2], v[101:102]
	v_mul_f64 v[101:102], v[3:4], v[101:102]
	v_fma_f64 v[3:4], v[3:4], v[99:100], -v[104:105]
	v_fma_f64 v[1:2], v[1:2], v[99:100], v[101:102]
	buffer_store_dword v4, off, s[0:3], 0 offset:692
	buffer_store_dword v3, off, s[0:3], 0 offset:688
	;; [unrolled: 1-line block ×4, first 2 shown]
.LBB109_183:
	s_or_b32 exec_lo, exec_lo, s4
	v_mov_b32_e32 v4, s14
	s_waitcnt_vscnt null, 0x0
	s_barrier
	buffer_gl0_inv
	s_mov_b32 s4, exec_lo
	s_clause 0x3
	buffer_load_dword v1, v4, s[0:3], 0 offen
	buffer_load_dword v2, v4, s[0:3], 0 offen offset:4
	buffer_load_dword v3, v4, s[0:3], 0 offen offset:8
	;; [unrolled: 1-line block ×3, first 2 shown]
	s_waitcnt vmcnt(0)
	ds_write_b128 v97, v[1:4]
	s_waitcnt lgkmcnt(0)
	s_barrier
	buffer_gl0_inv
	v_cmpx_gt_u32_e32 43, v0
	s_cbranch_execz .LBB109_187
; %bb.184:
	v_mov_b32_e32 v1, 0
	v_mov_b32_e32 v3, 0
	v_add_nc_u32_e32 v99, -1, v0
	v_add_nc_u32_e32 v100, 0x2e0, v103
	v_mov_b32_e32 v2, 0
	v_mov_b32_e32 v4, 0
	v_add_nc_u32_e32 v101, 16, v103
	s_mov_b32 s5, 0
	.p2align	6
.LBB109_185:                            ; =>This Inner Loop Header: Depth=1
	s_clause 0x3
	buffer_load_dword v108, v101, s[0:3], 0 offen offset:8
	buffer_load_dword v109, v101, s[0:3], 0 offen offset:12
	buffer_load_dword v110, v101, s[0:3], 0 offen
	buffer_load_dword v111, v101, s[0:3], 0 offen offset:4
	ds_read_b128 v[104:107], v100
	v_add_nc_u32_e32 v99, 1, v99
	v_add_nc_u32_e32 v100, 16, v100
	;; [unrolled: 1-line block ×3, first 2 shown]
	v_cmp_lt_u32_e32 vcc_lo, 41, v99
	s_or_b32 s5, vcc_lo, s5
	s_waitcnt vmcnt(2) lgkmcnt(0)
	v_mul_f64 v[112:113], v[106:107], v[108:109]
	v_mul_f64 v[108:109], v[104:105], v[108:109]
	s_waitcnt vmcnt(0)
	v_fma_f64 v[104:105], v[104:105], v[110:111], -v[112:113]
	v_fma_f64 v[106:107], v[106:107], v[110:111], v[108:109]
	v_add_f64 v[3:4], v[3:4], v[104:105]
	v_add_f64 v[1:2], v[1:2], v[106:107]
	s_andn2_b32 exec_lo, exec_lo, s5
	s_cbranch_execnz .LBB109_185
; %bb.186:
	s_or_b32 exec_lo, exec_lo, s5
	v_mov_b32_e32 v99, 0
	ds_read_b128 v[99:102], v99 offset:688
	s_waitcnt lgkmcnt(0)
	v_mul_f64 v[104:105], v[1:2], v[101:102]
	v_mul_f64 v[101:102], v[3:4], v[101:102]
	v_fma_f64 v[3:4], v[3:4], v[99:100], -v[104:105]
	v_fma_f64 v[1:2], v[1:2], v[99:100], v[101:102]
	buffer_store_dword v4, off, s[0:3], 0 offset:708
	buffer_store_dword v3, off, s[0:3], 0 offset:704
	buffer_store_dword v2, off, s[0:3], 0 offset:716
	buffer_store_dword v1, off, s[0:3], 0 offset:712
.LBB109_187:
	s_or_b32 exec_lo, exec_lo, s4
	v_mov_b32_e32 v4, s9
	s_waitcnt_vscnt null, 0x0
	s_barrier
	buffer_gl0_inv
	s_mov_b32 s4, exec_lo
	s_clause 0x3
	buffer_load_dword v1, v4, s[0:3], 0 offen
	buffer_load_dword v2, v4, s[0:3], 0 offen offset:4
	buffer_load_dword v3, v4, s[0:3], 0 offen offset:8
	;; [unrolled: 1-line block ×3, first 2 shown]
	s_waitcnt vmcnt(0)
	ds_write_b128 v97, v[1:4]
	s_waitcnt lgkmcnt(0)
	s_barrier
	buffer_gl0_inv
	v_cmpx_gt_u32_e32 44, v0
	s_cbranch_execz .LBB109_191
; %bb.188:
	v_mov_b32_e32 v1, 0
	v_mov_b32_e32 v3, 0
	v_add_nc_u32_e32 v99, -1, v0
	v_add_nc_u32_e32 v100, 0x2e0, v103
	v_mov_b32_e32 v2, 0
	v_mov_b32_e32 v4, 0
	v_add_nc_u32_e32 v101, 16, v103
	s_mov_b32 s5, 0
	.p2align	6
.LBB109_189:                            ; =>This Inner Loop Header: Depth=1
	s_clause 0x3
	buffer_load_dword v108, v101, s[0:3], 0 offen offset:8
	buffer_load_dword v109, v101, s[0:3], 0 offen offset:12
	buffer_load_dword v110, v101, s[0:3], 0 offen
	buffer_load_dword v111, v101, s[0:3], 0 offen offset:4
	ds_read_b128 v[104:107], v100
	v_add_nc_u32_e32 v99, 1, v99
	v_add_nc_u32_e32 v100, 16, v100
	;; [unrolled: 1-line block ×3, first 2 shown]
	v_cmp_lt_u32_e32 vcc_lo, 42, v99
	s_or_b32 s5, vcc_lo, s5
	s_waitcnt vmcnt(2) lgkmcnt(0)
	v_mul_f64 v[112:113], v[106:107], v[108:109]
	v_mul_f64 v[108:109], v[104:105], v[108:109]
	s_waitcnt vmcnt(0)
	v_fma_f64 v[104:105], v[104:105], v[110:111], -v[112:113]
	v_fma_f64 v[106:107], v[106:107], v[110:111], v[108:109]
	v_add_f64 v[3:4], v[3:4], v[104:105]
	v_add_f64 v[1:2], v[1:2], v[106:107]
	s_andn2_b32 exec_lo, exec_lo, s5
	s_cbranch_execnz .LBB109_189
; %bb.190:
	s_or_b32 exec_lo, exec_lo, s5
	v_mov_b32_e32 v99, 0
	ds_read_b128 v[99:102], v99 offset:704
	s_waitcnt lgkmcnt(0)
	v_mul_f64 v[104:105], v[1:2], v[101:102]
	v_mul_f64 v[101:102], v[3:4], v[101:102]
	v_fma_f64 v[3:4], v[3:4], v[99:100], -v[104:105]
	v_fma_f64 v[1:2], v[1:2], v[99:100], v[101:102]
	buffer_store_dword v4, off, s[0:3], 0 offset:724
	buffer_store_dword v3, off, s[0:3], 0 offset:720
	;; [unrolled: 1-line block ×4, first 2 shown]
.LBB109_191:
	s_or_b32 exec_lo, exec_lo, s4
	v_mov_b32_e32 v4, s8
	s_waitcnt_vscnt null, 0x0
	s_barrier
	buffer_gl0_inv
	s_mov_b32 s4, exec_lo
	s_clause 0x3
	buffer_load_dword v1, v4, s[0:3], 0 offen
	buffer_load_dword v2, v4, s[0:3], 0 offen offset:4
	buffer_load_dword v3, v4, s[0:3], 0 offen offset:8
	;; [unrolled: 1-line block ×3, first 2 shown]
	s_waitcnt vmcnt(0)
	ds_write_b128 v97, v[1:4]
	s_waitcnt lgkmcnt(0)
	s_barrier
	buffer_gl0_inv
	v_cmpx_ne_u32_e32 45, v0
	s_cbranch_execz .LBB109_195
; %bb.192:
	v_mov_b32_e32 v1, 0
	v_mov_b32_e32 v3, 0
	;; [unrolled: 1-line block ×4, first 2 shown]
	v_add_nc_u32_e32 v99, 16, v103
	s_mov_b32 s5, 0
	.p2align	6
.LBB109_193:                            ; =>This Inner Loop Header: Depth=1
	s_clause 0x3
	buffer_load_dword v104, v99, s[0:3], 0 offen offset:8
	buffer_load_dword v105, v99, s[0:3], 0 offen offset:12
	buffer_load_dword v106, v99, s[0:3], 0 offen
	buffer_load_dword v107, v99, s[0:3], 0 offen offset:4
	ds_read_b128 v[100:103], v97
	v_add_nc_u32_e32 v98, 1, v98
	v_add_nc_u32_e32 v97, 16, v97
	;; [unrolled: 1-line block ×3, first 2 shown]
	v_cmp_lt_u32_e32 vcc_lo, 43, v98
	s_or_b32 s5, vcc_lo, s5
	s_waitcnt vmcnt(2) lgkmcnt(0)
	v_mul_f64 v[108:109], v[102:103], v[104:105]
	v_mul_f64 v[104:105], v[100:101], v[104:105]
	s_waitcnt vmcnt(0)
	v_fma_f64 v[100:101], v[100:101], v[106:107], -v[108:109]
	v_fma_f64 v[102:103], v[102:103], v[106:107], v[104:105]
	v_add_f64 v[3:4], v[3:4], v[100:101]
	v_add_f64 v[1:2], v[1:2], v[102:103]
	s_andn2_b32 exec_lo, exec_lo, s5
	s_cbranch_execnz .LBB109_193
; %bb.194:
	s_or_b32 exec_lo, exec_lo, s5
	v_mov_b32_e32 v97, 0
	ds_read_b128 v[97:100], v97 offset:720
	s_waitcnt lgkmcnt(0)
	v_mul_f64 v[101:102], v[1:2], v[99:100]
	v_mul_f64 v[99:100], v[3:4], v[99:100]
	v_fma_f64 v[3:4], v[3:4], v[97:98], -v[101:102]
	v_fma_f64 v[1:2], v[1:2], v[97:98], v[99:100]
	buffer_store_dword v4, off, s[0:3], 0 offset:740
	buffer_store_dword v3, off, s[0:3], 0 offset:736
	;; [unrolled: 1-line block ×4, first 2 shown]
.LBB109_195:
	s_or_b32 exec_lo, exec_lo, s4
	s_mov_b32 s5, -1
	s_waitcnt_vscnt null, 0x0
	s_barrier
	buffer_gl0_inv
.LBB109_196:
	s_and_b32 vcc_lo, exec_lo, s5
	s_cbranch_vccz .LBB109_198
; %bb.197:
	s_lshl_b64 s[4:5], s[6:7], 2
	v_mov_b32_e32 v1, 0
	s_add_u32 s4, s10, s4
	s_addc_u32 s5, s11, s5
	global_load_dword v1, v1, s[4:5]
	s_waitcnt vmcnt(0)
	v_cmp_ne_u32_e32 vcc_lo, 0, v1
	s_cbranch_vccz .LBB109_199
.LBB109_198:
	s_endpgm
.LBB109_199:
	v_lshl_add_u32 v153, v0, 4, 0x2e0
	s_mov_b32 s4, exec_lo
	v_cmpx_eq_u32_e32 45, v0
	s_cbranch_execz .LBB109_201
; %bb.200:
	v_mov_b32_e32 v4, s9
	v_mov_b32_e32 v97, 0
	s_clause 0x3
	buffer_load_dword v1, v4, s[0:3], 0 offen
	buffer_load_dword v2, v4, s[0:3], 0 offen offset:4
	buffer_load_dword v3, v4, s[0:3], 0 offen offset:8
	;; [unrolled: 1-line block ×3, first 2 shown]
	buffer_store_dword v97, off, s[0:3], 0 offset:720
	buffer_store_dword v97, off, s[0:3], 0 offset:724
	;; [unrolled: 1-line block ×4, first 2 shown]
	s_waitcnt vmcnt(0)
	ds_write_b128 v153, v[1:4]
.LBB109_201:
	s_or_b32 exec_lo, exec_lo, s4
	s_waitcnt lgkmcnt(0)
	s_waitcnt_vscnt null, 0x0
	s_barrier
	buffer_gl0_inv
	s_clause 0x7
	buffer_load_dword v2, off, s[0:3], 0 offset:744
	buffer_load_dword v3, off, s[0:3], 0 offset:748
	;; [unrolled: 1-line block ×8, first 2 shown]
	v_mov_b32_e32 v1, 0
	s_mov_b32 s4, exec_lo
	ds_read_b128 v[97:100], v1 offset:1456
	s_waitcnt vmcnt(6) lgkmcnt(0)
	v_mul_f64 v[107:108], v[99:100], v[2:3]
	v_mul_f64 v[2:3], v[97:98], v[2:3]
	s_waitcnt vmcnt(4)
	v_fma_f64 v[97:98], v[97:98], v[101:102], -v[107:108]
	v_fma_f64 v[2:3], v[99:100], v[101:102], v[2:3]
	v_add_f64 v[97:98], v[97:98], 0
	v_add_f64 v[2:3], v[2:3], 0
	s_waitcnt vmcnt(2)
	v_add_f64 v[97:98], v[103:104], -v[97:98]
	s_waitcnt vmcnt(0)
	v_add_f64 v[2:3], v[105:106], -v[2:3]
	buffer_store_dword v97, off, s[0:3], 0 offset:720
	buffer_store_dword v98, off, s[0:3], 0 offset:724
	;; [unrolled: 1-line block ×4, first 2 shown]
	v_cmpx_lt_u32_e32 43, v0
	s_cbranch_execz .LBB109_203
; %bb.202:
	v_mov_b32_e32 v2, s14
	s_clause 0x3
	buffer_load_dword v97, v2, s[0:3], 0 offen
	buffer_load_dword v98, v2, s[0:3], 0 offen offset:4
	buffer_load_dword v99, v2, s[0:3], 0 offen offset:8
	;; [unrolled: 1-line block ×3, first 2 shown]
	buffer_store_dword v1, off, s[0:3], 0 offset:704
	buffer_store_dword v1, off, s[0:3], 0 offset:708
	;; [unrolled: 1-line block ×4, first 2 shown]
	s_waitcnt vmcnt(0)
	ds_write_b128 v153, v[97:100]
.LBB109_203:
	s_or_b32 exec_lo, exec_lo, s4
	s_waitcnt lgkmcnt(0)
	s_waitcnt_vscnt null, 0x0
	s_barrier
	buffer_gl0_inv
	s_clause 0xb
	buffer_load_dword v101, off, s[0:3], 0 offset:728
	buffer_load_dword v102, off, s[0:3], 0 offset:732
	;; [unrolled: 1-line block ×12, first 2 shown]
	ds_read_b128 v[97:100], v1 offset:1440
	ds_read_b128 v[1:4], v1 offset:1456
	s_mov_b32 s4, exec_lo
	s_waitcnt vmcnt(10) lgkmcnt(1)
	v_mul_f64 v[113:114], v[99:100], v[101:102]
	v_mul_f64 v[101:102], v[97:98], v[101:102]
	s_waitcnt vmcnt(8) lgkmcnt(0)
	v_mul_f64 v[115:116], v[3:4], v[103:104]
	v_mul_f64 v[103:104], v[1:2], v[103:104]
	s_waitcnt vmcnt(6)
	v_fma_f64 v[97:98], v[97:98], v[105:106], -v[113:114]
	v_fma_f64 v[99:100], v[99:100], v[105:106], v[101:102]
	s_waitcnt vmcnt(4)
	v_fma_f64 v[1:2], v[1:2], v[107:108], -v[115:116]
	v_fma_f64 v[3:4], v[3:4], v[107:108], v[103:104]
	v_add_f64 v[97:98], v[97:98], 0
	v_add_f64 v[99:100], v[99:100], 0
	;; [unrolled: 1-line block ×4, first 2 shown]
	s_waitcnt vmcnt(2)
	v_add_f64 v[1:2], v[109:110], -v[1:2]
	s_waitcnt vmcnt(0)
	v_add_f64 v[3:4], v[111:112], -v[3:4]
	buffer_store_dword v1, off, s[0:3], 0 offset:704
	buffer_store_dword v2, off, s[0:3], 0 offset:708
	;; [unrolled: 1-line block ×4, first 2 shown]
	v_cmpx_lt_u32_e32 42, v0
	s_cbranch_execz .LBB109_205
; %bb.204:
	v_mov_b32_e32 v4, s15
	v_mov_b32_e32 v97, 0
	s_clause 0x3
	buffer_load_dword v1, v4, s[0:3], 0 offen
	buffer_load_dword v2, v4, s[0:3], 0 offen offset:4
	buffer_load_dword v3, v4, s[0:3], 0 offen offset:8
	;; [unrolled: 1-line block ×3, first 2 shown]
	buffer_store_dword v97, off, s[0:3], 0 offset:688
	buffer_store_dword v97, off, s[0:3], 0 offset:692
	;; [unrolled: 1-line block ×4, first 2 shown]
	s_waitcnt vmcnt(0)
	ds_write_b128 v153, v[1:4]
.LBB109_205:
	s_or_b32 exec_lo, exec_lo, s4
	s_waitcnt lgkmcnt(0)
	s_waitcnt_vscnt null, 0x0
	s_barrier
	buffer_gl0_inv
	s_clause 0xf
	buffer_load_dword v2, off, s[0:3], 0 offset:712
	buffer_load_dword v3, off, s[0:3], 0 offset:716
	;; [unrolled: 1-line block ×16, first 2 shown]
	v_mov_b32_e32 v1, 0
	ds_read_b128 v[97:100], v1 offset:1424
	ds_read_b128 v[101:104], v1 offset:1440
	;; [unrolled: 1-line block ×3, first 2 shown]
	s_mov_b32 s4, exec_lo
	s_waitcnt vmcnt(14) lgkmcnt(2)
	v_mul_f64 v[123:124], v[99:100], v[2:3]
	v_mul_f64 v[2:3], v[97:98], v[2:3]
	s_waitcnt vmcnt(12) lgkmcnt(1)
	v_mul_f64 v[125:126], v[103:104], v[109:110]
	v_mul_f64 v[109:110], v[101:102], v[109:110]
	s_waitcnt vmcnt(10)
	v_fma_f64 v[97:98], v[97:98], v[111:112], -v[123:124]
	v_fma_f64 v[2:3], v[99:100], v[111:112], v[2:3]
	s_waitcnt vmcnt(8) lgkmcnt(0)
	v_mul_f64 v[111:112], v[107:108], v[113:114]
	s_waitcnt vmcnt(6)
	v_fma_f64 v[101:102], v[101:102], v[115:116], -v[125:126]
	v_mul_f64 v[99:100], v[105:106], v[113:114]
	v_fma_f64 v[103:104], v[103:104], v[115:116], v[109:110]
	v_add_f64 v[97:98], v[97:98], 0
	v_add_f64 v[2:3], v[2:3], 0
	s_waitcnt vmcnt(4)
	v_fma_f64 v[105:106], v[105:106], v[117:118], -v[111:112]
	v_fma_f64 v[99:100], v[107:108], v[117:118], v[99:100]
	v_add_f64 v[97:98], v[97:98], v[101:102]
	v_add_f64 v[2:3], v[2:3], v[103:104]
	;; [unrolled: 1-line block ×4, first 2 shown]
	s_waitcnt vmcnt(2)
	v_add_f64 v[97:98], v[119:120], -v[97:98]
	s_waitcnt vmcnt(0)
	v_add_f64 v[2:3], v[121:122], -v[2:3]
	buffer_store_dword v97, off, s[0:3], 0 offset:688
	buffer_store_dword v98, off, s[0:3], 0 offset:692
	;; [unrolled: 1-line block ×4, first 2 shown]
	v_cmpx_lt_u32_e32 41, v0
	s_cbranch_execz .LBB109_207
; %bb.206:
	v_mov_b32_e32 v2, s16
	s_clause 0x3
	buffer_load_dword v97, v2, s[0:3], 0 offen
	buffer_load_dword v98, v2, s[0:3], 0 offen offset:4
	buffer_load_dword v99, v2, s[0:3], 0 offen offset:8
	;; [unrolled: 1-line block ×3, first 2 shown]
	buffer_store_dword v1, off, s[0:3], 0 offset:672
	buffer_store_dword v1, off, s[0:3], 0 offset:676
	;; [unrolled: 1-line block ×4, first 2 shown]
	s_waitcnt vmcnt(0)
	ds_write_b128 v153, v[97:100]
.LBB109_207:
	s_or_b32 exec_lo, exec_lo, s4
	s_waitcnt lgkmcnt(0)
	s_waitcnt_vscnt null, 0x0
	s_barrier
	buffer_gl0_inv
	s_clause 0x13
	buffer_load_dword v2, off, s[0:3], 0 offset:696
	buffer_load_dword v3, off, s[0:3], 0 offset:700
	;; [unrolled: 1-line block ×20, first 2 shown]
	ds_read_b128 v[97:100], v1 offset:1408
	ds_read_b128 v[101:104], v1 offset:1424
	;; [unrolled: 1-line block ×3, first 2 shown]
	s_mov_b32 s4, exec_lo
	s_waitcnt vmcnt(18) lgkmcnt(2)
	v_mul_f64 v[127:128], v[99:100], v[2:3]
	v_mul_f64 v[2:3], v[97:98], v[2:3]
	s_waitcnt vmcnt(16) lgkmcnt(1)
	v_mul_f64 v[129:130], v[103:104], v[109:110]
	v_mul_f64 v[109:110], v[101:102], v[109:110]
	s_waitcnt vmcnt(14)
	v_fma_f64 v[97:98], v[97:98], v[111:112], -v[127:128]
	v_fma_f64 v[99:100], v[99:100], v[111:112], v[2:3]
	s_waitcnt vmcnt(12) lgkmcnt(0)
	v_mul_f64 v[111:112], v[105:106], v[113:114]
	v_mul_f64 v[113:114], v[107:108], v[113:114]
	s_waitcnt vmcnt(10)
	v_fma_f64 v[101:102], v[101:102], v[115:116], -v[129:130]
	ds_read_b128 v[1:4], v1 offset:1456
	v_fma_f64 v[103:104], v[103:104], v[115:116], v[109:110]
	v_add_f64 v[97:98], v[97:98], 0
	v_add_f64 v[99:100], v[99:100], 0
	s_waitcnt vmcnt(8) lgkmcnt(0)
	v_mul_f64 v[115:116], v[3:4], v[117:118]
	s_waitcnt vmcnt(6)
	v_fma_f64 v[105:106], v[105:106], v[119:120], -v[113:114]
	v_mul_f64 v[109:110], v[1:2], v[117:118]
	v_add_f64 v[97:98], v[97:98], v[101:102]
	v_fma_f64 v[101:102], v[107:108], v[119:120], v[111:112]
	v_add_f64 v[99:100], v[99:100], v[103:104]
	s_waitcnt vmcnt(4)
	v_fma_f64 v[1:2], v[1:2], v[121:122], -v[115:116]
	v_fma_f64 v[3:4], v[3:4], v[121:122], v[109:110]
	v_add_f64 v[97:98], v[97:98], v[105:106]
	v_add_f64 v[99:100], v[99:100], v[101:102]
	;; [unrolled: 1-line block ×4, first 2 shown]
	s_waitcnt vmcnt(2)
	v_add_f64 v[1:2], v[123:124], -v[1:2]
	s_waitcnt vmcnt(0)
	v_add_f64 v[3:4], v[125:126], -v[3:4]
	buffer_store_dword v1, off, s[0:3], 0 offset:672
	buffer_store_dword v2, off, s[0:3], 0 offset:676
	;; [unrolled: 1-line block ×4, first 2 shown]
	v_cmpx_lt_u32_e32 40, v0
	s_cbranch_execz .LBB109_209
; %bb.208:
	v_mov_b32_e32 v4, s17
	v_mov_b32_e32 v97, 0
	s_clause 0x3
	buffer_load_dword v1, v4, s[0:3], 0 offen
	buffer_load_dword v2, v4, s[0:3], 0 offen offset:4
	buffer_load_dword v3, v4, s[0:3], 0 offen offset:8
	;; [unrolled: 1-line block ×3, first 2 shown]
	buffer_store_dword v97, off, s[0:3], 0 offset:656
	buffer_store_dword v97, off, s[0:3], 0 offset:660
	;; [unrolled: 1-line block ×4, first 2 shown]
	s_waitcnt vmcnt(0)
	ds_write_b128 v153, v[1:4]
.LBB109_209:
	s_or_b32 exec_lo, exec_lo, s4
	s_waitcnt lgkmcnt(0)
	s_waitcnt_vscnt null, 0x0
	s_barrier
	buffer_gl0_inv
	s_clause 0x17
	buffer_load_dword v2, off, s[0:3], 0 offset:680
	buffer_load_dword v3, off, s[0:3], 0 offset:684
	buffer_load_dword v109, off, s[0:3], 0 offset:696
	buffer_load_dword v110, off, s[0:3], 0 offset:700
	buffer_load_dword v111, off, s[0:3], 0 offset:672
	buffer_load_dword v112, off, s[0:3], 0 offset:676
	buffer_load_dword v113, off, s[0:3], 0 offset:712
	buffer_load_dword v114, off, s[0:3], 0 offset:716
	buffer_load_dword v115, off, s[0:3], 0 offset:688
	buffer_load_dword v116, off, s[0:3], 0 offset:692
	buffer_load_dword v118, off, s[0:3], 0 offset:732
	buffer_load_dword v119, off, s[0:3], 0 offset:744
	buffer_load_dword v121, off, s[0:3], 0 offset:736
	buffer_load_dword v117, off, s[0:3], 0 offset:728
	buffer_load_dword v123, off, s[0:3], 0 offset:704
	buffer_load_dword v124, off, s[0:3], 0 offset:708
	buffer_load_dword v120, off, s[0:3], 0 offset:748
	buffer_load_dword v126, off, s[0:3], 0 offset:724
	buffer_load_dword v125, off, s[0:3], 0 offset:720
	buffer_load_dword v122, off, s[0:3], 0 offset:740
	buffer_load_dword v127, off, s[0:3], 0 offset:656
	buffer_load_dword v128, off, s[0:3], 0 offset:660
	buffer_load_dword v129, off, s[0:3], 0 offset:664
	buffer_load_dword v130, off, s[0:3], 0 offset:668
	v_mov_b32_e32 v1, 0
	ds_read_b128 v[97:100], v1 offset:1392
	ds_read_b128 v[101:104], v1 offset:1408
	;; [unrolled: 1-line block ×3, first 2 shown]
	s_mov_b32 s4, exec_lo
	s_waitcnt vmcnt(22) lgkmcnt(2)
	v_mul_f64 v[131:132], v[99:100], v[2:3]
	v_mul_f64 v[2:3], v[97:98], v[2:3]
	s_waitcnt vmcnt(20) lgkmcnt(1)
	v_mul_f64 v[133:134], v[103:104], v[109:110]
	v_mul_f64 v[109:110], v[101:102], v[109:110]
	s_waitcnt vmcnt(18)
	v_fma_f64 v[131:132], v[97:98], v[111:112], -v[131:132]
	v_fma_f64 v[2:3], v[99:100], v[111:112], v[2:3]
	ds_read_b128 v[97:100], v1 offset:1440
	s_waitcnt vmcnt(16) lgkmcnt(1)
	v_mul_f64 v[111:112], v[105:106], v[113:114]
	v_mul_f64 v[113:114], v[107:108], v[113:114]
	s_waitcnt vmcnt(14)
	v_fma_f64 v[133:134], v[101:102], v[115:116], -v[133:134]
	v_fma_f64 v[109:110], v[103:104], v[115:116], v[109:110]
	ds_read_b128 v[101:104], v1 offset:1456
	s_waitcnt vmcnt(10) lgkmcnt(1)
	v_mul_f64 v[115:116], v[97:98], v[117:118]
	v_add_f64 v[131:132], v[131:132], 0
	v_add_f64 v[2:3], v[2:3], 0
	v_mul_f64 v[117:118], v[99:100], v[117:118]
	s_waitcnt vmcnt(8)
	v_fma_f64 v[105:106], v[105:106], v[123:124], -v[113:114]
	v_fma_f64 v[107:108], v[107:108], v[123:124], v[111:112]
	s_waitcnt vmcnt(7) lgkmcnt(0)
	v_mul_f64 v[111:112], v[103:104], v[119:120]
	s_waitcnt vmcnt(5)
	v_fma_f64 v[99:100], v[99:100], v[125:126], v[115:116]
	v_add_f64 v[113:114], v[131:132], v[133:134]
	v_add_f64 v[2:3], v[2:3], v[109:110]
	v_fma_f64 v[97:98], v[97:98], v[125:126], -v[117:118]
	v_mul_f64 v[109:110], v[101:102], v[119:120]
	s_waitcnt vmcnt(4)
	v_fma_f64 v[101:102], v[101:102], v[121:122], -v[111:112]
	v_add_f64 v[105:106], v[113:114], v[105:106]
	v_add_f64 v[2:3], v[2:3], v[107:108]
	v_fma_f64 v[103:104], v[103:104], v[121:122], v[109:110]
	v_add_f64 v[97:98], v[105:106], v[97:98]
	v_add_f64 v[2:3], v[2:3], v[99:100]
	;; [unrolled: 1-line block ×4, first 2 shown]
	s_waitcnt vmcnt(2)
	v_add_f64 v[97:98], v[127:128], -v[97:98]
	s_waitcnt vmcnt(0)
	v_add_f64 v[2:3], v[129:130], -v[2:3]
	buffer_store_dword v98, off, s[0:3], 0 offset:660
	buffer_store_dword v97, off, s[0:3], 0 offset:656
	;; [unrolled: 1-line block ×4, first 2 shown]
	v_cmpx_lt_u32_e32 39, v0
	s_cbranch_execz .LBB109_211
; %bb.210:
	v_mov_b32_e32 v2, s18
	s_clause 0x3
	buffer_load_dword v97, v2, s[0:3], 0 offen
	buffer_load_dword v98, v2, s[0:3], 0 offen offset:4
	buffer_load_dword v99, v2, s[0:3], 0 offen offset:8
	buffer_load_dword v100, v2, s[0:3], 0 offen offset:12
	buffer_store_dword v1, off, s[0:3], 0 offset:640
	buffer_store_dword v1, off, s[0:3], 0 offset:644
	;; [unrolled: 1-line block ×4, first 2 shown]
	s_waitcnt vmcnt(0)
	ds_write_b128 v153, v[97:100]
.LBB109_211:
	s_or_b32 exec_lo, exec_lo, s4
	s_waitcnt lgkmcnt(0)
	s_waitcnt_vscnt null, 0x0
	s_barrier
	buffer_gl0_inv
	s_clause 0x1b
	buffer_load_dword v2, off, s[0:3], 0 offset:664
	buffer_load_dword v3, off, s[0:3], 0 offset:668
	;; [unrolled: 1-line block ×28, first 2 shown]
	ds_read_b128 v[97:100], v1 offset:1376
	ds_read_b128 v[101:104], v1 offset:1392
	;; [unrolled: 1-line block ×3, first 2 shown]
	s_mov_b32 s4, exec_lo
	s_waitcnt vmcnt(26) lgkmcnt(2)
	v_mul_f64 v[135:136], v[99:100], v[2:3]
	v_mul_f64 v[2:3], v[97:98], v[2:3]
	s_waitcnt vmcnt(24) lgkmcnt(1)
	v_mul_f64 v[137:138], v[103:104], v[109:110]
	v_mul_f64 v[109:110], v[101:102], v[109:110]
	s_waitcnt vmcnt(22)
	v_fma_f64 v[135:136], v[97:98], v[111:112], -v[135:136]
	v_fma_f64 v[2:3], v[99:100], v[111:112], v[2:3]
	ds_read_b128 v[97:100], v1 offset:1424
	s_waitcnt vmcnt(20) lgkmcnt(1)
	v_mul_f64 v[111:112], v[105:106], v[113:114]
	v_mul_f64 v[113:114], v[107:108], v[113:114]
	s_waitcnt vmcnt(18)
	v_fma_f64 v[137:138], v[101:102], v[115:116], -v[137:138]
	v_fma_f64 v[109:110], v[103:104], v[115:116], v[109:110]
	ds_read_b128 v[101:104], v1 offset:1440
	s_waitcnt vmcnt(14) lgkmcnt(1)
	v_mul_f64 v[115:116], v[97:98], v[117:118]
	v_add_f64 v[135:136], v[135:136], 0
	v_add_f64 v[2:3], v[2:3], 0
	v_mul_f64 v[117:118], v[99:100], v[117:118]
	s_waitcnt vmcnt(12)
	v_fma_f64 v[105:106], v[105:106], v[123:124], -v[113:114]
	v_fma_f64 v[107:108], v[107:108], v[123:124], v[111:112]
	s_waitcnt vmcnt(11) lgkmcnt(0)
	v_mul_f64 v[111:112], v[101:102], v[119:120]
	v_mul_f64 v[119:120], v[103:104], v[119:120]
	s_waitcnt vmcnt(9)
	v_fma_f64 v[99:100], v[99:100], v[125:126], v[115:116]
	v_add_f64 v[113:114], v[135:136], v[137:138]
	v_add_f64 v[109:110], v[2:3], v[109:110]
	v_fma_f64 v[97:98], v[97:98], v[125:126], -v[117:118]
	ds_read_b128 v[1:4], v1 offset:1456
	s_waitcnt vmcnt(6)
	v_fma_f64 v[103:104], v[103:104], v[121:122], v[111:112]
	v_fma_f64 v[101:102], v[101:102], v[121:122], -v[119:120]
	v_add_f64 v[105:106], v[113:114], v[105:106]
	v_add_f64 v[107:108], v[109:110], v[107:108]
	s_waitcnt lgkmcnt(0)
	v_mul_f64 v[113:114], v[3:4], v[127:128]
	v_mul_f64 v[109:110], v[1:2], v[127:128]
	v_add_f64 v[97:98], v[105:106], v[97:98]
	v_add_f64 v[99:100], v[107:108], v[99:100]
	s_waitcnt vmcnt(4)
	v_fma_f64 v[1:2], v[1:2], v[129:130], -v[113:114]
	v_fma_f64 v[3:4], v[3:4], v[129:130], v[109:110]
	v_add_f64 v[97:98], v[97:98], v[101:102]
	v_add_f64 v[99:100], v[99:100], v[103:104]
	v_add_f64 v[1:2], v[97:98], v[1:2]
	v_add_f64 v[3:4], v[99:100], v[3:4]
	s_waitcnt vmcnt(2)
	v_add_f64 v[1:2], v[131:132], -v[1:2]
	s_waitcnt vmcnt(0)
	v_add_f64 v[3:4], v[133:134], -v[3:4]
	buffer_store_dword v2, off, s[0:3], 0 offset:644
	buffer_store_dword v1, off, s[0:3], 0 offset:640
	;; [unrolled: 1-line block ×4, first 2 shown]
	v_cmpx_lt_u32_e32 38, v0
	s_cbranch_execz .LBB109_213
; %bb.212:
	v_mov_b32_e32 v4, s19
	v_mov_b32_e32 v97, 0
	s_clause 0x3
	buffer_load_dword v1, v4, s[0:3], 0 offen
	buffer_load_dword v2, v4, s[0:3], 0 offen offset:4
	buffer_load_dword v3, v4, s[0:3], 0 offen offset:8
	;; [unrolled: 1-line block ×3, first 2 shown]
	buffer_store_dword v97, off, s[0:3], 0 offset:624
	buffer_store_dword v97, off, s[0:3], 0 offset:628
	;; [unrolled: 1-line block ×4, first 2 shown]
	s_waitcnt vmcnt(0)
	ds_write_b128 v153, v[1:4]
.LBB109_213:
	s_or_b32 exec_lo, exec_lo, s4
	s_waitcnt lgkmcnt(0)
	s_waitcnt_vscnt null, 0x0
	s_barrier
	buffer_gl0_inv
	s_clause 0x1f
	buffer_load_dword v2, off, s[0:3], 0 offset:648
	buffer_load_dword v3, off, s[0:3], 0 offset:652
	;; [unrolled: 1-line block ×32, first 2 shown]
	v_mov_b32_e32 v1, 0
	ds_read_b128 v[97:100], v1 offset:1360
	ds_read_b128 v[101:104], v1 offset:1376
	;; [unrolled: 1-line block ×3, first 2 shown]
	s_mov_b32 s4, exec_lo
	s_waitcnt vmcnt(30) lgkmcnt(2)
	v_mul_f64 v[139:140], v[99:100], v[2:3]
	v_mul_f64 v[2:3], v[97:98], v[2:3]
	s_waitcnt vmcnt(28) lgkmcnt(1)
	v_mul_f64 v[141:142], v[103:104], v[109:110]
	v_mul_f64 v[109:110], v[101:102], v[109:110]
	s_waitcnt vmcnt(26)
	v_fma_f64 v[139:140], v[97:98], v[111:112], -v[139:140]
	v_fma_f64 v[2:3], v[99:100], v[111:112], v[2:3]
	ds_read_b128 v[97:100], v1 offset:1408
	s_waitcnt vmcnt(24) lgkmcnt(1)
	v_mul_f64 v[111:112], v[105:106], v[113:114]
	v_mul_f64 v[113:114], v[107:108], v[113:114]
	s_waitcnt vmcnt(22)
	v_fma_f64 v[141:142], v[101:102], v[115:116], -v[141:142]
	v_fma_f64 v[109:110], v[103:104], v[115:116], v[109:110]
	ds_read_b128 v[101:104], v1 offset:1424
	s_waitcnt vmcnt(18) lgkmcnt(1)
	v_mul_f64 v[115:116], v[97:98], v[117:118]
	v_add_f64 v[139:140], v[139:140], 0
	v_add_f64 v[2:3], v[2:3], 0
	v_mul_f64 v[117:118], v[99:100], v[117:118]
	s_waitcnt vmcnt(16)
	v_fma_f64 v[113:114], v[105:106], v[123:124], -v[113:114]
	v_fma_f64 v[111:112], v[107:108], v[123:124], v[111:112]
	ds_read_b128 v[105:108], v1 offset:1440
	s_waitcnt vmcnt(13)
	v_fma_f64 v[115:116], v[99:100], v[125:126], v[115:116]
	v_add_f64 v[139:140], v[139:140], v[141:142]
	v_add_f64 v[2:3], v[2:3], v[109:110]
	s_waitcnt lgkmcnt(1)
	v_mul_f64 v[109:110], v[101:102], v[119:120]
	v_mul_f64 v[119:120], v[103:104], v[119:120]
	v_fma_f64 v[117:118], v[97:98], v[125:126], -v[117:118]
	s_waitcnt vmcnt(9) lgkmcnt(0)
	v_mul_f64 v[123:124], v[107:108], v[127:128]
	ds_read_b128 v[97:100], v1 offset:1456
	v_add_f64 v[113:114], v[139:140], v[113:114]
	v_add_f64 v[2:3], v[2:3], v[111:112]
	v_mul_f64 v[111:112], v[105:106], v[127:128]
	s_waitcnt vmcnt(8)
	v_fma_f64 v[101:102], v[101:102], v[121:122], -v[119:120]
	v_fma_f64 v[103:104], v[103:104], v[121:122], v[109:110]
	s_waitcnt vmcnt(5)
	v_fma_f64 v[105:106], v[105:106], v[133:134], -v[123:124]
	s_waitcnt lgkmcnt(0)
	v_mul_f64 v[109:110], v[97:98], v[129:130]
	v_add_f64 v[113:114], v[113:114], v[117:118]
	v_add_f64 v[2:3], v[2:3], v[115:116]
	v_mul_f64 v[115:116], v[99:100], v[129:130]
	v_fma_f64 v[107:108], v[107:108], v[133:134], v[111:112]
	s_waitcnt vmcnt(4)
	v_fma_f64 v[99:100], v[99:100], v[131:132], v[109:110]
	v_add_f64 v[101:102], v[113:114], v[101:102]
	v_add_f64 v[2:3], v[2:3], v[103:104]
	v_fma_f64 v[97:98], v[97:98], v[131:132], -v[115:116]
	v_add_f64 v[101:102], v[101:102], v[105:106]
	v_add_f64 v[2:3], v[2:3], v[107:108]
	v_add_f64 v[97:98], v[101:102], v[97:98]
	v_add_f64 v[2:3], v[2:3], v[99:100]
	s_waitcnt vmcnt(2)
	v_add_f64 v[97:98], v[135:136], -v[97:98]
	s_waitcnt vmcnt(0)
	v_add_f64 v[2:3], v[137:138], -v[2:3]
	buffer_store_dword v98, off, s[0:3], 0 offset:628
	buffer_store_dword v97, off, s[0:3], 0 offset:624
	;; [unrolled: 1-line block ×4, first 2 shown]
	v_cmpx_lt_u32_e32 37, v0
	s_cbranch_execz .LBB109_215
; %bb.214:
	v_mov_b32_e32 v2, s20
	s_clause 0x3
	buffer_load_dword v97, v2, s[0:3], 0 offen
	buffer_load_dword v98, v2, s[0:3], 0 offen offset:4
	buffer_load_dword v99, v2, s[0:3], 0 offen offset:8
	;; [unrolled: 1-line block ×3, first 2 shown]
	buffer_store_dword v1, off, s[0:3], 0 offset:608
	buffer_store_dword v1, off, s[0:3], 0 offset:612
	;; [unrolled: 1-line block ×4, first 2 shown]
	s_waitcnt vmcnt(0)
	ds_write_b128 v153, v[97:100]
.LBB109_215:
	s_or_b32 exec_lo, exec_lo, s4
	s_waitcnt lgkmcnt(0)
	s_waitcnt_vscnt null, 0x0
	s_barrier
	buffer_gl0_inv
	s_clause 0x23
	buffer_load_dword v2, off, s[0:3], 0 offset:632
	buffer_load_dword v3, off, s[0:3], 0 offset:636
	;; [unrolled: 1-line block ×36, first 2 shown]
	ds_read_b128 v[97:100], v1 offset:1344
	ds_read_b128 v[101:104], v1 offset:1360
	;; [unrolled: 1-line block ×3, first 2 shown]
	s_mov_b32 s4, exec_lo
	s_waitcnt vmcnt(34) lgkmcnt(2)
	v_mul_f64 v[143:144], v[99:100], v[2:3]
	v_mul_f64 v[2:3], v[97:98], v[2:3]
	s_waitcnt vmcnt(32) lgkmcnt(1)
	v_mul_f64 v[145:146], v[103:104], v[109:110]
	v_mul_f64 v[109:110], v[101:102], v[109:110]
	s_waitcnt vmcnt(30)
	v_fma_f64 v[143:144], v[97:98], v[111:112], -v[143:144]
	v_fma_f64 v[2:3], v[99:100], v[111:112], v[2:3]
	ds_read_b128 v[97:100], v1 offset:1392
	s_waitcnt vmcnt(28) lgkmcnt(1)
	v_mul_f64 v[111:112], v[105:106], v[113:114]
	v_mul_f64 v[113:114], v[107:108], v[113:114]
	s_waitcnt vmcnt(26)
	v_fma_f64 v[145:146], v[101:102], v[115:116], -v[145:146]
	v_fma_f64 v[109:110], v[103:104], v[115:116], v[109:110]
	ds_read_b128 v[101:104], v1 offset:1408
	s_waitcnt vmcnt(22) lgkmcnt(1)
	v_mul_f64 v[115:116], v[97:98], v[117:118]
	v_add_f64 v[143:144], v[143:144], 0
	v_add_f64 v[2:3], v[2:3], 0
	v_mul_f64 v[117:118], v[99:100], v[117:118]
	s_waitcnt vmcnt(20)
	v_fma_f64 v[113:114], v[105:106], v[123:124], -v[113:114]
	v_fma_f64 v[111:112], v[107:108], v[123:124], v[111:112]
	ds_read_b128 v[105:108], v1 offset:1424
	s_waitcnt vmcnt(17)
	v_fma_f64 v[115:116], v[99:100], v[125:126], v[115:116]
	v_add_f64 v[143:144], v[143:144], v[145:146]
	v_add_f64 v[2:3], v[2:3], v[109:110]
	s_waitcnt lgkmcnt(1)
	v_mul_f64 v[109:110], v[101:102], v[119:120]
	v_mul_f64 v[119:120], v[103:104], v[119:120]
	v_fma_f64 v[117:118], v[97:98], v[125:126], -v[117:118]
	s_waitcnt vmcnt(13) lgkmcnt(0)
	v_mul_f64 v[123:124], v[107:108], v[127:128]
	ds_read_b128 v[97:100], v1 offset:1440
	v_add_f64 v[113:114], v[143:144], v[113:114]
	v_add_f64 v[2:3], v[2:3], v[111:112]
	v_mul_f64 v[111:112], v[105:106], v[127:128]
	s_waitcnt vmcnt(12)
	v_fma_f64 v[101:102], v[101:102], v[121:122], -v[119:120]
	v_fma_f64 v[103:104], v[103:104], v[121:122], v[109:110]
	s_waitcnt vmcnt(9)
	v_fma_f64 v[105:106], v[105:106], v[133:134], -v[123:124]
	v_add_f64 v[113:114], v[113:114], v[117:118]
	v_add_f64 v[109:110], v[2:3], v[115:116]
	s_waitcnt lgkmcnt(0)
	v_mul_f64 v[117:118], v[99:100], v[129:130]
	ds_read_b128 v[1:4], v1 offset:1456
	v_mul_f64 v[115:116], v[97:98], v[129:130]
	v_fma_f64 v[107:108], v[107:108], v[133:134], v[111:112]
	v_add_f64 v[101:102], v[113:114], v[101:102]
	v_add_f64 v[103:104], v[109:110], v[103:104]
	s_waitcnt vmcnt(7) lgkmcnt(0)
	v_mul_f64 v[111:112], v[3:4], v[135:136]
	s_waitcnt vmcnt(6)
	v_fma_f64 v[97:98], v[97:98], v[131:132], -v[117:118]
	v_mul_f64 v[109:110], v[1:2], v[135:136]
	v_fma_f64 v[99:100], v[99:100], v[131:132], v[115:116]
	v_add_f64 v[101:102], v[101:102], v[105:106]
	v_add_f64 v[103:104], v[103:104], v[107:108]
	s_waitcnt vmcnt(4)
	v_fma_f64 v[1:2], v[1:2], v[137:138], -v[111:112]
	v_fma_f64 v[3:4], v[3:4], v[137:138], v[109:110]
	v_add_f64 v[97:98], v[101:102], v[97:98]
	v_add_f64 v[99:100], v[103:104], v[99:100]
	;; [unrolled: 1-line block ×4, first 2 shown]
	s_waitcnt vmcnt(2)
	v_add_f64 v[1:2], v[139:140], -v[1:2]
	s_waitcnt vmcnt(0)
	v_add_f64 v[3:4], v[141:142], -v[3:4]
	buffer_store_dword v2, off, s[0:3], 0 offset:612
	buffer_store_dword v1, off, s[0:3], 0 offset:608
	;; [unrolled: 1-line block ×4, first 2 shown]
	v_cmpx_lt_u32_e32 36, v0
	s_cbranch_execz .LBB109_217
; %bb.216:
	v_mov_b32_e32 v4, s21
	v_mov_b32_e32 v97, 0
	s_clause 0x3
	buffer_load_dword v1, v4, s[0:3], 0 offen
	buffer_load_dword v2, v4, s[0:3], 0 offen offset:4
	buffer_load_dword v3, v4, s[0:3], 0 offen offset:8
	;; [unrolled: 1-line block ×3, first 2 shown]
	buffer_store_dword v97, off, s[0:3], 0 offset:592
	buffer_store_dword v97, off, s[0:3], 0 offset:596
	;; [unrolled: 1-line block ×4, first 2 shown]
	s_waitcnt vmcnt(0)
	ds_write_b128 v153, v[1:4]
.LBB109_217:
	s_or_b32 exec_lo, exec_lo, s4
	s_waitcnt lgkmcnt(0)
	s_waitcnt_vscnt null, 0x0
	s_barrier
	buffer_gl0_inv
	s_clause 0x27
	buffer_load_dword v2, off, s[0:3], 0 offset:616
	buffer_load_dword v3, off, s[0:3], 0 offset:620
	;; [unrolled: 1-line block ×40, first 2 shown]
	v_mov_b32_e32 v1, 0
	ds_read_b128 v[97:100], v1 offset:1328
	ds_read_b128 v[101:104], v1 offset:1344
	ds_read_b128 v[105:108], v1 offset:1360
	s_mov_b32 s4, exec_lo
	s_waitcnt vmcnt(38) lgkmcnt(2)
	v_mul_f64 v[147:148], v[99:100], v[2:3]
	v_mul_f64 v[2:3], v[97:98], v[2:3]
	s_waitcnt vmcnt(36) lgkmcnt(1)
	v_mul_f64 v[149:150], v[103:104], v[109:110]
	v_mul_f64 v[109:110], v[101:102], v[109:110]
	s_waitcnt vmcnt(34)
	v_fma_f64 v[147:148], v[97:98], v[111:112], -v[147:148]
	v_fma_f64 v[2:3], v[99:100], v[111:112], v[2:3]
	ds_read_b128 v[97:100], v1 offset:1376
	s_waitcnt vmcnt(32) lgkmcnt(1)
	v_mul_f64 v[111:112], v[105:106], v[113:114]
	v_mul_f64 v[113:114], v[107:108], v[113:114]
	s_waitcnt vmcnt(30)
	v_fma_f64 v[149:150], v[101:102], v[115:116], -v[149:150]
	v_fma_f64 v[109:110], v[103:104], v[115:116], v[109:110]
	ds_read_b128 v[101:104], v1 offset:1392
	s_waitcnt vmcnt(26) lgkmcnt(1)
	v_mul_f64 v[115:116], v[97:98], v[117:118]
	v_add_f64 v[147:148], v[147:148], 0
	v_add_f64 v[2:3], v[2:3], 0
	v_mul_f64 v[117:118], v[99:100], v[117:118]
	s_waitcnt vmcnt(24)
	v_fma_f64 v[113:114], v[105:106], v[123:124], -v[113:114]
	v_fma_f64 v[111:112], v[107:108], v[123:124], v[111:112]
	ds_read_b128 v[105:108], v1 offset:1408
	s_waitcnt vmcnt(21)
	v_fma_f64 v[115:116], v[99:100], v[125:126], v[115:116]
	v_add_f64 v[147:148], v[147:148], v[149:150]
	v_add_f64 v[2:3], v[2:3], v[109:110]
	s_waitcnt lgkmcnt(1)
	v_mul_f64 v[109:110], v[101:102], v[119:120]
	v_mul_f64 v[119:120], v[103:104], v[119:120]
	v_fma_f64 v[117:118], v[97:98], v[125:126], -v[117:118]
	s_waitcnt vmcnt(17) lgkmcnt(0)
	v_mul_f64 v[123:124], v[107:108], v[127:128]
	ds_read_b128 v[97:100], v1 offset:1424
	v_add_f64 v[113:114], v[147:148], v[113:114]
	v_add_f64 v[2:3], v[2:3], v[111:112]
	v_mul_f64 v[111:112], v[105:106], v[127:128]
	s_waitcnt vmcnt(16)
	v_fma_f64 v[119:120], v[101:102], v[121:122], -v[119:120]
	v_fma_f64 v[109:110], v[103:104], v[121:122], v[109:110]
	ds_read_b128 v[101:104], v1 offset:1440
	s_waitcnt vmcnt(13)
	v_fma_f64 v[121:122], v[105:106], v[133:134], -v[123:124]
	v_add_f64 v[113:114], v[113:114], v[117:118]
	v_add_f64 v[2:3], v[2:3], v[115:116]
	s_waitcnt lgkmcnt(1)
	v_mul_f64 v[117:118], v[99:100], v[129:130]
	v_mul_f64 v[115:116], v[97:98], v[129:130]
	v_fma_f64 v[111:112], v[107:108], v[133:134], v[111:112]
	ds_read_b128 v[105:108], v1 offset:1456
	v_add_f64 v[113:114], v[113:114], v[119:120]
	v_add_f64 v[2:3], v[2:3], v[109:110]
	s_waitcnt vmcnt(9) lgkmcnt(1)
	v_mul_f64 v[119:120], v[103:104], v[135:136]
	s_waitcnt vmcnt(8)
	v_fma_f64 v[97:98], v[97:98], v[131:132], -v[117:118]
	v_mul_f64 v[109:110], v[101:102], v[135:136]
	v_fma_f64 v[99:100], v[99:100], v[131:132], v[115:116]
	s_waitcnt vmcnt(7) lgkmcnt(0)
	v_mul_f64 v[115:116], v[107:108], v[137:138]
	v_add_f64 v[113:114], v[113:114], v[121:122]
	v_add_f64 v[2:3], v[2:3], v[111:112]
	s_waitcnt vmcnt(5)
	v_fma_f64 v[101:102], v[101:102], v[141:142], -v[119:120]
	v_mul_f64 v[111:112], v[105:106], v[137:138]
	v_fma_f64 v[103:104], v[103:104], v[141:142], v[109:110]
	v_add_f64 v[97:98], v[113:114], v[97:98]
	v_add_f64 v[2:3], v[2:3], v[99:100]
	s_waitcnt vmcnt(4)
	v_fma_f64 v[99:100], v[105:106], v[139:140], -v[115:116]
	v_add_f64 v[97:98], v[97:98], v[101:102]
	v_fma_f64 v[101:102], v[107:108], v[139:140], v[111:112]
	v_add_f64 v[2:3], v[2:3], v[103:104]
	v_add_f64 v[97:98], v[97:98], v[99:100]
	;; [unrolled: 1-line block ×3, first 2 shown]
	s_waitcnt vmcnt(2)
	v_add_f64 v[97:98], v[143:144], -v[97:98]
	s_waitcnt vmcnt(0)
	v_add_f64 v[2:3], v[145:146], -v[2:3]
	buffer_store_dword v98, off, s[0:3], 0 offset:596
	buffer_store_dword v97, off, s[0:3], 0 offset:592
	;; [unrolled: 1-line block ×4, first 2 shown]
	v_cmpx_lt_u32_e32 35, v0
	s_cbranch_execz .LBB109_219
; %bb.218:
	v_mov_b32_e32 v2, s22
	s_clause 0x3
	buffer_load_dword v97, v2, s[0:3], 0 offen
	buffer_load_dword v98, v2, s[0:3], 0 offen offset:4
	buffer_load_dword v99, v2, s[0:3], 0 offen offset:8
	;; [unrolled: 1-line block ×3, first 2 shown]
	buffer_store_dword v1, off, s[0:3], 0 offset:576
	buffer_store_dword v1, off, s[0:3], 0 offset:580
	;; [unrolled: 1-line block ×4, first 2 shown]
	s_waitcnt vmcnt(0)
	ds_write_b128 v153, v[97:100]
.LBB109_219:
	s_or_b32 exec_lo, exec_lo, s4
	s_waitcnt lgkmcnt(0)
	s_waitcnt_vscnt null, 0x0
	s_barrier
	buffer_gl0_inv
	s_clause 0x2b
	buffer_load_dword v2, off, s[0:3], 0 offset:600
	buffer_load_dword v3, off, s[0:3], 0 offset:604
	buffer_load_dword v109, off, s[0:3], 0 offset:616
	buffer_load_dword v110, off, s[0:3], 0 offset:620
	buffer_load_dword v111, off, s[0:3], 0 offset:592
	buffer_load_dword v112, off, s[0:3], 0 offset:596
	buffer_load_dword v113, off, s[0:3], 0 offset:632
	buffer_load_dword v114, off, s[0:3], 0 offset:636
	buffer_load_dword v115, off, s[0:3], 0 offset:608
	buffer_load_dword v116, off, s[0:3], 0 offset:612
	buffer_load_dword v118, off, s[0:3], 0 offset:652
	buffer_load_dword v119, off, s[0:3], 0 offset:664
	buffer_load_dword v121, off, s[0:3], 0 offset:656
	buffer_load_dword v117, off, s[0:3], 0 offset:648
	buffer_load_dword v123, off, s[0:3], 0 offset:624
	buffer_load_dword v124, off, s[0:3], 0 offset:628
	buffer_load_dword v120, off, s[0:3], 0 offset:668
	buffer_load_dword v126, off, s[0:3], 0 offset:644
	buffer_load_dword v125, off, s[0:3], 0 offset:640
	buffer_load_dword v128, off, s[0:3], 0 offset:684
	buffer_load_dword v129, off, s[0:3], 0 offset:696
	buffer_load_dword v131, off, s[0:3], 0 offset:688
	buffer_load_dword v127, off, s[0:3], 0 offset:680
	buffer_load_dword v122, off, s[0:3], 0 offset:660
	buffer_load_dword v130, off, s[0:3], 0 offset:700
	buffer_load_dword v134, off, s[0:3], 0 offset:676
	buffer_load_dword v133, off, s[0:3], 0 offset:672
	buffer_load_dword v136, off, s[0:3], 0 offset:716
	buffer_load_dword v137, off, s[0:3], 0 offset:728
	buffer_load_dword v139, off, s[0:3], 0 offset:720
	buffer_load_dword v135, off, s[0:3], 0 offset:712
	buffer_load_dword v132, off, s[0:3], 0 offset:692
	buffer_load_dword v138, off, s[0:3], 0 offset:732
	buffer_load_dword v142, off, s[0:3], 0 offset:708
	buffer_load_dword v141, off, s[0:3], 0 offset:704
	buffer_load_dword v144, off, s[0:3], 0 offset:748
	buffer_load_dword v143, off, s[0:3], 0 offset:744
	buffer_load_dword v140, off, s[0:3], 0 offset:724
	buffer_load_dword v146, off, s[0:3], 0 offset:740
	buffer_load_dword v145, off, s[0:3], 0 offset:736
	buffer_load_dword v147, off, s[0:3], 0 offset:576
	buffer_load_dword v148, off, s[0:3], 0 offset:580
	buffer_load_dword v149, off, s[0:3], 0 offset:584
	buffer_load_dword v150, off, s[0:3], 0 offset:588
	ds_read_b128 v[97:100], v1 offset:1312
	ds_read_b128 v[101:104], v1 offset:1328
	;; [unrolled: 1-line block ×3, first 2 shown]
	s_mov_b32 s4, exec_lo
	s_waitcnt vmcnt(42) lgkmcnt(2)
	v_mul_f64 v[151:152], v[99:100], v[2:3]
	v_mul_f64 v[2:3], v[97:98], v[2:3]
	s_waitcnt vmcnt(40) lgkmcnt(1)
	v_mul_f64 v[154:155], v[103:104], v[109:110]
	v_mul_f64 v[109:110], v[101:102], v[109:110]
	s_waitcnt vmcnt(38)
	v_fma_f64 v[151:152], v[97:98], v[111:112], -v[151:152]
	v_fma_f64 v[2:3], v[99:100], v[111:112], v[2:3]
	ds_read_b128 v[97:100], v1 offset:1360
	s_waitcnt vmcnt(36) lgkmcnt(1)
	v_mul_f64 v[111:112], v[105:106], v[113:114]
	v_mul_f64 v[113:114], v[107:108], v[113:114]
	s_waitcnt vmcnt(34)
	v_fma_f64 v[154:155], v[101:102], v[115:116], -v[154:155]
	v_fma_f64 v[109:110], v[103:104], v[115:116], v[109:110]
	ds_read_b128 v[101:104], v1 offset:1376
	s_waitcnt vmcnt(30) lgkmcnt(1)
	v_mul_f64 v[115:116], v[97:98], v[117:118]
	v_add_f64 v[151:152], v[151:152], 0
	v_add_f64 v[2:3], v[2:3], 0
	v_mul_f64 v[117:118], v[99:100], v[117:118]
	s_waitcnt vmcnt(28)
	v_fma_f64 v[113:114], v[105:106], v[123:124], -v[113:114]
	v_fma_f64 v[111:112], v[107:108], v[123:124], v[111:112]
	ds_read_b128 v[105:108], v1 offset:1392
	s_waitcnt vmcnt(25)
	v_fma_f64 v[115:116], v[99:100], v[125:126], v[115:116]
	v_add_f64 v[151:152], v[151:152], v[154:155]
	v_add_f64 v[2:3], v[2:3], v[109:110]
	s_waitcnt lgkmcnt(1)
	v_mul_f64 v[109:110], v[101:102], v[119:120]
	v_mul_f64 v[119:120], v[103:104], v[119:120]
	v_fma_f64 v[117:118], v[97:98], v[125:126], -v[117:118]
	s_waitcnt vmcnt(21) lgkmcnt(0)
	v_mul_f64 v[123:124], v[107:108], v[127:128]
	ds_read_b128 v[97:100], v1 offset:1408
	v_add_f64 v[113:114], v[151:152], v[113:114]
	v_add_f64 v[2:3], v[2:3], v[111:112]
	v_mul_f64 v[111:112], v[105:106], v[127:128]
	s_waitcnt vmcnt(20)
	v_fma_f64 v[119:120], v[101:102], v[121:122], -v[119:120]
	v_fma_f64 v[109:110], v[103:104], v[121:122], v[109:110]
	ds_read_b128 v[101:104], v1 offset:1424
	s_waitcnt vmcnt(17)
	v_fma_f64 v[121:122], v[105:106], v[133:134], -v[123:124]
	v_add_f64 v[113:114], v[113:114], v[117:118]
	v_add_f64 v[2:3], v[2:3], v[115:116]
	s_waitcnt lgkmcnt(1)
	v_mul_f64 v[117:118], v[99:100], v[129:130]
	v_mul_f64 v[115:116], v[97:98], v[129:130]
	v_fma_f64 v[111:112], v[107:108], v[133:134], v[111:112]
	ds_read_b128 v[105:108], v1 offset:1440
	v_add_f64 v[113:114], v[113:114], v[119:120]
	v_add_f64 v[2:3], v[2:3], v[109:110]
	s_waitcnt vmcnt(13) lgkmcnt(1)
	v_mul_f64 v[119:120], v[103:104], v[135:136]
	s_waitcnt vmcnt(12)
	v_fma_f64 v[97:98], v[97:98], v[131:132], -v[117:118]
	v_mul_f64 v[109:110], v[101:102], v[135:136]
	v_fma_f64 v[99:100], v[99:100], v[131:132], v[115:116]
	s_waitcnt vmcnt(11) lgkmcnt(0)
	v_mul_f64 v[117:118], v[107:108], v[137:138]
	v_mul_f64 v[115:116], v[105:106], v[137:138]
	v_add_f64 v[113:114], v[113:114], v[121:122]
	v_add_f64 v[111:112], v[2:3], v[111:112]
	s_waitcnt vmcnt(9)
	v_fma_f64 v[101:102], v[101:102], v[141:142], -v[119:120]
	ds_read_b128 v[1:4], v1 offset:1456
	v_fma_f64 v[103:104], v[103:104], v[141:142], v[109:110]
	s_waitcnt vmcnt(6)
	v_fma_f64 v[105:106], v[105:106], v[139:140], -v[117:118]
	v_add_f64 v[97:98], v[113:114], v[97:98]
	v_add_f64 v[99:100], v[111:112], v[99:100]
	s_waitcnt lgkmcnt(0)
	v_mul_f64 v[111:112], v[3:4], v[143:144]
	v_mul_f64 v[109:110], v[1:2], v[143:144]
	v_add_f64 v[97:98], v[97:98], v[101:102]
	v_fma_f64 v[101:102], v[107:108], v[139:140], v[115:116]
	v_add_f64 v[99:100], v[99:100], v[103:104]
	s_waitcnt vmcnt(4)
	v_fma_f64 v[1:2], v[1:2], v[145:146], -v[111:112]
	v_fma_f64 v[3:4], v[3:4], v[145:146], v[109:110]
	v_add_f64 v[97:98], v[97:98], v[105:106]
	v_add_f64 v[99:100], v[99:100], v[101:102]
	;; [unrolled: 1-line block ×4, first 2 shown]
	s_waitcnt vmcnt(2)
	v_add_f64 v[1:2], v[147:148], -v[1:2]
	s_waitcnt vmcnt(0)
	v_add_f64 v[3:4], v[149:150], -v[3:4]
	buffer_store_dword v2, off, s[0:3], 0 offset:580
	buffer_store_dword v1, off, s[0:3], 0 offset:576
	;; [unrolled: 1-line block ×4, first 2 shown]
	v_cmpx_lt_u32_e32 34, v0
	s_cbranch_execz .LBB109_221
; %bb.220:
	v_mov_b32_e32 v4, s23
	v_mov_b32_e32 v97, 0
	s_clause 0x3
	buffer_load_dword v1, v4, s[0:3], 0 offen
	buffer_load_dword v2, v4, s[0:3], 0 offen offset:4
	buffer_load_dword v3, v4, s[0:3], 0 offen offset:8
	;; [unrolled: 1-line block ×3, first 2 shown]
	buffer_store_dword v97, off, s[0:3], 0 offset:560
	buffer_store_dword v97, off, s[0:3], 0 offset:564
	;; [unrolled: 1-line block ×4, first 2 shown]
	s_waitcnt vmcnt(0)
	ds_write_b128 v153, v[1:4]
.LBB109_221:
	s_or_b32 exec_lo, exec_lo, s4
	s_waitcnt lgkmcnt(0)
	s_waitcnt_vscnt null, 0x0
	s_barrier
	buffer_gl0_inv
	s_clause 0x2f
	buffer_load_dword v2, off, s[0:3], 0 offset:584
	buffer_load_dword v3, off, s[0:3], 0 offset:588
	;; [unrolled: 1-line block ×48, first 2 shown]
	v_mov_b32_e32 v1, 0
	s_mov_b32 s4, exec_lo
	ds_read_b128 v[97:100], v1 offset:1296
	ds_read_b128 v[101:104], v1 offset:1312
	;; [unrolled: 1-line block ×3, first 2 shown]
	s_waitcnt vmcnt(46) lgkmcnt(2)
	v_mul_f64 v[156:157], v[99:100], v[2:3]
	v_mul_f64 v[2:3], v[97:98], v[2:3]
	s_waitcnt vmcnt(44) lgkmcnt(1)
	v_mul_f64 v[158:159], v[103:104], v[109:110]
	v_mul_f64 v[109:110], v[101:102], v[109:110]
	s_waitcnt vmcnt(42)
	v_fma_f64 v[156:157], v[97:98], v[111:112], -v[156:157]
	v_fma_f64 v[2:3], v[99:100], v[111:112], v[2:3]
	ds_read_b128 v[97:100], v1 offset:1344
	s_waitcnt vmcnt(40) lgkmcnt(1)
	v_mul_f64 v[111:112], v[105:106], v[113:114]
	v_mul_f64 v[113:114], v[107:108], v[113:114]
	s_waitcnt vmcnt(38)
	v_fma_f64 v[158:159], v[101:102], v[115:116], -v[158:159]
	v_fma_f64 v[109:110], v[103:104], v[115:116], v[109:110]
	ds_read_b128 v[101:104], v1 offset:1360
	s_waitcnt vmcnt(36) lgkmcnt(1)
	v_mul_f64 v[115:116], v[97:98], v[117:118]
	v_add_f64 v[156:157], v[156:157], 0
	v_add_f64 v[2:3], v[2:3], 0
	v_mul_f64 v[117:118], v[99:100], v[117:118]
	s_waitcnt vmcnt(34)
	v_fma_f64 v[113:114], v[105:106], v[119:120], -v[113:114]
	v_fma_f64 v[111:112], v[107:108], v[119:120], v[111:112]
	ds_read_b128 v[105:108], v1 offset:1376
	s_waitcnt vmcnt(32) lgkmcnt(1)
	v_mul_f64 v[119:120], v[103:104], v[121:122]
	s_waitcnt vmcnt(30)
	v_fma_f64 v[115:116], v[99:100], v[123:124], v[115:116]
	v_add_f64 v[156:157], v[156:157], v[158:159]
	v_add_f64 v[2:3], v[2:3], v[109:110]
	v_fma_f64 v[117:118], v[97:98], v[123:124], -v[117:118]
	v_mul_f64 v[109:110], v[101:102], v[121:122]
	s_waitcnt vmcnt(28) lgkmcnt(0)
	v_mul_f64 v[121:122], v[107:108], v[125:126]
	ds_read_b128 v[97:100], v1 offset:1392
	s_waitcnt vmcnt(26)
	v_fma_f64 v[119:120], v[101:102], v[127:128], -v[119:120]
	v_add_f64 v[113:114], v[156:157], v[113:114]
	v_add_f64 v[2:3], v[2:3], v[111:112]
	v_mul_f64 v[111:112], v[105:106], v[125:126]
	v_fma_f64 v[109:110], v[103:104], v[127:128], v[109:110]
	ds_read_b128 v[101:104], v1 offset:1408
	s_waitcnt vmcnt(22)
	v_fma_f64 v[121:122], v[105:106], v[131:132], -v[121:122]
	v_add_f64 v[113:114], v[113:114], v[117:118]
	v_add_f64 v[2:3], v[2:3], v[115:116]
	s_waitcnt lgkmcnt(1)
	v_mul_f64 v[117:118], v[99:100], v[129:130]
	v_mul_f64 v[115:116], v[97:98], v[129:130]
	v_fma_f64 v[111:112], v[107:108], v[131:132], v[111:112]
	ds_read_b128 v[105:108], v1 offset:1424
	v_add_f64 v[113:114], v[113:114], v[119:120]
	v_add_f64 v[2:3], v[2:3], v[109:110]
	s_waitcnt vmcnt(20) lgkmcnt(1)
	v_mul_f64 v[119:120], v[103:104], v[133:134]
	s_waitcnt vmcnt(18)
	v_fma_f64 v[117:118], v[97:98], v[135:136], -v[117:118]
	v_mul_f64 v[109:110], v[101:102], v[133:134]
	v_fma_f64 v[115:116], v[99:100], v[135:136], v[115:116]
	ds_read_b128 v[97:100], v1 offset:1440
	v_add_f64 v[113:114], v[113:114], v[121:122]
	v_add_f64 v[2:3], v[2:3], v[111:112]
	s_waitcnt vmcnt(16) lgkmcnt(1)
	v_mul_f64 v[121:122], v[107:108], v[137:138]
	s_waitcnt vmcnt(14)
	v_fma_f64 v[119:120], v[101:102], v[139:140], -v[119:120]
	;; [unrolled: 9-line block ×3, first 2 shown]
	v_mul_f64 v[115:116], v[97:98], v[141:142]
	v_fma_f64 v[107:108], v[107:108], v[143:144], v[111:112]
	s_waitcnt vmcnt(8) lgkmcnt(0)
	v_mul_f64 v[111:112], v[103:104], v[145:146]
	v_add_f64 v[113:114], v[113:114], v[119:120]
	v_add_f64 v[2:3], v[2:3], v[109:110]
	s_waitcnt vmcnt(6)
	v_fma_f64 v[97:98], v[97:98], v[147:148], -v[117:118]
	v_mul_f64 v[109:110], v[101:102], v[145:146]
	v_fma_f64 v[99:100], v[99:100], v[147:148], v[115:116]
	s_waitcnt vmcnt(4)
	v_fma_f64 v[101:102], v[101:102], v[149:150], -v[111:112]
	v_add_f64 v[105:106], v[113:114], v[105:106]
	v_add_f64 v[2:3], v[2:3], v[107:108]
	v_fma_f64 v[103:104], v[103:104], v[149:150], v[109:110]
	v_add_f64 v[97:98], v[105:106], v[97:98]
	v_add_f64 v[2:3], v[2:3], v[99:100]
	;; [unrolled: 1-line block ×4, first 2 shown]
	s_waitcnt vmcnt(2)
	v_add_f64 v[97:98], v[151:152], -v[97:98]
	s_waitcnt vmcnt(0)
	v_add_f64 v[2:3], v[154:155], -v[2:3]
	buffer_store_dword v98, off, s[0:3], 0 offset:564
	buffer_store_dword v97, off, s[0:3], 0 offset:560
	;; [unrolled: 1-line block ×4, first 2 shown]
	v_cmpx_lt_u32_e32 33, v0
	s_cbranch_execz .LBB109_223
; %bb.222:
	v_mov_b32_e32 v2, s24
	s_clause 0x3
	buffer_load_dword v97, v2, s[0:3], 0 offen
	buffer_load_dword v98, v2, s[0:3], 0 offen offset:4
	buffer_load_dword v99, v2, s[0:3], 0 offen offset:8
	;; [unrolled: 1-line block ×3, first 2 shown]
	buffer_store_dword v1, off, s[0:3], 0 offset:544
	buffer_store_dword v1, off, s[0:3], 0 offset:548
	;; [unrolled: 1-line block ×4, first 2 shown]
	s_waitcnt vmcnt(0)
	ds_write_b128 v153, v[97:100]
.LBB109_223:
	s_or_b32 exec_lo, exec_lo, s4
	s_waitcnt lgkmcnt(0)
	s_waitcnt_vscnt null, 0x0
	s_barrier
	buffer_gl0_inv
	s_clause 0x2f
	buffer_load_dword v2, off, s[0:3], 0 offset:568
	buffer_load_dword v3, off, s[0:3], 0 offset:572
	;; [unrolled: 1-line block ×48, first 2 shown]
	ds_read_b128 v[97:100], v1 offset:1280
	s_clause 0x3
	buffer_load_dword v156, off, s[0:3], 0 offset:544
	buffer_load_dword v157, off, s[0:3], 0 offset:548
	;; [unrolled: 1-line block ×4, first 2 shown]
	ds_read_b128 v[101:104], v1 offset:1296
	ds_read_b128 v[105:108], v1 offset:1312
	s_mov_b32 s4, exec_lo
	s_waitcnt vmcnt(50) lgkmcnt(2)
	v_mul_f64 v[160:161], v[99:100], v[2:3]
	v_mul_f64 v[2:3], v[97:98], v[2:3]
	s_waitcnt vmcnt(48) lgkmcnt(1)
	v_mul_f64 v[162:163], v[103:104], v[109:110]
	v_mul_f64 v[109:110], v[101:102], v[109:110]
	s_waitcnt vmcnt(46)
	v_fma_f64 v[160:161], v[97:98], v[111:112], -v[160:161]
	v_fma_f64 v[2:3], v[99:100], v[111:112], v[2:3]
	s_waitcnt vmcnt(44) lgkmcnt(0)
	v_mul_f64 v[111:112], v[105:106], v[113:114]
	v_mul_f64 v[113:114], v[107:108], v[113:114]
	s_waitcnt vmcnt(42)
	v_fma_f64 v[162:163], v[101:102], v[115:116], -v[162:163]
	ds_read_b128 v[97:100], v1 offset:1328
	v_fma_f64 v[109:110], v[103:104], v[115:116], v[109:110]
	ds_read_b128 v[101:104], v1 offset:1344
	v_add_f64 v[160:161], v[160:161], 0
	v_add_f64 v[2:3], v[2:3], 0
	s_waitcnt vmcnt(36)
	v_fma_f64 v[111:112], v[107:108], v[123:124], v[111:112]
	s_waitcnt lgkmcnt(1)
	v_mul_f64 v[115:116], v[97:98], v[117:118]
	v_mul_f64 v[117:118], v[99:100], v[117:118]
	v_fma_f64 v[113:114], v[105:106], v[123:124], -v[113:114]
	ds_read_b128 v[105:108], v1 offset:1360
	v_add_f64 v[160:161], v[160:161], v[162:163]
	v_add_f64 v[2:3], v[2:3], v[109:110]
	s_waitcnt vmcnt(35) lgkmcnt(1)
	v_mul_f64 v[109:110], v[101:102], v[119:120]
	v_mul_f64 v[119:120], v[103:104], v[119:120]
	s_waitcnt vmcnt(33)
	v_fma_f64 v[117:118], v[97:98], v[125:126], -v[117:118]
	v_fma_f64 v[115:116], v[99:100], v[125:126], v[115:116]
	ds_read_b128 v[97:100], v1 offset:1376
	s_waitcnt vmcnt(29) lgkmcnt(1)
	v_mul_f64 v[123:124], v[107:108], v[127:128]
	v_add_f64 v[113:114], v[160:161], v[113:114]
	v_add_f64 v[2:3], v[2:3], v[111:112]
	v_mul_f64 v[111:112], v[105:106], v[127:128]
	s_waitcnt vmcnt(28)
	v_fma_f64 v[119:120], v[101:102], v[121:122], -v[119:120]
	v_fma_f64 v[109:110], v[103:104], v[121:122], v[109:110]
	ds_read_b128 v[101:104], v1 offset:1392
	s_waitcnt vmcnt(25)
	v_fma_f64 v[121:122], v[105:106], v[133:134], -v[123:124]
	v_add_f64 v[113:114], v[113:114], v[117:118]
	v_add_f64 v[2:3], v[2:3], v[115:116]
	s_waitcnt lgkmcnt(1)
	v_mul_f64 v[117:118], v[99:100], v[129:130]
	v_mul_f64 v[115:116], v[97:98], v[129:130]
	v_fma_f64 v[111:112], v[107:108], v[133:134], v[111:112]
	ds_read_b128 v[105:108], v1 offset:1408
	v_add_f64 v[113:114], v[113:114], v[119:120]
	v_add_f64 v[2:3], v[2:3], v[109:110]
	s_waitcnt vmcnt(21) lgkmcnt(1)
	v_mul_f64 v[119:120], v[103:104], v[135:136]
	s_waitcnt vmcnt(20)
	v_fma_f64 v[117:118], v[97:98], v[131:132], -v[117:118]
	v_mul_f64 v[109:110], v[101:102], v[135:136]
	v_fma_f64 v[115:116], v[99:100], v[131:132], v[115:116]
	ds_read_b128 v[97:100], v1 offset:1424
	v_add_f64 v[113:114], v[113:114], v[121:122]
	v_add_f64 v[2:3], v[2:3], v[111:112]
	s_waitcnt vmcnt(19) lgkmcnt(1)
	v_mul_f64 v[121:122], v[107:108], v[137:138]
	s_waitcnt vmcnt(17)
	v_fma_f64 v[119:120], v[101:102], v[141:142], -v[119:120]
	;; [unrolled: 9-line block ×3, first 2 shown]
	v_mul_f64 v[115:116], v[97:98], v[143:144]
	v_fma_f64 v[107:108], v[107:108], v[139:140], v[111:112]
	s_waitcnt vmcnt(11) lgkmcnt(0)
	v_mul_f64 v[111:112], v[101:102], v[145:146]
	v_add_f64 v[113:114], v[113:114], v[119:120]
	v_add_f64 v[109:110], v[2:3], v[109:110]
	v_mul_f64 v[119:120], v[103:104], v[145:146]
	s_waitcnt vmcnt(9)
	v_fma_f64 v[97:98], v[97:98], v[149:150], -v[117:118]
	ds_read_b128 v[1:4], v1 offset:1456
	v_fma_f64 v[99:100], v[99:100], v[149:150], v[115:116]
	s_waitcnt vmcnt(6)
	v_fma_f64 v[103:104], v[103:104], v[147:148], v[111:112]
	v_add_f64 v[105:106], v[113:114], v[105:106]
	v_add_f64 v[107:108], v[109:110], v[107:108]
	s_waitcnt lgkmcnt(0)
	v_mul_f64 v[113:114], v[3:4], v[151:152]
	v_fma_f64 v[101:102], v[101:102], v[147:148], -v[119:120]
	v_mul_f64 v[109:110], v[1:2], v[151:152]
	v_add_f64 v[97:98], v[105:106], v[97:98]
	v_add_f64 v[99:100], v[107:108], v[99:100]
	s_waitcnt vmcnt(4)
	v_fma_f64 v[1:2], v[1:2], v[154:155], -v[113:114]
	v_fma_f64 v[3:4], v[3:4], v[154:155], v[109:110]
	v_add_f64 v[97:98], v[97:98], v[101:102]
	v_add_f64 v[99:100], v[99:100], v[103:104]
	;; [unrolled: 1-line block ×4, first 2 shown]
	s_waitcnt vmcnt(2)
	v_add_f64 v[1:2], v[156:157], -v[1:2]
	s_waitcnt vmcnt(0)
	v_add_f64 v[3:4], v[158:159], -v[3:4]
	buffer_store_dword v2, off, s[0:3], 0 offset:548
	buffer_store_dword v1, off, s[0:3], 0 offset:544
	;; [unrolled: 1-line block ×4, first 2 shown]
	v_cmpx_lt_u32_e32 32, v0
	s_cbranch_execz .LBB109_225
; %bb.224:
	v_mov_b32_e32 v4, s25
	v_mov_b32_e32 v97, 0
	s_clause 0x3
	buffer_load_dword v1, v4, s[0:3], 0 offen
	buffer_load_dword v2, v4, s[0:3], 0 offen offset:4
	buffer_load_dword v3, v4, s[0:3], 0 offen offset:8
	;; [unrolled: 1-line block ×3, first 2 shown]
	buffer_store_dword v97, off, s[0:3], 0 offset:528
	buffer_store_dword v97, off, s[0:3], 0 offset:532
	;; [unrolled: 1-line block ×4, first 2 shown]
	s_waitcnt vmcnt(0)
	ds_write_b128 v153, v[1:4]
.LBB109_225:
	s_or_b32 exec_lo, exec_lo, s4
	s_waitcnt lgkmcnt(0)
	s_waitcnt_vscnt null, 0x0
	s_barrier
	buffer_gl0_inv
	s_clause 0x33
	buffer_load_dword v2, off, s[0:3], 0 offset:552
	buffer_load_dword v3, off, s[0:3], 0 offset:556
	;; [unrolled: 1-line block ×52, first 2 shown]
	v_mov_b32_e32 v1, 0
	ds_read_b128 v[97:100], v1 offset:1264
	ds_read_b128 v[101:104], v1 offset:1280
	s_clause 0x3
	buffer_load_dword v162, off, s[0:3], 0 offset:528
	buffer_load_dword v163, off, s[0:3], 0 offset:532
	buffer_load_dword v164, off, s[0:3], 0 offset:536
	buffer_load_dword v165, off, s[0:3], 0 offset:540
	ds_read_b128 v[105:108], v1 offset:1296
	s_mov_b32 s4, exec_lo
	s_waitcnt vmcnt(54) lgkmcnt(2)
	v_mul_f64 v[160:161], v[99:100], v[2:3]
	v_mul_f64 v[2:3], v[97:98], v[2:3]
	s_waitcnt vmcnt(52) lgkmcnt(1)
	v_mul_f64 v[166:167], v[103:104], v[109:110]
	v_mul_f64 v[109:110], v[101:102], v[109:110]
	s_waitcnt vmcnt(50)
	v_fma_f64 v[160:161], v[97:98], v[111:112], -v[160:161]
	v_fma_f64 v[2:3], v[99:100], v[111:112], v[2:3]
	ds_read_b128 v[97:100], v1 offset:1312
	s_waitcnt vmcnt(48) lgkmcnt(1)
	v_mul_f64 v[111:112], v[105:106], v[113:114]
	v_mul_f64 v[113:114], v[107:108], v[113:114]
	s_waitcnt vmcnt(46)
	v_fma_f64 v[166:167], v[101:102], v[115:116], -v[166:167]
	v_fma_f64 v[109:110], v[103:104], v[115:116], v[109:110]
	ds_read_b128 v[101:104], v1 offset:1328
	s_waitcnt vmcnt(42) lgkmcnt(1)
	v_mul_f64 v[115:116], v[97:98], v[117:118]
	v_add_f64 v[160:161], v[160:161], 0
	v_add_f64 v[2:3], v[2:3], 0
	v_mul_f64 v[117:118], v[99:100], v[117:118]
	s_waitcnt vmcnt(40)
	v_fma_f64 v[113:114], v[105:106], v[123:124], -v[113:114]
	v_fma_f64 v[111:112], v[107:108], v[123:124], v[111:112]
	ds_read_b128 v[105:108], v1 offset:1344
	s_waitcnt vmcnt(37)
	v_fma_f64 v[115:116], v[99:100], v[125:126], v[115:116]
	v_add_f64 v[160:161], v[160:161], v[166:167]
	v_add_f64 v[2:3], v[2:3], v[109:110]
	s_waitcnt lgkmcnt(1)
	v_mul_f64 v[109:110], v[101:102], v[119:120]
	v_mul_f64 v[119:120], v[103:104], v[119:120]
	v_fma_f64 v[117:118], v[97:98], v[125:126], -v[117:118]
	s_waitcnt vmcnt(33) lgkmcnt(0)
	v_mul_f64 v[123:124], v[107:108], v[127:128]
	ds_read_b128 v[97:100], v1 offset:1360
	v_add_f64 v[113:114], v[160:161], v[113:114]
	v_add_f64 v[2:3], v[2:3], v[111:112]
	v_mul_f64 v[111:112], v[105:106], v[127:128]
	s_waitcnt vmcnt(32)
	v_fma_f64 v[119:120], v[101:102], v[121:122], -v[119:120]
	v_fma_f64 v[109:110], v[103:104], v[121:122], v[109:110]
	ds_read_b128 v[101:104], v1 offset:1376
	s_waitcnt vmcnt(29)
	v_fma_f64 v[121:122], v[105:106], v[133:134], -v[123:124]
	v_add_f64 v[113:114], v[113:114], v[117:118]
	v_add_f64 v[2:3], v[2:3], v[115:116]
	s_waitcnt lgkmcnt(1)
	v_mul_f64 v[117:118], v[99:100], v[129:130]
	v_mul_f64 v[115:116], v[97:98], v[129:130]
	v_fma_f64 v[111:112], v[107:108], v[133:134], v[111:112]
	ds_read_b128 v[105:108], v1 offset:1392
	v_add_f64 v[113:114], v[113:114], v[119:120]
	v_add_f64 v[2:3], v[2:3], v[109:110]
	s_waitcnt vmcnt(25) lgkmcnt(1)
	v_mul_f64 v[119:120], v[103:104], v[135:136]
	s_waitcnt vmcnt(24)
	v_fma_f64 v[117:118], v[97:98], v[131:132], -v[117:118]
	v_mul_f64 v[109:110], v[101:102], v[135:136]
	v_fma_f64 v[115:116], v[99:100], v[131:132], v[115:116]
	ds_read_b128 v[97:100], v1 offset:1408
	v_add_f64 v[113:114], v[113:114], v[121:122]
	v_add_f64 v[2:3], v[2:3], v[111:112]
	s_waitcnt vmcnt(23) lgkmcnt(1)
	v_mul_f64 v[121:122], v[107:108], v[137:138]
	s_waitcnt vmcnt(21)
	v_fma_f64 v[119:120], v[101:102], v[141:142], -v[119:120]
	v_mul_f64 v[111:112], v[105:106], v[137:138]
	v_fma_f64 v[109:110], v[103:104], v[141:142], v[109:110]
	ds_read_b128 v[101:104], v1 offset:1424
	v_add_f64 v[113:114], v[113:114], v[117:118]
	v_add_f64 v[2:3], v[2:3], v[115:116]
	s_waitcnt vmcnt(17) lgkmcnt(1)
	v_mul_f64 v[117:118], v[99:100], v[143:144]
	s_waitcnt vmcnt(16)
	v_fma_f64 v[121:122], v[105:106], v[139:140], -v[121:122]
	v_mul_f64 v[115:116], v[97:98], v[143:144]
	v_fma_f64 v[111:112], v[107:108], v[139:140], v[111:112]
	ds_read_b128 v[105:108], v1 offset:1440
	v_add_f64 v[113:114], v[113:114], v[119:120]
	v_add_f64 v[2:3], v[2:3], v[109:110]
	s_waitcnt vmcnt(15) lgkmcnt(1)
	v_mul_f64 v[119:120], v[103:104], v[145:146]
	s_waitcnt vmcnt(13)
	v_fma_f64 v[117:118], v[97:98], v[149:150], -v[117:118]
	v_mul_f64 v[109:110], v[101:102], v[145:146]
	v_fma_f64 v[115:116], v[99:100], v[149:150], v[115:116]
	ds_read_b128 v[97:100], v1 offset:1456
	v_add_f64 v[113:114], v[113:114], v[121:122]
	v_add_f64 v[2:3], v[2:3], v[111:112]
	s_waitcnt vmcnt(9) lgkmcnt(1)
	v_mul_f64 v[121:122], v[107:108], v[151:152]
	s_waitcnt vmcnt(8)
	v_fma_f64 v[101:102], v[101:102], v[147:148], -v[119:120]
	v_mul_f64 v[111:112], v[105:106], v[151:152]
	v_fma_f64 v[103:104], v[103:104], v[147:148], v[109:110]
	s_waitcnt vmcnt(7) lgkmcnt(0)
	v_mul_f64 v[109:110], v[97:98], v[154:155]
	v_add_f64 v[113:114], v[113:114], v[117:118]
	v_add_f64 v[2:3], v[2:3], v[115:116]
	v_mul_f64 v[115:116], v[99:100], v[154:155]
	s_waitcnt vmcnt(5)
	v_fma_f64 v[105:106], v[105:106], v[158:159], -v[121:122]
	v_fma_f64 v[107:108], v[107:108], v[158:159], v[111:112]
	s_waitcnt vmcnt(4)
	v_fma_f64 v[99:100], v[99:100], v[156:157], v[109:110]
	v_add_f64 v[101:102], v[113:114], v[101:102]
	v_add_f64 v[2:3], v[2:3], v[103:104]
	v_fma_f64 v[97:98], v[97:98], v[156:157], -v[115:116]
	v_add_f64 v[101:102], v[101:102], v[105:106]
	v_add_f64 v[2:3], v[2:3], v[107:108]
	;; [unrolled: 1-line block ×4, first 2 shown]
	s_waitcnt vmcnt(2)
	v_add_f64 v[97:98], v[162:163], -v[97:98]
	s_waitcnt vmcnt(0)
	v_add_f64 v[2:3], v[164:165], -v[2:3]
	buffer_store_dword v98, off, s[0:3], 0 offset:532
	buffer_store_dword v97, off, s[0:3], 0 offset:528
	;; [unrolled: 1-line block ×4, first 2 shown]
	v_cmpx_lt_u32_e32 31, v0
	s_cbranch_execz .LBB109_227
; %bb.226:
	v_mov_b32_e32 v2, s26
	s_clause 0x3
	buffer_load_dword v97, v2, s[0:3], 0 offen
	buffer_load_dword v98, v2, s[0:3], 0 offen offset:4
	buffer_load_dword v99, v2, s[0:3], 0 offen offset:8
	;; [unrolled: 1-line block ×3, first 2 shown]
	buffer_store_dword v1, off, s[0:3], 0 offset:512
	buffer_store_dword v1, off, s[0:3], 0 offset:516
	;; [unrolled: 1-line block ×4, first 2 shown]
	s_waitcnt vmcnt(0)
	ds_write_b128 v153, v[97:100]
.LBB109_227:
	s_or_b32 exec_lo, exec_lo, s4
	s_waitcnt lgkmcnt(0)
	s_waitcnt_vscnt null, 0x0
	s_barrier
	buffer_gl0_inv
	s_clause 0x35
	buffer_load_dword v2, off, s[0:3], 0 offset:536
	buffer_load_dword v3, off, s[0:3], 0 offset:540
	;; [unrolled: 1-line block ×54, first 2 shown]
	ds_read_b128 v[97:100], v1 offset:1248
	s_clause 0x1
	buffer_load_dword v163, off, s[0:3], 0 offset:740
	buffer_load_dword v162, off, s[0:3], 0 offset:736
	ds_read_b128 v[101:104], v1 offset:1264
	ds_read_b128 v[105:108], v1 offset:1280
	s_mov_b32 s4, exec_lo
	s_waitcnt vmcnt(54) lgkmcnt(2)
	v_mul_f64 v[164:165], v[99:100], v[2:3]
	v_mul_f64 v[2:3], v[97:98], v[2:3]
	s_waitcnt vmcnt(52) lgkmcnt(1)
	v_mul_f64 v[166:167], v[103:104], v[109:110]
	v_mul_f64 v[109:110], v[101:102], v[109:110]
	;; [unrolled: 3-line block ×3, first 2 shown]
	v_fma_f64 v[164:165], v[97:98], v[111:112], -v[164:165]
	v_fma_f64 v[2:3], v[99:100], v[111:112], v[2:3]
	s_clause 0x3
	buffer_load_dword v111, off, s[0:3], 0 offset:512
	buffer_load_dword v112, off, s[0:3], 0 offset:516
	;; [unrolled: 1-line block ×4, first 2 shown]
	s_waitcnt vmcnt(50)
	v_fma_f64 v[166:167], v[101:102], v[115:116], -v[166:167]
	ds_read_b128 v[97:100], v1 offset:1296
	v_fma_f64 v[109:110], v[103:104], v[115:116], v[109:110]
	ds_read_b128 v[101:104], v1 offset:1312
	s_waitcnt vmcnt(44)
	v_fma_f64 v[113:114], v[105:106], v[123:124], -v[113:114]
	v_fma_f64 v[123:124], v[107:108], v[123:124], v[170:171]
	ds_read_b128 v[105:108], v1 offset:1328
	v_add_f64 v[164:165], v[164:165], 0
	v_add_f64 v[2:3], v[2:3], 0
	s_waitcnt lgkmcnt(2)
	v_mul_f64 v[115:116], v[97:98], v[117:118]
	v_mul_f64 v[117:118], v[99:100], v[117:118]
	v_add_f64 v[164:165], v[164:165], v[166:167]
	v_add_f64 v[2:3], v[2:3], v[109:110]
	s_waitcnt vmcnt(43) lgkmcnt(1)
	v_mul_f64 v[109:110], v[101:102], v[119:120]
	v_mul_f64 v[119:120], v[103:104], v[119:120]
	s_waitcnt vmcnt(41)
	v_fma_f64 v[117:118], v[97:98], v[125:126], -v[117:118]
	v_fma_f64 v[115:116], v[99:100], v[125:126], v[115:116]
	ds_read_b128 v[97:100], v1 offset:1344
	s_waitcnt vmcnt(37) lgkmcnt(1)
	v_mul_f64 v[125:126], v[107:108], v[127:128]
	v_add_f64 v[113:114], v[164:165], v[113:114]
	v_add_f64 v[2:3], v[2:3], v[123:124]
	v_mul_f64 v[123:124], v[105:106], v[127:128]
	s_waitcnt vmcnt(36)
	v_fma_f64 v[119:120], v[101:102], v[121:122], -v[119:120]
	v_fma_f64 v[109:110], v[103:104], v[121:122], v[109:110]
	ds_read_b128 v[101:104], v1 offset:1360
	s_waitcnt vmcnt(33)
	v_fma_f64 v[121:122], v[105:106], v[133:134], -v[125:126]
	v_add_f64 v[113:114], v[113:114], v[117:118]
	v_add_f64 v[2:3], v[2:3], v[115:116]
	s_waitcnt lgkmcnt(1)
	v_mul_f64 v[117:118], v[99:100], v[129:130]
	v_mul_f64 v[115:116], v[97:98], v[129:130]
	v_add_f64 v[113:114], v[113:114], v[119:120]
	v_fma_f64 v[119:120], v[107:108], v[133:134], v[123:124]
	v_add_f64 v[2:3], v[2:3], v[109:110]
	ds_read_b128 v[105:108], v1 offset:1376
	s_waitcnt vmcnt(29) lgkmcnt(1)
	v_mul_f64 v[123:124], v[103:104], v[135:136]
	s_waitcnt vmcnt(28)
	v_fma_f64 v[117:118], v[97:98], v[131:132], -v[117:118]
	v_mul_f64 v[109:110], v[101:102], v[135:136]
	v_fma_f64 v[115:116], v[99:100], v[131:132], v[115:116]
	ds_read_b128 v[97:100], v1 offset:1392
	v_add_f64 v[113:114], v[113:114], v[121:122]
	s_waitcnt vmcnt(27) lgkmcnt(1)
	v_mul_f64 v[121:122], v[107:108], v[137:138]
	v_add_f64 v[2:3], v[2:3], v[119:120]
	v_mul_f64 v[119:120], v[105:106], v[137:138]
	s_waitcnt vmcnt(25)
	v_fma_f64 v[123:124], v[101:102], v[141:142], -v[123:124]
	v_fma_f64 v[109:110], v[103:104], v[141:142], v[109:110]
	ds_read_b128 v[101:104], v1 offset:1408
	v_add_f64 v[113:114], v[113:114], v[117:118]
	s_waitcnt vmcnt(21) lgkmcnt(1)
	v_mul_f64 v[117:118], v[99:100], v[143:144]
	v_add_f64 v[2:3], v[2:3], v[115:116]
	s_waitcnt vmcnt(20)
	v_fma_f64 v[121:122], v[105:106], v[139:140], -v[121:122]
	v_mul_f64 v[115:116], v[97:98], v[143:144]
	v_fma_f64 v[119:120], v[107:108], v[139:140], v[119:120]
	ds_read_b128 v[105:108], v1 offset:1424
	v_add_f64 v[113:114], v[113:114], v[123:124]
	s_waitcnt vmcnt(19) lgkmcnt(1)
	v_mul_f64 v[123:124], v[103:104], v[145:146]
	v_add_f64 v[2:3], v[2:3], v[109:110]
	s_waitcnt vmcnt(17)
	v_fma_f64 v[117:118], v[97:98], v[149:150], -v[117:118]
	v_mul_f64 v[109:110], v[101:102], v[145:146]
	;; [unrolled: 9-line block ×3, first 2 shown]
	v_fma_f64 v[103:104], v[103:104], v[147:148], v[109:110]
	v_add_f64 v[113:114], v[113:114], v[117:118]
	s_waitcnt vmcnt(11) lgkmcnt(0)
	v_mul_f64 v[117:118], v[99:100], v[154:155]
	v_add_f64 v[109:110], v[2:3], v[115:116]
	s_waitcnt vmcnt(9)
	v_fma_f64 v[105:106], v[105:106], v[158:159], -v[121:122]
	ds_read_b128 v[1:4], v1 offset:1456
	v_mul_f64 v[115:116], v[97:98], v[154:155]
	v_fma_f64 v[107:108], v[107:108], v[158:159], v[119:120]
	v_add_f64 v[101:102], v[113:114], v[101:102]
	s_waitcnt vmcnt(6)
	v_fma_f64 v[97:98], v[97:98], v[156:157], -v[117:118]
	v_add_f64 v[103:104], v[109:110], v[103:104]
	s_waitcnt lgkmcnt(0)
	v_mul_f64 v[113:114], v[3:4], v[160:161]
	v_mul_f64 v[109:110], v[1:2], v[160:161]
	v_fma_f64 v[99:100], v[99:100], v[156:157], v[115:116]
	v_add_f64 v[101:102], v[101:102], v[105:106]
	v_add_f64 v[103:104], v[103:104], v[107:108]
	s_waitcnt vmcnt(4)
	v_fma_f64 v[1:2], v[1:2], v[162:163], -v[113:114]
	v_fma_f64 v[3:4], v[3:4], v[162:163], v[109:110]
	v_add_f64 v[97:98], v[101:102], v[97:98]
	v_add_f64 v[99:100], v[103:104], v[99:100]
	;; [unrolled: 1-line block ×4, first 2 shown]
	s_waitcnt vmcnt(2)
	v_add_f64 v[1:2], v[111:112], -v[1:2]
	s_waitcnt vmcnt(0)
	v_add_f64 v[3:4], v[168:169], -v[3:4]
	buffer_store_dword v2, off, s[0:3], 0 offset:516
	buffer_store_dword v1, off, s[0:3], 0 offset:512
	;; [unrolled: 1-line block ×4, first 2 shown]
	v_cmpx_lt_u32_e32 30, v0
	s_cbranch_execz .LBB109_229
; %bb.228:
	v_mov_b32_e32 v4, s27
	v_mov_b32_e32 v97, 0
	s_clause 0x3
	buffer_load_dword v1, v4, s[0:3], 0 offen
	buffer_load_dword v2, v4, s[0:3], 0 offen offset:4
	buffer_load_dword v3, v4, s[0:3], 0 offen offset:8
	;; [unrolled: 1-line block ×3, first 2 shown]
	buffer_store_dword v97, off, s[0:3], 0 offset:496
	buffer_store_dword v97, off, s[0:3], 0 offset:500
	;; [unrolled: 1-line block ×4, first 2 shown]
	s_waitcnt vmcnt(0)
	ds_write_b128 v153, v[1:4]
.LBB109_229:
	s_or_b32 exec_lo, exec_lo, s4
	s_waitcnt lgkmcnt(0)
	s_waitcnt_vscnt null, 0x0
	s_barrier
	buffer_gl0_inv
	s_clause 0x37
	buffer_load_dword v2, off, s[0:3], 0 offset:520
	buffer_load_dword v3, off, s[0:3], 0 offset:524
	;; [unrolled: 1-line block ×56, first 2 shown]
	v_mov_b32_e32 v1, 0
	s_mov_b32 s4, exec_lo
	ds_read_b128 v[97:100], v1 offset:1232
	s_clause 0x2
	buffer_load_dword v163, off, s[0:3], 0 offset:748
	buffer_load_dword v167, off, s[0:3], 0 offset:724
	;; [unrolled: 1-line block ×3, first 2 shown]
	ds_read_b128 v[101:104], v1 offset:1248
	ds_read_b128 v[105:108], v1 offset:1264
	buffer_load_dword v165, off, s[0:3], 0 offset:740
	s_waitcnt vmcnt(58) lgkmcnt(2)
	v_mul_f64 v[168:169], v[99:100], v[2:3]
	v_mul_f64 v[2:3], v[97:98], v[2:3]
	s_waitcnt vmcnt(56) lgkmcnt(1)
	v_mul_f64 v[170:171], v[103:104], v[109:110]
	v_mul_f64 v[109:110], v[101:102], v[109:110]
	s_waitcnt vmcnt(54)
	v_fma_f64 v[168:169], v[97:98], v[111:112], -v[168:169]
	v_fma_f64 v[2:3], v[99:100], v[111:112], v[2:3]
	s_waitcnt vmcnt(52) lgkmcnt(0)
	v_mul_f64 v[111:112], v[105:106], v[113:114]
	v_mul_f64 v[113:114], v[107:108], v[113:114]
	s_waitcnt vmcnt(50)
	v_fma_f64 v[170:171], v[101:102], v[115:116], -v[170:171]
	ds_read_b128 v[97:100], v1 offset:1280
	v_fma_f64 v[109:110], v[103:104], v[115:116], v[109:110]
	s_clause 0x3
	buffer_load_dword v115, off, s[0:3], 0 offset:496
	buffer_load_dword v116, off, s[0:3], 0 offset:500
	;; [unrolled: 1-line block ×4, first 2 shown]
	ds_read_b128 v[101:104], v1 offset:1296
	v_add_f64 v[168:169], v[168:169], 0
	v_add_f64 v[2:3], v[2:3], 0
	s_waitcnt vmcnt(48)
	v_fma_f64 v[111:112], v[107:108], v[123:124], v[111:112]
	s_waitcnt lgkmcnt(1)
	v_mul_f64 v[174:175], v[97:98], v[117:118]
	v_mul_f64 v[117:118], v[99:100], v[117:118]
	v_fma_f64 v[113:114], v[105:106], v[123:124], -v[113:114]
	ds_read_b128 v[105:108], v1 offset:1312
	v_add_f64 v[168:169], v[168:169], v[170:171]
	v_add_f64 v[2:3], v[2:3], v[109:110]
	s_waitcnt vmcnt(47) lgkmcnt(1)
	v_mul_f64 v[109:110], v[101:102], v[119:120]
	v_mul_f64 v[119:120], v[103:104], v[119:120]
	s_waitcnt vmcnt(45)
	v_fma_f64 v[117:118], v[97:98], v[125:126], -v[117:118]
	v_fma_f64 v[123:124], v[99:100], v[125:126], v[174:175]
	s_waitcnt vmcnt(41) lgkmcnt(0)
	v_mul_f64 v[125:126], v[107:108], v[127:128]
	ds_read_b128 v[97:100], v1 offset:1328
	v_add_f64 v[113:114], v[168:169], v[113:114]
	v_add_f64 v[2:3], v[2:3], v[111:112]
	v_mul_f64 v[111:112], v[105:106], v[127:128]
	s_waitcnt vmcnt(40)
	v_fma_f64 v[119:120], v[101:102], v[121:122], -v[119:120]
	v_fma_f64 v[109:110], v[103:104], v[121:122], v[109:110]
	ds_read_b128 v[101:104], v1 offset:1344
	s_waitcnt vmcnt(39) lgkmcnt(1)
	v_mul_f64 v[121:122], v[99:100], v[129:130]
	v_add_f64 v[113:114], v[113:114], v[117:118]
	v_add_f64 v[2:3], v[2:3], v[123:124]
	s_waitcnt vmcnt(37)
	v_fma_f64 v[123:124], v[105:106], v[133:134], -v[125:126]
	v_mul_f64 v[117:118], v[97:98], v[129:130]
	v_fma_f64 v[111:112], v[107:108], v[133:134], v[111:112]
	ds_read_b128 v[105:108], v1 offset:1360
	s_waitcnt vmcnt(32)
	v_fma_f64 v[121:122], v[97:98], v[131:132], -v[121:122]
	v_add_f64 v[113:114], v[113:114], v[119:120]
	v_add_f64 v[2:3], v[2:3], v[109:110]
	s_waitcnt lgkmcnt(1)
	v_mul_f64 v[119:120], v[103:104], v[135:136]
	v_mul_f64 v[109:110], v[101:102], v[135:136]
	v_fma_f64 v[117:118], v[99:100], v[131:132], v[117:118]
	ds_read_b128 v[97:100], v1 offset:1376
	v_add_f64 v[113:114], v[113:114], v[123:124]
	v_add_f64 v[2:3], v[2:3], v[111:112]
	s_waitcnt vmcnt(31) lgkmcnt(1)
	v_mul_f64 v[123:124], v[107:108], v[137:138]
	s_waitcnt vmcnt(29)
	v_fma_f64 v[119:120], v[101:102], v[141:142], -v[119:120]
	v_mul_f64 v[111:112], v[105:106], v[137:138]
	v_fma_f64 v[109:110], v[103:104], v[141:142], v[109:110]
	ds_read_b128 v[101:104], v1 offset:1392
	v_add_f64 v[113:114], v[113:114], v[121:122]
	v_add_f64 v[2:3], v[2:3], v[117:118]
	s_waitcnt vmcnt(25) lgkmcnt(1)
	v_mul_f64 v[121:122], v[99:100], v[143:144]
	s_waitcnt vmcnt(24)
	v_fma_f64 v[123:124], v[105:106], v[139:140], -v[123:124]
	;; [unrolled: 9-line block ×6, first 2 shown]
	v_mul_f64 v[109:110], v[101:102], v[160:161]
	v_fma_f64 v[99:100], v[99:100], v[156:157], v[117:118]
	s_waitcnt vmcnt(7) lgkmcnt(0)
	v_mul_f64 v[117:118], v[107:108], v[162:163]
	v_add_f64 v[113:114], v[113:114], v[123:124]
	v_add_f64 v[2:3], v[2:3], v[111:112]
	s_waitcnt vmcnt(5)
	v_fma_f64 v[101:102], v[101:102], v[166:167], -v[119:120]
	v_mul_f64 v[111:112], v[105:106], v[162:163]
	v_fma_f64 v[103:104], v[103:104], v[166:167], v[109:110]
	v_add_f64 v[97:98], v[113:114], v[97:98]
	v_add_f64 v[2:3], v[2:3], v[99:100]
	s_waitcnt vmcnt(4)
	v_fma_f64 v[99:100], v[105:106], v[164:165], -v[117:118]
	v_add_f64 v[97:98], v[97:98], v[101:102]
	v_fma_f64 v[101:102], v[107:108], v[164:165], v[111:112]
	v_add_f64 v[2:3], v[2:3], v[103:104]
	v_add_f64 v[97:98], v[97:98], v[99:100]
	;; [unrolled: 1-line block ×3, first 2 shown]
	s_waitcnt vmcnt(2)
	v_add_f64 v[97:98], v[115:116], -v[97:98]
	s_waitcnt vmcnt(0)
	v_add_f64 v[2:3], v[172:173], -v[2:3]
	buffer_store_dword v98, off, s[0:3], 0 offset:500
	buffer_store_dword v97, off, s[0:3], 0 offset:496
	;; [unrolled: 1-line block ×4, first 2 shown]
	v_cmpx_lt_u32_e32 29, v0
	s_cbranch_execz .LBB109_231
; %bb.230:
	v_mov_b32_e32 v2, s28
	s_clause 0x3
	buffer_load_dword v97, v2, s[0:3], 0 offen
	buffer_load_dword v98, v2, s[0:3], 0 offen offset:4
	buffer_load_dword v99, v2, s[0:3], 0 offen offset:8
	;; [unrolled: 1-line block ×3, first 2 shown]
	buffer_store_dword v1, off, s[0:3], 0 offset:480
	buffer_store_dword v1, off, s[0:3], 0 offset:484
	;; [unrolled: 1-line block ×4, first 2 shown]
	s_waitcnt vmcnt(0)
	ds_write_b128 v153, v[97:100]
.LBB109_231:
	s_or_b32 exec_lo, exec_lo, s4
	s_waitcnt lgkmcnt(0)
	s_waitcnt_vscnt null, 0x0
	s_barrier
	buffer_gl0_inv
	s_clause 0x37
	buffer_load_dword v2, off, s[0:3], 0 offset:504
	buffer_load_dword v3, off, s[0:3], 0 offset:508
	;; [unrolled: 1-line block ×56, first 2 shown]
	ds_read_b128 v[97:100], v1 offset:1216
	s_clause 0x2
	buffer_load_dword v163, off, s[0:3], 0 offset:732
	buffer_load_dword v167, off, s[0:3], 0 offset:708
	;; [unrolled: 1-line block ×3, first 2 shown]
	ds_read_b128 v[101:104], v1 offset:1232
	s_clause 0x2
	buffer_load_dword v171, off, s[0:3], 0 offset:748
	buffer_load_dword v170, off, s[0:3], 0 offset:744
	;; [unrolled: 1-line block ×3, first 2 shown]
	ds_read_b128 v[105:108], v1 offset:1248
	s_mov_b32 s4, exec_lo
	s_waitcnt vmcnt(60) lgkmcnt(2)
	v_mul_f64 v[168:169], v[99:100], v[2:3]
	v_mul_f64 v[2:3], v[97:98], v[2:3]
	s_waitcnt vmcnt(58) lgkmcnt(1)
	v_mul_f64 v[172:173], v[103:104], v[109:110]
	v_mul_f64 v[109:110], v[101:102], v[109:110]
	;; [unrolled: 3-line block ×3, first 2 shown]
	v_fma_f64 v[168:169], v[97:98], v[111:112], -v[168:169]
	v_fma_f64 v[2:3], v[99:100], v[111:112], v[2:3]
	s_clause 0x1
	buffer_load_dword v112, off, s[0:3], 0 offset:740
	buffer_load_dword v111, off, s[0:3], 0 offset:736
	s_waitcnt vmcnt(54)
	v_fma_f64 v[172:173], v[101:102], v[115:116], -v[172:173]
	ds_read_b128 v[97:100], v1 offset:1264
	v_fma_f64 v[109:110], v[103:104], v[115:116], v[109:110]
	ds_read_b128 v[101:104], v1 offset:1280
	s_waitcnt vmcnt(48)
	v_fma_f64 v[113:114], v[105:106], v[123:124], -v[113:114]
	v_fma_f64 v[123:124], v[107:108], v[123:124], v[174:175]
	v_add_f64 v[168:169], v[168:169], 0
	v_add_f64 v[2:3], v[2:3], 0
	s_waitcnt lgkmcnt(1)
	v_mul_f64 v[115:116], v[97:98], v[117:118]
	v_mul_f64 v[117:118], v[99:100], v[117:118]
	s_waitcnt vmcnt(47) lgkmcnt(0)
	v_mul_f64 v[174:175], v[101:102], v[119:120]
	v_mul_f64 v[119:120], v[103:104], v[119:120]
	v_add_f64 v[168:169], v[168:169], v[172:173]
	v_add_f64 v[2:3], v[2:3], v[109:110]
	s_clause 0x3
	buffer_load_dword v109, off, s[0:3], 0 offset:480
	buffer_load_dword v110, off, s[0:3], 0 offset:484
	;; [unrolled: 1-line block ×4, first 2 shown]
	s_waitcnt vmcnt(49)
	v_fma_f64 v[117:118], v[97:98], v[125:126], -v[117:118]
	ds_read_b128 v[105:108], v1 offset:1296
	v_fma_f64 v[115:116], v[99:100], v[125:126], v[115:116]
	ds_read_b128 v[97:100], v1 offset:1312
	s_waitcnt vmcnt(44)
	v_fma_f64 v[119:120], v[101:102], v[121:122], -v[119:120]
	v_add_f64 v[113:114], v[168:169], v[113:114]
	v_add_f64 v[2:3], v[2:3], v[123:124]
	s_waitcnt lgkmcnt(1)
	v_mul_f64 v[125:126], v[107:108], v[127:128]
	v_mul_f64 v[123:124], v[105:106], v[127:128]
	v_add_f64 v[113:114], v[113:114], v[117:118]
	v_fma_f64 v[117:118], v[103:104], v[121:122], v[174:175]
	v_add_f64 v[2:3], v[2:3], v[115:116]
	s_waitcnt vmcnt(43) lgkmcnt(0)
	v_mul_f64 v[121:122], v[99:100], v[129:130]
	s_waitcnt vmcnt(41)
	v_fma_f64 v[125:126], v[105:106], v[133:134], -v[125:126]
	ds_read_b128 v[101:104], v1 offset:1328
	v_mul_f64 v[115:116], v[97:98], v[129:130]
	v_add_f64 v[113:114], v[113:114], v[119:120]
	v_fma_f64 v[119:120], v[107:108], v[133:134], v[123:124]
	v_add_f64 v[2:3], v[2:3], v[117:118]
	ds_read_b128 v[105:108], v1 offset:1344
	s_waitcnt vmcnt(37) lgkmcnt(1)
	v_mul_f64 v[123:124], v[103:104], v[135:136]
	s_waitcnt vmcnt(36)
	v_fma_f64 v[121:122], v[97:98], v[131:132], -v[121:122]
	v_mul_f64 v[117:118], v[101:102], v[135:136]
	v_fma_f64 v[115:116], v[99:100], v[131:132], v[115:116]
	ds_read_b128 v[97:100], v1 offset:1360
	v_add_f64 v[113:114], v[113:114], v[125:126]
	s_waitcnt vmcnt(35) lgkmcnt(1)
	v_mul_f64 v[125:126], v[107:108], v[137:138]
	v_add_f64 v[2:3], v[2:3], v[119:120]
	v_mul_f64 v[119:120], v[105:106], v[137:138]
	s_waitcnt vmcnt(33)
	v_fma_f64 v[123:124], v[101:102], v[141:142], -v[123:124]
	v_fma_f64 v[117:118], v[103:104], v[141:142], v[117:118]
	ds_read_b128 v[101:104], v1 offset:1376
	v_add_f64 v[113:114], v[113:114], v[121:122]
	s_waitcnt vmcnt(29) lgkmcnt(1)
	v_mul_f64 v[121:122], v[99:100], v[143:144]
	v_add_f64 v[2:3], v[2:3], v[115:116]
	s_waitcnt vmcnt(28)
	v_fma_f64 v[125:126], v[105:106], v[139:140], -v[125:126]
	v_mul_f64 v[115:116], v[97:98], v[143:144]
	v_fma_f64 v[119:120], v[107:108], v[139:140], v[119:120]
	ds_read_b128 v[105:108], v1 offset:1392
	v_add_f64 v[113:114], v[113:114], v[123:124]
	s_waitcnt vmcnt(27) lgkmcnt(1)
	v_mul_f64 v[123:124], v[103:104], v[145:146]
	v_add_f64 v[2:3], v[2:3], v[117:118]
	s_waitcnt vmcnt(25)
	v_fma_f64 v[121:122], v[97:98], v[149:150], -v[121:122]
	v_mul_f64 v[117:118], v[101:102], v[145:146]
	v_fma_f64 v[115:116], v[99:100], v[149:150], v[115:116]
	ds_read_b128 v[97:100], v1 offset:1408
	v_add_f64 v[113:114], v[113:114], v[125:126]
	s_waitcnt vmcnt(21) lgkmcnt(1)
	v_mul_f64 v[125:126], v[107:108], v[151:152]
	v_add_f64 v[2:3], v[2:3], v[119:120]
	s_waitcnt vmcnt(20)
	v_fma_f64 v[123:124], v[101:102], v[147:148], -v[123:124]
	v_mul_f64 v[119:120], v[105:106], v[151:152]
	v_fma_f64 v[117:118], v[103:104], v[147:148], v[117:118]
	ds_read_b128 v[101:104], v1 offset:1424
	v_add_f64 v[113:114], v[113:114], v[121:122]
	s_waitcnt vmcnt(19) lgkmcnt(1)
	v_mul_f64 v[121:122], v[99:100], v[154:155]
	v_add_f64 v[2:3], v[2:3], v[115:116]
	s_waitcnt vmcnt(17)
	v_fma_f64 v[125:126], v[105:106], v[158:159], -v[125:126]
	v_mul_f64 v[115:116], v[97:98], v[154:155]
	v_fma_f64 v[119:120], v[107:108], v[158:159], v[119:120]
	ds_read_b128 v[105:108], v1 offset:1440
	v_add_f64 v[113:114], v[113:114], v[123:124]
	s_waitcnt vmcnt(13) lgkmcnt(1)
	v_mul_f64 v[123:124], v[103:104], v[160:161]
	v_add_f64 v[2:3], v[2:3], v[117:118]
	s_waitcnt vmcnt(12)
	v_fma_f64 v[97:98], v[97:98], v[156:157], -v[121:122]
	v_mul_f64 v[117:118], v[101:102], v[160:161]
	v_fma_f64 v[99:100], v[99:100], v[156:157], v[115:116]
	s_waitcnt vmcnt(11) lgkmcnt(0)
	v_mul_f64 v[121:122], v[107:108], v[162:163]
	v_add_f64 v[113:114], v[113:114], v[125:126]
	s_waitcnt vmcnt(9)
	v_fma_f64 v[101:102], v[101:102], v[166:167], -v[123:124]
	v_add_f64 v[115:116], v[2:3], v[119:120]
	ds_read_b128 v[1:4], v1 offset:1456
	v_mul_f64 v[119:120], v[105:106], v[162:163]
	v_fma_f64 v[103:104], v[103:104], v[166:167], v[117:118]
	s_waitcnt vmcnt(6)
	v_fma_f64 v[105:106], v[105:106], v[164:165], -v[121:122]
	v_add_f64 v[97:98], v[113:114], v[97:98]
	s_waitcnt lgkmcnt(0)
	v_mul_f64 v[113:114], v[1:2], v[170:171]
	v_add_f64 v[99:100], v[115:116], v[99:100]
	v_mul_f64 v[115:116], v[3:4], v[170:171]
	v_add_f64 v[97:98], v[97:98], v[101:102]
	v_fma_f64 v[101:102], v[107:108], v[164:165], v[119:120]
	v_add_f64 v[99:100], v[99:100], v[103:104]
	s_waitcnt vmcnt(4)
	v_fma_f64 v[1:2], v[1:2], v[111:112], -v[115:116]
	v_fma_f64 v[3:4], v[3:4], v[111:112], v[113:114]
	v_add_f64 v[97:98], v[97:98], v[105:106]
	v_add_f64 v[99:100], v[99:100], v[101:102]
	;; [unrolled: 1-line block ×4, first 2 shown]
	s_waitcnt vmcnt(2)
	v_add_f64 v[1:2], v[109:110], -v[1:2]
	s_waitcnt vmcnt(0)
	v_add_f64 v[3:4], v[172:173], -v[3:4]
	buffer_store_dword v2, off, s[0:3], 0 offset:484
	buffer_store_dword v1, off, s[0:3], 0 offset:480
	;; [unrolled: 1-line block ×4, first 2 shown]
	v_cmpx_lt_u32_e32 28, v0
	s_cbranch_execz .LBB109_233
; %bb.232:
	v_mov_b32_e32 v4, s29
	v_mov_b32_e32 v97, 0
	s_clause 0x3
	buffer_load_dword v1, v4, s[0:3], 0 offen
	buffer_load_dword v2, v4, s[0:3], 0 offen offset:4
	buffer_load_dword v3, v4, s[0:3], 0 offen offset:8
	buffer_load_dword v4, v4, s[0:3], 0 offen offset:12
	buffer_store_dword v97, off, s[0:3], 0 offset:464
	buffer_store_dword v97, off, s[0:3], 0 offset:468
	;; [unrolled: 1-line block ×4, first 2 shown]
	s_waitcnt vmcnt(0)
	ds_write_b128 v153, v[1:4]
.LBB109_233:
	s_or_b32 exec_lo, exec_lo, s4
	s_waitcnt lgkmcnt(0)
	s_waitcnt_vscnt null, 0x0
	s_barrier
	buffer_gl0_inv
	s_clause 0x37
	buffer_load_dword v2, off, s[0:3], 0 offset:488
	buffer_load_dword v3, off, s[0:3], 0 offset:492
	;; [unrolled: 1-line block ×56, first 2 shown]
	v_mov_b32_e32 v1, 0
	s_mov_b32 s4, exec_lo
	ds_read_b128 v[97:100], v1 offset:1200
	s_clause 0x2
	buffer_load_dword v163, off, s[0:3], 0 offset:716
	buffer_load_dword v167, off, s[0:3], 0 offset:692
	;; [unrolled: 1-line block ×3, first 2 shown]
	ds_read_b128 v[101:104], v1 offset:1216
	s_clause 0x4
	buffer_load_dword v171, off, s[0:3], 0 offset:732
	buffer_load_dword v172, off, s[0:3], 0 offset:744
	;; [unrolled: 1-line block ×5, first 2 shown]
	ds_read_b128 v[105:108], v1 offset:1232
	s_waitcnt vmcnt(62) lgkmcnt(2)
	v_mul_f64 v[168:169], v[99:100], v[2:3]
	v_mul_f64 v[2:3], v[97:98], v[2:3]
	s_waitcnt vmcnt(60) lgkmcnt(1)
	v_mul_f64 v[175:176], v[103:104], v[109:110]
	v_mul_f64 v[109:110], v[101:102], v[109:110]
	;; [unrolled: 3-line block ×3, first 2 shown]
	v_fma_f64 v[168:169], v[97:98], v[111:112], -v[168:169]
	v_fma_f64 v[2:3], v[99:100], v[111:112], v[2:3]
	s_clause 0x2
	buffer_load_dword v173, off, s[0:3], 0 offset:748
	buffer_load_dword v112, off, s[0:3], 0 offset:724
	buffer_load_dword v111, off, s[0:3], 0 offset:720
	s_waitcnt vmcnt(57)
	v_fma_f64 v[179:180], v[101:102], v[115:116], -v[175:176]
	ds_read_b128 v[97:100], v1 offset:1248
	v_fma_f64 v[109:110], v[103:104], v[115:116], v[109:110]
	buffer_load_dword v175, off, s[0:3], 0 offset:740
	ds_read_b128 v[101:104], v1 offset:1264
	s_waitcnt vmcnt(52)
	v_fma_f64 v[113:114], v[105:106], v[123:124], -v[113:114]
	v_fma_f64 v[123:124], v[107:108], v[123:124], v[177:178]
	ds_read_b128 v[105:108], v1 offset:1280
	v_add_f64 v[168:169], v[168:169], 0
	v_add_f64 v[2:3], v[2:3], 0
	s_waitcnt lgkmcnt(2)
	v_mul_f64 v[115:116], v[97:98], v[117:118]
	v_mul_f64 v[117:118], v[99:100], v[117:118]
	v_add_f64 v[168:169], v[168:169], v[179:180]
	v_add_f64 v[2:3], v[2:3], v[109:110]
	s_waitcnt vmcnt(51) lgkmcnt(1)
	v_mul_f64 v[109:110], v[101:102], v[119:120]
	v_mul_f64 v[119:120], v[103:104], v[119:120]
	s_waitcnt vmcnt(49)
	v_fma_f64 v[117:118], v[97:98], v[125:126], -v[117:118]
	v_fma_f64 v[115:116], v[99:100], v[125:126], v[115:116]
	v_add_f64 v[113:114], v[168:169], v[113:114]
	v_add_f64 v[2:3], v[2:3], v[123:124]
	s_clause 0x3
	buffer_load_dword v123, off, s[0:3], 0 offset:464
	buffer_load_dword v124, off, s[0:3], 0 offset:468
	;; [unrolled: 1-line block ×4, first 2 shown]
	s_waitcnt vmcnt(49) lgkmcnt(0)
	v_mul_f64 v[168:169], v[105:106], v[127:128]
	v_mul_f64 v[127:128], v[107:108], v[127:128]
	s_waitcnt vmcnt(48)
	v_fma_f64 v[119:120], v[101:102], v[121:122], -v[119:120]
	ds_read_b128 v[97:100], v1 offset:1296
	v_fma_f64 v[109:110], v[103:104], v[121:122], v[109:110]
	ds_read_b128 v[101:104], v1 offset:1312
	v_add_f64 v[113:114], v[113:114], v[117:118]
	v_add_f64 v[2:3], v[2:3], v[115:116]
	s_waitcnt vmcnt(47) lgkmcnt(1)
	v_mul_f64 v[117:118], v[99:100], v[129:130]
	s_waitcnt vmcnt(45)
	v_fma_f64 v[121:122], v[105:106], v[133:134], -v[127:128]
	v_mul_f64 v[115:116], v[97:98], v[129:130]
	s_waitcnt vmcnt(41) lgkmcnt(0)
	v_mul_f64 v[127:128], v[103:104], v[135:136]
	v_add_f64 v[113:114], v[113:114], v[119:120]
	v_fma_f64 v[119:120], v[107:108], v[133:134], v[168:169]
	v_add_f64 v[2:3], v[2:3], v[109:110]
	ds_read_b128 v[105:108], v1 offset:1328
	s_waitcnt vmcnt(40)
	v_fma_f64 v[117:118], v[97:98], v[131:132], -v[117:118]
	v_mul_f64 v[109:110], v[101:102], v[135:136]
	v_fma_f64 v[115:116], v[99:100], v[131:132], v[115:116]
	ds_read_b128 v[97:100], v1 offset:1344
	s_waitcnt vmcnt(37)
	v_fma_f64 v[127:128], v[101:102], v[141:142], -v[127:128]
	v_add_f64 v[113:114], v[113:114], v[121:122]
	s_waitcnt lgkmcnt(1)
	v_mul_f64 v[121:122], v[107:108], v[137:138]
	v_add_f64 v[2:3], v[2:3], v[119:120]
	v_mul_f64 v[119:120], v[105:106], v[137:138]
	v_fma_f64 v[109:110], v[103:104], v[141:142], v[109:110]
	ds_read_b128 v[101:104], v1 offset:1360
	v_add_f64 v[113:114], v[113:114], v[117:118]
	s_waitcnt vmcnt(33) lgkmcnt(1)
	v_mul_f64 v[117:118], v[99:100], v[143:144]
	v_add_f64 v[2:3], v[2:3], v[115:116]
	s_waitcnt vmcnt(32)
	v_fma_f64 v[121:122], v[105:106], v[139:140], -v[121:122]
	v_mul_f64 v[115:116], v[97:98], v[143:144]
	v_fma_f64 v[119:120], v[107:108], v[139:140], v[119:120]
	ds_read_b128 v[105:108], v1 offset:1376
	v_add_f64 v[113:114], v[113:114], v[127:128]
	s_waitcnt vmcnt(31) lgkmcnt(1)
	v_mul_f64 v[127:128], v[103:104], v[145:146]
	v_add_f64 v[2:3], v[2:3], v[109:110]
	s_waitcnt vmcnt(29)
	v_fma_f64 v[117:118], v[97:98], v[149:150], -v[117:118]
	;; [unrolled: 9-line block ×7, first 2 shown]
	v_mul_f64 v[115:116], v[97:98], v[170:171]
	v_fma_f64 v[107:108], v[107:108], v[164:165], v[119:120]
	v_add_f64 v[113:114], v[113:114], v[127:128]
	v_add_f64 v[2:3], v[2:3], v[109:110]
	s_waitcnt vmcnt(7) lgkmcnt(0)
	v_mul_f64 v[119:120], v[103:104], v[172:173]
	v_mul_f64 v[109:110], v[101:102], v[172:173]
	s_waitcnt vmcnt(5)
	v_fma_f64 v[97:98], v[97:98], v[111:112], -v[117:118]
	v_fma_f64 v[99:100], v[99:100], v[111:112], v[115:116]
	v_add_f64 v[105:106], v[113:114], v[105:106]
	v_add_f64 v[2:3], v[2:3], v[107:108]
	s_waitcnt vmcnt(4)
	v_fma_f64 v[101:102], v[101:102], v[174:175], -v[119:120]
	v_fma_f64 v[103:104], v[103:104], v[174:175], v[109:110]
	v_add_f64 v[97:98], v[105:106], v[97:98]
	v_add_f64 v[2:3], v[2:3], v[99:100]
	;; [unrolled: 1-line block ×4, first 2 shown]
	s_waitcnt vmcnt(2)
	v_add_f64 v[97:98], v[123:124], -v[97:98]
	s_waitcnt vmcnt(0)
	v_add_f64 v[2:3], v[125:126], -v[2:3]
	buffer_store_dword v98, off, s[0:3], 0 offset:468
	buffer_store_dword v97, off, s[0:3], 0 offset:464
	;; [unrolled: 1-line block ×4, first 2 shown]
	v_cmpx_lt_u32_e32 27, v0
	s_cbranch_execz .LBB109_235
; %bb.234:
	v_mov_b32_e32 v2, s30
	s_clause 0x3
	buffer_load_dword v97, v2, s[0:3], 0 offen
	buffer_load_dword v98, v2, s[0:3], 0 offen offset:4
	buffer_load_dword v99, v2, s[0:3], 0 offen offset:8
	;; [unrolled: 1-line block ×3, first 2 shown]
	buffer_store_dword v1, off, s[0:3], 0 offset:448
	buffer_store_dword v1, off, s[0:3], 0 offset:452
	;; [unrolled: 1-line block ×4, first 2 shown]
	s_waitcnt vmcnt(0)
	ds_write_b128 v153, v[97:100]
.LBB109_235:
	s_or_b32 exec_lo, exec_lo, s4
	s_waitcnt lgkmcnt(0)
	s_waitcnt_vscnt null, 0x0
	s_barrier
	buffer_gl0_inv
	s_clause 0x37
	buffer_load_dword v2, off, s[0:3], 0 offset:472
	buffer_load_dword v3, off, s[0:3], 0 offset:476
	;; [unrolled: 1-line block ×56, first 2 shown]
	ds_read_b128 v[97:100], v1 offset:1184
	s_clause 0x2
	buffer_load_dword v163, off, s[0:3], 0 offset:700
	buffer_load_dword v167, off, s[0:3], 0 offset:676
	;; [unrolled: 1-line block ×3, first 2 shown]
	ds_read_b128 v[101:104], v1 offset:1200
	s_clause 0x4
	buffer_load_dword v171, off, s[0:3], 0 offset:716
	buffer_load_dword v172, off, s[0:3], 0 offset:728
	;; [unrolled: 1-line block ×5, first 2 shown]
	ds_read_b128 v[105:108], v1 offset:1216
	s_mov_b32 s4, exec_lo
	s_waitcnt vmcnt(62) lgkmcnt(2)
	v_mul_f64 v[168:169], v[99:100], v[2:3]
	v_mul_f64 v[2:3], v[97:98], v[2:3]
	s_waitcnt vmcnt(60) lgkmcnt(1)
	v_mul_f64 v[175:176], v[103:104], v[109:110]
	v_mul_f64 v[109:110], v[101:102], v[109:110]
	;; [unrolled: 3-line block ×3, first 2 shown]
	v_fma_f64 v[168:169], v[97:98], v[111:112], -v[168:169]
	v_fma_f64 v[2:3], v[99:100], v[111:112], v[2:3]
	s_clause 0x2
	buffer_load_dword v173, off, s[0:3], 0 offset:732
	buffer_load_dword v112, off, s[0:3], 0 offset:708
	;; [unrolled: 1-line block ×3, first 2 shown]
	s_waitcnt vmcnt(57)
	v_fma_f64 v[179:180], v[101:102], v[115:116], -v[175:176]
	ds_read_b128 v[97:100], v1 offset:1232
	v_fma_f64 v[109:110], v[103:104], v[115:116], v[109:110]
	s_clause 0x2
	buffer_load_dword v116, off, s[0:3], 0 offset:748
	buffer_load_dword v115, off, s[0:3], 0 offset:744
	buffer_load_dword v175, off, s[0:3], 0 offset:724
	s_waitcnt vmcnt(54)
	v_fma_f64 v[113:114], v[105:106], v[123:124], -v[113:114]
	ds_read_b128 v[101:104], v1 offset:1248
	v_fma_f64 v[123:124], v[107:108], v[123:124], v[177:178]
	v_add_f64 v[168:169], v[168:169], 0
	v_add_f64 v[2:3], v[2:3], 0
	s_waitcnt lgkmcnt(1)
	v_mul_f64 v[181:182], v[97:98], v[117:118]
	v_mul_f64 v[117:118], v[99:100], v[117:118]
	s_waitcnt vmcnt(53) lgkmcnt(0)
	v_mul_f64 v[176:177], v[101:102], v[119:120]
	v_mul_f64 v[119:120], v[103:104], v[119:120]
	v_add_f64 v[168:169], v[168:169], v[179:180]
	v_add_f64 v[2:3], v[2:3], v[109:110]
	s_clause 0x1
	buffer_load_dword v110, off, s[0:3], 0 offset:740
	buffer_load_dword v109, off, s[0:3], 0 offset:736
	s_waitcnt vmcnt(53)
	v_fma_f64 v[117:118], v[97:98], v[125:126], -v[117:118]
	ds_read_b128 v[105:108], v1 offset:1264
	v_fma_f64 v[125:126], v[99:100], v[125:126], v[181:182]
	ds_read_b128 v[97:100], v1 offset:1280
	s_waitcnt vmcnt(48)
	v_fma_f64 v[119:120], v[101:102], v[121:122], -v[119:120]
	v_add_f64 v[113:114], v[168:169], v[113:114]
	v_add_f64 v[2:3], v[2:3], v[123:124]
	s_waitcnt lgkmcnt(1)
	v_mul_f64 v[123:124], v[105:106], v[127:128]
	v_mul_f64 v[127:128], v[107:108], v[127:128]
	s_waitcnt vmcnt(47) lgkmcnt(0)
	v_mul_f64 v[168:169], v[97:98], v[129:130]
	v_mul_f64 v[129:130], v[99:100], v[129:130]
	v_add_f64 v[113:114], v[113:114], v[117:118]
	v_fma_f64 v[117:118], v[103:104], v[121:122], v[176:177]
	v_add_f64 v[2:3], v[2:3], v[125:126]
	s_clause 0x3
	buffer_load_dword v121, off, s[0:3], 0 offset:448
	buffer_load_dword v122, off, s[0:3], 0 offset:452
	;; [unrolled: 1-line block ×4, first 2 shown]
	s_waitcnt vmcnt(49)
	v_fma_f64 v[127:128], v[105:106], v[133:134], -v[127:128]
	ds_read_b128 v[101:104], v1 offset:1296
	s_waitcnt vmcnt(44)
	v_fma_f64 v[129:130], v[97:98], v[131:132], -v[129:130]
	v_add_f64 v[113:114], v[113:114], v[119:120]
	v_fma_f64 v[119:120], v[107:108], v[133:134], v[123:124]
	v_add_f64 v[2:3], v[2:3], v[117:118]
	ds_read_b128 v[105:108], v1 offset:1312
	s_waitcnt lgkmcnt(1)
	v_mul_f64 v[123:124], v[103:104], v[135:136]
	v_mul_f64 v[117:118], v[101:102], v[135:136]
	v_add_f64 v[113:114], v[113:114], v[127:128]
	v_fma_f64 v[127:128], v[99:100], v[131:132], v[168:169]
	v_add_f64 v[2:3], v[2:3], v[119:120]
	s_waitcnt vmcnt(43) lgkmcnt(0)
	v_mul_f64 v[131:132], v[107:108], v[137:138]
	s_waitcnt vmcnt(41)
	v_fma_f64 v[123:124], v[101:102], v[141:142], -v[123:124]
	ds_read_b128 v[97:100], v1 offset:1328
	v_mul_f64 v[119:120], v[105:106], v[137:138]
	v_fma_f64 v[117:118], v[103:104], v[141:142], v[117:118]
	ds_read_b128 v[101:104], v1 offset:1344
	v_add_f64 v[113:114], v[113:114], v[129:130]
	v_add_f64 v[2:3], v[2:3], v[127:128]
	s_waitcnt vmcnt(37) lgkmcnt(1)
	v_mul_f64 v[129:130], v[99:100], v[143:144]
	s_waitcnt vmcnt(36)
	v_fma_f64 v[131:132], v[105:106], v[139:140], -v[131:132]
	v_mul_f64 v[127:128], v[97:98], v[143:144]
	v_fma_f64 v[119:120], v[107:108], v[139:140], v[119:120]
	ds_read_b128 v[105:108], v1 offset:1360
	v_add_f64 v[113:114], v[113:114], v[123:124]
	s_waitcnt vmcnt(35) lgkmcnt(1)
	v_mul_f64 v[123:124], v[103:104], v[145:146]
	v_add_f64 v[2:3], v[2:3], v[117:118]
	s_waitcnt vmcnt(33)
	v_fma_f64 v[129:130], v[97:98], v[149:150], -v[129:130]
	v_mul_f64 v[117:118], v[101:102], v[145:146]
	v_fma_f64 v[127:128], v[99:100], v[149:150], v[127:128]
	ds_read_b128 v[97:100], v1 offset:1376
	v_add_f64 v[113:114], v[113:114], v[131:132]
	s_waitcnt vmcnt(29) lgkmcnt(1)
	v_mul_f64 v[131:132], v[107:108], v[151:152]
	v_add_f64 v[2:3], v[2:3], v[119:120]
	s_waitcnt vmcnt(28)
	v_fma_f64 v[123:124], v[101:102], v[147:148], -v[123:124]
	v_mul_f64 v[119:120], v[105:106], v[151:152]
	v_fma_f64 v[117:118], v[103:104], v[147:148], v[117:118]
	ds_read_b128 v[101:104], v1 offset:1392
	v_add_f64 v[113:114], v[113:114], v[129:130]
	s_waitcnt vmcnt(27) lgkmcnt(1)
	v_mul_f64 v[129:130], v[99:100], v[154:155]
	v_add_f64 v[2:3], v[2:3], v[127:128]
	s_waitcnt vmcnt(25)
	v_fma_f64 v[131:132], v[105:106], v[158:159], -v[131:132]
	v_mul_f64 v[127:128], v[97:98], v[154:155]
	v_fma_f64 v[119:120], v[107:108], v[158:159], v[119:120]
	ds_read_b128 v[105:108], v1 offset:1408
	v_add_f64 v[113:114], v[113:114], v[123:124]
	s_waitcnt vmcnt(21) lgkmcnt(1)
	v_mul_f64 v[123:124], v[103:104], v[160:161]
	v_add_f64 v[2:3], v[2:3], v[117:118]
	s_waitcnt vmcnt(20)
	v_fma_f64 v[129:130], v[97:98], v[156:157], -v[129:130]
	v_mul_f64 v[117:118], v[101:102], v[160:161]
	v_fma_f64 v[127:128], v[99:100], v[156:157], v[127:128]
	ds_read_b128 v[97:100], v1 offset:1424
	v_add_f64 v[113:114], v[113:114], v[131:132]
	s_waitcnt vmcnt(19) lgkmcnt(1)
	v_mul_f64 v[131:132], v[107:108], v[162:163]
	v_add_f64 v[2:3], v[2:3], v[119:120]
	s_waitcnt vmcnt(17)
	v_fma_f64 v[123:124], v[101:102], v[166:167], -v[123:124]
	v_mul_f64 v[119:120], v[105:106], v[162:163]
	v_fma_f64 v[117:118], v[103:104], v[166:167], v[117:118]
	ds_read_b128 v[101:104], v1 offset:1440
	v_add_f64 v[113:114], v[113:114], v[129:130]
	s_waitcnt vmcnt(13) lgkmcnt(1)
	v_mul_f64 v[129:130], v[99:100], v[170:171]
	v_add_f64 v[2:3], v[2:3], v[127:128]
	s_waitcnt vmcnt(12)
	v_fma_f64 v[105:106], v[105:106], v[164:165], -v[131:132]
	v_mul_f64 v[127:128], v[97:98], v[170:171]
	v_fma_f64 v[107:108], v[107:108], v[164:165], v[119:120]
	v_add_f64 v[113:114], v[113:114], v[123:124]
	v_add_f64 v[117:118], v[2:3], v[117:118]
	ds_read_b128 v[1:4], v1 offset:1456
	s_waitcnt vmcnt(11) lgkmcnt(1)
	v_mul_f64 v[123:124], v[103:104], v[172:173]
	v_mul_f64 v[119:120], v[101:102], v[172:173]
	s_waitcnt vmcnt(9)
	v_fma_f64 v[97:98], v[97:98], v[111:112], -v[129:130]
	v_fma_f64 v[99:100], v[99:100], v[111:112], v[127:128]
	v_add_f64 v[105:106], v[113:114], v[105:106]
	s_waitcnt vmcnt(7) lgkmcnt(0)
	v_mul_f64 v[113:114], v[3:4], v[115:116]
	v_add_f64 v[107:108], v[117:118], v[107:108]
	v_mul_f64 v[111:112], v[1:2], v[115:116]
	s_waitcnt vmcnt(6)
	v_fma_f64 v[101:102], v[101:102], v[174:175], -v[123:124]
	v_fma_f64 v[103:104], v[103:104], v[174:175], v[119:120]
	v_add_f64 v[97:98], v[105:106], v[97:98]
	v_add_f64 v[99:100], v[107:108], v[99:100]
	s_waitcnt vmcnt(4)
	v_fma_f64 v[1:2], v[1:2], v[109:110], -v[113:114]
	v_fma_f64 v[3:4], v[3:4], v[109:110], v[111:112]
	v_add_f64 v[97:98], v[97:98], v[101:102]
	v_add_f64 v[99:100], v[99:100], v[103:104]
	;; [unrolled: 1-line block ×4, first 2 shown]
	s_waitcnt vmcnt(2)
	v_add_f64 v[1:2], v[121:122], -v[1:2]
	s_waitcnt vmcnt(0)
	v_add_f64 v[3:4], v[125:126], -v[3:4]
	buffer_store_dword v2, off, s[0:3], 0 offset:452
	buffer_store_dword v1, off, s[0:3], 0 offset:448
	;; [unrolled: 1-line block ×4, first 2 shown]
	v_cmpx_lt_u32_e32 26, v0
	s_cbranch_execz .LBB109_237
; %bb.236:
	v_mov_b32_e32 v4, s31
	v_mov_b32_e32 v97, 0
	s_clause 0x3
	buffer_load_dword v1, v4, s[0:3], 0 offen
	buffer_load_dword v2, v4, s[0:3], 0 offen offset:4
	buffer_load_dword v3, v4, s[0:3], 0 offen offset:8
	;; [unrolled: 1-line block ×3, first 2 shown]
	buffer_store_dword v97, off, s[0:3], 0 offset:432
	buffer_store_dword v97, off, s[0:3], 0 offset:436
	buffer_store_dword v97, off, s[0:3], 0 offset:440
	buffer_store_dword v97, off, s[0:3], 0 offset:444
	s_waitcnt vmcnt(0)
	ds_write_b128 v153, v[1:4]
.LBB109_237:
	s_or_b32 exec_lo, exec_lo, s4
	s_waitcnt lgkmcnt(0)
	s_waitcnt_vscnt null, 0x0
	s_barrier
	buffer_gl0_inv
	s_clause 0x37
	buffer_load_dword v2, off, s[0:3], 0 offset:456
	buffer_load_dword v3, off, s[0:3], 0 offset:460
	;; [unrolled: 1-line block ×56, first 2 shown]
	v_mov_b32_e32 v1, 0
	s_mov_b32 s4, exec_lo
	ds_read_b128 v[97:100], v1 offset:1168
	s_clause 0x2
	buffer_load_dword v163, off, s[0:3], 0 offset:684
	buffer_load_dword v167, off, s[0:3], 0 offset:660
	;; [unrolled: 1-line block ×3, first 2 shown]
	ds_read_b128 v[101:104], v1 offset:1184
	s_clause 0x4
	buffer_load_dword v171, off, s[0:3], 0 offset:700
	buffer_load_dword v172, off, s[0:3], 0 offset:712
	;; [unrolled: 1-line block ×5, first 2 shown]
	ds_read_b128 v[105:108], v1 offset:1200
	s_waitcnt vmcnt(62) lgkmcnt(2)
	v_mul_f64 v[168:169], v[99:100], v[2:3]
	v_mul_f64 v[2:3], v[97:98], v[2:3]
	s_waitcnt vmcnt(60) lgkmcnt(1)
	v_mul_f64 v[175:176], v[103:104], v[109:110]
	v_mul_f64 v[109:110], v[101:102], v[109:110]
	;; [unrolled: 3-line block ×3, first 2 shown]
	v_fma_f64 v[168:169], v[97:98], v[111:112], -v[168:169]
	v_fma_f64 v[2:3], v[99:100], v[111:112], v[2:3]
	s_clause 0x2
	buffer_load_dword v173, off, s[0:3], 0 offset:716
	buffer_load_dword v112, off, s[0:3], 0 offset:692
	;; [unrolled: 1-line block ×3, first 2 shown]
	s_waitcnt vmcnt(57)
	v_fma_f64 v[179:180], v[101:102], v[115:116], -v[175:176]
	ds_read_b128 v[97:100], v1 offset:1216
	v_fma_f64 v[109:110], v[103:104], v[115:116], v[109:110]
	s_clause 0x4
	buffer_load_dword v116, off, s[0:3], 0 offset:732
	buffer_load_dword v176, off, s[0:3], 0 offset:744
	;; [unrolled: 1-line block ×5, first 2 shown]
	s_waitcnt vmcnt(56)
	v_fma_f64 v[113:114], v[105:106], v[123:124], -v[113:114]
	ds_read_b128 v[101:104], v1 offset:1232
	v_fma_f64 v[123:124], v[107:108], v[123:124], v[177:178]
	v_add_f64 v[168:169], v[168:169], 0
	v_add_f64 v[2:3], v[2:3], 0
	s_waitcnt lgkmcnt(1)
	v_mul_f64 v[182:183], v[97:98], v[117:118]
	v_mul_f64 v[117:118], v[99:100], v[117:118]
	v_add_f64 v[168:169], v[168:169], v[179:180]
	v_add_f64 v[2:3], v[2:3], v[109:110]
	s_clause 0x2
	buffer_load_dword v177, off, s[0:3], 0 offset:748
	buffer_load_dword v110, off, s[0:3], 0 offset:724
	;; [unrolled: 1-line block ×3, first 2 shown]
	s_waitcnt vmcnt(58) lgkmcnt(0)
	v_mul_f64 v[178:179], v[101:102], v[119:120]
	v_mul_f64 v[119:120], v[103:104], v[119:120]
	s_waitcnt vmcnt(56)
	v_fma_f64 v[117:118], v[97:98], v[125:126], -v[117:118]
	ds_read_b128 v[105:108], v1 offset:1248
	v_fma_f64 v[125:126], v[99:100], v[125:126], v[182:183]
	buffer_load_dword v182, off, s[0:3], 0 offset:740
	ds_read_b128 v[97:100], v1 offset:1264
	v_add_f64 v[113:114], v[168:169], v[113:114]
	v_add_f64 v[2:3], v[2:3], v[123:124]
	s_waitcnt vmcnt(53) lgkmcnt(1)
	v_mul_f64 v[123:124], v[105:106], v[127:128]
	v_mul_f64 v[127:128], v[107:108], v[127:128]
	s_waitcnt vmcnt(52)
	v_fma_f64 v[119:120], v[101:102], v[121:122], -v[119:120]
	v_add_f64 v[113:114], v[113:114], v[117:118]
	v_fma_f64 v[117:118], v[103:104], v[121:122], v[178:179]
	v_add_f64 v[2:3], v[2:3], v[125:126]
	s_waitcnt vmcnt(51) lgkmcnt(0)
	v_mul_f64 v[125:126], v[99:100], v[129:130]
	ds_read_b128 v[101:104], v1 offset:1280
	s_waitcnt vmcnt(49)
	v_fma_f64 v[127:128], v[105:106], v[133:134], -v[127:128]
	v_mul_f64 v[121:122], v[97:98], v[129:130]
	v_add_f64 v[113:114], v[113:114], v[119:120]
	v_fma_f64 v[119:120], v[107:108], v[133:134], v[123:124]
	v_add_f64 v[2:3], v[2:3], v[117:118]
	s_clause 0x3
	buffer_load_dword v117, off, s[0:3], 0 offset:432
	buffer_load_dword v118, off, s[0:3], 0 offset:436
	;; [unrolled: 1-line block ×4, first 2 shown]
	s_waitcnt vmcnt(49) lgkmcnt(0)
	v_mul_f64 v[133:134], v[103:104], v[135:136]
	s_waitcnt vmcnt(48)
	v_fma_f64 v[125:126], v[97:98], v[131:132], -v[125:126]
	ds_read_b128 v[105:108], v1 offset:1296
	v_mul_f64 v[129:130], v[101:102], v[135:136]
	v_fma_f64 v[121:122], v[99:100], v[131:132], v[121:122]
	ds_read_b128 v[97:100], v1 offset:1312
	v_add_f64 v[113:114], v[113:114], v[127:128]
	v_add_f64 v[2:3], v[2:3], v[119:120]
	s_waitcnt vmcnt(47) lgkmcnt(1)
	v_mul_f64 v[127:128], v[107:108], v[137:138]
	s_waitcnt vmcnt(45)
	v_fma_f64 v[131:132], v[101:102], v[141:142], -v[133:134]
	v_mul_f64 v[119:120], v[105:106], v[137:138]
	v_add_f64 v[113:114], v[113:114], v[125:126]
	v_fma_f64 v[125:126], v[103:104], v[141:142], v[129:130]
	v_add_f64 v[2:3], v[2:3], v[121:122]
	s_waitcnt vmcnt(41) lgkmcnt(0)
	v_mul_f64 v[129:130], v[99:100], v[143:144]
	s_waitcnt vmcnt(40)
	v_fma_f64 v[127:128], v[105:106], v[139:140], -v[127:128]
	ds_read_b128 v[101:104], v1 offset:1328
	v_mul_f64 v[121:122], v[97:98], v[143:144]
	v_fma_f64 v[119:120], v[107:108], v[139:140], v[119:120]
	ds_read_b128 v[105:108], v1 offset:1344
	v_add_f64 v[113:114], v[113:114], v[131:132]
	v_add_f64 v[2:3], v[2:3], v[125:126]
	s_waitcnt vmcnt(39) lgkmcnt(1)
	v_mul_f64 v[131:132], v[103:104], v[145:146]
	s_waitcnt vmcnt(37)
	v_fma_f64 v[129:130], v[97:98], v[149:150], -v[129:130]
	v_mul_f64 v[125:126], v[101:102], v[145:146]
	v_fma_f64 v[121:122], v[99:100], v[149:150], v[121:122]
	ds_read_b128 v[97:100], v1 offset:1360
	v_add_f64 v[113:114], v[113:114], v[127:128]
	s_waitcnt vmcnt(33) lgkmcnt(1)
	v_mul_f64 v[127:128], v[107:108], v[151:152]
	v_add_f64 v[2:3], v[2:3], v[119:120]
	s_waitcnt vmcnt(32)
	v_fma_f64 v[131:132], v[101:102], v[147:148], -v[131:132]
	v_mul_f64 v[119:120], v[105:106], v[151:152]
	v_fma_f64 v[125:126], v[103:104], v[147:148], v[125:126]
	ds_read_b128 v[101:104], v1 offset:1376
	v_add_f64 v[113:114], v[113:114], v[129:130]
	s_waitcnt vmcnt(31) lgkmcnt(1)
	v_mul_f64 v[129:130], v[99:100], v[154:155]
	v_add_f64 v[2:3], v[2:3], v[121:122]
	;; [unrolled: 9-line block ×5, first 2 shown]
	s_waitcnt vmcnt(16)
	v_fma_f64 v[127:128], v[105:106], v[164:165], -v[127:128]
	v_mul_f64 v[121:122], v[97:98], v[170:171]
	v_fma_f64 v[119:120], v[107:108], v[164:165], v[119:120]
	ds_read_b128 v[105:108], v1 offset:1440
	v_add_f64 v[113:114], v[113:114], v[131:132]
	v_add_f64 v[2:3], v[2:3], v[125:126]
	s_waitcnt vmcnt(15) lgkmcnt(1)
	v_mul_f64 v[131:132], v[103:104], v[172:173]
	v_mul_f64 v[125:126], v[101:102], v[172:173]
	s_waitcnt vmcnt(13)
	v_fma_f64 v[129:130], v[97:98], v[111:112], -v[129:130]
	v_fma_f64 v[111:112], v[99:100], v[111:112], v[121:122]
	ds_read_b128 v[97:100], v1 offset:1456
	v_add_f64 v[113:114], v[113:114], v[127:128]
	v_add_f64 v[2:3], v[2:3], v[119:120]
	s_waitcnt vmcnt(9) lgkmcnt(1)
	v_mul_f64 v[119:120], v[105:106], v[115:116]
	v_mul_f64 v[115:116], v[107:108], v[115:116]
	s_waitcnt vmcnt(8)
	v_fma_f64 v[101:102], v[101:102], v[174:175], -v[131:132]
	v_fma_f64 v[103:104], v[103:104], v[174:175], v[125:126]
	v_add_f64 v[113:114], v[113:114], v[129:130]
	v_add_f64 v[2:3], v[2:3], v[111:112]
	s_waitcnt vmcnt(7) lgkmcnt(0)
	v_mul_f64 v[121:122], v[99:100], v[176:177]
	v_mul_f64 v[111:112], v[97:98], v[176:177]
	s_waitcnt vmcnt(5)
	v_fma_f64 v[105:106], v[105:106], v[109:110], -v[115:116]
	v_fma_f64 v[107:108], v[107:108], v[109:110], v[119:120]
	v_add_f64 v[101:102], v[113:114], v[101:102]
	v_add_f64 v[2:3], v[2:3], v[103:104]
	s_waitcnt vmcnt(4)
	v_fma_f64 v[97:98], v[97:98], v[181:182], -v[121:122]
	v_fma_f64 v[99:100], v[99:100], v[181:182], v[111:112]
	v_add_f64 v[101:102], v[101:102], v[105:106]
	v_add_f64 v[2:3], v[2:3], v[107:108]
	;; [unrolled: 1-line block ×4, first 2 shown]
	s_waitcnt vmcnt(2)
	v_add_f64 v[97:98], v[117:118], -v[97:98]
	s_waitcnt vmcnt(0)
	v_add_f64 v[2:3], v[123:124], -v[2:3]
	buffer_store_dword v98, off, s[0:3], 0 offset:436
	buffer_store_dword v97, off, s[0:3], 0 offset:432
	buffer_store_dword v3, off, s[0:3], 0 offset:444
	buffer_store_dword v2, off, s[0:3], 0 offset:440
	v_cmpx_lt_u32_e32 25, v0
	s_cbranch_execz .LBB109_239
; %bb.238:
	v_mov_b32_e32 v2, s33
	s_clause 0x3
	buffer_load_dword v97, v2, s[0:3], 0 offen
	buffer_load_dword v98, v2, s[0:3], 0 offen offset:4
	buffer_load_dword v99, v2, s[0:3], 0 offen offset:8
	;; [unrolled: 1-line block ×3, first 2 shown]
	buffer_store_dword v1, off, s[0:3], 0 offset:416
	buffer_store_dword v1, off, s[0:3], 0 offset:420
	;; [unrolled: 1-line block ×4, first 2 shown]
	s_waitcnt vmcnt(0)
	ds_write_b128 v153, v[97:100]
.LBB109_239:
	s_or_b32 exec_lo, exec_lo, s4
	s_waitcnt lgkmcnt(0)
	s_waitcnt_vscnt null, 0x0
	s_barrier
	buffer_gl0_inv
	s_clause 0x37
	buffer_load_dword v2, off, s[0:3], 0 offset:440
	buffer_load_dword v3, off, s[0:3], 0 offset:444
	;; [unrolled: 1-line block ×56, first 2 shown]
	ds_read_b128 v[97:100], v1 offset:1152
	s_clause 0x2
	buffer_load_dword v163, off, s[0:3], 0 offset:668
	buffer_load_dword v167, off, s[0:3], 0 offset:644
	;; [unrolled: 1-line block ×3, first 2 shown]
	ds_read_b128 v[101:104], v1 offset:1168
	s_clause 0x4
	buffer_load_dword v171, off, s[0:3], 0 offset:684
	buffer_load_dword v172, off, s[0:3], 0 offset:696
	;; [unrolled: 1-line block ×5, first 2 shown]
	ds_read_b128 v[105:108], v1 offset:1184
	s_mov_b32 s4, exec_lo
	s_waitcnt vmcnt(62) lgkmcnt(2)
	v_mul_f64 v[168:169], v[99:100], v[2:3]
	v_mul_f64 v[2:3], v[97:98], v[2:3]
	s_waitcnt vmcnt(60) lgkmcnt(1)
	v_mul_f64 v[175:176], v[103:104], v[109:110]
	v_mul_f64 v[109:110], v[101:102], v[109:110]
	;; [unrolled: 3-line block ×3, first 2 shown]
	v_fma_f64 v[168:169], v[97:98], v[111:112], -v[168:169]
	v_fma_f64 v[2:3], v[99:100], v[111:112], v[2:3]
	s_clause 0x2
	buffer_load_dword v173, off, s[0:3], 0 offset:700
	buffer_load_dword v112, off, s[0:3], 0 offset:676
	buffer_load_dword v111, off, s[0:3], 0 offset:672
	s_waitcnt vmcnt(57)
	v_fma_f64 v[179:180], v[101:102], v[115:116], -v[175:176]
	ds_read_b128 v[97:100], v1 offset:1200
	v_fma_f64 v[109:110], v[103:104], v[115:116], v[109:110]
	s_clause 0x4
	buffer_load_dword v116, off, s[0:3], 0 offset:716
	buffer_load_dword v176, off, s[0:3], 0 offset:728
	;; [unrolled: 1-line block ×5, first 2 shown]
	s_waitcnt vmcnt(56)
	v_fma_f64 v[113:114], v[105:106], v[123:124], -v[113:114]
	ds_read_b128 v[101:104], v1 offset:1216
	v_fma_f64 v[123:124], v[107:108], v[123:124], v[177:178]
	v_add_f64 v[168:169], v[168:169], 0
	v_add_f64 v[2:3], v[2:3], 0
	s_waitcnt lgkmcnt(1)
	v_mul_f64 v[182:183], v[97:98], v[117:118]
	v_mul_f64 v[117:118], v[99:100], v[117:118]
	v_add_f64 v[168:169], v[168:169], v[179:180]
	v_add_f64 v[2:3], v[2:3], v[109:110]
	s_clause 0x2
	buffer_load_dword v177, off, s[0:3], 0 offset:732
	buffer_load_dword v110, off, s[0:3], 0 offset:708
	;; [unrolled: 1-line block ×3, first 2 shown]
	s_waitcnt vmcnt(58) lgkmcnt(0)
	v_mul_f64 v[178:179], v[101:102], v[119:120]
	v_mul_f64 v[119:120], v[103:104], v[119:120]
	s_waitcnt vmcnt(56)
	v_fma_f64 v[117:118], v[97:98], v[125:126], -v[117:118]
	ds_read_b128 v[105:108], v1 offset:1232
	v_fma_f64 v[125:126], v[99:100], v[125:126], v[182:183]
	v_add_f64 v[113:114], v[168:169], v[113:114]
	v_add_f64 v[2:3], v[2:3], v[123:124]
	s_clause 0x2
	buffer_load_dword v124, off, s[0:3], 0 offset:748
	buffer_load_dword v123, off, s[0:3], 0 offset:744
	;; [unrolled: 1-line block ×3, first 2 shown]
	ds_read_b128 v[97:100], v1 offset:1248
	s_waitcnt vmcnt(55) lgkmcnt(1)
	v_mul_f64 v[168:169], v[105:106], v[127:128]
	v_mul_f64 v[127:128], v[107:108], v[127:128]
	s_waitcnt vmcnt(54)
	v_fma_f64 v[119:120], v[101:102], v[121:122], -v[119:120]
	v_add_f64 v[113:114], v[113:114], v[117:118]
	v_fma_f64 v[117:118], v[103:104], v[121:122], v[178:179]
	v_add_f64 v[2:3], v[2:3], v[125:126]
	s_clause 0x1
	buffer_load_dword v122, off, s[0:3], 0 offset:740
	buffer_load_dword v121, off, s[0:3], 0 offset:736
	s_waitcnt vmcnt(55) lgkmcnt(0)
	v_mul_f64 v[125:126], v[97:98], v[129:130]
	v_mul_f64 v[129:130], v[99:100], v[129:130]
	s_waitcnt vmcnt(53)
	v_fma_f64 v[127:128], v[105:106], v[133:134], -v[127:128]
	ds_read_b128 v[101:104], v1 offset:1264
	v_add_f64 v[113:114], v[113:114], v[119:120]
	v_fma_f64 v[119:120], v[107:108], v[133:134], v[168:169]
	v_add_f64 v[2:3], v[2:3], v[117:118]
	ds_read_b128 v[105:108], v1 offset:1280
	s_waitcnt vmcnt(48)
	v_fma_f64 v[125:126], v[99:100], v[131:132], v[125:126]
	s_waitcnt lgkmcnt(1)
	v_mul_f64 v[133:134], v[103:104], v[135:136]
	v_fma_f64 v[129:130], v[97:98], v[131:132], -v[129:130]
	v_mul_f64 v[117:118], v[101:102], v[135:136]
	v_add_f64 v[113:114], v[113:114], v[127:128]
	s_waitcnt vmcnt(47) lgkmcnt(0)
	v_mul_f64 v[135:136], v[107:108], v[137:138]
	v_add_f64 v[2:3], v[2:3], v[119:120]
	s_clause 0x3
	buffer_load_dword v119, off, s[0:3], 0 offset:416
	buffer_load_dword v120, off, s[0:3], 0 offset:420
	;; [unrolled: 1-line block ×4, first 2 shown]
	ds_read_b128 v[97:100], v1 offset:1296
	s_waitcnt vmcnt(49)
	v_fma_f64 v[133:134], v[101:102], v[141:142], -v[133:134]
	v_mul_f64 v[131:132], v[105:106], v[137:138]
	v_fma_f64 v[117:118], v[103:104], v[141:142], v[117:118]
	ds_read_b128 v[101:104], v1 offset:1312
	v_add_f64 v[113:114], v[113:114], v[129:130]
	s_waitcnt vmcnt(44)
	v_fma_f64 v[135:136], v[105:106], v[139:140], -v[135:136]
	v_add_f64 v[2:3], v[2:3], v[125:126]
	s_waitcnt lgkmcnt(1)
	v_mul_f64 v[129:130], v[99:100], v[143:144]
	v_mul_f64 v[125:126], v[97:98], v[143:144]
	v_fma_f64 v[131:132], v[107:108], v[139:140], v[131:132]
	ds_read_b128 v[105:108], v1 offset:1328
	v_add_f64 v[113:114], v[113:114], v[133:134]
	s_waitcnt vmcnt(43) lgkmcnt(1)
	v_mul_f64 v[133:134], v[103:104], v[145:146]
	v_add_f64 v[2:3], v[2:3], v[117:118]
	s_waitcnt vmcnt(41)
	v_fma_f64 v[129:130], v[97:98], v[149:150], -v[129:130]
	v_mul_f64 v[117:118], v[101:102], v[145:146]
	v_fma_f64 v[125:126], v[99:100], v[149:150], v[125:126]
	ds_read_b128 v[97:100], v1 offset:1344
	v_add_f64 v[113:114], v[113:114], v[135:136]
	s_waitcnt vmcnt(37) lgkmcnt(1)
	v_mul_f64 v[135:136], v[107:108], v[151:152]
	v_add_f64 v[2:3], v[2:3], v[131:132]
	s_waitcnt vmcnt(36)
	v_fma_f64 v[133:134], v[101:102], v[147:148], -v[133:134]
	;; [unrolled: 9-line block ×6, first 2 shown]
	v_mul_f64 v[125:126], v[97:98], v[170:171]
	v_fma_f64 v[131:132], v[107:108], v[164:165], v[131:132]
	ds_read_b128 v[105:108], v1 offset:1424
	v_add_f64 v[113:114], v[113:114], v[133:134]
	v_add_f64 v[2:3], v[2:3], v[117:118]
	s_waitcnt vmcnt(19) lgkmcnt(1)
	v_mul_f64 v[133:134], v[103:104], v[172:173]
	v_mul_f64 v[117:118], v[101:102], v[172:173]
	s_waitcnt vmcnt(17)
	v_fma_f64 v[129:130], v[97:98], v[111:112], -v[129:130]
	v_fma_f64 v[111:112], v[99:100], v[111:112], v[125:126]
	ds_read_b128 v[97:100], v1 offset:1440
	s_waitcnt vmcnt(13) lgkmcnt(1)
	v_mul_f64 v[125:126], v[105:106], v[115:116]
	v_mul_f64 v[115:116], v[107:108], v[115:116]
	v_add_f64 v[113:114], v[113:114], v[135:136]
	v_add_f64 v[2:3], v[2:3], v[131:132]
	s_waitcnt vmcnt(12)
	v_fma_f64 v[101:102], v[101:102], v[174:175], -v[133:134]
	v_fma_f64 v[103:104], v[103:104], v[174:175], v[117:118]
	v_add_f64 v[113:114], v[113:114], v[129:130]
	v_add_f64 v[111:112], v[2:3], v[111:112]
	ds_read_b128 v[1:4], v1 offset:1456
	s_waitcnt vmcnt(11) lgkmcnt(1)
	v_mul_f64 v[129:130], v[99:100], v[176:177]
	v_mul_f64 v[117:118], v[97:98], v[176:177]
	s_waitcnt vmcnt(9)
	v_fma_f64 v[105:106], v[105:106], v[109:110], -v[115:116]
	v_fma_f64 v[107:108], v[107:108], v[109:110], v[125:126]
	v_add_f64 v[101:102], v[113:114], v[101:102]
	v_add_f64 v[103:104], v[111:112], v[103:104]
	s_waitcnt vmcnt(7) lgkmcnt(0)
	v_mul_f64 v[111:112], v[3:4], v[123:124]
	s_waitcnt vmcnt(6)
	v_fma_f64 v[97:98], v[97:98], v[181:182], -v[129:130]
	v_mul_f64 v[109:110], v[1:2], v[123:124]
	v_fma_f64 v[99:100], v[99:100], v[181:182], v[117:118]
	v_add_f64 v[101:102], v[101:102], v[105:106]
	v_add_f64 v[103:104], v[103:104], v[107:108]
	s_waitcnt vmcnt(4)
	v_fma_f64 v[1:2], v[1:2], v[121:122], -v[111:112]
	v_fma_f64 v[3:4], v[3:4], v[121:122], v[109:110]
	v_add_f64 v[97:98], v[101:102], v[97:98]
	v_add_f64 v[99:100], v[103:104], v[99:100]
	;; [unrolled: 1-line block ×4, first 2 shown]
	s_waitcnt vmcnt(2)
	v_add_f64 v[1:2], v[119:120], -v[1:2]
	s_waitcnt vmcnt(0)
	v_add_f64 v[3:4], v[127:128], -v[3:4]
	buffer_store_dword v2, off, s[0:3], 0 offset:420
	buffer_store_dword v1, off, s[0:3], 0 offset:416
	;; [unrolled: 1-line block ×4, first 2 shown]
	v_cmpx_lt_u32_e32 24, v0
	s_cbranch_execz .LBB109_241
; %bb.240:
	v_mov_b32_e32 v4, s34
	v_mov_b32_e32 v97, 0
	s_clause 0x3
	buffer_load_dword v1, v4, s[0:3], 0 offen
	buffer_load_dword v2, v4, s[0:3], 0 offen offset:4
	buffer_load_dword v3, v4, s[0:3], 0 offen offset:8
	;; [unrolled: 1-line block ×3, first 2 shown]
	buffer_store_dword v97, off, s[0:3], 0 offset:400
	buffer_store_dword v97, off, s[0:3], 0 offset:404
	;; [unrolled: 1-line block ×4, first 2 shown]
	s_waitcnt vmcnt(0)
	ds_write_b128 v153, v[1:4]
.LBB109_241:
	s_or_b32 exec_lo, exec_lo, s4
	s_waitcnt lgkmcnt(0)
	s_waitcnt_vscnt null, 0x0
	s_barrier
	buffer_gl0_inv
	s_clause 0x37
	buffer_load_dword v2, off, s[0:3], 0 offset:424
	buffer_load_dword v3, off, s[0:3], 0 offset:428
	;; [unrolled: 1-line block ×56, first 2 shown]
	v_mov_b32_e32 v1, 0
	s_mov_b32 s4, exec_lo
	ds_read_b128 v[97:100], v1 offset:1136
	s_clause 0x2
	buffer_load_dword v163, off, s[0:3], 0 offset:652
	buffer_load_dword v167, off, s[0:3], 0 offset:628
	;; [unrolled: 1-line block ×3, first 2 shown]
	ds_read_b128 v[101:104], v1 offset:1152
	s_clause 0x4
	buffer_load_dword v171, off, s[0:3], 0 offset:668
	buffer_load_dword v172, off, s[0:3], 0 offset:680
	;; [unrolled: 1-line block ×5, first 2 shown]
	ds_read_b128 v[105:108], v1 offset:1168
	s_waitcnt vmcnt(62) lgkmcnt(2)
	v_mul_f64 v[168:169], v[99:100], v[2:3]
	v_mul_f64 v[2:3], v[97:98], v[2:3]
	s_waitcnt vmcnt(60) lgkmcnt(1)
	v_mul_f64 v[175:176], v[103:104], v[109:110]
	v_mul_f64 v[109:110], v[101:102], v[109:110]
	;; [unrolled: 3-line block ×3, first 2 shown]
	v_fma_f64 v[168:169], v[97:98], v[111:112], -v[168:169]
	v_fma_f64 v[2:3], v[99:100], v[111:112], v[2:3]
	s_clause 0x2
	buffer_load_dword v173, off, s[0:3], 0 offset:684
	buffer_load_dword v112, off, s[0:3], 0 offset:660
	;; [unrolled: 1-line block ×3, first 2 shown]
	s_waitcnt vmcnt(57)
	v_fma_f64 v[179:180], v[101:102], v[115:116], -v[175:176]
	ds_read_b128 v[97:100], v1 offset:1184
	v_fma_f64 v[109:110], v[103:104], v[115:116], v[109:110]
	s_clause 0x4
	buffer_load_dword v116, off, s[0:3], 0 offset:700
	buffer_load_dword v176, off, s[0:3], 0 offset:712
	;; [unrolled: 1-line block ×5, first 2 shown]
	s_waitcnt vmcnt(56)
	v_fma_f64 v[113:114], v[105:106], v[123:124], -v[113:114]
	ds_read_b128 v[101:104], v1 offset:1200
	v_fma_f64 v[123:124], v[107:108], v[123:124], v[177:178]
	v_add_f64 v[168:169], v[168:169], 0
	v_add_f64 v[2:3], v[2:3], 0
	s_waitcnt lgkmcnt(1)
	v_mul_f64 v[182:183], v[97:98], v[117:118]
	v_mul_f64 v[117:118], v[99:100], v[117:118]
	v_add_f64 v[168:169], v[168:169], v[179:180]
	v_add_f64 v[2:3], v[2:3], v[109:110]
	s_clause 0x2
	buffer_load_dword v177, off, s[0:3], 0 offset:716
	buffer_load_dword v110, off, s[0:3], 0 offset:692
	;; [unrolled: 1-line block ×3, first 2 shown]
	s_waitcnt vmcnt(58) lgkmcnt(0)
	v_mul_f64 v[178:179], v[101:102], v[119:120]
	v_mul_f64 v[119:120], v[103:104], v[119:120]
	s_waitcnt vmcnt(56)
	v_fma_f64 v[117:118], v[97:98], v[125:126], -v[117:118]
	ds_read_b128 v[105:108], v1 offset:1216
	v_fma_f64 v[125:126], v[99:100], v[125:126], v[182:183]
	v_add_f64 v[113:114], v[168:169], v[113:114]
	v_add_f64 v[2:3], v[2:3], v[123:124]
	s_clause 0x4
	buffer_load_dword v124, off, s[0:3], 0 offset:732
	buffer_load_dword v168, off, s[0:3], 0 offset:744
	;; [unrolled: 1-line block ×5, first 2 shown]
	ds_read_b128 v[97:100], v1 offset:1232
	s_waitcnt vmcnt(57) lgkmcnt(1)
	v_mul_f64 v[184:185], v[105:106], v[127:128]
	v_mul_f64 v[127:128], v[107:108], v[127:128]
	s_waitcnt vmcnt(56)
	v_fma_f64 v[119:120], v[101:102], v[121:122], -v[119:120]
	v_add_f64 v[113:114], v[113:114], v[117:118]
	v_fma_f64 v[117:118], v[103:104], v[121:122], v[178:179]
	v_add_f64 v[2:3], v[2:3], v[125:126]
	s_clause 0x2
	buffer_load_dword v169, off, s[0:3], 0 offset:748
	buffer_load_dword v122, off, s[0:3], 0 offset:724
	buffer_load_dword v121, off, s[0:3], 0 offset:720
	s_waitcnt vmcnt(58) lgkmcnt(0)
	v_mul_f64 v[125:126], v[97:98], v[129:130]
	v_mul_f64 v[129:130], v[99:100], v[129:130]
	s_waitcnt vmcnt(56)
	v_fma_f64 v[127:128], v[105:106], v[133:134], -v[127:128]
	ds_read_b128 v[101:104], v1 offset:1248
	v_add_f64 v[113:114], v[113:114], v[119:120]
	v_fma_f64 v[119:120], v[107:108], v[133:134], v[184:185]
	v_add_f64 v[2:3], v[2:3], v[117:118]
	buffer_load_dword v184, off, s[0:3], 0 offset:740
	ds_read_b128 v[105:108], v1 offset:1264
	s_waitcnt vmcnt(53) lgkmcnt(1)
	v_mul_f64 v[133:134], v[103:104], v[135:136]
	s_waitcnt vmcnt(52)
	v_fma_f64 v[129:130], v[97:98], v[131:132], -v[129:130]
	v_mul_f64 v[117:118], v[101:102], v[135:136]
	v_fma_f64 v[125:126], v[99:100], v[131:132], v[125:126]
	ds_read_b128 v[97:100], v1 offset:1280
	v_add_f64 v[113:114], v[113:114], v[127:128]
	v_add_f64 v[2:3], v[2:3], v[119:120]
	s_waitcnt vmcnt(51) lgkmcnt(1)
	v_mul_f64 v[127:128], v[107:108], v[137:138]
	v_mul_f64 v[119:120], v[105:106], v[137:138]
	s_waitcnt vmcnt(49)
	v_fma_f64 v[131:132], v[101:102], v[141:142], -v[133:134]
	v_fma_f64 v[117:118], v[103:104], v[141:142], v[117:118]
	s_waitcnt vmcnt(45) lgkmcnt(0)
	v_mul_f64 v[135:136], v[99:100], v[143:144]
	v_mul_f64 v[133:134], v[97:98], v[143:144]
	v_add_f64 v[113:114], v[113:114], v[129:130]
	v_add_f64 v[2:3], v[2:3], v[125:126]
	s_clause 0x3
	buffer_load_dword v125, off, s[0:3], 0 offset:400
	buffer_load_dword v126, off, s[0:3], 0 offset:404
	;; [unrolled: 1-line block ×4, first 2 shown]
	s_waitcnt vmcnt(48)
	v_fma_f64 v[127:128], v[105:106], v[139:140], -v[127:128]
	ds_read_b128 v[101:104], v1 offset:1296
	v_fma_f64 v[119:120], v[107:108], v[139:140], v[119:120]
	ds_read_b128 v[105:108], v1 offset:1312
	s_waitcnt vmcnt(45)
	v_fma_f64 v[135:136], v[97:98], v[149:150], -v[135:136]
	v_add_f64 v[113:114], v[113:114], v[131:132]
	v_add_f64 v[2:3], v[2:3], v[117:118]
	s_waitcnt lgkmcnt(1)
	v_mul_f64 v[131:132], v[103:104], v[145:146]
	v_mul_f64 v[117:118], v[101:102], v[145:146]
	v_add_f64 v[113:114], v[113:114], v[127:128]
	v_fma_f64 v[127:128], v[99:100], v[149:150], v[133:134]
	v_add_f64 v[2:3], v[2:3], v[119:120]
	s_waitcnt vmcnt(41) lgkmcnt(0)
	v_mul_f64 v[133:134], v[107:108], v[151:152]
	s_waitcnt vmcnt(40)
	v_fma_f64 v[131:132], v[101:102], v[147:148], -v[131:132]
	ds_read_b128 v[97:100], v1 offset:1328
	v_mul_f64 v[119:120], v[105:106], v[151:152]
	v_fma_f64 v[117:118], v[103:104], v[147:148], v[117:118]
	ds_read_b128 v[101:104], v1 offset:1344
	v_add_f64 v[113:114], v[113:114], v[135:136]
	v_add_f64 v[2:3], v[2:3], v[127:128]
	s_waitcnt vmcnt(39) lgkmcnt(1)
	v_mul_f64 v[135:136], v[99:100], v[154:155]
	s_waitcnt vmcnt(37)
	v_fma_f64 v[133:134], v[105:106], v[158:159], -v[133:134]
	v_mul_f64 v[127:128], v[97:98], v[154:155]
	v_fma_f64 v[119:120], v[107:108], v[158:159], v[119:120]
	ds_read_b128 v[105:108], v1 offset:1360
	v_add_f64 v[113:114], v[113:114], v[131:132]
	s_waitcnt vmcnt(33) lgkmcnt(1)
	v_mul_f64 v[131:132], v[103:104], v[160:161]
	v_add_f64 v[2:3], v[2:3], v[117:118]
	s_waitcnt vmcnt(32)
	v_fma_f64 v[135:136], v[97:98], v[156:157], -v[135:136]
	v_mul_f64 v[117:118], v[101:102], v[160:161]
	v_fma_f64 v[127:128], v[99:100], v[156:157], v[127:128]
	ds_read_b128 v[97:100], v1 offset:1376
	v_add_f64 v[113:114], v[113:114], v[133:134]
	s_waitcnt vmcnt(31) lgkmcnt(1)
	v_mul_f64 v[133:134], v[107:108], v[162:163]
	v_add_f64 v[2:3], v[2:3], v[119:120]
	;; [unrolled: 9-line block ×3, first 2 shown]
	s_waitcnt vmcnt(24)
	v_fma_f64 v[133:134], v[105:106], v[164:165], -v[133:134]
	v_mul_f64 v[127:128], v[97:98], v[170:171]
	v_fma_f64 v[119:120], v[107:108], v[164:165], v[119:120]
	ds_read_b128 v[105:108], v1 offset:1408
	v_add_f64 v[113:114], v[113:114], v[131:132]
	v_add_f64 v[2:3], v[2:3], v[117:118]
	s_waitcnt vmcnt(23) lgkmcnt(1)
	v_mul_f64 v[131:132], v[103:104], v[172:173]
	v_mul_f64 v[117:118], v[101:102], v[172:173]
	s_waitcnt vmcnt(21)
	v_fma_f64 v[135:136], v[97:98], v[111:112], -v[135:136]
	v_fma_f64 v[111:112], v[99:100], v[111:112], v[127:128]
	ds_read_b128 v[97:100], v1 offset:1424
	v_add_f64 v[113:114], v[113:114], v[133:134]
	v_add_f64 v[2:3], v[2:3], v[119:120]
	s_waitcnt vmcnt(17) lgkmcnt(1)
	v_mul_f64 v[119:120], v[105:106], v[115:116]
	v_mul_f64 v[115:116], v[107:108], v[115:116]
	s_waitcnt vmcnt(16)
	v_fma_f64 v[127:128], v[101:102], v[174:175], -v[131:132]
	;; [unrolled: 9-line block ×3, first 2 shown]
	v_fma_f64 v[109:110], v[107:108], v[109:110], v[119:120]
	ds_read_b128 v[105:108], v1 offset:1456
	v_add_f64 v[113:114], v[113:114], v[127:128]
	v_add_f64 v[2:3], v[2:3], v[117:118]
	s_waitcnt vmcnt(9) lgkmcnt(1)
	v_mul_f64 v[119:120], v[103:104], v[123:124]
	s_waitcnt vmcnt(8)
	v_fma_f64 v[97:98], v[97:98], v[181:182], -v[131:132]
	v_mul_f64 v[117:118], v[101:102], v[123:124]
	v_fma_f64 v[99:100], v[99:100], v[181:182], v[111:112]
	v_add_f64 v[113:114], v[113:114], v[115:116]
	v_add_f64 v[2:3], v[2:3], v[109:110]
	s_waitcnt vmcnt(7) lgkmcnt(0)
	v_mul_f64 v[111:112], v[107:108], v[168:169]
	v_mul_f64 v[109:110], v[105:106], v[168:169]
	s_waitcnt vmcnt(5)
	v_fma_f64 v[101:102], v[101:102], v[121:122], -v[119:120]
	v_fma_f64 v[103:104], v[103:104], v[121:122], v[117:118]
	v_add_f64 v[97:98], v[113:114], v[97:98]
	v_add_f64 v[2:3], v[2:3], v[99:100]
	s_waitcnt vmcnt(4)
	v_fma_f64 v[99:100], v[105:106], v[183:184], -v[111:112]
	v_add_f64 v[97:98], v[97:98], v[101:102]
	v_fma_f64 v[101:102], v[107:108], v[183:184], v[109:110]
	v_add_f64 v[2:3], v[2:3], v[103:104]
	v_add_f64 v[97:98], v[97:98], v[99:100]
	v_add_f64 v[2:3], v[2:3], v[101:102]
	s_waitcnt vmcnt(2)
	v_add_f64 v[97:98], v[125:126], -v[97:98]
	s_waitcnt vmcnt(0)
	v_add_f64 v[2:3], v[129:130], -v[2:3]
	buffer_store_dword v98, off, s[0:3], 0 offset:404
	buffer_store_dword v97, off, s[0:3], 0 offset:400
	;; [unrolled: 1-line block ×4, first 2 shown]
	v_cmpx_lt_u32_e32 23, v0
	s_cbranch_execz .LBB109_243
; %bb.242:
	v_mov_b32_e32 v2, s35
	s_clause 0x3
	buffer_load_dword v97, v2, s[0:3], 0 offen
	buffer_load_dword v98, v2, s[0:3], 0 offen offset:4
	buffer_load_dword v99, v2, s[0:3], 0 offen offset:8
	;; [unrolled: 1-line block ×3, first 2 shown]
	buffer_store_dword v1, off, s[0:3], 0 offset:384
	buffer_store_dword v1, off, s[0:3], 0 offset:388
	;; [unrolled: 1-line block ×4, first 2 shown]
	s_waitcnt vmcnt(0)
	ds_write_b128 v153, v[97:100]
.LBB109_243:
	s_or_b32 exec_lo, exec_lo, s4
	s_waitcnt lgkmcnt(0)
	s_waitcnt_vscnt null, 0x0
	s_barrier
	buffer_gl0_inv
	s_clause 0x37
	buffer_load_dword v2, off, s[0:3], 0 offset:408
	buffer_load_dword v3, off, s[0:3], 0 offset:412
	;; [unrolled: 1-line block ×56, first 2 shown]
	ds_read_b128 v[97:100], v1 offset:1120
	s_clause 0x2
	buffer_load_dword v163, off, s[0:3], 0 offset:636
	buffer_load_dword v167, off, s[0:3], 0 offset:612
	;; [unrolled: 1-line block ×3, first 2 shown]
	ds_read_b128 v[101:104], v1 offset:1136
	s_clause 0x4
	buffer_load_dword v171, off, s[0:3], 0 offset:652
	buffer_load_dword v172, off, s[0:3], 0 offset:664
	;; [unrolled: 1-line block ×5, first 2 shown]
	ds_read_b128 v[105:108], v1 offset:1152
	s_mov_b32 s4, exec_lo
	s_waitcnt vmcnt(62) lgkmcnt(2)
	v_mul_f64 v[168:169], v[99:100], v[2:3]
	v_mul_f64 v[2:3], v[97:98], v[2:3]
	s_waitcnt vmcnt(60) lgkmcnt(1)
	v_mul_f64 v[175:176], v[103:104], v[109:110]
	v_mul_f64 v[109:110], v[101:102], v[109:110]
	;; [unrolled: 3-line block ×3, first 2 shown]
	v_fma_f64 v[168:169], v[97:98], v[111:112], -v[168:169]
	v_fma_f64 v[2:3], v[99:100], v[111:112], v[2:3]
	s_clause 0x2
	buffer_load_dword v173, off, s[0:3], 0 offset:668
	buffer_load_dword v112, off, s[0:3], 0 offset:644
	buffer_load_dword v111, off, s[0:3], 0 offset:640
	s_waitcnt vmcnt(57)
	v_fma_f64 v[179:180], v[101:102], v[115:116], -v[175:176]
	ds_read_b128 v[97:100], v1 offset:1168
	v_fma_f64 v[109:110], v[103:104], v[115:116], v[109:110]
	s_clause 0x4
	buffer_load_dword v116, off, s[0:3], 0 offset:684
	buffer_load_dword v176, off, s[0:3], 0 offset:696
	;; [unrolled: 1-line block ×5, first 2 shown]
	s_waitcnt vmcnt(56)
	v_fma_f64 v[113:114], v[105:106], v[123:124], -v[113:114]
	ds_read_b128 v[101:104], v1 offset:1184
	v_fma_f64 v[123:124], v[107:108], v[123:124], v[177:178]
	v_add_f64 v[168:169], v[168:169], 0
	v_add_f64 v[2:3], v[2:3], 0
	s_waitcnt lgkmcnt(1)
	v_mul_f64 v[182:183], v[97:98], v[117:118]
	v_mul_f64 v[117:118], v[99:100], v[117:118]
	v_add_f64 v[168:169], v[168:169], v[179:180]
	v_add_f64 v[2:3], v[2:3], v[109:110]
	s_clause 0x2
	buffer_load_dword v177, off, s[0:3], 0 offset:700
	buffer_load_dword v110, off, s[0:3], 0 offset:676
	buffer_load_dword v109, off, s[0:3], 0 offset:672
	s_waitcnt vmcnt(58) lgkmcnt(0)
	v_mul_f64 v[178:179], v[101:102], v[119:120]
	v_mul_f64 v[119:120], v[103:104], v[119:120]
	s_waitcnt vmcnt(56)
	v_fma_f64 v[117:118], v[97:98], v[125:126], -v[117:118]
	ds_read_b128 v[105:108], v1 offset:1200
	v_fma_f64 v[125:126], v[99:100], v[125:126], v[182:183]
	v_add_f64 v[113:114], v[168:169], v[113:114]
	v_add_f64 v[2:3], v[2:3], v[123:124]
	s_clause 0x4
	buffer_load_dword v124, off, s[0:3], 0 offset:716
	buffer_load_dword v168, off, s[0:3], 0 offset:728
	;; [unrolled: 1-line block ×5, first 2 shown]
	ds_read_b128 v[97:100], v1 offset:1216
	s_waitcnt vmcnt(57) lgkmcnt(1)
	v_mul_f64 v[184:185], v[105:106], v[127:128]
	v_mul_f64 v[127:128], v[107:108], v[127:128]
	s_waitcnt vmcnt(56)
	v_fma_f64 v[119:120], v[101:102], v[121:122], -v[119:120]
	v_add_f64 v[113:114], v[113:114], v[117:118]
	v_fma_f64 v[117:118], v[103:104], v[121:122], v[178:179]
	v_add_f64 v[2:3], v[2:3], v[125:126]
	s_clause 0x2
	buffer_load_dword v169, off, s[0:3], 0 offset:732
	buffer_load_dword v122, off, s[0:3], 0 offset:708
	;; [unrolled: 1-line block ×3, first 2 shown]
	s_waitcnt vmcnt(58) lgkmcnt(0)
	v_mul_f64 v[125:126], v[97:98], v[129:130]
	v_mul_f64 v[129:130], v[99:100], v[129:130]
	s_waitcnt vmcnt(56)
	v_fma_f64 v[127:128], v[105:106], v[133:134], -v[127:128]
	ds_read_b128 v[101:104], v1 offset:1232
	v_add_f64 v[113:114], v[113:114], v[119:120]
	v_fma_f64 v[119:120], v[107:108], v[133:134], v[184:185]
	v_add_f64 v[2:3], v[2:3], v[117:118]
	s_clause 0x2
	buffer_load_dword v118, off, s[0:3], 0 offset:748
	buffer_load_dword v117, off, s[0:3], 0 offset:744
	;; [unrolled: 1-line block ×3, first 2 shown]
	ds_read_b128 v[105:108], v1 offset:1248
	s_waitcnt vmcnt(55) lgkmcnt(1)
	v_mul_f64 v[133:134], v[101:102], v[135:136]
	v_mul_f64 v[135:136], v[103:104], v[135:136]
	s_waitcnt vmcnt(54)
	v_fma_f64 v[129:130], v[97:98], v[131:132], -v[129:130]
	v_fma_f64 v[125:126], v[99:100], v[131:132], v[125:126]
	v_add_f64 v[113:114], v[113:114], v[127:128]
	v_add_f64 v[2:3], v[2:3], v[119:120]
	s_clause 0x1
	buffer_load_dword v120, off, s[0:3], 0 offset:740
	buffer_load_dword v119, off, s[0:3], 0 offset:736
	s_waitcnt vmcnt(55) lgkmcnt(0)
	v_mul_f64 v[131:132], v[107:108], v[137:138]
	ds_read_b128 v[97:100], v1 offset:1264
	s_waitcnt vmcnt(53)
	v_fma_f64 v[135:136], v[101:102], v[141:142], -v[135:136]
	v_mul_f64 v[127:128], v[105:106], v[137:138]
	v_add_f64 v[113:114], v[113:114], v[129:130]
	v_fma_f64 v[129:130], v[103:104], v[141:142], v[133:134]
	v_add_f64 v[2:3], v[2:3], v[125:126]
	ds_read_b128 v[101:104], v1 offset:1280
	s_waitcnt vmcnt(49) lgkmcnt(1)
	v_mul_f64 v[133:134], v[99:100], v[143:144]
	s_waitcnt vmcnt(48)
	v_fma_f64 v[131:132], v[105:106], v[139:140], -v[131:132]
	v_mul_f64 v[125:126], v[97:98], v[143:144]
	v_fma_f64 v[127:128], v[107:108], v[139:140], v[127:128]
	v_add_f64 v[113:114], v[113:114], v[135:136]
	s_waitcnt vmcnt(47) lgkmcnt(0)
	v_mul_f64 v[139:140], v[103:104], v[145:146]
	v_add_f64 v[2:3], v[2:3], v[129:130]
	s_clause 0x3
	buffer_load_dword v129, off, s[0:3], 0 offset:384
	buffer_load_dword v130, off, s[0:3], 0 offset:388
	;; [unrolled: 1-line block ×4, first 2 shown]
	s_waitcnt vmcnt(49)
	v_fma_f64 v[133:134], v[97:98], v[149:150], -v[133:134]
	ds_read_b128 v[105:108], v1 offset:1296
	v_mul_f64 v[137:138], v[101:102], v[145:146]
	v_fma_f64 v[125:126], v[99:100], v[149:150], v[125:126]
	ds_read_b128 v[97:100], v1 offset:1312
	v_add_f64 v[113:114], v[113:114], v[131:132]
	s_waitcnt vmcnt(44)
	v_fma_f64 v[139:140], v[101:102], v[147:148], -v[139:140]
	v_add_f64 v[2:3], v[2:3], v[127:128]
	s_waitcnt lgkmcnt(1)
	v_mul_f64 v[131:132], v[107:108], v[151:152]
	v_mul_f64 v[127:128], v[105:106], v[151:152]
	v_add_f64 v[113:114], v[113:114], v[133:134]
	v_fma_f64 v[133:134], v[103:104], v[147:148], v[137:138]
	v_add_f64 v[2:3], v[2:3], v[125:126]
	s_waitcnt vmcnt(43) lgkmcnt(0)
	v_mul_f64 v[137:138], v[99:100], v[154:155]
	s_waitcnt vmcnt(41)
	v_fma_f64 v[131:132], v[105:106], v[158:159], -v[131:132]
	ds_read_b128 v[101:104], v1 offset:1328
	v_mul_f64 v[125:126], v[97:98], v[154:155]
	v_fma_f64 v[127:128], v[107:108], v[158:159], v[127:128]
	ds_read_b128 v[105:108], v1 offset:1344
	v_add_f64 v[113:114], v[113:114], v[139:140]
	v_add_f64 v[2:3], v[2:3], v[133:134]
	s_waitcnt vmcnt(37) lgkmcnt(1)
	v_mul_f64 v[139:140], v[103:104], v[160:161]
	s_waitcnt vmcnt(36)
	v_fma_f64 v[137:138], v[97:98], v[156:157], -v[137:138]
	v_mul_f64 v[133:134], v[101:102], v[160:161]
	v_fma_f64 v[125:126], v[99:100], v[156:157], v[125:126]
	ds_read_b128 v[97:100], v1 offset:1360
	v_add_f64 v[113:114], v[113:114], v[131:132]
	s_waitcnt vmcnt(35) lgkmcnt(1)
	v_mul_f64 v[131:132], v[107:108], v[162:163]
	v_add_f64 v[2:3], v[2:3], v[127:128]
	s_waitcnt vmcnt(33)
	v_fma_f64 v[139:140], v[101:102], v[166:167], -v[139:140]
	v_mul_f64 v[127:128], v[105:106], v[162:163]
	v_fma_f64 v[133:134], v[103:104], v[166:167], v[133:134]
	ds_read_b128 v[101:104], v1 offset:1376
	v_add_f64 v[113:114], v[113:114], v[137:138]
	s_waitcnt vmcnt(29) lgkmcnt(1)
	v_mul_f64 v[137:138], v[99:100], v[170:171]
	v_add_f64 v[2:3], v[2:3], v[125:126]
	s_waitcnt vmcnt(28)
	v_fma_f64 v[131:132], v[105:106], v[164:165], -v[131:132]
	v_mul_f64 v[125:126], v[97:98], v[170:171]
	v_fma_f64 v[127:128], v[107:108], v[164:165], v[127:128]
	ds_read_b128 v[105:108], v1 offset:1392
	v_add_f64 v[113:114], v[113:114], v[139:140]
	v_add_f64 v[2:3], v[2:3], v[133:134]
	s_waitcnt vmcnt(27) lgkmcnt(1)
	v_mul_f64 v[139:140], v[103:104], v[172:173]
	v_mul_f64 v[133:134], v[101:102], v[172:173]
	s_waitcnt vmcnt(25)
	v_fma_f64 v[137:138], v[97:98], v[111:112], -v[137:138]
	v_fma_f64 v[111:112], v[99:100], v[111:112], v[125:126]
	ds_read_b128 v[97:100], v1 offset:1408
	s_waitcnt vmcnt(21) lgkmcnt(1)
	v_mul_f64 v[125:126], v[105:106], v[115:116]
	v_mul_f64 v[115:116], v[107:108], v[115:116]
	v_add_f64 v[113:114], v[113:114], v[131:132]
	v_add_f64 v[2:3], v[2:3], v[127:128]
	s_waitcnt vmcnt(20)
	v_fma_f64 v[127:128], v[101:102], v[174:175], -v[139:140]
	v_fma_f64 v[131:132], v[103:104], v[174:175], v[133:134]
	ds_read_b128 v[101:104], v1 offset:1424
	v_add_f64 v[113:114], v[113:114], v[137:138]
	v_add_f64 v[2:3], v[2:3], v[111:112]
	s_waitcnt vmcnt(19) lgkmcnt(1)
	v_mul_f64 v[133:134], v[99:100], v[176:177]
	v_mul_f64 v[111:112], v[97:98], v[176:177]
	s_waitcnt vmcnt(17)
	v_fma_f64 v[115:116], v[105:106], v[109:110], -v[115:116]
	v_fma_f64 v[109:110], v[107:108], v[109:110], v[125:126]
	ds_read_b128 v[105:108], v1 offset:1440
	v_add_f64 v[113:114], v[113:114], v[127:128]
	v_add_f64 v[2:3], v[2:3], v[131:132]
	s_waitcnt vmcnt(13) lgkmcnt(1)
	v_mul_f64 v[125:126], v[101:102], v[123:124]
	v_mul_f64 v[123:124], v[103:104], v[123:124]
	s_waitcnt vmcnt(12)
	v_fma_f64 v[97:98], v[97:98], v[181:182], -v[133:134]
	v_fma_f64 v[99:100], v[99:100], v[181:182], v[111:112]
	v_add_f64 v[113:114], v[113:114], v[115:116]
	v_add_f64 v[109:110], v[2:3], v[109:110]
	ds_read_b128 v[1:4], v1 offset:1456
	s_waitcnt vmcnt(11) lgkmcnt(1)
	v_mul_f64 v[115:116], v[107:108], v[168:169]
	v_mul_f64 v[111:112], v[105:106], v[168:169]
	s_waitcnt vmcnt(9)
	v_fma_f64 v[101:102], v[101:102], v[121:122], -v[123:124]
	v_fma_f64 v[103:104], v[103:104], v[121:122], v[125:126]
	v_add_f64 v[97:98], v[113:114], v[97:98]
	v_add_f64 v[99:100], v[109:110], v[99:100]
	s_waitcnt vmcnt(7) lgkmcnt(0)
	v_mul_f64 v[113:114], v[3:4], v[117:118]
	s_waitcnt vmcnt(6)
	v_fma_f64 v[105:106], v[105:106], v[183:184], -v[115:116]
	v_mul_f64 v[109:110], v[1:2], v[117:118]
	v_add_f64 v[97:98], v[97:98], v[101:102]
	v_fma_f64 v[101:102], v[107:108], v[183:184], v[111:112]
	v_add_f64 v[99:100], v[99:100], v[103:104]
	s_waitcnt vmcnt(4)
	v_fma_f64 v[1:2], v[1:2], v[119:120], -v[113:114]
	v_fma_f64 v[3:4], v[3:4], v[119:120], v[109:110]
	v_add_f64 v[97:98], v[97:98], v[105:106]
	v_add_f64 v[99:100], v[99:100], v[101:102]
	;; [unrolled: 1-line block ×4, first 2 shown]
	s_waitcnt vmcnt(2)
	v_add_f64 v[1:2], v[129:130], -v[1:2]
	s_waitcnt vmcnt(0)
	v_add_f64 v[3:4], v[135:136], -v[3:4]
	buffer_store_dword v2, off, s[0:3], 0 offset:388
	buffer_store_dword v1, off, s[0:3], 0 offset:384
	;; [unrolled: 1-line block ×4, first 2 shown]
	v_cmpx_lt_u32_e32 22, v0
	s_cbranch_execz .LBB109_245
; %bb.244:
	v_mov_b32_e32 v4, s36
	v_mov_b32_e32 v97, 0
	s_clause 0x3
	buffer_load_dword v1, v4, s[0:3], 0 offen
	buffer_load_dword v2, v4, s[0:3], 0 offen offset:4
	buffer_load_dword v3, v4, s[0:3], 0 offen offset:8
	;; [unrolled: 1-line block ×3, first 2 shown]
	buffer_store_dword v97, off, s[0:3], 0 offset:368
	buffer_store_dword v97, off, s[0:3], 0 offset:372
	;; [unrolled: 1-line block ×4, first 2 shown]
	s_waitcnt vmcnt(0)
	ds_write_b128 v153, v[1:4]
.LBB109_245:
	s_or_b32 exec_lo, exec_lo, s4
	s_waitcnt lgkmcnt(0)
	s_waitcnt_vscnt null, 0x0
	s_barrier
	buffer_gl0_inv
	s_clause 0x37
	buffer_load_dword v2, off, s[0:3], 0 offset:392
	buffer_load_dword v3, off, s[0:3], 0 offset:396
	buffer_load_dword v109, off, s[0:3], 0 offset:408
	buffer_load_dword v110, off, s[0:3], 0 offset:412
	buffer_load_dword v111, off, s[0:3], 0 offset:384
	buffer_load_dword v112, off, s[0:3], 0 offset:388
	buffer_load_dword v113, off, s[0:3], 0 offset:424
	buffer_load_dword v114, off, s[0:3], 0 offset:428
	buffer_load_dword v115, off, s[0:3], 0 offset:400
	buffer_load_dword v116, off, s[0:3], 0 offset:404
	buffer_load_dword v118, off, s[0:3], 0 offset:444
	buffer_load_dword v119, off, s[0:3], 0 offset:456
	buffer_load_dword v121, off, s[0:3], 0 offset:448
	buffer_load_dword v117, off, s[0:3], 0 offset:440
	buffer_load_dword v123, off, s[0:3], 0 offset:416
	buffer_load_dword v124, off, s[0:3], 0 offset:420
	buffer_load_dword v120, off, s[0:3], 0 offset:460
	buffer_load_dword v126, off, s[0:3], 0 offset:436
	buffer_load_dword v125, off, s[0:3], 0 offset:432
	buffer_load_dword v128, off, s[0:3], 0 offset:476
	buffer_load_dword v129, off, s[0:3], 0 offset:488
	buffer_load_dword v131, off, s[0:3], 0 offset:480
	buffer_load_dword v127, off, s[0:3], 0 offset:472
	buffer_load_dword v122, off, s[0:3], 0 offset:452
	buffer_load_dword v130, off, s[0:3], 0 offset:492
	buffer_load_dword v134, off, s[0:3], 0 offset:468
	buffer_load_dword v133, off, s[0:3], 0 offset:464
	buffer_load_dword v136, off, s[0:3], 0 offset:508
	buffer_load_dword v137, off, s[0:3], 0 offset:520
	buffer_load_dword v139, off, s[0:3], 0 offset:512
	buffer_load_dword v135, off, s[0:3], 0 offset:504
	buffer_load_dword v132, off, s[0:3], 0 offset:484
	buffer_load_dword v138, off, s[0:3], 0 offset:524
	buffer_load_dword v142, off, s[0:3], 0 offset:500
	buffer_load_dword v141, off, s[0:3], 0 offset:496
	buffer_load_dword v144, off, s[0:3], 0 offset:540
	buffer_load_dword v145, off, s[0:3], 0 offset:552
	buffer_load_dword v147, off, s[0:3], 0 offset:544
	buffer_load_dword v143, off, s[0:3], 0 offset:536
	buffer_load_dword v140, off, s[0:3], 0 offset:516
	buffer_load_dword v146, off, s[0:3], 0 offset:556
	buffer_load_dword v150, off, s[0:3], 0 offset:532
	buffer_load_dword v149, off, s[0:3], 0 offset:528
	buffer_load_dword v152, off, s[0:3], 0 offset:572
	buffer_load_dword v154, off, s[0:3], 0 offset:584
	buffer_load_dword v156, off, s[0:3], 0 offset:576
	buffer_load_dword v151, off, s[0:3], 0 offset:568
	buffer_load_dword v148, off, s[0:3], 0 offset:548
	buffer_load_dword v155, off, s[0:3], 0 offset:588
	buffer_load_dword v159, off, s[0:3], 0 offset:564
	buffer_load_dword v158, off, s[0:3], 0 offset:560
	buffer_load_dword v161, off, s[0:3], 0 offset:604
	buffer_load_dword v162, off, s[0:3], 0 offset:616
	buffer_load_dword v164, off, s[0:3], 0 offset:608
	buffer_load_dword v160, off, s[0:3], 0 offset:600
	buffer_load_dword v157, off, s[0:3], 0 offset:580
	v_mov_b32_e32 v1, 0
	s_mov_b32 s4, exec_lo
	ds_read_b128 v[97:100], v1 offset:1104
	s_clause 0x2
	buffer_load_dword v163, off, s[0:3], 0 offset:620
	buffer_load_dword v167, off, s[0:3], 0 offset:596
	;; [unrolled: 1-line block ×3, first 2 shown]
	ds_read_b128 v[101:104], v1 offset:1120
	s_clause 0x4
	buffer_load_dword v171, off, s[0:3], 0 offset:636
	buffer_load_dword v172, off, s[0:3], 0 offset:648
	;; [unrolled: 1-line block ×5, first 2 shown]
	ds_read_b128 v[105:108], v1 offset:1136
	s_waitcnt vmcnt(62) lgkmcnt(2)
	v_mul_f64 v[168:169], v[99:100], v[2:3]
	v_mul_f64 v[2:3], v[97:98], v[2:3]
	s_waitcnt vmcnt(60) lgkmcnt(1)
	v_mul_f64 v[175:176], v[103:104], v[109:110]
	v_mul_f64 v[109:110], v[101:102], v[109:110]
	;; [unrolled: 3-line block ×3, first 2 shown]
	v_fma_f64 v[168:169], v[97:98], v[111:112], -v[168:169]
	v_fma_f64 v[2:3], v[99:100], v[111:112], v[2:3]
	s_clause 0x2
	buffer_load_dword v173, off, s[0:3], 0 offset:652
	buffer_load_dword v112, off, s[0:3], 0 offset:628
	;; [unrolled: 1-line block ×3, first 2 shown]
	s_waitcnt vmcnt(57)
	v_fma_f64 v[179:180], v[101:102], v[115:116], -v[175:176]
	ds_read_b128 v[97:100], v1 offset:1152
	v_fma_f64 v[109:110], v[103:104], v[115:116], v[109:110]
	s_clause 0x4
	buffer_load_dword v116, off, s[0:3], 0 offset:668
	buffer_load_dword v176, off, s[0:3], 0 offset:680
	;; [unrolled: 1-line block ×5, first 2 shown]
	s_waitcnt vmcnt(56)
	v_fma_f64 v[113:114], v[105:106], v[123:124], -v[113:114]
	ds_read_b128 v[101:104], v1 offset:1168
	v_fma_f64 v[123:124], v[107:108], v[123:124], v[177:178]
	v_add_f64 v[168:169], v[168:169], 0
	v_add_f64 v[2:3], v[2:3], 0
	s_waitcnt lgkmcnt(1)
	v_mul_f64 v[182:183], v[97:98], v[117:118]
	v_mul_f64 v[117:118], v[99:100], v[117:118]
	v_add_f64 v[168:169], v[168:169], v[179:180]
	v_add_f64 v[2:3], v[2:3], v[109:110]
	s_clause 0x2
	buffer_load_dword v177, off, s[0:3], 0 offset:684
	buffer_load_dword v110, off, s[0:3], 0 offset:660
	;; [unrolled: 1-line block ×3, first 2 shown]
	s_waitcnt vmcnt(58) lgkmcnt(0)
	v_mul_f64 v[178:179], v[101:102], v[119:120]
	v_mul_f64 v[119:120], v[103:104], v[119:120]
	s_waitcnt vmcnt(56)
	v_fma_f64 v[117:118], v[97:98], v[125:126], -v[117:118]
	ds_read_b128 v[105:108], v1 offset:1184
	v_fma_f64 v[125:126], v[99:100], v[125:126], v[182:183]
	v_add_f64 v[113:114], v[168:169], v[113:114]
	v_add_f64 v[2:3], v[2:3], v[123:124]
	s_clause 0x4
	buffer_load_dword v124, off, s[0:3], 0 offset:700
	buffer_load_dword v168, off, s[0:3], 0 offset:712
	;; [unrolled: 1-line block ×5, first 2 shown]
	ds_read_b128 v[97:100], v1 offset:1200
	s_waitcnt vmcnt(57) lgkmcnt(1)
	v_mul_f64 v[184:185], v[105:106], v[127:128]
	v_mul_f64 v[127:128], v[107:108], v[127:128]
	s_waitcnt vmcnt(56)
	v_fma_f64 v[119:120], v[101:102], v[121:122], -v[119:120]
	v_add_f64 v[113:114], v[113:114], v[117:118]
	v_fma_f64 v[117:118], v[103:104], v[121:122], v[178:179]
	v_add_f64 v[2:3], v[2:3], v[125:126]
	s_clause 0x2
	buffer_load_dword v169, off, s[0:3], 0 offset:716
	buffer_load_dword v122, off, s[0:3], 0 offset:692
	;; [unrolled: 1-line block ×3, first 2 shown]
	s_waitcnt vmcnt(58) lgkmcnt(0)
	v_mul_f64 v[125:126], v[97:98], v[129:130]
	v_mul_f64 v[129:130], v[99:100], v[129:130]
	s_waitcnt vmcnt(56)
	v_fma_f64 v[127:128], v[105:106], v[133:134], -v[127:128]
	ds_read_b128 v[101:104], v1 offset:1216
	v_add_f64 v[113:114], v[113:114], v[119:120]
	v_fma_f64 v[119:120], v[107:108], v[133:134], v[184:185]
	v_add_f64 v[2:3], v[2:3], v[117:118]
	s_clause 0x4
	buffer_load_dword v118, off, s[0:3], 0 offset:732
	buffer_load_dword v133, off, s[0:3], 0 offset:744
	;; [unrolled: 1-line block ×5, first 2 shown]
	ds_read_b128 v[105:108], v1 offset:1232
	s_waitcnt vmcnt(57) lgkmcnt(1)
	v_mul_f64 v[179:180], v[101:102], v[135:136]
	v_mul_f64 v[135:136], v[103:104], v[135:136]
	s_waitcnt vmcnt(56)
	v_fma_f64 v[129:130], v[97:98], v[131:132], -v[129:130]
	v_fma_f64 v[125:126], v[99:100], v[131:132], v[125:126]
	v_add_f64 v[113:114], v[113:114], v[127:128]
	v_add_f64 v[2:3], v[2:3], v[119:120]
	s_clause 0x2
	buffer_load_dword v134, off, s[0:3], 0 offset:748
	buffer_load_dword v120, off, s[0:3], 0 offset:724
	;; [unrolled: 1-line block ×3, first 2 shown]
	s_waitcnt vmcnt(58) lgkmcnt(0)
	v_mul_f64 v[131:132], v[107:108], v[137:138]
	ds_read_b128 v[97:100], v1 offset:1248
	s_waitcnt vmcnt(56)
	v_fma_f64 v[135:136], v[101:102], v[141:142], -v[135:136]
	v_mul_f64 v[127:128], v[105:106], v[137:138]
	v_add_f64 v[113:114], v[113:114], v[129:130]
	v_fma_f64 v[129:130], v[103:104], v[141:142], v[179:180]
	v_add_f64 v[2:3], v[2:3], v[125:126]
	buffer_load_dword v179, off, s[0:3], 0 offset:740
	ds_read_b128 v[101:104], v1 offset:1264
	s_waitcnt vmcnt(53) lgkmcnt(1)
	v_mul_f64 v[137:138], v[99:100], v[143:144]
	s_waitcnt vmcnt(52)
	v_fma_f64 v[131:132], v[105:106], v[139:140], -v[131:132]
	v_mul_f64 v[125:126], v[97:98], v[143:144]
	v_fma_f64 v[127:128], v[107:108], v[139:140], v[127:128]
	ds_read_b128 v[105:108], v1 offset:1280
	v_add_f64 v[113:114], v[113:114], v[135:136]
	v_add_f64 v[2:3], v[2:3], v[129:130]
	s_waitcnt vmcnt(51) lgkmcnt(1)
	v_mul_f64 v[135:136], v[103:104], v[145:146]
	v_mul_f64 v[129:130], v[101:102], v[145:146]
	s_waitcnt vmcnt(49)
	v_fma_f64 v[137:138], v[97:98], v[149:150], -v[137:138]
	v_fma_f64 v[125:126], v[99:100], v[149:150], v[125:126]
	s_waitcnt vmcnt(45) lgkmcnt(0)
	v_mul_f64 v[141:142], v[107:108], v[151:152]
	v_mul_f64 v[139:140], v[105:106], v[151:152]
	v_add_f64 v[113:114], v[113:114], v[131:132]
	v_add_f64 v[2:3], v[2:3], v[127:128]
	s_clause 0x3
	buffer_load_dword v127, off, s[0:3], 0 offset:368
	buffer_load_dword v128, off, s[0:3], 0 offset:372
	;; [unrolled: 1-line block ×4, first 2 shown]
	s_waitcnt vmcnt(48)
	v_fma_f64 v[135:136], v[101:102], v[147:148], -v[135:136]
	ds_read_b128 v[97:100], v1 offset:1296
	v_fma_f64 v[129:130], v[103:104], v[147:148], v[129:130]
	ds_read_b128 v[101:104], v1 offset:1312
	s_waitcnt vmcnt(45)
	v_fma_f64 v[141:142], v[105:106], v[158:159], -v[141:142]
	v_add_f64 v[113:114], v[113:114], v[137:138]
	v_add_f64 v[2:3], v[2:3], v[125:126]
	s_waitcnt lgkmcnt(1)
	v_mul_f64 v[137:138], v[99:100], v[154:155]
	v_mul_f64 v[125:126], v[97:98], v[154:155]
	v_add_f64 v[113:114], v[113:114], v[135:136]
	v_fma_f64 v[135:136], v[107:108], v[158:159], v[139:140]
	v_add_f64 v[2:3], v[2:3], v[129:130]
	s_waitcnt vmcnt(41) lgkmcnt(0)
	v_mul_f64 v[139:140], v[103:104], v[160:161]
	s_waitcnt vmcnt(40)
	v_fma_f64 v[137:138], v[97:98], v[156:157], -v[137:138]
	ds_read_b128 v[105:108], v1 offset:1328
	v_mul_f64 v[129:130], v[101:102], v[160:161]
	v_fma_f64 v[125:126], v[99:100], v[156:157], v[125:126]
	ds_read_b128 v[97:100], v1 offset:1344
	v_add_f64 v[113:114], v[113:114], v[141:142]
	v_add_f64 v[2:3], v[2:3], v[135:136]
	s_waitcnt vmcnt(39) lgkmcnt(1)
	v_mul_f64 v[141:142], v[107:108], v[162:163]
	s_waitcnt vmcnt(37)
	v_fma_f64 v[139:140], v[101:102], v[166:167], -v[139:140]
	v_mul_f64 v[135:136], v[105:106], v[162:163]
	v_fma_f64 v[129:130], v[103:104], v[166:167], v[129:130]
	ds_read_b128 v[101:104], v1 offset:1360
	v_add_f64 v[113:114], v[113:114], v[137:138]
	s_waitcnt vmcnt(33) lgkmcnt(1)
	v_mul_f64 v[137:138], v[99:100], v[170:171]
	v_add_f64 v[2:3], v[2:3], v[125:126]
	s_waitcnt vmcnt(32)
	v_fma_f64 v[141:142], v[105:106], v[164:165], -v[141:142]
	v_mul_f64 v[125:126], v[97:98], v[170:171]
	v_fma_f64 v[135:136], v[107:108], v[164:165], v[135:136]
	ds_read_b128 v[105:108], v1 offset:1376
	v_add_f64 v[113:114], v[113:114], v[139:140]
	v_add_f64 v[2:3], v[2:3], v[129:130]
	s_waitcnt vmcnt(31) lgkmcnt(1)
	v_mul_f64 v[139:140], v[103:104], v[172:173]
	v_mul_f64 v[129:130], v[101:102], v[172:173]
	s_waitcnt vmcnt(29)
	v_fma_f64 v[137:138], v[97:98], v[111:112], -v[137:138]
	v_fma_f64 v[111:112], v[99:100], v[111:112], v[125:126]
	ds_read_b128 v[97:100], v1 offset:1392
	s_waitcnt vmcnt(25) lgkmcnt(1)
	v_mul_f64 v[125:126], v[105:106], v[115:116]
	v_mul_f64 v[115:116], v[107:108], v[115:116]
	v_add_f64 v[113:114], v[113:114], v[141:142]
	v_add_f64 v[2:3], v[2:3], v[135:136]
	s_waitcnt vmcnt(24)
	v_fma_f64 v[135:136], v[101:102], v[174:175], -v[139:140]
	v_fma_f64 v[129:130], v[103:104], v[174:175], v[129:130]
	ds_read_b128 v[101:104], v1 offset:1408
	v_add_f64 v[113:114], v[113:114], v[137:138]
	v_add_f64 v[2:3], v[2:3], v[111:112]
	s_waitcnt vmcnt(23) lgkmcnt(1)
	v_mul_f64 v[137:138], v[99:100], v[176:177]
	v_mul_f64 v[111:112], v[97:98], v[176:177]
	s_waitcnt vmcnt(21)
	v_fma_f64 v[115:116], v[105:106], v[109:110], -v[115:116]
	v_fma_f64 v[109:110], v[107:108], v[109:110], v[125:126]
	ds_read_b128 v[105:108], v1 offset:1424
	v_add_f64 v[113:114], v[113:114], v[135:136]
	v_add_f64 v[2:3], v[2:3], v[129:130]
	s_waitcnt vmcnt(17) lgkmcnt(1)
	v_mul_f64 v[125:126], v[101:102], v[123:124]
	v_mul_f64 v[123:124], v[103:104], v[123:124]
	;; [unrolled: 9-line block ×4, first 2 shown]
	s_waitcnt vmcnt(8)
	v_fma_f64 v[105:106], v[105:106], v[183:184], -v[115:116]
	v_fma_f64 v[107:108], v[107:108], v[183:184], v[109:110]
	v_add_f64 v[113:114], v[113:114], v[123:124]
	v_add_f64 v[2:3], v[2:3], v[121:122]
	s_waitcnt vmcnt(7) lgkmcnt(0)
	v_mul_f64 v[115:116], v[103:104], v[133:134]
	v_mul_f64 v[109:110], v[101:102], v[133:134]
	s_waitcnt vmcnt(5)
	v_fma_f64 v[97:98], v[97:98], v[119:120], -v[117:118]
	v_fma_f64 v[99:100], v[99:100], v[119:120], v[111:112]
	v_add_f64 v[105:106], v[113:114], v[105:106]
	v_add_f64 v[2:3], v[2:3], v[107:108]
	s_waitcnt vmcnt(4)
	v_fma_f64 v[101:102], v[101:102], v[178:179], -v[115:116]
	v_fma_f64 v[103:104], v[103:104], v[178:179], v[109:110]
	v_add_f64 v[97:98], v[105:106], v[97:98]
	v_add_f64 v[2:3], v[2:3], v[99:100]
	;; [unrolled: 1-line block ×4, first 2 shown]
	s_waitcnt vmcnt(2)
	v_add_f64 v[97:98], v[127:128], -v[97:98]
	s_waitcnt vmcnt(0)
	v_add_f64 v[2:3], v[131:132], -v[2:3]
	buffer_store_dword v98, off, s[0:3], 0 offset:372
	buffer_store_dword v97, off, s[0:3], 0 offset:368
	;; [unrolled: 1-line block ×4, first 2 shown]
	v_cmpx_lt_u32_e32 21, v0
	s_cbranch_execz .LBB109_247
; %bb.246:
	v_mov_b32_e32 v2, s37
	s_clause 0x3
	buffer_load_dword v97, v2, s[0:3], 0 offen
	buffer_load_dword v98, v2, s[0:3], 0 offen offset:4
	buffer_load_dword v99, v2, s[0:3], 0 offen offset:8
	;; [unrolled: 1-line block ×3, first 2 shown]
	buffer_store_dword v1, off, s[0:3], 0 offset:352
	buffer_store_dword v1, off, s[0:3], 0 offset:356
	;; [unrolled: 1-line block ×4, first 2 shown]
	s_waitcnt vmcnt(0)
	ds_write_b128 v153, v[97:100]
.LBB109_247:
	s_or_b32 exec_lo, exec_lo, s4
	s_waitcnt lgkmcnt(0)
	s_waitcnt_vscnt null, 0x0
	s_barrier
	buffer_gl0_inv
	s_clause 0x37
	buffer_load_dword v2, off, s[0:3], 0 offset:376
	buffer_load_dword v3, off, s[0:3], 0 offset:380
	;; [unrolled: 1-line block ×56, first 2 shown]
	ds_read_b128 v[97:100], v1 offset:1088
	s_clause 0x2
	buffer_load_dword v163, off, s[0:3], 0 offset:604
	buffer_load_dword v167, off, s[0:3], 0 offset:580
	;; [unrolled: 1-line block ×3, first 2 shown]
	ds_read_b128 v[101:104], v1 offset:1104
	s_clause 0x4
	buffer_load_dword v171, off, s[0:3], 0 offset:620
	buffer_load_dword v172, off, s[0:3], 0 offset:632
	;; [unrolled: 1-line block ×5, first 2 shown]
	ds_read_b128 v[105:108], v1 offset:1120
	s_mov_b32 s4, exec_lo
	s_waitcnt vmcnt(62) lgkmcnt(2)
	v_mul_f64 v[168:169], v[99:100], v[2:3]
	v_mul_f64 v[2:3], v[97:98], v[2:3]
	s_waitcnt vmcnt(60) lgkmcnt(1)
	v_mul_f64 v[175:176], v[103:104], v[109:110]
	v_mul_f64 v[109:110], v[101:102], v[109:110]
	;; [unrolled: 3-line block ×3, first 2 shown]
	v_fma_f64 v[168:169], v[97:98], v[111:112], -v[168:169]
	v_fma_f64 v[2:3], v[99:100], v[111:112], v[2:3]
	s_clause 0x2
	buffer_load_dword v173, off, s[0:3], 0 offset:636
	buffer_load_dword v112, off, s[0:3], 0 offset:612
	;; [unrolled: 1-line block ×3, first 2 shown]
	s_waitcnt vmcnt(57)
	v_fma_f64 v[179:180], v[101:102], v[115:116], -v[175:176]
	ds_read_b128 v[97:100], v1 offset:1136
	v_fma_f64 v[109:110], v[103:104], v[115:116], v[109:110]
	s_clause 0x4
	buffer_load_dword v116, off, s[0:3], 0 offset:652
	buffer_load_dword v176, off, s[0:3], 0 offset:664
	;; [unrolled: 1-line block ×5, first 2 shown]
	s_waitcnt vmcnt(56)
	v_fma_f64 v[113:114], v[105:106], v[123:124], -v[113:114]
	ds_read_b128 v[101:104], v1 offset:1152
	v_fma_f64 v[123:124], v[107:108], v[123:124], v[177:178]
	v_add_f64 v[168:169], v[168:169], 0
	v_add_f64 v[2:3], v[2:3], 0
	s_waitcnt lgkmcnt(1)
	v_mul_f64 v[182:183], v[97:98], v[117:118]
	v_mul_f64 v[117:118], v[99:100], v[117:118]
	v_add_f64 v[168:169], v[168:169], v[179:180]
	v_add_f64 v[2:3], v[2:3], v[109:110]
	s_clause 0x2
	buffer_load_dword v177, off, s[0:3], 0 offset:668
	buffer_load_dword v110, off, s[0:3], 0 offset:644
	;; [unrolled: 1-line block ×3, first 2 shown]
	s_waitcnt vmcnt(58) lgkmcnt(0)
	v_mul_f64 v[178:179], v[101:102], v[119:120]
	v_mul_f64 v[119:120], v[103:104], v[119:120]
	s_waitcnt vmcnt(56)
	v_fma_f64 v[117:118], v[97:98], v[125:126], -v[117:118]
	ds_read_b128 v[105:108], v1 offset:1168
	v_fma_f64 v[125:126], v[99:100], v[125:126], v[182:183]
	v_add_f64 v[113:114], v[168:169], v[113:114]
	v_add_f64 v[2:3], v[2:3], v[123:124]
	s_clause 0x4
	buffer_load_dword v124, off, s[0:3], 0 offset:684
	buffer_load_dword v168, off, s[0:3], 0 offset:696
	;; [unrolled: 1-line block ×5, first 2 shown]
	ds_read_b128 v[97:100], v1 offset:1184
	s_waitcnt vmcnt(57) lgkmcnt(1)
	v_mul_f64 v[184:185], v[105:106], v[127:128]
	v_mul_f64 v[127:128], v[107:108], v[127:128]
	s_waitcnt vmcnt(56)
	v_fma_f64 v[119:120], v[101:102], v[121:122], -v[119:120]
	v_add_f64 v[113:114], v[113:114], v[117:118]
	v_fma_f64 v[117:118], v[103:104], v[121:122], v[178:179]
	v_add_f64 v[2:3], v[2:3], v[125:126]
	s_clause 0x2
	buffer_load_dword v169, off, s[0:3], 0 offset:700
	buffer_load_dword v122, off, s[0:3], 0 offset:676
	;; [unrolled: 1-line block ×3, first 2 shown]
	s_waitcnt vmcnt(58) lgkmcnt(0)
	v_mul_f64 v[125:126], v[97:98], v[129:130]
	v_mul_f64 v[129:130], v[99:100], v[129:130]
	s_waitcnt vmcnt(56)
	v_fma_f64 v[127:128], v[105:106], v[133:134], -v[127:128]
	ds_read_b128 v[101:104], v1 offset:1200
	v_add_f64 v[113:114], v[113:114], v[119:120]
	v_fma_f64 v[119:120], v[107:108], v[133:134], v[184:185]
	v_add_f64 v[2:3], v[2:3], v[117:118]
	s_clause 0x4
	buffer_load_dword v118, off, s[0:3], 0 offset:716
	buffer_load_dword v133, off, s[0:3], 0 offset:728
	;; [unrolled: 1-line block ×5, first 2 shown]
	ds_read_b128 v[105:108], v1 offset:1216
	s_waitcnt vmcnt(57) lgkmcnt(1)
	v_mul_f64 v[179:180], v[101:102], v[135:136]
	v_mul_f64 v[135:136], v[103:104], v[135:136]
	s_waitcnt vmcnt(56)
	v_fma_f64 v[129:130], v[97:98], v[131:132], -v[129:130]
	v_fma_f64 v[125:126], v[99:100], v[131:132], v[125:126]
	v_add_f64 v[113:114], v[113:114], v[127:128]
	v_add_f64 v[2:3], v[2:3], v[119:120]
	s_clause 0x2
	buffer_load_dword v134, off, s[0:3], 0 offset:732
	buffer_load_dword v120, off, s[0:3], 0 offset:708
	;; [unrolled: 1-line block ×3, first 2 shown]
	s_waitcnt vmcnt(58) lgkmcnt(0)
	v_mul_f64 v[131:132], v[107:108], v[137:138]
	ds_read_b128 v[97:100], v1 offset:1232
	s_waitcnt vmcnt(56)
	v_fma_f64 v[135:136], v[101:102], v[141:142], -v[135:136]
	v_mul_f64 v[127:128], v[105:106], v[137:138]
	v_add_f64 v[113:114], v[113:114], v[129:130]
	v_fma_f64 v[129:130], v[103:104], v[141:142], v[179:180]
	v_add_f64 v[2:3], v[2:3], v[125:126]
	s_clause 0x2
	buffer_load_dword v126, off, s[0:3], 0 offset:748
	buffer_load_dword v125, off, s[0:3], 0 offset:744
	;; [unrolled: 1-line block ×3, first 2 shown]
	s_waitcnt vmcnt(55) lgkmcnt(0)
	v_mul_f64 v[141:142], v[99:100], v[143:144]
	s_waitcnt vmcnt(54)
	v_fma_f64 v[131:132], v[105:106], v[139:140], -v[131:132]
	ds_read_b128 v[101:104], v1 offset:1248
	v_mul_f64 v[137:138], v[97:98], v[143:144]
	v_fma_f64 v[127:128], v[107:108], v[139:140], v[127:128]
	v_add_f64 v[113:114], v[113:114], v[135:136]
	v_add_f64 v[2:3], v[2:3], v[129:130]
	s_clause 0x1
	buffer_load_dword v130, off, s[0:3], 0 offset:740
	buffer_load_dword v129, off, s[0:3], 0 offset:736
	s_waitcnt vmcnt(55) lgkmcnt(0)
	v_mul_f64 v[139:140], v[103:104], v[145:146]
	s_waitcnt vmcnt(53)
	v_fma_f64 v[141:142], v[97:98], v[149:150], -v[141:142]
	ds_read_b128 v[105:108], v1 offset:1264
	v_mul_f64 v[135:136], v[101:102], v[145:146]
	v_add_f64 v[113:114], v[113:114], v[131:132]
	v_fma_f64 v[131:132], v[99:100], v[149:150], v[137:138]
	v_add_f64 v[2:3], v[2:3], v[127:128]
	ds_read_b128 v[97:100], v1 offset:1280
	s_waitcnt vmcnt(49) lgkmcnt(1)
	v_mul_f64 v[137:138], v[107:108], v[151:152]
	s_waitcnt vmcnt(48)
	v_fma_f64 v[139:140], v[101:102], v[147:148], -v[139:140]
	v_mul_f64 v[127:128], v[105:106], v[151:152]
	v_fma_f64 v[135:136], v[103:104], v[147:148], v[135:136]
	v_add_f64 v[113:114], v[113:114], v[141:142]
	s_waitcnt vmcnt(47) lgkmcnt(0)
	v_mul_f64 v[145:146], v[99:100], v[154:155]
	v_add_f64 v[2:3], v[2:3], v[131:132]
	s_clause 0x3
	buffer_load_dword v131, off, s[0:3], 0 offset:352
	buffer_load_dword v132, off, s[0:3], 0 offset:356
	;; [unrolled: 1-line block ×4, first 2 shown]
	s_waitcnt vmcnt(49)
	v_fma_f64 v[137:138], v[105:106], v[158:159], -v[137:138]
	ds_read_b128 v[101:104], v1 offset:1296
	v_mul_f64 v[143:144], v[97:98], v[154:155]
	v_fma_f64 v[127:128], v[107:108], v[158:159], v[127:128]
	ds_read_b128 v[105:108], v1 offset:1312
	v_add_f64 v[113:114], v[113:114], v[139:140]
	s_waitcnt vmcnt(44)
	v_fma_f64 v[145:146], v[97:98], v[156:157], -v[145:146]
	v_add_f64 v[2:3], v[2:3], v[135:136]
	s_waitcnt lgkmcnt(1)
	v_mul_f64 v[139:140], v[103:104], v[160:161]
	v_mul_f64 v[135:136], v[101:102], v[160:161]
	v_add_f64 v[113:114], v[113:114], v[137:138]
	v_fma_f64 v[137:138], v[99:100], v[156:157], v[143:144]
	v_add_f64 v[2:3], v[2:3], v[127:128]
	s_waitcnt vmcnt(43) lgkmcnt(0)
	v_mul_f64 v[143:144], v[107:108], v[162:163]
	s_waitcnt vmcnt(41)
	v_fma_f64 v[139:140], v[101:102], v[166:167], -v[139:140]
	ds_read_b128 v[97:100], v1 offset:1328
	v_mul_f64 v[127:128], v[105:106], v[162:163]
	v_fma_f64 v[135:136], v[103:104], v[166:167], v[135:136]
	ds_read_b128 v[101:104], v1 offset:1344
	v_add_f64 v[113:114], v[113:114], v[145:146]
	v_add_f64 v[2:3], v[2:3], v[137:138]
	s_waitcnt vmcnt(37) lgkmcnt(1)
	v_mul_f64 v[145:146], v[99:100], v[170:171]
	s_waitcnt vmcnt(36)
	v_fma_f64 v[143:144], v[105:106], v[164:165], -v[143:144]
	v_mul_f64 v[137:138], v[97:98], v[170:171]
	v_fma_f64 v[127:128], v[107:108], v[164:165], v[127:128]
	ds_read_b128 v[105:108], v1 offset:1360
	v_add_f64 v[113:114], v[113:114], v[139:140]
	v_add_f64 v[2:3], v[2:3], v[135:136]
	s_waitcnt vmcnt(35) lgkmcnt(1)
	v_mul_f64 v[139:140], v[103:104], v[172:173]
	v_mul_f64 v[135:136], v[101:102], v[172:173]
	s_waitcnt vmcnt(33)
	v_fma_f64 v[145:146], v[97:98], v[111:112], -v[145:146]
	v_fma_f64 v[111:112], v[99:100], v[111:112], v[137:138]
	ds_read_b128 v[97:100], v1 offset:1376
	v_add_f64 v[113:114], v[113:114], v[143:144]
	v_add_f64 v[2:3], v[2:3], v[127:128]
	s_waitcnt vmcnt(29) lgkmcnt(1)
	v_mul_f64 v[127:128], v[105:106], v[115:116]
	v_mul_f64 v[115:116], v[107:108], v[115:116]
	s_waitcnt vmcnt(28)
	v_fma_f64 v[137:138], v[101:102], v[174:175], -v[139:140]
	;; [unrolled: 9-line block ×6, first 2 shown]
	v_fma_f64 v[107:108], v[107:108], v[183:184], v[109:110]
	v_add_f64 v[113:114], v[113:114], v[123:124]
	v_add_f64 v[109:110], v[2:3], v[121:122]
	ds_read_b128 v[1:4], v1 offset:1456
	s_waitcnt vmcnt(11) lgkmcnt(1)
	v_mul_f64 v[121:122], v[103:104], v[133:134]
	v_mul_f64 v[115:116], v[101:102], v[133:134]
	s_waitcnt vmcnt(9)
	v_fma_f64 v[97:98], v[97:98], v[119:120], -v[117:118]
	v_fma_f64 v[99:100], v[99:100], v[119:120], v[111:112]
	v_add_f64 v[105:106], v[113:114], v[105:106]
	v_add_f64 v[107:108], v[109:110], v[107:108]
	s_waitcnt vmcnt(7) lgkmcnt(0)
	v_mul_f64 v[111:112], v[3:4], v[125:126]
	s_waitcnt vmcnt(6)
	v_fma_f64 v[101:102], v[101:102], v[178:179], -v[121:122]
	v_mul_f64 v[109:110], v[1:2], v[125:126]
	v_fma_f64 v[103:104], v[103:104], v[178:179], v[115:116]
	v_add_f64 v[97:98], v[105:106], v[97:98]
	v_add_f64 v[99:100], v[107:108], v[99:100]
	s_waitcnt vmcnt(4)
	v_fma_f64 v[1:2], v[1:2], v[129:130], -v[111:112]
	v_fma_f64 v[3:4], v[3:4], v[129:130], v[109:110]
	v_add_f64 v[97:98], v[97:98], v[101:102]
	v_add_f64 v[99:100], v[99:100], v[103:104]
	;; [unrolled: 1-line block ×4, first 2 shown]
	s_waitcnt vmcnt(2)
	v_add_f64 v[1:2], v[131:132], -v[1:2]
	s_waitcnt vmcnt(0)
	v_add_f64 v[3:4], v[141:142], -v[3:4]
	buffer_store_dword v2, off, s[0:3], 0 offset:356
	buffer_store_dword v1, off, s[0:3], 0 offset:352
	;; [unrolled: 1-line block ×4, first 2 shown]
	v_cmpx_lt_u32_e32 20, v0
	s_cbranch_execz .LBB109_249
; %bb.248:
	v_mov_b32_e32 v4, s38
	v_mov_b32_e32 v97, 0
	s_clause 0x3
	buffer_load_dword v1, v4, s[0:3], 0 offen
	buffer_load_dword v2, v4, s[0:3], 0 offen offset:4
	buffer_load_dword v3, v4, s[0:3], 0 offen offset:8
	;; [unrolled: 1-line block ×3, first 2 shown]
	buffer_store_dword v97, off, s[0:3], 0 offset:336
	buffer_store_dword v97, off, s[0:3], 0 offset:340
	;; [unrolled: 1-line block ×4, first 2 shown]
	s_waitcnt vmcnt(0)
	ds_write_b128 v153, v[1:4]
.LBB109_249:
	s_or_b32 exec_lo, exec_lo, s4
	s_waitcnt lgkmcnt(0)
	s_waitcnt_vscnt null, 0x0
	s_barrier
	buffer_gl0_inv
	s_clause 0x37
	buffer_load_dword v2, off, s[0:3], 0 offset:360
	buffer_load_dword v3, off, s[0:3], 0 offset:364
	;; [unrolled: 1-line block ×56, first 2 shown]
	v_mov_b32_e32 v1, 0
	s_mov_b32 s4, exec_lo
	ds_read_b128 v[97:100], v1 offset:1072
	s_clause 0x2
	buffer_load_dword v163, off, s[0:3], 0 offset:588
	buffer_load_dword v167, off, s[0:3], 0 offset:564
	;; [unrolled: 1-line block ×3, first 2 shown]
	ds_read_b128 v[101:104], v1 offset:1088
	s_clause 0x4
	buffer_load_dword v171, off, s[0:3], 0 offset:604
	buffer_load_dword v172, off, s[0:3], 0 offset:616
	;; [unrolled: 1-line block ×5, first 2 shown]
	ds_read_b128 v[105:108], v1 offset:1104
	s_waitcnt vmcnt(62) lgkmcnt(2)
	v_mul_f64 v[168:169], v[99:100], v[2:3]
	v_mul_f64 v[2:3], v[97:98], v[2:3]
	s_waitcnt vmcnt(60) lgkmcnt(1)
	v_mul_f64 v[175:176], v[103:104], v[109:110]
	v_mul_f64 v[109:110], v[101:102], v[109:110]
	;; [unrolled: 3-line block ×3, first 2 shown]
	v_fma_f64 v[168:169], v[97:98], v[111:112], -v[168:169]
	v_fma_f64 v[2:3], v[99:100], v[111:112], v[2:3]
	s_clause 0x2
	buffer_load_dword v173, off, s[0:3], 0 offset:620
	buffer_load_dword v112, off, s[0:3], 0 offset:596
	;; [unrolled: 1-line block ×3, first 2 shown]
	s_waitcnt vmcnt(57)
	v_fma_f64 v[179:180], v[101:102], v[115:116], -v[175:176]
	ds_read_b128 v[97:100], v1 offset:1120
	v_fma_f64 v[109:110], v[103:104], v[115:116], v[109:110]
	s_clause 0x4
	buffer_load_dword v116, off, s[0:3], 0 offset:636
	buffer_load_dword v176, off, s[0:3], 0 offset:648
	;; [unrolled: 1-line block ×5, first 2 shown]
	s_waitcnt vmcnt(56)
	v_fma_f64 v[113:114], v[105:106], v[123:124], -v[113:114]
	ds_read_b128 v[101:104], v1 offset:1136
	v_fma_f64 v[123:124], v[107:108], v[123:124], v[177:178]
	v_add_f64 v[168:169], v[168:169], 0
	v_add_f64 v[2:3], v[2:3], 0
	s_waitcnt lgkmcnt(1)
	v_mul_f64 v[182:183], v[97:98], v[117:118]
	v_mul_f64 v[117:118], v[99:100], v[117:118]
	v_add_f64 v[168:169], v[168:169], v[179:180]
	v_add_f64 v[2:3], v[2:3], v[109:110]
	s_clause 0x2
	buffer_load_dword v177, off, s[0:3], 0 offset:652
	buffer_load_dword v110, off, s[0:3], 0 offset:628
	buffer_load_dword v109, off, s[0:3], 0 offset:624
	s_waitcnt vmcnt(58) lgkmcnt(0)
	v_mul_f64 v[178:179], v[101:102], v[119:120]
	v_mul_f64 v[119:120], v[103:104], v[119:120]
	s_waitcnt vmcnt(56)
	v_fma_f64 v[117:118], v[97:98], v[125:126], -v[117:118]
	ds_read_b128 v[105:108], v1 offset:1152
	v_fma_f64 v[125:126], v[99:100], v[125:126], v[182:183]
	v_add_f64 v[113:114], v[168:169], v[113:114]
	v_add_f64 v[2:3], v[2:3], v[123:124]
	s_clause 0x4
	buffer_load_dword v124, off, s[0:3], 0 offset:668
	buffer_load_dword v168, off, s[0:3], 0 offset:680
	;; [unrolled: 1-line block ×5, first 2 shown]
	ds_read_b128 v[97:100], v1 offset:1168
	s_waitcnt vmcnt(57) lgkmcnt(1)
	v_mul_f64 v[184:185], v[105:106], v[127:128]
	v_mul_f64 v[127:128], v[107:108], v[127:128]
	s_waitcnt vmcnt(56)
	v_fma_f64 v[119:120], v[101:102], v[121:122], -v[119:120]
	v_add_f64 v[113:114], v[113:114], v[117:118]
	v_fma_f64 v[117:118], v[103:104], v[121:122], v[178:179]
	v_add_f64 v[2:3], v[2:3], v[125:126]
	s_clause 0x2
	buffer_load_dword v169, off, s[0:3], 0 offset:684
	buffer_load_dword v122, off, s[0:3], 0 offset:660
	;; [unrolled: 1-line block ×3, first 2 shown]
	s_waitcnt vmcnt(58) lgkmcnt(0)
	v_mul_f64 v[125:126], v[97:98], v[129:130]
	v_mul_f64 v[129:130], v[99:100], v[129:130]
	s_waitcnt vmcnt(56)
	v_fma_f64 v[127:128], v[105:106], v[133:134], -v[127:128]
	ds_read_b128 v[101:104], v1 offset:1184
	v_add_f64 v[113:114], v[113:114], v[119:120]
	v_fma_f64 v[119:120], v[107:108], v[133:134], v[184:185]
	v_add_f64 v[2:3], v[2:3], v[117:118]
	s_clause 0x4
	buffer_load_dword v118, off, s[0:3], 0 offset:700
	buffer_load_dword v133, off, s[0:3], 0 offset:712
	;; [unrolled: 1-line block ×5, first 2 shown]
	ds_read_b128 v[105:108], v1 offset:1200
	s_waitcnt vmcnt(57) lgkmcnt(1)
	v_mul_f64 v[179:180], v[101:102], v[135:136]
	v_mul_f64 v[135:136], v[103:104], v[135:136]
	s_waitcnt vmcnt(56)
	v_fma_f64 v[129:130], v[97:98], v[131:132], -v[129:130]
	v_fma_f64 v[125:126], v[99:100], v[131:132], v[125:126]
	v_add_f64 v[113:114], v[113:114], v[127:128]
	v_add_f64 v[2:3], v[2:3], v[119:120]
	s_clause 0x2
	buffer_load_dword v134, off, s[0:3], 0 offset:716
	buffer_load_dword v120, off, s[0:3], 0 offset:692
	;; [unrolled: 1-line block ×3, first 2 shown]
	s_waitcnt vmcnt(58) lgkmcnt(0)
	v_mul_f64 v[131:132], v[107:108], v[137:138]
	ds_read_b128 v[97:100], v1 offset:1216
	s_waitcnt vmcnt(56)
	v_fma_f64 v[135:136], v[101:102], v[141:142], -v[135:136]
	v_mul_f64 v[127:128], v[105:106], v[137:138]
	v_add_f64 v[113:114], v[113:114], v[129:130]
	v_fma_f64 v[129:130], v[103:104], v[141:142], v[179:180]
	v_add_f64 v[2:3], v[2:3], v[125:126]
	s_clause 0x4
	buffer_load_dword v126, off, s[0:3], 0 offset:732
	buffer_load_dword v137, off, s[0:3], 0 offset:744
	;; [unrolled: 1-line block ×5, first 2 shown]
	s_waitcnt vmcnt(57) lgkmcnt(0)
	v_mul_f64 v[185:186], v[97:98], v[143:144]
	v_mul_f64 v[142:143], v[99:100], v[143:144]
	s_waitcnt vmcnt(56)
	v_fma_f64 v[131:132], v[105:106], v[139:140], -v[131:132]
	ds_read_b128 v[101:104], v1 offset:1232
	v_fma_f64 v[127:128], v[107:108], v[139:140], v[127:128]
	v_add_f64 v[113:114], v[113:114], v[135:136]
	v_add_f64 v[2:3], v[2:3], v[129:130]
	s_clause 0x2
	buffer_load_dword v138, off, s[0:3], 0 offset:748
	buffer_load_dword v130, off, s[0:3], 0 offset:724
	;; [unrolled: 1-line block ×3, first 2 shown]
	ds_read_b128 v[105:108], v1 offset:1248
	s_waitcnt vmcnt(58) lgkmcnt(1)
	v_mul_f64 v[139:140], v[103:104], v[145:146]
	s_waitcnt vmcnt(56)
	v_fma_f64 v[143:144], v[97:98], v[149:150], -v[142:143]
	v_mul_f64 v[135:136], v[101:102], v[145:146]
	buffer_load_dword v142, off, s[0:3], 0 offset:740
	v_add_f64 v[113:114], v[113:114], v[131:132]
	v_fma_f64 v[131:132], v[99:100], v[149:150], v[185:186]
	v_add_f64 v[2:3], v[2:3], v[127:128]
	ds_read_b128 v[97:100], v1 offset:1264
	s_waitcnt vmcnt(53) lgkmcnt(1)
	v_mul_f64 v[145:146], v[107:108], v[151:152]
	s_waitcnt vmcnt(52)
	v_fma_f64 v[139:140], v[101:102], v[147:148], -v[139:140]
	v_mul_f64 v[127:128], v[105:106], v[151:152]
	v_fma_f64 v[135:136], v[103:104], v[147:148], v[135:136]
	ds_read_b128 v[101:104], v1 offset:1280
	v_add_f64 v[113:114], v[113:114], v[143:144]
	s_waitcnt vmcnt(51) lgkmcnt(1)
	v_mul_f64 v[143:144], v[99:100], v[154:155]
	v_add_f64 v[2:3], v[2:3], v[131:132]
	v_mul_f64 v[131:132], v[97:98], v[154:155]
	s_waitcnt vmcnt(49)
	v_fma_f64 v[145:146], v[105:106], v[158:159], -v[145:146]
	v_fma_f64 v[127:128], v[107:108], v[158:159], v[127:128]
	s_waitcnt vmcnt(45) lgkmcnt(0)
	v_mul_f64 v[149:150], v[103:104], v[160:161]
	v_mul_f64 v[147:148], v[101:102], v[160:161]
	v_add_f64 v[113:114], v[113:114], v[139:140]
	s_waitcnt vmcnt(44)
	v_fma_f64 v[143:144], v[97:98], v[156:157], -v[143:144]
	v_add_f64 v[2:3], v[2:3], v[135:136]
	s_clause 0x3
	buffer_load_dword v135, off, s[0:3], 0 offset:336
	buffer_load_dword v136, off, s[0:3], 0 offset:340
	;; [unrolled: 1-line block ×4, first 2 shown]
	ds_read_b128 v[105:108], v1 offset:1296
	v_fma_f64 v[131:132], v[99:100], v[156:157], v[131:132]
	ds_read_b128 v[97:100], v1 offset:1312
	s_waitcnt vmcnt(45)
	v_fma_f64 v[149:150], v[101:102], v[166:167], -v[149:150]
	v_add_f64 v[113:114], v[113:114], v[145:146]
	v_add_f64 v[2:3], v[2:3], v[127:128]
	s_waitcnt lgkmcnt(1)
	v_mul_f64 v[145:146], v[107:108], v[162:163]
	v_mul_f64 v[127:128], v[105:106], v[162:163]
	v_add_f64 v[113:114], v[113:114], v[143:144]
	v_fma_f64 v[143:144], v[103:104], v[166:167], v[147:148]
	v_add_f64 v[2:3], v[2:3], v[131:132]
	s_waitcnt vmcnt(41) lgkmcnt(0)
	v_mul_f64 v[147:148], v[99:100], v[170:171]
	s_waitcnt vmcnt(40)
	v_fma_f64 v[145:146], v[105:106], v[164:165], -v[145:146]
	ds_read_b128 v[101:104], v1 offset:1328
	v_mul_f64 v[131:132], v[97:98], v[170:171]
	v_fma_f64 v[127:128], v[107:108], v[164:165], v[127:128]
	ds_read_b128 v[105:108], v1 offset:1344
	v_add_f64 v[113:114], v[113:114], v[149:150]
	v_add_f64 v[2:3], v[2:3], v[143:144]
	s_waitcnt vmcnt(39) lgkmcnt(1)
	v_mul_f64 v[149:150], v[103:104], v[172:173]
	v_mul_f64 v[143:144], v[101:102], v[172:173]
	s_waitcnt vmcnt(37)
	v_fma_f64 v[147:148], v[97:98], v[111:112], -v[147:148]
	v_fma_f64 v[111:112], v[99:100], v[111:112], v[131:132]
	ds_read_b128 v[97:100], v1 offset:1360
	v_add_f64 v[113:114], v[113:114], v[145:146]
	v_add_f64 v[2:3], v[2:3], v[127:128]
	s_waitcnt vmcnt(33) lgkmcnt(1)
	v_mul_f64 v[127:128], v[105:106], v[115:116]
	v_mul_f64 v[115:116], v[107:108], v[115:116]
	s_waitcnt vmcnt(32)
	v_fma_f64 v[131:132], v[101:102], v[174:175], -v[149:150]
	;; [unrolled: 9-line block ×7, first 2 shown]
	v_fma_f64 v[111:112], v[99:100], v[119:120], v[111:112]
	ds_read_b128 v[97:100], v1 offset:1456
	v_add_f64 v[113:114], v[113:114], v[115:116]
	v_add_f64 v[2:3], v[2:3], v[109:110]
	s_waitcnt vmcnt(9) lgkmcnt(1)
	v_mul_f64 v[115:116], v[107:108], v[125:126]
	s_waitcnt vmcnt(8)
	v_fma_f64 v[101:102], v[101:102], v[178:179], -v[123:124]
	v_mul_f64 v[109:110], v[105:106], v[125:126]
	v_fma_f64 v[103:104], v[103:104], v[178:179], v[121:122]
	v_add_f64 v[113:114], v[113:114], v[117:118]
	v_add_f64 v[2:3], v[2:3], v[111:112]
	s_waitcnt vmcnt(7) lgkmcnt(0)
	v_mul_f64 v[117:118], v[99:100], v[137:138]
	v_mul_f64 v[111:112], v[97:98], v[137:138]
	s_waitcnt vmcnt(5)
	v_fma_f64 v[105:106], v[105:106], v[129:130], -v[115:116]
	v_fma_f64 v[107:108], v[107:108], v[129:130], v[109:110]
	v_add_f64 v[101:102], v[113:114], v[101:102]
	v_add_f64 v[2:3], v[2:3], v[103:104]
	s_waitcnt vmcnt(4)
	v_fma_f64 v[97:98], v[97:98], v[141:142], -v[117:118]
	v_fma_f64 v[99:100], v[99:100], v[141:142], v[111:112]
	v_add_f64 v[101:102], v[101:102], v[105:106]
	v_add_f64 v[2:3], v[2:3], v[107:108]
	;; [unrolled: 1-line block ×4, first 2 shown]
	s_waitcnt vmcnt(2)
	v_add_f64 v[97:98], v[135:136], -v[97:98]
	s_waitcnt vmcnt(0)
	v_add_f64 v[2:3], v[139:140], -v[2:3]
	buffer_store_dword v98, off, s[0:3], 0 offset:340
	buffer_store_dword v97, off, s[0:3], 0 offset:336
	;; [unrolled: 1-line block ×4, first 2 shown]
	v_cmpx_lt_u32_e32 19, v0
	s_cbranch_execz .LBB109_251
; %bb.250:
	v_mov_b32_e32 v2, s39
	s_clause 0x3
	buffer_load_dword v97, v2, s[0:3], 0 offen
	buffer_load_dword v98, v2, s[0:3], 0 offen offset:4
	buffer_load_dword v99, v2, s[0:3], 0 offen offset:8
	;; [unrolled: 1-line block ×3, first 2 shown]
	buffer_store_dword v1, off, s[0:3], 0 offset:320
	buffer_store_dword v1, off, s[0:3], 0 offset:324
	;; [unrolled: 1-line block ×4, first 2 shown]
	s_waitcnt vmcnt(0)
	ds_write_b128 v153, v[97:100]
.LBB109_251:
	s_or_b32 exec_lo, exec_lo, s4
	s_waitcnt lgkmcnt(0)
	s_waitcnt_vscnt null, 0x0
	s_barrier
	buffer_gl0_inv
	s_clause 0x37
	buffer_load_dword v2, off, s[0:3], 0 offset:344
	buffer_load_dword v3, off, s[0:3], 0 offset:348
	;; [unrolled: 1-line block ×56, first 2 shown]
	ds_read_b128 v[97:100], v1 offset:1056
	s_clause 0x2
	buffer_load_dword v163, off, s[0:3], 0 offset:572
	buffer_load_dword v167, off, s[0:3], 0 offset:548
	;; [unrolled: 1-line block ×3, first 2 shown]
	ds_read_b128 v[101:104], v1 offset:1072
	s_clause 0x4
	buffer_load_dword v171, off, s[0:3], 0 offset:588
	buffer_load_dword v172, off, s[0:3], 0 offset:600
	;; [unrolled: 1-line block ×5, first 2 shown]
	ds_read_b128 v[105:108], v1 offset:1088
	s_mov_b32 s4, exec_lo
	s_waitcnt vmcnt(62) lgkmcnt(2)
	v_mul_f64 v[168:169], v[99:100], v[2:3]
	v_mul_f64 v[2:3], v[97:98], v[2:3]
	s_waitcnt vmcnt(60) lgkmcnt(1)
	v_mul_f64 v[175:176], v[103:104], v[109:110]
	v_mul_f64 v[109:110], v[101:102], v[109:110]
	;; [unrolled: 3-line block ×3, first 2 shown]
	v_fma_f64 v[168:169], v[97:98], v[111:112], -v[168:169]
	v_fma_f64 v[2:3], v[99:100], v[111:112], v[2:3]
	s_clause 0x2
	buffer_load_dword v173, off, s[0:3], 0 offset:604
	buffer_load_dword v112, off, s[0:3], 0 offset:580
	;; [unrolled: 1-line block ×3, first 2 shown]
	s_waitcnt vmcnt(57)
	v_fma_f64 v[179:180], v[101:102], v[115:116], -v[175:176]
	ds_read_b128 v[97:100], v1 offset:1104
	v_fma_f64 v[109:110], v[103:104], v[115:116], v[109:110]
	s_clause 0x4
	buffer_load_dword v116, off, s[0:3], 0 offset:620
	buffer_load_dword v176, off, s[0:3], 0 offset:632
	;; [unrolled: 1-line block ×5, first 2 shown]
	s_waitcnt vmcnt(56)
	v_fma_f64 v[113:114], v[105:106], v[123:124], -v[113:114]
	ds_read_b128 v[101:104], v1 offset:1120
	v_fma_f64 v[123:124], v[107:108], v[123:124], v[177:178]
	v_add_f64 v[168:169], v[168:169], 0
	v_add_f64 v[2:3], v[2:3], 0
	s_waitcnt lgkmcnt(1)
	v_mul_f64 v[182:183], v[97:98], v[117:118]
	v_mul_f64 v[117:118], v[99:100], v[117:118]
	v_add_f64 v[168:169], v[168:169], v[179:180]
	v_add_f64 v[2:3], v[2:3], v[109:110]
	s_clause 0x2
	buffer_load_dword v177, off, s[0:3], 0 offset:636
	buffer_load_dword v110, off, s[0:3], 0 offset:612
	;; [unrolled: 1-line block ×3, first 2 shown]
	s_waitcnt vmcnt(58) lgkmcnt(0)
	v_mul_f64 v[178:179], v[101:102], v[119:120]
	v_mul_f64 v[119:120], v[103:104], v[119:120]
	s_waitcnt vmcnt(56)
	v_fma_f64 v[117:118], v[97:98], v[125:126], -v[117:118]
	ds_read_b128 v[105:108], v1 offset:1136
	v_fma_f64 v[125:126], v[99:100], v[125:126], v[182:183]
	v_add_f64 v[113:114], v[168:169], v[113:114]
	v_add_f64 v[2:3], v[2:3], v[123:124]
	s_clause 0x4
	buffer_load_dword v124, off, s[0:3], 0 offset:652
	buffer_load_dword v168, off, s[0:3], 0 offset:664
	;; [unrolled: 1-line block ×5, first 2 shown]
	ds_read_b128 v[97:100], v1 offset:1152
	s_waitcnt vmcnt(57) lgkmcnt(1)
	v_mul_f64 v[184:185], v[105:106], v[127:128]
	v_mul_f64 v[127:128], v[107:108], v[127:128]
	s_waitcnt vmcnt(56)
	v_fma_f64 v[119:120], v[101:102], v[121:122], -v[119:120]
	v_add_f64 v[113:114], v[113:114], v[117:118]
	v_fma_f64 v[117:118], v[103:104], v[121:122], v[178:179]
	v_add_f64 v[2:3], v[2:3], v[125:126]
	s_clause 0x2
	buffer_load_dword v169, off, s[0:3], 0 offset:668
	buffer_load_dword v122, off, s[0:3], 0 offset:644
	;; [unrolled: 1-line block ×3, first 2 shown]
	s_waitcnt vmcnt(58) lgkmcnt(0)
	v_mul_f64 v[125:126], v[97:98], v[129:130]
	v_mul_f64 v[129:130], v[99:100], v[129:130]
	s_waitcnt vmcnt(56)
	v_fma_f64 v[127:128], v[105:106], v[133:134], -v[127:128]
	ds_read_b128 v[101:104], v1 offset:1168
	v_add_f64 v[113:114], v[113:114], v[119:120]
	v_fma_f64 v[119:120], v[107:108], v[133:134], v[184:185]
	v_add_f64 v[2:3], v[2:3], v[117:118]
	s_clause 0x4
	buffer_load_dword v118, off, s[0:3], 0 offset:684
	buffer_load_dword v133, off, s[0:3], 0 offset:696
	;; [unrolled: 1-line block ×5, first 2 shown]
	ds_read_b128 v[105:108], v1 offset:1184
	s_waitcnt vmcnt(57) lgkmcnt(1)
	v_mul_f64 v[179:180], v[101:102], v[135:136]
	v_mul_f64 v[135:136], v[103:104], v[135:136]
	s_waitcnt vmcnt(56)
	v_fma_f64 v[129:130], v[97:98], v[131:132], -v[129:130]
	v_fma_f64 v[125:126], v[99:100], v[131:132], v[125:126]
	v_add_f64 v[113:114], v[113:114], v[127:128]
	v_add_f64 v[2:3], v[2:3], v[119:120]
	s_clause 0x2
	buffer_load_dword v134, off, s[0:3], 0 offset:700
	buffer_load_dword v120, off, s[0:3], 0 offset:676
	;; [unrolled: 1-line block ×3, first 2 shown]
	s_waitcnt vmcnt(58) lgkmcnt(0)
	v_mul_f64 v[131:132], v[107:108], v[137:138]
	ds_read_b128 v[97:100], v1 offset:1200
	s_waitcnt vmcnt(56)
	v_fma_f64 v[135:136], v[101:102], v[141:142], -v[135:136]
	v_mul_f64 v[127:128], v[105:106], v[137:138]
	v_add_f64 v[113:114], v[113:114], v[129:130]
	v_fma_f64 v[129:130], v[103:104], v[141:142], v[179:180]
	v_add_f64 v[2:3], v[2:3], v[125:126]
	s_clause 0x4
	buffer_load_dword v126, off, s[0:3], 0 offset:716
	buffer_load_dword v137, off, s[0:3], 0 offset:728
	;; [unrolled: 1-line block ×5, first 2 shown]
	s_waitcnt vmcnt(57) lgkmcnt(0)
	v_mul_f64 v[185:186], v[97:98], v[143:144]
	v_mul_f64 v[142:143], v[99:100], v[143:144]
	s_waitcnt vmcnt(56)
	v_fma_f64 v[131:132], v[105:106], v[139:140], -v[131:132]
	ds_read_b128 v[101:104], v1 offset:1216
	v_fma_f64 v[127:128], v[107:108], v[139:140], v[127:128]
	v_add_f64 v[113:114], v[113:114], v[135:136]
	v_add_f64 v[2:3], v[2:3], v[129:130]
	s_clause 0x2
	buffer_load_dword v138, off, s[0:3], 0 offset:732
	buffer_load_dword v130, off, s[0:3], 0 offset:708
	;; [unrolled: 1-line block ×3, first 2 shown]
	ds_read_b128 v[105:108], v1 offset:1232
	s_waitcnt vmcnt(58) lgkmcnt(1)
	v_mul_f64 v[139:140], v[103:104], v[145:146]
	s_waitcnt vmcnt(56)
	v_fma_f64 v[143:144], v[97:98], v[149:150], -v[142:143]
	v_mul_f64 v[135:136], v[101:102], v[145:146]
	v_add_f64 v[113:114], v[113:114], v[131:132]
	v_fma_f64 v[131:132], v[99:100], v[149:150], v[185:186]
	v_add_f64 v[2:3], v[2:3], v[127:128]
	s_clause 0x2
	buffer_load_dword v128, off, s[0:3], 0 offset:748
	buffer_load_dword v127, off, s[0:3], 0 offset:744
	;; [unrolled: 1-line block ×3, first 2 shown]
	s_waitcnt vmcnt(55) lgkmcnt(0)
	v_mul_f64 v[149:150], v[107:108], v[151:152]
	s_waitcnt vmcnt(54)
	v_fma_f64 v[139:140], v[101:102], v[147:148], -v[139:140]
	ds_read_b128 v[97:100], v1 offset:1248
	v_mul_f64 v[145:146], v[105:106], v[151:152]
	v_fma_f64 v[135:136], v[103:104], v[147:148], v[135:136]
	v_add_f64 v[113:114], v[113:114], v[143:144]
	v_add_f64 v[2:3], v[2:3], v[131:132]
	s_clause 0x1
	buffer_load_dword v132, off, s[0:3], 0 offset:740
	buffer_load_dword v131, off, s[0:3], 0 offset:736
	s_waitcnt vmcnt(55) lgkmcnt(0)
	v_mul_f64 v[147:148], v[99:100], v[154:155]
	s_waitcnt vmcnt(53)
	v_fma_f64 v[149:150], v[105:106], v[158:159], -v[149:150]
	ds_read_b128 v[101:104], v1 offset:1264
	v_mul_f64 v[143:144], v[97:98], v[154:155]
	v_add_f64 v[113:114], v[113:114], v[139:140]
	v_fma_f64 v[139:140], v[107:108], v[158:159], v[145:146]
	v_add_f64 v[2:3], v[2:3], v[135:136]
	ds_read_b128 v[105:108], v1 offset:1280
	s_waitcnt vmcnt(49) lgkmcnt(1)
	v_mul_f64 v[145:146], v[103:104], v[160:161]
	s_waitcnt vmcnt(48)
	v_fma_f64 v[147:148], v[97:98], v[156:157], -v[147:148]
	v_mul_f64 v[135:136], v[101:102], v[160:161]
	v_fma_f64 v[143:144], v[99:100], v[156:157], v[143:144]
	v_add_f64 v[113:114], v[113:114], v[149:150]
	s_waitcnt vmcnt(47) lgkmcnt(0)
	v_mul_f64 v[154:155], v[107:108], v[162:163]
	v_add_f64 v[2:3], v[2:3], v[139:140]
	s_clause 0x3
	buffer_load_dword v139, off, s[0:3], 0 offset:320
	buffer_load_dword v140, off, s[0:3], 0 offset:324
	;; [unrolled: 1-line block ×4, first 2 shown]
	s_waitcnt vmcnt(49)
	v_fma_f64 v[145:146], v[101:102], v[166:167], -v[145:146]
	ds_read_b128 v[97:100], v1 offset:1296
	v_mul_f64 v[151:152], v[105:106], v[162:163]
	v_fma_f64 v[135:136], v[103:104], v[166:167], v[135:136]
	ds_read_b128 v[101:104], v1 offset:1312
	v_add_f64 v[113:114], v[113:114], v[147:148]
	s_waitcnt vmcnt(44)
	v_fma_f64 v[154:155], v[105:106], v[164:165], -v[154:155]
	v_add_f64 v[2:3], v[2:3], v[143:144]
	s_waitcnt lgkmcnt(1)
	v_mul_f64 v[147:148], v[99:100], v[170:171]
	v_mul_f64 v[143:144], v[97:98], v[170:171]
	v_add_f64 v[113:114], v[113:114], v[145:146]
	v_fma_f64 v[145:146], v[107:108], v[164:165], v[151:152]
	v_add_f64 v[2:3], v[2:3], v[135:136]
	ds_read_b128 v[105:108], v1 offset:1328
	s_waitcnt vmcnt(43) lgkmcnt(1)
	v_mul_f64 v[151:152], v[103:104], v[172:173]
	v_mul_f64 v[135:136], v[101:102], v[172:173]
	s_waitcnt vmcnt(41)
	v_fma_f64 v[147:148], v[97:98], v[111:112], -v[147:148]
	v_fma_f64 v[111:112], v[99:100], v[111:112], v[143:144]
	ds_read_b128 v[97:100], v1 offset:1344
	v_add_f64 v[113:114], v[113:114], v[154:155]
	s_waitcnt vmcnt(37) lgkmcnt(1)
	v_mul_f64 v[143:144], v[105:106], v[115:116]
	v_add_f64 v[2:3], v[2:3], v[145:146]
	v_mul_f64 v[115:116], v[107:108], v[115:116]
	s_waitcnt vmcnt(36)
	v_fma_f64 v[145:146], v[101:102], v[174:175], -v[151:152]
	v_fma_f64 v[135:136], v[103:104], v[174:175], v[135:136]
	ds_read_b128 v[101:104], v1 offset:1360
	v_add_f64 v[113:114], v[113:114], v[147:148]
	v_add_f64 v[2:3], v[2:3], v[111:112]
	s_waitcnt vmcnt(35) lgkmcnt(1)
	v_mul_f64 v[147:148], v[99:100], v[176:177]
	v_mul_f64 v[111:112], v[97:98], v[176:177]
	s_waitcnt vmcnt(33)
	v_fma_f64 v[115:116], v[105:106], v[109:110], -v[115:116]
	v_fma_f64 v[109:110], v[107:108], v[109:110], v[143:144]
	ds_read_b128 v[105:108], v1 offset:1376
	v_add_f64 v[113:114], v[113:114], v[145:146]
	v_add_f64 v[2:3], v[2:3], v[135:136]
	s_waitcnt vmcnt(29) lgkmcnt(1)
	v_mul_f64 v[135:136], v[101:102], v[123:124]
	;; [unrolled: 9-line block ×6, first 2 shown]
	s_waitcnt vmcnt(12)
	v_fma_f64 v[101:102], v[101:102], v[178:179], -v[123:124]
	v_mul_f64 v[109:110], v[105:106], v[125:126]
	v_fma_f64 v[103:104], v[103:104], v[178:179], v[121:122]
	v_add_f64 v[113:114], v[113:114], v[117:118]
	v_add_f64 v[111:112], v[2:3], v[111:112]
	ds_read_b128 v[1:4], v1 offset:1456
	s_waitcnt vmcnt(11) lgkmcnt(1)
	v_mul_f64 v[119:120], v[99:100], v[137:138]
	v_mul_f64 v[117:118], v[97:98], v[137:138]
	s_waitcnt vmcnt(9)
	v_fma_f64 v[105:106], v[105:106], v[129:130], -v[115:116]
	v_fma_f64 v[107:108], v[107:108], v[129:130], v[109:110]
	v_add_f64 v[101:102], v[113:114], v[101:102]
	v_add_f64 v[103:104], v[111:112], v[103:104]
	s_waitcnt vmcnt(7) lgkmcnt(0)
	v_mul_f64 v[111:112], v[3:4], v[127:128]
	s_waitcnt vmcnt(6)
	v_fma_f64 v[97:98], v[97:98], v[141:142], -v[119:120]
	v_mul_f64 v[109:110], v[1:2], v[127:128]
	v_fma_f64 v[99:100], v[99:100], v[141:142], v[117:118]
	v_add_f64 v[101:102], v[101:102], v[105:106]
	v_add_f64 v[103:104], v[103:104], v[107:108]
	s_waitcnt vmcnt(4)
	v_fma_f64 v[1:2], v[1:2], v[131:132], -v[111:112]
	v_fma_f64 v[3:4], v[3:4], v[131:132], v[109:110]
	v_add_f64 v[97:98], v[101:102], v[97:98]
	v_add_f64 v[99:100], v[103:104], v[99:100]
	v_add_f64 v[1:2], v[97:98], v[1:2]
	v_add_f64 v[3:4], v[99:100], v[3:4]
	s_waitcnt vmcnt(2)
	v_add_f64 v[1:2], v[139:140], -v[1:2]
	s_waitcnt vmcnt(0)
	v_add_f64 v[3:4], v[149:150], -v[3:4]
	buffer_store_dword v2, off, s[0:3], 0 offset:324
	buffer_store_dword v1, off, s[0:3], 0 offset:320
	buffer_store_dword v4, off, s[0:3], 0 offset:332
	buffer_store_dword v3, off, s[0:3], 0 offset:328
	v_cmpx_lt_u32_e32 18, v0
	s_cbranch_execz .LBB109_253
; %bb.252:
	v_mov_b32_e32 v4, s40
	v_mov_b32_e32 v97, 0
	s_clause 0x3
	buffer_load_dword v1, v4, s[0:3], 0 offen
	buffer_load_dword v2, v4, s[0:3], 0 offen offset:4
	buffer_load_dword v3, v4, s[0:3], 0 offen offset:8
	;; [unrolled: 1-line block ×3, first 2 shown]
	buffer_store_dword v97, off, s[0:3], 0 offset:304
	buffer_store_dword v97, off, s[0:3], 0 offset:308
	buffer_store_dword v97, off, s[0:3], 0 offset:312
	buffer_store_dword v97, off, s[0:3], 0 offset:316
	s_waitcnt vmcnt(0)
	ds_write_b128 v153, v[1:4]
.LBB109_253:
	s_or_b32 exec_lo, exec_lo, s4
	s_waitcnt lgkmcnt(0)
	s_waitcnt_vscnt null, 0x0
	s_barrier
	buffer_gl0_inv
	s_clause 0x37
	buffer_load_dword v2, off, s[0:3], 0 offset:328
	buffer_load_dword v3, off, s[0:3], 0 offset:332
	;; [unrolled: 1-line block ×56, first 2 shown]
	v_mov_b32_e32 v1, 0
	s_mov_b32 s4, exec_lo
	ds_read_b128 v[97:100], v1 offset:1040
	s_clause 0x2
	buffer_load_dword v163, off, s[0:3], 0 offset:556
	buffer_load_dword v167, off, s[0:3], 0 offset:532
	;; [unrolled: 1-line block ×3, first 2 shown]
	ds_read_b128 v[101:104], v1 offset:1056
	s_clause 0x4
	buffer_load_dword v171, off, s[0:3], 0 offset:572
	buffer_load_dword v172, off, s[0:3], 0 offset:584
	;; [unrolled: 1-line block ×5, first 2 shown]
	ds_read_b128 v[105:108], v1 offset:1072
	s_waitcnt vmcnt(62) lgkmcnt(2)
	v_mul_f64 v[168:169], v[99:100], v[2:3]
	v_mul_f64 v[2:3], v[97:98], v[2:3]
	s_waitcnt vmcnt(60) lgkmcnt(1)
	v_mul_f64 v[175:176], v[103:104], v[109:110]
	v_mul_f64 v[109:110], v[101:102], v[109:110]
	;; [unrolled: 3-line block ×3, first 2 shown]
	v_fma_f64 v[168:169], v[97:98], v[111:112], -v[168:169]
	v_fma_f64 v[2:3], v[99:100], v[111:112], v[2:3]
	s_clause 0x2
	buffer_load_dword v173, off, s[0:3], 0 offset:588
	buffer_load_dword v112, off, s[0:3], 0 offset:564
	buffer_load_dword v111, off, s[0:3], 0 offset:560
	s_waitcnt vmcnt(57)
	v_fma_f64 v[179:180], v[101:102], v[115:116], -v[175:176]
	ds_read_b128 v[97:100], v1 offset:1088
	v_fma_f64 v[109:110], v[103:104], v[115:116], v[109:110]
	s_clause 0x4
	buffer_load_dword v116, off, s[0:3], 0 offset:604
	buffer_load_dword v176, off, s[0:3], 0 offset:616
	;; [unrolled: 1-line block ×5, first 2 shown]
	s_waitcnt vmcnt(56)
	v_fma_f64 v[113:114], v[105:106], v[123:124], -v[113:114]
	ds_read_b128 v[101:104], v1 offset:1104
	v_fma_f64 v[123:124], v[107:108], v[123:124], v[177:178]
	v_add_f64 v[168:169], v[168:169], 0
	v_add_f64 v[2:3], v[2:3], 0
	s_waitcnt lgkmcnt(1)
	v_mul_f64 v[182:183], v[97:98], v[117:118]
	v_mul_f64 v[117:118], v[99:100], v[117:118]
	v_add_f64 v[168:169], v[168:169], v[179:180]
	v_add_f64 v[2:3], v[2:3], v[109:110]
	s_clause 0x2
	buffer_load_dword v177, off, s[0:3], 0 offset:620
	buffer_load_dword v110, off, s[0:3], 0 offset:596
	;; [unrolled: 1-line block ×3, first 2 shown]
	s_waitcnt vmcnt(58) lgkmcnt(0)
	v_mul_f64 v[178:179], v[101:102], v[119:120]
	v_mul_f64 v[119:120], v[103:104], v[119:120]
	s_waitcnt vmcnt(56)
	v_fma_f64 v[117:118], v[97:98], v[125:126], -v[117:118]
	ds_read_b128 v[105:108], v1 offset:1120
	v_fma_f64 v[125:126], v[99:100], v[125:126], v[182:183]
	v_add_f64 v[113:114], v[168:169], v[113:114]
	v_add_f64 v[2:3], v[2:3], v[123:124]
	s_clause 0x4
	buffer_load_dword v124, off, s[0:3], 0 offset:636
	buffer_load_dword v168, off, s[0:3], 0 offset:648
	;; [unrolled: 1-line block ×5, first 2 shown]
	ds_read_b128 v[97:100], v1 offset:1136
	s_waitcnt vmcnt(57) lgkmcnt(1)
	v_mul_f64 v[184:185], v[105:106], v[127:128]
	v_mul_f64 v[127:128], v[107:108], v[127:128]
	s_waitcnt vmcnt(56)
	v_fma_f64 v[119:120], v[101:102], v[121:122], -v[119:120]
	v_add_f64 v[113:114], v[113:114], v[117:118]
	v_fma_f64 v[117:118], v[103:104], v[121:122], v[178:179]
	v_add_f64 v[2:3], v[2:3], v[125:126]
	s_clause 0x2
	buffer_load_dword v169, off, s[0:3], 0 offset:652
	buffer_load_dword v122, off, s[0:3], 0 offset:628
	;; [unrolled: 1-line block ×3, first 2 shown]
	s_waitcnt vmcnt(58) lgkmcnt(0)
	v_mul_f64 v[125:126], v[97:98], v[129:130]
	v_mul_f64 v[129:130], v[99:100], v[129:130]
	s_waitcnt vmcnt(56)
	v_fma_f64 v[127:128], v[105:106], v[133:134], -v[127:128]
	ds_read_b128 v[101:104], v1 offset:1152
	v_add_f64 v[113:114], v[113:114], v[119:120]
	v_fma_f64 v[119:120], v[107:108], v[133:134], v[184:185]
	v_add_f64 v[2:3], v[2:3], v[117:118]
	s_clause 0x4
	buffer_load_dword v118, off, s[0:3], 0 offset:668
	buffer_load_dword v133, off, s[0:3], 0 offset:680
	;; [unrolled: 1-line block ×5, first 2 shown]
	ds_read_b128 v[105:108], v1 offset:1168
	s_waitcnt vmcnt(57) lgkmcnt(1)
	v_mul_f64 v[179:180], v[101:102], v[135:136]
	v_mul_f64 v[135:136], v[103:104], v[135:136]
	s_waitcnt vmcnt(56)
	v_fma_f64 v[129:130], v[97:98], v[131:132], -v[129:130]
	v_fma_f64 v[125:126], v[99:100], v[131:132], v[125:126]
	v_add_f64 v[113:114], v[113:114], v[127:128]
	v_add_f64 v[2:3], v[2:3], v[119:120]
	s_clause 0x2
	buffer_load_dword v134, off, s[0:3], 0 offset:684
	buffer_load_dword v120, off, s[0:3], 0 offset:660
	;; [unrolled: 1-line block ×3, first 2 shown]
	s_waitcnt vmcnt(58) lgkmcnt(0)
	v_mul_f64 v[131:132], v[107:108], v[137:138]
	ds_read_b128 v[97:100], v1 offset:1184
	s_waitcnt vmcnt(56)
	v_fma_f64 v[135:136], v[101:102], v[141:142], -v[135:136]
	v_mul_f64 v[127:128], v[105:106], v[137:138]
	v_add_f64 v[113:114], v[113:114], v[129:130]
	v_fma_f64 v[129:130], v[103:104], v[141:142], v[179:180]
	v_add_f64 v[2:3], v[2:3], v[125:126]
	s_clause 0x4
	buffer_load_dword v126, off, s[0:3], 0 offset:700
	buffer_load_dword v137, off, s[0:3], 0 offset:712
	;; [unrolled: 1-line block ×5, first 2 shown]
	s_waitcnt vmcnt(57) lgkmcnt(0)
	v_mul_f64 v[185:186], v[97:98], v[143:144]
	v_mul_f64 v[142:143], v[99:100], v[143:144]
	s_waitcnt vmcnt(56)
	v_fma_f64 v[131:132], v[105:106], v[139:140], -v[131:132]
	ds_read_b128 v[101:104], v1 offset:1200
	v_fma_f64 v[127:128], v[107:108], v[139:140], v[127:128]
	v_add_f64 v[113:114], v[113:114], v[135:136]
	v_add_f64 v[2:3], v[2:3], v[129:130]
	s_clause 0x2
	buffer_load_dword v138, off, s[0:3], 0 offset:716
	buffer_load_dword v130, off, s[0:3], 0 offset:692
	;; [unrolled: 1-line block ×3, first 2 shown]
	ds_read_b128 v[105:108], v1 offset:1216
	s_waitcnt vmcnt(58) lgkmcnt(1)
	v_mul_f64 v[139:140], v[103:104], v[145:146]
	s_waitcnt vmcnt(56)
	v_fma_f64 v[143:144], v[97:98], v[149:150], -v[142:143]
	v_mul_f64 v[135:136], v[101:102], v[145:146]
	v_add_f64 v[113:114], v[113:114], v[131:132]
	v_fma_f64 v[131:132], v[99:100], v[149:150], v[185:186]
	v_add_f64 v[2:3], v[2:3], v[127:128]
	s_clause 0x4
	buffer_load_dword v128, off, s[0:3], 0 offset:732
	buffer_load_dword v145, off, s[0:3], 0 offset:744
	buffer_load_dword v149, off, s[0:3], 0 offset:736
	buffer_load_dword v127, off, s[0:3], 0 offset:728
	buffer_load_dword v142, off, s[0:3], 0 offset:708
	s_waitcnt vmcnt(57) lgkmcnt(0)
	v_mul_f64 v[185:186], v[105:106], v[151:152]
	v_mul_f64 v[150:151], v[107:108], v[151:152]
	s_waitcnt vmcnt(56)
	v_fma_f64 v[139:140], v[101:102], v[147:148], -v[139:140]
	ds_read_b128 v[97:100], v1 offset:1232
	v_fma_f64 v[135:136], v[103:104], v[147:148], v[135:136]
	v_add_f64 v[113:114], v[113:114], v[143:144]
	v_add_f64 v[2:3], v[2:3], v[131:132]
	s_clause 0x2
	buffer_load_dword v146, off, s[0:3], 0 offset:748
	buffer_load_dword v132, off, s[0:3], 0 offset:724
	;; [unrolled: 1-line block ×3, first 2 shown]
	ds_read_b128 v[101:104], v1 offset:1248
	s_waitcnt vmcnt(58) lgkmcnt(1)
	v_mul_f64 v[147:148], v[99:100], v[154:155]
	s_waitcnt vmcnt(56)
	v_fma_f64 v[151:152], v[105:106], v[158:159], -v[150:151]
	v_mul_f64 v[143:144], v[97:98], v[154:155]
	buffer_load_dword v150, off, s[0:3], 0 offset:740
	v_add_f64 v[113:114], v[113:114], v[139:140]
	v_fma_f64 v[139:140], v[107:108], v[158:159], v[185:186]
	v_add_f64 v[2:3], v[2:3], v[135:136]
	ds_read_b128 v[105:108], v1 offset:1264
	s_waitcnt vmcnt(53) lgkmcnt(1)
	v_mul_f64 v[154:155], v[103:104], v[160:161]
	s_waitcnt vmcnt(52)
	v_fma_f64 v[147:148], v[97:98], v[156:157], -v[147:148]
	v_mul_f64 v[135:136], v[101:102], v[160:161]
	v_fma_f64 v[143:144], v[99:100], v[156:157], v[143:144]
	ds_read_b128 v[97:100], v1 offset:1280
	v_add_f64 v[113:114], v[113:114], v[151:152]
	s_waitcnt vmcnt(51) lgkmcnt(1)
	v_mul_f64 v[151:152], v[107:108], v[162:163]
	v_add_f64 v[2:3], v[2:3], v[139:140]
	v_mul_f64 v[139:140], v[105:106], v[162:163]
	s_waitcnt vmcnt(49)
	v_fma_f64 v[154:155], v[101:102], v[166:167], -v[154:155]
	v_fma_f64 v[135:136], v[103:104], v[166:167], v[135:136]
	s_waitcnt vmcnt(45) lgkmcnt(0)
	v_mul_f64 v[158:159], v[99:100], v[170:171]
	v_mul_f64 v[156:157], v[97:98], v[170:171]
	v_add_f64 v[113:114], v[113:114], v[147:148]
	s_waitcnt vmcnt(44)
	v_fma_f64 v[151:152], v[105:106], v[164:165], -v[151:152]
	v_add_f64 v[2:3], v[2:3], v[143:144]
	s_clause 0x3
	buffer_load_dword v143, off, s[0:3], 0 offset:304
	buffer_load_dword v144, off, s[0:3], 0 offset:308
	;; [unrolled: 1-line block ×4, first 2 shown]
	ds_read_b128 v[101:104], v1 offset:1296
	v_fma_f64 v[139:140], v[107:108], v[164:165], v[139:140]
	ds_read_b128 v[105:108], v1 offset:1312
	v_add_f64 v[113:114], v[113:114], v[154:155]
	v_add_f64 v[2:3], v[2:3], v[135:136]
	s_waitcnt vmcnt(47) lgkmcnt(1)
	v_mul_f64 v[154:155], v[103:104], v[172:173]
	v_mul_f64 v[135:136], v[101:102], v[172:173]
	s_waitcnt vmcnt(45)
	v_fma_f64 v[158:159], v[97:98], v[111:112], -v[158:159]
	v_fma_f64 v[111:112], v[99:100], v[111:112], v[156:157]
	ds_read_b128 v[97:100], v1 offset:1328
	v_add_f64 v[113:114], v[113:114], v[151:152]
	v_add_f64 v[2:3], v[2:3], v[139:140]
	s_waitcnt vmcnt(41) lgkmcnt(1)
	v_mul_f64 v[139:140], v[105:106], v[115:116]
	v_mul_f64 v[115:116], v[107:108], v[115:116]
	s_waitcnt vmcnt(40)
	v_fma_f64 v[151:152], v[101:102], v[174:175], -v[154:155]
	;; [unrolled: 9-line block ×7, first 2 shown]
	v_fma_f64 v[111:112], v[99:100], v[119:120], v[111:112]
	ds_read_b128 v[97:100], v1 offset:1424
	v_add_f64 v[113:114], v[113:114], v[115:116]
	v_add_f64 v[2:3], v[2:3], v[109:110]
	s_waitcnt vmcnt(17) lgkmcnt(1)
	v_mul_f64 v[115:116], v[107:108], v[125:126]
	s_waitcnt vmcnt(16)
	v_fma_f64 v[119:120], v[101:102], v[178:179], -v[123:124]
	v_mul_f64 v[109:110], v[105:106], v[125:126]
	v_add_f64 v[113:114], v[113:114], v[117:118]
	v_fma_f64 v[117:118], v[103:104], v[178:179], v[121:122]
	v_add_f64 v[2:3], v[2:3], v[111:112]
	ds_read_b128 v[101:104], v1 offset:1440
	s_waitcnt vmcnt(15) lgkmcnt(1)
	v_mul_f64 v[121:122], v[99:100], v[137:138]
	v_mul_f64 v[111:112], v[97:98], v[137:138]
	s_waitcnt vmcnt(13)
	v_fma_f64 v[115:116], v[105:106], v[129:130], -v[115:116]
	v_fma_f64 v[109:110], v[107:108], v[129:130], v[109:110]
	ds_read_b128 v[105:108], v1 offset:1456
	v_add_f64 v[113:114], v[113:114], v[119:120]
	v_add_f64 v[2:3], v[2:3], v[117:118]
	s_waitcnt vmcnt(9) lgkmcnt(1)
	v_mul_f64 v[119:120], v[103:104], v[127:128]
	s_waitcnt vmcnt(8)
	v_fma_f64 v[97:98], v[97:98], v[141:142], -v[121:122]
	v_mul_f64 v[117:118], v[101:102], v[127:128]
	v_fma_f64 v[99:100], v[99:100], v[141:142], v[111:112]
	v_add_f64 v[113:114], v[113:114], v[115:116]
	v_add_f64 v[2:3], v[2:3], v[109:110]
	s_waitcnt vmcnt(7) lgkmcnt(0)
	v_mul_f64 v[111:112], v[107:108], v[145:146]
	v_mul_f64 v[109:110], v[105:106], v[145:146]
	s_waitcnt vmcnt(5)
	v_fma_f64 v[101:102], v[101:102], v[131:132], -v[119:120]
	v_fma_f64 v[103:104], v[103:104], v[131:132], v[117:118]
	v_add_f64 v[97:98], v[113:114], v[97:98]
	v_add_f64 v[2:3], v[2:3], v[99:100]
	s_waitcnt vmcnt(4)
	v_fma_f64 v[99:100], v[105:106], v[149:150], -v[111:112]
	v_add_f64 v[97:98], v[97:98], v[101:102]
	v_fma_f64 v[101:102], v[107:108], v[149:150], v[109:110]
	v_add_f64 v[2:3], v[2:3], v[103:104]
	v_add_f64 v[97:98], v[97:98], v[99:100]
	v_add_f64 v[2:3], v[2:3], v[101:102]
	s_waitcnt vmcnt(2)
	v_add_f64 v[97:98], v[143:144], -v[97:98]
	s_waitcnt vmcnt(0)
	v_add_f64 v[2:3], v[147:148], -v[2:3]
	buffer_store_dword v98, off, s[0:3], 0 offset:308
	buffer_store_dword v97, off, s[0:3], 0 offset:304
	;; [unrolled: 1-line block ×4, first 2 shown]
	v_cmpx_lt_u32_e32 17, v0
	s_cbranch_execz .LBB109_255
; %bb.254:
	v_mov_b32_e32 v2, s41
	s_clause 0x3
	buffer_load_dword v97, v2, s[0:3], 0 offen
	buffer_load_dword v98, v2, s[0:3], 0 offen offset:4
	buffer_load_dword v99, v2, s[0:3], 0 offen offset:8
	buffer_load_dword v100, v2, s[0:3], 0 offen offset:12
	buffer_store_dword v1, off, s[0:3], 0 offset:288
	buffer_store_dword v1, off, s[0:3], 0 offset:292
	;; [unrolled: 1-line block ×4, first 2 shown]
	s_waitcnt vmcnt(0)
	ds_write_b128 v153, v[97:100]
.LBB109_255:
	s_or_b32 exec_lo, exec_lo, s4
	s_waitcnt lgkmcnt(0)
	s_waitcnt_vscnt null, 0x0
	s_barrier
	buffer_gl0_inv
	s_clause 0x37
	buffer_load_dword v2, off, s[0:3], 0 offset:312
	buffer_load_dword v3, off, s[0:3], 0 offset:316
	;; [unrolled: 1-line block ×56, first 2 shown]
	ds_read_b128 v[97:100], v1 offset:1024
	s_clause 0x2
	buffer_load_dword v163, off, s[0:3], 0 offset:540
	buffer_load_dword v167, off, s[0:3], 0 offset:516
	;; [unrolled: 1-line block ×3, first 2 shown]
	ds_read_b128 v[101:104], v1 offset:1040
	s_clause 0x4
	buffer_load_dword v171, off, s[0:3], 0 offset:556
	buffer_load_dword v172, off, s[0:3], 0 offset:568
	;; [unrolled: 1-line block ×5, first 2 shown]
	ds_read_b128 v[105:108], v1 offset:1056
	s_mov_b32 s4, exec_lo
	s_waitcnt vmcnt(62) lgkmcnt(2)
	v_mul_f64 v[168:169], v[99:100], v[2:3]
	v_mul_f64 v[2:3], v[97:98], v[2:3]
	s_waitcnt vmcnt(60) lgkmcnt(1)
	v_mul_f64 v[175:176], v[103:104], v[109:110]
	v_mul_f64 v[109:110], v[101:102], v[109:110]
	;; [unrolled: 3-line block ×3, first 2 shown]
	v_fma_f64 v[168:169], v[97:98], v[111:112], -v[168:169]
	v_fma_f64 v[2:3], v[99:100], v[111:112], v[2:3]
	s_clause 0x2
	buffer_load_dword v173, off, s[0:3], 0 offset:572
	buffer_load_dword v112, off, s[0:3], 0 offset:548
	;; [unrolled: 1-line block ×3, first 2 shown]
	s_waitcnt vmcnt(57)
	v_fma_f64 v[179:180], v[101:102], v[115:116], -v[175:176]
	ds_read_b128 v[97:100], v1 offset:1072
	v_fma_f64 v[109:110], v[103:104], v[115:116], v[109:110]
	s_clause 0x4
	buffer_load_dword v116, off, s[0:3], 0 offset:588
	buffer_load_dword v176, off, s[0:3], 0 offset:600
	buffer_load_dword v181, off, s[0:3], 0 offset:592
	buffer_load_dword v115, off, s[0:3], 0 offset:584
	buffer_load_dword v175, off, s[0:3], 0 offset:564
	s_waitcnt vmcnt(56)
	v_fma_f64 v[113:114], v[105:106], v[123:124], -v[113:114]
	ds_read_b128 v[101:104], v1 offset:1088
	v_fma_f64 v[123:124], v[107:108], v[123:124], v[177:178]
	v_add_f64 v[168:169], v[168:169], 0
	v_add_f64 v[2:3], v[2:3], 0
	s_waitcnt lgkmcnt(1)
	v_mul_f64 v[182:183], v[97:98], v[117:118]
	v_mul_f64 v[117:118], v[99:100], v[117:118]
	v_add_f64 v[168:169], v[168:169], v[179:180]
	v_add_f64 v[2:3], v[2:3], v[109:110]
	s_clause 0x2
	buffer_load_dword v177, off, s[0:3], 0 offset:604
	buffer_load_dword v110, off, s[0:3], 0 offset:580
	;; [unrolled: 1-line block ×3, first 2 shown]
	s_waitcnt vmcnt(58) lgkmcnt(0)
	v_mul_f64 v[178:179], v[101:102], v[119:120]
	v_mul_f64 v[119:120], v[103:104], v[119:120]
	s_waitcnt vmcnt(56)
	v_fma_f64 v[117:118], v[97:98], v[125:126], -v[117:118]
	ds_read_b128 v[105:108], v1 offset:1104
	v_fma_f64 v[125:126], v[99:100], v[125:126], v[182:183]
	v_add_f64 v[113:114], v[168:169], v[113:114]
	v_add_f64 v[2:3], v[2:3], v[123:124]
	s_clause 0x4
	buffer_load_dword v124, off, s[0:3], 0 offset:620
	buffer_load_dword v168, off, s[0:3], 0 offset:632
	;; [unrolled: 1-line block ×5, first 2 shown]
	ds_read_b128 v[97:100], v1 offset:1120
	s_waitcnt vmcnt(57) lgkmcnt(1)
	v_mul_f64 v[184:185], v[105:106], v[127:128]
	v_mul_f64 v[127:128], v[107:108], v[127:128]
	s_waitcnt vmcnt(56)
	v_fma_f64 v[119:120], v[101:102], v[121:122], -v[119:120]
	v_add_f64 v[113:114], v[113:114], v[117:118]
	v_fma_f64 v[117:118], v[103:104], v[121:122], v[178:179]
	v_add_f64 v[2:3], v[2:3], v[125:126]
	s_clause 0x2
	buffer_load_dword v169, off, s[0:3], 0 offset:636
	buffer_load_dword v122, off, s[0:3], 0 offset:612
	;; [unrolled: 1-line block ×3, first 2 shown]
	s_waitcnt vmcnt(58) lgkmcnt(0)
	v_mul_f64 v[125:126], v[97:98], v[129:130]
	v_mul_f64 v[129:130], v[99:100], v[129:130]
	s_waitcnt vmcnt(56)
	v_fma_f64 v[127:128], v[105:106], v[133:134], -v[127:128]
	ds_read_b128 v[101:104], v1 offset:1136
	v_add_f64 v[113:114], v[113:114], v[119:120]
	v_fma_f64 v[119:120], v[107:108], v[133:134], v[184:185]
	v_add_f64 v[2:3], v[2:3], v[117:118]
	s_clause 0x4
	buffer_load_dword v118, off, s[0:3], 0 offset:652
	buffer_load_dword v133, off, s[0:3], 0 offset:664
	;; [unrolled: 1-line block ×5, first 2 shown]
	ds_read_b128 v[105:108], v1 offset:1152
	s_waitcnt vmcnt(57) lgkmcnt(1)
	v_mul_f64 v[179:180], v[101:102], v[135:136]
	v_mul_f64 v[135:136], v[103:104], v[135:136]
	s_waitcnt vmcnt(56)
	v_fma_f64 v[129:130], v[97:98], v[131:132], -v[129:130]
	v_fma_f64 v[125:126], v[99:100], v[131:132], v[125:126]
	v_add_f64 v[113:114], v[113:114], v[127:128]
	v_add_f64 v[2:3], v[2:3], v[119:120]
	s_clause 0x2
	buffer_load_dword v134, off, s[0:3], 0 offset:668
	buffer_load_dword v120, off, s[0:3], 0 offset:644
	;; [unrolled: 1-line block ×3, first 2 shown]
	s_waitcnt vmcnt(58) lgkmcnt(0)
	v_mul_f64 v[131:132], v[107:108], v[137:138]
	ds_read_b128 v[97:100], v1 offset:1168
	s_waitcnt vmcnt(56)
	v_fma_f64 v[135:136], v[101:102], v[141:142], -v[135:136]
	v_mul_f64 v[127:128], v[105:106], v[137:138]
	v_add_f64 v[113:114], v[113:114], v[129:130]
	v_fma_f64 v[129:130], v[103:104], v[141:142], v[179:180]
	v_add_f64 v[2:3], v[2:3], v[125:126]
	s_clause 0x4
	buffer_load_dword v126, off, s[0:3], 0 offset:684
	buffer_load_dword v137, off, s[0:3], 0 offset:696
	;; [unrolled: 1-line block ×5, first 2 shown]
	s_waitcnt vmcnt(57) lgkmcnt(0)
	v_mul_f64 v[185:186], v[97:98], v[143:144]
	v_mul_f64 v[142:143], v[99:100], v[143:144]
	s_waitcnt vmcnt(56)
	v_fma_f64 v[131:132], v[105:106], v[139:140], -v[131:132]
	ds_read_b128 v[101:104], v1 offset:1184
	v_fma_f64 v[127:128], v[107:108], v[139:140], v[127:128]
	v_add_f64 v[113:114], v[113:114], v[135:136]
	v_add_f64 v[2:3], v[2:3], v[129:130]
	s_clause 0x2
	buffer_load_dword v138, off, s[0:3], 0 offset:700
	buffer_load_dword v130, off, s[0:3], 0 offset:676
	;; [unrolled: 1-line block ×3, first 2 shown]
	ds_read_b128 v[105:108], v1 offset:1200
	s_waitcnt vmcnt(58) lgkmcnt(1)
	v_mul_f64 v[139:140], v[103:104], v[145:146]
	s_waitcnt vmcnt(56)
	v_fma_f64 v[143:144], v[97:98], v[149:150], -v[142:143]
	v_mul_f64 v[135:136], v[101:102], v[145:146]
	v_add_f64 v[113:114], v[113:114], v[131:132]
	v_fma_f64 v[131:132], v[99:100], v[149:150], v[185:186]
	v_add_f64 v[2:3], v[2:3], v[127:128]
	s_clause 0x4
	buffer_load_dword v128, off, s[0:3], 0 offset:716
	buffer_load_dword v145, off, s[0:3], 0 offset:728
	;; [unrolled: 1-line block ×5, first 2 shown]
	s_waitcnt vmcnt(57) lgkmcnt(0)
	v_mul_f64 v[185:186], v[105:106], v[151:152]
	v_mul_f64 v[150:151], v[107:108], v[151:152]
	s_waitcnt vmcnt(56)
	v_fma_f64 v[139:140], v[101:102], v[147:148], -v[139:140]
	ds_read_b128 v[97:100], v1 offset:1216
	v_fma_f64 v[135:136], v[103:104], v[147:148], v[135:136]
	v_add_f64 v[113:114], v[113:114], v[143:144]
	v_add_f64 v[2:3], v[2:3], v[131:132]
	s_clause 0x2
	buffer_load_dword v146, off, s[0:3], 0 offset:732
	buffer_load_dword v132, off, s[0:3], 0 offset:708
	;; [unrolled: 1-line block ×3, first 2 shown]
	ds_read_b128 v[101:104], v1 offset:1232
	s_waitcnt vmcnt(58) lgkmcnt(1)
	v_mul_f64 v[147:148], v[99:100], v[154:155]
	s_waitcnt vmcnt(56)
	v_fma_f64 v[151:152], v[105:106], v[158:159], -v[150:151]
	v_mul_f64 v[143:144], v[97:98], v[154:155]
	v_add_f64 v[113:114], v[113:114], v[139:140]
	v_fma_f64 v[139:140], v[107:108], v[158:159], v[185:186]
	v_add_f64 v[2:3], v[2:3], v[135:136]
	s_clause 0x2
	buffer_load_dword v136, off, s[0:3], 0 offset:748
	buffer_load_dword v135, off, s[0:3], 0 offset:744
	;; [unrolled: 1-line block ×3, first 2 shown]
	s_waitcnt vmcnt(55) lgkmcnt(0)
	v_mul_f64 v[158:159], v[103:104], v[160:161]
	s_waitcnt vmcnt(54)
	v_fma_f64 v[147:148], v[97:98], v[156:157], -v[147:148]
	ds_read_b128 v[105:108], v1 offset:1248
	v_mul_f64 v[154:155], v[101:102], v[160:161]
	v_fma_f64 v[143:144], v[99:100], v[156:157], v[143:144]
	v_add_f64 v[113:114], v[113:114], v[151:152]
	v_add_f64 v[2:3], v[2:3], v[139:140]
	s_clause 0x1
	buffer_load_dword v140, off, s[0:3], 0 offset:740
	buffer_load_dword v139, off, s[0:3], 0 offset:736
	s_waitcnt vmcnt(55) lgkmcnt(0)
	v_mul_f64 v[156:157], v[107:108], v[162:163]
	s_waitcnt vmcnt(53)
	v_fma_f64 v[158:159], v[101:102], v[166:167], -v[158:159]
	ds_read_b128 v[97:100], v1 offset:1264
	v_mul_f64 v[151:152], v[105:106], v[162:163]
	v_add_f64 v[113:114], v[113:114], v[147:148]
	v_fma_f64 v[147:148], v[103:104], v[166:167], v[154:155]
	v_add_f64 v[2:3], v[2:3], v[143:144]
	ds_read_b128 v[101:104], v1 offset:1280
	s_waitcnt vmcnt(49) lgkmcnt(1)
	v_mul_f64 v[154:155], v[99:100], v[170:171]
	s_waitcnt vmcnt(48)
	v_fma_f64 v[156:157], v[105:106], v[164:165], -v[156:157]
	v_mul_f64 v[143:144], v[97:98], v[170:171]
	v_fma_f64 v[151:152], v[107:108], v[164:165], v[151:152]
	v_add_f64 v[113:114], v[113:114], v[158:159]
	v_add_f64 v[2:3], v[2:3], v[147:148]
	s_clause 0x3
	buffer_load_dword v147, off, s[0:3], 0 offset:288
	buffer_load_dword v148, off, s[0:3], 0 offset:292
	;; [unrolled: 1-line block ×4, first 2 shown]
	ds_read_b128 v[105:108], v1 offset:1296
	s_waitcnt vmcnt(51) lgkmcnt(1)
	v_mul_f64 v[162:163], v[103:104], v[172:173]
	v_mul_f64 v[160:161], v[101:102], v[172:173]
	s_waitcnt vmcnt(49)
	v_fma_f64 v[154:155], v[97:98], v[111:112], -v[154:155]
	v_fma_f64 v[111:112], v[99:100], v[111:112], v[143:144]
	ds_read_b128 v[97:100], v1 offset:1312
	v_add_f64 v[113:114], v[113:114], v[156:157]
	v_add_f64 v[2:3], v[2:3], v[151:152]
	s_waitcnt vmcnt(45) lgkmcnt(1)
	v_mul_f64 v[143:144], v[105:106], v[115:116]
	v_mul_f64 v[115:116], v[107:108], v[115:116]
	s_waitcnt vmcnt(44)
	v_fma_f64 v[151:152], v[101:102], v[174:175], -v[162:163]
	v_add_f64 v[113:114], v[113:114], v[154:155]
	v_fma_f64 v[154:155], v[103:104], v[174:175], v[160:161]
	v_add_f64 v[2:3], v[2:3], v[111:112]
	ds_read_b128 v[101:104], v1 offset:1328
	s_waitcnt vmcnt(43) lgkmcnt(1)
	v_mul_f64 v[156:157], v[99:100], v[176:177]
	v_mul_f64 v[111:112], v[97:98], v[176:177]
	s_waitcnt vmcnt(41)
	v_fma_f64 v[115:116], v[105:106], v[109:110], -v[115:116]
	v_fma_f64 v[109:110], v[107:108], v[109:110], v[143:144]
	ds_read_b128 v[105:108], v1 offset:1344
	v_add_f64 v[113:114], v[113:114], v[151:152]
	v_add_f64 v[2:3], v[2:3], v[154:155]
	s_waitcnt vmcnt(37) lgkmcnt(1)
	v_mul_f64 v[143:144], v[101:102], v[123:124]
	v_mul_f64 v[123:124], v[103:104], v[123:124]
	s_waitcnt vmcnt(36)
	v_fma_f64 v[151:152], v[97:98], v[181:182], -v[156:157]
	v_fma_f64 v[111:112], v[99:100], v[181:182], v[111:112]
	ds_read_b128 v[97:100], v1 offset:1360
	v_add_f64 v[113:114], v[113:114], v[115:116]
	v_add_f64 v[2:3], v[2:3], v[109:110]
	;; [unrolled: 9-line block ×5, first 2 shown]
	s_waitcnt vmcnt(21) lgkmcnt(1)
	v_mul_f64 v[115:116], v[107:108], v[125:126]
	s_waitcnt vmcnt(20)
	v_fma_f64 v[119:120], v[101:102], v[178:179], -v[123:124]
	v_mul_f64 v[109:110], v[105:106], v[125:126]
	v_add_f64 v[113:114], v[113:114], v[117:118]
	v_fma_f64 v[117:118], v[103:104], v[178:179], v[121:122]
	v_add_f64 v[2:3], v[2:3], v[111:112]
	ds_read_b128 v[101:104], v1 offset:1424
	s_waitcnt vmcnt(19) lgkmcnt(1)
	v_mul_f64 v[121:122], v[99:100], v[137:138]
	v_mul_f64 v[111:112], v[97:98], v[137:138]
	s_waitcnt vmcnt(17)
	v_fma_f64 v[115:116], v[105:106], v[129:130], -v[115:116]
	v_fma_f64 v[109:110], v[107:108], v[129:130], v[109:110]
	ds_read_b128 v[105:108], v1 offset:1440
	v_add_f64 v[113:114], v[113:114], v[119:120]
	v_add_f64 v[2:3], v[2:3], v[117:118]
	s_waitcnt vmcnt(13) lgkmcnt(1)
	v_mul_f64 v[119:120], v[103:104], v[127:128]
	s_waitcnt vmcnt(12)
	v_fma_f64 v[97:98], v[97:98], v[141:142], -v[121:122]
	v_mul_f64 v[117:118], v[101:102], v[127:128]
	v_fma_f64 v[99:100], v[99:100], v[141:142], v[111:112]
	v_add_f64 v[113:114], v[113:114], v[115:116]
	v_add_f64 v[109:110], v[2:3], v[109:110]
	ds_read_b128 v[1:4], v1 offset:1456
	s_waitcnt vmcnt(11) lgkmcnt(1)
	v_mul_f64 v[115:116], v[107:108], v[145:146]
	v_mul_f64 v[111:112], v[105:106], v[145:146]
	s_waitcnt vmcnt(9)
	v_fma_f64 v[101:102], v[101:102], v[131:132], -v[119:120]
	v_fma_f64 v[103:104], v[103:104], v[131:132], v[117:118]
	v_add_f64 v[97:98], v[113:114], v[97:98]
	v_add_f64 v[99:100], v[109:110], v[99:100]
	s_waitcnt vmcnt(7) lgkmcnt(0)
	v_mul_f64 v[113:114], v[3:4], v[135:136]
	s_waitcnt vmcnt(6)
	v_fma_f64 v[105:106], v[105:106], v[149:150], -v[115:116]
	v_mul_f64 v[109:110], v[1:2], v[135:136]
	v_add_f64 v[97:98], v[97:98], v[101:102]
	v_fma_f64 v[101:102], v[107:108], v[149:150], v[111:112]
	v_add_f64 v[99:100], v[99:100], v[103:104]
	s_waitcnt vmcnt(4)
	v_fma_f64 v[1:2], v[1:2], v[139:140], -v[113:114]
	v_fma_f64 v[3:4], v[3:4], v[139:140], v[109:110]
	v_add_f64 v[97:98], v[97:98], v[105:106]
	v_add_f64 v[99:100], v[99:100], v[101:102]
	;; [unrolled: 1-line block ×4, first 2 shown]
	s_waitcnt vmcnt(2)
	v_add_f64 v[1:2], v[147:148], -v[1:2]
	s_waitcnt vmcnt(0)
	v_add_f64 v[3:4], v[158:159], -v[3:4]
	buffer_store_dword v2, off, s[0:3], 0 offset:292
	buffer_store_dword v1, off, s[0:3], 0 offset:288
	;; [unrolled: 1-line block ×4, first 2 shown]
	v_cmpx_lt_u32_e32 16, v0
	s_cbranch_execz .LBB109_257
; %bb.256:
	v_mov_b32_e32 v4, s42
	v_mov_b32_e32 v97, 0
	s_clause 0x3
	buffer_load_dword v1, v4, s[0:3], 0 offen
	buffer_load_dword v2, v4, s[0:3], 0 offen offset:4
	buffer_load_dword v3, v4, s[0:3], 0 offen offset:8
	;; [unrolled: 1-line block ×3, first 2 shown]
	buffer_store_dword v97, off, s[0:3], 0 offset:272
	buffer_store_dword v97, off, s[0:3], 0 offset:276
	;; [unrolled: 1-line block ×4, first 2 shown]
	s_waitcnt vmcnt(0)
	ds_write_b128 v153, v[1:4]
.LBB109_257:
	s_or_b32 exec_lo, exec_lo, s4
	s_waitcnt lgkmcnt(0)
	s_waitcnt_vscnt null, 0x0
	s_barrier
	buffer_gl0_inv
	s_clause 0x37
	buffer_load_dword v101, off, s[0:3], 0 offset:296
	buffer_load_dword v102, off, s[0:3], 0 offset:300
	;; [unrolled: 1-line block ×56, first 2 shown]
	v_mov_b32_e32 v103, 0
	s_mov_b32 s4, exec_lo
	ds_read_b128 v[97:100], v103 offset:1008
	s_clause 0x2
	buffer_load_dword v163, off, s[0:3], 0 offset:524
	buffer_load_dword v167, off, s[0:3], 0 offset:500
	;; [unrolled: 1-line block ×3, first 2 shown]
	ds_read_b128 v[104:107], v103 offset:1024
	s_clause 0x4
	buffer_load_dword v171, off, s[0:3], 0 offset:540
	buffer_load_dword v172, off, s[0:3], 0 offset:552
	;; [unrolled: 1-line block ×5, first 2 shown]
	ds_read_b128 v[108:111], v103 offset:1040
	s_waitcnt vmcnt(62) lgkmcnt(2)
	v_mul_f64 v[168:169], v[99:100], v[101:102]
	v_mul_f64 v[101:102], v[97:98], v[101:102]
	s_waitcnt vmcnt(60) lgkmcnt(1)
	v_mul_f64 v[175:176], v[106:107], v[112:113]
	v_mul_f64 v[112:113], v[104:105], v[112:113]
	;; [unrolled: 3-line block ×3, first 2 shown]
	v_fma_f64 v[168:169], v[97:98], v[114:115], -v[168:169]
	v_fma_f64 v[101:102], v[99:100], v[114:115], v[101:102]
	s_clause 0x2
	buffer_load_dword v173, off, s[0:3], 0 offset:556
	buffer_load_dword v115, off, s[0:3], 0 offset:532
	;; [unrolled: 1-line block ×3, first 2 shown]
	s_waitcnt vmcnt(57)
	v_fma_f64 v[104:105], v[104:105], v[1:2], -v[175:176]
	ds_read_b128 v[97:100], v103 offset:1056
	v_fma_f64 v[106:107], v[106:107], v[1:2], v[112:113]
	s_clause 0x4
	buffer_load_dword v113, off, s[0:3], 0 offset:572
	buffer_load_dword v176, off, s[0:3], 0 offset:584
	buffer_load_dword v181, off, s[0:3], 0 offset:576
	buffer_load_dword v112, off, s[0:3], 0 offset:568
	buffer_load_dword v175, off, s[0:3], 0 offset:548
	s_waitcnt vmcnt(56)
	v_fma_f64 v[108:109], v[108:109], v[122:123], -v[179:180]
	ds_read_b128 v[1:4], v103 offset:1072
	v_fma_f64 v[110:111], v[110:111], v[122:123], v[177:178]
	s_clause 0x2
	buffer_load_dword v177, off, s[0:3], 0 offset:588
	buffer_load_dword v123, off, s[0:3], 0 offset:564
	;; [unrolled: 1-line block ×3, first 2 shown]
	v_add_f64 v[168:169], v[168:169], 0
	v_add_f64 v[101:102], v[101:102], 0
	s_waitcnt lgkmcnt(1)
	v_mul_f64 v[182:183], v[97:98], v[116:117]
	v_mul_f64 v[116:117], v[99:100], v[116:117]
	s_waitcnt vmcnt(58) lgkmcnt(0)
	v_mul_f64 v[178:179], v[1:2], v[118:119]
	v_mul_f64 v[118:119], v[3:4], v[118:119]
	v_add_f64 v[168:169], v[168:169], v[104:105]
	v_add_f64 v[101:102], v[101:102], v[106:107]
	ds_read_b128 v[104:107], v103 offset:1088
	s_waitcnt vmcnt(56)
	v_fma_f64 v[116:117], v[97:98], v[124:125], -v[116:117]
	v_fma_f64 v[124:125], v[99:100], v[124:125], v[182:183]
	s_waitcnt vmcnt(51)
	v_fma_f64 v[118:119], v[1:2], v[120:121], -v[118:119]
	s_waitcnt lgkmcnt(0)
	v_mul_f64 v[184:185], v[104:105], v[126:127]
	v_add_f64 v[108:109], v[168:169], v[108:109]
	v_add_f64 v[101:102], v[101:102], v[110:111]
	s_clause 0x4
	buffer_load_dword v111, off, s[0:3], 0 offset:604
	buffer_load_dword v168, off, s[0:3], 0 offset:616
	;; [unrolled: 1-line block ×5, first 2 shown]
	v_mul_f64 v[126:127], v[106:107], v[126:127]
	ds_read_b128 v[97:100], v103 offset:1104
	v_add_f64 v[108:109], v[108:109], v[116:117]
	v_fma_f64 v[116:117], v[3:4], v[120:121], v[178:179]
	v_add_f64 v[101:102], v[101:102], v[124:125]
	s_clause 0x2
	buffer_load_dword v169, off, s[0:3], 0 offset:620
	buffer_load_dword v121, off, s[0:3], 0 offset:596
	buffer_load_dword v120, off, s[0:3], 0 offset:592
	s_waitcnt vmcnt(58) lgkmcnt(0)
	v_mul_f64 v[124:125], v[97:98], v[128:129]
	v_mul_f64 v[128:129], v[99:100], v[128:129]
	s_waitcnt vmcnt(56)
	v_fma_f64 v[126:127], v[104:105], v[132:133], -v[126:127]
	ds_read_b128 v[1:4], v103 offset:1120
	v_add_f64 v[108:109], v[108:109], v[118:119]
	v_fma_f64 v[118:119], v[106:107], v[132:133], v[184:185]
	v_add_f64 v[101:102], v[101:102], v[116:117]
	s_clause 0x4
	buffer_load_dword v117, off, s[0:3], 0 offset:636
	buffer_load_dword v132, off, s[0:3], 0 offset:648
	;; [unrolled: 1-line block ×5, first 2 shown]
	ds_read_b128 v[104:107], v103 offset:1136
	s_waitcnt vmcnt(57) lgkmcnt(1)
	v_mul_f64 v[179:180], v[1:2], v[134:135]
	v_mul_f64 v[134:135], v[3:4], v[134:135]
	s_waitcnt vmcnt(56)
	v_fma_f64 v[128:129], v[97:98], v[130:131], -v[128:129]
	v_fma_f64 v[124:125], v[99:100], v[130:131], v[124:125]
	v_add_f64 v[108:109], v[108:109], v[126:127]
	v_add_f64 v[101:102], v[101:102], v[118:119]
	s_clause 0x2
	buffer_load_dword v133, off, s[0:3], 0 offset:652
	buffer_load_dword v119, off, s[0:3], 0 offset:628
	;; [unrolled: 1-line block ×3, first 2 shown]
	s_waitcnt vmcnt(58) lgkmcnt(0)
	v_mul_f64 v[130:131], v[106:107], v[136:137]
	ds_read_b128 v[97:100], v103 offset:1152
	s_waitcnt vmcnt(56)
	v_fma_f64 v[134:135], v[1:2], v[140:141], -v[134:135]
	v_mul_f64 v[126:127], v[104:105], v[136:137]
	v_add_f64 v[108:109], v[108:109], v[128:129]
	v_fma_f64 v[128:129], v[3:4], v[140:141], v[179:180]
	v_add_f64 v[101:102], v[101:102], v[124:125]
	s_clause 0x4
	buffer_load_dword v125, off, s[0:3], 0 offset:668
	buffer_load_dword v136, off, s[0:3], 0 offset:680
	buffer_load_dword v140, off, s[0:3], 0 offset:672
	buffer_load_dword v124, off, s[0:3], 0 offset:664
	buffer_load_dword v179, off, s[0:3], 0 offset:644
	s_waitcnt vmcnt(57) lgkmcnt(0)
	v_mul_f64 v[185:186], v[97:98], v[142:143]
	v_mul_f64 v[141:142], v[99:100], v[142:143]
	s_waitcnt vmcnt(56)
	v_fma_f64 v[130:131], v[104:105], v[138:139], -v[130:131]
	ds_read_b128 v[1:4], v103 offset:1168
	v_fma_f64 v[126:127], v[106:107], v[138:139], v[126:127]
	v_add_f64 v[108:109], v[108:109], v[134:135]
	v_add_f64 v[101:102], v[101:102], v[128:129]
	s_clause 0x2
	buffer_load_dword v137, off, s[0:3], 0 offset:684
	buffer_load_dword v129, off, s[0:3], 0 offset:660
	buffer_load_dword v128, off, s[0:3], 0 offset:656
	ds_read_b128 v[104:107], v103 offset:1184
	s_waitcnt vmcnt(58) lgkmcnt(1)
	v_mul_f64 v[138:139], v[3:4], v[144:145]
	s_waitcnt vmcnt(56)
	v_fma_f64 v[142:143], v[97:98], v[148:149], -v[141:142]
	v_mul_f64 v[134:135], v[1:2], v[144:145]
	v_add_f64 v[108:109], v[108:109], v[130:131]
	v_fma_f64 v[130:131], v[99:100], v[148:149], v[185:186]
	v_add_f64 v[101:102], v[101:102], v[126:127]
	s_clause 0x4
	buffer_load_dword v127, off, s[0:3], 0 offset:700
	buffer_load_dword v144, off, s[0:3], 0 offset:712
	buffer_load_dword v148, off, s[0:3], 0 offset:704
	buffer_load_dword v126, off, s[0:3], 0 offset:696
	buffer_load_dword v141, off, s[0:3], 0 offset:676
	s_waitcnt vmcnt(57) lgkmcnt(0)
	v_mul_f64 v[185:186], v[104:105], v[150:151]
	v_mul_f64 v[149:150], v[106:107], v[150:151]
	s_waitcnt vmcnt(56)
	v_fma_f64 v[138:139], v[1:2], v[146:147], -v[138:139]
	ds_read_b128 v[97:100], v103 offset:1200
	v_fma_f64 v[134:135], v[3:4], v[146:147], v[134:135]
	v_add_f64 v[108:109], v[108:109], v[142:143]
	v_add_f64 v[101:102], v[101:102], v[130:131]
	s_clause 0x2
	buffer_load_dword v145, off, s[0:3], 0 offset:716
	buffer_load_dword v131, off, s[0:3], 0 offset:692
	buffer_load_dword v130, off, s[0:3], 0 offset:688
	ds_read_b128 v[1:4], v103 offset:1216
	s_waitcnt vmcnt(58) lgkmcnt(1)
	v_mul_f64 v[146:147], v[99:100], v[154:155]
	;; [unrolled: 28-line block ×3, first 2 shown]
	s_waitcnt vmcnt(56)
	v_fma_f64 v[160:161], v[1:2], v[166:167], -v[159:160]
	v_mul_f64 v[150:151], v[104:105], v[162:163]
	buffer_load_dword v159, off, s[0:3], 0 offset:740
	v_add_f64 v[108:109], v[108:109], v[146:147]
	v_fma_f64 v[146:147], v[3:4], v[166:167], v[185:186]
	v_add_f64 v[101:102], v[101:102], v[142:143]
	ds_read_b128 v[1:4], v103 offset:1264
	s_waitcnt vmcnt(53) lgkmcnt(1)
	v_mul_f64 v[162:163], v[99:100], v[170:171]
	s_waitcnt vmcnt(52)
	v_fma_f64 v[156:157], v[104:105], v[164:165], -v[156:157]
	v_mul_f64 v[142:143], v[97:98], v[170:171]
	v_fma_f64 v[150:151], v[106:107], v[164:165], v[150:151]
	ds_read_b128 v[104:107], v103 offset:1280
	v_add_f64 v[108:109], v[108:109], v[160:161]
	v_add_f64 v[101:102], v[101:102], v[146:147]
	s_waitcnt vmcnt(51) lgkmcnt(1)
	v_mul_f64 v[160:161], v[3:4], v[172:173]
	v_mul_f64 v[146:147], v[1:2], v[172:173]
	s_waitcnt vmcnt(49)
	v_fma_f64 v[162:163], v[97:98], v[114:115], -v[162:163]
	v_fma_f64 v[114:115], v[99:100], v[114:115], v[142:143]
	v_add_f64 v[108:109], v[108:109], v[156:157]
	s_waitcnt vmcnt(45) lgkmcnt(0)
	v_mul_f64 v[156:157], v[104:105], v[112:113]
	v_add_f64 v[101:102], v[101:102], v[150:151]
	s_clause 0x3
	buffer_load_dword v142, off, s[0:3], 0 offset:272
	buffer_load_dword v143, off, s[0:3], 0 offset:276
	;; [unrolled: 1-line block ×4, first 2 shown]
	v_mul_f64 v[112:113], v[106:107], v[112:113]
	ds_read_b128 v[97:100], v103 offset:1296
	s_waitcnt vmcnt(48)
	v_fma_f64 v[160:161], v[1:2], v[174:175], -v[160:161]
	v_fma_f64 v[146:147], v[3:4], v[174:175], v[146:147]
	ds_read_b128 v[1:4], v103 offset:1312
	v_add_f64 v[108:109], v[108:109], v[162:163]
	v_add_f64 v[101:102], v[101:102], v[114:115]
	s_waitcnt vmcnt(47) lgkmcnt(1)
	v_mul_f64 v[162:163], v[99:100], v[176:177]
	s_waitcnt vmcnt(45)
	v_fma_f64 v[112:113], v[104:105], v[122:123], -v[112:113]
	v_mul_f64 v[114:115], v[97:98], v[176:177]
	v_fma_f64 v[122:123], v[106:107], v[122:123], v[156:157]
	ds_read_b128 v[104:107], v103 offset:1328
	v_add_f64 v[108:109], v[108:109], v[160:161]
	v_add_f64 v[101:102], v[101:102], v[146:147]
	s_waitcnt vmcnt(41) lgkmcnt(1)
	v_mul_f64 v[146:147], v[1:2], v[110:111]
	v_mul_f64 v[110:111], v[3:4], v[110:111]
	s_waitcnt vmcnt(40)
	v_fma_f64 v[156:157], v[97:98], v[181:182], -v[162:163]
	v_add_f64 v[108:109], v[108:109], v[112:113]
	v_fma_f64 v[112:113], v[99:100], v[181:182], v[114:115]
	v_add_f64 v[101:102], v[101:102], v[122:123]
	ds_read_b128 v[97:100], v103 offset:1344
	s_waitcnt vmcnt(39) lgkmcnt(1)
	v_mul_f64 v[122:123], v[106:107], v[168:169]
	v_mul_f64 v[114:115], v[104:105], v[168:169]
	s_waitcnt vmcnt(37)
	v_fma_f64 v[110:111], v[1:2], v[120:121], -v[110:111]
	v_fma_f64 v[120:121], v[3:4], v[120:121], v[146:147]
	ds_read_b128 v[1:4], v103 offset:1360
	v_add_f64 v[108:109], v[108:109], v[156:157]
	v_add_f64 v[101:102], v[101:102], v[112:113]
	s_waitcnt vmcnt(33) lgkmcnt(1)
	v_mul_f64 v[112:113], v[97:98], v[116:117]
	v_mul_f64 v[116:117], v[99:100], v[116:117]
	s_waitcnt vmcnt(32)
	v_fma_f64 v[122:123], v[104:105], v[183:184], -v[122:123]
	v_add_f64 v[108:109], v[108:109], v[110:111]
	v_fma_f64 v[110:111], v[106:107], v[183:184], v[114:115]
	v_add_f64 v[101:102], v[101:102], v[120:121]
	ds_read_b128 v[104:107], v103 offset:1376
	s_waitcnt vmcnt(31) lgkmcnt(1)
	v_mul_f64 v[120:121], v[3:4], v[132:133]
	v_mul_f64 v[114:115], v[1:2], v[132:133]
	s_waitcnt vmcnt(29)
	v_fma_f64 v[116:117], v[97:98], v[118:119], -v[116:117]
	v_fma_f64 v[112:113], v[99:100], v[118:119], v[112:113]
	ds_read_b128 v[97:100], v103 offset:1392
	v_add_f64 v[108:109], v[108:109], v[122:123]
	v_add_f64 v[101:102], v[101:102], v[110:111]
	s_waitcnt vmcnt(25) lgkmcnt(1)
	v_mul_f64 v[118:119], v[106:107], v[124:125]
	s_waitcnt vmcnt(24)
	v_fma_f64 v[120:121], v[1:2], v[178:179], -v[120:121]
	v_mul_f64 v[110:111], v[104:105], v[124:125]
	v_fma_f64 v[114:115], v[3:4], v[178:179], v[114:115]
	ds_read_b128 v[1:4], v103 offset:1408
	v_add_f64 v[108:109], v[108:109], v[116:117]
	v_add_f64 v[101:102], v[101:102], v[112:113]
	s_waitcnt vmcnt(23) lgkmcnt(1)
	v_mul_f64 v[116:117], v[99:100], v[136:137]
	v_mul_f64 v[112:113], v[97:98], v[136:137]
	s_waitcnt vmcnt(21)
	v_fma_f64 v[118:119], v[104:105], v[128:129], -v[118:119]
	v_fma_f64 v[110:111], v[106:107], v[128:129], v[110:111]
	ds_read_b128 v[104:107], v103 offset:1424
	v_add_f64 v[108:109], v[108:109], v[120:121]
	v_add_f64 v[101:102], v[101:102], v[114:115]
	s_waitcnt vmcnt(17) lgkmcnt(1)
	v_mul_f64 v[120:121], v[3:4], v[126:127]
	s_waitcnt vmcnt(16)
	v_fma_f64 v[116:117], v[97:98], v[140:141], -v[116:117]
	v_mul_f64 v[114:115], v[1:2], v[126:127]
	v_fma_f64 v[112:113], v[99:100], v[140:141], v[112:113]
	ds_read_b128 v[97:100], v103 offset:1440
	v_add_f64 v[108:109], v[108:109], v[118:119]
	v_add_f64 v[101:102], v[101:102], v[110:111]
	s_waitcnt vmcnt(15) lgkmcnt(1)
	v_mul_f64 v[118:119], v[106:107], v[144:145]
	v_mul_f64 v[110:111], v[104:105], v[144:145]
	s_waitcnt vmcnt(13)
	v_fma_f64 v[120:121], v[1:2], v[130:131], -v[120:121]
	v_fma_f64 v[114:115], v[3:4], v[130:131], v[114:115]
	ds_read_b128 v[1:4], v103 offset:1456
	v_add_f64 v[108:109], v[108:109], v[116:117]
	v_add_f64 v[101:102], v[101:102], v[112:113]
	s_waitcnt vmcnt(9) lgkmcnt(1)
	v_mul_f64 v[116:117], v[99:100], v[134:135]
	s_waitcnt vmcnt(8)
	v_fma_f64 v[104:105], v[104:105], v[148:149], -v[118:119]
	v_mul_f64 v[112:113], v[97:98], v[134:135]
	v_fma_f64 v[106:107], v[106:107], v[148:149], v[110:111]
	v_add_f64 v[108:109], v[108:109], v[120:121]
	v_add_f64 v[101:102], v[101:102], v[114:115]
	s_waitcnt vmcnt(7) lgkmcnt(0)
	v_mul_f64 v[114:115], v[3:4], v[154:155]
	v_mul_f64 v[110:111], v[1:2], v[154:155]
	s_waitcnt vmcnt(5)
	v_fma_f64 v[97:98], v[97:98], v[138:139], -v[116:117]
	v_fma_f64 v[99:100], v[99:100], v[138:139], v[112:113]
	v_add_f64 v[104:105], v[108:109], v[104:105]
	v_add_f64 v[101:102], v[101:102], v[106:107]
	s_waitcnt vmcnt(4)
	v_fma_f64 v[1:2], v[1:2], v[158:159], -v[114:115]
	v_fma_f64 v[3:4], v[3:4], v[158:159], v[110:111]
	v_add_f64 v[97:98], v[104:105], v[97:98]
	v_add_f64 v[99:100], v[101:102], v[99:100]
	;; [unrolled: 1-line block ×4, first 2 shown]
	s_waitcnt vmcnt(2)
	v_add_f64 v[1:2], v[142:143], -v[1:2]
	s_waitcnt vmcnt(0)
	v_add_f64 v[3:4], v[150:151], -v[3:4]
	buffer_store_dword v2, off, s[0:3], 0 offset:276
	buffer_store_dword v1, off, s[0:3], 0 offset:272
	;; [unrolled: 1-line block ×4, first 2 shown]
	v_cmpx_lt_u32_e32 15, v0
	s_cbranch_execz .LBB109_259
; %bb.258:
	v_mov_b32_e32 v4, s43
	s_clause 0x3
	buffer_load_dword v1, v4, s[0:3], 0 offen
	buffer_load_dword v2, v4, s[0:3], 0 offen offset:4
	buffer_load_dword v3, v4, s[0:3], 0 offen offset:8
	;; [unrolled: 1-line block ×3, first 2 shown]
	buffer_store_dword v103, off, s[0:3], 0 offset:256
	buffer_store_dword v103, off, s[0:3], 0 offset:260
	;; [unrolled: 1-line block ×4, first 2 shown]
	s_waitcnt vmcnt(0)
	ds_write_b128 v153, v[1:4]
.LBB109_259:
	s_or_b32 exec_lo, exec_lo, s4
	s_waitcnt lgkmcnt(0)
	s_waitcnt_vscnt null, 0x0
	s_barrier
	buffer_gl0_inv
	s_clause 0x37
	buffer_load_dword v101, off, s[0:3], 0 offset:280
	buffer_load_dword v102, off, s[0:3], 0 offset:284
	buffer_load_dword v97, off, s[0:3], 0 offset:296
	buffer_load_dword v98, off, s[0:3], 0 offset:300
	buffer_load_dword v99, off, s[0:3], 0 offset:272
	buffer_load_dword v100, off, s[0:3], 0 offset:276
	buffer_load_dword v3, off, s[0:3], 0 offset:312
	buffer_load_dword v4, off, s[0:3], 0 offset:316
	buffer_load_dword v1, off, s[0:3], 0 offset:288
	buffer_load_dword v2, off, s[0:3], 0 offset:292
	buffer_load_dword v117, off, s[0:3], 0 offset:332
	buffer_load_dword v118, off, s[0:3], 0 offset:344
	buffer_load_dword v120, off, s[0:3], 0 offset:336
	buffer_load_dword v116, off, s[0:3], 0 offset:328
	buffer_load_dword v122, off, s[0:3], 0 offset:304
	buffer_load_dword v123, off, s[0:3], 0 offset:308
	buffer_load_dword v119, off, s[0:3], 0 offset:348
	buffer_load_dword v125, off, s[0:3], 0 offset:324
	buffer_load_dword v124, off, s[0:3], 0 offset:320
	buffer_load_dword v127, off, s[0:3], 0 offset:364
	buffer_load_dword v128, off, s[0:3], 0 offset:376
	buffer_load_dword v130, off, s[0:3], 0 offset:368
	buffer_load_dword v126, off, s[0:3], 0 offset:360
	buffer_load_dword v121, off, s[0:3], 0 offset:340
	buffer_load_dword v129, off, s[0:3], 0 offset:380
	buffer_load_dword v133, off, s[0:3], 0 offset:356
	buffer_load_dword v132, off, s[0:3], 0 offset:352
	buffer_load_dword v135, off, s[0:3], 0 offset:396
	buffer_load_dword v136, off, s[0:3], 0 offset:408
	buffer_load_dword v138, off, s[0:3], 0 offset:400
	buffer_load_dword v134, off, s[0:3], 0 offset:392
	buffer_load_dword v131, off, s[0:3], 0 offset:372
	buffer_load_dword v137, off, s[0:3], 0 offset:412
	buffer_load_dword v141, off, s[0:3], 0 offset:388
	buffer_load_dword v140, off, s[0:3], 0 offset:384
	buffer_load_dword v143, off, s[0:3], 0 offset:428
	buffer_load_dword v144, off, s[0:3], 0 offset:440
	buffer_load_dword v146, off, s[0:3], 0 offset:432
	buffer_load_dword v142, off, s[0:3], 0 offset:424
	buffer_load_dword v139, off, s[0:3], 0 offset:404
	buffer_load_dword v145, off, s[0:3], 0 offset:444
	buffer_load_dword v149, off, s[0:3], 0 offset:420
	buffer_load_dword v148, off, s[0:3], 0 offset:416
	buffer_load_dword v151, off, s[0:3], 0 offset:460
	buffer_load_dword v154, off, s[0:3], 0 offset:472
	buffer_load_dword v156, off, s[0:3], 0 offset:464
	buffer_load_dword v150, off, s[0:3], 0 offset:456
	buffer_load_dword v147, off, s[0:3], 0 offset:436
	buffer_load_dword v155, off, s[0:3], 0 offset:476
	buffer_load_dword v159, off, s[0:3], 0 offset:452
	buffer_load_dword v158, off, s[0:3], 0 offset:448
	buffer_load_dword v161, off, s[0:3], 0 offset:492
	buffer_load_dword v162, off, s[0:3], 0 offset:504
	buffer_load_dword v164, off, s[0:3], 0 offset:496
	buffer_load_dword v160, off, s[0:3], 0 offset:488
	buffer_load_dword v157, off, s[0:3], 0 offset:468
	ds_read_b128 v[104:107], v103 offset:992
	s_clause 0x2
	buffer_load_dword v163, off, s[0:3], 0 offset:508
	buffer_load_dword v167, off, s[0:3], 0 offset:484
	;; [unrolled: 1-line block ×3, first 2 shown]
	ds_read_b128 v[108:111], v103 offset:1008
	s_clause 0x4
	buffer_load_dword v171, off, s[0:3], 0 offset:524
	buffer_load_dword v172, off, s[0:3], 0 offset:536
	buffer_load_dword v174, off, s[0:3], 0 offset:528
	buffer_load_dword v170, off, s[0:3], 0 offset:520
	buffer_load_dword v165, off, s[0:3], 0 offset:500
	ds_read_b128 v[112:115], v103 offset:1024
	s_clause 0x2
	buffer_load_dword v173, off, s[0:3], 0 offset:540
	buffer_load_dword v178, off, s[0:3], 0 offset:516
	;; [unrolled: 1-line block ×3, first 2 shown]
	s_mov_b32 s4, exec_lo
	s_waitcnt vmcnt(62) lgkmcnt(2)
	v_mul_f64 v[168:169], v[106:107], v[101:102]
	v_mul_f64 v[101:102], v[104:105], v[101:102]
	s_waitcnt lgkmcnt(1)
	v_mul_f64 v[175:176], v[110:111], v[97:98]
	s_waitcnt vmcnt(59) lgkmcnt(0)
	v_mul_f64 v[179:180], v[114:115], v[3:4]
	v_fma_f64 v[104:105], v[104:105], v[99:100], -v[168:169]
	v_mul_f64 v[168:169], v[108:109], v[97:98]
	v_fma_f64 v[101:102], v[106:107], v[99:100], v[101:102]
	s_waitcnt vmcnt(57)
	v_fma_f64 v[108:109], v[108:109], v[1:2], -v[175:176]
	ds_read_b128 v[97:100], v103 offset:1040
	v_mul_f64 v[106:107], v[112:113], v[3:4]
	s_waitcnt vmcnt(51)
	v_fma_f64 v[112:113], v[112:113], v[122:123], -v[179:180]
	v_add_f64 v[104:105], v[104:105], 0
	v_fma_f64 v[110:111], v[110:111], v[1:2], v[168:169]
	v_add_f64 v[101:102], v[101:102], 0
	s_clause 0x4
	buffer_load_dword v169, off, s[0:3], 0 offset:556
	buffer_load_dword v181, off, s[0:3], 0 offset:568
	;; [unrolled: 1-line block ×5, first 2 shown]
	s_waitcnt lgkmcnt(0)
	v_mul_f64 v[184:185], v[97:98], v[116:117]
	v_mul_f64 v[116:117], v[99:100], v[116:117]
	ds_read_b128 v[1:4], v103 offset:1056
	v_fma_f64 v[114:115], v[114:115], v[122:123], v[106:107]
	v_add_f64 v[108:109], v[104:105], v[108:109]
	v_add_f64 v[101:102], v[101:102], v[110:111]
	s_clause 0x2
	buffer_load_dword v182, off, s[0:3], 0 offset:572
	buffer_load_dword v111, off, s[0:3], 0 offset:548
	;; [unrolled: 1-line block ×3, first 2 shown]
	s_waitcnt vmcnt(58) lgkmcnt(0)
	v_mul_f64 v[122:123], v[1:2], v[118:119]
	v_mul_f64 v[118:119], v[3:4], v[118:119]
	s_waitcnt vmcnt(56)
	v_fma_f64 v[116:117], v[97:98], v[124:125], -v[116:117]
	ds_read_b128 v[104:107], v103 offset:1072
	v_add_f64 v[108:109], v[108:109], v[112:113]
	v_fma_f64 v[112:113], v[99:100], v[124:125], v[184:185]
	v_add_f64 v[101:102], v[101:102], v[114:115]
	s_clause 0x4
	buffer_load_dword v115, off, s[0:3], 0 offset:588
	buffer_load_dword v124, off, s[0:3], 0 offset:600
	;; [unrolled: 1-line block ×5, first 2 shown]
	ds_read_b128 v[97:100], v103 offset:1088
	s_waitcnt vmcnt(57) lgkmcnt(1)
	v_mul_f64 v[185:186], v[104:105], v[126:127]
	v_mul_f64 v[126:127], v[106:107], v[126:127]
	s_waitcnt vmcnt(56)
	v_fma_f64 v[118:119], v[1:2], v[120:121], -v[118:119]
	v_add_f64 v[108:109], v[108:109], v[116:117]
	v_fma_f64 v[116:117], v[3:4], v[120:121], v[122:123]
	v_add_f64 v[101:102], v[101:102], v[112:113]
	s_clause 0x2
	buffer_load_dword v125, off, s[0:3], 0 offset:604
	buffer_load_dword v113, off, s[0:3], 0 offset:580
	;; [unrolled: 1-line block ×3, first 2 shown]
	s_waitcnt vmcnt(58) lgkmcnt(0)
	v_mul_f64 v[122:123], v[99:100], v[128:129]
	ds_read_b128 v[1:4], v103 offset:1104
	s_waitcnt vmcnt(56)
	v_fma_f64 v[126:127], v[104:105], v[132:133], -v[126:127]
	v_mul_f64 v[120:121], v[97:98], v[128:129]
	v_add_f64 v[108:109], v[108:109], v[118:119]
	v_fma_f64 v[118:119], v[106:107], v[132:133], v[185:186]
	v_add_f64 v[101:102], v[101:102], v[116:117]
	s_clause 0x4
	buffer_load_dword v117, off, s[0:3], 0 offset:620
	buffer_load_dword v128, off, s[0:3], 0 offset:632
	buffer_load_dword v132, off, s[0:3], 0 offset:624
	buffer_load_dword v116, off, s[0:3], 0 offset:616
	buffer_load_dword v180, off, s[0:3], 0 offset:596
	s_waitcnt vmcnt(57) lgkmcnt(0)
	v_mul_f64 v[185:186], v[1:2], v[134:135]
	v_mul_f64 v[133:134], v[3:4], v[134:135]
	s_waitcnt vmcnt(56)
	v_fma_f64 v[122:123], v[97:98], v[130:131], -v[122:123]
	ds_read_b128 v[104:107], v103 offset:1120
	v_fma_f64 v[120:121], v[99:100], v[130:131], v[120:121]
	v_add_f64 v[108:109], v[108:109], v[126:127]
	v_add_f64 v[101:102], v[101:102], v[118:119]
	s_clause 0x2
	buffer_load_dword v129, off, s[0:3], 0 offset:636
	buffer_load_dword v119, off, s[0:3], 0 offset:612
	buffer_load_dword v118, off, s[0:3], 0 offset:608
	ds_read_b128 v[97:100], v103 offset:1136
	s_waitcnt vmcnt(58) lgkmcnt(1)
	v_mul_f64 v[130:131], v[106:107], v[136:137]
	s_waitcnt vmcnt(56)
	v_fma_f64 v[134:135], v[1:2], v[140:141], -v[133:134]
	v_mul_f64 v[126:127], v[104:105], v[136:137]
	v_add_f64 v[108:109], v[108:109], v[122:123]
	v_fma_f64 v[122:123], v[3:4], v[140:141], v[185:186]
	v_add_f64 v[101:102], v[101:102], v[120:121]
	s_clause 0x4
	buffer_load_dword v121, off, s[0:3], 0 offset:652
	buffer_load_dword v136, off, s[0:3], 0 offset:664
	buffer_load_dword v140, off, s[0:3], 0 offset:656
	buffer_load_dword v120, off, s[0:3], 0 offset:648
	buffer_load_dword v133, off, s[0:3], 0 offset:628
	s_waitcnt vmcnt(57) lgkmcnt(0)
	v_mul_f64 v[185:186], v[97:98], v[142:143]
	v_mul_f64 v[141:142], v[99:100], v[142:143]
	s_waitcnt vmcnt(56)
	v_fma_f64 v[130:131], v[104:105], v[138:139], -v[130:131]
	ds_read_b128 v[1:4], v103 offset:1152
	v_fma_f64 v[126:127], v[106:107], v[138:139], v[126:127]
	v_add_f64 v[108:109], v[108:109], v[134:135]
	v_add_f64 v[101:102], v[101:102], v[122:123]
	s_clause 0x2
	buffer_load_dword v137, off, s[0:3], 0 offset:668
	buffer_load_dword v123, off, s[0:3], 0 offset:644
	buffer_load_dword v122, off, s[0:3], 0 offset:640
	ds_read_b128 v[104:107], v103 offset:1168
	s_waitcnt vmcnt(58) lgkmcnt(1)
	v_mul_f64 v[138:139], v[3:4], v[144:145]
	;; [unrolled: 28-line block ×4, first 2 shown]
	s_waitcnt vmcnt(56)
	v_fma_f64 v[160:161], v[1:2], v[166:167], -v[159:160]
	v_mul_f64 v[150:151], v[104:105], v[162:163]
	v_add_f64 v[108:109], v[108:109], v[146:147]
	v_fma_f64 v[146:147], v[3:4], v[166:167], v[185:186]
	v_add_f64 v[101:102], v[101:102], v[142:143]
	s_clause 0x2
	buffer_load_dword v143, off, s[0:3], 0 offset:748
	buffer_load_dword v142, off, s[0:3], 0 offset:744
	;; [unrolled: 1-line block ×3, first 2 shown]
	s_waitcnt vmcnt(55) lgkmcnt(0)
	v_mul_f64 v[166:167], v[99:100], v[170:171]
	s_waitcnt vmcnt(54)
	v_fma_f64 v[156:157], v[104:105], v[164:165], -v[156:157]
	ds_read_b128 v[1:4], v103 offset:1248
	v_mul_f64 v[162:163], v[97:98], v[170:171]
	v_fma_f64 v[150:151], v[106:107], v[164:165], v[150:151]
	v_add_f64 v[108:109], v[108:109], v[160:161]
	v_add_f64 v[101:102], v[101:102], v[146:147]
	s_clause 0x1
	buffer_load_dword v147, off, s[0:3], 0 offset:740
	buffer_load_dword v146, off, s[0:3], 0 offset:736
	s_waitcnt vmcnt(55) lgkmcnt(0)
	v_mul_f64 v[164:165], v[3:4], v[172:173]
	s_waitcnt vmcnt(53)
	v_fma_f64 v[166:167], v[97:98], v[177:178], -v[166:167]
	ds_read_b128 v[104:107], v103 offset:1264
	v_mul_f64 v[160:161], v[1:2], v[172:173]
	v_add_f64 v[108:109], v[108:109], v[156:157]
	v_fma_f64 v[156:157], v[99:100], v[177:178], v[162:163]
	v_add_f64 v[101:102], v[101:102], v[150:151]
	ds_read_b128 v[97:100], v103 offset:1280
	s_waitcnt vmcnt(49) lgkmcnt(1)
	v_mul_f64 v[162:163], v[106:107], v[168:169]
	s_waitcnt vmcnt(48)
	v_fma_f64 v[164:165], v[1:2], v[174:175], -v[164:165]
	v_mul_f64 v[150:151], v[104:105], v[168:169]
	v_fma_f64 v[160:161], v[3:4], v[174:175], v[160:161]
	v_add_f64 v[108:109], v[108:109], v[166:167]
	v_add_f64 v[101:102], v[101:102], v[156:157]
	s_clause 0x3
	buffer_load_dword v156, off, s[0:3], 0 offset:256
	buffer_load_dword v157, off, s[0:3], 0 offset:260
	;; [unrolled: 1-line block ×4, first 2 shown]
	ds_read_b128 v[1:4], v103 offset:1296
	s_waitcnt vmcnt(51) lgkmcnt(1)
	v_mul_f64 v[170:171], v[99:100], v[181:182]
	v_mul_f64 v[168:169], v[97:98], v[181:182]
	s_waitcnt vmcnt(49)
	v_fma_f64 v[162:163], v[104:105], v[110:111], -v[162:163]
	v_fma_f64 v[110:111], v[106:107], v[110:111], v[150:151]
	ds_read_b128 v[104:107], v103 offset:1312
	v_add_f64 v[108:109], v[108:109], v[164:165]
	v_add_f64 v[101:102], v[101:102], v[160:161]
	s_waitcnt vmcnt(45) lgkmcnt(1)
	v_mul_f64 v[150:151], v[1:2], v[114:115]
	v_mul_f64 v[114:115], v[3:4], v[114:115]
	s_waitcnt vmcnt(44)
	v_fma_f64 v[160:161], v[97:98], v[183:184], -v[170:171]
	v_add_f64 v[108:109], v[108:109], v[162:163]
	v_fma_f64 v[162:163], v[99:100], v[183:184], v[168:169]
	v_add_f64 v[101:102], v[101:102], v[110:111]
	ds_read_b128 v[97:100], v103 offset:1328
	s_waitcnt vmcnt(43) lgkmcnt(1)
	v_mul_f64 v[110:111], v[104:105], v[124:125]
	v_mul_f64 v[124:125], v[106:107], v[124:125]
	s_waitcnt vmcnt(41)
	v_fma_f64 v[114:115], v[1:2], v[112:113], -v[114:115]
	v_fma_f64 v[112:113], v[3:4], v[112:113], v[150:151]
	ds_read_b128 v[1:4], v103 offset:1344
	v_add_f64 v[108:109], v[108:109], v[160:161]
	v_add_f64 v[101:102], v[101:102], v[162:163]
	s_waitcnt vmcnt(37) lgkmcnt(1)
	v_mul_f64 v[150:151], v[97:98], v[116:117]
	v_mul_f64 v[116:117], v[99:100], v[116:117]
	s_waitcnt vmcnt(36)
	v_fma_f64 v[124:125], v[104:105], v[179:180], -v[124:125]
	v_fma_f64 v[110:111], v[106:107], v[179:180], v[110:111]
	ds_read_b128 v[104:107], v103 offset:1360
	v_add_f64 v[108:109], v[108:109], v[114:115]
	v_add_f64 v[101:102], v[101:102], v[112:113]
	;; [unrolled: 9-line block ×5, first 2 shown]
	s_waitcnt vmcnt(21) lgkmcnt(1)
	v_mul_f64 v[114:115], v[3:4], v[126:127]
	s_waitcnt vmcnt(20)
	v_fma_f64 v[118:119], v[97:98], v[140:141], -v[118:119]
	v_mul_f64 v[112:113], v[1:2], v[126:127]
	v_fma_f64 v[116:117], v[99:100], v[140:141], v[116:117]
	ds_read_b128 v[97:100], v103 offset:1424
	v_add_f64 v[108:109], v[108:109], v[120:121]
	v_add_f64 v[101:102], v[101:102], v[110:111]
	s_waitcnt vmcnt(19) lgkmcnt(1)
	v_mul_f64 v[120:121], v[106:107], v[144:145]
	v_mul_f64 v[110:111], v[104:105], v[144:145]
	s_waitcnt vmcnt(17)
	v_fma_f64 v[114:115], v[1:2], v[130:131], -v[114:115]
	v_fma_f64 v[112:113], v[3:4], v[130:131], v[112:113]
	ds_read_b128 v[1:4], v103 offset:1440
	v_add_f64 v[108:109], v[108:109], v[118:119]
	v_add_f64 v[101:102], v[101:102], v[116:117]
	s_waitcnt vmcnt(13) lgkmcnt(1)
	v_mul_f64 v[118:119], v[99:100], v[134:135]
	s_waitcnt vmcnt(12)
	v_fma_f64 v[120:121], v[104:105], v[148:149], -v[120:121]
	v_mul_f64 v[116:117], v[97:98], v[134:135]
	v_fma_f64 v[105:106], v[106:107], v[148:149], v[110:111]
	v_add_f64 v[108:109], v[108:109], v[114:115]
	v_add_f64 v[110:111], v[101:102], v[112:113]
	ds_read_b128 v[101:104], v103 offset:1456
	s_waitcnt vmcnt(11) lgkmcnt(1)
	v_mul_f64 v[114:115], v[3:4], v[154:155]
	v_mul_f64 v[112:113], v[1:2], v[154:155]
	s_waitcnt vmcnt(9)
	v_fma_f64 v[97:98], v[97:98], v[138:139], -v[118:119]
	v_fma_f64 v[99:100], v[99:100], v[138:139], v[116:117]
	v_add_f64 v[107:108], v[108:109], v[120:121]
	v_add_f64 v[105:106], v[110:111], v[105:106]
	s_waitcnt vmcnt(7) lgkmcnt(0)
	v_mul_f64 v[116:117], v[103:104], v[142:143]
	s_waitcnt vmcnt(6)
	v_fma_f64 v[1:2], v[1:2], v[158:159], -v[114:115]
	v_mul_f64 v[109:110], v[101:102], v[142:143]
	v_fma_f64 v[3:4], v[3:4], v[158:159], v[112:113]
	v_add_f64 v[97:98], v[107:108], v[97:98]
	v_add_f64 v[99:100], v[105:106], v[99:100]
	s_waitcnt vmcnt(4)
	v_fma_f64 v[101:102], v[101:102], v[146:147], -v[116:117]
	v_add_f64 v[1:2], v[97:98], v[1:2]
	v_fma_f64 v[97:98], v[103:104], v[146:147], v[109:110]
	v_add_f64 v[3:4], v[99:100], v[3:4]
	v_add_f64 v[1:2], v[1:2], v[101:102]
	;; [unrolled: 1-line block ×3, first 2 shown]
	s_waitcnt vmcnt(2)
	v_add_f64 v[1:2], v[156:157], -v[1:2]
	s_waitcnt vmcnt(0)
	v_add_f64 v[3:4], v[166:167], -v[3:4]
	buffer_store_dword v2, off, s[0:3], 0 offset:260
	buffer_store_dword v1, off, s[0:3], 0 offset:256
	;; [unrolled: 1-line block ×4, first 2 shown]
	v_cmpx_lt_u32_e32 14, v0
	s_cbranch_execz .LBB109_261
; %bb.260:
	v_mov_b32_e32 v4, s44
	v_mov_b32_e32 v97, 0
	s_clause 0x3
	buffer_load_dword v1, v4, s[0:3], 0 offen
	buffer_load_dword v2, v4, s[0:3], 0 offen offset:4
	buffer_load_dword v3, v4, s[0:3], 0 offen offset:8
	;; [unrolled: 1-line block ×3, first 2 shown]
	buffer_store_dword v97, off, s[0:3], 0 offset:240
	buffer_store_dword v97, off, s[0:3], 0 offset:244
	;; [unrolled: 1-line block ×4, first 2 shown]
	s_waitcnt vmcnt(0)
	ds_write_b128 v153, v[1:4]
.LBB109_261:
	s_or_b32 exec_lo, exec_lo, s4
	s_waitcnt lgkmcnt(0)
	s_waitcnt_vscnt null, 0x0
	s_barrier
	buffer_gl0_inv
	s_clause 0x37
	buffer_load_dword v101, off, s[0:3], 0 offset:264
	buffer_load_dword v102, off, s[0:3], 0 offset:268
	;; [unrolled: 1-line block ×56, first 2 shown]
	v_mov_b32_e32 v121, 0
	s_mov_b32 s4, exec_lo
	ds_read_b128 v[109:112], v121 offset:976
	s_clause 0x2
	buffer_load_dword v163, off, s[0:3], 0 offset:492
	buffer_load_dword v167, off, s[0:3], 0 offset:468
	;; [unrolled: 1-line block ×3, first 2 shown]
	ds_read_b128 v[113:116], v121 offset:992
	s_clause 0x4
	buffer_load_dword v171, off, s[0:3], 0 offset:508
	buffer_load_dword v172, off, s[0:3], 0 offset:520
	;; [unrolled: 1-line block ×5, first 2 shown]
	ds_read_b128 v[117:120], v121 offset:1008
	s_clause 0x2
	buffer_load_dword v173, off, s[0:3], 0 offset:524
	buffer_load_dword v178, off, s[0:3], 0 offset:500
	;; [unrolled: 1-line block ×3, first 2 shown]
	s_waitcnt vmcnt(62) lgkmcnt(2)
	v_mul_f64 v[168:169], v[111:112], v[101:102]
	v_mul_f64 v[101:102], v[109:110], v[101:102]
	s_waitcnt lgkmcnt(1)
	v_mul_f64 v[175:176], v[115:116], v[97:98]
	s_waitcnt vmcnt(59) lgkmcnt(0)
	v_mul_f64 v[179:180], v[119:120], v[3:4]
	v_fma_f64 v[109:110], v[109:110], v[99:100], -v[168:169]
	v_mul_f64 v[168:169], v[113:114], v[97:98]
	v_fma_f64 v[101:102], v[111:112], v[99:100], v[101:102]
	s_waitcnt vmcnt(57)
	v_fma_f64 v[113:114], v[113:114], v[1:2], -v[175:176]
	ds_read_b128 v[97:100], v121 offset:1024
	v_mul_f64 v[111:112], v[117:118], v[3:4]
	s_waitcnt vmcnt(51)
	v_fma_f64 v[117:118], v[117:118], v[124:125], -v[179:180]
	v_add_f64 v[109:110], v[109:110], 0
	v_fma_f64 v[115:116], v[115:116], v[1:2], v[168:169]
	v_add_f64 v[101:102], v[101:102], 0
	s_clause 0x4
	buffer_load_dword v169, off, s[0:3], 0 offset:540
	buffer_load_dword v181, off, s[0:3], 0 offset:552
	;; [unrolled: 1-line block ×5, first 2 shown]
	s_waitcnt lgkmcnt(0)
	v_mul_f64 v[184:185], v[97:98], v[105:106]
	v_mul_f64 v[105:106], v[99:100], v[105:106]
	ds_read_b128 v[1:4], v121 offset:1040
	v_fma_f64 v[119:120], v[119:120], v[124:125], v[111:112]
	v_add_f64 v[113:114], v[109:110], v[113:114]
	v_add_f64 v[101:102], v[101:102], v[115:116]
	s_clause 0x2
	buffer_load_dword v182, off, s[0:3], 0 offset:556
	buffer_load_dword v116, off, s[0:3], 0 offset:532
	;; [unrolled: 1-line block ×3, first 2 shown]
	s_waitcnt vmcnt(58) lgkmcnt(0)
	v_mul_f64 v[124:125], v[1:2], v[122:123]
	v_mul_f64 v[122:123], v[3:4], v[122:123]
	s_waitcnt vmcnt(56)
	v_fma_f64 v[105:106], v[97:98], v[126:127], -v[105:106]
	ds_read_b128 v[109:112], v121 offset:1056
	v_add_f64 v[113:114], v[113:114], v[117:118]
	v_fma_f64 v[117:118], v[99:100], v[126:127], v[184:185]
	v_add_f64 v[101:102], v[101:102], v[119:120]
	s_clause 0x4
	buffer_load_dword v120, off, s[0:3], 0 offset:572
	buffer_load_dword v126, off, s[0:3], 0 offset:584
	;; [unrolled: 1-line block ×5, first 2 shown]
	ds_read_b128 v[97:100], v121 offset:1072
	s_waitcnt vmcnt(57) lgkmcnt(1)
	v_mul_f64 v[185:186], v[109:110], v[128:129]
	v_mul_f64 v[128:129], v[111:112], v[128:129]
	s_waitcnt vmcnt(56)
	v_fma_f64 v[122:123], v[1:2], v[103:104], -v[122:123]
	v_fma_f64 v[103:104], v[3:4], v[103:104], v[124:125]
	v_add_f64 v[105:106], v[113:114], v[105:106]
	s_clause 0x2
	buffer_load_dword v127, off, s[0:3], 0 offset:588
	buffer_load_dword v114, off, s[0:3], 0 offset:564
	;; [unrolled: 1-line block ×3, first 2 shown]
	v_add_f64 v[101:102], v[101:102], v[117:118]
	s_waitcnt vmcnt(58) lgkmcnt(0)
	v_mul_f64 v[124:125], v[99:100], v[130:131]
	ds_read_b128 v[1:4], v121 offset:1088
	v_mul_f64 v[117:118], v[97:98], v[130:131]
	s_waitcnt vmcnt(56)
	v_fma_f64 v[109:110], v[109:110], v[132:133], -v[128:129]
	v_fma_f64 v[111:112], v[111:112], v[132:133], v[185:186]
	s_clause 0x4
	buffer_load_dword v129, off, s[0:3], 0 offset:604
	buffer_load_dword v130, off, s[0:3], 0 offset:616
	;; [unrolled: 1-line block ×5, first 2 shown]
	v_add_f64 v[105:106], v[105:106], v[122:123]
	v_add_f64 v[122:123], v[101:102], v[103:104]
	s_waitcnt vmcnt(57) lgkmcnt(0)
	v_mul_f64 v[185:186], v[1:2], v[134:135]
	v_mul_f64 v[133:134], v[3:4], v[134:135]
	s_waitcnt vmcnt(56)
	v_fma_f64 v[124:125], v[97:98], v[107:108], -v[124:125]
	ds_read_b128 v[101:104], v121 offset:1104
	v_fma_f64 v[107:108], v[99:100], v[107:108], v[117:118]
	v_add_f64 v[105:106], v[105:106], v[109:110]
	v_add_f64 v[109:110], v[122:123], v[111:112]
	s_clause 0x2
	buffer_load_dword v131, off, s[0:3], 0 offset:620
	buffer_load_dword v112, off, s[0:3], 0 offset:596
	;; [unrolled: 1-line block ×3, first 2 shown]
	s_waitcnt vmcnt(58) lgkmcnt(0)
	v_mul_f64 v[122:123], v[103:104], v[136:137]
	s_waitcnt vmcnt(56)
	v_fma_f64 v[134:135], v[1:2], v[140:141], -v[133:134]
	ds_read_b128 v[97:100], v121 offset:1120
	v_mul_f64 v[117:118], v[101:102], v[136:137]
	v_add_f64 v[105:106], v[105:106], v[124:125]
	v_fma_f64 v[124:125], v[3:4], v[140:141], v[185:186]
	v_add_f64 v[107:108], v[109:110], v[107:108]
	s_clause 0x4
	buffer_load_dword v110, off, s[0:3], 0 offset:636
	buffer_load_dword v136, off, s[0:3], 0 offset:648
	buffer_load_dword v140, off, s[0:3], 0 offset:640
	buffer_load_dword v109, off, s[0:3], 0 offset:632
	buffer_load_dword v133, off, s[0:3], 0 offset:612
	s_waitcnt vmcnt(57) lgkmcnt(0)
	v_mul_f64 v[185:186], v[97:98], v[142:143]
	v_mul_f64 v[141:142], v[99:100], v[142:143]
	s_waitcnt vmcnt(56)
	v_fma_f64 v[122:123], v[101:102], v[138:139], -v[122:123]
	ds_read_b128 v[1:4], v121 offset:1136
	v_fma_f64 v[117:118], v[103:104], v[138:139], v[117:118]
	v_add_f64 v[105:106], v[105:106], v[134:135]
	v_add_f64 v[107:108], v[107:108], v[124:125]
	s_clause 0x2
	buffer_load_dword v137, off, s[0:3], 0 offset:652
	buffer_load_dword v125, off, s[0:3], 0 offset:628
	buffer_load_dword v124, off, s[0:3], 0 offset:624
	ds_read_b128 v[101:104], v121 offset:1152
	s_waitcnt vmcnt(58) lgkmcnt(1)
	v_mul_f64 v[138:139], v[3:4], v[144:145]
	s_waitcnt vmcnt(56)
	v_fma_f64 v[142:143], v[97:98], v[148:149], -v[141:142]
	v_mul_f64 v[134:135], v[1:2], v[144:145]
	v_add_f64 v[105:106], v[105:106], v[122:123]
	v_fma_f64 v[122:123], v[99:100], v[148:149], v[185:186]
	v_add_f64 v[107:108], v[107:108], v[117:118]
	s_clause 0x4
	buffer_load_dword v118, off, s[0:3], 0 offset:668
	buffer_load_dword v144, off, s[0:3], 0 offset:680
	buffer_load_dword v148, off, s[0:3], 0 offset:672
	buffer_load_dword v117, off, s[0:3], 0 offset:664
	buffer_load_dword v141, off, s[0:3], 0 offset:644
	s_waitcnt vmcnt(57) lgkmcnt(0)
	v_mul_f64 v[185:186], v[101:102], v[150:151]
	v_mul_f64 v[149:150], v[103:104], v[150:151]
	s_waitcnt vmcnt(56)
	v_fma_f64 v[138:139], v[1:2], v[146:147], -v[138:139]
	ds_read_b128 v[97:100], v121 offset:1168
	v_fma_f64 v[134:135], v[3:4], v[146:147], v[134:135]
	v_add_f64 v[105:106], v[105:106], v[142:143]
	v_add_f64 v[107:108], v[107:108], v[122:123]
	s_clause 0x2
	buffer_load_dword v145, off, s[0:3], 0 offset:684
	buffer_load_dword v123, off, s[0:3], 0 offset:660
	buffer_load_dword v122, off, s[0:3], 0 offset:656
	ds_read_b128 v[1:4], v121 offset:1184
	s_waitcnt vmcnt(58) lgkmcnt(1)
	v_mul_f64 v[146:147], v[99:100], v[154:155]
	s_waitcnt vmcnt(56)
	v_fma_f64 v[150:151], v[101:102], v[158:159], -v[149:150]
	;; [unrolled: 28-line block ×4, first 2 shown]
	v_mul_f64 v[160:161], v[1:2], v[172:173]
	buffer_load_dword v167, off, s[0:3], 0 offset:740
	v_add_f64 v[105:106], v[105:106], v[156:157]
	v_fma_f64 v[156:157], v[99:100], v[177:178], v[185:186]
	v_add_f64 v[107:108], v[107:108], v[150:151]
	ds_read_b128 v[97:100], v121 offset:1264
	s_waitcnt vmcnt(53) lgkmcnt(1)
	v_mul_f64 v[150:151], v[101:102], v[168:169]
	v_mul_f64 v[168:169], v[103:104], v[168:169]
	s_waitcnt vmcnt(52)
	v_fma_f64 v[164:165], v[1:2], v[174:175], -v[164:165]
	v_fma_f64 v[160:161], v[3:4], v[174:175], v[160:161]
	ds_read_b128 v[1:4], v121 offset:1280
	v_add_f64 v[105:106], v[105:106], v[170:171]
	v_add_f64 v[107:108], v[107:108], v[156:157]
	s_waitcnt vmcnt(51) lgkmcnt(1)
	v_mul_f64 v[170:171], v[99:100], v[181:182]
	v_mul_f64 v[156:157], v[97:98], v[181:182]
	s_waitcnt vmcnt(49)
	v_fma_f64 v[168:169], v[101:102], v[115:116], -v[168:169]
	v_fma_f64 v[115:116], v[103:104], v[115:116], v[150:151]
	v_add_f64 v[105:106], v[105:106], v[164:165]
	v_add_f64 v[107:108], v[107:108], v[160:161]
	s_clause 0x3
	buffer_load_dword v150, off, s[0:3], 0 offset:240
	buffer_load_dword v151, off, s[0:3], 0 offset:244
	;; [unrolled: 1-line block ×4, first 2 shown]
	ds_read_b128 v[101:104], v121 offset:1296
	s_waitcnt vmcnt(49) lgkmcnt(1)
	v_mul_f64 v[164:165], v[1:2], v[119:120]
	v_mul_f64 v[119:120], v[3:4], v[119:120]
	s_waitcnt vmcnt(48)
	v_fma_f64 v[170:171], v[97:98], v[183:184], -v[170:171]
	v_fma_f64 v[156:157], v[99:100], v[183:184], v[156:157]
	ds_read_b128 v[97:100], v121 offset:1312
	v_add_f64 v[105:106], v[105:106], v[168:169]
	v_add_f64 v[107:108], v[107:108], v[115:116]
	s_waitcnt vmcnt(47) lgkmcnt(1)
	v_mul_f64 v[115:116], v[101:102], v[126:127]
	v_mul_f64 v[126:127], v[103:104], v[126:127]
	s_waitcnt vmcnt(45)
	v_fma_f64 v[119:120], v[1:2], v[113:114], -v[119:120]
	v_fma_f64 v[113:114], v[3:4], v[113:114], v[164:165]
	ds_read_b128 v[1:4], v121 offset:1328
	v_add_f64 v[105:106], v[105:106], v[170:171]
	v_add_f64 v[107:108], v[107:108], v[156:157]
	s_waitcnt vmcnt(41) lgkmcnt(1)
	v_mul_f64 v[156:157], v[97:98], v[128:129]
	v_mul_f64 v[128:129], v[99:100], v[128:129]
	s_waitcnt vmcnt(40)
	v_fma_f64 v[115:116], v[103:104], v[179:180], v[115:116]
	v_fma_f64 v[126:127], v[101:102], v[179:180], -v[126:127]
	ds_read_b128 v[101:104], v121 offset:1344
	v_add_f64 v[105:106], v[105:106], v[119:120]
	v_add_f64 v[107:108], v[107:108], v[113:114]
	s_waitcnt vmcnt(39) lgkmcnt(1)
	v_mul_f64 v[119:120], v[3:4], v[130:131]
	v_mul_f64 v[113:114], v[1:2], v[130:131]
	s_waitcnt vmcnt(37)
	v_fma_f64 v[128:129], v[97:98], v[111:112], -v[128:129]
	v_fma_f64 v[111:112], v[99:100], v[111:112], v[156:157]
	ds_read_b128 v[97:100], v121 offset:1360
	v_add_f64 v[105:106], v[105:106], v[126:127]
	v_add_f64 v[107:108], v[107:108], v[115:116]
	s_waitcnt vmcnt(33) lgkmcnt(1)
	v_mul_f64 v[115:116], v[101:102], v[109:110]
	v_mul_f64 v[109:110], v[103:104], v[109:110]
	s_waitcnt vmcnt(32)
	v_fma_f64 v[119:120], v[1:2], v[132:133], -v[119:120]
	v_fma_f64 v[113:114], v[3:4], v[132:133], v[113:114]
	;; [unrolled: 9-line block ×3, first 2 shown]
	ds_read_b128 v[101:104], v121 offset:1392
	v_add_f64 v[105:106], v[105:106], v[119:120]
	v_add_f64 v[107:108], v[107:108], v[113:114]
	s_waitcnt vmcnt(25) lgkmcnt(1)
	v_mul_f64 v[113:114], v[1:2], v[117:118]
	v_mul_f64 v[117:118], v[3:4], v[117:118]
	s_waitcnt vmcnt(24)
	v_fma_f64 v[119:120], v[97:98], v[140:141], -v[126:127]
	v_add_f64 v[105:106], v[105:106], v[109:110]
	v_fma_f64 v[109:110], v[99:100], v[140:141], v[111:112]
	v_add_f64 v[107:108], v[107:108], v[115:116]
	ds_read_b128 v[97:100], v121 offset:1408
	s_waitcnt vmcnt(23) lgkmcnt(1)
	v_mul_f64 v[115:116], v[103:104], v[144:145]
	v_mul_f64 v[111:112], v[101:102], v[144:145]
	s_waitcnt vmcnt(21)
	v_fma_f64 v[117:118], v[1:2], v[122:123], -v[117:118]
	v_fma_f64 v[113:114], v[3:4], v[122:123], v[113:114]
	ds_read_b128 v[1:4], v121 offset:1424
	v_add_f64 v[105:106], v[105:106], v[119:120]
	v_add_f64 v[107:108], v[107:108], v[109:110]
	s_waitcnt vmcnt(17) lgkmcnt(1)
	v_mul_f64 v[119:120], v[99:100], v[134:135]
	s_waitcnt vmcnt(16)
	v_fma_f64 v[115:116], v[101:102], v[148:149], -v[115:116]
	v_mul_f64 v[109:110], v[97:98], v[134:135]
	v_fma_f64 v[111:112], v[103:104], v[148:149], v[111:112]
	ds_read_b128 v[101:104], v121 offset:1440
	v_add_f64 v[105:106], v[105:106], v[117:118]
	v_add_f64 v[107:108], v[107:108], v[113:114]
	s_waitcnt vmcnt(15) lgkmcnt(1)
	v_mul_f64 v[117:118], v[3:4], v[154:155]
	v_mul_f64 v[113:114], v[1:2], v[154:155]
	s_waitcnt vmcnt(13)
	v_fma_f64 v[119:120], v[97:98], v[138:139], -v[119:120]
	v_fma_f64 v[109:110], v[99:100], v[138:139], v[109:110]
	ds_read_b128 v[97:100], v121 offset:1456
	v_add_f64 v[105:106], v[105:106], v[115:116]
	v_add_f64 v[107:108], v[107:108], v[111:112]
	s_waitcnt vmcnt(9) lgkmcnt(1)
	v_mul_f64 v[115:116], v[103:104], v[142:143]
	s_waitcnt vmcnt(8)
	v_fma_f64 v[1:2], v[1:2], v[158:159], -v[117:118]
	v_mul_f64 v[111:112], v[101:102], v[142:143]
	v_fma_f64 v[3:4], v[3:4], v[158:159], v[113:114]
	v_add_f64 v[105:106], v[105:106], v[119:120]
	v_add_f64 v[107:108], v[107:108], v[109:110]
	s_waitcnt vmcnt(7) lgkmcnt(0)
	v_mul_f64 v[113:114], v[99:100], v[162:163]
	v_mul_f64 v[109:110], v[97:98], v[162:163]
	s_waitcnt vmcnt(5)
	v_fma_f64 v[101:102], v[101:102], v[146:147], -v[115:116]
	v_fma_f64 v[103:104], v[103:104], v[146:147], v[111:112]
	v_add_f64 v[1:2], v[105:106], v[1:2]
	v_add_f64 v[3:4], v[107:108], v[3:4]
	s_waitcnt vmcnt(4)
	v_fma_f64 v[97:98], v[97:98], v[166:167], -v[113:114]
	v_fma_f64 v[99:100], v[99:100], v[166:167], v[109:110]
	v_add_f64 v[1:2], v[1:2], v[101:102]
	v_add_f64 v[3:4], v[3:4], v[103:104]
	;; [unrolled: 1-line block ×4, first 2 shown]
	s_waitcnt vmcnt(2)
	v_add_f64 v[1:2], v[150:151], -v[1:2]
	s_waitcnt vmcnt(0)
	v_add_f64 v[3:4], v[160:161], -v[3:4]
	buffer_store_dword v2, off, s[0:3], 0 offset:244
	buffer_store_dword v1, off, s[0:3], 0 offset:240
	;; [unrolled: 1-line block ×4, first 2 shown]
	v_cmpx_lt_u32_e32 13, v0
	s_cbranch_execz .LBB109_263
; %bb.262:
	v_mov_b32_e32 v4, s45
	s_clause 0x3
	buffer_load_dword v1, v4, s[0:3], 0 offen
	buffer_load_dword v2, v4, s[0:3], 0 offen offset:4
	buffer_load_dword v3, v4, s[0:3], 0 offen offset:8
	;; [unrolled: 1-line block ×3, first 2 shown]
	buffer_store_dword v121, off, s[0:3], 0 offset:224
	buffer_store_dword v121, off, s[0:3], 0 offset:228
	;; [unrolled: 1-line block ×4, first 2 shown]
	s_waitcnt vmcnt(0)
	ds_write_b128 v153, v[1:4]
.LBB109_263:
	s_or_b32 exec_lo, exec_lo, s4
	s_waitcnt lgkmcnt(0)
	s_waitcnt_vscnt null, 0x0
	s_barrier
	buffer_gl0_inv
	s_clause 0x37
	buffer_load_dword v101, off, s[0:3], 0 offset:248
	buffer_load_dword v102, off, s[0:3], 0 offset:252
	;; [unrolled: 1-line block ×56, first 2 shown]
	ds_read_b128 v[122:125], v121 offset:960
	s_clause 0x2
	buffer_load_dword v163, off, s[0:3], 0 offset:476
	buffer_load_dword v167, off, s[0:3], 0 offset:452
	;; [unrolled: 1-line block ×3, first 2 shown]
	ds_read_b128 v[126:129], v121 offset:976
	s_clause 0x4
	buffer_load_dword v171, off, s[0:3], 0 offset:492
	buffer_load_dword v172, off, s[0:3], 0 offset:504
	;; [unrolled: 1-line block ×5, first 2 shown]
	ds_read_b128 v[130:133], v121 offset:992
	s_clause 0x2
	buffer_load_dword v173, off, s[0:3], 0 offset:508
	buffer_load_dword v178, off, s[0:3], 0 offset:484
	;; [unrolled: 1-line block ×3, first 2 shown]
	s_mov_b32 s4, exec_lo
	s_waitcnt vmcnt(62) lgkmcnt(2)
	v_mul_f64 v[168:169], v[124:125], v[101:102]
	v_mul_f64 v[101:102], v[122:123], v[101:102]
	s_waitcnt lgkmcnt(1)
	v_mul_f64 v[175:176], v[128:129], v[97:98]
	s_waitcnt vmcnt(59) lgkmcnt(0)
	v_mul_f64 v[179:180], v[132:133], v[3:4]
	v_fma_f64 v[122:123], v[122:123], v[99:100], -v[168:169]
	v_mul_f64 v[168:169], v[126:127], v[97:98]
	v_fma_f64 v[101:102], v[124:125], v[99:100], v[101:102]
	s_waitcnt vmcnt(57)
	v_fma_f64 v[126:127], v[126:127], v[1:2], -v[175:176]
	ds_read_b128 v[97:100], v121 offset:1008
	v_mul_f64 v[124:125], v[130:131], v[3:4]
	s_waitcnt vmcnt(51)
	v_fma_f64 v[130:131], v[130:131], v[117:118], -v[179:180]
	v_add_f64 v[122:123], v[122:123], 0
	v_fma_f64 v[128:129], v[128:129], v[1:2], v[168:169]
	v_add_f64 v[101:102], v[101:102], 0
	s_clause 0x4
	buffer_load_dword v169, off, s[0:3], 0 offset:524
	buffer_load_dword v181, off, s[0:3], 0 offset:536
	;; [unrolled: 1-line block ×5, first 2 shown]
	s_waitcnt lgkmcnt(0)
	v_mul_f64 v[184:185], v[97:98], v[105:106]
	v_mul_f64 v[105:106], v[99:100], v[105:106]
	ds_read_b128 v[1:4], v121 offset:1024
	v_fma_f64 v[117:118], v[132:133], v[117:118], v[124:125]
	v_add_f64 v[126:127], v[122:123], v[126:127]
	v_add_f64 v[101:102], v[101:102], v[128:129]
	s_clause 0x2
	buffer_load_dword v182, off, s[0:3], 0 offset:540
	buffer_load_dword v129, off, s[0:3], 0 offset:516
	;; [unrolled: 1-line block ×3, first 2 shown]
	s_waitcnt vmcnt(58) lgkmcnt(0)
	v_mul_f64 v[132:133], v[1:2], v[109:110]
	v_mul_f64 v[109:110], v[3:4], v[109:110]
	s_waitcnt vmcnt(56)
	v_fma_f64 v[105:106], v[97:98], v[111:112], -v[105:106]
	ds_read_b128 v[122:125], v121 offset:1040
	v_fma_f64 v[111:112], v[99:100], v[111:112], v[184:185]
	v_add_f64 v[126:127], v[126:127], v[130:131]
	v_add_f64 v[101:102], v[101:102], v[117:118]
	s_clause 0x4
	buffer_load_dword v118, off, s[0:3], 0 offset:556
	buffer_load_dword v130, off, s[0:3], 0 offset:568
	;; [unrolled: 1-line block ×5, first 2 shown]
	ds_read_b128 v[97:100], v121 offset:1056
	s_waitcnt vmcnt(57) lgkmcnt(1)
	v_mul_f64 v[185:186], v[122:123], v[113:114]
	v_mul_f64 v[113:114], v[124:125], v[113:114]
	s_waitcnt vmcnt(56)
	v_fma_f64 v[109:110], v[1:2], v[103:104], -v[109:110]
	v_fma_f64 v[103:104], v[3:4], v[103:104], v[132:133]
	v_add_f64 v[105:106], v[126:127], v[105:106]
	v_add_f64 v[101:102], v[101:102], v[111:112]
	s_clause 0x2
	buffer_load_dword v131, off, s[0:3], 0 offset:572
	buffer_load_dword v112, off, s[0:3], 0 offset:548
	;; [unrolled: 1-line block ×3, first 2 shown]
	s_waitcnt vmcnt(58) lgkmcnt(0)
	v_mul_f64 v[126:127], v[97:98], v[119:120]
	v_mul_f64 v[119:120], v[99:100], v[119:120]
	s_waitcnt vmcnt(56)
	v_fma_f64 v[113:114], v[122:123], v[134:135], -v[113:114]
	ds_read_b128 v[1:4], v121 offset:1072
	v_add_f64 v[105:106], v[105:106], v[109:110]
	v_fma_f64 v[109:110], v[124:125], v[134:135], v[185:186]
	v_add_f64 v[122:123], v[101:102], v[103:104]
	s_clause 0x4
	buffer_load_dword v125, off, s[0:3], 0 offset:588
	buffer_load_dword v132, off, s[0:3], 0 offset:600
	;; [unrolled: 1-line block ×5, first 2 shown]
	ds_read_b128 v[101:104], v121 offset:1088
	s_waitcnt vmcnt(57) lgkmcnt(1)
	v_mul_f64 v[185:186], v[1:2], v[136:137]
	v_mul_f64 v[135:136], v[3:4], v[136:137]
	s_waitcnt vmcnt(56)
	v_fma_f64 v[119:120], v[97:98], v[107:108], -v[119:120]
	v_fma_f64 v[107:108], v[99:100], v[107:108], v[126:127]
	v_add_f64 v[105:106], v[105:106], v[113:114]
	s_clause 0x2
	buffer_load_dword v133, off, s[0:3], 0 offset:604
	buffer_load_dword v114, off, s[0:3], 0 offset:580
	;; [unrolled: 1-line block ×3, first 2 shown]
	v_add_f64 v[109:110], v[122:123], v[109:110]
	s_waitcnt vmcnt(58) lgkmcnt(0)
	v_mul_f64 v[126:127], v[103:104], v[138:139]
	ds_read_b128 v[97:100], v121 offset:1104
	v_mul_f64 v[122:123], v[101:102], v[138:139]
	s_waitcnt vmcnt(56)
	v_fma_f64 v[136:137], v[1:2], v[140:141], -v[135:136]
	v_add_f64 v[105:106], v[105:106], v[119:120]
	v_fma_f64 v[119:120], v[3:4], v[140:141], v[185:186]
	v_add_f64 v[107:108], v[109:110], v[107:108]
	s_clause 0x4
	buffer_load_dword v110, off, s[0:3], 0 offset:620
	buffer_load_dword v138, off, s[0:3], 0 offset:632
	buffer_load_dword v140, off, s[0:3], 0 offset:624
	buffer_load_dword v109, off, s[0:3], 0 offset:616
	buffer_load_dword v135, off, s[0:3], 0 offset:596
	s_waitcnt vmcnt(57) lgkmcnt(0)
	v_mul_f64 v[185:186], v[97:98], v[142:143]
	v_mul_f64 v[141:142], v[99:100], v[142:143]
	s_waitcnt vmcnt(56)
	v_fma_f64 v[126:127], v[101:102], v[115:116], -v[126:127]
	ds_read_b128 v[1:4], v121 offset:1120
	v_fma_f64 v[115:116], v[103:104], v[115:116], v[122:123]
	v_add_f64 v[105:106], v[105:106], v[136:137]
	v_add_f64 v[107:108], v[107:108], v[119:120]
	s_clause 0x2
	buffer_load_dword v139, off, s[0:3], 0 offset:636
	buffer_load_dword v120, off, s[0:3], 0 offset:612
	buffer_load_dword v119, off, s[0:3], 0 offset:608
	ds_read_b128 v[101:104], v121 offset:1136
	s_waitcnt vmcnt(58) lgkmcnt(1)
	v_mul_f64 v[136:137], v[3:4], v[144:145]
	s_waitcnt vmcnt(56)
	v_fma_f64 v[142:143], v[97:98], v[148:149], -v[141:142]
	v_mul_f64 v[122:123], v[1:2], v[144:145]
	v_add_f64 v[105:106], v[105:106], v[126:127]
	v_fma_f64 v[126:127], v[99:100], v[148:149], v[185:186]
	v_add_f64 v[107:108], v[107:108], v[115:116]
	s_clause 0x4
	buffer_load_dword v116, off, s[0:3], 0 offset:652
	buffer_load_dword v144, off, s[0:3], 0 offset:664
	buffer_load_dword v148, off, s[0:3], 0 offset:656
	buffer_load_dword v115, off, s[0:3], 0 offset:648
	buffer_load_dword v141, off, s[0:3], 0 offset:628
	s_waitcnt vmcnt(57) lgkmcnt(0)
	v_mul_f64 v[185:186], v[101:102], v[150:151]
	v_mul_f64 v[149:150], v[103:104], v[150:151]
	s_waitcnt vmcnt(56)
	v_fma_f64 v[136:137], v[1:2], v[146:147], -v[136:137]
	ds_read_b128 v[97:100], v121 offset:1152
	v_fma_f64 v[122:123], v[3:4], v[146:147], v[122:123]
	v_add_f64 v[105:106], v[105:106], v[142:143]
	v_add_f64 v[107:108], v[107:108], v[126:127]
	s_clause 0x2
	buffer_load_dword v145, off, s[0:3], 0 offset:668
	buffer_load_dword v127, off, s[0:3], 0 offset:644
	buffer_load_dword v126, off, s[0:3], 0 offset:640
	ds_read_b128 v[1:4], v121 offset:1168
	s_waitcnt vmcnt(58) lgkmcnt(1)
	v_mul_f64 v[146:147], v[99:100], v[154:155]
	s_waitcnt vmcnt(56)
	v_fma_f64 v[150:151], v[101:102], v[158:159], -v[149:150]
	v_mul_f64 v[142:143], v[97:98], v[154:155]
	;; [unrolled: 28-line block ×4, first 2 shown]
	v_add_f64 v[105:106], v[105:106], v[156:157]
	v_fma_f64 v[156:157], v[99:100], v[177:178], v[185:186]
	v_add_f64 v[107:108], v[107:108], v[150:151]
	s_clause 0x2
	buffer_load_dword v151, off, s[0:3], 0 offset:748
	buffer_load_dword v150, off, s[0:3], 0 offset:744
	;; [unrolled: 1-line block ×3, first 2 shown]
	ds_read_b128 v[97:100], v121 offset:1248
	s_waitcnt vmcnt(55) lgkmcnt(1)
	v_mul_f64 v[172:173], v[101:102], v[168:169]
	v_mul_f64 v[168:169], v[103:104], v[168:169]
	s_waitcnt vmcnt(54)
	v_fma_f64 v[164:165], v[1:2], v[174:175], -v[164:165]
	v_fma_f64 v[160:161], v[3:4], v[174:175], v[160:161]
	v_add_f64 v[105:106], v[105:106], v[170:171]
	v_add_f64 v[107:108], v[107:108], v[156:157]
	s_clause 0x1
	buffer_load_dword v157, off, s[0:3], 0 offset:740
	buffer_load_dword v156, off, s[0:3], 0 offset:736
	ds_read_b128 v[1:4], v121 offset:1264
	s_waitcnt vmcnt(55) lgkmcnt(1)
	v_mul_f64 v[174:175], v[99:100], v[181:182]
	v_mul_f64 v[170:171], v[97:98], v[181:182]
	s_waitcnt vmcnt(53)
	v_fma_f64 v[168:169], v[101:102], v[128:129], -v[168:169]
	v_fma_f64 v[128:129], v[103:104], v[128:129], v[172:173]
	ds_read_b128 v[101:104], v121 offset:1280
	v_add_f64 v[105:106], v[105:106], v[164:165]
	v_add_f64 v[107:108], v[107:108], v[160:161]
	s_waitcnt vmcnt(49) lgkmcnt(1)
	v_mul_f64 v[160:161], v[1:2], v[117:118]
	v_mul_f64 v[117:118], v[3:4], v[117:118]
	s_waitcnt vmcnt(48)
	v_fma_f64 v[164:165], v[97:98], v[183:184], -v[174:175]
	v_add_f64 v[105:106], v[105:106], v[168:169]
	v_fma_f64 v[168:169], v[99:100], v[183:184], v[170:171]
	v_add_f64 v[107:108], v[107:108], v[128:129]
	s_clause 0x3
	buffer_load_dword v128, off, s[0:3], 0 offset:224
	buffer_load_dword v129, off, s[0:3], 0 offset:228
	;; [unrolled: 1-line block ×4, first 2 shown]
	ds_read_b128 v[97:100], v121 offset:1296
	s_waitcnt vmcnt(51) lgkmcnt(1)
	v_mul_f64 v[172:173], v[101:102], v[130:131]
	v_mul_f64 v[130:131], v[103:104], v[130:131]
	s_waitcnt vmcnt(49)
	v_fma_f64 v[117:118], v[1:2], v[111:112], -v[117:118]
	v_fma_f64 v[111:112], v[3:4], v[111:112], v[160:161]
	ds_read_b128 v[1:4], v121 offset:1312
	v_add_f64 v[105:106], v[105:106], v[164:165]
	v_add_f64 v[107:108], v[107:108], v[168:169]
	s_waitcnt vmcnt(45) lgkmcnt(1)
	v_mul_f64 v[160:161], v[97:98], v[124:125]
	v_mul_f64 v[124:125], v[99:100], v[124:125]
	s_waitcnt vmcnt(44)
	v_fma_f64 v[130:131], v[101:102], v[179:180], -v[130:131]
	v_add_f64 v[105:106], v[105:106], v[117:118]
	v_fma_f64 v[117:118], v[103:104], v[179:180], v[172:173]
	v_add_f64 v[107:108], v[107:108], v[111:112]
	ds_read_b128 v[101:104], v121 offset:1328
	s_waitcnt vmcnt(43) lgkmcnt(1)
	v_mul_f64 v[111:112], v[1:2], v[132:133]
	v_mul_f64 v[132:133], v[3:4], v[132:133]
	s_waitcnt vmcnt(41)
	v_fma_f64 v[124:125], v[97:98], v[113:114], -v[124:125]
	v_fma_f64 v[113:114], v[99:100], v[113:114], v[160:161]
	ds_read_b128 v[97:100], v121 offset:1344
	v_add_f64 v[105:106], v[105:106], v[130:131]
	v_add_f64 v[107:108], v[107:108], v[117:118]
	s_waitcnt vmcnt(37) lgkmcnt(1)
	v_mul_f64 v[117:118], v[101:102], v[109:110]
	v_mul_f64 v[109:110], v[103:104], v[109:110]
	s_waitcnt vmcnt(36)
	v_fma_f64 v[130:131], v[1:2], v[134:135], -v[132:133]
	v_fma_f64 v[111:112], v[3:4], v[134:135], v[111:112]
	ds_read_b128 v[1:4], v121 offset:1360
	v_add_f64 v[105:106], v[105:106], v[124:125]
	v_add_f64 v[107:108], v[107:108], v[113:114]
	;; [unrolled: 9-line block ×3, first 2 shown]
	s_waitcnt vmcnt(29) lgkmcnt(1)
	v_mul_f64 v[111:112], v[1:2], v[115:116]
	v_mul_f64 v[115:116], v[3:4], v[115:116]
	s_waitcnt vmcnt(28)
	v_fma_f64 v[119:120], v[97:98], v[140:141], -v[124:125]
	v_add_f64 v[105:106], v[105:106], v[109:110]
	v_fma_f64 v[109:110], v[99:100], v[140:141], v[113:114]
	v_add_f64 v[107:108], v[107:108], v[117:118]
	ds_read_b128 v[97:100], v121 offset:1392
	s_waitcnt vmcnt(27) lgkmcnt(1)
	v_mul_f64 v[117:118], v[103:104], v[144:145]
	v_mul_f64 v[113:114], v[101:102], v[144:145]
	s_waitcnt vmcnt(25)
	v_fma_f64 v[115:116], v[1:2], v[126:127], -v[115:116]
	v_fma_f64 v[111:112], v[3:4], v[126:127], v[111:112]
	ds_read_b128 v[1:4], v121 offset:1408
	v_add_f64 v[105:106], v[105:106], v[119:120]
	v_add_f64 v[107:108], v[107:108], v[109:110]
	s_waitcnt vmcnt(21) lgkmcnt(1)
	v_mul_f64 v[119:120], v[99:100], v[122:123]
	s_waitcnt vmcnt(20)
	v_fma_f64 v[117:118], v[101:102], v[148:149], -v[117:118]
	v_mul_f64 v[109:110], v[97:98], v[122:123]
	v_fma_f64 v[113:114], v[103:104], v[148:149], v[113:114]
	ds_read_b128 v[101:104], v121 offset:1424
	v_add_f64 v[105:106], v[105:106], v[115:116]
	v_add_f64 v[107:108], v[107:108], v[111:112]
	s_waitcnt vmcnt(19) lgkmcnt(1)
	v_mul_f64 v[115:116], v[3:4], v[154:155]
	v_mul_f64 v[111:112], v[1:2], v[154:155]
	s_waitcnt vmcnt(17)
	v_fma_f64 v[119:120], v[97:98], v[136:137], -v[119:120]
	v_fma_f64 v[109:110], v[99:100], v[136:137], v[109:110]
	ds_read_b128 v[97:100], v121 offset:1440
	v_add_f64 v[105:106], v[105:106], v[117:118]
	v_add_f64 v[107:108], v[107:108], v[113:114]
	s_waitcnt vmcnt(13) lgkmcnt(1)
	v_mul_f64 v[117:118], v[103:104], v[142:143]
	s_waitcnt vmcnt(12)
	v_fma_f64 v[115:116], v[1:2], v[158:159], -v[115:116]
	v_mul_f64 v[113:114], v[101:102], v[142:143]
	v_fma_f64 v[111:112], v[3:4], v[158:159], v[111:112]
	ds_read_b128 v[1:4], v121 offset:1456
	v_add_f64 v[105:106], v[105:106], v[119:120]
	v_add_f64 v[107:108], v[107:108], v[109:110]
	s_waitcnt vmcnt(11) lgkmcnt(1)
	v_mul_f64 v[119:120], v[99:100], v[162:163]
	v_mul_f64 v[109:110], v[97:98], v[162:163]
	s_waitcnt vmcnt(9)
	v_fma_f64 v[101:102], v[101:102], v[146:147], -v[117:118]
	v_fma_f64 v[103:104], v[103:104], v[146:147], v[113:114]
	v_add_f64 v[105:106], v[105:106], v[115:116]
	v_add_f64 v[107:108], v[107:108], v[111:112]
	s_waitcnt vmcnt(7) lgkmcnt(0)
	v_mul_f64 v[113:114], v[3:4], v[150:151]
	s_waitcnt vmcnt(6)
	v_fma_f64 v[97:98], v[97:98], v[166:167], -v[119:120]
	v_mul_f64 v[111:112], v[1:2], v[150:151]
	v_fma_f64 v[99:100], v[99:100], v[166:167], v[109:110]
	v_add_f64 v[101:102], v[105:106], v[101:102]
	v_add_f64 v[103:104], v[107:108], v[103:104]
	s_waitcnt vmcnt(4)
	v_fma_f64 v[1:2], v[1:2], v[156:157], -v[113:114]
	v_fma_f64 v[3:4], v[3:4], v[156:157], v[111:112]
	v_add_f64 v[97:98], v[101:102], v[97:98]
	v_add_f64 v[99:100], v[103:104], v[99:100]
	;; [unrolled: 1-line block ×4, first 2 shown]
	s_waitcnt vmcnt(2)
	v_add_f64 v[1:2], v[128:129], -v[1:2]
	s_waitcnt vmcnt(0)
	v_add_f64 v[3:4], v[170:171], -v[3:4]
	buffer_store_dword v2, off, s[0:3], 0 offset:228
	buffer_store_dword v1, off, s[0:3], 0 offset:224
	;; [unrolled: 1-line block ×4, first 2 shown]
	v_cmpx_lt_u32_e32 12, v0
	s_cbranch_execz .LBB109_265
; %bb.264:
	v_mov_b32_e32 v4, s46
	v_mov_b32_e32 v97, 0
	s_clause 0x3
	buffer_load_dword v1, v4, s[0:3], 0 offen
	buffer_load_dword v2, v4, s[0:3], 0 offen offset:4
	buffer_load_dword v3, v4, s[0:3], 0 offen offset:8
	;; [unrolled: 1-line block ×3, first 2 shown]
	buffer_store_dword v97, off, s[0:3], 0 offset:208
	buffer_store_dword v97, off, s[0:3], 0 offset:212
	;; [unrolled: 1-line block ×4, first 2 shown]
	s_waitcnt vmcnt(0)
	ds_write_b128 v153, v[1:4]
.LBB109_265:
	s_or_b32 exec_lo, exec_lo, s4
	s_waitcnt lgkmcnt(0)
	s_waitcnt_vscnt null, 0x0
	s_barrier
	buffer_gl0_inv
	s_clause 0x37
	buffer_load_dword v101, off, s[0:3], 0 offset:232
	buffer_load_dword v102, off, s[0:3], 0 offset:236
	buffer_load_dword v97, off, s[0:3], 0 offset:248
	buffer_load_dword v98, off, s[0:3], 0 offset:252
	buffer_load_dword v99, off, s[0:3], 0 offset:224
	buffer_load_dword v100, off, s[0:3], 0 offset:228
	buffer_load_dword v3, off, s[0:3], 0 offset:264
	buffer_load_dword v4, off, s[0:3], 0 offset:268
	buffer_load_dword v1, off, s[0:3], 0 offset:240
	buffer_load_dword v2, off, s[0:3], 0 offset:244
	buffer_load_dword v106, off, s[0:3], 0 offset:284
	buffer_load_dword v109, off, s[0:3], 0 offset:296
	buffer_load_dword v103, off, s[0:3], 0 offset:288
	buffer_load_dword v105, off, s[0:3], 0 offset:280
	buffer_load_dword v117, off, s[0:3], 0 offset:256
	buffer_load_dword v118, off, s[0:3], 0 offset:260
	buffer_load_dword v110, off, s[0:3], 0 offset:300
	buffer_load_dword v112, off, s[0:3], 0 offset:276
	buffer_load_dword v111, off, s[0:3], 0 offset:272
	buffer_load_dword v114, off, s[0:3], 0 offset:316
	buffer_load_dword v119, off, s[0:3], 0 offset:328
	buffer_load_dword v107, off, s[0:3], 0 offset:320
	buffer_load_dword v113, off, s[0:3], 0 offset:312
	buffer_load_dword v104, off, s[0:3], 0 offset:292
	buffer_load_dword v120, off, s[0:3], 0 offset:332
	buffer_load_dword v122, off, s[0:3], 0 offset:308
	buffer_load_dword v121, off, s[0:3], 0 offset:304
	buffer_load_dword v124, off, s[0:3], 0 offset:348
	buffer_load_dword v127, off, s[0:3], 0 offset:360
	buffer_load_dword v115, off, s[0:3], 0 offset:352
	buffer_load_dword v123, off, s[0:3], 0 offset:344
	buffer_load_dword v108, off, s[0:3], 0 offset:324
	buffer_load_dword v128, off, s[0:3], 0 offset:364
	buffer_load_dword v130, off, s[0:3], 0 offset:340
	buffer_load_dword v129, off, s[0:3], 0 offset:336
	buffer_load_dword v145, off, s[0:3], 0 offset:380
	buffer_load_dword v146, off, s[0:3], 0 offset:392
	buffer_load_dword v125, off, s[0:3], 0 offset:384
	buffer_load_dword v144, off, s[0:3], 0 offset:376
	buffer_load_dword v116, off, s[0:3], 0 offset:356
	buffer_load_dword v147, off, s[0:3], 0 offset:396
	buffer_load_dword v149, off, s[0:3], 0 offset:372
	buffer_load_dword v148, off, s[0:3], 0 offset:368
	buffer_load_dword v151, off, s[0:3], 0 offset:412
	buffer_load_dword v154, off, s[0:3], 0 offset:424
	buffer_load_dword v156, off, s[0:3], 0 offset:416
	buffer_load_dword v150, off, s[0:3], 0 offset:408
	buffer_load_dword v126, off, s[0:3], 0 offset:388
	buffer_load_dword v155, off, s[0:3], 0 offset:428
	buffer_load_dword v159, off, s[0:3], 0 offset:404
	buffer_load_dword v158, off, s[0:3], 0 offset:400
	buffer_load_dword v161, off, s[0:3], 0 offset:444
	buffer_load_dword v162, off, s[0:3], 0 offset:456
	buffer_load_dword v164, off, s[0:3], 0 offset:448
	buffer_load_dword v160, off, s[0:3], 0 offset:440
	buffer_load_dword v157, off, s[0:3], 0 offset:420
	v_mov_b32_e32 v143, 0
	s_mov_b32 s4, exec_lo
	ds_read_b128 v[131:134], v143 offset:944
	s_clause 0x2
	buffer_load_dword v163, off, s[0:3], 0 offset:460
	buffer_load_dword v167, off, s[0:3], 0 offset:436
	;; [unrolled: 1-line block ×3, first 2 shown]
	ds_read_b128 v[135:138], v143 offset:960
	s_clause 0x4
	buffer_load_dword v171, off, s[0:3], 0 offset:476
	buffer_load_dword v172, off, s[0:3], 0 offset:488
	;; [unrolled: 1-line block ×5, first 2 shown]
	ds_read_b128 v[139:142], v143 offset:976
	s_clause 0x2
	buffer_load_dword v173, off, s[0:3], 0 offset:492
	buffer_load_dword v178, off, s[0:3], 0 offset:468
	;; [unrolled: 1-line block ×3, first 2 shown]
	s_waitcnt vmcnt(62) lgkmcnt(2)
	v_mul_f64 v[168:169], v[133:134], v[101:102]
	v_mul_f64 v[101:102], v[131:132], v[101:102]
	s_waitcnt lgkmcnt(1)
	v_mul_f64 v[175:176], v[137:138], v[97:98]
	s_waitcnt vmcnt(59) lgkmcnt(0)
	v_mul_f64 v[179:180], v[141:142], v[3:4]
	v_fma_f64 v[131:132], v[131:132], v[99:100], -v[168:169]
	v_mul_f64 v[168:169], v[135:136], v[97:98]
	v_fma_f64 v[101:102], v[133:134], v[99:100], v[101:102]
	s_waitcnt vmcnt(57)
	v_fma_f64 v[135:136], v[135:136], v[1:2], -v[175:176]
	ds_read_b128 v[97:100], v143 offset:992
	v_mul_f64 v[133:134], v[139:140], v[3:4]
	s_waitcnt vmcnt(51)
	v_fma_f64 v[139:140], v[139:140], v[117:118], -v[179:180]
	v_add_f64 v[131:132], v[131:132], 0
	v_fma_f64 v[137:138], v[137:138], v[1:2], v[168:169]
	v_add_f64 v[101:102], v[101:102], 0
	s_clause 0x4
	buffer_load_dword v169, off, s[0:3], 0 offset:508
	buffer_load_dword v181, off, s[0:3], 0 offset:520
	;; [unrolled: 1-line block ×5, first 2 shown]
	s_waitcnt lgkmcnt(0)
	v_mul_f64 v[184:185], v[97:98], v[105:106]
	v_mul_f64 v[105:106], v[99:100], v[105:106]
	ds_read_b128 v[1:4], v143 offset:1008
	v_fma_f64 v[117:118], v[141:142], v[117:118], v[133:134]
	v_add_f64 v[135:136], v[131:132], v[135:136]
	v_add_f64 v[101:102], v[101:102], v[137:138]
	s_clause 0x2
	buffer_load_dword v182, off, s[0:3], 0 offset:524
	buffer_load_dword v138, off, s[0:3], 0 offset:500
	buffer_load_dword v137, off, s[0:3], 0 offset:496
	s_waitcnt vmcnt(58) lgkmcnt(0)
	v_mul_f64 v[141:142], v[1:2], v[109:110]
	v_mul_f64 v[109:110], v[3:4], v[109:110]
	s_waitcnt vmcnt(56)
	v_fma_f64 v[105:106], v[97:98], v[111:112], -v[105:106]
	ds_read_b128 v[131:134], v143 offset:1024
	v_fma_f64 v[111:112], v[99:100], v[111:112], v[184:185]
	v_add_f64 v[135:136], v[135:136], v[139:140]
	v_add_f64 v[101:102], v[101:102], v[117:118]
	s_clause 0x4
	buffer_load_dword v118, off, s[0:3], 0 offset:540
	buffer_load_dword v139, off, s[0:3], 0 offset:552
	;; [unrolled: 1-line block ×5, first 2 shown]
	ds_read_b128 v[97:100], v143 offset:1040
	s_waitcnt vmcnt(57) lgkmcnt(1)
	v_mul_f64 v[185:186], v[131:132], v[113:114]
	v_mul_f64 v[113:114], v[133:134], v[113:114]
	s_waitcnt vmcnt(56)
	v_fma_f64 v[109:110], v[1:2], v[103:104], -v[109:110]
	v_fma_f64 v[103:104], v[3:4], v[103:104], v[141:142]
	v_add_f64 v[105:106], v[135:136], v[105:106]
	v_add_f64 v[101:102], v[101:102], v[111:112]
	s_clause 0x2
	buffer_load_dword v140, off, s[0:3], 0 offset:556
	buffer_load_dword v112, off, s[0:3], 0 offset:532
	;; [unrolled: 1-line block ×3, first 2 shown]
	s_waitcnt vmcnt(58) lgkmcnt(0)
	v_mul_f64 v[135:136], v[97:98], v[119:120]
	v_mul_f64 v[119:120], v[99:100], v[119:120]
	s_waitcnt vmcnt(56)
	v_fma_f64 v[113:114], v[131:132], v[121:122], -v[113:114]
	ds_read_b128 v[1:4], v143 offset:1056
	v_add_f64 v[105:106], v[105:106], v[109:110]
	v_fma_f64 v[109:110], v[133:134], v[121:122], v[185:186]
	v_add_f64 v[121:122], v[101:102], v[103:104]
	s_clause 0x4
	buffer_load_dword v132, off, s[0:3], 0 offset:572
	buffer_load_dword v133, off, s[0:3], 0 offset:584
	buffer_load_dword v141, off, s[0:3], 0 offset:576
	buffer_load_dword v131, off, s[0:3], 0 offset:568
	buffer_load_dword v180, off, s[0:3], 0 offset:548
	ds_read_b128 v[101:104], v143 offset:1072
	s_waitcnt vmcnt(57) lgkmcnt(1)
	v_mul_f64 v[185:186], v[1:2], v[123:124]
	v_mul_f64 v[123:124], v[3:4], v[123:124]
	s_waitcnt vmcnt(56)
	v_fma_f64 v[119:120], v[97:98], v[107:108], -v[119:120]
	v_fma_f64 v[107:108], v[99:100], v[107:108], v[135:136]
	v_add_f64 v[105:106], v[105:106], v[113:114]
	s_clause 0x2
	buffer_load_dword v134, off, s[0:3], 0 offset:588
	buffer_load_dword v114, off, s[0:3], 0 offset:564
	;; [unrolled: 1-line block ×3, first 2 shown]
	v_add_f64 v[109:110], v[121:122], v[109:110]
	s_waitcnt vmcnt(58) lgkmcnt(0)
	v_mul_f64 v[121:122], v[101:102], v[127:128]
	v_mul_f64 v[127:128], v[103:104], v[127:128]
	ds_read_b128 v[97:100], v143 offset:1088
	s_waitcnt vmcnt(56)
	v_fma_f64 v[123:124], v[1:2], v[129:130], -v[123:124]
	v_add_f64 v[105:106], v[105:106], v[119:120]
	v_fma_f64 v[119:120], v[3:4], v[129:130], v[185:186]
	v_add_f64 v[107:108], v[109:110], v[107:108]
	s_clause 0x4
	buffer_load_dword v110, off, s[0:3], 0 offset:604
	buffer_load_dword v129, off, s[0:3], 0 offset:616
	;; [unrolled: 1-line block ×5, first 2 shown]
	s_waitcnt vmcnt(57) lgkmcnt(0)
	v_mul_f64 v[185:186], v[97:98], v[144:145]
	v_mul_f64 v[144:145], v[99:100], v[144:145]
	s_waitcnt vmcnt(56)
	v_fma_f64 v[127:128], v[101:102], v[115:116], -v[127:128]
	ds_read_b128 v[1:4], v143 offset:1104
	v_fma_f64 v[115:116], v[103:104], v[115:116], v[121:122]
	v_add_f64 v[105:106], v[105:106], v[123:124]
	v_add_f64 v[107:108], v[107:108], v[119:120]
	s_clause 0x2
	buffer_load_dword v130, off, s[0:3], 0 offset:620
	buffer_load_dword v120, off, s[0:3], 0 offset:596
	;; [unrolled: 1-line block ×3, first 2 shown]
	ds_read_b128 v[101:104], v143 offset:1120
	s_waitcnt vmcnt(58) lgkmcnt(1)
	v_mul_f64 v[123:124], v[3:4], v[146:147]
	s_waitcnt vmcnt(56)
	v_fma_f64 v[144:145], v[97:98], v[148:149], -v[144:145]
	v_mul_f64 v[121:122], v[1:2], v[146:147]
	v_add_f64 v[105:106], v[105:106], v[127:128]
	v_fma_f64 v[127:128], v[99:100], v[148:149], v[185:186]
	v_add_f64 v[107:108], v[107:108], v[115:116]
	s_clause 0x4
	buffer_load_dword v116, off, s[0:3], 0 offset:636
	buffer_load_dword v146, off, s[0:3], 0 offset:648
	;; [unrolled: 1-line block ×5, first 2 shown]
	s_waitcnt vmcnt(57) lgkmcnt(0)
	v_mul_f64 v[185:186], v[101:102], v[150:151]
	v_mul_f64 v[149:150], v[103:104], v[150:151]
	s_waitcnt vmcnt(56)
	v_fma_f64 v[123:124], v[1:2], v[125:126], -v[123:124]
	ds_read_b128 v[97:100], v143 offset:1136
	v_fma_f64 v[121:122], v[3:4], v[125:126], v[121:122]
	s_clause 0x2
	buffer_load_dword v147, off, s[0:3], 0 offset:652
	buffer_load_dword v126, off, s[0:3], 0 offset:628
	;; [unrolled: 1-line block ×3, first 2 shown]
	ds_read_b128 v[1:4], v143 offset:1152
	v_add_f64 v[105:106], v[105:106], v[144:145]
	v_add_f64 v[107:108], v[107:108], v[127:128]
	s_waitcnt vmcnt(58) lgkmcnt(1)
	v_mul_f64 v[144:145], v[99:100], v[154:155]
	s_waitcnt vmcnt(56)
	v_fma_f64 v[150:151], v[101:102], v[158:159], -v[149:150]
	v_mul_f64 v[127:128], v[97:98], v[154:155]
	v_add_f64 v[105:106], v[105:106], v[123:124]
	v_fma_f64 v[123:124], v[103:104], v[158:159], v[185:186]
	v_add_f64 v[107:108], v[107:108], v[121:122]
	s_clause 0x4
	buffer_load_dword v122, off, s[0:3], 0 offset:668
	buffer_load_dword v154, off, s[0:3], 0 offset:680
	;; [unrolled: 1-line block ×5, first 2 shown]
	s_waitcnt vmcnt(57) lgkmcnt(0)
	v_mul_f64 v[185:186], v[1:2], v[160:161]
	v_mul_f64 v[159:160], v[3:4], v[160:161]
	s_waitcnt vmcnt(56)
	v_fma_f64 v[144:145], v[97:98], v[156:157], -v[144:145]
	ds_read_b128 v[101:104], v143 offset:1168
	v_fma_f64 v[127:128], v[99:100], v[156:157], v[127:128]
	v_add_f64 v[105:106], v[105:106], v[150:151]
	v_add_f64 v[107:108], v[107:108], v[123:124]
	s_clause 0x2
	buffer_load_dword v155, off, s[0:3], 0 offset:684
	buffer_load_dword v124, off, s[0:3], 0 offset:660
	;; [unrolled: 1-line block ×3, first 2 shown]
	ds_read_b128 v[97:100], v143 offset:1184
	s_waitcnt vmcnt(58) lgkmcnt(1)
	v_mul_f64 v[156:157], v[103:104], v[162:163]
	s_waitcnt vmcnt(56)
	v_fma_f64 v[160:161], v[1:2], v[166:167], -v[159:160]
	v_mul_f64 v[150:151], v[101:102], v[162:163]
	v_add_f64 v[105:106], v[105:106], v[144:145]
	v_fma_f64 v[144:145], v[3:4], v[166:167], v[185:186]
	v_add_f64 v[107:108], v[107:108], v[127:128]
	s_clause 0x4
	buffer_load_dword v128, off, s[0:3], 0 offset:700
	buffer_load_dword v162, off, s[0:3], 0 offset:712
	;; [unrolled: 1-line block ×5, first 2 shown]
	s_waitcnt vmcnt(57) lgkmcnt(0)
	v_mul_f64 v[185:186], v[97:98], v[170:171]
	v_mul_f64 v[170:171], v[99:100], v[170:171]
	s_waitcnt vmcnt(56)
	v_fma_f64 v[156:157], v[101:102], v[164:165], -v[156:157]
	ds_read_b128 v[1:4], v143 offset:1200
	v_fma_f64 v[150:151], v[103:104], v[164:165], v[150:151]
	v_add_f64 v[105:106], v[105:106], v[160:161]
	v_add_f64 v[107:108], v[107:108], v[144:145]
	s_clause 0x2
	buffer_load_dword v163, off, s[0:3], 0 offset:716
	buffer_load_dword v145, off, s[0:3], 0 offset:692
	buffer_load_dword v144, off, s[0:3], 0 offset:688
	ds_read_b128 v[101:104], v143 offset:1216
	s_waitcnt vmcnt(58) lgkmcnt(1)
	v_mul_f64 v[164:165], v[3:4], v[172:173]
	s_waitcnt vmcnt(56)
	v_fma_f64 v[170:171], v[97:98], v[177:178], -v[170:171]
	v_mul_f64 v[160:161], v[1:2], v[172:173]
	v_add_f64 v[105:106], v[105:106], v[156:157]
	v_fma_f64 v[156:157], v[99:100], v[177:178], v[185:186]
	v_add_f64 v[107:108], v[107:108], v[150:151]
	s_clause 0x4
	buffer_load_dword v151, off, s[0:3], 0 offset:732
	buffer_load_dword v172, off, s[0:3], 0 offset:744
	;; [unrolled: 1-line block ×5, first 2 shown]
	ds_read_b128 v[97:100], v143 offset:1232
	s_waitcnt vmcnt(57) lgkmcnt(1)
	v_mul_f64 v[177:178], v[101:102], v[168:169]
	v_mul_f64 v[168:169], v[103:104], v[168:169]
	s_waitcnt vmcnt(56)
	v_fma_f64 v[164:165], v[1:2], v[174:175], -v[164:165]
	v_fma_f64 v[160:161], v[3:4], v[174:175], v[160:161]
	v_add_f64 v[105:106], v[105:106], v[170:171]
	v_add_f64 v[107:108], v[107:108], v[156:157]
	s_clause 0x2
	buffer_load_dword v173, off, s[0:3], 0 offset:748
	buffer_load_dword v157, off, s[0:3], 0 offset:724
	;; [unrolled: 1-line block ×3, first 2 shown]
	ds_read_b128 v[1:4], v143 offset:1248
	s_waitcnt vmcnt(58) lgkmcnt(1)
	v_mul_f64 v[174:175], v[99:100], v[181:182]
	v_mul_f64 v[170:171], v[97:98], v[181:182]
	s_waitcnt vmcnt(56)
	v_fma_f64 v[168:169], v[101:102], v[137:138], -v[168:169]
	v_fma_f64 v[137:138], v[103:104], v[137:138], v[177:178]
	buffer_load_dword v177, off, s[0:3], 0 offset:740
	ds_read_b128 v[101:104], v143 offset:1264
	v_add_f64 v[105:106], v[105:106], v[164:165]
	v_add_f64 v[107:108], v[107:108], v[160:161]
	s_waitcnt vmcnt(53) lgkmcnt(1)
	v_mul_f64 v[160:161], v[1:2], v[117:118]
	v_mul_f64 v[117:118], v[3:4], v[117:118]
	s_waitcnt vmcnt(52)
	v_fma_f64 v[164:165], v[97:98], v[183:184], -v[174:175]
	v_add_f64 v[105:106], v[105:106], v[168:169]
	v_fma_f64 v[168:169], v[99:100], v[183:184], v[170:171]
	v_add_f64 v[107:108], v[107:108], v[137:138]
	ds_read_b128 v[97:100], v143 offset:1280
	s_waitcnt vmcnt(51) lgkmcnt(1)
	v_mul_f64 v[137:138], v[101:102], v[139:140]
	v_mul_f64 v[139:140], v[103:104], v[139:140]
	s_waitcnt vmcnt(49)
	v_fma_f64 v[117:118], v[1:2], v[111:112], -v[117:118]
	v_fma_f64 v[111:112], v[3:4], v[111:112], v[160:161]
	v_add_f64 v[105:106], v[105:106], v[164:165]
	s_clause 0x3
	buffer_load_dword v160, off, s[0:3], 0 offset:208
	buffer_load_dword v161, off, s[0:3], 0 offset:212
	;; [unrolled: 1-line block ×4, first 2 shown]
	v_add_f64 v[107:108], v[107:108], v[168:169]
	ds_read_b128 v[1:4], v143 offset:1296
	s_waitcnt vmcnt(49) lgkmcnt(1)
	v_mul_f64 v[168:169], v[97:98], v[131:132]
	v_mul_f64 v[131:132], v[99:100], v[131:132]
	s_waitcnt vmcnt(48)
	v_fma_f64 v[139:140], v[101:102], v[179:180], -v[139:140]
	v_add_f64 v[105:106], v[105:106], v[117:118]
	v_fma_f64 v[117:118], v[103:104], v[179:180], v[137:138]
	v_add_f64 v[107:108], v[107:108], v[111:112]
	ds_read_b128 v[101:104], v143 offset:1312
	s_waitcnt vmcnt(47) lgkmcnt(1)
	v_mul_f64 v[111:112], v[1:2], v[133:134]
	v_mul_f64 v[133:134], v[3:4], v[133:134]
	s_waitcnt vmcnt(45)
	v_fma_f64 v[131:132], v[97:98], v[113:114], -v[131:132]
	v_fma_f64 v[113:114], v[99:100], v[113:114], v[168:169]
	ds_read_b128 v[97:100], v143 offset:1328
	v_add_f64 v[105:106], v[105:106], v[139:140]
	v_add_f64 v[107:108], v[107:108], v[117:118]
	s_waitcnt vmcnt(41) lgkmcnt(1)
	v_mul_f64 v[117:118], v[101:102], v[109:110]
	v_mul_f64 v[109:110], v[103:104], v[109:110]
	s_waitcnt vmcnt(40)
	v_fma_f64 v[133:134], v[1:2], v[141:142], -v[133:134]
	v_fma_f64 v[111:112], v[3:4], v[141:142], v[111:112]
	ds_read_b128 v[1:4], v143 offset:1344
	v_add_f64 v[105:106], v[105:106], v[131:132]
	v_add_f64 v[107:108], v[107:108], v[113:114]
	;; [unrolled: 9-line block ×3, first 2 shown]
	s_waitcnt vmcnt(33) lgkmcnt(1)
	v_mul_f64 v[111:112], v[1:2], v[115:116]
	v_mul_f64 v[115:116], v[3:4], v[115:116]
	s_waitcnt vmcnt(32)
	v_fma_f64 v[119:120], v[97:98], v[135:136], -v[129:130]
	v_add_f64 v[105:106], v[105:106], v[109:110]
	v_fma_f64 v[109:110], v[99:100], v[135:136], v[113:114]
	v_add_f64 v[107:108], v[107:108], v[117:118]
	ds_read_b128 v[97:100], v143 offset:1376
	s_waitcnt vmcnt(31) lgkmcnt(1)
	v_mul_f64 v[117:118], v[103:104], v[146:147]
	v_mul_f64 v[113:114], v[101:102], v[146:147]
	s_waitcnt vmcnt(29)
	v_fma_f64 v[111:112], v[3:4], v[125:126], v[111:112]
	v_fma_f64 v[115:116], v[1:2], v[125:126], -v[115:116]
	ds_read_b128 v[1:4], v143 offset:1392
	v_add_f64 v[105:106], v[105:106], v[119:120]
	v_add_f64 v[107:108], v[107:108], v[109:110]
	s_waitcnt vmcnt(25) lgkmcnt(1)
	v_mul_f64 v[119:120], v[99:100], v[121:122]
	s_waitcnt vmcnt(24)
	v_fma_f64 v[117:118], v[101:102], v[148:149], -v[117:118]
	v_mul_f64 v[109:110], v[97:98], v[121:122]
	v_fma_f64 v[113:114], v[103:104], v[148:149], v[113:114]
	ds_read_b128 v[101:104], v143 offset:1408
	v_add_f64 v[105:106], v[105:106], v[115:116]
	v_add_f64 v[107:108], v[107:108], v[111:112]
	s_waitcnt vmcnt(23) lgkmcnt(1)
	v_mul_f64 v[115:116], v[3:4], v[154:155]
	v_mul_f64 v[111:112], v[1:2], v[154:155]
	s_waitcnt vmcnt(21)
	v_fma_f64 v[119:120], v[97:98], v[123:124], -v[119:120]
	v_fma_f64 v[109:110], v[99:100], v[123:124], v[109:110]
	ds_read_b128 v[97:100], v143 offset:1424
	v_add_f64 v[105:106], v[105:106], v[117:118]
	v_add_f64 v[107:108], v[107:108], v[113:114]
	s_waitcnt vmcnt(17) lgkmcnt(1)
	v_mul_f64 v[117:118], v[103:104], v[127:128]
	s_waitcnt vmcnt(16)
	v_fma_f64 v[115:116], v[1:2], v[158:159], -v[115:116]
	v_mul_f64 v[113:114], v[101:102], v[127:128]
	v_fma_f64 v[111:112], v[3:4], v[158:159], v[111:112]
	ds_read_b128 v[1:4], v143 offset:1440
	v_add_f64 v[105:106], v[105:106], v[119:120]
	v_add_f64 v[107:108], v[107:108], v[109:110]
	s_waitcnt vmcnt(15) lgkmcnt(1)
	v_mul_f64 v[119:120], v[99:100], v[162:163]
	v_mul_f64 v[109:110], v[97:98], v[162:163]
	s_waitcnt vmcnt(13)
	v_fma_f64 v[117:118], v[101:102], v[144:145], -v[117:118]
	v_fma_f64 v[113:114], v[103:104], v[144:145], v[113:114]
	ds_read_b128 v[101:104], v143 offset:1456
	v_add_f64 v[105:106], v[105:106], v[115:116]
	v_add_f64 v[107:108], v[107:108], v[111:112]
	s_waitcnt vmcnt(9) lgkmcnt(1)
	v_mul_f64 v[115:116], v[3:4], v[150:151]
	s_waitcnt vmcnt(8)
	v_fma_f64 v[97:98], v[97:98], v[166:167], -v[119:120]
	v_mul_f64 v[111:112], v[1:2], v[150:151]
	v_fma_f64 v[99:100], v[99:100], v[166:167], v[109:110]
	v_add_f64 v[105:106], v[105:106], v[117:118]
	v_add_f64 v[107:108], v[107:108], v[113:114]
	s_waitcnt vmcnt(7) lgkmcnt(0)
	v_mul_f64 v[113:114], v[103:104], v[172:173]
	v_mul_f64 v[109:110], v[101:102], v[172:173]
	s_waitcnt vmcnt(5)
	v_fma_f64 v[1:2], v[1:2], v[156:157], -v[115:116]
	v_fma_f64 v[3:4], v[3:4], v[156:157], v[111:112]
	v_add_f64 v[97:98], v[105:106], v[97:98]
	v_add_f64 v[99:100], v[107:108], v[99:100]
	s_waitcnt vmcnt(4)
	v_fma_f64 v[101:102], v[101:102], v[176:177], -v[113:114]
	v_add_f64 v[1:2], v[97:98], v[1:2]
	v_fma_f64 v[97:98], v[103:104], v[176:177], v[109:110]
	v_add_f64 v[3:4], v[99:100], v[3:4]
	v_add_f64 v[1:2], v[1:2], v[101:102]
	;; [unrolled: 1-line block ×3, first 2 shown]
	s_waitcnt vmcnt(2)
	v_add_f64 v[1:2], v[160:161], -v[1:2]
	s_waitcnt vmcnt(0)
	v_add_f64 v[3:4], v[164:165], -v[3:4]
	buffer_store_dword v2, off, s[0:3], 0 offset:212
	buffer_store_dword v1, off, s[0:3], 0 offset:208
	;; [unrolled: 1-line block ×4, first 2 shown]
	v_cmpx_lt_u32_e32 11, v0
	s_cbranch_execz .LBB109_267
; %bb.266:
	v_mov_b32_e32 v4, s47
	s_clause 0x3
	buffer_load_dword v1, v4, s[0:3], 0 offen
	buffer_load_dword v2, v4, s[0:3], 0 offen offset:4
	buffer_load_dword v3, v4, s[0:3], 0 offen offset:8
	buffer_load_dword v4, v4, s[0:3], 0 offen offset:12
	buffer_store_dword v143, off, s[0:3], 0 offset:192
	buffer_store_dword v143, off, s[0:3], 0 offset:196
	;; [unrolled: 1-line block ×4, first 2 shown]
	s_waitcnt vmcnt(0)
	ds_write_b128 v153, v[1:4]
.LBB109_267:
	s_or_b32 exec_lo, exec_lo, s4
	s_waitcnt lgkmcnt(0)
	s_waitcnt_vscnt null, 0x0
	s_barrier
	buffer_gl0_inv
	s_clause 0x37
	buffer_load_dword v101, off, s[0:3], 0 offset:216
	buffer_load_dword v102, off, s[0:3], 0 offset:220
	;; [unrolled: 1-line block ×56, first 2 shown]
	ds_read_b128 v[144:147], v143 offset:928
	s_clause 0x2
	buffer_load_dword v165, off, s[0:3], 0 offset:444
	buffer_load_dword v167, off, s[0:3], 0 offset:420
	;; [unrolled: 1-line block ×3, first 2 shown]
	ds_read_b128 v[148:151], v143 offset:944
	s_clause 0x4
	buffer_load_dword v171, off, s[0:3], 0 offset:460
	buffer_load_dword v172, off, s[0:3], 0 offset:472
	;; [unrolled: 1-line block ×5, first 2 shown]
	ds_read_b128 v[154:157], v143 offset:960
	s_clause 0x2
	buffer_load_dword v173, off, s[0:3], 0 offset:476
	buffer_load_dword v178, off, s[0:3], 0 offset:452
	;; [unrolled: 1-line block ×3, first 2 shown]
	s_mov_b32 s4, exec_lo
	s_waitcnt vmcnt(62) lgkmcnt(2)
	v_mul_f64 v[168:169], v[146:147], v[101:102]
	v_mul_f64 v[101:102], v[144:145], v[101:102]
	s_waitcnt lgkmcnt(1)
	v_mul_f64 v[175:176], v[150:151], v[97:98]
	s_waitcnt vmcnt(59) lgkmcnt(0)
	v_mul_f64 v[179:180], v[156:157], v[3:4]
	v_fma_f64 v[144:145], v[144:145], v[99:100], -v[168:169]
	v_mul_f64 v[168:169], v[148:149], v[97:98]
	v_fma_f64 v[101:102], v[146:147], v[99:100], v[101:102]
	s_waitcnt vmcnt(57)
	v_fma_f64 v[148:149], v[148:149], v[1:2], -v[175:176]
	ds_read_b128 v[97:100], v143 offset:976
	v_mul_f64 v[146:147], v[154:155], v[3:4]
	s_waitcnt vmcnt(51)
	v_fma_f64 v[154:155], v[154:155], v[117:118], -v[179:180]
	v_add_f64 v[144:145], v[144:145], 0
	v_fma_f64 v[150:151], v[150:151], v[1:2], v[168:169]
	v_add_f64 v[101:102], v[101:102], 0
	s_clause 0x4
	buffer_load_dword v169, off, s[0:3], 0 offset:492
	buffer_load_dword v181, off, s[0:3], 0 offset:504
	;; [unrolled: 1-line block ×5, first 2 shown]
	s_waitcnt lgkmcnt(0)
	v_mul_f64 v[184:185], v[97:98], v[105:106]
	v_mul_f64 v[105:106], v[99:100], v[105:106]
	ds_read_b128 v[1:4], v143 offset:992
	v_fma_f64 v[117:118], v[156:157], v[117:118], v[146:147]
	v_add_f64 v[148:149], v[144:145], v[148:149]
	v_add_f64 v[101:102], v[101:102], v[150:151]
	s_clause 0x2
	buffer_load_dword v182, off, s[0:3], 0 offset:508
	buffer_load_dword v151, off, s[0:3], 0 offset:484
	;; [unrolled: 1-line block ×3, first 2 shown]
	s_waitcnt vmcnt(58) lgkmcnt(0)
	v_mul_f64 v[156:157], v[1:2], v[109:110]
	v_mul_f64 v[109:110], v[3:4], v[109:110]
	s_waitcnt vmcnt(56)
	v_fma_f64 v[105:106], v[97:98], v[111:112], -v[105:106]
	ds_read_b128 v[144:147], v143 offset:1008
	v_fma_f64 v[111:112], v[99:100], v[111:112], v[184:185]
	v_add_f64 v[148:149], v[148:149], v[154:155]
	v_add_f64 v[101:102], v[101:102], v[117:118]
	s_clause 0x4
	buffer_load_dword v118, off, s[0:3], 0 offset:524
	buffer_load_dword v154, off, s[0:3], 0 offset:536
	;; [unrolled: 1-line block ×5, first 2 shown]
	ds_read_b128 v[97:100], v143 offset:1024
	s_waitcnt vmcnt(57) lgkmcnt(1)
	v_mul_f64 v[185:186], v[144:145], v[113:114]
	v_mul_f64 v[113:114], v[146:147], v[113:114]
	s_waitcnt vmcnt(56)
	v_fma_f64 v[109:110], v[1:2], v[103:104], -v[109:110]
	v_fma_f64 v[103:104], v[3:4], v[103:104], v[156:157]
	v_add_f64 v[105:106], v[148:149], v[105:106]
	v_add_f64 v[101:102], v[101:102], v[111:112]
	s_clause 0x2
	buffer_load_dword v155, off, s[0:3], 0 offset:540
	buffer_load_dword v112, off, s[0:3], 0 offset:516
	;; [unrolled: 1-line block ×3, first 2 shown]
	s_waitcnt vmcnt(58) lgkmcnt(0)
	v_mul_f64 v[148:149], v[97:98], v[119:120]
	v_mul_f64 v[119:120], v[99:100], v[119:120]
	s_waitcnt vmcnt(56)
	v_fma_f64 v[113:114], v[144:145], v[121:122], -v[113:114]
	ds_read_b128 v[1:4], v143 offset:1040
	v_add_f64 v[105:106], v[105:106], v[109:110]
	v_fma_f64 v[109:110], v[146:147], v[121:122], v[185:186]
	v_add_f64 v[121:122], v[101:102], v[103:104]
	s_clause 0x4
	buffer_load_dword v145, off, s[0:3], 0 offset:556
	buffer_load_dword v146, off, s[0:3], 0 offset:568
	;; [unrolled: 1-line block ×5, first 2 shown]
	ds_read_b128 v[101:104], v143 offset:1056
	s_waitcnt vmcnt(57) lgkmcnt(1)
	v_mul_f64 v[185:186], v[1:2], v[123:124]
	v_mul_f64 v[123:124], v[3:4], v[123:124]
	s_waitcnt vmcnt(56)
	v_fma_f64 v[119:120], v[97:98], v[107:108], -v[119:120]
	v_fma_f64 v[107:108], v[99:100], v[107:108], v[148:149]
	v_add_f64 v[105:106], v[105:106], v[113:114]
	s_clause 0x2
	buffer_load_dword v147, off, s[0:3], 0 offset:572
	buffer_load_dword v114, off, s[0:3], 0 offset:548
	;; [unrolled: 1-line block ×3, first 2 shown]
	v_add_f64 v[109:110], v[121:122], v[109:110]
	s_waitcnt vmcnt(58) lgkmcnt(0)
	v_mul_f64 v[121:122], v[101:102], v[127:128]
	v_mul_f64 v[127:128], v[103:104], v[127:128]
	ds_read_b128 v[97:100], v143 offset:1072
	s_waitcnt vmcnt(56)
	v_fma_f64 v[123:124], v[1:2], v[129:130], -v[123:124]
	v_add_f64 v[105:106], v[105:106], v[119:120]
	v_fma_f64 v[119:120], v[3:4], v[129:130], v[185:186]
	v_add_f64 v[107:108], v[109:110], v[107:108]
	s_clause 0x4
	buffer_load_dword v110, off, s[0:3], 0 offset:588
	buffer_load_dword v129, off, s[0:3], 0 offset:600
	;; [unrolled: 1-line block ×5, first 2 shown]
	s_waitcnt vmcnt(57) lgkmcnt(0)
	v_mul_f64 v[185:186], v[97:98], v[131:132]
	v_mul_f64 v[131:132], v[99:100], v[131:132]
	s_waitcnt vmcnt(56)
	v_fma_f64 v[127:128], v[101:102], v[115:116], -v[127:128]
	ds_read_b128 v[1:4], v143 offset:1088
	v_fma_f64 v[115:116], v[103:104], v[115:116], v[121:122]
	v_add_f64 v[105:106], v[105:106], v[123:124]
	v_add_f64 v[107:108], v[107:108], v[119:120]
	s_clause 0x2
	buffer_load_dword v130, off, s[0:3], 0 offset:604
	buffer_load_dword v120, off, s[0:3], 0 offset:580
	;; [unrolled: 1-line block ×3, first 2 shown]
	ds_read_b128 v[101:104], v143 offset:1104
	s_waitcnt vmcnt(58) lgkmcnt(1)
	v_mul_f64 v[123:124], v[3:4], v[135:136]
	s_waitcnt vmcnt(56)
	v_fma_f64 v[131:132], v[97:98], v[137:138], -v[131:132]
	v_mul_f64 v[121:122], v[1:2], v[135:136]
	v_add_f64 v[105:106], v[105:106], v[127:128]
	v_fma_f64 v[127:128], v[99:100], v[137:138], v[185:186]
	v_add_f64 v[107:108], v[107:108], v[115:116]
	s_clause 0x4
	buffer_load_dword v116, off, s[0:3], 0 offset:620
	buffer_load_dword v135, off, s[0:3], 0 offset:632
	;; [unrolled: 1-line block ×5, first 2 shown]
	s_waitcnt vmcnt(57) lgkmcnt(0)
	v_mul_f64 v[185:186], v[101:102], v[139:140]
	v_mul_f64 v[138:139], v[103:104], v[139:140]
	s_waitcnt vmcnt(56)
	v_fma_f64 v[123:124], v[1:2], v[125:126], -v[123:124]
	ds_read_b128 v[97:100], v143 offset:1120
	v_fma_f64 v[121:122], v[3:4], v[125:126], v[121:122]
	s_clause 0x2
	buffer_load_dword v136, off, s[0:3], 0 offset:636
	buffer_load_dword v126, off, s[0:3], 0 offset:612
	buffer_load_dword v125, off, s[0:3], 0 offset:608
	ds_read_b128 v[1:4], v143 offset:1136
	v_add_f64 v[105:106], v[105:106], v[131:132]
	v_add_f64 v[107:108], v[107:108], v[127:128]
	s_waitcnt vmcnt(58) lgkmcnt(1)
	v_mul_f64 v[131:132], v[99:100], v[158:159]
	s_waitcnt vmcnt(56)
	v_fma_f64 v[139:140], v[101:102], v[160:161], -v[138:139]
	v_mul_f64 v[127:128], v[97:98], v[158:159]
	v_add_f64 v[105:106], v[105:106], v[123:124]
	v_fma_f64 v[123:124], v[103:104], v[160:161], v[185:186]
	v_add_f64 v[107:108], v[107:108], v[121:122]
	s_clause 0x4
	buffer_load_dword v122, off, s[0:3], 0 offset:652
	buffer_load_dword v158, off, s[0:3], 0 offset:664
	;; [unrolled: 1-line block ×5, first 2 shown]
	s_waitcnt vmcnt(57) lgkmcnt(0)
	v_mul_f64 v[185:186], v[1:2], v[162:163]
	v_mul_f64 v[161:162], v[3:4], v[162:163]
	s_waitcnt vmcnt(56)
	v_fma_f64 v[131:132], v[97:98], v[133:134], -v[131:132]
	ds_read_b128 v[101:104], v143 offset:1152
	v_fma_f64 v[127:128], v[99:100], v[133:134], v[127:128]
	v_add_f64 v[105:106], v[105:106], v[139:140]
	v_add_f64 v[107:108], v[107:108], v[123:124]
	s_clause 0x2
	buffer_load_dword v159, off, s[0:3], 0 offset:668
	buffer_load_dword v124, off, s[0:3], 0 offset:644
	;; [unrolled: 1-line block ×3, first 2 shown]
	ds_read_b128 v[97:100], v143 offset:1168
	s_waitcnt vmcnt(58) lgkmcnt(1)
	v_mul_f64 v[139:140], v[103:104], v[164:165]
	s_waitcnt vmcnt(56)
	v_fma_f64 v[162:163], v[1:2], v[166:167], -v[161:162]
	v_mul_f64 v[133:134], v[101:102], v[164:165]
	v_add_f64 v[105:106], v[105:106], v[131:132]
	v_fma_f64 v[131:132], v[3:4], v[166:167], v[185:186]
	v_add_f64 v[107:108], v[107:108], v[127:128]
	s_clause 0x4
	buffer_load_dword v128, off, s[0:3], 0 offset:684
	buffer_load_dword v164, off, s[0:3], 0 offset:696
	;; [unrolled: 1-line block ×5, first 2 shown]
	s_waitcnt vmcnt(57) lgkmcnt(0)
	v_mul_f64 v[185:186], v[97:98], v[170:171]
	v_mul_f64 v[170:171], v[99:100], v[170:171]
	s_waitcnt vmcnt(56)
	v_fma_f64 v[139:140], v[101:102], v[141:142], -v[139:140]
	ds_read_b128 v[1:4], v143 offset:1184
	v_fma_f64 v[133:134], v[103:104], v[141:142], v[133:134]
	v_add_f64 v[105:106], v[105:106], v[162:163]
	v_add_f64 v[107:108], v[107:108], v[131:132]
	s_clause 0x2
	buffer_load_dword v165, off, s[0:3], 0 offset:700
	buffer_load_dword v132, off, s[0:3], 0 offset:676
	;; [unrolled: 1-line block ×3, first 2 shown]
	ds_read_b128 v[101:104], v143 offset:1200
	s_waitcnt vmcnt(58) lgkmcnt(1)
	v_mul_f64 v[162:163], v[3:4], v[172:173]
	s_waitcnt vmcnt(56)
	v_fma_f64 v[170:171], v[97:98], v[177:178], -v[170:171]
	v_mul_f64 v[141:142], v[1:2], v[172:173]
	v_add_f64 v[105:106], v[105:106], v[139:140]
	v_fma_f64 v[139:140], v[99:100], v[177:178], v[185:186]
	v_add_f64 v[107:108], v[107:108], v[133:134]
	s_clause 0x4
	buffer_load_dword v134, off, s[0:3], 0 offset:716
	buffer_load_dword v172, off, s[0:3], 0 offset:728
	;; [unrolled: 1-line block ×5, first 2 shown]
	ds_read_b128 v[97:100], v143 offset:1216
	s_waitcnt vmcnt(57) lgkmcnt(1)
	v_mul_f64 v[177:178], v[101:102], v[168:169]
	v_mul_f64 v[168:169], v[103:104], v[168:169]
	s_waitcnt vmcnt(56)
	v_fma_f64 v[162:163], v[1:2], v[174:175], -v[162:163]
	v_fma_f64 v[141:142], v[3:4], v[174:175], v[141:142]
	v_add_f64 v[105:106], v[105:106], v[170:171]
	v_add_f64 v[107:108], v[107:108], v[139:140]
	s_clause 0x2
	buffer_load_dword v173, off, s[0:3], 0 offset:732
	buffer_load_dword v140, off, s[0:3], 0 offset:708
	;; [unrolled: 1-line block ×3, first 2 shown]
	ds_read_b128 v[1:4], v143 offset:1232
	s_waitcnt vmcnt(58) lgkmcnt(1)
	v_mul_f64 v[174:175], v[99:100], v[181:182]
	v_mul_f64 v[170:171], v[97:98], v[181:182]
	s_waitcnt vmcnt(56)
	v_fma_f64 v[168:169], v[101:102], v[150:151], -v[168:169]
	v_fma_f64 v[150:151], v[103:104], v[150:151], v[177:178]
	v_add_f64 v[105:106], v[105:106], v[162:163]
	v_add_f64 v[107:108], v[107:108], v[141:142]
	s_clause 0x2
	buffer_load_dword v142, off, s[0:3], 0 offset:748
	buffer_load_dword v141, off, s[0:3], 0 offset:744
	;; [unrolled: 1-line block ×3, first 2 shown]
	ds_read_b128 v[101:104], v143 offset:1248
	s_waitcnt vmcnt(55) lgkmcnt(1)
	v_mul_f64 v[162:163], v[1:2], v[117:118]
	v_mul_f64 v[117:118], v[3:4], v[117:118]
	s_waitcnt vmcnt(54)
	v_fma_f64 v[174:175], v[97:98], v[183:184], -v[174:175]
	v_add_f64 v[105:106], v[105:106], v[168:169]
	v_fma_f64 v[168:169], v[99:100], v[183:184], v[170:171]
	v_add_f64 v[107:108], v[107:108], v[150:151]
	s_clause 0x1
	buffer_load_dword v151, off, s[0:3], 0 offset:740
	buffer_load_dword v150, off, s[0:3], 0 offset:736
	ds_read_b128 v[97:100], v143 offset:1264
	s_waitcnt vmcnt(55) lgkmcnt(1)
	v_mul_f64 v[170:171], v[101:102], v[154:155]
	v_mul_f64 v[154:155], v[103:104], v[154:155]
	s_waitcnt vmcnt(53)
	v_fma_f64 v[117:118], v[1:2], v[111:112], -v[117:118]
	v_fma_f64 v[111:112], v[3:4], v[111:112], v[162:163]
	ds_read_b128 v[1:4], v143 offset:1280
	v_add_f64 v[105:106], v[105:106], v[174:175]
	v_add_f64 v[107:108], v[107:108], v[168:169]
	s_waitcnt vmcnt(49) lgkmcnt(1)
	v_mul_f64 v[162:163], v[97:98], v[144:145]
	v_mul_f64 v[144:145], v[99:100], v[144:145]
	s_waitcnt vmcnt(48)
	v_fma_f64 v[154:155], v[101:102], v[179:180], -v[154:155]
	v_add_f64 v[105:106], v[105:106], v[117:118]
	v_fma_f64 v[117:118], v[103:104], v[179:180], v[170:171]
	v_add_f64 v[107:108], v[107:108], v[111:112]
	s_clause 0x3
	buffer_load_dword v111, off, s[0:3], 0 offset:192
	buffer_load_dword v112, off, s[0:3], 0 offset:196
	;; [unrolled: 1-line block ×4, first 2 shown]
	ds_read_b128 v[101:104], v143 offset:1296
	s_waitcnt vmcnt(51) lgkmcnt(1)
	v_mul_f64 v[170:171], v[1:2], v[146:147]
	v_mul_f64 v[146:147], v[3:4], v[146:147]
	s_waitcnt vmcnt(49)
	v_fma_f64 v[144:145], v[97:98], v[113:114], -v[144:145]
	v_fma_f64 v[113:114], v[99:100], v[113:114], v[162:163]
	ds_read_b128 v[97:100], v143 offset:1312
	v_add_f64 v[105:106], v[105:106], v[154:155]
	v_add_f64 v[107:108], v[107:108], v[117:118]
	s_waitcnt vmcnt(45) lgkmcnt(1)
	v_mul_f64 v[117:118], v[101:102], v[109:110]
	v_mul_f64 v[109:110], v[103:104], v[109:110]
	s_waitcnt vmcnt(44)
	v_fma_f64 v[146:147], v[1:2], v[156:157], -v[146:147]
	v_add_f64 v[105:106], v[105:106], v[144:145]
	v_fma_f64 v[144:145], v[3:4], v[156:157], v[170:171]
	v_add_f64 v[107:108], v[107:108], v[113:114]
	ds_read_b128 v[1:4], v143 offset:1328
	s_waitcnt vmcnt(43) lgkmcnt(1)
	v_mul_f64 v[113:114], v[97:98], v[129:130]
	v_mul_f64 v[129:130], v[99:100], v[129:130]
	s_waitcnt vmcnt(41)
	v_fma_f64 v[109:110], v[101:102], v[119:120], -v[109:110]
	v_fma_f64 v[117:118], v[103:104], v[119:120], v[117:118]
	ds_read_b128 v[101:104], v143 offset:1344
	v_add_f64 v[105:106], v[105:106], v[146:147]
	v_add_f64 v[107:108], v[107:108], v[144:145]
	s_waitcnt vmcnt(37) lgkmcnt(1)
	v_mul_f64 v[119:120], v[1:2], v[115:116]
	v_mul_f64 v[115:116], v[3:4], v[115:116]
	s_waitcnt vmcnt(36)
	v_fma_f64 v[129:130], v[97:98], v[148:149], -v[129:130]
	v_add_f64 v[105:106], v[105:106], v[109:110]
	v_fma_f64 v[109:110], v[99:100], v[148:149], v[113:114]
	v_add_f64 v[107:108], v[107:108], v[117:118]
	s_waitcnt vmcnt(35) lgkmcnt(0)
	v_mul_f64 v[117:118], v[103:104], v[135:136]
	ds_read_b128 v[97:100], v143 offset:1360
	v_mul_f64 v[113:114], v[101:102], v[135:136]
	s_waitcnt vmcnt(33)
	v_fma_f64 v[119:120], v[3:4], v[125:126], v[119:120]
	v_fma_f64 v[115:116], v[1:2], v[125:126], -v[115:116]
	ds_read_b128 v[1:4], v143 offset:1376
	v_add_f64 v[105:106], v[105:106], v[129:130]
	v_add_f64 v[107:108], v[107:108], v[109:110]
	s_waitcnt vmcnt(29) lgkmcnt(1)
	v_mul_f64 v[109:110], v[97:98], v[121:122]
	v_mul_f64 v[121:122], v[99:100], v[121:122]
	s_waitcnt vmcnt(28)
	v_fma_f64 v[117:118], v[101:102], v[137:138], -v[117:118]
	v_fma_f64 v[113:114], v[103:104], v[137:138], v[113:114]
	ds_read_b128 v[101:104], v143 offset:1392
	v_add_f64 v[105:106], v[105:106], v[115:116]
	v_add_f64 v[107:108], v[107:108], v[119:120]
	s_waitcnt vmcnt(27) lgkmcnt(1)
	v_mul_f64 v[119:120], v[3:4], v[158:159]
	v_mul_f64 v[115:116], v[1:2], v[158:159]
	s_waitcnt vmcnt(25)
	v_fma_f64 v[121:122], v[97:98], v[123:124], -v[121:122]
	v_fma_f64 v[109:110], v[99:100], v[123:124], v[109:110]
	ds_read_b128 v[97:100], v143 offset:1408
	v_add_f64 v[105:106], v[105:106], v[117:118]
	v_add_f64 v[107:108], v[107:108], v[113:114]
	s_waitcnt vmcnt(21) lgkmcnt(1)
	v_mul_f64 v[117:118], v[103:104], v[127:128]
	s_waitcnt vmcnt(20)
	v_fma_f64 v[119:120], v[1:2], v[160:161], -v[119:120]
	v_mul_f64 v[113:114], v[101:102], v[127:128]
	v_fma_f64 v[115:116], v[3:4], v[160:161], v[115:116]
	ds_read_b128 v[1:4], v143 offset:1424
	v_add_f64 v[105:106], v[105:106], v[121:122]
	v_add_f64 v[107:108], v[107:108], v[109:110]
	s_waitcnt vmcnt(19) lgkmcnt(1)
	v_mul_f64 v[121:122], v[99:100], v[164:165]
	v_mul_f64 v[109:110], v[97:98], v[164:165]
	s_waitcnt vmcnt(17)
	v_fma_f64 v[117:118], v[101:102], v[131:132], -v[117:118]
	v_fma_f64 v[113:114], v[103:104], v[131:132], v[113:114]
	ds_read_b128 v[101:104], v143 offset:1440
	v_add_f64 v[105:106], v[105:106], v[119:120]
	v_add_f64 v[107:108], v[107:108], v[115:116]
	s_waitcnt vmcnt(13) lgkmcnt(1)
	v_mul_f64 v[119:120], v[3:4], v[133:134]
	s_waitcnt vmcnt(12)
	v_fma_f64 v[121:122], v[97:98], v[166:167], -v[121:122]
	v_mul_f64 v[115:116], v[1:2], v[133:134]
	v_fma_f64 v[109:110], v[99:100], v[166:167], v[109:110]
	ds_read_b128 v[97:100], v143 offset:1456
	v_add_f64 v[105:106], v[105:106], v[117:118]
	v_add_f64 v[107:108], v[107:108], v[113:114]
	s_waitcnt vmcnt(11) lgkmcnt(1)
	v_mul_f64 v[117:118], v[103:104], v[172:173]
	v_mul_f64 v[113:114], v[101:102], v[172:173]
	s_waitcnt vmcnt(9)
	v_fma_f64 v[1:2], v[1:2], v[139:140], -v[119:120]
	v_fma_f64 v[3:4], v[3:4], v[139:140], v[115:116]
	v_add_f64 v[105:106], v[105:106], v[121:122]
	v_add_f64 v[107:108], v[107:108], v[109:110]
	s_waitcnt vmcnt(7) lgkmcnt(0)
	v_mul_f64 v[115:116], v[99:100], v[141:142]
	s_waitcnt vmcnt(6)
	v_fma_f64 v[101:102], v[101:102], v[176:177], -v[117:118]
	v_mul_f64 v[109:110], v[97:98], v[141:142]
	v_fma_f64 v[103:104], v[103:104], v[176:177], v[113:114]
	v_add_f64 v[1:2], v[105:106], v[1:2]
	v_add_f64 v[3:4], v[107:108], v[3:4]
	s_waitcnt vmcnt(4)
	v_fma_f64 v[97:98], v[97:98], v[150:151], -v[115:116]
	v_fma_f64 v[99:100], v[99:100], v[150:151], v[109:110]
	v_add_f64 v[1:2], v[1:2], v[101:102]
	v_add_f64 v[3:4], v[3:4], v[103:104]
	;; [unrolled: 1-line block ×4, first 2 shown]
	s_waitcnt vmcnt(2)
	v_add_f64 v[1:2], v[111:112], -v[1:2]
	s_waitcnt vmcnt(0)
	v_add_f64 v[3:4], v[168:169], -v[3:4]
	buffer_store_dword v2, off, s[0:3], 0 offset:196
	buffer_store_dword v1, off, s[0:3], 0 offset:192
	;; [unrolled: 1-line block ×4, first 2 shown]
	v_cmpx_lt_u32_e32 10, v0
	s_cbranch_execz .LBB109_269
; %bb.268:
	v_mov_b32_e32 v4, s48
	v_mov_b32_e32 v97, 0
	s_clause 0x3
	buffer_load_dword v1, v4, s[0:3], 0 offen
	buffer_load_dword v2, v4, s[0:3], 0 offen offset:4
	buffer_load_dword v3, v4, s[0:3], 0 offen offset:8
	;; [unrolled: 1-line block ×3, first 2 shown]
	buffer_store_dword v97, off, s[0:3], 0 offset:176
	buffer_store_dword v97, off, s[0:3], 0 offset:180
	;; [unrolled: 1-line block ×4, first 2 shown]
	s_waitcnt vmcnt(0)
	ds_write_b128 v153, v[1:4]
.LBB109_269:
	s_or_b32 exec_lo, exec_lo, s4
	s_waitcnt lgkmcnt(0)
	s_waitcnt_vscnt null, 0x0
	s_barrier
	buffer_gl0_inv
	s_clause 0x37
	buffer_load_dword v101, off, s[0:3], 0 offset:200
	buffer_load_dword v102, off, s[0:3], 0 offset:204
	;; [unrolled: 1-line block ×56, first 2 shown]
	v_mov_b32_e32 v154, 0
	s_mov_b32 s4, exec_lo
	ds_read_b128 v[155:158], v154 offset:912
	s_clause 0x2
	buffer_load_dword v150, off, s[0:3], 0 offset:428
	buffer_load_dword v152, off, s[0:3], 0 offset:404
	;; [unrolled: 1-line block ×3, first 2 shown]
	ds_read_b128 v[159:162], v154 offset:928
	s_clause 0x4
	buffer_load_dword v170, off, s[0:3], 0 offset:444
	buffer_load_dword v171, off, s[0:3], 0 offset:456
	;; [unrolled: 1-line block ×5, first 2 shown]
	ds_read_b128 v[163:166], v154 offset:944
	s_clause 0x2
	buffer_load_dword v172, off, s[0:3], 0 offset:460
	buffer_load_dword v177, off, s[0:3], 0 offset:436
	buffer_load_dword v176, off, s[0:3], 0 offset:432
	s_waitcnt vmcnt(62) lgkmcnt(2)
	v_mul_f64 v[167:168], v[157:158], v[101:102]
	v_mul_f64 v[101:102], v[155:156], v[101:102]
	s_waitcnt lgkmcnt(1)
	v_mul_f64 v[174:175], v[161:162], v[97:98]
	s_waitcnt vmcnt(59) lgkmcnt(0)
	v_mul_f64 v[178:179], v[165:166], v[3:4]
	v_fma_f64 v[155:156], v[155:156], v[99:100], -v[167:168]
	v_mul_f64 v[167:168], v[159:160], v[97:98]
	v_fma_f64 v[101:102], v[157:158], v[99:100], v[101:102]
	s_waitcnt vmcnt(57)
	v_fma_f64 v[159:160], v[159:160], v[1:2], -v[174:175]
	ds_read_b128 v[97:100], v154 offset:960
	v_mul_f64 v[157:158], v[163:164], v[3:4]
	s_waitcnt vmcnt(51)
	v_fma_f64 v[163:164], v[163:164], v[117:118], -v[178:179]
	v_add_f64 v[155:156], v[155:156], 0
	v_fma_f64 v[161:162], v[161:162], v[1:2], v[167:168]
	v_add_f64 v[101:102], v[101:102], 0
	s_clause 0x4
	buffer_load_dword v168, off, s[0:3], 0 offset:476
	buffer_load_dword v180, off, s[0:3], 0 offset:488
	;; [unrolled: 1-line block ×5, first 2 shown]
	s_waitcnt lgkmcnt(0)
	v_mul_f64 v[183:184], v[97:98], v[105:106]
	v_mul_f64 v[105:106], v[99:100], v[105:106]
	ds_read_b128 v[1:4], v154 offset:976
	v_fma_f64 v[117:118], v[165:166], v[117:118], v[157:158]
	v_add_f64 v[159:160], v[155:156], v[159:160]
	v_add_f64 v[101:102], v[101:102], v[161:162]
	s_clause 0x2
	buffer_load_dword v181, off, s[0:3], 0 offset:492
	buffer_load_dword v162, off, s[0:3], 0 offset:468
	;; [unrolled: 1-line block ×3, first 2 shown]
	s_waitcnt vmcnt(58) lgkmcnt(0)
	v_mul_f64 v[165:166], v[1:2], v[109:110]
	v_mul_f64 v[109:110], v[3:4], v[109:110]
	s_waitcnt vmcnt(56)
	v_fma_f64 v[105:106], v[97:98], v[111:112], -v[105:106]
	ds_read_b128 v[155:158], v154 offset:992
	v_fma_f64 v[111:112], v[99:100], v[111:112], v[183:184]
	v_add_f64 v[159:160], v[159:160], v[163:164]
	v_add_f64 v[101:102], v[101:102], v[117:118]
	s_clause 0x4
	buffer_load_dword v118, off, s[0:3], 0 offset:508
	buffer_load_dword v163, off, s[0:3], 0 offset:520
	;; [unrolled: 1-line block ×5, first 2 shown]
	ds_read_b128 v[97:100], v154 offset:1008
	s_waitcnt vmcnt(57) lgkmcnt(1)
	v_mul_f64 v[184:185], v[155:156], v[113:114]
	v_mul_f64 v[113:114], v[157:158], v[113:114]
	s_waitcnt vmcnt(56)
	v_fma_f64 v[109:110], v[1:2], v[103:104], -v[109:110]
	v_fma_f64 v[103:104], v[3:4], v[103:104], v[165:166]
	v_add_f64 v[105:106], v[159:160], v[105:106]
	v_add_f64 v[101:102], v[101:102], v[111:112]
	s_clause 0x2
	buffer_load_dword v164, off, s[0:3], 0 offset:524
	buffer_load_dword v112, off, s[0:3], 0 offset:500
	;; [unrolled: 1-line block ×3, first 2 shown]
	s_waitcnt vmcnt(58) lgkmcnt(0)
	v_mul_f64 v[159:160], v[97:98], v[119:120]
	v_mul_f64 v[119:120], v[99:100], v[119:120]
	s_waitcnt vmcnt(56)
	v_fma_f64 v[113:114], v[155:156], v[121:122], -v[113:114]
	ds_read_b128 v[1:4], v154 offset:1024
	v_add_f64 v[105:106], v[105:106], v[109:110]
	v_fma_f64 v[109:110], v[157:158], v[121:122], v[184:185]
	v_add_f64 v[121:122], v[101:102], v[103:104]
	s_clause 0x4
	buffer_load_dword v156, off, s[0:3], 0 offset:540
	buffer_load_dword v157, off, s[0:3], 0 offset:552
	;; [unrolled: 1-line block ×5, first 2 shown]
	ds_read_b128 v[101:104], v154 offset:1040
	s_waitcnt vmcnt(57) lgkmcnt(1)
	v_mul_f64 v[184:185], v[1:2], v[123:124]
	v_mul_f64 v[123:124], v[3:4], v[123:124]
	s_waitcnt vmcnt(56)
	v_fma_f64 v[119:120], v[97:98], v[107:108], -v[119:120]
	v_fma_f64 v[107:108], v[99:100], v[107:108], v[159:160]
	v_add_f64 v[105:106], v[105:106], v[113:114]
	s_clause 0x2
	buffer_load_dword v158, off, s[0:3], 0 offset:556
	buffer_load_dword v114, off, s[0:3], 0 offset:532
	;; [unrolled: 1-line block ×3, first 2 shown]
	v_add_f64 v[109:110], v[121:122], v[109:110]
	s_waitcnt vmcnt(58) lgkmcnt(0)
	v_mul_f64 v[121:122], v[101:102], v[127:128]
	v_mul_f64 v[127:128], v[103:104], v[127:128]
	ds_read_b128 v[97:100], v154 offset:1056
	s_waitcnt vmcnt(56)
	v_fma_f64 v[123:124], v[1:2], v[129:130], -v[123:124]
	v_add_f64 v[105:106], v[105:106], v[119:120]
	v_fma_f64 v[119:120], v[3:4], v[129:130], v[184:185]
	v_add_f64 v[107:108], v[109:110], v[107:108]
	s_clause 0x4
	buffer_load_dword v110, off, s[0:3], 0 offset:572
	buffer_load_dword v129, off, s[0:3], 0 offset:584
	;; [unrolled: 1-line block ×5, first 2 shown]
	s_waitcnt vmcnt(57) lgkmcnt(0)
	v_mul_f64 v[184:185], v[97:98], v[131:132]
	v_mul_f64 v[131:132], v[99:100], v[131:132]
	s_waitcnt vmcnt(56)
	v_fma_f64 v[127:128], v[101:102], v[115:116], -v[127:128]
	ds_read_b128 v[1:4], v154 offset:1072
	v_fma_f64 v[115:116], v[103:104], v[115:116], v[121:122]
	v_add_f64 v[105:106], v[105:106], v[123:124]
	v_add_f64 v[107:108], v[107:108], v[119:120]
	s_clause 0x2
	buffer_load_dword v130, off, s[0:3], 0 offset:588
	buffer_load_dword v120, off, s[0:3], 0 offset:564
	;; [unrolled: 1-line block ×3, first 2 shown]
	ds_read_b128 v[101:104], v154 offset:1088
	s_waitcnt vmcnt(58) lgkmcnt(1)
	v_mul_f64 v[123:124], v[3:4], v[135:136]
	s_waitcnt vmcnt(56)
	v_fma_f64 v[131:132], v[97:98], v[137:138], -v[131:132]
	v_mul_f64 v[121:122], v[1:2], v[135:136]
	v_add_f64 v[105:106], v[105:106], v[127:128]
	v_fma_f64 v[127:128], v[99:100], v[137:138], v[184:185]
	v_add_f64 v[107:108], v[107:108], v[115:116]
	s_clause 0x4
	buffer_load_dword v116, off, s[0:3], 0 offset:604
	buffer_load_dword v135, off, s[0:3], 0 offset:616
	;; [unrolled: 1-line block ×5, first 2 shown]
	s_waitcnt vmcnt(57) lgkmcnt(0)
	v_mul_f64 v[184:185], v[101:102], v[139:140]
	v_mul_f64 v[138:139], v[103:104], v[139:140]
	s_waitcnt vmcnt(56)
	v_fma_f64 v[123:124], v[1:2], v[125:126], -v[123:124]
	ds_read_b128 v[97:100], v154 offset:1104
	v_fma_f64 v[121:122], v[3:4], v[125:126], v[121:122]
	s_clause 0x2
	buffer_load_dword v136, off, s[0:3], 0 offset:620
	buffer_load_dword v126, off, s[0:3], 0 offset:596
	;; [unrolled: 1-line block ×3, first 2 shown]
	ds_read_b128 v[1:4], v154 offset:1120
	v_add_f64 v[105:106], v[105:106], v[131:132]
	v_add_f64 v[107:108], v[107:108], v[127:128]
	s_waitcnt vmcnt(58) lgkmcnt(1)
	v_mul_f64 v[131:132], v[99:100], v[143:144]
	s_waitcnt vmcnt(56)
	v_fma_f64 v[139:140], v[101:102], v[145:146], -v[138:139]
	v_mul_f64 v[127:128], v[97:98], v[143:144]
	v_add_f64 v[105:106], v[105:106], v[123:124]
	v_fma_f64 v[123:124], v[103:104], v[145:146], v[184:185]
	v_add_f64 v[107:108], v[107:108], v[121:122]
	s_clause 0x4
	buffer_load_dword v122, off, s[0:3], 0 offset:636
	buffer_load_dword v143, off, s[0:3], 0 offset:648
	;; [unrolled: 1-line block ×5, first 2 shown]
	s_waitcnt vmcnt(57) lgkmcnt(0)
	v_mul_f64 v[184:185], v[1:2], v[147:148]
	v_mul_f64 v[146:147], v[3:4], v[147:148]
	s_waitcnt vmcnt(56)
	v_fma_f64 v[131:132], v[97:98], v[133:134], -v[131:132]
	ds_read_b128 v[101:104], v154 offset:1136
	v_fma_f64 v[127:128], v[99:100], v[133:134], v[127:128]
	v_add_f64 v[105:106], v[105:106], v[139:140]
	v_add_f64 v[107:108], v[107:108], v[123:124]
	s_clause 0x2
	buffer_load_dword v144, off, s[0:3], 0 offset:652
	buffer_load_dword v124, off, s[0:3], 0 offset:628
	;; [unrolled: 1-line block ×3, first 2 shown]
	ds_read_b128 v[97:100], v154 offset:1152
	s_waitcnt vmcnt(58) lgkmcnt(1)
	v_mul_f64 v[139:140], v[103:104], v[149:150]
	s_waitcnt vmcnt(56)
	v_fma_f64 v[147:148], v[1:2], v[151:152], -v[146:147]
	v_mul_f64 v[133:134], v[101:102], v[149:150]
	v_add_f64 v[105:106], v[105:106], v[131:132]
	v_fma_f64 v[131:132], v[3:4], v[151:152], v[184:185]
	v_add_f64 v[107:108], v[107:108], v[127:128]
	s_clause 0x4
	buffer_load_dword v128, off, s[0:3], 0 offset:668
	buffer_load_dword v149, off, s[0:3], 0 offset:680
	;; [unrolled: 1-line block ×5, first 2 shown]
	s_waitcnt vmcnt(57) lgkmcnt(0)
	v_mul_f64 v[184:185], v[97:98], v[169:170]
	v_mul_f64 v[169:170], v[99:100], v[169:170]
	s_waitcnt vmcnt(56)
	v_fma_f64 v[139:140], v[101:102], v[141:142], -v[139:140]
	ds_read_b128 v[1:4], v154 offset:1168
	v_fma_f64 v[133:134], v[103:104], v[141:142], v[133:134]
	v_add_f64 v[105:106], v[105:106], v[147:148]
	v_add_f64 v[107:108], v[107:108], v[131:132]
	s_clause 0x2
	buffer_load_dword v150, off, s[0:3], 0 offset:684
	buffer_load_dword v132, off, s[0:3], 0 offset:660
	;; [unrolled: 1-line block ×3, first 2 shown]
	ds_read_b128 v[101:104], v154 offset:1184
	s_waitcnt vmcnt(58) lgkmcnt(1)
	v_mul_f64 v[147:148], v[3:4], v[171:172]
	s_waitcnt vmcnt(56)
	v_fma_f64 v[169:170], v[97:98], v[176:177], -v[169:170]
	v_mul_f64 v[141:142], v[1:2], v[171:172]
	v_add_f64 v[105:106], v[105:106], v[139:140]
	v_fma_f64 v[139:140], v[99:100], v[176:177], v[184:185]
	v_add_f64 v[107:108], v[107:108], v[133:134]
	s_clause 0x4
	buffer_load_dword v134, off, s[0:3], 0 offset:700
	buffer_load_dword v171, off, s[0:3], 0 offset:712
	;; [unrolled: 1-line block ×5, first 2 shown]
	ds_read_b128 v[97:100], v154 offset:1200
	s_waitcnt vmcnt(57) lgkmcnt(1)
	v_mul_f64 v[176:177], v[101:102], v[167:168]
	v_mul_f64 v[167:168], v[103:104], v[167:168]
	s_waitcnt vmcnt(56)
	v_fma_f64 v[147:148], v[1:2], v[173:174], -v[147:148]
	v_fma_f64 v[141:142], v[3:4], v[173:174], v[141:142]
	v_add_f64 v[105:106], v[105:106], v[169:170]
	v_add_f64 v[107:108], v[107:108], v[139:140]
	s_clause 0x2
	buffer_load_dword v172, off, s[0:3], 0 offset:716
	buffer_load_dword v140, off, s[0:3], 0 offset:692
	;; [unrolled: 1-line block ×3, first 2 shown]
	ds_read_b128 v[1:4], v154 offset:1216
	s_waitcnt vmcnt(58) lgkmcnt(1)
	v_mul_f64 v[173:174], v[99:100], v[180:181]
	v_mul_f64 v[169:170], v[97:98], v[180:181]
	s_waitcnt vmcnt(56)
	v_fma_f64 v[167:168], v[101:102], v[161:162], -v[167:168]
	v_add_f64 v[105:106], v[105:106], v[147:148]
	v_fma_f64 v[147:148], v[103:104], v[161:162], v[176:177]
	v_add_f64 v[107:108], v[107:108], v[141:142]
	s_clause 0x4
	buffer_load_dword v142, off, s[0:3], 0 offset:732
	buffer_load_dword v161, off, s[0:3], 0 offset:744
	;; [unrolled: 1-line block ×5, first 2 shown]
	ds_read_b128 v[101:104], v154 offset:1232
	s_waitcnt vmcnt(57) lgkmcnt(1)
	v_mul_f64 v[184:185], v[1:2], v[117:118]
	v_mul_f64 v[117:118], v[3:4], v[117:118]
	s_waitcnt vmcnt(56)
	v_fma_f64 v[173:174], v[97:98], v[182:183], -v[173:174]
	v_add_f64 v[105:106], v[105:106], v[167:168]
	v_fma_f64 v[167:168], v[99:100], v[182:183], v[169:170]
	v_add_f64 v[107:108], v[107:108], v[147:148]
	s_clause 0x2
	buffer_load_dword v162, off, s[0:3], 0 offset:748
	buffer_load_dword v148, off, s[0:3], 0 offset:724
	;; [unrolled: 1-line block ×3, first 2 shown]
	ds_read_b128 v[97:100], v154 offset:1248
	buffer_load_dword v181, off, s[0:3], 0 offset:740
	s_waitcnt vmcnt(59) lgkmcnt(1)
	v_mul_f64 v[169:170], v[101:102], v[163:164]
	v_mul_f64 v[163:164], v[103:104], v[163:164]
	s_waitcnt vmcnt(57)
	v_fma_f64 v[117:118], v[1:2], v[111:112], -v[117:118]
	v_fma_f64 v[111:112], v[3:4], v[111:112], v[184:185]
	ds_read_b128 v[1:4], v154 offset:1264
	v_add_f64 v[105:106], v[105:106], v[173:174]
	v_add_f64 v[107:108], v[107:108], v[167:168]
	s_waitcnt vmcnt(53) lgkmcnt(1)
	v_mul_f64 v[167:168], v[97:98], v[155:156]
	v_mul_f64 v[155:156], v[99:100], v[155:156]
	s_waitcnt vmcnt(52)
	v_fma_f64 v[163:164], v[101:102], v[178:179], -v[163:164]
	v_add_f64 v[105:106], v[105:106], v[117:118]
	v_fma_f64 v[117:118], v[103:104], v[178:179], v[169:170]
	v_add_f64 v[107:108], v[107:108], v[111:112]
	ds_read_b128 v[101:104], v154 offset:1280
	s_waitcnt vmcnt(51) lgkmcnt(1)
	v_mul_f64 v[111:112], v[1:2], v[157:158]
	v_mul_f64 v[157:158], v[3:4], v[157:158]
	s_waitcnt vmcnt(49)
	v_fma_f64 v[155:156], v[97:98], v[113:114], -v[155:156]
	v_fma_f64 v[113:114], v[99:100], v[113:114], v[167:168]
	v_add_f64 v[105:106], v[105:106], v[163:164]
	v_add_f64 v[107:108], v[107:108], v[117:118]
	s_clause 0x3
	buffer_load_dword v117, off, s[0:3], 0 offset:176
	buffer_load_dword v118, off, s[0:3], 0 offset:180
	;; [unrolled: 1-line block ×4, first 2 shown]
	ds_read_b128 v[97:100], v154 offset:1296
	s_waitcnt vmcnt(49) lgkmcnt(1)
	v_mul_f64 v[167:168], v[101:102], v[109:110]
	v_mul_f64 v[109:110], v[103:104], v[109:110]
	s_waitcnt vmcnt(48)
	v_fma_f64 v[157:158], v[1:2], v[165:166], -v[157:158]
	v_fma_f64 v[111:112], v[3:4], v[165:166], v[111:112]
	ds_read_b128 v[1:4], v154 offset:1312
	v_add_f64 v[105:106], v[105:106], v[155:156]
	v_add_f64 v[107:108], v[107:108], v[113:114]
	s_waitcnt vmcnt(47) lgkmcnt(1)
	v_mul_f64 v[113:114], v[97:98], v[129:130]
	v_mul_f64 v[129:130], v[99:100], v[129:130]
	s_waitcnt vmcnt(45)
	v_fma_f64 v[109:110], v[101:102], v[119:120], -v[109:110]
	v_fma_f64 v[119:120], v[103:104], v[119:120], v[167:168]
	ds_read_b128 v[101:104], v154 offset:1328
	v_add_f64 v[105:106], v[105:106], v[157:158]
	v_add_f64 v[107:108], v[107:108], v[111:112]
	s_waitcnt vmcnt(41) lgkmcnt(1)
	v_mul_f64 v[111:112], v[1:2], v[115:116]
	v_mul_f64 v[115:116], v[3:4], v[115:116]
	s_waitcnt vmcnt(40)
	v_fma_f64 v[129:130], v[97:98], v[159:160], -v[129:130]
	v_add_f64 v[105:106], v[105:106], v[109:110]
	v_fma_f64 v[109:110], v[99:100], v[159:160], v[113:114]
	v_add_f64 v[107:108], v[107:108], v[119:120]
	ds_read_b128 v[97:100], v154 offset:1344
	s_waitcnt vmcnt(39) lgkmcnt(1)
	v_mul_f64 v[119:120], v[103:104], v[135:136]
	v_mul_f64 v[113:114], v[101:102], v[135:136]
	s_waitcnt vmcnt(37)
	v_fma_f64 v[111:112], v[3:4], v[125:126], v[111:112]
	v_fma_f64 v[115:116], v[1:2], v[125:126], -v[115:116]
	ds_read_b128 v[1:4], v154 offset:1360
	v_add_f64 v[105:106], v[105:106], v[129:130]
	v_add_f64 v[107:108], v[107:108], v[109:110]
	s_waitcnt vmcnt(33) lgkmcnt(1)
	v_mul_f64 v[109:110], v[97:98], v[121:122]
	v_mul_f64 v[121:122], v[99:100], v[121:122]
	s_waitcnt vmcnt(32)
	v_fma_f64 v[119:120], v[101:102], v[137:138], -v[119:120]
	v_fma_f64 v[113:114], v[103:104], v[137:138], v[113:114]
	ds_read_b128 v[101:104], v154 offset:1376
	v_add_f64 v[105:106], v[105:106], v[115:116]
	v_add_f64 v[107:108], v[107:108], v[111:112]
	s_waitcnt vmcnt(31) lgkmcnt(1)
	v_mul_f64 v[115:116], v[3:4], v[143:144]
	v_mul_f64 v[111:112], v[1:2], v[143:144]
	s_waitcnt vmcnt(29)
	v_fma_f64 v[121:122], v[97:98], v[123:124], -v[121:122]
	v_fma_f64 v[109:110], v[99:100], v[123:124], v[109:110]
	ds_read_b128 v[97:100], v154 offset:1392
	v_add_f64 v[105:106], v[105:106], v[119:120]
	v_add_f64 v[107:108], v[107:108], v[113:114]
	s_waitcnt vmcnt(25) lgkmcnt(1)
	v_mul_f64 v[119:120], v[103:104], v[127:128]
	s_waitcnt vmcnt(24)
	v_fma_f64 v[115:116], v[1:2], v[145:146], -v[115:116]
	v_mul_f64 v[113:114], v[101:102], v[127:128]
	v_fma_f64 v[111:112], v[3:4], v[145:146], v[111:112]
	ds_read_b128 v[1:4], v154 offset:1408
	v_add_f64 v[105:106], v[105:106], v[121:122]
	v_add_f64 v[107:108], v[107:108], v[109:110]
	s_waitcnt vmcnt(23) lgkmcnt(1)
	v_mul_f64 v[121:122], v[99:100], v[149:150]
	v_mul_f64 v[109:110], v[97:98], v[149:150]
	s_waitcnt vmcnt(21)
	v_fma_f64 v[119:120], v[101:102], v[131:132], -v[119:120]
	v_fma_f64 v[113:114], v[103:104], v[131:132], v[113:114]
	ds_read_b128 v[101:104], v154 offset:1424
	v_add_f64 v[105:106], v[105:106], v[115:116]
	v_add_f64 v[107:108], v[107:108], v[111:112]
	s_waitcnt vmcnt(17) lgkmcnt(1)
	v_mul_f64 v[115:116], v[3:4], v[133:134]
	s_waitcnt vmcnt(16)
	v_fma_f64 v[121:122], v[97:98], v[151:152], -v[121:122]
	v_mul_f64 v[111:112], v[1:2], v[133:134]
	;; [unrolled: 18-line block ×3, first 2 shown]
	v_fma_f64 v[103:104], v[103:104], v[175:176], v[113:114]
	v_add_f64 v[105:106], v[105:106], v[115:116]
	v_add_f64 v[107:108], v[107:108], v[111:112]
	s_waitcnt vmcnt(7) lgkmcnt(0)
	v_mul_f64 v[113:114], v[3:4], v[161:162]
	v_mul_f64 v[111:112], v[1:2], v[161:162]
	s_waitcnt vmcnt(5)
	v_fma_f64 v[97:98], v[97:98], v[147:148], -v[121:122]
	v_fma_f64 v[99:100], v[99:100], v[147:148], v[109:110]
	v_add_f64 v[101:102], v[105:106], v[101:102]
	v_add_f64 v[103:104], v[107:108], v[103:104]
	s_waitcnt vmcnt(4)
	v_fma_f64 v[1:2], v[1:2], v[180:181], -v[113:114]
	v_fma_f64 v[3:4], v[3:4], v[180:181], v[111:112]
	v_add_f64 v[97:98], v[101:102], v[97:98]
	v_add_f64 v[99:100], v[103:104], v[99:100]
	;; [unrolled: 1-line block ×4, first 2 shown]
	s_waitcnt vmcnt(2)
	v_add_f64 v[1:2], v[117:118], -v[1:2]
	s_waitcnt vmcnt(0)
	v_add_f64 v[3:4], v[163:164], -v[3:4]
	buffer_store_dword v2, off, s[0:3], 0 offset:180
	buffer_store_dword v1, off, s[0:3], 0 offset:176
	;; [unrolled: 1-line block ×4, first 2 shown]
	v_cmpx_lt_u32_e32 9, v0
	s_cbranch_execz .LBB109_271
; %bb.270:
	v_mov_b32_e32 v4, s49
	s_clause 0x3
	buffer_load_dword v1, v4, s[0:3], 0 offen
	buffer_load_dword v2, v4, s[0:3], 0 offen offset:4
	buffer_load_dword v3, v4, s[0:3], 0 offen offset:8
	;; [unrolled: 1-line block ×3, first 2 shown]
	buffer_store_dword v154, off, s[0:3], 0 offset:160
	buffer_store_dword v154, off, s[0:3], 0 offset:164
	;; [unrolled: 1-line block ×4, first 2 shown]
	s_waitcnt vmcnt(0)
	ds_write_b128 v153, v[1:4]
.LBB109_271:
	s_or_b32 exec_lo, exec_lo, s4
	s_waitcnt lgkmcnt(0)
	s_waitcnt_vscnt null, 0x0
	s_barrier
	buffer_gl0_inv
	s_clause 0x37
	buffer_load_dword v101, off, s[0:3], 0 offset:184
	buffer_load_dword v102, off, s[0:3], 0 offset:188
	;; [unrolled: 1-line block ×56, first 2 shown]
	ds_read_b128 v[155:158], v154 offset:896
	s_clause 0x2
	buffer_load_dword v150, off, s[0:3], 0 offset:412
	buffer_load_dword v152, off, s[0:3], 0 offset:388
	;; [unrolled: 1-line block ×3, first 2 shown]
	ds_read_b128 v[159:162], v154 offset:912
	s_clause 0x4
	buffer_load_dword v170, off, s[0:3], 0 offset:428
	buffer_load_dword v171, off, s[0:3], 0 offset:440
	buffer_load_dword v173, off, s[0:3], 0 offset:432
	buffer_load_dword v169, off, s[0:3], 0 offset:424
	buffer_load_dword v142, off, s[0:3], 0 offset:404
	ds_read_b128 v[163:166], v154 offset:928
	s_clause 0x2
	buffer_load_dword v172, off, s[0:3], 0 offset:444
	buffer_load_dword v177, off, s[0:3], 0 offset:420
	;; [unrolled: 1-line block ×3, first 2 shown]
	s_mov_b32 s4, exec_lo
	s_waitcnt vmcnt(62) lgkmcnt(2)
	v_mul_f64 v[167:168], v[157:158], v[101:102]
	v_mul_f64 v[101:102], v[155:156], v[101:102]
	s_waitcnt lgkmcnt(1)
	v_mul_f64 v[174:175], v[161:162], v[97:98]
	s_waitcnt vmcnt(59) lgkmcnt(0)
	v_mul_f64 v[178:179], v[165:166], v[3:4]
	v_fma_f64 v[155:156], v[155:156], v[99:100], -v[167:168]
	v_mul_f64 v[167:168], v[159:160], v[97:98]
	v_fma_f64 v[101:102], v[157:158], v[99:100], v[101:102]
	s_waitcnt vmcnt(57)
	v_fma_f64 v[159:160], v[159:160], v[1:2], -v[174:175]
	ds_read_b128 v[97:100], v154 offset:944
	v_mul_f64 v[157:158], v[163:164], v[3:4]
	s_waitcnt vmcnt(51)
	v_fma_f64 v[163:164], v[163:164], v[117:118], -v[178:179]
	v_add_f64 v[155:156], v[155:156], 0
	v_fma_f64 v[161:162], v[161:162], v[1:2], v[167:168]
	v_add_f64 v[101:102], v[101:102], 0
	s_clause 0x4
	buffer_load_dword v168, off, s[0:3], 0 offset:460
	buffer_load_dword v180, off, s[0:3], 0 offset:472
	buffer_load_dword v182, off, s[0:3], 0 offset:464
	buffer_load_dword v167, off, s[0:3], 0 offset:456
	buffer_load_dword v174, off, s[0:3], 0 offset:436
	s_waitcnt lgkmcnt(0)
	v_mul_f64 v[183:184], v[97:98], v[105:106]
	v_mul_f64 v[105:106], v[99:100], v[105:106]
	ds_read_b128 v[1:4], v154 offset:960
	v_fma_f64 v[117:118], v[165:166], v[117:118], v[157:158]
	v_add_f64 v[159:160], v[155:156], v[159:160]
	v_add_f64 v[101:102], v[101:102], v[161:162]
	s_clause 0x2
	buffer_load_dword v181, off, s[0:3], 0 offset:476
	buffer_load_dword v162, off, s[0:3], 0 offset:452
	;; [unrolled: 1-line block ×3, first 2 shown]
	s_waitcnt vmcnt(58) lgkmcnt(0)
	v_mul_f64 v[165:166], v[1:2], v[109:110]
	v_mul_f64 v[109:110], v[3:4], v[109:110]
	s_waitcnt vmcnt(56)
	v_fma_f64 v[105:106], v[97:98], v[111:112], -v[105:106]
	ds_read_b128 v[155:158], v154 offset:976
	v_fma_f64 v[111:112], v[99:100], v[111:112], v[183:184]
	v_add_f64 v[159:160], v[159:160], v[163:164]
	v_add_f64 v[101:102], v[101:102], v[117:118]
	s_clause 0x4
	buffer_load_dword v118, off, s[0:3], 0 offset:492
	buffer_load_dword v163, off, s[0:3], 0 offset:504
	;; [unrolled: 1-line block ×5, first 2 shown]
	ds_read_b128 v[97:100], v154 offset:992
	s_waitcnt vmcnt(57) lgkmcnt(1)
	v_mul_f64 v[184:185], v[155:156], v[113:114]
	v_mul_f64 v[113:114], v[157:158], v[113:114]
	s_waitcnt vmcnt(56)
	v_fma_f64 v[109:110], v[1:2], v[103:104], -v[109:110]
	v_fma_f64 v[103:104], v[3:4], v[103:104], v[165:166]
	v_add_f64 v[105:106], v[159:160], v[105:106]
	v_add_f64 v[101:102], v[101:102], v[111:112]
	s_clause 0x2
	buffer_load_dword v164, off, s[0:3], 0 offset:508
	buffer_load_dword v112, off, s[0:3], 0 offset:484
	;; [unrolled: 1-line block ×3, first 2 shown]
	s_waitcnt vmcnt(58) lgkmcnt(0)
	v_mul_f64 v[159:160], v[97:98], v[119:120]
	v_mul_f64 v[119:120], v[99:100], v[119:120]
	s_waitcnt vmcnt(56)
	v_fma_f64 v[113:114], v[155:156], v[121:122], -v[113:114]
	ds_read_b128 v[1:4], v154 offset:1008
	v_add_f64 v[105:106], v[105:106], v[109:110]
	v_fma_f64 v[109:110], v[157:158], v[121:122], v[184:185]
	v_add_f64 v[121:122], v[101:102], v[103:104]
	s_clause 0x4
	buffer_load_dword v156, off, s[0:3], 0 offset:524
	buffer_load_dword v157, off, s[0:3], 0 offset:536
	;; [unrolled: 1-line block ×5, first 2 shown]
	ds_read_b128 v[101:104], v154 offset:1024
	s_waitcnt vmcnt(57) lgkmcnt(1)
	v_mul_f64 v[184:185], v[1:2], v[123:124]
	v_mul_f64 v[123:124], v[3:4], v[123:124]
	s_waitcnt vmcnt(56)
	v_fma_f64 v[119:120], v[97:98], v[107:108], -v[119:120]
	v_fma_f64 v[107:108], v[99:100], v[107:108], v[159:160]
	v_add_f64 v[105:106], v[105:106], v[113:114]
	s_clause 0x2
	buffer_load_dword v158, off, s[0:3], 0 offset:540
	buffer_load_dword v114, off, s[0:3], 0 offset:516
	buffer_load_dword v113, off, s[0:3], 0 offset:512
	v_add_f64 v[109:110], v[121:122], v[109:110]
	s_waitcnt vmcnt(58) lgkmcnt(0)
	v_mul_f64 v[121:122], v[101:102], v[127:128]
	v_mul_f64 v[127:128], v[103:104], v[127:128]
	ds_read_b128 v[97:100], v154 offset:1040
	s_waitcnt vmcnt(56)
	v_fma_f64 v[123:124], v[1:2], v[129:130], -v[123:124]
	v_add_f64 v[105:106], v[105:106], v[119:120]
	v_fma_f64 v[119:120], v[3:4], v[129:130], v[184:185]
	v_add_f64 v[107:108], v[109:110], v[107:108]
	s_clause 0x4
	buffer_load_dword v110, off, s[0:3], 0 offset:556
	buffer_load_dword v129, off, s[0:3], 0 offset:568
	buffer_load_dword v159, off, s[0:3], 0 offset:560
	buffer_load_dword v109, off, s[0:3], 0 offset:552
	buffer_load_dword v166, off, s[0:3], 0 offset:532
	s_waitcnt vmcnt(57) lgkmcnt(0)
	v_mul_f64 v[184:185], v[97:98], v[131:132]
	v_mul_f64 v[131:132], v[99:100], v[131:132]
	s_waitcnt vmcnt(56)
	v_fma_f64 v[127:128], v[101:102], v[115:116], -v[127:128]
	ds_read_b128 v[1:4], v154 offset:1056
	v_fma_f64 v[115:116], v[103:104], v[115:116], v[121:122]
	v_add_f64 v[105:106], v[105:106], v[123:124]
	v_add_f64 v[107:108], v[107:108], v[119:120]
	s_clause 0x2
	buffer_load_dword v130, off, s[0:3], 0 offset:572
	buffer_load_dword v120, off, s[0:3], 0 offset:548
	;; [unrolled: 1-line block ×3, first 2 shown]
	ds_read_b128 v[101:104], v154 offset:1072
	s_waitcnt vmcnt(58) lgkmcnt(1)
	v_mul_f64 v[123:124], v[3:4], v[135:136]
	s_waitcnt vmcnt(56)
	v_fma_f64 v[131:132], v[97:98], v[137:138], -v[131:132]
	v_mul_f64 v[121:122], v[1:2], v[135:136]
	v_add_f64 v[105:106], v[105:106], v[127:128]
	v_fma_f64 v[127:128], v[99:100], v[137:138], v[184:185]
	v_add_f64 v[107:108], v[107:108], v[115:116]
	s_clause 0x4
	buffer_load_dword v116, off, s[0:3], 0 offset:588
	buffer_load_dword v135, off, s[0:3], 0 offset:600
	;; [unrolled: 1-line block ×5, first 2 shown]
	s_waitcnt vmcnt(57) lgkmcnt(0)
	v_mul_f64 v[184:185], v[101:102], v[139:140]
	v_mul_f64 v[138:139], v[103:104], v[139:140]
	s_waitcnt vmcnt(56)
	v_fma_f64 v[123:124], v[1:2], v[125:126], -v[123:124]
	ds_read_b128 v[97:100], v154 offset:1088
	v_fma_f64 v[121:122], v[3:4], v[125:126], v[121:122]
	s_clause 0x2
	buffer_load_dword v136, off, s[0:3], 0 offset:604
	buffer_load_dword v126, off, s[0:3], 0 offset:580
	;; [unrolled: 1-line block ×3, first 2 shown]
	ds_read_b128 v[1:4], v154 offset:1104
	v_add_f64 v[105:106], v[105:106], v[131:132]
	v_add_f64 v[107:108], v[107:108], v[127:128]
	s_waitcnt vmcnt(58) lgkmcnt(1)
	v_mul_f64 v[131:132], v[99:100], v[143:144]
	s_waitcnt vmcnt(56)
	v_fma_f64 v[139:140], v[101:102], v[145:146], -v[138:139]
	v_mul_f64 v[127:128], v[97:98], v[143:144]
	v_add_f64 v[105:106], v[105:106], v[123:124]
	v_fma_f64 v[123:124], v[103:104], v[145:146], v[184:185]
	v_add_f64 v[107:108], v[107:108], v[121:122]
	s_clause 0x4
	buffer_load_dword v122, off, s[0:3], 0 offset:620
	buffer_load_dword v143, off, s[0:3], 0 offset:632
	;; [unrolled: 1-line block ×5, first 2 shown]
	s_waitcnt vmcnt(57) lgkmcnt(0)
	v_mul_f64 v[184:185], v[1:2], v[147:148]
	v_mul_f64 v[146:147], v[3:4], v[147:148]
	s_waitcnt vmcnt(56)
	v_fma_f64 v[131:132], v[97:98], v[133:134], -v[131:132]
	ds_read_b128 v[101:104], v154 offset:1120
	v_fma_f64 v[127:128], v[99:100], v[133:134], v[127:128]
	v_add_f64 v[105:106], v[105:106], v[139:140]
	v_add_f64 v[107:108], v[107:108], v[123:124]
	s_clause 0x2
	buffer_load_dword v144, off, s[0:3], 0 offset:636
	buffer_load_dword v124, off, s[0:3], 0 offset:612
	;; [unrolled: 1-line block ×3, first 2 shown]
	ds_read_b128 v[97:100], v154 offset:1136
	s_waitcnt vmcnt(58) lgkmcnt(1)
	v_mul_f64 v[139:140], v[103:104], v[149:150]
	s_waitcnt vmcnt(56)
	v_fma_f64 v[147:148], v[1:2], v[151:152], -v[146:147]
	v_mul_f64 v[133:134], v[101:102], v[149:150]
	v_add_f64 v[105:106], v[105:106], v[131:132]
	v_fma_f64 v[131:132], v[3:4], v[151:152], v[184:185]
	v_add_f64 v[107:108], v[107:108], v[127:128]
	s_clause 0x4
	buffer_load_dword v128, off, s[0:3], 0 offset:652
	buffer_load_dword v149, off, s[0:3], 0 offset:664
	;; [unrolled: 1-line block ×5, first 2 shown]
	s_waitcnt vmcnt(57) lgkmcnt(0)
	v_mul_f64 v[184:185], v[97:98], v[169:170]
	v_mul_f64 v[169:170], v[99:100], v[169:170]
	s_waitcnt vmcnt(56)
	v_fma_f64 v[139:140], v[101:102], v[141:142], -v[139:140]
	ds_read_b128 v[1:4], v154 offset:1152
	v_fma_f64 v[133:134], v[103:104], v[141:142], v[133:134]
	v_add_f64 v[105:106], v[105:106], v[147:148]
	v_add_f64 v[107:108], v[107:108], v[131:132]
	s_clause 0x2
	buffer_load_dword v150, off, s[0:3], 0 offset:668
	buffer_load_dword v132, off, s[0:3], 0 offset:644
	;; [unrolled: 1-line block ×3, first 2 shown]
	ds_read_b128 v[101:104], v154 offset:1168
	s_waitcnt vmcnt(58) lgkmcnt(1)
	v_mul_f64 v[147:148], v[3:4], v[171:172]
	s_waitcnt vmcnt(56)
	v_fma_f64 v[169:170], v[97:98], v[176:177], -v[169:170]
	v_mul_f64 v[141:142], v[1:2], v[171:172]
	v_add_f64 v[105:106], v[105:106], v[139:140]
	v_fma_f64 v[139:140], v[99:100], v[176:177], v[184:185]
	v_add_f64 v[107:108], v[107:108], v[133:134]
	s_clause 0x4
	buffer_load_dword v134, off, s[0:3], 0 offset:684
	buffer_load_dword v171, off, s[0:3], 0 offset:696
	;; [unrolled: 1-line block ×5, first 2 shown]
	ds_read_b128 v[97:100], v154 offset:1184
	s_waitcnt vmcnt(57) lgkmcnt(1)
	v_mul_f64 v[176:177], v[101:102], v[167:168]
	v_mul_f64 v[167:168], v[103:104], v[167:168]
	s_waitcnt vmcnt(56)
	v_fma_f64 v[147:148], v[1:2], v[173:174], -v[147:148]
	v_fma_f64 v[141:142], v[3:4], v[173:174], v[141:142]
	v_add_f64 v[105:106], v[105:106], v[169:170]
	v_add_f64 v[107:108], v[107:108], v[139:140]
	s_clause 0x2
	buffer_load_dword v172, off, s[0:3], 0 offset:700
	buffer_load_dword v140, off, s[0:3], 0 offset:676
	;; [unrolled: 1-line block ×3, first 2 shown]
	ds_read_b128 v[1:4], v154 offset:1200
	s_waitcnt vmcnt(58) lgkmcnt(1)
	v_mul_f64 v[173:174], v[99:100], v[180:181]
	v_mul_f64 v[169:170], v[97:98], v[180:181]
	s_waitcnt vmcnt(56)
	v_fma_f64 v[167:168], v[101:102], v[161:162], -v[167:168]
	v_add_f64 v[105:106], v[105:106], v[147:148]
	v_fma_f64 v[147:148], v[103:104], v[161:162], v[176:177]
	v_add_f64 v[107:108], v[107:108], v[141:142]
	s_clause 0x4
	buffer_load_dword v142, off, s[0:3], 0 offset:716
	buffer_load_dword v161, off, s[0:3], 0 offset:728
	;; [unrolled: 1-line block ×5, first 2 shown]
	ds_read_b128 v[101:104], v154 offset:1216
	s_waitcnt vmcnt(57) lgkmcnt(1)
	v_mul_f64 v[184:185], v[1:2], v[117:118]
	v_mul_f64 v[117:118], v[3:4], v[117:118]
	s_waitcnt vmcnt(56)
	v_fma_f64 v[173:174], v[97:98], v[182:183], -v[173:174]
	v_add_f64 v[105:106], v[105:106], v[167:168]
	v_fma_f64 v[167:168], v[99:100], v[182:183], v[169:170]
	v_add_f64 v[107:108], v[107:108], v[147:148]
	s_clause 0x2
	buffer_load_dword v162, off, s[0:3], 0 offset:732
	buffer_load_dword v148, off, s[0:3], 0 offset:708
	;; [unrolled: 1-line block ×3, first 2 shown]
	ds_read_b128 v[97:100], v154 offset:1232
	s_waitcnt vmcnt(58) lgkmcnt(1)
	v_mul_f64 v[169:170], v[101:102], v[163:164]
	v_mul_f64 v[163:164], v[103:104], v[163:164]
	s_waitcnt vmcnt(56)
	v_fma_f64 v[117:118], v[1:2], v[111:112], -v[117:118]
	v_fma_f64 v[111:112], v[3:4], v[111:112], v[184:185]
	v_add_f64 v[105:106], v[105:106], v[173:174]
	v_add_f64 v[107:108], v[107:108], v[167:168]
	s_clause 0x2
	buffer_load_dword v168, off, s[0:3], 0 offset:748
	buffer_load_dword v167, off, s[0:3], 0 offset:744
	;; [unrolled: 1-line block ×3, first 2 shown]
	ds_read_b128 v[1:4], v154 offset:1248
	s_waitcnt vmcnt(55) lgkmcnt(1)
	v_mul_f64 v[173:174], v[97:98], v[155:156]
	v_mul_f64 v[155:156], v[99:100], v[155:156]
	s_waitcnt vmcnt(54)
	v_fma_f64 v[163:164], v[101:102], v[178:179], -v[163:164]
	v_add_f64 v[105:106], v[105:106], v[117:118]
	v_fma_f64 v[117:118], v[103:104], v[178:179], v[169:170]
	v_add_f64 v[107:108], v[107:108], v[111:112]
	s_clause 0x1
	buffer_load_dword v112, off, s[0:3], 0 offset:740
	buffer_load_dword v111, off, s[0:3], 0 offset:736
	ds_read_b128 v[101:104], v154 offset:1264
	s_waitcnt vmcnt(55) lgkmcnt(1)
	v_mul_f64 v[169:170], v[1:2], v[157:158]
	v_mul_f64 v[157:158], v[3:4], v[157:158]
	s_waitcnt vmcnt(53)
	v_fma_f64 v[155:156], v[97:98], v[113:114], -v[155:156]
	v_fma_f64 v[113:114], v[99:100], v[113:114], v[173:174]
	ds_read_b128 v[97:100], v154 offset:1280
	v_add_f64 v[105:106], v[105:106], v[163:164]
	v_add_f64 v[107:108], v[107:108], v[117:118]
	s_waitcnt vmcnt(49) lgkmcnt(1)
	v_mul_f64 v[117:118], v[101:102], v[109:110]
	v_mul_f64 v[109:110], v[103:104], v[109:110]
	s_waitcnt vmcnt(48)
	v_fma_f64 v[157:158], v[1:2], v[165:166], -v[157:158]
	v_add_f64 v[105:106], v[105:106], v[155:156]
	v_fma_f64 v[155:156], v[3:4], v[165:166], v[169:170]
	v_add_f64 v[107:108], v[107:108], v[113:114]
	s_clause 0x3
	buffer_load_dword v113, off, s[0:3], 0 offset:160
	buffer_load_dword v114, off, s[0:3], 0 offset:164
	;; [unrolled: 1-line block ×4, first 2 shown]
	ds_read_b128 v[1:4], v154 offset:1296
	s_waitcnt vmcnt(51) lgkmcnt(1)
	v_mul_f64 v[165:166], v[97:98], v[129:130]
	v_mul_f64 v[129:130], v[99:100], v[129:130]
	s_waitcnt vmcnt(49)
	v_fma_f64 v[109:110], v[101:102], v[119:120], -v[109:110]
	v_fma_f64 v[117:118], v[103:104], v[119:120], v[117:118]
	ds_read_b128 v[101:104], v154 offset:1312
	v_add_f64 v[105:106], v[105:106], v[157:158]
	v_add_f64 v[107:108], v[107:108], v[155:156]
	s_waitcnt vmcnt(45) lgkmcnt(1)
	v_mul_f64 v[119:120], v[1:2], v[115:116]
	v_mul_f64 v[115:116], v[3:4], v[115:116]
	s_waitcnt vmcnt(44)
	v_fma_f64 v[129:130], v[97:98], v[159:160], -v[129:130]
	v_add_f64 v[105:106], v[105:106], v[109:110]
	v_fma_f64 v[109:110], v[99:100], v[159:160], v[165:166]
	v_add_f64 v[107:108], v[107:108], v[117:118]
	s_waitcnt vmcnt(43) lgkmcnt(0)
	v_mul_f64 v[117:118], v[101:102], v[135:136]
	v_mul_f64 v[135:136], v[103:104], v[135:136]
	ds_read_b128 v[97:100], v154 offset:1328
	s_waitcnt vmcnt(41)
	v_fma_f64 v[119:120], v[3:4], v[125:126], v[119:120]
	v_fma_f64 v[115:116], v[1:2], v[125:126], -v[115:116]
	ds_read_b128 v[1:4], v154 offset:1344
	v_add_f64 v[105:106], v[105:106], v[129:130]
	v_add_f64 v[107:108], v[107:108], v[109:110]
	s_waitcnt vmcnt(37) lgkmcnt(1)
	v_mul_f64 v[109:110], v[97:98], v[121:122]
	v_mul_f64 v[121:122], v[99:100], v[121:122]
	s_waitcnt vmcnt(36)
	v_fma_f64 v[125:126], v[101:102], v[137:138], -v[135:136]
	v_add_f64 v[105:106], v[105:106], v[115:116]
	v_fma_f64 v[115:116], v[103:104], v[137:138], v[117:118]
	v_add_f64 v[107:108], v[107:108], v[119:120]
	ds_read_b128 v[101:104], v154 offset:1360
	s_waitcnt vmcnt(35) lgkmcnt(1)
	v_mul_f64 v[119:120], v[3:4], v[143:144]
	v_mul_f64 v[117:118], v[1:2], v[143:144]
	s_waitcnt vmcnt(33)
	v_fma_f64 v[121:122], v[97:98], v[123:124], -v[121:122]
	v_fma_f64 v[109:110], v[99:100], v[123:124], v[109:110]
	ds_read_b128 v[97:100], v154 offset:1376
	v_add_f64 v[105:106], v[105:106], v[125:126]
	v_add_f64 v[107:108], v[107:108], v[115:116]
	s_waitcnt vmcnt(29) lgkmcnt(1)
	v_mul_f64 v[123:124], v[103:104], v[127:128]
	s_waitcnt vmcnt(28)
	v_fma_f64 v[119:120], v[1:2], v[145:146], -v[119:120]
	v_mul_f64 v[115:116], v[101:102], v[127:128]
	v_fma_f64 v[117:118], v[3:4], v[145:146], v[117:118]
	ds_read_b128 v[1:4], v154 offset:1392
	v_add_f64 v[105:106], v[105:106], v[121:122]
	v_add_f64 v[107:108], v[107:108], v[109:110]
	s_waitcnt vmcnt(27) lgkmcnt(1)
	v_mul_f64 v[121:122], v[99:100], v[149:150]
	v_mul_f64 v[109:110], v[97:98], v[149:150]
	s_waitcnt vmcnt(25)
	v_fma_f64 v[123:124], v[101:102], v[131:132], -v[123:124]
	v_fma_f64 v[115:116], v[103:104], v[131:132], v[115:116]
	ds_read_b128 v[101:104], v154 offset:1408
	v_add_f64 v[105:106], v[105:106], v[119:120]
	v_add_f64 v[107:108], v[107:108], v[117:118]
	s_waitcnt vmcnt(21) lgkmcnt(1)
	v_mul_f64 v[119:120], v[3:4], v[133:134]
	s_waitcnt vmcnt(20)
	v_fma_f64 v[121:122], v[97:98], v[151:152], -v[121:122]
	v_mul_f64 v[117:118], v[1:2], v[133:134]
	v_fma_f64 v[109:110], v[99:100], v[151:152], v[109:110]
	ds_read_b128 v[97:100], v154 offset:1424
	v_add_f64 v[105:106], v[105:106], v[123:124]
	v_add_f64 v[107:108], v[107:108], v[115:116]
	;; [unrolled: 18-line block ×3, first 2 shown]
	s_waitcnt vmcnt(11) lgkmcnt(1)
	v_mul_f64 v[119:120], v[3:4], v[161:162]
	v_mul_f64 v[117:118], v[1:2], v[161:162]
	s_waitcnt vmcnt(9)
	v_fma_f64 v[97:98], v[97:98], v[147:148], -v[121:122]
	v_fma_f64 v[99:100], v[99:100], v[147:148], v[109:110]
	v_add_f64 v[105:106], v[105:106], v[123:124]
	v_add_f64 v[107:108], v[107:108], v[115:116]
	s_waitcnt vmcnt(7) lgkmcnt(0)
	v_mul_f64 v[115:116], v[103:104], v[167:168]
	s_waitcnt vmcnt(6)
	v_fma_f64 v[1:2], v[1:2], v[180:181], -v[119:120]
	v_mul_f64 v[109:110], v[101:102], v[167:168]
	v_fma_f64 v[3:4], v[3:4], v[180:181], v[117:118]
	v_add_f64 v[97:98], v[105:106], v[97:98]
	v_add_f64 v[99:100], v[107:108], v[99:100]
	s_waitcnt vmcnt(4)
	v_fma_f64 v[101:102], v[101:102], v[111:112], -v[115:116]
	v_add_f64 v[1:2], v[97:98], v[1:2]
	v_fma_f64 v[97:98], v[103:104], v[111:112], v[109:110]
	v_add_f64 v[3:4], v[99:100], v[3:4]
	v_add_f64 v[1:2], v[1:2], v[101:102]
	;; [unrolled: 1-line block ×3, first 2 shown]
	s_waitcnt vmcnt(2)
	v_add_f64 v[1:2], v[113:114], -v[1:2]
	s_waitcnt vmcnt(0)
	v_add_f64 v[3:4], v[163:164], -v[3:4]
	buffer_store_dword v2, off, s[0:3], 0 offset:164
	buffer_store_dword v1, off, s[0:3], 0 offset:160
	;; [unrolled: 1-line block ×4, first 2 shown]
	v_cmpx_lt_u32_e32 8, v0
	s_cbranch_execz .LBB109_273
; %bb.272:
	v_mov_b32_e32 v4, s50
	v_mov_b32_e32 v97, 0
	s_clause 0x3
	buffer_load_dword v1, v4, s[0:3], 0 offen
	buffer_load_dword v2, v4, s[0:3], 0 offen offset:4
	buffer_load_dword v3, v4, s[0:3], 0 offen offset:8
	;; [unrolled: 1-line block ×3, first 2 shown]
	buffer_store_dword v97, off, s[0:3], 0 offset:144
	buffer_store_dword v97, off, s[0:3], 0 offset:148
	buffer_store_dword v97, off, s[0:3], 0 offset:152
	buffer_store_dword v97, off, s[0:3], 0 offset:156
	s_waitcnt vmcnt(0)
	ds_write_b128 v153, v[1:4]
.LBB109_273:
	s_or_b32 exec_lo, exec_lo, s4
	s_waitcnt lgkmcnt(0)
	s_waitcnt_vscnt null, 0x0
	s_barrier
	buffer_gl0_inv
	s_clause 0x37
	buffer_load_dword v101, off, s[0:3], 0 offset:168
	buffer_load_dword v102, off, s[0:3], 0 offset:172
	;; [unrolled: 1-line block ×56, first 2 shown]
	v_mov_b32_e32 v154, 0
	s_mov_b32 s4, exec_lo
	ds_read_b128 v[155:158], v154 offset:880
	s_clause 0x2
	buffer_load_dword v150, off, s[0:3], 0 offset:396
	buffer_load_dword v152, off, s[0:3], 0 offset:372
	;; [unrolled: 1-line block ×3, first 2 shown]
	ds_read_b128 v[159:162], v154 offset:896
	s_clause 0x4
	buffer_load_dword v170, off, s[0:3], 0 offset:412
	buffer_load_dword v171, off, s[0:3], 0 offset:424
	;; [unrolled: 1-line block ×5, first 2 shown]
	ds_read_b128 v[163:166], v154 offset:912
	s_clause 0x2
	buffer_load_dword v172, off, s[0:3], 0 offset:428
	buffer_load_dword v177, off, s[0:3], 0 offset:404
	;; [unrolled: 1-line block ×3, first 2 shown]
	s_waitcnt vmcnt(62) lgkmcnt(2)
	v_mul_f64 v[167:168], v[157:158], v[101:102]
	v_mul_f64 v[101:102], v[155:156], v[101:102]
	s_waitcnt lgkmcnt(1)
	v_mul_f64 v[174:175], v[161:162], v[97:98]
	s_waitcnt vmcnt(59) lgkmcnt(0)
	v_mul_f64 v[178:179], v[165:166], v[3:4]
	v_fma_f64 v[155:156], v[155:156], v[99:100], -v[167:168]
	v_mul_f64 v[167:168], v[159:160], v[97:98]
	v_fma_f64 v[101:102], v[157:158], v[99:100], v[101:102]
	s_waitcnt vmcnt(57)
	v_fma_f64 v[159:160], v[159:160], v[1:2], -v[174:175]
	ds_read_b128 v[97:100], v154 offset:928
	v_mul_f64 v[157:158], v[163:164], v[3:4]
	s_waitcnt vmcnt(51)
	v_fma_f64 v[163:164], v[163:164], v[117:118], -v[178:179]
	v_add_f64 v[155:156], v[155:156], 0
	v_fma_f64 v[161:162], v[161:162], v[1:2], v[167:168]
	v_add_f64 v[101:102], v[101:102], 0
	s_clause 0x4
	buffer_load_dword v168, off, s[0:3], 0 offset:444
	buffer_load_dword v180, off, s[0:3], 0 offset:456
	;; [unrolled: 1-line block ×5, first 2 shown]
	s_waitcnt lgkmcnt(0)
	v_mul_f64 v[183:184], v[97:98], v[105:106]
	v_mul_f64 v[105:106], v[99:100], v[105:106]
	ds_read_b128 v[1:4], v154 offset:944
	v_fma_f64 v[117:118], v[165:166], v[117:118], v[157:158]
	v_add_f64 v[159:160], v[155:156], v[159:160]
	v_add_f64 v[101:102], v[101:102], v[161:162]
	s_clause 0x2
	buffer_load_dword v181, off, s[0:3], 0 offset:460
	buffer_load_dword v162, off, s[0:3], 0 offset:436
	;; [unrolled: 1-line block ×3, first 2 shown]
	s_waitcnt vmcnt(58) lgkmcnt(0)
	v_mul_f64 v[165:166], v[1:2], v[109:110]
	v_mul_f64 v[109:110], v[3:4], v[109:110]
	s_waitcnt vmcnt(56)
	v_fma_f64 v[105:106], v[97:98], v[111:112], -v[105:106]
	ds_read_b128 v[155:158], v154 offset:960
	v_fma_f64 v[111:112], v[99:100], v[111:112], v[183:184]
	v_add_f64 v[159:160], v[159:160], v[163:164]
	v_add_f64 v[101:102], v[101:102], v[117:118]
	s_clause 0x4
	buffer_load_dword v118, off, s[0:3], 0 offset:476
	buffer_load_dword v163, off, s[0:3], 0 offset:488
	;; [unrolled: 1-line block ×5, first 2 shown]
	ds_read_b128 v[97:100], v154 offset:976
	s_waitcnt vmcnt(57) lgkmcnt(1)
	v_mul_f64 v[184:185], v[155:156], v[113:114]
	v_mul_f64 v[113:114], v[157:158], v[113:114]
	s_waitcnt vmcnt(56)
	v_fma_f64 v[109:110], v[1:2], v[103:104], -v[109:110]
	v_fma_f64 v[103:104], v[3:4], v[103:104], v[165:166]
	v_add_f64 v[105:106], v[159:160], v[105:106]
	v_add_f64 v[101:102], v[101:102], v[111:112]
	s_clause 0x2
	buffer_load_dword v164, off, s[0:3], 0 offset:492
	buffer_load_dword v112, off, s[0:3], 0 offset:468
	;; [unrolled: 1-line block ×3, first 2 shown]
	s_waitcnt vmcnt(58) lgkmcnt(0)
	v_mul_f64 v[159:160], v[97:98], v[119:120]
	v_mul_f64 v[119:120], v[99:100], v[119:120]
	s_waitcnt vmcnt(56)
	v_fma_f64 v[113:114], v[155:156], v[121:122], -v[113:114]
	ds_read_b128 v[1:4], v154 offset:992
	v_add_f64 v[105:106], v[105:106], v[109:110]
	v_fma_f64 v[109:110], v[157:158], v[121:122], v[184:185]
	v_add_f64 v[121:122], v[101:102], v[103:104]
	s_clause 0x4
	buffer_load_dword v156, off, s[0:3], 0 offset:508
	buffer_load_dword v157, off, s[0:3], 0 offset:520
	;; [unrolled: 1-line block ×5, first 2 shown]
	ds_read_b128 v[101:104], v154 offset:1008
	s_waitcnt vmcnt(57) lgkmcnt(1)
	v_mul_f64 v[184:185], v[1:2], v[123:124]
	v_mul_f64 v[123:124], v[3:4], v[123:124]
	s_waitcnt vmcnt(56)
	v_fma_f64 v[119:120], v[97:98], v[107:108], -v[119:120]
	v_fma_f64 v[107:108], v[99:100], v[107:108], v[159:160]
	v_add_f64 v[105:106], v[105:106], v[113:114]
	s_clause 0x2
	buffer_load_dword v158, off, s[0:3], 0 offset:524
	buffer_load_dword v114, off, s[0:3], 0 offset:500
	;; [unrolled: 1-line block ×3, first 2 shown]
	v_add_f64 v[109:110], v[121:122], v[109:110]
	s_waitcnt vmcnt(58) lgkmcnt(0)
	v_mul_f64 v[121:122], v[101:102], v[127:128]
	v_mul_f64 v[127:128], v[103:104], v[127:128]
	ds_read_b128 v[97:100], v154 offset:1024
	s_waitcnt vmcnt(56)
	v_fma_f64 v[123:124], v[1:2], v[129:130], -v[123:124]
	v_add_f64 v[105:106], v[105:106], v[119:120]
	v_fma_f64 v[119:120], v[3:4], v[129:130], v[184:185]
	v_add_f64 v[107:108], v[109:110], v[107:108]
	s_clause 0x4
	buffer_load_dword v110, off, s[0:3], 0 offset:540
	buffer_load_dword v129, off, s[0:3], 0 offset:552
	buffer_load_dword v159, off, s[0:3], 0 offset:544
	buffer_load_dword v109, off, s[0:3], 0 offset:536
	buffer_load_dword v166, off, s[0:3], 0 offset:516
	s_waitcnt vmcnt(57) lgkmcnt(0)
	v_mul_f64 v[184:185], v[97:98], v[131:132]
	v_mul_f64 v[131:132], v[99:100], v[131:132]
	s_waitcnt vmcnt(56)
	v_fma_f64 v[127:128], v[101:102], v[115:116], -v[127:128]
	ds_read_b128 v[1:4], v154 offset:1040
	v_fma_f64 v[115:116], v[103:104], v[115:116], v[121:122]
	v_add_f64 v[105:106], v[105:106], v[123:124]
	v_add_f64 v[107:108], v[107:108], v[119:120]
	s_clause 0x2
	buffer_load_dword v130, off, s[0:3], 0 offset:556
	buffer_load_dword v120, off, s[0:3], 0 offset:532
	;; [unrolled: 1-line block ×3, first 2 shown]
	ds_read_b128 v[101:104], v154 offset:1056
	s_waitcnt vmcnt(58) lgkmcnt(1)
	v_mul_f64 v[123:124], v[3:4], v[135:136]
	s_waitcnt vmcnt(56)
	v_fma_f64 v[131:132], v[97:98], v[137:138], -v[131:132]
	v_mul_f64 v[121:122], v[1:2], v[135:136]
	v_add_f64 v[105:106], v[105:106], v[127:128]
	v_fma_f64 v[127:128], v[99:100], v[137:138], v[184:185]
	v_add_f64 v[107:108], v[107:108], v[115:116]
	s_clause 0x4
	buffer_load_dword v116, off, s[0:3], 0 offset:572
	buffer_load_dword v135, off, s[0:3], 0 offset:584
	;; [unrolled: 1-line block ×5, first 2 shown]
	s_waitcnt vmcnt(57) lgkmcnt(0)
	v_mul_f64 v[184:185], v[101:102], v[139:140]
	v_mul_f64 v[138:139], v[103:104], v[139:140]
	s_waitcnt vmcnt(56)
	v_fma_f64 v[123:124], v[1:2], v[125:126], -v[123:124]
	ds_read_b128 v[97:100], v154 offset:1072
	v_fma_f64 v[121:122], v[3:4], v[125:126], v[121:122]
	s_clause 0x2
	buffer_load_dword v136, off, s[0:3], 0 offset:588
	buffer_load_dword v126, off, s[0:3], 0 offset:564
	;; [unrolled: 1-line block ×3, first 2 shown]
	ds_read_b128 v[1:4], v154 offset:1088
	v_add_f64 v[105:106], v[105:106], v[131:132]
	v_add_f64 v[107:108], v[107:108], v[127:128]
	s_waitcnt vmcnt(58) lgkmcnt(1)
	v_mul_f64 v[131:132], v[99:100], v[143:144]
	s_waitcnt vmcnt(56)
	v_fma_f64 v[139:140], v[101:102], v[145:146], -v[138:139]
	v_mul_f64 v[127:128], v[97:98], v[143:144]
	v_add_f64 v[105:106], v[105:106], v[123:124]
	v_fma_f64 v[123:124], v[103:104], v[145:146], v[184:185]
	v_add_f64 v[107:108], v[107:108], v[121:122]
	s_clause 0x4
	buffer_load_dword v122, off, s[0:3], 0 offset:604
	buffer_load_dword v143, off, s[0:3], 0 offset:616
	buffer_load_dword v145, off, s[0:3], 0 offset:608
	buffer_load_dword v121, off, s[0:3], 0 offset:600
	buffer_load_dword v138, off, s[0:3], 0 offset:580
	s_waitcnt vmcnt(57) lgkmcnt(0)
	v_mul_f64 v[184:185], v[1:2], v[147:148]
	v_mul_f64 v[146:147], v[3:4], v[147:148]
	s_waitcnt vmcnt(56)
	v_fma_f64 v[131:132], v[97:98], v[133:134], -v[131:132]
	ds_read_b128 v[101:104], v154 offset:1104
	v_fma_f64 v[127:128], v[99:100], v[133:134], v[127:128]
	v_add_f64 v[105:106], v[105:106], v[139:140]
	v_add_f64 v[107:108], v[107:108], v[123:124]
	s_clause 0x2
	buffer_load_dword v144, off, s[0:3], 0 offset:620
	buffer_load_dword v124, off, s[0:3], 0 offset:596
	;; [unrolled: 1-line block ×3, first 2 shown]
	ds_read_b128 v[97:100], v154 offset:1120
	s_waitcnt vmcnt(58) lgkmcnt(1)
	v_mul_f64 v[139:140], v[103:104], v[149:150]
	s_waitcnt vmcnt(56)
	v_fma_f64 v[147:148], v[1:2], v[151:152], -v[146:147]
	v_mul_f64 v[133:134], v[101:102], v[149:150]
	v_add_f64 v[105:106], v[105:106], v[131:132]
	v_fma_f64 v[131:132], v[3:4], v[151:152], v[184:185]
	v_add_f64 v[107:108], v[107:108], v[127:128]
	s_clause 0x4
	buffer_load_dword v128, off, s[0:3], 0 offset:636
	buffer_load_dword v149, off, s[0:3], 0 offset:648
	buffer_load_dword v151, off, s[0:3], 0 offset:640
	buffer_load_dword v127, off, s[0:3], 0 offset:632
	buffer_load_dword v146, off, s[0:3], 0 offset:612
	s_waitcnt vmcnt(57) lgkmcnt(0)
	v_mul_f64 v[184:185], v[97:98], v[169:170]
	v_mul_f64 v[169:170], v[99:100], v[169:170]
	s_waitcnt vmcnt(56)
	v_fma_f64 v[139:140], v[101:102], v[141:142], -v[139:140]
	ds_read_b128 v[1:4], v154 offset:1136
	v_fma_f64 v[133:134], v[103:104], v[141:142], v[133:134]
	v_add_f64 v[105:106], v[105:106], v[147:148]
	v_add_f64 v[107:108], v[107:108], v[131:132]
	s_clause 0x2
	buffer_load_dword v150, off, s[0:3], 0 offset:652
	buffer_load_dword v132, off, s[0:3], 0 offset:628
	;; [unrolled: 1-line block ×3, first 2 shown]
	ds_read_b128 v[101:104], v154 offset:1152
	s_waitcnt vmcnt(58) lgkmcnt(1)
	v_mul_f64 v[147:148], v[3:4], v[171:172]
	s_waitcnt vmcnt(56)
	v_fma_f64 v[169:170], v[97:98], v[176:177], -v[169:170]
	v_mul_f64 v[141:142], v[1:2], v[171:172]
	v_add_f64 v[105:106], v[105:106], v[139:140]
	v_fma_f64 v[139:140], v[99:100], v[176:177], v[184:185]
	v_add_f64 v[107:108], v[107:108], v[133:134]
	s_clause 0x4
	buffer_load_dword v134, off, s[0:3], 0 offset:668
	buffer_load_dword v171, off, s[0:3], 0 offset:680
	;; [unrolled: 1-line block ×5, first 2 shown]
	ds_read_b128 v[97:100], v154 offset:1168
	s_waitcnt vmcnt(57) lgkmcnt(1)
	v_mul_f64 v[176:177], v[101:102], v[167:168]
	v_mul_f64 v[167:168], v[103:104], v[167:168]
	s_waitcnt vmcnt(56)
	v_fma_f64 v[147:148], v[1:2], v[173:174], -v[147:148]
	v_fma_f64 v[141:142], v[3:4], v[173:174], v[141:142]
	v_add_f64 v[105:106], v[105:106], v[169:170]
	v_add_f64 v[107:108], v[107:108], v[139:140]
	s_clause 0x2
	buffer_load_dword v172, off, s[0:3], 0 offset:684
	buffer_load_dword v140, off, s[0:3], 0 offset:660
	;; [unrolled: 1-line block ×3, first 2 shown]
	ds_read_b128 v[1:4], v154 offset:1184
	s_waitcnt vmcnt(58) lgkmcnt(1)
	v_mul_f64 v[173:174], v[99:100], v[180:181]
	v_mul_f64 v[169:170], v[97:98], v[180:181]
	s_waitcnt vmcnt(56)
	v_fma_f64 v[167:168], v[101:102], v[161:162], -v[167:168]
	v_add_f64 v[105:106], v[105:106], v[147:148]
	v_fma_f64 v[147:148], v[103:104], v[161:162], v[176:177]
	v_add_f64 v[107:108], v[107:108], v[141:142]
	s_clause 0x4
	buffer_load_dword v142, off, s[0:3], 0 offset:700
	buffer_load_dword v161, off, s[0:3], 0 offset:712
	;; [unrolled: 1-line block ×5, first 2 shown]
	ds_read_b128 v[101:104], v154 offset:1200
	s_waitcnt vmcnt(57) lgkmcnt(1)
	v_mul_f64 v[184:185], v[1:2], v[117:118]
	v_mul_f64 v[117:118], v[3:4], v[117:118]
	s_waitcnt vmcnt(56)
	v_fma_f64 v[173:174], v[97:98], v[182:183], -v[173:174]
	v_add_f64 v[105:106], v[105:106], v[167:168]
	v_fma_f64 v[167:168], v[99:100], v[182:183], v[169:170]
	v_add_f64 v[107:108], v[107:108], v[147:148]
	s_clause 0x2
	buffer_load_dword v162, off, s[0:3], 0 offset:716
	buffer_load_dword v148, off, s[0:3], 0 offset:692
	;; [unrolled: 1-line block ×3, first 2 shown]
	ds_read_b128 v[97:100], v154 offset:1216
	s_waitcnt vmcnt(58) lgkmcnt(1)
	v_mul_f64 v[169:170], v[101:102], v[163:164]
	v_mul_f64 v[163:164], v[103:104], v[163:164]
	s_waitcnt vmcnt(56)
	v_fma_f64 v[117:118], v[1:2], v[111:112], -v[117:118]
	v_fma_f64 v[111:112], v[3:4], v[111:112], v[184:185]
	v_add_f64 v[105:106], v[105:106], v[173:174]
	v_add_f64 v[107:108], v[107:108], v[167:168]
	s_clause 0x4
	buffer_load_dword v168, off, s[0:3], 0 offset:732
	buffer_load_dword v173, off, s[0:3], 0 offset:744
	;; [unrolled: 1-line block ×5, first 2 shown]
	ds_read_b128 v[1:4], v154 offset:1232
	s_waitcnt vmcnt(57) lgkmcnt(1)
	v_mul_f64 v[182:183], v[97:98], v[155:156]
	v_mul_f64 v[155:156], v[99:100], v[155:156]
	s_waitcnt vmcnt(56)
	v_fma_f64 v[163:164], v[101:102], v[178:179], -v[163:164]
	v_add_f64 v[105:106], v[105:106], v[117:118]
	v_fma_f64 v[117:118], v[103:104], v[178:179], v[169:170]
	v_add_f64 v[107:108], v[107:108], v[111:112]
	s_clause 0x2
	buffer_load_dword v174, off, s[0:3], 0 offset:748
	buffer_load_dword v112, off, s[0:3], 0 offset:724
	buffer_load_dword v111, off, s[0:3], 0 offset:720
	ds_read_b128 v[101:104], v154 offset:1248
	buffer_load_dword v178, off, s[0:3], 0 offset:740
	s_waitcnt vmcnt(59) lgkmcnt(1)
	v_mul_f64 v[169:170], v[1:2], v[157:158]
	v_mul_f64 v[157:158], v[3:4], v[157:158]
	s_waitcnt vmcnt(57)
	v_fma_f64 v[155:156], v[97:98], v[113:114], -v[155:156]
	v_fma_f64 v[113:114], v[99:100], v[113:114], v[182:183]
	ds_read_b128 v[97:100], v154 offset:1264
	v_add_f64 v[105:106], v[105:106], v[163:164]
	v_add_f64 v[107:108], v[107:108], v[117:118]
	s_waitcnt vmcnt(53) lgkmcnt(1)
	v_mul_f64 v[117:118], v[101:102], v[109:110]
	v_mul_f64 v[109:110], v[103:104], v[109:110]
	s_waitcnt vmcnt(52)
	v_fma_f64 v[157:158], v[1:2], v[165:166], -v[157:158]
	v_add_f64 v[105:106], v[105:106], v[155:156]
	v_fma_f64 v[155:156], v[3:4], v[165:166], v[169:170]
	v_add_f64 v[107:108], v[107:108], v[113:114]
	ds_read_b128 v[1:4], v154 offset:1280
	s_waitcnt vmcnt(51) lgkmcnt(1)
	v_mul_f64 v[113:114], v[97:98], v[129:130]
	v_mul_f64 v[129:130], v[99:100], v[129:130]
	s_waitcnt vmcnt(49)
	v_fma_f64 v[109:110], v[101:102], v[119:120], -v[109:110]
	v_fma_f64 v[117:118], v[103:104], v[119:120], v[117:118]
	v_add_f64 v[105:106], v[105:106], v[157:158]
	v_add_f64 v[107:108], v[107:108], v[155:156]
	s_clause 0x3
	buffer_load_dword v119, off, s[0:3], 0 offset:144
	buffer_load_dword v120, off, s[0:3], 0 offset:148
	;; [unrolled: 1-line block ×4, first 2 shown]
	ds_read_b128 v[101:104], v154 offset:1296
	s_waitcnt vmcnt(49) lgkmcnt(1)
	v_mul_f64 v[157:158], v[1:2], v[115:116]
	v_mul_f64 v[115:116], v[3:4], v[115:116]
	s_waitcnt vmcnt(48)
	v_fma_f64 v[129:130], v[97:98], v[159:160], -v[129:130]
	v_add_f64 v[105:106], v[105:106], v[109:110]
	v_fma_f64 v[109:110], v[99:100], v[159:160], v[113:114]
	v_add_f64 v[107:108], v[107:108], v[117:118]
	ds_read_b128 v[97:100], v154 offset:1312
	s_waitcnt vmcnt(47) lgkmcnt(1)
	v_mul_f64 v[117:118], v[103:104], v[135:136]
	v_mul_f64 v[113:114], v[101:102], v[135:136]
	s_waitcnt vmcnt(45)
	v_fma_f64 v[115:116], v[1:2], v[125:126], -v[115:116]
	v_fma_f64 v[125:126], v[3:4], v[125:126], v[157:158]
	ds_read_b128 v[1:4], v154 offset:1328
	v_add_f64 v[105:106], v[105:106], v[129:130]
	v_add_f64 v[107:108], v[107:108], v[109:110]
	s_waitcnt vmcnt(41) lgkmcnt(1)
	v_mul_f64 v[109:110], v[97:98], v[121:122]
	v_mul_f64 v[121:122], v[99:100], v[121:122]
	s_waitcnt vmcnt(40)
	v_fma_f64 v[117:118], v[101:102], v[137:138], -v[117:118]
	v_fma_f64 v[113:114], v[103:104], v[137:138], v[113:114]
	ds_read_b128 v[101:104], v154 offset:1344
	v_add_f64 v[105:106], v[105:106], v[115:116]
	v_add_f64 v[107:108], v[107:108], v[125:126]
	;; [unrolled: 9-line block ×3, first 2 shown]
	s_waitcnt vmcnt(33) lgkmcnt(1)
	v_mul_f64 v[117:118], v[103:104], v[127:128]
	s_waitcnt vmcnt(32)
	v_fma_f64 v[123:124], v[1:2], v[145:146], -v[125:126]
	v_mul_f64 v[113:114], v[101:102], v[127:128]
	v_fma_f64 v[115:116], v[3:4], v[145:146], v[115:116]
	ds_read_b128 v[1:4], v154 offset:1376
	v_add_f64 v[105:106], v[105:106], v[121:122]
	v_add_f64 v[107:108], v[107:108], v[109:110]
	s_waitcnt vmcnt(31) lgkmcnt(1)
	v_mul_f64 v[121:122], v[99:100], v[149:150]
	v_mul_f64 v[109:110], v[97:98], v[149:150]
	s_waitcnt vmcnt(29)
	v_fma_f64 v[117:118], v[101:102], v[131:132], -v[117:118]
	v_fma_f64 v[113:114], v[103:104], v[131:132], v[113:114]
	ds_read_b128 v[101:104], v154 offset:1392
	v_add_f64 v[105:106], v[105:106], v[123:124]
	v_add_f64 v[107:108], v[107:108], v[115:116]
	s_waitcnt vmcnt(25) lgkmcnt(1)
	v_mul_f64 v[123:124], v[3:4], v[133:134]
	s_waitcnt vmcnt(24)
	v_fma_f64 v[121:122], v[97:98], v[151:152], -v[121:122]
	v_mul_f64 v[115:116], v[1:2], v[133:134]
	v_fma_f64 v[109:110], v[99:100], v[151:152], v[109:110]
	ds_read_b128 v[97:100], v154 offset:1408
	v_add_f64 v[105:106], v[105:106], v[117:118]
	v_add_f64 v[107:108], v[107:108], v[113:114]
	s_waitcnt vmcnt(23) lgkmcnt(1)
	v_mul_f64 v[117:118], v[103:104], v[171:172]
	v_mul_f64 v[113:114], v[101:102], v[171:172]
	s_waitcnt vmcnt(21)
	v_fma_f64 v[123:124], v[1:2], v[139:140], -v[123:124]
	v_fma_f64 v[115:116], v[3:4], v[139:140], v[115:116]
	ds_read_b128 v[1:4], v154 offset:1424
	v_add_f64 v[105:106], v[105:106], v[121:122]
	v_add_f64 v[107:108], v[107:108], v[109:110]
	s_waitcnt vmcnt(17) lgkmcnt(1)
	v_mul_f64 v[121:122], v[99:100], v[141:142]
	s_waitcnt vmcnt(16)
	v_fma_f64 v[117:118], v[101:102], v[175:176], -v[117:118]
	v_mul_f64 v[109:110], v[97:98], v[141:142]
	v_fma_f64 v[113:114], v[103:104], v[175:176], v[113:114]
	ds_read_b128 v[101:104], v154 offset:1440
	v_add_f64 v[105:106], v[105:106], v[123:124]
	v_add_f64 v[107:108], v[107:108], v[115:116]
	s_waitcnt vmcnt(15) lgkmcnt(1)
	v_mul_f64 v[123:124], v[3:4], v[161:162]
	v_mul_f64 v[115:116], v[1:2], v[161:162]
	s_waitcnt vmcnt(13)
	v_fma_f64 v[121:122], v[97:98], v[147:148], -v[121:122]
	v_fma_f64 v[109:110], v[99:100], v[147:148], v[109:110]
	ds_read_b128 v[97:100], v154 offset:1456
	v_add_f64 v[105:106], v[105:106], v[117:118]
	v_add_f64 v[107:108], v[107:108], v[113:114]
	s_waitcnt vmcnt(9) lgkmcnt(1)
	v_mul_f64 v[117:118], v[103:104], v[167:168]
	s_waitcnt vmcnt(8)
	v_fma_f64 v[1:2], v[1:2], v[180:181], -v[123:124]
	v_mul_f64 v[113:114], v[101:102], v[167:168]
	v_fma_f64 v[3:4], v[3:4], v[180:181], v[115:116]
	v_add_f64 v[105:106], v[105:106], v[121:122]
	v_add_f64 v[107:108], v[107:108], v[109:110]
	s_waitcnt vmcnt(7) lgkmcnt(0)
	v_mul_f64 v[115:116], v[99:100], v[173:174]
	v_mul_f64 v[109:110], v[97:98], v[173:174]
	s_waitcnt vmcnt(5)
	v_fma_f64 v[101:102], v[101:102], v[111:112], -v[117:118]
	v_fma_f64 v[103:104], v[103:104], v[111:112], v[113:114]
	v_add_f64 v[1:2], v[105:106], v[1:2]
	v_add_f64 v[3:4], v[107:108], v[3:4]
	s_waitcnt vmcnt(4)
	v_fma_f64 v[97:98], v[97:98], v[177:178], -v[115:116]
	v_fma_f64 v[99:100], v[99:100], v[177:178], v[109:110]
	v_add_f64 v[1:2], v[1:2], v[101:102]
	v_add_f64 v[3:4], v[3:4], v[103:104]
	;; [unrolled: 1-line block ×4, first 2 shown]
	s_waitcnt vmcnt(2)
	v_add_f64 v[1:2], v[119:120], -v[1:2]
	s_waitcnt vmcnt(0)
	v_add_f64 v[3:4], v[155:156], -v[3:4]
	buffer_store_dword v2, off, s[0:3], 0 offset:148
	buffer_store_dword v1, off, s[0:3], 0 offset:144
	;; [unrolled: 1-line block ×4, first 2 shown]
	v_cmpx_lt_u32_e32 7, v0
	s_cbranch_execz .LBB109_275
; %bb.274:
	v_mov_b32_e32 v4, s51
	s_clause 0x3
	buffer_load_dword v1, v4, s[0:3], 0 offen
	buffer_load_dword v2, v4, s[0:3], 0 offen offset:4
	buffer_load_dword v3, v4, s[0:3], 0 offen offset:8
	;; [unrolled: 1-line block ×3, first 2 shown]
	buffer_store_dword v154, off, s[0:3], 0 offset:128
	buffer_store_dword v154, off, s[0:3], 0 offset:132
	buffer_store_dword v154, off, s[0:3], 0 offset:136
	buffer_store_dword v154, off, s[0:3], 0 offset:140
	s_waitcnt vmcnt(0)
	ds_write_b128 v153, v[1:4]
.LBB109_275:
	s_or_b32 exec_lo, exec_lo, s4
	s_waitcnt lgkmcnt(0)
	s_waitcnt_vscnt null, 0x0
	s_barrier
	buffer_gl0_inv
	s_clause 0x37
	buffer_load_dword v101, off, s[0:3], 0 offset:152
	buffer_load_dword v102, off, s[0:3], 0 offset:156
	;; [unrolled: 1-line block ×56, first 2 shown]
	ds_read_b128 v[155:158], v154 offset:864
	s_clause 0x2
	buffer_load_dword v150, off, s[0:3], 0 offset:380
	buffer_load_dword v152, off, s[0:3], 0 offset:356
	;; [unrolled: 1-line block ×3, first 2 shown]
	ds_read_b128 v[159:162], v154 offset:880
	s_clause 0x4
	buffer_load_dword v170, off, s[0:3], 0 offset:396
	buffer_load_dword v171, off, s[0:3], 0 offset:408
	;; [unrolled: 1-line block ×5, first 2 shown]
	ds_read_b128 v[163:166], v154 offset:896
	s_clause 0x2
	buffer_load_dword v172, off, s[0:3], 0 offset:412
	buffer_load_dword v177, off, s[0:3], 0 offset:388
	;; [unrolled: 1-line block ×3, first 2 shown]
	s_mov_b32 s4, exec_lo
	s_waitcnt vmcnt(62) lgkmcnt(2)
	v_mul_f64 v[167:168], v[157:158], v[101:102]
	v_mul_f64 v[101:102], v[155:156], v[101:102]
	s_waitcnt lgkmcnt(1)
	v_mul_f64 v[174:175], v[161:162], v[97:98]
	s_waitcnt vmcnt(59) lgkmcnt(0)
	v_mul_f64 v[178:179], v[165:166], v[3:4]
	v_fma_f64 v[155:156], v[155:156], v[99:100], -v[167:168]
	v_mul_f64 v[167:168], v[159:160], v[97:98]
	v_fma_f64 v[101:102], v[157:158], v[99:100], v[101:102]
	s_waitcnt vmcnt(57)
	v_fma_f64 v[159:160], v[159:160], v[1:2], -v[174:175]
	ds_read_b128 v[97:100], v154 offset:912
	v_mul_f64 v[157:158], v[163:164], v[3:4]
	s_waitcnt vmcnt(51)
	v_fma_f64 v[163:164], v[163:164], v[117:118], -v[178:179]
	v_add_f64 v[155:156], v[155:156], 0
	v_fma_f64 v[161:162], v[161:162], v[1:2], v[167:168]
	v_add_f64 v[101:102], v[101:102], 0
	s_clause 0x4
	buffer_load_dword v168, off, s[0:3], 0 offset:428
	buffer_load_dword v180, off, s[0:3], 0 offset:440
	;; [unrolled: 1-line block ×5, first 2 shown]
	s_waitcnt lgkmcnt(0)
	v_mul_f64 v[183:184], v[97:98], v[105:106]
	v_mul_f64 v[105:106], v[99:100], v[105:106]
	ds_read_b128 v[1:4], v154 offset:928
	v_fma_f64 v[117:118], v[165:166], v[117:118], v[157:158]
	v_add_f64 v[159:160], v[155:156], v[159:160]
	v_add_f64 v[101:102], v[101:102], v[161:162]
	s_clause 0x2
	buffer_load_dword v181, off, s[0:3], 0 offset:444
	buffer_load_dword v162, off, s[0:3], 0 offset:420
	;; [unrolled: 1-line block ×3, first 2 shown]
	s_waitcnt vmcnt(58) lgkmcnt(0)
	v_mul_f64 v[165:166], v[1:2], v[109:110]
	v_mul_f64 v[109:110], v[3:4], v[109:110]
	s_waitcnt vmcnt(56)
	v_fma_f64 v[105:106], v[97:98], v[111:112], -v[105:106]
	ds_read_b128 v[155:158], v154 offset:944
	v_fma_f64 v[111:112], v[99:100], v[111:112], v[183:184]
	v_add_f64 v[159:160], v[159:160], v[163:164]
	v_add_f64 v[101:102], v[101:102], v[117:118]
	s_clause 0x4
	buffer_load_dword v118, off, s[0:3], 0 offset:460
	buffer_load_dword v163, off, s[0:3], 0 offset:472
	;; [unrolled: 1-line block ×5, first 2 shown]
	ds_read_b128 v[97:100], v154 offset:960
	s_waitcnt vmcnt(57) lgkmcnt(1)
	v_mul_f64 v[184:185], v[155:156], v[113:114]
	v_mul_f64 v[113:114], v[157:158], v[113:114]
	s_waitcnt vmcnt(56)
	v_fma_f64 v[109:110], v[1:2], v[103:104], -v[109:110]
	v_fma_f64 v[103:104], v[3:4], v[103:104], v[165:166]
	v_add_f64 v[105:106], v[159:160], v[105:106]
	v_add_f64 v[101:102], v[101:102], v[111:112]
	s_clause 0x2
	buffer_load_dword v164, off, s[0:3], 0 offset:476
	buffer_load_dword v112, off, s[0:3], 0 offset:452
	;; [unrolled: 1-line block ×3, first 2 shown]
	s_waitcnt vmcnt(58) lgkmcnt(0)
	v_mul_f64 v[159:160], v[97:98], v[119:120]
	v_mul_f64 v[119:120], v[99:100], v[119:120]
	s_waitcnt vmcnt(56)
	v_fma_f64 v[113:114], v[155:156], v[121:122], -v[113:114]
	ds_read_b128 v[1:4], v154 offset:976
	v_add_f64 v[105:106], v[105:106], v[109:110]
	v_fma_f64 v[109:110], v[157:158], v[121:122], v[184:185]
	v_add_f64 v[121:122], v[101:102], v[103:104]
	s_clause 0x4
	buffer_load_dword v156, off, s[0:3], 0 offset:492
	buffer_load_dword v157, off, s[0:3], 0 offset:504
	;; [unrolled: 1-line block ×5, first 2 shown]
	ds_read_b128 v[101:104], v154 offset:992
	s_waitcnt vmcnt(57) lgkmcnt(1)
	v_mul_f64 v[184:185], v[1:2], v[123:124]
	v_mul_f64 v[123:124], v[3:4], v[123:124]
	s_waitcnt vmcnt(56)
	v_fma_f64 v[119:120], v[97:98], v[107:108], -v[119:120]
	v_fma_f64 v[107:108], v[99:100], v[107:108], v[159:160]
	v_add_f64 v[105:106], v[105:106], v[113:114]
	s_clause 0x2
	buffer_load_dword v158, off, s[0:3], 0 offset:508
	buffer_load_dword v114, off, s[0:3], 0 offset:484
	;; [unrolled: 1-line block ×3, first 2 shown]
	v_add_f64 v[109:110], v[121:122], v[109:110]
	s_waitcnt vmcnt(58) lgkmcnt(0)
	v_mul_f64 v[121:122], v[101:102], v[127:128]
	v_mul_f64 v[127:128], v[103:104], v[127:128]
	ds_read_b128 v[97:100], v154 offset:1008
	s_waitcnt vmcnt(56)
	v_fma_f64 v[123:124], v[1:2], v[129:130], -v[123:124]
	v_add_f64 v[105:106], v[105:106], v[119:120]
	v_fma_f64 v[119:120], v[3:4], v[129:130], v[184:185]
	v_add_f64 v[107:108], v[109:110], v[107:108]
	s_clause 0x4
	buffer_load_dword v110, off, s[0:3], 0 offset:524
	buffer_load_dword v129, off, s[0:3], 0 offset:536
	;; [unrolled: 1-line block ×5, first 2 shown]
	s_waitcnt vmcnt(57) lgkmcnt(0)
	v_mul_f64 v[184:185], v[97:98], v[131:132]
	v_mul_f64 v[131:132], v[99:100], v[131:132]
	s_waitcnt vmcnt(56)
	v_fma_f64 v[127:128], v[101:102], v[115:116], -v[127:128]
	ds_read_b128 v[1:4], v154 offset:1024
	v_fma_f64 v[115:116], v[103:104], v[115:116], v[121:122]
	v_add_f64 v[105:106], v[105:106], v[123:124]
	v_add_f64 v[107:108], v[107:108], v[119:120]
	s_clause 0x2
	buffer_load_dword v130, off, s[0:3], 0 offset:540
	buffer_load_dword v120, off, s[0:3], 0 offset:516
	;; [unrolled: 1-line block ×3, first 2 shown]
	ds_read_b128 v[101:104], v154 offset:1040
	s_waitcnt vmcnt(58) lgkmcnt(1)
	v_mul_f64 v[123:124], v[3:4], v[135:136]
	s_waitcnt vmcnt(56)
	v_fma_f64 v[131:132], v[97:98], v[137:138], -v[131:132]
	v_mul_f64 v[121:122], v[1:2], v[135:136]
	v_add_f64 v[105:106], v[105:106], v[127:128]
	v_fma_f64 v[127:128], v[99:100], v[137:138], v[184:185]
	v_add_f64 v[107:108], v[107:108], v[115:116]
	s_clause 0x4
	buffer_load_dword v116, off, s[0:3], 0 offset:556
	buffer_load_dword v135, off, s[0:3], 0 offset:568
	;; [unrolled: 1-line block ×5, first 2 shown]
	s_waitcnt vmcnt(57) lgkmcnt(0)
	v_mul_f64 v[184:185], v[101:102], v[139:140]
	v_mul_f64 v[138:139], v[103:104], v[139:140]
	s_waitcnt vmcnt(56)
	v_fma_f64 v[123:124], v[1:2], v[125:126], -v[123:124]
	ds_read_b128 v[97:100], v154 offset:1056
	v_fma_f64 v[121:122], v[3:4], v[125:126], v[121:122]
	s_clause 0x2
	buffer_load_dword v136, off, s[0:3], 0 offset:572
	buffer_load_dword v126, off, s[0:3], 0 offset:548
	;; [unrolled: 1-line block ×3, first 2 shown]
	ds_read_b128 v[1:4], v154 offset:1072
	v_add_f64 v[105:106], v[105:106], v[131:132]
	v_add_f64 v[107:108], v[107:108], v[127:128]
	s_waitcnt vmcnt(58) lgkmcnt(1)
	v_mul_f64 v[131:132], v[99:100], v[143:144]
	s_waitcnt vmcnt(56)
	v_fma_f64 v[139:140], v[101:102], v[145:146], -v[138:139]
	v_mul_f64 v[127:128], v[97:98], v[143:144]
	v_add_f64 v[105:106], v[105:106], v[123:124]
	v_fma_f64 v[123:124], v[103:104], v[145:146], v[184:185]
	v_add_f64 v[107:108], v[107:108], v[121:122]
	s_clause 0x4
	buffer_load_dword v122, off, s[0:3], 0 offset:588
	buffer_load_dword v143, off, s[0:3], 0 offset:600
	;; [unrolled: 1-line block ×5, first 2 shown]
	s_waitcnt vmcnt(57) lgkmcnt(0)
	v_mul_f64 v[184:185], v[1:2], v[147:148]
	v_mul_f64 v[146:147], v[3:4], v[147:148]
	s_waitcnt vmcnt(56)
	v_fma_f64 v[131:132], v[97:98], v[133:134], -v[131:132]
	ds_read_b128 v[101:104], v154 offset:1088
	v_fma_f64 v[127:128], v[99:100], v[133:134], v[127:128]
	v_add_f64 v[105:106], v[105:106], v[139:140]
	v_add_f64 v[107:108], v[107:108], v[123:124]
	s_clause 0x2
	buffer_load_dword v144, off, s[0:3], 0 offset:604
	buffer_load_dword v124, off, s[0:3], 0 offset:580
	;; [unrolled: 1-line block ×3, first 2 shown]
	ds_read_b128 v[97:100], v154 offset:1104
	s_waitcnt vmcnt(58) lgkmcnt(1)
	v_mul_f64 v[139:140], v[103:104], v[149:150]
	s_waitcnt vmcnt(56)
	v_fma_f64 v[147:148], v[1:2], v[151:152], -v[146:147]
	v_mul_f64 v[133:134], v[101:102], v[149:150]
	v_add_f64 v[105:106], v[105:106], v[131:132]
	v_fma_f64 v[131:132], v[3:4], v[151:152], v[184:185]
	v_add_f64 v[107:108], v[107:108], v[127:128]
	s_clause 0x4
	buffer_load_dword v128, off, s[0:3], 0 offset:620
	buffer_load_dword v149, off, s[0:3], 0 offset:632
	;; [unrolled: 1-line block ×5, first 2 shown]
	s_waitcnt vmcnt(57) lgkmcnt(0)
	v_mul_f64 v[184:185], v[97:98], v[169:170]
	v_mul_f64 v[169:170], v[99:100], v[169:170]
	s_waitcnt vmcnt(56)
	v_fma_f64 v[139:140], v[101:102], v[141:142], -v[139:140]
	ds_read_b128 v[1:4], v154 offset:1120
	v_fma_f64 v[133:134], v[103:104], v[141:142], v[133:134]
	v_add_f64 v[105:106], v[105:106], v[147:148]
	v_add_f64 v[107:108], v[107:108], v[131:132]
	s_clause 0x2
	buffer_load_dword v150, off, s[0:3], 0 offset:636
	buffer_load_dword v132, off, s[0:3], 0 offset:612
	;; [unrolled: 1-line block ×3, first 2 shown]
	ds_read_b128 v[101:104], v154 offset:1136
	s_waitcnt vmcnt(58) lgkmcnt(1)
	v_mul_f64 v[147:148], v[3:4], v[171:172]
	s_waitcnt vmcnt(56)
	v_fma_f64 v[169:170], v[97:98], v[176:177], -v[169:170]
	v_mul_f64 v[141:142], v[1:2], v[171:172]
	v_add_f64 v[105:106], v[105:106], v[139:140]
	v_fma_f64 v[139:140], v[99:100], v[176:177], v[184:185]
	v_add_f64 v[107:108], v[107:108], v[133:134]
	s_clause 0x4
	buffer_load_dword v134, off, s[0:3], 0 offset:652
	buffer_load_dword v171, off, s[0:3], 0 offset:664
	;; [unrolled: 1-line block ×5, first 2 shown]
	ds_read_b128 v[97:100], v154 offset:1152
	s_waitcnt vmcnt(57) lgkmcnt(1)
	v_mul_f64 v[176:177], v[101:102], v[167:168]
	v_mul_f64 v[167:168], v[103:104], v[167:168]
	s_waitcnt vmcnt(56)
	v_fma_f64 v[147:148], v[1:2], v[173:174], -v[147:148]
	v_fma_f64 v[141:142], v[3:4], v[173:174], v[141:142]
	v_add_f64 v[105:106], v[105:106], v[169:170]
	v_add_f64 v[107:108], v[107:108], v[139:140]
	s_clause 0x2
	buffer_load_dword v172, off, s[0:3], 0 offset:668
	buffer_load_dword v140, off, s[0:3], 0 offset:644
	buffer_load_dword v139, off, s[0:3], 0 offset:640
	ds_read_b128 v[1:4], v154 offset:1168
	s_waitcnt vmcnt(58) lgkmcnt(1)
	v_mul_f64 v[173:174], v[99:100], v[180:181]
	v_mul_f64 v[169:170], v[97:98], v[180:181]
	s_waitcnt vmcnt(56)
	v_fma_f64 v[167:168], v[101:102], v[161:162], -v[167:168]
	v_add_f64 v[105:106], v[105:106], v[147:148]
	v_fma_f64 v[147:148], v[103:104], v[161:162], v[176:177]
	v_add_f64 v[107:108], v[107:108], v[141:142]
	s_clause 0x4
	buffer_load_dword v142, off, s[0:3], 0 offset:684
	buffer_load_dword v161, off, s[0:3], 0 offset:696
	;; [unrolled: 1-line block ×5, first 2 shown]
	ds_read_b128 v[101:104], v154 offset:1184
	s_waitcnt vmcnt(57) lgkmcnt(1)
	v_mul_f64 v[184:185], v[1:2], v[117:118]
	v_mul_f64 v[117:118], v[3:4], v[117:118]
	s_waitcnt vmcnt(56)
	v_fma_f64 v[173:174], v[97:98], v[182:183], -v[173:174]
	v_add_f64 v[105:106], v[105:106], v[167:168]
	v_fma_f64 v[167:168], v[99:100], v[182:183], v[169:170]
	v_add_f64 v[107:108], v[107:108], v[147:148]
	s_clause 0x2
	buffer_load_dword v162, off, s[0:3], 0 offset:700
	buffer_load_dword v148, off, s[0:3], 0 offset:676
	;; [unrolled: 1-line block ×3, first 2 shown]
	ds_read_b128 v[97:100], v154 offset:1200
	s_waitcnt vmcnt(58) lgkmcnt(1)
	v_mul_f64 v[169:170], v[101:102], v[163:164]
	v_mul_f64 v[163:164], v[103:104], v[163:164]
	s_waitcnt vmcnt(56)
	v_fma_f64 v[117:118], v[1:2], v[111:112], -v[117:118]
	v_fma_f64 v[111:112], v[3:4], v[111:112], v[184:185]
	v_add_f64 v[105:106], v[105:106], v[173:174]
	v_add_f64 v[107:108], v[107:108], v[167:168]
	s_clause 0x4
	buffer_load_dword v168, off, s[0:3], 0 offset:716
	buffer_load_dword v173, off, s[0:3], 0 offset:728
	;; [unrolled: 1-line block ×5, first 2 shown]
	ds_read_b128 v[1:4], v154 offset:1216
	s_waitcnt vmcnt(57) lgkmcnt(1)
	v_mul_f64 v[182:183], v[97:98], v[155:156]
	v_mul_f64 v[155:156], v[99:100], v[155:156]
	s_waitcnt vmcnt(56)
	v_fma_f64 v[163:164], v[101:102], v[178:179], -v[163:164]
	v_add_f64 v[105:106], v[105:106], v[117:118]
	v_fma_f64 v[117:118], v[103:104], v[178:179], v[169:170]
	v_add_f64 v[107:108], v[107:108], v[111:112]
	s_clause 0x2
	buffer_load_dword v174, off, s[0:3], 0 offset:732
	buffer_load_dword v112, off, s[0:3], 0 offset:708
	;; [unrolled: 1-line block ×3, first 2 shown]
	ds_read_b128 v[101:104], v154 offset:1232
	s_waitcnt vmcnt(58) lgkmcnt(1)
	v_mul_f64 v[169:170], v[1:2], v[157:158]
	v_mul_f64 v[157:158], v[3:4], v[157:158]
	s_waitcnt vmcnt(56)
	v_fma_f64 v[155:156], v[97:98], v[113:114], -v[155:156]
	v_fma_f64 v[113:114], v[99:100], v[113:114], v[182:183]
	v_add_f64 v[105:106], v[105:106], v[163:164]
	v_add_f64 v[107:108], v[107:108], v[117:118]
	s_clause 0x2
	buffer_load_dword v118, off, s[0:3], 0 offset:748
	buffer_load_dword v117, off, s[0:3], 0 offset:744
	;; [unrolled: 1-line block ×3, first 2 shown]
	ds_read_b128 v[97:100], v154 offset:1248
	s_waitcnt vmcnt(55) lgkmcnt(1)
	v_mul_f64 v[163:164], v[101:102], v[109:110]
	v_mul_f64 v[109:110], v[103:104], v[109:110]
	s_waitcnt vmcnt(54)
	v_fma_f64 v[157:158], v[1:2], v[165:166], -v[157:158]
	v_add_f64 v[105:106], v[105:106], v[155:156]
	v_fma_f64 v[155:156], v[3:4], v[165:166], v[169:170]
	v_add_f64 v[107:108], v[107:108], v[113:114]
	s_clause 0x1
	buffer_load_dword v114, off, s[0:3], 0 offset:740
	buffer_load_dword v113, off, s[0:3], 0 offset:736
	ds_read_b128 v[1:4], v154 offset:1264
	s_waitcnt vmcnt(55) lgkmcnt(1)
	v_mul_f64 v[165:166], v[97:98], v[129:130]
	v_mul_f64 v[129:130], v[99:100], v[129:130]
	s_waitcnt vmcnt(53)
	v_fma_f64 v[109:110], v[101:102], v[119:120], -v[109:110]
	v_fma_f64 v[119:120], v[103:104], v[119:120], v[163:164]
	ds_read_b128 v[101:104], v154 offset:1280
	v_add_f64 v[105:106], v[105:106], v[157:158]
	v_add_f64 v[107:108], v[107:108], v[155:156]
	s_waitcnt vmcnt(49) lgkmcnt(1)
	v_mul_f64 v[155:156], v[1:2], v[115:116]
	v_mul_f64 v[115:116], v[3:4], v[115:116]
	s_waitcnt vmcnt(48)
	v_fma_f64 v[129:130], v[97:98], v[159:160], -v[129:130]
	v_add_f64 v[105:106], v[105:106], v[109:110]
	v_fma_f64 v[109:110], v[99:100], v[159:160], v[165:166]
	v_add_f64 v[107:108], v[107:108], v[119:120]
	s_clause 0x3
	buffer_load_dword v119, off, s[0:3], 0 offset:128
	buffer_load_dword v120, off, s[0:3], 0 offset:132
	;; [unrolled: 1-line block ×4, first 2 shown]
	s_waitcnt vmcnt(51) lgkmcnt(0)
	v_mul_f64 v[159:160], v[101:102], v[135:136]
	v_mul_f64 v[135:136], v[103:104], v[135:136]
	ds_read_b128 v[97:100], v154 offset:1296
	s_waitcnt vmcnt(49)
	v_fma_f64 v[115:116], v[1:2], v[125:126], -v[115:116]
	v_fma_f64 v[125:126], v[3:4], v[125:126], v[155:156]
	ds_read_b128 v[1:4], v154 offset:1312
	v_add_f64 v[105:106], v[105:106], v[129:130]
	v_add_f64 v[107:108], v[107:108], v[109:110]
	s_waitcnt vmcnt(45) lgkmcnt(1)
	v_mul_f64 v[109:110], v[97:98], v[121:122]
	v_mul_f64 v[121:122], v[99:100], v[121:122]
	s_waitcnt vmcnt(44)
	v_fma_f64 v[129:130], v[101:102], v[137:138], -v[135:136]
	v_add_f64 v[105:106], v[105:106], v[115:116]
	v_fma_f64 v[115:116], v[103:104], v[137:138], v[159:160]
	v_add_f64 v[107:108], v[107:108], v[125:126]
	ds_read_b128 v[101:104], v154 offset:1328
	s_waitcnt vmcnt(43) lgkmcnt(1)
	v_mul_f64 v[135:136], v[3:4], v[143:144]
	v_mul_f64 v[125:126], v[1:2], v[143:144]
	s_waitcnt vmcnt(41)
	v_fma_f64 v[121:122], v[97:98], v[123:124], -v[121:122]
	v_fma_f64 v[109:110], v[99:100], v[123:124], v[109:110]
	ds_read_b128 v[97:100], v154 offset:1344
	v_add_f64 v[105:106], v[105:106], v[129:130]
	v_add_f64 v[107:108], v[107:108], v[115:116]
	s_waitcnt vmcnt(37) lgkmcnt(1)
	v_mul_f64 v[115:116], v[101:102], v[127:128]
	v_mul_f64 v[123:124], v[103:104], v[127:128]
	s_waitcnt vmcnt(36)
	v_fma_f64 v[127:128], v[1:2], v[145:146], -v[135:136]
	v_add_f64 v[105:106], v[105:106], v[121:122]
	v_fma_f64 v[121:122], v[3:4], v[145:146], v[125:126]
	v_add_f64 v[107:108], v[107:108], v[109:110]
	ds_read_b128 v[1:4], v154 offset:1360
	s_waitcnt vmcnt(35) lgkmcnt(1)
	v_mul_f64 v[125:126], v[99:100], v[149:150]
	v_mul_f64 v[109:110], v[97:98], v[149:150]
	s_waitcnt vmcnt(33)
	v_fma_f64 v[123:124], v[101:102], v[131:132], -v[123:124]
	v_fma_f64 v[115:116], v[103:104], v[131:132], v[115:116]
	ds_read_b128 v[101:104], v154 offset:1376
	v_add_f64 v[105:106], v[105:106], v[127:128]
	v_add_f64 v[107:108], v[107:108], v[121:122]
	s_waitcnt vmcnt(29) lgkmcnt(1)
	v_mul_f64 v[127:128], v[3:4], v[133:134]
	s_waitcnt vmcnt(28)
	v_fma_f64 v[125:126], v[97:98], v[151:152], -v[125:126]
	v_mul_f64 v[121:122], v[1:2], v[133:134]
	v_fma_f64 v[109:110], v[99:100], v[151:152], v[109:110]
	ds_read_b128 v[97:100], v154 offset:1392
	v_add_f64 v[105:106], v[105:106], v[123:124]
	v_add_f64 v[107:108], v[107:108], v[115:116]
	s_waitcnt vmcnt(27) lgkmcnt(1)
	v_mul_f64 v[123:124], v[103:104], v[171:172]
	v_mul_f64 v[115:116], v[101:102], v[171:172]
	s_waitcnt vmcnt(25)
	v_fma_f64 v[127:128], v[1:2], v[139:140], -v[127:128]
	v_fma_f64 v[121:122], v[3:4], v[139:140], v[121:122]
	ds_read_b128 v[1:4], v154 offset:1408
	v_add_f64 v[105:106], v[105:106], v[125:126]
	v_add_f64 v[107:108], v[107:108], v[109:110]
	s_waitcnt vmcnt(21) lgkmcnt(1)
	v_mul_f64 v[125:126], v[99:100], v[141:142]
	s_waitcnt vmcnt(20)
	v_fma_f64 v[123:124], v[101:102], v[175:176], -v[123:124]
	v_mul_f64 v[109:110], v[97:98], v[141:142]
	v_fma_f64 v[115:116], v[103:104], v[175:176], v[115:116]
	ds_read_b128 v[101:104], v154 offset:1424
	v_add_f64 v[105:106], v[105:106], v[127:128]
	v_add_f64 v[107:108], v[107:108], v[121:122]
	;; [unrolled: 18-line block ×3, first 2 shown]
	s_waitcnt vmcnt(11) lgkmcnt(1)
	v_mul_f64 v[125:126], v[99:100], v[173:174]
	v_mul_f64 v[109:110], v[97:98], v[173:174]
	s_waitcnt vmcnt(9)
	v_fma_f64 v[101:102], v[101:102], v[111:112], -v[123:124]
	v_fma_f64 v[103:104], v[103:104], v[111:112], v[115:116]
	v_add_f64 v[105:106], v[105:106], v[127:128]
	v_add_f64 v[107:108], v[107:108], v[121:122]
	s_waitcnt vmcnt(7) lgkmcnt(0)
	v_mul_f64 v[115:116], v[3:4], v[117:118]
	s_waitcnt vmcnt(6)
	v_fma_f64 v[97:98], v[97:98], v[177:178], -v[125:126]
	v_mul_f64 v[111:112], v[1:2], v[117:118]
	v_fma_f64 v[99:100], v[99:100], v[177:178], v[109:110]
	v_add_f64 v[101:102], v[105:106], v[101:102]
	v_add_f64 v[103:104], v[107:108], v[103:104]
	s_waitcnt vmcnt(4)
	v_fma_f64 v[1:2], v[1:2], v[113:114], -v[115:116]
	v_fma_f64 v[3:4], v[3:4], v[113:114], v[111:112]
	v_add_f64 v[97:98], v[101:102], v[97:98]
	v_add_f64 v[99:100], v[103:104], v[99:100]
	;; [unrolled: 1-line block ×4, first 2 shown]
	s_waitcnt vmcnt(2)
	v_add_f64 v[1:2], v[119:120], -v[1:2]
	s_waitcnt vmcnt(0)
	v_add_f64 v[3:4], v[157:158], -v[3:4]
	buffer_store_dword v2, off, s[0:3], 0 offset:132
	buffer_store_dword v1, off, s[0:3], 0 offset:128
	;; [unrolled: 1-line block ×4, first 2 shown]
	v_cmpx_lt_u32_e32 6, v0
	s_cbranch_execz .LBB109_277
; %bb.276:
	v_mov_b32_e32 v4, s52
	v_mov_b32_e32 v97, 0
	s_clause 0x3
	buffer_load_dword v1, v4, s[0:3], 0 offen
	buffer_load_dword v2, v4, s[0:3], 0 offen offset:4
	buffer_load_dword v3, v4, s[0:3], 0 offen offset:8
	buffer_load_dword v4, v4, s[0:3], 0 offen offset:12
	buffer_store_dword v97, off, s[0:3], 0 offset:112
	buffer_store_dword v97, off, s[0:3], 0 offset:116
	;; [unrolled: 1-line block ×4, first 2 shown]
	s_waitcnt vmcnt(0)
	ds_write_b128 v153, v[1:4]
.LBB109_277:
	s_or_b32 exec_lo, exec_lo, s4
	s_waitcnt lgkmcnt(0)
	s_waitcnt_vscnt null, 0x0
	s_barrier
	buffer_gl0_inv
	s_clause 0x37
	buffer_load_dword v101, off, s[0:3], 0 offset:136
	buffer_load_dword v102, off, s[0:3], 0 offset:140
	;; [unrolled: 1-line block ×56, first 2 shown]
	v_mov_b32_e32 v154, 0
	s_mov_b32 s4, exec_lo
	ds_read_b128 v[155:158], v154 offset:848
	s_clause 0x2
	buffer_load_dword v150, off, s[0:3], 0 offset:364
	buffer_load_dword v152, off, s[0:3], 0 offset:340
	buffer_load_dword v151, off, s[0:3], 0 offset:336
	ds_read_b128 v[159:162], v154 offset:864
	s_clause 0x4
	buffer_load_dword v170, off, s[0:3], 0 offset:380
	buffer_load_dword v171, off, s[0:3], 0 offset:392
	;; [unrolled: 1-line block ×5, first 2 shown]
	ds_read_b128 v[163:166], v154 offset:880
	s_clause 0x2
	buffer_load_dword v172, off, s[0:3], 0 offset:396
	buffer_load_dword v177, off, s[0:3], 0 offset:372
	;; [unrolled: 1-line block ×3, first 2 shown]
	s_waitcnt vmcnt(62) lgkmcnt(2)
	v_mul_f64 v[167:168], v[157:158], v[101:102]
	v_mul_f64 v[101:102], v[155:156], v[101:102]
	s_waitcnt lgkmcnt(1)
	v_mul_f64 v[174:175], v[161:162], v[97:98]
	s_waitcnt vmcnt(59) lgkmcnt(0)
	v_mul_f64 v[178:179], v[165:166], v[3:4]
	v_fma_f64 v[155:156], v[155:156], v[99:100], -v[167:168]
	v_mul_f64 v[167:168], v[159:160], v[97:98]
	v_fma_f64 v[101:102], v[157:158], v[99:100], v[101:102]
	s_waitcnt vmcnt(57)
	v_fma_f64 v[159:160], v[159:160], v[1:2], -v[174:175]
	ds_read_b128 v[97:100], v154 offset:896
	v_mul_f64 v[157:158], v[163:164], v[3:4]
	s_waitcnt vmcnt(51)
	v_fma_f64 v[163:164], v[163:164], v[117:118], -v[178:179]
	v_add_f64 v[155:156], v[155:156], 0
	v_fma_f64 v[161:162], v[161:162], v[1:2], v[167:168]
	v_add_f64 v[101:102], v[101:102], 0
	s_clause 0x4
	buffer_load_dword v168, off, s[0:3], 0 offset:412
	buffer_load_dword v180, off, s[0:3], 0 offset:424
	buffer_load_dword v182, off, s[0:3], 0 offset:416
	buffer_load_dword v167, off, s[0:3], 0 offset:408
	buffer_load_dword v174, off, s[0:3], 0 offset:388
	s_waitcnt lgkmcnt(0)
	v_mul_f64 v[183:184], v[97:98], v[105:106]
	v_mul_f64 v[105:106], v[99:100], v[105:106]
	ds_read_b128 v[1:4], v154 offset:912
	v_fma_f64 v[117:118], v[165:166], v[117:118], v[157:158]
	v_add_f64 v[159:160], v[155:156], v[159:160]
	v_add_f64 v[101:102], v[101:102], v[161:162]
	s_clause 0x2
	buffer_load_dword v181, off, s[0:3], 0 offset:428
	buffer_load_dword v162, off, s[0:3], 0 offset:404
	buffer_load_dword v161, off, s[0:3], 0 offset:400
	s_waitcnt vmcnt(58) lgkmcnt(0)
	v_mul_f64 v[165:166], v[1:2], v[109:110]
	v_mul_f64 v[109:110], v[3:4], v[109:110]
	s_waitcnt vmcnt(56)
	v_fma_f64 v[105:106], v[97:98], v[111:112], -v[105:106]
	ds_read_b128 v[155:158], v154 offset:928
	v_fma_f64 v[111:112], v[99:100], v[111:112], v[183:184]
	v_add_f64 v[159:160], v[159:160], v[163:164]
	v_add_f64 v[101:102], v[101:102], v[117:118]
	s_clause 0x4
	buffer_load_dword v118, off, s[0:3], 0 offset:444
	buffer_load_dword v163, off, s[0:3], 0 offset:456
	;; [unrolled: 1-line block ×5, first 2 shown]
	ds_read_b128 v[97:100], v154 offset:944
	s_waitcnt vmcnt(57) lgkmcnt(1)
	v_mul_f64 v[184:185], v[155:156], v[113:114]
	v_mul_f64 v[113:114], v[157:158], v[113:114]
	s_waitcnt vmcnt(56)
	v_fma_f64 v[109:110], v[1:2], v[103:104], -v[109:110]
	v_fma_f64 v[103:104], v[3:4], v[103:104], v[165:166]
	v_add_f64 v[105:106], v[159:160], v[105:106]
	v_add_f64 v[101:102], v[101:102], v[111:112]
	s_clause 0x2
	buffer_load_dword v164, off, s[0:3], 0 offset:460
	buffer_load_dword v112, off, s[0:3], 0 offset:436
	;; [unrolled: 1-line block ×3, first 2 shown]
	s_waitcnt vmcnt(58) lgkmcnt(0)
	v_mul_f64 v[159:160], v[97:98], v[119:120]
	v_mul_f64 v[119:120], v[99:100], v[119:120]
	s_waitcnt vmcnt(56)
	v_fma_f64 v[113:114], v[155:156], v[121:122], -v[113:114]
	ds_read_b128 v[1:4], v154 offset:960
	v_add_f64 v[105:106], v[105:106], v[109:110]
	v_fma_f64 v[109:110], v[157:158], v[121:122], v[184:185]
	v_add_f64 v[121:122], v[101:102], v[103:104]
	s_clause 0x4
	buffer_load_dword v156, off, s[0:3], 0 offset:476
	buffer_load_dword v157, off, s[0:3], 0 offset:488
	;; [unrolled: 1-line block ×5, first 2 shown]
	ds_read_b128 v[101:104], v154 offset:976
	s_waitcnt vmcnt(57) lgkmcnt(1)
	v_mul_f64 v[184:185], v[1:2], v[123:124]
	v_mul_f64 v[123:124], v[3:4], v[123:124]
	s_waitcnt vmcnt(56)
	v_fma_f64 v[119:120], v[97:98], v[107:108], -v[119:120]
	v_fma_f64 v[107:108], v[99:100], v[107:108], v[159:160]
	v_add_f64 v[105:106], v[105:106], v[113:114]
	s_clause 0x2
	buffer_load_dword v158, off, s[0:3], 0 offset:492
	buffer_load_dword v114, off, s[0:3], 0 offset:468
	buffer_load_dword v113, off, s[0:3], 0 offset:464
	v_add_f64 v[109:110], v[121:122], v[109:110]
	s_waitcnt vmcnt(58) lgkmcnt(0)
	v_mul_f64 v[121:122], v[101:102], v[127:128]
	v_mul_f64 v[127:128], v[103:104], v[127:128]
	ds_read_b128 v[97:100], v154 offset:992
	s_waitcnt vmcnt(56)
	v_fma_f64 v[123:124], v[1:2], v[129:130], -v[123:124]
	v_add_f64 v[105:106], v[105:106], v[119:120]
	v_fma_f64 v[119:120], v[3:4], v[129:130], v[184:185]
	v_add_f64 v[107:108], v[109:110], v[107:108]
	s_clause 0x4
	buffer_load_dword v110, off, s[0:3], 0 offset:508
	buffer_load_dword v129, off, s[0:3], 0 offset:520
	;; [unrolled: 1-line block ×5, first 2 shown]
	s_waitcnt vmcnt(57) lgkmcnt(0)
	v_mul_f64 v[184:185], v[97:98], v[131:132]
	v_mul_f64 v[131:132], v[99:100], v[131:132]
	s_waitcnt vmcnt(56)
	v_fma_f64 v[127:128], v[101:102], v[115:116], -v[127:128]
	ds_read_b128 v[1:4], v154 offset:1008
	v_fma_f64 v[115:116], v[103:104], v[115:116], v[121:122]
	v_add_f64 v[105:106], v[105:106], v[123:124]
	v_add_f64 v[107:108], v[107:108], v[119:120]
	s_clause 0x2
	buffer_load_dword v130, off, s[0:3], 0 offset:524
	buffer_load_dword v120, off, s[0:3], 0 offset:500
	buffer_load_dword v119, off, s[0:3], 0 offset:496
	ds_read_b128 v[101:104], v154 offset:1024
	s_waitcnt vmcnt(58) lgkmcnt(1)
	v_mul_f64 v[123:124], v[3:4], v[135:136]
	s_waitcnt vmcnt(56)
	v_fma_f64 v[131:132], v[97:98], v[137:138], -v[131:132]
	v_mul_f64 v[121:122], v[1:2], v[135:136]
	v_add_f64 v[105:106], v[105:106], v[127:128]
	v_fma_f64 v[127:128], v[99:100], v[137:138], v[184:185]
	v_add_f64 v[107:108], v[107:108], v[115:116]
	s_clause 0x4
	buffer_load_dword v116, off, s[0:3], 0 offset:540
	buffer_load_dword v135, off, s[0:3], 0 offset:552
	;; [unrolled: 1-line block ×5, first 2 shown]
	s_waitcnt vmcnt(57) lgkmcnt(0)
	v_mul_f64 v[184:185], v[101:102], v[139:140]
	v_mul_f64 v[138:139], v[103:104], v[139:140]
	s_waitcnt vmcnt(56)
	v_fma_f64 v[123:124], v[1:2], v[125:126], -v[123:124]
	ds_read_b128 v[97:100], v154 offset:1040
	v_fma_f64 v[121:122], v[3:4], v[125:126], v[121:122]
	s_clause 0x2
	buffer_load_dword v136, off, s[0:3], 0 offset:556
	buffer_load_dword v126, off, s[0:3], 0 offset:532
	;; [unrolled: 1-line block ×3, first 2 shown]
	ds_read_b128 v[1:4], v154 offset:1056
	v_add_f64 v[105:106], v[105:106], v[131:132]
	v_add_f64 v[107:108], v[107:108], v[127:128]
	s_waitcnt vmcnt(58) lgkmcnt(1)
	v_mul_f64 v[131:132], v[99:100], v[143:144]
	s_waitcnt vmcnt(56)
	v_fma_f64 v[139:140], v[101:102], v[145:146], -v[138:139]
	v_mul_f64 v[127:128], v[97:98], v[143:144]
	v_add_f64 v[105:106], v[105:106], v[123:124]
	v_fma_f64 v[123:124], v[103:104], v[145:146], v[184:185]
	v_add_f64 v[107:108], v[107:108], v[121:122]
	s_clause 0x4
	buffer_load_dword v122, off, s[0:3], 0 offset:572
	buffer_load_dword v143, off, s[0:3], 0 offset:584
	buffer_load_dword v145, off, s[0:3], 0 offset:576
	buffer_load_dword v121, off, s[0:3], 0 offset:568
	buffer_load_dword v138, off, s[0:3], 0 offset:548
	s_waitcnt vmcnt(57) lgkmcnt(0)
	v_mul_f64 v[184:185], v[1:2], v[147:148]
	v_mul_f64 v[146:147], v[3:4], v[147:148]
	s_waitcnt vmcnt(56)
	v_fma_f64 v[131:132], v[97:98], v[133:134], -v[131:132]
	ds_read_b128 v[101:104], v154 offset:1072
	v_fma_f64 v[127:128], v[99:100], v[133:134], v[127:128]
	v_add_f64 v[105:106], v[105:106], v[139:140]
	v_add_f64 v[107:108], v[107:108], v[123:124]
	s_clause 0x2
	buffer_load_dword v144, off, s[0:3], 0 offset:588
	buffer_load_dword v124, off, s[0:3], 0 offset:564
	;; [unrolled: 1-line block ×3, first 2 shown]
	ds_read_b128 v[97:100], v154 offset:1088
	s_waitcnt vmcnt(58) lgkmcnt(1)
	v_mul_f64 v[139:140], v[103:104], v[149:150]
	s_waitcnt vmcnt(56)
	v_fma_f64 v[147:148], v[1:2], v[151:152], -v[146:147]
	v_mul_f64 v[133:134], v[101:102], v[149:150]
	v_add_f64 v[105:106], v[105:106], v[131:132]
	v_fma_f64 v[131:132], v[3:4], v[151:152], v[184:185]
	v_add_f64 v[107:108], v[107:108], v[127:128]
	s_clause 0x4
	buffer_load_dword v128, off, s[0:3], 0 offset:604
	buffer_load_dword v149, off, s[0:3], 0 offset:616
	;; [unrolled: 1-line block ×5, first 2 shown]
	s_waitcnt vmcnt(57) lgkmcnt(0)
	v_mul_f64 v[184:185], v[97:98], v[169:170]
	v_mul_f64 v[169:170], v[99:100], v[169:170]
	s_waitcnt vmcnt(56)
	v_fma_f64 v[139:140], v[101:102], v[141:142], -v[139:140]
	ds_read_b128 v[1:4], v154 offset:1104
	v_fma_f64 v[133:134], v[103:104], v[141:142], v[133:134]
	v_add_f64 v[105:106], v[105:106], v[147:148]
	v_add_f64 v[107:108], v[107:108], v[131:132]
	s_clause 0x2
	buffer_load_dword v150, off, s[0:3], 0 offset:620
	buffer_load_dword v132, off, s[0:3], 0 offset:596
	;; [unrolled: 1-line block ×3, first 2 shown]
	ds_read_b128 v[101:104], v154 offset:1120
	s_waitcnt vmcnt(58) lgkmcnt(1)
	v_mul_f64 v[147:148], v[3:4], v[171:172]
	s_waitcnt vmcnt(56)
	v_fma_f64 v[169:170], v[97:98], v[176:177], -v[169:170]
	v_mul_f64 v[141:142], v[1:2], v[171:172]
	v_add_f64 v[105:106], v[105:106], v[139:140]
	v_fma_f64 v[139:140], v[99:100], v[176:177], v[184:185]
	v_add_f64 v[107:108], v[107:108], v[133:134]
	s_clause 0x4
	buffer_load_dword v134, off, s[0:3], 0 offset:636
	buffer_load_dword v171, off, s[0:3], 0 offset:648
	;; [unrolled: 1-line block ×5, first 2 shown]
	ds_read_b128 v[97:100], v154 offset:1136
	s_waitcnt vmcnt(57) lgkmcnt(1)
	v_mul_f64 v[176:177], v[101:102], v[167:168]
	v_mul_f64 v[167:168], v[103:104], v[167:168]
	s_waitcnt vmcnt(56)
	v_fma_f64 v[147:148], v[1:2], v[173:174], -v[147:148]
	v_fma_f64 v[141:142], v[3:4], v[173:174], v[141:142]
	v_add_f64 v[105:106], v[105:106], v[169:170]
	v_add_f64 v[107:108], v[107:108], v[139:140]
	s_clause 0x2
	buffer_load_dword v172, off, s[0:3], 0 offset:652
	buffer_load_dword v140, off, s[0:3], 0 offset:628
	buffer_load_dword v139, off, s[0:3], 0 offset:624
	ds_read_b128 v[1:4], v154 offset:1152
	s_waitcnt vmcnt(58) lgkmcnt(1)
	v_mul_f64 v[173:174], v[99:100], v[180:181]
	v_mul_f64 v[169:170], v[97:98], v[180:181]
	s_waitcnt vmcnt(56)
	v_fma_f64 v[167:168], v[101:102], v[161:162], -v[167:168]
	v_add_f64 v[105:106], v[105:106], v[147:148]
	v_fma_f64 v[147:148], v[103:104], v[161:162], v[176:177]
	v_add_f64 v[107:108], v[107:108], v[141:142]
	s_clause 0x4
	buffer_load_dword v142, off, s[0:3], 0 offset:668
	buffer_load_dword v161, off, s[0:3], 0 offset:680
	;; [unrolled: 1-line block ×5, first 2 shown]
	ds_read_b128 v[101:104], v154 offset:1168
	s_waitcnt vmcnt(57) lgkmcnt(1)
	v_mul_f64 v[184:185], v[1:2], v[117:118]
	v_mul_f64 v[117:118], v[3:4], v[117:118]
	s_waitcnt vmcnt(56)
	v_fma_f64 v[173:174], v[97:98], v[182:183], -v[173:174]
	v_add_f64 v[105:106], v[105:106], v[167:168]
	v_fma_f64 v[167:168], v[99:100], v[182:183], v[169:170]
	v_add_f64 v[107:108], v[107:108], v[147:148]
	s_clause 0x2
	buffer_load_dword v162, off, s[0:3], 0 offset:684
	buffer_load_dword v148, off, s[0:3], 0 offset:660
	;; [unrolled: 1-line block ×3, first 2 shown]
	ds_read_b128 v[97:100], v154 offset:1184
	s_waitcnt vmcnt(58) lgkmcnt(1)
	v_mul_f64 v[169:170], v[101:102], v[163:164]
	v_mul_f64 v[163:164], v[103:104], v[163:164]
	s_waitcnt vmcnt(56)
	v_fma_f64 v[117:118], v[1:2], v[111:112], -v[117:118]
	v_fma_f64 v[111:112], v[3:4], v[111:112], v[184:185]
	v_add_f64 v[105:106], v[105:106], v[173:174]
	v_add_f64 v[107:108], v[107:108], v[167:168]
	s_clause 0x4
	buffer_load_dword v168, off, s[0:3], 0 offset:700
	buffer_load_dword v173, off, s[0:3], 0 offset:712
	;; [unrolled: 1-line block ×5, first 2 shown]
	ds_read_b128 v[1:4], v154 offset:1200
	s_waitcnt vmcnt(57) lgkmcnt(1)
	v_mul_f64 v[182:183], v[97:98], v[155:156]
	v_mul_f64 v[155:156], v[99:100], v[155:156]
	s_waitcnt vmcnt(56)
	v_fma_f64 v[163:164], v[101:102], v[178:179], -v[163:164]
	v_add_f64 v[105:106], v[105:106], v[117:118]
	v_fma_f64 v[117:118], v[103:104], v[178:179], v[169:170]
	v_add_f64 v[107:108], v[107:108], v[111:112]
	s_clause 0x2
	buffer_load_dword v174, off, s[0:3], 0 offset:716
	buffer_load_dword v112, off, s[0:3], 0 offset:692
	;; [unrolled: 1-line block ×3, first 2 shown]
	ds_read_b128 v[101:104], v154 offset:1216
	s_waitcnt vmcnt(58) lgkmcnt(1)
	v_mul_f64 v[169:170], v[1:2], v[157:158]
	v_mul_f64 v[157:158], v[3:4], v[157:158]
	s_waitcnt vmcnt(56)
	v_fma_f64 v[155:156], v[97:98], v[113:114], -v[155:156]
	v_fma_f64 v[113:114], v[99:100], v[113:114], v[182:183]
	v_add_f64 v[105:106], v[105:106], v[163:164]
	v_add_f64 v[107:108], v[107:108], v[117:118]
	s_clause 0x4
	buffer_load_dword v118, off, s[0:3], 0 offset:732
	buffer_load_dword v163, off, s[0:3], 0 offset:744
	;; [unrolled: 1-line block ×5, first 2 shown]
	ds_read_b128 v[97:100], v154 offset:1232
	s_waitcnt vmcnt(57) lgkmcnt(1)
	v_mul_f64 v[183:184], v[101:102], v[109:110]
	v_mul_f64 v[109:110], v[103:104], v[109:110]
	s_waitcnt vmcnt(56)
	v_fma_f64 v[157:158], v[1:2], v[165:166], -v[157:158]
	v_add_f64 v[105:106], v[105:106], v[155:156]
	v_fma_f64 v[155:156], v[3:4], v[165:166], v[169:170]
	v_add_f64 v[107:108], v[107:108], v[113:114]
	s_clause 0x2
	buffer_load_dword v164, off, s[0:3], 0 offset:748
	buffer_load_dword v114, off, s[0:3], 0 offset:724
	;; [unrolled: 1-line block ×3, first 2 shown]
	ds_read_b128 v[1:4], v154 offset:1248
	s_waitcnt vmcnt(58) lgkmcnt(1)
	v_mul_f64 v[165:166], v[97:98], v[129:130]
	v_mul_f64 v[129:130], v[99:100], v[129:130]
	s_waitcnt vmcnt(56)
	v_fma_f64 v[109:110], v[101:102], v[119:120], -v[109:110]
	v_fma_f64 v[119:120], v[103:104], v[119:120], v[183:184]
	buffer_load_dword v183, off, s[0:3], 0 offset:740
	ds_read_b128 v[101:104], v154 offset:1264
	v_add_f64 v[105:106], v[105:106], v[157:158]
	v_add_f64 v[107:108], v[107:108], v[155:156]
	s_waitcnt vmcnt(53) lgkmcnt(1)
	v_mul_f64 v[155:156], v[1:2], v[115:116]
	v_mul_f64 v[115:116], v[3:4], v[115:116]
	s_waitcnt vmcnt(52)
	v_fma_f64 v[129:130], v[97:98], v[159:160], -v[129:130]
	v_add_f64 v[105:106], v[105:106], v[109:110]
	v_fma_f64 v[109:110], v[99:100], v[159:160], v[165:166]
	v_add_f64 v[107:108], v[107:108], v[119:120]
	s_waitcnt vmcnt(51) lgkmcnt(0)
	v_mul_f64 v[119:120], v[101:102], v[135:136]
	v_mul_f64 v[135:136], v[103:104], v[135:136]
	ds_read_b128 v[97:100], v154 offset:1280
	s_waitcnt vmcnt(49)
	v_fma_f64 v[115:116], v[1:2], v[125:126], -v[115:116]
	v_fma_f64 v[125:126], v[3:4], v[125:126], v[155:156]
	v_add_f64 v[105:106], v[105:106], v[129:130]
	v_add_f64 v[107:108], v[107:108], v[109:110]
	s_clause 0x3
	buffer_load_dword v109, off, s[0:3], 0 offset:112
	buffer_load_dword v110, off, s[0:3], 0 offset:116
	;; [unrolled: 1-line block ×4, first 2 shown]
	ds_read_b128 v[1:4], v154 offset:1296
	s_waitcnt vmcnt(49) lgkmcnt(1)
	v_mul_f64 v[155:156], v[97:98], v[121:122]
	v_mul_f64 v[121:122], v[99:100], v[121:122]
	s_waitcnt vmcnt(48)
	v_fma_f64 v[135:136], v[101:102], v[137:138], -v[135:136]
	v_add_f64 v[105:106], v[105:106], v[115:116]
	v_fma_f64 v[115:116], v[103:104], v[137:138], v[119:120]
	v_add_f64 v[107:108], v[107:108], v[125:126]
	ds_read_b128 v[101:104], v154 offset:1312
	s_waitcnt vmcnt(47) lgkmcnt(1)
	v_mul_f64 v[125:126], v[3:4], v[143:144]
	v_mul_f64 v[119:120], v[1:2], v[143:144]
	s_waitcnt vmcnt(45)
	v_fma_f64 v[121:122], v[97:98], v[123:124], -v[121:122]
	v_fma_f64 v[123:124], v[99:100], v[123:124], v[155:156]
	ds_read_b128 v[97:100], v154 offset:1328
	v_add_f64 v[105:106], v[105:106], v[135:136]
	v_add_f64 v[107:108], v[107:108], v[115:116]
	s_waitcnt vmcnt(41) lgkmcnt(1)
	v_mul_f64 v[115:116], v[101:102], v[127:128]
	v_mul_f64 v[127:128], v[103:104], v[127:128]
	s_waitcnt vmcnt(40)
	v_fma_f64 v[125:126], v[1:2], v[145:146], -v[125:126]
	v_fma_f64 v[119:120], v[3:4], v[145:146], v[119:120]
	ds_read_b128 v[1:4], v154 offset:1344
	v_add_f64 v[105:106], v[105:106], v[121:122]
	v_add_f64 v[107:108], v[107:108], v[123:124]
	;; [unrolled: 9-line block ×3, first 2 shown]
	s_waitcnt vmcnt(33) lgkmcnt(1)
	v_mul_f64 v[125:126], v[3:4], v[133:134]
	s_waitcnt vmcnt(32)
	v_fma_f64 v[123:124], v[97:98], v[151:152], -v[123:124]
	v_mul_f64 v[119:120], v[1:2], v[133:134]
	v_fma_f64 v[121:122], v[99:100], v[151:152], v[121:122]
	ds_read_b128 v[97:100], v154 offset:1376
	v_add_f64 v[105:106], v[105:106], v[127:128]
	v_add_f64 v[107:108], v[107:108], v[115:116]
	s_waitcnt vmcnt(31) lgkmcnt(1)
	v_mul_f64 v[127:128], v[103:104], v[171:172]
	v_mul_f64 v[115:116], v[101:102], v[171:172]
	s_waitcnt vmcnt(29)
	v_fma_f64 v[125:126], v[1:2], v[139:140], -v[125:126]
	v_fma_f64 v[119:120], v[3:4], v[139:140], v[119:120]
	ds_read_b128 v[1:4], v154 offset:1392
	v_add_f64 v[105:106], v[105:106], v[123:124]
	v_add_f64 v[107:108], v[107:108], v[121:122]
	s_waitcnt vmcnt(25) lgkmcnt(1)
	v_mul_f64 v[123:124], v[99:100], v[141:142]
	s_waitcnt vmcnt(24)
	v_fma_f64 v[127:128], v[101:102], v[175:176], -v[127:128]
	v_mul_f64 v[121:122], v[97:98], v[141:142]
	v_fma_f64 v[115:116], v[103:104], v[175:176], v[115:116]
	ds_read_b128 v[101:104], v154 offset:1408
	v_add_f64 v[105:106], v[105:106], v[125:126]
	v_add_f64 v[107:108], v[107:108], v[119:120]
	s_waitcnt vmcnt(23) lgkmcnt(1)
	v_mul_f64 v[125:126], v[3:4], v[161:162]
	v_mul_f64 v[119:120], v[1:2], v[161:162]
	s_waitcnt vmcnt(21)
	v_fma_f64 v[123:124], v[97:98], v[147:148], -v[123:124]
	v_fma_f64 v[121:122], v[99:100], v[147:148], v[121:122]
	ds_read_b128 v[97:100], v154 offset:1424
	v_add_f64 v[105:106], v[105:106], v[127:128]
	v_add_f64 v[107:108], v[107:108], v[115:116]
	;; [unrolled: 18-line block ×3, first 2 shown]
	s_waitcnt vmcnt(9) lgkmcnt(1)
	v_mul_f64 v[115:116], v[1:2], v[117:118]
	v_mul_f64 v[117:118], v[3:4], v[117:118]
	s_waitcnt vmcnt(8)
	v_fma_f64 v[97:98], v[97:98], v[177:178], -v[123:124]
	v_fma_f64 v[99:100], v[99:100], v[177:178], v[121:122]
	v_add_f64 v[105:106], v[105:106], v[127:128]
	v_add_f64 v[107:108], v[107:108], v[111:112]
	s_waitcnt vmcnt(7) lgkmcnt(0)
	v_mul_f64 v[119:120], v[103:104], v[163:164]
	v_mul_f64 v[111:112], v[101:102], v[163:164]
	s_waitcnt vmcnt(5)
	v_fma_f64 v[1:2], v[1:2], v[113:114], -v[117:118]
	v_fma_f64 v[3:4], v[3:4], v[113:114], v[115:116]
	v_add_f64 v[97:98], v[105:106], v[97:98]
	v_add_f64 v[99:100], v[107:108], v[99:100]
	s_waitcnt vmcnt(4)
	v_fma_f64 v[101:102], v[101:102], v[182:183], -v[119:120]
	v_add_f64 v[1:2], v[97:98], v[1:2]
	v_fma_f64 v[97:98], v[103:104], v[182:183], v[111:112]
	v_add_f64 v[3:4], v[99:100], v[3:4]
	v_add_f64 v[1:2], v[1:2], v[101:102]
	;; [unrolled: 1-line block ×3, first 2 shown]
	s_waitcnt vmcnt(2)
	v_add_f64 v[1:2], v[109:110], -v[1:2]
	s_waitcnt vmcnt(0)
	v_add_f64 v[3:4], v[129:130], -v[3:4]
	buffer_store_dword v2, off, s[0:3], 0 offset:116
	buffer_store_dword v1, off, s[0:3], 0 offset:112
	;; [unrolled: 1-line block ×4, first 2 shown]
	v_cmpx_lt_u32_e32 5, v0
	s_cbranch_execz .LBB109_279
; %bb.278:
	v_mov_b32_e32 v4, s53
	s_clause 0x3
	buffer_load_dword v1, v4, s[0:3], 0 offen
	buffer_load_dword v2, v4, s[0:3], 0 offen offset:4
	buffer_load_dword v3, v4, s[0:3], 0 offen offset:8
	;; [unrolled: 1-line block ×3, first 2 shown]
	buffer_store_dword v154, off, s[0:3], 0 offset:96
	buffer_store_dword v154, off, s[0:3], 0 offset:100
	;; [unrolled: 1-line block ×4, first 2 shown]
	s_waitcnt vmcnt(0)
	ds_write_b128 v153, v[1:4]
.LBB109_279:
	s_or_b32 exec_lo, exec_lo, s4
	s_waitcnt lgkmcnt(0)
	s_waitcnt_vscnt null, 0x0
	s_barrier
	buffer_gl0_inv
	s_clause 0x37
	buffer_load_dword v101, off, s[0:3], 0 offset:120
	buffer_load_dword v102, off, s[0:3], 0 offset:124
	;; [unrolled: 1-line block ×56, first 2 shown]
	ds_read_b128 v[155:158], v154 offset:832
	s_clause 0x2
	buffer_load_dword v150, off, s[0:3], 0 offset:348
	buffer_load_dword v152, off, s[0:3], 0 offset:324
	;; [unrolled: 1-line block ×3, first 2 shown]
	ds_read_b128 v[159:162], v154 offset:848
	s_clause 0x4
	buffer_load_dword v170, off, s[0:3], 0 offset:364
	buffer_load_dword v171, off, s[0:3], 0 offset:376
	;; [unrolled: 1-line block ×5, first 2 shown]
	ds_read_b128 v[163:166], v154 offset:864
	s_clause 0x2
	buffer_load_dword v172, off, s[0:3], 0 offset:380
	buffer_load_dword v177, off, s[0:3], 0 offset:356
	;; [unrolled: 1-line block ×3, first 2 shown]
	s_mov_b32 s4, exec_lo
	s_waitcnt vmcnt(62) lgkmcnt(2)
	v_mul_f64 v[167:168], v[157:158], v[101:102]
	v_mul_f64 v[101:102], v[155:156], v[101:102]
	s_waitcnt lgkmcnt(1)
	v_mul_f64 v[174:175], v[161:162], v[97:98]
	s_waitcnt vmcnt(59) lgkmcnt(0)
	v_mul_f64 v[178:179], v[165:166], v[3:4]
	v_fma_f64 v[155:156], v[155:156], v[99:100], -v[167:168]
	v_mul_f64 v[167:168], v[159:160], v[97:98]
	v_fma_f64 v[101:102], v[157:158], v[99:100], v[101:102]
	s_waitcnt vmcnt(57)
	v_fma_f64 v[159:160], v[159:160], v[1:2], -v[174:175]
	ds_read_b128 v[97:100], v154 offset:880
	v_mul_f64 v[157:158], v[163:164], v[3:4]
	s_waitcnt vmcnt(51)
	v_fma_f64 v[163:164], v[163:164], v[117:118], -v[178:179]
	v_add_f64 v[155:156], v[155:156], 0
	v_fma_f64 v[161:162], v[161:162], v[1:2], v[167:168]
	v_add_f64 v[101:102], v[101:102], 0
	s_clause 0x4
	buffer_load_dword v168, off, s[0:3], 0 offset:396
	buffer_load_dword v180, off, s[0:3], 0 offset:408
	;; [unrolled: 1-line block ×5, first 2 shown]
	s_waitcnt lgkmcnt(0)
	v_mul_f64 v[183:184], v[97:98], v[105:106]
	v_mul_f64 v[105:106], v[99:100], v[105:106]
	ds_read_b128 v[1:4], v154 offset:896
	v_fma_f64 v[117:118], v[165:166], v[117:118], v[157:158]
	v_add_f64 v[159:160], v[155:156], v[159:160]
	v_add_f64 v[101:102], v[101:102], v[161:162]
	s_clause 0x2
	buffer_load_dword v181, off, s[0:3], 0 offset:412
	buffer_load_dword v162, off, s[0:3], 0 offset:388
	;; [unrolled: 1-line block ×3, first 2 shown]
	s_waitcnt vmcnt(58) lgkmcnt(0)
	v_mul_f64 v[165:166], v[1:2], v[109:110]
	v_mul_f64 v[109:110], v[3:4], v[109:110]
	s_waitcnt vmcnt(56)
	v_fma_f64 v[105:106], v[97:98], v[111:112], -v[105:106]
	ds_read_b128 v[155:158], v154 offset:912
	v_fma_f64 v[111:112], v[99:100], v[111:112], v[183:184]
	v_add_f64 v[159:160], v[159:160], v[163:164]
	v_add_f64 v[101:102], v[101:102], v[117:118]
	s_clause 0x4
	buffer_load_dword v118, off, s[0:3], 0 offset:428
	buffer_load_dword v163, off, s[0:3], 0 offset:440
	;; [unrolled: 1-line block ×5, first 2 shown]
	ds_read_b128 v[97:100], v154 offset:928
	s_waitcnt vmcnt(57) lgkmcnt(1)
	v_mul_f64 v[184:185], v[155:156], v[113:114]
	v_mul_f64 v[113:114], v[157:158], v[113:114]
	s_waitcnt vmcnt(56)
	v_fma_f64 v[109:110], v[1:2], v[103:104], -v[109:110]
	v_fma_f64 v[103:104], v[3:4], v[103:104], v[165:166]
	v_add_f64 v[105:106], v[159:160], v[105:106]
	v_add_f64 v[101:102], v[101:102], v[111:112]
	s_clause 0x2
	buffer_load_dword v164, off, s[0:3], 0 offset:444
	buffer_load_dword v112, off, s[0:3], 0 offset:420
	;; [unrolled: 1-line block ×3, first 2 shown]
	s_waitcnt vmcnt(58) lgkmcnt(0)
	v_mul_f64 v[159:160], v[97:98], v[119:120]
	v_mul_f64 v[119:120], v[99:100], v[119:120]
	s_waitcnt vmcnt(56)
	v_fma_f64 v[113:114], v[155:156], v[121:122], -v[113:114]
	ds_read_b128 v[1:4], v154 offset:944
	v_add_f64 v[105:106], v[105:106], v[109:110]
	v_fma_f64 v[109:110], v[157:158], v[121:122], v[184:185]
	v_add_f64 v[121:122], v[101:102], v[103:104]
	s_clause 0x4
	buffer_load_dword v156, off, s[0:3], 0 offset:460
	buffer_load_dword v157, off, s[0:3], 0 offset:472
	;; [unrolled: 1-line block ×5, first 2 shown]
	ds_read_b128 v[101:104], v154 offset:960
	s_waitcnt vmcnt(57) lgkmcnt(1)
	v_mul_f64 v[184:185], v[1:2], v[123:124]
	v_mul_f64 v[123:124], v[3:4], v[123:124]
	s_waitcnt vmcnt(56)
	v_fma_f64 v[119:120], v[97:98], v[107:108], -v[119:120]
	v_fma_f64 v[107:108], v[99:100], v[107:108], v[159:160]
	v_add_f64 v[105:106], v[105:106], v[113:114]
	s_clause 0x2
	buffer_load_dword v158, off, s[0:3], 0 offset:476
	buffer_load_dword v114, off, s[0:3], 0 offset:452
	;; [unrolled: 1-line block ×3, first 2 shown]
	v_add_f64 v[109:110], v[121:122], v[109:110]
	s_waitcnt vmcnt(58) lgkmcnt(0)
	v_mul_f64 v[121:122], v[101:102], v[127:128]
	v_mul_f64 v[127:128], v[103:104], v[127:128]
	ds_read_b128 v[97:100], v154 offset:976
	s_waitcnt vmcnt(56)
	v_fma_f64 v[123:124], v[1:2], v[129:130], -v[123:124]
	v_add_f64 v[105:106], v[105:106], v[119:120]
	v_fma_f64 v[119:120], v[3:4], v[129:130], v[184:185]
	v_add_f64 v[107:108], v[109:110], v[107:108]
	s_clause 0x4
	buffer_load_dword v110, off, s[0:3], 0 offset:492
	buffer_load_dword v129, off, s[0:3], 0 offset:504
	buffer_load_dword v159, off, s[0:3], 0 offset:496
	buffer_load_dword v109, off, s[0:3], 0 offset:488
	buffer_load_dword v166, off, s[0:3], 0 offset:468
	s_waitcnt vmcnt(57) lgkmcnt(0)
	v_mul_f64 v[184:185], v[97:98], v[131:132]
	v_mul_f64 v[131:132], v[99:100], v[131:132]
	s_waitcnt vmcnt(56)
	v_fma_f64 v[127:128], v[101:102], v[115:116], -v[127:128]
	ds_read_b128 v[1:4], v154 offset:992
	v_fma_f64 v[115:116], v[103:104], v[115:116], v[121:122]
	v_add_f64 v[105:106], v[105:106], v[123:124]
	v_add_f64 v[107:108], v[107:108], v[119:120]
	s_clause 0x2
	buffer_load_dword v130, off, s[0:3], 0 offset:508
	buffer_load_dword v120, off, s[0:3], 0 offset:484
	;; [unrolled: 1-line block ×3, first 2 shown]
	ds_read_b128 v[101:104], v154 offset:1008
	s_waitcnt vmcnt(58) lgkmcnt(1)
	v_mul_f64 v[123:124], v[3:4], v[135:136]
	s_waitcnt vmcnt(56)
	v_fma_f64 v[131:132], v[97:98], v[137:138], -v[131:132]
	v_mul_f64 v[121:122], v[1:2], v[135:136]
	v_add_f64 v[105:106], v[105:106], v[127:128]
	v_fma_f64 v[127:128], v[99:100], v[137:138], v[184:185]
	v_add_f64 v[107:108], v[107:108], v[115:116]
	s_clause 0x4
	buffer_load_dword v116, off, s[0:3], 0 offset:524
	buffer_load_dword v135, off, s[0:3], 0 offset:536
	;; [unrolled: 1-line block ×5, first 2 shown]
	s_waitcnt vmcnt(57) lgkmcnt(0)
	v_mul_f64 v[184:185], v[101:102], v[139:140]
	v_mul_f64 v[138:139], v[103:104], v[139:140]
	s_waitcnt vmcnt(56)
	v_fma_f64 v[123:124], v[1:2], v[125:126], -v[123:124]
	ds_read_b128 v[97:100], v154 offset:1024
	v_fma_f64 v[121:122], v[3:4], v[125:126], v[121:122]
	s_clause 0x2
	buffer_load_dword v136, off, s[0:3], 0 offset:540
	buffer_load_dword v126, off, s[0:3], 0 offset:516
	;; [unrolled: 1-line block ×3, first 2 shown]
	ds_read_b128 v[1:4], v154 offset:1040
	v_add_f64 v[105:106], v[105:106], v[131:132]
	v_add_f64 v[107:108], v[107:108], v[127:128]
	s_waitcnt vmcnt(58) lgkmcnt(1)
	v_mul_f64 v[131:132], v[99:100], v[143:144]
	s_waitcnt vmcnt(56)
	v_fma_f64 v[139:140], v[101:102], v[145:146], -v[138:139]
	v_mul_f64 v[127:128], v[97:98], v[143:144]
	v_add_f64 v[105:106], v[105:106], v[123:124]
	v_fma_f64 v[123:124], v[103:104], v[145:146], v[184:185]
	v_add_f64 v[107:108], v[107:108], v[121:122]
	s_clause 0x4
	buffer_load_dword v122, off, s[0:3], 0 offset:556
	buffer_load_dword v143, off, s[0:3], 0 offset:568
	;; [unrolled: 1-line block ×5, first 2 shown]
	s_waitcnt vmcnt(57) lgkmcnt(0)
	v_mul_f64 v[184:185], v[1:2], v[147:148]
	v_mul_f64 v[146:147], v[3:4], v[147:148]
	s_waitcnt vmcnt(56)
	v_fma_f64 v[131:132], v[97:98], v[133:134], -v[131:132]
	ds_read_b128 v[101:104], v154 offset:1056
	v_fma_f64 v[127:128], v[99:100], v[133:134], v[127:128]
	v_add_f64 v[105:106], v[105:106], v[139:140]
	v_add_f64 v[107:108], v[107:108], v[123:124]
	s_clause 0x2
	buffer_load_dword v144, off, s[0:3], 0 offset:572
	buffer_load_dword v124, off, s[0:3], 0 offset:548
	;; [unrolled: 1-line block ×3, first 2 shown]
	ds_read_b128 v[97:100], v154 offset:1072
	s_waitcnt vmcnt(58) lgkmcnt(1)
	v_mul_f64 v[139:140], v[103:104], v[149:150]
	s_waitcnt vmcnt(56)
	v_fma_f64 v[147:148], v[1:2], v[151:152], -v[146:147]
	v_mul_f64 v[133:134], v[101:102], v[149:150]
	v_add_f64 v[105:106], v[105:106], v[131:132]
	v_fma_f64 v[131:132], v[3:4], v[151:152], v[184:185]
	v_add_f64 v[107:108], v[107:108], v[127:128]
	s_clause 0x4
	buffer_load_dword v128, off, s[0:3], 0 offset:588
	buffer_load_dword v149, off, s[0:3], 0 offset:600
	buffer_load_dword v151, off, s[0:3], 0 offset:592
	buffer_load_dword v127, off, s[0:3], 0 offset:584
	buffer_load_dword v146, off, s[0:3], 0 offset:564
	s_waitcnt vmcnt(57) lgkmcnt(0)
	v_mul_f64 v[184:185], v[97:98], v[169:170]
	v_mul_f64 v[169:170], v[99:100], v[169:170]
	s_waitcnt vmcnt(56)
	v_fma_f64 v[139:140], v[101:102], v[141:142], -v[139:140]
	ds_read_b128 v[1:4], v154 offset:1088
	v_fma_f64 v[133:134], v[103:104], v[141:142], v[133:134]
	v_add_f64 v[105:106], v[105:106], v[147:148]
	v_add_f64 v[107:108], v[107:108], v[131:132]
	s_clause 0x2
	buffer_load_dword v150, off, s[0:3], 0 offset:604
	buffer_load_dword v132, off, s[0:3], 0 offset:580
	;; [unrolled: 1-line block ×3, first 2 shown]
	ds_read_b128 v[101:104], v154 offset:1104
	s_waitcnt vmcnt(58) lgkmcnt(1)
	v_mul_f64 v[147:148], v[3:4], v[171:172]
	s_waitcnt vmcnt(56)
	v_fma_f64 v[169:170], v[97:98], v[176:177], -v[169:170]
	v_mul_f64 v[141:142], v[1:2], v[171:172]
	v_add_f64 v[105:106], v[105:106], v[139:140]
	v_fma_f64 v[139:140], v[99:100], v[176:177], v[184:185]
	v_add_f64 v[107:108], v[107:108], v[133:134]
	s_clause 0x4
	buffer_load_dword v134, off, s[0:3], 0 offset:620
	buffer_load_dword v171, off, s[0:3], 0 offset:632
	;; [unrolled: 1-line block ×5, first 2 shown]
	ds_read_b128 v[97:100], v154 offset:1120
	s_waitcnt vmcnt(57) lgkmcnt(1)
	v_mul_f64 v[176:177], v[101:102], v[167:168]
	v_mul_f64 v[167:168], v[103:104], v[167:168]
	s_waitcnt vmcnt(56)
	v_fma_f64 v[147:148], v[1:2], v[173:174], -v[147:148]
	v_fma_f64 v[141:142], v[3:4], v[173:174], v[141:142]
	v_add_f64 v[105:106], v[105:106], v[169:170]
	v_add_f64 v[107:108], v[107:108], v[139:140]
	s_clause 0x2
	buffer_load_dword v172, off, s[0:3], 0 offset:636
	buffer_load_dword v140, off, s[0:3], 0 offset:612
	;; [unrolled: 1-line block ×3, first 2 shown]
	ds_read_b128 v[1:4], v154 offset:1136
	s_waitcnt vmcnt(58) lgkmcnt(1)
	v_mul_f64 v[173:174], v[99:100], v[180:181]
	v_mul_f64 v[169:170], v[97:98], v[180:181]
	s_waitcnt vmcnt(56)
	v_fma_f64 v[167:168], v[101:102], v[161:162], -v[167:168]
	v_add_f64 v[105:106], v[105:106], v[147:148]
	v_fma_f64 v[147:148], v[103:104], v[161:162], v[176:177]
	v_add_f64 v[107:108], v[107:108], v[141:142]
	s_clause 0x4
	buffer_load_dword v142, off, s[0:3], 0 offset:652
	buffer_load_dword v161, off, s[0:3], 0 offset:664
	buffer_load_dword v180, off, s[0:3], 0 offset:656
	buffer_load_dword v141, off, s[0:3], 0 offset:648
	buffer_load_dword v176, off, s[0:3], 0 offset:628
	ds_read_b128 v[101:104], v154 offset:1152
	s_waitcnt vmcnt(57) lgkmcnt(1)
	v_mul_f64 v[184:185], v[1:2], v[117:118]
	v_mul_f64 v[117:118], v[3:4], v[117:118]
	s_waitcnt vmcnt(56)
	v_fma_f64 v[173:174], v[97:98], v[182:183], -v[173:174]
	v_add_f64 v[105:106], v[105:106], v[167:168]
	v_fma_f64 v[167:168], v[99:100], v[182:183], v[169:170]
	v_add_f64 v[107:108], v[107:108], v[147:148]
	s_clause 0x2
	buffer_load_dword v162, off, s[0:3], 0 offset:668
	buffer_load_dword v148, off, s[0:3], 0 offset:644
	buffer_load_dword v147, off, s[0:3], 0 offset:640
	ds_read_b128 v[97:100], v154 offset:1168
	s_waitcnt vmcnt(58) lgkmcnt(1)
	v_mul_f64 v[169:170], v[101:102], v[163:164]
	v_mul_f64 v[163:164], v[103:104], v[163:164]
	s_waitcnt vmcnt(56)
	v_fma_f64 v[117:118], v[1:2], v[111:112], -v[117:118]
	v_fma_f64 v[111:112], v[3:4], v[111:112], v[184:185]
	v_add_f64 v[105:106], v[105:106], v[173:174]
	v_add_f64 v[107:108], v[107:108], v[167:168]
	s_clause 0x4
	buffer_load_dword v168, off, s[0:3], 0 offset:684
	buffer_load_dword v173, off, s[0:3], 0 offset:696
	buffer_load_dword v177, off, s[0:3], 0 offset:688
	buffer_load_dword v167, off, s[0:3], 0 offset:680
	buffer_load_dword v181, off, s[0:3], 0 offset:660
	ds_read_b128 v[1:4], v154 offset:1184
	s_waitcnt vmcnt(57) lgkmcnt(1)
	v_mul_f64 v[182:183], v[97:98], v[155:156]
	v_mul_f64 v[155:156], v[99:100], v[155:156]
	s_waitcnt vmcnt(56)
	v_fma_f64 v[163:164], v[101:102], v[178:179], -v[163:164]
	v_add_f64 v[105:106], v[105:106], v[117:118]
	v_fma_f64 v[117:118], v[103:104], v[178:179], v[169:170]
	v_add_f64 v[107:108], v[107:108], v[111:112]
	s_clause 0x2
	buffer_load_dword v174, off, s[0:3], 0 offset:700
	buffer_load_dword v112, off, s[0:3], 0 offset:676
	buffer_load_dword v111, off, s[0:3], 0 offset:672
	ds_read_b128 v[101:104], v154 offset:1200
	s_waitcnt vmcnt(58) lgkmcnt(1)
	v_mul_f64 v[169:170], v[1:2], v[157:158]
	v_mul_f64 v[157:158], v[3:4], v[157:158]
	s_waitcnt vmcnt(56)
	v_fma_f64 v[155:156], v[97:98], v[113:114], -v[155:156]
	v_fma_f64 v[113:114], v[99:100], v[113:114], v[182:183]
	v_add_f64 v[105:106], v[105:106], v[163:164]
	;; [unrolled: 28-line block ×3, first 2 shown]
	v_add_f64 v[107:108], v[107:108], v[155:156]
	s_clause 0x2
	buffer_load_dword v156, off, s[0:3], 0 offset:748
	buffer_load_dword v155, off, s[0:3], 0 offset:744
	;; [unrolled: 1-line block ×3, first 2 shown]
	ds_read_b128 v[101:104], v154 offset:1248
	s_waitcnt vmcnt(55) lgkmcnt(1)
	v_mul_f64 v[157:158], v[1:2], v[115:116]
	v_mul_f64 v[115:116], v[3:4], v[115:116]
	s_waitcnt vmcnt(54)
	v_fma_f64 v[129:130], v[97:98], v[159:160], -v[129:130]
	v_add_f64 v[105:106], v[105:106], v[109:110]
	v_fma_f64 v[109:110], v[99:100], v[159:160], v[165:166]
	v_add_f64 v[107:108], v[107:108], v[119:120]
	s_clause 0x1
	buffer_load_dword v120, off, s[0:3], 0 offset:740
	buffer_load_dword v119, off, s[0:3], 0 offset:736
	s_waitcnt vmcnt(55) lgkmcnt(0)
	v_mul_f64 v[159:160], v[101:102], v[135:136]
	v_mul_f64 v[135:136], v[103:104], v[135:136]
	ds_read_b128 v[97:100], v154 offset:1264
	s_waitcnt vmcnt(53)
	v_fma_f64 v[115:116], v[1:2], v[125:126], -v[115:116]
	v_fma_f64 v[125:126], v[3:4], v[125:126], v[157:158]
	ds_read_b128 v[1:4], v154 offset:1280
	v_add_f64 v[105:106], v[105:106], v[129:130]
	v_add_f64 v[107:108], v[107:108], v[109:110]
	s_waitcnt vmcnt(49) lgkmcnt(1)
	v_mul_f64 v[109:110], v[97:98], v[121:122]
	v_mul_f64 v[121:122], v[99:100], v[121:122]
	s_waitcnt vmcnt(48)
	v_fma_f64 v[129:130], v[101:102], v[137:138], -v[135:136]
	v_add_f64 v[105:106], v[105:106], v[115:116]
	v_fma_f64 v[115:116], v[103:104], v[137:138], v[159:160]
	v_add_f64 v[107:108], v[107:108], v[125:126]
	s_clause 0x3
	buffer_load_dword v125, off, s[0:3], 0 offset:96
	buffer_load_dword v126, off, s[0:3], 0 offset:100
	;; [unrolled: 1-line block ×4, first 2 shown]
	ds_read_b128 v[101:104], v154 offset:1296
	s_waitcnt vmcnt(51) lgkmcnt(1)
	v_mul_f64 v[137:138], v[1:2], v[143:144]
	v_mul_f64 v[143:144], v[3:4], v[143:144]
	s_waitcnt vmcnt(49)
	v_fma_f64 v[121:122], v[97:98], v[123:124], -v[121:122]
	v_fma_f64 v[109:110], v[99:100], v[123:124], v[109:110]
	ds_read_b128 v[97:100], v154 offset:1312
	v_add_f64 v[105:106], v[105:106], v[129:130]
	v_add_f64 v[107:108], v[107:108], v[115:116]
	s_waitcnt vmcnt(45) lgkmcnt(1)
	v_mul_f64 v[115:116], v[101:102], v[127:128]
	v_mul_f64 v[123:124], v[103:104], v[127:128]
	s_waitcnt vmcnt(44)
	v_fma_f64 v[127:128], v[1:2], v[145:146], -v[143:144]
	v_add_f64 v[105:106], v[105:106], v[121:122]
	v_fma_f64 v[121:122], v[3:4], v[145:146], v[137:138]
	v_add_f64 v[107:108], v[107:108], v[109:110]
	ds_read_b128 v[1:4], v154 offset:1328
	s_waitcnt vmcnt(43) lgkmcnt(1)
	v_mul_f64 v[129:130], v[99:100], v[149:150]
	v_mul_f64 v[109:110], v[97:98], v[149:150]
	s_waitcnt vmcnt(41)
	v_fma_f64 v[123:124], v[101:102], v[131:132], -v[123:124]
	v_fma_f64 v[115:116], v[103:104], v[131:132], v[115:116]
	ds_read_b128 v[101:104], v154 offset:1344
	v_add_f64 v[105:106], v[105:106], v[127:128]
	v_add_f64 v[107:108], v[107:108], v[121:122]
	s_waitcnt vmcnt(37) lgkmcnt(1)
	v_mul_f64 v[127:128], v[3:4], v[133:134]
	s_waitcnt vmcnt(36)
	v_fma_f64 v[129:130], v[97:98], v[151:152], -v[129:130]
	v_mul_f64 v[121:122], v[1:2], v[133:134]
	v_fma_f64 v[109:110], v[99:100], v[151:152], v[109:110]
	ds_read_b128 v[97:100], v154 offset:1360
	v_add_f64 v[105:106], v[105:106], v[123:124]
	v_add_f64 v[107:108], v[107:108], v[115:116]
	s_waitcnt vmcnt(35) lgkmcnt(1)
	v_mul_f64 v[123:124], v[103:104], v[171:172]
	v_mul_f64 v[115:116], v[101:102], v[171:172]
	s_waitcnt vmcnt(33)
	v_fma_f64 v[127:128], v[1:2], v[139:140], -v[127:128]
	v_fma_f64 v[121:122], v[3:4], v[139:140], v[121:122]
	ds_read_b128 v[1:4], v154 offset:1376
	v_add_f64 v[105:106], v[105:106], v[129:130]
	v_add_f64 v[107:108], v[107:108], v[109:110]
	s_waitcnt vmcnt(29) lgkmcnt(1)
	v_mul_f64 v[129:130], v[99:100], v[141:142]
	s_waitcnt vmcnt(28)
	v_fma_f64 v[123:124], v[101:102], v[175:176], -v[123:124]
	v_mul_f64 v[109:110], v[97:98], v[141:142]
	v_fma_f64 v[115:116], v[103:104], v[175:176], v[115:116]
	ds_read_b128 v[101:104], v154 offset:1392
	v_add_f64 v[105:106], v[105:106], v[127:128]
	v_add_f64 v[107:108], v[107:108], v[121:122]
	;; [unrolled: 18-line block ×3, first 2 shown]
	s_waitcnt vmcnt(19) lgkmcnt(1)
	v_mul_f64 v[129:130], v[99:100], v[173:174]
	v_mul_f64 v[109:110], v[97:98], v[173:174]
	s_waitcnt vmcnt(17)
	v_fma_f64 v[123:124], v[101:102], v[111:112], -v[123:124]
	v_fma_f64 v[111:112], v[103:104], v[111:112], v[115:116]
	ds_read_b128 v[101:104], v154 offset:1440
	v_add_f64 v[105:106], v[105:106], v[127:128]
	v_add_f64 v[107:108], v[107:108], v[121:122]
	s_waitcnt vmcnt(13) lgkmcnt(1)
	v_mul_f64 v[115:116], v[1:2], v[117:118]
	v_mul_f64 v[117:118], v[3:4], v[117:118]
	s_waitcnt vmcnt(12)
	v_fma_f64 v[121:122], v[97:98], v[177:178], -v[129:130]
	v_fma_f64 v[109:110], v[99:100], v[177:178], v[109:110]
	ds_read_b128 v[97:100], v154 offset:1456
	v_add_f64 v[105:106], v[105:106], v[123:124]
	v_add_f64 v[107:108], v[107:108], v[111:112]
	s_waitcnt vmcnt(11) lgkmcnt(1)
	v_mul_f64 v[123:124], v[103:104], v[163:164]
	v_mul_f64 v[111:112], v[101:102], v[163:164]
	s_waitcnt vmcnt(9)
	v_fma_f64 v[1:2], v[1:2], v[113:114], -v[117:118]
	v_fma_f64 v[3:4], v[3:4], v[113:114], v[115:116]
	v_add_f64 v[105:106], v[105:106], v[121:122]
	v_add_f64 v[107:108], v[107:108], v[109:110]
	s_waitcnt vmcnt(7) lgkmcnt(0)
	v_mul_f64 v[113:114], v[99:100], v[155:156]
	s_waitcnt vmcnt(6)
	v_fma_f64 v[101:102], v[101:102], v[182:183], -v[123:124]
	v_mul_f64 v[109:110], v[97:98], v[155:156]
	v_fma_f64 v[103:104], v[103:104], v[182:183], v[111:112]
	v_add_f64 v[1:2], v[105:106], v[1:2]
	v_add_f64 v[3:4], v[107:108], v[3:4]
	s_waitcnt vmcnt(4)
	v_fma_f64 v[97:98], v[97:98], v[119:120], -v[113:114]
	v_fma_f64 v[99:100], v[99:100], v[119:120], v[109:110]
	v_add_f64 v[1:2], v[1:2], v[101:102]
	v_add_f64 v[3:4], v[3:4], v[103:104]
	v_add_f64 v[1:2], v[1:2], v[97:98]
	v_add_f64 v[3:4], v[3:4], v[99:100]
	s_waitcnt vmcnt(2)
	v_add_f64 v[1:2], v[125:126], -v[1:2]
	s_waitcnt vmcnt(0)
	v_add_f64 v[3:4], v[135:136], -v[3:4]
	buffer_store_dword v2, off, s[0:3], 0 offset:100
	buffer_store_dword v1, off, s[0:3], 0 offset:96
	;; [unrolled: 1-line block ×4, first 2 shown]
	v_cmpx_lt_u32_e32 4, v0
	s_cbranch_execz .LBB109_281
; %bb.280:
	v_mov_b32_e32 v4, s54
	v_mov_b32_e32 v97, 0
	s_clause 0x3
	buffer_load_dword v1, v4, s[0:3], 0 offen
	buffer_load_dword v2, v4, s[0:3], 0 offen offset:4
	buffer_load_dword v3, v4, s[0:3], 0 offen offset:8
	;; [unrolled: 1-line block ×3, first 2 shown]
	buffer_store_dword v97, off, s[0:3], 0 offset:80
	buffer_store_dword v97, off, s[0:3], 0 offset:84
	;; [unrolled: 1-line block ×4, first 2 shown]
	s_waitcnt vmcnt(0)
	ds_write_b128 v153, v[1:4]
.LBB109_281:
	s_or_b32 exec_lo, exec_lo, s4
	s_waitcnt lgkmcnt(0)
	s_waitcnt_vscnt null, 0x0
	s_barrier
	buffer_gl0_inv
	s_clause 0x37
	buffer_load_dword v101, off, s[0:3], 0 offset:104
	buffer_load_dword v102, off, s[0:3], 0 offset:108
	;; [unrolled: 1-line block ×56, first 2 shown]
	v_mov_b32_e32 v154, 0
	s_mov_b32 s4, exec_lo
	ds_read_b128 v[155:158], v154 offset:816
	s_clause 0x2
	buffer_load_dword v150, off, s[0:3], 0 offset:332
	buffer_load_dword v152, off, s[0:3], 0 offset:308
	buffer_load_dword v151, off, s[0:3], 0 offset:304
	ds_read_b128 v[159:162], v154 offset:832
	s_clause 0x4
	buffer_load_dword v170, off, s[0:3], 0 offset:348
	buffer_load_dword v171, off, s[0:3], 0 offset:360
	;; [unrolled: 1-line block ×5, first 2 shown]
	ds_read_b128 v[163:166], v154 offset:848
	s_clause 0x2
	buffer_load_dword v172, off, s[0:3], 0 offset:364
	buffer_load_dword v177, off, s[0:3], 0 offset:340
	;; [unrolled: 1-line block ×3, first 2 shown]
	s_waitcnt vmcnt(62) lgkmcnt(2)
	v_mul_f64 v[167:168], v[157:158], v[101:102]
	v_mul_f64 v[101:102], v[155:156], v[101:102]
	s_waitcnt lgkmcnt(1)
	v_mul_f64 v[174:175], v[161:162], v[97:98]
	s_waitcnt vmcnt(59) lgkmcnt(0)
	v_mul_f64 v[178:179], v[165:166], v[3:4]
	v_fma_f64 v[155:156], v[155:156], v[99:100], -v[167:168]
	v_mul_f64 v[167:168], v[159:160], v[97:98]
	v_fma_f64 v[101:102], v[157:158], v[99:100], v[101:102]
	s_waitcnt vmcnt(57)
	v_fma_f64 v[159:160], v[159:160], v[1:2], -v[174:175]
	ds_read_b128 v[97:100], v154 offset:864
	v_mul_f64 v[157:158], v[163:164], v[3:4]
	s_waitcnt vmcnt(51)
	v_fma_f64 v[163:164], v[163:164], v[117:118], -v[178:179]
	v_add_f64 v[155:156], v[155:156], 0
	v_fma_f64 v[161:162], v[161:162], v[1:2], v[167:168]
	v_add_f64 v[101:102], v[101:102], 0
	s_clause 0x4
	buffer_load_dword v168, off, s[0:3], 0 offset:380
	buffer_load_dword v180, off, s[0:3], 0 offset:392
	;; [unrolled: 1-line block ×5, first 2 shown]
	s_waitcnt lgkmcnt(0)
	v_mul_f64 v[183:184], v[97:98], v[105:106]
	v_mul_f64 v[105:106], v[99:100], v[105:106]
	ds_read_b128 v[1:4], v154 offset:880
	v_fma_f64 v[117:118], v[165:166], v[117:118], v[157:158]
	v_add_f64 v[159:160], v[155:156], v[159:160]
	v_add_f64 v[101:102], v[101:102], v[161:162]
	s_clause 0x2
	buffer_load_dword v181, off, s[0:3], 0 offset:396
	buffer_load_dword v162, off, s[0:3], 0 offset:372
	;; [unrolled: 1-line block ×3, first 2 shown]
	s_waitcnt vmcnt(58) lgkmcnt(0)
	v_mul_f64 v[165:166], v[1:2], v[109:110]
	v_mul_f64 v[109:110], v[3:4], v[109:110]
	s_waitcnt vmcnt(56)
	v_fma_f64 v[105:106], v[97:98], v[111:112], -v[105:106]
	ds_read_b128 v[155:158], v154 offset:896
	v_fma_f64 v[111:112], v[99:100], v[111:112], v[183:184]
	v_add_f64 v[159:160], v[159:160], v[163:164]
	v_add_f64 v[101:102], v[101:102], v[117:118]
	s_clause 0x4
	buffer_load_dword v118, off, s[0:3], 0 offset:412
	buffer_load_dword v163, off, s[0:3], 0 offset:424
	;; [unrolled: 1-line block ×5, first 2 shown]
	ds_read_b128 v[97:100], v154 offset:912
	s_waitcnt vmcnt(57) lgkmcnt(1)
	v_mul_f64 v[184:185], v[155:156], v[113:114]
	v_mul_f64 v[113:114], v[157:158], v[113:114]
	s_waitcnt vmcnt(56)
	v_fma_f64 v[109:110], v[1:2], v[103:104], -v[109:110]
	v_fma_f64 v[103:104], v[3:4], v[103:104], v[165:166]
	v_add_f64 v[105:106], v[159:160], v[105:106]
	v_add_f64 v[101:102], v[101:102], v[111:112]
	s_clause 0x2
	buffer_load_dword v164, off, s[0:3], 0 offset:428
	buffer_load_dword v112, off, s[0:3], 0 offset:404
	;; [unrolled: 1-line block ×3, first 2 shown]
	s_waitcnt vmcnt(58) lgkmcnt(0)
	v_mul_f64 v[159:160], v[97:98], v[119:120]
	v_mul_f64 v[119:120], v[99:100], v[119:120]
	s_waitcnt vmcnt(56)
	v_fma_f64 v[113:114], v[155:156], v[121:122], -v[113:114]
	ds_read_b128 v[1:4], v154 offset:928
	v_add_f64 v[105:106], v[105:106], v[109:110]
	v_fma_f64 v[109:110], v[157:158], v[121:122], v[184:185]
	v_add_f64 v[121:122], v[101:102], v[103:104]
	s_clause 0x4
	buffer_load_dword v156, off, s[0:3], 0 offset:444
	buffer_load_dword v157, off, s[0:3], 0 offset:456
	;; [unrolled: 1-line block ×5, first 2 shown]
	ds_read_b128 v[101:104], v154 offset:944
	s_waitcnt vmcnt(57) lgkmcnt(1)
	v_mul_f64 v[184:185], v[1:2], v[123:124]
	v_mul_f64 v[123:124], v[3:4], v[123:124]
	s_waitcnt vmcnt(56)
	v_fma_f64 v[119:120], v[97:98], v[107:108], -v[119:120]
	v_fma_f64 v[107:108], v[99:100], v[107:108], v[159:160]
	v_add_f64 v[105:106], v[105:106], v[113:114]
	s_clause 0x2
	buffer_load_dword v158, off, s[0:3], 0 offset:460
	buffer_load_dword v114, off, s[0:3], 0 offset:436
	;; [unrolled: 1-line block ×3, first 2 shown]
	v_add_f64 v[109:110], v[121:122], v[109:110]
	s_waitcnt vmcnt(58) lgkmcnt(0)
	v_mul_f64 v[121:122], v[101:102], v[127:128]
	v_mul_f64 v[127:128], v[103:104], v[127:128]
	ds_read_b128 v[97:100], v154 offset:960
	s_waitcnt vmcnt(56)
	v_fma_f64 v[123:124], v[1:2], v[129:130], -v[123:124]
	v_add_f64 v[105:106], v[105:106], v[119:120]
	v_fma_f64 v[119:120], v[3:4], v[129:130], v[184:185]
	v_add_f64 v[107:108], v[109:110], v[107:108]
	s_clause 0x4
	buffer_load_dword v110, off, s[0:3], 0 offset:476
	buffer_load_dword v129, off, s[0:3], 0 offset:488
	;; [unrolled: 1-line block ×5, first 2 shown]
	s_waitcnt vmcnt(57) lgkmcnt(0)
	v_mul_f64 v[184:185], v[97:98], v[131:132]
	v_mul_f64 v[131:132], v[99:100], v[131:132]
	s_waitcnt vmcnt(56)
	v_fma_f64 v[127:128], v[101:102], v[115:116], -v[127:128]
	ds_read_b128 v[1:4], v154 offset:976
	v_fma_f64 v[115:116], v[103:104], v[115:116], v[121:122]
	v_add_f64 v[105:106], v[105:106], v[123:124]
	v_add_f64 v[107:108], v[107:108], v[119:120]
	s_clause 0x2
	buffer_load_dword v130, off, s[0:3], 0 offset:492
	buffer_load_dword v120, off, s[0:3], 0 offset:468
	;; [unrolled: 1-line block ×3, first 2 shown]
	ds_read_b128 v[101:104], v154 offset:992
	s_waitcnt vmcnt(58) lgkmcnt(1)
	v_mul_f64 v[123:124], v[3:4], v[135:136]
	s_waitcnt vmcnt(56)
	v_fma_f64 v[131:132], v[97:98], v[137:138], -v[131:132]
	v_mul_f64 v[121:122], v[1:2], v[135:136]
	v_add_f64 v[105:106], v[105:106], v[127:128]
	v_fma_f64 v[127:128], v[99:100], v[137:138], v[184:185]
	v_add_f64 v[107:108], v[107:108], v[115:116]
	s_clause 0x4
	buffer_load_dword v116, off, s[0:3], 0 offset:508
	buffer_load_dword v135, off, s[0:3], 0 offset:520
	;; [unrolled: 1-line block ×5, first 2 shown]
	s_waitcnt vmcnt(57) lgkmcnt(0)
	v_mul_f64 v[184:185], v[101:102], v[139:140]
	v_mul_f64 v[138:139], v[103:104], v[139:140]
	s_waitcnt vmcnt(56)
	v_fma_f64 v[123:124], v[1:2], v[125:126], -v[123:124]
	ds_read_b128 v[97:100], v154 offset:1008
	v_fma_f64 v[121:122], v[3:4], v[125:126], v[121:122]
	s_clause 0x2
	buffer_load_dword v136, off, s[0:3], 0 offset:524
	buffer_load_dword v126, off, s[0:3], 0 offset:500
	;; [unrolled: 1-line block ×3, first 2 shown]
	ds_read_b128 v[1:4], v154 offset:1024
	v_add_f64 v[105:106], v[105:106], v[131:132]
	v_add_f64 v[107:108], v[107:108], v[127:128]
	s_waitcnt vmcnt(58) lgkmcnt(1)
	v_mul_f64 v[131:132], v[99:100], v[143:144]
	s_waitcnt vmcnt(56)
	v_fma_f64 v[139:140], v[101:102], v[145:146], -v[138:139]
	v_mul_f64 v[127:128], v[97:98], v[143:144]
	v_add_f64 v[105:106], v[105:106], v[123:124]
	v_fma_f64 v[123:124], v[103:104], v[145:146], v[184:185]
	v_add_f64 v[107:108], v[107:108], v[121:122]
	s_clause 0x4
	buffer_load_dword v122, off, s[0:3], 0 offset:540
	buffer_load_dword v143, off, s[0:3], 0 offset:552
	;; [unrolled: 1-line block ×5, first 2 shown]
	s_waitcnt vmcnt(57) lgkmcnt(0)
	v_mul_f64 v[184:185], v[1:2], v[147:148]
	v_mul_f64 v[146:147], v[3:4], v[147:148]
	s_waitcnt vmcnt(56)
	v_fma_f64 v[131:132], v[97:98], v[133:134], -v[131:132]
	ds_read_b128 v[101:104], v154 offset:1040
	v_fma_f64 v[127:128], v[99:100], v[133:134], v[127:128]
	v_add_f64 v[105:106], v[105:106], v[139:140]
	v_add_f64 v[107:108], v[107:108], v[123:124]
	s_clause 0x2
	buffer_load_dword v144, off, s[0:3], 0 offset:556
	buffer_load_dword v124, off, s[0:3], 0 offset:532
	;; [unrolled: 1-line block ×3, first 2 shown]
	ds_read_b128 v[97:100], v154 offset:1056
	s_waitcnt vmcnt(58) lgkmcnt(1)
	v_mul_f64 v[139:140], v[103:104], v[149:150]
	s_waitcnt vmcnt(56)
	v_fma_f64 v[147:148], v[1:2], v[151:152], -v[146:147]
	v_mul_f64 v[133:134], v[101:102], v[149:150]
	v_add_f64 v[105:106], v[105:106], v[131:132]
	v_fma_f64 v[131:132], v[3:4], v[151:152], v[184:185]
	v_add_f64 v[107:108], v[107:108], v[127:128]
	s_clause 0x4
	buffer_load_dword v128, off, s[0:3], 0 offset:572
	buffer_load_dword v149, off, s[0:3], 0 offset:584
	;; [unrolled: 1-line block ×5, first 2 shown]
	s_waitcnt vmcnt(57) lgkmcnt(0)
	v_mul_f64 v[184:185], v[97:98], v[169:170]
	v_mul_f64 v[169:170], v[99:100], v[169:170]
	s_waitcnt vmcnt(56)
	v_fma_f64 v[139:140], v[101:102], v[141:142], -v[139:140]
	ds_read_b128 v[1:4], v154 offset:1072
	v_fma_f64 v[133:134], v[103:104], v[141:142], v[133:134]
	v_add_f64 v[105:106], v[105:106], v[147:148]
	v_add_f64 v[107:108], v[107:108], v[131:132]
	s_clause 0x2
	buffer_load_dword v150, off, s[0:3], 0 offset:588
	buffer_load_dword v132, off, s[0:3], 0 offset:564
	;; [unrolled: 1-line block ×3, first 2 shown]
	ds_read_b128 v[101:104], v154 offset:1088
	s_waitcnt vmcnt(58) lgkmcnt(1)
	v_mul_f64 v[147:148], v[3:4], v[171:172]
	s_waitcnt vmcnt(56)
	v_fma_f64 v[169:170], v[97:98], v[176:177], -v[169:170]
	v_mul_f64 v[141:142], v[1:2], v[171:172]
	v_add_f64 v[105:106], v[105:106], v[139:140]
	v_fma_f64 v[139:140], v[99:100], v[176:177], v[184:185]
	v_add_f64 v[107:108], v[107:108], v[133:134]
	s_clause 0x4
	buffer_load_dword v134, off, s[0:3], 0 offset:604
	buffer_load_dword v171, off, s[0:3], 0 offset:616
	;; [unrolled: 1-line block ×5, first 2 shown]
	ds_read_b128 v[97:100], v154 offset:1104
	s_waitcnt vmcnt(57) lgkmcnt(1)
	v_mul_f64 v[176:177], v[101:102], v[167:168]
	v_mul_f64 v[167:168], v[103:104], v[167:168]
	s_waitcnt vmcnt(56)
	v_fma_f64 v[147:148], v[1:2], v[173:174], -v[147:148]
	v_fma_f64 v[141:142], v[3:4], v[173:174], v[141:142]
	v_add_f64 v[105:106], v[105:106], v[169:170]
	v_add_f64 v[107:108], v[107:108], v[139:140]
	s_clause 0x2
	buffer_load_dword v172, off, s[0:3], 0 offset:620
	buffer_load_dword v140, off, s[0:3], 0 offset:596
	;; [unrolled: 1-line block ×3, first 2 shown]
	ds_read_b128 v[1:4], v154 offset:1120
	s_waitcnt vmcnt(58) lgkmcnt(1)
	v_mul_f64 v[173:174], v[99:100], v[180:181]
	v_mul_f64 v[169:170], v[97:98], v[180:181]
	s_waitcnt vmcnt(56)
	v_fma_f64 v[167:168], v[101:102], v[161:162], -v[167:168]
	v_add_f64 v[105:106], v[105:106], v[147:148]
	v_fma_f64 v[147:148], v[103:104], v[161:162], v[176:177]
	v_add_f64 v[107:108], v[107:108], v[141:142]
	s_clause 0x4
	buffer_load_dword v142, off, s[0:3], 0 offset:636
	buffer_load_dword v161, off, s[0:3], 0 offset:648
	buffer_load_dword v180, off, s[0:3], 0 offset:640
	buffer_load_dword v141, off, s[0:3], 0 offset:632
	buffer_load_dword v176, off, s[0:3], 0 offset:612
	ds_read_b128 v[101:104], v154 offset:1136
	s_waitcnt vmcnt(57) lgkmcnt(1)
	v_mul_f64 v[184:185], v[1:2], v[117:118]
	v_mul_f64 v[117:118], v[3:4], v[117:118]
	s_waitcnt vmcnt(56)
	v_fma_f64 v[173:174], v[97:98], v[182:183], -v[173:174]
	v_add_f64 v[105:106], v[105:106], v[167:168]
	v_fma_f64 v[167:168], v[99:100], v[182:183], v[169:170]
	v_add_f64 v[107:108], v[107:108], v[147:148]
	s_clause 0x2
	buffer_load_dword v162, off, s[0:3], 0 offset:652
	buffer_load_dword v148, off, s[0:3], 0 offset:628
	buffer_load_dword v147, off, s[0:3], 0 offset:624
	ds_read_b128 v[97:100], v154 offset:1152
	s_waitcnt vmcnt(58) lgkmcnt(1)
	v_mul_f64 v[169:170], v[101:102], v[163:164]
	v_mul_f64 v[163:164], v[103:104], v[163:164]
	s_waitcnt vmcnt(56)
	v_fma_f64 v[117:118], v[1:2], v[111:112], -v[117:118]
	v_fma_f64 v[111:112], v[3:4], v[111:112], v[184:185]
	v_add_f64 v[105:106], v[105:106], v[173:174]
	v_add_f64 v[107:108], v[107:108], v[167:168]
	s_clause 0x4
	buffer_load_dword v168, off, s[0:3], 0 offset:668
	buffer_load_dword v173, off, s[0:3], 0 offset:680
	buffer_load_dword v177, off, s[0:3], 0 offset:672
	buffer_load_dword v167, off, s[0:3], 0 offset:664
	buffer_load_dword v181, off, s[0:3], 0 offset:644
	ds_read_b128 v[1:4], v154 offset:1168
	s_waitcnt vmcnt(57) lgkmcnt(1)
	v_mul_f64 v[182:183], v[97:98], v[155:156]
	v_mul_f64 v[155:156], v[99:100], v[155:156]
	s_waitcnt vmcnt(56)
	v_fma_f64 v[163:164], v[101:102], v[178:179], -v[163:164]
	v_add_f64 v[105:106], v[105:106], v[117:118]
	v_fma_f64 v[117:118], v[103:104], v[178:179], v[169:170]
	v_add_f64 v[107:108], v[107:108], v[111:112]
	s_clause 0x2
	buffer_load_dword v174, off, s[0:3], 0 offset:684
	buffer_load_dword v112, off, s[0:3], 0 offset:660
	buffer_load_dword v111, off, s[0:3], 0 offset:656
	ds_read_b128 v[101:104], v154 offset:1184
	s_waitcnt vmcnt(58) lgkmcnt(1)
	v_mul_f64 v[169:170], v[1:2], v[157:158]
	v_mul_f64 v[157:158], v[3:4], v[157:158]
	s_waitcnt vmcnt(56)
	v_fma_f64 v[155:156], v[97:98], v[113:114], -v[155:156]
	v_fma_f64 v[113:114], v[99:100], v[113:114], v[182:183]
	v_add_f64 v[105:106], v[105:106], v[163:164]
	;; [unrolled: 28-line block ×3, first 2 shown]
	v_add_f64 v[107:108], v[107:108], v[155:156]
	s_clause 0x4
	buffer_load_dword v156, off, s[0:3], 0 offset:732
	buffer_load_dword v157, off, s[0:3], 0 offset:744
	;; [unrolled: 1-line block ×5, first 2 shown]
	ds_read_b128 v[101:104], v154 offset:1232
	s_waitcnt vmcnt(57) lgkmcnt(1)
	v_mul_f64 v[184:185], v[1:2], v[115:116]
	v_mul_f64 v[115:116], v[3:4], v[115:116]
	s_waitcnt vmcnt(56)
	v_fma_f64 v[129:130], v[97:98], v[159:160], -v[129:130]
	v_add_f64 v[105:106], v[105:106], v[109:110]
	v_fma_f64 v[109:110], v[99:100], v[159:160], v[165:166]
	v_add_f64 v[107:108], v[107:108], v[119:120]
	s_clause 0x2
	buffer_load_dword v158, off, s[0:3], 0 offset:748
	buffer_load_dword v120, off, s[0:3], 0 offset:724
	;; [unrolled: 1-line block ×3, first 2 shown]
	s_waitcnt vmcnt(58) lgkmcnt(0)
	v_mul_f64 v[159:160], v[101:102], v[135:136]
	v_mul_f64 v[135:136], v[103:104], v[135:136]
	ds_read_b128 v[97:100], v154 offset:1248
	buffer_load_dword v170, off, s[0:3], 0 offset:740
	s_waitcnt vmcnt(57)
	v_fma_f64 v[115:116], v[1:2], v[125:126], -v[115:116]
	v_fma_f64 v[125:126], v[3:4], v[125:126], v[184:185]
	ds_read_b128 v[1:4], v154 offset:1264
	v_add_f64 v[105:106], v[105:106], v[129:130]
	v_add_f64 v[107:108], v[107:108], v[109:110]
	s_waitcnt vmcnt(53) lgkmcnt(1)
	v_mul_f64 v[109:110], v[97:98], v[121:122]
	v_mul_f64 v[121:122], v[99:100], v[121:122]
	s_waitcnt vmcnt(52)
	v_fma_f64 v[129:130], v[101:102], v[137:138], -v[135:136]
	v_add_f64 v[105:106], v[105:106], v[115:116]
	v_fma_f64 v[115:116], v[103:104], v[137:138], v[159:160]
	v_add_f64 v[107:108], v[107:108], v[125:126]
	ds_read_b128 v[101:104], v154 offset:1280
	s_waitcnt vmcnt(51) lgkmcnt(1)
	v_mul_f64 v[135:136], v[3:4], v[143:144]
	v_mul_f64 v[125:126], v[1:2], v[143:144]
	s_waitcnt vmcnt(49)
	v_fma_f64 v[121:122], v[97:98], v[123:124], -v[121:122]
	v_fma_f64 v[109:110], v[99:100], v[123:124], v[109:110]
	v_add_f64 v[105:106], v[105:106], v[129:130]
	v_add_f64 v[107:108], v[107:108], v[115:116]
	s_clause 0x3
	buffer_load_dword v115, off, s[0:3], 0 offset:80
	buffer_load_dword v116, off, s[0:3], 0 offset:84
	;; [unrolled: 1-line block ×4, first 2 shown]
	ds_read_b128 v[97:100], v154 offset:1296
	s_waitcnt vmcnt(49) lgkmcnt(1)
	v_mul_f64 v[129:130], v[101:102], v[127:128]
	v_mul_f64 v[127:128], v[103:104], v[127:128]
	s_waitcnt vmcnt(48)
	v_fma_f64 v[135:136], v[1:2], v[145:146], -v[135:136]
	v_add_f64 v[105:106], v[105:106], v[121:122]
	v_fma_f64 v[121:122], v[3:4], v[145:146], v[125:126]
	v_add_f64 v[107:108], v[107:108], v[109:110]
	ds_read_b128 v[1:4], v154 offset:1312
	s_waitcnt vmcnt(47) lgkmcnt(1)
	v_mul_f64 v[125:126], v[99:100], v[149:150]
	v_mul_f64 v[109:110], v[97:98], v[149:150]
	s_waitcnt vmcnt(45)
	v_fma_f64 v[127:128], v[101:102], v[131:132], -v[127:128]
	v_fma_f64 v[129:130], v[103:104], v[131:132], v[129:130]
	ds_read_b128 v[101:104], v154 offset:1328
	v_add_f64 v[105:106], v[105:106], v[135:136]
	v_add_f64 v[107:108], v[107:108], v[121:122]
	s_waitcnt vmcnt(41) lgkmcnt(1)
	v_mul_f64 v[131:132], v[3:4], v[133:134]
	s_waitcnt vmcnt(40)
	v_fma_f64 v[125:126], v[97:98], v[151:152], -v[125:126]
	v_mul_f64 v[121:122], v[1:2], v[133:134]
	v_fma_f64 v[109:110], v[99:100], v[151:152], v[109:110]
	ds_read_b128 v[97:100], v154 offset:1344
	v_add_f64 v[105:106], v[105:106], v[127:128]
	v_add_f64 v[107:108], v[107:108], v[129:130]
	s_waitcnt vmcnt(39) lgkmcnt(1)
	v_mul_f64 v[129:130], v[103:104], v[171:172]
	v_mul_f64 v[127:128], v[101:102], v[171:172]
	s_waitcnt vmcnt(37)
	v_fma_f64 v[131:132], v[1:2], v[139:140], -v[131:132]
	v_fma_f64 v[121:122], v[3:4], v[139:140], v[121:122]
	ds_read_b128 v[1:4], v154 offset:1360
	v_add_f64 v[105:106], v[105:106], v[125:126]
	v_add_f64 v[107:108], v[107:108], v[109:110]
	s_waitcnt vmcnt(33) lgkmcnt(1)
	v_mul_f64 v[125:126], v[99:100], v[141:142]
	s_waitcnt vmcnt(32)
	v_fma_f64 v[129:130], v[101:102], v[175:176], -v[129:130]
	v_mul_f64 v[109:110], v[97:98], v[141:142]
	v_fma_f64 v[127:128], v[103:104], v[175:176], v[127:128]
	ds_read_b128 v[101:104], v154 offset:1376
	v_add_f64 v[105:106], v[105:106], v[131:132]
	v_add_f64 v[107:108], v[107:108], v[121:122]
	;; [unrolled: 18-line block ×3, first 2 shown]
	s_waitcnt vmcnt(23) lgkmcnt(1)
	v_mul_f64 v[125:126], v[99:100], v[173:174]
	v_mul_f64 v[109:110], v[97:98], v[173:174]
	s_waitcnt vmcnt(21)
	v_fma_f64 v[129:130], v[101:102], v[111:112], -v[129:130]
	v_fma_f64 v[111:112], v[103:104], v[111:112], v[127:128]
	ds_read_b128 v[101:104], v154 offset:1424
	v_add_f64 v[105:106], v[105:106], v[131:132]
	v_add_f64 v[107:108], v[107:108], v[121:122]
	s_waitcnt vmcnt(17) lgkmcnt(1)
	v_mul_f64 v[121:122], v[1:2], v[117:118]
	v_mul_f64 v[117:118], v[3:4], v[117:118]
	s_waitcnt vmcnt(16)
	v_fma_f64 v[125:126], v[97:98], v[177:178], -v[125:126]
	v_fma_f64 v[109:110], v[99:100], v[177:178], v[109:110]
	ds_read_b128 v[97:100], v154 offset:1440
	v_add_f64 v[105:106], v[105:106], v[129:130]
	v_add_f64 v[107:108], v[107:108], v[111:112]
	;; [unrolled: 9-line block ×3, first 2 shown]
	s_waitcnt vmcnt(9) lgkmcnt(1)
	v_mul_f64 v[121:122], v[99:100], v[155:156]
	s_waitcnt vmcnt(8)
	v_fma_f64 v[101:102], v[101:102], v[182:183], -v[127:128]
	v_mul_f64 v[109:110], v[97:98], v[155:156]
	v_fma_f64 v[103:104], v[103:104], v[182:183], v[111:112]
	v_add_f64 v[105:106], v[105:106], v[117:118]
	v_add_f64 v[107:108], v[107:108], v[113:114]
	s_waitcnt vmcnt(7) lgkmcnt(0)
	v_mul_f64 v[113:114], v[3:4], v[157:158]
	v_mul_f64 v[111:112], v[1:2], v[157:158]
	s_waitcnt vmcnt(5)
	v_fma_f64 v[97:98], v[97:98], v[119:120], -v[121:122]
	v_fma_f64 v[99:100], v[99:100], v[119:120], v[109:110]
	v_add_f64 v[101:102], v[105:106], v[101:102]
	v_add_f64 v[103:104], v[107:108], v[103:104]
	s_waitcnt vmcnt(4)
	v_fma_f64 v[1:2], v[1:2], v[169:170], -v[113:114]
	v_fma_f64 v[3:4], v[3:4], v[169:170], v[111:112]
	v_add_f64 v[97:98], v[101:102], v[97:98]
	v_add_f64 v[99:100], v[103:104], v[99:100]
	;; [unrolled: 1-line block ×4, first 2 shown]
	s_waitcnt vmcnt(2)
	v_add_f64 v[1:2], v[115:116], -v[1:2]
	s_waitcnt vmcnt(0)
	v_add_f64 v[3:4], v[123:124], -v[3:4]
	buffer_store_dword v2, off, s[0:3], 0 offset:84
	buffer_store_dword v1, off, s[0:3], 0 offset:80
	;; [unrolled: 1-line block ×4, first 2 shown]
	v_cmpx_lt_u32_e32 3, v0
	s_cbranch_execz .LBB109_283
; %bb.282:
	v_mov_b32_e32 v4, s55
	s_clause 0x3
	buffer_load_dword v1, v4, s[0:3], 0 offen
	buffer_load_dword v2, v4, s[0:3], 0 offen offset:4
	buffer_load_dword v3, v4, s[0:3], 0 offen offset:8
	;; [unrolled: 1-line block ×3, first 2 shown]
	buffer_store_dword v154, off, s[0:3], 0 offset:64
	buffer_store_dword v154, off, s[0:3], 0 offset:68
	;; [unrolled: 1-line block ×4, first 2 shown]
	s_waitcnt vmcnt(0)
	ds_write_b128 v153, v[1:4]
.LBB109_283:
	s_or_b32 exec_lo, exec_lo, s4
	s_waitcnt lgkmcnt(0)
	s_waitcnt_vscnt null, 0x0
	s_barrier
	buffer_gl0_inv
	s_clause 0x37
	buffer_load_dword v101, off, s[0:3], 0 offset:88
	buffer_load_dword v102, off, s[0:3], 0 offset:92
	;; [unrolled: 1-line block ×56, first 2 shown]
	ds_read_b128 v[155:158], v154 offset:800
	s_clause 0x2
	buffer_load_dword v150, off, s[0:3], 0 offset:316
	buffer_load_dword v152, off, s[0:3], 0 offset:292
	;; [unrolled: 1-line block ×3, first 2 shown]
	ds_read_b128 v[159:162], v154 offset:816
	s_clause 0x4
	buffer_load_dword v170, off, s[0:3], 0 offset:332
	buffer_load_dword v171, off, s[0:3], 0 offset:344
	;; [unrolled: 1-line block ×5, first 2 shown]
	ds_read_b128 v[163:166], v154 offset:832
	s_clause 0x2
	buffer_load_dword v172, off, s[0:3], 0 offset:348
	buffer_load_dword v177, off, s[0:3], 0 offset:324
	;; [unrolled: 1-line block ×3, first 2 shown]
	s_mov_b32 s4, exec_lo
	s_waitcnt vmcnt(62) lgkmcnt(2)
	v_mul_f64 v[167:168], v[157:158], v[101:102]
	v_mul_f64 v[101:102], v[155:156], v[101:102]
	s_waitcnt lgkmcnt(1)
	v_mul_f64 v[174:175], v[161:162], v[97:98]
	s_waitcnt vmcnt(59) lgkmcnt(0)
	v_mul_f64 v[178:179], v[165:166], v[3:4]
	v_fma_f64 v[155:156], v[155:156], v[99:100], -v[167:168]
	v_mul_f64 v[167:168], v[159:160], v[97:98]
	v_fma_f64 v[101:102], v[157:158], v[99:100], v[101:102]
	s_waitcnt vmcnt(57)
	v_fma_f64 v[159:160], v[159:160], v[1:2], -v[174:175]
	ds_read_b128 v[97:100], v154 offset:848
	v_mul_f64 v[157:158], v[163:164], v[3:4]
	s_waitcnt vmcnt(51)
	v_fma_f64 v[163:164], v[163:164], v[117:118], -v[178:179]
	v_add_f64 v[155:156], v[155:156], 0
	v_fma_f64 v[161:162], v[161:162], v[1:2], v[167:168]
	v_add_f64 v[101:102], v[101:102], 0
	s_clause 0x4
	buffer_load_dword v168, off, s[0:3], 0 offset:364
	buffer_load_dword v180, off, s[0:3], 0 offset:376
	;; [unrolled: 1-line block ×5, first 2 shown]
	s_waitcnt lgkmcnt(0)
	v_mul_f64 v[183:184], v[97:98], v[105:106]
	v_mul_f64 v[105:106], v[99:100], v[105:106]
	ds_read_b128 v[1:4], v154 offset:864
	v_fma_f64 v[117:118], v[165:166], v[117:118], v[157:158]
	v_add_f64 v[159:160], v[155:156], v[159:160]
	v_add_f64 v[101:102], v[101:102], v[161:162]
	s_clause 0x2
	buffer_load_dword v181, off, s[0:3], 0 offset:380
	buffer_load_dword v162, off, s[0:3], 0 offset:356
	;; [unrolled: 1-line block ×3, first 2 shown]
	s_waitcnt vmcnt(58) lgkmcnt(0)
	v_mul_f64 v[165:166], v[1:2], v[109:110]
	v_mul_f64 v[109:110], v[3:4], v[109:110]
	s_waitcnt vmcnt(56)
	v_fma_f64 v[105:106], v[97:98], v[111:112], -v[105:106]
	ds_read_b128 v[155:158], v154 offset:880
	v_fma_f64 v[111:112], v[99:100], v[111:112], v[183:184]
	v_add_f64 v[159:160], v[159:160], v[163:164]
	v_add_f64 v[101:102], v[101:102], v[117:118]
	s_clause 0x4
	buffer_load_dword v118, off, s[0:3], 0 offset:396
	buffer_load_dword v163, off, s[0:3], 0 offset:408
	;; [unrolled: 1-line block ×5, first 2 shown]
	ds_read_b128 v[97:100], v154 offset:896
	s_waitcnt vmcnt(57) lgkmcnt(1)
	v_mul_f64 v[184:185], v[155:156], v[113:114]
	v_mul_f64 v[113:114], v[157:158], v[113:114]
	s_waitcnt vmcnt(56)
	v_fma_f64 v[109:110], v[1:2], v[103:104], -v[109:110]
	v_fma_f64 v[103:104], v[3:4], v[103:104], v[165:166]
	v_add_f64 v[105:106], v[159:160], v[105:106]
	v_add_f64 v[101:102], v[101:102], v[111:112]
	s_clause 0x2
	buffer_load_dword v164, off, s[0:3], 0 offset:412
	buffer_load_dword v112, off, s[0:3], 0 offset:388
	;; [unrolled: 1-line block ×3, first 2 shown]
	s_waitcnt vmcnt(58) lgkmcnt(0)
	v_mul_f64 v[159:160], v[97:98], v[119:120]
	v_mul_f64 v[119:120], v[99:100], v[119:120]
	s_waitcnt vmcnt(56)
	v_fma_f64 v[113:114], v[155:156], v[121:122], -v[113:114]
	ds_read_b128 v[1:4], v154 offset:912
	v_add_f64 v[105:106], v[105:106], v[109:110]
	v_fma_f64 v[109:110], v[157:158], v[121:122], v[184:185]
	v_add_f64 v[121:122], v[101:102], v[103:104]
	s_clause 0x4
	buffer_load_dword v156, off, s[0:3], 0 offset:428
	buffer_load_dword v157, off, s[0:3], 0 offset:440
	buffer_load_dword v165, off, s[0:3], 0 offset:432
	buffer_load_dword v155, off, s[0:3], 0 offset:424
	buffer_load_dword v179, off, s[0:3], 0 offset:404
	ds_read_b128 v[101:104], v154 offset:928
	s_waitcnt vmcnt(57) lgkmcnt(1)
	v_mul_f64 v[184:185], v[1:2], v[123:124]
	v_mul_f64 v[123:124], v[3:4], v[123:124]
	s_waitcnt vmcnt(56)
	v_fma_f64 v[119:120], v[97:98], v[107:108], -v[119:120]
	v_fma_f64 v[107:108], v[99:100], v[107:108], v[159:160]
	v_add_f64 v[105:106], v[105:106], v[113:114]
	s_clause 0x2
	buffer_load_dword v158, off, s[0:3], 0 offset:444
	buffer_load_dword v114, off, s[0:3], 0 offset:420
	;; [unrolled: 1-line block ×3, first 2 shown]
	v_add_f64 v[109:110], v[121:122], v[109:110]
	s_waitcnt vmcnt(58) lgkmcnt(0)
	v_mul_f64 v[121:122], v[101:102], v[127:128]
	v_mul_f64 v[127:128], v[103:104], v[127:128]
	ds_read_b128 v[97:100], v154 offset:944
	s_waitcnt vmcnt(56)
	v_fma_f64 v[123:124], v[1:2], v[129:130], -v[123:124]
	v_add_f64 v[105:106], v[105:106], v[119:120]
	v_fma_f64 v[119:120], v[3:4], v[129:130], v[184:185]
	v_add_f64 v[107:108], v[109:110], v[107:108]
	s_clause 0x4
	buffer_load_dword v110, off, s[0:3], 0 offset:460
	buffer_load_dword v129, off, s[0:3], 0 offset:472
	;; [unrolled: 1-line block ×5, first 2 shown]
	s_waitcnt vmcnt(57) lgkmcnt(0)
	v_mul_f64 v[184:185], v[97:98], v[131:132]
	v_mul_f64 v[131:132], v[99:100], v[131:132]
	s_waitcnt vmcnt(56)
	v_fma_f64 v[127:128], v[101:102], v[115:116], -v[127:128]
	ds_read_b128 v[1:4], v154 offset:960
	v_fma_f64 v[115:116], v[103:104], v[115:116], v[121:122]
	v_add_f64 v[105:106], v[105:106], v[123:124]
	v_add_f64 v[107:108], v[107:108], v[119:120]
	s_clause 0x2
	buffer_load_dword v130, off, s[0:3], 0 offset:476
	buffer_load_dword v120, off, s[0:3], 0 offset:452
	buffer_load_dword v119, off, s[0:3], 0 offset:448
	ds_read_b128 v[101:104], v154 offset:976
	s_waitcnt vmcnt(58) lgkmcnt(1)
	v_mul_f64 v[123:124], v[3:4], v[135:136]
	s_waitcnt vmcnt(56)
	v_fma_f64 v[131:132], v[97:98], v[137:138], -v[131:132]
	v_mul_f64 v[121:122], v[1:2], v[135:136]
	v_add_f64 v[105:106], v[105:106], v[127:128]
	v_fma_f64 v[127:128], v[99:100], v[137:138], v[184:185]
	v_add_f64 v[107:108], v[107:108], v[115:116]
	s_clause 0x4
	buffer_load_dword v116, off, s[0:3], 0 offset:492
	buffer_load_dword v135, off, s[0:3], 0 offset:504
	;; [unrolled: 1-line block ×5, first 2 shown]
	s_waitcnt vmcnt(57) lgkmcnt(0)
	v_mul_f64 v[184:185], v[101:102], v[139:140]
	v_mul_f64 v[138:139], v[103:104], v[139:140]
	s_waitcnt vmcnt(56)
	v_fma_f64 v[123:124], v[1:2], v[125:126], -v[123:124]
	ds_read_b128 v[97:100], v154 offset:992
	v_fma_f64 v[121:122], v[3:4], v[125:126], v[121:122]
	s_clause 0x2
	buffer_load_dword v136, off, s[0:3], 0 offset:508
	buffer_load_dword v126, off, s[0:3], 0 offset:484
	;; [unrolled: 1-line block ×3, first 2 shown]
	ds_read_b128 v[1:4], v154 offset:1008
	v_add_f64 v[105:106], v[105:106], v[131:132]
	v_add_f64 v[107:108], v[107:108], v[127:128]
	s_waitcnt vmcnt(58) lgkmcnt(1)
	v_mul_f64 v[131:132], v[99:100], v[143:144]
	s_waitcnt vmcnt(56)
	v_fma_f64 v[139:140], v[101:102], v[145:146], -v[138:139]
	v_mul_f64 v[127:128], v[97:98], v[143:144]
	v_add_f64 v[105:106], v[105:106], v[123:124]
	v_fma_f64 v[123:124], v[103:104], v[145:146], v[184:185]
	v_add_f64 v[107:108], v[107:108], v[121:122]
	s_clause 0x4
	buffer_load_dword v122, off, s[0:3], 0 offset:524
	buffer_load_dword v143, off, s[0:3], 0 offset:536
	;; [unrolled: 1-line block ×5, first 2 shown]
	s_waitcnt vmcnt(57) lgkmcnt(0)
	v_mul_f64 v[184:185], v[1:2], v[147:148]
	v_mul_f64 v[146:147], v[3:4], v[147:148]
	s_waitcnt vmcnt(56)
	v_fma_f64 v[131:132], v[97:98], v[133:134], -v[131:132]
	ds_read_b128 v[101:104], v154 offset:1024
	v_fma_f64 v[127:128], v[99:100], v[133:134], v[127:128]
	v_add_f64 v[105:106], v[105:106], v[139:140]
	v_add_f64 v[107:108], v[107:108], v[123:124]
	s_clause 0x2
	buffer_load_dword v144, off, s[0:3], 0 offset:540
	buffer_load_dword v124, off, s[0:3], 0 offset:516
	;; [unrolled: 1-line block ×3, first 2 shown]
	ds_read_b128 v[97:100], v154 offset:1040
	s_waitcnt vmcnt(58) lgkmcnt(1)
	v_mul_f64 v[139:140], v[103:104], v[149:150]
	s_waitcnt vmcnt(56)
	v_fma_f64 v[147:148], v[1:2], v[151:152], -v[146:147]
	v_mul_f64 v[133:134], v[101:102], v[149:150]
	v_add_f64 v[105:106], v[105:106], v[131:132]
	v_fma_f64 v[131:132], v[3:4], v[151:152], v[184:185]
	v_add_f64 v[107:108], v[107:108], v[127:128]
	s_clause 0x4
	buffer_load_dword v128, off, s[0:3], 0 offset:556
	buffer_load_dword v149, off, s[0:3], 0 offset:568
	;; [unrolled: 1-line block ×5, first 2 shown]
	s_waitcnt vmcnt(57) lgkmcnt(0)
	v_mul_f64 v[184:185], v[97:98], v[169:170]
	v_mul_f64 v[169:170], v[99:100], v[169:170]
	s_waitcnt vmcnt(56)
	v_fma_f64 v[139:140], v[101:102], v[141:142], -v[139:140]
	ds_read_b128 v[1:4], v154 offset:1056
	v_fma_f64 v[133:134], v[103:104], v[141:142], v[133:134]
	v_add_f64 v[105:106], v[105:106], v[147:148]
	v_add_f64 v[107:108], v[107:108], v[131:132]
	s_clause 0x2
	buffer_load_dword v150, off, s[0:3], 0 offset:572
	buffer_load_dword v132, off, s[0:3], 0 offset:548
	buffer_load_dword v131, off, s[0:3], 0 offset:544
	ds_read_b128 v[101:104], v154 offset:1072
	s_waitcnt vmcnt(58) lgkmcnt(1)
	v_mul_f64 v[147:148], v[3:4], v[171:172]
	s_waitcnt vmcnt(56)
	v_fma_f64 v[169:170], v[97:98], v[176:177], -v[169:170]
	v_mul_f64 v[141:142], v[1:2], v[171:172]
	v_add_f64 v[105:106], v[105:106], v[139:140]
	v_fma_f64 v[139:140], v[99:100], v[176:177], v[184:185]
	v_add_f64 v[107:108], v[107:108], v[133:134]
	s_clause 0x4
	buffer_load_dword v134, off, s[0:3], 0 offset:588
	buffer_load_dword v171, off, s[0:3], 0 offset:600
	;; [unrolled: 1-line block ×5, first 2 shown]
	ds_read_b128 v[97:100], v154 offset:1088
	s_waitcnt vmcnt(57) lgkmcnt(1)
	v_mul_f64 v[176:177], v[101:102], v[167:168]
	v_mul_f64 v[167:168], v[103:104], v[167:168]
	s_waitcnt vmcnt(56)
	v_fma_f64 v[147:148], v[1:2], v[173:174], -v[147:148]
	v_fma_f64 v[141:142], v[3:4], v[173:174], v[141:142]
	v_add_f64 v[105:106], v[105:106], v[169:170]
	v_add_f64 v[107:108], v[107:108], v[139:140]
	s_clause 0x2
	buffer_load_dword v172, off, s[0:3], 0 offset:604
	buffer_load_dword v140, off, s[0:3], 0 offset:580
	buffer_load_dword v139, off, s[0:3], 0 offset:576
	ds_read_b128 v[1:4], v154 offset:1104
	s_waitcnt vmcnt(58) lgkmcnt(1)
	v_mul_f64 v[173:174], v[99:100], v[180:181]
	v_mul_f64 v[169:170], v[97:98], v[180:181]
	s_waitcnt vmcnt(56)
	v_fma_f64 v[167:168], v[101:102], v[161:162], -v[167:168]
	v_add_f64 v[105:106], v[105:106], v[147:148]
	v_fma_f64 v[147:148], v[103:104], v[161:162], v[176:177]
	v_add_f64 v[107:108], v[107:108], v[141:142]
	s_clause 0x4
	buffer_load_dword v142, off, s[0:3], 0 offset:620
	buffer_load_dword v161, off, s[0:3], 0 offset:632
	buffer_load_dword v180, off, s[0:3], 0 offset:624
	buffer_load_dword v141, off, s[0:3], 0 offset:616
	buffer_load_dword v176, off, s[0:3], 0 offset:596
	ds_read_b128 v[101:104], v154 offset:1120
	s_waitcnt vmcnt(57) lgkmcnt(1)
	v_mul_f64 v[184:185], v[1:2], v[117:118]
	v_mul_f64 v[117:118], v[3:4], v[117:118]
	s_waitcnt vmcnt(56)
	v_fma_f64 v[173:174], v[97:98], v[182:183], -v[173:174]
	v_add_f64 v[105:106], v[105:106], v[167:168]
	v_fma_f64 v[167:168], v[99:100], v[182:183], v[169:170]
	v_add_f64 v[107:108], v[107:108], v[147:148]
	s_clause 0x2
	buffer_load_dword v162, off, s[0:3], 0 offset:636
	buffer_load_dword v148, off, s[0:3], 0 offset:612
	buffer_load_dword v147, off, s[0:3], 0 offset:608
	ds_read_b128 v[97:100], v154 offset:1136
	s_waitcnt vmcnt(58) lgkmcnt(1)
	v_mul_f64 v[169:170], v[101:102], v[163:164]
	v_mul_f64 v[163:164], v[103:104], v[163:164]
	s_waitcnt vmcnt(56)
	v_fma_f64 v[117:118], v[1:2], v[111:112], -v[117:118]
	v_fma_f64 v[111:112], v[3:4], v[111:112], v[184:185]
	v_add_f64 v[105:106], v[105:106], v[173:174]
	v_add_f64 v[107:108], v[107:108], v[167:168]
	s_clause 0x4
	buffer_load_dword v168, off, s[0:3], 0 offset:652
	buffer_load_dword v173, off, s[0:3], 0 offset:664
	buffer_load_dword v177, off, s[0:3], 0 offset:656
	buffer_load_dword v167, off, s[0:3], 0 offset:648
	buffer_load_dword v181, off, s[0:3], 0 offset:628
	ds_read_b128 v[1:4], v154 offset:1152
	s_waitcnt vmcnt(57) lgkmcnt(1)
	v_mul_f64 v[182:183], v[97:98], v[155:156]
	v_mul_f64 v[155:156], v[99:100], v[155:156]
	s_waitcnt vmcnt(56)
	v_fma_f64 v[163:164], v[101:102], v[178:179], -v[163:164]
	v_add_f64 v[105:106], v[105:106], v[117:118]
	v_fma_f64 v[117:118], v[103:104], v[178:179], v[169:170]
	v_add_f64 v[107:108], v[107:108], v[111:112]
	s_clause 0x2
	buffer_load_dword v174, off, s[0:3], 0 offset:668
	buffer_load_dword v112, off, s[0:3], 0 offset:644
	buffer_load_dword v111, off, s[0:3], 0 offset:640
	ds_read_b128 v[101:104], v154 offset:1168
	s_waitcnt vmcnt(58) lgkmcnt(1)
	v_mul_f64 v[169:170], v[1:2], v[157:158]
	v_mul_f64 v[157:158], v[3:4], v[157:158]
	s_waitcnt vmcnt(56)
	v_fma_f64 v[155:156], v[97:98], v[113:114], -v[155:156]
	v_fma_f64 v[113:114], v[99:100], v[113:114], v[182:183]
	v_add_f64 v[105:106], v[105:106], v[163:164]
	;; [unrolled: 28-line block ×3, first 2 shown]
	v_add_f64 v[107:108], v[107:108], v[155:156]
	s_clause 0x4
	buffer_load_dword v156, off, s[0:3], 0 offset:716
	buffer_load_dword v157, off, s[0:3], 0 offset:728
	;; [unrolled: 1-line block ×5, first 2 shown]
	ds_read_b128 v[101:104], v154 offset:1216
	s_waitcnt vmcnt(57) lgkmcnt(1)
	v_mul_f64 v[184:185], v[1:2], v[115:116]
	v_mul_f64 v[115:116], v[3:4], v[115:116]
	s_waitcnt vmcnt(56)
	v_fma_f64 v[129:130], v[97:98], v[159:160], -v[129:130]
	v_add_f64 v[105:106], v[105:106], v[109:110]
	v_fma_f64 v[109:110], v[99:100], v[159:160], v[165:166]
	v_add_f64 v[107:108], v[107:108], v[119:120]
	s_clause 0x2
	buffer_load_dword v158, off, s[0:3], 0 offset:732
	buffer_load_dword v120, off, s[0:3], 0 offset:708
	;; [unrolled: 1-line block ×3, first 2 shown]
	s_waitcnt vmcnt(58) lgkmcnt(0)
	v_mul_f64 v[159:160], v[101:102], v[135:136]
	v_mul_f64 v[135:136], v[103:104], v[135:136]
	ds_read_b128 v[97:100], v154 offset:1232
	s_waitcnt vmcnt(56)
	v_fma_f64 v[115:116], v[1:2], v[125:126], -v[115:116]
	v_fma_f64 v[125:126], v[3:4], v[125:126], v[184:185]
	v_add_f64 v[105:106], v[105:106], v[129:130]
	v_add_f64 v[107:108], v[107:108], v[109:110]
	s_clause 0x2
	buffer_load_dword v110, off, s[0:3], 0 offset:748
	buffer_load_dword v109, off, s[0:3], 0 offset:744
	;; [unrolled: 1-line block ×3, first 2 shown]
	ds_read_b128 v[1:4], v154 offset:1248
	s_waitcnt vmcnt(55) lgkmcnt(1)
	v_mul_f64 v[129:130], v[97:98], v[121:122]
	v_mul_f64 v[121:122], v[99:100], v[121:122]
	s_waitcnt vmcnt(54)
	v_fma_f64 v[135:136], v[101:102], v[137:138], -v[135:136]
	v_add_f64 v[105:106], v[105:106], v[115:116]
	v_fma_f64 v[115:116], v[103:104], v[137:138], v[159:160]
	v_add_f64 v[107:108], v[107:108], v[125:126]
	s_clause 0x1
	buffer_load_dword v126, off, s[0:3], 0 offset:740
	buffer_load_dword v125, off, s[0:3], 0 offset:736
	ds_read_b128 v[101:104], v154 offset:1264
	s_waitcnt vmcnt(55) lgkmcnt(1)
	v_mul_f64 v[137:138], v[1:2], v[143:144]
	v_mul_f64 v[143:144], v[3:4], v[143:144]
	s_waitcnt vmcnt(53)
	v_fma_f64 v[121:122], v[97:98], v[123:124], -v[121:122]
	v_fma_f64 v[123:124], v[99:100], v[123:124], v[129:130]
	ds_read_b128 v[97:100], v154 offset:1280
	v_add_f64 v[105:106], v[105:106], v[135:136]
	v_add_f64 v[107:108], v[107:108], v[115:116]
	s_waitcnt vmcnt(49) lgkmcnt(1)
	v_mul_f64 v[115:116], v[101:102], v[127:128]
	v_mul_f64 v[127:128], v[103:104], v[127:128]
	s_waitcnt vmcnt(48)
	v_fma_f64 v[129:130], v[1:2], v[145:146], -v[143:144]
	v_add_f64 v[105:106], v[105:106], v[121:122]
	v_fma_f64 v[121:122], v[3:4], v[145:146], v[137:138]
	v_add_f64 v[107:108], v[107:108], v[123:124]
	s_clause 0x3
	buffer_load_dword v123, off, s[0:3], 0 offset:64
	buffer_load_dword v124, off, s[0:3], 0 offset:68
	;; [unrolled: 1-line block ×4, first 2 shown]
	ds_read_b128 v[1:4], v154 offset:1296
	s_waitcnt vmcnt(51) lgkmcnt(1)
	v_mul_f64 v[143:144], v[99:100], v[149:150]
	v_mul_f64 v[137:138], v[97:98], v[149:150]
	s_waitcnt vmcnt(49)
	v_fma_f64 v[127:128], v[101:102], v[131:132], -v[127:128]
	v_fma_f64 v[115:116], v[103:104], v[131:132], v[115:116]
	ds_read_b128 v[101:104], v154 offset:1312
	v_add_f64 v[105:106], v[105:106], v[129:130]
	v_add_f64 v[107:108], v[107:108], v[121:122]
	s_waitcnt vmcnt(45) lgkmcnt(1)
	v_mul_f64 v[129:130], v[3:4], v[133:134]
	s_waitcnt vmcnt(44)
	v_fma_f64 v[131:132], v[97:98], v[151:152], -v[143:144]
	v_mul_f64 v[121:122], v[1:2], v[133:134]
	v_add_f64 v[105:106], v[105:106], v[127:128]
	v_fma_f64 v[127:128], v[99:100], v[151:152], v[137:138]
	v_add_f64 v[107:108], v[107:108], v[115:116]
	ds_read_b128 v[97:100], v154 offset:1328
	s_waitcnt vmcnt(43) lgkmcnt(1)
	v_mul_f64 v[133:134], v[103:104], v[171:172]
	v_mul_f64 v[115:116], v[101:102], v[171:172]
	s_waitcnt vmcnt(41)
	v_fma_f64 v[129:130], v[1:2], v[139:140], -v[129:130]
	v_fma_f64 v[121:122], v[3:4], v[139:140], v[121:122]
	ds_read_b128 v[1:4], v154 offset:1344
	v_add_f64 v[105:106], v[105:106], v[131:132]
	v_add_f64 v[107:108], v[107:108], v[127:128]
	s_waitcnt vmcnt(37) lgkmcnt(1)
	v_mul_f64 v[131:132], v[99:100], v[141:142]
	s_waitcnt vmcnt(36)
	v_fma_f64 v[133:134], v[101:102], v[175:176], -v[133:134]
	v_mul_f64 v[127:128], v[97:98], v[141:142]
	v_fma_f64 v[115:116], v[103:104], v[175:176], v[115:116]
	ds_read_b128 v[101:104], v154 offset:1360
	v_add_f64 v[105:106], v[105:106], v[129:130]
	v_add_f64 v[107:108], v[107:108], v[121:122]
	s_waitcnt vmcnt(35) lgkmcnt(1)
	v_mul_f64 v[129:130], v[3:4], v[161:162]
	v_mul_f64 v[121:122], v[1:2], v[161:162]
	s_waitcnt vmcnt(33)
	v_fma_f64 v[131:132], v[97:98], v[147:148], -v[131:132]
	v_fma_f64 v[127:128], v[99:100], v[147:148], v[127:128]
	ds_read_b128 v[97:100], v154 offset:1376
	v_add_f64 v[105:106], v[105:106], v[133:134]
	v_add_f64 v[107:108], v[107:108], v[115:116]
	s_waitcnt vmcnt(29) lgkmcnt(1)
	v_mul_f64 v[133:134], v[103:104], v[167:168]
	s_waitcnt vmcnt(28)
	v_fma_f64 v[129:130], v[1:2], v[180:181], -v[129:130]
	v_mul_f64 v[115:116], v[101:102], v[167:168]
	v_fma_f64 v[121:122], v[3:4], v[180:181], v[121:122]
	ds_read_b128 v[1:4], v154 offset:1392
	v_add_f64 v[105:106], v[105:106], v[131:132]
	v_add_f64 v[107:108], v[107:108], v[127:128]
	s_waitcnt vmcnt(27) lgkmcnt(1)
	v_mul_f64 v[131:132], v[99:100], v[173:174]
	v_mul_f64 v[127:128], v[97:98], v[173:174]
	s_waitcnt vmcnt(25)
	v_fma_f64 v[133:134], v[101:102], v[111:112], -v[133:134]
	v_fma_f64 v[111:112], v[103:104], v[111:112], v[115:116]
	ds_read_b128 v[101:104], v154 offset:1408
	v_add_f64 v[105:106], v[105:106], v[129:130]
	v_add_f64 v[107:108], v[107:108], v[121:122]
	s_waitcnt vmcnt(21) lgkmcnt(1)
	v_mul_f64 v[115:116], v[1:2], v[117:118]
	v_mul_f64 v[117:118], v[3:4], v[117:118]
	s_waitcnt vmcnt(20)
	v_fma_f64 v[121:122], v[97:98], v[177:178], -v[131:132]
	;; [unrolled: 9-line block ×3, first 2 shown]
	v_fma_f64 v[113:114], v[3:4], v[113:114], v[115:116]
	ds_read_b128 v[1:4], v154 offset:1440
	v_add_f64 v[105:106], v[105:106], v[121:122]
	v_add_f64 v[107:108], v[107:108], v[127:128]
	s_waitcnt vmcnt(13) lgkmcnt(1)
	v_mul_f64 v[121:122], v[99:100], v[155:156]
	s_waitcnt vmcnt(12)
	v_fma_f64 v[127:128], v[101:102], v[182:183], -v[129:130]
	v_mul_f64 v[115:116], v[97:98], v[155:156]
	v_fma_f64 v[111:112], v[103:104], v[182:183], v[111:112]
	ds_read_b128 v[101:104], v154 offset:1456
	v_add_f64 v[105:106], v[105:106], v[117:118]
	v_add_f64 v[107:108], v[107:108], v[113:114]
	s_waitcnt vmcnt(11) lgkmcnt(1)
	v_mul_f64 v[117:118], v[3:4], v[157:158]
	v_mul_f64 v[113:114], v[1:2], v[157:158]
	s_waitcnt vmcnt(9)
	v_fma_f64 v[97:98], v[97:98], v[119:120], -v[121:122]
	v_fma_f64 v[99:100], v[99:100], v[119:120], v[115:116]
	v_add_f64 v[105:106], v[105:106], v[127:128]
	v_add_f64 v[107:108], v[107:108], v[111:112]
	s_waitcnt vmcnt(7) lgkmcnt(0)
	v_mul_f64 v[111:112], v[101:102], v[109:110]
	v_mul_f64 v[109:110], v[103:104], v[109:110]
	s_waitcnt vmcnt(6)
	v_fma_f64 v[1:2], v[1:2], v[169:170], -v[117:118]
	v_fma_f64 v[3:4], v[3:4], v[169:170], v[113:114]
	v_add_f64 v[97:98], v[105:106], v[97:98]
	v_add_f64 v[99:100], v[107:108], v[99:100]
	s_waitcnt vmcnt(4)
	v_fma_f64 v[101:102], v[101:102], v[125:126], -v[109:110]
	v_add_f64 v[1:2], v[97:98], v[1:2]
	v_fma_f64 v[97:98], v[103:104], v[125:126], v[111:112]
	v_add_f64 v[3:4], v[99:100], v[3:4]
	v_add_f64 v[1:2], v[1:2], v[101:102]
	;; [unrolled: 1-line block ×3, first 2 shown]
	s_waitcnt vmcnt(2)
	v_add_f64 v[1:2], v[123:124], -v[1:2]
	s_waitcnt vmcnt(0)
	v_add_f64 v[3:4], v[135:136], -v[3:4]
	buffer_store_dword v2, off, s[0:3], 0 offset:68
	buffer_store_dword v1, off, s[0:3], 0 offset:64
	;; [unrolled: 1-line block ×4, first 2 shown]
	v_cmpx_lt_u32_e32 2, v0
	s_cbranch_execz .LBB109_285
; %bb.284:
	v_mov_b32_e32 v4, s56
	v_mov_b32_e32 v97, 0
	s_clause 0x3
	buffer_load_dword v1, v4, s[0:3], 0 offen
	buffer_load_dword v2, v4, s[0:3], 0 offen offset:4
	buffer_load_dword v3, v4, s[0:3], 0 offen offset:8
	;; [unrolled: 1-line block ×3, first 2 shown]
	buffer_store_dword v97, off, s[0:3], 0 offset:48
	buffer_store_dword v97, off, s[0:3], 0 offset:52
	;; [unrolled: 1-line block ×4, first 2 shown]
	s_waitcnt vmcnt(0)
	ds_write_b128 v153, v[1:4]
.LBB109_285:
	s_or_b32 exec_lo, exec_lo, s4
	s_waitcnt lgkmcnt(0)
	s_waitcnt_vscnt null, 0x0
	s_barrier
	buffer_gl0_inv
	s_clause 0x37
	buffer_load_dword v101, off, s[0:3], 0 offset:72
	buffer_load_dword v102, off, s[0:3], 0 offset:76
	;; [unrolled: 1-line block ×56, first 2 shown]
	v_mov_b32_e32 v154, 0
	s_mov_b32 s4, exec_lo
	ds_read_b128 v[155:158], v154 offset:784
	s_clause 0x2
	buffer_load_dword v150, off, s[0:3], 0 offset:300
	buffer_load_dword v152, off, s[0:3], 0 offset:276
	;; [unrolled: 1-line block ×3, first 2 shown]
	ds_read_b128 v[159:162], v154 offset:800
	s_clause 0x4
	buffer_load_dword v170, off, s[0:3], 0 offset:316
	buffer_load_dword v171, off, s[0:3], 0 offset:328
	;; [unrolled: 1-line block ×5, first 2 shown]
	ds_read_b128 v[163:166], v154 offset:816
	s_clause 0x2
	buffer_load_dword v172, off, s[0:3], 0 offset:332
	buffer_load_dword v177, off, s[0:3], 0 offset:308
	buffer_load_dword v176, off, s[0:3], 0 offset:304
	s_waitcnt vmcnt(62) lgkmcnt(2)
	v_mul_f64 v[167:168], v[157:158], v[101:102]
	v_mul_f64 v[101:102], v[155:156], v[101:102]
	s_waitcnt lgkmcnt(1)
	v_mul_f64 v[174:175], v[161:162], v[97:98]
	s_waitcnt vmcnt(59) lgkmcnt(0)
	v_mul_f64 v[178:179], v[165:166], v[3:4]
	v_fma_f64 v[155:156], v[155:156], v[99:100], -v[167:168]
	v_mul_f64 v[167:168], v[159:160], v[97:98]
	v_fma_f64 v[101:102], v[157:158], v[99:100], v[101:102]
	s_waitcnt vmcnt(57)
	v_fma_f64 v[159:160], v[159:160], v[1:2], -v[174:175]
	ds_read_b128 v[97:100], v154 offset:832
	v_mul_f64 v[157:158], v[163:164], v[3:4]
	s_waitcnt vmcnt(51)
	v_fma_f64 v[163:164], v[163:164], v[117:118], -v[178:179]
	v_add_f64 v[155:156], v[155:156], 0
	v_fma_f64 v[161:162], v[161:162], v[1:2], v[167:168]
	v_add_f64 v[101:102], v[101:102], 0
	s_clause 0x4
	buffer_load_dword v168, off, s[0:3], 0 offset:348
	buffer_load_dword v180, off, s[0:3], 0 offset:360
	;; [unrolled: 1-line block ×5, first 2 shown]
	s_waitcnt lgkmcnt(0)
	v_mul_f64 v[183:184], v[97:98], v[105:106]
	v_mul_f64 v[105:106], v[99:100], v[105:106]
	ds_read_b128 v[1:4], v154 offset:848
	v_fma_f64 v[117:118], v[165:166], v[117:118], v[157:158]
	v_add_f64 v[159:160], v[155:156], v[159:160]
	v_add_f64 v[101:102], v[101:102], v[161:162]
	s_clause 0x2
	buffer_load_dword v181, off, s[0:3], 0 offset:364
	buffer_load_dword v162, off, s[0:3], 0 offset:340
	;; [unrolled: 1-line block ×3, first 2 shown]
	s_waitcnt vmcnt(58) lgkmcnt(0)
	v_mul_f64 v[165:166], v[1:2], v[109:110]
	v_mul_f64 v[109:110], v[3:4], v[109:110]
	s_waitcnt vmcnt(56)
	v_fma_f64 v[105:106], v[97:98], v[111:112], -v[105:106]
	ds_read_b128 v[155:158], v154 offset:864
	v_fma_f64 v[111:112], v[99:100], v[111:112], v[183:184]
	v_add_f64 v[159:160], v[159:160], v[163:164]
	v_add_f64 v[101:102], v[101:102], v[117:118]
	s_clause 0x4
	buffer_load_dword v118, off, s[0:3], 0 offset:380
	buffer_load_dword v163, off, s[0:3], 0 offset:392
	buffer_load_dword v178, off, s[0:3], 0 offset:384
	buffer_load_dword v117, off, s[0:3], 0 offset:376
	buffer_load_dword v183, off, s[0:3], 0 offset:356
	ds_read_b128 v[97:100], v154 offset:880
	s_waitcnt vmcnt(57) lgkmcnt(1)
	v_mul_f64 v[184:185], v[155:156], v[113:114]
	v_mul_f64 v[113:114], v[157:158], v[113:114]
	s_waitcnt vmcnt(56)
	v_fma_f64 v[109:110], v[1:2], v[103:104], -v[109:110]
	v_fma_f64 v[103:104], v[3:4], v[103:104], v[165:166]
	v_add_f64 v[105:106], v[159:160], v[105:106]
	v_add_f64 v[101:102], v[101:102], v[111:112]
	s_clause 0x2
	buffer_load_dword v164, off, s[0:3], 0 offset:396
	buffer_load_dword v112, off, s[0:3], 0 offset:372
	;; [unrolled: 1-line block ×3, first 2 shown]
	s_waitcnt vmcnt(58) lgkmcnt(0)
	v_mul_f64 v[159:160], v[97:98], v[119:120]
	v_mul_f64 v[119:120], v[99:100], v[119:120]
	s_waitcnt vmcnt(56)
	v_fma_f64 v[113:114], v[155:156], v[121:122], -v[113:114]
	ds_read_b128 v[1:4], v154 offset:896
	v_add_f64 v[105:106], v[105:106], v[109:110]
	v_fma_f64 v[109:110], v[157:158], v[121:122], v[184:185]
	v_add_f64 v[121:122], v[101:102], v[103:104]
	s_clause 0x4
	buffer_load_dword v156, off, s[0:3], 0 offset:412
	buffer_load_dword v157, off, s[0:3], 0 offset:424
	;; [unrolled: 1-line block ×5, first 2 shown]
	ds_read_b128 v[101:104], v154 offset:912
	s_waitcnt vmcnt(57) lgkmcnt(1)
	v_mul_f64 v[184:185], v[1:2], v[123:124]
	v_mul_f64 v[123:124], v[3:4], v[123:124]
	s_waitcnt vmcnt(56)
	v_fma_f64 v[119:120], v[97:98], v[107:108], -v[119:120]
	v_fma_f64 v[107:108], v[99:100], v[107:108], v[159:160]
	v_add_f64 v[105:106], v[105:106], v[113:114]
	s_clause 0x2
	buffer_load_dword v158, off, s[0:3], 0 offset:428
	buffer_load_dword v114, off, s[0:3], 0 offset:404
	buffer_load_dword v113, off, s[0:3], 0 offset:400
	v_add_f64 v[109:110], v[121:122], v[109:110]
	s_waitcnt vmcnt(58) lgkmcnt(0)
	v_mul_f64 v[121:122], v[101:102], v[127:128]
	v_mul_f64 v[127:128], v[103:104], v[127:128]
	ds_read_b128 v[97:100], v154 offset:928
	s_waitcnt vmcnt(56)
	v_fma_f64 v[123:124], v[1:2], v[129:130], -v[123:124]
	v_add_f64 v[105:106], v[105:106], v[119:120]
	v_fma_f64 v[119:120], v[3:4], v[129:130], v[184:185]
	v_add_f64 v[107:108], v[109:110], v[107:108]
	s_clause 0x4
	buffer_load_dword v110, off, s[0:3], 0 offset:444
	buffer_load_dword v129, off, s[0:3], 0 offset:456
	buffer_load_dword v159, off, s[0:3], 0 offset:448
	buffer_load_dword v109, off, s[0:3], 0 offset:440
	buffer_load_dword v166, off, s[0:3], 0 offset:420
	s_waitcnt vmcnt(57) lgkmcnt(0)
	v_mul_f64 v[184:185], v[97:98], v[131:132]
	v_mul_f64 v[131:132], v[99:100], v[131:132]
	s_waitcnt vmcnt(56)
	v_fma_f64 v[127:128], v[101:102], v[115:116], -v[127:128]
	ds_read_b128 v[1:4], v154 offset:944
	v_fma_f64 v[115:116], v[103:104], v[115:116], v[121:122]
	v_add_f64 v[105:106], v[105:106], v[123:124]
	v_add_f64 v[107:108], v[107:108], v[119:120]
	s_clause 0x2
	buffer_load_dword v130, off, s[0:3], 0 offset:460
	buffer_load_dword v120, off, s[0:3], 0 offset:436
	;; [unrolled: 1-line block ×3, first 2 shown]
	ds_read_b128 v[101:104], v154 offset:960
	s_waitcnt vmcnt(58) lgkmcnt(1)
	v_mul_f64 v[123:124], v[3:4], v[135:136]
	s_waitcnt vmcnt(56)
	v_fma_f64 v[131:132], v[97:98], v[137:138], -v[131:132]
	v_mul_f64 v[121:122], v[1:2], v[135:136]
	v_add_f64 v[105:106], v[105:106], v[127:128]
	v_fma_f64 v[127:128], v[99:100], v[137:138], v[184:185]
	v_add_f64 v[107:108], v[107:108], v[115:116]
	s_clause 0x4
	buffer_load_dword v116, off, s[0:3], 0 offset:476
	buffer_load_dword v135, off, s[0:3], 0 offset:488
	;; [unrolled: 1-line block ×5, first 2 shown]
	s_waitcnt vmcnt(57) lgkmcnt(0)
	v_mul_f64 v[184:185], v[101:102], v[139:140]
	v_mul_f64 v[138:139], v[103:104], v[139:140]
	s_waitcnt vmcnt(56)
	v_fma_f64 v[123:124], v[1:2], v[125:126], -v[123:124]
	ds_read_b128 v[97:100], v154 offset:976
	v_fma_f64 v[121:122], v[3:4], v[125:126], v[121:122]
	s_clause 0x2
	buffer_load_dword v136, off, s[0:3], 0 offset:492
	buffer_load_dword v126, off, s[0:3], 0 offset:468
	buffer_load_dword v125, off, s[0:3], 0 offset:464
	ds_read_b128 v[1:4], v154 offset:992
	v_add_f64 v[105:106], v[105:106], v[131:132]
	v_add_f64 v[107:108], v[107:108], v[127:128]
	s_waitcnt vmcnt(58) lgkmcnt(1)
	v_mul_f64 v[131:132], v[99:100], v[143:144]
	s_waitcnt vmcnt(56)
	v_fma_f64 v[139:140], v[101:102], v[145:146], -v[138:139]
	v_mul_f64 v[127:128], v[97:98], v[143:144]
	v_add_f64 v[105:106], v[105:106], v[123:124]
	v_fma_f64 v[123:124], v[103:104], v[145:146], v[184:185]
	v_add_f64 v[107:108], v[107:108], v[121:122]
	s_clause 0x4
	buffer_load_dword v122, off, s[0:3], 0 offset:508
	buffer_load_dword v143, off, s[0:3], 0 offset:520
	;; [unrolled: 1-line block ×5, first 2 shown]
	s_waitcnt vmcnt(57) lgkmcnt(0)
	v_mul_f64 v[184:185], v[1:2], v[147:148]
	v_mul_f64 v[146:147], v[3:4], v[147:148]
	s_waitcnt vmcnt(56)
	v_fma_f64 v[131:132], v[97:98], v[133:134], -v[131:132]
	ds_read_b128 v[101:104], v154 offset:1008
	v_fma_f64 v[127:128], v[99:100], v[133:134], v[127:128]
	v_add_f64 v[105:106], v[105:106], v[139:140]
	v_add_f64 v[107:108], v[107:108], v[123:124]
	s_clause 0x2
	buffer_load_dword v144, off, s[0:3], 0 offset:524
	buffer_load_dword v124, off, s[0:3], 0 offset:500
	;; [unrolled: 1-line block ×3, first 2 shown]
	ds_read_b128 v[97:100], v154 offset:1024
	s_waitcnt vmcnt(58) lgkmcnt(1)
	v_mul_f64 v[139:140], v[103:104], v[149:150]
	s_waitcnt vmcnt(56)
	v_fma_f64 v[147:148], v[1:2], v[151:152], -v[146:147]
	v_mul_f64 v[133:134], v[101:102], v[149:150]
	v_add_f64 v[105:106], v[105:106], v[131:132]
	v_fma_f64 v[131:132], v[3:4], v[151:152], v[184:185]
	v_add_f64 v[107:108], v[107:108], v[127:128]
	s_clause 0x4
	buffer_load_dword v128, off, s[0:3], 0 offset:540
	buffer_load_dword v149, off, s[0:3], 0 offset:552
	;; [unrolled: 1-line block ×5, first 2 shown]
	s_waitcnt vmcnt(57) lgkmcnt(0)
	v_mul_f64 v[184:185], v[97:98], v[169:170]
	v_mul_f64 v[169:170], v[99:100], v[169:170]
	s_waitcnt vmcnt(56)
	v_fma_f64 v[139:140], v[101:102], v[141:142], -v[139:140]
	ds_read_b128 v[1:4], v154 offset:1040
	v_fma_f64 v[133:134], v[103:104], v[141:142], v[133:134]
	v_add_f64 v[105:106], v[105:106], v[147:148]
	v_add_f64 v[107:108], v[107:108], v[131:132]
	s_clause 0x2
	buffer_load_dword v150, off, s[0:3], 0 offset:556
	buffer_load_dword v132, off, s[0:3], 0 offset:532
	;; [unrolled: 1-line block ×3, first 2 shown]
	ds_read_b128 v[101:104], v154 offset:1056
	s_waitcnt vmcnt(58) lgkmcnt(1)
	v_mul_f64 v[147:148], v[3:4], v[171:172]
	s_waitcnt vmcnt(56)
	v_fma_f64 v[169:170], v[97:98], v[176:177], -v[169:170]
	v_mul_f64 v[141:142], v[1:2], v[171:172]
	v_add_f64 v[105:106], v[105:106], v[139:140]
	v_fma_f64 v[139:140], v[99:100], v[176:177], v[184:185]
	v_add_f64 v[107:108], v[107:108], v[133:134]
	s_clause 0x4
	buffer_load_dword v134, off, s[0:3], 0 offset:572
	buffer_load_dword v171, off, s[0:3], 0 offset:584
	;; [unrolled: 1-line block ×5, first 2 shown]
	ds_read_b128 v[97:100], v154 offset:1072
	s_waitcnt vmcnt(57) lgkmcnt(1)
	v_mul_f64 v[176:177], v[101:102], v[167:168]
	v_mul_f64 v[167:168], v[103:104], v[167:168]
	s_waitcnt vmcnt(56)
	v_fma_f64 v[147:148], v[1:2], v[173:174], -v[147:148]
	v_fma_f64 v[141:142], v[3:4], v[173:174], v[141:142]
	v_add_f64 v[105:106], v[105:106], v[169:170]
	v_add_f64 v[107:108], v[107:108], v[139:140]
	s_clause 0x2
	buffer_load_dword v172, off, s[0:3], 0 offset:588
	buffer_load_dword v140, off, s[0:3], 0 offset:564
	;; [unrolled: 1-line block ×3, first 2 shown]
	ds_read_b128 v[1:4], v154 offset:1088
	s_waitcnt vmcnt(58) lgkmcnt(1)
	v_mul_f64 v[173:174], v[99:100], v[180:181]
	v_mul_f64 v[169:170], v[97:98], v[180:181]
	s_waitcnt vmcnt(56)
	v_fma_f64 v[167:168], v[101:102], v[161:162], -v[167:168]
	v_add_f64 v[105:106], v[105:106], v[147:148]
	v_fma_f64 v[147:148], v[103:104], v[161:162], v[176:177]
	v_add_f64 v[107:108], v[107:108], v[141:142]
	s_clause 0x4
	buffer_load_dword v142, off, s[0:3], 0 offset:604
	buffer_load_dword v161, off, s[0:3], 0 offset:616
	buffer_load_dword v180, off, s[0:3], 0 offset:608
	buffer_load_dword v141, off, s[0:3], 0 offset:600
	buffer_load_dword v176, off, s[0:3], 0 offset:580
	ds_read_b128 v[101:104], v154 offset:1104
	s_waitcnt vmcnt(57) lgkmcnt(1)
	v_mul_f64 v[184:185], v[1:2], v[117:118]
	v_mul_f64 v[117:118], v[3:4], v[117:118]
	s_waitcnt vmcnt(56)
	v_fma_f64 v[173:174], v[97:98], v[182:183], -v[173:174]
	v_add_f64 v[105:106], v[105:106], v[167:168]
	v_fma_f64 v[167:168], v[99:100], v[182:183], v[169:170]
	v_add_f64 v[107:108], v[107:108], v[147:148]
	s_clause 0x2
	buffer_load_dword v162, off, s[0:3], 0 offset:620
	buffer_load_dword v148, off, s[0:3], 0 offset:596
	buffer_load_dword v147, off, s[0:3], 0 offset:592
	ds_read_b128 v[97:100], v154 offset:1120
	s_waitcnt vmcnt(58) lgkmcnt(1)
	v_mul_f64 v[169:170], v[101:102], v[163:164]
	v_mul_f64 v[163:164], v[103:104], v[163:164]
	s_waitcnt vmcnt(56)
	v_fma_f64 v[117:118], v[1:2], v[111:112], -v[117:118]
	v_fma_f64 v[111:112], v[3:4], v[111:112], v[184:185]
	v_add_f64 v[105:106], v[105:106], v[173:174]
	v_add_f64 v[107:108], v[107:108], v[167:168]
	s_clause 0x4
	buffer_load_dword v168, off, s[0:3], 0 offset:636
	buffer_load_dword v173, off, s[0:3], 0 offset:648
	buffer_load_dword v177, off, s[0:3], 0 offset:640
	buffer_load_dword v167, off, s[0:3], 0 offset:632
	buffer_load_dword v181, off, s[0:3], 0 offset:612
	ds_read_b128 v[1:4], v154 offset:1136
	s_waitcnt vmcnt(57) lgkmcnt(1)
	v_mul_f64 v[182:183], v[97:98], v[155:156]
	v_mul_f64 v[155:156], v[99:100], v[155:156]
	s_waitcnt vmcnt(56)
	v_fma_f64 v[163:164], v[101:102], v[178:179], -v[163:164]
	v_add_f64 v[105:106], v[105:106], v[117:118]
	v_fma_f64 v[117:118], v[103:104], v[178:179], v[169:170]
	v_add_f64 v[107:108], v[107:108], v[111:112]
	s_clause 0x2
	buffer_load_dword v174, off, s[0:3], 0 offset:652
	buffer_load_dword v112, off, s[0:3], 0 offset:628
	buffer_load_dword v111, off, s[0:3], 0 offset:624
	ds_read_b128 v[101:104], v154 offset:1152
	s_waitcnt vmcnt(58) lgkmcnt(1)
	v_mul_f64 v[169:170], v[1:2], v[157:158]
	v_mul_f64 v[157:158], v[3:4], v[157:158]
	s_waitcnt vmcnt(56)
	v_fma_f64 v[155:156], v[97:98], v[113:114], -v[155:156]
	v_fma_f64 v[113:114], v[99:100], v[113:114], v[182:183]
	v_add_f64 v[105:106], v[105:106], v[163:164]
	;; [unrolled: 28-line block ×3, first 2 shown]
	v_add_f64 v[107:108], v[107:108], v[155:156]
	s_clause 0x4
	buffer_load_dword v156, off, s[0:3], 0 offset:700
	buffer_load_dword v157, off, s[0:3], 0 offset:712
	;; [unrolled: 1-line block ×5, first 2 shown]
	ds_read_b128 v[101:104], v154 offset:1200
	s_waitcnt vmcnt(57) lgkmcnt(1)
	v_mul_f64 v[184:185], v[1:2], v[115:116]
	v_mul_f64 v[115:116], v[3:4], v[115:116]
	s_waitcnt vmcnt(56)
	v_fma_f64 v[129:130], v[97:98], v[159:160], -v[129:130]
	v_add_f64 v[105:106], v[105:106], v[109:110]
	v_fma_f64 v[109:110], v[99:100], v[159:160], v[165:166]
	v_add_f64 v[107:108], v[107:108], v[119:120]
	s_clause 0x2
	buffer_load_dword v158, off, s[0:3], 0 offset:716
	buffer_load_dword v120, off, s[0:3], 0 offset:692
	;; [unrolled: 1-line block ×3, first 2 shown]
	s_waitcnt vmcnt(58) lgkmcnt(0)
	v_mul_f64 v[159:160], v[101:102], v[135:136]
	v_mul_f64 v[135:136], v[103:104], v[135:136]
	ds_read_b128 v[97:100], v154 offset:1216
	s_waitcnt vmcnt(56)
	v_fma_f64 v[115:116], v[1:2], v[125:126], -v[115:116]
	v_fma_f64 v[125:126], v[3:4], v[125:126], v[184:185]
	v_add_f64 v[105:106], v[105:106], v[129:130]
	v_add_f64 v[107:108], v[107:108], v[109:110]
	s_clause 0x4
	buffer_load_dword v110, off, s[0:3], 0 offset:732
	buffer_load_dword v129, off, s[0:3], 0 offset:744
	;; [unrolled: 1-line block ×5, first 2 shown]
	ds_read_b128 v[1:4], v154 offset:1232
	s_waitcnt vmcnt(57) lgkmcnt(1)
	v_mul_f64 v[184:185], v[97:98], v[121:122]
	v_mul_f64 v[121:122], v[99:100], v[121:122]
	s_waitcnt vmcnt(56)
	v_fma_f64 v[135:136], v[101:102], v[137:138], -v[135:136]
	v_add_f64 v[105:106], v[105:106], v[115:116]
	v_fma_f64 v[115:116], v[103:104], v[137:138], v[159:160]
	v_add_f64 v[107:108], v[107:108], v[125:126]
	s_clause 0x2
	buffer_load_dword v130, off, s[0:3], 0 offset:748
	buffer_load_dword v126, off, s[0:3], 0 offset:724
	;; [unrolled: 1-line block ×3, first 2 shown]
	ds_read_b128 v[101:104], v154 offset:1248
	buffer_load_dword v166, off, s[0:3], 0 offset:740
	s_waitcnt vmcnt(59) lgkmcnt(1)
	v_mul_f64 v[137:138], v[1:2], v[143:144]
	v_mul_f64 v[143:144], v[3:4], v[143:144]
	s_waitcnt vmcnt(57)
	v_fma_f64 v[121:122], v[97:98], v[123:124], -v[121:122]
	v_fma_f64 v[123:124], v[99:100], v[123:124], v[184:185]
	ds_read_b128 v[97:100], v154 offset:1264
	v_add_f64 v[105:106], v[105:106], v[135:136]
	v_add_f64 v[107:108], v[107:108], v[115:116]
	s_waitcnt vmcnt(53) lgkmcnt(1)
	v_mul_f64 v[115:116], v[101:102], v[127:128]
	v_mul_f64 v[127:128], v[103:104], v[127:128]
	s_waitcnt vmcnt(52)
	v_fma_f64 v[135:136], v[1:2], v[145:146], -v[143:144]
	v_add_f64 v[105:106], v[105:106], v[121:122]
	v_fma_f64 v[121:122], v[3:4], v[145:146], v[137:138]
	v_add_f64 v[107:108], v[107:108], v[123:124]
	ds_read_b128 v[1:4], v154 offset:1280
	s_waitcnt vmcnt(51) lgkmcnt(1)
	v_mul_f64 v[137:138], v[99:100], v[149:150]
	v_mul_f64 v[123:124], v[97:98], v[149:150]
	s_waitcnt vmcnt(49)
	v_fma_f64 v[127:128], v[101:102], v[131:132], -v[127:128]
	v_fma_f64 v[115:116], v[103:104], v[131:132], v[115:116]
	v_add_f64 v[105:106], v[105:106], v[135:136]
	v_add_f64 v[107:108], v[107:108], v[121:122]
	s_clause 0x3
	buffer_load_dword v121, off, s[0:3], 0 offset:48
	buffer_load_dword v122, off, s[0:3], 0 offset:52
	;; [unrolled: 1-line block ×4, first 2 shown]
	ds_read_b128 v[101:104], v154 offset:1296
	s_waitcnt vmcnt(49) lgkmcnt(1)
	v_mul_f64 v[135:136], v[1:2], v[133:134]
	v_mul_f64 v[133:134], v[3:4], v[133:134]
	s_waitcnt vmcnt(48)
	v_fma_f64 v[137:138], v[97:98], v[151:152], -v[137:138]
	v_fma_f64 v[123:124], v[99:100], v[151:152], v[123:124]
	ds_read_b128 v[97:100], v154 offset:1312
	v_add_f64 v[105:106], v[105:106], v[127:128]
	v_add_f64 v[107:108], v[107:108], v[115:116]
	s_waitcnt vmcnt(47) lgkmcnt(1)
	v_mul_f64 v[127:128], v[103:104], v[171:172]
	v_mul_f64 v[115:116], v[101:102], v[171:172]
	s_waitcnt vmcnt(45)
	v_fma_f64 v[133:134], v[1:2], v[139:140], -v[133:134]
	v_fma_f64 v[135:136], v[3:4], v[139:140], v[135:136]
	ds_read_b128 v[1:4], v154 offset:1328
	v_add_f64 v[105:106], v[105:106], v[137:138]
	v_add_f64 v[107:108], v[107:108], v[123:124]
	s_waitcnt vmcnt(41) lgkmcnt(1)
	v_mul_f64 v[137:138], v[99:100], v[141:142]
	s_waitcnt vmcnt(40)
	v_fma_f64 v[127:128], v[101:102], v[175:176], -v[127:128]
	v_mul_f64 v[123:124], v[97:98], v[141:142]
	v_fma_f64 v[115:116], v[103:104], v[175:176], v[115:116]
	ds_read_b128 v[101:104], v154 offset:1344
	v_add_f64 v[105:106], v[105:106], v[133:134]
	v_add_f64 v[107:108], v[107:108], v[135:136]
	s_waitcnt vmcnt(39) lgkmcnt(1)
	v_mul_f64 v[135:136], v[3:4], v[161:162]
	v_mul_f64 v[133:134], v[1:2], v[161:162]
	s_waitcnt vmcnt(37)
	v_fma_f64 v[137:138], v[97:98], v[147:148], -v[137:138]
	v_fma_f64 v[123:124], v[99:100], v[147:148], v[123:124]
	ds_read_b128 v[97:100], v154 offset:1360
	v_add_f64 v[105:106], v[105:106], v[127:128]
	v_add_f64 v[107:108], v[107:108], v[115:116]
	s_waitcnt vmcnt(33) lgkmcnt(1)
	v_mul_f64 v[127:128], v[103:104], v[167:168]
	s_waitcnt vmcnt(32)
	v_fma_f64 v[135:136], v[1:2], v[180:181], -v[135:136]
	v_mul_f64 v[115:116], v[101:102], v[167:168]
	v_fma_f64 v[133:134], v[3:4], v[180:181], v[133:134]
	ds_read_b128 v[1:4], v154 offset:1376
	v_add_f64 v[105:106], v[105:106], v[137:138]
	v_add_f64 v[107:108], v[107:108], v[123:124]
	s_waitcnt vmcnt(31) lgkmcnt(1)
	v_mul_f64 v[137:138], v[99:100], v[173:174]
	v_mul_f64 v[123:124], v[97:98], v[173:174]
	s_waitcnt vmcnt(29)
	v_fma_f64 v[127:128], v[101:102], v[111:112], -v[127:128]
	v_fma_f64 v[111:112], v[103:104], v[111:112], v[115:116]
	ds_read_b128 v[101:104], v154 offset:1392
	v_add_f64 v[105:106], v[105:106], v[135:136]
	v_add_f64 v[107:108], v[107:108], v[133:134]
	s_waitcnt vmcnt(25) lgkmcnt(1)
	v_mul_f64 v[115:116], v[1:2], v[117:118]
	v_mul_f64 v[117:118], v[3:4], v[117:118]
	s_waitcnt vmcnt(24)
	v_fma_f64 v[133:134], v[97:98], v[177:178], -v[137:138]
	;; [unrolled: 9-line block ×3, first 2 shown]
	v_fma_f64 v[113:114], v[3:4], v[113:114], v[115:116]
	ds_read_b128 v[1:4], v154 offset:1424
	v_add_f64 v[105:106], v[105:106], v[133:134]
	v_add_f64 v[107:108], v[107:108], v[123:124]
	s_waitcnt vmcnt(17) lgkmcnt(1)
	v_mul_f64 v[123:124], v[99:100], v[155:156]
	s_waitcnt vmcnt(16)
	v_fma_f64 v[127:128], v[101:102], v[182:183], -v[127:128]
	v_mul_f64 v[115:116], v[97:98], v[155:156]
	v_fma_f64 v[111:112], v[103:104], v[182:183], v[111:112]
	ds_read_b128 v[101:104], v154 offset:1440
	v_add_f64 v[105:106], v[105:106], v[117:118]
	v_add_f64 v[107:108], v[107:108], v[113:114]
	s_waitcnt vmcnt(15) lgkmcnt(1)
	v_mul_f64 v[117:118], v[3:4], v[157:158]
	v_mul_f64 v[113:114], v[1:2], v[157:158]
	s_waitcnt vmcnt(13)
	v_fma_f64 v[123:124], v[97:98], v[119:120], -v[123:124]
	v_fma_f64 v[115:116], v[99:100], v[119:120], v[115:116]
	ds_read_b128 v[97:100], v154 offset:1456
	v_add_f64 v[105:106], v[105:106], v[127:128]
	v_add_f64 v[107:108], v[107:108], v[111:112]
	s_waitcnt vmcnt(9) lgkmcnt(1)
	v_mul_f64 v[111:112], v[101:102], v[109:110]
	v_mul_f64 v[109:110], v[103:104], v[109:110]
	s_waitcnt vmcnt(8)
	v_fma_f64 v[1:2], v[1:2], v[169:170], -v[117:118]
	v_fma_f64 v[3:4], v[3:4], v[169:170], v[113:114]
	v_add_f64 v[105:106], v[105:106], v[123:124]
	v_add_f64 v[107:108], v[107:108], v[115:116]
	s_waitcnt vmcnt(7) lgkmcnt(0)
	v_mul_f64 v[115:116], v[99:100], v[129:130]
	v_mul_f64 v[113:114], v[97:98], v[129:130]
	s_waitcnt vmcnt(5)
	v_fma_f64 v[101:102], v[101:102], v[125:126], -v[109:110]
	v_fma_f64 v[103:104], v[103:104], v[125:126], v[111:112]
	v_add_f64 v[1:2], v[105:106], v[1:2]
	v_add_f64 v[3:4], v[107:108], v[3:4]
	s_waitcnt vmcnt(4)
	v_fma_f64 v[97:98], v[97:98], v[165:166], -v[115:116]
	v_fma_f64 v[99:100], v[99:100], v[165:166], v[113:114]
	v_add_f64 v[1:2], v[1:2], v[101:102]
	v_add_f64 v[3:4], v[3:4], v[103:104]
	;; [unrolled: 1-line block ×4, first 2 shown]
	s_waitcnt vmcnt(2)
	v_add_f64 v[1:2], v[121:122], -v[1:2]
	s_waitcnt vmcnt(0)
	v_add_f64 v[3:4], v[131:132], -v[3:4]
	buffer_store_dword v2, off, s[0:3], 0 offset:52
	buffer_store_dword v1, off, s[0:3], 0 offset:48
	;; [unrolled: 1-line block ×4, first 2 shown]
	v_cmpx_lt_u32_e32 1, v0
	s_cbranch_execz .LBB109_287
; %bb.286:
	v_mov_b32_e32 v4, s57
	s_clause 0x3
	buffer_load_dword v1, v4, s[0:3], 0 offen
	buffer_load_dword v2, v4, s[0:3], 0 offen offset:4
	buffer_load_dword v3, v4, s[0:3], 0 offen offset:8
	;; [unrolled: 1-line block ×3, first 2 shown]
	buffer_store_dword v154, off, s[0:3], 0 offset:32
	buffer_store_dword v154, off, s[0:3], 0 offset:36
	;; [unrolled: 1-line block ×4, first 2 shown]
	s_waitcnt vmcnt(0)
	ds_write_b128 v153, v[1:4]
.LBB109_287:
	s_or_b32 exec_lo, exec_lo, s4
	s_waitcnt lgkmcnt(0)
	s_waitcnt_vscnt null, 0x0
	s_barrier
	buffer_gl0_inv
	s_clause 0x37
	buffer_load_dword v101, off, s[0:3], 0 offset:56
	buffer_load_dword v102, off, s[0:3], 0 offset:60
	;; [unrolled: 1-line block ×56, first 2 shown]
	ds_read_b128 v[155:158], v154 offset:768
	s_clause 0x2
	buffer_load_dword v150, off, s[0:3], 0 offset:284
	buffer_load_dword v152, off, s[0:3], 0 offset:260
	buffer_load_dword v151, off, s[0:3], 0 offset:256
	ds_read_b128 v[159:162], v154 offset:784
	s_clause 0x4
	buffer_load_dword v170, off, s[0:3], 0 offset:300
	buffer_load_dword v171, off, s[0:3], 0 offset:312
	buffer_load_dword v173, off, s[0:3], 0 offset:304
	buffer_load_dword v169, off, s[0:3], 0 offset:296
	buffer_load_dword v142, off, s[0:3], 0 offset:276
	ds_read_b128 v[163:166], v154 offset:800
	s_clause 0x2
	buffer_load_dword v172, off, s[0:3], 0 offset:316
	buffer_load_dword v177, off, s[0:3], 0 offset:292
	;; [unrolled: 1-line block ×3, first 2 shown]
	s_mov_b32 s4, exec_lo
	s_waitcnt vmcnt(62) lgkmcnt(2)
	v_mul_f64 v[167:168], v[157:158], v[101:102]
	v_mul_f64 v[101:102], v[155:156], v[101:102]
	s_waitcnt lgkmcnt(1)
	v_mul_f64 v[174:175], v[161:162], v[97:98]
	s_waitcnt vmcnt(59) lgkmcnt(0)
	v_mul_f64 v[178:179], v[165:166], v[3:4]
	v_fma_f64 v[155:156], v[155:156], v[99:100], -v[167:168]
	v_mul_f64 v[167:168], v[159:160], v[97:98]
	v_fma_f64 v[101:102], v[157:158], v[99:100], v[101:102]
	s_waitcnt vmcnt(57)
	v_fma_f64 v[159:160], v[159:160], v[1:2], -v[174:175]
	ds_read_b128 v[97:100], v154 offset:816
	v_mul_f64 v[157:158], v[163:164], v[3:4]
	s_waitcnt vmcnt(51)
	v_fma_f64 v[163:164], v[163:164], v[117:118], -v[178:179]
	v_add_f64 v[155:156], v[155:156], 0
	v_fma_f64 v[161:162], v[161:162], v[1:2], v[167:168]
	v_add_f64 v[101:102], v[101:102], 0
	s_clause 0x4
	buffer_load_dword v168, off, s[0:3], 0 offset:332
	buffer_load_dword v180, off, s[0:3], 0 offset:344
	;; [unrolled: 1-line block ×5, first 2 shown]
	s_waitcnt lgkmcnt(0)
	v_mul_f64 v[183:184], v[97:98], v[105:106]
	v_mul_f64 v[105:106], v[99:100], v[105:106]
	ds_read_b128 v[1:4], v154 offset:832
	v_fma_f64 v[117:118], v[165:166], v[117:118], v[157:158]
	v_add_f64 v[159:160], v[155:156], v[159:160]
	v_add_f64 v[101:102], v[101:102], v[161:162]
	s_clause 0x2
	buffer_load_dword v181, off, s[0:3], 0 offset:348
	buffer_load_dword v162, off, s[0:3], 0 offset:324
	;; [unrolled: 1-line block ×3, first 2 shown]
	s_waitcnt vmcnt(58) lgkmcnt(0)
	v_mul_f64 v[165:166], v[1:2], v[109:110]
	v_mul_f64 v[109:110], v[3:4], v[109:110]
	s_waitcnt vmcnt(56)
	v_fma_f64 v[105:106], v[97:98], v[111:112], -v[105:106]
	ds_read_b128 v[155:158], v154 offset:848
	v_fma_f64 v[111:112], v[99:100], v[111:112], v[183:184]
	v_add_f64 v[159:160], v[159:160], v[163:164]
	v_add_f64 v[101:102], v[101:102], v[117:118]
	s_clause 0x4
	buffer_load_dword v118, off, s[0:3], 0 offset:364
	buffer_load_dword v163, off, s[0:3], 0 offset:376
	;; [unrolled: 1-line block ×5, first 2 shown]
	ds_read_b128 v[97:100], v154 offset:864
	s_waitcnt vmcnt(57) lgkmcnt(1)
	v_mul_f64 v[184:185], v[155:156], v[113:114]
	v_mul_f64 v[113:114], v[157:158], v[113:114]
	s_waitcnt vmcnt(56)
	v_fma_f64 v[109:110], v[1:2], v[103:104], -v[109:110]
	v_fma_f64 v[103:104], v[3:4], v[103:104], v[165:166]
	v_add_f64 v[105:106], v[159:160], v[105:106]
	v_add_f64 v[101:102], v[101:102], v[111:112]
	s_clause 0x2
	buffer_load_dword v164, off, s[0:3], 0 offset:380
	buffer_load_dword v112, off, s[0:3], 0 offset:356
	;; [unrolled: 1-line block ×3, first 2 shown]
	s_waitcnt vmcnt(58) lgkmcnt(0)
	v_mul_f64 v[159:160], v[97:98], v[119:120]
	v_mul_f64 v[119:120], v[99:100], v[119:120]
	s_waitcnt vmcnt(56)
	v_fma_f64 v[113:114], v[155:156], v[121:122], -v[113:114]
	ds_read_b128 v[1:4], v154 offset:880
	v_add_f64 v[105:106], v[105:106], v[109:110]
	v_fma_f64 v[109:110], v[157:158], v[121:122], v[184:185]
	v_add_f64 v[121:122], v[101:102], v[103:104]
	s_clause 0x4
	buffer_load_dword v156, off, s[0:3], 0 offset:396
	buffer_load_dword v157, off, s[0:3], 0 offset:408
	;; [unrolled: 1-line block ×5, first 2 shown]
	ds_read_b128 v[101:104], v154 offset:896
	s_waitcnt vmcnt(57) lgkmcnt(1)
	v_mul_f64 v[184:185], v[1:2], v[123:124]
	v_mul_f64 v[123:124], v[3:4], v[123:124]
	s_waitcnt vmcnt(56)
	v_fma_f64 v[119:120], v[97:98], v[107:108], -v[119:120]
	v_fma_f64 v[107:108], v[99:100], v[107:108], v[159:160]
	v_add_f64 v[105:106], v[105:106], v[113:114]
	s_clause 0x2
	buffer_load_dword v158, off, s[0:3], 0 offset:412
	buffer_load_dword v114, off, s[0:3], 0 offset:388
	;; [unrolled: 1-line block ×3, first 2 shown]
	v_add_f64 v[109:110], v[121:122], v[109:110]
	s_waitcnt vmcnt(58) lgkmcnt(0)
	v_mul_f64 v[121:122], v[101:102], v[127:128]
	v_mul_f64 v[127:128], v[103:104], v[127:128]
	ds_read_b128 v[97:100], v154 offset:912
	s_waitcnt vmcnt(56)
	v_fma_f64 v[123:124], v[1:2], v[129:130], -v[123:124]
	v_add_f64 v[105:106], v[105:106], v[119:120]
	v_fma_f64 v[119:120], v[3:4], v[129:130], v[184:185]
	v_add_f64 v[107:108], v[109:110], v[107:108]
	s_clause 0x4
	buffer_load_dword v110, off, s[0:3], 0 offset:428
	buffer_load_dword v129, off, s[0:3], 0 offset:440
	;; [unrolled: 1-line block ×5, first 2 shown]
	s_waitcnt vmcnt(57) lgkmcnt(0)
	v_mul_f64 v[184:185], v[97:98], v[131:132]
	v_mul_f64 v[131:132], v[99:100], v[131:132]
	s_waitcnt vmcnt(56)
	v_fma_f64 v[127:128], v[101:102], v[115:116], -v[127:128]
	ds_read_b128 v[1:4], v154 offset:928
	v_fma_f64 v[115:116], v[103:104], v[115:116], v[121:122]
	v_add_f64 v[105:106], v[105:106], v[123:124]
	v_add_f64 v[107:108], v[107:108], v[119:120]
	s_clause 0x2
	buffer_load_dword v130, off, s[0:3], 0 offset:444
	buffer_load_dword v120, off, s[0:3], 0 offset:420
	;; [unrolled: 1-line block ×3, first 2 shown]
	ds_read_b128 v[101:104], v154 offset:944
	s_waitcnt vmcnt(58) lgkmcnt(1)
	v_mul_f64 v[123:124], v[3:4], v[135:136]
	s_waitcnt vmcnt(56)
	v_fma_f64 v[131:132], v[97:98], v[137:138], -v[131:132]
	v_mul_f64 v[121:122], v[1:2], v[135:136]
	v_add_f64 v[105:106], v[105:106], v[127:128]
	v_fma_f64 v[127:128], v[99:100], v[137:138], v[184:185]
	v_add_f64 v[107:108], v[107:108], v[115:116]
	s_clause 0x4
	buffer_load_dword v116, off, s[0:3], 0 offset:460
	buffer_load_dword v135, off, s[0:3], 0 offset:472
	buffer_load_dword v137, off, s[0:3], 0 offset:464
	buffer_load_dword v115, off, s[0:3], 0 offset:456
	buffer_load_dword v160, off, s[0:3], 0 offset:436
	s_waitcnt vmcnt(57) lgkmcnt(0)
	v_mul_f64 v[184:185], v[101:102], v[139:140]
	v_mul_f64 v[138:139], v[103:104], v[139:140]
	s_waitcnt vmcnt(56)
	v_fma_f64 v[123:124], v[1:2], v[125:126], -v[123:124]
	ds_read_b128 v[97:100], v154 offset:960
	v_fma_f64 v[121:122], v[3:4], v[125:126], v[121:122]
	s_clause 0x2
	buffer_load_dword v136, off, s[0:3], 0 offset:476
	buffer_load_dword v126, off, s[0:3], 0 offset:452
	;; [unrolled: 1-line block ×3, first 2 shown]
	ds_read_b128 v[1:4], v154 offset:976
	v_add_f64 v[105:106], v[105:106], v[131:132]
	v_add_f64 v[107:108], v[107:108], v[127:128]
	s_waitcnt vmcnt(58) lgkmcnt(1)
	v_mul_f64 v[131:132], v[99:100], v[143:144]
	s_waitcnt vmcnt(56)
	v_fma_f64 v[139:140], v[101:102], v[145:146], -v[138:139]
	v_mul_f64 v[127:128], v[97:98], v[143:144]
	v_add_f64 v[105:106], v[105:106], v[123:124]
	v_fma_f64 v[123:124], v[103:104], v[145:146], v[184:185]
	v_add_f64 v[107:108], v[107:108], v[121:122]
	s_clause 0x4
	buffer_load_dword v122, off, s[0:3], 0 offset:492
	buffer_load_dword v143, off, s[0:3], 0 offset:504
	;; [unrolled: 1-line block ×5, first 2 shown]
	s_waitcnt vmcnt(57) lgkmcnt(0)
	v_mul_f64 v[184:185], v[1:2], v[147:148]
	v_mul_f64 v[146:147], v[3:4], v[147:148]
	s_waitcnt vmcnt(56)
	v_fma_f64 v[131:132], v[97:98], v[133:134], -v[131:132]
	ds_read_b128 v[101:104], v154 offset:992
	v_fma_f64 v[127:128], v[99:100], v[133:134], v[127:128]
	v_add_f64 v[105:106], v[105:106], v[139:140]
	v_add_f64 v[107:108], v[107:108], v[123:124]
	s_clause 0x2
	buffer_load_dword v144, off, s[0:3], 0 offset:508
	buffer_load_dword v124, off, s[0:3], 0 offset:484
	buffer_load_dword v123, off, s[0:3], 0 offset:480
	ds_read_b128 v[97:100], v154 offset:1008
	s_waitcnt vmcnt(58) lgkmcnt(1)
	v_mul_f64 v[139:140], v[103:104], v[149:150]
	s_waitcnt vmcnt(56)
	v_fma_f64 v[147:148], v[1:2], v[151:152], -v[146:147]
	v_mul_f64 v[133:134], v[101:102], v[149:150]
	v_add_f64 v[105:106], v[105:106], v[131:132]
	v_fma_f64 v[131:132], v[3:4], v[151:152], v[184:185]
	v_add_f64 v[107:108], v[107:108], v[127:128]
	s_clause 0x4
	buffer_load_dword v128, off, s[0:3], 0 offset:524
	buffer_load_dword v149, off, s[0:3], 0 offset:536
	;; [unrolled: 1-line block ×5, first 2 shown]
	s_waitcnt vmcnt(57) lgkmcnt(0)
	v_mul_f64 v[184:185], v[97:98], v[169:170]
	v_mul_f64 v[169:170], v[99:100], v[169:170]
	s_waitcnt vmcnt(56)
	v_fma_f64 v[139:140], v[101:102], v[141:142], -v[139:140]
	ds_read_b128 v[1:4], v154 offset:1024
	v_fma_f64 v[133:134], v[103:104], v[141:142], v[133:134]
	v_add_f64 v[105:106], v[105:106], v[147:148]
	v_add_f64 v[107:108], v[107:108], v[131:132]
	s_clause 0x2
	buffer_load_dword v150, off, s[0:3], 0 offset:540
	buffer_load_dword v132, off, s[0:3], 0 offset:516
	;; [unrolled: 1-line block ×3, first 2 shown]
	ds_read_b128 v[101:104], v154 offset:1040
	s_waitcnt vmcnt(58) lgkmcnt(1)
	v_mul_f64 v[147:148], v[3:4], v[171:172]
	s_waitcnt vmcnt(56)
	v_fma_f64 v[169:170], v[97:98], v[176:177], -v[169:170]
	v_mul_f64 v[141:142], v[1:2], v[171:172]
	v_add_f64 v[105:106], v[105:106], v[139:140]
	v_fma_f64 v[139:140], v[99:100], v[176:177], v[184:185]
	v_add_f64 v[107:108], v[107:108], v[133:134]
	s_clause 0x4
	buffer_load_dword v134, off, s[0:3], 0 offset:556
	buffer_load_dword v171, off, s[0:3], 0 offset:568
	;; [unrolled: 1-line block ×5, first 2 shown]
	ds_read_b128 v[97:100], v154 offset:1056
	s_waitcnt vmcnt(57) lgkmcnt(1)
	v_mul_f64 v[176:177], v[101:102], v[167:168]
	v_mul_f64 v[167:168], v[103:104], v[167:168]
	s_waitcnt vmcnt(56)
	v_fma_f64 v[147:148], v[1:2], v[173:174], -v[147:148]
	v_fma_f64 v[141:142], v[3:4], v[173:174], v[141:142]
	v_add_f64 v[105:106], v[105:106], v[169:170]
	v_add_f64 v[107:108], v[107:108], v[139:140]
	s_clause 0x2
	buffer_load_dword v172, off, s[0:3], 0 offset:572
	buffer_load_dword v140, off, s[0:3], 0 offset:548
	;; [unrolled: 1-line block ×3, first 2 shown]
	ds_read_b128 v[1:4], v154 offset:1072
	s_waitcnt vmcnt(58) lgkmcnt(1)
	v_mul_f64 v[173:174], v[99:100], v[180:181]
	v_mul_f64 v[169:170], v[97:98], v[180:181]
	s_waitcnt vmcnt(56)
	v_fma_f64 v[167:168], v[101:102], v[161:162], -v[167:168]
	v_add_f64 v[105:106], v[105:106], v[147:148]
	v_fma_f64 v[147:148], v[103:104], v[161:162], v[176:177]
	v_add_f64 v[107:108], v[107:108], v[141:142]
	s_clause 0x4
	buffer_load_dword v142, off, s[0:3], 0 offset:588
	buffer_load_dword v161, off, s[0:3], 0 offset:600
	buffer_load_dword v180, off, s[0:3], 0 offset:592
	buffer_load_dword v141, off, s[0:3], 0 offset:584
	buffer_load_dword v176, off, s[0:3], 0 offset:564
	ds_read_b128 v[101:104], v154 offset:1088
	s_waitcnt vmcnt(57) lgkmcnt(1)
	v_mul_f64 v[184:185], v[1:2], v[117:118]
	v_mul_f64 v[117:118], v[3:4], v[117:118]
	s_waitcnt vmcnt(56)
	v_fma_f64 v[173:174], v[97:98], v[182:183], -v[173:174]
	v_add_f64 v[105:106], v[105:106], v[167:168]
	v_fma_f64 v[167:168], v[99:100], v[182:183], v[169:170]
	v_add_f64 v[107:108], v[107:108], v[147:148]
	s_clause 0x2
	buffer_load_dword v162, off, s[0:3], 0 offset:604
	buffer_load_dword v148, off, s[0:3], 0 offset:580
	buffer_load_dword v147, off, s[0:3], 0 offset:576
	ds_read_b128 v[97:100], v154 offset:1104
	s_waitcnt vmcnt(58) lgkmcnt(1)
	v_mul_f64 v[169:170], v[101:102], v[163:164]
	v_mul_f64 v[163:164], v[103:104], v[163:164]
	s_waitcnt vmcnt(56)
	v_fma_f64 v[117:118], v[1:2], v[111:112], -v[117:118]
	v_fma_f64 v[111:112], v[3:4], v[111:112], v[184:185]
	v_add_f64 v[105:106], v[105:106], v[173:174]
	v_add_f64 v[107:108], v[107:108], v[167:168]
	s_clause 0x4
	buffer_load_dword v168, off, s[0:3], 0 offset:620
	buffer_load_dword v173, off, s[0:3], 0 offset:632
	buffer_load_dword v177, off, s[0:3], 0 offset:624
	buffer_load_dword v167, off, s[0:3], 0 offset:616
	buffer_load_dword v181, off, s[0:3], 0 offset:596
	ds_read_b128 v[1:4], v154 offset:1120
	s_waitcnt vmcnt(57) lgkmcnt(1)
	v_mul_f64 v[182:183], v[97:98], v[155:156]
	v_mul_f64 v[155:156], v[99:100], v[155:156]
	s_waitcnt vmcnt(56)
	v_fma_f64 v[163:164], v[101:102], v[178:179], -v[163:164]
	v_add_f64 v[105:106], v[105:106], v[117:118]
	v_fma_f64 v[117:118], v[103:104], v[178:179], v[169:170]
	v_add_f64 v[107:108], v[107:108], v[111:112]
	s_clause 0x2
	buffer_load_dword v174, off, s[0:3], 0 offset:636
	buffer_load_dword v112, off, s[0:3], 0 offset:612
	buffer_load_dword v111, off, s[0:3], 0 offset:608
	ds_read_b128 v[101:104], v154 offset:1136
	s_waitcnt vmcnt(58) lgkmcnt(1)
	v_mul_f64 v[169:170], v[1:2], v[157:158]
	v_mul_f64 v[157:158], v[3:4], v[157:158]
	s_waitcnt vmcnt(56)
	v_fma_f64 v[155:156], v[97:98], v[113:114], -v[155:156]
	v_fma_f64 v[113:114], v[99:100], v[113:114], v[182:183]
	v_add_f64 v[105:106], v[105:106], v[163:164]
	;; [unrolled: 28-line block ×3, first 2 shown]
	v_add_f64 v[107:108], v[107:108], v[155:156]
	s_clause 0x4
	buffer_load_dword v156, off, s[0:3], 0 offset:684
	buffer_load_dword v157, off, s[0:3], 0 offset:696
	;; [unrolled: 1-line block ×5, first 2 shown]
	ds_read_b128 v[101:104], v154 offset:1184
	s_waitcnt vmcnt(57) lgkmcnt(1)
	v_mul_f64 v[184:185], v[1:2], v[115:116]
	v_mul_f64 v[115:116], v[3:4], v[115:116]
	s_waitcnt vmcnt(56)
	v_fma_f64 v[129:130], v[97:98], v[159:160], -v[129:130]
	v_add_f64 v[105:106], v[105:106], v[109:110]
	v_fma_f64 v[109:110], v[99:100], v[159:160], v[165:166]
	v_add_f64 v[107:108], v[107:108], v[119:120]
	s_clause 0x2
	buffer_load_dword v158, off, s[0:3], 0 offset:700
	buffer_load_dword v120, off, s[0:3], 0 offset:676
	;; [unrolled: 1-line block ×3, first 2 shown]
	s_waitcnt vmcnt(58) lgkmcnt(0)
	v_mul_f64 v[159:160], v[101:102], v[135:136]
	v_mul_f64 v[135:136], v[103:104], v[135:136]
	ds_read_b128 v[97:100], v154 offset:1200
	s_waitcnt vmcnt(56)
	v_fma_f64 v[115:116], v[1:2], v[125:126], -v[115:116]
	v_fma_f64 v[125:126], v[3:4], v[125:126], v[184:185]
	v_add_f64 v[105:106], v[105:106], v[129:130]
	v_add_f64 v[107:108], v[107:108], v[109:110]
	s_clause 0x4
	buffer_load_dword v110, off, s[0:3], 0 offset:716
	buffer_load_dword v129, off, s[0:3], 0 offset:728
	;; [unrolled: 1-line block ×5, first 2 shown]
	ds_read_b128 v[1:4], v154 offset:1216
	s_waitcnt vmcnt(57) lgkmcnt(1)
	v_mul_f64 v[184:185], v[97:98], v[121:122]
	v_mul_f64 v[121:122], v[99:100], v[121:122]
	s_waitcnt vmcnt(56)
	v_fma_f64 v[135:136], v[101:102], v[137:138], -v[135:136]
	v_add_f64 v[105:106], v[105:106], v[115:116]
	v_fma_f64 v[115:116], v[103:104], v[137:138], v[159:160]
	v_add_f64 v[107:108], v[107:108], v[125:126]
	s_clause 0x2
	buffer_load_dword v130, off, s[0:3], 0 offset:732
	buffer_load_dword v126, off, s[0:3], 0 offset:708
	;; [unrolled: 1-line block ×3, first 2 shown]
	ds_read_b128 v[101:104], v154 offset:1232
	s_waitcnt vmcnt(58) lgkmcnt(1)
	v_mul_f64 v[137:138], v[1:2], v[143:144]
	v_mul_f64 v[143:144], v[3:4], v[143:144]
	s_waitcnt vmcnt(56)
	v_fma_f64 v[121:122], v[97:98], v[123:124], -v[121:122]
	v_fma_f64 v[123:124], v[99:100], v[123:124], v[184:185]
	v_add_f64 v[105:106], v[105:106], v[135:136]
	v_add_f64 v[107:108], v[107:108], v[115:116]
	s_clause 0x2
	buffer_load_dword v116, off, s[0:3], 0 offset:748
	buffer_load_dword v115, off, s[0:3], 0 offset:744
	;; [unrolled: 1-line block ×3, first 2 shown]
	ds_read_b128 v[97:100], v154 offset:1248
	s_waitcnt vmcnt(55) lgkmcnt(1)
	v_mul_f64 v[135:136], v[101:102], v[127:128]
	v_mul_f64 v[127:128], v[103:104], v[127:128]
	s_waitcnt vmcnt(54)
	v_fma_f64 v[143:144], v[1:2], v[145:146], -v[143:144]
	v_add_f64 v[105:106], v[105:106], v[121:122]
	v_fma_f64 v[121:122], v[3:4], v[145:146], v[137:138]
	v_add_f64 v[107:108], v[107:108], v[123:124]
	s_clause 0x1
	buffer_load_dword v124, off, s[0:3], 0 offset:740
	buffer_load_dword v123, off, s[0:3], 0 offset:736
	ds_read_b128 v[1:4], v154 offset:1264
	s_waitcnt vmcnt(55) lgkmcnt(1)
	v_mul_f64 v[145:146], v[99:100], v[149:150]
	v_mul_f64 v[137:138], v[97:98], v[149:150]
	s_waitcnt vmcnt(53)
	v_fma_f64 v[127:128], v[101:102], v[131:132], -v[127:128]
	v_fma_f64 v[131:132], v[103:104], v[131:132], v[135:136]
	ds_read_b128 v[101:104], v154 offset:1280
	v_add_f64 v[105:106], v[105:106], v[143:144]
	v_add_f64 v[107:108], v[107:108], v[121:122]
	s_waitcnt vmcnt(49) lgkmcnt(1)
	v_mul_f64 v[121:122], v[1:2], v[133:134]
	v_mul_f64 v[133:134], v[3:4], v[133:134]
	s_waitcnt vmcnt(48)
	v_fma_f64 v[135:136], v[97:98], v[151:152], -v[145:146]
	v_add_f64 v[105:106], v[105:106], v[127:128]
	v_fma_f64 v[127:128], v[99:100], v[151:152], v[137:138]
	v_add_f64 v[107:108], v[107:108], v[131:132]
	s_clause 0x3
	buffer_load_dword v131, off, s[0:3], 0 offset:32
	buffer_load_dword v132, off, s[0:3], 0 offset:36
	buffer_load_dword v137, off, s[0:3], 0 offset:40
	buffer_load_dword v138, off, s[0:3], 0 offset:44
	ds_read_b128 v[97:100], v154 offset:1296
	s_waitcnt vmcnt(51) lgkmcnt(1)
	v_mul_f64 v[145:146], v[103:104], v[171:172]
	v_mul_f64 v[143:144], v[101:102], v[171:172]
	s_waitcnt vmcnt(49)
	v_fma_f64 v[133:134], v[1:2], v[139:140], -v[133:134]
	v_fma_f64 v[121:122], v[3:4], v[139:140], v[121:122]
	ds_read_b128 v[1:4], v154 offset:1312
	v_add_f64 v[105:106], v[105:106], v[135:136]
	v_add_f64 v[107:108], v[107:108], v[127:128]
	s_waitcnt vmcnt(45) lgkmcnt(1)
	v_mul_f64 v[135:136], v[99:100], v[141:142]
	s_waitcnt vmcnt(44)
	v_fma_f64 v[139:140], v[101:102], v[175:176], -v[145:146]
	v_mul_f64 v[127:128], v[97:98], v[141:142]
	v_add_f64 v[105:106], v[105:106], v[133:134]
	v_fma_f64 v[133:134], v[103:104], v[175:176], v[143:144]
	v_add_f64 v[107:108], v[107:108], v[121:122]
	ds_read_b128 v[101:104], v154 offset:1328
	s_waitcnt vmcnt(43) lgkmcnt(1)
	v_mul_f64 v[141:142], v[3:4], v[161:162]
	v_mul_f64 v[121:122], v[1:2], v[161:162]
	s_waitcnt vmcnt(41)
	v_fma_f64 v[135:136], v[97:98], v[147:148], -v[135:136]
	v_fma_f64 v[127:128], v[99:100], v[147:148], v[127:128]
	ds_read_b128 v[97:100], v154 offset:1344
	v_add_f64 v[105:106], v[105:106], v[139:140]
	v_add_f64 v[107:108], v[107:108], v[133:134]
	s_waitcnt vmcnt(37) lgkmcnt(1)
	v_mul_f64 v[139:140], v[103:104], v[167:168]
	s_waitcnt vmcnt(36)
	v_fma_f64 v[141:142], v[1:2], v[180:181], -v[141:142]
	v_mul_f64 v[133:134], v[101:102], v[167:168]
	v_fma_f64 v[121:122], v[3:4], v[180:181], v[121:122]
	ds_read_b128 v[1:4], v154 offset:1360
	v_add_f64 v[105:106], v[105:106], v[135:136]
	v_add_f64 v[107:108], v[107:108], v[127:128]
	s_waitcnt vmcnt(35) lgkmcnt(1)
	v_mul_f64 v[135:136], v[99:100], v[173:174]
	v_mul_f64 v[127:128], v[97:98], v[173:174]
	s_waitcnt vmcnt(33)
	v_fma_f64 v[139:140], v[101:102], v[111:112], -v[139:140]
	v_fma_f64 v[111:112], v[103:104], v[111:112], v[133:134]
	ds_read_b128 v[101:104], v154 offset:1376
	v_add_f64 v[105:106], v[105:106], v[141:142]
	v_add_f64 v[107:108], v[107:108], v[121:122]
	s_waitcnt vmcnt(29) lgkmcnt(1)
	v_mul_f64 v[121:122], v[1:2], v[117:118]
	v_mul_f64 v[117:118], v[3:4], v[117:118]
	s_waitcnt vmcnt(28)
	v_fma_f64 v[133:134], v[97:98], v[177:178], -v[135:136]
	;; [unrolled: 9-line block ×3, first 2 shown]
	v_fma_f64 v[113:114], v[3:4], v[113:114], v[121:122]
	ds_read_b128 v[1:4], v154 offset:1408
	v_add_f64 v[105:106], v[105:106], v[133:134]
	v_add_f64 v[107:108], v[107:108], v[127:128]
	s_waitcnt vmcnt(21) lgkmcnt(1)
	v_mul_f64 v[127:128], v[99:100], v[155:156]
	s_waitcnt vmcnt(20)
	v_fma_f64 v[133:134], v[101:102], v[182:183], -v[135:136]
	v_mul_f64 v[121:122], v[97:98], v[155:156]
	v_fma_f64 v[111:112], v[103:104], v[182:183], v[111:112]
	ds_read_b128 v[101:104], v154 offset:1424
	v_add_f64 v[105:106], v[105:106], v[117:118]
	v_add_f64 v[107:108], v[107:108], v[113:114]
	s_waitcnt vmcnt(19) lgkmcnt(1)
	v_mul_f64 v[117:118], v[3:4], v[157:158]
	v_mul_f64 v[113:114], v[1:2], v[157:158]
	s_waitcnt vmcnt(17)
	v_fma_f64 v[127:128], v[97:98], v[119:120], -v[127:128]
	v_fma_f64 v[119:120], v[99:100], v[119:120], v[121:122]
	ds_read_b128 v[97:100], v154 offset:1440
	v_add_f64 v[105:106], v[105:106], v[133:134]
	v_add_f64 v[107:108], v[107:108], v[111:112]
	s_waitcnt vmcnt(13) lgkmcnt(1)
	v_mul_f64 v[111:112], v[101:102], v[109:110]
	v_mul_f64 v[109:110], v[103:104], v[109:110]
	s_waitcnt vmcnt(12)
	v_fma_f64 v[117:118], v[1:2], v[169:170], -v[117:118]
	;; [unrolled: 9-line block ×3, first 2 shown]
	v_fma_f64 v[103:104], v[103:104], v[125:126], v[111:112]
	v_add_f64 v[105:106], v[105:106], v[117:118]
	v_add_f64 v[107:108], v[107:108], v[113:114]
	s_waitcnt vmcnt(7) lgkmcnt(0)
	v_mul_f64 v[111:112], v[3:4], v[115:116]
	s_waitcnt vmcnt(6)
	v_fma_f64 v[97:98], v[97:98], v[165:166], -v[121:122]
	v_mul_f64 v[109:110], v[1:2], v[115:116]
	v_fma_f64 v[99:100], v[99:100], v[165:166], v[119:120]
	v_add_f64 v[101:102], v[105:106], v[101:102]
	v_add_f64 v[103:104], v[107:108], v[103:104]
	s_waitcnt vmcnt(4)
	v_fma_f64 v[1:2], v[1:2], v[123:124], -v[111:112]
	v_fma_f64 v[3:4], v[3:4], v[123:124], v[109:110]
	v_add_f64 v[97:98], v[101:102], v[97:98]
	v_add_f64 v[99:100], v[103:104], v[99:100]
	;; [unrolled: 1-line block ×4, first 2 shown]
	s_waitcnt vmcnt(2)
	v_add_f64 v[1:2], v[131:132], -v[1:2]
	s_waitcnt vmcnt(0)
	v_add_f64 v[3:4], v[137:138], -v[3:4]
	buffer_store_dword v2, off, s[0:3], 0 offset:36
	buffer_store_dword v1, off, s[0:3], 0 offset:32
	;; [unrolled: 1-line block ×4, first 2 shown]
	v_cmpx_ne_u32_e32 0, v0
	s_cbranch_execz .LBB109_289
; %bb.288:
	s_clause 0x3
	buffer_load_dword v0, off, s[0:3], 0 offset:16
	buffer_load_dword v1, off, s[0:3], 0 offset:20
	;; [unrolled: 1-line block ×4, first 2 shown]
	v_mov_b32_e32 v4, 0
	buffer_store_dword v4, off, s[0:3], 0 offset:16
	buffer_store_dword v4, off, s[0:3], 0 offset:20
	;; [unrolled: 1-line block ×4, first 2 shown]
	s_waitcnt vmcnt(0)
	ds_write_b128 v153, v[0:3]
.LBB109_289:
	s_or_b32 exec_lo, exec_lo, s4
	s_waitcnt lgkmcnt(0)
	s_waitcnt_vscnt null, 0x0
	s_barrier
	buffer_gl0_inv
	s_clause 0x37
	buffer_load_dword v105, off, s[0:3], 0 offset:40
	buffer_load_dword v106, off, s[0:3], 0 offset:44
	;; [unrolled: 1-line block ×56, first 2 shown]
	v_mov_b32_e32 v4, 0
	s_and_b32 vcc_lo, exec_lo, s58
	ds_read_b128 v[157:160], v4 offset:752
	s_clause 0x2
	buffer_load_dword v154, off, s[0:3], 0 offset:268
	buffer_load_dword v156, off, s[0:3], 0 offset:244
	;; [unrolled: 1-line block ×3, first 2 shown]
	ds_read_b128 v[0:3], v4 offset:768
	s_clause 0x4
	buffer_load_dword v168, off, s[0:3], 0 offset:284
	buffer_load_dword v169, off, s[0:3], 0 offset:296
	;; [unrolled: 1-line block ×5, first 2 shown]
	ds_read_b128 v[161:164], v4 offset:784
	s_waitcnt vmcnt(62) lgkmcnt(2)
	v_mul_f64 v[165:166], v[159:160], v[105:106]
	v_mul_f64 v[105:106], v[157:158], v[105:106]
	s_waitcnt vmcnt(60) lgkmcnt(1)
	v_mul_f64 v[172:173], v[2:3], v[101:102]
	s_waitcnt vmcnt(56) lgkmcnt(0)
	v_mul_f64 v[174:175], v[161:162], v[99:100]
	v_mul_f64 v[99:100], v[163:164], v[99:100]
	v_fma_f64 v[157:158], v[157:158], v[103:104], -v[165:166]
	v_mul_f64 v[165:166], v[0:1], v[101:102]
	v_fma_f64 v[105:106], v[159:160], v[103:104], v[105:106]
	s_clause 0x2
	buffer_load_dword v170, off, s[0:3], 0 offset:300
	buffer_load_dword v160, off, s[0:3], 0 offset:276
	;; [unrolled: 1-line block ×3, first 2 shown]
	s_waitcnt vmcnt(57)
	v_fma_f64 v[176:177], v[0:1], v[97:98], -v[172:173]
	ds_read_b128 v[101:104], v4 offset:800
	s_waitcnt vmcnt(51)
	v_fma_f64 v[161:162], v[161:162], v[121:122], -v[99:100]
	v_fma_f64 v[121:122], v[163:164], v[121:122], v[174:175]
	v_add_f64 v[157:158], v[157:158], 0
	v_fma_f64 v[97:98], v[2:3], v[97:98], v[165:166]
	v_add_f64 v[105:106], v[105:106], 0
	s_clause 0x4
	buffer_load_dword v166, off, s[0:3], 0 offset:316
	buffer_load_dword v173, off, s[0:3], 0 offset:328
	;; [unrolled: 1-line block ×5, first 2 shown]
	s_waitcnt lgkmcnt(0)
	v_mul_f64 v[179:180], v[101:102], v[109:110]
	v_mul_f64 v[109:110], v[103:104], v[109:110]
	ds_read_b128 v[0:3], v4 offset:816
	s_clause 0x2
	buffer_load_dword v174, off, s[0:3], 0 offset:332
	buffer_load_dword v164, off, s[0:3], 0 offset:308
	;; [unrolled: 1-line block ×3, first 2 shown]
	v_add_f64 v[157:158], v[157:158], v[176:177]
	v_add_f64 v[105:106], v[105:106], v[97:98]
	ds_read_b128 v[97:100], v4 offset:832
	s_waitcnt vmcnt(58) lgkmcnt(1)
	v_mul_f64 v[175:176], v[0:1], v[113:114]
	v_mul_f64 v[113:114], v[2:3], v[113:114]
	s_waitcnt vmcnt(56)
	v_fma_f64 v[109:110], v[101:102], v[115:116], -v[109:110]
	v_fma_f64 v[115:116], v[103:104], v[115:116], v[179:180]
	v_add_f64 v[157:158], v[157:158], v[161:162]
	s_waitcnt vmcnt(52) lgkmcnt(0)
	v_mul_f64 v[181:182], v[97:98], v[117:118]
	v_add_f64 v[105:106], v[105:106], v[121:122]
	s_clause 0x4
	buffer_load_dword v122, off, s[0:3], 0 offset:348
	buffer_load_dword v161, off, s[0:3], 0 offset:360
	;; [unrolled: 1-line block ×5, first 2 shown]
	v_mul_f64 v[117:118], v[99:100], v[117:118]
	s_waitcnt vmcnt(56)
	v_fma_f64 v[113:114], v[0:1], v[107:108], -v[113:114]
	ds_read_b128 v[101:104], v4 offset:848
	v_fma_f64 v[107:108], v[2:3], v[107:108], v[175:176]
	v_add_f64 v[109:110], v[157:158], v[109:110]
	v_add_f64 v[105:106], v[105:106], v[115:116]
	s_clause 0x2
	buffer_load_dword v162, off, s[0:3], 0 offset:364
	buffer_load_dword v116, off, s[0:3], 0 offset:340
	;; [unrolled: 1-line block ×3, first 2 shown]
	s_waitcnt vmcnt(58) lgkmcnt(0)
	v_mul_f64 v[157:158], v[101:102], v[123:124]
	v_mul_f64 v[123:124], v[103:104], v[123:124]
	s_waitcnt vmcnt(56)
	v_fma_f64 v[117:118], v[97:98], v[125:126], -v[117:118]
	ds_read_b128 v[0:3], v4 offset:864
	v_add_f64 v[109:110], v[109:110], v[113:114]
	v_fma_f64 v[113:114], v[99:100], v[125:126], v[181:182]
	v_add_f64 v[105:106], v[105:106], v[107:108]
	s_clause 0x4
	buffer_load_dword v108, off, s[0:3], 0 offset:380
	buffer_load_dword v125, off, s[0:3], 0 offset:392
	;; [unrolled: 1-line block ×5, first 2 shown]
	ds_read_b128 v[97:100], v4 offset:880
	s_waitcnt vmcnt(57) lgkmcnt(1)
	v_mul_f64 v[176:177], v[0:1], v[127:128]
	v_mul_f64 v[127:128], v[2:3], v[127:128]
	s_waitcnt vmcnt(56)
	v_fma_f64 v[123:124], v[101:102], v[111:112], -v[123:124]
	v_fma_f64 v[111:112], v[103:104], v[111:112], v[157:158]
	v_add_f64 v[109:110], v[109:110], v[117:118]
	v_add_f64 v[105:106], v[105:106], v[113:114]
	s_clause 0x2
	buffer_load_dword v126, off, s[0:3], 0 offset:396
	buffer_load_dword v114, off, s[0:3], 0 offset:372
	;; [unrolled: 1-line block ×3, first 2 shown]
	s_waitcnt vmcnt(58) lgkmcnt(0)
	v_mul_f64 v[117:118], v[97:98], v[131:132]
	v_mul_f64 v[131:132], v[99:100], v[131:132]
	s_waitcnt vmcnt(56)
	v_fma_f64 v[127:128], v[0:1], v[133:134], -v[127:128]
	ds_read_b128 v[101:104], v4 offset:896
	v_add_f64 v[109:110], v[109:110], v[123:124]
	v_fma_f64 v[123:124], v[2:3], v[133:134], v[176:177]
	v_add_f64 v[105:106], v[105:106], v[111:112]
	s_clause 0x4
	buffer_load_dword v112, off, s[0:3], 0 offset:412
	buffer_load_dword v133, off, s[0:3], 0 offset:424
	;; [unrolled: 1-line block ×5, first 2 shown]
	ds_read_b128 v[0:3], v4 offset:912
	s_waitcnt vmcnt(57) lgkmcnt(1)
	v_mul_f64 v[182:183], v[101:102], v[135:136]
	v_mul_f64 v[135:136], v[103:104], v[135:136]
	s_waitcnt vmcnt(56)
	v_fma_f64 v[131:132], v[97:98], v[119:120], -v[131:132]
	v_fma_f64 v[117:118], v[99:100], v[119:120], v[117:118]
	s_clause 0x2
	buffer_load_dword v134, off, s[0:3], 0 offset:428
	buffer_load_dword v120, off, s[0:3], 0 offset:404
	;; [unrolled: 1-line block ×3, first 2 shown]
	ds_read_b128 v[97:100], v4 offset:928
	v_add_f64 v[109:110], v[109:110], v[127:128]
	v_add_f64 v[105:106], v[105:106], v[123:124]
	s_waitcnt vmcnt(58) lgkmcnt(1)
	v_mul_f64 v[127:128], v[2:3], v[139:140]
	v_mul_f64 v[123:124], v[0:1], v[139:140]
	s_waitcnt vmcnt(56)
	v_fma_f64 v[135:136], v[101:102], v[141:142], -v[135:136]
	v_add_f64 v[109:110], v[109:110], v[131:132]
	v_fma_f64 v[131:132], v[103:104], v[141:142], v[182:183]
	v_add_f64 v[105:106], v[105:106], v[117:118]
	s_clause 0x4
	buffer_load_dword v118, off, s[0:3], 0 offset:444
	buffer_load_dword v139, off, s[0:3], 0 offset:456
	;; [unrolled: 1-line block ×5, first 2 shown]
	s_waitcnt vmcnt(57) lgkmcnt(0)
	v_mul_f64 v[182:183], v[97:98], v[143:144]
	v_mul_f64 v[142:143], v[99:100], v[143:144]
	s_waitcnt vmcnt(56)
	v_fma_f64 v[127:128], v[0:1], v[129:130], -v[127:128]
	ds_read_b128 v[101:104], v4 offset:944
	v_fma_f64 v[123:124], v[2:3], v[129:130], v[123:124]
	s_clause 0x2
	buffer_load_dword v140, off, s[0:3], 0 offset:460
	buffer_load_dword v130, off, s[0:3], 0 offset:436
	;; [unrolled: 1-line block ×3, first 2 shown]
	ds_read_b128 v[0:3], v4 offset:960
	v_add_f64 v[109:110], v[109:110], v[135:136]
	v_add_f64 v[105:106], v[105:106], v[131:132]
	s_waitcnt vmcnt(58) lgkmcnt(1)
	v_mul_f64 v[135:136], v[103:104], v[147:148]
	s_waitcnt vmcnt(56)
	v_fma_f64 v[143:144], v[97:98], v[149:150], -v[142:143]
	v_mul_f64 v[131:132], v[101:102], v[147:148]
	v_add_f64 v[109:110], v[109:110], v[127:128]
	v_fma_f64 v[127:128], v[99:100], v[149:150], v[182:183]
	v_add_f64 v[105:106], v[105:106], v[123:124]
	s_clause 0x4
	buffer_load_dword v124, off, s[0:3], 0 offset:476
	buffer_load_dword v147, off, s[0:3], 0 offset:488
	;; [unrolled: 1-line block ×5, first 2 shown]
	s_waitcnt vmcnt(57) lgkmcnt(0)
	v_mul_f64 v[182:183], v[0:1], v[151:152]
	v_mul_f64 v[150:151], v[2:3], v[151:152]
	s_waitcnt vmcnt(56)
	v_fma_f64 v[135:136], v[101:102], v[137:138], -v[135:136]
	ds_read_b128 v[97:100], v4 offset:976
	v_fma_f64 v[131:132], v[103:104], v[137:138], v[131:132]
	v_add_f64 v[109:110], v[109:110], v[143:144]
	v_add_f64 v[105:106], v[105:106], v[127:128]
	s_clause 0x2
	buffer_load_dword v148, off, s[0:3], 0 offset:492
	buffer_load_dword v128, off, s[0:3], 0 offset:468
	;; [unrolled: 1-line block ×3, first 2 shown]
	ds_read_b128 v[101:104], v4 offset:992
	s_waitcnt vmcnt(58) lgkmcnt(1)
	v_mul_f64 v[143:144], v[99:100], v[153:154]
	s_waitcnt vmcnt(56)
	v_fma_f64 v[151:152], v[0:1], v[155:156], -v[150:151]
	v_mul_f64 v[137:138], v[97:98], v[153:154]
	v_add_f64 v[109:110], v[109:110], v[135:136]
	v_fma_f64 v[135:136], v[2:3], v[155:156], v[182:183]
	v_add_f64 v[105:106], v[105:106], v[131:132]
	s_clause 0x4
	buffer_load_dword v132, off, s[0:3], 0 offset:508
	buffer_load_dword v153, off, s[0:3], 0 offset:520
	;; [unrolled: 1-line block ×5, first 2 shown]
	s_waitcnt vmcnt(57) lgkmcnt(0)
	v_mul_f64 v[182:183], v[101:102], v[167:168]
	v_mul_f64 v[167:168], v[103:104], v[167:168]
	s_waitcnt vmcnt(56)
	v_fma_f64 v[143:144], v[97:98], v[145:146], -v[143:144]
	ds_read_b128 v[0:3], v4 offset:1008
	v_fma_f64 v[137:138], v[99:100], v[145:146], v[137:138]
	v_add_f64 v[109:110], v[109:110], v[151:152]
	v_add_f64 v[105:106], v[105:106], v[135:136]
	s_clause 0x2
	buffer_load_dword v154, off, s[0:3], 0 offset:524
	buffer_load_dword v136, off, s[0:3], 0 offset:500
	;; [unrolled: 1-line block ×3, first 2 shown]
	ds_read_b128 v[97:100], v4 offset:1024
	s_waitcnt vmcnt(58) lgkmcnt(1)
	v_mul_f64 v[151:152], v[2:3], v[169:170]
	v_mul_f64 v[145:146], v[0:1], v[169:170]
	s_waitcnt vmcnt(56)
	v_fma_f64 v[167:168], v[101:102], v[159:160], -v[167:168]
	v_add_f64 v[109:110], v[109:110], v[143:144]
	v_fma_f64 v[143:144], v[103:104], v[159:160], v[182:183]
	v_add_f64 v[105:106], v[105:106], v[137:138]
	s_clause 0x4
	buffer_load_dword v138, off, s[0:3], 0 offset:540
	buffer_load_dword v159, off, s[0:3], 0 offset:552
	;; [unrolled: 1-line block ×5, first 2 shown]
	ds_read_b128 v[101:104], v4 offset:1040
	s_waitcnt vmcnt(57) lgkmcnt(1)
	v_mul_f64 v[182:183], v[97:98], v[165:166]
	v_mul_f64 v[165:166], v[99:100], v[165:166]
	s_waitcnt vmcnt(56)
	v_fma_f64 v[151:152], v[0:1], v[171:172], -v[151:152]
	v_fma_f64 v[145:146], v[2:3], v[171:172], v[145:146]
	v_add_f64 v[109:110], v[109:110], v[167:168]
	v_add_f64 v[105:106], v[105:106], v[143:144]
	s_clause 0x2
	buffer_load_dword v160, off, s[0:3], 0 offset:556
	buffer_load_dword v144, off, s[0:3], 0 offset:532
	;; [unrolled: 1-line block ×3, first 2 shown]
	s_waitcnt vmcnt(58) lgkmcnt(0)
	v_mul_f64 v[171:172], v[103:104], v[173:174]
	ds_read_b128 v[0:3], v4 offset:1056
	v_mul_f64 v[167:168], v[101:102], v[173:174]
	s_waitcnt vmcnt(56)
	v_fma_f64 v[165:166], v[97:98], v[163:164], -v[165:166]
	v_add_f64 v[109:110], v[109:110], v[151:152]
	v_fma_f64 v[151:152], v[99:100], v[163:164], v[182:183]
	v_add_f64 v[105:106], v[105:106], v[145:146]
	s_clause 0x4
	buffer_load_dword v146, off, s[0:3], 0 offset:572
	buffer_load_dword v163, off, s[0:3], 0 offset:584
	;; [unrolled: 1-line block ×5, first 2 shown]
	ds_read_b128 v[97:100], v4 offset:1072
	s_waitcnt vmcnt(57) lgkmcnt(1)
	v_mul_f64 v[182:183], v[0:1], v[121:122]
	v_mul_f64 v[121:122], v[2:3], v[121:122]
	s_waitcnt vmcnt(56)
	v_fma_f64 v[171:172], v[101:102], v[178:179], -v[171:172]
	v_add_f64 v[109:110], v[109:110], v[165:166]
	v_fma_f64 v[165:166], v[103:104], v[178:179], v[167:168]
	v_add_f64 v[105:106], v[105:106], v[151:152]
	s_clause 0x2
	buffer_load_dword v164, off, s[0:3], 0 offset:588
	buffer_load_dword v152, off, s[0:3], 0 offset:564
	;; [unrolled: 1-line block ×3, first 2 shown]
	ds_read_b128 v[101:104], v4 offset:1088
	s_waitcnt vmcnt(58) lgkmcnt(1)
	v_mul_f64 v[167:168], v[97:98], v[161:162]
	v_mul_f64 v[161:162], v[99:100], v[161:162]
	s_waitcnt vmcnt(56)
	v_fma_f64 v[121:122], v[0:1], v[115:116], -v[121:122]
	v_fma_f64 v[115:116], v[2:3], v[115:116], v[182:183]
	v_add_f64 v[109:110], v[109:110], v[171:172]
	v_add_f64 v[105:106], v[105:106], v[165:166]
	s_clause 0x4
	buffer_load_dword v166, off, s[0:3], 0 offset:604
	buffer_load_dword v171, off, s[0:3], 0 offset:616
	;; [unrolled: 1-line block ×5, first 2 shown]
	ds_read_b128 v[0:3], v4 offset:1104
	s_waitcnt vmcnt(57) lgkmcnt(1)
	v_mul_f64 v[178:179], v[101:102], v[107:108]
	v_mul_f64 v[107:108], v[103:104], v[107:108]
	s_waitcnt vmcnt(56)
	v_fma_f64 v[161:162], v[97:98], v[180:181], -v[161:162]
	v_add_f64 v[109:110], v[109:110], v[121:122]
	v_fma_f64 v[121:122], v[99:100], v[180:181], v[167:168]
	v_add_f64 v[105:106], v[105:106], v[115:116]
	s_clause 0x2
	buffer_load_dword v172, off, s[0:3], 0 offset:620
	buffer_load_dword v116, off, s[0:3], 0 offset:596
	;; [unrolled: 1-line block ×3, first 2 shown]
	ds_read_b128 v[97:100], v4 offset:1120
	s_waitcnt vmcnt(58) lgkmcnt(1)
	v_mul_f64 v[167:168], v[0:1], v[125:126]
	v_mul_f64 v[125:126], v[2:3], v[125:126]
	s_waitcnt vmcnt(56)
	v_fma_f64 v[107:108], v[101:102], v[113:114], -v[107:108]
	v_fma_f64 v[113:114], v[103:104], v[113:114], v[178:179]
	v_add_f64 v[109:110], v[109:110], v[161:162]
	v_add_f64 v[105:106], v[105:106], v[121:122]
	s_clause 0x4
	buffer_load_dword v122, off, s[0:3], 0 offset:636
	buffer_load_dword v161, off, s[0:3], 0 offset:648
	;; [unrolled: 1-line block ×5, first 2 shown]
	ds_read_b128 v[101:104], v4 offset:1136
	s_waitcnt vmcnt(57) lgkmcnt(1)
	v_mul_f64 v[180:181], v[97:98], v[111:112]
	v_mul_f64 v[111:112], v[99:100], v[111:112]
	s_waitcnt vmcnt(56)
	v_fma_f64 v[125:126], v[0:1], v[175:176], -v[125:126]
	v_add_f64 v[107:108], v[109:110], v[107:108]
	v_fma_f64 v[109:110], v[2:3], v[175:176], v[167:168]
	v_add_f64 v[105:106], v[105:106], v[113:114]
	s_clause 0x2
	buffer_load_dword v162, off, s[0:3], 0 offset:652
	buffer_load_dword v114, off, s[0:3], 0 offset:628
	;; [unrolled: 1-line block ×3, first 2 shown]
	s_waitcnt vmcnt(58) lgkmcnt(0)
	v_mul_f64 v[167:168], v[101:102], v[133:134]
	v_mul_f64 v[133:134], v[103:104], v[133:134]
	ds_read_b128 v[0:3], v4 offset:1152
	s_waitcnt vmcnt(56)
	v_fma_f64 v[111:112], v[97:98], v[119:120], -v[111:112]
	v_fma_f64 v[119:120], v[99:100], v[119:120], v[180:181]
	v_add_f64 v[107:108], v[107:108], v[125:126]
	v_add_f64 v[105:106], v[105:106], v[109:110]
	s_clause 0x4
	buffer_load_dword v110, off, s[0:3], 0 offset:668
	buffer_load_dword v125, off, s[0:3], 0 offset:680
	;; [unrolled: 1-line block ×5, first 2 shown]
	ds_read_b128 v[97:100], v4 offset:1168
	s_waitcnt vmcnt(57) lgkmcnt(1)
	v_mul_f64 v[181:182], v[0:1], v[117:118]
	v_mul_f64 v[117:118], v[2:3], v[117:118]
	s_waitcnt vmcnt(56)
	v_fma_f64 v[133:134], v[101:102], v[157:158], -v[133:134]
	v_add_f64 v[107:108], v[107:108], v[111:112]
	v_fma_f64 v[111:112], v[103:104], v[157:158], v[167:168]
	v_add_f64 v[105:106], v[105:106], v[119:120]
	s_clause 0x2
	buffer_load_dword v126, off, s[0:3], 0 offset:684
	buffer_load_dword v120, off, s[0:3], 0 offset:660
	;; [unrolled: 1-line block ×3, first 2 shown]
	s_waitcnt vmcnt(58) lgkmcnt(0)
	v_mul_f64 v[157:158], v[97:98], v[139:140]
	v_mul_f64 v[139:140], v[99:100], v[139:140]
	ds_read_b128 v[101:104], v4 offset:1184
	s_waitcnt vmcnt(56)
	v_fma_f64 v[117:118], v[0:1], v[129:130], -v[117:118]
	v_fma_f64 v[129:130], v[2:3], v[129:130], v[181:182]
	v_add_f64 v[107:108], v[107:108], v[133:134]
	v_add_f64 v[105:106], v[105:106], v[111:112]
	s_clause 0x4
	buffer_load_dword v112, off, s[0:3], 0 offset:700
	buffer_load_dword v133, off, s[0:3], 0 offset:712
	;; [unrolled: 1-line block ×5, first 2 shown]
	ds_read_b128 v[0:3], v4 offset:1200
	s_waitcnt vmcnt(57) lgkmcnt(1)
	v_mul_f64 v[181:182], v[101:102], v[123:124]
	v_mul_f64 v[123:124], v[103:104], v[123:124]
	s_waitcnt vmcnt(56)
	v_fma_f64 v[139:140], v[97:98], v[141:142], -v[139:140]
	v_add_f64 v[107:108], v[107:108], v[117:118]
	v_fma_f64 v[117:118], v[99:100], v[141:142], v[157:158]
	v_add_f64 v[105:106], v[105:106], v[129:130]
	s_clause 0x2
	buffer_load_dword v134, off, s[0:3], 0 offset:716
	buffer_load_dword v130, off, s[0:3], 0 offset:692
	;; [unrolled: 1-line block ×3, first 2 shown]
	ds_read_b128 v[97:100], v4 offset:1216
	s_waitcnt vmcnt(58) lgkmcnt(1)
	v_mul_f64 v[141:142], v[0:1], v[147:148]
	v_mul_f64 v[147:148], v[2:3], v[147:148]
	s_waitcnt vmcnt(56)
	v_fma_f64 v[123:124], v[101:102], v[127:128], -v[123:124]
	v_fma_f64 v[127:128], v[103:104], v[127:128], v[181:182]
	v_add_f64 v[107:108], v[107:108], v[139:140]
	v_add_f64 v[105:106], v[105:106], v[117:118]
	s_clause 0x4
	buffer_load_dword v118, off, s[0:3], 0 offset:732
	buffer_load_dword v139, off, s[0:3], 0 offset:744
	;; [unrolled: 1-line block ×5, first 2 shown]
	ds_read_b128 v[101:104], v4 offset:1232
	s_waitcnt vmcnt(57) lgkmcnt(1)
	v_mul_f64 v[181:182], v[97:98], v[131:132]
	v_mul_f64 v[131:132], v[99:100], v[131:132]
	s_waitcnt vmcnt(56)
	v_fma_f64 v[147:148], v[0:1], v[149:150], -v[147:148]
	v_add_f64 v[107:108], v[107:108], v[123:124]
	v_fma_f64 v[123:124], v[2:3], v[149:150], v[141:142]
	v_add_f64 v[105:106], v[105:106], v[127:128]
	s_clause 0x2
	buffer_load_dword v140, off, s[0:3], 0 offset:748
	buffer_load_dword v128, off, s[0:3], 0 offset:724
	buffer_load_dword v127, off, s[0:3], 0 offset:720
	ds_read_b128 v[0:3], v4 offset:1248
	buffer_load_dword v158, off, s[0:3], 0 offset:740
	s_waitcnt vmcnt(59) lgkmcnt(1)
	v_mul_f64 v[149:150], v[103:104], v[153:154]
	v_mul_f64 v[141:142], v[101:102], v[153:154]
	s_waitcnt vmcnt(57)
	v_fma_f64 v[131:132], v[97:98], v[135:136], -v[131:132]
	v_fma_f64 v[135:136], v[99:100], v[135:136], v[181:182]
	ds_read_b128 v[97:100], v4 offset:1264
	v_add_f64 v[107:108], v[107:108], v[147:148]
	v_add_f64 v[105:106], v[105:106], v[123:124]
	s_waitcnt vmcnt(53) lgkmcnt(1)
	v_mul_f64 v[123:124], v[0:1], v[137:138]
	v_mul_f64 v[137:138], v[2:3], v[137:138]
	s_waitcnt vmcnt(52)
	v_fma_f64 v[147:148], v[101:102], v[155:156], -v[149:150]
	v_add_f64 v[107:108], v[107:108], v[131:132]
	v_fma_f64 v[131:132], v[103:104], v[155:156], v[141:142]
	v_add_f64 v[105:106], v[105:106], v[135:136]
	ds_read_b128 v[101:104], v4 offset:1280
	s_waitcnt vmcnt(51) lgkmcnt(1)
	v_mul_f64 v[141:142], v[99:100], v[159:160]
	v_mul_f64 v[135:136], v[97:98], v[159:160]
	s_waitcnt vmcnt(49)
	v_fma_f64 v[137:138], v[0:1], v[143:144], -v[137:138]
	v_fma_f64 v[123:124], v[2:3], v[143:144], v[123:124]
	v_add_f64 v[107:108], v[107:108], v[147:148]
	v_add_f64 v[105:106], v[105:106], v[131:132]
	s_clause 0x3
	buffer_load_dword v131, off, s[0:3], 0 offset:16
	buffer_load_dword v132, off, s[0:3], 0 offset:20
	buffer_load_dword v143, off, s[0:3], 0 offset:24
	buffer_load_dword v144, off, s[0:3], 0 offset:28
	ds_read_b128 v[0:3], v4 offset:1296
	s_waitcnt vmcnt(49) lgkmcnt(1)
	v_mul_f64 v[147:148], v[101:102], v[145:146]
	v_mul_f64 v[145:146], v[103:104], v[145:146]
	s_waitcnt vmcnt(48)
	v_fma_f64 v[141:142], v[97:98], v[169:170], -v[141:142]
	v_fma_f64 v[135:136], v[99:100], v[169:170], v[135:136]
	ds_read_b128 v[97:100], v4 offset:1312
	v_add_f64 v[107:108], v[107:108], v[137:138]
	v_add_f64 v[105:106], v[105:106], v[123:124]
	s_waitcnt vmcnt(47) lgkmcnt(1)
	v_mul_f64 v[137:138], v[2:3], v[163:164]
	v_mul_f64 v[123:124], v[0:1], v[163:164]
	s_waitcnt vmcnt(45)
	v_fma_f64 v[145:146], v[101:102], v[151:152], -v[145:146]
	v_add_f64 v[107:108], v[107:108], v[141:142]
	v_fma_f64 v[141:142], v[103:104], v[151:152], v[147:148]
	v_add_f64 v[105:106], v[105:106], v[135:136]
	ds_read_b128 v[101:104], v4 offset:1328
	s_waitcnt vmcnt(41) lgkmcnt(1)
	v_mul_f64 v[147:148], v[99:100], v[165:166]
	s_waitcnt vmcnt(40)
	v_fma_f64 v[137:138], v[0:1], v[173:174], -v[137:138]
	v_mul_f64 v[135:136], v[97:98], v[165:166]
	v_fma_f64 v[123:124], v[2:3], v[173:174], v[123:124]
	ds_read_b128 v[0:3], v4 offset:1344
	v_add_f64 v[107:108], v[107:108], v[145:146]
	v_add_f64 v[105:106], v[105:106], v[141:142]
	s_waitcnt vmcnt(39) lgkmcnt(1)
	v_mul_f64 v[145:146], v[103:104], v[171:172]
	v_mul_f64 v[141:142], v[101:102], v[171:172]
	s_waitcnt vmcnt(37)
	v_fma_f64 v[147:148], v[97:98], v[115:116], -v[147:148]
	v_fma_f64 v[115:116], v[99:100], v[115:116], v[135:136]
	ds_read_b128 v[97:100], v4 offset:1360
	v_add_f64 v[107:108], v[107:108], v[137:138]
	v_add_f64 v[105:106], v[105:106], v[123:124]
	s_waitcnt vmcnt(33) lgkmcnt(1)
	v_mul_f64 v[123:124], v[0:1], v[121:122]
	v_mul_f64 v[121:122], v[2:3], v[121:122]
	s_waitcnt vmcnt(32)
	v_fma_f64 v[135:136], v[101:102], v[177:178], -v[145:146]
	;; [unrolled: 9-line block ×6, first 2 shown]
	v_add_f64 v[107:108], v[107:108], v[109:110]
	v_fma_f64 v[109:110], v[2:3], v[175:176], v[113:114]
	v_add_f64 v[105:106], v[105:106], v[119:120]
	ds_read_b128 v[0:3], v4 offset:1440
	s_waitcnt vmcnt(15) lgkmcnt(1)
	v_mul_f64 v[119:120], v[103:104], v[133:134]
	v_mul_f64 v[113:114], v[101:102], v[133:134]
	s_waitcnt vmcnt(13)
	v_fma_f64 v[111:112], v[97:98], v[129:130], -v[111:112]
	v_fma_f64 v[115:116], v[99:100], v[129:130], v[115:116]
	ds_read_b128 v[97:100], v4 offset:1456
	v_add_f64 v[107:108], v[107:108], v[121:122]
	v_add_f64 v[105:106], v[105:106], v[109:110]
	s_waitcnt vmcnt(9) lgkmcnt(1)
	v_mul_f64 v[109:110], v[0:1], v[117:118]
	v_mul_f64 v[117:118], v[2:3], v[117:118]
	s_waitcnt vmcnt(8)
	v_fma_f64 v[101:102], v[101:102], v[167:168], -v[119:120]
	v_fma_f64 v[103:104], v[103:104], v[167:168], v[113:114]
	v_add_f64 v[107:108], v[107:108], v[111:112]
	v_add_f64 v[105:106], v[105:106], v[115:116]
	s_waitcnt vmcnt(7) lgkmcnt(0)
	v_mul_f64 v[113:114], v[99:100], v[139:140]
	v_mul_f64 v[111:112], v[97:98], v[139:140]
	s_waitcnt vmcnt(5)
	v_fma_f64 v[0:1], v[0:1], v[127:128], -v[117:118]
	v_fma_f64 v[2:3], v[2:3], v[127:128], v[109:110]
	v_add_f64 v[101:102], v[107:108], v[101:102]
	v_add_f64 v[103:104], v[105:106], v[103:104]
	s_waitcnt vmcnt(4)
	v_fma_f64 v[97:98], v[97:98], v[157:158], -v[113:114]
	v_fma_f64 v[99:100], v[99:100], v[157:158], v[111:112]
	v_add_f64 v[0:1], v[101:102], v[0:1]
	v_add_f64 v[2:3], v[103:104], v[2:3]
	;; [unrolled: 1-line block ×4, first 2 shown]
	s_waitcnt vmcnt(2)
	v_add_f64 v[0:1], v[131:132], -v[0:1]
	s_waitcnt vmcnt(0)
	v_add_f64 v[2:3], v[143:144], -v[2:3]
	buffer_store_dword v1, off, s[0:3], 0 offset:20
	buffer_store_dword v0, off, s[0:3], 0 offset:16
	;; [unrolled: 1-line block ×4, first 2 shown]
	s_cbranch_vccz .LBB109_380
; %bb.290:
	global_load_dword v0, v4, s[12:13] offset:176
	s_waitcnt vmcnt(0)
	v_add_nc_u32_e32 v0, -1, v0
	v_cmp_ne_u32_e32 vcc_lo, 44, v0
	s_cbranch_vccz .LBB109_292
; %bb.291:
	v_lshlrev_b32_e32 v0, 4, v0
	v_mov_b32_e32 v1, s9
	v_add_nc_u32_e32 v0, 16, v0
	s_clause 0x7
	buffer_load_dword v2, v0, s[0:3], 0 offen
	buffer_load_dword v3, v0, s[0:3], 0 offen offset:4
	buffer_load_dword v4, v0, s[0:3], 0 offen offset:8
	buffer_load_dword v97, v0, s[0:3], 0 offen offset:12
	buffer_load_dword v98, v1, s[0:3], 0 offen offset:12
	buffer_load_dword v99, v1, s[0:3], 0 offen offset:8
	buffer_load_dword v100, v1, s[0:3], 0 offen offset:4
	buffer_load_dword v101, v1, s[0:3], 0 offen
	s_waitcnt vmcnt(7)
	buffer_store_dword v2, v1, s[0:3], 0 offen
	s_waitcnt vmcnt(6)
	buffer_store_dword v3, v1, s[0:3], 0 offen offset:4
	s_waitcnt vmcnt(5)
	buffer_store_dword v4, v1, s[0:3], 0 offen offset:8
	;; [unrolled: 2-line block ×6, first 2 shown]
	s_waitcnt vmcnt(0)
	buffer_store_dword v101, v0, s[0:3], 0 offen
.LBB109_292:
	v_mov_b32_e32 v0, 0
	global_load_dword v1, v0, s[12:13] offset:172
	s_waitcnt vmcnt(0)
	v_add_nc_u32_e32 v1, -1, v1
	v_cmp_eq_u32_e32 vcc_lo, 43, v1
	s_cbranch_vccnz .LBB109_294
; %bb.293:
	v_lshlrev_b32_e32 v1, 4, v1
	v_mov_b32_e32 v2, s14
	v_add_nc_u32_e32 v1, 16, v1
	s_clause 0x7
	buffer_load_dword v3, v1, s[0:3], 0 offen
	buffer_load_dword v4, v1, s[0:3], 0 offen offset:4
	buffer_load_dword v97, v1, s[0:3], 0 offen offset:8
	;; [unrolled: 1-line block ×6, first 2 shown]
	buffer_load_dword v102, v2, s[0:3], 0 offen
	s_waitcnt vmcnt(7)
	buffer_store_dword v3, v2, s[0:3], 0 offen
	s_waitcnt vmcnt(6)
	buffer_store_dword v4, v2, s[0:3], 0 offen offset:4
	s_waitcnt vmcnt(5)
	buffer_store_dword v97, v2, s[0:3], 0 offen offset:8
	;; [unrolled: 2-line block ×6, first 2 shown]
	s_waitcnt vmcnt(0)
	buffer_store_dword v102, v1, s[0:3], 0 offen
.LBB109_294:
	global_load_dword v0, v0, s[12:13] offset:168
	s_waitcnt vmcnt(0)
	v_add_nc_u32_e32 v0, -1, v0
	v_cmp_eq_u32_e32 vcc_lo, 42, v0
	s_cbranch_vccnz .LBB109_296
; %bb.295:
	v_lshlrev_b32_e32 v0, 4, v0
	v_mov_b32_e32 v1, s15
	v_add_nc_u32_e32 v0, 16, v0
	s_clause 0x7
	buffer_load_dword v2, v0, s[0:3], 0 offen
	buffer_load_dword v3, v0, s[0:3], 0 offen offset:4
	buffer_load_dword v4, v0, s[0:3], 0 offen offset:8
	;; [unrolled: 1-line block ×6, first 2 shown]
	buffer_load_dword v101, v1, s[0:3], 0 offen
	s_waitcnt vmcnt(7)
	buffer_store_dword v2, v1, s[0:3], 0 offen
	s_waitcnt vmcnt(6)
	buffer_store_dword v3, v1, s[0:3], 0 offen offset:4
	s_waitcnt vmcnt(5)
	buffer_store_dword v4, v1, s[0:3], 0 offen offset:8
	;; [unrolled: 2-line block ×6, first 2 shown]
	s_waitcnt vmcnt(0)
	buffer_store_dword v101, v0, s[0:3], 0 offen
.LBB109_296:
	v_mov_b32_e32 v0, 0
	global_load_dword v1, v0, s[12:13] offset:164
	s_waitcnt vmcnt(0)
	v_add_nc_u32_e32 v1, -1, v1
	v_cmp_eq_u32_e32 vcc_lo, 41, v1
	s_cbranch_vccnz .LBB109_298
; %bb.297:
	v_lshlrev_b32_e32 v1, 4, v1
	v_mov_b32_e32 v2, s16
	v_add_nc_u32_e32 v1, 16, v1
	s_clause 0x7
	buffer_load_dword v3, v1, s[0:3], 0 offen
	buffer_load_dword v4, v1, s[0:3], 0 offen offset:4
	buffer_load_dword v97, v1, s[0:3], 0 offen offset:8
	;; [unrolled: 1-line block ×6, first 2 shown]
	buffer_load_dword v102, v2, s[0:3], 0 offen
	s_waitcnt vmcnt(7)
	buffer_store_dword v3, v2, s[0:3], 0 offen
	s_waitcnt vmcnt(6)
	buffer_store_dword v4, v2, s[0:3], 0 offen offset:4
	s_waitcnt vmcnt(5)
	buffer_store_dword v97, v2, s[0:3], 0 offen offset:8
	;; [unrolled: 2-line block ×6, first 2 shown]
	s_waitcnt vmcnt(0)
	buffer_store_dword v102, v1, s[0:3], 0 offen
.LBB109_298:
	global_load_dword v0, v0, s[12:13] offset:160
	s_waitcnt vmcnt(0)
	v_add_nc_u32_e32 v0, -1, v0
	v_cmp_eq_u32_e32 vcc_lo, 40, v0
	s_cbranch_vccnz .LBB109_300
; %bb.299:
	v_lshlrev_b32_e32 v0, 4, v0
	v_mov_b32_e32 v1, s17
	v_add_nc_u32_e32 v0, 16, v0
	s_clause 0x7
	buffer_load_dword v2, v0, s[0:3], 0 offen
	buffer_load_dword v3, v0, s[0:3], 0 offen offset:4
	buffer_load_dword v4, v0, s[0:3], 0 offen offset:8
	;; [unrolled: 1-line block ×6, first 2 shown]
	buffer_load_dword v101, v1, s[0:3], 0 offen
	s_waitcnt vmcnt(7)
	buffer_store_dword v2, v1, s[0:3], 0 offen
	s_waitcnt vmcnt(6)
	buffer_store_dword v3, v1, s[0:3], 0 offen offset:4
	s_waitcnt vmcnt(5)
	buffer_store_dword v4, v1, s[0:3], 0 offen offset:8
	;; [unrolled: 2-line block ×6, first 2 shown]
	s_waitcnt vmcnt(0)
	buffer_store_dword v101, v0, s[0:3], 0 offen
.LBB109_300:
	v_mov_b32_e32 v0, 0
	global_load_dword v1, v0, s[12:13] offset:156
	s_waitcnt vmcnt(0)
	v_add_nc_u32_e32 v1, -1, v1
	v_cmp_eq_u32_e32 vcc_lo, 39, v1
	s_cbranch_vccnz .LBB109_302
; %bb.301:
	v_lshlrev_b32_e32 v1, 4, v1
	v_mov_b32_e32 v2, s18
	v_add_nc_u32_e32 v1, 16, v1
	s_clause 0x7
	buffer_load_dword v3, v1, s[0:3], 0 offen
	buffer_load_dword v4, v1, s[0:3], 0 offen offset:4
	buffer_load_dword v97, v1, s[0:3], 0 offen offset:8
	;; [unrolled: 1-line block ×6, first 2 shown]
	buffer_load_dword v102, v2, s[0:3], 0 offen
	s_waitcnt vmcnt(7)
	buffer_store_dword v3, v2, s[0:3], 0 offen
	s_waitcnt vmcnt(6)
	buffer_store_dword v4, v2, s[0:3], 0 offen offset:4
	s_waitcnt vmcnt(5)
	buffer_store_dword v97, v2, s[0:3], 0 offen offset:8
	s_waitcnt vmcnt(4)
	buffer_store_dword v98, v2, s[0:3], 0 offen offset:12
	s_waitcnt vmcnt(3)
	buffer_store_dword v99, v1, s[0:3], 0 offen offset:12
	s_waitcnt vmcnt(2)
	buffer_store_dword v100, v1, s[0:3], 0 offen offset:8
	s_waitcnt vmcnt(1)
	buffer_store_dword v101, v1, s[0:3], 0 offen offset:4
	s_waitcnt vmcnt(0)
	buffer_store_dword v102, v1, s[0:3], 0 offen
.LBB109_302:
	global_load_dword v0, v0, s[12:13] offset:152
	s_waitcnt vmcnt(0)
	v_add_nc_u32_e32 v0, -1, v0
	v_cmp_eq_u32_e32 vcc_lo, 38, v0
	s_cbranch_vccnz .LBB109_304
; %bb.303:
	v_lshlrev_b32_e32 v0, 4, v0
	v_mov_b32_e32 v1, s19
	v_add_nc_u32_e32 v0, 16, v0
	s_clause 0x7
	buffer_load_dword v2, v0, s[0:3], 0 offen
	buffer_load_dword v3, v0, s[0:3], 0 offen offset:4
	buffer_load_dword v4, v0, s[0:3], 0 offen offset:8
	buffer_load_dword v97, v0, s[0:3], 0 offen offset:12
	buffer_load_dword v98, v1, s[0:3], 0 offen offset:12
	buffer_load_dword v99, v1, s[0:3], 0 offen offset:8
	buffer_load_dword v100, v1, s[0:3], 0 offen offset:4
	buffer_load_dword v101, v1, s[0:3], 0 offen
	s_waitcnt vmcnt(7)
	buffer_store_dword v2, v1, s[0:3], 0 offen
	s_waitcnt vmcnt(6)
	buffer_store_dword v3, v1, s[0:3], 0 offen offset:4
	s_waitcnt vmcnt(5)
	buffer_store_dword v4, v1, s[0:3], 0 offen offset:8
	;; [unrolled: 2-line block ×6, first 2 shown]
	s_waitcnt vmcnt(0)
	buffer_store_dword v101, v0, s[0:3], 0 offen
.LBB109_304:
	v_mov_b32_e32 v0, 0
	global_load_dword v1, v0, s[12:13] offset:148
	s_waitcnt vmcnt(0)
	v_add_nc_u32_e32 v1, -1, v1
	v_cmp_eq_u32_e32 vcc_lo, 37, v1
	s_cbranch_vccnz .LBB109_306
; %bb.305:
	v_lshlrev_b32_e32 v1, 4, v1
	v_mov_b32_e32 v2, s20
	v_add_nc_u32_e32 v1, 16, v1
	s_clause 0x7
	buffer_load_dword v3, v1, s[0:3], 0 offen
	buffer_load_dword v4, v1, s[0:3], 0 offen offset:4
	buffer_load_dword v97, v1, s[0:3], 0 offen offset:8
	buffer_load_dword v98, v1, s[0:3], 0 offen offset:12
	buffer_load_dword v99, v2, s[0:3], 0 offen offset:12
	buffer_load_dword v100, v2, s[0:3], 0 offen offset:8
	buffer_load_dword v101, v2, s[0:3], 0 offen offset:4
	buffer_load_dword v102, v2, s[0:3], 0 offen
	s_waitcnt vmcnt(7)
	buffer_store_dword v3, v2, s[0:3], 0 offen
	s_waitcnt vmcnt(6)
	buffer_store_dword v4, v2, s[0:3], 0 offen offset:4
	s_waitcnt vmcnt(5)
	buffer_store_dword v97, v2, s[0:3], 0 offen offset:8
	;; [unrolled: 2-line block ×6, first 2 shown]
	s_waitcnt vmcnt(0)
	buffer_store_dword v102, v1, s[0:3], 0 offen
.LBB109_306:
	global_load_dword v0, v0, s[12:13] offset:144
	s_waitcnt vmcnt(0)
	v_add_nc_u32_e32 v0, -1, v0
	v_cmp_eq_u32_e32 vcc_lo, 36, v0
	s_cbranch_vccnz .LBB109_308
; %bb.307:
	v_lshlrev_b32_e32 v0, 4, v0
	v_mov_b32_e32 v1, s21
	v_add_nc_u32_e32 v0, 16, v0
	s_clause 0x7
	buffer_load_dword v2, v0, s[0:3], 0 offen
	buffer_load_dword v3, v0, s[0:3], 0 offen offset:4
	buffer_load_dword v4, v0, s[0:3], 0 offen offset:8
	;; [unrolled: 1-line block ×6, first 2 shown]
	buffer_load_dword v101, v1, s[0:3], 0 offen
	s_waitcnt vmcnt(7)
	buffer_store_dword v2, v1, s[0:3], 0 offen
	s_waitcnt vmcnt(6)
	buffer_store_dword v3, v1, s[0:3], 0 offen offset:4
	s_waitcnt vmcnt(5)
	buffer_store_dword v4, v1, s[0:3], 0 offen offset:8
	s_waitcnt vmcnt(4)
	buffer_store_dword v97, v1, s[0:3], 0 offen offset:12
	s_waitcnt vmcnt(3)
	buffer_store_dword v98, v0, s[0:3], 0 offen offset:12
	s_waitcnt vmcnt(2)
	buffer_store_dword v99, v0, s[0:3], 0 offen offset:8
	s_waitcnt vmcnt(1)
	buffer_store_dword v100, v0, s[0:3], 0 offen offset:4
	s_waitcnt vmcnt(0)
	buffer_store_dword v101, v0, s[0:3], 0 offen
.LBB109_308:
	v_mov_b32_e32 v0, 0
	global_load_dword v1, v0, s[12:13] offset:140
	s_waitcnt vmcnt(0)
	v_add_nc_u32_e32 v1, -1, v1
	v_cmp_eq_u32_e32 vcc_lo, 35, v1
	s_cbranch_vccnz .LBB109_310
; %bb.309:
	v_lshlrev_b32_e32 v1, 4, v1
	v_mov_b32_e32 v2, s22
	v_add_nc_u32_e32 v1, 16, v1
	s_clause 0x7
	buffer_load_dword v3, v1, s[0:3], 0 offen
	buffer_load_dword v4, v1, s[0:3], 0 offen offset:4
	buffer_load_dword v97, v1, s[0:3], 0 offen offset:8
	;; [unrolled: 1-line block ×6, first 2 shown]
	buffer_load_dword v102, v2, s[0:3], 0 offen
	s_waitcnt vmcnt(7)
	buffer_store_dword v3, v2, s[0:3], 0 offen
	s_waitcnt vmcnt(6)
	buffer_store_dword v4, v2, s[0:3], 0 offen offset:4
	s_waitcnt vmcnt(5)
	buffer_store_dword v97, v2, s[0:3], 0 offen offset:8
	;; [unrolled: 2-line block ×6, first 2 shown]
	s_waitcnt vmcnt(0)
	buffer_store_dword v102, v1, s[0:3], 0 offen
.LBB109_310:
	global_load_dword v0, v0, s[12:13] offset:136
	s_waitcnt vmcnt(0)
	v_add_nc_u32_e32 v0, -1, v0
	v_cmp_eq_u32_e32 vcc_lo, 34, v0
	s_cbranch_vccnz .LBB109_312
; %bb.311:
	v_lshlrev_b32_e32 v0, 4, v0
	v_mov_b32_e32 v1, s23
	v_add_nc_u32_e32 v0, 16, v0
	s_clause 0x7
	buffer_load_dword v2, v0, s[0:3], 0 offen
	buffer_load_dword v3, v0, s[0:3], 0 offen offset:4
	buffer_load_dword v4, v0, s[0:3], 0 offen offset:8
	;; [unrolled: 1-line block ×6, first 2 shown]
	buffer_load_dword v101, v1, s[0:3], 0 offen
	s_waitcnt vmcnt(7)
	buffer_store_dword v2, v1, s[0:3], 0 offen
	s_waitcnt vmcnt(6)
	buffer_store_dword v3, v1, s[0:3], 0 offen offset:4
	s_waitcnt vmcnt(5)
	buffer_store_dword v4, v1, s[0:3], 0 offen offset:8
	;; [unrolled: 2-line block ×6, first 2 shown]
	s_waitcnt vmcnt(0)
	buffer_store_dword v101, v0, s[0:3], 0 offen
.LBB109_312:
	v_mov_b32_e32 v0, 0
	global_load_dword v1, v0, s[12:13] offset:132
	s_waitcnt vmcnt(0)
	v_add_nc_u32_e32 v1, -1, v1
	v_cmp_eq_u32_e32 vcc_lo, 33, v1
	s_cbranch_vccnz .LBB109_314
; %bb.313:
	v_lshlrev_b32_e32 v1, 4, v1
	v_mov_b32_e32 v2, s24
	v_add_nc_u32_e32 v1, 16, v1
	s_clause 0x7
	buffer_load_dword v3, v1, s[0:3], 0 offen
	buffer_load_dword v4, v1, s[0:3], 0 offen offset:4
	buffer_load_dword v97, v1, s[0:3], 0 offen offset:8
	;; [unrolled: 1-line block ×6, first 2 shown]
	buffer_load_dword v102, v2, s[0:3], 0 offen
	s_waitcnt vmcnt(7)
	buffer_store_dword v3, v2, s[0:3], 0 offen
	s_waitcnt vmcnt(6)
	buffer_store_dword v4, v2, s[0:3], 0 offen offset:4
	s_waitcnt vmcnt(5)
	buffer_store_dword v97, v2, s[0:3], 0 offen offset:8
	;; [unrolled: 2-line block ×6, first 2 shown]
	s_waitcnt vmcnt(0)
	buffer_store_dword v102, v1, s[0:3], 0 offen
.LBB109_314:
	global_load_dword v0, v0, s[12:13] offset:128
	s_waitcnt vmcnt(0)
	v_add_nc_u32_e32 v0, -1, v0
	v_cmp_eq_u32_e32 vcc_lo, 32, v0
	s_cbranch_vccnz .LBB109_316
; %bb.315:
	v_lshlrev_b32_e32 v0, 4, v0
	v_mov_b32_e32 v1, s25
	v_add_nc_u32_e32 v0, 16, v0
	s_clause 0x7
	buffer_load_dword v2, v0, s[0:3], 0 offen
	buffer_load_dword v3, v0, s[0:3], 0 offen offset:4
	buffer_load_dword v4, v0, s[0:3], 0 offen offset:8
	;; [unrolled: 1-line block ×6, first 2 shown]
	buffer_load_dword v101, v1, s[0:3], 0 offen
	s_waitcnt vmcnt(7)
	buffer_store_dword v2, v1, s[0:3], 0 offen
	s_waitcnt vmcnt(6)
	buffer_store_dword v3, v1, s[0:3], 0 offen offset:4
	s_waitcnt vmcnt(5)
	buffer_store_dword v4, v1, s[0:3], 0 offen offset:8
	;; [unrolled: 2-line block ×6, first 2 shown]
	s_waitcnt vmcnt(0)
	buffer_store_dword v101, v0, s[0:3], 0 offen
.LBB109_316:
	v_mov_b32_e32 v0, 0
	global_load_dword v1, v0, s[12:13] offset:124
	s_waitcnt vmcnt(0)
	v_add_nc_u32_e32 v1, -1, v1
	v_cmp_eq_u32_e32 vcc_lo, 31, v1
	s_cbranch_vccnz .LBB109_318
; %bb.317:
	v_lshlrev_b32_e32 v1, 4, v1
	v_mov_b32_e32 v2, s26
	v_add_nc_u32_e32 v1, 16, v1
	s_clause 0x7
	buffer_load_dword v3, v1, s[0:3], 0 offen
	buffer_load_dword v4, v1, s[0:3], 0 offen offset:4
	buffer_load_dword v97, v1, s[0:3], 0 offen offset:8
	;; [unrolled: 1-line block ×6, first 2 shown]
	buffer_load_dword v102, v2, s[0:3], 0 offen
	s_waitcnt vmcnt(7)
	buffer_store_dword v3, v2, s[0:3], 0 offen
	s_waitcnt vmcnt(6)
	buffer_store_dword v4, v2, s[0:3], 0 offen offset:4
	s_waitcnt vmcnt(5)
	buffer_store_dword v97, v2, s[0:3], 0 offen offset:8
	;; [unrolled: 2-line block ×6, first 2 shown]
	s_waitcnt vmcnt(0)
	buffer_store_dword v102, v1, s[0:3], 0 offen
.LBB109_318:
	global_load_dword v0, v0, s[12:13] offset:120
	s_waitcnt vmcnt(0)
	v_add_nc_u32_e32 v0, -1, v0
	v_cmp_eq_u32_e32 vcc_lo, 30, v0
	s_cbranch_vccnz .LBB109_320
; %bb.319:
	v_lshlrev_b32_e32 v0, 4, v0
	v_mov_b32_e32 v1, s27
	v_add_nc_u32_e32 v0, 16, v0
	s_clause 0x7
	buffer_load_dword v2, v0, s[0:3], 0 offen
	buffer_load_dword v3, v0, s[0:3], 0 offen offset:4
	buffer_load_dword v4, v0, s[0:3], 0 offen offset:8
	;; [unrolled: 1-line block ×6, first 2 shown]
	buffer_load_dword v101, v1, s[0:3], 0 offen
	s_waitcnt vmcnt(7)
	buffer_store_dword v2, v1, s[0:3], 0 offen
	s_waitcnt vmcnt(6)
	buffer_store_dword v3, v1, s[0:3], 0 offen offset:4
	s_waitcnt vmcnt(5)
	buffer_store_dword v4, v1, s[0:3], 0 offen offset:8
	;; [unrolled: 2-line block ×6, first 2 shown]
	s_waitcnt vmcnt(0)
	buffer_store_dword v101, v0, s[0:3], 0 offen
.LBB109_320:
	v_mov_b32_e32 v0, 0
	global_load_dword v1, v0, s[12:13] offset:116
	s_waitcnt vmcnt(0)
	v_add_nc_u32_e32 v1, -1, v1
	v_cmp_eq_u32_e32 vcc_lo, 29, v1
	s_cbranch_vccnz .LBB109_322
; %bb.321:
	v_lshlrev_b32_e32 v1, 4, v1
	v_mov_b32_e32 v2, s28
	v_add_nc_u32_e32 v1, 16, v1
	s_clause 0x7
	buffer_load_dword v3, v1, s[0:3], 0 offen
	buffer_load_dword v4, v1, s[0:3], 0 offen offset:4
	buffer_load_dword v97, v1, s[0:3], 0 offen offset:8
	;; [unrolled: 1-line block ×6, first 2 shown]
	buffer_load_dword v102, v2, s[0:3], 0 offen
	s_waitcnt vmcnt(7)
	buffer_store_dword v3, v2, s[0:3], 0 offen
	s_waitcnt vmcnt(6)
	buffer_store_dword v4, v2, s[0:3], 0 offen offset:4
	s_waitcnt vmcnt(5)
	buffer_store_dword v97, v2, s[0:3], 0 offen offset:8
	;; [unrolled: 2-line block ×6, first 2 shown]
	s_waitcnt vmcnt(0)
	buffer_store_dword v102, v1, s[0:3], 0 offen
.LBB109_322:
	global_load_dword v0, v0, s[12:13] offset:112
	s_waitcnt vmcnt(0)
	v_add_nc_u32_e32 v0, -1, v0
	v_cmp_eq_u32_e32 vcc_lo, 28, v0
	s_cbranch_vccnz .LBB109_324
; %bb.323:
	v_lshlrev_b32_e32 v0, 4, v0
	v_mov_b32_e32 v1, s29
	v_add_nc_u32_e32 v0, 16, v0
	s_clause 0x7
	buffer_load_dword v2, v0, s[0:3], 0 offen
	buffer_load_dword v3, v0, s[0:3], 0 offen offset:4
	buffer_load_dword v4, v0, s[0:3], 0 offen offset:8
	;; [unrolled: 1-line block ×6, first 2 shown]
	buffer_load_dword v101, v1, s[0:3], 0 offen
	s_waitcnt vmcnt(7)
	buffer_store_dword v2, v1, s[0:3], 0 offen
	s_waitcnt vmcnt(6)
	buffer_store_dword v3, v1, s[0:3], 0 offen offset:4
	s_waitcnt vmcnt(5)
	buffer_store_dword v4, v1, s[0:3], 0 offen offset:8
	;; [unrolled: 2-line block ×6, first 2 shown]
	s_waitcnt vmcnt(0)
	buffer_store_dword v101, v0, s[0:3], 0 offen
.LBB109_324:
	v_mov_b32_e32 v0, 0
	global_load_dword v1, v0, s[12:13] offset:108
	s_waitcnt vmcnt(0)
	v_add_nc_u32_e32 v1, -1, v1
	v_cmp_eq_u32_e32 vcc_lo, 27, v1
	s_cbranch_vccnz .LBB109_326
; %bb.325:
	v_lshlrev_b32_e32 v1, 4, v1
	v_mov_b32_e32 v2, s30
	v_add_nc_u32_e32 v1, 16, v1
	s_clause 0x7
	buffer_load_dword v3, v1, s[0:3], 0 offen
	buffer_load_dword v4, v1, s[0:3], 0 offen offset:4
	buffer_load_dword v97, v1, s[0:3], 0 offen offset:8
	buffer_load_dword v98, v1, s[0:3], 0 offen offset:12
	buffer_load_dword v99, v2, s[0:3], 0 offen offset:12
	buffer_load_dword v100, v2, s[0:3], 0 offen offset:8
	buffer_load_dword v101, v2, s[0:3], 0 offen offset:4
	buffer_load_dword v102, v2, s[0:3], 0 offen
	s_waitcnt vmcnt(7)
	buffer_store_dword v3, v2, s[0:3], 0 offen
	s_waitcnt vmcnt(6)
	buffer_store_dword v4, v2, s[0:3], 0 offen offset:4
	s_waitcnt vmcnt(5)
	buffer_store_dword v97, v2, s[0:3], 0 offen offset:8
	;; [unrolled: 2-line block ×6, first 2 shown]
	s_waitcnt vmcnt(0)
	buffer_store_dword v102, v1, s[0:3], 0 offen
.LBB109_326:
	global_load_dword v0, v0, s[12:13] offset:104
	s_waitcnt vmcnt(0)
	v_add_nc_u32_e32 v0, -1, v0
	v_cmp_eq_u32_e32 vcc_lo, 26, v0
	s_cbranch_vccnz .LBB109_328
; %bb.327:
	v_lshlrev_b32_e32 v0, 4, v0
	v_mov_b32_e32 v1, s31
	v_add_nc_u32_e32 v0, 16, v0
	s_clause 0x7
	buffer_load_dword v2, v0, s[0:3], 0 offen
	buffer_load_dword v3, v0, s[0:3], 0 offen offset:4
	buffer_load_dword v4, v0, s[0:3], 0 offen offset:8
	;; [unrolled: 1-line block ×6, first 2 shown]
	buffer_load_dword v101, v1, s[0:3], 0 offen
	s_waitcnt vmcnt(7)
	buffer_store_dword v2, v1, s[0:3], 0 offen
	s_waitcnt vmcnt(6)
	buffer_store_dword v3, v1, s[0:3], 0 offen offset:4
	s_waitcnt vmcnt(5)
	buffer_store_dword v4, v1, s[0:3], 0 offen offset:8
	;; [unrolled: 2-line block ×6, first 2 shown]
	s_waitcnt vmcnt(0)
	buffer_store_dword v101, v0, s[0:3], 0 offen
.LBB109_328:
	v_mov_b32_e32 v0, 0
	global_load_dword v1, v0, s[12:13] offset:100
	s_waitcnt vmcnt(0)
	v_add_nc_u32_e32 v1, -1, v1
	v_cmp_eq_u32_e32 vcc_lo, 25, v1
	s_cbranch_vccnz .LBB109_330
; %bb.329:
	v_lshlrev_b32_e32 v1, 4, v1
	v_mov_b32_e32 v2, s33
	v_add_nc_u32_e32 v1, 16, v1
	s_clause 0x7
	buffer_load_dword v3, v1, s[0:3], 0 offen
	buffer_load_dword v4, v1, s[0:3], 0 offen offset:4
	buffer_load_dword v97, v1, s[0:3], 0 offen offset:8
	;; [unrolled: 1-line block ×6, first 2 shown]
	buffer_load_dword v102, v2, s[0:3], 0 offen
	s_waitcnt vmcnt(7)
	buffer_store_dword v3, v2, s[0:3], 0 offen
	s_waitcnt vmcnt(6)
	buffer_store_dword v4, v2, s[0:3], 0 offen offset:4
	s_waitcnt vmcnt(5)
	buffer_store_dword v97, v2, s[0:3], 0 offen offset:8
	;; [unrolled: 2-line block ×6, first 2 shown]
	s_waitcnt vmcnt(0)
	buffer_store_dword v102, v1, s[0:3], 0 offen
.LBB109_330:
	global_load_dword v0, v0, s[12:13] offset:96
	s_waitcnt vmcnt(0)
	v_add_nc_u32_e32 v0, -1, v0
	v_cmp_eq_u32_e32 vcc_lo, 24, v0
	s_cbranch_vccnz .LBB109_332
; %bb.331:
	v_lshlrev_b32_e32 v0, 4, v0
	v_mov_b32_e32 v1, s34
	v_add_nc_u32_e32 v0, 16, v0
	s_clause 0x7
	buffer_load_dword v2, v0, s[0:3], 0 offen
	buffer_load_dword v3, v0, s[0:3], 0 offen offset:4
	buffer_load_dword v4, v0, s[0:3], 0 offen offset:8
	;; [unrolled: 1-line block ×6, first 2 shown]
	buffer_load_dword v101, v1, s[0:3], 0 offen
	s_waitcnt vmcnt(7)
	buffer_store_dword v2, v1, s[0:3], 0 offen
	s_waitcnt vmcnt(6)
	buffer_store_dword v3, v1, s[0:3], 0 offen offset:4
	s_waitcnt vmcnt(5)
	buffer_store_dword v4, v1, s[0:3], 0 offen offset:8
	;; [unrolled: 2-line block ×6, first 2 shown]
	s_waitcnt vmcnt(0)
	buffer_store_dword v101, v0, s[0:3], 0 offen
.LBB109_332:
	v_mov_b32_e32 v0, 0
	global_load_dword v1, v0, s[12:13] offset:92
	s_waitcnt vmcnt(0)
	v_add_nc_u32_e32 v1, -1, v1
	v_cmp_eq_u32_e32 vcc_lo, 23, v1
	s_cbranch_vccnz .LBB109_334
; %bb.333:
	v_lshlrev_b32_e32 v1, 4, v1
	v_mov_b32_e32 v2, s35
	v_add_nc_u32_e32 v1, 16, v1
	s_clause 0x7
	buffer_load_dword v3, v1, s[0:3], 0 offen
	buffer_load_dword v4, v1, s[0:3], 0 offen offset:4
	buffer_load_dword v97, v1, s[0:3], 0 offen offset:8
	;; [unrolled: 1-line block ×6, first 2 shown]
	buffer_load_dword v102, v2, s[0:3], 0 offen
	s_waitcnt vmcnt(7)
	buffer_store_dword v3, v2, s[0:3], 0 offen
	s_waitcnt vmcnt(6)
	buffer_store_dword v4, v2, s[0:3], 0 offen offset:4
	s_waitcnt vmcnt(5)
	buffer_store_dword v97, v2, s[0:3], 0 offen offset:8
	;; [unrolled: 2-line block ×6, first 2 shown]
	s_waitcnt vmcnt(0)
	buffer_store_dword v102, v1, s[0:3], 0 offen
.LBB109_334:
	global_load_dword v0, v0, s[12:13] offset:88
	s_waitcnt vmcnt(0)
	v_add_nc_u32_e32 v0, -1, v0
	v_cmp_eq_u32_e32 vcc_lo, 22, v0
	s_cbranch_vccnz .LBB109_336
; %bb.335:
	v_lshlrev_b32_e32 v0, 4, v0
	v_mov_b32_e32 v1, s36
	v_add_nc_u32_e32 v0, 16, v0
	s_clause 0x7
	buffer_load_dword v2, v0, s[0:3], 0 offen
	buffer_load_dword v3, v0, s[0:3], 0 offen offset:4
	buffer_load_dword v4, v0, s[0:3], 0 offen offset:8
	buffer_load_dword v97, v0, s[0:3], 0 offen offset:12
	buffer_load_dword v98, v1, s[0:3], 0 offen offset:12
	buffer_load_dword v99, v1, s[0:3], 0 offen offset:8
	buffer_load_dword v100, v1, s[0:3], 0 offen offset:4
	buffer_load_dword v101, v1, s[0:3], 0 offen
	s_waitcnt vmcnt(7)
	buffer_store_dword v2, v1, s[0:3], 0 offen
	s_waitcnt vmcnt(6)
	buffer_store_dword v3, v1, s[0:3], 0 offen offset:4
	s_waitcnt vmcnt(5)
	buffer_store_dword v4, v1, s[0:3], 0 offen offset:8
	;; [unrolled: 2-line block ×6, first 2 shown]
	s_waitcnt vmcnt(0)
	buffer_store_dword v101, v0, s[0:3], 0 offen
.LBB109_336:
	v_mov_b32_e32 v0, 0
	global_load_dword v1, v0, s[12:13] offset:84
	s_waitcnt vmcnt(0)
	v_add_nc_u32_e32 v1, -1, v1
	v_cmp_eq_u32_e32 vcc_lo, 21, v1
	s_cbranch_vccnz .LBB109_338
; %bb.337:
	v_lshlrev_b32_e32 v1, 4, v1
	v_mov_b32_e32 v2, s37
	v_add_nc_u32_e32 v1, 16, v1
	s_clause 0x7
	buffer_load_dword v3, v1, s[0:3], 0 offen
	buffer_load_dword v4, v1, s[0:3], 0 offen offset:4
	buffer_load_dword v97, v1, s[0:3], 0 offen offset:8
	;; [unrolled: 1-line block ×6, first 2 shown]
	buffer_load_dword v102, v2, s[0:3], 0 offen
	s_waitcnt vmcnt(7)
	buffer_store_dword v3, v2, s[0:3], 0 offen
	s_waitcnt vmcnt(6)
	buffer_store_dword v4, v2, s[0:3], 0 offen offset:4
	s_waitcnt vmcnt(5)
	buffer_store_dword v97, v2, s[0:3], 0 offen offset:8
	;; [unrolled: 2-line block ×6, first 2 shown]
	s_waitcnt vmcnt(0)
	buffer_store_dword v102, v1, s[0:3], 0 offen
.LBB109_338:
	global_load_dword v0, v0, s[12:13] offset:80
	s_waitcnt vmcnt(0)
	v_add_nc_u32_e32 v0, -1, v0
	v_cmp_eq_u32_e32 vcc_lo, 20, v0
	s_cbranch_vccnz .LBB109_340
; %bb.339:
	v_lshlrev_b32_e32 v0, 4, v0
	v_mov_b32_e32 v1, s38
	v_add_nc_u32_e32 v0, 16, v0
	s_clause 0x7
	buffer_load_dword v2, v0, s[0:3], 0 offen
	buffer_load_dword v3, v0, s[0:3], 0 offen offset:4
	buffer_load_dword v4, v0, s[0:3], 0 offen offset:8
	;; [unrolled: 1-line block ×6, first 2 shown]
	buffer_load_dword v101, v1, s[0:3], 0 offen
	s_waitcnt vmcnt(7)
	buffer_store_dword v2, v1, s[0:3], 0 offen
	s_waitcnt vmcnt(6)
	buffer_store_dword v3, v1, s[0:3], 0 offen offset:4
	s_waitcnt vmcnt(5)
	buffer_store_dword v4, v1, s[0:3], 0 offen offset:8
	;; [unrolled: 2-line block ×6, first 2 shown]
	s_waitcnt vmcnt(0)
	buffer_store_dword v101, v0, s[0:3], 0 offen
.LBB109_340:
	v_mov_b32_e32 v0, 0
	global_load_dword v1, v0, s[12:13] offset:76
	s_waitcnt vmcnt(0)
	v_add_nc_u32_e32 v1, -1, v1
	v_cmp_eq_u32_e32 vcc_lo, 19, v1
	s_cbranch_vccnz .LBB109_342
; %bb.341:
	v_lshlrev_b32_e32 v1, 4, v1
	v_mov_b32_e32 v2, s39
	v_add_nc_u32_e32 v1, 16, v1
	s_clause 0x7
	buffer_load_dword v3, v1, s[0:3], 0 offen
	buffer_load_dword v4, v1, s[0:3], 0 offen offset:4
	buffer_load_dword v97, v1, s[0:3], 0 offen offset:8
	;; [unrolled: 1-line block ×6, first 2 shown]
	buffer_load_dword v102, v2, s[0:3], 0 offen
	s_waitcnt vmcnt(7)
	buffer_store_dword v3, v2, s[0:3], 0 offen
	s_waitcnt vmcnt(6)
	buffer_store_dword v4, v2, s[0:3], 0 offen offset:4
	s_waitcnt vmcnt(5)
	buffer_store_dword v97, v2, s[0:3], 0 offen offset:8
	;; [unrolled: 2-line block ×6, first 2 shown]
	s_waitcnt vmcnt(0)
	buffer_store_dword v102, v1, s[0:3], 0 offen
.LBB109_342:
	global_load_dword v0, v0, s[12:13] offset:72
	s_waitcnt vmcnt(0)
	v_add_nc_u32_e32 v0, -1, v0
	v_cmp_eq_u32_e32 vcc_lo, 18, v0
	s_cbranch_vccnz .LBB109_344
; %bb.343:
	v_lshlrev_b32_e32 v0, 4, v0
	v_mov_b32_e32 v1, s40
	v_add_nc_u32_e32 v0, 16, v0
	s_clause 0x7
	buffer_load_dword v2, v0, s[0:3], 0 offen
	buffer_load_dword v3, v0, s[0:3], 0 offen offset:4
	buffer_load_dword v4, v0, s[0:3], 0 offen offset:8
	;; [unrolled: 1-line block ×6, first 2 shown]
	buffer_load_dword v101, v1, s[0:3], 0 offen
	s_waitcnt vmcnt(7)
	buffer_store_dword v2, v1, s[0:3], 0 offen
	s_waitcnt vmcnt(6)
	buffer_store_dword v3, v1, s[0:3], 0 offen offset:4
	s_waitcnt vmcnt(5)
	buffer_store_dword v4, v1, s[0:3], 0 offen offset:8
	;; [unrolled: 2-line block ×6, first 2 shown]
	s_waitcnt vmcnt(0)
	buffer_store_dword v101, v0, s[0:3], 0 offen
.LBB109_344:
	v_mov_b32_e32 v0, 0
	global_load_dword v1, v0, s[12:13] offset:68
	s_waitcnt vmcnt(0)
	v_add_nc_u32_e32 v1, -1, v1
	v_cmp_eq_u32_e32 vcc_lo, 17, v1
	s_cbranch_vccnz .LBB109_346
; %bb.345:
	v_lshlrev_b32_e32 v1, 4, v1
	v_mov_b32_e32 v2, s41
	v_add_nc_u32_e32 v1, 16, v1
	s_clause 0x7
	buffer_load_dword v3, v1, s[0:3], 0 offen
	buffer_load_dword v4, v1, s[0:3], 0 offen offset:4
	buffer_load_dword v97, v1, s[0:3], 0 offen offset:8
	;; [unrolled: 1-line block ×6, first 2 shown]
	buffer_load_dword v102, v2, s[0:3], 0 offen
	s_waitcnt vmcnt(7)
	buffer_store_dword v3, v2, s[0:3], 0 offen
	s_waitcnt vmcnt(6)
	buffer_store_dword v4, v2, s[0:3], 0 offen offset:4
	s_waitcnt vmcnt(5)
	buffer_store_dword v97, v2, s[0:3], 0 offen offset:8
	;; [unrolled: 2-line block ×6, first 2 shown]
	s_waitcnt vmcnt(0)
	buffer_store_dword v102, v1, s[0:3], 0 offen
.LBB109_346:
	global_load_dword v0, v0, s[12:13] offset:64
	s_waitcnt vmcnt(0)
	v_add_nc_u32_e32 v0, -1, v0
	v_cmp_eq_u32_e32 vcc_lo, 16, v0
	s_cbranch_vccnz .LBB109_348
; %bb.347:
	v_lshlrev_b32_e32 v0, 4, v0
	v_mov_b32_e32 v1, s42
	v_add_nc_u32_e32 v0, 16, v0
	s_clause 0x7
	buffer_load_dword v2, v0, s[0:3], 0 offen
	buffer_load_dword v3, v0, s[0:3], 0 offen offset:4
	buffer_load_dword v4, v0, s[0:3], 0 offen offset:8
	;; [unrolled: 1-line block ×6, first 2 shown]
	buffer_load_dword v101, v1, s[0:3], 0 offen
	s_waitcnt vmcnt(7)
	buffer_store_dword v2, v1, s[0:3], 0 offen
	s_waitcnt vmcnt(6)
	buffer_store_dword v3, v1, s[0:3], 0 offen offset:4
	s_waitcnt vmcnt(5)
	buffer_store_dword v4, v1, s[0:3], 0 offen offset:8
	;; [unrolled: 2-line block ×6, first 2 shown]
	s_waitcnt vmcnt(0)
	buffer_store_dword v101, v0, s[0:3], 0 offen
.LBB109_348:
	v_mov_b32_e32 v0, 0
	global_load_dword v1, v0, s[12:13] offset:60
	s_waitcnt vmcnt(0)
	v_add_nc_u32_e32 v1, -1, v1
	v_cmp_eq_u32_e32 vcc_lo, 15, v1
	s_cbranch_vccnz .LBB109_350
; %bb.349:
	v_lshlrev_b32_e32 v1, 4, v1
	v_mov_b32_e32 v2, s43
	v_add_nc_u32_e32 v1, 16, v1
	s_clause 0x7
	buffer_load_dword v3, v1, s[0:3], 0 offen
	buffer_load_dword v4, v1, s[0:3], 0 offen offset:4
	buffer_load_dword v97, v1, s[0:3], 0 offen offset:8
	;; [unrolled: 1-line block ×6, first 2 shown]
	buffer_load_dword v102, v2, s[0:3], 0 offen
	s_waitcnt vmcnt(7)
	buffer_store_dword v3, v2, s[0:3], 0 offen
	s_waitcnt vmcnt(6)
	buffer_store_dword v4, v2, s[0:3], 0 offen offset:4
	s_waitcnt vmcnt(5)
	buffer_store_dword v97, v2, s[0:3], 0 offen offset:8
	;; [unrolled: 2-line block ×6, first 2 shown]
	s_waitcnt vmcnt(0)
	buffer_store_dword v102, v1, s[0:3], 0 offen
.LBB109_350:
	global_load_dword v0, v0, s[12:13] offset:56
	s_waitcnt vmcnt(0)
	v_add_nc_u32_e32 v0, -1, v0
	v_cmp_eq_u32_e32 vcc_lo, 14, v0
	s_cbranch_vccnz .LBB109_352
; %bb.351:
	v_lshlrev_b32_e32 v0, 4, v0
	v_mov_b32_e32 v1, s44
	v_add_nc_u32_e32 v0, 16, v0
	s_clause 0x7
	buffer_load_dword v2, v0, s[0:3], 0 offen
	buffer_load_dword v3, v0, s[0:3], 0 offen offset:4
	buffer_load_dword v4, v0, s[0:3], 0 offen offset:8
	;; [unrolled: 1-line block ×6, first 2 shown]
	buffer_load_dword v101, v1, s[0:3], 0 offen
	s_waitcnt vmcnt(7)
	buffer_store_dword v2, v1, s[0:3], 0 offen
	s_waitcnt vmcnt(6)
	buffer_store_dword v3, v1, s[0:3], 0 offen offset:4
	s_waitcnt vmcnt(5)
	buffer_store_dword v4, v1, s[0:3], 0 offen offset:8
	;; [unrolled: 2-line block ×6, first 2 shown]
	s_waitcnt vmcnt(0)
	buffer_store_dword v101, v0, s[0:3], 0 offen
.LBB109_352:
	v_mov_b32_e32 v0, 0
	global_load_dword v1, v0, s[12:13] offset:52
	s_waitcnt vmcnt(0)
	v_add_nc_u32_e32 v1, -1, v1
	v_cmp_eq_u32_e32 vcc_lo, 13, v1
	s_cbranch_vccnz .LBB109_354
; %bb.353:
	v_lshlrev_b32_e32 v1, 4, v1
	v_mov_b32_e32 v2, s45
	v_add_nc_u32_e32 v1, 16, v1
	s_clause 0x7
	buffer_load_dword v3, v1, s[0:3], 0 offen
	buffer_load_dword v4, v1, s[0:3], 0 offen offset:4
	buffer_load_dword v97, v1, s[0:3], 0 offen offset:8
	;; [unrolled: 1-line block ×6, first 2 shown]
	buffer_load_dword v102, v2, s[0:3], 0 offen
	s_waitcnt vmcnt(7)
	buffer_store_dword v3, v2, s[0:3], 0 offen
	s_waitcnt vmcnt(6)
	buffer_store_dword v4, v2, s[0:3], 0 offen offset:4
	s_waitcnt vmcnt(5)
	buffer_store_dword v97, v2, s[0:3], 0 offen offset:8
	s_waitcnt vmcnt(4)
	buffer_store_dword v98, v2, s[0:3], 0 offen offset:12
	s_waitcnt vmcnt(3)
	buffer_store_dword v99, v1, s[0:3], 0 offen offset:12
	s_waitcnt vmcnt(2)
	buffer_store_dword v100, v1, s[0:3], 0 offen offset:8
	s_waitcnt vmcnt(1)
	buffer_store_dword v101, v1, s[0:3], 0 offen offset:4
	s_waitcnt vmcnt(0)
	buffer_store_dword v102, v1, s[0:3], 0 offen
.LBB109_354:
	global_load_dword v0, v0, s[12:13] offset:48
	s_waitcnt vmcnt(0)
	v_add_nc_u32_e32 v0, -1, v0
	v_cmp_eq_u32_e32 vcc_lo, 12, v0
	s_cbranch_vccnz .LBB109_356
; %bb.355:
	v_lshlrev_b32_e32 v0, 4, v0
	v_mov_b32_e32 v1, s46
	v_add_nc_u32_e32 v0, 16, v0
	s_clause 0x7
	buffer_load_dword v2, v0, s[0:3], 0 offen
	buffer_load_dword v3, v0, s[0:3], 0 offen offset:4
	buffer_load_dword v4, v0, s[0:3], 0 offen offset:8
	;; [unrolled: 1-line block ×6, first 2 shown]
	buffer_load_dword v101, v1, s[0:3], 0 offen
	s_waitcnt vmcnt(7)
	buffer_store_dword v2, v1, s[0:3], 0 offen
	s_waitcnt vmcnt(6)
	buffer_store_dword v3, v1, s[0:3], 0 offen offset:4
	s_waitcnt vmcnt(5)
	buffer_store_dword v4, v1, s[0:3], 0 offen offset:8
	;; [unrolled: 2-line block ×6, first 2 shown]
	s_waitcnt vmcnt(0)
	buffer_store_dword v101, v0, s[0:3], 0 offen
.LBB109_356:
	v_mov_b32_e32 v0, 0
	global_load_dword v1, v0, s[12:13] offset:44
	s_waitcnt vmcnt(0)
	v_add_nc_u32_e32 v1, -1, v1
	v_cmp_eq_u32_e32 vcc_lo, 11, v1
	s_cbranch_vccnz .LBB109_358
; %bb.357:
	v_lshlrev_b32_e32 v1, 4, v1
	v_mov_b32_e32 v2, s47
	v_add_nc_u32_e32 v1, 16, v1
	s_clause 0x7
	buffer_load_dword v3, v1, s[0:3], 0 offen
	buffer_load_dword v4, v1, s[0:3], 0 offen offset:4
	buffer_load_dword v97, v1, s[0:3], 0 offen offset:8
	;; [unrolled: 1-line block ×6, first 2 shown]
	buffer_load_dword v102, v2, s[0:3], 0 offen
	s_waitcnt vmcnt(7)
	buffer_store_dword v3, v2, s[0:3], 0 offen
	s_waitcnt vmcnt(6)
	buffer_store_dword v4, v2, s[0:3], 0 offen offset:4
	s_waitcnt vmcnt(5)
	buffer_store_dword v97, v2, s[0:3], 0 offen offset:8
	;; [unrolled: 2-line block ×6, first 2 shown]
	s_waitcnt vmcnt(0)
	buffer_store_dword v102, v1, s[0:3], 0 offen
.LBB109_358:
	global_load_dword v0, v0, s[12:13] offset:40
	s_waitcnt vmcnt(0)
	v_add_nc_u32_e32 v0, -1, v0
	v_cmp_eq_u32_e32 vcc_lo, 10, v0
	s_cbranch_vccnz .LBB109_360
; %bb.359:
	v_lshlrev_b32_e32 v0, 4, v0
	v_mov_b32_e32 v1, s48
	v_add_nc_u32_e32 v0, 16, v0
	s_clause 0x7
	buffer_load_dword v2, v0, s[0:3], 0 offen
	buffer_load_dword v3, v0, s[0:3], 0 offen offset:4
	buffer_load_dword v4, v0, s[0:3], 0 offen offset:8
	;; [unrolled: 1-line block ×6, first 2 shown]
	buffer_load_dword v101, v1, s[0:3], 0 offen
	s_waitcnt vmcnt(7)
	buffer_store_dword v2, v1, s[0:3], 0 offen
	s_waitcnt vmcnt(6)
	buffer_store_dword v3, v1, s[0:3], 0 offen offset:4
	s_waitcnt vmcnt(5)
	buffer_store_dword v4, v1, s[0:3], 0 offen offset:8
	;; [unrolled: 2-line block ×6, first 2 shown]
	s_waitcnt vmcnt(0)
	buffer_store_dword v101, v0, s[0:3], 0 offen
.LBB109_360:
	v_mov_b32_e32 v0, 0
	global_load_dword v1, v0, s[12:13] offset:36
	s_waitcnt vmcnt(0)
	v_add_nc_u32_e32 v1, -1, v1
	v_cmp_eq_u32_e32 vcc_lo, 9, v1
	s_cbranch_vccnz .LBB109_362
; %bb.361:
	v_lshlrev_b32_e32 v1, 4, v1
	v_mov_b32_e32 v2, s49
	v_add_nc_u32_e32 v1, 16, v1
	s_clause 0x7
	buffer_load_dword v3, v1, s[0:3], 0 offen
	buffer_load_dword v4, v1, s[0:3], 0 offen offset:4
	buffer_load_dword v97, v1, s[0:3], 0 offen offset:8
	;; [unrolled: 1-line block ×6, first 2 shown]
	buffer_load_dword v102, v2, s[0:3], 0 offen
	s_waitcnt vmcnt(7)
	buffer_store_dword v3, v2, s[0:3], 0 offen
	s_waitcnt vmcnt(6)
	buffer_store_dword v4, v2, s[0:3], 0 offen offset:4
	s_waitcnt vmcnt(5)
	buffer_store_dword v97, v2, s[0:3], 0 offen offset:8
	;; [unrolled: 2-line block ×6, first 2 shown]
	s_waitcnt vmcnt(0)
	buffer_store_dword v102, v1, s[0:3], 0 offen
.LBB109_362:
	global_load_dword v0, v0, s[12:13] offset:32
	s_waitcnt vmcnt(0)
	v_add_nc_u32_e32 v0, -1, v0
	v_cmp_eq_u32_e32 vcc_lo, 8, v0
	s_cbranch_vccnz .LBB109_364
; %bb.363:
	v_lshlrev_b32_e32 v0, 4, v0
	v_mov_b32_e32 v1, s50
	v_add_nc_u32_e32 v0, 16, v0
	s_clause 0x7
	buffer_load_dword v2, v0, s[0:3], 0 offen
	buffer_load_dword v3, v0, s[0:3], 0 offen offset:4
	buffer_load_dword v4, v0, s[0:3], 0 offen offset:8
	;; [unrolled: 1-line block ×6, first 2 shown]
	buffer_load_dword v101, v1, s[0:3], 0 offen
	s_waitcnt vmcnt(7)
	buffer_store_dword v2, v1, s[0:3], 0 offen
	s_waitcnt vmcnt(6)
	buffer_store_dword v3, v1, s[0:3], 0 offen offset:4
	s_waitcnt vmcnt(5)
	buffer_store_dword v4, v1, s[0:3], 0 offen offset:8
	;; [unrolled: 2-line block ×6, first 2 shown]
	s_waitcnt vmcnt(0)
	buffer_store_dword v101, v0, s[0:3], 0 offen
.LBB109_364:
	v_mov_b32_e32 v0, 0
	global_load_dword v1, v0, s[12:13] offset:28
	s_waitcnt vmcnt(0)
	v_add_nc_u32_e32 v1, -1, v1
	v_cmp_eq_u32_e32 vcc_lo, 7, v1
	s_cbranch_vccnz .LBB109_366
; %bb.365:
	v_lshlrev_b32_e32 v1, 4, v1
	v_mov_b32_e32 v2, s51
	v_add_nc_u32_e32 v1, 16, v1
	s_clause 0x7
	buffer_load_dword v3, v1, s[0:3], 0 offen
	buffer_load_dword v4, v1, s[0:3], 0 offen offset:4
	buffer_load_dword v97, v1, s[0:3], 0 offen offset:8
	;; [unrolled: 1-line block ×6, first 2 shown]
	buffer_load_dword v102, v2, s[0:3], 0 offen
	s_waitcnt vmcnt(7)
	buffer_store_dword v3, v2, s[0:3], 0 offen
	s_waitcnt vmcnt(6)
	buffer_store_dword v4, v2, s[0:3], 0 offen offset:4
	s_waitcnt vmcnt(5)
	buffer_store_dword v97, v2, s[0:3], 0 offen offset:8
	;; [unrolled: 2-line block ×6, first 2 shown]
	s_waitcnt vmcnt(0)
	buffer_store_dword v102, v1, s[0:3], 0 offen
.LBB109_366:
	global_load_dword v0, v0, s[12:13] offset:24
	s_waitcnt vmcnt(0)
	v_add_nc_u32_e32 v0, -1, v0
	v_cmp_eq_u32_e32 vcc_lo, 6, v0
	s_cbranch_vccnz .LBB109_368
; %bb.367:
	v_lshlrev_b32_e32 v0, 4, v0
	v_mov_b32_e32 v1, s52
	v_add_nc_u32_e32 v0, 16, v0
	s_clause 0x7
	buffer_load_dword v2, v0, s[0:3], 0 offen
	buffer_load_dword v3, v0, s[0:3], 0 offen offset:4
	buffer_load_dword v4, v0, s[0:3], 0 offen offset:8
	;; [unrolled: 1-line block ×6, first 2 shown]
	buffer_load_dword v101, v1, s[0:3], 0 offen
	s_waitcnt vmcnt(7)
	buffer_store_dword v2, v1, s[0:3], 0 offen
	s_waitcnt vmcnt(6)
	buffer_store_dword v3, v1, s[0:3], 0 offen offset:4
	s_waitcnt vmcnt(5)
	buffer_store_dword v4, v1, s[0:3], 0 offen offset:8
	;; [unrolled: 2-line block ×6, first 2 shown]
	s_waitcnt vmcnt(0)
	buffer_store_dword v101, v0, s[0:3], 0 offen
.LBB109_368:
	v_mov_b32_e32 v0, 0
	global_load_dword v1, v0, s[12:13] offset:20
	s_waitcnt vmcnt(0)
	v_add_nc_u32_e32 v1, -1, v1
	v_cmp_eq_u32_e32 vcc_lo, 5, v1
	s_cbranch_vccnz .LBB109_370
; %bb.369:
	v_lshlrev_b32_e32 v1, 4, v1
	v_mov_b32_e32 v2, s53
	v_add_nc_u32_e32 v1, 16, v1
	s_clause 0x7
	buffer_load_dword v3, v1, s[0:3], 0 offen
	buffer_load_dword v4, v1, s[0:3], 0 offen offset:4
	buffer_load_dword v97, v1, s[0:3], 0 offen offset:8
	;; [unrolled: 1-line block ×6, first 2 shown]
	buffer_load_dword v102, v2, s[0:3], 0 offen
	s_waitcnt vmcnt(7)
	buffer_store_dword v3, v2, s[0:3], 0 offen
	s_waitcnt vmcnt(6)
	buffer_store_dword v4, v2, s[0:3], 0 offen offset:4
	s_waitcnt vmcnt(5)
	buffer_store_dword v97, v2, s[0:3], 0 offen offset:8
	;; [unrolled: 2-line block ×6, first 2 shown]
	s_waitcnt vmcnt(0)
	buffer_store_dword v102, v1, s[0:3], 0 offen
.LBB109_370:
	global_load_dword v0, v0, s[12:13] offset:16
	s_waitcnt vmcnt(0)
	v_add_nc_u32_e32 v0, -1, v0
	v_cmp_eq_u32_e32 vcc_lo, 4, v0
	s_cbranch_vccnz .LBB109_372
; %bb.371:
	v_lshlrev_b32_e32 v0, 4, v0
	v_mov_b32_e32 v1, s54
	v_add_nc_u32_e32 v0, 16, v0
	s_clause 0x7
	buffer_load_dword v2, v0, s[0:3], 0 offen
	buffer_load_dword v3, v0, s[0:3], 0 offen offset:4
	buffer_load_dword v4, v0, s[0:3], 0 offen offset:8
	buffer_load_dword v97, v0, s[0:3], 0 offen offset:12
	buffer_load_dword v98, v1, s[0:3], 0 offen offset:12
	buffer_load_dword v99, v1, s[0:3], 0 offen offset:8
	buffer_load_dword v100, v1, s[0:3], 0 offen offset:4
	buffer_load_dword v101, v1, s[0:3], 0 offen
	s_waitcnt vmcnt(7)
	buffer_store_dword v2, v1, s[0:3], 0 offen
	s_waitcnt vmcnt(6)
	buffer_store_dword v3, v1, s[0:3], 0 offen offset:4
	s_waitcnt vmcnt(5)
	buffer_store_dword v4, v1, s[0:3], 0 offen offset:8
	;; [unrolled: 2-line block ×6, first 2 shown]
	s_waitcnt vmcnt(0)
	buffer_store_dword v101, v0, s[0:3], 0 offen
.LBB109_372:
	v_mov_b32_e32 v0, 0
	global_load_dword v1, v0, s[12:13] offset:12
	s_waitcnt vmcnt(0)
	v_add_nc_u32_e32 v1, -1, v1
	v_cmp_eq_u32_e32 vcc_lo, 3, v1
	s_cbranch_vccnz .LBB109_374
; %bb.373:
	v_lshlrev_b32_e32 v1, 4, v1
	v_mov_b32_e32 v2, s55
	v_add_nc_u32_e32 v1, 16, v1
	s_clause 0x7
	buffer_load_dword v3, v1, s[0:3], 0 offen
	buffer_load_dword v4, v1, s[0:3], 0 offen offset:4
	buffer_load_dword v97, v1, s[0:3], 0 offen offset:8
	;; [unrolled: 1-line block ×6, first 2 shown]
	buffer_load_dword v102, v2, s[0:3], 0 offen
	s_waitcnt vmcnt(7)
	buffer_store_dword v3, v2, s[0:3], 0 offen
	s_waitcnt vmcnt(6)
	buffer_store_dword v4, v2, s[0:3], 0 offen offset:4
	s_waitcnt vmcnt(5)
	buffer_store_dword v97, v2, s[0:3], 0 offen offset:8
	;; [unrolled: 2-line block ×6, first 2 shown]
	s_waitcnt vmcnt(0)
	buffer_store_dword v102, v1, s[0:3], 0 offen
.LBB109_374:
	global_load_dword v0, v0, s[12:13] offset:8
	s_waitcnt vmcnt(0)
	v_add_nc_u32_e32 v0, -1, v0
	v_cmp_eq_u32_e32 vcc_lo, 2, v0
	s_cbranch_vccnz .LBB109_376
; %bb.375:
	v_lshlrev_b32_e32 v0, 4, v0
	v_mov_b32_e32 v1, s56
	v_add_nc_u32_e32 v0, 16, v0
	s_clause 0x7
	buffer_load_dword v2, v0, s[0:3], 0 offen
	buffer_load_dword v3, v0, s[0:3], 0 offen offset:4
	buffer_load_dword v4, v0, s[0:3], 0 offen offset:8
	;; [unrolled: 1-line block ×6, first 2 shown]
	buffer_load_dword v101, v1, s[0:3], 0 offen
	s_waitcnt vmcnt(7)
	buffer_store_dword v2, v1, s[0:3], 0 offen
	s_waitcnt vmcnt(6)
	buffer_store_dword v3, v1, s[0:3], 0 offen offset:4
	s_waitcnt vmcnt(5)
	buffer_store_dword v4, v1, s[0:3], 0 offen offset:8
	;; [unrolled: 2-line block ×6, first 2 shown]
	s_waitcnt vmcnt(0)
	buffer_store_dword v101, v0, s[0:3], 0 offen
.LBB109_376:
	v_mov_b32_e32 v0, 0
	global_load_dword v1, v0, s[12:13] offset:4
	s_waitcnt vmcnt(0)
	v_add_nc_u32_e32 v1, -1, v1
	v_cmp_eq_u32_e32 vcc_lo, 1, v1
	s_cbranch_vccnz .LBB109_378
; %bb.377:
	v_lshlrev_b32_e32 v1, 4, v1
	v_mov_b32_e32 v2, s57
	v_add_nc_u32_e32 v1, 16, v1
	s_clause 0x7
	buffer_load_dword v3, v1, s[0:3], 0 offen
	buffer_load_dword v4, v1, s[0:3], 0 offen offset:4
	buffer_load_dword v97, v1, s[0:3], 0 offen offset:8
	;; [unrolled: 1-line block ×6, first 2 shown]
	buffer_load_dword v102, v2, s[0:3], 0 offen
	s_waitcnt vmcnt(7)
	buffer_store_dword v3, v2, s[0:3], 0 offen
	s_waitcnt vmcnt(6)
	buffer_store_dword v4, v2, s[0:3], 0 offen offset:4
	s_waitcnt vmcnt(5)
	buffer_store_dword v97, v2, s[0:3], 0 offen offset:8
	;; [unrolled: 2-line block ×6, first 2 shown]
	s_waitcnt vmcnt(0)
	buffer_store_dword v102, v1, s[0:3], 0 offen
.LBB109_378:
	global_load_dword v0, v0, s[12:13]
	s_waitcnt vmcnt(0)
	v_add_nc_u32_e32 v0, -1, v0
	v_cmp_eq_u32_e32 vcc_lo, 0, v0
	s_cbranch_vccnz .LBB109_380
; %bb.379:
	v_lshlrev_b32_e32 v0, 4, v0
	v_add_nc_u32_e32 v0, 16, v0
	s_clause 0x7
	buffer_load_dword v1, v0, s[0:3], 0 offen
	buffer_load_dword v2, v0, s[0:3], 0 offen offset:4
	buffer_load_dword v3, v0, s[0:3], 0 offen offset:8
	;; [unrolled: 1-line block ×3, first 2 shown]
	buffer_load_dword v97, off, s[0:3], 0 offset:28
	buffer_load_dword v98, off, s[0:3], 0 offset:24
	;; [unrolled: 1-line block ×4, first 2 shown]
	s_waitcnt vmcnt(7)
	buffer_store_dword v1, off, s[0:3], 0 offset:16
	s_waitcnt vmcnt(6)
	buffer_store_dword v2, off, s[0:3], 0 offset:20
	;; [unrolled: 2-line block ×4, first 2 shown]
	s_waitcnt vmcnt(3)
	buffer_store_dword v97, v0, s[0:3], 0 offen offset:12
	s_waitcnt vmcnt(2)
	buffer_store_dword v98, v0, s[0:3], 0 offen offset:8
	s_waitcnt vmcnt(1)
	buffer_store_dword v99, v0, s[0:3], 0 offen offset:4
	s_waitcnt vmcnt(0)
	buffer_store_dword v100, v0, s[0:3], 0 offen
.LBB109_380:
	s_clause 0x3
	buffer_load_dword v0, off, s[0:3], 0 offset:16
	buffer_load_dword v1, off, s[0:3], 0 offset:20
	;; [unrolled: 1-line block ×4, first 2 shown]
	v_mov_b32_e32 v4, s57
	s_waitcnt vmcnt(0)
	flat_store_dwordx4 v[5:6], v[0:3]
	s_clause 0x3
	buffer_load_dword v0, v4, s[0:3], 0 offen
	buffer_load_dword v1, v4, s[0:3], 0 offen offset:4
	buffer_load_dword v2, v4, s[0:3], 0 offen offset:8
	buffer_load_dword v3, v4, s[0:3], 0 offen offset:12
	v_mov_b32_e32 v4, s56
	s_waitcnt vmcnt(0)
	flat_store_dwordx4 v[59:60], v[0:3]
	s_clause 0x3
	buffer_load_dword v0, v4, s[0:3], 0 offen
	buffer_load_dword v1, v4, s[0:3], 0 offen offset:4
	buffer_load_dword v2, v4, s[0:3], 0 offen offset:8
	buffer_load_dword v3, v4, s[0:3], 0 offen offset:12
	;; [unrolled: 8-line block ×45, first 2 shown]
	s_waitcnt vmcnt(0)
	flat_store_dwordx4 v[95:96], v[0:3]
	s_endpgm
	.section	.rodata,"a",@progbits
	.p2align	6, 0x0
	.amdhsa_kernel _ZN9rocsolver6v33100L18getri_kernel_smallILi46E19rocblas_complex_numIdEPKPS3_EEvT1_iilPiilS8_bb
		.amdhsa_group_segment_fixed_size 1480
		.amdhsa_private_segment_fixed_size 768
		.amdhsa_kernarg_size 60
		.amdhsa_user_sgpr_count 6
		.amdhsa_user_sgpr_private_segment_buffer 1
		.amdhsa_user_sgpr_dispatch_ptr 0
		.amdhsa_user_sgpr_queue_ptr 0
		.amdhsa_user_sgpr_kernarg_segment_ptr 1
		.amdhsa_user_sgpr_dispatch_id 0
		.amdhsa_user_sgpr_flat_scratch_init 0
		.amdhsa_user_sgpr_private_segment_size 0
		.amdhsa_wavefront_size32 1
		.amdhsa_uses_dynamic_stack 0
		.amdhsa_system_sgpr_private_segment_wavefront_offset 1
		.amdhsa_system_sgpr_workgroup_id_x 1
		.amdhsa_system_sgpr_workgroup_id_y 0
		.amdhsa_system_sgpr_workgroup_id_z 0
		.amdhsa_system_sgpr_workgroup_info 0
		.amdhsa_system_vgpr_workitem_id 0
		.amdhsa_next_free_vgpr 187
		.amdhsa_next_free_sgpr 80
		.amdhsa_reserve_vcc 1
		.amdhsa_reserve_flat_scratch 0
		.amdhsa_float_round_mode_32 0
		.amdhsa_float_round_mode_16_64 0
		.amdhsa_float_denorm_mode_32 3
		.amdhsa_float_denorm_mode_16_64 3
		.amdhsa_dx10_clamp 1
		.amdhsa_ieee_mode 1
		.amdhsa_fp16_overflow 0
		.amdhsa_workgroup_processor_mode 1
		.amdhsa_memory_ordered 1
		.amdhsa_forward_progress 1
		.amdhsa_shared_vgpr_count 0
		.amdhsa_exception_fp_ieee_invalid_op 0
		.amdhsa_exception_fp_denorm_src 0
		.amdhsa_exception_fp_ieee_div_zero 0
		.amdhsa_exception_fp_ieee_overflow 0
		.amdhsa_exception_fp_ieee_underflow 0
		.amdhsa_exception_fp_ieee_inexact 0
		.amdhsa_exception_int_div_zero 0
	.end_amdhsa_kernel
	.section	.text._ZN9rocsolver6v33100L18getri_kernel_smallILi46E19rocblas_complex_numIdEPKPS3_EEvT1_iilPiilS8_bb,"axG",@progbits,_ZN9rocsolver6v33100L18getri_kernel_smallILi46E19rocblas_complex_numIdEPKPS3_EEvT1_iilPiilS8_bb,comdat
.Lfunc_end109:
	.size	_ZN9rocsolver6v33100L18getri_kernel_smallILi46E19rocblas_complex_numIdEPKPS3_EEvT1_iilPiilS8_bb, .Lfunc_end109-_ZN9rocsolver6v33100L18getri_kernel_smallILi46E19rocblas_complex_numIdEPKPS3_EEvT1_iilPiilS8_bb
                                        ; -- End function
	.set _ZN9rocsolver6v33100L18getri_kernel_smallILi46E19rocblas_complex_numIdEPKPS3_EEvT1_iilPiilS8_bb.num_vgpr, 187
	.set _ZN9rocsolver6v33100L18getri_kernel_smallILi46E19rocblas_complex_numIdEPKPS3_EEvT1_iilPiilS8_bb.num_agpr, 0
	.set _ZN9rocsolver6v33100L18getri_kernel_smallILi46E19rocblas_complex_numIdEPKPS3_EEvT1_iilPiilS8_bb.numbered_sgpr, 80
	.set _ZN9rocsolver6v33100L18getri_kernel_smallILi46E19rocblas_complex_numIdEPKPS3_EEvT1_iilPiilS8_bb.num_named_barrier, 0
	.set _ZN9rocsolver6v33100L18getri_kernel_smallILi46E19rocblas_complex_numIdEPKPS3_EEvT1_iilPiilS8_bb.private_seg_size, 768
	.set _ZN9rocsolver6v33100L18getri_kernel_smallILi46E19rocblas_complex_numIdEPKPS3_EEvT1_iilPiilS8_bb.uses_vcc, 1
	.set _ZN9rocsolver6v33100L18getri_kernel_smallILi46E19rocblas_complex_numIdEPKPS3_EEvT1_iilPiilS8_bb.uses_flat_scratch, 0
	.set _ZN9rocsolver6v33100L18getri_kernel_smallILi46E19rocblas_complex_numIdEPKPS3_EEvT1_iilPiilS8_bb.has_dyn_sized_stack, 0
	.set _ZN9rocsolver6v33100L18getri_kernel_smallILi46E19rocblas_complex_numIdEPKPS3_EEvT1_iilPiilS8_bb.has_recursion, 0
	.set _ZN9rocsolver6v33100L18getri_kernel_smallILi46E19rocblas_complex_numIdEPKPS3_EEvT1_iilPiilS8_bb.has_indirect_call, 0
	.section	.AMDGPU.csdata,"",@progbits
; Kernel info:
; codeLenInByte = 144744
; TotalNumSgprs: 82
; NumVgprs: 187
; ScratchSize: 768
; MemoryBound: 0
; FloatMode: 240
; IeeeMode: 1
; LDSByteSize: 1480 bytes/workgroup (compile time only)
; SGPRBlocks: 0
; VGPRBlocks: 23
; NumSGPRsForWavesPerEU: 82
; NumVGPRsForWavesPerEU: 187
; Occupancy: 5
; WaveLimiterHint : 1
; COMPUTE_PGM_RSRC2:SCRATCH_EN: 1
; COMPUTE_PGM_RSRC2:USER_SGPR: 6
; COMPUTE_PGM_RSRC2:TRAP_HANDLER: 0
; COMPUTE_PGM_RSRC2:TGID_X_EN: 1
; COMPUTE_PGM_RSRC2:TGID_Y_EN: 0
; COMPUTE_PGM_RSRC2:TGID_Z_EN: 0
; COMPUTE_PGM_RSRC2:TIDIG_COMP_CNT: 0
	.section	.text._ZN9rocsolver6v33100L18getri_kernel_smallILi47E19rocblas_complex_numIdEPKPS3_EEvT1_iilPiilS8_bb,"axG",@progbits,_ZN9rocsolver6v33100L18getri_kernel_smallILi47E19rocblas_complex_numIdEPKPS3_EEvT1_iilPiilS8_bb,comdat
	.globl	_ZN9rocsolver6v33100L18getri_kernel_smallILi47E19rocblas_complex_numIdEPKPS3_EEvT1_iilPiilS8_bb ; -- Begin function _ZN9rocsolver6v33100L18getri_kernel_smallILi47E19rocblas_complex_numIdEPKPS3_EEvT1_iilPiilS8_bb
	.p2align	8
	.type	_ZN9rocsolver6v33100L18getri_kernel_smallILi47E19rocblas_complex_numIdEPKPS3_EEvT1_iilPiilS8_bb,@function
_ZN9rocsolver6v33100L18getri_kernel_smallILi47E19rocblas_complex_numIdEPKPS3_EEvT1_iilPiilS8_bb: ; @_ZN9rocsolver6v33100L18getri_kernel_smallILi47E19rocblas_complex_numIdEPKPS3_EEvT1_iilPiilS8_bb
; %bb.0:
	s_add_u32 s0, s0, s7
	s_addc_u32 s1, s1, 0
	s_mov_b32 s7, exec_lo
	v_cmpx_gt_u32_e32 47, v0
	s_cbranch_execz .LBB110_202
; %bb.1:
	s_clause 0x2
	s_load_dword s16, s[4:5], 0x38
	s_load_dwordx2 s[12:13], s[4:5], 0x0
	s_load_dwordx4 s[8:11], s[4:5], 0x28
	s_waitcnt lgkmcnt(0)
	s_bitcmp1_b32 s16, 8
	s_cselect_b32 s59, -1, 0
	s_ashr_i32 s7, s6, 31
	s_lshl_b64 s[14:15], s[6:7], 3
	s_add_u32 s12, s12, s14
	s_addc_u32 s13, s13, s15
	s_load_dwordx2 s[14:15], s[12:13], 0x0
	s_bfe_u32 s12, s16, 0x10008
	s_cmp_eq_u32 s12, 0
                                        ; implicit-def: $sgpr12_sgpr13
	s_cbranch_scc1 .LBB110_3
; %bb.2:
	s_clause 0x1
	s_load_dword s12, s[4:5], 0x20
	s_load_dwordx2 s[16:17], s[4:5], 0x18
	s_mul_i32 s13, s8, s7
	s_mul_hi_u32 s18, s8, s6
	s_mul_i32 s9, s9, s6
	s_add_i32 s13, s18, s13
	s_mul_i32 s8, s8, s6
	s_add_i32 s9, s13, s9
	s_lshl_b64 s[8:9], s[8:9], 2
	s_waitcnt lgkmcnt(0)
	s_ashr_i32 s13, s12, 31
	s_add_u32 s16, s16, s8
	s_addc_u32 s17, s17, s9
	s_lshl_b64 s[8:9], s[12:13], 2
	s_add_u32 s12, s16, s8
	s_addc_u32 s13, s17, s9
.LBB110_3:
	s_clause 0x1
	s_load_dwordx2 s[8:9], s[4:5], 0x8
	s_load_dword s60, s[4:5], 0x38
	v_lshlrev_b32_e32 v7, 4, v0
	s_movk_i32 s16, 0xa0
	s_movk_i32 s17, 0xb0
	;; [unrolled: 1-line block ×17, first 2 shown]
	s_waitcnt lgkmcnt(0)
	s_ashr_i32 s5, s8, 31
	s_mov_b32 s4, s8
	v_add3_u32 v5, s9, s9, v0
	s_lshl_b64 s[4:5], s[4:5], 4
	s_movk_i32 s61, 0x1b0
	s_add_u32 s8, s14, s4
	s_addc_u32 s14, s15, s5
	v_add_co_u32 v8, s4, s8, v7
	v_add_co_ci_u32_e64 v9, null, s14, 0, s4
	s_mov_b32 s4, s9
	s_ashr_i32 s5, s9, 31
	v_ashrrev_i32_e32 v6, 31, v5
	flat_load_dwordx4 v[1:4], v[8:9]
	s_lshl_b64 s[4:5], s[4:5], 4
	s_movk_i32 s15, 0x90
	v_add_co_u32 v62, vcc_lo, v8, s4
	v_add_co_ci_u32_e64 v63, null, s5, v9, vcc_lo
	v_lshlrev_b64 v[10:11], 4, v[5:6]
	v_add_nc_u32_e32 v5, s9, v5
	s_movk_i32 s4, 0x50
	s_movk_i32 s62, 0x1c0
	;; [unrolled: 1-line block ×4, first 2 shown]
	v_add_co_u32 v60, vcc_lo, s8, v10
	v_add_co_ci_u32_e64 v61, null, s14, v11, vcc_lo
	v_ashrrev_i32_e32 v6, 31, v5
	s_movk_i32 s65, 0x1f0
	s_movk_i32 s66, 0x200
	;; [unrolled: 1-line block ×4, first 2 shown]
	v_lshlrev_b64 v[10:11], 4, v[5:6]
	v_add_nc_u32_e32 v5, s9, v5
	s_movk_i32 s69, 0x230
	s_movk_i32 s70, 0x240
	;; [unrolled: 1-line block ×4, first 2 shown]
	v_add_co_u32 v56, vcc_lo, s8, v10
	v_add_co_ci_u32_e64 v57, null, s14, v11, vcc_lo
	v_ashrrev_i32_e32 v6, 31, v5
	s_movk_i32 s73, 0x270
	s_movk_i32 s74, 0x280
	;; [unrolled: 1-line block ×4, first 2 shown]
	v_lshlrev_b64 v[10:11], 4, v[5:6]
	v_add_nc_u32_e32 v5, s9, v5
	s_movk_i32 s77, 0x2b0
	s_movk_i32 s78, 0x2c0
	;; [unrolled: 1-line block ×4, first 2 shown]
	v_add_co_u32 v54, vcc_lo, s8, v10
	v_add_co_ci_u32_e64 v55, null, s14, v11, vcc_lo
	v_ashrrev_i32_e32 v6, 31, v5
	s_add_i32 s54, s4, 16
	s_add_i32 s50, s15, 16
	s_add_i32 s49, s16, 16
	s_add_i32 s48, s17, 16
	v_lshlrev_b64 v[10:11], 4, v[5:6]
	v_add_nc_u32_e32 v5, s9, v5
	s_add_i32 s47, s18, 16
	s_add_i32 s46, s19, 16
	s_add_i32 s45, s20, 16
	s_add_i32 s44, s21, 16
	v_add_co_u32 v52, vcc_lo, s8, v10
	v_add_co_ci_u32_e64 v53, null, s14, v11, vcc_lo
	v_ashrrev_i32_e32 v6, 31, v5
	s_add_i32 s43, s22, 16
	s_add_i32 s42, s23, 16
	s_add_i32 s41, s24, 16
	s_add_i32 s40, s25, 16
	v_lshlrev_b64 v[10:11], 4, v[5:6]
	v_add_nc_u32_e32 v5, s9, v5
	s_add_i32 s39, s26, 16
	s_add_i32 s38, s27, 16
	s_add_i32 s37, s28, 16
	s_add_i32 s36, s29, 16
	;; [unrolled: 13-line block ×4, first 2 shown]
	v_add_co_u32 v46, vcc_lo, s8, v10
	v_add_co_ci_u32_e64 v47, null, s14, v11, vcc_lo
	v_ashrrev_i32_e32 v6, 31, v5
	s_add_i32 s18, s74, 16
	s_add_i32 s17, s75, 16
	;; [unrolled: 1-line block ×4, first 2 shown]
	v_lshlrev_b64 v[10:11], 4, v[5:6]
	v_add_nc_u32_e32 v5, s9, v5
	s_mov_b32 s5, -1
	s_mov_b32 s58, 32
	s_mov_b32 s57, 48
	;; [unrolled: 1-line block ×3, first 2 shown]
	v_add_co_u32 v44, vcc_lo, s8, v10
	v_add_co_ci_u32_e64 v45, null, s14, v11, vcc_lo
	v_ashrrev_i32_e32 v6, 31, v5
	s_movk_i32 s55, 0x50
	s_waitcnt vmcnt(0) lgkmcnt(0)
	buffer_store_dword v4, off, s[0:3], 0 offset:28
	buffer_store_dword v3, off, s[0:3], 0 offset:24
	buffer_store_dword v2, off, s[0:3], 0 offset:20
	buffer_store_dword v1, off, s[0:3], 0 offset:16
	flat_load_dwordx4 v[1:4], v[62:63]
	v_lshlrev_b64 v[10:11], 4, v[5:6]
	v_add_nc_u32_e32 v5, s9, v5
	s_waitcnt vmcnt(0) lgkmcnt(0)
	buffer_store_dword v4, off, s[0:3], 0 offset:44
	buffer_store_dword v3, off, s[0:3], 0 offset:40
	buffer_store_dword v2, off, s[0:3], 0 offset:36
	buffer_store_dword v1, off, s[0:3], 0 offset:32
	flat_load_dwordx4 v[1:4], v[60:61]
	v_add_co_u32 v42, vcc_lo, s8, v10
	v_add_co_ci_u32_e64 v43, null, s14, v11, vcc_lo
	v_ashrrev_i32_e32 v6, 31, v5
	s_waitcnt vmcnt(0) lgkmcnt(0)
	buffer_store_dword v4, off, s[0:3], 0 offset:60
	buffer_store_dword v3, off, s[0:3], 0 offset:56
	buffer_store_dword v2, off, s[0:3], 0 offset:52
	buffer_store_dword v1, off, s[0:3], 0 offset:48
	flat_load_dwordx4 v[1:4], v[56:57]
	v_lshlrev_b64 v[10:11], 4, v[5:6]
	v_add_nc_u32_e32 v5, s9, v5
	s_waitcnt vmcnt(0) lgkmcnt(0)
	buffer_store_dword v4, off, s[0:3], 0 offset:76
	buffer_store_dword v3, off, s[0:3], 0 offset:72
	buffer_store_dword v2, off, s[0:3], 0 offset:68
	buffer_store_dword v1, off, s[0:3], 0 offset:64
	flat_load_dwordx4 v[1:4], v[54:55]
	v_add_co_u32 v40, vcc_lo, s8, v10
	v_add_co_ci_u32_e64 v41, null, s14, v11, vcc_lo
	v_ashrrev_i32_e32 v6, 31, v5
	;; [unrolled: 17-line block ×8, first 2 shown]
	s_waitcnt vmcnt(0) lgkmcnt(0)
	buffer_store_dword v4, off, s[0:3], 0 offset:284
	buffer_store_dword v3, off, s[0:3], 0 offset:280
	;; [unrolled: 1-line block ×4, first 2 shown]
	flat_load_dwordx4 v[1:4], v[26:27]
	v_lshlrev_b64 v[10:11], 4, v[5:6]
	v_add_nc_u32_e32 v5, s9, v5
	s_waitcnt vmcnt(0) lgkmcnt(0)
	buffer_store_dword v4, off, s[0:3], 0 offset:300
	buffer_store_dword v3, off, s[0:3], 0 offset:296
	;; [unrolled: 1-line block ×4, first 2 shown]
	v_add_co_u32 v24, vcc_lo, s8, v10
	v_add_co_ci_u32_e64 v25, null, s14, v11, vcc_lo
	v_ashrrev_i32_e32 v6, 31, v5
	flat_load_dwordx4 v[1:4], v[24:25]
	s_waitcnt vmcnt(0) lgkmcnt(0)
	buffer_store_dword v4, off, s[0:3], 0 offset:316
	buffer_store_dword v3, off, s[0:3], 0 offset:312
	buffer_store_dword v2, off, s[0:3], 0 offset:308
	buffer_store_dword v1, off, s[0:3], 0 offset:304
	v_lshlrev_b64 v[10:11], 4, v[5:6]
	v_add_nc_u32_e32 v5, s9, v5
	v_add_co_u32 v22, vcc_lo, s8, v10
	v_add_co_ci_u32_e64 v23, null, s14, v11, vcc_lo
	v_ashrrev_i32_e32 v6, 31, v5
	flat_load_dwordx4 v[1:4], v[22:23]
	s_waitcnt vmcnt(0) lgkmcnt(0)
	buffer_store_dword v4, off, s[0:3], 0 offset:332
	buffer_store_dword v3, off, s[0:3], 0 offset:328
	buffer_store_dword v2, off, s[0:3], 0 offset:324
	buffer_store_dword v1, off, s[0:3], 0 offset:320
	v_lshlrev_b64 v[10:11], 4, v[5:6]
	v_add_nc_u32_e32 v5, s9, v5
	;; [unrolled: 11-line block ×27, first 2 shown]
	s_movk_i32 s9, 0x70
	s_add_i32 s52, s9, 16
	s_add_i32 s9, s79, 16
	v_add_co_u32 v98, vcc_lo, s8, v98
	v_add_co_ci_u32_e64 v99, null, s14, v99, vcc_lo
	v_ashrrev_i32_e32 v6, 31, v5
	flat_load_dwordx4 v[1:4], v[98:99]
	s_waitcnt vmcnt(0) lgkmcnt(0)
	buffer_store_dword v4, off, s[0:3], 0 offset:748
	buffer_store_dword v3, off, s[0:3], 0 offset:744
	;; [unrolled: 1-line block ×4, first 2 shown]
	v_lshlrev_b64 v[5:6], 4, v[5:6]
	v_add_co_u32 v100, vcc_lo, s8, v5
	v_add_co_ci_u32_e64 v101, null, s14, v6, vcc_lo
	s_movk_i32 s8, 0x60
	s_movk_i32 s14, 0x80
	s_add_i32 s53, s8, 16
	flat_load_dwordx4 v[1:4], v[100:101]
	s_add_i32 s51, s14, 16
	s_add_i32 s14, s78, 16
	;; [unrolled: 1-line block ×3, first 2 shown]
	s_bitcmp0_b32 s60, 0
	s_waitcnt vmcnt(0) lgkmcnt(0)
	buffer_store_dword v4, off, s[0:3], 0 offset:764
	buffer_store_dword v3, off, s[0:3], 0 offset:760
	;; [unrolled: 1-line block ×4, first 2 shown]
	s_cbranch_scc1 .LBB110_200
; %bb.4:
	v_cmp_eq_u32_e64 s4, 0, v0
	s_and_saveexec_b32 s5, s4
; %bb.5:
	v_mov_b32_e32 v1, 0
	ds_write_b32 v1, v1 offset:1504
; %bb.6:
	s_or_b32 exec_lo, exec_lo, s5
	v_lshl_add_u32 v106, v0, 4, 16
	s_waitcnt lgkmcnt(0)
	s_waitcnt_vscnt null, 0x0
	s_barrier
	buffer_gl0_inv
	s_clause 0x3
	buffer_load_dword v1, v106, s[0:3], 0 offen
	buffer_load_dword v2, v106, s[0:3], 0 offen offset:4
	buffer_load_dword v3, v106, s[0:3], 0 offen offset:8
	;; [unrolled: 1-line block ×3, first 2 shown]
	s_waitcnt vmcnt(2)
	v_cmp_eq_f64_e32 vcc_lo, 0, v[1:2]
	s_waitcnt vmcnt(0)
	v_cmp_eq_f64_e64 s5, 0, v[3:4]
	s_and_b32 s5, vcc_lo, s5
	s_and_saveexec_b32 s60, s5
	s_cbranch_execz .LBB110_10
; %bb.7:
	v_mov_b32_e32 v1, 0
	s_mov_b32 s61, 0
	ds_read_b32 v2, v1 offset:1504
	s_waitcnt lgkmcnt(0)
	v_readfirstlane_b32 s5, v2
	v_add_nc_u32_e32 v2, 1, v0
	s_cmp_eq_u32 s5, 0
	v_cmp_gt_i32_e32 vcc_lo, s5, v2
	s_cselect_b32 s62, -1, 0
	s_or_b32 s62, s62, vcc_lo
	s_and_b32 exec_lo, exec_lo, s62
	s_cbranch_execz .LBB110_10
; %bb.8:
	v_mov_b32_e32 v3, s5
.LBB110_9:                              ; =>This Inner Loop Header: Depth=1
	ds_cmpst_rtn_b32 v3, v1, v3, v2 offset:1504
	s_waitcnt lgkmcnt(0)
	v_cmp_ne_u32_e32 vcc_lo, 0, v3
	v_cmp_le_i32_e64 s5, v3, v2
	s_and_b32 s5, vcc_lo, s5
	s_and_b32 s5, exec_lo, s5
	s_or_b32 s61, s5, s61
	s_andn2_b32 exec_lo, exec_lo, s61
	s_cbranch_execnz .LBB110_9
.LBB110_10:
	s_or_b32 exec_lo, exec_lo, s60
	v_mov_b32_e32 v1, 0
	s_barrier
	buffer_gl0_inv
	ds_read_b32 v2, v1 offset:1504
	s_and_saveexec_b32 s5, s4
	s_cbranch_execz .LBB110_12
; %bb.11:
	s_lshl_b64 s[60:61], s[6:7], 2
	s_add_u32 s60, s10, s60
	s_addc_u32 s61, s11, s61
	s_waitcnt lgkmcnt(0)
	global_store_dword v1, v2, s[60:61]
.LBB110_12:
	s_or_b32 exec_lo, exec_lo, s5
	s_waitcnt lgkmcnt(0)
	v_cmp_ne_u32_e32 vcc_lo, 0, v2
	s_mov_b32 s5, 0
	s_cbranch_vccnz .LBB110_200
; %bb.13:
	s_clause 0x3
	buffer_load_dword v102, v106, s[0:3], 0 offen
	buffer_load_dword v103, v106, s[0:3], 0 offen offset:4
	buffer_load_dword v104, v106, s[0:3], 0 offen offset:8
	;; [unrolled: 1-line block ×3, first 2 shown]
                                        ; implicit-def: $vgpr5_vgpr6
                                        ; implicit-def: $vgpr3_vgpr4
	s_waitcnt vmcnt(0)
	v_cmp_ngt_f64_e64 s5, |v[102:103]|, |v[104:105]|
	s_and_saveexec_b32 s60, s5
	s_xor_b32 s5, exec_lo, s60
	s_cbranch_execz .LBB110_15
; %bb.14:
	v_div_scale_f64 v[1:2], null, v[104:105], v[104:105], v[102:103]
	v_div_scale_f64 v[107:108], vcc_lo, v[102:103], v[104:105], v[102:103]
	v_rcp_f64_e32 v[3:4], v[1:2]
	v_fma_f64 v[5:6], -v[1:2], v[3:4], 1.0
	v_fma_f64 v[3:4], v[3:4], v[5:6], v[3:4]
	v_fma_f64 v[5:6], -v[1:2], v[3:4], 1.0
	v_fma_f64 v[3:4], v[3:4], v[5:6], v[3:4]
	v_mul_f64 v[5:6], v[107:108], v[3:4]
	v_fma_f64 v[1:2], -v[1:2], v[5:6], v[107:108]
	v_div_fmas_f64 v[1:2], v[1:2], v[3:4], v[5:6]
	v_div_fixup_f64 v[1:2], v[1:2], v[104:105], v[102:103]
	v_fma_f64 v[3:4], v[102:103], v[1:2], v[104:105]
	v_div_scale_f64 v[5:6], null, v[3:4], v[3:4], 1.0
	v_div_scale_f64 v[107:108], vcc_lo, 1.0, v[3:4], 1.0
	v_rcp_f64_e32 v[102:103], v[5:6]
	v_fma_f64 v[104:105], -v[5:6], v[102:103], 1.0
	v_fma_f64 v[102:103], v[102:103], v[104:105], v[102:103]
	v_fma_f64 v[104:105], -v[5:6], v[102:103], 1.0
	v_fma_f64 v[102:103], v[102:103], v[104:105], v[102:103]
	v_mul_f64 v[104:105], v[107:108], v[102:103]
	v_fma_f64 v[5:6], -v[5:6], v[104:105], v[107:108]
	v_div_fmas_f64 v[5:6], v[5:6], v[102:103], v[104:105]
                                        ; implicit-def: $vgpr102_vgpr103
                                        ; implicit-def: $vgpr104_vgpr105
	v_div_fixup_f64 v[3:4], v[5:6], v[3:4], 1.0
	v_mul_f64 v[5:6], v[1:2], v[3:4]
	v_xor_b32_e32 v4, 0x80000000, v4
	v_xor_b32_e32 v2, 0x80000000, v6
	v_mov_b32_e32 v1, v5
.LBB110_15:
	s_andn2_saveexec_b32 s5, s5
	s_cbranch_execz .LBB110_17
; %bb.16:
	v_div_scale_f64 v[1:2], null, v[102:103], v[102:103], v[104:105]
	v_div_scale_f64 v[107:108], vcc_lo, v[104:105], v[102:103], v[104:105]
	v_rcp_f64_e32 v[3:4], v[1:2]
	v_fma_f64 v[5:6], -v[1:2], v[3:4], 1.0
	v_fma_f64 v[3:4], v[3:4], v[5:6], v[3:4]
	v_fma_f64 v[5:6], -v[1:2], v[3:4], 1.0
	v_fma_f64 v[3:4], v[3:4], v[5:6], v[3:4]
	v_mul_f64 v[5:6], v[107:108], v[3:4]
	v_fma_f64 v[1:2], -v[1:2], v[5:6], v[107:108]
	v_div_fmas_f64 v[1:2], v[1:2], v[3:4], v[5:6]
	v_div_fixup_f64 v[1:2], v[1:2], v[102:103], v[104:105]
	v_fma_f64 v[3:4], v[104:105], v[1:2], v[102:103]
	v_div_scale_f64 v[5:6], null, v[3:4], v[3:4], 1.0
	v_rcp_f64_e32 v[102:103], v[5:6]
	v_fma_f64 v[104:105], -v[5:6], v[102:103], 1.0
	v_fma_f64 v[102:103], v[102:103], v[104:105], v[102:103]
	v_fma_f64 v[104:105], -v[5:6], v[102:103], 1.0
	v_fma_f64 v[102:103], v[102:103], v[104:105], v[102:103]
	v_div_scale_f64 v[104:105], vcc_lo, 1.0, v[3:4], 1.0
	v_mul_f64 v[107:108], v[104:105], v[102:103]
	v_fma_f64 v[5:6], -v[5:6], v[107:108], v[104:105]
	v_div_fmas_f64 v[5:6], v[5:6], v[102:103], v[107:108]
	v_div_fixup_f64 v[5:6], v[5:6], v[3:4], 1.0
	v_mul_f64 v[3:4], v[1:2], -v[5:6]
	v_xor_b32_e32 v2, 0x80000000, v6
	v_mov_b32_e32 v1, v5
.LBB110_17:
	s_or_b32 exec_lo, exec_lo, s5
	v_mov_b32_e32 v102, s58
	buffer_store_dword v6, v106, s[0:3], 0 offen offset:4
	buffer_store_dword v5, v106, s[0:3], 0 offen
	buffer_store_dword v4, v106, s[0:3], 0 offen offset:12
	buffer_store_dword v3, v106, s[0:3], 0 offen offset:8
	v_xor_b32_e32 v4, 0x80000000, v4
	v_add_nc_u32_e32 v5, 0x2f0, v7
	s_clause 0x3
	buffer_load_dword v105, v102, s[0:3], 0 offen offset:12
	buffer_load_dword v104, v102, s[0:3], 0 offen offset:8
	;; [unrolled: 1-line block ×3, first 2 shown]
	buffer_load_dword v102, v102, s[0:3], 0 offen
	ds_write_b128 v7, v[1:4]
	s_waitcnt vmcnt(0)
	ds_write_b128 v7, v[102:105] offset:752
	s_waitcnt lgkmcnt(0)
	s_waitcnt_vscnt null, 0x0
	s_barrier
	buffer_gl0_inv
	s_and_saveexec_b32 s5, s4
	s_cbranch_execz .LBB110_19
; %bb.18:
	s_clause 0x3
	buffer_load_dword v107, v106, s[0:3], 0 offen offset:8
	buffer_load_dword v108, v106, s[0:3], 0 offen offset:12
	buffer_load_dword v109, v106, s[0:3], 0 offen
	buffer_load_dword v110, v106, s[0:3], 0 offen offset:4
	ds_read_b128 v[1:4], v5
	v_mov_b32_e32 v6, 0
	ds_read_b128 v[102:105], v6 offset:16
	s_waitcnt vmcnt(2) lgkmcnt(1)
	v_mul_f64 v[111:112], v[1:2], v[107:108]
	v_mul_f64 v[107:108], v[3:4], v[107:108]
	s_waitcnt vmcnt(0)
	v_fma_f64 v[3:4], v[3:4], v[109:110], v[111:112]
	v_fma_f64 v[1:2], v[1:2], v[109:110], -v[107:108]
	v_add_f64 v[3:4], v[3:4], 0
	v_add_f64 v[1:2], v[1:2], 0
	s_waitcnt lgkmcnt(0)
	v_mul_f64 v[107:108], v[3:4], v[104:105]
	v_mul_f64 v[104:105], v[1:2], v[104:105]
	v_fma_f64 v[1:2], v[1:2], v[102:103], -v[107:108]
	v_fma_f64 v[3:4], v[3:4], v[102:103], v[104:105]
	buffer_store_dword v1, off, s[0:3], 0 offset:32
	buffer_store_dword v2, off, s[0:3], 0 offset:36
	buffer_store_dword v3, off, s[0:3], 0 offset:40
	buffer_store_dword v4, off, s[0:3], 0 offset:44
.LBB110_19:
	s_or_b32 exec_lo, exec_lo, s5
	v_mov_b32_e32 v4, s57
	s_waitcnt_vscnt null, 0x0
	s_barrier
	buffer_gl0_inv
	s_mov_b32 s5, exec_lo
	s_clause 0x3
	buffer_load_dword v1, v4, s[0:3], 0 offen
	buffer_load_dword v2, v4, s[0:3], 0 offen offset:4
	buffer_load_dword v3, v4, s[0:3], 0 offen offset:8
	;; [unrolled: 1-line block ×3, first 2 shown]
	s_waitcnt vmcnt(0)
	ds_write_b128 v5, v[1:4]
	s_waitcnt lgkmcnt(0)
	s_barrier
	buffer_gl0_inv
	v_cmpx_gt_u32_e32 2, v0
	s_cbranch_execz .LBB110_23
; %bb.20:
	s_clause 0x3
	buffer_load_dword v102, v106, s[0:3], 0 offen offset:8
	buffer_load_dword v103, v106, s[0:3], 0 offen offset:12
	buffer_load_dword v104, v106, s[0:3], 0 offen
	buffer_load_dword v105, v106, s[0:3], 0 offen offset:4
	ds_read_b128 v[1:4], v5
	s_waitcnt vmcnt(2) lgkmcnt(0)
	v_mul_f64 v[106:107], v[3:4], v[102:103]
	v_mul_f64 v[102:103], v[1:2], v[102:103]
	s_waitcnt vmcnt(0)
	v_fma_f64 v[1:2], v[1:2], v[104:105], -v[106:107]
	v_fma_f64 v[3:4], v[3:4], v[104:105], v[102:103]
	v_add_f64 v[1:2], v[1:2], 0
	v_add_f64 v[3:4], v[3:4], 0
	s_and_saveexec_b32 s60, s4
	s_cbranch_execz .LBB110_22
; %bb.21:
	s_clause 0x3
	buffer_load_dword v106, off, s[0:3], 0 offset:40
	buffer_load_dword v107, off, s[0:3], 0 offset:44
	;; [unrolled: 1-line block ×4, first 2 shown]
	v_mov_b32_e32 v6, 0
	ds_read_b128 v[102:105], v6 offset:768
	s_waitcnt vmcnt(2) lgkmcnt(0)
	v_mul_f64 v[110:111], v[102:103], v[106:107]
	v_mul_f64 v[106:107], v[104:105], v[106:107]
	s_waitcnt vmcnt(0)
	v_fma_f64 v[104:105], v[104:105], v[108:109], v[110:111]
	v_fma_f64 v[102:103], v[102:103], v[108:109], -v[106:107]
	v_add_f64 v[3:4], v[3:4], v[104:105]
	v_add_f64 v[1:2], v[1:2], v[102:103]
.LBB110_22:
	s_or_b32 exec_lo, exec_lo, s60
	v_mov_b32_e32 v6, 0
	ds_read_b128 v[102:105], v6 offset:32
	s_waitcnt lgkmcnt(0)
	v_mul_f64 v[106:107], v[3:4], v[104:105]
	v_mul_f64 v[104:105], v[1:2], v[104:105]
	v_fma_f64 v[1:2], v[1:2], v[102:103], -v[106:107]
	v_fma_f64 v[3:4], v[3:4], v[102:103], v[104:105]
	buffer_store_dword v2, off, s[0:3], 0 offset:52
	buffer_store_dword v1, off, s[0:3], 0 offset:48
	;; [unrolled: 1-line block ×4, first 2 shown]
.LBB110_23:
	s_or_b32 exec_lo, exec_lo, s5
	v_mov_b32_e32 v4, s56
	s_waitcnt_vscnt null, 0x0
	s_barrier
	buffer_gl0_inv
	v_add_nc_u32_e32 v6, -1, v0
	s_clause 0x3
	buffer_load_dword v1, v4, s[0:3], 0 offen
	buffer_load_dword v2, v4, s[0:3], 0 offen offset:4
	buffer_load_dword v3, v4, s[0:3], 0 offen offset:8
	;; [unrolled: 1-line block ×3, first 2 shown]
	s_mov_b32 s4, exec_lo
	s_waitcnt vmcnt(0)
	ds_write_b128 v5, v[1:4]
	s_waitcnt lgkmcnt(0)
	s_barrier
	buffer_gl0_inv
	v_cmpx_gt_u32_e32 3, v0
	s_cbranch_execz .LBB110_27
; %bb.24:
	v_mov_b32_e32 v1, 0
	v_mov_b32_e32 v3, 0
	v_add_nc_u32_e32 v102, -1, v0
	v_add_nc_u32_e32 v103, 0x2f0, v7
	v_mov_b32_e32 v2, 0
	v_mov_b32_e32 v4, 0
	v_add_nc_u32_e32 v104, 16, v7
	s_mov_b32 s5, 0
	.p2align	6
.LBB110_25:                             ; =>This Inner Loop Header: Depth=1
	s_clause 0x3
	buffer_load_dword v109, v104, s[0:3], 0 offen offset:8
	buffer_load_dword v110, v104, s[0:3], 0 offen offset:12
	buffer_load_dword v111, v104, s[0:3], 0 offen
	buffer_load_dword v112, v104, s[0:3], 0 offen offset:4
	ds_read_b128 v[105:108], v103
	v_add_nc_u32_e32 v102, 1, v102
	v_add_nc_u32_e32 v103, 16, v103
	;; [unrolled: 1-line block ×3, first 2 shown]
	v_cmp_lt_u32_e32 vcc_lo, 1, v102
	s_or_b32 s5, vcc_lo, s5
	s_waitcnt vmcnt(2) lgkmcnt(0)
	v_mul_f64 v[113:114], v[107:108], v[109:110]
	v_mul_f64 v[109:110], v[105:106], v[109:110]
	s_waitcnt vmcnt(0)
	v_fma_f64 v[105:106], v[105:106], v[111:112], -v[113:114]
	v_fma_f64 v[107:108], v[107:108], v[111:112], v[109:110]
	v_add_f64 v[3:4], v[3:4], v[105:106]
	v_add_f64 v[1:2], v[1:2], v[107:108]
	s_andn2_b32 exec_lo, exec_lo, s5
	s_cbranch_execnz .LBB110_25
; %bb.26:
	s_or_b32 exec_lo, exec_lo, s5
	v_mov_b32_e32 v102, 0
	ds_read_b128 v[102:105], v102 offset:48
	s_waitcnt lgkmcnt(0)
	v_mul_f64 v[106:107], v[1:2], v[104:105]
	v_mul_f64 v[104:105], v[3:4], v[104:105]
	v_fma_f64 v[3:4], v[3:4], v[102:103], -v[106:107]
	v_fma_f64 v[1:2], v[1:2], v[102:103], v[104:105]
	buffer_store_dword v4, off, s[0:3], 0 offset:68
	buffer_store_dword v3, off, s[0:3], 0 offset:64
	;; [unrolled: 1-line block ×4, first 2 shown]
.LBB110_27:
	s_or_b32 exec_lo, exec_lo, s4
	v_mov_b32_e32 v4, s55
	s_waitcnt_vscnt null, 0x0
	s_barrier
	buffer_gl0_inv
	s_mov_b32 s4, exec_lo
	s_clause 0x3
	buffer_load_dword v1, v4, s[0:3], 0 offen
	buffer_load_dword v2, v4, s[0:3], 0 offen offset:4
	buffer_load_dword v3, v4, s[0:3], 0 offen offset:8
	;; [unrolled: 1-line block ×3, first 2 shown]
	s_waitcnt vmcnt(0)
	ds_write_b128 v5, v[1:4]
	s_waitcnt lgkmcnt(0)
	s_barrier
	buffer_gl0_inv
	v_cmpx_gt_u32_e32 4, v0
	s_cbranch_execz .LBB110_31
; %bb.28:
	v_mov_b32_e32 v1, 0
	v_mov_b32_e32 v3, 0
	v_add_nc_u32_e32 v102, -1, v0
	v_add_nc_u32_e32 v103, 0x2f0, v7
	v_mov_b32_e32 v2, 0
	v_mov_b32_e32 v4, 0
	v_add_nc_u32_e32 v104, 16, v7
	s_mov_b32 s5, 0
	.p2align	6
.LBB110_29:                             ; =>This Inner Loop Header: Depth=1
	s_clause 0x3
	buffer_load_dword v109, v104, s[0:3], 0 offen offset:8
	buffer_load_dword v110, v104, s[0:3], 0 offen offset:12
	buffer_load_dword v111, v104, s[0:3], 0 offen
	buffer_load_dword v112, v104, s[0:3], 0 offen offset:4
	ds_read_b128 v[105:108], v103
	v_add_nc_u32_e32 v102, 1, v102
	v_add_nc_u32_e32 v103, 16, v103
	v_add_nc_u32_e32 v104, 16, v104
	v_cmp_lt_u32_e32 vcc_lo, 2, v102
	s_or_b32 s5, vcc_lo, s5
	s_waitcnt vmcnt(2) lgkmcnt(0)
	v_mul_f64 v[113:114], v[107:108], v[109:110]
	v_mul_f64 v[109:110], v[105:106], v[109:110]
	s_waitcnt vmcnt(0)
	v_fma_f64 v[105:106], v[105:106], v[111:112], -v[113:114]
	v_fma_f64 v[107:108], v[107:108], v[111:112], v[109:110]
	v_add_f64 v[3:4], v[3:4], v[105:106]
	v_add_f64 v[1:2], v[1:2], v[107:108]
	s_andn2_b32 exec_lo, exec_lo, s5
	s_cbranch_execnz .LBB110_29
; %bb.30:
	s_or_b32 exec_lo, exec_lo, s5
	v_mov_b32_e32 v102, 0
	ds_read_b128 v[102:105], v102 offset:64
	s_waitcnt lgkmcnt(0)
	v_mul_f64 v[106:107], v[1:2], v[104:105]
	v_mul_f64 v[104:105], v[3:4], v[104:105]
	v_fma_f64 v[3:4], v[3:4], v[102:103], -v[106:107]
	v_fma_f64 v[1:2], v[1:2], v[102:103], v[104:105]
	buffer_store_dword v4, off, s[0:3], 0 offset:84
	buffer_store_dword v3, off, s[0:3], 0 offset:80
	;; [unrolled: 1-line block ×4, first 2 shown]
.LBB110_31:
	s_or_b32 exec_lo, exec_lo, s4
	v_mov_b32_e32 v4, s54
	s_waitcnt_vscnt null, 0x0
	s_barrier
	buffer_gl0_inv
	s_mov_b32 s4, exec_lo
	s_clause 0x3
	buffer_load_dword v1, v4, s[0:3], 0 offen
	buffer_load_dword v2, v4, s[0:3], 0 offen offset:4
	buffer_load_dword v3, v4, s[0:3], 0 offen offset:8
	;; [unrolled: 1-line block ×3, first 2 shown]
	s_waitcnt vmcnt(0)
	ds_write_b128 v5, v[1:4]
	s_waitcnt lgkmcnt(0)
	s_barrier
	buffer_gl0_inv
	v_cmpx_gt_u32_e32 5, v0
	s_cbranch_execz .LBB110_35
; %bb.32:
	v_mov_b32_e32 v1, 0
	v_mov_b32_e32 v3, 0
	v_add_nc_u32_e32 v102, -1, v0
	v_add_nc_u32_e32 v103, 0x2f0, v7
	v_mov_b32_e32 v2, 0
	v_mov_b32_e32 v4, 0
	v_add_nc_u32_e32 v104, 16, v7
	s_mov_b32 s5, 0
	.p2align	6
.LBB110_33:                             ; =>This Inner Loop Header: Depth=1
	s_clause 0x3
	buffer_load_dword v109, v104, s[0:3], 0 offen offset:8
	buffer_load_dword v110, v104, s[0:3], 0 offen offset:12
	buffer_load_dword v111, v104, s[0:3], 0 offen
	buffer_load_dword v112, v104, s[0:3], 0 offen offset:4
	ds_read_b128 v[105:108], v103
	v_add_nc_u32_e32 v102, 1, v102
	v_add_nc_u32_e32 v103, 16, v103
	v_add_nc_u32_e32 v104, 16, v104
	v_cmp_lt_u32_e32 vcc_lo, 3, v102
	s_or_b32 s5, vcc_lo, s5
	s_waitcnt vmcnt(2) lgkmcnt(0)
	v_mul_f64 v[113:114], v[107:108], v[109:110]
	v_mul_f64 v[109:110], v[105:106], v[109:110]
	s_waitcnt vmcnt(0)
	v_fma_f64 v[105:106], v[105:106], v[111:112], -v[113:114]
	v_fma_f64 v[107:108], v[107:108], v[111:112], v[109:110]
	v_add_f64 v[3:4], v[3:4], v[105:106]
	v_add_f64 v[1:2], v[1:2], v[107:108]
	s_andn2_b32 exec_lo, exec_lo, s5
	s_cbranch_execnz .LBB110_33
; %bb.34:
	s_or_b32 exec_lo, exec_lo, s5
	v_mov_b32_e32 v102, 0
	ds_read_b128 v[102:105], v102 offset:80
	s_waitcnt lgkmcnt(0)
	v_mul_f64 v[106:107], v[1:2], v[104:105]
	v_mul_f64 v[104:105], v[3:4], v[104:105]
	v_fma_f64 v[3:4], v[3:4], v[102:103], -v[106:107]
	v_fma_f64 v[1:2], v[1:2], v[102:103], v[104:105]
	buffer_store_dword v4, off, s[0:3], 0 offset:100
	buffer_store_dword v3, off, s[0:3], 0 offset:96
	;; [unrolled: 1-line block ×4, first 2 shown]
.LBB110_35:
	s_or_b32 exec_lo, exec_lo, s4
	v_mov_b32_e32 v4, s53
	s_waitcnt_vscnt null, 0x0
	s_barrier
	buffer_gl0_inv
	s_mov_b32 s4, exec_lo
	s_clause 0x3
	buffer_load_dword v1, v4, s[0:3], 0 offen
	buffer_load_dword v2, v4, s[0:3], 0 offen offset:4
	buffer_load_dword v3, v4, s[0:3], 0 offen offset:8
	buffer_load_dword v4, v4, s[0:3], 0 offen offset:12
	s_waitcnt vmcnt(0)
	ds_write_b128 v5, v[1:4]
	s_waitcnt lgkmcnt(0)
	s_barrier
	buffer_gl0_inv
	v_cmpx_gt_u32_e32 6, v0
	s_cbranch_execz .LBB110_39
; %bb.36:
	v_mov_b32_e32 v1, 0
	v_mov_b32_e32 v3, 0
	v_add_nc_u32_e32 v102, -1, v0
	v_add_nc_u32_e32 v103, 0x2f0, v7
	v_mov_b32_e32 v2, 0
	v_mov_b32_e32 v4, 0
	v_add_nc_u32_e32 v104, 16, v7
	s_mov_b32 s5, 0
	.p2align	6
.LBB110_37:                             ; =>This Inner Loop Header: Depth=1
	s_clause 0x3
	buffer_load_dword v109, v104, s[0:3], 0 offen offset:8
	buffer_load_dword v110, v104, s[0:3], 0 offen offset:12
	buffer_load_dword v111, v104, s[0:3], 0 offen
	buffer_load_dword v112, v104, s[0:3], 0 offen offset:4
	ds_read_b128 v[105:108], v103
	v_add_nc_u32_e32 v102, 1, v102
	v_add_nc_u32_e32 v103, 16, v103
	;; [unrolled: 1-line block ×3, first 2 shown]
	v_cmp_lt_u32_e32 vcc_lo, 4, v102
	s_or_b32 s5, vcc_lo, s5
	s_waitcnt vmcnt(2) lgkmcnt(0)
	v_mul_f64 v[113:114], v[107:108], v[109:110]
	v_mul_f64 v[109:110], v[105:106], v[109:110]
	s_waitcnt vmcnt(0)
	v_fma_f64 v[105:106], v[105:106], v[111:112], -v[113:114]
	v_fma_f64 v[107:108], v[107:108], v[111:112], v[109:110]
	v_add_f64 v[3:4], v[3:4], v[105:106]
	v_add_f64 v[1:2], v[1:2], v[107:108]
	s_andn2_b32 exec_lo, exec_lo, s5
	s_cbranch_execnz .LBB110_37
; %bb.38:
	s_or_b32 exec_lo, exec_lo, s5
	v_mov_b32_e32 v102, 0
	ds_read_b128 v[102:105], v102 offset:96
	s_waitcnt lgkmcnt(0)
	v_mul_f64 v[106:107], v[1:2], v[104:105]
	v_mul_f64 v[104:105], v[3:4], v[104:105]
	v_fma_f64 v[3:4], v[3:4], v[102:103], -v[106:107]
	v_fma_f64 v[1:2], v[1:2], v[102:103], v[104:105]
	buffer_store_dword v4, off, s[0:3], 0 offset:116
	buffer_store_dword v3, off, s[0:3], 0 offset:112
	;; [unrolled: 1-line block ×4, first 2 shown]
.LBB110_39:
	s_or_b32 exec_lo, exec_lo, s4
	v_mov_b32_e32 v4, s52
	s_waitcnt_vscnt null, 0x0
	s_barrier
	buffer_gl0_inv
	s_mov_b32 s4, exec_lo
	s_clause 0x3
	buffer_load_dword v1, v4, s[0:3], 0 offen
	buffer_load_dword v2, v4, s[0:3], 0 offen offset:4
	buffer_load_dword v3, v4, s[0:3], 0 offen offset:8
	;; [unrolled: 1-line block ×3, first 2 shown]
	s_waitcnt vmcnt(0)
	ds_write_b128 v5, v[1:4]
	s_waitcnt lgkmcnt(0)
	s_barrier
	buffer_gl0_inv
	v_cmpx_gt_u32_e32 7, v0
	s_cbranch_execz .LBB110_43
; %bb.40:
	v_mov_b32_e32 v1, 0
	v_mov_b32_e32 v3, 0
	v_add_nc_u32_e32 v102, -1, v0
	v_add_nc_u32_e32 v103, 0x2f0, v7
	v_mov_b32_e32 v2, 0
	v_mov_b32_e32 v4, 0
	v_add_nc_u32_e32 v104, 16, v7
	s_mov_b32 s5, 0
	.p2align	6
.LBB110_41:                             ; =>This Inner Loop Header: Depth=1
	s_clause 0x3
	buffer_load_dword v109, v104, s[0:3], 0 offen offset:8
	buffer_load_dword v110, v104, s[0:3], 0 offen offset:12
	buffer_load_dword v111, v104, s[0:3], 0 offen
	buffer_load_dword v112, v104, s[0:3], 0 offen offset:4
	ds_read_b128 v[105:108], v103
	v_add_nc_u32_e32 v102, 1, v102
	v_add_nc_u32_e32 v103, 16, v103
	;; [unrolled: 1-line block ×3, first 2 shown]
	v_cmp_lt_u32_e32 vcc_lo, 5, v102
	s_or_b32 s5, vcc_lo, s5
	s_waitcnt vmcnt(2) lgkmcnt(0)
	v_mul_f64 v[113:114], v[107:108], v[109:110]
	v_mul_f64 v[109:110], v[105:106], v[109:110]
	s_waitcnt vmcnt(0)
	v_fma_f64 v[105:106], v[105:106], v[111:112], -v[113:114]
	v_fma_f64 v[107:108], v[107:108], v[111:112], v[109:110]
	v_add_f64 v[3:4], v[3:4], v[105:106]
	v_add_f64 v[1:2], v[1:2], v[107:108]
	s_andn2_b32 exec_lo, exec_lo, s5
	s_cbranch_execnz .LBB110_41
; %bb.42:
	s_or_b32 exec_lo, exec_lo, s5
	v_mov_b32_e32 v102, 0
	ds_read_b128 v[102:105], v102 offset:112
	s_waitcnt lgkmcnt(0)
	v_mul_f64 v[106:107], v[1:2], v[104:105]
	v_mul_f64 v[104:105], v[3:4], v[104:105]
	v_fma_f64 v[3:4], v[3:4], v[102:103], -v[106:107]
	v_fma_f64 v[1:2], v[1:2], v[102:103], v[104:105]
	buffer_store_dword v4, off, s[0:3], 0 offset:132
	buffer_store_dword v3, off, s[0:3], 0 offset:128
	;; [unrolled: 1-line block ×4, first 2 shown]
.LBB110_43:
	s_or_b32 exec_lo, exec_lo, s4
	v_mov_b32_e32 v4, s51
	s_waitcnt_vscnt null, 0x0
	s_barrier
	buffer_gl0_inv
	s_mov_b32 s4, exec_lo
	s_clause 0x3
	buffer_load_dword v1, v4, s[0:3], 0 offen
	buffer_load_dword v2, v4, s[0:3], 0 offen offset:4
	buffer_load_dword v3, v4, s[0:3], 0 offen offset:8
	;; [unrolled: 1-line block ×3, first 2 shown]
	s_waitcnt vmcnt(0)
	ds_write_b128 v5, v[1:4]
	s_waitcnt lgkmcnt(0)
	s_barrier
	buffer_gl0_inv
	v_cmpx_gt_u32_e32 8, v0
	s_cbranch_execz .LBB110_47
; %bb.44:
	v_mov_b32_e32 v1, 0
	v_mov_b32_e32 v3, 0
	v_add_nc_u32_e32 v102, -1, v0
	v_add_nc_u32_e32 v103, 0x2f0, v7
	v_mov_b32_e32 v2, 0
	v_mov_b32_e32 v4, 0
	v_add_nc_u32_e32 v104, 16, v7
	s_mov_b32 s5, 0
	.p2align	6
.LBB110_45:                             ; =>This Inner Loop Header: Depth=1
	s_clause 0x3
	buffer_load_dword v109, v104, s[0:3], 0 offen offset:8
	buffer_load_dword v110, v104, s[0:3], 0 offen offset:12
	buffer_load_dword v111, v104, s[0:3], 0 offen
	buffer_load_dword v112, v104, s[0:3], 0 offen offset:4
	ds_read_b128 v[105:108], v103
	v_add_nc_u32_e32 v102, 1, v102
	v_add_nc_u32_e32 v103, 16, v103
	;; [unrolled: 1-line block ×3, first 2 shown]
	v_cmp_lt_u32_e32 vcc_lo, 6, v102
	s_or_b32 s5, vcc_lo, s5
	s_waitcnt vmcnt(2) lgkmcnt(0)
	v_mul_f64 v[113:114], v[107:108], v[109:110]
	v_mul_f64 v[109:110], v[105:106], v[109:110]
	s_waitcnt vmcnt(0)
	v_fma_f64 v[105:106], v[105:106], v[111:112], -v[113:114]
	v_fma_f64 v[107:108], v[107:108], v[111:112], v[109:110]
	v_add_f64 v[3:4], v[3:4], v[105:106]
	v_add_f64 v[1:2], v[1:2], v[107:108]
	s_andn2_b32 exec_lo, exec_lo, s5
	s_cbranch_execnz .LBB110_45
; %bb.46:
	s_or_b32 exec_lo, exec_lo, s5
	v_mov_b32_e32 v102, 0
	ds_read_b128 v[102:105], v102 offset:128
	s_waitcnt lgkmcnt(0)
	v_mul_f64 v[106:107], v[1:2], v[104:105]
	v_mul_f64 v[104:105], v[3:4], v[104:105]
	v_fma_f64 v[3:4], v[3:4], v[102:103], -v[106:107]
	v_fma_f64 v[1:2], v[1:2], v[102:103], v[104:105]
	buffer_store_dword v4, off, s[0:3], 0 offset:148
	buffer_store_dword v3, off, s[0:3], 0 offset:144
	;; [unrolled: 1-line block ×4, first 2 shown]
.LBB110_47:
	s_or_b32 exec_lo, exec_lo, s4
	v_mov_b32_e32 v4, s50
	s_waitcnt_vscnt null, 0x0
	s_barrier
	buffer_gl0_inv
	s_mov_b32 s4, exec_lo
	s_clause 0x3
	buffer_load_dword v1, v4, s[0:3], 0 offen
	buffer_load_dword v2, v4, s[0:3], 0 offen offset:4
	buffer_load_dword v3, v4, s[0:3], 0 offen offset:8
	buffer_load_dword v4, v4, s[0:3], 0 offen offset:12
	s_waitcnt vmcnt(0)
	ds_write_b128 v5, v[1:4]
	s_waitcnt lgkmcnt(0)
	s_barrier
	buffer_gl0_inv
	v_cmpx_gt_u32_e32 9, v0
	s_cbranch_execz .LBB110_51
; %bb.48:
	v_mov_b32_e32 v1, 0
	v_mov_b32_e32 v3, 0
	v_add_nc_u32_e32 v102, -1, v0
	v_add_nc_u32_e32 v103, 0x2f0, v7
	v_mov_b32_e32 v2, 0
	v_mov_b32_e32 v4, 0
	v_add_nc_u32_e32 v104, 16, v7
	s_mov_b32 s5, 0
	.p2align	6
.LBB110_49:                             ; =>This Inner Loop Header: Depth=1
	s_clause 0x3
	buffer_load_dword v109, v104, s[0:3], 0 offen offset:8
	buffer_load_dword v110, v104, s[0:3], 0 offen offset:12
	buffer_load_dword v111, v104, s[0:3], 0 offen
	buffer_load_dword v112, v104, s[0:3], 0 offen offset:4
	ds_read_b128 v[105:108], v103
	v_add_nc_u32_e32 v102, 1, v102
	v_add_nc_u32_e32 v103, 16, v103
	;; [unrolled: 1-line block ×3, first 2 shown]
	v_cmp_lt_u32_e32 vcc_lo, 7, v102
	s_or_b32 s5, vcc_lo, s5
	s_waitcnt vmcnt(2) lgkmcnt(0)
	v_mul_f64 v[113:114], v[107:108], v[109:110]
	v_mul_f64 v[109:110], v[105:106], v[109:110]
	s_waitcnt vmcnt(0)
	v_fma_f64 v[105:106], v[105:106], v[111:112], -v[113:114]
	v_fma_f64 v[107:108], v[107:108], v[111:112], v[109:110]
	v_add_f64 v[3:4], v[3:4], v[105:106]
	v_add_f64 v[1:2], v[1:2], v[107:108]
	s_andn2_b32 exec_lo, exec_lo, s5
	s_cbranch_execnz .LBB110_49
; %bb.50:
	s_or_b32 exec_lo, exec_lo, s5
	v_mov_b32_e32 v102, 0
	ds_read_b128 v[102:105], v102 offset:144
	s_waitcnt lgkmcnt(0)
	v_mul_f64 v[106:107], v[1:2], v[104:105]
	v_mul_f64 v[104:105], v[3:4], v[104:105]
	v_fma_f64 v[3:4], v[3:4], v[102:103], -v[106:107]
	v_fma_f64 v[1:2], v[1:2], v[102:103], v[104:105]
	buffer_store_dword v4, off, s[0:3], 0 offset:164
	buffer_store_dword v3, off, s[0:3], 0 offset:160
	;; [unrolled: 1-line block ×4, first 2 shown]
.LBB110_51:
	s_or_b32 exec_lo, exec_lo, s4
	v_mov_b32_e32 v4, s49
	s_waitcnt_vscnt null, 0x0
	s_barrier
	buffer_gl0_inv
	s_mov_b32 s4, exec_lo
	s_clause 0x3
	buffer_load_dword v1, v4, s[0:3], 0 offen
	buffer_load_dword v2, v4, s[0:3], 0 offen offset:4
	buffer_load_dword v3, v4, s[0:3], 0 offen offset:8
	buffer_load_dword v4, v4, s[0:3], 0 offen offset:12
	s_waitcnt vmcnt(0)
	ds_write_b128 v5, v[1:4]
	s_waitcnt lgkmcnt(0)
	s_barrier
	buffer_gl0_inv
	v_cmpx_gt_u32_e32 10, v0
	s_cbranch_execz .LBB110_55
; %bb.52:
	v_mov_b32_e32 v1, 0
	v_mov_b32_e32 v3, 0
	v_add_nc_u32_e32 v102, -1, v0
	v_add_nc_u32_e32 v103, 0x2f0, v7
	v_mov_b32_e32 v2, 0
	v_mov_b32_e32 v4, 0
	v_add_nc_u32_e32 v104, 16, v7
	s_mov_b32 s5, 0
	.p2align	6
.LBB110_53:                             ; =>This Inner Loop Header: Depth=1
	s_clause 0x3
	buffer_load_dword v109, v104, s[0:3], 0 offen offset:8
	buffer_load_dword v110, v104, s[0:3], 0 offen offset:12
	buffer_load_dword v111, v104, s[0:3], 0 offen
	buffer_load_dword v112, v104, s[0:3], 0 offen offset:4
	ds_read_b128 v[105:108], v103
	v_add_nc_u32_e32 v102, 1, v102
	v_add_nc_u32_e32 v103, 16, v103
	;; [unrolled: 1-line block ×3, first 2 shown]
	v_cmp_lt_u32_e32 vcc_lo, 8, v102
	s_or_b32 s5, vcc_lo, s5
	s_waitcnt vmcnt(2) lgkmcnt(0)
	v_mul_f64 v[113:114], v[107:108], v[109:110]
	v_mul_f64 v[109:110], v[105:106], v[109:110]
	s_waitcnt vmcnt(0)
	v_fma_f64 v[105:106], v[105:106], v[111:112], -v[113:114]
	v_fma_f64 v[107:108], v[107:108], v[111:112], v[109:110]
	v_add_f64 v[3:4], v[3:4], v[105:106]
	v_add_f64 v[1:2], v[1:2], v[107:108]
	s_andn2_b32 exec_lo, exec_lo, s5
	s_cbranch_execnz .LBB110_53
; %bb.54:
	s_or_b32 exec_lo, exec_lo, s5
	v_mov_b32_e32 v102, 0
	ds_read_b128 v[102:105], v102 offset:160
	s_waitcnt lgkmcnt(0)
	v_mul_f64 v[106:107], v[1:2], v[104:105]
	v_mul_f64 v[104:105], v[3:4], v[104:105]
	v_fma_f64 v[3:4], v[3:4], v[102:103], -v[106:107]
	v_fma_f64 v[1:2], v[1:2], v[102:103], v[104:105]
	buffer_store_dword v4, off, s[0:3], 0 offset:180
	buffer_store_dword v3, off, s[0:3], 0 offset:176
	;; [unrolled: 1-line block ×4, first 2 shown]
.LBB110_55:
	s_or_b32 exec_lo, exec_lo, s4
	v_mov_b32_e32 v4, s48
	s_waitcnt_vscnt null, 0x0
	s_barrier
	buffer_gl0_inv
	s_mov_b32 s4, exec_lo
	s_clause 0x3
	buffer_load_dword v1, v4, s[0:3], 0 offen
	buffer_load_dword v2, v4, s[0:3], 0 offen offset:4
	buffer_load_dword v3, v4, s[0:3], 0 offen offset:8
	buffer_load_dword v4, v4, s[0:3], 0 offen offset:12
	s_waitcnt vmcnt(0)
	ds_write_b128 v5, v[1:4]
	s_waitcnt lgkmcnt(0)
	s_barrier
	buffer_gl0_inv
	v_cmpx_gt_u32_e32 11, v0
	s_cbranch_execz .LBB110_59
; %bb.56:
	v_mov_b32_e32 v1, 0
	v_mov_b32_e32 v3, 0
	v_add_nc_u32_e32 v102, -1, v0
	v_add_nc_u32_e32 v103, 0x2f0, v7
	v_mov_b32_e32 v2, 0
	v_mov_b32_e32 v4, 0
	v_add_nc_u32_e32 v104, 16, v7
	s_mov_b32 s5, 0
	.p2align	6
.LBB110_57:                             ; =>This Inner Loop Header: Depth=1
	s_clause 0x3
	buffer_load_dword v109, v104, s[0:3], 0 offen offset:8
	buffer_load_dword v110, v104, s[0:3], 0 offen offset:12
	buffer_load_dword v111, v104, s[0:3], 0 offen
	buffer_load_dword v112, v104, s[0:3], 0 offen offset:4
	ds_read_b128 v[105:108], v103
	v_add_nc_u32_e32 v102, 1, v102
	v_add_nc_u32_e32 v103, 16, v103
	v_add_nc_u32_e32 v104, 16, v104
	v_cmp_lt_u32_e32 vcc_lo, 9, v102
	s_or_b32 s5, vcc_lo, s5
	s_waitcnt vmcnt(2) lgkmcnt(0)
	v_mul_f64 v[113:114], v[107:108], v[109:110]
	v_mul_f64 v[109:110], v[105:106], v[109:110]
	s_waitcnt vmcnt(0)
	v_fma_f64 v[105:106], v[105:106], v[111:112], -v[113:114]
	v_fma_f64 v[107:108], v[107:108], v[111:112], v[109:110]
	v_add_f64 v[3:4], v[3:4], v[105:106]
	v_add_f64 v[1:2], v[1:2], v[107:108]
	s_andn2_b32 exec_lo, exec_lo, s5
	s_cbranch_execnz .LBB110_57
; %bb.58:
	s_or_b32 exec_lo, exec_lo, s5
	v_mov_b32_e32 v102, 0
	ds_read_b128 v[102:105], v102 offset:176
	s_waitcnt lgkmcnt(0)
	v_mul_f64 v[106:107], v[1:2], v[104:105]
	v_mul_f64 v[104:105], v[3:4], v[104:105]
	v_fma_f64 v[3:4], v[3:4], v[102:103], -v[106:107]
	v_fma_f64 v[1:2], v[1:2], v[102:103], v[104:105]
	buffer_store_dword v4, off, s[0:3], 0 offset:196
	buffer_store_dword v3, off, s[0:3], 0 offset:192
	;; [unrolled: 1-line block ×4, first 2 shown]
.LBB110_59:
	s_or_b32 exec_lo, exec_lo, s4
	v_mov_b32_e32 v4, s47
	s_waitcnt_vscnt null, 0x0
	s_barrier
	buffer_gl0_inv
	s_mov_b32 s4, exec_lo
	s_clause 0x3
	buffer_load_dword v1, v4, s[0:3], 0 offen
	buffer_load_dword v2, v4, s[0:3], 0 offen offset:4
	buffer_load_dword v3, v4, s[0:3], 0 offen offset:8
	;; [unrolled: 1-line block ×3, first 2 shown]
	s_waitcnt vmcnt(0)
	ds_write_b128 v5, v[1:4]
	s_waitcnt lgkmcnt(0)
	s_barrier
	buffer_gl0_inv
	v_cmpx_gt_u32_e32 12, v0
	s_cbranch_execz .LBB110_63
; %bb.60:
	v_mov_b32_e32 v1, 0
	v_mov_b32_e32 v3, 0
	v_add_nc_u32_e32 v102, -1, v0
	v_add_nc_u32_e32 v103, 0x2f0, v7
	v_mov_b32_e32 v2, 0
	v_mov_b32_e32 v4, 0
	v_add_nc_u32_e32 v104, 16, v7
	s_mov_b32 s5, 0
	.p2align	6
.LBB110_61:                             ; =>This Inner Loop Header: Depth=1
	s_clause 0x3
	buffer_load_dword v109, v104, s[0:3], 0 offen offset:8
	buffer_load_dword v110, v104, s[0:3], 0 offen offset:12
	buffer_load_dword v111, v104, s[0:3], 0 offen
	buffer_load_dword v112, v104, s[0:3], 0 offen offset:4
	ds_read_b128 v[105:108], v103
	v_add_nc_u32_e32 v102, 1, v102
	v_add_nc_u32_e32 v103, 16, v103
	;; [unrolled: 1-line block ×3, first 2 shown]
	v_cmp_lt_u32_e32 vcc_lo, 10, v102
	s_or_b32 s5, vcc_lo, s5
	s_waitcnt vmcnt(2) lgkmcnt(0)
	v_mul_f64 v[113:114], v[107:108], v[109:110]
	v_mul_f64 v[109:110], v[105:106], v[109:110]
	s_waitcnt vmcnt(0)
	v_fma_f64 v[105:106], v[105:106], v[111:112], -v[113:114]
	v_fma_f64 v[107:108], v[107:108], v[111:112], v[109:110]
	v_add_f64 v[3:4], v[3:4], v[105:106]
	v_add_f64 v[1:2], v[1:2], v[107:108]
	s_andn2_b32 exec_lo, exec_lo, s5
	s_cbranch_execnz .LBB110_61
; %bb.62:
	s_or_b32 exec_lo, exec_lo, s5
	v_mov_b32_e32 v102, 0
	ds_read_b128 v[102:105], v102 offset:192
	s_waitcnt lgkmcnt(0)
	v_mul_f64 v[106:107], v[1:2], v[104:105]
	v_mul_f64 v[104:105], v[3:4], v[104:105]
	v_fma_f64 v[3:4], v[3:4], v[102:103], -v[106:107]
	v_fma_f64 v[1:2], v[1:2], v[102:103], v[104:105]
	buffer_store_dword v4, off, s[0:3], 0 offset:212
	buffer_store_dword v3, off, s[0:3], 0 offset:208
	;; [unrolled: 1-line block ×4, first 2 shown]
.LBB110_63:
	s_or_b32 exec_lo, exec_lo, s4
	v_mov_b32_e32 v4, s46
	s_waitcnt_vscnt null, 0x0
	s_barrier
	buffer_gl0_inv
	s_mov_b32 s4, exec_lo
	s_clause 0x3
	buffer_load_dword v1, v4, s[0:3], 0 offen
	buffer_load_dword v2, v4, s[0:3], 0 offen offset:4
	buffer_load_dword v3, v4, s[0:3], 0 offen offset:8
	;; [unrolled: 1-line block ×3, first 2 shown]
	s_waitcnt vmcnt(0)
	ds_write_b128 v5, v[1:4]
	s_waitcnt lgkmcnt(0)
	s_barrier
	buffer_gl0_inv
	v_cmpx_gt_u32_e32 13, v0
	s_cbranch_execz .LBB110_67
; %bb.64:
	v_mov_b32_e32 v1, 0
	v_mov_b32_e32 v3, 0
	v_add_nc_u32_e32 v102, -1, v0
	v_add_nc_u32_e32 v103, 0x2f0, v7
	v_mov_b32_e32 v2, 0
	v_mov_b32_e32 v4, 0
	v_add_nc_u32_e32 v104, 16, v7
	s_mov_b32 s5, 0
	.p2align	6
.LBB110_65:                             ; =>This Inner Loop Header: Depth=1
	s_clause 0x3
	buffer_load_dword v109, v104, s[0:3], 0 offen offset:8
	buffer_load_dword v110, v104, s[0:3], 0 offen offset:12
	buffer_load_dword v111, v104, s[0:3], 0 offen
	buffer_load_dword v112, v104, s[0:3], 0 offen offset:4
	ds_read_b128 v[105:108], v103
	v_add_nc_u32_e32 v102, 1, v102
	v_add_nc_u32_e32 v103, 16, v103
	;; [unrolled: 1-line block ×3, first 2 shown]
	v_cmp_lt_u32_e32 vcc_lo, 11, v102
	s_or_b32 s5, vcc_lo, s5
	s_waitcnt vmcnt(2) lgkmcnt(0)
	v_mul_f64 v[113:114], v[107:108], v[109:110]
	v_mul_f64 v[109:110], v[105:106], v[109:110]
	s_waitcnt vmcnt(0)
	v_fma_f64 v[105:106], v[105:106], v[111:112], -v[113:114]
	v_fma_f64 v[107:108], v[107:108], v[111:112], v[109:110]
	v_add_f64 v[3:4], v[3:4], v[105:106]
	v_add_f64 v[1:2], v[1:2], v[107:108]
	s_andn2_b32 exec_lo, exec_lo, s5
	s_cbranch_execnz .LBB110_65
; %bb.66:
	s_or_b32 exec_lo, exec_lo, s5
	v_mov_b32_e32 v102, 0
	ds_read_b128 v[102:105], v102 offset:208
	s_waitcnt lgkmcnt(0)
	v_mul_f64 v[106:107], v[1:2], v[104:105]
	v_mul_f64 v[104:105], v[3:4], v[104:105]
	v_fma_f64 v[3:4], v[3:4], v[102:103], -v[106:107]
	v_fma_f64 v[1:2], v[1:2], v[102:103], v[104:105]
	buffer_store_dword v4, off, s[0:3], 0 offset:228
	buffer_store_dword v3, off, s[0:3], 0 offset:224
	buffer_store_dword v2, off, s[0:3], 0 offset:236
	buffer_store_dword v1, off, s[0:3], 0 offset:232
.LBB110_67:
	s_or_b32 exec_lo, exec_lo, s4
	v_mov_b32_e32 v4, s45
	s_waitcnt_vscnt null, 0x0
	s_barrier
	buffer_gl0_inv
	s_mov_b32 s4, exec_lo
	s_clause 0x3
	buffer_load_dword v1, v4, s[0:3], 0 offen
	buffer_load_dword v2, v4, s[0:3], 0 offen offset:4
	buffer_load_dword v3, v4, s[0:3], 0 offen offset:8
	;; [unrolled: 1-line block ×3, first 2 shown]
	s_waitcnt vmcnt(0)
	ds_write_b128 v5, v[1:4]
	s_waitcnt lgkmcnt(0)
	s_barrier
	buffer_gl0_inv
	v_cmpx_gt_u32_e32 14, v0
	s_cbranch_execz .LBB110_71
; %bb.68:
	v_mov_b32_e32 v1, 0
	v_mov_b32_e32 v3, 0
	v_add_nc_u32_e32 v102, -1, v0
	v_add_nc_u32_e32 v103, 0x2f0, v7
	v_mov_b32_e32 v2, 0
	v_mov_b32_e32 v4, 0
	v_add_nc_u32_e32 v104, 16, v7
	s_mov_b32 s5, 0
	.p2align	6
.LBB110_69:                             ; =>This Inner Loop Header: Depth=1
	s_clause 0x3
	buffer_load_dword v109, v104, s[0:3], 0 offen offset:8
	buffer_load_dword v110, v104, s[0:3], 0 offen offset:12
	buffer_load_dword v111, v104, s[0:3], 0 offen
	buffer_load_dword v112, v104, s[0:3], 0 offen offset:4
	ds_read_b128 v[105:108], v103
	v_add_nc_u32_e32 v102, 1, v102
	v_add_nc_u32_e32 v103, 16, v103
	;; [unrolled: 1-line block ×3, first 2 shown]
	v_cmp_lt_u32_e32 vcc_lo, 12, v102
	s_or_b32 s5, vcc_lo, s5
	s_waitcnt vmcnt(2) lgkmcnt(0)
	v_mul_f64 v[113:114], v[107:108], v[109:110]
	v_mul_f64 v[109:110], v[105:106], v[109:110]
	s_waitcnt vmcnt(0)
	v_fma_f64 v[105:106], v[105:106], v[111:112], -v[113:114]
	v_fma_f64 v[107:108], v[107:108], v[111:112], v[109:110]
	v_add_f64 v[3:4], v[3:4], v[105:106]
	v_add_f64 v[1:2], v[1:2], v[107:108]
	s_andn2_b32 exec_lo, exec_lo, s5
	s_cbranch_execnz .LBB110_69
; %bb.70:
	s_or_b32 exec_lo, exec_lo, s5
	v_mov_b32_e32 v102, 0
	ds_read_b128 v[102:105], v102 offset:224
	s_waitcnt lgkmcnt(0)
	v_mul_f64 v[106:107], v[1:2], v[104:105]
	v_mul_f64 v[104:105], v[3:4], v[104:105]
	v_fma_f64 v[3:4], v[3:4], v[102:103], -v[106:107]
	v_fma_f64 v[1:2], v[1:2], v[102:103], v[104:105]
	buffer_store_dword v4, off, s[0:3], 0 offset:244
	buffer_store_dword v3, off, s[0:3], 0 offset:240
	;; [unrolled: 1-line block ×4, first 2 shown]
.LBB110_71:
	s_or_b32 exec_lo, exec_lo, s4
	v_mov_b32_e32 v4, s44
	s_waitcnt_vscnt null, 0x0
	s_barrier
	buffer_gl0_inv
	s_mov_b32 s4, exec_lo
	s_clause 0x3
	buffer_load_dword v1, v4, s[0:3], 0 offen
	buffer_load_dword v2, v4, s[0:3], 0 offen offset:4
	buffer_load_dword v3, v4, s[0:3], 0 offen offset:8
	;; [unrolled: 1-line block ×3, first 2 shown]
	s_waitcnt vmcnt(0)
	ds_write_b128 v5, v[1:4]
	s_waitcnt lgkmcnt(0)
	s_barrier
	buffer_gl0_inv
	v_cmpx_gt_u32_e32 15, v0
	s_cbranch_execz .LBB110_75
; %bb.72:
	v_mov_b32_e32 v1, 0
	v_mov_b32_e32 v3, 0
	v_add_nc_u32_e32 v102, -1, v0
	v_add_nc_u32_e32 v103, 0x2f0, v7
	v_mov_b32_e32 v2, 0
	v_mov_b32_e32 v4, 0
	v_add_nc_u32_e32 v104, 16, v7
	s_mov_b32 s5, 0
	.p2align	6
.LBB110_73:                             ; =>This Inner Loop Header: Depth=1
	s_clause 0x3
	buffer_load_dword v109, v104, s[0:3], 0 offen offset:8
	buffer_load_dword v110, v104, s[0:3], 0 offen offset:12
	buffer_load_dword v111, v104, s[0:3], 0 offen
	buffer_load_dword v112, v104, s[0:3], 0 offen offset:4
	ds_read_b128 v[105:108], v103
	v_add_nc_u32_e32 v102, 1, v102
	v_add_nc_u32_e32 v103, 16, v103
	;; [unrolled: 1-line block ×3, first 2 shown]
	v_cmp_lt_u32_e32 vcc_lo, 13, v102
	s_or_b32 s5, vcc_lo, s5
	s_waitcnt vmcnt(2) lgkmcnt(0)
	v_mul_f64 v[113:114], v[107:108], v[109:110]
	v_mul_f64 v[109:110], v[105:106], v[109:110]
	s_waitcnt vmcnt(0)
	v_fma_f64 v[105:106], v[105:106], v[111:112], -v[113:114]
	v_fma_f64 v[107:108], v[107:108], v[111:112], v[109:110]
	v_add_f64 v[3:4], v[3:4], v[105:106]
	v_add_f64 v[1:2], v[1:2], v[107:108]
	s_andn2_b32 exec_lo, exec_lo, s5
	s_cbranch_execnz .LBB110_73
; %bb.74:
	s_or_b32 exec_lo, exec_lo, s5
	v_mov_b32_e32 v102, 0
	ds_read_b128 v[102:105], v102 offset:240
	s_waitcnt lgkmcnt(0)
	v_mul_f64 v[106:107], v[1:2], v[104:105]
	v_mul_f64 v[104:105], v[3:4], v[104:105]
	v_fma_f64 v[3:4], v[3:4], v[102:103], -v[106:107]
	v_fma_f64 v[1:2], v[1:2], v[102:103], v[104:105]
	buffer_store_dword v4, off, s[0:3], 0 offset:260
	buffer_store_dword v3, off, s[0:3], 0 offset:256
	;; [unrolled: 1-line block ×4, first 2 shown]
.LBB110_75:
	s_or_b32 exec_lo, exec_lo, s4
	v_mov_b32_e32 v4, s43
	s_waitcnt_vscnt null, 0x0
	s_barrier
	buffer_gl0_inv
	s_mov_b32 s4, exec_lo
	s_clause 0x3
	buffer_load_dword v1, v4, s[0:3], 0 offen
	buffer_load_dword v2, v4, s[0:3], 0 offen offset:4
	buffer_load_dword v3, v4, s[0:3], 0 offen offset:8
	;; [unrolled: 1-line block ×3, first 2 shown]
	s_waitcnt vmcnt(0)
	ds_write_b128 v5, v[1:4]
	s_waitcnt lgkmcnt(0)
	s_barrier
	buffer_gl0_inv
	v_cmpx_gt_u32_e32 16, v0
	s_cbranch_execz .LBB110_79
; %bb.76:
	v_mov_b32_e32 v1, 0
	v_mov_b32_e32 v3, 0
	v_add_nc_u32_e32 v102, -1, v0
	v_add_nc_u32_e32 v103, 0x2f0, v7
	v_mov_b32_e32 v2, 0
	v_mov_b32_e32 v4, 0
	v_add_nc_u32_e32 v104, 16, v7
	s_mov_b32 s5, 0
	.p2align	6
.LBB110_77:                             ; =>This Inner Loop Header: Depth=1
	s_clause 0x3
	buffer_load_dword v109, v104, s[0:3], 0 offen offset:8
	buffer_load_dword v110, v104, s[0:3], 0 offen offset:12
	buffer_load_dword v111, v104, s[0:3], 0 offen
	buffer_load_dword v112, v104, s[0:3], 0 offen offset:4
	ds_read_b128 v[105:108], v103
	v_add_nc_u32_e32 v102, 1, v102
	v_add_nc_u32_e32 v103, 16, v103
	;; [unrolled: 1-line block ×3, first 2 shown]
	v_cmp_lt_u32_e32 vcc_lo, 14, v102
	s_or_b32 s5, vcc_lo, s5
	s_waitcnt vmcnt(2) lgkmcnt(0)
	v_mul_f64 v[113:114], v[107:108], v[109:110]
	v_mul_f64 v[109:110], v[105:106], v[109:110]
	s_waitcnt vmcnt(0)
	v_fma_f64 v[105:106], v[105:106], v[111:112], -v[113:114]
	v_fma_f64 v[107:108], v[107:108], v[111:112], v[109:110]
	v_add_f64 v[3:4], v[3:4], v[105:106]
	v_add_f64 v[1:2], v[1:2], v[107:108]
	s_andn2_b32 exec_lo, exec_lo, s5
	s_cbranch_execnz .LBB110_77
; %bb.78:
	s_or_b32 exec_lo, exec_lo, s5
	v_mov_b32_e32 v102, 0
	ds_read_b128 v[102:105], v102 offset:256
	s_waitcnt lgkmcnt(0)
	v_mul_f64 v[106:107], v[1:2], v[104:105]
	v_mul_f64 v[104:105], v[3:4], v[104:105]
	v_fma_f64 v[3:4], v[3:4], v[102:103], -v[106:107]
	v_fma_f64 v[1:2], v[1:2], v[102:103], v[104:105]
	buffer_store_dword v4, off, s[0:3], 0 offset:276
	buffer_store_dword v3, off, s[0:3], 0 offset:272
	;; [unrolled: 1-line block ×4, first 2 shown]
.LBB110_79:
	s_or_b32 exec_lo, exec_lo, s4
	v_mov_b32_e32 v4, s42
	s_waitcnt_vscnt null, 0x0
	s_barrier
	buffer_gl0_inv
	s_mov_b32 s4, exec_lo
	s_clause 0x3
	buffer_load_dword v1, v4, s[0:3], 0 offen
	buffer_load_dword v2, v4, s[0:3], 0 offen offset:4
	buffer_load_dword v3, v4, s[0:3], 0 offen offset:8
	;; [unrolled: 1-line block ×3, first 2 shown]
	s_waitcnt vmcnt(0)
	ds_write_b128 v5, v[1:4]
	s_waitcnt lgkmcnt(0)
	s_barrier
	buffer_gl0_inv
	v_cmpx_gt_u32_e32 17, v0
	s_cbranch_execz .LBB110_83
; %bb.80:
	v_mov_b32_e32 v1, 0
	v_mov_b32_e32 v3, 0
	v_add_nc_u32_e32 v102, -1, v0
	v_add_nc_u32_e32 v103, 0x2f0, v7
	v_mov_b32_e32 v2, 0
	v_mov_b32_e32 v4, 0
	v_add_nc_u32_e32 v104, 16, v7
	s_mov_b32 s5, 0
	.p2align	6
.LBB110_81:                             ; =>This Inner Loop Header: Depth=1
	s_clause 0x3
	buffer_load_dword v109, v104, s[0:3], 0 offen offset:8
	buffer_load_dword v110, v104, s[0:3], 0 offen offset:12
	buffer_load_dword v111, v104, s[0:3], 0 offen
	buffer_load_dword v112, v104, s[0:3], 0 offen offset:4
	ds_read_b128 v[105:108], v103
	v_add_nc_u32_e32 v102, 1, v102
	v_add_nc_u32_e32 v103, 16, v103
	;; [unrolled: 1-line block ×3, first 2 shown]
	v_cmp_lt_u32_e32 vcc_lo, 15, v102
	s_or_b32 s5, vcc_lo, s5
	s_waitcnt vmcnt(2) lgkmcnt(0)
	v_mul_f64 v[113:114], v[107:108], v[109:110]
	v_mul_f64 v[109:110], v[105:106], v[109:110]
	s_waitcnt vmcnt(0)
	v_fma_f64 v[105:106], v[105:106], v[111:112], -v[113:114]
	v_fma_f64 v[107:108], v[107:108], v[111:112], v[109:110]
	v_add_f64 v[3:4], v[3:4], v[105:106]
	v_add_f64 v[1:2], v[1:2], v[107:108]
	s_andn2_b32 exec_lo, exec_lo, s5
	s_cbranch_execnz .LBB110_81
; %bb.82:
	s_or_b32 exec_lo, exec_lo, s5
	v_mov_b32_e32 v102, 0
	ds_read_b128 v[102:105], v102 offset:272
	s_waitcnt lgkmcnt(0)
	v_mul_f64 v[106:107], v[1:2], v[104:105]
	v_mul_f64 v[104:105], v[3:4], v[104:105]
	v_fma_f64 v[3:4], v[3:4], v[102:103], -v[106:107]
	v_fma_f64 v[1:2], v[1:2], v[102:103], v[104:105]
	buffer_store_dword v4, off, s[0:3], 0 offset:292
	buffer_store_dword v3, off, s[0:3], 0 offset:288
	;; [unrolled: 1-line block ×4, first 2 shown]
.LBB110_83:
	s_or_b32 exec_lo, exec_lo, s4
	v_mov_b32_e32 v4, s41
	s_waitcnt_vscnt null, 0x0
	s_barrier
	buffer_gl0_inv
	s_mov_b32 s4, exec_lo
	s_clause 0x3
	buffer_load_dword v1, v4, s[0:3], 0 offen
	buffer_load_dword v2, v4, s[0:3], 0 offen offset:4
	buffer_load_dword v3, v4, s[0:3], 0 offen offset:8
	;; [unrolled: 1-line block ×3, first 2 shown]
	s_waitcnt vmcnt(0)
	ds_write_b128 v5, v[1:4]
	s_waitcnt lgkmcnt(0)
	s_barrier
	buffer_gl0_inv
	v_cmpx_gt_u32_e32 18, v0
	s_cbranch_execz .LBB110_87
; %bb.84:
	v_mov_b32_e32 v1, 0
	v_mov_b32_e32 v3, 0
	v_add_nc_u32_e32 v102, -1, v0
	v_add_nc_u32_e32 v103, 0x2f0, v7
	v_mov_b32_e32 v2, 0
	v_mov_b32_e32 v4, 0
	v_add_nc_u32_e32 v104, 16, v7
	s_mov_b32 s5, 0
	.p2align	6
.LBB110_85:                             ; =>This Inner Loop Header: Depth=1
	s_clause 0x3
	buffer_load_dword v109, v104, s[0:3], 0 offen offset:8
	buffer_load_dword v110, v104, s[0:3], 0 offen offset:12
	buffer_load_dword v111, v104, s[0:3], 0 offen
	buffer_load_dword v112, v104, s[0:3], 0 offen offset:4
	ds_read_b128 v[105:108], v103
	v_add_nc_u32_e32 v102, 1, v102
	v_add_nc_u32_e32 v103, 16, v103
	;; [unrolled: 1-line block ×3, first 2 shown]
	v_cmp_lt_u32_e32 vcc_lo, 16, v102
	s_or_b32 s5, vcc_lo, s5
	s_waitcnt vmcnt(2) lgkmcnt(0)
	v_mul_f64 v[113:114], v[107:108], v[109:110]
	v_mul_f64 v[109:110], v[105:106], v[109:110]
	s_waitcnt vmcnt(0)
	v_fma_f64 v[105:106], v[105:106], v[111:112], -v[113:114]
	v_fma_f64 v[107:108], v[107:108], v[111:112], v[109:110]
	v_add_f64 v[3:4], v[3:4], v[105:106]
	v_add_f64 v[1:2], v[1:2], v[107:108]
	s_andn2_b32 exec_lo, exec_lo, s5
	s_cbranch_execnz .LBB110_85
; %bb.86:
	s_or_b32 exec_lo, exec_lo, s5
	v_mov_b32_e32 v102, 0
	ds_read_b128 v[102:105], v102 offset:288
	s_waitcnt lgkmcnt(0)
	v_mul_f64 v[106:107], v[1:2], v[104:105]
	v_mul_f64 v[104:105], v[3:4], v[104:105]
	v_fma_f64 v[3:4], v[3:4], v[102:103], -v[106:107]
	v_fma_f64 v[1:2], v[1:2], v[102:103], v[104:105]
	buffer_store_dword v4, off, s[0:3], 0 offset:308
	buffer_store_dword v3, off, s[0:3], 0 offset:304
	;; [unrolled: 1-line block ×4, first 2 shown]
.LBB110_87:
	s_or_b32 exec_lo, exec_lo, s4
	v_mov_b32_e32 v4, s40
	s_waitcnt_vscnt null, 0x0
	s_barrier
	buffer_gl0_inv
	s_mov_b32 s4, exec_lo
	s_clause 0x3
	buffer_load_dword v1, v4, s[0:3], 0 offen
	buffer_load_dword v2, v4, s[0:3], 0 offen offset:4
	buffer_load_dword v3, v4, s[0:3], 0 offen offset:8
	;; [unrolled: 1-line block ×3, first 2 shown]
	s_waitcnt vmcnt(0)
	ds_write_b128 v5, v[1:4]
	s_waitcnt lgkmcnt(0)
	s_barrier
	buffer_gl0_inv
	v_cmpx_gt_u32_e32 19, v0
	s_cbranch_execz .LBB110_91
; %bb.88:
	v_mov_b32_e32 v1, 0
	v_mov_b32_e32 v3, 0
	v_add_nc_u32_e32 v102, -1, v0
	v_add_nc_u32_e32 v103, 0x2f0, v7
	v_mov_b32_e32 v2, 0
	v_mov_b32_e32 v4, 0
	v_add_nc_u32_e32 v104, 16, v7
	s_mov_b32 s5, 0
	.p2align	6
.LBB110_89:                             ; =>This Inner Loop Header: Depth=1
	s_clause 0x3
	buffer_load_dword v109, v104, s[0:3], 0 offen offset:8
	buffer_load_dword v110, v104, s[0:3], 0 offen offset:12
	buffer_load_dword v111, v104, s[0:3], 0 offen
	buffer_load_dword v112, v104, s[0:3], 0 offen offset:4
	ds_read_b128 v[105:108], v103
	v_add_nc_u32_e32 v102, 1, v102
	v_add_nc_u32_e32 v103, 16, v103
	;; [unrolled: 1-line block ×3, first 2 shown]
	v_cmp_lt_u32_e32 vcc_lo, 17, v102
	s_or_b32 s5, vcc_lo, s5
	s_waitcnt vmcnt(2) lgkmcnt(0)
	v_mul_f64 v[113:114], v[107:108], v[109:110]
	v_mul_f64 v[109:110], v[105:106], v[109:110]
	s_waitcnt vmcnt(0)
	v_fma_f64 v[105:106], v[105:106], v[111:112], -v[113:114]
	v_fma_f64 v[107:108], v[107:108], v[111:112], v[109:110]
	v_add_f64 v[3:4], v[3:4], v[105:106]
	v_add_f64 v[1:2], v[1:2], v[107:108]
	s_andn2_b32 exec_lo, exec_lo, s5
	s_cbranch_execnz .LBB110_89
; %bb.90:
	s_or_b32 exec_lo, exec_lo, s5
	v_mov_b32_e32 v102, 0
	ds_read_b128 v[102:105], v102 offset:304
	s_waitcnt lgkmcnt(0)
	v_mul_f64 v[106:107], v[1:2], v[104:105]
	v_mul_f64 v[104:105], v[3:4], v[104:105]
	v_fma_f64 v[3:4], v[3:4], v[102:103], -v[106:107]
	v_fma_f64 v[1:2], v[1:2], v[102:103], v[104:105]
	buffer_store_dword v4, off, s[0:3], 0 offset:324
	buffer_store_dword v3, off, s[0:3], 0 offset:320
	;; [unrolled: 1-line block ×4, first 2 shown]
.LBB110_91:
	s_or_b32 exec_lo, exec_lo, s4
	v_mov_b32_e32 v4, s39
	s_waitcnt_vscnt null, 0x0
	s_barrier
	buffer_gl0_inv
	s_mov_b32 s4, exec_lo
	s_clause 0x3
	buffer_load_dword v1, v4, s[0:3], 0 offen
	buffer_load_dword v2, v4, s[0:3], 0 offen offset:4
	buffer_load_dword v3, v4, s[0:3], 0 offen offset:8
	;; [unrolled: 1-line block ×3, first 2 shown]
	s_waitcnt vmcnt(0)
	ds_write_b128 v5, v[1:4]
	s_waitcnt lgkmcnt(0)
	s_barrier
	buffer_gl0_inv
	v_cmpx_gt_u32_e32 20, v0
	s_cbranch_execz .LBB110_95
; %bb.92:
	v_mov_b32_e32 v1, 0
	v_mov_b32_e32 v3, 0
	v_add_nc_u32_e32 v102, -1, v0
	v_add_nc_u32_e32 v103, 0x2f0, v7
	v_mov_b32_e32 v2, 0
	v_mov_b32_e32 v4, 0
	v_add_nc_u32_e32 v104, 16, v7
	s_mov_b32 s5, 0
	.p2align	6
.LBB110_93:                             ; =>This Inner Loop Header: Depth=1
	s_clause 0x3
	buffer_load_dword v109, v104, s[0:3], 0 offen offset:8
	buffer_load_dword v110, v104, s[0:3], 0 offen offset:12
	buffer_load_dword v111, v104, s[0:3], 0 offen
	buffer_load_dword v112, v104, s[0:3], 0 offen offset:4
	ds_read_b128 v[105:108], v103
	v_add_nc_u32_e32 v102, 1, v102
	v_add_nc_u32_e32 v103, 16, v103
	v_add_nc_u32_e32 v104, 16, v104
	v_cmp_lt_u32_e32 vcc_lo, 18, v102
	s_or_b32 s5, vcc_lo, s5
	s_waitcnt vmcnt(2) lgkmcnt(0)
	v_mul_f64 v[113:114], v[107:108], v[109:110]
	v_mul_f64 v[109:110], v[105:106], v[109:110]
	s_waitcnt vmcnt(0)
	v_fma_f64 v[105:106], v[105:106], v[111:112], -v[113:114]
	v_fma_f64 v[107:108], v[107:108], v[111:112], v[109:110]
	v_add_f64 v[3:4], v[3:4], v[105:106]
	v_add_f64 v[1:2], v[1:2], v[107:108]
	s_andn2_b32 exec_lo, exec_lo, s5
	s_cbranch_execnz .LBB110_93
; %bb.94:
	s_or_b32 exec_lo, exec_lo, s5
	v_mov_b32_e32 v102, 0
	ds_read_b128 v[102:105], v102 offset:320
	s_waitcnt lgkmcnt(0)
	v_mul_f64 v[106:107], v[1:2], v[104:105]
	v_mul_f64 v[104:105], v[3:4], v[104:105]
	v_fma_f64 v[3:4], v[3:4], v[102:103], -v[106:107]
	v_fma_f64 v[1:2], v[1:2], v[102:103], v[104:105]
	buffer_store_dword v4, off, s[0:3], 0 offset:340
	buffer_store_dword v3, off, s[0:3], 0 offset:336
	;; [unrolled: 1-line block ×4, first 2 shown]
.LBB110_95:
	s_or_b32 exec_lo, exec_lo, s4
	v_mov_b32_e32 v4, s38
	s_waitcnt_vscnt null, 0x0
	s_barrier
	buffer_gl0_inv
	s_mov_b32 s4, exec_lo
	s_clause 0x3
	buffer_load_dword v1, v4, s[0:3], 0 offen
	buffer_load_dword v2, v4, s[0:3], 0 offen offset:4
	buffer_load_dword v3, v4, s[0:3], 0 offen offset:8
	;; [unrolled: 1-line block ×3, first 2 shown]
	s_waitcnt vmcnt(0)
	ds_write_b128 v5, v[1:4]
	s_waitcnt lgkmcnt(0)
	s_barrier
	buffer_gl0_inv
	v_cmpx_gt_u32_e32 21, v0
	s_cbranch_execz .LBB110_99
; %bb.96:
	v_mov_b32_e32 v1, 0
	v_mov_b32_e32 v3, 0
	v_add_nc_u32_e32 v102, -1, v0
	v_add_nc_u32_e32 v103, 0x2f0, v7
	v_mov_b32_e32 v2, 0
	v_mov_b32_e32 v4, 0
	v_add_nc_u32_e32 v104, 16, v7
	s_mov_b32 s5, 0
	.p2align	6
.LBB110_97:                             ; =>This Inner Loop Header: Depth=1
	s_clause 0x3
	buffer_load_dword v109, v104, s[0:3], 0 offen offset:8
	buffer_load_dword v110, v104, s[0:3], 0 offen offset:12
	buffer_load_dword v111, v104, s[0:3], 0 offen
	buffer_load_dword v112, v104, s[0:3], 0 offen offset:4
	ds_read_b128 v[105:108], v103
	v_add_nc_u32_e32 v102, 1, v102
	v_add_nc_u32_e32 v103, 16, v103
	;; [unrolled: 1-line block ×3, first 2 shown]
	v_cmp_lt_u32_e32 vcc_lo, 19, v102
	s_or_b32 s5, vcc_lo, s5
	s_waitcnt vmcnt(2) lgkmcnt(0)
	v_mul_f64 v[113:114], v[107:108], v[109:110]
	v_mul_f64 v[109:110], v[105:106], v[109:110]
	s_waitcnt vmcnt(0)
	v_fma_f64 v[105:106], v[105:106], v[111:112], -v[113:114]
	v_fma_f64 v[107:108], v[107:108], v[111:112], v[109:110]
	v_add_f64 v[3:4], v[3:4], v[105:106]
	v_add_f64 v[1:2], v[1:2], v[107:108]
	s_andn2_b32 exec_lo, exec_lo, s5
	s_cbranch_execnz .LBB110_97
; %bb.98:
	s_or_b32 exec_lo, exec_lo, s5
	v_mov_b32_e32 v102, 0
	ds_read_b128 v[102:105], v102 offset:336
	s_waitcnt lgkmcnt(0)
	v_mul_f64 v[106:107], v[1:2], v[104:105]
	v_mul_f64 v[104:105], v[3:4], v[104:105]
	v_fma_f64 v[3:4], v[3:4], v[102:103], -v[106:107]
	v_fma_f64 v[1:2], v[1:2], v[102:103], v[104:105]
	buffer_store_dword v4, off, s[0:3], 0 offset:356
	buffer_store_dword v3, off, s[0:3], 0 offset:352
	;; [unrolled: 1-line block ×4, first 2 shown]
.LBB110_99:
	s_or_b32 exec_lo, exec_lo, s4
	v_mov_b32_e32 v4, s37
	s_waitcnt_vscnt null, 0x0
	s_barrier
	buffer_gl0_inv
	s_mov_b32 s4, exec_lo
	s_clause 0x3
	buffer_load_dword v1, v4, s[0:3], 0 offen
	buffer_load_dword v2, v4, s[0:3], 0 offen offset:4
	buffer_load_dword v3, v4, s[0:3], 0 offen offset:8
	;; [unrolled: 1-line block ×3, first 2 shown]
	s_waitcnt vmcnt(0)
	ds_write_b128 v5, v[1:4]
	s_waitcnt lgkmcnt(0)
	s_barrier
	buffer_gl0_inv
	v_cmpx_gt_u32_e32 22, v0
	s_cbranch_execz .LBB110_103
; %bb.100:
	v_mov_b32_e32 v1, 0
	v_mov_b32_e32 v3, 0
	v_add_nc_u32_e32 v102, -1, v0
	v_add_nc_u32_e32 v103, 0x2f0, v7
	v_mov_b32_e32 v2, 0
	v_mov_b32_e32 v4, 0
	v_add_nc_u32_e32 v104, 16, v7
	s_mov_b32 s5, 0
	.p2align	6
.LBB110_101:                            ; =>This Inner Loop Header: Depth=1
	s_clause 0x3
	buffer_load_dword v109, v104, s[0:3], 0 offen offset:8
	buffer_load_dword v110, v104, s[0:3], 0 offen offset:12
	buffer_load_dword v111, v104, s[0:3], 0 offen
	buffer_load_dword v112, v104, s[0:3], 0 offen offset:4
	ds_read_b128 v[105:108], v103
	v_add_nc_u32_e32 v102, 1, v102
	v_add_nc_u32_e32 v103, 16, v103
	;; [unrolled: 1-line block ×3, first 2 shown]
	v_cmp_lt_u32_e32 vcc_lo, 20, v102
	s_or_b32 s5, vcc_lo, s5
	s_waitcnt vmcnt(2) lgkmcnt(0)
	v_mul_f64 v[113:114], v[107:108], v[109:110]
	v_mul_f64 v[109:110], v[105:106], v[109:110]
	s_waitcnt vmcnt(0)
	v_fma_f64 v[105:106], v[105:106], v[111:112], -v[113:114]
	v_fma_f64 v[107:108], v[107:108], v[111:112], v[109:110]
	v_add_f64 v[3:4], v[3:4], v[105:106]
	v_add_f64 v[1:2], v[1:2], v[107:108]
	s_andn2_b32 exec_lo, exec_lo, s5
	s_cbranch_execnz .LBB110_101
; %bb.102:
	s_or_b32 exec_lo, exec_lo, s5
	v_mov_b32_e32 v102, 0
	ds_read_b128 v[102:105], v102 offset:352
	s_waitcnt lgkmcnt(0)
	v_mul_f64 v[106:107], v[1:2], v[104:105]
	v_mul_f64 v[104:105], v[3:4], v[104:105]
	v_fma_f64 v[3:4], v[3:4], v[102:103], -v[106:107]
	v_fma_f64 v[1:2], v[1:2], v[102:103], v[104:105]
	buffer_store_dword v4, off, s[0:3], 0 offset:372
	buffer_store_dword v3, off, s[0:3], 0 offset:368
	;; [unrolled: 1-line block ×4, first 2 shown]
.LBB110_103:
	s_or_b32 exec_lo, exec_lo, s4
	v_mov_b32_e32 v4, s36
	s_waitcnt_vscnt null, 0x0
	s_barrier
	buffer_gl0_inv
	s_mov_b32 s4, exec_lo
	s_clause 0x3
	buffer_load_dword v1, v4, s[0:3], 0 offen
	buffer_load_dword v2, v4, s[0:3], 0 offen offset:4
	buffer_load_dword v3, v4, s[0:3], 0 offen offset:8
	;; [unrolled: 1-line block ×3, first 2 shown]
	s_waitcnt vmcnt(0)
	ds_write_b128 v5, v[1:4]
	s_waitcnt lgkmcnt(0)
	s_barrier
	buffer_gl0_inv
	v_cmpx_gt_u32_e32 23, v0
	s_cbranch_execz .LBB110_107
; %bb.104:
	v_mov_b32_e32 v1, 0
	v_mov_b32_e32 v3, 0
	v_add_nc_u32_e32 v102, -1, v0
	v_add_nc_u32_e32 v103, 0x2f0, v7
	v_mov_b32_e32 v2, 0
	v_mov_b32_e32 v4, 0
	v_add_nc_u32_e32 v104, 16, v7
	s_mov_b32 s5, 0
	.p2align	6
.LBB110_105:                            ; =>This Inner Loop Header: Depth=1
	s_clause 0x3
	buffer_load_dword v109, v104, s[0:3], 0 offen offset:8
	buffer_load_dword v110, v104, s[0:3], 0 offen offset:12
	buffer_load_dword v111, v104, s[0:3], 0 offen
	buffer_load_dword v112, v104, s[0:3], 0 offen offset:4
	ds_read_b128 v[105:108], v103
	v_add_nc_u32_e32 v102, 1, v102
	v_add_nc_u32_e32 v103, 16, v103
	;; [unrolled: 1-line block ×3, first 2 shown]
	v_cmp_lt_u32_e32 vcc_lo, 21, v102
	s_or_b32 s5, vcc_lo, s5
	s_waitcnt vmcnt(2) lgkmcnt(0)
	v_mul_f64 v[113:114], v[107:108], v[109:110]
	v_mul_f64 v[109:110], v[105:106], v[109:110]
	s_waitcnt vmcnt(0)
	v_fma_f64 v[105:106], v[105:106], v[111:112], -v[113:114]
	v_fma_f64 v[107:108], v[107:108], v[111:112], v[109:110]
	v_add_f64 v[3:4], v[3:4], v[105:106]
	v_add_f64 v[1:2], v[1:2], v[107:108]
	s_andn2_b32 exec_lo, exec_lo, s5
	s_cbranch_execnz .LBB110_105
; %bb.106:
	s_or_b32 exec_lo, exec_lo, s5
	v_mov_b32_e32 v102, 0
	ds_read_b128 v[102:105], v102 offset:368
	s_waitcnt lgkmcnt(0)
	v_mul_f64 v[106:107], v[1:2], v[104:105]
	v_mul_f64 v[104:105], v[3:4], v[104:105]
	v_fma_f64 v[3:4], v[3:4], v[102:103], -v[106:107]
	v_fma_f64 v[1:2], v[1:2], v[102:103], v[104:105]
	buffer_store_dword v4, off, s[0:3], 0 offset:388
	buffer_store_dword v3, off, s[0:3], 0 offset:384
	;; [unrolled: 1-line block ×4, first 2 shown]
.LBB110_107:
	s_or_b32 exec_lo, exec_lo, s4
	v_mov_b32_e32 v4, s35
	s_waitcnt_vscnt null, 0x0
	s_barrier
	buffer_gl0_inv
	s_mov_b32 s4, exec_lo
	s_clause 0x3
	buffer_load_dword v1, v4, s[0:3], 0 offen
	buffer_load_dword v2, v4, s[0:3], 0 offen offset:4
	buffer_load_dword v3, v4, s[0:3], 0 offen offset:8
	;; [unrolled: 1-line block ×3, first 2 shown]
	s_waitcnt vmcnt(0)
	ds_write_b128 v5, v[1:4]
	s_waitcnt lgkmcnt(0)
	s_barrier
	buffer_gl0_inv
	v_cmpx_gt_u32_e32 24, v0
	s_cbranch_execz .LBB110_111
; %bb.108:
	v_mov_b32_e32 v1, 0
	v_mov_b32_e32 v3, 0
	v_add_nc_u32_e32 v102, -1, v0
	v_add_nc_u32_e32 v103, 0x2f0, v7
	v_mov_b32_e32 v2, 0
	v_mov_b32_e32 v4, 0
	v_add_nc_u32_e32 v104, 16, v7
	s_mov_b32 s5, 0
	.p2align	6
.LBB110_109:                            ; =>This Inner Loop Header: Depth=1
	s_clause 0x3
	buffer_load_dword v109, v104, s[0:3], 0 offen offset:8
	buffer_load_dword v110, v104, s[0:3], 0 offen offset:12
	buffer_load_dword v111, v104, s[0:3], 0 offen
	buffer_load_dword v112, v104, s[0:3], 0 offen offset:4
	ds_read_b128 v[105:108], v103
	v_add_nc_u32_e32 v102, 1, v102
	v_add_nc_u32_e32 v103, 16, v103
	;; [unrolled: 1-line block ×3, first 2 shown]
	v_cmp_lt_u32_e32 vcc_lo, 22, v102
	s_or_b32 s5, vcc_lo, s5
	s_waitcnt vmcnt(2) lgkmcnt(0)
	v_mul_f64 v[113:114], v[107:108], v[109:110]
	v_mul_f64 v[109:110], v[105:106], v[109:110]
	s_waitcnt vmcnt(0)
	v_fma_f64 v[105:106], v[105:106], v[111:112], -v[113:114]
	v_fma_f64 v[107:108], v[107:108], v[111:112], v[109:110]
	v_add_f64 v[3:4], v[3:4], v[105:106]
	v_add_f64 v[1:2], v[1:2], v[107:108]
	s_andn2_b32 exec_lo, exec_lo, s5
	s_cbranch_execnz .LBB110_109
; %bb.110:
	s_or_b32 exec_lo, exec_lo, s5
	v_mov_b32_e32 v102, 0
	ds_read_b128 v[102:105], v102 offset:384
	s_waitcnt lgkmcnt(0)
	v_mul_f64 v[106:107], v[1:2], v[104:105]
	v_mul_f64 v[104:105], v[3:4], v[104:105]
	v_fma_f64 v[3:4], v[3:4], v[102:103], -v[106:107]
	v_fma_f64 v[1:2], v[1:2], v[102:103], v[104:105]
	buffer_store_dword v4, off, s[0:3], 0 offset:404
	buffer_store_dword v3, off, s[0:3], 0 offset:400
	;; [unrolled: 1-line block ×4, first 2 shown]
.LBB110_111:
	s_or_b32 exec_lo, exec_lo, s4
	v_mov_b32_e32 v4, s34
	s_waitcnt_vscnt null, 0x0
	s_barrier
	buffer_gl0_inv
	s_mov_b32 s4, exec_lo
	s_clause 0x3
	buffer_load_dword v1, v4, s[0:3], 0 offen
	buffer_load_dword v2, v4, s[0:3], 0 offen offset:4
	buffer_load_dword v3, v4, s[0:3], 0 offen offset:8
	;; [unrolled: 1-line block ×3, first 2 shown]
	s_waitcnt vmcnt(0)
	ds_write_b128 v5, v[1:4]
	s_waitcnt lgkmcnt(0)
	s_barrier
	buffer_gl0_inv
	v_cmpx_gt_u32_e32 25, v0
	s_cbranch_execz .LBB110_115
; %bb.112:
	v_mov_b32_e32 v1, 0
	v_mov_b32_e32 v3, 0
	v_add_nc_u32_e32 v102, -1, v0
	v_add_nc_u32_e32 v103, 0x2f0, v7
	v_mov_b32_e32 v2, 0
	v_mov_b32_e32 v4, 0
	v_add_nc_u32_e32 v104, 16, v7
	s_mov_b32 s5, 0
	.p2align	6
.LBB110_113:                            ; =>This Inner Loop Header: Depth=1
	s_clause 0x3
	buffer_load_dword v109, v104, s[0:3], 0 offen offset:8
	buffer_load_dword v110, v104, s[0:3], 0 offen offset:12
	buffer_load_dword v111, v104, s[0:3], 0 offen
	buffer_load_dword v112, v104, s[0:3], 0 offen offset:4
	ds_read_b128 v[105:108], v103
	v_add_nc_u32_e32 v102, 1, v102
	v_add_nc_u32_e32 v103, 16, v103
	;; [unrolled: 1-line block ×3, first 2 shown]
	v_cmp_lt_u32_e32 vcc_lo, 23, v102
	s_or_b32 s5, vcc_lo, s5
	s_waitcnt vmcnt(2) lgkmcnt(0)
	v_mul_f64 v[113:114], v[107:108], v[109:110]
	v_mul_f64 v[109:110], v[105:106], v[109:110]
	s_waitcnt vmcnt(0)
	v_fma_f64 v[105:106], v[105:106], v[111:112], -v[113:114]
	v_fma_f64 v[107:108], v[107:108], v[111:112], v[109:110]
	v_add_f64 v[3:4], v[3:4], v[105:106]
	v_add_f64 v[1:2], v[1:2], v[107:108]
	s_andn2_b32 exec_lo, exec_lo, s5
	s_cbranch_execnz .LBB110_113
; %bb.114:
	s_or_b32 exec_lo, exec_lo, s5
	v_mov_b32_e32 v102, 0
	ds_read_b128 v[102:105], v102 offset:400
	s_waitcnt lgkmcnt(0)
	v_mul_f64 v[106:107], v[1:2], v[104:105]
	v_mul_f64 v[104:105], v[3:4], v[104:105]
	v_fma_f64 v[3:4], v[3:4], v[102:103], -v[106:107]
	v_fma_f64 v[1:2], v[1:2], v[102:103], v[104:105]
	buffer_store_dword v4, off, s[0:3], 0 offset:420
	buffer_store_dword v3, off, s[0:3], 0 offset:416
	buffer_store_dword v2, off, s[0:3], 0 offset:428
	buffer_store_dword v1, off, s[0:3], 0 offset:424
.LBB110_115:
	s_or_b32 exec_lo, exec_lo, s4
	v_mov_b32_e32 v4, s33
	s_waitcnt_vscnt null, 0x0
	s_barrier
	buffer_gl0_inv
	s_mov_b32 s4, exec_lo
	s_clause 0x3
	buffer_load_dword v1, v4, s[0:3], 0 offen
	buffer_load_dword v2, v4, s[0:3], 0 offen offset:4
	buffer_load_dword v3, v4, s[0:3], 0 offen offset:8
	;; [unrolled: 1-line block ×3, first 2 shown]
	s_waitcnt vmcnt(0)
	ds_write_b128 v5, v[1:4]
	s_waitcnt lgkmcnt(0)
	s_barrier
	buffer_gl0_inv
	v_cmpx_gt_u32_e32 26, v0
	s_cbranch_execz .LBB110_119
; %bb.116:
	v_mov_b32_e32 v1, 0
	v_mov_b32_e32 v3, 0
	v_add_nc_u32_e32 v102, -1, v0
	v_add_nc_u32_e32 v103, 0x2f0, v7
	v_mov_b32_e32 v2, 0
	v_mov_b32_e32 v4, 0
	v_add_nc_u32_e32 v104, 16, v7
	s_mov_b32 s5, 0
	.p2align	6
.LBB110_117:                            ; =>This Inner Loop Header: Depth=1
	s_clause 0x3
	buffer_load_dword v109, v104, s[0:3], 0 offen offset:8
	buffer_load_dword v110, v104, s[0:3], 0 offen offset:12
	buffer_load_dword v111, v104, s[0:3], 0 offen
	buffer_load_dword v112, v104, s[0:3], 0 offen offset:4
	ds_read_b128 v[105:108], v103
	v_add_nc_u32_e32 v102, 1, v102
	v_add_nc_u32_e32 v103, 16, v103
	;; [unrolled: 1-line block ×3, first 2 shown]
	v_cmp_lt_u32_e32 vcc_lo, 24, v102
	s_or_b32 s5, vcc_lo, s5
	s_waitcnt vmcnt(2) lgkmcnt(0)
	v_mul_f64 v[113:114], v[107:108], v[109:110]
	v_mul_f64 v[109:110], v[105:106], v[109:110]
	s_waitcnt vmcnt(0)
	v_fma_f64 v[105:106], v[105:106], v[111:112], -v[113:114]
	v_fma_f64 v[107:108], v[107:108], v[111:112], v[109:110]
	v_add_f64 v[3:4], v[3:4], v[105:106]
	v_add_f64 v[1:2], v[1:2], v[107:108]
	s_andn2_b32 exec_lo, exec_lo, s5
	s_cbranch_execnz .LBB110_117
; %bb.118:
	s_or_b32 exec_lo, exec_lo, s5
	v_mov_b32_e32 v102, 0
	ds_read_b128 v[102:105], v102 offset:416
	s_waitcnt lgkmcnt(0)
	v_mul_f64 v[106:107], v[1:2], v[104:105]
	v_mul_f64 v[104:105], v[3:4], v[104:105]
	v_fma_f64 v[3:4], v[3:4], v[102:103], -v[106:107]
	v_fma_f64 v[1:2], v[1:2], v[102:103], v[104:105]
	buffer_store_dword v4, off, s[0:3], 0 offset:436
	buffer_store_dword v3, off, s[0:3], 0 offset:432
	;; [unrolled: 1-line block ×4, first 2 shown]
.LBB110_119:
	s_or_b32 exec_lo, exec_lo, s4
	v_mov_b32_e32 v4, s31
	s_waitcnt_vscnt null, 0x0
	s_barrier
	buffer_gl0_inv
	s_mov_b32 s4, exec_lo
	s_clause 0x3
	buffer_load_dword v1, v4, s[0:3], 0 offen
	buffer_load_dword v2, v4, s[0:3], 0 offen offset:4
	buffer_load_dword v3, v4, s[0:3], 0 offen offset:8
	;; [unrolled: 1-line block ×3, first 2 shown]
	s_waitcnt vmcnt(0)
	ds_write_b128 v5, v[1:4]
	s_waitcnt lgkmcnt(0)
	s_barrier
	buffer_gl0_inv
	v_cmpx_gt_u32_e32 27, v0
	s_cbranch_execz .LBB110_123
; %bb.120:
	v_mov_b32_e32 v1, 0
	v_mov_b32_e32 v3, 0
	v_add_nc_u32_e32 v102, -1, v0
	v_add_nc_u32_e32 v103, 0x2f0, v7
	v_mov_b32_e32 v2, 0
	v_mov_b32_e32 v4, 0
	v_add_nc_u32_e32 v104, 16, v7
	s_mov_b32 s5, 0
	.p2align	6
.LBB110_121:                            ; =>This Inner Loop Header: Depth=1
	s_clause 0x3
	buffer_load_dword v109, v104, s[0:3], 0 offen offset:8
	buffer_load_dword v110, v104, s[0:3], 0 offen offset:12
	buffer_load_dword v111, v104, s[0:3], 0 offen
	buffer_load_dword v112, v104, s[0:3], 0 offen offset:4
	ds_read_b128 v[105:108], v103
	v_add_nc_u32_e32 v102, 1, v102
	v_add_nc_u32_e32 v103, 16, v103
	;; [unrolled: 1-line block ×3, first 2 shown]
	v_cmp_lt_u32_e32 vcc_lo, 25, v102
	s_or_b32 s5, vcc_lo, s5
	s_waitcnt vmcnt(2) lgkmcnt(0)
	v_mul_f64 v[113:114], v[107:108], v[109:110]
	v_mul_f64 v[109:110], v[105:106], v[109:110]
	s_waitcnt vmcnt(0)
	v_fma_f64 v[105:106], v[105:106], v[111:112], -v[113:114]
	v_fma_f64 v[107:108], v[107:108], v[111:112], v[109:110]
	v_add_f64 v[3:4], v[3:4], v[105:106]
	v_add_f64 v[1:2], v[1:2], v[107:108]
	s_andn2_b32 exec_lo, exec_lo, s5
	s_cbranch_execnz .LBB110_121
; %bb.122:
	s_or_b32 exec_lo, exec_lo, s5
	v_mov_b32_e32 v102, 0
	ds_read_b128 v[102:105], v102 offset:432
	s_waitcnt lgkmcnt(0)
	v_mul_f64 v[106:107], v[1:2], v[104:105]
	v_mul_f64 v[104:105], v[3:4], v[104:105]
	v_fma_f64 v[3:4], v[3:4], v[102:103], -v[106:107]
	v_fma_f64 v[1:2], v[1:2], v[102:103], v[104:105]
	buffer_store_dword v4, off, s[0:3], 0 offset:452
	buffer_store_dword v3, off, s[0:3], 0 offset:448
	;; [unrolled: 1-line block ×4, first 2 shown]
.LBB110_123:
	s_or_b32 exec_lo, exec_lo, s4
	v_mov_b32_e32 v4, s30
	s_waitcnt_vscnt null, 0x0
	s_barrier
	buffer_gl0_inv
	s_mov_b32 s4, exec_lo
	s_clause 0x3
	buffer_load_dword v1, v4, s[0:3], 0 offen
	buffer_load_dword v2, v4, s[0:3], 0 offen offset:4
	buffer_load_dword v3, v4, s[0:3], 0 offen offset:8
	;; [unrolled: 1-line block ×3, first 2 shown]
	s_waitcnt vmcnt(0)
	ds_write_b128 v5, v[1:4]
	s_waitcnt lgkmcnt(0)
	s_barrier
	buffer_gl0_inv
	v_cmpx_gt_u32_e32 28, v0
	s_cbranch_execz .LBB110_127
; %bb.124:
	v_mov_b32_e32 v1, 0
	v_mov_b32_e32 v3, 0
	v_add_nc_u32_e32 v102, -1, v0
	v_add_nc_u32_e32 v103, 0x2f0, v7
	v_mov_b32_e32 v2, 0
	v_mov_b32_e32 v4, 0
	v_add_nc_u32_e32 v104, 16, v7
	s_mov_b32 s5, 0
	.p2align	6
.LBB110_125:                            ; =>This Inner Loop Header: Depth=1
	s_clause 0x3
	buffer_load_dword v109, v104, s[0:3], 0 offen offset:8
	buffer_load_dword v110, v104, s[0:3], 0 offen offset:12
	buffer_load_dword v111, v104, s[0:3], 0 offen
	buffer_load_dword v112, v104, s[0:3], 0 offen offset:4
	ds_read_b128 v[105:108], v103
	v_add_nc_u32_e32 v102, 1, v102
	v_add_nc_u32_e32 v103, 16, v103
	;; [unrolled: 1-line block ×3, first 2 shown]
	v_cmp_lt_u32_e32 vcc_lo, 26, v102
	s_or_b32 s5, vcc_lo, s5
	s_waitcnt vmcnt(2) lgkmcnt(0)
	v_mul_f64 v[113:114], v[107:108], v[109:110]
	v_mul_f64 v[109:110], v[105:106], v[109:110]
	s_waitcnt vmcnt(0)
	v_fma_f64 v[105:106], v[105:106], v[111:112], -v[113:114]
	v_fma_f64 v[107:108], v[107:108], v[111:112], v[109:110]
	v_add_f64 v[3:4], v[3:4], v[105:106]
	v_add_f64 v[1:2], v[1:2], v[107:108]
	s_andn2_b32 exec_lo, exec_lo, s5
	s_cbranch_execnz .LBB110_125
; %bb.126:
	s_or_b32 exec_lo, exec_lo, s5
	v_mov_b32_e32 v102, 0
	ds_read_b128 v[102:105], v102 offset:448
	s_waitcnt lgkmcnt(0)
	v_mul_f64 v[106:107], v[1:2], v[104:105]
	v_mul_f64 v[104:105], v[3:4], v[104:105]
	v_fma_f64 v[3:4], v[3:4], v[102:103], -v[106:107]
	v_fma_f64 v[1:2], v[1:2], v[102:103], v[104:105]
	buffer_store_dword v4, off, s[0:3], 0 offset:468
	buffer_store_dword v3, off, s[0:3], 0 offset:464
	;; [unrolled: 1-line block ×4, first 2 shown]
.LBB110_127:
	s_or_b32 exec_lo, exec_lo, s4
	v_mov_b32_e32 v4, s29
	s_waitcnt_vscnt null, 0x0
	s_barrier
	buffer_gl0_inv
	s_mov_b32 s4, exec_lo
	s_clause 0x3
	buffer_load_dword v1, v4, s[0:3], 0 offen
	buffer_load_dword v2, v4, s[0:3], 0 offen offset:4
	buffer_load_dword v3, v4, s[0:3], 0 offen offset:8
	;; [unrolled: 1-line block ×3, first 2 shown]
	s_waitcnt vmcnt(0)
	ds_write_b128 v5, v[1:4]
	s_waitcnt lgkmcnt(0)
	s_barrier
	buffer_gl0_inv
	v_cmpx_gt_u32_e32 29, v0
	s_cbranch_execz .LBB110_131
; %bb.128:
	v_mov_b32_e32 v1, 0
	v_mov_b32_e32 v3, 0
	v_add_nc_u32_e32 v102, -1, v0
	v_add_nc_u32_e32 v103, 0x2f0, v7
	v_mov_b32_e32 v2, 0
	v_mov_b32_e32 v4, 0
	v_add_nc_u32_e32 v104, 16, v7
	s_mov_b32 s5, 0
	.p2align	6
.LBB110_129:                            ; =>This Inner Loop Header: Depth=1
	s_clause 0x3
	buffer_load_dword v109, v104, s[0:3], 0 offen offset:8
	buffer_load_dword v110, v104, s[0:3], 0 offen offset:12
	buffer_load_dword v111, v104, s[0:3], 0 offen
	buffer_load_dword v112, v104, s[0:3], 0 offen offset:4
	ds_read_b128 v[105:108], v103
	v_add_nc_u32_e32 v102, 1, v102
	v_add_nc_u32_e32 v103, 16, v103
	;; [unrolled: 1-line block ×3, first 2 shown]
	v_cmp_lt_u32_e32 vcc_lo, 27, v102
	s_or_b32 s5, vcc_lo, s5
	s_waitcnt vmcnt(2) lgkmcnt(0)
	v_mul_f64 v[113:114], v[107:108], v[109:110]
	v_mul_f64 v[109:110], v[105:106], v[109:110]
	s_waitcnt vmcnt(0)
	v_fma_f64 v[105:106], v[105:106], v[111:112], -v[113:114]
	v_fma_f64 v[107:108], v[107:108], v[111:112], v[109:110]
	v_add_f64 v[3:4], v[3:4], v[105:106]
	v_add_f64 v[1:2], v[1:2], v[107:108]
	s_andn2_b32 exec_lo, exec_lo, s5
	s_cbranch_execnz .LBB110_129
; %bb.130:
	s_or_b32 exec_lo, exec_lo, s5
	v_mov_b32_e32 v102, 0
	ds_read_b128 v[102:105], v102 offset:464
	s_waitcnt lgkmcnt(0)
	v_mul_f64 v[106:107], v[1:2], v[104:105]
	v_mul_f64 v[104:105], v[3:4], v[104:105]
	v_fma_f64 v[3:4], v[3:4], v[102:103], -v[106:107]
	v_fma_f64 v[1:2], v[1:2], v[102:103], v[104:105]
	buffer_store_dword v4, off, s[0:3], 0 offset:484
	buffer_store_dword v3, off, s[0:3], 0 offset:480
	;; [unrolled: 1-line block ×4, first 2 shown]
.LBB110_131:
	s_or_b32 exec_lo, exec_lo, s4
	v_mov_b32_e32 v4, s28
	s_waitcnt_vscnt null, 0x0
	s_barrier
	buffer_gl0_inv
	s_mov_b32 s4, exec_lo
	s_clause 0x3
	buffer_load_dword v1, v4, s[0:3], 0 offen
	buffer_load_dword v2, v4, s[0:3], 0 offen offset:4
	buffer_load_dword v3, v4, s[0:3], 0 offen offset:8
	;; [unrolled: 1-line block ×3, first 2 shown]
	s_waitcnt vmcnt(0)
	ds_write_b128 v5, v[1:4]
	s_waitcnt lgkmcnt(0)
	s_barrier
	buffer_gl0_inv
	v_cmpx_gt_u32_e32 30, v0
	s_cbranch_execz .LBB110_135
; %bb.132:
	v_mov_b32_e32 v1, 0
	v_mov_b32_e32 v3, 0
	v_add_nc_u32_e32 v102, -1, v0
	v_add_nc_u32_e32 v103, 0x2f0, v7
	v_mov_b32_e32 v2, 0
	v_mov_b32_e32 v4, 0
	v_add_nc_u32_e32 v104, 16, v7
	s_mov_b32 s5, 0
	.p2align	6
.LBB110_133:                            ; =>This Inner Loop Header: Depth=1
	s_clause 0x3
	buffer_load_dword v109, v104, s[0:3], 0 offen offset:8
	buffer_load_dword v110, v104, s[0:3], 0 offen offset:12
	buffer_load_dword v111, v104, s[0:3], 0 offen
	buffer_load_dword v112, v104, s[0:3], 0 offen offset:4
	ds_read_b128 v[105:108], v103
	v_add_nc_u32_e32 v102, 1, v102
	v_add_nc_u32_e32 v103, 16, v103
	;; [unrolled: 1-line block ×3, first 2 shown]
	v_cmp_lt_u32_e32 vcc_lo, 28, v102
	s_or_b32 s5, vcc_lo, s5
	s_waitcnt vmcnt(2) lgkmcnt(0)
	v_mul_f64 v[113:114], v[107:108], v[109:110]
	v_mul_f64 v[109:110], v[105:106], v[109:110]
	s_waitcnt vmcnt(0)
	v_fma_f64 v[105:106], v[105:106], v[111:112], -v[113:114]
	v_fma_f64 v[107:108], v[107:108], v[111:112], v[109:110]
	v_add_f64 v[3:4], v[3:4], v[105:106]
	v_add_f64 v[1:2], v[1:2], v[107:108]
	s_andn2_b32 exec_lo, exec_lo, s5
	s_cbranch_execnz .LBB110_133
; %bb.134:
	s_or_b32 exec_lo, exec_lo, s5
	v_mov_b32_e32 v102, 0
	ds_read_b128 v[102:105], v102 offset:480
	s_waitcnt lgkmcnt(0)
	v_mul_f64 v[106:107], v[1:2], v[104:105]
	v_mul_f64 v[104:105], v[3:4], v[104:105]
	v_fma_f64 v[3:4], v[3:4], v[102:103], -v[106:107]
	v_fma_f64 v[1:2], v[1:2], v[102:103], v[104:105]
	buffer_store_dword v4, off, s[0:3], 0 offset:500
	buffer_store_dword v3, off, s[0:3], 0 offset:496
	;; [unrolled: 1-line block ×4, first 2 shown]
.LBB110_135:
	s_or_b32 exec_lo, exec_lo, s4
	v_mov_b32_e32 v4, s27
	s_waitcnt_vscnt null, 0x0
	s_barrier
	buffer_gl0_inv
	s_mov_b32 s4, exec_lo
	s_clause 0x3
	buffer_load_dword v1, v4, s[0:3], 0 offen
	buffer_load_dword v2, v4, s[0:3], 0 offen offset:4
	buffer_load_dword v3, v4, s[0:3], 0 offen offset:8
	;; [unrolled: 1-line block ×3, first 2 shown]
	s_waitcnt vmcnt(0)
	ds_write_b128 v5, v[1:4]
	s_waitcnt lgkmcnt(0)
	s_barrier
	buffer_gl0_inv
	v_cmpx_gt_u32_e32 31, v0
	s_cbranch_execz .LBB110_139
; %bb.136:
	v_mov_b32_e32 v1, 0
	v_mov_b32_e32 v3, 0
	v_add_nc_u32_e32 v102, -1, v0
	v_add_nc_u32_e32 v103, 0x2f0, v7
	v_mov_b32_e32 v2, 0
	v_mov_b32_e32 v4, 0
	v_add_nc_u32_e32 v104, 16, v7
	s_mov_b32 s5, 0
	.p2align	6
.LBB110_137:                            ; =>This Inner Loop Header: Depth=1
	s_clause 0x3
	buffer_load_dword v109, v104, s[0:3], 0 offen offset:8
	buffer_load_dword v110, v104, s[0:3], 0 offen offset:12
	buffer_load_dword v111, v104, s[0:3], 0 offen
	buffer_load_dword v112, v104, s[0:3], 0 offen offset:4
	ds_read_b128 v[105:108], v103
	v_add_nc_u32_e32 v102, 1, v102
	v_add_nc_u32_e32 v103, 16, v103
	;; [unrolled: 1-line block ×3, first 2 shown]
	v_cmp_lt_u32_e32 vcc_lo, 29, v102
	s_or_b32 s5, vcc_lo, s5
	s_waitcnt vmcnt(2) lgkmcnt(0)
	v_mul_f64 v[113:114], v[107:108], v[109:110]
	v_mul_f64 v[109:110], v[105:106], v[109:110]
	s_waitcnt vmcnt(0)
	v_fma_f64 v[105:106], v[105:106], v[111:112], -v[113:114]
	v_fma_f64 v[107:108], v[107:108], v[111:112], v[109:110]
	v_add_f64 v[3:4], v[3:4], v[105:106]
	v_add_f64 v[1:2], v[1:2], v[107:108]
	s_andn2_b32 exec_lo, exec_lo, s5
	s_cbranch_execnz .LBB110_137
; %bb.138:
	s_or_b32 exec_lo, exec_lo, s5
	v_mov_b32_e32 v102, 0
	ds_read_b128 v[102:105], v102 offset:496
	s_waitcnt lgkmcnt(0)
	v_mul_f64 v[106:107], v[1:2], v[104:105]
	v_mul_f64 v[104:105], v[3:4], v[104:105]
	v_fma_f64 v[3:4], v[3:4], v[102:103], -v[106:107]
	v_fma_f64 v[1:2], v[1:2], v[102:103], v[104:105]
	buffer_store_dword v4, off, s[0:3], 0 offset:516
	buffer_store_dword v3, off, s[0:3], 0 offset:512
	;; [unrolled: 1-line block ×4, first 2 shown]
.LBB110_139:
	s_or_b32 exec_lo, exec_lo, s4
	v_mov_b32_e32 v4, s26
	s_waitcnt_vscnt null, 0x0
	s_barrier
	buffer_gl0_inv
	s_mov_b32 s4, exec_lo
	s_clause 0x3
	buffer_load_dword v1, v4, s[0:3], 0 offen
	buffer_load_dword v2, v4, s[0:3], 0 offen offset:4
	buffer_load_dword v3, v4, s[0:3], 0 offen offset:8
	;; [unrolled: 1-line block ×3, first 2 shown]
	s_waitcnt vmcnt(0)
	ds_write_b128 v5, v[1:4]
	s_waitcnt lgkmcnt(0)
	s_barrier
	buffer_gl0_inv
	v_cmpx_gt_u32_e32 32, v0
	s_cbranch_execz .LBB110_143
; %bb.140:
	v_mov_b32_e32 v1, 0
	v_mov_b32_e32 v3, 0
	v_add_nc_u32_e32 v102, -1, v0
	v_add_nc_u32_e32 v103, 0x2f0, v7
	v_mov_b32_e32 v2, 0
	v_mov_b32_e32 v4, 0
	v_add_nc_u32_e32 v104, 16, v7
	s_mov_b32 s5, 0
	.p2align	6
.LBB110_141:                            ; =>This Inner Loop Header: Depth=1
	s_clause 0x3
	buffer_load_dword v109, v104, s[0:3], 0 offen offset:8
	buffer_load_dword v110, v104, s[0:3], 0 offen offset:12
	buffer_load_dword v111, v104, s[0:3], 0 offen
	buffer_load_dword v112, v104, s[0:3], 0 offen offset:4
	ds_read_b128 v[105:108], v103
	v_add_nc_u32_e32 v102, 1, v102
	v_add_nc_u32_e32 v103, 16, v103
	;; [unrolled: 1-line block ×3, first 2 shown]
	v_cmp_lt_u32_e32 vcc_lo, 30, v102
	s_or_b32 s5, vcc_lo, s5
	s_waitcnt vmcnt(2) lgkmcnt(0)
	v_mul_f64 v[113:114], v[107:108], v[109:110]
	v_mul_f64 v[109:110], v[105:106], v[109:110]
	s_waitcnt vmcnt(0)
	v_fma_f64 v[105:106], v[105:106], v[111:112], -v[113:114]
	v_fma_f64 v[107:108], v[107:108], v[111:112], v[109:110]
	v_add_f64 v[3:4], v[3:4], v[105:106]
	v_add_f64 v[1:2], v[1:2], v[107:108]
	s_andn2_b32 exec_lo, exec_lo, s5
	s_cbranch_execnz .LBB110_141
; %bb.142:
	s_or_b32 exec_lo, exec_lo, s5
	v_mov_b32_e32 v102, 0
	ds_read_b128 v[102:105], v102 offset:512
	s_waitcnt lgkmcnt(0)
	v_mul_f64 v[106:107], v[1:2], v[104:105]
	v_mul_f64 v[104:105], v[3:4], v[104:105]
	v_fma_f64 v[3:4], v[3:4], v[102:103], -v[106:107]
	v_fma_f64 v[1:2], v[1:2], v[102:103], v[104:105]
	buffer_store_dword v4, off, s[0:3], 0 offset:532
	buffer_store_dword v3, off, s[0:3], 0 offset:528
	;; [unrolled: 1-line block ×4, first 2 shown]
.LBB110_143:
	s_or_b32 exec_lo, exec_lo, s4
	v_mov_b32_e32 v4, s25
	s_waitcnt_vscnt null, 0x0
	s_barrier
	buffer_gl0_inv
	s_mov_b32 s4, exec_lo
	s_clause 0x3
	buffer_load_dword v1, v4, s[0:3], 0 offen
	buffer_load_dword v2, v4, s[0:3], 0 offen offset:4
	buffer_load_dword v3, v4, s[0:3], 0 offen offset:8
	;; [unrolled: 1-line block ×3, first 2 shown]
	s_waitcnt vmcnt(0)
	ds_write_b128 v5, v[1:4]
	s_waitcnt lgkmcnt(0)
	s_barrier
	buffer_gl0_inv
	v_cmpx_gt_u32_e32 33, v0
	s_cbranch_execz .LBB110_147
; %bb.144:
	v_mov_b32_e32 v1, 0
	v_mov_b32_e32 v3, 0
	v_add_nc_u32_e32 v102, -1, v0
	v_add_nc_u32_e32 v103, 0x2f0, v7
	v_mov_b32_e32 v2, 0
	v_mov_b32_e32 v4, 0
	v_add_nc_u32_e32 v104, 16, v7
	s_mov_b32 s5, 0
	.p2align	6
.LBB110_145:                            ; =>This Inner Loop Header: Depth=1
	s_clause 0x3
	buffer_load_dword v109, v104, s[0:3], 0 offen offset:8
	buffer_load_dword v110, v104, s[0:3], 0 offen offset:12
	buffer_load_dword v111, v104, s[0:3], 0 offen
	buffer_load_dword v112, v104, s[0:3], 0 offen offset:4
	ds_read_b128 v[105:108], v103
	v_add_nc_u32_e32 v102, 1, v102
	v_add_nc_u32_e32 v103, 16, v103
	;; [unrolled: 1-line block ×3, first 2 shown]
	v_cmp_lt_u32_e32 vcc_lo, 31, v102
	s_or_b32 s5, vcc_lo, s5
	s_waitcnt vmcnt(2) lgkmcnt(0)
	v_mul_f64 v[113:114], v[107:108], v[109:110]
	v_mul_f64 v[109:110], v[105:106], v[109:110]
	s_waitcnt vmcnt(0)
	v_fma_f64 v[105:106], v[105:106], v[111:112], -v[113:114]
	v_fma_f64 v[107:108], v[107:108], v[111:112], v[109:110]
	v_add_f64 v[3:4], v[3:4], v[105:106]
	v_add_f64 v[1:2], v[1:2], v[107:108]
	s_andn2_b32 exec_lo, exec_lo, s5
	s_cbranch_execnz .LBB110_145
; %bb.146:
	s_or_b32 exec_lo, exec_lo, s5
	v_mov_b32_e32 v102, 0
	ds_read_b128 v[102:105], v102 offset:528
	s_waitcnt lgkmcnt(0)
	v_mul_f64 v[106:107], v[1:2], v[104:105]
	v_mul_f64 v[104:105], v[3:4], v[104:105]
	v_fma_f64 v[3:4], v[3:4], v[102:103], -v[106:107]
	v_fma_f64 v[1:2], v[1:2], v[102:103], v[104:105]
	buffer_store_dword v4, off, s[0:3], 0 offset:548
	buffer_store_dword v3, off, s[0:3], 0 offset:544
	;; [unrolled: 1-line block ×4, first 2 shown]
.LBB110_147:
	s_or_b32 exec_lo, exec_lo, s4
	v_mov_b32_e32 v4, s24
	s_waitcnt_vscnt null, 0x0
	s_barrier
	buffer_gl0_inv
	s_mov_b32 s4, exec_lo
	s_clause 0x3
	buffer_load_dword v1, v4, s[0:3], 0 offen
	buffer_load_dword v2, v4, s[0:3], 0 offen offset:4
	buffer_load_dword v3, v4, s[0:3], 0 offen offset:8
	;; [unrolled: 1-line block ×3, first 2 shown]
	s_waitcnt vmcnt(0)
	ds_write_b128 v5, v[1:4]
	s_waitcnt lgkmcnt(0)
	s_barrier
	buffer_gl0_inv
	v_cmpx_gt_u32_e32 34, v0
	s_cbranch_execz .LBB110_151
; %bb.148:
	v_mov_b32_e32 v1, 0
	v_mov_b32_e32 v3, 0
	v_add_nc_u32_e32 v102, -1, v0
	v_add_nc_u32_e32 v103, 0x2f0, v7
	v_mov_b32_e32 v2, 0
	v_mov_b32_e32 v4, 0
	v_add_nc_u32_e32 v104, 16, v7
	s_mov_b32 s5, 0
	.p2align	6
.LBB110_149:                            ; =>This Inner Loop Header: Depth=1
	s_clause 0x3
	buffer_load_dword v109, v104, s[0:3], 0 offen offset:8
	buffer_load_dword v110, v104, s[0:3], 0 offen offset:12
	buffer_load_dword v111, v104, s[0:3], 0 offen
	buffer_load_dword v112, v104, s[0:3], 0 offen offset:4
	ds_read_b128 v[105:108], v103
	v_add_nc_u32_e32 v102, 1, v102
	v_add_nc_u32_e32 v103, 16, v103
	;; [unrolled: 1-line block ×3, first 2 shown]
	v_cmp_lt_u32_e32 vcc_lo, 32, v102
	s_or_b32 s5, vcc_lo, s5
	s_waitcnt vmcnt(2) lgkmcnt(0)
	v_mul_f64 v[113:114], v[107:108], v[109:110]
	v_mul_f64 v[109:110], v[105:106], v[109:110]
	s_waitcnt vmcnt(0)
	v_fma_f64 v[105:106], v[105:106], v[111:112], -v[113:114]
	v_fma_f64 v[107:108], v[107:108], v[111:112], v[109:110]
	v_add_f64 v[3:4], v[3:4], v[105:106]
	v_add_f64 v[1:2], v[1:2], v[107:108]
	s_andn2_b32 exec_lo, exec_lo, s5
	s_cbranch_execnz .LBB110_149
; %bb.150:
	s_or_b32 exec_lo, exec_lo, s5
	v_mov_b32_e32 v102, 0
	ds_read_b128 v[102:105], v102 offset:544
	s_waitcnt lgkmcnt(0)
	v_mul_f64 v[106:107], v[1:2], v[104:105]
	v_mul_f64 v[104:105], v[3:4], v[104:105]
	v_fma_f64 v[3:4], v[3:4], v[102:103], -v[106:107]
	v_fma_f64 v[1:2], v[1:2], v[102:103], v[104:105]
	buffer_store_dword v4, off, s[0:3], 0 offset:564
	buffer_store_dword v3, off, s[0:3], 0 offset:560
	;; [unrolled: 1-line block ×4, first 2 shown]
.LBB110_151:
	s_or_b32 exec_lo, exec_lo, s4
	v_mov_b32_e32 v4, s23
	s_waitcnt_vscnt null, 0x0
	s_barrier
	buffer_gl0_inv
	s_mov_b32 s4, exec_lo
	s_clause 0x3
	buffer_load_dword v1, v4, s[0:3], 0 offen
	buffer_load_dword v2, v4, s[0:3], 0 offen offset:4
	buffer_load_dword v3, v4, s[0:3], 0 offen offset:8
	buffer_load_dword v4, v4, s[0:3], 0 offen offset:12
	s_waitcnt vmcnt(0)
	ds_write_b128 v5, v[1:4]
	s_waitcnt lgkmcnt(0)
	s_barrier
	buffer_gl0_inv
	v_cmpx_gt_u32_e32 35, v0
	s_cbranch_execz .LBB110_155
; %bb.152:
	v_mov_b32_e32 v1, 0
	v_mov_b32_e32 v3, 0
	v_add_nc_u32_e32 v102, -1, v0
	v_add_nc_u32_e32 v103, 0x2f0, v7
	v_mov_b32_e32 v2, 0
	v_mov_b32_e32 v4, 0
	v_add_nc_u32_e32 v104, 16, v7
	s_mov_b32 s5, 0
	.p2align	6
.LBB110_153:                            ; =>This Inner Loop Header: Depth=1
	s_clause 0x3
	buffer_load_dword v109, v104, s[0:3], 0 offen offset:8
	buffer_load_dword v110, v104, s[0:3], 0 offen offset:12
	buffer_load_dword v111, v104, s[0:3], 0 offen
	buffer_load_dword v112, v104, s[0:3], 0 offen offset:4
	ds_read_b128 v[105:108], v103
	v_add_nc_u32_e32 v102, 1, v102
	v_add_nc_u32_e32 v103, 16, v103
	;; [unrolled: 1-line block ×3, first 2 shown]
	v_cmp_lt_u32_e32 vcc_lo, 33, v102
	s_or_b32 s5, vcc_lo, s5
	s_waitcnt vmcnt(2) lgkmcnt(0)
	v_mul_f64 v[113:114], v[107:108], v[109:110]
	v_mul_f64 v[109:110], v[105:106], v[109:110]
	s_waitcnt vmcnt(0)
	v_fma_f64 v[105:106], v[105:106], v[111:112], -v[113:114]
	v_fma_f64 v[107:108], v[107:108], v[111:112], v[109:110]
	v_add_f64 v[3:4], v[3:4], v[105:106]
	v_add_f64 v[1:2], v[1:2], v[107:108]
	s_andn2_b32 exec_lo, exec_lo, s5
	s_cbranch_execnz .LBB110_153
; %bb.154:
	s_or_b32 exec_lo, exec_lo, s5
	v_mov_b32_e32 v102, 0
	ds_read_b128 v[102:105], v102 offset:560
	s_waitcnt lgkmcnt(0)
	v_mul_f64 v[106:107], v[1:2], v[104:105]
	v_mul_f64 v[104:105], v[3:4], v[104:105]
	v_fma_f64 v[3:4], v[3:4], v[102:103], -v[106:107]
	v_fma_f64 v[1:2], v[1:2], v[102:103], v[104:105]
	buffer_store_dword v4, off, s[0:3], 0 offset:580
	buffer_store_dword v3, off, s[0:3], 0 offset:576
	;; [unrolled: 1-line block ×4, first 2 shown]
.LBB110_155:
	s_or_b32 exec_lo, exec_lo, s4
	v_mov_b32_e32 v4, s22
	s_waitcnt_vscnt null, 0x0
	s_barrier
	buffer_gl0_inv
	s_mov_b32 s4, exec_lo
	s_clause 0x3
	buffer_load_dword v1, v4, s[0:3], 0 offen
	buffer_load_dword v2, v4, s[0:3], 0 offen offset:4
	buffer_load_dword v3, v4, s[0:3], 0 offen offset:8
	;; [unrolled: 1-line block ×3, first 2 shown]
	s_waitcnt vmcnt(0)
	ds_write_b128 v5, v[1:4]
	s_waitcnt lgkmcnt(0)
	s_barrier
	buffer_gl0_inv
	v_cmpx_gt_u32_e32 36, v0
	s_cbranch_execz .LBB110_159
; %bb.156:
	v_mov_b32_e32 v1, 0
	v_mov_b32_e32 v3, 0
	v_add_nc_u32_e32 v102, -1, v0
	v_add_nc_u32_e32 v103, 0x2f0, v7
	v_mov_b32_e32 v2, 0
	v_mov_b32_e32 v4, 0
	v_add_nc_u32_e32 v104, 16, v7
	s_mov_b32 s5, 0
	.p2align	6
.LBB110_157:                            ; =>This Inner Loop Header: Depth=1
	s_clause 0x3
	buffer_load_dword v109, v104, s[0:3], 0 offen offset:8
	buffer_load_dword v110, v104, s[0:3], 0 offen offset:12
	buffer_load_dword v111, v104, s[0:3], 0 offen
	buffer_load_dword v112, v104, s[0:3], 0 offen offset:4
	ds_read_b128 v[105:108], v103
	v_add_nc_u32_e32 v102, 1, v102
	v_add_nc_u32_e32 v103, 16, v103
	;; [unrolled: 1-line block ×3, first 2 shown]
	v_cmp_lt_u32_e32 vcc_lo, 34, v102
	s_or_b32 s5, vcc_lo, s5
	s_waitcnt vmcnt(2) lgkmcnt(0)
	v_mul_f64 v[113:114], v[107:108], v[109:110]
	v_mul_f64 v[109:110], v[105:106], v[109:110]
	s_waitcnt vmcnt(0)
	v_fma_f64 v[105:106], v[105:106], v[111:112], -v[113:114]
	v_fma_f64 v[107:108], v[107:108], v[111:112], v[109:110]
	v_add_f64 v[3:4], v[3:4], v[105:106]
	v_add_f64 v[1:2], v[1:2], v[107:108]
	s_andn2_b32 exec_lo, exec_lo, s5
	s_cbranch_execnz .LBB110_157
; %bb.158:
	s_or_b32 exec_lo, exec_lo, s5
	v_mov_b32_e32 v102, 0
	ds_read_b128 v[102:105], v102 offset:576
	s_waitcnt lgkmcnt(0)
	v_mul_f64 v[106:107], v[1:2], v[104:105]
	v_mul_f64 v[104:105], v[3:4], v[104:105]
	v_fma_f64 v[3:4], v[3:4], v[102:103], -v[106:107]
	v_fma_f64 v[1:2], v[1:2], v[102:103], v[104:105]
	buffer_store_dword v4, off, s[0:3], 0 offset:596
	buffer_store_dword v3, off, s[0:3], 0 offset:592
	;; [unrolled: 1-line block ×4, first 2 shown]
.LBB110_159:
	s_or_b32 exec_lo, exec_lo, s4
	v_mov_b32_e32 v4, s21
	s_waitcnt_vscnt null, 0x0
	s_barrier
	buffer_gl0_inv
	s_mov_b32 s4, exec_lo
	s_clause 0x3
	buffer_load_dword v1, v4, s[0:3], 0 offen
	buffer_load_dword v2, v4, s[0:3], 0 offen offset:4
	buffer_load_dword v3, v4, s[0:3], 0 offen offset:8
	;; [unrolled: 1-line block ×3, first 2 shown]
	s_waitcnt vmcnt(0)
	ds_write_b128 v5, v[1:4]
	s_waitcnt lgkmcnt(0)
	s_barrier
	buffer_gl0_inv
	v_cmpx_gt_u32_e32 37, v0
	s_cbranch_execz .LBB110_163
; %bb.160:
	v_mov_b32_e32 v1, 0
	v_mov_b32_e32 v3, 0
	v_add_nc_u32_e32 v102, -1, v0
	v_add_nc_u32_e32 v103, 0x2f0, v7
	v_mov_b32_e32 v2, 0
	v_mov_b32_e32 v4, 0
	v_add_nc_u32_e32 v104, 16, v7
	s_mov_b32 s5, 0
	.p2align	6
.LBB110_161:                            ; =>This Inner Loop Header: Depth=1
	s_clause 0x3
	buffer_load_dword v109, v104, s[0:3], 0 offen offset:8
	buffer_load_dword v110, v104, s[0:3], 0 offen offset:12
	buffer_load_dword v111, v104, s[0:3], 0 offen
	buffer_load_dword v112, v104, s[0:3], 0 offen offset:4
	ds_read_b128 v[105:108], v103
	v_add_nc_u32_e32 v102, 1, v102
	v_add_nc_u32_e32 v103, 16, v103
	;; [unrolled: 1-line block ×3, first 2 shown]
	v_cmp_lt_u32_e32 vcc_lo, 35, v102
	s_or_b32 s5, vcc_lo, s5
	s_waitcnt vmcnt(2) lgkmcnt(0)
	v_mul_f64 v[113:114], v[107:108], v[109:110]
	v_mul_f64 v[109:110], v[105:106], v[109:110]
	s_waitcnt vmcnt(0)
	v_fma_f64 v[105:106], v[105:106], v[111:112], -v[113:114]
	v_fma_f64 v[107:108], v[107:108], v[111:112], v[109:110]
	v_add_f64 v[3:4], v[3:4], v[105:106]
	v_add_f64 v[1:2], v[1:2], v[107:108]
	s_andn2_b32 exec_lo, exec_lo, s5
	s_cbranch_execnz .LBB110_161
; %bb.162:
	s_or_b32 exec_lo, exec_lo, s5
	v_mov_b32_e32 v102, 0
	ds_read_b128 v[102:105], v102 offset:592
	s_waitcnt lgkmcnt(0)
	v_mul_f64 v[106:107], v[1:2], v[104:105]
	v_mul_f64 v[104:105], v[3:4], v[104:105]
	v_fma_f64 v[3:4], v[3:4], v[102:103], -v[106:107]
	v_fma_f64 v[1:2], v[1:2], v[102:103], v[104:105]
	buffer_store_dword v4, off, s[0:3], 0 offset:612
	buffer_store_dword v3, off, s[0:3], 0 offset:608
	;; [unrolled: 1-line block ×4, first 2 shown]
.LBB110_163:
	s_or_b32 exec_lo, exec_lo, s4
	v_mov_b32_e32 v4, s20
	s_waitcnt_vscnt null, 0x0
	s_barrier
	buffer_gl0_inv
	s_mov_b32 s4, exec_lo
	s_clause 0x3
	buffer_load_dword v1, v4, s[0:3], 0 offen
	buffer_load_dword v2, v4, s[0:3], 0 offen offset:4
	buffer_load_dword v3, v4, s[0:3], 0 offen offset:8
	;; [unrolled: 1-line block ×3, first 2 shown]
	s_waitcnt vmcnt(0)
	ds_write_b128 v5, v[1:4]
	s_waitcnt lgkmcnt(0)
	s_barrier
	buffer_gl0_inv
	v_cmpx_gt_u32_e32 38, v0
	s_cbranch_execz .LBB110_167
; %bb.164:
	v_mov_b32_e32 v1, 0
	v_mov_b32_e32 v3, 0
	v_add_nc_u32_e32 v102, -1, v0
	v_add_nc_u32_e32 v103, 0x2f0, v7
	v_mov_b32_e32 v2, 0
	v_mov_b32_e32 v4, 0
	v_add_nc_u32_e32 v104, 16, v7
	s_mov_b32 s5, 0
	.p2align	6
.LBB110_165:                            ; =>This Inner Loop Header: Depth=1
	s_clause 0x3
	buffer_load_dword v109, v104, s[0:3], 0 offen offset:8
	buffer_load_dword v110, v104, s[0:3], 0 offen offset:12
	buffer_load_dword v111, v104, s[0:3], 0 offen
	buffer_load_dword v112, v104, s[0:3], 0 offen offset:4
	ds_read_b128 v[105:108], v103
	v_add_nc_u32_e32 v102, 1, v102
	v_add_nc_u32_e32 v103, 16, v103
	;; [unrolled: 1-line block ×3, first 2 shown]
	v_cmp_lt_u32_e32 vcc_lo, 36, v102
	s_or_b32 s5, vcc_lo, s5
	s_waitcnt vmcnt(2) lgkmcnt(0)
	v_mul_f64 v[113:114], v[107:108], v[109:110]
	v_mul_f64 v[109:110], v[105:106], v[109:110]
	s_waitcnt vmcnt(0)
	v_fma_f64 v[105:106], v[105:106], v[111:112], -v[113:114]
	v_fma_f64 v[107:108], v[107:108], v[111:112], v[109:110]
	v_add_f64 v[3:4], v[3:4], v[105:106]
	v_add_f64 v[1:2], v[1:2], v[107:108]
	s_andn2_b32 exec_lo, exec_lo, s5
	s_cbranch_execnz .LBB110_165
; %bb.166:
	s_or_b32 exec_lo, exec_lo, s5
	v_mov_b32_e32 v102, 0
	ds_read_b128 v[102:105], v102 offset:608
	s_waitcnt lgkmcnt(0)
	v_mul_f64 v[106:107], v[1:2], v[104:105]
	v_mul_f64 v[104:105], v[3:4], v[104:105]
	v_fma_f64 v[3:4], v[3:4], v[102:103], -v[106:107]
	v_fma_f64 v[1:2], v[1:2], v[102:103], v[104:105]
	buffer_store_dword v4, off, s[0:3], 0 offset:628
	buffer_store_dword v3, off, s[0:3], 0 offset:624
	;; [unrolled: 1-line block ×4, first 2 shown]
.LBB110_167:
	s_or_b32 exec_lo, exec_lo, s4
	v_mov_b32_e32 v4, s19
	s_waitcnt_vscnt null, 0x0
	s_barrier
	buffer_gl0_inv
	s_mov_b32 s4, exec_lo
	s_clause 0x3
	buffer_load_dword v1, v4, s[0:3], 0 offen
	buffer_load_dword v2, v4, s[0:3], 0 offen offset:4
	buffer_load_dword v3, v4, s[0:3], 0 offen offset:8
	;; [unrolled: 1-line block ×3, first 2 shown]
	s_waitcnt vmcnt(0)
	ds_write_b128 v5, v[1:4]
	s_waitcnt lgkmcnt(0)
	s_barrier
	buffer_gl0_inv
	v_cmpx_gt_u32_e32 39, v0
	s_cbranch_execz .LBB110_171
; %bb.168:
	v_mov_b32_e32 v1, 0
	v_mov_b32_e32 v3, 0
	v_add_nc_u32_e32 v102, -1, v0
	v_add_nc_u32_e32 v103, 0x2f0, v7
	v_mov_b32_e32 v2, 0
	v_mov_b32_e32 v4, 0
	v_add_nc_u32_e32 v104, 16, v7
	s_mov_b32 s5, 0
	.p2align	6
.LBB110_169:                            ; =>This Inner Loop Header: Depth=1
	s_clause 0x3
	buffer_load_dword v109, v104, s[0:3], 0 offen offset:8
	buffer_load_dword v110, v104, s[0:3], 0 offen offset:12
	buffer_load_dword v111, v104, s[0:3], 0 offen
	buffer_load_dword v112, v104, s[0:3], 0 offen offset:4
	ds_read_b128 v[105:108], v103
	v_add_nc_u32_e32 v102, 1, v102
	v_add_nc_u32_e32 v103, 16, v103
	;; [unrolled: 1-line block ×3, first 2 shown]
	v_cmp_lt_u32_e32 vcc_lo, 37, v102
	s_or_b32 s5, vcc_lo, s5
	s_waitcnt vmcnt(2) lgkmcnt(0)
	v_mul_f64 v[113:114], v[107:108], v[109:110]
	v_mul_f64 v[109:110], v[105:106], v[109:110]
	s_waitcnt vmcnt(0)
	v_fma_f64 v[105:106], v[105:106], v[111:112], -v[113:114]
	v_fma_f64 v[107:108], v[107:108], v[111:112], v[109:110]
	v_add_f64 v[3:4], v[3:4], v[105:106]
	v_add_f64 v[1:2], v[1:2], v[107:108]
	s_andn2_b32 exec_lo, exec_lo, s5
	s_cbranch_execnz .LBB110_169
; %bb.170:
	s_or_b32 exec_lo, exec_lo, s5
	v_mov_b32_e32 v102, 0
	ds_read_b128 v[102:105], v102 offset:624
	s_waitcnt lgkmcnt(0)
	v_mul_f64 v[106:107], v[1:2], v[104:105]
	v_mul_f64 v[104:105], v[3:4], v[104:105]
	v_fma_f64 v[3:4], v[3:4], v[102:103], -v[106:107]
	v_fma_f64 v[1:2], v[1:2], v[102:103], v[104:105]
	buffer_store_dword v4, off, s[0:3], 0 offset:644
	buffer_store_dword v3, off, s[0:3], 0 offset:640
	;; [unrolled: 1-line block ×4, first 2 shown]
.LBB110_171:
	s_or_b32 exec_lo, exec_lo, s4
	v_mov_b32_e32 v4, s18
	s_waitcnt_vscnt null, 0x0
	s_barrier
	buffer_gl0_inv
	s_mov_b32 s4, exec_lo
	s_clause 0x3
	buffer_load_dword v1, v4, s[0:3], 0 offen
	buffer_load_dword v2, v4, s[0:3], 0 offen offset:4
	buffer_load_dword v3, v4, s[0:3], 0 offen offset:8
	;; [unrolled: 1-line block ×3, first 2 shown]
	s_waitcnt vmcnt(0)
	ds_write_b128 v5, v[1:4]
	s_waitcnt lgkmcnt(0)
	s_barrier
	buffer_gl0_inv
	v_cmpx_gt_u32_e32 40, v0
	s_cbranch_execz .LBB110_175
; %bb.172:
	v_mov_b32_e32 v1, 0
	v_mov_b32_e32 v3, 0
	v_add_nc_u32_e32 v102, -1, v0
	v_add_nc_u32_e32 v103, 0x2f0, v7
	v_mov_b32_e32 v2, 0
	v_mov_b32_e32 v4, 0
	v_add_nc_u32_e32 v104, 16, v7
	s_mov_b32 s5, 0
	.p2align	6
.LBB110_173:                            ; =>This Inner Loop Header: Depth=1
	s_clause 0x3
	buffer_load_dword v109, v104, s[0:3], 0 offen offset:8
	buffer_load_dword v110, v104, s[0:3], 0 offen offset:12
	buffer_load_dword v111, v104, s[0:3], 0 offen
	buffer_load_dword v112, v104, s[0:3], 0 offen offset:4
	ds_read_b128 v[105:108], v103
	v_add_nc_u32_e32 v102, 1, v102
	v_add_nc_u32_e32 v103, 16, v103
	;; [unrolled: 1-line block ×3, first 2 shown]
	v_cmp_lt_u32_e32 vcc_lo, 38, v102
	s_or_b32 s5, vcc_lo, s5
	s_waitcnt vmcnt(2) lgkmcnt(0)
	v_mul_f64 v[113:114], v[107:108], v[109:110]
	v_mul_f64 v[109:110], v[105:106], v[109:110]
	s_waitcnt vmcnt(0)
	v_fma_f64 v[105:106], v[105:106], v[111:112], -v[113:114]
	v_fma_f64 v[107:108], v[107:108], v[111:112], v[109:110]
	v_add_f64 v[3:4], v[3:4], v[105:106]
	v_add_f64 v[1:2], v[1:2], v[107:108]
	s_andn2_b32 exec_lo, exec_lo, s5
	s_cbranch_execnz .LBB110_173
; %bb.174:
	s_or_b32 exec_lo, exec_lo, s5
	v_mov_b32_e32 v102, 0
	ds_read_b128 v[102:105], v102 offset:640
	s_waitcnt lgkmcnt(0)
	v_mul_f64 v[106:107], v[1:2], v[104:105]
	v_mul_f64 v[104:105], v[3:4], v[104:105]
	v_fma_f64 v[3:4], v[3:4], v[102:103], -v[106:107]
	v_fma_f64 v[1:2], v[1:2], v[102:103], v[104:105]
	buffer_store_dword v4, off, s[0:3], 0 offset:660
	buffer_store_dword v3, off, s[0:3], 0 offset:656
	;; [unrolled: 1-line block ×4, first 2 shown]
.LBB110_175:
	s_or_b32 exec_lo, exec_lo, s4
	v_mov_b32_e32 v4, s17
	s_waitcnt_vscnt null, 0x0
	s_barrier
	buffer_gl0_inv
	s_mov_b32 s4, exec_lo
	s_clause 0x3
	buffer_load_dword v1, v4, s[0:3], 0 offen
	buffer_load_dword v2, v4, s[0:3], 0 offen offset:4
	buffer_load_dword v3, v4, s[0:3], 0 offen offset:8
	;; [unrolled: 1-line block ×3, first 2 shown]
	s_waitcnt vmcnt(0)
	ds_write_b128 v5, v[1:4]
	s_waitcnt lgkmcnt(0)
	s_barrier
	buffer_gl0_inv
	v_cmpx_gt_u32_e32 41, v0
	s_cbranch_execz .LBB110_179
; %bb.176:
	v_mov_b32_e32 v1, 0
	v_mov_b32_e32 v3, 0
	v_add_nc_u32_e32 v102, -1, v0
	v_add_nc_u32_e32 v103, 0x2f0, v7
	v_mov_b32_e32 v2, 0
	v_mov_b32_e32 v4, 0
	v_add_nc_u32_e32 v104, 16, v7
	s_mov_b32 s5, 0
	.p2align	6
.LBB110_177:                            ; =>This Inner Loop Header: Depth=1
	s_clause 0x3
	buffer_load_dword v109, v104, s[0:3], 0 offen offset:8
	buffer_load_dword v110, v104, s[0:3], 0 offen offset:12
	buffer_load_dword v111, v104, s[0:3], 0 offen
	buffer_load_dword v112, v104, s[0:3], 0 offen offset:4
	ds_read_b128 v[105:108], v103
	v_add_nc_u32_e32 v102, 1, v102
	v_add_nc_u32_e32 v103, 16, v103
	;; [unrolled: 1-line block ×3, first 2 shown]
	v_cmp_lt_u32_e32 vcc_lo, 39, v102
	s_or_b32 s5, vcc_lo, s5
	s_waitcnt vmcnt(2) lgkmcnt(0)
	v_mul_f64 v[113:114], v[107:108], v[109:110]
	v_mul_f64 v[109:110], v[105:106], v[109:110]
	s_waitcnt vmcnt(0)
	v_fma_f64 v[105:106], v[105:106], v[111:112], -v[113:114]
	v_fma_f64 v[107:108], v[107:108], v[111:112], v[109:110]
	v_add_f64 v[3:4], v[3:4], v[105:106]
	v_add_f64 v[1:2], v[1:2], v[107:108]
	s_andn2_b32 exec_lo, exec_lo, s5
	s_cbranch_execnz .LBB110_177
; %bb.178:
	s_or_b32 exec_lo, exec_lo, s5
	v_mov_b32_e32 v102, 0
	ds_read_b128 v[102:105], v102 offset:656
	s_waitcnt lgkmcnt(0)
	v_mul_f64 v[106:107], v[1:2], v[104:105]
	v_mul_f64 v[104:105], v[3:4], v[104:105]
	v_fma_f64 v[3:4], v[3:4], v[102:103], -v[106:107]
	v_fma_f64 v[1:2], v[1:2], v[102:103], v[104:105]
	buffer_store_dword v4, off, s[0:3], 0 offset:676
	buffer_store_dword v3, off, s[0:3], 0 offset:672
	;; [unrolled: 1-line block ×4, first 2 shown]
.LBB110_179:
	s_or_b32 exec_lo, exec_lo, s4
	v_mov_b32_e32 v4, s16
	s_waitcnt_vscnt null, 0x0
	s_barrier
	buffer_gl0_inv
	s_mov_b32 s4, exec_lo
	s_clause 0x3
	buffer_load_dword v1, v4, s[0:3], 0 offen
	buffer_load_dword v2, v4, s[0:3], 0 offen offset:4
	buffer_load_dword v3, v4, s[0:3], 0 offen offset:8
	buffer_load_dword v4, v4, s[0:3], 0 offen offset:12
	s_waitcnt vmcnt(0)
	ds_write_b128 v5, v[1:4]
	s_waitcnt lgkmcnt(0)
	s_barrier
	buffer_gl0_inv
	v_cmpx_gt_u32_e32 42, v0
	s_cbranch_execz .LBB110_183
; %bb.180:
	v_mov_b32_e32 v1, 0
	v_mov_b32_e32 v3, 0
	v_add_nc_u32_e32 v102, -1, v0
	v_add_nc_u32_e32 v103, 0x2f0, v7
	v_mov_b32_e32 v2, 0
	v_mov_b32_e32 v4, 0
	v_add_nc_u32_e32 v104, 16, v7
	s_mov_b32 s5, 0
	.p2align	6
.LBB110_181:                            ; =>This Inner Loop Header: Depth=1
	s_clause 0x3
	buffer_load_dword v109, v104, s[0:3], 0 offen offset:8
	buffer_load_dword v110, v104, s[0:3], 0 offen offset:12
	buffer_load_dword v111, v104, s[0:3], 0 offen
	buffer_load_dword v112, v104, s[0:3], 0 offen offset:4
	ds_read_b128 v[105:108], v103
	v_add_nc_u32_e32 v102, 1, v102
	v_add_nc_u32_e32 v103, 16, v103
	;; [unrolled: 1-line block ×3, first 2 shown]
	v_cmp_lt_u32_e32 vcc_lo, 40, v102
	s_or_b32 s5, vcc_lo, s5
	s_waitcnt vmcnt(2) lgkmcnt(0)
	v_mul_f64 v[113:114], v[107:108], v[109:110]
	v_mul_f64 v[109:110], v[105:106], v[109:110]
	s_waitcnt vmcnt(0)
	v_fma_f64 v[105:106], v[105:106], v[111:112], -v[113:114]
	v_fma_f64 v[107:108], v[107:108], v[111:112], v[109:110]
	v_add_f64 v[3:4], v[3:4], v[105:106]
	v_add_f64 v[1:2], v[1:2], v[107:108]
	s_andn2_b32 exec_lo, exec_lo, s5
	s_cbranch_execnz .LBB110_181
; %bb.182:
	s_or_b32 exec_lo, exec_lo, s5
	v_mov_b32_e32 v102, 0
	ds_read_b128 v[102:105], v102 offset:672
	s_waitcnt lgkmcnt(0)
	v_mul_f64 v[106:107], v[1:2], v[104:105]
	v_mul_f64 v[104:105], v[3:4], v[104:105]
	v_fma_f64 v[3:4], v[3:4], v[102:103], -v[106:107]
	v_fma_f64 v[1:2], v[1:2], v[102:103], v[104:105]
	buffer_store_dword v4, off, s[0:3], 0 offset:692
	buffer_store_dword v3, off, s[0:3], 0 offset:688
	;; [unrolled: 1-line block ×4, first 2 shown]
.LBB110_183:
	s_or_b32 exec_lo, exec_lo, s4
	v_mov_b32_e32 v4, s15
	s_waitcnt_vscnt null, 0x0
	s_barrier
	buffer_gl0_inv
	s_mov_b32 s4, exec_lo
	s_clause 0x3
	buffer_load_dword v1, v4, s[0:3], 0 offen
	buffer_load_dword v2, v4, s[0:3], 0 offen offset:4
	buffer_load_dword v3, v4, s[0:3], 0 offen offset:8
	;; [unrolled: 1-line block ×3, first 2 shown]
	s_waitcnt vmcnt(0)
	ds_write_b128 v5, v[1:4]
	s_waitcnt lgkmcnt(0)
	s_barrier
	buffer_gl0_inv
	v_cmpx_gt_u32_e32 43, v0
	s_cbranch_execz .LBB110_187
; %bb.184:
	v_mov_b32_e32 v1, 0
	v_mov_b32_e32 v3, 0
	v_add_nc_u32_e32 v102, -1, v0
	v_add_nc_u32_e32 v103, 0x2f0, v7
	v_mov_b32_e32 v2, 0
	v_mov_b32_e32 v4, 0
	v_add_nc_u32_e32 v104, 16, v7
	s_mov_b32 s5, 0
	.p2align	6
.LBB110_185:                            ; =>This Inner Loop Header: Depth=1
	s_clause 0x3
	buffer_load_dword v109, v104, s[0:3], 0 offen offset:8
	buffer_load_dword v110, v104, s[0:3], 0 offen offset:12
	buffer_load_dword v111, v104, s[0:3], 0 offen
	buffer_load_dword v112, v104, s[0:3], 0 offen offset:4
	ds_read_b128 v[105:108], v103
	v_add_nc_u32_e32 v102, 1, v102
	v_add_nc_u32_e32 v103, 16, v103
	;; [unrolled: 1-line block ×3, first 2 shown]
	v_cmp_lt_u32_e32 vcc_lo, 41, v102
	s_or_b32 s5, vcc_lo, s5
	s_waitcnt vmcnt(2) lgkmcnt(0)
	v_mul_f64 v[113:114], v[107:108], v[109:110]
	v_mul_f64 v[109:110], v[105:106], v[109:110]
	s_waitcnt vmcnt(0)
	v_fma_f64 v[105:106], v[105:106], v[111:112], -v[113:114]
	v_fma_f64 v[107:108], v[107:108], v[111:112], v[109:110]
	v_add_f64 v[3:4], v[3:4], v[105:106]
	v_add_f64 v[1:2], v[1:2], v[107:108]
	s_andn2_b32 exec_lo, exec_lo, s5
	s_cbranch_execnz .LBB110_185
; %bb.186:
	s_or_b32 exec_lo, exec_lo, s5
	v_mov_b32_e32 v102, 0
	ds_read_b128 v[102:105], v102 offset:688
	s_waitcnt lgkmcnt(0)
	v_mul_f64 v[106:107], v[1:2], v[104:105]
	v_mul_f64 v[104:105], v[3:4], v[104:105]
	v_fma_f64 v[3:4], v[3:4], v[102:103], -v[106:107]
	v_fma_f64 v[1:2], v[1:2], v[102:103], v[104:105]
	buffer_store_dword v4, off, s[0:3], 0 offset:708
	buffer_store_dword v3, off, s[0:3], 0 offset:704
	buffer_store_dword v2, off, s[0:3], 0 offset:716
	buffer_store_dword v1, off, s[0:3], 0 offset:712
.LBB110_187:
	s_or_b32 exec_lo, exec_lo, s4
	v_mov_b32_e32 v4, s14
	s_waitcnt_vscnt null, 0x0
	s_barrier
	buffer_gl0_inv
	s_mov_b32 s4, exec_lo
	s_clause 0x3
	buffer_load_dword v1, v4, s[0:3], 0 offen
	buffer_load_dword v2, v4, s[0:3], 0 offen offset:4
	buffer_load_dword v3, v4, s[0:3], 0 offen offset:8
	;; [unrolled: 1-line block ×3, first 2 shown]
	s_waitcnt vmcnt(0)
	ds_write_b128 v5, v[1:4]
	s_waitcnt lgkmcnt(0)
	s_barrier
	buffer_gl0_inv
	v_cmpx_gt_u32_e32 44, v0
	s_cbranch_execz .LBB110_191
; %bb.188:
	v_mov_b32_e32 v1, 0
	v_mov_b32_e32 v3, 0
	v_add_nc_u32_e32 v102, -1, v0
	v_add_nc_u32_e32 v103, 0x2f0, v7
	v_mov_b32_e32 v2, 0
	v_mov_b32_e32 v4, 0
	v_add_nc_u32_e32 v104, 16, v7
	s_mov_b32 s5, 0
	.p2align	6
.LBB110_189:                            ; =>This Inner Loop Header: Depth=1
	s_clause 0x3
	buffer_load_dword v109, v104, s[0:3], 0 offen offset:8
	buffer_load_dword v110, v104, s[0:3], 0 offen offset:12
	buffer_load_dword v111, v104, s[0:3], 0 offen
	buffer_load_dword v112, v104, s[0:3], 0 offen offset:4
	ds_read_b128 v[105:108], v103
	v_add_nc_u32_e32 v102, 1, v102
	v_add_nc_u32_e32 v103, 16, v103
	;; [unrolled: 1-line block ×3, first 2 shown]
	v_cmp_lt_u32_e32 vcc_lo, 42, v102
	s_or_b32 s5, vcc_lo, s5
	s_waitcnt vmcnt(2) lgkmcnt(0)
	v_mul_f64 v[113:114], v[107:108], v[109:110]
	v_mul_f64 v[109:110], v[105:106], v[109:110]
	s_waitcnt vmcnt(0)
	v_fma_f64 v[105:106], v[105:106], v[111:112], -v[113:114]
	v_fma_f64 v[107:108], v[107:108], v[111:112], v[109:110]
	v_add_f64 v[3:4], v[3:4], v[105:106]
	v_add_f64 v[1:2], v[1:2], v[107:108]
	s_andn2_b32 exec_lo, exec_lo, s5
	s_cbranch_execnz .LBB110_189
; %bb.190:
	s_or_b32 exec_lo, exec_lo, s5
	v_mov_b32_e32 v102, 0
	ds_read_b128 v[102:105], v102 offset:704
	s_waitcnt lgkmcnt(0)
	v_mul_f64 v[106:107], v[1:2], v[104:105]
	v_mul_f64 v[104:105], v[3:4], v[104:105]
	v_fma_f64 v[3:4], v[3:4], v[102:103], -v[106:107]
	v_fma_f64 v[1:2], v[1:2], v[102:103], v[104:105]
	buffer_store_dword v4, off, s[0:3], 0 offset:724
	buffer_store_dword v3, off, s[0:3], 0 offset:720
	;; [unrolled: 1-line block ×4, first 2 shown]
.LBB110_191:
	s_or_b32 exec_lo, exec_lo, s4
	v_mov_b32_e32 v4, s9
	s_waitcnt_vscnt null, 0x0
	s_barrier
	buffer_gl0_inv
	s_mov_b32 s4, exec_lo
	s_clause 0x3
	buffer_load_dword v1, v4, s[0:3], 0 offen
	buffer_load_dword v2, v4, s[0:3], 0 offen offset:4
	buffer_load_dword v3, v4, s[0:3], 0 offen offset:8
	;; [unrolled: 1-line block ×3, first 2 shown]
	s_waitcnt vmcnt(0)
	ds_write_b128 v5, v[1:4]
	s_waitcnt lgkmcnt(0)
	s_barrier
	buffer_gl0_inv
	v_cmpx_gt_u32_e32 45, v0
	s_cbranch_execz .LBB110_195
; %bb.192:
	v_mov_b32_e32 v1, 0
	v_mov_b32_e32 v3, 0
	v_add_nc_u32_e32 v102, -1, v0
	v_add_nc_u32_e32 v103, 0x2f0, v7
	v_mov_b32_e32 v2, 0
	v_mov_b32_e32 v4, 0
	v_add_nc_u32_e32 v104, 16, v7
	s_mov_b32 s5, 0
	.p2align	6
.LBB110_193:                            ; =>This Inner Loop Header: Depth=1
	s_clause 0x3
	buffer_load_dword v109, v104, s[0:3], 0 offen offset:8
	buffer_load_dword v110, v104, s[0:3], 0 offen offset:12
	buffer_load_dword v111, v104, s[0:3], 0 offen
	buffer_load_dword v112, v104, s[0:3], 0 offen offset:4
	ds_read_b128 v[105:108], v103
	v_add_nc_u32_e32 v102, 1, v102
	v_add_nc_u32_e32 v103, 16, v103
	;; [unrolled: 1-line block ×3, first 2 shown]
	v_cmp_lt_u32_e32 vcc_lo, 43, v102
	s_or_b32 s5, vcc_lo, s5
	s_waitcnt vmcnt(2) lgkmcnt(0)
	v_mul_f64 v[113:114], v[107:108], v[109:110]
	v_mul_f64 v[109:110], v[105:106], v[109:110]
	s_waitcnt vmcnt(0)
	v_fma_f64 v[105:106], v[105:106], v[111:112], -v[113:114]
	v_fma_f64 v[107:108], v[107:108], v[111:112], v[109:110]
	v_add_f64 v[3:4], v[3:4], v[105:106]
	v_add_f64 v[1:2], v[1:2], v[107:108]
	s_andn2_b32 exec_lo, exec_lo, s5
	s_cbranch_execnz .LBB110_193
; %bb.194:
	s_or_b32 exec_lo, exec_lo, s5
	v_mov_b32_e32 v102, 0
	ds_read_b128 v[102:105], v102 offset:720
	s_waitcnt lgkmcnt(0)
	v_mul_f64 v[106:107], v[1:2], v[104:105]
	v_mul_f64 v[104:105], v[3:4], v[104:105]
	v_fma_f64 v[3:4], v[3:4], v[102:103], -v[106:107]
	v_fma_f64 v[1:2], v[1:2], v[102:103], v[104:105]
	buffer_store_dword v4, off, s[0:3], 0 offset:740
	buffer_store_dword v3, off, s[0:3], 0 offset:736
	;; [unrolled: 1-line block ×4, first 2 shown]
.LBB110_195:
	s_or_b32 exec_lo, exec_lo, s4
	v_mov_b32_e32 v4, s8
	s_waitcnt_vscnt null, 0x0
	s_barrier
	buffer_gl0_inv
	s_mov_b32 s4, exec_lo
	s_clause 0x3
	buffer_load_dword v1, v4, s[0:3], 0 offen
	buffer_load_dword v2, v4, s[0:3], 0 offen offset:4
	buffer_load_dword v3, v4, s[0:3], 0 offen offset:8
	;; [unrolled: 1-line block ×3, first 2 shown]
	s_waitcnt vmcnt(0)
	ds_write_b128 v5, v[1:4]
	s_waitcnt lgkmcnt(0)
	s_barrier
	buffer_gl0_inv
	v_cmpx_ne_u32_e32 46, v0
	s_cbranch_execz .LBB110_199
; %bb.196:
	v_mov_b32_e32 v1, 0
	v_mov_b32_e32 v3, 0
	;; [unrolled: 1-line block ×4, first 2 shown]
	v_add_nc_u32_e32 v7, 16, v7
	s_mov_b32 s5, 0
	.p2align	6
.LBB110_197:                            ; =>This Inner Loop Header: Depth=1
	s_clause 0x3
	buffer_load_dword v106, v7, s[0:3], 0 offen offset:8
	buffer_load_dword v107, v7, s[0:3], 0 offen offset:12
	buffer_load_dword v108, v7, s[0:3], 0 offen
	buffer_load_dword v109, v7, s[0:3], 0 offen offset:4
	ds_read_b128 v[102:105], v5
	v_add_nc_u32_e32 v6, 1, v6
	v_add_nc_u32_e32 v5, 16, v5
	;; [unrolled: 1-line block ×3, first 2 shown]
	v_cmp_lt_u32_e32 vcc_lo, 44, v6
	s_or_b32 s5, vcc_lo, s5
	s_waitcnt vmcnt(2) lgkmcnt(0)
	v_mul_f64 v[110:111], v[104:105], v[106:107]
	v_mul_f64 v[106:107], v[102:103], v[106:107]
	s_waitcnt vmcnt(0)
	v_fma_f64 v[102:103], v[102:103], v[108:109], -v[110:111]
	v_fma_f64 v[104:105], v[104:105], v[108:109], v[106:107]
	v_add_f64 v[3:4], v[3:4], v[102:103]
	v_add_f64 v[1:2], v[1:2], v[104:105]
	s_andn2_b32 exec_lo, exec_lo, s5
	s_cbranch_execnz .LBB110_197
; %bb.198:
	s_or_b32 exec_lo, exec_lo, s5
	v_mov_b32_e32 v5, 0
	ds_read_b128 v[102:105], v5 offset:736
	s_waitcnt lgkmcnt(0)
	v_mul_f64 v[5:6], v[1:2], v[104:105]
	v_mul_f64 v[104:105], v[3:4], v[104:105]
	v_fma_f64 v[3:4], v[3:4], v[102:103], -v[5:6]
	v_fma_f64 v[1:2], v[1:2], v[102:103], v[104:105]
	buffer_store_dword v4, off, s[0:3], 0 offset:756
	buffer_store_dword v3, off, s[0:3], 0 offset:752
	;; [unrolled: 1-line block ×4, first 2 shown]
.LBB110_199:
	s_or_b32 exec_lo, exec_lo, s4
	s_mov_b32 s5, -1
	s_waitcnt_vscnt null, 0x0
	s_barrier
	buffer_gl0_inv
.LBB110_200:
	s_and_b32 vcc_lo, exec_lo, s5
	s_cbranch_vccz .LBB110_202
; %bb.201:
	s_lshl_b64 s[4:5], s[6:7], 2
	v_mov_b32_e32 v1, 0
	s_add_u32 s4, s10, s4
	s_addc_u32 s5, s11, s5
	global_load_dword v1, v1, s[4:5]
	s_waitcnt vmcnt(0)
	v_cmp_ne_u32_e32 vcc_lo, 0, v1
	s_cbranch_vccz .LBB110_203
.LBB110_202:
	s_endpgm
.LBB110_203:
	v_lshl_add_u32 v7, v0, 4, 0x2f0
	s_mov_b32 s4, exec_lo
	v_cmpx_eq_u32_e32 46, v0
	s_cbranch_execz .LBB110_205
; %bb.204:
	v_mov_b32_e32 v4, s9
	v_mov_b32_e32 v5, 0
	s_clause 0x3
	buffer_load_dword v1, v4, s[0:3], 0 offen
	buffer_load_dword v2, v4, s[0:3], 0 offen offset:4
	buffer_load_dword v3, v4, s[0:3], 0 offen offset:8
	buffer_load_dword v4, v4, s[0:3], 0 offen offset:12
	buffer_store_dword v5, off, s[0:3], 0 offset:736
	buffer_store_dword v5, off, s[0:3], 0 offset:740
	;; [unrolled: 1-line block ×4, first 2 shown]
	s_waitcnt vmcnt(0)
	ds_write_b128 v7, v[1:4]
.LBB110_205:
	s_or_b32 exec_lo, exec_lo, s4
	s_waitcnt lgkmcnt(0)
	s_waitcnt_vscnt null, 0x0
	s_barrier
	buffer_gl0_inv
	s_clause 0x7
	buffer_load_dword v102, off, s[0:3], 0 offset:760
	buffer_load_dword v103, off, s[0:3], 0 offset:764
	;; [unrolled: 1-line block ×8, first 2 shown]
	v_mov_b32_e32 v1, 0
	s_mov_b32 s4, exec_lo
	ds_read_b128 v[2:5], v1 offset:1488
	s_waitcnt vmcnt(6) lgkmcnt(0)
	v_mul_f64 v[110:111], v[4:5], v[102:103]
	v_mul_f64 v[102:103], v[2:3], v[102:103]
	s_waitcnt vmcnt(4)
	v_fma_f64 v[2:3], v[2:3], v[104:105], -v[110:111]
	v_fma_f64 v[4:5], v[4:5], v[104:105], v[102:103]
	v_add_f64 v[2:3], v[2:3], 0
	v_add_f64 v[4:5], v[4:5], 0
	s_waitcnt vmcnt(2)
	v_add_f64 v[2:3], v[106:107], -v[2:3]
	s_waitcnt vmcnt(0)
	v_add_f64 v[4:5], v[108:109], -v[4:5]
	buffer_store_dword v2, off, s[0:3], 0 offset:736
	buffer_store_dword v3, off, s[0:3], 0 offset:740
	;; [unrolled: 1-line block ×4, first 2 shown]
	v_cmpx_lt_u32_e32 44, v0
	s_cbranch_execz .LBB110_207
; %bb.206:
	v_mov_b32_e32 v5, s14
	s_clause 0x3
	buffer_load_dword v2, v5, s[0:3], 0 offen
	buffer_load_dword v3, v5, s[0:3], 0 offen offset:4
	buffer_load_dword v4, v5, s[0:3], 0 offen offset:8
	;; [unrolled: 1-line block ×3, first 2 shown]
	buffer_store_dword v1, off, s[0:3], 0 offset:720
	buffer_store_dword v1, off, s[0:3], 0 offset:724
	;; [unrolled: 1-line block ×4, first 2 shown]
	s_waitcnt vmcnt(0)
	ds_write_b128 v7, v[2:5]
.LBB110_207:
	s_or_b32 exec_lo, exec_lo, s4
	s_waitcnt lgkmcnt(0)
	s_waitcnt_vscnt null, 0x0
	s_barrier
	buffer_gl0_inv
	s_clause 0xb
	buffer_load_dword v106, off, s[0:3], 0 offset:744
	buffer_load_dword v107, off, s[0:3], 0 offset:748
	;; [unrolled: 1-line block ×12, first 2 shown]
	ds_read_b128 v[2:5], v1 offset:1472
	ds_read_b128 v[102:105], v1 offset:1488
	s_mov_b32 s4, exec_lo
	s_waitcnt vmcnt(10) lgkmcnt(1)
	v_mul_f64 v[118:119], v[4:5], v[106:107]
	v_mul_f64 v[106:107], v[2:3], v[106:107]
	s_waitcnt vmcnt(8) lgkmcnt(0)
	v_mul_f64 v[120:121], v[104:105], v[108:109]
	v_mul_f64 v[108:109], v[102:103], v[108:109]
	s_waitcnt vmcnt(6)
	v_fma_f64 v[1:2], v[2:3], v[110:111], -v[118:119]
	v_fma_f64 v[3:4], v[4:5], v[110:111], v[106:107]
	s_waitcnt vmcnt(4)
	v_fma_f64 v[5:6], v[102:103], v[112:113], -v[120:121]
	v_fma_f64 v[102:103], v[104:105], v[112:113], v[108:109]
	v_add_f64 v[1:2], v[1:2], 0
	v_add_f64 v[3:4], v[3:4], 0
	;; [unrolled: 1-line block ×4, first 2 shown]
	s_waitcnt vmcnt(2)
	v_add_f64 v[1:2], v[114:115], -v[1:2]
	s_waitcnt vmcnt(0)
	v_add_f64 v[3:4], v[116:117], -v[3:4]
	buffer_store_dword v1, off, s[0:3], 0 offset:720
	buffer_store_dword v2, off, s[0:3], 0 offset:724
	buffer_store_dword v3, off, s[0:3], 0 offset:728
	buffer_store_dword v4, off, s[0:3], 0 offset:732
	v_cmpx_lt_u32_e32 43, v0
	s_cbranch_execz .LBB110_209
; %bb.208:
	v_mov_b32_e32 v4, s15
	v_mov_b32_e32 v5, 0
	s_clause 0x3
	buffer_load_dword v1, v4, s[0:3], 0 offen
	buffer_load_dword v2, v4, s[0:3], 0 offen offset:4
	buffer_load_dword v3, v4, s[0:3], 0 offen offset:8
	;; [unrolled: 1-line block ×3, first 2 shown]
	buffer_store_dword v5, off, s[0:3], 0 offset:704
	buffer_store_dword v5, off, s[0:3], 0 offset:708
	;; [unrolled: 1-line block ×4, first 2 shown]
	s_waitcnt vmcnt(0)
	ds_write_b128 v7, v[1:4]
.LBB110_209:
	s_or_b32 exec_lo, exec_lo, s4
	s_waitcnt lgkmcnt(0)
	s_waitcnt_vscnt null, 0x0
	s_barrier
	buffer_gl0_inv
	s_clause 0xf
	buffer_load_dword v106, off, s[0:3], 0 offset:728
	buffer_load_dword v107, off, s[0:3], 0 offset:732
	buffer_load_dword v110, off, s[0:3], 0 offset:744
	buffer_load_dword v111, off, s[0:3], 0 offset:748
	buffer_load_dword v112, off, s[0:3], 0 offset:720
	buffer_load_dword v113, off, s[0:3], 0 offset:724
	buffer_load_dword v114, off, s[0:3], 0 offset:760
	buffer_load_dword v115, off, s[0:3], 0 offset:764
	buffer_load_dword v116, off, s[0:3], 0 offset:736
	buffer_load_dword v117, off, s[0:3], 0 offset:740
	buffer_load_dword v118, off, s[0:3], 0 offset:752
	buffer_load_dword v119, off, s[0:3], 0 offset:756
	buffer_load_dword v120, off, s[0:3], 0 offset:704
	buffer_load_dword v121, off, s[0:3], 0 offset:708
	buffer_load_dword v122, off, s[0:3], 0 offset:712
	buffer_load_dword v123, off, s[0:3], 0 offset:716
	v_mov_b32_e32 v1, 0
	ds_read_b128 v[2:5], v1 offset:1456
	ds_read_b128 v[102:105], v1 offset:1472
	s_mov_b32 s4, exec_lo
	s_waitcnt vmcnt(14) lgkmcnt(1)
	v_mul_f64 v[124:125], v[4:5], v[106:107]
	v_mul_f64 v[126:127], v[2:3], v[106:107]
	s_waitcnt vmcnt(12) lgkmcnt(0)
	v_mul_f64 v[128:129], v[104:105], v[110:111]
	ds_read_b128 v[106:109], v1 offset:1488
	v_mul_f64 v[110:111], v[102:103], v[110:111]
	s_waitcnt vmcnt(10)
	v_fma_f64 v[2:3], v[2:3], v[112:113], -v[124:125]
	v_fma_f64 v[4:5], v[4:5], v[112:113], v[126:127]
	s_waitcnt vmcnt(8) lgkmcnt(0)
	v_mul_f64 v[112:113], v[106:107], v[114:115]
	v_mul_f64 v[114:115], v[108:109], v[114:115]
	s_waitcnt vmcnt(6)
	v_fma_f64 v[102:103], v[102:103], v[116:117], -v[128:129]
	v_fma_f64 v[104:105], v[104:105], v[116:117], v[110:111]
	v_add_f64 v[2:3], v[2:3], 0
	v_add_f64 v[4:5], v[4:5], 0
	s_waitcnt vmcnt(4)
	v_fma_f64 v[106:107], v[106:107], v[118:119], -v[114:115]
	v_add_f64 v[2:3], v[2:3], v[102:103]
	v_fma_f64 v[102:103], v[108:109], v[118:119], v[112:113]
	v_add_f64 v[4:5], v[4:5], v[104:105]
	v_add_f64 v[2:3], v[2:3], v[106:107]
	;; [unrolled: 1-line block ×3, first 2 shown]
	s_waitcnt vmcnt(2)
	v_add_f64 v[2:3], v[120:121], -v[2:3]
	s_waitcnt vmcnt(0)
	v_add_f64 v[4:5], v[122:123], -v[4:5]
	buffer_store_dword v2, off, s[0:3], 0 offset:704
	buffer_store_dword v3, off, s[0:3], 0 offset:708
	;; [unrolled: 1-line block ×4, first 2 shown]
	v_cmpx_lt_u32_e32 42, v0
	s_cbranch_execz .LBB110_211
; %bb.210:
	v_mov_b32_e32 v5, s16
	s_clause 0x3
	buffer_load_dword v2, v5, s[0:3], 0 offen
	buffer_load_dword v3, v5, s[0:3], 0 offen offset:4
	buffer_load_dword v4, v5, s[0:3], 0 offen offset:8
	;; [unrolled: 1-line block ×3, first 2 shown]
	buffer_store_dword v1, off, s[0:3], 0 offset:688
	buffer_store_dword v1, off, s[0:3], 0 offset:692
	buffer_store_dword v1, off, s[0:3], 0 offset:696
	buffer_store_dword v1, off, s[0:3], 0 offset:700
	s_waitcnt vmcnt(0)
	ds_write_b128 v7, v[2:5]
.LBB110_211:
	s_or_b32 exec_lo, exec_lo, s4
	s_waitcnt lgkmcnt(0)
	s_waitcnt_vscnt null, 0x0
	s_barrier
	buffer_gl0_inv
	s_clause 0x13
	buffer_load_dword v106, off, s[0:3], 0 offset:712
	buffer_load_dword v107, off, s[0:3], 0 offset:716
	;; [unrolled: 1-line block ×20, first 2 shown]
	ds_read_b128 v[2:5], v1 offset:1440
	ds_read_b128 v[102:105], v1 offset:1456
	s_mov_b32 s4, exec_lo
	s_waitcnt vmcnt(18) lgkmcnt(1)
	v_mul_f64 v[128:129], v[4:5], v[106:107]
	v_mul_f64 v[130:131], v[2:3], v[106:107]
	s_waitcnt vmcnt(16) lgkmcnt(0)
	v_mul_f64 v[132:133], v[104:105], v[110:111]
	ds_read_b128 v[106:109], v1 offset:1472
	v_mul_f64 v[110:111], v[102:103], v[110:111]
	s_waitcnt vmcnt(14)
	v_fma_f64 v[128:129], v[2:3], v[112:113], -v[128:129]
	v_fma_f64 v[5:6], v[4:5], v[112:113], v[130:131]
	s_waitcnt vmcnt(12) lgkmcnt(0)
	v_mul_f64 v[112:113], v[106:107], v[114:115]
	v_mul_f64 v[114:115], v[108:109], v[114:115]
	s_waitcnt vmcnt(10)
	v_fma_f64 v[102:103], v[102:103], v[116:117], -v[132:133]
	ds_read_b128 v[1:4], v1 offset:1488
	v_fma_f64 v[104:105], v[104:105], v[116:117], v[110:111]
	v_add_f64 v[128:129], v[128:129], 0
	v_add_f64 v[5:6], v[5:6], 0
	s_waitcnt vmcnt(6)
	v_fma_f64 v[108:109], v[108:109], v[120:121], v[112:113]
	s_waitcnt lgkmcnt(0)
	v_mul_f64 v[116:117], v[3:4], v[118:119]
	v_fma_f64 v[106:107], v[106:107], v[120:121], -v[114:115]
	v_mul_f64 v[110:111], v[1:2], v[118:119]
	v_add_f64 v[102:103], v[128:129], v[102:103]
	v_add_f64 v[5:6], v[5:6], v[104:105]
	s_waitcnt vmcnt(4)
	v_fma_f64 v[1:2], v[1:2], v[122:123], -v[116:117]
	v_fma_f64 v[3:4], v[3:4], v[122:123], v[110:111]
	v_add_f64 v[102:103], v[102:103], v[106:107]
	v_add_f64 v[5:6], v[5:6], v[108:109]
	;; [unrolled: 1-line block ×4, first 2 shown]
	s_waitcnt vmcnt(2)
	v_add_f64 v[1:2], v[124:125], -v[1:2]
	s_waitcnt vmcnt(0)
	v_add_f64 v[3:4], v[126:127], -v[3:4]
	buffer_store_dword v1, off, s[0:3], 0 offset:688
	buffer_store_dword v2, off, s[0:3], 0 offset:692
	;; [unrolled: 1-line block ×4, first 2 shown]
	v_cmpx_lt_u32_e32 41, v0
	s_cbranch_execz .LBB110_213
; %bb.212:
	v_mov_b32_e32 v4, s17
	v_mov_b32_e32 v5, 0
	s_clause 0x3
	buffer_load_dword v1, v4, s[0:3], 0 offen
	buffer_load_dword v2, v4, s[0:3], 0 offen offset:4
	buffer_load_dword v3, v4, s[0:3], 0 offen offset:8
	buffer_load_dword v4, v4, s[0:3], 0 offen offset:12
	buffer_store_dword v5, off, s[0:3], 0 offset:672
	buffer_store_dword v5, off, s[0:3], 0 offset:676
	;; [unrolled: 1-line block ×4, first 2 shown]
	s_waitcnt vmcnt(0)
	ds_write_b128 v7, v[1:4]
.LBB110_213:
	s_or_b32 exec_lo, exec_lo, s4
	s_waitcnt lgkmcnt(0)
	s_waitcnt_vscnt null, 0x0
	s_barrier
	buffer_gl0_inv
	s_clause 0x17
	buffer_load_dword v106, off, s[0:3], 0 offset:696
	buffer_load_dword v107, off, s[0:3], 0 offset:700
	;; [unrolled: 1-line block ×24, first 2 shown]
	v_mov_b32_e32 v1, 0
	ds_read_b128 v[2:5], v1 offset:1424
	ds_read_b128 v[102:105], v1 offset:1440
	s_mov_b32 s4, exec_lo
	s_waitcnt vmcnt(22) lgkmcnt(1)
	v_mul_f64 v[132:133], v[4:5], v[106:107]
	v_mul_f64 v[134:135], v[2:3], v[106:107]
	s_waitcnt vmcnt(20) lgkmcnt(0)
	v_mul_f64 v[136:137], v[104:105], v[110:111]
	ds_read_b128 v[106:109], v1 offset:1456
	v_mul_f64 v[110:111], v[102:103], v[110:111]
	s_waitcnt vmcnt(18)
	v_fma_f64 v[132:133], v[2:3], v[112:113], -v[132:133]
	v_fma_f64 v[112:113], v[4:5], v[112:113], v[134:135]
	ds_read_b128 v[2:5], v1 offset:1472
	s_waitcnt vmcnt(16) lgkmcnt(1)
	v_mul_f64 v[134:135], v[106:107], v[114:115]
	v_mul_f64 v[114:115], v[108:109], v[114:115]
	s_waitcnt vmcnt(14)
	v_fma_f64 v[136:137], v[102:103], v[116:117], -v[136:137]
	v_fma_f64 v[110:111], v[104:105], v[116:117], v[110:111]
	ds_read_b128 v[102:105], v1 offset:1488
	s_waitcnt vmcnt(10) lgkmcnt(1)
	v_mul_f64 v[116:117], v[2:3], v[118:119]
	v_add_f64 v[132:133], v[132:133], 0
	v_add_f64 v[112:113], v[112:113], 0
	v_mul_f64 v[118:119], v[4:5], v[118:119]
	s_waitcnt vmcnt(8)
	v_fma_f64 v[106:107], v[106:107], v[124:125], -v[114:115]
	v_fma_f64 v[108:109], v[108:109], v[124:125], v[134:135]
	s_waitcnt vmcnt(5)
	v_fma_f64 v[4:5], v[4:5], v[126:127], v[116:117]
	v_add_f64 v[114:115], v[132:133], v[136:137]
	v_add_f64 v[110:111], v[112:113], v[110:111]
	s_waitcnt lgkmcnt(0)
	v_mul_f64 v[112:113], v[102:103], v[120:121]
	v_mul_f64 v[120:121], v[104:105], v[120:121]
	v_fma_f64 v[2:3], v[2:3], v[126:127], -v[118:119]
	v_add_f64 v[106:107], v[114:115], v[106:107]
	v_add_f64 v[108:109], v[110:111], v[108:109]
	s_waitcnt vmcnt(4)
	v_fma_f64 v[104:105], v[104:105], v[122:123], v[112:113]
	v_fma_f64 v[102:103], v[102:103], v[122:123], -v[120:121]
	v_add_f64 v[2:3], v[106:107], v[2:3]
	v_add_f64 v[4:5], v[108:109], v[4:5]
	;; [unrolled: 1-line block ×4, first 2 shown]
	s_waitcnt vmcnt(2)
	v_add_f64 v[2:3], v[128:129], -v[2:3]
	s_waitcnt vmcnt(0)
	v_add_f64 v[4:5], v[130:131], -v[4:5]
	buffer_store_dword v3, off, s[0:3], 0 offset:676
	buffer_store_dword v2, off, s[0:3], 0 offset:672
	;; [unrolled: 1-line block ×4, first 2 shown]
	v_cmpx_lt_u32_e32 40, v0
	s_cbranch_execz .LBB110_215
; %bb.214:
	v_mov_b32_e32 v5, s18
	s_clause 0x3
	buffer_load_dword v2, v5, s[0:3], 0 offen
	buffer_load_dword v3, v5, s[0:3], 0 offen offset:4
	buffer_load_dword v4, v5, s[0:3], 0 offen offset:8
	buffer_load_dword v5, v5, s[0:3], 0 offen offset:12
	buffer_store_dword v1, off, s[0:3], 0 offset:656
	buffer_store_dword v1, off, s[0:3], 0 offset:660
	;; [unrolled: 1-line block ×4, first 2 shown]
	s_waitcnt vmcnt(0)
	ds_write_b128 v7, v[2:5]
.LBB110_215:
	s_or_b32 exec_lo, exec_lo, s4
	s_waitcnt lgkmcnt(0)
	s_waitcnt_vscnt null, 0x0
	s_barrier
	buffer_gl0_inv
	s_clause 0x1b
	buffer_load_dword v106, off, s[0:3], 0 offset:680
	buffer_load_dword v107, off, s[0:3], 0 offset:684
	buffer_load_dword v110, off, s[0:3], 0 offset:696
	buffer_load_dword v111, off, s[0:3], 0 offset:700
	buffer_load_dword v112, off, s[0:3], 0 offset:672
	buffer_load_dword v113, off, s[0:3], 0 offset:676
	buffer_load_dword v114, off, s[0:3], 0 offset:712
	buffer_load_dword v115, off, s[0:3], 0 offset:716
	buffer_load_dword v116, off, s[0:3], 0 offset:688
	buffer_load_dword v117, off, s[0:3], 0 offset:692
	buffer_load_dword v119, off, s[0:3], 0 offset:732
	buffer_load_dword v120, off, s[0:3], 0 offset:744
	buffer_load_dword v122, off, s[0:3], 0 offset:736
	buffer_load_dword v118, off, s[0:3], 0 offset:728
	buffer_load_dword v124, off, s[0:3], 0 offset:704
	buffer_load_dword v125, off, s[0:3], 0 offset:708
	buffer_load_dword v121, off, s[0:3], 0 offset:748
	buffer_load_dword v127, off, s[0:3], 0 offset:724
	buffer_load_dword v126, off, s[0:3], 0 offset:720
	buffer_load_dword v129, off, s[0:3], 0 offset:764
	buffer_load_dword v128, off, s[0:3], 0 offset:760
	buffer_load_dword v123, off, s[0:3], 0 offset:740
	buffer_load_dword v131, off, s[0:3], 0 offset:756
	buffer_load_dword v130, off, s[0:3], 0 offset:752
	buffer_load_dword v132, off, s[0:3], 0 offset:656
	buffer_load_dword v133, off, s[0:3], 0 offset:660
	buffer_load_dword v134, off, s[0:3], 0 offset:664
	buffer_load_dword v135, off, s[0:3], 0 offset:668
	ds_read_b128 v[2:5], v1 offset:1408
	ds_read_b128 v[102:105], v1 offset:1424
	s_mov_b32 s4, exec_lo
	s_waitcnt vmcnt(26) lgkmcnt(1)
	v_mul_f64 v[136:137], v[4:5], v[106:107]
	v_mul_f64 v[138:139], v[2:3], v[106:107]
	s_waitcnt vmcnt(24) lgkmcnt(0)
	v_mul_f64 v[140:141], v[104:105], v[110:111]
	ds_read_b128 v[106:109], v1 offset:1440
	v_mul_f64 v[110:111], v[102:103], v[110:111]
	s_waitcnt vmcnt(22)
	v_fma_f64 v[136:137], v[2:3], v[112:113], -v[136:137]
	v_fma_f64 v[112:113], v[4:5], v[112:113], v[138:139]
	ds_read_b128 v[2:5], v1 offset:1456
	s_waitcnt vmcnt(20) lgkmcnt(1)
	v_mul_f64 v[138:139], v[106:107], v[114:115]
	v_mul_f64 v[114:115], v[108:109], v[114:115]
	s_waitcnt vmcnt(18)
	v_fma_f64 v[140:141], v[102:103], v[116:117], -v[140:141]
	v_fma_f64 v[110:111], v[104:105], v[116:117], v[110:111]
	ds_read_b128 v[102:105], v1 offset:1472
	s_waitcnt vmcnt(14) lgkmcnt(1)
	v_mul_f64 v[116:117], v[2:3], v[118:119]
	v_add_f64 v[136:137], v[136:137], 0
	v_add_f64 v[112:113], v[112:113], 0
	v_mul_f64 v[118:119], v[4:5], v[118:119]
	s_waitcnt vmcnt(12)
	v_fma_f64 v[114:115], v[106:107], v[124:125], -v[114:115]
	v_fma_f64 v[124:125], v[108:109], v[124:125], v[138:139]
	ds_read_b128 v[106:109], v1 offset:1488
	v_add_f64 v[136:137], v[136:137], v[140:141]
	v_add_f64 v[110:111], v[112:113], v[110:111]
	s_waitcnt vmcnt(11) lgkmcnt(1)
	v_mul_f64 v[112:113], v[102:103], v[120:121]
	v_mul_f64 v[120:121], v[104:105], v[120:121]
	s_waitcnt vmcnt(9)
	v_fma_f64 v[1:2], v[2:3], v[126:127], -v[118:119]
	v_fma_f64 v[3:4], v[4:5], v[126:127], v[116:117]
	s_waitcnt vmcnt(7) lgkmcnt(0)
	v_mul_f64 v[116:117], v[108:109], v[128:129]
	v_add_f64 v[114:115], v[136:137], v[114:115]
	v_add_f64 v[5:6], v[110:111], v[124:125]
	v_mul_f64 v[110:111], v[106:107], v[128:129]
	s_waitcnt vmcnt(6)
	v_fma_f64 v[102:103], v[102:103], v[122:123], -v[120:121]
	v_fma_f64 v[104:105], v[104:105], v[122:123], v[112:113]
	v_add_f64 v[1:2], v[114:115], v[1:2]
	v_add_f64 v[3:4], v[5:6], v[3:4]
	s_waitcnt vmcnt(4)
	v_fma_f64 v[5:6], v[106:107], v[130:131], -v[116:117]
	v_add_f64 v[1:2], v[1:2], v[102:103]
	v_fma_f64 v[102:103], v[108:109], v[130:131], v[110:111]
	v_add_f64 v[3:4], v[3:4], v[104:105]
	v_add_f64 v[1:2], v[1:2], v[5:6]
	;; [unrolled: 1-line block ×3, first 2 shown]
	s_waitcnt vmcnt(2)
	v_add_f64 v[1:2], v[132:133], -v[1:2]
	s_waitcnt vmcnt(0)
	v_add_f64 v[3:4], v[134:135], -v[3:4]
	buffer_store_dword v2, off, s[0:3], 0 offset:660
	buffer_store_dword v1, off, s[0:3], 0 offset:656
	;; [unrolled: 1-line block ×4, first 2 shown]
	v_cmpx_lt_u32_e32 39, v0
	s_cbranch_execz .LBB110_217
; %bb.216:
	v_mov_b32_e32 v4, s19
	v_mov_b32_e32 v5, 0
	s_clause 0x3
	buffer_load_dword v1, v4, s[0:3], 0 offen
	buffer_load_dword v2, v4, s[0:3], 0 offen offset:4
	buffer_load_dword v3, v4, s[0:3], 0 offen offset:8
	;; [unrolled: 1-line block ×3, first 2 shown]
	buffer_store_dword v5, off, s[0:3], 0 offset:640
	buffer_store_dword v5, off, s[0:3], 0 offset:644
	;; [unrolled: 1-line block ×4, first 2 shown]
	s_waitcnt vmcnt(0)
	ds_write_b128 v7, v[1:4]
.LBB110_217:
	s_or_b32 exec_lo, exec_lo, s4
	s_waitcnt lgkmcnt(0)
	s_waitcnt_vscnt null, 0x0
	s_barrier
	buffer_gl0_inv
	s_clause 0x1f
	buffer_load_dword v106, off, s[0:3], 0 offset:664
	buffer_load_dword v107, off, s[0:3], 0 offset:668
	;; [unrolled: 1-line block ×32, first 2 shown]
	v_mov_b32_e32 v1, 0
	ds_read_b128 v[2:5], v1 offset:1392
	ds_read_b128 v[102:105], v1 offset:1408
	s_mov_b32 s4, exec_lo
	s_waitcnt vmcnt(30) lgkmcnt(1)
	v_mul_f64 v[140:141], v[4:5], v[106:107]
	v_mul_f64 v[142:143], v[2:3], v[106:107]
	s_waitcnt vmcnt(28) lgkmcnt(0)
	v_mul_f64 v[144:145], v[104:105], v[110:111]
	ds_read_b128 v[106:109], v1 offset:1424
	v_mul_f64 v[110:111], v[102:103], v[110:111]
	s_waitcnt vmcnt(26)
	v_fma_f64 v[140:141], v[2:3], v[112:113], -v[140:141]
	v_fma_f64 v[112:113], v[4:5], v[112:113], v[142:143]
	ds_read_b128 v[2:5], v1 offset:1440
	s_waitcnt vmcnt(24) lgkmcnt(1)
	v_mul_f64 v[142:143], v[106:107], v[114:115]
	v_mul_f64 v[114:115], v[108:109], v[114:115]
	s_waitcnt vmcnt(22)
	v_fma_f64 v[144:145], v[102:103], v[116:117], -v[144:145]
	v_fma_f64 v[110:111], v[104:105], v[116:117], v[110:111]
	ds_read_b128 v[102:105], v1 offset:1456
	s_waitcnt vmcnt(18) lgkmcnt(1)
	v_mul_f64 v[116:117], v[2:3], v[118:119]
	v_add_f64 v[140:141], v[140:141], 0
	v_add_f64 v[112:113], v[112:113], 0
	v_mul_f64 v[118:119], v[4:5], v[118:119]
	s_waitcnt vmcnt(16)
	v_fma_f64 v[114:115], v[106:107], v[124:125], -v[114:115]
	v_fma_f64 v[124:125], v[108:109], v[124:125], v[142:143]
	ds_read_b128 v[106:109], v1 offset:1472
	s_waitcnt vmcnt(13)
	v_fma_f64 v[116:117], v[4:5], v[126:127], v[116:117]
	v_add_f64 v[140:141], v[140:141], v[144:145]
	v_add_f64 v[110:111], v[112:113], v[110:111]
	s_waitcnt lgkmcnt(1)
	v_mul_f64 v[112:113], v[102:103], v[120:121]
	v_mul_f64 v[120:121], v[104:105], v[120:121]
	v_fma_f64 v[118:119], v[2:3], v[126:127], -v[118:119]
	s_waitcnt vmcnt(9) lgkmcnt(0)
	v_mul_f64 v[126:127], v[108:109], v[128:129]
	ds_read_b128 v[2:5], v1 offset:1488
	v_add_f64 v[114:115], v[140:141], v[114:115]
	v_add_f64 v[110:111], v[110:111], v[124:125]
	v_mul_f64 v[124:125], v[106:107], v[128:129]
	s_waitcnt vmcnt(8)
	v_fma_f64 v[102:103], v[102:103], v[122:123], -v[120:121]
	v_fma_f64 v[104:105], v[104:105], v[122:123], v[112:113]
	s_waitcnt vmcnt(5)
	v_fma_f64 v[106:107], v[106:107], v[134:135], -v[126:127]
	s_waitcnt lgkmcnt(0)
	v_mul_f64 v[112:113], v[2:3], v[130:131]
	v_add_f64 v[114:115], v[114:115], v[118:119]
	v_add_f64 v[110:111], v[110:111], v[116:117]
	v_mul_f64 v[116:117], v[4:5], v[130:131]
	v_fma_f64 v[108:109], v[108:109], v[134:135], v[124:125]
	s_waitcnt vmcnt(4)
	v_fma_f64 v[4:5], v[4:5], v[132:133], v[112:113]
	v_add_f64 v[102:103], v[114:115], v[102:103]
	v_add_f64 v[104:105], v[110:111], v[104:105]
	v_fma_f64 v[2:3], v[2:3], v[132:133], -v[116:117]
	v_add_f64 v[102:103], v[102:103], v[106:107]
	v_add_f64 v[104:105], v[104:105], v[108:109]
	;; [unrolled: 1-line block ×4, first 2 shown]
	s_waitcnt vmcnt(2)
	v_add_f64 v[2:3], v[136:137], -v[2:3]
	s_waitcnt vmcnt(0)
	v_add_f64 v[4:5], v[138:139], -v[4:5]
	buffer_store_dword v3, off, s[0:3], 0 offset:644
	buffer_store_dword v2, off, s[0:3], 0 offset:640
	;; [unrolled: 1-line block ×4, first 2 shown]
	v_cmpx_lt_u32_e32 38, v0
	s_cbranch_execz .LBB110_219
; %bb.218:
	v_mov_b32_e32 v5, s20
	s_clause 0x3
	buffer_load_dword v2, v5, s[0:3], 0 offen
	buffer_load_dword v3, v5, s[0:3], 0 offen offset:4
	buffer_load_dword v4, v5, s[0:3], 0 offen offset:8
	;; [unrolled: 1-line block ×3, first 2 shown]
	buffer_store_dword v1, off, s[0:3], 0 offset:624
	buffer_store_dword v1, off, s[0:3], 0 offset:628
	;; [unrolled: 1-line block ×4, first 2 shown]
	s_waitcnt vmcnt(0)
	ds_write_b128 v7, v[2:5]
.LBB110_219:
	s_or_b32 exec_lo, exec_lo, s4
	s_waitcnt lgkmcnt(0)
	s_waitcnt_vscnt null, 0x0
	s_barrier
	buffer_gl0_inv
	s_clause 0x23
	buffer_load_dword v106, off, s[0:3], 0 offset:648
	buffer_load_dword v107, off, s[0:3], 0 offset:652
	;; [unrolled: 1-line block ×36, first 2 shown]
	ds_read_b128 v[2:5], v1 offset:1376
	ds_read_b128 v[102:105], v1 offset:1392
	s_mov_b32 s4, exec_lo
	s_waitcnt vmcnt(34) lgkmcnt(1)
	v_mul_f64 v[144:145], v[4:5], v[106:107]
	v_mul_f64 v[146:147], v[2:3], v[106:107]
	s_waitcnt vmcnt(32) lgkmcnt(0)
	v_mul_f64 v[148:149], v[104:105], v[110:111]
	ds_read_b128 v[106:109], v1 offset:1408
	v_mul_f64 v[110:111], v[102:103], v[110:111]
	s_waitcnt vmcnt(30)
	v_fma_f64 v[144:145], v[2:3], v[112:113], -v[144:145]
	v_fma_f64 v[112:113], v[4:5], v[112:113], v[146:147]
	ds_read_b128 v[2:5], v1 offset:1424
	s_waitcnt vmcnt(28) lgkmcnt(1)
	v_mul_f64 v[146:147], v[106:107], v[114:115]
	v_mul_f64 v[114:115], v[108:109], v[114:115]
	s_waitcnt vmcnt(26)
	v_fma_f64 v[148:149], v[102:103], v[116:117], -v[148:149]
	v_fma_f64 v[110:111], v[104:105], v[116:117], v[110:111]
	ds_read_b128 v[102:105], v1 offset:1440
	s_waitcnt vmcnt(22) lgkmcnt(1)
	v_mul_f64 v[116:117], v[2:3], v[118:119]
	v_add_f64 v[144:145], v[144:145], 0
	v_add_f64 v[112:113], v[112:113], 0
	v_mul_f64 v[118:119], v[4:5], v[118:119]
	s_waitcnt vmcnt(20)
	v_fma_f64 v[114:115], v[106:107], v[124:125], -v[114:115]
	v_fma_f64 v[124:125], v[108:109], v[124:125], v[146:147]
	ds_read_b128 v[106:109], v1 offset:1456
	s_waitcnt vmcnt(17)
	v_fma_f64 v[116:117], v[4:5], v[126:127], v[116:117]
	v_add_f64 v[144:145], v[144:145], v[148:149]
	v_add_f64 v[110:111], v[112:113], v[110:111]
	s_waitcnt lgkmcnt(1)
	v_mul_f64 v[112:113], v[102:103], v[120:121]
	v_mul_f64 v[120:121], v[104:105], v[120:121]
	v_fma_f64 v[118:119], v[2:3], v[126:127], -v[118:119]
	s_waitcnt vmcnt(13) lgkmcnt(0)
	v_mul_f64 v[126:127], v[108:109], v[128:129]
	ds_read_b128 v[2:5], v1 offset:1472
	v_add_f64 v[114:115], v[144:145], v[114:115]
	v_add_f64 v[110:111], v[110:111], v[124:125]
	v_mul_f64 v[124:125], v[106:107], v[128:129]
	s_waitcnt vmcnt(12)
	v_fma_f64 v[120:121], v[102:103], v[122:123], -v[120:121]
	v_fma_f64 v[112:113], v[104:105], v[122:123], v[112:113]
	ds_read_b128 v[102:105], v1 offset:1488
	s_waitcnt vmcnt(9)
	v_fma_f64 v[106:107], v[106:107], v[134:135], -v[126:127]
	v_add_f64 v[114:115], v[114:115], v[118:119]
	v_add_f64 v[110:111], v[110:111], v[116:117]
	s_waitcnt lgkmcnt(1)
	v_mul_f64 v[118:119], v[4:5], v[130:131]
	v_mul_f64 v[116:117], v[2:3], v[130:131]
	v_fma_f64 v[108:109], v[108:109], v[134:135], v[124:125]
	v_add_f64 v[114:115], v[114:115], v[120:121]
	v_add_f64 v[110:111], v[110:111], v[112:113]
	s_waitcnt vmcnt(7) lgkmcnt(0)
	v_mul_f64 v[120:121], v[104:105], v[136:137]
	s_waitcnt vmcnt(6)
	v_fma_f64 v[1:2], v[2:3], v[132:133], -v[118:119]
	v_mul_f64 v[112:113], v[102:103], v[136:137]
	v_fma_f64 v[3:4], v[4:5], v[132:133], v[116:117]
	v_add_f64 v[106:107], v[114:115], v[106:107]
	v_add_f64 v[5:6], v[110:111], v[108:109]
	s_waitcnt vmcnt(4)
	v_fma_f64 v[102:103], v[102:103], v[138:139], -v[120:121]
	v_fma_f64 v[104:105], v[104:105], v[138:139], v[112:113]
	v_add_f64 v[1:2], v[106:107], v[1:2]
	v_add_f64 v[3:4], v[5:6], v[3:4]
	;; [unrolled: 1-line block ×4, first 2 shown]
	s_waitcnt vmcnt(2)
	v_add_f64 v[1:2], v[140:141], -v[1:2]
	s_waitcnt vmcnt(0)
	v_add_f64 v[3:4], v[142:143], -v[3:4]
	buffer_store_dword v2, off, s[0:3], 0 offset:628
	buffer_store_dword v1, off, s[0:3], 0 offset:624
	;; [unrolled: 1-line block ×4, first 2 shown]
	v_cmpx_lt_u32_e32 37, v0
	s_cbranch_execz .LBB110_221
; %bb.220:
	v_mov_b32_e32 v4, s21
	v_mov_b32_e32 v5, 0
	s_clause 0x3
	buffer_load_dword v1, v4, s[0:3], 0 offen
	buffer_load_dword v2, v4, s[0:3], 0 offen offset:4
	buffer_load_dword v3, v4, s[0:3], 0 offen offset:8
	;; [unrolled: 1-line block ×3, first 2 shown]
	buffer_store_dword v5, off, s[0:3], 0 offset:608
	buffer_store_dword v5, off, s[0:3], 0 offset:612
	;; [unrolled: 1-line block ×4, first 2 shown]
	s_waitcnt vmcnt(0)
	ds_write_b128 v7, v[1:4]
.LBB110_221:
	s_or_b32 exec_lo, exec_lo, s4
	s_waitcnt lgkmcnt(0)
	s_waitcnt_vscnt null, 0x0
	s_barrier
	buffer_gl0_inv
	s_clause 0x27
	buffer_load_dword v106, off, s[0:3], 0 offset:632
	buffer_load_dword v107, off, s[0:3], 0 offset:636
	;; [unrolled: 1-line block ×40, first 2 shown]
	v_mov_b32_e32 v1, 0
	ds_read_b128 v[2:5], v1 offset:1360
	ds_read_b128 v[102:105], v1 offset:1376
	s_mov_b32 s4, exec_lo
	s_waitcnt vmcnt(38) lgkmcnt(1)
	v_mul_f64 v[148:149], v[4:5], v[106:107]
	v_mul_f64 v[150:151], v[2:3], v[106:107]
	s_waitcnt vmcnt(36) lgkmcnt(0)
	v_mul_f64 v[152:153], v[104:105], v[110:111]
	ds_read_b128 v[106:109], v1 offset:1392
	v_mul_f64 v[110:111], v[102:103], v[110:111]
	s_waitcnt vmcnt(34)
	v_fma_f64 v[148:149], v[2:3], v[112:113], -v[148:149]
	v_fma_f64 v[112:113], v[4:5], v[112:113], v[150:151]
	ds_read_b128 v[2:5], v1 offset:1408
	s_waitcnt vmcnt(32) lgkmcnt(1)
	v_mul_f64 v[150:151], v[106:107], v[114:115]
	v_mul_f64 v[114:115], v[108:109], v[114:115]
	s_waitcnt vmcnt(30)
	v_fma_f64 v[152:153], v[102:103], v[116:117], -v[152:153]
	v_fma_f64 v[110:111], v[104:105], v[116:117], v[110:111]
	ds_read_b128 v[102:105], v1 offset:1424
	s_waitcnt vmcnt(26) lgkmcnt(1)
	v_mul_f64 v[116:117], v[2:3], v[118:119]
	v_add_f64 v[148:149], v[148:149], 0
	v_add_f64 v[112:113], v[112:113], 0
	v_mul_f64 v[118:119], v[4:5], v[118:119]
	s_waitcnt vmcnt(24)
	v_fma_f64 v[114:115], v[106:107], v[124:125], -v[114:115]
	v_fma_f64 v[124:125], v[108:109], v[124:125], v[150:151]
	ds_read_b128 v[106:109], v1 offset:1440
	s_waitcnt vmcnt(21)
	v_fma_f64 v[116:117], v[4:5], v[126:127], v[116:117]
	v_add_f64 v[148:149], v[148:149], v[152:153]
	v_add_f64 v[110:111], v[112:113], v[110:111]
	s_waitcnt lgkmcnt(1)
	v_mul_f64 v[112:113], v[102:103], v[120:121]
	v_mul_f64 v[120:121], v[104:105], v[120:121]
	v_fma_f64 v[118:119], v[2:3], v[126:127], -v[118:119]
	s_waitcnt vmcnt(17) lgkmcnt(0)
	v_mul_f64 v[126:127], v[108:109], v[128:129]
	ds_read_b128 v[2:5], v1 offset:1456
	v_add_f64 v[114:115], v[148:149], v[114:115]
	v_add_f64 v[110:111], v[110:111], v[124:125]
	v_mul_f64 v[124:125], v[106:107], v[128:129]
	s_waitcnt vmcnt(16)
	v_fma_f64 v[120:121], v[102:103], v[122:123], -v[120:121]
	v_fma_f64 v[112:113], v[104:105], v[122:123], v[112:113]
	ds_read_b128 v[102:105], v1 offset:1472
	s_waitcnt vmcnt(13)
	v_fma_f64 v[122:123], v[106:107], v[134:135], -v[126:127]
	v_add_f64 v[114:115], v[114:115], v[118:119]
	v_add_f64 v[110:111], v[110:111], v[116:117]
	s_waitcnt lgkmcnt(1)
	v_mul_f64 v[118:119], v[4:5], v[130:131]
	v_mul_f64 v[116:117], v[2:3], v[130:131]
	v_add_f64 v[114:115], v[114:115], v[120:121]
	v_fma_f64 v[120:121], v[108:109], v[134:135], v[124:125]
	v_add_f64 v[110:111], v[110:111], v[112:113]
	s_waitcnt vmcnt(9) lgkmcnt(0)
	v_mul_f64 v[124:125], v[104:105], v[136:137]
	s_waitcnt vmcnt(8)
	v_fma_f64 v[2:3], v[2:3], v[132:133], -v[118:119]
	ds_read_b128 v[106:109], v1 offset:1488
	v_mul_f64 v[112:113], v[102:103], v[136:137]
	v_fma_f64 v[4:5], v[4:5], v[132:133], v[116:117]
	v_add_f64 v[114:115], v[114:115], v[122:123]
	v_add_f64 v[110:111], v[110:111], v[120:121]
	s_waitcnt vmcnt(7) lgkmcnt(0)
	v_mul_f64 v[118:119], v[108:109], v[138:139]
	s_waitcnt vmcnt(5)
	v_fma_f64 v[102:103], v[102:103], v[142:143], -v[124:125]
	v_mul_f64 v[116:117], v[106:107], v[138:139]
	v_fma_f64 v[104:105], v[104:105], v[142:143], v[112:113]
	v_add_f64 v[2:3], v[114:115], v[2:3]
	v_add_f64 v[4:5], v[110:111], v[4:5]
	s_waitcnt vmcnt(4)
	v_fma_f64 v[106:107], v[106:107], v[140:141], -v[118:119]
	v_add_f64 v[2:3], v[2:3], v[102:103]
	v_fma_f64 v[102:103], v[108:109], v[140:141], v[116:117]
	v_add_f64 v[4:5], v[4:5], v[104:105]
	v_add_f64 v[2:3], v[2:3], v[106:107]
	;; [unrolled: 1-line block ×3, first 2 shown]
	s_waitcnt vmcnt(2)
	v_add_f64 v[2:3], v[144:145], -v[2:3]
	s_waitcnt vmcnt(0)
	v_add_f64 v[4:5], v[146:147], -v[4:5]
	buffer_store_dword v3, off, s[0:3], 0 offset:612
	buffer_store_dword v2, off, s[0:3], 0 offset:608
	;; [unrolled: 1-line block ×4, first 2 shown]
	v_cmpx_lt_u32_e32 36, v0
	s_cbranch_execz .LBB110_223
; %bb.222:
	v_mov_b32_e32 v5, s22
	s_clause 0x3
	buffer_load_dword v2, v5, s[0:3], 0 offen
	buffer_load_dword v3, v5, s[0:3], 0 offen offset:4
	buffer_load_dword v4, v5, s[0:3], 0 offen offset:8
	;; [unrolled: 1-line block ×3, first 2 shown]
	buffer_store_dword v1, off, s[0:3], 0 offset:592
	buffer_store_dword v1, off, s[0:3], 0 offset:596
	buffer_store_dword v1, off, s[0:3], 0 offset:600
	buffer_store_dword v1, off, s[0:3], 0 offset:604
	s_waitcnt vmcnt(0)
	ds_write_b128 v7, v[2:5]
.LBB110_223:
	s_or_b32 exec_lo, exec_lo, s4
	s_waitcnt lgkmcnt(0)
	s_waitcnt_vscnt null, 0x0
	s_barrier
	buffer_gl0_inv
	s_clause 0x2b
	buffer_load_dword v106, off, s[0:3], 0 offset:616
	buffer_load_dword v107, off, s[0:3], 0 offset:620
	;; [unrolled: 1-line block ×44, first 2 shown]
	ds_read_b128 v[2:5], v1 offset:1344
	ds_read_b128 v[102:105], v1 offset:1360
	s_mov_b32 s4, exec_lo
	s_waitcnt vmcnt(42) lgkmcnt(1)
	v_mul_f64 v[152:153], v[4:5], v[106:107]
	v_mul_f64 v[154:155], v[2:3], v[106:107]
	s_waitcnt vmcnt(40) lgkmcnt(0)
	v_mul_f64 v[156:157], v[104:105], v[110:111]
	ds_read_b128 v[106:109], v1 offset:1376
	v_mul_f64 v[110:111], v[102:103], v[110:111]
	s_waitcnt vmcnt(38)
	v_fma_f64 v[152:153], v[2:3], v[112:113], -v[152:153]
	v_fma_f64 v[112:113], v[4:5], v[112:113], v[154:155]
	ds_read_b128 v[2:5], v1 offset:1392
	s_waitcnt vmcnt(36) lgkmcnt(1)
	v_mul_f64 v[154:155], v[106:107], v[114:115]
	v_mul_f64 v[114:115], v[108:109], v[114:115]
	s_waitcnt vmcnt(34)
	v_fma_f64 v[156:157], v[102:103], v[116:117], -v[156:157]
	v_fma_f64 v[110:111], v[104:105], v[116:117], v[110:111]
	ds_read_b128 v[102:105], v1 offset:1408
	s_waitcnt vmcnt(30) lgkmcnt(1)
	v_mul_f64 v[116:117], v[2:3], v[118:119]
	v_add_f64 v[152:153], v[152:153], 0
	v_add_f64 v[112:113], v[112:113], 0
	v_mul_f64 v[118:119], v[4:5], v[118:119]
	s_waitcnt vmcnt(28)
	v_fma_f64 v[114:115], v[106:107], v[124:125], -v[114:115]
	v_fma_f64 v[124:125], v[108:109], v[124:125], v[154:155]
	ds_read_b128 v[106:109], v1 offset:1424
	s_waitcnt vmcnt(25)
	v_fma_f64 v[116:117], v[4:5], v[126:127], v[116:117]
	v_add_f64 v[152:153], v[152:153], v[156:157]
	v_add_f64 v[110:111], v[112:113], v[110:111]
	s_waitcnt lgkmcnt(1)
	v_mul_f64 v[112:113], v[102:103], v[120:121]
	v_mul_f64 v[120:121], v[104:105], v[120:121]
	v_fma_f64 v[118:119], v[2:3], v[126:127], -v[118:119]
	s_waitcnt vmcnt(21) lgkmcnt(0)
	v_mul_f64 v[126:127], v[108:109], v[128:129]
	ds_read_b128 v[2:5], v1 offset:1440
	v_add_f64 v[114:115], v[152:153], v[114:115]
	v_add_f64 v[110:111], v[110:111], v[124:125]
	v_mul_f64 v[124:125], v[106:107], v[128:129]
	s_waitcnt vmcnt(20)
	v_fma_f64 v[120:121], v[102:103], v[122:123], -v[120:121]
	v_fma_f64 v[112:113], v[104:105], v[122:123], v[112:113]
	ds_read_b128 v[102:105], v1 offset:1456
	s_waitcnt vmcnt(17)
	v_fma_f64 v[122:123], v[106:107], v[134:135], -v[126:127]
	v_add_f64 v[114:115], v[114:115], v[118:119]
	v_add_f64 v[110:111], v[110:111], v[116:117]
	s_waitcnt lgkmcnt(1)
	v_mul_f64 v[118:119], v[4:5], v[130:131]
	v_mul_f64 v[116:117], v[2:3], v[130:131]
	v_add_f64 v[114:115], v[114:115], v[120:121]
	v_fma_f64 v[120:121], v[108:109], v[134:135], v[124:125]
	v_add_f64 v[110:111], v[110:111], v[112:113]
	s_waitcnt vmcnt(13) lgkmcnt(0)
	v_mul_f64 v[124:125], v[104:105], v[136:137]
	s_waitcnt vmcnt(12)
	v_fma_f64 v[118:119], v[2:3], v[132:133], -v[118:119]
	ds_read_b128 v[106:109], v1 offset:1472
	v_mul_f64 v[112:113], v[102:103], v[136:137]
	v_fma_f64 v[5:6], v[4:5], v[132:133], v[116:117]
	ds_read_b128 v[1:4], v1 offset:1488
	v_add_f64 v[114:115], v[114:115], v[122:123]
	v_add_f64 v[110:111], v[110:111], v[120:121]
	s_waitcnt vmcnt(11) lgkmcnt(1)
	v_mul_f64 v[120:121], v[108:109], v[138:139]
	s_waitcnt vmcnt(9)
	v_fma_f64 v[102:103], v[102:103], v[142:143], -v[124:125]
	v_mul_f64 v[116:117], v[106:107], v[138:139]
	v_fma_f64 v[104:105], v[104:105], v[142:143], v[112:113]
	s_waitcnt vmcnt(7) lgkmcnt(0)
	v_mul_f64 v[112:113], v[3:4], v[144:145]
	v_add_f64 v[114:115], v[114:115], v[118:119]
	v_add_f64 v[5:6], v[110:111], v[5:6]
	s_waitcnt vmcnt(6)
	v_fma_f64 v[106:107], v[106:107], v[140:141], -v[120:121]
	v_mul_f64 v[110:111], v[1:2], v[144:145]
	v_fma_f64 v[108:109], v[108:109], v[140:141], v[116:117]
	s_waitcnt vmcnt(4)
	v_fma_f64 v[1:2], v[1:2], v[146:147], -v[112:113]
	v_add_f64 v[102:103], v[114:115], v[102:103]
	v_add_f64 v[5:6], v[5:6], v[104:105]
	v_fma_f64 v[3:4], v[3:4], v[146:147], v[110:111]
	v_add_f64 v[102:103], v[102:103], v[106:107]
	v_add_f64 v[5:6], v[5:6], v[108:109]
	;; [unrolled: 1-line block ×4, first 2 shown]
	s_waitcnt vmcnt(2)
	v_add_f64 v[1:2], v[148:149], -v[1:2]
	s_waitcnt vmcnt(0)
	v_add_f64 v[3:4], v[150:151], -v[3:4]
	buffer_store_dword v2, off, s[0:3], 0 offset:596
	buffer_store_dword v1, off, s[0:3], 0 offset:592
	;; [unrolled: 1-line block ×4, first 2 shown]
	v_cmpx_lt_u32_e32 35, v0
	s_cbranch_execz .LBB110_225
; %bb.224:
	v_mov_b32_e32 v4, s23
	v_mov_b32_e32 v5, 0
	s_clause 0x3
	buffer_load_dword v1, v4, s[0:3], 0 offen
	buffer_load_dword v2, v4, s[0:3], 0 offen offset:4
	buffer_load_dword v3, v4, s[0:3], 0 offen offset:8
	;; [unrolled: 1-line block ×3, first 2 shown]
	buffer_store_dword v5, off, s[0:3], 0 offset:576
	buffer_store_dword v5, off, s[0:3], 0 offset:580
	;; [unrolled: 1-line block ×4, first 2 shown]
	s_waitcnt vmcnt(0)
	ds_write_b128 v7, v[1:4]
.LBB110_225:
	s_or_b32 exec_lo, exec_lo, s4
	s_waitcnt lgkmcnt(0)
	s_waitcnt_vscnt null, 0x0
	s_barrier
	buffer_gl0_inv
	s_clause 0x2f
	buffer_load_dword v106, off, s[0:3], 0 offset:600
	buffer_load_dword v107, off, s[0:3], 0 offset:604
	;; [unrolled: 1-line block ×48, first 2 shown]
	v_mov_b32_e32 v1, 0
	s_mov_b32 s4, exec_lo
	ds_read_b128 v[2:5], v1 offset:1328
	ds_read_b128 v[102:105], v1 offset:1344
	s_waitcnt vmcnt(46) lgkmcnt(1)
	v_mul_f64 v[156:157], v[4:5], v[106:107]
	v_mul_f64 v[158:159], v[2:3], v[106:107]
	s_waitcnt vmcnt(44) lgkmcnt(0)
	v_mul_f64 v[160:161], v[104:105], v[110:111]
	ds_read_b128 v[106:109], v1 offset:1360
	v_mul_f64 v[110:111], v[102:103], v[110:111]
	s_waitcnt vmcnt(42)
	v_fma_f64 v[156:157], v[2:3], v[112:113], -v[156:157]
	v_fma_f64 v[112:113], v[4:5], v[112:113], v[158:159]
	ds_read_b128 v[2:5], v1 offset:1376
	s_waitcnt vmcnt(40) lgkmcnt(1)
	v_mul_f64 v[158:159], v[106:107], v[114:115]
	v_mul_f64 v[114:115], v[108:109], v[114:115]
	s_waitcnt vmcnt(38)
	v_fma_f64 v[160:161], v[102:103], v[116:117], -v[160:161]
	v_fma_f64 v[110:111], v[104:105], v[116:117], v[110:111]
	ds_read_b128 v[102:105], v1 offset:1392
	s_waitcnt vmcnt(36) lgkmcnt(1)
	v_mul_f64 v[116:117], v[2:3], v[118:119]
	v_add_f64 v[156:157], v[156:157], 0
	v_add_f64 v[112:113], v[112:113], 0
	v_mul_f64 v[118:119], v[4:5], v[118:119]
	s_waitcnt vmcnt(34)
	v_fma_f64 v[114:115], v[106:107], v[120:121], -v[114:115]
	v_fma_f64 v[120:121], v[108:109], v[120:121], v[158:159]
	ds_read_b128 v[106:109], v1 offset:1408
	s_waitcnt vmcnt(30)
	v_fma_f64 v[116:117], v[4:5], v[124:125], v[116:117]
	v_add_f64 v[156:157], v[156:157], v[160:161]
	v_add_f64 v[110:111], v[112:113], v[110:111]
	s_waitcnt lgkmcnt(1)
	v_mul_f64 v[112:113], v[102:103], v[122:123]
	v_mul_f64 v[122:123], v[104:105], v[122:123]
	v_fma_f64 v[118:119], v[2:3], v[124:125], -v[118:119]
	s_waitcnt vmcnt(28) lgkmcnt(0)
	v_mul_f64 v[124:125], v[108:109], v[126:127]
	ds_read_b128 v[2:5], v1 offset:1424
	v_add_f64 v[114:115], v[156:157], v[114:115]
	v_add_f64 v[110:111], v[110:111], v[120:121]
	v_mul_f64 v[120:121], v[106:107], v[126:127]
	s_waitcnt vmcnt(26)
	v_fma_f64 v[122:123], v[102:103], v[128:129], -v[122:123]
	v_fma_f64 v[112:113], v[104:105], v[128:129], v[112:113]
	ds_read_b128 v[102:105], v1 offset:1440
	s_waitcnt vmcnt(22)
	v_fma_f64 v[124:125], v[106:107], v[132:133], -v[124:125]
	v_add_f64 v[114:115], v[114:115], v[118:119]
	v_add_f64 v[110:111], v[110:111], v[116:117]
	s_waitcnt lgkmcnt(1)
	v_mul_f64 v[118:119], v[4:5], v[130:131]
	v_mul_f64 v[116:117], v[2:3], v[130:131]
	v_fma_f64 v[120:121], v[108:109], v[132:133], v[120:121]
	ds_read_b128 v[106:109], v1 offset:1456
	v_add_f64 v[114:115], v[114:115], v[122:123]
	v_add_f64 v[110:111], v[110:111], v[112:113]
	s_waitcnt vmcnt(20) lgkmcnt(1)
	v_mul_f64 v[122:123], v[104:105], v[134:135]
	s_waitcnt vmcnt(18)
	v_fma_f64 v[118:119], v[2:3], v[136:137], -v[118:119]
	v_mul_f64 v[112:113], v[102:103], v[134:135]
	v_fma_f64 v[116:117], v[4:5], v[136:137], v[116:117]
	ds_read_b128 v[2:5], v1 offset:1472
	v_add_f64 v[114:115], v[114:115], v[124:125]
	v_add_f64 v[110:111], v[110:111], v[120:121]
	s_waitcnt vmcnt(16) lgkmcnt(1)
	v_mul_f64 v[124:125], v[108:109], v[138:139]
	s_waitcnt vmcnt(14)
	v_fma_f64 v[122:123], v[102:103], v[140:141], -v[122:123]
	;; [unrolled: 9-line block ×3, first 2 shown]
	v_mul_f64 v[116:117], v[2:3], v[142:143]
	v_fma_f64 v[108:109], v[108:109], v[144:145], v[120:121]
	s_waitcnt vmcnt(8) lgkmcnt(0)
	v_mul_f64 v[120:121], v[104:105], v[146:147]
	v_add_f64 v[114:115], v[114:115], v[122:123]
	v_add_f64 v[110:111], v[110:111], v[112:113]
	s_waitcnt vmcnt(6)
	v_fma_f64 v[2:3], v[2:3], v[148:149], -v[118:119]
	v_mul_f64 v[112:113], v[102:103], v[146:147]
	v_fma_f64 v[4:5], v[4:5], v[148:149], v[116:117]
	s_waitcnt vmcnt(4)
	v_fma_f64 v[102:103], v[102:103], v[150:151], -v[120:121]
	v_add_f64 v[106:107], v[114:115], v[106:107]
	v_add_f64 v[108:109], v[110:111], v[108:109]
	v_fma_f64 v[104:105], v[104:105], v[150:151], v[112:113]
	v_add_f64 v[2:3], v[106:107], v[2:3]
	v_add_f64 v[4:5], v[108:109], v[4:5]
	;; [unrolled: 1-line block ×4, first 2 shown]
	s_waitcnt vmcnt(2)
	v_add_f64 v[2:3], v[152:153], -v[2:3]
	s_waitcnt vmcnt(0)
	v_add_f64 v[4:5], v[154:155], -v[4:5]
	buffer_store_dword v3, off, s[0:3], 0 offset:580
	buffer_store_dword v2, off, s[0:3], 0 offset:576
	;; [unrolled: 1-line block ×4, first 2 shown]
	v_cmpx_lt_u32_e32 34, v0
	s_cbranch_execz .LBB110_227
; %bb.226:
	v_mov_b32_e32 v5, s24
	s_clause 0x3
	buffer_load_dword v2, v5, s[0:3], 0 offen
	buffer_load_dword v3, v5, s[0:3], 0 offen offset:4
	buffer_load_dword v4, v5, s[0:3], 0 offen offset:8
	;; [unrolled: 1-line block ×3, first 2 shown]
	buffer_store_dword v1, off, s[0:3], 0 offset:560
	buffer_store_dword v1, off, s[0:3], 0 offset:564
	;; [unrolled: 1-line block ×4, first 2 shown]
	s_waitcnt vmcnt(0)
	ds_write_b128 v7, v[2:5]
.LBB110_227:
	s_or_b32 exec_lo, exec_lo, s4
	s_waitcnt lgkmcnt(0)
	s_waitcnt_vscnt null, 0x0
	s_barrier
	buffer_gl0_inv
	s_clause 0x2f
	buffer_load_dword v106, off, s[0:3], 0 offset:584
	buffer_load_dword v107, off, s[0:3], 0 offset:588
	buffer_load_dword v110, off, s[0:3], 0 offset:600
	buffer_load_dword v111, off, s[0:3], 0 offset:604
	buffer_load_dword v112, off, s[0:3], 0 offset:576
	buffer_load_dword v113, off, s[0:3], 0 offset:580
	buffer_load_dword v114, off, s[0:3], 0 offset:616
	buffer_load_dword v115, off, s[0:3], 0 offset:620
	buffer_load_dword v116, off, s[0:3], 0 offset:592
	buffer_load_dword v117, off, s[0:3], 0 offset:596
	buffer_load_dword v119, off, s[0:3], 0 offset:636
	buffer_load_dword v120, off, s[0:3], 0 offset:648
	buffer_load_dword v122, off, s[0:3], 0 offset:640
	buffer_load_dword v118, off, s[0:3], 0 offset:632
	buffer_load_dword v124, off, s[0:3], 0 offset:608
	buffer_load_dword v125, off, s[0:3], 0 offset:612
	buffer_load_dword v121, off, s[0:3], 0 offset:652
	buffer_load_dword v127, off, s[0:3], 0 offset:628
	buffer_load_dword v126, off, s[0:3], 0 offset:624
	buffer_load_dword v129, off, s[0:3], 0 offset:668
	buffer_load_dword v130, off, s[0:3], 0 offset:680
	buffer_load_dword v132, off, s[0:3], 0 offset:672
	buffer_load_dword v128, off, s[0:3], 0 offset:664
	buffer_load_dword v123, off, s[0:3], 0 offset:644
	buffer_load_dword v131, off, s[0:3], 0 offset:684
	buffer_load_dword v135, off, s[0:3], 0 offset:660
	buffer_load_dword v134, off, s[0:3], 0 offset:656
	buffer_load_dword v137, off, s[0:3], 0 offset:700
	buffer_load_dword v138, off, s[0:3], 0 offset:712
	buffer_load_dword v140, off, s[0:3], 0 offset:704
	buffer_load_dword v136, off, s[0:3], 0 offset:696
	buffer_load_dword v133, off, s[0:3], 0 offset:676
	buffer_load_dword v139, off, s[0:3], 0 offset:716
	buffer_load_dword v143, off, s[0:3], 0 offset:692
	buffer_load_dword v142, off, s[0:3], 0 offset:688
	buffer_load_dword v145, off, s[0:3], 0 offset:732
	buffer_load_dword v146, off, s[0:3], 0 offset:744
	buffer_load_dword v148, off, s[0:3], 0 offset:736
	buffer_load_dword v144, off, s[0:3], 0 offset:728
	buffer_load_dword v141, off, s[0:3], 0 offset:708
	buffer_load_dword v147, off, s[0:3], 0 offset:748
	buffer_load_dword v151, off, s[0:3], 0 offset:724
	buffer_load_dword v150, off, s[0:3], 0 offset:720
	buffer_load_dword v153, off, s[0:3], 0 offset:764
	buffer_load_dword v152, off, s[0:3], 0 offset:760
	buffer_load_dword v149, off, s[0:3], 0 offset:740
	buffer_load_dword v155, off, s[0:3], 0 offset:756
	buffer_load_dword v154, off, s[0:3], 0 offset:752
	ds_read_b128 v[2:5], v1 offset:1312
	s_clause 0x3
	buffer_load_dword v156, off, s[0:3], 0 offset:560
	buffer_load_dword v157, off, s[0:3], 0 offset:564
	;; [unrolled: 1-line block ×4, first 2 shown]
	ds_read_b128 v[102:105], v1 offset:1328
	s_mov_b32 s4, exec_lo
	s_waitcnt vmcnt(50) lgkmcnt(1)
	v_mul_f64 v[160:161], v[4:5], v[106:107]
	v_mul_f64 v[162:163], v[2:3], v[106:107]
	ds_read_b128 v[106:109], v1 offset:1344
	s_waitcnt vmcnt(48) lgkmcnt(1)
	v_mul_f64 v[164:165], v[104:105], v[110:111]
	v_mul_f64 v[110:111], v[102:103], v[110:111]
	s_waitcnt vmcnt(46)
	v_fma_f64 v[160:161], v[2:3], v[112:113], -v[160:161]
	v_fma_f64 v[112:113], v[4:5], v[112:113], v[162:163]
	s_waitcnt vmcnt(44) lgkmcnt(0)
	v_mul_f64 v[162:163], v[106:107], v[114:115]
	v_mul_f64 v[114:115], v[108:109], v[114:115]
	s_waitcnt vmcnt(42)
	v_fma_f64 v[164:165], v[102:103], v[116:117], -v[164:165]
	ds_read_b128 v[2:5], v1 offset:1360
	v_fma_f64 v[110:111], v[104:105], v[116:117], v[110:111]
	ds_read_b128 v[102:105], v1 offset:1376
	v_add_f64 v[160:161], v[160:161], 0
	v_add_f64 v[112:113], v[112:113], 0
	s_waitcnt vmcnt(38) lgkmcnt(1)
	v_mul_f64 v[116:117], v[2:3], v[118:119]
	v_mul_f64 v[118:119], v[4:5], v[118:119]
	s_waitcnt vmcnt(36)
	v_fma_f64 v[114:115], v[106:107], v[124:125], -v[114:115]
	v_fma_f64 v[124:125], v[108:109], v[124:125], v[162:163]
	ds_read_b128 v[106:109], v1 offset:1392
	v_add_f64 v[160:161], v[160:161], v[164:165]
	v_add_f64 v[110:111], v[112:113], v[110:111]
	s_waitcnt vmcnt(35) lgkmcnt(1)
	v_mul_f64 v[112:113], v[102:103], v[120:121]
	v_mul_f64 v[120:121], v[104:105], v[120:121]
	s_waitcnt vmcnt(33)
	v_fma_f64 v[118:119], v[2:3], v[126:127], -v[118:119]
	v_fma_f64 v[116:117], v[4:5], v[126:127], v[116:117]
	ds_read_b128 v[2:5], v1 offset:1408
	s_waitcnt vmcnt(29) lgkmcnt(1)
	v_mul_f64 v[126:127], v[108:109], v[128:129]
	v_add_f64 v[114:115], v[160:161], v[114:115]
	v_add_f64 v[110:111], v[110:111], v[124:125]
	v_mul_f64 v[124:125], v[106:107], v[128:129]
	s_waitcnt vmcnt(28)
	v_fma_f64 v[120:121], v[102:103], v[122:123], -v[120:121]
	v_fma_f64 v[112:113], v[104:105], v[122:123], v[112:113]
	ds_read_b128 v[102:105], v1 offset:1424
	s_waitcnt vmcnt(25)
	v_fma_f64 v[122:123], v[106:107], v[134:135], -v[126:127]
	v_add_f64 v[114:115], v[114:115], v[118:119]
	v_add_f64 v[110:111], v[110:111], v[116:117]
	s_waitcnt lgkmcnt(1)
	v_mul_f64 v[118:119], v[4:5], v[130:131]
	v_mul_f64 v[116:117], v[2:3], v[130:131]
	v_add_f64 v[114:115], v[114:115], v[120:121]
	v_fma_f64 v[120:121], v[108:109], v[134:135], v[124:125]
	v_add_f64 v[110:111], v[110:111], v[112:113]
	ds_read_b128 v[106:109], v1 offset:1440
	s_waitcnt vmcnt(21) lgkmcnt(1)
	v_mul_f64 v[124:125], v[104:105], v[136:137]
	s_waitcnt vmcnt(20)
	v_fma_f64 v[118:119], v[2:3], v[132:133], -v[118:119]
	v_mul_f64 v[112:113], v[102:103], v[136:137]
	v_fma_f64 v[116:117], v[4:5], v[132:133], v[116:117]
	ds_read_b128 v[2:5], v1 offset:1456
	v_add_f64 v[114:115], v[114:115], v[122:123]
	s_waitcnt vmcnt(19) lgkmcnt(1)
	v_mul_f64 v[122:123], v[108:109], v[138:139]
	v_add_f64 v[110:111], v[110:111], v[120:121]
	v_mul_f64 v[120:121], v[106:107], v[138:139]
	s_waitcnt vmcnt(17)
	v_fma_f64 v[124:125], v[102:103], v[142:143], -v[124:125]
	v_fma_f64 v[112:113], v[104:105], v[142:143], v[112:113]
	ds_read_b128 v[102:105], v1 offset:1472
	v_add_f64 v[114:115], v[114:115], v[118:119]
	s_waitcnt vmcnt(13) lgkmcnt(1)
	v_mul_f64 v[118:119], v[4:5], v[144:145]
	v_add_f64 v[110:111], v[110:111], v[116:117]
	s_waitcnt vmcnt(12)
	v_fma_f64 v[122:123], v[106:107], v[140:141], -v[122:123]
	v_mul_f64 v[116:117], v[2:3], v[144:145]
	v_fma_f64 v[120:121], v[108:109], v[140:141], v[120:121]
	ds_read_b128 v[106:109], v1 offset:1488
	v_add_f64 v[114:115], v[114:115], v[124:125]
	s_waitcnt vmcnt(11) lgkmcnt(1)
	v_mul_f64 v[124:125], v[104:105], v[146:147]
	v_add_f64 v[110:111], v[110:111], v[112:113]
	s_waitcnt vmcnt(9)
	v_fma_f64 v[1:2], v[2:3], v[150:151], -v[118:119]
	v_mul_f64 v[112:113], v[102:103], v[146:147]
	v_fma_f64 v[3:4], v[4:5], v[150:151], v[116:117]
	s_waitcnt vmcnt(7) lgkmcnt(0)
	v_mul_f64 v[116:117], v[108:109], v[152:153]
	v_add_f64 v[114:115], v[114:115], v[122:123]
	s_waitcnt vmcnt(6)
	v_fma_f64 v[102:103], v[102:103], v[148:149], -v[124:125]
	v_add_f64 v[5:6], v[110:111], v[120:121]
	v_mul_f64 v[110:111], v[106:107], v[152:153]
	v_fma_f64 v[104:105], v[104:105], v[148:149], v[112:113]
	v_add_f64 v[1:2], v[114:115], v[1:2]
	v_add_f64 v[3:4], v[5:6], v[3:4]
	s_waitcnt vmcnt(4)
	v_fma_f64 v[5:6], v[106:107], v[154:155], -v[116:117]
	v_add_f64 v[1:2], v[1:2], v[102:103]
	v_fma_f64 v[102:103], v[108:109], v[154:155], v[110:111]
	v_add_f64 v[3:4], v[3:4], v[104:105]
	v_add_f64 v[1:2], v[1:2], v[5:6]
	;; [unrolled: 1-line block ×3, first 2 shown]
	s_waitcnt vmcnt(2)
	v_add_f64 v[1:2], v[156:157], -v[1:2]
	s_waitcnt vmcnt(0)
	v_add_f64 v[3:4], v[158:159], -v[3:4]
	buffer_store_dword v2, off, s[0:3], 0 offset:564
	buffer_store_dword v1, off, s[0:3], 0 offset:560
	;; [unrolled: 1-line block ×4, first 2 shown]
	v_cmpx_lt_u32_e32 33, v0
	s_cbranch_execz .LBB110_229
; %bb.228:
	v_mov_b32_e32 v4, s25
	v_mov_b32_e32 v5, 0
	s_clause 0x3
	buffer_load_dword v1, v4, s[0:3], 0 offen
	buffer_load_dword v2, v4, s[0:3], 0 offen offset:4
	buffer_load_dword v3, v4, s[0:3], 0 offen offset:8
	;; [unrolled: 1-line block ×3, first 2 shown]
	buffer_store_dword v5, off, s[0:3], 0 offset:544
	buffer_store_dword v5, off, s[0:3], 0 offset:548
	;; [unrolled: 1-line block ×4, first 2 shown]
	s_waitcnt vmcnt(0)
	ds_write_b128 v7, v[1:4]
.LBB110_229:
	s_or_b32 exec_lo, exec_lo, s4
	s_waitcnt lgkmcnt(0)
	s_waitcnt_vscnt null, 0x0
	s_barrier
	buffer_gl0_inv
	s_clause 0x33
	buffer_load_dword v106, off, s[0:3], 0 offset:568
	buffer_load_dword v107, off, s[0:3], 0 offset:572
	;; [unrolled: 1-line block ×52, first 2 shown]
	v_mov_b32_e32 v1, 0
	ds_read_b128 v[2:5], v1 offset:1296
	ds_read_b128 v[102:105], v1 offset:1312
	s_clause 0x3
	buffer_load_dword v164, off, s[0:3], 0 offset:544
	buffer_load_dword v165, off, s[0:3], 0 offset:548
	;; [unrolled: 1-line block ×4, first 2 shown]
	s_mov_b32 s4, exec_lo
	s_waitcnt vmcnt(54) lgkmcnt(1)
	v_mul_f64 v[160:161], v[4:5], v[106:107]
	v_mul_f64 v[162:163], v[2:3], v[106:107]
	s_waitcnt vmcnt(52) lgkmcnt(0)
	v_mul_f64 v[168:169], v[104:105], v[110:111]
	ds_read_b128 v[106:109], v1 offset:1328
	v_mul_f64 v[110:111], v[102:103], v[110:111]
	s_waitcnt vmcnt(50)
	v_fma_f64 v[160:161], v[2:3], v[112:113], -v[160:161]
	v_fma_f64 v[112:113], v[4:5], v[112:113], v[162:163]
	ds_read_b128 v[2:5], v1 offset:1344
	s_waitcnt vmcnt(48) lgkmcnt(1)
	v_mul_f64 v[162:163], v[106:107], v[114:115]
	v_mul_f64 v[114:115], v[108:109], v[114:115]
	s_waitcnt vmcnt(46)
	v_fma_f64 v[168:169], v[102:103], v[116:117], -v[168:169]
	v_fma_f64 v[110:111], v[104:105], v[116:117], v[110:111]
	ds_read_b128 v[102:105], v1 offset:1360
	s_waitcnt vmcnt(42) lgkmcnt(1)
	v_mul_f64 v[116:117], v[2:3], v[118:119]
	v_add_f64 v[160:161], v[160:161], 0
	v_add_f64 v[112:113], v[112:113], 0
	v_mul_f64 v[118:119], v[4:5], v[118:119]
	s_waitcnt vmcnt(40)
	v_fma_f64 v[114:115], v[106:107], v[124:125], -v[114:115]
	v_fma_f64 v[124:125], v[108:109], v[124:125], v[162:163]
	ds_read_b128 v[106:109], v1 offset:1376
	s_waitcnt vmcnt(37)
	v_fma_f64 v[116:117], v[4:5], v[126:127], v[116:117]
	v_add_f64 v[160:161], v[160:161], v[168:169]
	v_add_f64 v[110:111], v[112:113], v[110:111]
	s_waitcnt lgkmcnt(1)
	v_mul_f64 v[112:113], v[102:103], v[120:121]
	v_mul_f64 v[120:121], v[104:105], v[120:121]
	v_fma_f64 v[118:119], v[2:3], v[126:127], -v[118:119]
	s_waitcnt vmcnt(33) lgkmcnt(0)
	v_mul_f64 v[126:127], v[108:109], v[128:129]
	ds_read_b128 v[2:5], v1 offset:1392
	v_add_f64 v[114:115], v[160:161], v[114:115]
	v_add_f64 v[110:111], v[110:111], v[124:125]
	v_mul_f64 v[124:125], v[106:107], v[128:129]
	s_waitcnt vmcnt(32)
	v_fma_f64 v[120:121], v[102:103], v[122:123], -v[120:121]
	v_fma_f64 v[112:113], v[104:105], v[122:123], v[112:113]
	ds_read_b128 v[102:105], v1 offset:1408
	s_waitcnt vmcnt(29)
	v_fma_f64 v[122:123], v[106:107], v[134:135], -v[126:127]
	v_add_f64 v[114:115], v[114:115], v[118:119]
	v_add_f64 v[110:111], v[110:111], v[116:117]
	s_waitcnt lgkmcnt(1)
	v_mul_f64 v[118:119], v[4:5], v[130:131]
	v_mul_f64 v[116:117], v[2:3], v[130:131]
	v_add_f64 v[114:115], v[114:115], v[120:121]
	v_fma_f64 v[120:121], v[108:109], v[134:135], v[124:125]
	v_add_f64 v[110:111], v[110:111], v[112:113]
	s_waitcnt vmcnt(25) lgkmcnt(0)
	v_mul_f64 v[124:125], v[104:105], v[136:137]
	s_waitcnt vmcnt(24)
	v_fma_f64 v[118:119], v[2:3], v[132:133], -v[118:119]
	ds_read_b128 v[106:109], v1 offset:1424
	v_mul_f64 v[112:113], v[102:103], v[136:137]
	v_fma_f64 v[116:117], v[4:5], v[132:133], v[116:117]
	ds_read_b128 v[2:5], v1 offset:1440
	v_add_f64 v[114:115], v[114:115], v[122:123]
	v_add_f64 v[110:111], v[110:111], v[120:121]
	s_waitcnt vmcnt(23) lgkmcnt(1)
	v_mul_f64 v[122:123], v[108:109], v[138:139]
	s_waitcnt vmcnt(21)
	v_fma_f64 v[124:125], v[102:103], v[142:143], -v[124:125]
	v_mul_f64 v[120:121], v[106:107], v[138:139]
	v_fma_f64 v[112:113], v[104:105], v[142:143], v[112:113]
	ds_read_b128 v[102:105], v1 offset:1456
	v_add_f64 v[114:115], v[114:115], v[118:119]
	s_waitcnt vmcnt(17) lgkmcnt(1)
	v_mul_f64 v[118:119], v[4:5], v[144:145]
	v_add_f64 v[110:111], v[110:111], v[116:117]
	s_waitcnt vmcnt(16)
	v_fma_f64 v[122:123], v[106:107], v[140:141], -v[122:123]
	v_mul_f64 v[116:117], v[2:3], v[144:145]
	v_fma_f64 v[120:121], v[108:109], v[140:141], v[120:121]
	ds_read_b128 v[106:109], v1 offset:1472
	v_add_f64 v[114:115], v[114:115], v[124:125]
	s_waitcnt vmcnt(15) lgkmcnt(1)
	v_mul_f64 v[124:125], v[104:105], v[146:147]
	v_add_f64 v[110:111], v[110:111], v[112:113]
	;; [unrolled: 9-line block ×3, first 2 shown]
	s_waitcnt vmcnt(8)
	v_fma_f64 v[102:103], v[102:103], v[148:149], -v[124:125]
	v_mul_f64 v[120:121], v[106:107], v[152:153]
	v_fma_f64 v[104:105], v[104:105], v[148:149], v[112:113]
	s_waitcnt vmcnt(7) lgkmcnt(0)
	v_mul_f64 v[112:113], v[2:3], v[154:155]
	v_add_f64 v[114:115], v[114:115], v[118:119]
	s_waitcnt vmcnt(5)
	v_fma_f64 v[106:107], v[106:107], v[158:159], -v[122:123]
	v_add_f64 v[110:111], v[110:111], v[116:117]
	v_mul_f64 v[116:117], v[4:5], v[154:155]
	v_fma_f64 v[108:109], v[108:109], v[158:159], v[120:121]
	s_waitcnt vmcnt(4)
	v_fma_f64 v[4:5], v[4:5], v[156:157], v[112:113]
	v_add_f64 v[102:103], v[114:115], v[102:103]
	v_add_f64 v[104:105], v[110:111], v[104:105]
	v_fma_f64 v[2:3], v[2:3], v[156:157], -v[116:117]
	v_add_f64 v[102:103], v[102:103], v[106:107]
	v_add_f64 v[104:105], v[104:105], v[108:109]
	;; [unrolled: 1-line block ×4, first 2 shown]
	s_waitcnt vmcnt(2)
	v_add_f64 v[2:3], v[164:165], -v[2:3]
	s_waitcnt vmcnt(0)
	v_add_f64 v[4:5], v[166:167], -v[4:5]
	buffer_store_dword v3, off, s[0:3], 0 offset:548
	buffer_store_dword v2, off, s[0:3], 0 offset:544
	;; [unrolled: 1-line block ×4, first 2 shown]
	v_cmpx_lt_u32_e32 32, v0
	s_cbranch_execz .LBB110_231
; %bb.230:
	v_mov_b32_e32 v5, s26
	s_clause 0x3
	buffer_load_dword v2, v5, s[0:3], 0 offen
	buffer_load_dword v3, v5, s[0:3], 0 offen offset:4
	buffer_load_dword v4, v5, s[0:3], 0 offen offset:8
	buffer_load_dword v5, v5, s[0:3], 0 offen offset:12
	buffer_store_dword v1, off, s[0:3], 0 offset:528
	buffer_store_dword v1, off, s[0:3], 0 offset:532
	;; [unrolled: 1-line block ×4, first 2 shown]
	s_waitcnt vmcnt(0)
	ds_write_b128 v7, v[2:5]
.LBB110_231:
	s_or_b32 exec_lo, exec_lo, s4
	s_waitcnt lgkmcnt(0)
	s_waitcnt_vscnt null, 0x0
	s_barrier
	buffer_gl0_inv
	s_clause 0x35
	buffer_load_dword v106, off, s[0:3], 0 offset:552
	buffer_load_dword v107, off, s[0:3], 0 offset:556
	;; [unrolled: 1-line block ×54, first 2 shown]
	ds_read_b128 v[2:5], v1 offset:1280
	s_clause 0x1
	buffer_load_dword v163, off, s[0:3], 0 offset:756
	buffer_load_dword v162, off, s[0:3], 0 offset:752
	ds_read_b128 v[102:105], v1 offset:1296
	s_mov_b32 s4, exec_lo
	s_waitcnt vmcnt(54) lgkmcnt(1)
	v_mul_f64 v[164:165], v[4:5], v[106:107]
	v_mul_f64 v[166:167], v[2:3], v[106:107]
	ds_read_b128 v[106:109], v1 offset:1312
	s_waitcnt vmcnt(52) lgkmcnt(1)
	v_mul_f64 v[168:169], v[104:105], v[110:111]
	v_mul_f64 v[110:111], v[102:103], v[110:111]
	s_waitcnt vmcnt(48) lgkmcnt(0)
	v_mul_f64 v[172:173], v[106:107], v[114:115]
	v_fma_f64 v[164:165], v[2:3], v[112:113], -v[164:165]
	v_fma_f64 v[112:113], v[4:5], v[112:113], v[166:167]
	s_clause 0x3
	buffer_load_dword v166, off, s[0:3], 0 offset:528
	buffer_load_dword v167, off, s[0:3], 0 offset:532
	;; [unrolled: 1-line block ×4, first 2 shown]
	v_mul_f64 v[114:115], v[108:109], v[114:115]
	s_waitcnt vmcnt(50)
	v_fma_f64 v[168:169], v[102:103], v[116:117], -v[168:169]
	ds_read_b128 v[2:5], v1 offset:1328
	v_fma_f64 v[110:111], v[104:105], v[116:117], v[110:111]
	ds_read_b128 v[102:105], v1 offset:1344
	v_add_f64 v[164:165], v[164:165], 0
	v_add_f64 v[112:113], v[112:113], 0
	s_waitcnt vmcnt(46) lgkmcnt(1)
	v_mul_f64 v[116:117], v[2:3], v[118:119]
	v_mul_f64 v[118:119], v[4:5], v[118:119]
	s_waitcnt vmcnt(44)
	v_fma_f64 v[114:115], v[106:107], v[124:125], -v[114:115]
	v_fma_f64 v[124:125], v[108:109], v[124:125], v[172:173]
	ds_read_b128 v[106:109], v1 offset:1360
	v_add_f64 v[164:165], v[164:165], v[168:169]
	v_add_f64 v[110:111], v[112:113], v[110:111]
	s_waitcnt vmcnt(43) lgkmcnt(1)
	v_mul_f64 v[112:113], v[102:103], v[120:121]
	v_mul_f64 v[120:121], v[104:105], v[120:121]
	s_waitcnt vmcnt(41)
	v_fma_f64 v[118:119], v[2:3], v[126:127], -v[118:119]
	v_fma_f64 v[116:117], v[4:5], v[126:127], v[116:117]
	ds_read_b128 v[2:5], v1 offset:1376
	s_waitcnt vmcnt(37) lgkmcnt(1)
	v_mul_f64 v[126:127], v[108:109], v[128:129]
	v_add_f64 v[114:115], v[164:165], v[114:115]
	v_add_f64 v[110:111], v[110:111], v[124:125]
	v_mul_f64 v[124:125], v[106:107], v[128:129]
	s_waitcnt vmcnt(36)
	v_fma_f64 v[120:121], v[102:103], v[122:123], -v[120:121]
	v_fma_f64 v[112:113], v[104:105], v[122:123], v[112:113]
	ds_read_b128 v[102:105], v1 offset:1392
	s_waitcnt vmcnt(33)
	v_fma_f64 v[122:123], v[106:107], v[134:135], -v[126:127]
	v_add_f64 v[114:115], v[114:115], v[118:119]
	v_add_f64 v[110:111], v[110:111], v[116:117]
	s_waitcnt lgkmcnt(1)
	v_mul_f64 v[118:119], v[4:5], v[130:131]
	v_mul_f64 v[116:117], v[2:3], v[130:131]
	v_add_f64 v[114:115], v[114:115], v[120:121]
	v_fma_f64 v[120:121], v[108:109], v[134:135], v[124:125]
	v_add_f64 v[110:111], v[110:111], v[112:113]
	ds_read_b128 v[106:109], v1 offset:1408
	s_waitcnt vmcnt(29) lgkmcnt(1)
	v_mul_f64 v[124:125], v[104:105], v[136:137]
	s_waitcnt vmcnt(28)
	v_fma_f64 v[118:119], v[2:3], v[132:133], -v[118:119]
	v_mul_f64 v[112:113], v[102:103], v[136:137]
	v_fma_f64 v[116:117], v[4:5], v[132:133], v[116:117]
	ds_read_b128 v[2:5], v1 offset:1424
	v_add_f64 v[114:115], v[114:115], v[122:123]
	s_waitcnt vmcnt(27) lgkmcnt(1)
	v_mul_f64 v[122:123], v[108:109], v[138:139]
	v_add_f64 v[110:111], v[110:111], v[120:121]
	v_mul_f64 v[120:121], v[106:107], v[138:139]
	s_waitcnt vmcnt(25)
	v_fma_f64 v[124:125], v[102:103], v[142:143], -v[124:125]
	v_fma_f64 v[112:113], v[104:105], v[142:143], v[112:113]
	ds_read_b128 v[102:105], v1 offset:1440
	v_add_f64 v[114:115], v[114:115], v[118:119]
	s_waitcnt vmcnt(21) lgkmcnt(1)
	v_mul_f64 v[118:119], v[4:5], v[144:145]
	v_add_f64 v[110:111], v[110:111], v[116:117]
	s_waitcnt vmcnt(20)
	v_fma_f64 v[122:123], v[106:107], v[140:141], -v[122:123]
	v_mul_f64 v[116:117], v[2:3], v[144:145]
	v_fma_f64 v[120:121], v[108:109], v[140:141], v[120:121]
	ds_read_b128 v[106:109], v1 offset:1456
	v_add_f64 v[114:115], v[114:115], v[124:125]
	s_waitcnt vmcnt(19) lgkmcnt(1)
	v_mul_f64 v[124:125], v[104:105], v[146:147]
	v_add_f64 v[110:111], v[110:111], v[112:113]
	s_waitcnt vmcnt(17)
	v_fma_f64 v[118:119], v[2:3], v[150:151], -v[118:119]
	v_mul_f64 v[112:113], v[102:103], v[146:147]
	;; [unrolled: 9-line block ×4, first 2 shown]
	v_fma_f64 v[108:109], v[108:109], v[158:159], v[120:121]
	s_waitcnt vmcnt(7) lgkmcnt(0)
	v_mul_f64 v[120:121], v[104:105], v[160:161]
	v_add_f64 v[114:115], v[114:115], v[124:125]
	s_waitcnt vmcnt(6)
	v_fma_f64 v[1:2], v[2:3], v[156:157], -v[118:119]
	v_add_f64 v[110:111], v[110:111], v[112:113]
	v_mul_f64 v[112:113], v[102:103], v[160:161]
	v_fma_f64 v[3:4], v[4:5], v[156:157], v[116:117]
	s_waitcnt vmcnt(4)
	v_fma_f64 v[102:103], v[102:103], v[162:163], -v[120:121]
	v_add_f64 v[106:107], v[114:115], v[106:107]
	v_add_f64 v[5:6], v[110:111], v[108:109]
	v_fma_f64 v[104:105], v[104:105], v[162:163], v[112:113]
	v_add_f64 v[1:2], v[106:107], v[1:2]
	v_add_f64 v[3:4], v[5:6], v[3:4]
	;; [unrolled: 1-line block ×4, first 2 shown]
	s_waitcnt vmcnt(2)
	v_add_f64 v[1:2], v[166:167], -v[1:2]
	s_waitcnt vmcnt(0)
	v_add_f64 v[3:4], v[170:171], -v[3:4]
	buffer_store_dword v2, off, s[0:3], 0 offset:532
	buffer_store_dword v1, off, s[0:3], 0 offset:528
	;; [unrolled: 1-line block ×4, first 2 shown]
	v_cmpx_lt_u32_e32 31, v0
	s_cbranch_execz .LBB110_233
; %bb.232:
	v_mov_b32_e32 v4, s27
	v_mov_b32_e32 v5, 0
	s_clause 0x3
	buffer_load_dword v1, v4, s[0:3], 0 offen
	buffer_load_dword v2, v4, s[0:3], 0 offen offset:4
	buffer_load_dword v3, v4, s[0:3], 0 offen offset:8
	;; [unrolled: 1-line block ×3, first 2 shown]
	buffer_store_dword v5, off, s[0:3], 0 offset:512
	buffer_store_dword v5, off, s[0:3], 0 offset:516
	;; [unrolled: 1-line block ×4, first 2 shown]
	s_waitcnt vmcnt(0)
	ds_write_b128 v7, v[1:4]
.LBB110_233:
	s_or_b32 exec_lo, exec_lo, s4
	s_waitcnt lgkmcnt(0)
	s_waitcnt_vscnt null, 0x0
	s_barrier
	buffer_gl0_inv
	s_clause 0x37
	buffer_load_dword v106, off, s[0:3], 0 offset:536
	buffer_load_dword v107, off, s[0:3], 0 offset:540
	;; [unrolled: 1-line block ×56, first 2 shown]
	v_mov_b32_e32 v1, 0
	s_mov_b32 s4, exec_lo
	ds_read_b128 v[2:5], v1 offset:1264
	s_clause 0x2
	buffer_load_dword v163, off, s[0:3], 0 offset:764
	buffer_load_dword v167, off, s[0:3], 0 offset:740
	;; [unrolled: 1-line block ×3, first 2 shown]
	ds_read_b128 v[102:105], v1 offset:1280
	buffer_load_dword v165, off, s[0:3], 0 offset:756
	s_waitcnt vmcnt(58) lgkmcnt(1)
	v_mul_f64 v[168:169], v[4:5], v[106:107]
	v_mul_f64 v[170:171], v[2:3], v[106:107]
	ds_read_b128 v[106:109], v1 offset:1296
	s_waitcnt vmcnt(56) lgkmcnt(1)
	v_mul_f64 v[172:173], v[104:105], v[110:111]
	v_mul_f64 v[110:111], v[102:103], v[110:111]
	s_waitcnt vmcnt(54)
	v_fma_f64 v[168:169], v[2:3], v[112:113], -v[168:169]
	v_fma_f64 v[112:113], v[4:5], v[112:113], v[170:171]
	s_waitcnt vmcnt(52) lgkmcnt(0)
	v_mul_f64 v[170:171], v[106:107], v[114:115]
	v_mul_f64 v[114:115], v[108:109], v[114:115]
	s_waitcnt vmcnt(50)
	v_fma_f64 v[172:173], v[102:103], v[116:117], -v[172:173]
	ds_read_b128 v[2:5], v1 offset:1312
	v_fma_f64 v[110:111], v[104:105], v[116:117], v[110:111]
	s_clause 0x3
	buffer_load_dword v116, off, s[0:3], 0 offset:512
	buffer_load_dword v117, off, s[0:3], 0 offset:516
	;; [unrolled: 1-line block ×4, first 2 shown]
	ds_read_b128 v[102:105], v1 offset:1328
	v_add_f64 v[168:169], v[168:169], 0
	v_add_f64 v[112:113], v[112:113], 0
	s_waitcnt vmcnt(50) lgkmcnt(1)
	v_mul_f64 v[176:177], v[2:3], v[118:119]
	v_mul_f64 v[118:119], v[4:5], v[118:119]
	s_waitcnt vmcnt(48)
	v_fma_f64 v[114:115], v[106:107], v[124:125], -v[114:115]
	v_fma_f64 v[124:125], v[108:109], v[124:125], v[170:171]
	ds_read_b128 v[106:109], v1 offset:1344
	v_add_f64 v[168:169], v[168:169], v[172:173]
	v_add_f64 v[110:111], v[112:113], v[110:111]
	s_waitcnt vmcnt(47) lgkmcnt(1)
	v_mul_f64 v[112:113], v[102:103], v[120:121]
	v_mul_f64 v[120:121], v[104:105], v[120:121]
	s_waitcnt vmcnt(45)
	v_fma_f64 v[118:119], v[2:3], v[126:127], -v[118:119]
	v_fma_f64 v[126:127], v[4:5], v[126:127], v[176:177]
	ds_read_b128 v[2:5], v1 offset:1360
	v_add_f64 v[114:115], v[168:169], v[114:115]
	v_add_f64 v[110:111], v[110:111], v[124:125]
	s_waitcnt vmcnt(41) lgkmcnt(1)
	v_mul_f64 v[124:125], v[106:107], v[128:129]
	v_mul_f64 v[128:129], v[108:109], v[128:129]
	s_waitcnt vmcnt(40)
	v_fma_f64 v[120:121], v[102:103], v[122:123], -v[120:121]
	v_fma_f64 v[112:113], v[104:105], v[122:123], v[112:113]
	ds_read_b128 v[102:105], v1 offset:1376
	s_waitcnt vmcnt(39) lgkmcnt(1)
	v_mul_f64 v[122:123], v[4:5], v[130:131]
	v_add_f64 v[114:115], v[114:115], v[118:119]
	v_add_f64 v[110:111], v[110:111], v[126:127]
	v_mul_f64 v[118:119], v[2:3], v[130:131]
	s_waitcnt vmcnt(37)
	v_fma_f64 v[126:127], v[106:107], v[134:135], -v[128:129]
	s_waitcnt vmcnt(32)
	v_fma_f64 v[122:123], v[2:3], v[132:133], -v[122:123]
	v_add_f64 v[114:115], v[114:115], v[120:121]
	v_fma_f64 v[120:121], v[108:109], v[134:135], v[124:125]
	v_add_f64 v[110:111], v[110:111], v[112:113]
	s_waitcnt lgkmcnt(0)
	v_mul_f64 v[124:125], v[104:105], v[136:137]
	ds_read_b128 v[106:109], v1 offset:1392
	v_mul_f64 v[112:113], v[102:103], v[136:137]
	v_fma_f64 v[118:119], v[4:5], v[132:133], v[118:119]
	ds_read_b128 v[2:5], v1 offset:1408
	v_add_f64 v[114:115], v[114:115], v[126:127]
	v_add_f64 v[110:111], v[110:111], v[120:121]
	s_waitcnt vmcnt(31) lgkmcnt(1)
	v_mul_f64 v[126:127], v[108:109], v[138:139]
	s_waitcnt vmcnt(29)
	v_fma_f64 v[124:125], v[102:103], v[142:143], -v[124:125]
	v_mul_f64 v[120:121], v[106:107], v[138:139]
	v_fma_f64 v[112:113], v[104:105], v[142:143], v[112:113]
	ds_read_b128 v[102:105], v1 offset:1424
	v_add_f64 v[114:115], v[114:115], v[122:123]
	s_waitcnt vmcnt(25) lgkmcnt(1)
	v_mul_f64 v[122:123], v[4:5], v[144:145]
	v_add_f64 v[110:111], v[110:111], v[118:119]
	s_waitcnt vmcnt(24)
	v_fma_f64 v[126:127], v[106:107], v[140:141], -v[126:127]
	v_mul_f64 v[118:119], v[2:3], v[144:145]
	v_fma_f64 v[120:121], v[108:109], v[140:141], v[120:121]
	ds_read_b128 v[106:109], v1 offset:1440
	v_add_f64 v[114:115], v[114:115], v[124:125]
	s_waitcnt vmcnt(23) lgkmcnt(1)
	v_mul_f64 v[124:125], v[104:105], v[146:147]
	v_add_f64 v[110:111], v[110:111], v[112:113]
	;; [unrolled: 9-line block ×5, first 2 shown]
	s_waitcnt vmcnt(8)
	v_fma_f64 v[2:3], v[2:3], v[156:157], -v[122:123]
	v_mul_f64 v[112:113], v[102:103], v[160:161]
	v_fma_f64 v[4:5], v[4:5], v[156:157], v[118:119]
	s_waitcnt vmcnt(7) lgkmcnt(0)
	v_mul_f64 v[118:119], v[106:107], v[162:163]
	v_add_f64 v[114:115], v[114:115], v[126:127]
	s_waitcnt vmcnt(5)
	v_fma_f64 v[102:103], v[102:103], v[166:167], -v[124:125]
	v_add_f64 v[110:111], v[110:111], v[120:121]
	v_mul_f64 v[120:121], v[108:109], v[162:163]
	v_fma_f64 v[104:105], v[104:105], v[166:167], v[112:113]
	v_add_f64 v[2:3], v[114:115], v[2:3]
	v_add_f64 v[4:5], v[110:111], v[4:5]
	s_waitcnt vmcnt(4)
	v_fma_f64 v[106:107], v[106:107], v[164:165], -v[120:121]
	v_add_f64 v[2:3], v[2:3], v[102:103]
	v_fma_f64 v[102:103], v[108:109], v[164:165], v[118:119]
	v_add_f64 v[4:5], v[4:5], v[104:105]
	v_add_f64 v[2:3], v[2:3], v[106:107]
	;; [unrolled: 1-line block ×3, first 2 shown]
	s_waitcnt vmcnt(2)
	v_add_f64 v[2:3], v[116:117], -v[2:3]
	s_waitcnt vmcnt(0)
	v_add_f64 v[4:5], v[174:175], -v[4:5]
	buffer_store_dword v3, off, s[0:3], 0 offset:516
	buffer_store_dword v2, off, s[0:3], 0 offset:512
	;; [unrolled: 1-line block ×4, first 2 shown]
	v_cmpx_lt_u32_e32 30, v0
	s_cbranch_execz .LBB110_235
; %bb.234:
	v_mov_b32_e32 v5, s28
	s_clause 0x3
	buffer_load_dword v2, v5, s[0:3], 0 offen
	buffer_load_dword v3, v5, s[0:3], 0 offen offset:4
	buffer_load_dword v4, v5, s[0:3], 0 offen offset:8
	buffer_load_dword v5, v5, s[0:3], 0 offen offset:12
	buffer_store_dword v1, off, s[0:3], 0 offset:496
	buffer_store_dword v1, off, s[0:3], 0 offset:500
	;; [unrolled: 1-line block ×4, first 2 shown]
	s_waitcnt vmcnt(0)
	ds_write_b128 v7, v[2:5]
.LBB110_235:
	s_or_b32 exec_lo, exec_lo, s4
	s_waitcnt lgkmcnt(0)
	s_waitcnt_vscnt null, 0x0
	s_barrier
	buffer_gl0_inv
	s_clause 0x37
	buffer_load_dword v106, off, s[0:3], 0 offset:520
	buffer_load_dword v107, off, s[0:3], 0 offset:524
	buffer_load_dword v110, off, s[0:3], 0 offset:536
	buffer_load_dword v111, off, s[0:3], 0 offset:540
	buffer_load_dword v112, off, s[0:3], 0 offset:512
	buffer_load_dword v113, off, s[0:3], 0 offset:516
	buffer_load_dword v114, off, s[0:3], 0 offset:552
	buffer_load_dword v115, off, s[0:3], 0 offset:556
	buffer_load_dword v116, off, s[0:3], 0 offset:528
	buffer_load_dword v117, off, s[0:3], 0 offset:532
	buffer_load_dword v119, off, s[0:3], 0 offset:572
	buffer_load_dword v120, off, s[0:3], 0 offset:584
	buffer_load_dword v122, off, s[0:3], 0 offset:576
	buffer_load_dword v118, off, s[0:3], 0 offset:568
	buffer_load_dword v124, off, s[0:3], 0 offset:544
	buffer_load_dword v125, off, s[0:3], 0 offset:548
	buffer_load_dword v121, off, s[0:3], 0 offset:588
	buffer_load_dword v127, off, s[0:3], 0 offset:564
	buffer_load_dword v126, off, s[0:3], 0 offset:560
	buffer_load_dword v129, off, s[0:3], 0 offset:604
	buffer_load_dword v130, off, s[0:3], 0 offset:616
	buffer_load_dword v132, off, s[0:3], 0 offset:608
	buffer_load_dword v128, off, s[0:3], 0 offset:600
	buffer_load_dword v123, off, s[0:3], 0 offset:580
	buffer_load_dword v131, off, s[0:3], 0 offset:620
	buffer_load_dword v135, off, s[0:3], 0 offset:596
	buffer_load_dword v134, off, s[0:3], 0 offset:592
	buffer_load_dword v137, off, s[0:3], 0 offset:636
	buffer_load_dword v138, off, s[0:3], 0 offset:648
	buffer_load_dword v140, off, s[0:3], 0 offset:640
	buffer_load_dword v136, off, s[0:3], 0 offset:632
	buffer_load_dword v133, off, s[0:3], 0 offset:612
	buffer_load_dword v139, off, s[0:3], 0 offset:652
	buffer_load_dword v143, off, s[0:3], 0 offset:628
	buffer_load_dword v142, off, s[0:3], 0 offset:624
	buffer_load_dword v145, off, s[0:3], 0 offset:668
	buffer_load_dword v146, off, s[0:3], 0 offset:680
	buffer_load_dword v148, off, s[0:3], 0 offset:672
	buffer_load_dword v144, off, s[0:3], 0 offset:664
	buffer_load_dword v141, off, s[0:3], 0 offset:644
	buffer_load_dword v147, off, s[0:3], 0 offset:684
	buffer_load_dword v151, off, s[0:3], 0 offset:660
	buffer_load_dword v150, off, s[0:3], 0 offset:656
	buffer_load_dword v153, off, s[0:3], 0 offset:700
	buffer_load_dword v154, off, s[0:3], 0 offset:712
	buffer_load_dword v156, off, s[0:3], 0 offset:704
	buffer_load_dword v152, off, s[0:3], 0 offset:696
	buffer_load_dword v149, off, s[0:3], 0 offset:676
	buffer_load_dword v155, off, s[0:3], 0 offset:716
	buffer_load_dword v159, off, s[0:3], 0 offset:692
	buffer_load_dword v158, off, s[0:3], 0 offset:688
	buffer_load_dword v161, off, s[0:3], 0 offset:732
	buffer_load_dword v162, off, s[0:3], 0 offset:744
	buffer_load_dword v164, off, s[0:3], 0 offset:736
	buffer_load_dword v160, off, s[0:3], 0 offset:728
	buffer_load_dword v157, off, s[0:3], 0 offset:708
	ds_read_b128 v[2:5], v1 offset:1248
	s_clause 0x2
	buffer_load_dword v163, off, s[0:3], 0 offset:748
	buffer_load_dword v167, off, s[0:3], 0 offset:724
	;; [unrolled: 1-line block ×3, first 2 shown]
	ds_read_b128 v[102:105], v1 offset:1264
	s_clause 0x2
	buffer_load_dword v173, off, s[0:3], 0 offset:764
	buffer_load_dword v172, off, s[0:3], 0 offset:760
	;; [unrolled: 1-line block ×3, first 2 shown]
	s_mov_b32 s4, exec_lo
	s_waitcnt vmcnt(60) lgkmcnt(1)
	v_mul_f64 v[168:169], v[4:5], v[106:107]
	v_mul_f64 v[170:171], v[2:3], v[106:107]
	s_waitcnt vmcnt(58) lgkmcnt(0)
	v_mul_f64 v[174:175], v[104:105], v[110:111]
	ds_read_b128 v[106:109], v1 offset:1280
	v_mul_f64 v[110:111], v[102:103], v[110:111]
	s_waitcnt vmcnt(56)
	v_fma_f64 v[168:169], v[2:3], v[112:113], -v[168:169]
	v_fma_f64 v[112:113], v[4:5], v[112:113], v[170:171]
	s_clause 0x1
	buffer_load_dword v171, off, s[0:3], 0 offset:756
	buffer_load_dword v170, off, s[0:3], 0 offset:752
	s_waitcnt vmcnt(56) lgkmcnt(0)
	v_mul_f64 v[176:177], v[106:107], v[114:115]
	v_mul_f64 v[114:115], v[108:109], v[114:115]
	s_waitcnt vmcnt(54)
	v_fma_f64 v[174:175], v[102:103], v[116:117], -v[174:175]
	ds_read_b128 v[2:5], v1 offset:1296
	v_fma_f64 v[110:111], v[104:105], v[116:117], v[110:111]
	ds_read_b128 v[102:105], v1 offset:1312
	v_add_f64 v[168:169], v[168:169], 0
	v_add_f64 v[112:113], v[112:113], 0
	s_waitcnt vmcnt(50) lgkmcnt(1)
	v_mul_f64 v[116:117], v[2:3], v[118:119]
	v_mul_f64 v[118:119], v[4:5], v[118:119]
	s_waitcnt vmcnt(48)
	v_fma_f64 v[114:115], v[106:107], v[124:125], -v[114:115]
	v_fma_f64 v[124:125], v[108:109], v[124:125], v[176:177]
	s_waitcnt vmcnt(47) lgkmcnt(0)
	v_mul_f64 v[176:177], v[102:103], v[120:121]
	v_mul_f64 v[120:121], v[104:105], v[120:121]
	v_add_f64 v[168:169], v[168:169], v[174:175]
	v_add_f64 v[110:111], v[112:113], v[110:111]
	s_clause 0x3
	buffer_load_dword v112, off, s[0:3], 0 offset:496
	buffer_load_dword v113, off, s[0:3], 0 offset:500
	;; [unrolled: 1-line block ×4, first 2 shown]
	ds_read_b128 v[106:109], v1 offset:1328
	s_waitcnt vmcnt(49)
	v_fma_f64 v[116:117], v[4:5], v[126:127], v[116:117]
	v_fma_f64 v[118:119], v[2:3], v[126:127], -v[118:119]
	ds_read_b128 v[2:5], v1 offset:1344
	s_waitcnt vmcnt(44)
	v_fma_f64 v[120:121], v[102:103], v[122:123], -v[120:121]
	v_add_f64 v[114:115], v[168:169], v[114:115]
	v_add_f64 v[110:111], v[110:111], v[124:125]
	s_waitcnt lgkmcnt(1)
	v_mul_f64 v[126:127], v[108:109], v[128:129]
	v_mul_f64 v[124:125], v[106:107], v[128:129]
	v_add_f64 v[114:115], v[114:115], v[118:119]
	v_fma_f64 v[118:119], v[104:105], v[122:123], v[176:177]
	v_add_f64 v[110:111], v[110:111], v[116:117]
	s_waitcnt vmcnt(43) lgkmcnt(0)
	v_mul_f64 v[122:123], v[4:5], v[130:131]
	s_waitcnt vmcnt(41)
	v_fma_f64 v[126:127], v[106:107], v[134:135], -v[126:127]
	ds_read_b128 v[102:105], v1 offset:1360
	v_mul_f64 v[116:117], v[2:3], v[130:131]
	v_add_f64 v[114:115], v[114:115], v[120:121]
	v_fma_f64 v[120:121], v[108:109], v[134:135], v[124:125]
	v_add_f64 v[110:111], v[110:111], v[118:119]
	ds_read_b128 v[106:109], v1 offset:1376
	s_waitcnt vmcnt(37) lgkmcnt(1)
	v_mul_f64 v[124:125], v[104:105], v[136:137]
	s_waitcnt vmcnt(36)
	v_fma_f64 v[122:123], v[2:3], v[132:133], -v[122:123]
	v_mul_f64 v[118:119], v[102:103], v[136:137]
	v_fma_f64 v[116:117], v[4:5], v[132:133], v[116:117]
	ds_read_b128 v[2:5], v1 offset:1392
	v_add_f64 v[114:115], v[114:115], v[126:127]
	s_waitcnt vmcnt(35) lgkmcnt(1)
	v_mul_f64 v[126:127], v[108:109], v[138:139]
	v_add_f64 v[110:111], v[110:111], v[120:121]
	v_mul_f64 v[120:121], v[106:107], v[138:139]
	s_waitcnt vmcnt(33)
	v_fma_f64 v[124:125], v[102:103], v[142:143], -v[124:125]
	v_fma_f64 v[118:119], v[104:105], v[142:143], v[118:119]
	ds_read_b128 v[102:105], v1 offset:1408
	v_add_f64 v[114:115], v[114:115], v[122:123]
	s_waitcnt vmcnt(29) lgkmcnt(1)
	v_mul_f64 v[122:123], v[4:5], v[144:145]
	v_add_f64 v[110:111], v[110:111], v[116:117]
	s_waitcnt vmcnt(28)
	v_fma_f64 v[126:127], v[106:107], v[140:141], -v[126:127]
	v_mul_f64 v[116:117], v[2:3], v[144:145]
	v_fma_f64 v[120:121], v[108:109], v[140:141], v[120:121]
	ds_read_b128 v[106:109], v1 offset:1424
	v_add_f64 v[114:115], v[114:115], v[124:125]
	s_waitcnt vmcnt(27) lgkmcnt(1)
	v_mul_f64 v[124:125], v[104:105], v[146:147]
	v_add_f64 v[110:111], v[110:111], v[118:119]
	s_waitcnt vmcnt(25)
	v_fma_f64 v[122:123], v[2:3], v[150:151], -v[122:123]
	v_mul_f64 v[118:119], v[102:103], v[146:147]
	;; [unrolled: 9-line block ×5, first 2 shown]
	v_fma_f64 v[5:6], v[4:5], v[156:157], v[116:117]
	ds_read_b128 v[1:4], v1 offset:1488
	s_waitcnt vmcnt(11) lgkmcnt(1)
	v_mul_f64 v[116:117], v[106:107], v[162:163]
	v_add_f64 v[114:115], v[114:115], v[126:127]
	s_waitcnt vmcnt(9)
	v_fma_f64 v[102:103], v[102:103], v[166:167], -v[124:125]
	v_add_f64 v[110:111], v[110:111], v[120:121]
	v_mul_f64 v[120:121], v[108:109], v[162:163]
	v_fma_f64 v[104:105], v[104:105], v[166:167], v[118:119]
	s_waitcnt vmcnt(7) lgkmcnt(0)
	v_mul_f64 v[118:119], v[3:4], v[172:173]
	s_waitcnt vmcnt(6)
	v_fma_f64 v[108:109], v[108:109], v[164:165], v[116:117]
	v_add_f64 v[114:115], v[114:115], v[122:123]
	v_add_f64 v[5:6], v[110:111], v[5:6]
	v_fma_f64 v[106:107], v[106:107], v[164:165], -v[120:121]
	v_mul_f64 v[110:111], v[1:2], v[172:173]
	v_add_f64 v[102:103], v[114:115], v[102:103]
	v_add_f64 v[5:6], v[5:6], v[104:105]
	s_waitcnt vmcnt(4)
	v_fma_f64 v[1:2], v[1:2], v[170:171], -v[118:119]
	v_fma_f64 v[3:4], v[3:4], v[170:171], v[110:111]
	v_add_f64 v[102:103], v[102:103], v[106:107]
	v_add_f64 v[5:6], v[5:6], v[108:109]
	;; [unrolled: 1-line block ×4, first 2 shown]
	s_waitcnt vmcnt(2)
	v_add_f64 v[1:2], v[112:113], -v[1:2]
	s_waitcnt vmcnt(0)
	v_add_f64 v[3:4], v[174:175], -v[3:4]
	buffer_store_dword v2, off, s[0:3], 0 offset:500
	buffer_store_dword v1, off, s[0:3], 0 offset:496
	;; [unrolled: 1-line block ×4, first 2 shown]
	v_cmpx_lt_u32_e32 29, v0
	s_cbranch_execz .LBB110_237
; %bb.236:
	v_mov_b32_e32 v4, s29
	v_mov_b32_e32 v5, 0
	s_clause 0x3
	buffer_load_dword v1, v4, s[0:3], 0 offen
	buffer_load_dword v2, v4, s[0:3], 0 offen offset:4
	buffer_load_dword v3, v4, s[0:3], 0 offen offset:8
	buffer_load_dword v4, v4, s[0:3], 0 offen offset:12
	buffer_store_dword v5, off, s[0:3], 0 offset:480
	buffer_store_dword v5, off, s[0:3], 0 offset:484
	;; [unrolled: 1-line block ×4, first 2 shown]
	s_waitcnt vmcnt(0)
	ds_write_b128 v7, v[1:4]
.LBB110_237:
	s_or_b32 exec_lo, exec_lo, s4
	s_waitcnt lgkmcnt(0)
	s_waitcnt_vscnt null, 0x0
	s_barrier
	buffer_gl0_inv
	s_clause 0x37
	buffer_load_dword v106, off, s[0:3], 0 offset:504
	buffer_load_dword v107, off, s[0:3], 0 offset:508
	;; [unrolled: 1-line block ×56, first 2 shown]
	v_mov_b32_e32 v1, 0
	s_mov_b32 s4, exec_lo
	ds_read_b128 v[2:5], v1 offset:1232
	s_clause 0x2
	buffer_load_dword v163, off, s[0:3], 0 offset:732
	buffer_load_dword v167, off, s[0:3], 0 offset:708
	;; [unrolled: 1-line block ×3, first 2 shown]
	ds_read_b128 v[102:105], v1 offset:1248
	s_clause 0x4
	buffer_load_dword v173, off, s[0:3], 0 offset:748
	buffer_load_dword v174, off, s[0:3], 0 offset:760
	;; [unrolled: 1-line block ×5, first 2 shown]
	s_waitcnt vmcnt(62) lgkmcnt(1)
	v_mul_f64 v[168:169], v[4:5], v[106:107]
	v_mul_f64 v[170:171], v[2:3], v[106:107]
	s_waitcnt vmcnt(60) lgkmcnt(0)
	v_mul_f64 v[177:178], v[104:105], v[110:111]
	ds_read_b128 v[106:109], v1 offset:1264
	v_mul_f64 v[110:111], v[102:103], v[110:111]
	s_waitcnt vmcnt(58)
	v_fma_f64 v[168:169], v[2:3], v[112:113], -v[168:169]
	v_fma_f64 v[112:113], v[4:5], v[112:113], v[170:171]
	s_clause 0x2
	buffer_load_dword v175, off, s[0:3], 0 offset:764
	buffer_load_dword v171, off, s[0:3], 0 offset:740
	;; [unrolled: 1-line block ×3, first 2 shown]
	s_waitcnt vmcnt(59) lgkmcnt(0)
	v_mul_f64 v[179:180], v[106:107], v[114:115]
	v_mul_f64 v[114:115], v[108:109], v[114:115]
	s_waitcnt vmcnt(57)
	v_fma_f64 v[181:182], v[102:103], v[116:117], -v[177:178]
	ds_read_b128 v[2:5], v1 offset:1280
	v_fma_f64 v[110:111], v[104:105], v[116:117], v[110:111]
	buffer_load_dword v177, off, s[0:3], 0 offset:756
	ds_read_b128 v[102:105], v1 offset:1296
	v_add_f64 v[168:169], v[168:169], 0
	v_add_f64 v[112:113], v[112:113], 0
	s_waitcnt vmcnt(54) lgkmcnt(1)
	v_mul_f64 v[116:117], v[2:3], v[118:119]
	v_mul_f64 v[118:119], v[4:5], v[118:119]
	s_waitcnt vmcnt(52)
	v_fma_f64 v[114:115], v[106:107], v[124:125], -v[114:115]
	v_fma_f64 v[124:125], v[108:109], v[124:125], v[179:180]
	ds_read_b128 v[106:109], v1 offset:1312
	v_add_f64 v[168:169], v[168:169], v[181:182]
	v_add_f64 v[110:111], v[112:113], v[110:111]
	s_waitcnt vmcnt(51) lgkmcnt(1)
	v_mul_f64 v[112:113], v[102:103], v[120:121]
	v_mul_f64 v[120:121], v[104:105], v[120:121]
	s_waitcnt vmcnt(49)
	v_fma_f64 v[116:117], v[4:5], v[126:127], v[116:117]
	v_fma_f64 v[118:119], v[2:3], v[126:127], -v[118:119]
	v_add_f64 v[114:115], v[168:169], v[114:115]
	v_add_f64 v[110:111], v[110:111], v[124:125]
	s_clause 0x3
	buffer_load_dword v124, off, s[0:3], 0 offset:480
	buffer_load_dword v125, off, s[0:3], 0 offset:484
	;; [unrolled: 1-line block ×4, first 2 shown]
	s_waitcnt vmcnt(49) lgkmcnt(0)
	v_mul_f64 v[168:169], v[106:107], v[128:129]
	v_mul_f64 v[128:129], v[108:109], v[128:129]
	s_waitcnt vmcnt(48)
	v_fma_f64 v[120:121], v[102:103], v[122:123], -v[120:121]
	ds_read_b128 v[2:5], v1 offset:1328
	v_fma_f64 v[112:113], v[104:105], v[122:123], v[112:113]
	ds_read_b128 v[102:105], v1 offset:1344
	v_add_f64 v[114:115], v[114:115], v[118:119]
	v_add_f64 v[110:111], v[110:111], v[116:117]
	s_waitcnt vmcnt(47) lgkmcnt(1)
	v_mul_f64 v[118:119], v[4:5], v[130:131]
	s_waitcnt vmcnt(45)
	v_fma_f64 v[122:123], v[106:107], v[134:135], -v[128:129]
	v_mul_f64 v[116:117], v[2:3], v[130:131]
	s_waitcnt vmcnt(41) lgkmcnt(0)
	v_mul_f64 v[128:129], v[104:105], v[136:137]
	v_add_f64 v[114:115], v[114:115], v[120:121]
	v_fma_f64 v[120:121], v[108:109], v[134:135], v[168:169]
	v_add_f64 v[110:111], v[110:111], v[112:113]
	ds_read_b128 v[106:109], v1 offset:1360
	s_waitcnt vmcnt(40)
	v_fma_f64 v[118:119], v[2:3], v[132:133], -v[118:119]
	v_mul_f64 v[112:113], v[102:103], v[136:137]
	v_fma_f64 v[116:117], v[4:5], v[132:133], v[116:117]
	ds_read_b128 v[2:5], v1 offset:1376
	s_waitcnt vmcnt(37)
	v_fma_f64 v[128:129], v[102:103], v[142:143], -v[128:129]
	v_add_f64 v[114:115], v[114:115], v[122:123]
	s_waitcnt lgkmcnt(1)
	v_mul_f64 v[122:123], v[108:109], v[138:139]
	v_add_f64 v[110:111], v[110:111], v[120:121]
	v_mul_f64 v[120:121], v[106:107], v[138:139]
	v_fma_f64 v[112:113], v[104:105], v[142:143], v[112:113]
	ds_read_b128 v[102:105], v1 offset:1392
	v_add_f64 v[114:115], v[114:115], v[118:119]
	s_waitcnt vmcnt(33) lgkmcnt(1)
	v_mul_f64 v[118:119], v[4:5], v[144:145]
	v_add_f64 v[110:111], v[110:111], v[116:117]
	s_waitcnt vmcnt(32)
	v_fma_f64 v[122:123], v[106:107], v[140:141], -v[122:123]
	v_mul_f64 v[116:117], v[2:3], v[144:145]
	v_fma_f64 v[120:121], v[108:109], v[140:141], v[120:121]
	ds_read_b128 v[106:109], v1 offset:1408
	v_add_f64 v[114:115], v[114:115], v[128:129]
	s_waitcnt vmcnt(31) lgkmcnt(1)
	v_mul_f64 v[128:129], v[104:105], v[146:147]
	v_add_f64 v[110:111], v[110:111], v[112:113]
	s_waitcnt vmcnt(29)
	v_fma_f64 v[118:119], v[2:3], v[150:151], -v[118:119]
	;; [unrolled: 9-line block ×7, first 2 shown]
	v_mul_f64 v[116:117], v[2:3], v[172:173]
	v_fma_f64 v[108:109], v[108:109], v[164:165], v[120:121]
	v_add_f64 v[114:115], v[114:115], v[128:129]
	v_add_f64 v[110:111], v[110:111], v[112:113]
	s_waitcnt vmcnt(7) lgkmcnt(0)
	v_mul_f64 v[120:121], v[104:105], v[174:175]
	v_mul_f64 v[112:113], v[102:103], v[174:175]
	s_waitcnt vmcnt(5)
	v_fma_f64 v[2:3], v[2:3], v[170:171], -v[118:119]
	v_fma_f64 v[4:5], v[4:5], v[170:171], v[116:117]
	v_add_f64 v[106:107], v[114:115], v[106:107]
	v_add_f64 v[108:109], v[110:111], v[108:109]
	s_waitcnt vmcnt(4)
	v_fma_f64 v[102:103], v[102:103], v[176:177], -v[120:121]
	v_fma_f64 v[104:105], v[104:105], v[176:177], v[112:113]
	v_add_f64 v[2:3], v[106:107], v[2:3]
	v_add_f64 v[4:5], v[108:109], v[4:5]
	;; [unrolled: 1-line block ×4, first 2 shown]
	s_waitcnt vmcnt(2)
	v_add_f64 v[2:3], v[124:125], -v[2:3]
	s_waitcnt vmcnt(0)
	v_add_f64 v[4:5], v[126:127], -v[4:5]
	buffer_store_dword v3, off, s[0:3], 0 offset:484
	buffer_store_dword v2, off, s[0:3], 0 offset:480
	;; [unrolled: 1-line block ×4, first 2 shown]
	v_cmpx_lt_u32_e32 28, v0
	s_cbranch_execz .LBB110_239
; %bb.238:
	v_mov_b32_e32 v5, s30
	s_clause 0x3
	buffer_load_dword v2, v5, s[0:3], 0 offen
	buffer_load_dword v3, v5, s[0:3], 0 offen offset:4
	buffer_load_dword v4, v5, s[0:3], 0 offen offset:8
	;; [unrolled: 1-line block ×3, first 2 shown]
	buffer_store_dword v1, off, s[0:3], 0 offset:464
	buffer_store_dword v1, off, s[0:3], 0 offset:468
	;; [unrolled: 1-line block ×4, first 2 shown]
	s_waitcnt vmcnt(0)
	ds_write_b128 v7, v[2:5]
.LBB110_239:
	s_or_b32 exec_lo, exec_lo, s4
	s_waitcnt lgkmcnt(0)
	s_waitcnt_vscnt null, 0x0
	s_barrier
	buffer_gl0_inv
	s_clause 0x37
	buffer_load_dword v106, off, s[0:3], 0 offset:488
	buffer_load_dword v107, off, s[0:3], 0 offset:492
	;; [unrolled: 1-line block ×56, first 2 shown]
	ds_read_b128 v[2:5], v1 offset:1216
	s_clause 0x2
	buffer_load_dword v163, off, s[0:3], 0 offset:716
	buffer_load_dword v167, off, s[0:3], 0 offset:692
	;; [unrolled: 1-line block ×3, first 2 shown]
	ds_read_b128 v[102:105], v1 offset:1232
	s_clause 0x4
	buffer_load_dword v173, off, s[0:3], 0 offset:732
	buffer_load_dword v174, off, s[0:3], 0 offset:744
	;; [unrolled: 1-line block ×5, first 2 shown]
	s_mov_b32 s4, exec_lo
	s_waitcnt vmcnt(62) lgkmcnt(1)
	v_mul_f64 v[168:169], v[4:5], v[106:107]
	v_mul_f64 v[170:171], v[2:3], v[106:107]
	s_waitcnt vmcnt(60) lgkmcnt(0)
	v_mul_f64 v[177:178], v[104:105], v[110:111]
	ds_read_b128 v[106:109], v1 offset:1248
	v_mul_f64 v[110:111], v[102:103], v[110:111]
	s_waitcnt vmcnt(58)
	v_fma_f64 v[168:169], v[2:3], v[112:113], -v[168:169]
	v_fma_f64 v[112:113], v[4:5], v[112:113], v[170:171]
	s_clause 0x2
	buffer_load_dword v175, off, s[0:3], 0 offset:748
	buffer_load_dword v171, off, s[0:3], 0 offset:724
	;; [unrolled: 1-line block ×3, first 2 shown]
	s_waitcnt vmcnt(59) lgkmcnt(0)
	v_mul_f64 v[179:180], v[106:107], v[114:115]
	v_mul_f64 v[114:115], v[108:109], v[114:115]
	s_waitcnt vmcnt(57)
	v_fma_f64 v[181:182], v[102:103], v[116:117], -v[177:178]
	ds_read_b128 v[2:5], v1 offset:1264
	v_fma_f64 v[110:111], v[104:105], v[116:117], v[110:111]
	s_clause 0x2
	buffer_load_dword v117, off, s[0:3], 0 offset:764
	buffer_load_dword v116, off, s[0:3], 0 offset:760
	;; [unrolled: 1-line block ×3, first 2 shown]
	ds_read_b128 v[102:105], v1 offset:1280
	v_add_f64 v[168:169], v[168:169], 0
	v_add_f64 v[112:113], v[112:113], 0
	s_waitcnt vmcnt(56) lgkmcnt(1)
	v_mul_f64 v[183:184], v[2:3], v[118:119]
	v_mul_f64 v[118:119], v[4:5], v[118:119]
	s_waitcnt vmcnt(54)
	v_fma_f64 v[114:115], v[106:107], v[124:125], -v[114:115]
	v_fma_f64 v[124:125], v[108:109], v[124:125], v[179:180]
	s_waitcnt vmcnt(53) lgkmcnt(0)
	v_mul_f64 v[178:179], v[102:103], v[120:121]
	v_mul_f64 v[120:121], v[104:105], v[120:121]
	v_add_f64 v[168:169], v[168:169], v[181:182]
	v_add_f64 v[110:111], v[112:113], v[110:111]
	s_clause 0x1
	buffer_load_dword v113, off, s[0:3], 0 offset:756
	buffer_load_dword v112, off, s[0:3], 0 offset:752
	ds_read_b128 v[106:109], v1 offset:1296
	s_waitcnt vmcnt(53)
	v_fma_f64 v[118:119], v[2:3], v[126:127], -v[118:119]
	v_fma_f64 v[126:127], v[4:5], v[126:127], v[183:184]
	ds_read_b128 v[2:5], v1 offset:1312
	s_waitcnt vmcnt(48)
	v_fma_f64 v[120:121], v[102:103], v[122:123], -v[120:121]
	v_add_f64 v[114:115], v[168:169], v[114:115]
	v_add_f64 v[110:111], v[110:111], v[124:125]
	s_waitcnt lgkmcnt(1)
	v_mul_f64 v[124:125], v[106:107], v[128:129]
	v_mul_f64 v[128:129], v[108:109], v[128:129]
	s_waitcnt vmcnt(47) lgkmcnt(0)
	v_mul_f64 v[168:169], v[2:3], v[130:131]
	v_mul_f64 v[130:131], v[4:5], v[130:131]
	v_add_f64 v[114:115], v[114:115], v[118:119]
	v_fma_f64 v[118:119], v[104:105], v[122:123], v[178:179]
	v_add_f64 v[110:111], v[110:111], v[126:127]
	s_clause 0x3
	buffer_load_dword v122, off, s[0:3], 0 offset:464
	buffer_load_dword v123, off, s[0:3], 0 offset:468
	;; [unrolled: 1-line block ×4, first 2 shown]
	s_waitcnt vmcnt(49)
	v_fma_f64 v[128:129], v[106:107], v[134:135], -v[128:129]
	ds_read_b128 v[102:105], v1 offset:1328
	s_waitcnt vmcnt(44)
	v_fma_f64 v[130:131], v[2:3], v[132:133], -v[130:131]
	v_add_f64 v[114:115], v[114:115], v[120:121]
	v_fma_f64 v[120:121], v[108:109], v[134:135], v[124:125]
	v_add_f64 v[110:111], v[110:111], v[118:119]
	ds_read_b128 v[106:109], v1 offset:1344
	s_waitcnt lgkmcnt(1)
	v_mul_f64 v[124:125], v[104:105], v[136:137]
	v_mul_f64 v[118:119], v[102:103], v[136:137]
	v_add_f64 v[114:115], v[114:115], v[128:129]
	v_fma_f64 v[128:129], v[4:5], v[132:133], v[168:169]
	v_add_f64 v[110:111], v[110:111], v[120:121]
	s_waitcnt vmcnt(43) lgkmcnt(0)
	v_mul_f64 v[132:133], v[108:109], v[138:139]
	s_waitcnt vmcnt(41)
	v_fma_f64 v[124:125], v[102:103], v[142:143], -v[124:125]
	ds_read_b128 v[2:5], v1 offset:1360
	v_mul_f64 v[120:121], v[106:107], v[138:139]
	v_fma_f64 v[118:119], v[104:105], v[142:143], v[118:119]
	ds_read_b128 v[102:105], v1 offset:1376
	v_add_f64 v[114:115], v[114:115], v[130:131]
	v_add_f64 v[110:111], v[110:111], v[128:129]
	s_waitcnt vmcnt(37) lgkmcnt(1)
	v_mul_f64 v[130:131], v[4:5], v[144:145]
	s_waitcnt vmcnt(36)
	v_fma_f64 v[132:133], v[106:107], v[140:141], -v[132:133]
	v_mul_f64 v[128:129], v[2:3], v[144:145]
	v_fma_f64 v[120:121], v[108:109], v[140:141], v[120:121]
	ds_read_b128 v[106:109], v1 offset:1392
	v_add_f64 v[114:115], v[114:115], v[124:125]
	s_waitcnt vmcnt(35) lgkmcnt(1)
	v_mul_f64 v[124:125], v[104:105], v[146:147]
	v_add_f64 v[110:111], v[110:111], v[118:119]
	s_waitcnt vmcnt(33)
	v_fma_f64 v[130:131], v[2:3], v[150:151], -v[130:131]
	v_mul_f64 v[118:119], v[102:103], v[146:147]
	v_fma_f64 v[128:129], v[4:5], v[150:151], v[128:129]
	ds_read_b128 v[2:5], v1 offset:1408
	v_add_f64 v[114:115], v[114:115], v[132:133]
	s_waitcnt vmcnt(29) lgkmcnt(1)
	v_mul_f64 v[132:133], v[108:109], v[152:153]
	v_add_f64 v[110:111], v[110:111], v[120:121]
	;; [unrolled: 9-line block ×6, first 2 shown]
	s_waitcnt vmcnt(12)
	v_fma_f64 v[132:133], v[106:107], v[164:165], -v[132:133]
	v_mul_f64 v[128:129], v[2:3], v[172:173]
	v_fma_f64 v[120:121], v[108:109], v[164:165], v[120:121]
	ds_read_b128 v[106:109], v1 offset:1488
	v_add_f64 v[114:115], v[114:115], v[124:125]
	v_add_f64 v[110:111], v[110:111], v[118:119]
	s_waitcnt vmcnt(11) lgkmcnt(1)
	v_mul_f64 v[124:125], v[104:105], v[174:175]
	v_mul_f64 v[118:119], v[102:103], v[174:175]
	s_waitcnt vmcnt(9)
	v_fma_f64 v[1:2], v[2:3], v[170:171], -v[130:131]
	v_fma_f64 v[3:4], v[4:5], v[170:171], v[128:129]
	v_add_f64 v[114:115], v[114:115], v[132:133]
	v_add_f64 v[5:6], v[110:111], v[120:121]
	s_waitcnt vmcnt(7) lgkmcnt(0)
	v_mul_f64 v[110:111], v[106:107], v[116:117]
	v_mul_f64 v[116:117], v[108:109], v[116:117]
	s_waitcnt vmcnt(6)
	v_fma_f64 v[102:103], v[102:103], v[176:177], -v[124:125]
	v_fma_f64 v[104:105], v[104:105], v[176:177], v[118:119]
	v_add_f64 v[1:2], v[114:115], v[1:2]
	v_add_f64 v[3:4], v[5:6], v[3:4]
	s_waitcnt vmcnt(4)
	v_fma_f64 v[5:6], v[106:107], v[112:113], -v[116:117]
	v_add_f64 v[1:2], v[1:2], v[102:103]
	v_fma_f64 v[102:103], v[108:109], v[112:113], v[110:111]
	v_add_f64 v[3:4], v[3:4], v[104:105]
	v_add_f64 v[1:2], v[1:2], v[5:6]
	;; [unrolled: 1-line block ×3, first 2 shown]
	s_waitcnt vmcnt(2)
	v_add_f64 v[1:2], v[122:123], -v[1:2]
	s_waitcnt vmcnt(0)
	v_add_f64 v[3:4], v[126:127], -v[3:4]
	buffer_store_dword v2, off, s[0:3], 0 offset:468
	buffer_store_dword v1, off, s[0:3], 0 offset:464
	buffer_store_dword v4, off, s[0:3], 0 offset:476
	buffer_store_dword v3, off, s[0:3], 0 offset:472
	v_cmpx_lt_u32_e32 27, v0
	s_cbranch_execz .LBB110_241
; %bb.240:
	v_mov_b32_e32 v4, s31
	v_mov_b32_e32 v5, 0
	s_clause 0x3
	buffer_load_dword v1, v4, s[0:3], 0 offen
	buffer_load_dword v2, v4, s[0:3], 0 offen offset:4
	buffer_load_dword v3, v4, s[0:3], 0 offen offset:8
	;; [unrolled: 1-line block ×3, first 2 shown]
	buffer_store_dword v5, off, s[0:3], 0 offset:448
	buffer_store_dword v5, off, s[0:3], 0 offset:452
	;; [unrolled: 1-line block ×4, first 2 shown]
	s_waitcnt vmcnt(0)
	ds_write_b128 v7, v[1:4]
.LBB110_241:
	s_or_b32 exec_lo, exec_lo, s4
	s_waitcnt lgkmcnt(0)
	s_waitcnt_vscnt null, 0x0
	s_barrier
	buffer_gl0_inv
	s_clause 0x37
	buffer_load_dword v106, off, s[0:3], 0 offset:472
	buffer_load_dword v107, off, s[0:3], 0 offset:476
	;; [unrolled: 1-line block ×56, first 2 shown]
	v_mov_b32_e32 v1, 0
	s_mov_b32 s4, exec_lo
	ds_read_b128 v[2:5], v1 offset:1200
	s_clause 0x2
	buffer_load_dword v163, off, s[0:3], 0 offset:700
	buffer_load_dword v167, off, s[0:3], 0 offset:676
	;; [unrolled: 1-line block ×3, first 2 shown]
	ds_read_b128 v[102:105], v1 offset:1216
	s_clause 0x4
	buffer_load_dword v173, off, s[0:3], 0 offset:716
	buffer_load_dword v174, off, s[0:3], 0 offset:728
	;; [unrolled: 1-line block ×5, first 2 shown]
	s_waitcnt vmcnt(62) lgkmcnt(1)
	v_mul_f64 v[168:169], v[4:5], v[106:107]
	v_mul_f64 v[170:171], v[2:3], v[106:107]
	s_waitcnt vmcnt(60) lgkmcnt(0)
	v_mul_f64 v[177:178], v[104:105], v[110:111]
	ds_read_b128 v[106:109], v1 offset:1232
	v_mul_f64 v[110:111], v[102:103], v[110:111]
	s_waitcnt vmcnt(58)
	v_fma_f64 v[168:169], v[2:3], v[112:113], -v[168:169]
	v_fma_f64 v[112:113], v[4:5], v[112:113], v[170:171]
	s_clause 0x2
	buffer_load_dword v175, off, s[0:3], 0 offset:732
	buffer_load_dword v171, off, s[0:3], 0 offset:708
	;; [unrolled: 1-line block ×3, first 2 shown]
	s_waitcnt vmcnt(59) lgkmcnt(0)
	v_mul_f64 v[179:180], v[106:107], v[114:115]
	v_mul_f64 v[114:115], v[108:109], v[114:115]
	s_waitcnt vmcnt(57)
	v_fma_f64 v[181:182], v[102:103], v[116:117], -v[177:178]
	ds_read_b128 v[2:5], v1 offset:1248
	v_fma_f64 v[110:111], v[104:105], v[116:117], v[110:111]
	s_clause 0x4
	buffer_load_dword v117, off, s[0:3], 0 offset:748
	buffer_load_dword v178, off, s[0:3], 0 offset:760
	;; [unrolled: 1-line block ×5, first 2 shown]
	ds_read_b128 v[102:105], v1 offset:1264
	v_add_f64 v[168:169], v[168:169], 0
	v_add_f64 v[112:113], v[112:113], 0
	s_waitcnt vmcnt(58) lgkmcnt(1)
	v_mul_f64 v[184:185], v[2:3], v[118:119]
	v_mul_f64 v[118:119], v[4:5], v[118:119]
	s_waitcnt vmcnt(56)
	v_fma_f64 v[114:115], v[106:107], v[124:125], -v[114:115]
	v_fma_f64 v[124:125], v[108:109], v[124:125], v[179:180]
	v_add_f64 v[168:169], v[168:169], v[181:182]
	v_add_f64 v[110:111], v[112:113], v[110:111]
	s_clause 0x2
	buffer_load_dword v179, off, s[0:3], 0 offset:764
	buffer_load_dword v113, off, s[0:3], 0 offset:740
	;; [unrolled: 1-line block ×3, first 2 shown]
	s_waitcnt vmcnt(58) lgkmcnt(0)
	v_mul_f64 v[180:181], v[102:103], v[120:121]
	v_mul_f64 v[120:121], v[104:105], v[120:121]
	s_waitcnt vmcnt(56)
	v_fma_f64 v[118:119], v[2:3], v[126:127], -v[118:119]
	ds_read_b128 v[106:109], v1 offset:1280
	v_fma_f64 v[126:127], v[4:5], v[126:127], v[184:185]
	buffer_load_dword v184, off, s[0:3], 0 offset:756
	ds_read_b128 v[2:5], v1 offset:1296
	v_add_f64 v[114:115], v[168:169], v[114:115]
	v_add_f64 v[110:111], v[110:111], v[124:125]
	s_waitcnt vmcnt(53) lgkmcnt(1)
	v_mul_f64 v[124:125], v[106:107], v[128:129]
	v_mul_f64 v[128:129], v[108:109], v[128:129]
	s_waitcnt vmcnt(52)
	v_fma_f64 v[120:121], v[102:103], v[122:123], -v[120:121]
	v_add_f64 v[114:115], v[114:115], v[118:119]
	v_fma_f64 v[118:119], v[104:105], v[122:123], v[180:181]
	v_add_f64 v[110:111], v[110:111], v[126:127]
	s_waitcnt vmcnt(51) lgkmcnt(0)
	v_mul_f64 v[126:127], v[4:5], v[130:131]
	ds_read_b128 v[102:105], v1 offset:1312
	s_waitcnt vmcnt(49)
	v_fma_f64 v[128:129], v[106:107], v[134:135], -v[128:129]
	v_mul_f64 v[122:123], v[2:3], v[130:131]
	v_add_f64 v[114:115], v[114:115], v[120:121]
	v_fma_f64 v[120:121], v[108:109], v[134:135], v[124:125]
	v_add_f64 v[110:111], v[110:111], v[118:119]
	s_clause 0x3
	buffer_load_dword v118, off, s[0:3], 0 offset:448
	buffer_load_dword v119, off, s[0:3], 0 offset:452
	buffer_load_dword v124, off, s[0:3], 0 offset:456
	buffer_load_dword v125, off, s[0:3], 0 offset:460
	s_waitcnt vmcnt(49) lgkmcnt(0)
	v_mul_f64 v[134:135], v[104:105], v[136:137]
	s_waitcnt vmcnt(48)
	v_fma_f64 v[126:127], v[2:3], v[132:133], -v[126:127]
	ds_read_b128 v[106:109], v1 offset:1328
	v_mul_f64 v[130:131], v[102:103], v[136:137]
	v_fma_f64 v[122:123], v[4:5], v[132:133], v[122:123]
	ds_read_b128 v[2:5], v1 offset:1344
	v_add_f64 v[114:115], v[114:115], v[128:129]
	v_add_f64 v[110:111], v[110:111], v[120:121]
	s_waitcnt vmcnt(47) lgkmcnt(1)
	v_mul_f64 v[128:129], v[108:109], v[138:139]
	s_waitcnt vmcnt(45)
	v_fma_f64 v[132:133], v[102:103], v[142:143], -v[134:135]
	v_mul_f64 v[120:121], v[106:107], v[138:139]
	v_add_f64 v[114:115], v[114:115], v[126:127]
	v_fma_f64 v[126:127], v[104:105], v[142:143], v[130:131]
	v_add_f64 v[110:111], v[110:111], v[122:123]
	s_waitcnt vmcnt(41) lgkmcnt(0)
	v_mul_f64 v[130:131], v[4:5], v[144:145]
	s_waitcnt vmcnt(40)
	v_fma_f64 v[128:129], v[106:107], v[140:141], -v[128:129]
	ds_read_b128 v[102:105], v1 offset:1360
	v_mul_f64 v[122:123], v[2:3], v[144:145]
	v_fma_f64 v[120:121], v[108:109], v[140:141], v[120:121]
	ds_read_b128 v[106:109], v1 offset:1376
	v_add_f64 v[114:115], v[114:115], v[132:133]
	v_add_f64 v[110:111], v[110:111], v[126:127]
	s_waitcnt vmcnt(39) lgkmcnt(1)
	v_mul_f64 v[132:133], v[104:105], v[146:147]
	s_waitcnt vmcnt(37)
	v_fma_f64 v[130:131], v[2:3], v[150:151], -v[130:131]
	v_mul_f64 v[126:127], v[102:103], v[146:147]
	v_fma_f64 v[122:123], v[4:5], v[150:151], v[122:123]
	ds_read_b128 v[2:5], v1 offset:1392
	v_add_f64 v[114:115], v[114:115], v[128:129]
	s_waitcnt vmcnt(33) lgkmcnt(1)
	v_mul_f64 v[128:129], v[108:109], v[152:153]
	v_add_f64 v[110:111], v[110:111], v[120:121]
	s_waitcnt vmcnt(32)
	v_fma_f64 v[132:133], v[102:103], v[148:149], -v[132:133]
	v_mul_f64 v[120:121], v[106:107], v[152:153]
	v_fma_f64 v[126:127], v[104:105], v[148:149], v[126:127]
	ds_read_b128 v[102:105], v1 offset:1408
	v_add_f64 v[114:115], v[114:115], v[130:131]
	s_waitcnt vmcnt(31) lgkmcnt(1)
	v_mul_f64 v[130:131], v[4:5], v[154:155]
	v_add_f64 v[110:111], v[110:111], v[122:123]
	;; [unrolled: 9-line block ×5, first 2 shown]
	s_waitcnt vmcnt(16)
	v_fma_f64 v[128:129], v[106:107], v[164:165], -v[128:129]
	v_mul_f64 v[122:123], v[2:3], v[172:173]
	v_fma_f64 v[120:121], v[108:109], v[164:165], v[120:121]
	ds_read_b128 v[106:109], v1 offset:1472
	v_add_f64 v[114:115], v[114:115], v[132:133]
	v_add_f64 v[110:111], v[110:111], v[126:127]
	s_waitcnt vmcnt(15) lgkmcnt(1)
	v_mul_f64 v[132:133], v[104:105], v[174:175]
	v_mul_f64 v[126:127], v[102:103], v[174:175]
	s_waitcnt vmcnt(13)
	v_fma_f64 v[130:131], v[2:3], v[170:171], -v[130:131]
	v_fma_f64 v[122:123], v[4:5], v[170:171], v[122:123]
	ds_read_b128 v[2:5], v1 offset:1488
	v_add_f64 v[114:115], v[114:115], v[128:129]
	v_add_f64 v[110:111], v[110:111], v[120:121]
	s_waitcnt vmcnt(9) lgkmcnt(1)
	v_mul_f64 v[120:121], v[106:107], v[116:117]
	v_mul_f64 v[116:117], v[108:109], v[116:117]
	s_waitcnt vmcnt(8)
	v_fma_f64 v[102:103], v[102:103], v[176:177], -v[132:133]
	v_fma_f64 v[104:105], v[104:105], v[176:177], v[126:127]
	v_add_f64 v[114:115], v[114:115], v[130:131]
	v_add_f64 v[110:111], v[110:111], v[122:123]
	s_waitcnt vmcnt(7) lgkmcnt(0)
	v_mul_f64 v[126:127], v[4:5], v[178:179]
	v_mul_f64 v[122:123], v[2:3], v[178:179]
	s_waitcnt vmcnt(5)
	v_fma_f64 v[106:107], v[106:107], v[112:113], -v[116:117]
	v_fma_f64 v[108:109], v[108:109], v[112:113], v[120:121]
	v_add_f64 v[102:103], v[114:115], v[102:103]
	v_add_f64 v[104:105], v[110:111], v[104:105]
	s_waitcnt vmcnt(4)
	v_fma_f64 v[2:3], v[2:3], v[183:184], -v[126:127]
	v_fma_f64 v[4:5], v[4:5], v[183:184], v[122:123]
	v_add_f64 v[102:103], v[102:103], v[106:107]
	v_add_f64 v[104:105], v[104:105], v[108:109]
	;; [unrolled: 1-line block ×4, first 2 shown]
	s_waitcnt vmcnt(2)
	v_add_f64 v[2:3], v[118:119], -v[2:3]
	s_waitcnt vmcnt(0)
	v_add_f64 v[4:5], v[124:125], -v[4:5]
	buffer_store_dword v3, off, s[0:3], 0 offset:452
	buffer_store_dword v2, off, s[0:3], 0 offset:448
	;; [unrolled: 1-line block ×4, first 2 shown]
	v_cmpx_lt_u32_e32 26, v0
	s_cbranch_execz .LBB110_243
; %bb.242:
	v_mov_b32_e32 v5, s33
	s_clause 0x3
	buffer_load_dword v2, v5, s[0:3], 0 offen
	buffer_load_dword v3, v5, s[0:3], 0 offen offset:4
	buffer_load_dword v4, v5, s[0:3], 0 offen offset:8
	;; [unrolled: 1-line block ×3, first 2 shown]
	buffer_store_dword v1, off, s[0:3], 0 offset:432
	buffer_store_dword v1, off, s[0:3], 0 offset:436
	;; [unrolled: 1-line block ×4, first 2 shown]
	s_waitcnt vmcnt(0)
	ds_write_b128 v7, v[2:5]
.LBB110_243:
	s_or_b32 exec_lo, exec_lo, s4
	s_waitcnt lgkmcnt(0)
	s_waitcnt_vscnt null, 0x0
	s_barrier
	buffer_gl0_inv
	s_clause 0x37
	buffer_load_dword v106, off, s[0:3], 0 offset:456
	buffer_load_dword v107, off, s[0:3], 0 offset:460
	;; [unrolled: 1-line block ×56, first 2 shown]
	ds_read_b128 v[2:5], v1 offset:1184
	s_clause 0x2
	buffer_load_dword v163, off, s[0:3], 0 offset:684
	buffer_load_dword v167, off, s[0:3], 0 offset:660
	;; [unrolled: 1-line block ×3, first 2 shown]
	ds_read_b128 v[102:105], v1 offset:1200
	s_clause 0x4
	buffer_load_dword v173, off, s[0:3], 0 offset:700
	buffer_load_dword v174, off, s[0:3], 0 offset:712
	;; [unrolled: 1-line block ×5, first 2 shown]
	s_mov_b32 s4, exec_lo
	s_waitcnt vmcnt(62) lgkmcnt(1)
	v_mul_f64 v[168:169], v[4:5], v[106:107]
	v_mul_f64 v[170:171], v[2:3], v[106:107]
	s_waitcnt vmcnt(60) lgkmcnt(0)
	v_mul_f64 v[177:178], v[104:105], v[110:111]
	ds_read_b128 v[106:109], v1 offset:1216
	v_mul_f64 v[110:111], v[102:103], v[110:111]
	s_waitcnt vmcnt(58)
	v_fma_f64 v[168:169], v[2:3], v[112:113], -v[168:169]
	v_fma_f64 v[112:113], v[4:5], v[112:113], v[170:171]
	s_clause 0x2
	buffer_load_dword v175, off, s[0:3], 0 offset:716
	buffer_load_dword v171, off, s[0:3], 0 offset:692
	;; [unrolled: 1-line block ×3, first 2 shown]
	s_waitcnt vmcnt(59) lgkmcnt(0)
	v_mul_f64 v[179:180], v[106:107], v[114:115]
	v_mul_f64 v[114:115], v[108:109], v[114:115]
	s_waitcnt vmcnt(57)
	v_fma_f64 v[181:182], v[102:103], v[116:117], -v[177:178]
	ds_read_b128 v[2:5], v1 offset:1232
	v_fma_f64 v[110:111], v[104:105], v[116:117], v[110:111]
	s_clause 0x4
	buffer_load_dword v117, off, s[0:3], 0 offset:732
	buffer_load_dword v178, off, s[0:3], 0 offset:744
	;; [unrolled: 1-line block ×5, first 2 shown]
	ds_read_b128 v[102:105], v1 offset:1248
	v_add_f64 v[168:169], v[168:169], 0
	v_add_f64 v[112:113], v[112:113], 0
	s_waitcnt vmcnt(58) lgkmcnt(1)
	v_mul_f64 v[184:185], v[2:3], v[118:119]
	v_mul_f64 v[118:119], v[4:5], v[118:119]
	s_waitcnt vmcnt(56)
	v_fma_f64 v[114:115], v[106:107], v[124:125], -v[114:115]
	v_fma_f64 v[124:125], v[108:109], v[124:125], v[179:180]
	v_add_f64 v[168:169], v[168:169], v[181:182]
	v_add_f64 v[110:111], v[112:113], v[110:111]
	s_clause 0x2
	buffer_load_dword v179, off, s[0:3], 0 offset:748
	buffer_load_dword v113, off, s[0:3], 0 offset:724
	;; [unrolled: 1-line block ×3, first 2 shown]
	s_waitcnt vmcnt(58) lgkmcnt(0)
	v_mul_f64 v[180:181], v[102:103], v[120:121]
	v_mul_f64 v[120:121], v[104:105], v[120:121]
	s_waitcnt vmcnt(56)
	v_fma_f64 v[118:119], v[2:3], v[126:127], -v[118:119]
	ds_read_b128 v[106:109], v1 offset:1264
	v_fma_f64 v[126:127], v[4:5], v[126:127], v[184:185]
	v_add_f64 v[114:115], v[168:169], v[114:115]
	v_add_f64 v[110:111], v[110:111], v[124:125]
	s_clause 0x2
	buffer_load_dword v125, off, s[0:3], 0 offset:764
	buffer_load_dword v124, off, s[0:3], 0 offset:760
	;; [unrolled: 1-line block ×3, first 2 shown]
	ds_read_b128 v[2:5], v1 offset:1280
	s_waitcnt vmcnt(55) lgkmcnt(1)
	v_mul_f64 v[168:169], v[106:107], v[128:129]
	v_mul_f64 v[128:129], v[108:109], v[128:129]
	s_waitcnt vmcnt(54)
	v_fma_f64 v[120:121], v[102:103], v[122:123], -v[120:121]
	v_add_f64 v[114:115], v[114:115], v[118:119]
	v_fma_f64 v[118:119], v[104:105], v[122:123], v[180:181]
	v_add_f64 v[110:111], v[110:111], v[126:127]
	s_clause 0x1
	buffer_load_dword v123, off, s[0:3], 0 offset:756
	buffer_load_dword v122, off, s[0:3], 0 offset:752
	s_waitcnt vmcnt(55) lgkmcnt(0)
	v_mul_f64 v[126:127], v[2:3], v[130:131]
	v_mul_f64 v[130:131], v[4:5], v[130:131]
	s_waitcnt vmcnt(53)
	v_fma_f64 v[128:129], v[106:107], v[134:135], -v[128:129]
	ds_read_b128 v[102:105], v1 offset:1296
	v_add_f64 v[114:115], v[114:115], v[120:121]
	v_fma_f64 v[120:121], v[108:109], v[134:135], v[168:169]
	v_add_f64 v[110:111], v[110:111], v[118:119]
	ds_read_b128 v[106:109], v1 offset:1312
	s_waitcnt vmcnt(48)
	v_fma_f64 v[126:127], v[4:5], v[132:133], v[126:127]
	s_waitcnt lgkmcnt(1)
	v_mul_f64 v[134:135], v[104:105], v[136:137]
	v_fma_f64 v[130:131], v[2:3], v[132:133], -v[130:131]
	v_mul_f64 v[118:119], v[102:103], v[136:137]
	v_add_f64 v[114:115], v[114:115], v[128:129]
	s_waitcnt vmcnt(47) lgkmcnt(0)
	v_mul_f64 v[136:137], v[108:109], v[138:139]
	v_add_f64 v[110:111], v[110:111], v[120:121]
	s_clause 0x3
	buffer_load_dword v120, off, s[0:3], 0 offset:432
	buffer_load_dword v121, off, s[0:3], 0 offset:436
	;; [unrolled: 1-line block ×4, first 2 shown]
	ds_read_b128 v[2:5], v1 offset:1328
	s_waitcnt vmcnt(49)
	v_fma_f64 v[134:135], v[102:103], v[142:143], -v[134:135]
	v_mul_f64 v[132:133], v[106:107], v[138:139]
	v_fma_f64 v[118:119], v[104:105], v[142:143], v[118:119]
	ds_read_b128 v[102:105], v1 offset:1344
	v_add_f64 v[114:115], v[114:115], v[130:131]
	s_waitcnt vmcnt(44)
	v_fma_f64 v[136:137], v[106:107], v[140:141], -v[136:137]
	v_add_f64 v[110:111], v[110:111], v[126:127]
	s_waitcnt lgkmcnt(1)
	v_mul_f64 v[130:131], v[4:5], v[144:145]
	v_mul_f64 v[126:127], v[2:3], v[144:145]
	v_fma_f64 v[132:133], v[108:109], v[140:141], v[132:133]
	ds_read_b128 v[106:109], v1 offset:1360
	v_add_f64 v[114:115], v[114:115], v[134:135]
	s_waitcnt vmcnt(43) lgkmcnt(1)
	v_mul_f64 v[134:135], v[104:105], v[146:147]
	v_add_f64 v[110:111], v[110:111], v[118:119]
	s_waitcnt vmcnt(41)
	v_fma_f64 v[130:131], v[2:3], v[150:151], -v[130:131]
	v_mul_f64 v[118:119], v[102:103], v[146:147]
	v_fma_f64 v[126:127], v[4:5], v[150:151], v[126:127]
	ds_read_b128 v[2:5], v1 offset:1376
	v_add_f64 v[114:115], v[114:115], v[136:137]
	s_waitcnt vmcnt(37) lgkmcnt(1)
	v_mul_f64 v[136:137], v[108:109], v[152:153]
	v_add_f64 v[110:111], v[110:111], v[132:133]
	s_waitcnt vmcnt(36)
	v_fma_f64 v[134:135], v[102:103], v[148:149], -v[134:135]
	;; [unrolled: 9-line block ×6, first 2 shown]
	v_mul_f64 v[126:127], v[2:3], v[172:173]
	v_fma_f64 v[132:133], v[108:109], v[164:165], v[132:133]
	ds_read_b128 v[106:109], v1 offset:1456
	v_add_f64 v[114:115], v[114:115], v[134:135]
	v_add_f64 v[110:111], v[110:111], v[118:119]
	s_waitcnt vmcnt(19) lgkmcnt(1)
	v_mul_f64 v[134:135], v[104:105], v[174:175]
	v_mul_f64 v[118:119], v[102:103], v[174:175]
	s_waitcnt vmcnt(17)
	v_fma_f64 v[130:131], v[2:3], v[170:171], -v[130:131]
	v_fma_f64 v[126:127], v[4:5], v[170:171], v[126:127]
	ds_read_b128 v[2:5], v1 offset:1472
	v_add_f64 v[114:115], v[114:115], v[136:137]
	v_add_f64 v[110:111], v[110:111], v[132:133]
	s_waitcnt vmcnt(13) lgkmcnt(1)
	v_mul_f64 v[132:133], v[106:107], v[116:117]
	v_mul_f64 v[116:117], v[108:109], v[116:117]
	s_waitcnt vmcnt(12)
	v_fma_f64 v[134:135], v[102:103], v[176:177], -v[134:135]
	;; [unrolled: 9-line block ×3, first 2 shown]
	v_fma_f64 v[108:109], v[108:109], v[112:113], v[132:133]
	v_add_f64 v[114:115], v[114:115], v[134:135]
	v_add_f64 v[110:111], v[110:111], v[118:119]
	s_waitcnt vmcnt(7) lgkmcnt(0)
	v_mul_f64 v[116:117], v[104:105], v[124:125]
	s_waitcnt vmcnt(6)
	v_fma_f64 v[1:2], v[2:3], v[183:184], -v[130:131]
	v_mul_f64 v[112:113], v[102:103], v[124:125]
	v_fma_f64 v[3:4], v[4:5], v[183:184], v[126:127]
	v_add_f64 v[106:107], v[114:115], v[106:107]
	v_add_f64 v[5:6], v[110:111], v[108:109]
	s_waitcnt vmcnt(4)
	v_fma_f64 v[102:103], v[102:103], v[122:123], -v[116:117]
	v_fma_f64 v[104:105], v[104:105], v[122:123], v[112:113]
	v_add_f64 v[1:2], v[106:107], v[1:2]
	v_add_f64 v[3:4], v[5:6], v[3:4]
	;; [unrolled: 1-line block ×4, first 2 shown]
	s_waitcnt vmcnt(2)
	v_add_f64 v[1:2], v[120:121], -v[1:2]
	s_waitcnt vmcnt(0)
	v_add_f64 v[3:4], v[128:129], -v[3:4]
	buffer_store_dword v2, off, s[0:3], 0 offset:436
	buffer_store_dword v1, off, s[0:3], 0 offset:432
	;; [unrolled: 1-line block ×4, first 2 shown]
	v_cmpx_lt_u32_e32 25, v0
	s_cbranch_execz .LBB110_245
; %bb.244:
	v_mov_b32_e32 v4, s34
	v_mov_b32_e32 v5, 0
	s_clause 0x3
	buffer_load_dword v1, v4, s[0:3], 0 offen
	buffer_load_dword v2, v4, s[0:3], 0 offen offset:4
	buffer_load_dword v3, v4, s[0:3], 0 offen offset:8
	;; [unrolled: 1-line block ×3, first 2 shown]
	buffer_store_dword v5, off, s[0:3], 0 offset:416
	buffer_store_dword v5, off, s[0:3], 0 offset:420
	;; [unrolled: 1-line block ×4, first 2 shown]
	s_waitcnt vmcnt(0)
	ds_write_b128 v7, v[1:4]
.LBB110_245:
	s_or_b32 exec_lo, exec_lo, s4
	s_waitcnt lgkmcnt(0)
	s_waitcnt_vscnt null, 0x0
	s_barrier
	buffer_gl0_inv
	s_clause 0x37
	buffer_load_dword v106, off, s[0:3], 0 offset:440
	buffer_load_dword v107, off, s[0:3], 0 offset:444
	;; [unrolled: 1-line block ×56, first 2 shown]
	v_mov_b32_e32 v1, 0
	s_mov_b32 s4, exec_lo
	ds_read_b128 v[2:5], v1 offset:1168
	s_clause 0x2
	buffer_load_dword v163, off, s[0:3], 0 offset:668
	buffer_load_dword v167, off, s[0:3], 0 offset:644
	;; [unrolled: 1-line block ×3, first 2 shown]
	ds_read_b128 v[102:105], v1 offset:1184
	s_clause 0x4
	buffer_load_dword v173, off, s[0:3], 0 offset:684
	buffer_load_dword v174, off, s[0:3], 0 offset:696
	;; [unrolled: 1-line block ×5, first 2 shown]
	s_waitcnt vmcnt(62) lgkmcnt(1)
	v_mul_f64 v[168:169], v[4:5], v[106:107]
	v_mul_f64 v[170:171], v[2:3], v[106:107]
	s_waitcnt vmcnt(60) lgkmcnt(0)
	v_mul_f64 v[177:178], v[104:105], v[110:111]
	ds_read_b128 v[106:109], v1 offset:1200
	v_mul_f64 v[110:111], v[102:103], v[110:111]
	s_waitcnt vmcnt(58)
	v_fma_f64 v[168:169], v[2:3], v[112:113], -v[168:169]
	v_fma_f64 v[112:113], v[4:5], v[112:113], v[170:171]
	s_clause 0x2
	buffer_load_dword v175, off, s[0:3], 0 offset:700
	buffer_load_dword v171, off, s[0:3], 0 offset:676
	;; [unrolled: 1-line block ×3, first 2 shown]
	s_waitcnt vmcnt(59) lgkmcnt(0)
	v_mul_f64 v[179:180], v[106:107], v[114:115]
	v_mul_f64 v[114:115], v[108:109], v[114:115]
	s_waitcnt vmcnt(57)
	v_fma_f64 v[181:182], v[102:103], v[116:117], -v[177:178]
	ds_read_b128 v[2:5], v1 offset:1216
	v_fma_f64 v[110:111], v[104:105], v[116:117], v[110:111]
	s_clause 0x4
	buffer_load_dword v117, off, s[0:3], 0 offset:716
	buffer_load_dword v178, off, s[0:3], 0 offset:728
	;; [unrolled: 1-line block ×5, first 2 shown]
	ds_read_b128 v[102:105], v1 offset:1232
	v_add_f64 v[168:169], v[168:169], 0
	v_add_f64 v[112:113], v[112:113], 0
	s_waitcnt vmcnt(58) lgkmcnt(1)
	v_mul_f64 v[184:185], v[2:3], v[118:119]
	v_mul_f64 v[118:119], v[4:5], v[118:119]
	s_waitcnt vmcnt(56)
	v_fma_f64 v[114:115], v[106:107], v[124:125], -v[114:115]
	v_fma_f64 v[124:125], v[108:109], v[124:125], v[179:180]
	v_add_f64 v[168:169], v[168:169], v[181:182]
	v_add_f64 v[110:111], v[112:113], v[110:111]
	s_clause 0x2
	buffer_load_dword v179, off, s[0:3], 0 offset:732
	buffer_load_dword v113, off, s[0:3], 0 offset:708
	;; [unrolled: 1-line block ×3, first 2 shown]
	s_waitcnt vmcnt(58) lgkmcnt(0)
	v_mul_f64 v[180:181], v[102:103], v[120:121]
	v_mul_f64 v[120:121], v[104:105], v[120:121]
	s_waitcnt vmcnt(56)
	v_fma_f64 v[118:119], v[2:3], v[126:127], -v[118:119]
	ds_read_b128 v[106:109], v1 offset:1248
	v_fma_f64 v[126:127], v[4:5], v[126:127], v[184:185]
	v_add_f64 v[114:115], v[168:169], v[114:115]
	v_add_f64 v[110:111], v[110:111], v[124:125]
	s_clause 0x4
	buffer_load_dword v125, off, s[0:3], 0 offset:748
	buffer_load_dword v168, off, s[0:3], 0 offset:760
	;; [unrolled: 1-line block ×5, first 2 shown]
	ds_read_b128 v[2:5], v1 offset:1264
	s_waitcnt vmcnt(57) lgkmcnt(1)
	v_mul_f64 v[186:187], v[106:107], v[128:129]
	v_mul_f64 v[128:129], v[108:109], v[128:129]
	s_waitcnt vmcnt(56)
	v_fma_f64 v[120:121], v[102:103], v[122:123], -v[120:121]
	v_add_f64 v[114:115], v[114:115], v[118:119]
	v_fma_f64 v[118:119], v[104:105], v[122:123], v[180:181]
	v_add_f64 v[110:111], v[110:111], v[126:127]
	s_clause 0x2
	buffer_load_dword v169, off, s[0:3], 0 offset:764
	buffer_load_dword v123, off, s[0:3], 0 offset:740
	buffer_load_dword v122, off, s[0:3], 0 offset:736
	s_waitcnt vmcnt(58) lgkmcnt(0)
	v_mul_f64 v[126:127], v[2:3], v[130:131]
	v_mul_f64 v[130:131], v[4:5], v[130:131]
	s_waitcnt vmcnt(56)
	v_fma_f64 v[128:129], v[106:107], v[134:135], -v[128:129]
	ds_read_b128 v[102:105], v1 offset:1280
	v_add_f64 v[114:115], v[114:115], v[120:121]
	v_fma_f64 v[120:121], v[108:109], v[134:135], v[186:187]
	v_add_f64 v[110:111], v[110:111], v[118:119]
	buffer_load_dword v186, off, s[0:3], 0 offset:756
	ds_read_b128 v[106:109], v1 offset:1296
	s_waitcnt vmcnt(53) lgkmcnt(1)
	v_mul_f64 v[134:135], v[104:105], v[136:137]
	s_waitcnt vmcnt(52)
	v_fma_f64 v[130:131], v[2:3], v[132:133], -v[130:131]
	v_mul_f64 v[118:119], v[102:103], v[136:137]
	v_fma_f64 v[126:127], v[4:5], v[132:133], v[126:127]
	ds_read_b128 v[2:5], v1 offset:1312
	v_add_f64 v[114:115], v[114:115], v[128:129]
	v_add_f64 v[110:111], v[110:111], v[120:121]
	s_waitcnt vmcnt(51) lgkmcnt(1)
	v_mul_f64 v[128:129], v[108:109], v[138:139]
	v_mul_f64 v[120:121], v[106:107], v[138:139]
	s_waitcnt vmcnt(49)
	v_fma_f64 v[132:133], v[102:103], v[142:143], -v[134:135]
	v_fma_f64 v[118:119], v[104:105], v[142:143], v[118:119]
	s_waitcnt vmcnt(45) lgkmcnt(0)
	v_mul_f64 v[136:137], v[4:5], v[144:145]
	v_mul_f64 v[134:135], v[2:3], v[144:145]
	v_add_f64 v[114:115], v[114:115], v[130:131]
	v_add_f64 v[110:111], v[110:111], v[126:127]
	s_clause 0x3
	buffer_load_dword v126, off, s[0:3], 0 offset:416
	buffer_load_dword v127, off, s[0:3], 0 offset:420
	;; [unrolled: 1-line block ×4, first 2 shown]
	s_waitcnt vmcnt(48)
	v_fma_f64 v[128:129], v[106:107], v[140:141], -v[128:129]
	ds_read_b128 v[102:105], v1 offset:1328
	v_fma_f64 v[120:121], v[108:109], v[140:141], v[120:121]
	ds_read_b128 v[106:109], v1 offset:1344
	s_waitcnt vmcnt(45)
	v_fma_f64 v[136:137], v[2:3], v[150:151], -v[136:137]
	v_add_f64 v[114:115], v[114:115], v[132:133]
	v_add_f64 v[110:111], v[110:111], v[118:119]
	s_waitcnt lgkmcnt(1)
	v_mul_f64 v[132:133], v[104:105], v[146:147]
	v_mul_f64 v[118:119], v[102:103], v[146:147]
	v_add_f64 v[114:115], v[114:115], v[128:129]
	v_fma_f64 v[128:129], v[4:5], v[150:151], v[134:135]
	v_add_f64 v[110:111], v[110:111], v[120:121]
	s_waitcnt vmcnt(41) lgkmcnt(0)
	v_mul_f64 v[134:135], v[108:109], v[152:153]
	s_waitcnt vmcnt(40)
	v_fma_f64 v[132:133], v[102:103], v[148:149], -v[132:133]
	ds_read_b128 v[2:5], v1 offset:1360
	v_mul_f64 v[120:121], v[106:107], v[152:153]
	v_fma_f64 v[118:119], v[104:105], v[148:149], v[118:119]
	ds_read_b128 v[102:105], v1 offset:1376
	v_add_f64 v[114:115], v[114:115], v[136:137]
	v_add_f64 v[110:111], v[110:111], v[128:129]
	s_waitcnt vmcnt(39) lgkmcnt(1)
	v_mul_f64 v[136:137], v[4:5], v[154:155]
	s_waitcnt vmcnt(37)
	v_fma_f64 v[134:135], v[106:107], v[158:159], -v[134:135]
	v_mul_f64 v[128:129], v[2:3], v[154:155]
	v_fma_f64 v[120:121], v[108:109], v[158:159], v[120:121]
	ds_read_b128 v[106:109], v1 offset:1392
	v_add_f64 v[114:115], v[114:115], v[132:133]
	s_waitcnt vmcnt(33) lgkmcnt(1)
	v_mul_f64 v[132:133], v[104:105], v[160:161]
	v_add_f64 v[110:111], v[110:111], v[118:119]
	s_waitcnt vmcnt(32)
	v_fma_f64 v[136:137], v[2:3], v[156:157], -v[136:137]
	v_mul_f64 v[118:119], v[102:103], v[160:161]
	v_fma_f64 v[128:129], v[4:5], v[156:157], v[128:129]
	ds_read_b128 v[2:5], v1 offset:1408
	v_add_f64 v[114:115], v[114:115], v[134:135]
	s_waitcnt vmcnt(31) lgkmcnt(1)
	v_mul_f64 v[134:135], v[108:109], v[162:163]
	v_add_f64 v[110:111], v[110:111], v[120:121]
	;; [unrolled: 9-line block ×3, first 2 shown]
	s_waitcnt vmcnt(24)
	v_fma_f64 v[134:135], v[106:107], v[164:165], -v[134:135]
	v_mul_f64 v[128:129], v[2:3], v[172:173]
	v_fma_f64 v[120:121], v[108:109], v[164:165], v[120:121]
	ds_read_b128 v[106:109], v1 offset:1440
	v_add_f64 v[114:115], v[114:115], v[132:133]
	v_add_f64 v[110:111], v[110:111], v[118:119]
	s_waitcnt vmcnt(23) lgkmcnt(1)
	v_mul_f64 v[132:133], v[104:105], v[174:175]
	v_mul_f64 v[118:119], v[102:103], v[174:175]
	s_waitcnt vmcnt(21)
	v_fma_f64 v[136:137], v[2:3], v[170:171], -v[136:137]
	v_fma_f64 v[128:129], v[4:5], v[170:171], v[128:129]
	ds_read_b128 v[2:5], v1 offset:1456
	v_add_f64 v[114:115], v[114:115], v[134:135]
	v_add_f64 v[110:111], v[110:111], v[120:121]
	s_waitcnt vmcnt(17) lgkmcnt(1)
	v_mul_f64 v[120:121], v[106:107], v[116:117]
	v_mul_f64 v[116:117], v[108:109], v[116:117]
	s_waitcnt vmcnt(16)
	v_fma_f64 v[132:133], v[102:103], v[176:177], -v[132:133]
	;; [unrolled: 9-line block ×3, first 2 shown]
	v_fma_f64 v[112:113], v[108:109], v[112:113], v[120:121]
	ds_read_b128 v[106:109], v1 offset:1488
	v_add_f64 v[114:115], v[114:115], v[132:133]
	v_add_f64 v[110:111], v[110:111], v[118:119]
	s_waitcnt vmcnt(9) lgkmcnt(1)
	v_mul_f64 v[120:121], v[104:105], v[124:125]
	s_waitcnt vmcnt(8)
	v_fma_f64 v[2:3], v[2:3], v[183:184], -v[134:135]
	v_mul_f64 v[118:119], v[102:103], v[124:125]
	v_fma_f64 v[4:5], v[4:5], v[183:184], v[128:129]
	v_add_f64 v[114:115], v[114:115], v[116:117]
	v_add_f64 v[110:111], v[110:111], v[112:113]
	s_waitcnt vmcnt(7) lgkmcnt(0)
	v_mul_f64 v[116:117], v[108:109], v[168:169]
	v_mul_f64 v[112:113], v[106:107], v[168:169]
	s_waitcnt vmcnt(5)
	v_fma_f64 v[102:103], v[102:103], v[122:123], -v[120:121]
	v_fma_f64 v[104:105], v[104:105], v[122:123], v[118:119]
	v_add_f64 v[2:3], v[114:115], v[2:3]
	v_add_f64 v[4:5], v[110:111], v[4:5]
	s_waitcnt vmcnt(4)
	v_fma_f64 v[106:107], v[106:107], v[185:186], -v[116:117]
	v_add_f64 v[2:3], v[2:3], v[102:103]
	v_fma_f64 v[102:103], v[108:109], v[185:186], v[112:113]
	v_add_f64 v[4:5], v[4:5], v[104:105]
	v_add_f64 v[2:3], v[2:3], v[106:107]
	;; [unrolled: 1-line block ×3, first 2 shown]
	s_waitcnt vmcnt(2)
	v_add_f64 v[2:3], v[126:127], -v[2:3]
	s_waitcnt vmcnt(0)
	v_add_f64 v[4:5], v[130:131], -v[4:5]
	buffer_store_dword v3, off, s[0:3], 0 offset:420
	buffer_store_dword v2, off, s[0:3], 0 offset:416
	;; [unrolled: 1-line block ×4, first 2 shown]
	v_cmpx_lt_u32_e32 24, v0
	s_cbranch_execz .LBB110_247
; %bb.246:
	v_mov_b32_e32 v5, s35
	s_clause 0x3
	buffer_load_dword v2, v5, s[0:3], 0 offen
	buffer_load_dword v3, v5, s[0:3], 0 offen offset:4
	buffer_load_dword v4, v5, s[0:3], 0 offen offset:8
	;; [unrolled: 1-line block ×3, first 2 shown]
	buffer_store_dword v1, off, s[0:3], 0 offset:400
	buffer_store_dword v1, off, s[0:3], 0 offset:404
	;; [unrolled: 1-line block ×4, first 2 shown]
	s_waitcnt vmcnt(0)
	ds_write_b128 v7, v[2:5]
.LBB110_247:
	s_or_b32 exec_lo, exec_lo, s4
	s_waitcnt lgkmcnt(0)
	s_waitcnt_vscnt null, 0x0
	s_barrier
	buffer_gl0_inv
	s_clause 0x37
	buffer_load_dword v106, off, s[0:3], 0 offset:424
	buffer_load_dword v107, off, s[0:3], 0 offset:428
	;; [unrolled: 1-line block ×56, first 2 shown]
	ds_read_b128 v[2:5], v1 offset:1152
	s_clause 0x2
	buffer_load_dword v163, off, s[0:3], 0 offset:652
	buffer_load_dword v167, off, s[0:3], 0 offset:628
	;; [unrolled: 1-line block ×3, first 2 shown]
	ds_read_b128 v[102:105], v1 offset:1168
	s_clause 0x4
	buffer_load_dword v173, off, s[0:3], 0 offset:668
	buffer_load_dword v174, off, s[0:3], 0 offset:680
	;; [unrolled: 1-line block ×5, first 2 shown]
	s_mov_b32 s4, exec_lo
	s_waitcnt vmcnt(62) lgkmcnt(1)
	v_mul_f64 v[168:169], v[4:5], v[106:107]
	v_mul_f64 v[170:171], v[2:3], v[106:107]
	s_waitcnt vmcnt(60) lgkmcnt(0)
	v_mul_f64 v[177:178], v[104:105], v[110:111]
	ds_read_b128 v[106:109], v1 offset:1184
	v_mul_f64 v[110:111], v[102:103], v[110:111]
	s_waitcnt vmcnt(58)
	v_fma_f64 v[168:169], v[2:3], v[112:113], -v[168:169]
	v_fma_f64 v[112:113], v[4:5], v[112:113], v[170:171]
	s_clause 0x2
	buffer_load_dword v175, off, s[0:3], 0 offset:684
	buffer_load_dword v171, off, s[0:3], 0 offset:660
	;; [unrolled: 1-line block ×3, first 2 shown]
	s_waitcnt vmcnt(59) lgkmcnt(0)
	v_mul_f64 v[179:180], v[106:107], v[114:115]
	v_mul_f64 v[114:115], v[108:109], v[114:115]
	s_waitcnt vmcnt(57)
	v_fma_f64 v[181:182], v[102:103], v[116:117], -v[177:178]
	ds_read_b128 v[2:5], v1 offset:1200
	v_fma_f64 v[110:111], v[104:105], v[116:117], v[110:111]
	s_clause 0x4
	buffer_load_dword v117, off, s[0:3], 0 offset:700
	buffer_load_dword v178, off, s[0:3], 0 offset:712
	;; [unrolled: 1-line block ×5, first 2 shown]
	ds_read_b128 v[102:105], v1 offset:1216
	v_add_f64 v[168:169], v[168:169], 0
	v_add_f64 v[112:113], v[112:113], 0
	s_waitcnt vmcnt(58) lgkmcnt(1)
	v_mul_f64 v[184:185], v[2:3], v[118:119]
	v_mul_f64 v[118:119], v[4:5], v[118:119]
	s_waitcnt vmcnt(56)
	v_fma_f64 v[114:115], v[106:107], v[124:125], -v[114:115]
	v_fma_f64 v[124:125], v[108:109], v[124:125], v[179:180]
	v_add_f64 v[168:169], v[168:169], v[181:182]
	v_add_f64 v[110:111], v[112:113], v[110:111]
	s_clause 0x2
	buffer_load_dword v179, off, s[0:3], 0 offset:716
	buffer_load_dword v113, off, s[0:3], 0 offset:692
	;; [unrolled: 1-line block ×3, first 2 shown]
	s_waitcnt vmcnt(58) lgkmcnt(0)
	v_mul_f64 v[180:181], v[102:103], v[120:121]
	v_mul_f64 v[120:121], v[104:105], v[120:121]
	s_waitcnt vmcnt(56)
	v_fma_f64 v[118:119], v[2:3], v[126:127], -v[118:119]
	ds_read_b128 v[106:109], v1 offset:1232
	v_fma_f64 v[126:127], v[4:5], v[126:127], v[184:185]
	v_add_f64 v[114:115], v[168:169], v[114:115]
	v_add_f64 v[110:111], v[110:111], v[124:125]
	s_clause 0x4
	buffer_load_dword v125, off, s[0:3], 0 offset:732
	buffer_load_dword v168, off, s[0:3], 0 offset:744
	;; [unrolled: 1-line block ×5, first 2 shown]
	ds_read_b128 v[2:5], v1 offset:1248
	s_waitcnt vmcnt(57) lgkmcnt(1)
	v_mul_f64 v[186:187], v[106:107], v[128:129]
	v_mul_f64 v[128:129], v[108:109], v[128:129]
	s_waitcnt vmcnt(56)
	v_fma_f64 v[120:121], v[102:103], v[122:123], -v[120:121]
	v_add_f64 v[114:115], v[114:115], v[118:119]
	v_fma_f64 v[118:119], v[104:105], v[122:123], v[180:181]
	v_add_f64 v[110:111], v[110:111], v[126:127]
	s_clause 0x2
	buffer_load_dword v169, off, s[0:3], 0 offset:748
	buffer_load_dword v123, off, s[0:3], 0 offset:724
	;; [unrolled: 1-line block ×3, first 2 shown]
	s_waitcnt vmcnt(58) lgkmcnt(0)
	v_mul_f64 v[126:127], v[2:3], v[130:131]
	v_mul_f64 v[130:131], v[4:5], v[130:131]
	s_waitcnt vmcnt(56)
	v_fma_f64 v[128:129], v[106:107], v[134:135], -v[128:129]
	ds_read_b128 v[102:105], v1 offset:1264
	v_add_f64 v[114:115], v[114:115], v[120:121]
	v_fma_f64 v[120:121], v[108:109], v[134:135], v[186:187]
	v_add_f64 v[110:111], v[110:111], v[118:119]
	s_clause 0x2
	buffer_load_dword v119, off, s[0:3], 0 offset:764
	buffer_load_dword v118, off, s[0:3], 0 offset:760
	;; [unrolled: 1-line block ×3, first 2 shown]
	ds_read_b128 v[106:109], v1 offset:1280
	s_waitcnt vmcnt(55) lgkmcnt(1)
	v_mul_f64 v[134:135], v[102:103], v[136:137]
	v_mul_f64 v[136:137], v[104:105], v[136:137]
	s_waitcnt vmcnt(54)
	v_fma_f64 v[130:131], v[2:3], v[132:133], -v[130:131]
	v_fma_f64 v[126:127], v[4:5], v[132:133], v[126:127]
	v_add_f64 v[114:115], v[114:115], v[128:129]
	v_add_f64 v[110:111], v[110:111], v[120:121]
	s_clause 0x1
	buffer_load_dword v121, off, s[0:3], 0 offset:756
	buffer_load_dword v120, off, s[0:3], 0 offset:752
	s_waitcnt vmcnt(55) lgkmcnt(0)
	v_mul_f64 v[132:133], v[108:109], v[138:139]
	ds_read_b128 v[2:5], v1 offset:1296
	s_waitcnt vmcnt(53)
	v_fma_f64 v[136:137], v[102:103], v[142:143], -v[136:137]
	v_mul_f64 v[128:129], v[106:107], v[138:139]
	v_add_f64 v[114:115], v[114:115], v[130:131]
	v_fma_f64 v[130:131], v[104:105], v[142:143], v[134:135]
	v_add_f64 v[110:111], v[110:111], v[126:127]
	ds_read_b128 v[102:105], v1 offset:1312
	s_waitcnt vmcnt(49) lgkmcnt(1)
	v_mul_f64 v[134:135], v[4:5], v[144:145]
	s_waitcnt vmcnt(48)
	v_fma_f64 v[132:133], v[106:107], v[140:141], -v[132:133]
	v_mul_f64 v[126:127], v[2:3], v[144:145]
	v_fma_f64 v[128:129], v[108:109], v[140:141], v[128:129]
	v_add_f64 v[114:115], v[114:115], v[136:137]
	s_waitcnt vmcnt(47) lgkmcnt(0)
	v_mul_f64 v[140:141], v[104:105], v[146:147]
	v_add_f64 v[110:111], v[110:111], v[130:131]
	s_clause 0x3
	buffer_load_dword v130, off, s[0:3], 0 offset:400
	buffer_load_dword v131, off, s[0:3], 0 offset:404
	;; [unrolled: 1-line block ×4, first 2 shown]
	s_waitcnt vmcnt(49)
	v_fma_f64 v[134:135], v[2:3], v[150:151], -v[134:135]
	ds_read_b128 v[106:109], v1 offset:1328
	v_mul_f64 v[138:139], v[102:103], v[146:147]
	v_fma_f64 v[126:127], v[4:5], v[150:151], v[126:127]
	ds_read_b128 v[2:5], v1 offset:1344
	v_add_f64 v[114:115], v[114:115], v[132:133]
	s_waitcnt vmcnt(44)
	v_fma_f64 v[140:141], v[102:103], v[148:149], -v[140:141]
	v_add_f64 v[110:111], v[110:111], v[128:129]
	s_waitcnt lgkmcnt(1)
	v_mul_f64 v[132:133], v[108:109], v[152:153]
	v_mul_f64 v[128:129], v[106:107], v[152:153]
	v_add_f64 v[114:115], v[114:115], v[134:135]
	v_fma_f64 v[134:135], v[104:105], v[148:149], v[138:139]
	v_add_f64 v[110:111], v[110:111], v[126:127]
	s_waitcnt vmcnt(43) lgkmcnt(0)
	v_mul_f64 v[138:139], v[4:5], v[154:155]
	s_waitcnt vmcnt(41)
	v_fma_f64 v[132:133], v[106:107], v[158:159], -v[132:133]
	ds_read_b128 v[102:105], v1 offset:1360
	v_mul_f64 v[126:127], v[2:3], v[154:155]
	v_fma_f64 v[128:129], v[108:109], v[158:159], v[128:129]
	ds_read_b128 v[106:109], v1 offset:1376
	v_add_f64 v[114:115], v[114:115], v[140:141]
	v_add_f64 v[110:111], v[110:111], v[134:135]
	s_waitcnt vmcnt(37) lgkmcnt(1)
	v_mul_f64 v[140:141], v[104:105], v[160:161]
	s_waitcnt vmcnt(36)
	v_fma_f64 v[138:139], v[2:3], v[156:157], -v[138:139]
	v_mul_f64 v[134:135], v[102:103], v[160:161]
	v_fma_f64 v[126:127], v[4:5], v[156:157], v[126:127]
	ds_read_b128 v[2:5], v1 offset:1392
	v_add_f64 v[114:115], v[114:115], v[132:133]
	s_waitcnt vmcnt(35) lgkmcnt(1)
	v_mul_f64 v[132:133], v[108:109], v[162:163]
	v_add_f64 v[110:111], v[110:111], v[128:129]
	s_waitcnt vmcnt(33)
	v_fma_f64 v[140:141], v[102:103], v[166:167], -v[140:141]
	v_mul_f64 v[128:129], v[106:107], v[162:163]
	v_fma_f64 v[134:135], v[104:105], v[166:167], v[134:135]
	ds_read_b128 v[102:105], v1 offset:1408
	v_add_f64 v[114:115], v[114:115], v[138:139]
	s_waitcnt vmcnt(29) lgkmcnt(1)
	v_mul_f64 v[138:139], v[4:5], v[172:173]
	v_add_f64 v[110:111], v[110:111], v[126:127]
	s_waitcnt vmcnt(28)
	v_fma_f64 v[132:133], v[106:107], v[164:165], -v[132:133]
	v_mul_f64 v[126:127], v[2:3], v[172:173]
	v_fma_f64 v[128:129], v[108:109], v[164:165], v[128:129]
	ds_read_b128 v[106:109], v1 offset:1424
	v_add_f64 v[114:115], v[114:115], v[140:141]
	v_add_f64 v[110:111], v[110:111], v[134:135]
	s_waitcnt vmcnt(27) lgkmcnt(1)
	v_mul_f64 v[140:141], v[104:105], v[174:175]
	v_mul_f64 v[134:135], v[102:103], v[174:175]
	s_waitcnt vmcnt(25)
	v_fma_f64 v[138:139], v[2:3], v[170:171], -v[138:139]
	v_fma_f64 v[126:127], v[4:5], v[170:171], v[126:127]
	ds_read_b128 v[2:5], v1 offset:1440
	v_add_f64 v[114:115], v[114:115], v[132:133]
	v_add_f64 v[110:111], v[110:111], v[128:129]
	s_waitcnt vmcnt(21) lgkmcnt(1)
	v_mul_f64 v[128:129], v[106:107], v[116:117]
	v_mul_f64 v[116:117], v[108:109], v[116:117]
	s_waitcnt vmcnt(20)
	v_fma_f64 v[132:133], v[102:103], v[176:177], -v[140:141]
	;; [unrolled: 9-line block ×5, first 2 shown]
	v_fma_f64 v[104:105], v[104:105], v[122:123], v[128:129]
	v_add_f64 v[114:115], v[114:115], v[132:133]
	v_add_f64 v[5:6], v[110:111], v[5:6]
	s_waitcnt vmcnt(7) lgkmcnt(0)
	v_mul_f64 v[110:111], v[1:2], v[118:119]
	v_mul_f64 v[118:119], v[3:4], v[118:119]
	s_waitcnt vmcnt(6)
	v_fma_f64 v[106:107], v[106:107], v[185:186], -v[116:117]
	v_fma_f64 v[108:109], v[108:109], v[185:186], v[112:113]
	v_add_f64 v[102:103], v[114:115], v[102:103]
	v_add_f64 v[5:6], v[5:6], v[104:105]
	s_waitcnt vmcnt(4)
	v_fma_f64 v[1:2], v[1:2], v[120:121], -v[118:119]
	v_fma_f64 v[3:4], v[3:4], v[120:121], v[110:111]
	v_add_f64 v[102:103], v[102:103], v[106:107]
	v_add_f64 v[5:6], v[5:6], v[108:109]
	;; [unrolled: 1-line block ×4, first 2 shown]
	s_waitcnt vmcnt(2)
	v_add_f64 v[1:2], v[130:131], -v[1:2]
	s_waitcnt vmcnt(0)
	v_add_f64 v[3:4], v[136:137], -v[3:4]
	buffer_store_dword v2, off, s[0:3], 0 offset:404
	buffer_store_dword v1, off, s[0:3], 0 offset:400
	;; [unrolled: 1-line block ×4, first 2 shown]
	v_cmpx_lt_u32_e32 23, v0
	s_cbranch_execz .LBB110_249
; %bb.248:
	v_mov_b32_e32 v4, s36
	v_mov_b32_e32 v5, 0
	s_clause 0x3
	buffer_load_dword v1, v4, s[0:3], 0 offen
	buffer_load_dword v2, v4, s[0:3], 0 offen offset:4
	buffer_load_dword v3, v4, s[0:3], 0 offen offset:8
	;; [unrolled: 1-line block ×3, first 2 shown]
	buffer_store_dword v5, off, s[0:3], 0 offset:384
	buffer_store_dword v5, off, s[0:3], 0 offset:388
	;; [unrolled: 1-line block ×4, first 2 shown]
	s_waitcnt vmcnt(0)
	ds_write_b128 v7, v[1:4]
.LBB110_249:
	s_or_b32 exec_lo, exec_lo, s4
	s_waitcnt lgkmcnt(0)
	s_waitcnt_vscnt null, 0x0
	s_barrier
	buffer_gl0_inv
	s_clause 0x37
	buffer_load_dword v106, off, s[0:3], 0 offset:408
	buffer_load_dword v107, off, s[0:3], 0 offset:412
	buffer_load_dword v110, off, s[0:3], 0 offset:424
	buffer_load_dword v111, off, s[0:3], 0 offset:428
	buffer_load_dword v112, off, s[0:3], 0 offset:400
	buffer_load_dword v113, off, s[0:3], 0 offset:404
	buffer_load_dword v114, off, s[0:3], 0 offset:440
	buffer_load_dword v115, off, s[0:3], 0 offset:444
	buffer_load_dword v116, off, s[0:3], 0 offset:416
	buffer_load_dword v117, off, s[0:3], 0 offset:420
	buffer_load_dword v119, off, s[0:3], 0 offset:460
	buffer_load_dword v120, off, s[0:3], 0 offset:472
	buffer_load_dword v122, off, s[0:3], 0 offset:464
	buffer_load_dword v118, off, s[0:3], 0 offset:456
	buffer_load_dword v124, off, s[0:3], 0 offset:432
	buffer_load_dword v125, off, s[0:3], 0 offset:436
	buffer_load_dword v121, off, s[0:3], 0 offset:476
	buffer_load_dword v127, off, s[0:3], 0 offset:452
	buffer_load_dword v126, off, s[0:3], 0 offset:448
	buffer_load_dword v129, off, s[0:3], 0 offset:492
	buffer_load_dword v130, off, s[0:3], 0 offset:504
	buffer_load_dword v132, off, s[0:3], 0 offset:496
	buffer_load_dword v128, off, s[0:3], 0 offset:488
	buffer_load_dword v123, off, s[0:3], 0 offset:468
	buffer_load_dword v131, off, s[0:3], 0 offset:508
	buffer_load_dword v135, off, s[0:3], 0 offset:484
	buffer_load_dword v134, off, s[0:3], 0 offset:480
	buffer_load_dword v137, off, s[0:3], 0 offset:524
	buffer_load_dword v138, off, s[0:3], 0 offset:536
	buffer_load_dword v140, off, s[0:3], 0 offset:528
	buffer_load_dword v136, off, s[0:3], 0 offset:520
	buffer_load_dword v133, off, s[0:3], 0 offset:500
	buffer_load_dword v139, off, s[0:3], 0 offset:540
	buffer_load_dword v143, off, s[0:3], 0 offset:516
	buffer_load_dword v142, off, s[0:3], 0 offset:512
	buffer_load_dword v145, off, s[0:3], 0 offset:556
	buffer_load_dword v146, off, s[0:3], 0 offset:568
	buffer_load_dword v148, off, s[0:3], 0 offset:560
	buffer_load_dword v144, off, s[0:3], 0 offset:552
	buffer_load_dword v141, off, s[0:3], 0 offset:532
	buffer_load_dword v147, off, s[0:3], 0 offset:572
	buffer_load_dword v151, off, s[0:3], 0 offset:548
	buffer_load_dword v150, off, s[0:3], 0 offset:544
	buffer_load_dword v153, off, s[0:3], 0 offset:588
	buffer_load_dword v154, off, s[0:3], 0 offset:600
	buffer_load_dword v156, off, s[0:3], 0 offset:592
	buffer_load_dword v152, off, s[0:3], 0 offset:584
	buffer_load_dword v149, off, s[0:3], 0 offset:564
	buffer_load_dword v155, off, s[0:3], 0 offset:604
	buffer_load_dword v159, off, s[0:3], 0 offset:580
	buffer_load_dword v158, off, s[0:3], 0 offset:576
	buffer_load_dword v161, off, s[0:3], 0 offset:620
	buffer_load_dword v162, off, s[0:3], 0 offset:632
	buffer_load_dword v164, off, s[0:3], 0 offset:624
	buffer_load_dword v160, off, s[0:3], 0 offset:616
	buffer_load_dword v157, off, s[0:3], 0 offset:596
	v_mov_b32_e32 v1, 0
	s_mov_b32 s4, exec_lo
	ds_read_b128 v[2:5], v1 offset:1136
	s_clause 0x2
	buffer_load_dword v163, off, s[0:3], 0 offset:636
	buffer_load_dword v167, off, s[0:3], 0 offset:612
	;; [unrolled: 1-line block ×3, first 2 shown]
	ds_read_b128 v[102:105], v1 offset:1152
	s_clause 0x4
	buffer_load_dword v173, off, s[0:3], 0 offset:652
	buffer_load_dword v174, off, s[0:3], 0 offset:664
	;; [unrolled: 1-line block ×5, first 2 shown]
	s_waitcnt vmcnt(62) lgkmcnt(1)
	v_mul_f64 v[168:169], v[4:5], v[106:107]
	v_mul_f64 v[170:171], v[2:3], v[106:107]
	s_waitcnt vmcnt(60) lgkmcnt(0)
	v_mul_f64 v[177:178], v[104:105], v[110:111]
	ds_read_b128 v[106:109], v1 offset:1168
	v_mul_f64 v[110:111], v[102:103], v[110:111]
	s_waitcnt vmcnt(58)
	v_fma_f64 v[168:169], v[2:3], v[112:113], -v[168:169]
	v_fma_f64 v[112:113], v[4:5], v[112:113], v[170:171]
	s_clause 0x2
	buffer_load_dword v175, off, s[0:3], 0 offset:668
	buffer_load_dword v171, off, s[0:3], 0 offset:644
	;; [unrolled: 1-line block ×3, first 2 shown]
	s_waitcnt vmcnt(59) lgkmcnt(0)
	v_mul_f64 v[179:180], v[106:107], v[114:115]
	v_mul_f64 v[114:115], v[108:109], v[114:115]
	s_waitcnt vmcnt(57)
	v_fma_f64 v[181:182], v[102:103], v[116:117], -v[177:178]
	ds_read_b128 v[2:5], v1 offset:1184
	v_fma_f64 v[110:111], v[104:105], v[116:117], v[110:111]
	s_clause 0x4
	buffer_load_dword v117, off, s[0:3], 0 offset:684
	buffer_load_dword v178, off, s[0:3], 0 offset:696
	;; [unrolled: 1-line block ×5, first 2 shown]
	ds_read_b128 v[102:105], v1 offset:1200
	v_add_f64 v[168:169], v[168:169], 0
	v_add_f64 v[112:113], v[112:113], 0
	s_waitcnt vmcnt(58) lgkmcnt(1)
	v_mul_f64 v[184:185], v[2:3], v[118:119]
	v_mul_f64 v[118:119], v[4:5], v[118:119]
	s_waitcnt vmcnt(56)
	v_fma_f64 v[114:115], v[106:107], v[124:125], -v[114:115]
	v_fma_f64 v[124:125], v[108:109], v[124:125], v[179:180]
	v_add_f64 v[168:169], v[168:169], v[181:182]
	v_add_f64 v[110:111], v[112:113], v[110:111]
	s_clause 0x2
	buffer_load_dword v179, off, s[0:3], 0 offset:700
	buffer_load_dword v113, off, s[0:3], 0 offset:676
	;; [unrolled: 1-line block ×3, first 2 shown]
	s_waitcnt vmcnt(58) lgkmcnt(0)
	v_mul_f64 v[180:181], v[102:103], v[120:121]
	v_mul_f64 v[120:121], v[104:105], v[120:121]
	s_waitcnt vmcnt(56)
	v_fma_f64 v[118:119], v[2:3], v[126:127], -v[118:119]
	ds_read_b128 v[106:109], v1 offset:1216
	v_fma_f64 v[126:127], v[4:5], v[126:127], v[184:185]
	v_add_f64 v[114:115], v[168:169], v[114:115]
	v_add_f64 v[110:111], v[110:111], v[124:125]
	s_clause 0x4
	buffer_load_dword v125, off, s[0:3], 0 offset:716
	buffer_load_dword v168, off, s[0:3], 0 offset:728
	;; [unrolled: 1-line block ×5, first 2 shown]
	ds_read_b128 v[2:5], v1 offset:1232
	s_waitcnt vmcnt(57) lgkmcnt(1)
	v_mul_f64 v[186:187], v[106:107], v[128:129]
	v_mul_f64 v[128:129], v[108:109], v[128:129]
	s_waitcnt vmcnt(56)
	v_fma_f64 v[120:121], v[102:103], v[122:123], -v[120:121]
	v_add_f64 v[114:115], v[114:115], v[118:119]
	v_fma_f64 v[118:119], v[104:105], v[122:123], v[180:181]
	v_add_f64 v[110:111], v[110:111], v[126:127]
	s_clause 0x2
	buffer_load_dword v169, off, s[0:3], 0 offset:732
	buffer_load_dword v123, off, s[0:3], 0 offset:708
	;; [unrolled: 1-line block ×3, first 2 shown]
	s_waitcnt vmcnt(58) lgkmcnt(0)
	v_mul_f64 v[126:127], v[2:3], v[130:131]
	v_mul_f64 v[130:131], v[4:5], v[130:131]
	s_waitcnt vmcnt(56)
	v_fma_f64 v[128:129], v[106:107], v[134:135], -v[128:129]
	ds_read_b128 v[102:105], v1 offset:1248
	v_add_f64 v[114:115], v[114:115], v[120:121]
	v_fma_f64 v[120:121], v[108:109], v[134:135], v[186:187]
	v_add_f64 v[110:111], v[110:111], v[118:119]
	s_clause 0x4
	buffer_load_dword v119, off, s[0:3], 0 offset:748
	buffer_load_dword v134, off, s[0:3], 0 offset:760
	;; [unrolled: 1-line block ×5, first 2 shown]
	ds_read_b128 v[106:109], v1 offset:1264
	s_waitcnt vmcnt(57) lgkmcnt(1)
	v_mul_f64 v[181:182], v[102:103], v[136:137]
	v_mul_f64 v[136:137], v[104:105], v[136:137]
	s_waitcnt vmcnt(56)
	v_fma_f64 v[130:131], v[2:3], v[132:133], -v[130:131]
	v_fma_f64 v[126:127], v[4:5], v[132:133], v[126:127]
	v_add_f64 v[114:115], v[114:115], v[128:129]
	v_add_f64 v[110:111], v[110:111], v[120:121]
	s_clause 0x2
	buffer_load_dword v135, off, s[0:3], 0 offset:764
	buffer_load_dword v121, off, s[0:3], 0 offset:740
	;; [unrolled: 1-line block ×3, first 2 shown]
	s_waitcnt vmcnt(58) lgkmcnt(0)
	v_mul_f64 v[132:133], v[108:109], v[138:139]
	ds_read_b128 v[2:5], v1 offset:1280
	s_waitcnt vmcnt(56)
	v_fma_f64 v[136:137], v[102:103], v[142:143], -v[136:137]
	v_mul_f64 v[128:129], v[106:107], v[138:139]
	v_add_f64 v[114:115], v[114:115], v[130:131]
	v_fma_f64 v[130:131], v[104:105], v[142:143], v[181:182]
	v_add_f64 v[110:111], v[110:111], v[126:127]
	buffer_load_dword v181, off, s[0:3], 0 offset:756
	ds_read_b128 v[102:105], v1 offset:1296
	s_waitcnt vmcnt(53) lgkmcnt(1)
	v_mul_f64 v[138:139], v[4:5], v[144:145]
	s_waitcnt vmcnt(52)
	v_fma_f64 v[132:133], v[106:107], v[140:141], -v[132:133]
	v_mul_f64 v[126:127], v[2:3], v[144:145]
	v_fma_f64 v[128:129], v[108:109], v[140:141], v[128:129]
	ds_read_b128 v[106:109], v1 offset:1312
	v_add_f64 v[114:115], v[114:115], v[136:137]
	v_add_f64 v[110:111], v[110:111], v[130:131]
	s_waitcnt vmcnt(51) lgkmcnt(1)
	v_mul_f64 v[136:137], v[104:105], v[146:147]
	v_mul_f64 v[130:131], v[102:103], v[146:147]
	s_waitcnt vmcnt(49)
	v_fma_f64 v[138:139], v[2:3], v[150:151], -v[138:139]
	v_fma_f64 v[126:127], v[4:5], v[150:151], v[126:127]
	s_waitcnt vmcnt(45) lgkmcnt(0)
	v_mul_f64 v[142:143], v[108:109], v[152:153]
	v_mul_f64 v[140:141], v[106:107], v[152:153]
	v_add_f64 v[114:115], v[114:115], v[132:133]
	v_add_f64 v[110:111], v[110:111], v[128:129]
	s_clause 0x3
	buffer_load_dword v128, off, s[0:3], 0 offset:384
	buffer_load_dword v129, off, s[0:3], 0 offset:388
	;; [unrolled: 1-line block ×4, first 2 shown]
	s_waitcnt vmcnt(48)
	v_fma_f64 v[136:137], v[102:103], v[148:149], -v[136:137]
	ds_read_b128 v[2:5], v1 offset:1328
	v_fma_f64 v[130:131], v[104:105], v[148:149], v[130:131]
	ds_read_b128 v[102:105], v1 offset:1344
	s_waitcnt vmcnt(45)
	v_fma_f64 v[142:143], v[106:107], v[158:159], -v[142:143]
	v_add_f64 v[114:115], v[114:115], v[138:139]
	v_add_f64 v[110:111], v[110:111], v[126:127]
	s_waitcnt lgkmcnt(1)
	v_mul_f64 v[138:139], v[4:5], v[154:155]
	v_mul_f64 v[126:127], v[2:3], v[154:155]
	v_add_f64 v[114:115], v[114:115], v[136:137]
	v_fma_f64 v[136:137], v[108:109], v[158:159], v[140:141]
	v_add_f64 v[110:111], v[110:111], v[130:131]
	s_waitcnt vmcnt(41) lgkmcnt(0)
	v_mul_f64 v[140:141], v[104:105], v[160:161]
	s_waitcnt vmcnt(40)
	v_fma_f64 v[138:139], v[2:3], v[156:157], -v[138:139]
	ds_read_b128 v[106:109], v1 offset:1360
	v_mul_f64 v[130:131], v[102:103], v[160:161]
	v_fma_f64 v[126:127], v[4:5], v[156:157], v[126:127]
	ds_read_b128 v[2:5], v1 offset:1376
	v_add_f64 v[114:115], v[114:115], v[142:143]
	v_add_f64 v[110:111], v[110:111], v[136:137]
	s_waitcnt vmcnt(39) lgkmcnt(1)
	v_mul_f64 v[142:143], v[108:109], v[162:163]
	s_waitcnt vmcnt(37)
	v_fma_f64 v[140:141], v[102:103], v[166:167], -v[140:141]
	v_mul_f64 v[136:137], v[106:107], v[162:163]
	v_fma_f64 v[130:131], v[104:105], v[166:167], v[130:131]
	ds_read_b128 v[102:105], v1 offset:1392
	v_add_f64 v[114:115], v[114:115], v[138:139]
	s_waitcnt vmcnt(33) lgkmcnt(1)
	v_mul_f64 v[138:139], v[4:5], v[172:173]
	v_add_f64 v[110:111], v[110:111], v[126:127]
	s_waitcnt vmcnt(32)
	v_fma_f64 v[142:143], v[106:107], v[164:165], -v[142:143]
	v_mul_f64 v[126:127], v[2:3], v[172:173]
	v_fma_f64 v[136:137], v[108:109], v[164:165], v[136:137]
	ds_read_b128 v[106:109], v1 offset:1408
	v_add_f64 v[114:115], v[114:115], v[140:141]
	v_add_f64 v[110:111], v[110:111], v[130:131]
	s_waitcnt vmcnt(31) lgkmcnt(1)
	v_mul_f64 v[140:141], v[104:105], v[174:175]
	v_mul_f64 v[130:131], v[102:103], v[174:175]
	s_waitcnt vmcnt(29)
	v_fma_f64 v[138:139], v[2:3], v[170:171], -v[138:139]
	v_fma_f64 v[126:127], v[4:5], v[170:171], v[126:127]
	ds_read_b128 v[2:5], v1 offset:1424
	v_add_f64 v[114:115], v[114:115], v[142:143]
	v_add_f64 v[110:111], v[110:111], v[136:137]
	s_waitcnt vmcnt(25) lgkmcnt(1)
	v_mul_f64 v[136:137], v[106:107], v[116:117]
	v_mul_f64 v[116:117], v[108:109], v[116:117]
	s_waitcnt vmcnt(24)
	v_fma_f64 v[140:141], v[102:103], v[176:177], -v[140:141]
	v_fma_f64 v[130:131], v[104:105], v[176:177], v[130:131]
	ds_read_b128 v[102:105], v1 offset:1440
	v_add_f64 v[114:115], v[114:115], v[138:139]
	v_add_f64 v[110:111], v[110:111], v[126:127]
	s_waitcnt vmcnt(23) lgkmcnt(1)
	v_mul_f64 v[138:139], v[4:5], v[178:179]
	v_mul_f64 v[126:127], v[2:3], v[178:179]
	s_waitcnt vmcnt(21)
	v_fma_f64 v[116:117], v[106:107], v[112:113], -v[116:117]
	v_fma_f64 v[112:113], v[108:109], v[112:113], v[136:137]
	ds_read_b128 v[106:109], v1 offset:1456
	v_add_f64 v[114:115], v[114:115], v[140:141]
	v_add_f64 v[110:111], v[110:111], v[130:131]
	s_waitcnt vmcnt(17) lgkmcnt(1)
	v_mul_f64 v[130:131], v[102:103], v[124:125]
	v_mul_f64 v[124:125], v[104:105], v[124:125]
	s_waitcnt vmcnt(16)
	v_fma_f64 v[136:137], v[2:3], v[183:184], -v[138:139]
	v_add_f64 v[114:115], v[114:115], v[116:117]
	v_fma_f64 v[116:117], v[4:5], v[183:184], v[126:127]
	v_add_f64 v[110:111], v[110:111], v[112:113]
	ds_read_b128 v[2:5], v1 offset:1472
	s_waitcnt vmcnt(15) lgkmcnt(1)
	v_mul_f64 v[126:127], v[108:109], v[168:169]
	v_mul_f64 v[112:113], v[106:107], v[168:169]
	s_waitcnt vmcnt(13)
	v_fma_f64 v[124:125], v[102:103], v[122:123], -v[124:125]
	v_fma_f64 v[122:123], v[104:105], v[122:123], v[130:131]
	ds_read_b128 v[102:105], v1 offset:1488
	v_add_f64 v[114:115], v[114:115], v[136:137]
	v_add_f64 v[110:111], v[110:111], v[116:117]
	s_waitcnt vmcnt(9) lgkmcnt(1)
	v_mul_f64 v[116:117], v[2:3], v[118:119]
	v_mul_f64 v[118:119], v[4:5], v[118:119]
	s_waitcnt vmcnt(8)
	v_fma_f64 v[106:107], v[106:107], v[185:186], -v[126:127]
	v_fma_f64 v[108:109], v[108:109], v[185:186], v[112:113]
	v_add_f64 v[114:115], v[114:115], v[124:125]
	v_add_f64 v[110:111], v[110:111], v[122:123]
	s_waitcnt vmcnt(7) lgkmcnt(0)
	v_mul_f64 v[122:123], v[104:105], v[134:135]
	v_mul_f64 v[112:113], v[102:103], v[134:135]
	s_waitcnt vmcnt(5)
	v_fma_f64 v[2:3], v[2:3], v[120:121], -v[118:119]
	v_fma_f64 v[4:5], v[4:5], v[120:121], v[116:117]
	v_add_f64 v[106:107], v[114:115], v[106:107]
	v_add_f64 v[108:109], v[110:111], v[108:109]
	s_waitcnt vmcnt(4)
	v_fma_f64 v[102:103], v[102:103], v[180:181], -v[122:123]
	v_fma_f64 v[104:105], v[104:105], v[180:181], v[112:113]
	v_add_f64 v[2:3], v[106:107], v[2:3]
	v_add_f64 v[4:5], v[108:109], v[4:5]
	;; [unrolled: 1-line block ×4, first 2 shown]
	s_waitcnt vmcnt(2)
	v_add_f64 v[2:3], v[128:129], -v[2:3]
	s_waitcnt vmcnt(0)
	v_add_f64 v[4:5], v[132:133], -v[4:5]
	buffer_store_dword v3, off, s[0:3], 0 offset:388
	buffer_store_dword v2, off, s[0:3], 0 offset:384
	;; [unrolled: 1-line block ×4, first 2 shown]
	v_cmpx_lt_u32_e32 22, v0
	s_cbranch_execz .LBB110_251
; %bb.250:
	v_mov_b32_e32 v5, s37
	s_clause 0x3
	buffer_load_dword v2, v5, s[0:3], 0 offen
	buffer_load_dword v3, v5, s[0:3], 0 offen offset:4
	buffer_load_dword v4, v5, s[0:3], 0 offen offset:8
	;; [unrolled: 1-line block ×3, first 2 shown]
	buffer_store_dword v1, off, s[0:3], 0 offset:368
	buffer_store_dword v1, off, s[0:3], 0 offset:372
	;; [unrolled: 1-line block ×4, first 2 shown]
	s_waitcnt vmcnt(0)
	ds_write_b128 v7, v[2:5]
.LBB110_251:
	s_or_b32 exec_lo, exec_lo, s4
	s_waitcnt lgkmcnt(0)
	s_waitcnt_vscnt null, 0x0
	s_barrier
	buffer_gl0_inv
	s_clause 0x37
	buffer_load_dword v106, off, s[0:3], 0 offset:392
	buffer_load_dword v107, off, s[0:3], 0 offset:396
	;; [unrolled: 1-line block ×56, first 2 shown]
	ds_read_b128 v[2:5], v1 offset:1120
	s_clause 0x2
	buffer_load_dword v163, off, s[0:3], 0 offset:620
	buffer_load_dword v167, off, s[0:3], 0 offset:596
	;; [unrolled: 1-line block ×3, first 2 shown]
	ds_read_b128 v[102:105], v1 offset:1136
	s_clause 0x4
	buffer_load_dword v173, off, s[0:3], 0 offset:636
	buffer_load_dword v174, off, s[0:3], 0 offset:648
	buffer_load_dword v176, off, s[0:3], 0 offset:640
	buffer_load_dword v172, off, s[0:3], 0 offset:632
	buffer_load_dword v165, off, s[0:3], 0 offset:612
	s_mov_b32 s4, exec_lo
	s_waitcnt vmcnt(62) lgkmcnt(1)
	v_mul_f64 v[168:169], v[4:5], v[106:107]
	v_mul_f64 v[170:171], v[2:3], v[106:107]
	s_waitcnt vmcnt(60) lgkmcnt(0)
	v_mul_f64 v[177:178], v[104:105], v[110:111]
	ds_read_b128 v[106:109], v1 offset:1152
	v_mul_f64 v[110:111], v[102:103], v[110:111]
	s_waitcnt vmcnt(58)
	v_fma_f64 v[168:169], v[2:3], v[112:113], -v[168:169]
	v_fma_f64 v[112:113], v[4:5], v[112:113], v[170:171]
	s_clause 0x2
	buffer_load_dword v175, off, s[0:3], 0 offset:652
	buffer_load_dword v171, off, s[0:3], 0 offset:628
	;; [unrolled: 1-line block ×3, first 2 shown]
	s_waitcnt vmcnt(59) lgkmcnt(0)
	v_mul_f64 v[179:180], v[106:107], v[114:115]
	v_mul_f64 v[114:115], v[108:109], v[114:115]
	s_waitcnt vmcnt(57)
	v_fma_f64 v[181:182], v[102:103], v[116:117], -v[177:178]
	ds_read_b128 v[2:5], v1 offset:1168
	v_fma_f64 v[110:111], v[104:105], v[116:117], v[110:111]
	s_clause 0x4
	buffer_load_dword v117, off, s[0:3], 0 offset:668
	buffer_load_dword v178, off, s[0:3], 0 offset:680
	;; [unrolled: 1-line block ×5, first 2 shown]
	ds_read_b128 v[102:105], v1 offset:1184
	v_add_f64 v[168:169], v[168:169], 0
	v_add_f64 v[112:113], v[112:113], 0
	s_waitcnt vmcnt(58) lgkmcnt(1)
	v_mul_f64 v[184:185], v[2:3], v[118:119]
	v_mul_f64 v[118:119], v[4:5], v[118:119]
	s_waitcnt vmcnt(56)
	v_fma_f64 v[114:115], v[106:107], v[124:125], -v[114:115]
	v_fma_f64 v[124:125], v[108:109], v[124:125], v[179:180]
	v_add_f64 v[168:169], v[168:169], v[181:182]
	v_add_f64 v[110:111], v[112:113], v[110:111]
	s_clause 0x2
	buffer_load_dword v179, off, s[0:3], 0 offset:684
	buffer_load_dword v113, off, s[0:3], 0 offset:660
	;; [unrolled: 1-line block ×3, first 2 shown]
	s_waitcnt vmcnt(58) lgkmcnt(0)
	v_mul_f64 v[180:181], v[102:103], v[120:121]
	v_mul_f64 v[120:121], v[104:105], v[120:121]
	s_waitcnt vmcnt(56)
	v_fma_f64 v[118:119], v[2:3], v[126:127], -v[118:119]
	ds_read_b128 v[106:109], v1 offset:1200
	v_fma_f64 v[126:127], v[4:5], v[126:127], v[184:185]
	v_add_f64 v[114:115], v[168:169], v[114:115]
	v_add_f64 v[110:111], v[110:111], v[124:125]
	s_clause 0x4
	buffer_load_dword v125, off, s[0:3], 0 offset:700
	buffer_load_dword v168, off, s[0:3], 0 offset:712
	;; [unrolled: 1-line block ×5, first 2 shown]
	ds_read_b128 v[2:5], v1 offset:1216
	s_waitcnt vmcnt(57) lgkmcnt(1)
	v_mul_f64 v[186:187], v[106:107], v[128:129]
	v_mul_f64 v[128:129], v[108:109], v[128:129]
	s_waitcnt vmcnt(56)
	v_fma_f64 v[120:121], v[102:103], v[122:123], -v[120:121]
	v_add_f64 v[114:115], v[114:115], v[118:119]
	v_fma_f64 v[118:119], v[104:105], v[122:123], v[180:181]
	v_add_f64 v[110:111], v[110:111], v[126:127]
	s_clause 0x2
	buffer_load_dword v169, off, s[0:3], 0 offset:716
	buffer_load_dword v123, off, s[0:3], 0 offset:692
	;; [unrolled: 1-line block ×3, first 2 shown]
	s_waitcnt vmcnt(58) lgkmcnt(0)
	v_mul_f64 v[126:127], v[2:3], v[130:131]
	v_mul_f64 v[130:131], v[4:5], v[130:131]
	s_waitcnt vmcnt(56)
	v_fma_f64 v[128:129], v[106:107], v[134:135], -v[128:129]
	ds_read_b128 v[102:105], v1 offset:1232
	v_add_f64 v[114:115], v[114:115], v[120:121]
	v_fma_f64 v[120:121], v[108:109], v[134:135], v[186:187]
	v_add_f64 v[110:111], v[110:111], v[118:119]
	s_clause 0x4
	buffer_load_dword v119, off, s[0:3], 0 offset:732
	buffer_load_dword v134, off, s[0:3], 0 offset:744
	;; [unrolled: 1-line block ×5, first 2 shown]
	ds_read_b128 v[106:109], v1 offset:1248
	s_waitcnt vmcnt(57) lgkmcnt(1)
	v_mul_f64 v[181:182], v[102:103], v[136:137]
	v_mul_f64 v[136:137], v[104:105], v[136:137]
	s_waitcnt vmcnt(56)
	v_fma_f64 v[130:131], v[2:3], v[132:133], -v[130:131]
	v_fma_f64 v[126:127], v[4:5], v[132:133], v[126:127]
	v_add_f64 v[114:115], v[114:115], v[128:129]
	v_add_f64 v[110:111], v[110:111], v[120:121]
	s_clause 0x2
	buffer_load_dword v135, off, s[0:3], 0 offset:748
	buffer_load_dword v121, off, s[0:3], 0 offset:724
	;; [unrolled: 1-line block ×3, first 2 shown]
	s_waitcnt vmcnt(58) lgkmcnt(0)
	v_mul_f64 v[132:133], v[108:109], v[138:139]
	ds_read_b128 v[2:5], v1 offset:1264
	s_waitcnt vmcnt(56)
	v_fma_f64 v[136:137], v[102:103], v[142:143], -v[136:137]
	v_mul_f64 v[128:129], v[106:107], v[138:139]
	v_add_f64 v[114:115], v[114:115], v[130:131]
	v_fma_f64 v[130:131], v[104:105], v[142:143], v[181:182]
	v_add_f64 v[110:111], v[110:111], v[126:127]
	s_clause 0x2
	buffer_load_dword v127, off, s[0:3], 0 offset:764
	buffer_load_dword v126, off, s[0:3], 0 offset:760
	;; [unrolled: 1-line block ×3, first 2 shown]
	s_waitcnt vmcnt(55) lgkmcnt(0)
	v_mul_f64 v[142:143], v[4:5], v[144:145]
	s_waitcnt vmcnt(54)
	v_fma_f64 v[132:133], v[106:107], v[140:141], -v[132:133]
	ds_read_b128 v[102:105], v1 offset:1280
	v_mul_f64 v[138:139], v[2:3], v[144:145]
	v_fma_f64 v[128:129], v[108:109], v[140:141], v[128:129]
	v_add_f64 v[114:115], v[114:115], v[136:137]
	v_add_f64 v[110:111], v[110:111], v[130:131]
	s_clause 0x1
	buffer_load_dword v131, off, s[0:3], 0 offset:756
	buffer_load_dword v130, off, s[0:3], 0 offset:752
	s_waitcnt vmcnt(55) lgkmcnt(0)
	v_mul_f64 v[140:141], v[104:105], v[146:147]
	s_waitcnt vmcnt(53)
	v_fma_f64 v[142:143], v[2:3], v[150:151], -v[142:143]
	ds_read_b128 v[106:109], v1 offset:1296
	v_mul_f64 v[136:137], v[102:103], v[146:147]
	v_add_f64 v[114:115], v[114:115], v[132:133]
	v_fma_f64 v[132:133], v[4:5], v[150:151], v[138:139]
	v_add_f64 v[110:111], v[110:111], v[128:129]
	ds_read_b128 v[2:5], v1 offset:1312
	s_waitcnt vmcnt(49) lgkmcnt(1)
	v_mul_f64 v[138:139], v[108:109], v[152:153]
	s_waitcnt vmcnt(48)
	v_fma_f64 v[140:141], v[102:103], v[148:149], -v[140:141]
	v_mul_f64 v[128:129], v[106:107], v[152:153]
	v_fma_f64 v[136:137], v[104:105], v[148:149], v[136:137]
	v_add_f64 v[114:115], v[114:115], v[142:143]
	s_waitcnt vmcnt(47) lgkmcnt(0)
	v_mul_f64 v[146:147], v[4:5], v[154:155]
	v_add_f64 v[110:111], v[110:111], v[132:133]
	s_clause 0x3
	buffer_load_dword v132, off, s[0:3], 0 offset:368
	buffer_load_dword v133, off, s[0:3], 0 offset:372
	;; [unrolled: 1-line block ×4, first 2 shown]
	s_waitcnt vmcnt(49)
	v_fma_f64 v[138:139], v[106:107], v[158:159], -v[138:139]
	ds_read_b128 v[102:105], v1 offset:1328
	v_mul_f64 v[144:145], v[2:3], v[154:155]
	v_fma_f64 v[128:129], v[108:109], v[158:159], v[128:129]
	ds_read_b128 v[106:109], v1 offset:1344
	v_add_f64 v[114:115], v[114:115], v[140:141]
	s_waitcnt vmcnt(44)
	v_fma_f64 v[146:147], v[2:3], v[156:157], -v[146:147]
	v_add_f64 v[110:111], v[110:111], v[136:137]
	s_waitcnt lgkmcnt(1)
	v_mul_f64 v[140:141], v[104:105], v[160:161]
	v_mul_f64 v[136:137], v[102:103], v[160:161]
	v_add_f64 v[114:115], v[114:115], v[138:139]
	v_fma_f64 v[138:139], v[4:5], v[156:157], v[144:145]
	v_add_f64 v[110:111], v[110:111], v[128:129]
	s_waitcnt vmcnt(43) lgkmcnt(0)
	v_mul_f64 v[144:145], v[108:109], v[162:163]
	s_waitcnt vmcnt(41)
	v_fma_f64 v[140:141], v[102:103], v[166:167], -v[140:141]
	ds_read_b128 v[2:5], v1 offset:1360
	v_mul_f64 v[128:129], v[106:107], v[162:163]
	v_fma_f64 v[136:137], v[104:105], v[166:167], v[136:137]
	ds_read_b128 v[102:105], v1 offset:1376
	v_add_f64 v[114:115], v[114:115], v[146:147]
	v_add_f64 v[110:111], v[110:111], v[138:139]
	s_waitcnt vmcnt(37) lgkmcnt(1)
	v_mul_f64 v[146:147], v[4:5], v[172:173]
	s_waitcnt vmcnt(36)
	v_fma_f64 v[144:145], v[106:107], v[164:165], -v[144:145]
	v_mul_f64 v[138:139], v[2:3], v[172:173]
	v_fma_f64 v[128:129], v[108:109], v[164:165], v[128:129]
	ds_read_b128 v[106:109], v1 offset:1392
	v_add_f64 v[114:115], v[114:115], v[140:141]
	v_add_f64 v[110:111], v[110:111], v[136:137]
	s_waitcnt vmcnt(35) lgkmcnt(1)
	v_mul_f64 v[140:141], v[104:105], v[174:175]
	v_mul_f64 v[136:137], v[102:103], v[174:175]
	s_waitcnt vmcnt(33)
	v_fma_f64 v[146:147], v[2:3], v[170:171], -v[146:147]
	v_fma_f64 v[138:139], v[4:5], v[170:171], v[138:139]
	ds_read_b128 v[2:5], v1 offset:1408
	v_add_f64 v[114:115], v[114:115], v[144:145]
	v_add_f64 v[110:111], v[110:111], v[128:129]
	s_waitcnt vmcnt(29) lgkmcnt(1)
	v_mul_f64 v[128:129], v[106:107], v[116:117]
	v_mul_f64 v[116:117], v[108:109], v[116:117]
	s_waitcnt vmcnt(28)
	v_fma_f64 v[140:141], v[102:103], v[176:177], -v[140:141]
	v_fma_f64 v[136:137], v[104:105], v[176:177], v[136:137]
	ds_read_b128 v[102:105], v1 offset:1424
	v_add_f64 v[114:115], v[114:115], v[146:147]
	v_add_f64 v[110:111], v[110:111], v[138:139]
	s_waitcnt vmcnt(27) lgkmcnt(1)
	v_mul_f64 v[144:145], v[4:5], v[178:179]
	v_mul_f64 v[138:139], v[2:3], v[178:179]
	s_waitcnt vmcnt(25)
	v_fma_f64 v[116:117], v[106:107], v[112:113], -v[116:117]
	v_fma_f64 v[112:113], v[108:109], v[112:113], v[128:129]
	ds_read_b128 v[106:109], v1 offset:1440
	v_add_f64 v[114:115], v[114:115], v[140:141]
	v_add_f64 v[110:111], v[110:111], v[136:137]
	s_waitcnt vmcnt(21) lgkmcnt(1)
	v_mul_f64 v[128:129], v[102:103], v[124:125]
	v_mul_f64 v[124:125], v[104:105], v[124:125]
	s_waitcnt vmcnt(20)
	v_fma_f64 v[136:137], v[2:3], v[183:184], -v[144:145]
	v_add_f64 v[114:115], v[114:115], v[116:117]
	v_fma_f64 v[116:117], v[4:5], v[183:184], v[138:139]
	v_add_f64 v[110:111], v[110:111], v[112:113]
	ds_read_b128 v[2:5], v1 offset:1456
	s_waitcnt vmcnt(19) lgkmcnt(1)
	v_mul_f64 v[138:139], v[108:109], v[168:169]
	v_mul_f64 v[112:113], v[106:107], v[168:169]
	s_waitcnt vmcnt(17)
	v_fma_f64 v[124:125], v[102:103], v[122:123], -v[124:125]
	v_fma_f64 v[122:123], v[104:105], v[122:123], v[128:129]
	ds_read_b128 v[102:105], v1 offset:1472
	v_add_f64 v[114:115], v[114:115], v[136:137]
	v_add_f64 v[110:111], v[110:111], v[116:117]
	s_waitcnt vmcnt(13) lgkmcnt(1)
	v_mul_f64 v[116:117], v[2:3], v[118:119]
	v_mul_f64 v[118:119], v[4:5], v[118:119]
	s_waitcnt vmcnt(12)
	v_fma_f64 v[128:129], v[106:107], v[185:186], -v[138:139]
	v_fma_f64 v[112:113], v[108:109], v[185:186], v[112:113]
	ds_read_b128 v[106:109], v1 offset:1488
	v_add_f64 v[114:115], v[114:115], v[124:125]
	v_add_f64 v[110:111], v[110:111], v[122:123]
	s_waitcnt vmcnt(11) lgkmcnt(1)
	v_mul_f64 v[124:125], v[104:105], v[134:135]
	v_mul_f64 v[122:123], v[102:103], v[134:135]
	s_waitcnt vmcnt(9)
	v_fma_f64 v[1:2], v[2:3], v[120:121], -v[118:119]
	v_fma_f64 v[3:4], v[4:5], v[120:121], v[116:117]
	v_add_f64 v[114:115], v[114:115], v[128:129]
	v_add_f64 v[5:6], v[110:111], v[112:113]
	s_waitcnt vmcnt(7) lgkmcnt(0)
	v_mul_f64 v[112:113], v[108:109], v[126:127]
	s_waitcnt vmcnt(6)
	v_fma_f64 v[102:103], v[102:103], v[180:181], -v[124:125]
	v_mul_f64 v[110:111], v[106:107], v[126:127]
	v_fma_f64 v[104:105], v[104:105], v[180:181], v[122:123]
	v_add_f64 v[1:2], v[114:115], v[1:2]
	v_add_f64 v[3:4], v[5:6], v[3:4]
	s_waitcnt vmcnt(4)
	v_fma_f64 v[5:6], v[106:107], v[130:131], -v[112:113]
	v_add_f64 v[1:2], v[1:2], v[102:103]
	v_fma_f64 v[102:103], v[108:109], v[130:131], v[110:111]
	v_add_f64 v[3:4], v[3:4], v[104:105]
	v_add_f64 v[1:2], v[1:2], v[5:6]
	v_add_f64 v[3:4], v[3:4], v[102:103]
	s_waitcnt vmcnt(2)
	v_add_f64 v[1:2], v[132:133], -v[1:2]
	s_waitcnt vmcnt(0)
	v_add_f64 v[3:4], v[142:143], -v[3:4]
	buffer_store_dword v2, off, s[0:3], 0 offset:372
	buffer_store_dword v1, off, s[0:3], 0 offset:368
	;; [unrolled: 1-line block ×4, first 2 shown]
	v_cmpx_lt_u32_e32 21, v0
	s_cbranch_execz .LBB110_253
; %bb.252:
	v_mov_b32_e32 v4, s38
	v_mov_b32_e32 v5, 0
	s_clause 0x3
	buffer_load_dword v1, v4, s[0:3], 0 offen
	buffer_load_dword v2, v4, s[0:3], 0 offen offset:4
	buffer_load_dword v3, v4, s[0:3], 0 offen offset:8
	;; [unrolled: 1-line block ×3, first 2 shown]
	buffer_store_dword v5, off, s[0:3], 0 offset:352
	buffer_store_dword v5, off, s[0:3], 0 offset:356
	;; [unrolled: 1-line block ×4, first 2 shown]
	s_waitcnt vmcnt(0)
	ds_write_b128 v7, v[1:4]
.LBB110_253:
	s_or_b32 exec_lo, exec_lo, s4
	s_waitcnt lgkmcnt(0)
	s_waitcnt_vscnt null, 0x0
	s_barrier
	buffer_gl0_inv
	s_clause 0x37
	buffer_load_dword v106, off, s[0:3], 0 offset:376
	buffer_load_dword v107, off, s[0:3], 0 offset:380
	buffer_load_dword v110, off, s[0:3], 0 offset:392
	buffer_load_dword v111, off, s[0:3], 0 offset:396
	buffer_load_dword v112, off, s[0:3], 0 offset:368
	buffer_load_dword v113, off, s[0:3], 0 offset:372
	buffer_load_dword v114, off, s[0:3], 0 offset:408
	buffer_load_dword v115, off, s[0:3], 0 offset:412
	buffer_load_dword v116, off, s[0:3], 0 offset:384
	buffer_load_dword v117, off, s[0:3], 0 offset:388
	buffer_load_dword v119, off, s[0:3], 0 offset:428
	buffer_load_dword v120, off, s[0:3], 0 offset:440
	buffer_load_dword v122, off, s[0:3], 0 offset:432
	buffer_load_dword v118, off, s[0:3], 0 offset:424
	buffer_load_dword v124, off, s[0:3], 0 offset:400
	buffer_load_dword v125, off, s[0:3], 0 offset:404
	buffer_load_dword v121, off, s[0:3], 0 offset:444
	buffer_load_dword v127, off, s[0:3], 0 offset:420
	buffer_load_dword v126, off, s[0:3], 0 offset:416
	buffer_load_dword v129, off, s[0:3], 0 offset:460
	buffer_load_dword v130, off, s[0:3], 0 offset:472
	buffer_load_dword v132, off, s[0:3], 0 offset:464
	buffer_load_dword v128, off, s[0:3], 0 offset:456
	buffer_load_dword v123, off, s[0:3], 0 offset:436
	buffer_load_dword v131, off, s[0:3], 0 offset:476
	buffer_load_dword v135, off, s[0:3], 0 offset:452
	buffer_load_dword v134, off, s[0:3], 0 offset:448
	buffer_load_dword v137, off, s[0:3], 0 offset:492
	buffer_load_dword v138, off, s[0:3], 0 offset:504
	buffer_load_dword v140, off, s[0:3], 0 offset:496
	buffer_load_dword v136, off, s[0:3], 0 offset:488
	buffer_load_dword v133, off, s[0:3], 0 offset:468
	buffer_load_dword v139, off, s[0:3], 0 offset:508
	buffer_load_dword v143, off, s[0:3], 0 offset:484
	buffer_load_dword v142, off, s[0:3], 0 offset:480
	buffer_load_dword v145, off, s[0:3], 0 offset:524
	buffer_load_dword v146, off, s[0:3], 0 offset:536
	buffer_load_dword v148, off, s[0:3], 0 offset:528
	buffer_load_dword v144, off, s[0:3], 0 offset:520
	buffer_load_dword v141, off, s[0:3], 0 offset:500
	buffer_load_dword v147, off, s[0:3], 0 offset:540
	buffer_load_dword v151, off, s[0:3], 0 offset:516
	buffer_load_dword v150, off, s[0:3], 0 offset:512
	buffer_load_dword v153, off, s[0:3], 0 offset:556
	buffer_load_dword v154, off, s[0:3], 0 offset:568
	buffer_load_dword v156, off, s[0:3], 0 offset:560
	buffer_load_dword v152, off, s[0:3], 0 offset:552
	buffer_load_dword v149, off, s[0:3], 0 offset:532
	buffer_load_dword v155, off, s[0:3], 0 offset:572
	buffer_load_dword v159, off, s[0:3], 0 offset:548
	buffer_load_dword v158, off, s[0:3], 0 offset:544
	buffer_load_dword v161, off, s[0:3], 0 offset:588
	buffer_load_dword v162, off, s[0:3], 0 offset:600
	buffer_load_dword v164, off, s[0:3], 0 offset:592
	buffer_load_dword v160, off, s[0:3], 0 offset:584
	buffer_load_dword v157, off, s[0:3], 0 offset:564
	v_mov_b32_e32 v1, 0
	s_mov_b32 s4, exec_lo
	ds_read_b128 v[2:5], v1 offset:1104
	s_clause 0x2
	buffer_load_dword v163, off, s[0:3], 0 offset:604
	buffer_load_dword v167, off, s[0:3], 0 offset:580
	;; [unrolled: 1-line block ×3, first 2 shown]
	ds_read_b128 v[102:105], v1 offset:1120
	s_clause 0x4
	buffer_load_dword v173, off, s[0:3], 0 offset:620
	buffer_load_dword v174, off, s[0:3], 0 offset:632
	buffer_load_dword v176, off, s[0:3], 0 offset:624
	buffer_load_dword v172, off, s[0:3], 0 offset:616
	buffer_load_dword v165, off, s[0:3], 0 offset:596
	s_waitcnt vmcnt(62) lgkmcnt(1)
	v_mul_f64 v[168:169], v[4:5], v[106:107]
	v_mul_f64 v[170:171], v[2:3], v[106:107]
	s_waitcnt vmcnt(60) lgkmcnt(0)
	v_mul_f64 v[177:178], v[104:105], v[110:111]
	ds_read_b128 v[106:109], v1 offset:1136
	v_mul_f64 v[110:111], v[102:103], v[110:111]
	s_waitcnt vmcnt(58)
	v_fma_f64 v[168:169], v[2:3], v[112:113], -v[168:169]
	v_fma_f64 v[112:113], v[4:5], v[112:113], v[170:171]
	s_clause 0x2
	buffer_load_dword v175, off, s[0:3], 0 offset:636
	buffer_load_dword v171, off, s[0:3], 0 offset:612
	;; [unrolled: 1-line block ×3, first 2 shown]
	s_waitcnt vmcnt(59) lgkmcnt(0)
	v_mul_f64 v[179:180], v[106:107], v[114:115]
	v_mul_f64 v[114:115], v[108:109], v[114:115]
	s_waitcnt vmcnt(57)
	v_fma_f64 v[181:182], v[102:103], v[116:117], -v[177:178]
	ds_read_b128 v[2:5], v1 offset:1152
	v_fma_f64 v[110:111], v[104:105], v[116:117], v[110:111]
	s_clause 0x4
	buffer_load_dword v117, off, s[0:3], 0 offset:652
	buffer_load_dword v178, off, s[0:3], 0 offset:664
	;; [unrolled: 1-line block ×5, first 2 shown]
	ds_read_b128 v[102:105], v1 offset:1168
	v_add_f64 v[168:169], v[168:169], 0
	v_add_f64 v[112:113], v[112:113], 0
	s_waitcnt vmcnt(58) lgkmcnt(1)
	v_mul_f64 v[184:185], v[2:3], v[118:119]
	v_mul_f64 v[118:119], v[4:5], v[118:119]
	s_waitcnt vmcnt(56)
	v_fma_f64 v[114:115], v[106:107], v[124:125], -v[114:115]
	v_fma_f64 v[124:125], v[108:109], v[124:125], v[179:180]
	v_add_f64 v[168:169], v[168:169], v[181:182]
	v_add_f64 v[110:111], v[112:113], v[110:111]
	s_clause 0x2
	buffer_load_dword v179, off, s[0:3], 0 offset:668
	buffer_load_dword v113, off, s[0:3], 0 offset:644
	;; [unrolled: 1-line block ×3, first 2 shown]
	s_waitcnt vmcnt(58) lgkmcnt(0)
	v_mul_f64 v[180:181], v[102:103], v[120:121]
	v_mul_f64 v[120:121], v[104:105], v[120:121]
	s_waitcnt vmcnt(56)
	v_fma_f64 v[118:119], v[2:3], v[126:127], -v[118:119]
	ds_read_b128 v[106:109], v1 offset:1184
	v_fma_f64 v[126:127], v[4:5], v[126:127], v[184:185]
	v_add_f64 v[114:115], v[168:169], v[114:115]
	v_add_f64 v[110:111], v[110:111], v[124:125]
	s_clause 0x4
	buffer_load_dword v125, off, s[0:3], 0 offset:684
	buffer_load_dword v168, off, s[0:3], 0 offset:696
	;; [unrolled: 1-line block ×5, first 2 shown]
	ds_read_b128 v[2:5], v1 offset:1200
	s_waitcnt vmcnt(57) lgkmcnt(1)
	v_mul_f64 v[186:187], v[106:107], v[128:129]
	v_mul_f64 v[128:129], v[108:109], v[128:129]
	s_waitcnt vmcnt(56)
	v_fma_f64 v[120:121], v[102:103], v[122:123], -v[120:121]
	v_add_f64 v[114:115], v[114:115], v[118:119]
	v_fma_f64 v[118:119], v[104:105], v[122:123], v[180:181]
	v_add_f64 v[110:111], v[110:111], v[126:127]
	s_clause 0x2
	buffer_load_dword v169, off, s[0:3], 0 offset:700
	buffer_load_dword v123, off, s[0:3], 0 offset:676
	;; [unrolled: 1-line block ×3, first 2 shown]
	s_waitcnt vmcnt(58) lgkmcnt(0)
	v_mul_f64 v[126:127], v[2:3], v[130:131]
	v_mul_f64 v[130:131], v[4:5], v[130:131]
	s_waitcnt vmcnt(56)
	v_fma_f64 v[128:129], v[106:107], v[134:135], -v[128:129]
	ds_read_b128 v[102:105], v1 offset:1216
	v_add_f64 v[114:115], v[114:115], v[120:121]
	v_fma_f64 v[120:121], v[108:109], v[134:135], v[186:187]
	v_add_f64 v[110:111], v[110:111], v[118:119]
	s_clause 0x4
	buffer_load_dword v119, off, s[0:3], 0 offset:716
	buffer_load_dword v134, off, s[0:3], 0 offset:728
	;; [unrolled: 1-line block ×5, first 2 shown]
	ds_read_b128 v[106:109], v1 offset:1232
	s_waitcnt vmcnt(57) lgkmcnt(1)
	v_mul_f64 v[181:182], v[102:103], v[136:137]
	v_mul_f64 v[136:137], v[104:105], v[136:137]
	s_waitcnt vmcnt(56)
	v_fma_f64 v[130:131], v[2:3], v[132:133], -v[130:131]
	v_fma_f64 v[126:127], v[4:5], v[132:133], v[126:127]
	v_add_f64 v[114:115], v[114:115], v[128:129]
	v_add_f64 v[110:111], v[110:111], v[120:121]
	s_clause 0x2
	buffer_load_dword v135, off, s[0:3], 0 offset:732
	buffer_load_dword v121, off, s[0:3], 0 offset:708
	;; [unrolled: 1-line block ×3, first 2 shown]
	s_waitcnt vmcnt(58) lgkmcnt(0)
	v_mul_f64 v[132:133], v[108:109], v[138:139]
	ds_read_b128 v[2:5], v1 offset:1248
	s_waitcnt vmcnt(56)
	v_fma_f64 v[136:137], v[102:103], v[142:143], -v[136:137]
	v_mul_f64 v[128:129], v[106:107], v[138:139]
	v_add_f64 v[114:115], v[114:115], v[130:131]
	v_fma_f64 v[130:131], v[104:105], v[142:143], v[181:182]
	v_add_f64 v[110:111], v[110:111], v[126:127]
	s_clause 0x4
	buffer_load_dword v127, off, s[0:3], 0 offset:748
	buffer_load_dword v138, off, s[0:3], 0 offset:760
	;; [unrolled: 1-line block ×5, first 2 shown]
	s_waitcnt vmcnt(57) lgkmcnt(0)
	v_mul_f64 v[187:188], v[2:3], v[144:145]
	v_mul_f64 v[143:144], v[4:5], v[144:145]
	s_waitcnt vmcnt(56)
	v_fma_f64 v[132:133], v[106:107], v[140:141], -v[132:133]
	ds_read_b128 v[102:105], v1 offset:1264
	v_fma_f64 v[128:129], v[108:109], v[140:141], v[128:129]
	v_add_f64 v[114:115], v[114:115], v[136:137]
	v_add_f64 v[110:111], v[110:111], v[130:131]
	s_clause 0x2
	buffer_load_dword v139, off, s[0:3], 0 offset:764
	buffer_load_dword v131, off, s[0:3], 0 offset:740
	;; [unrolled: 1-line block ×3, first 2 shown]
	ds_read_b128 v[106:109], v1 offset:1280
	s_waitcnt vmcnt(58) lgkmcnt(1)
	v_mul_f64 v[140:141], v[104:105], v[146:147]
	s_waitcnt vmcnt(56)
	v_fma_f64 v[144:145], v[2:3], v[150:151], -v[143:144]
	v_mul_f64 v[136:137], v[102:103], v[146:147]
	buffer_load_dword v143, off, s[0:3], 0 offset:756
	v_add_f64 v[114:115], v[114:115], v[132:133]
	v_fma_f64 v[132:133], v[4:5], v[150:151], v[187:188]
	v_add_f64 v[110:111], v[110:111], v[128:129]
	ds_read_b128 v[2:5], v1 offset:1296
	s_waitcnt vmcnt(53) lgkmcnt(1)
	v_mul_f64 v[146:147], v[108:109], v[152:153]
	s_waitcnt vmcnt(52)
	v_fma_f64 v[140:141], v[102:103], v[148:149], -v[140:141]
	v_mul_f64 v[128:129], v[106:107], v[152:153]
	v_fma_f64 v[136:137], v[104:105], v[148:149], v[136:137]
	ds_read_b128 v[102:105], v1 offset:1312
	v_add_f64 v[114:115], v[114:115], v[144:145]
	s_waitcnt vmcnt(51) lgkmcnt(1)
	v_mul_f64 v[144:145], v[4:5], v[154:155]
	v_add_f64 v[110:111], v[110:111], v[132:133]
	v_mul_f64 v[132:133], v[2:3], v[154:155]
	s_waitcnt vmcnt(49)
	v_fma_f64 v[146:147], v[106:107], v[158:159], -v[146:147]
	v_fma_f64 v[128:129], v[108:109], v[158:159], v[128:129]
	s_waitcnt vmcnt(45) lgkmcnt(0)
	v_mul_f64 v[150:151], v[104:105], v[160:161]
	v_mul_f64 v[148:149], v[102:103], v[160:161]
	v_add_f64 v[114:115], v[114:115], v[140:141]
	s_waitcnt vmcnt(44)
	v_fma_f64 v[144:145], v[2:3], v[156:157], -v[144:145]
	v_add_f64 v[110:111], v[110:111], v[136:137]
	s_clause 0x3
	buffer_load_dword v136, off, s[0:3], 0 offset:352
	buffer_load_dword v137, off, s[0:3], 0 offset:356
	;; [unrolled: 1-line block ×4, first 2 shown]
	ds_read_b128 v[106:109], v1 offset:1328
	v_fma_f64 v[132:133], v[4:5], v[156:157], v[132:133]
	ds_read_b128 v[2:5], v1 offset:1344
	s_waitcnt vmcnt(45)
	v_fma_f64 v[150:151], v[102:103], v[166:167], -v[150:151]
	v_add_f64 v[114:115], v[114:115], v[146:147]
	v_add_f64 v[110:111], v[110:111], v[128:129]
	s_waitcnt lgkmcnt(1)
	v_mul_f64 v[146:147], v[108:109], v[162:163]
	v_mul_f64 v[128:129], v[106:107], v[162:163]
	v_add_f64 v[114:115], v[114:115], v[144:145]
	v_fma_f64 v[144:145], v[104:105], v[166:167], v[148:149]
	v_add_f64 v[110:111], v[110:111], v[132:133]
	s_waitcnt vmcnt(41) lgkmcnt(0)
	v_mul_f64 v[148:149], v[4:5], v[172:173]
	s_waitcnt vmcnt(40)
	v_fma_f64 v[146:147], v[106:107], v[164:165], -v[146:147]
	ds_read_b128 v[102:105], v1 offset:1360
	v_mul_f64 v[132:133], v[2:3], v[172:173]
	v_fma_f64 v[128:129], v[108:109], v[164:165], v[128:129]
	ds_read_b128 v[106:109], v1 offset:1376
	v_add_f64 v[114:115], v[114:115], v[150:151]
	v_add_f64 v[110:111], v[110:111], v[144:145]
	s_waitcnt vmcnt(39) lgkmcnt(1)
	v_mul_f64 v[150:151], v[104:105], v[174:175]
	v_mul_f64 v[144:145], v[102:103], v[174:175]
	s_waitcnt vmcnt(37)
	v_fma_f64 v[148:149], v[2:3], v[170:171], -v[148:149]
	v_fma_f64 v[132:133], v[4:5], v[170:171], v[132:133]
	ds_read_b128 v[2:5], v1 offset:1392
	v_add_f64 v[114:115], v[114:115], v[146:147]
	v_add_f64 v[110:111], v[110:111], v[128:129]
	s_waitcnt vmcnt(33) lgkmcnt(1)
	v_mul_f64 v[128:129], v[106:107], v[116:117]
	v_mul_f64 v[116:117], v[108:109], v[116:117]
	s_waitcnt vmcnt(32)
	v_fma_f64 v[146:147], v[102:103], v[176:177], -v[150:151]
	;; [unrolled: 9-line block ×4, first 2 shown]
	v_add_f64 v[114:115], v[114:115], v[116:117]
	v_fma_f64 v[116:117], v[4:5], v[183:184], v[132:133]
	v_add_f64 v[110:111], v[110:111], v[112:113]
	ds_read_b128 v[2:5], v1 offset:1440
	s_waitcnt vmcnt(23) lgkmcnt(1)
	v_mul_f64 v[132:133], v[108:109], v[168:169]
	v_mul_f64 v[112:113], v[106:107], v[168:169]
	s_waitcnt vmcnt(21)
	v_fma_f64 v[124:125], v[102:103], v[122:123], -v[124:125]
	v_fma_f64 v[122:123], v[104:105], v[122:123], v[128:129]
	ds_read_b128 v[102:105], v1 offset:1456
	v_add_f64 v[114:115], v[114:115], v[144:145]
	v_add_f64 v[110:111], v[110:111], v[116:117]
	s_waitcnt vmcnt(17) lgkmcnt(1)
	v_mul_f64 v[116:117], v[2:3], v[118:119]
	v_mul_f64 v[118:119], v[4:5], v[118:119]
	s_waitcnt vmcnt(16)
	v_fma_f64 v[128:129], v[106:107], v[185:186], -v[132:133]
	v_fma_f64 v[112:113], v[108:109], v[185:186], v[112:113]
	ds_read_b128 v[106:109], v1 offset:1472
	v_add_f64 v[114:115], v[114:115], v[124:125]
	v_add_f64 v[110:111], v[110:111], v[122:123]
	;; [unrolled: 9-line block ×3, first 2 shown]
	s_waitcnt vmcnt(9) lgkmcnt(1)
	v_mul_f64 v[120:121], v[108:109], v[126:127]
	s_waitcnt vmcnt(8)
	v_fma_f64 v[102:103], v[102:103], v[180:181], -v[124:125]
	v_mul_f64 v[112:113], v[106:107], v[126:127]
	v_fma_f64 v[104:105], v[104:105], v[180:181], v[122:123]
	v_add_f64 v[114:115], v[114:115], v[118:119]
	v_add_f64 v[110:111], v[110:111], v[116:117]
	s_waitcnt vmcnt(7) lgkmcnt(0)
	v_mul_f64 v[118:119], v[4:5], v[138:139]
	v_mul_f64 v[116:117], v[2:3], v[138:139]
	s_waitcnt vmcnt(5)
	v_fma_f64 v[106:107], v[106:107], v[130:131], -v[120:121]
	v_fma_f64 v[108:109], v[108:109], v[130:131], v[112:113]
	v_add_f64 v[102:103], v[114:115], v[102:103]
	v_add_f64 v[104:105], v[110:111], v[104:105]
	s_waitcnt vmcnt(4)
	v_fma_f64 v[2:3], v[2:3], v[142:143], -v[118:119]
	v_fma_f64 v[4:5], v[4:5], v[142:143], v[116:117]
	v_add_f64 v[102:103], v[102:103], v[106:107]
	v_add_f64 v[104:105], v[104:105], v[108:109]
	;; [unrolled: 1-line block ×4, first 2 shown]
	s_waitcnt vmcnt(2)
	v_add_f64 v[2:3], v[136:137], -v[2:3]
	s_waitcnt vmcnt(0)
	v_add_f64 v[4:5], v[140:141], -v[4:5]
	buffer_store_dword v3, off, s[0:3], 0 offset:356
	buffer_store_dword v2, off, s[0:3], 0 offset:352
	;; [unrolled: 1-line block ×4, first 2 shown]
	v_cmpx_lt_u32_e32 20, v0
	s_cbranch_execz .LBB110_255
; %bb.254:
	v_mov_b32_e32 v5, s39
	s_clause 0x3
	buffer_load_dword v2, v5, s[0:3], 0 offen
	buffer_load_dword v3, v5, s[0:3], 0 offen offset:4
	buffer_load_dword v4, v5, s[0:3], 0 offen offset:8
	;; [unrolled: 1-line block ×3, first 2 shown]
	buffer_store_dword v1, off, s[0:3], 0 offset:336
	buffer_store_dword v1, off, s[0:3], 0 offset:340
	;; [unrolled: 1-line block ×4, first 2 shown]
	s_waitcnt vmcnt(0)
	ds_write_b128 v7, v[2:5]
.LBB110_255:
	s_or_b32 exec_lo, exec_lo, s4
	s_waitcnt lgkmcnt(0)
	s_waitcnt_vscnt null, 0x0
	s_barrier
	buffer_gl0_inv
	s_clause 0x37
	buffer_load_dword v106, off, s[0:3], 0 offset:360
	buffer_load_dword v107, off, s[0:3], 0 offset:364
	buffer_load_dword v110, off, s[0:3], 0 offset:376
	buffer_load_dword v111, off, s[0:3], 0 offset:380
	buffer_load_dword v112, off, s[0:3], 0 offset:352
	buffer_load_dword v113, off, s[0:3], 0 offset:356
	buffer_load_dword v114, off, s[0:3], 0 offset:392
	buffer_load_dword v115, off, s[0:3], 0 offset:396
	buffer_load_dword v116, off, s[0:3], 0 offset:368
	buffer_load_dword v117, off, s[0:3], 0 offset:372
	buffer_load_dword v119, off, s[0:3], 0 offset:412
	buffer_load_dword v120, off, s[0:3], 0 offset:424
	buffer_load_dword v122, off, s[0:3], 0 offset:416
	buffer_load_dword v118, off, s[0:3], 0 offset:408
	buffer_load_dword v124, off, s[0:3], 0 offset:384
	buffer_load_dword v125, off, s[0:3], 0 offset:388
	buffer_load_dword v121, off, s[0:3], 0 offset:428
	buffer_load_dword v127, off, s[0:3], 0 offset:404
	buffer_load_dword v126, off, s[0:3], 0 offset:400
	buffer_load_dword v129, off, s[0:3], 0 offset:444
	buffer_load_dword v130, off, s[0:3], 0 offset:456
	buffer_load_dword v132, off, s[0:3], 0 offset:448
	buffer_load_dword v128, off, s[0:3], 0 offset:440
	buffer_load_dword v123, off, s[0:3], 0 offset:420
	buffer_load_dword v131, off, s[0:3], 0 offset:460
	buffer_load_dword v135, off, s[0:3], 0 offset:436
	buffer_load_dword v134, off, s[0:3], 0 offset:432
	buffer_load_dword v137, off, s[0:3], 0 offset:476
	buffer_load_dword v138, off, s[0:3], 0 offset:488
	buffer_load_dword v140, off, s[0:3], 0 offset:480
	buffer_load_dword v136, off, s[0:3], 0 offset:472
	buffer_load_dword v133, off, s[0:3], 0 offset:452
	buffer_load_dword v139, off, s[0:3], 0 offset:492
	buffer_load_dword v143, off, s[0:3], 0 offset:468
	buffer_load_dword v142, off, s[0:3], 0 offset:464
	buffer_load_dword v145, off, s[0:3], 0 offset:508
	buffer_load_dword v146, off, s[0:3], 0 offset:520
	buffer_load_dword v148, off, s[0:3], 0 offset:512
	buffer_load_dword v144, off, s[0:3], 0 offset:504
	buffer_load_dword v141, off, s[0:3], 0 offset:484
	buffer_load_dword v147, off, s[0:3], 0 offset:524
	buffer_load_dword v151, off, s[0:3], 0 offset:500
	buffer_load_dword v150, off, s[0:3], 0 offset:496
	buffer_load_dword v153, off, s[0:3], 0 offset:540
	buffer_load_dword v154, off, s[0:3], 0 offset:552
	buffer_load_dword v156, off, s[0:3], 0 offset:544
	buffer_load_dword v152, off, s[0:3], 0 offset:536
	buffer_load_dword v149, off, s[0:3], 0 offset:516
	buffer_load_dword v155, off, s[0:3], 0 offset:556
	buffer_load_dword v159, off, s[0:3], 0 offset:532
	buffer_load_dword v158, off, s[0:3], 0 offset:528
	buffer_load_dword v161, off, s[0:3], 0 offset:572
	buffer_load_dword v162, off, s[0:3], 0 offset:584
	buffer_load_dword v164, off, s[0:3], 0 offset:576
	buffer_load_dword v160, off, s[0:3], 0 offset:568
	buffer_load_dword v157, off, s[0:3], 0 offset:548
	ds_read_b128 v[2:5], v1 offset:1088
	s_clause 0x2
	buffer_load_dword v163, off, s[0:3], 0 offset:588
	buffer_load_dword v167, off, s[0:3], 0 offset:564
	;; [unrolled: 1-line block ×3, first 2 shown]
	ds_read_b128 v[102:105], v1 offset:1104
	s_clause 0x4
	buffer_load_dword v173, off, s[0:3], 0 offset:604
	buffer_load_dword v174, off, s[0:3], 0 offset:616
	;; [unrolled: 1-line block ×5, first 2 shown]
	s_mov_b32 s4, exec_lo
	s_waitcnt vmcnt(62) lgkmcnt(1)
	v_mul_f64 v[168:169], v[4:5], v[106:107]
	v_mul_f64 v[170:171], v[2:3], v[106:107]
	s_waitcnt vmcnt(60) lgkmcnt(0)
	v_mul_f64 v[177:178], v[104:105], v[110:111]
	ds_read_b128 v[106:109], v1 offset:1120
	v_mul_f64 v[110:111], v[102:103], v[110:111]
	s_waitcnt vmcnt(58)
	v_fma_f64 v[168:169], v[2:3], v[112:113], -v[168:169]
	v_fma_f64 v[112:113], v[4:5], v[112:113], v[170:171]
	s_clause 0x2
	buffer_load_dword v175, off, s[0:3], 0 offset:620
	buffer_load_dword v171, off, s[0:3], 0 offset:596
	buffer_load_dword v170, off, s[0:3], 0 offset:592
	s_waitcnt vmcnt(59) lgkmcnt(0)
	v_mul_f64 v[179:180], v[106:107], v[114:115]
	v_mul_f64 v[114:115], v[108:109], v[114:115]
	s_waitcnt vmcnt(57)
	v_fma_f64 v[181:182], v[102:103], v[116:117], -v[177:178]
	ds_read_b128 v[2:5], v1 offset:1136
	v_fma_f64 v[110:111], v[104:105], v[116:117], v[110:111]
	s_clause 0x4
	buffer_load_dword v117, off, s[0:3], 0 offset:636
	buffer_load_dword v178, off, s[0:3], 0 offset:648
	;; [unrolled: 1-line block ×5, first 2 shown]
	ds_read_b128 v[102:105], v1 offset:1152
	v_add_f64 v[168:169], v[168:169], 0
	v_add_f64 v[112:113], v[112:113], 0
	s_waitcnt vmcnt(58) lgkmcnt(1)
	v_mul_f64 v[184:185], v[2:3], v[118:119]
	v_mul_f64 v[118:119], v[4:5], v[118:119]
	s_waitcnt vmcnt(56)
	v_fma_f64 v[114:115], v[106:107], v[124:125], -v[114:115]
	v_fma_f64 v[124:125], v[108:109], v[124:125], v[179:180]
	v_add_f64 v[168:169], v[168:169], v[181:182]
	v_add_f64 v[110:111], v[112:113], v[110:111]
	s_clause 0x2
	buffer_load_dword v179, off, s[0:3], 0 offset:652
	buffer_load_dword v113, off, s[0:3], 0 offset:628
	;; [unrolled: 1-line block ×3, first 2 shown]
	s_waitcnt vmcnt(58) lgkmcnt(0)
	v_mul_f64 v[180:181], v[102:103], v[120:121]
	v_mul_f64 v[120:121], v[104:105], v[120:121]
	s_waitcnt vmcnt(56)
	v_fma_f64 v[118:119], v[2:3], v[126:127], -v[118:119]
	ds_read_b128 v[106:109], v1 offset:1168
	v_fma_f64 v[126:127], v[4:5], v[126:127], v[184:185]
	v_add_f64 v[114:115], v[168:169], v[114:115]
	v_add_f64 v[110:111], v[110:111], v[124:125]
	s_clause 0x4
	buffer_load_dword v125, off, s[0:3], 0 offset:668
	buffer_load_dword v168, off, s[0:3], 0 offset:680
	;; [unrolled: 1-line block ×5, first 2 shown]
	ds_read_b128 v[2:5], v1 offset:1184
	s_waitcnt vmcnt(57) lgkmcnt(1)
	v_mul_f64 v[186:187], v[106:107], v[128:129]
	v_mul_f64 v[128:129], v[108:109], v[128:129]
	s_waitcnt vmcnt(56)
	v_fma_f64 v[120:121], v[102:103], v[122:123], -v[120:121]
	v_add_f64 v[114:115], v[114:115], v[118:119]
	v_fma_f64 v[118:119], v[104:105], v[122:123], v[180:181]
	v_add_f64 v[110:111], v[110:111], v[126:127]
	s_clause 0x2
	buffer_load_dword v169, off, s[0:3], 0 offset:684
	buffer_load_dword v123, off, s[0:3], 0 offset:660
	;; [unrolled: 1-line block ×3, first 2 shown]
	s_waitcnt vmcnt(58) lgkmcnt(0)
	v_mul_f64 v[126:127], v[2:3], v[130:131]
	v_mul_f64 v[130:131], v[4:5], v[130:131]
	s_waitcnt vmcnt(56)
	v_fma_f64 v[128:129], v[106:107], v[134:135], -v[128:129]
	ds_read_b128 v[102:105], v1 offset:1200
	v_add_f64 v[114:115], v[114:115], v[120:121]
	v_fma_f64 v[120:121], v[108:109], v[134:135], v[186:187]
	v_add_f64 v[110:111], v[110:111], v[118:119]
	s_clause 0x4
	buffer_load_dword v119, off, s[0:3], 0 offset:700
	buffer_load_dword v134, off, s[0:3], 0 offset:712
	buffer_load_dword v180, off, s[0:3], 0 offset:704
	buffer_load_dword v118, off, s[0:3], 0 offset:696
	buffer_load_dword v186, off, s[0:3], 0 offset:676
	ds_read_b128 v[106:109], v1 offset:1216
	s_waitcnt vmcnt(57) lgkmcnt(1)
	v_mul_f64 v[181:182], v[102:103], v[136:137]
	v_mul_f64 v[136:137], v[104:105], v[136:137]
	s_waitcnt vmcnt(56)
	v_fma_f64 v[130:131], v[2:3], v[132:133], -v[130:131]
	v_fma_f64 v[126:127], v[4:5], v[132:133], v[126:127]
	v_add_f64 v[114:115], v[114:115], v[128:129]
	v_add_f64 v[110:111], v[110:111], v[120:121]
	s_clause 0x2
	buffer_load_dword v135, off, s[0:3], 0 offset:716
	buffer_load_dword v121, off, s[0:3], 0 offset:692
	;; [unrolled: 1-line block ×3, first 2 shown]
	s_waitcnt vmcnt(58) lgkmcnt(0)
	v_mul_f64 v[132:133], v[108:109], v[138:139]
	ds_read_b128 v[2:5], v1 offset:1232
	s_waitcnt vmcnt(56)
	v_fma_f64 v[136:137], v[102:103], v[142:143], -v[136:137]
	v_mul_f64 v[128:129], v[106:107], v[138:139]
	v_add_f64 v[114:115], v[114:115], v[130:131]
	v_fma_f64 v[130:131], v[104:105], v[142:143], v[181:182]
	v_add_f64 v[110:111], v[110:111], v[126:127]
	s_clause 0x4
	buffer_load_dword v127, off, s[0:3], 0 offset:732
	buffer_load_dword v138, off, s[0:3], 0 offset:744
	;; [unrolled: 1-line block ×5, first 2 shown]
	s_waitcnt vmcnt(57) lgkmcnt(0)
	v_mul_f64 v[187:188], v[2:3], v[144:145]
	v_mul_f64 v[143:144], v[4:5], v[144:145]
	s_waitcnt vmcnt(56)
	v_fma_f64 v[132:133], v[106:107], v[140:141], -v[132:133]
	ds_read_b128 v[102:105], v1 offset:1248
	v_fma_f64 v[128:129], v[108:109], v[140:141], v[128:129]
	v_add_f64 v[114:115], v[114:115], v[136:137]
	v_add_f64 v[110:111], v[110:111], v[130:131]
	s_clause 0x2
	buffer_load_dword v139, off, s[0:3], 0 offset:748
	buffer_load_dword v131, off, s[0:3], 0 offset:724
	;; [unrolled: 1-line block ×3, first 2 shown]
	ds_read_b128 v[106:109], v1 offset:1264
	s_waitcnt vmcnt(58) lgkmcnt(1)
	v_mul_f64 v[140:141], v[104:105], v[146:147]
	s_waitcnt vmcnt(56)
	v_fma_f64 v[144:145], v[2:3], v[150:151], -v[143:144]
	v_mul_f64 v[136:137], v[102:103], v[146:147]
	v_add_f64 v[114:115], v[114:115], v[132:133]
	v_fma_f64 v[132:133], v[4:5], v[150:151], v[187:188]
	v_add_f64 v[110:111], v[110:111], v[128:129]
	s_clause 0x2
	buffer_load_dword v129, off, s[0:3], 0 offset:764
	buffer_load_dword v128, off, s[0:3], 0 offset:760
	;; [unrolled: 1-line block ×3, first 2 shown]
	s_waitcnt vmcnt(55) lgkmcnt(0)
	v_mul_f64 v[150:151], v[108:109], v[152:153]
	s_waitcnt vmcnt(54)
	v_fma_f64 v[140:141], v[102:103], v[148:149], -v[140:141]
	ds_read_b128 v[2:5], v1 offset:1280
	v_mul_f64 v[146:147], v[106:107], v[152:153]
	v_fma_f64 v[136:137], v[104:105], v[148:149], v[136:137]
	v_add_f64 v[114:115], v[114:115], v[144:145]
	v_add_f64 v[110:111], v[110:111], v[132:133]
	s_clause 0x1
	buffer_load_dword v133, off, s[0:3], 0 offset:756
	buffer_load_dword v132, off, s[0:3], 0 offset:752
	s_waitcnt vmcnt(55) lgkmcnt(0)
	v_mul_f64 v[148:149], v[4:5], v[154:155]
	s_waitcnt vmcnt(53)
	v_fma_f64 v[150:151], v[106:107], v[158:159], -v[150:151]
	ds_read_b128 v[102:105], v1 offset:1296
	v_mul_f64 v[144:145], v[2:3], v[154:155]
	v_add_f64 v[114:115], v[114:115], v[140:141]
	v_fma_f64 v[140:141], v[108:109], v[158:159], v[146:147]
	v_add_f64 v[110:111], v[110:111], v[136:137]
	ds_read_b128 v[106:109], v1 offset:1312
	s_waitcnt vmcnt(49) lgkmcnt(1)
	v_mul_f64 v[146:147], v[104:105], v[160:161]
	s_waitcnt vmcnt(48)
	v_fma_f64 v[148:149], v[2:3], v[156:157], -v[148:149]
	v_mul_f64 v[136:137], v[102:103], v[160:161]
	v_fma_f64 v[144:145], v[4:5], v[156:157], v[144:145]
	v_add_f64 v[114:115], v[114:115], v[150:151]
	s_waitcnt vmcnt(47) lgkmcnt(0)
	v_mul_f64 v[154:155], v[108:109], v[162:163]
	v_add_f64 v[110:111], v[110:111], v[140:141]
	s_clause 0x3
	buffer_load_dword v140, off, s[0:3], 0 offset:336
	buffer_load_dword v141, off, s[0:3], 0 offset:340
	;; [unrolled: 1-line block ×4, first 2 shown]
	s_waitcnt vmcnt(49)
	v_fma_f64 v[146:147], v[102:103], v[166:167], -v[146:147]
	ds_read_b128 v[2:5], v1 offset:1328
	v_mul_f64 v[152:153], v[106:107], v[162:163]
	v_fma_f64 v[136:137], v[104:105], v[166:167], v[136:137]
	ds_read_b128 v[102:105], v1 offset:1344
	v_add_f64 v[114:115], v[114:115], v[148:149]
	s_waitcnt vmcnt(44)
	v_fma_f64 v[154:155], v[106:107], v[164:165], -v[154:155]
	v_add_f64 v[110:111], v[110:111], v[144:145]
	s_waitcnt lgkmcnt(1)
	v_mul_f64 v[148:149], v[4:5], v[172:173]
	v_mul_f64 v[144:145], v[2:3], v[172:173]
	v_add_f64 v[114:115], v[114:115], v[146:147]
	v_fma_f64 v[146:147], v[108:109], v[164:165], v[152:153]
	v_add_f64 v[110:111], v[110:111], v[136:137]
	ds_read_b128 v[106:109], v1 offset:1360
	s_waitcnt vmcnt(43) lgkmcnt(1)
	v_mul_f64 v[152:153], v[104:105], v[174:175]
	v_mul_f64 v[136:137], v[102:103], v[174:175]
	s_waitcnt vmcnt(41)
	v_fma_f64 v[148:149], v[2:3], v[170:171], -v[148:149]
	v_fma_f64 v[144:145], v[4:5], v[170:171], v[144:145]
	ds_read_b128 v[2:5], v1 offset:1376
	v_add_f64 v[114:115], v[114:115], v[154:155]
	v_add_f64 v[110:111], v[110:111], v[146:147]
	s_waitcnt vmcnt(37) lgkmcnt(1)
	v_mul_f64 v[146:147], v[106:107], v[116:117]
	v_mul_f64 v[116:117], v[108:109], v[116:117]
	s_waitcnt vmcnt(36)
	v_fma_f64 v[152:153], v[102:103], v[176:177], -v[152:153]
	v_fma_f64 v[136:137], v[104:105], v[176:177], v[136:137]
	ds_read_b128 v[102:105], v1 offset:1392
	v_add_f64 v[114:115], v[114:115], v[148:149]
	v_add_f64 v[110:111], v[110:111], v[144:145]
	;; [unrolled: 9-line block ×3, first 2 shown]
	s_waitcnt vmcnt(29) lgkmcnt(1)
	v_mul_f64 v[136:137], v[102:103], v[124:125]
	v_mul_f64 v[124:125], v[104:105], v[124:125]
	s_waitcnt vmcnt(28)
	v_fma_f64 v[146:147], v[2:3], v[183:184], -v[148:149]
	v_add_f64 v[114:115], v[114:115], v[116:117]
	v_fma_f64 v[116:117], v[4:5], v[183:184], v[144:145]
	v_add_f64 v[110:111], v[110:111], v[112:113]
	ds_read_b128 v[2:5], v1 offset:1424
	s_waitcnt vmcnt(27) lgkmcnt(1)
	v_mul_f64 v[144:145], v[108:109], v[168:169]
	v_mul_f64 v[112:113], v[106:107], v[168:169]
	s_waitcnt vmcnt(25)
	v_fma_f64 v[124:125], v[102:103], v[122:123], -v[124:125]
	v_fma_f64 v[122:123], v[104:105], v[122:123], v[136:137]
	ds_read_b128 v[102:105], v1 offset:1440
	v_add_f64 v[114:115], v[114:115], v[146:147]
	v_add_f64 v[110:111], v[110:111], v[116:117]
	s_waitcnt vmcnt(21) lgkmcnt(1)
	v_mul_f64 v[116:117], v[2:3], v[118:119]
	v_mul_f64 v[118:119], v[4:5], v[118:119]
	s_waitcnt vmcnt(20)
	v_fma_f64 v[136:137], v[106:107], v[185:186], -v[144:145]
	v_fma_f64 v[112:113], v[108:109], v[185:186], v[112:113]
	ds_read_b128 v[106:109], v1 offset:1456
	v_add_f64 v[114:115], v[114:115], v[124:125]
	v_add_f64 v[110:111], v[110:111], v[122:123]
	;; [unrolled: 9-line block ×3, first 2 shown]
	s_waitcnt vmcnt(13) lgkmcnt(1)
	v_mul_f64 v[120:121], v[108:109], v[126:127]
	s_waitcnt vmcnt(12)
	v_fma_f64 v[124:125], v[102:103], v[180:181], -v[124:125]
	v_mul_f64 v[112:113], v[106:107], v[126:127]
	v_add_f64 v[114:115], v[114:115], v[118:119]
	v_fma_f64 v[118:119], v[104:105], v[180:181], v[122:123]
	v_add_f64 v[110:111], v[110:111], v[116:117]
	ds_read_b128 v[102:105], v1 offset:1488
	s_waitcnt vmcnt(11) lgkmcnt(1)
	v_mul_f64 v[122:123], v[4:5], v[138:139]
	v_mul_f64 v[116:117], v[2:3], v[138:139]
	s_waitcnt vmcnt(9)
	v_fma_f64 v[106:107], v[106:107], v[130:131], -v[120:121]
	v_fma_f64 v[108:109], v[108:109], v[130:131], v[112:113]
	v_add_f64 v[114:115], v[114:115], v[124:125]
	v_add_f64 v[110:111], v[110:111], v[118:119]
	s_waitcnt vmcnt(7) lgkmcnt(0)
	v_mul_f64 v[118:119], v[104:105], v[128:129]
	s_waitcnt vmcnt(6)
	v_fma_f64 v[1:2], v[2:3], v[142:143], -v[122:123]
	v_mul_f64 v[112:113], v[102:103], v[128:129]
	v_fma_f64 v[3:4], v[4:5], v[142:143], v[116:117]
	v_add_f64 v[106:107], v[114:115], v[106:107]
	v_add_f64 v[5:6], v[110:111], v[108:109]
	s_waitcnt vmcnt(4)
	v_fma_f64 v[102:103], v[102:103], v[132:133], -v[118:119]
	v_fma_f64 v[104:105], v[104:105], v[132:133], v[112:113]
	v_add_f64 v[1:2], v[106:107], v[1:2]
	v_add_f64 v[3:4], v[5:6], v[3:4]
	;; [unrolled: 1-line block ×4, first 2 shown]
	s_waitcnt vmcnt(2)
	v_add_f64 v[1:2], v[140:141], -v[1:2]
	s_waitcnt vmcnt(0)
	v_add_f64 v[3:4], v[150:151], -v[3:4]
	buffer_store_dword v2, off, s[0:3], 0 offset:340
	buffer_store_dword v1, off, s[0:3], 0 offset:336
	buffer_store_dword v4, off, s[0:3], 0 offset:348
	buffer_store_dword v3, off, s[0:3], 0 offset:344
	v_cmpx_lt_u32_e32 19, v0
	s_cbranch_execz .LBB110_257
; %bb.256:
	v_mov_b32_e32 v4, s40
	v_mov_b32_e32 v5, 0
	s_clause 0x3
	buffer_load_dword v1, v4, s[0:3], 0 offen
	buffer_load_dword v2, v4, s[0:3], 0 offen offset:4
	buffer_load_dword v3, v4, s[0:3], 0 offen offset:8
	;; [unrolled: 1-line block ×3, first 2 shown]
	buffer_store_dword v5, off, s[0:3], 0 offset:320
	buffer_store_dword v5, off, s[0:3], 0 offset:324
	;; [unrolled: 1-line block ×4, first 2 shown]
	s_waitcnt vmcnt(0)
	ds_write_b128 v7, v[1:4]
.LBB110_257:
	s_or_b32 exec_lo, exec_lo, s4
	s_waitcnt lgkmcnt(0)
	s_waitcnt_vscnt null, 0x0
	s_barrier
	buffer_gl0_inv
	s_clause 0x37
	buffer_load_dword v106, off, s[0:3], 0 offset:344
	buffer_load_dword v107, off, s[0:3], 0 offset:348
	;; [unrolled: 1-line block ×56, first 2 shown]
	v_mov_b32_e32 v1, 0
	s_mov_b32 s4, exec_lo
	ds_read_b128 v[2:5], v1 offset:1072
	s_clause 0x2
	buffer_load_dword v163, off, s[0:3], 0 offset:572
	buffer_load_dword v167, off, s[0:3], 0 offset:548
	;; [unrolled: 1-line block ×3, first 2 shown]
	ds_read_b128 v[102:105], v1 offset:1088
	s_clause 0x4
	buffer_load_dword v173, off, s[0:3], 0 offset:588
	buffer_load_dword v174, off, s[0:3], 0 offset:600
	;; [unrolled: 1-line block ×5, first 2 shown]
	s_waitcnt vmcnt(62) lgkmcnt(1)
	v_mul_f64 v[168:169], v[4:5], v[106:107]
	v_mul_f64 v[170:171], v[2:3], v[106:107]
	s_waitcnt vmcnt(60) lgkmcnt(0)
	v_mul_f64 v[177:178], v[104:105], v[110:111]
	ds_read_b128 v[106:109], v1 offset:1104
	v_mul_f64 v[110:111], v[102:103], v[110:111]
	s_waitcnt vmcnt(58)
	v_fma_f64 v[168:169], v[2:3], v[112:113], -v[168:169]
	v_fma_f64 v[112:113], v[4:5], v[112:113], v[170:171]
	s_clause 0x2
	buffer_load_dword v175, off, s[0:3], 0 offset:604
	buffer_load_dword v171, off, s[0:3], 0 offset:580
	;; [unrolled: 1-line block ×3, first 2 shown]
	s_waitcnt vmcnt(59) lgkmcnt(0)
	v_mul_f64 v[179:180], v[106:107], v[114:115]
	v_mul_f64 v[114:115], v[108:109], v[114:115]
	s_waitcnt vmcnt(57)
	v_fma_f64 v[181:182], v[102:103], v[116:117], -v[177:178]
	ds_read_b128 v[2:5], v1 offset:1120
	v_fma_f64 v[110:111], v[104:105], v[116:117], v[110:111]
	s_clause 0x4
	buffer_load_dword v117, off, s[0:3], 0 offset:620
	buffer_load_dword v178, off, s[0:3], 0 offset:632
	;; [unrolled: 1-line block ×5, first 2 shown]
	ds_read_b128 v[102:105], v1 offset:1136
	v_add_f64 v[168:169], v[168:169], 0
	v_add_f64 v[112:113], v[112:113], 0
	s_waitcnt vmcnt(58) lgkmcnt(1)
	v_mul_f64 v[184:185], v[2:3], v[118:119]
	v_mul_f64 v[118:119], v[4:5], v[118:119]
	s_waitcnt vmcnt(56)
	v_fma_f64 v[114:115], v[106:107], v[124:125], -v[114:115]
	v_fma_f64 v[124:125], v[108:109], v[124:125], v[179:180]
	v_add_f64 v[168:169], v[168:169], v[181:182]
	v_add_f64 v[110:111], v[112:113], v[110:111]
	s_clause 0x2
	buffer_load_dword v179, off, s[0:3], 0 offset:636
	buffer_load_dword v113, off, s[0:3], 0 offset:612
	buffer_load_dword v112, off, s[0:3], 0 offset:608
	s_waitcnt vmcnt(58) lgkmcnt(0)
	v_mul_f64 v[180:181], v[102:103], v[120:121]
	v_mul_f64 v[120:121], v[104:105], v[120:121]
	s_waitcnt vmcnt(56)
	v_fma_f64 v[118:119], v[2:3], v[126:127], -v[118:119]
	ds_read_b128 v[106:109], v1 offset:1152
	v_fma_f64 v[126:127], v[4:5], v[126:127], v[184:185]
	v_add_f64 v[114:115], v[168:169], v[114:115]
	v_add_f64 v[110:111], v[110:111], v[124:125]
	s_clause 0x4
	buffer_load_dword v125, off, s[0:3], 0 offset:652
	buffer_load_dword v168, off, s[0:3], 0 offset:664
	;; [unrolled: 1-line block ×5, first 2 shown]
	ds_read_b128 v[2:5], v1 offset:1168
	s_waitcnt vmcnt(57) lgkmcnt(1)
	v_mul_f64 v[186:187], v[106:107], v[128:129]
	v_mul_f64 v[128:129], v[108:109], v[128:129]
	s_waitcnt vmcnt(56)
	v_fma_f64 v[120:121], v[102:103], v[122:123], -v[120:121]
	v_add_f64 v[114:115], v[114:115], v[118:119]
	v_fma_f64 v[118:119], v[104:105], v[122:123], v[180:181]
	v_add_f64 v[110:111], v[110:111], v[126:127]
	s_clause 0x2
	buffer_load_dword v169, off, s[0:3], 0 offset:668
	buffer_load_dword v123, off, s[0:3], 0 offset:644
	;; [unrolled: 1-line block ×3, first 2 shown]
	s_waitcnt vmcnt(58) lgkmcnt(0)
	v_mul_f64 v[126:127], v[2:3], v[130:131]
	v_mul_f64 v[130:131], v[4:5], v[130:131]
	s_waitcnt vmcnt(56)
	v_fma_f64 v[128:129], v[106:107], v[134:135], -v[128:129]
	ds_read_b128 v[102:105], v1 offset:1184
	v_add_f64 v[114:115], v[114:115], v[120:121]
	v_fma_f64 v[120:121], v[108:109], v[134:135], v[186:187]
	v_add_f64 v[110:111], v[110:111], v[118:119]
	s_clause 0x4
	buffer_load_dword v119, off, s[0:3], 0 offset:684
	buffer_load_dword v134, off, s[0:3], 0 offset:696
	buffer_load_dword v180, off, s[0:3], 0 offset:688
	buffer_load_dword v118, off, s[0:3], 0 offset:680
	buffer_load_dword v186, off, s[0:3], 0 offset:660
	ds_read_b128 v[106:109], v1 offset:1200
	s_waitcnt vmcnt(57) lgkmcnt(1)
	v_mul_f64 v[181:182], v[102:103], v[136:137]
	v_mul_f64 v[136:137], v[104:105], v[136:137]
	s_waitcnt vmcnt(56)
	v_fma_f64 v[130:131], v[2:3], v[132:133], -v[130:131]
	v_fma_f64 v[126:127], v[4:5], v[132:133], v[126:127]
	v_add_f64 v[114:115], v[114:115], v[128:129]
	v_add_f64 v[110:111], v[110:111], v[120:121]
	s_clause 0x2
	buffer_load_dword v135, off, s[0:3], 0 offset:700
	buffer_load_dword v121, off, s[0:3], 0 offset:676
	;; [unrolled: 1-line block ×3, first 2 shown]
	s_waitcnt vmcnt(58) lgkmcnt(0)
	v_mul_f64 v[132:133], v[108:109], v[138:139]
	ds_read_b128 v[2:5], v1 offset:1216
	s_waitcnt vmcnt(56)
	v_fma_f64 v[136:137], v[102:103], v[142:143], -v[136:137]
	v_mul_f64 v[128:129], v[106:107], v[138:139]
	v_add_f64 v[114:115], v[114:115], v[130:131]
	v_fma_f64 v[130:131], v[104:105], v[142:143], v[181:182]
	v_add_f64 v[110:111], v[110:111], v[126:127]
	s_clause 0x4
	buffer_load_dword v127, off, s[0:3], 0 offset:716
	buffer_load_dword v138, off, s[0:3], 0 offset:728
	;; [unrolled: 1-line block ×5, first 2 shown]
	s_waitcnt vmcnt(57) lgkmcnt(0)
	v_mul_f64 v[187:188], v[2:3], v[144:145]
	v_mul_f64 v[143:144], v[4:5], v[144:145]
	s_waitcnt vmcnt(56)
	v_fma_f64 v[132:133], v[106:107], v[140:141], -v[132:133]
	ds_read_b128 v[102:105], v1 offset:1232
	v_fma_f64 v[128:129], v[108:109], v[140:141], v[128:129]
	v_add_f64 v[114:115], v[114:115], v[136:137]
	v_add_f64 v[110:111], v[110:111], v[130:131]
	s_clause 0x2
	buffer_load_dword v139, off, s[0:3], 0 offset:732
	buffer_load_dword v131, off, s[0:3], 0 offset:708
	;; [unrolled: 1-line block ×3, first 2 shown]
	ds_read_b128 v[106:109], v1 offset:1248
	s_waitcnt vmcnt(58) lgkmcnt(1)
	v_mul_f64 v[140:141], v[104:105], v[146:147]
	s_waitcnt vmcnt(56)
	v_fma_f64 v[144:145], v[2:3], v[150:151], -v[143:144]
	v_mul_f64 v[136:137], v[102:103], v[146:147]
	v_add_f64 v[114:115], v[114:115], v[132:133]
	v_fma_f64 v[132:133], v[4:5], v[150:151], v[187:188]
	v_add_f64 v[110:111], v[110:111], v[128:129]
	s_clause 0x4
	buffer_load_dword v129, off, s[0:3], 0 offset:748
	buffer_load_dword v146, off, s[0:3], 0 offset:760
	;; [unrolled: 1-line block ×5, first 2 shown]
	s_waitcnt vmcnt(57) lgkmcnt(0)
	v_mul_f64 v[187:188], v[106:107], v[152:153]
	v_mul_f64 v[151:152], v[108:109], v[152:153]
	s_waitcnt vmcnt(56)
	v_fma_f64 v[140:141], v[102:103], v[148:149], -v[140:141]
	ds_read_b128 v[2:5], v1 offset:1264
	v_fma_f64 v[136:137], v[104:105], v[148:149], v[136:137]
	v_add_f64 v[114:115], v[114:115], v[144:145]
	v_add_f64 v[110:111], v[110:111], v[132:133]
	s_clause 0x2
	buffer_load_dword v147, off, s[0:3], 0 offset:764
	buffer_load_dword v133, off, s[0:3], 0 offset:740
	;; [unrolled: 1-line block ×3, first 2 shown]
	ds_read_b128 v[102:105], v1 offset:1280
	s_waitcnt vmcnt(58) lgkmcnt(1)
	v_mul_f64 v[148:149], v[4:5], v[154:155]
	s_waitcnt vmcnt(56)
	v_fma_f64 v[152:153], v[106:107], v[158:159], -v[151:152]
	v_mul_f64 v[144:145], v[2:3], v[154:155]
	buffer_load_dword v151, off, s[0:3], 0 offset:756
	v_add_f64 v[114:115], v[114:115], v[140:141]
	v_fma_f64 v[140:141], v[108:109], v[158:159], v[187:188]
	v_add_f64 v[110:111], v[110:111], v[136:137]
	ds_read_b128 v[106:109], v1 offset:1296
	s_waitcnt vmcnt(53) lgkmcnt(1)
	v_mul_f64 v[154:155], v[104:105], v[160:161]
	s_waitcnt vmcnt(52)
	v_fma_f64 v[148:149], v[2:3], v[156:157], -v[148:149]
	v_mul_f64 v[136:137], v[102:103], v[160:161]
	v_fma_f64 v[144:145], v[4:5], v[156:157], v[144:145]
	ds_read_b128 v[2:5], v1 offset:1312
	v_add_f64 v[114:115], v[114:115], v[152:153]
	s_waitcnt vmcnt(51) lgkmcnt(1)
	v_mul_f64 v[152:153], v[108:109], v[162:163]
	v_add_f64 v[110:111], v[110:111], v[140:141]
	v_mul_f64 v[140:141], v[106:107], v[162:163]
	s_waitcnt vmcnt(49)
	v_fma_f64 v[154:155], v[102:103], v[166:167], -v[154:155]
	v_fma_f64 v[136:137], v[104:105], v[166:167], v[136:137]
	s_waitcnt vmcnt(45) lgkmcnt(0)
	v_mul_f64 v[158:159], v[4:5], v[172:173]
	v_mul_f64 v[156:157], v[2:3], v[172:173]
	v_add_f64 v[114:115], v[114:115], v[148:149]
	s_waitcnt vmcnt(44)
	v_fma_f64 v[152:153], v[106:107], v[164:165], -v[152:153]
	v_add_f64 v[110:111], v[110:111], v[144:145]
	s_clause 0x3
	buffer_load_dword v144, off, s[0:3], 0 offset:320
	buffer_load_dword v145, off, s[0:3], 0 offset:324
	buffer_load_dword v148, off, s[0:3], 0 offset:328
	buffer_load_dword v149, off, s[0:3], 0 offset:332
	ds_read_b128 v[102:105], v1 offset:1328
	v_fma_f64 v[140:141], v[108:109], v[164:165], v[140:141]
	ds_read_b128 v[106:109], v1 offset:1344
	v_add_f64 v[114:115], v[114:115], v[154:155]
	v_add_f64 v[110:111], v[110:111], v[136:137]
	s_waitcnt vmcnt(47) lgkmcnt(1)
	v_mul_f64 v[154:155], v[104:105], v[174:175]
	v_mul_f64 v[136:137], v[102:103], v[174:175]
	s_waitcnt vmcnt(45)
	v_fma_f64 v[158:159], v[2:3], v[170:171], -v[158:159]
	v_add_f64 v[114:115], v[114:115], v[152:153]
	v_fma_f64 v[152:153], v[4:5], v[170:171], v[156:157]
	v_add_f64 v[110:111], v[110:111], v[140:141]
	s_waitcnt vmcnt(41) lgkmcnt(0)
	v_mul_f64 v[140:141], v[106:107], v[116:117]
	v_mul_f64 v[116:117], v[108:109], v[116:117]
	ds_read_b128 v[2:5], v1 offset:1360
	s_waitcnt vmcnt(40)
	v_fma_f64 v[154:155], v[102:103], v[176:177], -v[154:155]
	v_fma_f64 v[136:137], v[104:105], v[176:177], v[136:137]
	ds_read_b128 v[102:105], v1 offset:1376
	v_add_f64 v[114:115], v[114:115], v[158:159]
	v_add_f64 v[110:111], v[110:111], v[152:153]
	s_waitcnt vmcnt(39) lgkmcnt(1)
	v_mul_f64 v[156:157], v[4:5], v[178:179]
	v_mul_f64 v[152:153], v[2:3], v[178:179]
	s_waitcnt vmcnt(37)
	v_fma_f64 v[116:117], v[106:107], v[112:113], -v[116:117]
	v_fma_f64 v[112:113], v[108:109], v[112:113], v[140:141]
	ds_read_b128 v[106:109], v1 offset:1392
	v_add_f64 v[114:115], v[114:115], v[154:155]
	v_add_f64 v[110:111], v[110:111], v[136:137]
	s_waitcnt vmcnt(33) lgkmcnt(1)
	v_mul_f64 v[136:137], v[102:103], v[124:125]
	v_mul_f64 v[124:125], v[104:105], v[124:125]
	s_waitcnt vmcnt(32)
	v_fma_f64 v[140:141], v[2:3], v[183:184], -v[156:157]
	v_add_f64 v[114:115], v[114:115], v[116:117]
	v_fma_f64 v[116:117], v[4:5], v[183:184], v[152:153]
	v_add_f64 v[110:111], v[110:111], v[112:113]
	ds_read_b128 v[2:5], v1 offset:1408
	s_waitcnt vmcnt(31) lgkmcnt(1)
	v_mul_f64 v[152:153], v[108:109], v[168:169]
	v_mul_f64 v[112:113], v[106:107], v[168:169]
	s_waitcnt vmcnt(29)
	v_fma_f64 v[124:125], v[102:103], v[122:123], -v[124:125]
	v_fma_f64 v[122:123], v[104:105], v[122:123], v[136:137]
	ds_read_b128 v[102:105], v1 offset:1424
	v_add_f64 v[114:115], v[114:115], v[140:141]
	v_add_f64 v[110:111], v[110:111], v[116:117]
	s_waitcnt vmcnt(25) lgkmcnt(1)
	v_mul_f64 v[116:117], v[2:3], v[118:119]
	v_mul_f64 v[118:119], v[4:5], v[118:119]
	s_waitcnt vmcnt(24)
	v_fma_f64 v[136:137], v[106:107], v[185:186], -v[152:153]
	v_fma_f64 v[112:113], v[108:109], v[185:186], v[112:113]
	ds_read_b128 v[106:109], v1 offset:1440
	v_add_f64 v[114:115], v[114:115], v[124:125]
	v_add_f64 v[110:111], v[110:111], v[122:123]
	;; [unrolled: 9-line block ×3, first 2 shown]
	s_waitcnt vmcnt(17) lgkmcnt(1)
	v_mul_f64 v[120:121], v[108:109], v[126:127]
	s_waitcnt vmcnt(16)
	v_fma_f64 v[124:125], v[102:103], v[180:181], -v[124:125]
	v_mul_f64 v[112:113], v[106:107], v[126:127]
	v_add_f64 v[114:115], v[114:115], v[118:119]
	v_fma_f64 v[118:119], v[104:105], v[180:181], v[122:123]
	v_add_f64 v[110:111], v[110:111], v[116:117]
	ds_read_b128 v[102:105], v1 offset:1472
	s_waitcnt vmcnt(15) lgkmcnt(1)
	v_mul_f64 v[122:123], v[4:5], v[138:139]
	v_mul_f64 v[116:117], v[2:3], v[138:139]
	s_waitcnt vmcnt(13)
	v_fma_f64 v[120:121], v[106:107], v[130:131], -v[120:121]
	v_fma_f64 v[112:113], v[108:109], v[130:131], v[112:113]
	ds_read_b128 v[106:109], v1 offset:1488
	v_add_f64 v[114:115], v[114:115], v[124:125]
	v_add_f64 v[110:111], v[110:111], v[118:119]
	s_waitcnt vmcnt(9) lgkmcnt(1)
	v_mul_f64 v[124:125], v[104:105], v[128:129]
	s_waitcnt vmcnt(8)
	v_fma_f64 v[2:3], v[2:3], v[142:143], -v[122:123]
	v_mul_f64 v[118:119], v[102:103], v[128:129]
	v_fma_f64 v[4:5], v[4:5], v[142:143], v[116:117]
	v_add_f64 v[114:115], v[114:115], v[120:121]
	v_add_f64 v[110:111], v[110:111], v[112:113]
	s_waitcnt vmcnt(7) lgkmcnt(0)
	v_mul_f64 v[116:117], v[108:109], v[146:147]
	v_mul_f64 v[112:113], v[106:107], v[146:147]
	s_waitcnt vmcnt(5)
	v_fma_f64 v[102:103], v[102:103], v[132:133], -v[124:125]
	v_fma_f64 v[104:105], v[104:105], v[132:133], v[118:119]
	v_add_f64 v[2:3], v[114:115], v[2:3]
	v_add_f64 v[4:5], v[110:111], v[4:5]
	s_waitcnt vmcnt(4)
	v_fma_f64 v[106:107], v[106:107], v[150:151], -v[116:117]
	v_add_f64 v[2:3], v[2:3], v[102:103]
	v_fma_f64 v[102:103], v[108:109], v[150:151], v[112:113]
	v_add_f64 v[4:5], v[4:5], v[104:105]
	v_add_f64 v[2:3], v[2:3], v[106:107]
	;; [unrolled: 1-line block ×3, first 2 shown]
	s_waitcnt vmcnt(2)
	v_add_f64 v[2:3], v[144:145], -v[2:3]
	s_waitcnt vmcnt(0)
	v_add_f64 v[4:5], v[148:149], -v[4:5]
	buffer_store_dword v3, off, s[0:3], 0 offset:324
	buffer_store_dword v2, off, s[0:3], 0 offset:320
	;; [unrolled: 1-line block ×4, first 2 shown]
	v_cmpx_lt_u32_e32 18, v0
	s_cbranch_execz .LBB110_259
; %bb.258:
	v_mov_b32_e32 v5, s41
	s_clause 0x3
	buffer_load_dword v2, v5, s[0:3], 0 offen
	buffer_load_dword v3, v5, s[0:3], 0 offen offset:4
	buffer_load_dword v4, v5, s[0:3], 0 offen offset:8
	;; [unrolled: 1-line block ×3, first 2 shown]
	buffer_store_dword v1, off, s[0:3], 0 offset:304
	buffer_store_dword v1, off, s[0:3], 0 offset:308
	;; [unrolled: 1-line block ×4, first 2 shown]
	s_waitcnt vmcnt(0)
	ds_write_b128 v7, v[2:5]
.LBB110_259:
	s_or_b32 exec_lo, exec_lo, s4
	s_waitcnt lgkmcnt(0)
	s_waitcnt_vscnt null, 0x0
	s_barrier
	buffer_gl0_inv
	s_clause 0x37
	buffer_load_dword v106, off, s[0:3], 0 offset:328
	buffer_load_dword v107, off, s[0:3], 0 offset:332
	;; [unrolled: 1-line block ×56, first 2 shown]
	ds_read_b128 v[2:5], v1 offset:1056
	s_clause 0x2
	buffer_load_dword v163, off, s[0:3], 0 offset:556
	buffer_load_dword v167, off, s[0:3], 0 offset:532
	;; [unrolled: 1-line block ×3, first 2 shown]
	ds_read_b128 v[102:105], v1 offset:1072
	s_clause 0x4
	buffer_load_dword v173, off, s[0:3], 0 offset:572
	buffer_load_dword v174, off, s[0:3], 0 offset:584
	;; [unrolled: 1-line block ×5, first 2 shown]
	s_mov_b32 s4, exec_lo
	s_waitcnt vmcnt(62) lgkmcnt(1)
	v_mul_f64 v[168:169], v[4:5], v[106:107]
	v_mul_f64 v[170:171], v[2:3], v[106:107]
	s_waitcnt vmcnt(60) lgkmcnt(0)
	v_mul_f64 v[177:178], v[104:105], v[110:111]
	ds_read_b128 v[106:109], v1 offset:1088
	v_mul_f64 v[110:111], v[102:103], v[110:111]
	s_waitcnt vmcnt(58)
	v_fma_f64 v[168:169], v[2:3], v[112:113], -v[168:169]
	v_fma_f64 v[112:113], v[4:5], v[112:113], v[170:171]
	s_clause 0x2
	buffer_load_dword v175, off, s[0:3], 0 offset:588
	buffer_load_dword v171, off, s[0:3], 0 offset:564
	;; [unrolled: 1-line block ×3, first 2 shown]
	s_waitcnt vmcnt(59) lgkmcnt(0)
	v_mul_f64 v[179:180], v[106:107], v[114:115]
	v_mul_f64 v[114:115], v[108:109], v[114:115]
	s_waitcnt vmcnt(57)
	v_fma_f64 v[181:182], v[102:103], v[116:117], -v[177:178]
	ds_read_b128 v[2:5], v1 offset:1104
	v_fma_f64 v[110:111], v[104:105], v[116:117], v[110:111]
	s_clause 0x4
	buffer_load_dword v117, off, s[0:3], 0 offset:604
	buffer_load_dword v178, off, s[0:3], 0 offset:616
	;; [unrolled: 1-line block ×5, first 2 shown]
	ds_read_b128 v[102:105], v1 offset:1120
	v_add_f64 v[168:169], v[168:169], 0
	v_add_f64 v[112:113], v[112:113], 0
	s_waitcnt vmcnt(58) lgkmcnt(1)
	v_mul_f64 v[184:185], v[2:3], v[118:119]
	v_mul_f64 v[118:119], v[4:5], v[118:119]
	s_waitcnt vmcnt(56)
	v_fma_f64 v[114:115], v[106:107], v[124:125], -v[114:115]
	v_fma_f64 v[124:125], v[108:109], v[124:125], v[179:180]
	v_add_f64 v[168:169], v[168:169], v[181:182]
	v_add_f64 v[110:111], v[112:113], v[110:111]
	s_clause 0x2
	buffer_load_dword v179, off, s[0:3], 0 offset:620
	buffer_load_dword v113, off, s[0:3], 0 offset:596
	;; [unrolled: 1-line block ×3, first 2 shown]
	s_waitcnt vmcnt(58) lgkmcnt(0)
	v_mul_f64 v[180:181], v[102:103], v[120:121]
	v_mul_f64 v[120:121], v[104:105], v[120:121]
	s_waitcnt vmcnt(56)
	v_fma_f64 v[118:119], v[2:3], v[126:127], -v[118:119]
	ds_read_b128 v[106:109], v1 offset:1136
	v_fma_f64 v[126:127], v[4:5], v[126:127], v[184:185]
	v_add_f64 v[114:115], v[168:169], v[114:115]
	v_add_f64 v[110:111], v[110:111], v[124:125]
	s_clause 0x4
	buffer_load_dword v125, off, s[0:3], 0 offset:636
	buffer_load_dword v168, off, s[0:3], 0 offset:648
	;; [unrolled: 1-line block ×5, first 2 shown]
	ds_read_b128 v[2:5], v1 offset:1152
	s_waitcnt vmcnt(57) lgkmcnt(1)
	v_mul_f64 v[186:187], v[106:107], v[128:129]
	v_mul_f64 v[128:129], v[108:109], v[128:129]
	s_waitcnt vmcnt(56)
	v_fma_f64 v[120:121], v[102:103], v[122:123], -v[120:121]
	v_add_f64 v[114:115], v[114:115], v[118:119]
	v_fma_f64 v[118:119], v[104:105], v[122:123], v[180:181]
	v_add_f64 v[110:111], v[110:111], v[126:127]
	s_clause 0x2
	buffer_load_dword v169, off, s[0:3], 0 offset:652
	buffer_load_dword v123, off, s[0:3], 0 offset:628
	;; [unrolled: 1-line block ×3, first 2 shown]
	s_waitcnt vmcnt(58) lgkmcnt(0)
	v_mul_f64 v[126:127], v[2:3], v[130:131]
	v_mul_f64 v[130:131], v[4:5], v[130:131]
	s_waitcnt vmcnt(56)
	v_fma_f64 v[128:129], v[106:107], v[134:135], -v[128:129]
	ds_read_b128 v[102:105], v1 offset:1168
	v_add_f64 v[114:115], v[114:115], v[120:121]
	v_fma_f64 v[120:121], v[108:109], v[134:135], v[186:187]
	v_add_f64 v[110:111], v[110:111], v[118:119]
	s_clause 0x4
	buffer_load_dword v119, off, s[0:3], 0 offset:668
	buffer_load_dword v134, off, s[0:3], 0 offset:680
	;; [unrolled: 1-line block ×5, first 2 shown]
	ds_read_b128 v[106:109], v1 offset:1184
	s_waitcnt vmcnt(57) lgkmcnt(1)
	v_mul_f64 v[181:182], v[102:103], v[136:137]
	v_mul_f64 v[136:137], v[104:105], v[136:137]
	s_waitcnt vmcnt(56)
	v_fma_f64 v[130:131], v[2:3], v[132:133], -v[130:131]
	v_fma_f64 v[126:127], v[4:5], v[132:133], v[126:127]
	v_add_f64 v[114:115], v[114:115], v[128:129]
	v_add_f64 v[110:111], v[110:111], v[120:121]
	s_clause 0x2
	buffer_load_dword v135, off, s[0:3], 0 offset:684
	buffer_load_dword v121, off, s[0:3], 0 offset:660
	buffer_load_dword v120, off, s[0:3], 0 offset:656
	s_waitcnt vmcnt(58) lgkmcnt(0)
	v_mul_f64 v[132:133], v[108:109], v[138:139]
	ds_read_b128 v[2:5], v1 offset:1200
	s_waitcnt vmcnt(56)
	v_fma_f64 v[136:137], v[102:103], v[142:143], -v[136:137]
	v_mul_f64 v[128:129], v[106:107], v[138:139]
	v_add_f64 v[114:115], v[114:115], v[130:131]
	v_fma_f64 v[130:131], v[104:105], v[142:143], v[181:182]
	v_add_f64 v[110:111], v[110:111], v[126:127]
	s_clause 0x4
	buffer_load_dword v127, off, s[0:3], 0 offset:700
	buffer_load_dword v138, off, s[0:3], 0 offset:712
	;; [unrolled: 1-line block ×5, first 2 shown]
	s_waitcnt vmcnt(57) lgkmcnt(0)
	v_mul_f64 v[187:188], v[2:3], v[144:145]
	v_mul_f64 v[143:144], v[4:5], v[144:145]
	s_waitcnt vmcnt(56)
	v_fma_f64 v[132:133], v[106:107], v[140:141], -v[132:133]
	ds_read_b128 v[102:105], v1 offset:1216
	v_fma_f64 v[128:129], v[108:109], v[140:141], v[128:129]
	v_add_f64 v[114:115], v[114:115], v[136:137]
	v_add_f64 v[110:111], v[110:111], v[130:131]
	s_clause 0x2
	buffer_load_dword v139, off, s[0:3], 0 offset:716
	buffer_load_dword v131, off, s[0:3], 0 offset:692
	;; [unrolled: 1-line block ×3, first 2 shown]
	ds_read_b128 v[106:109], v1 offset:1232
	s_waitcnt vmcnt(58) lgkmcnt(1)
	v_mul_f64 v[140:141], v[104:105], v[146:147]
	s_waitcnt vmcnt(56)
	v_fma_f64 v[144:145], v[2:3], v[150:151], -v[143:144]
	v_mul_f64 v[136:137], v[102:103], v[146:147]
	v_add_f64 v[114:115], v[114:115], v[132:133]
	v_fma_f64 v[132:133], v[4:5], v[150:151], v[187:188]
	v_add_f64 v[110:111], v[110:111], v[128:129]
	s_clause 0x4
	buffer_load_dword v129, off, s[0:3], 0 offset:732
	buffer_load_dword v146, off, s[0:3], 0 offset:744
	;; [unrolled: 1-line block ×5, first 2 shown]
	s_waitcnt vmcnt(57) lgkmcnt(0)
	v_mul_f64 v[187:188], v[106:107], v[152:153]
	v_mul_f64 v[151:152], v[108:109], v[152:153]
	s_waitcnt vmcnt(56)
	v_fma_f64 v[140:141], v[102:103], v[148:149], -v[140:141]
	ds_read_b128 v[2:5], v1 offset:1248
	v_fma_f64 v[136:137], v[104:105], v[148:149], v[136:137]
	v_add_f64 v[114:115], v[114:115], v[144:145]
	v_add_f64 v[110:111], v[110:111], v[132:133]
	s_clause 0x2
	buffer_load_dword v147, off, s[0:3], 0 offset:748
	buffer_load_dword v133, off, s[0:3], 0 offset:724
	buffer_load_dword v132, off, s[0:3], 0 offset:720
	ds_read_b128 v[102:105], v1 offset:1264
	s_waitcnt vmcnt(58) lgkmcnt(1)
	v_mul_f64 v[148:149], v[4:5], v[154:155]
	s_waitcnt vmcnt(56)
	v_fma_f64 v[152:153], v[106:107], v[158:159], -v[151:152]
	v_mul_f64 v[144:145], v[2:3], v[154:155]
	v_add_f64 v[114:115], v[114:115], v[140:141]
	v_fma_f64 v[140:141], v[108:109], v[158:159], v[187:188]
	v_add_f64 v[110:111], v[110:111], v[136:137]
	s_clause 0x2
	buffer_load_dword v137, off, s[0:3], 0 offset:764
	buffer_load_dword v136, off, s[0:3], 0 offset:760
	;; [unrolled: 1-line block ×3, first 2 shown]
	s_waitcnt vmcnt(55) lgkmcnt(0)
	v_mul_f64 v[158:159], v[104:105], v[160:161]
	s_waitcnt vmcnt(54)
	v_fma_f64 v[148:149], v[2:3], v[156:157], -v[148:149]
	ds_read_b128 v[106:109], v1 offset:1280
	v_mul_f64 v[154:155], v[102:103], v[160:161]
	v_fma_f64 v[144:145], v[4:5], v[156:157], v[144:145]
	v_add_f64 v[114:115], v[114:115], v[152:153]
	v_add_f64 v[110:111], v[110:111], v[140:141]
	s_clause 0x1
	buffer_load_dword v141, off, s[0:3], 0 offset:756
	buffer_load_dword v140, off, s[0:3], 0 offset:752
	s_waitcnt vmcnt(55) lgkmcnt(0)
	v_mul_f64 v[156:157], v[108:109], v[162:163]
	s_waitcnt vmcnt(53)
	v_fma_f64 v[158:159], v[102:103], v[166:167], -v[158:159]
	ds_read_b128 v[2:5], v1 offset:1296
	v_mul_f64 v[152:153], v[106:107], v[162:163]
	v_add_f64 v[114:115], v[114:115], v[148:149]
	v_fma_f64 v[148:149], v[104:105], v[166:167], v[154:155]
	v_add_f64 v[110:111], v[110:111], v[144:145]
	ds_read_b128 v[102:105], v1 offset:1312
	s_waitcnt vmcnt(49) lgkmcnt(1)
	v_mul_f64 v[154:155], v[4:5], v[172:173]
	s_waitcnt vmcnt(48)
	v_fma_f64 v[156:157], v[106:107], v[164:165], -v[156:157]
	v_mul_f64 v[144:145], v[2:3], v[172:173]
	v_fma_f64 v[152:153], v[108:109], v[164:165], v[152:153]
	v_add_f64 v[114:115], v[114:115], v[158:159]
	v_add_f64 v[110:111], v[110:111], v[148:149]
	s_clause 0x3
	buffer_load_dword v148, off, s[0:3], 0 offset:304
	buffer_load_dword v149, off, s[0:3], 0 offset:308
	;; [unrolled: 1-line block ×4, first 2 shown]
	ds_read_b128 v[106:109], v1 offset:1328
	s_waitcnt vmcnt(51) lgkmcnt(1)
	v_mul_f64 v[162:163], v[104:105], v[174:175]
	v_mul_f64 v[160:161], v[102:103], v[174:175]
	s_waitcnt vmcnt(49)
	v_fma_f64 v[154:155], v[2:3], v[170:171], -v[154:155]
	v_fma_f64 v[144:145], v[4:5], v[170:171], v[144:145]
	ds_read_b128 v[2:5], v1 offset:1344
	v_add_f64 v[114:115], v[114:115], v[156:157]
	v_add_f64 v[110:111], v[110:111], v[152:153]
	s_waitcnt vmcnt(45) lgkmcnt(1)
	v_mul_f64 v[152:153], v[106:107], v[116:117]
	v_mul_f64 v[116:117], v[108:109], v[116:117]
	s_waitcnt vmcnt(44)
	v_fma_f64 v[156:157], v[102:103], v[176:177], -v[162:163]
	v_add_f64 v[114:115], v[114:115], v[154:155]
	v_fma_f64 v[154:155], v[104:105], v[176:177], v[160:161]
	v_add_f64 v[110:111], v[110:111], v[144:145]
	ds_read_b128 v[102:105], v1 offset:1360
	s_waitcnt vmcnt(43) lgkmcnt(1)
	v_mul_f64 v[160:161], v[4:5], v[178:179]
	v_mul_f64 v[144:145], v[2:3], v[178:179]
	s_waitcnt vmcnt(41)
	v_fma_f64 v[116:117], v[106:107], v[112:113], -v[116:117]
	v_fma_f64 v[112:113], v[108:109], v[112:113], v[152:153]
	ds_read_b128 v[106:109], v1 offset:1376
	v_add_f64 v[114:115], v[114:115], v[156:157]
	v_add_f64 v[110:111], v[110:111], v[154:155]
	s_waitcnt vmcnt(37) lgkmcnt(1)
	v_mul_f64 v[152:153], v[102:103], v[124:125]
	v_mul_f64 v[124:125], v[104:105], v[124:125]
	s_waitcnt vmcnt(36)
	v_fma_f64 v[154:155], v[2:3], v[183:184], -v[160:161]
	v_add_f64 v[114:115], v[114:115], v[116:117]
	v_fma_f64 v[116:117], v[4:5], v[183:184], v[144:145]
	v_add_f64 v[110:111], v[110:111], v[112:113]
	ds_read_b128 v[2:5], v1 offset:1392
	s_waitcnt vmcnt(35) lgkmcnt(1)
	v_mul_f64 v[144:145], v[108:109], v[168:169]
	v_mul_f64 v[112:113], v[106:107], v[168:169]
	s_waitcnt vmcnt(33)
	v_fma_f64 v[124:125], v[102:103], v[122:123], -v[124:125]
	v_fma_f64 v[122:123], v[104:105], v[122:123], v[152:153]
	ds_read_b128 v[102:105], v1 offset:1408
	v_add_f64 v[114:115], v[114:115], v[154:155]
	v_add_f64 v[110:111], v[110:111], v[116:117]
	s_waitcnt vmcnt(29) lgkmcnt(1)
	v_mul_f64 v[116:117], v[2:3], v[118:119]
	v_mul_f64 v[118:119], v[4:5], v[118:119]
	s_waitcnt vmcnt(28)
	v_fma_f64 v[144:145], v[106:107], v[185:186], -v[144:145]
	v_fma_f64 v[112:113], v[108:109], v[185:186], v[112:113]
	ds_read_b128 v[106:109], v1 offset:1424
	v_add_f64 v[114:115], v[114:115], v[124:125]
	v_add_f64 v[110:111], v[110:111], v[122:123]
	;; [unrolled: 9-line block ×3, first 2 shown]
	s_waitcnt vmcnt(21) lgkmcnt(1)
	v_mul_f64 v[120:121], v[108:109], v[126:127]
	s_waitcnt vmcnt(20)
	v_fma_f64 v[124:125], v[102:103], v[180:181], -v[124:125]
	v_mul_f64 v[112:113], v[106:107], v[126:127]
	v_add_f64 v[114:115], v[114:115], v[118:119]
	v_fma_f64 v[118:119], v[104:105], v[180:181], v[122:123]
	v_add_f64 v[110:111], v[110:111], v[116:117]
	ds_read_b128 v[102:105], v1 offset:1456
	s_waitcnt vmcnt(19) lgkmcnt(1)
	v_mul_f64 v[122:123], v[4:5], v[138:139]
	v_mul_f64 v[116:117], v[2:3], v[138:139]
	s_waitcnt vmcnt(17)
	v_fma_f64 v[120:121], v[106:107], v[130:131], -v[120:121]
	v_fma_f64 v[112:113], v[108:109], v[130:131], v[112:113]
	ds_read_b128 v[106:109], v1 offset:1472
	v_add_f64 v[114:115], v[114:115], v[124:125]
	v_add_f64 v[110:111], v[110:111], v[118:119]
	s_waitcnt vmcnt(13) lgkmcnt(1)
	v_mul_f64 v[124:125], v[104:105], v[128:129]
	s_waitcnt vmcnt(12)
	v_fma_f64 v[122:123], v[2:3], v[142:143], -v[122:123]
	v_mul_f64 v[118:119], v[102:103], v[128:129]
	v_fma_f64 v[5:6], v[4:5], v[142:143], v[116:117]
	ds_read_b128 v[1:4], v1 offset:1488
	v_add_f64 v[114:115], v[114:115], v[120:121]
	v_add_f64 v[110:111], v[110:111], v[112:113]
	s_waitcnt vmcnt(11) lgkmcnt(1)
	v_mul_f64 v[116:117], v[108:109], v[146:147]
	v_mul_f64 v[112:113], v[106:107], v[146:147]
	s_waitcnt vmcnt(9)
	v_fma_f64 v[102:103], v[102:103], v[132:133], -v[124:125]
	v_fma_f64 v[104:105], v[104:105], v[132:133], v[118:119]
	v_add_f64 v[114:115], v[114:115], v[122:123]
	v_add_f64 v[5:6], v[110:111], v[5:6]
	s_waitcnt vmcnt(7) lgkmcnt(0)
	v_mul_f64 v[118:119], v[3:4], v[136:137]
	s_waitcnt vmcnt(6)
	v_fma_f64 v[106:107], v[106:107], v[150:151], -v[116:117]
	v_mul_f64 v[110:111], v[1:2], v[136:137]
	v_fma_f64 v[108:109], v[108:109], v[150:151], v[112:113]
	v_add_f64 v[102:103], v[114:115], v[102:103]
	v_add_f64 v[5:6], v[5:6], v[104:105]
	s_waitcnt vmcnt(4)
	v_fma_f64 v[1:2], v[1:2], v[140:141], -v[118:119]
	v_fma_f64 v[3:4], v[3:4], v[140:141], v[110:111]
	v_add_f64 v[102:103], v[102:103], v[106:107]
	v_add_f64 v[5:6], v[5:6], v[108:109]
	;; [unrolled: 1-line block ×4, first 2 shown]
	s_waitcnt vmcnt(2)
	v_add_f64 v[1:2], v[148:149], -v[1:2]
	s_waitcnt vmcnt(0)
	v_add_f64 v[3:4], v[158:159], -v[3:4]
	buffer_store_dword v2, off, s[0:3], 0 offset:308
	buffer_store_dword v1, off, s[0:3], 0 offset:304
	;; [unrolled: 1-line block ×4, first 2 shown]
	v_cmpx_lt_u32_e32 17, v0
	s_cbranch_execz .LBB110_261
; %bb.260:
	v_mov_b32_e32 v4, s42
	v_mov_b32_e32 v5, 0
	s_clause 0x3
	buffer_load_dword v1, v4, s[0:3], 0 offen
	buffer_load_dword v2, v4, s[0:3], 0 offen offset:4
	buffer_load_dword v3, v4, s[0:3], 0 offen offset:8
	;; [unrolled: 1-line block ×3, first 2 shown]
	buffer_store_dword v5, off, s[0:3], 0 offset:288
	buffer_store_dword v5, off, s[0:3], 0 offset:292
	;; [unrolled: 1-line block ×4, first 2 shown]
	s_waitcnt vmcnt(0)
	ds_write_b128 v7, v[1:4]
.LBB110_261:
	s_or_b32 exec_lo, exec_lo, s4
	s_waitcnt lgkmcnt(0)
	s_waitcnt_vscnt null, 0x0
	s_barrier
	buffer_gl0_inv
	s_clause 0x37
	buffer_load_dword v5, off, s[0:3], 0 offset:312
	buffer_load_dword v6, off, s[0:3], 0 offset:316
	;; [unrolled: 1-line block ×56, first 2 shown]
	v_mov_b32_e32 v106, 0
	s_mov_b32 s4, exec_lo
	ds_read_b128 v[102:105], v106 offset:1040
	s_clause 0x2
	buffer_load_dword v164, off, s[0:3], 0 offset:540
	buffer_load_dword v168, off, s[0:3], 0 offset:516
	;; [unrolled: 1-line block ×3, first 2 shown]
	ds_read_b128 v[107:110], v106 offset:1056
	s_clause 0x4
	buffer_load_dword v172, off, s[0:3], 0 offset:556
	buffer_load_dword v173, off, s[0:3], 0 offset:568
	;; [unrolled: 1-line block ×5, first 2 shown]
	ds_read_b128 v[111:114], v106 offset:1072
	s_waitcnt vmcnt(62) lgkmcnt(2)
	v_mul_f64 v[169:170], v[104:105], v[5:6]
	v_mul_f64 v[5:6], v[102:103], v[5:6]
	s_waitcnt vmcnt(60) lgkmcnt(1)
	v_mul_f64 v[176:177], v[109:110], v[115:116]
	v_mul_f64 v[115:116], v[107:108], v[115:116]
	;; [unrolled: 3-line block ×3, first 2 shown]
	v_fma_f64 v[169:170], v[102:103], v[117:118], -v[169:170]
	v_fma_f64 v[5:6], v[104:105], v[117:118], v[5:6]
	s_clause 0x2
	buffer_load_dword v174, off, s[0:3], 0 offset:572
	buffer_load_dword v118, off, s[0:3], 0 offset:548
	;; [unrolled: 1-line block ×3, first 2 shown]
	s_waitcnt vmcnt(57)
	v_fma_f64 v[107:108], v[107:108], v[1:2], -v[176:177]
	ds_read_b128 v[102:105], v106 offset:1088
	v_fma_f64 v[109:110], v[109:110], v[1:2], v[115:116]
	s_clause 0x4
	buffer_load_dword v116, off, s[0:3], 0 offset:588
	buffer_load_dword v177, off, s[0:3], 0 offset:600
	;; [unrolled: 1-line block ×5, first 2 shown]
	s_waitcnt vmcnt(56)
	v_fma_f64 v[111:112], v[111:112], v[125:126], -v[180:181]
	ds_read_b128 v[1:4], v106 offset:1104
	v_fma_f64 v[113:114], v[113:114], v[125:126], v[178:179]
	s_clause 0x2
	buffer_load_dword v178, off, s[0:3], 0 offset:604
	buffer_load_dword v126, off, s[0:3], 0 offset:580
	;; [unrolled: 1-line block ×3, first 2 shown]
	v_add_f64 v[169:170], v[169:170], 0
	v_add_f64 v[5:6], v[5:6], 0
	s_waitcnt lgkmcnt(1)
	v_mul_f64 v[183:184], v[102:103], v[119:120]
	v_mul_f64 v[119:120], v[104:105], v[119:120]
	s_waitcnt vmcnt(58) lgkmcnt(0)
	v_mul_f64 v[179:180], v[1:2], v[121:122]
	v_mul_f64 v[121:122], v[3:4], v[121:122]
	v_add_f64 v[169:170], v[169:170], v[107:108]
	v_add_f64 v[5:6], v[5:6], v[109:110]
	ds_read_b128 v[107:110], v106 offset:1120
	s_waitcnt vmcnt(56)
	v_fma_f64 v[119:120], v[102:103], v[127:128], -v[119:120]
	v_fma_f64 v[127:128], v[104:105], v[127:128], v[183:184]
	s_waitcnt vmcnt(51)
	v_fma_f64 v[121:122], v[1:2], v[123:124], -v[121:122]
	s_waitcnt lgkmcnt(0)
	v_mul_f64 v[185:186], v[107:108], v[129:130]
	v_add_f64 v[111:112], v[169:170], v[111:112]
	v_add_f64 v[5:6], v[5:6], v[113:114]
	s_clause 0x4
	buffer_load_dword v114, off, s[0:3], 0 offset:620
	buffer_load_dword v169, off, s[0:3], 0 offset:632
	buffer_load_dword v184, off, s[0:3], 0 offset:624
	buffer_load_dword v113, off, s[0:3], 0 offset:616
	buffer_load_dword v183, off, s[0:3], 0 offset:596
	v_mul_f64 v[129:130], v[109:110], v[129:130]
	ds_read_b128 v[102:105], v106 offset:1136
	v_add_f64 v[111:112], v[111:112], v[119:120]
	v_fma_f64 v[119:120], v[3:4], v[123:124], v[179:180]
	v_add_f64 v[5:6], v[5:6], v[127:128]
	s_clause 0x2
	buffer_load_dword v170, off, s[0:3], 0 offset:636
	buffer_load_dword v124, off, s[0:3], 0 offset:612
	;; [unrolled: 1-line block ×3, first 2 shown]
	s_waitcnt vmcnt(58) lgkmcnt(0)
	v_mul_f64 v[127:128], v[102:103], v[131:132]
	v_mul_f64 v[131:132], v[104:105], v[131:132]
	s_waitcnt vmcnt(56)
	v_fma_f64 v[129:130], v[107:108], v[135:136], -v[129:130]
	ds_read_b128 v[1:4], v106 offset:1152
	v_add_f64 v[111:112], v[111:112], v[121:122]
	v_fma_f64 v[121:122], v[109:110], v[135:136], v[185:186]
	v_add_f64 v[5:6], v[5:6], v[119:120]
	s_clause 0x4
	buffer_load_dword v120, off, s[0:3], 0 offset:652
	buffer_load_dword v135, off, s[0:3], 0 offset:664
	;; [unrolled: 1-line block ×5, first 2 shown]
	ds_read_b128 v[107:110], v106 offset:1168
	s_waitcnt vmcnt(57) lgkmcnt(1)
	v_mul_f64 v[180:181], v[1:2], v[137:138]
	v_mul_f64 v[137:138], v[3:4], v[137:138]
	s_waitcnt vmcnt(56)
	v_fma_f64 v[131:132], v[102:103], v[133:134], -v[131:132]
	v_fma_f64 v[127:128], v[104:105], v[133:134], v[127:128]
	v_add_f64 v[111:112], v[111:112], v[129:130]
	v_add_f64 v[5:6], v[5:6], v[121:122]
	s_clause 0x2
	buffer_load_dword v136, off, s[0:3], 0 offset:668
	buffer_load_dword v122, off, s[0:3], 0 offset:644
	;; [unrolled: 1-line block ×3, first 2 shown]
	s_waitcnt vmcnt(58) lgkmcnt(0)
	v_mul_f64 v[133:134], v[109:110], v[139:140]
	ds_read_b128 v[102:105], v106 offset:1184
	s_waitcnt vmcnt(56)
	v_fma_f64 v[137:138], v[1:2], v[143:144], -v[137:138]
	v_mul_f64 v[129:130], v[107:108], v[139:140]
	v_add_f64 v[111:112], v[111:112], v[131:132]
	v_fma_f64 v[131:132], v[3:4], v[143:144], v[180:181]
	v_add_f64 v[5:6], v[5:6], v[127:128]
	s_clause 0x4
	buffer_load_dword v128, off, s[0:3], 0 offset:684
	buffer_load_dword v139, off, s[0:3], 0 offset:696
	buffer_load_dword v143, off, s[0:3], 0 offset:688
	buffer_load_dword v127, off, s[0:3], 0 offset:680
	buffer_load_dword v180, off, s[0:3], 0 offset:660
	s_waitcnt vmcnt(57) lgkmcnt(0)
	v_mul_f64 v[186:187], v[102:103], v[145:146]
	v_mul_f64 v[144:145], v[104:105], v[145:146]
	s_waitcnt vmcnt(56)
	v_fma_f64 v[133:134], v[107:108], v[141:142], -v[133:134]
	ds_read_b128 v[1:4], v106 offset:1200
	v_fma_f64 v[129:130], v[109:110], v[141:142], v[129:130]
	v_add_f64 v[111:112], v[111:112], v[137:138]
	v_add_f64 v[5:6], v[5:6], v[131:132]
	s_clause 0x2
	buffer_load_dword v140, off, s[0:3], 0 offset:700
	buffer_load_dword v132, off, s[0:3], 0 offset:676
	buffer_load_dword v131, off, s[0:3], 0 offset:672
	ds_read_b128 v[107:110], v106 offset:1216
	s_waitcnt vmcnt(58) lgkmcnt(1)
	v_mul_f64 v[141:142], v[3:4], v[147:148]
	s_waitcnt vmcnt(56)
	v_fma_f64 v[145:146], v[102:103], v[151:152], -v[144:145]
	v_mul_f64 v[137:138], v[1:2], v[147:148]
	v_add_f64 v[111:112], v[111:112], v[133:134]
	v_fma_f64 v[133:134], v[104:105], v[151:152], v[186:187]
	v_add_f64 v[5:6], v[5:6], v[129:130]
	s_clause 0x4
	buffer_load_dword v130, off, s[0:3], 0 offset:716
	buffer_load_dword v147, off, s[0:3], 0 offset:728
	buffer_load_dword v151, off, s[0:3], 0 offset:720
	buffer_load_dword v129, off, s[0:3], 0 offset:712
	buffer_load_dword v144, off, s[0:3], 0 offset:692
	s_waitcnt vmcnt(57) lgkmcnt(0)
	v_mul_f64 v[186:187], v[107:108], v[153:154]
	v_mul_f64 v[152:153], v[109:110], v[153:154]
	s_waitcnt vmcnt(56)
	v_fma_f64 v[141:142], v[1:2], v[149:150], -v[141:142]
	ds_read_b128 v[102:105], v106 offset:1232
	v_fma_f64 v[137:138], v[3:4], v[149:150], v[137:138]
	v_add_f64 v[111:112], v[111:112], v[145:146]
	v_add_f64 v[5:6], v[5:6], v[133:134]
	s_clause 0x2
	buffer_load_dword v148, off, s[0:3], 0 offset:732
	buffer_load_dword v134, off, s[0:3], 0 offset:708
	buffer_load_dword v133, off, s[0:3], 0 offset:704
	ds_read_b128 v[1:4], v106 offset:1248
	s_waitcnt vmcnt(58) lgkmcnt(1)
	v_mul_f64 v[149:150], v[104:105], v[155:156]
	;; [unrolled: 28-line block ×3, first 2 shown]
	s_waitcnt vmcnt(56)
	v_fma_f64 v[161:162], v[1:2], v[167:168], -v[160:161]
	v_mul_f64 v[153:154], v[107:108], v[163:164]
	buffer_load_dword v160, off, s[0:3], 0 offset:756
	v_add_f64 v[111:112], v[111:112], v[149:150]
	v_fma_f64 v[149:150], v[3:4], v[167:168], v[186:187]
	v_add_f64 v[5:6], v[5:6], v[145:146]
	ds_read_b128 v[1:4], v106 offset:1296
	s_waitcnt vmcnt(53) lgkmcnt(1)
	v_mul_f64 v[163:164], v[104:105], v[171:172]
	s_waitcnt vmcnt(52)
	v_fma_f64 v[157:158], v[107:108], v[165:166], -v[157:158]
	v_mul_f64 v[145:146], v[102:103], v[171:172]
	v_fma_f64 v[153:154], v[109:110], v[165:166], v[153:154]
	ds_read_b128 v[107:110], v106 offset:1312
	v_add_f64 v[111:112], v[111:112], v[161:162]
	v_add_f64 v[5:6], v[5:6], v[149:150]
	s_waitcnt vmcnt(51) lgkmcnt(1)
	v_mul_f64 v[161:162], v[3:4], v[173:174]
	v_mul_f64 v[149:150], v[1:2], v[173:174]
	s_waitcnt vmcnt(49)
	v_fma_f64 v[163:164], v[102:103], v[117:118], -v[163:164]
	v_fma_f64 v[117:118], v[104:105], v[117:118], v[145:146]
	v_add_f64 v[111:112], v[111:112], v[157:158]
	s_waitcnt vmcnt(45) lgkmcnt(0)
	v_mul_f64 v[157:158], v[107:108], v[115:116]
	v_add_f64 v[5:6], v[5:6], v[153:154]
	s_clause 0x3
	buffer_load_dword v145, off, s[0:3], 0 offset:288
	buffer_load_dword v146, off, s[0:3], 0 offset:292
	buffer_load_dword v153, off, s[0:3], 0 offset:296
	buffer_load_dword v154, off, s[0:3], 0 offset:300
	v_mul_f64 v[115:116], v[109:110], v[115:116]
	ds_read_b128 v[102:105], v106 offset:1328
	s_waitcnt vmcnt(48)
	v_fma_f64 v[161:162], v[1:2], v[175:176], -v[161:162]
	v_fma_f64 v[149:150], v[3:4], v[175:176], v[149:150]
	ds_read_b128 v[1:4], v106 offset:1344
	v_add_f64 v[111:112], v[111:112], v[163:164]
	v_add_f64 v[5:6], v[5:6], v[117:118]
	s_waitcnt vmcnt(47) lgkmcnt(1)
	v_mul_f64 v[163:164], v[104:105], v[177:178]
	s_waitcnt vmcnt(45)
	v_fma_f64 v[115:116], v[107:108], v[125:126], -v[115:116]
	v_mul_f64 v[117:118], v[102:103], v[177:178]
	v_fma_f64 v[125:126], v[109:110], v[125:126], v[157:158]
	ds_read_b128 v[107:110], v106 offset:1360
	v_add_f64 v[111:112], v[111:112], v[161:162]
	v_add_f64 v[5:6], v[5:6], v[149:150]
	s_waitcnt vmcnt(41) lgkmcnt(1)
	v_mul_f64 v[149:150], v[1:2], v[113:114]
	v_mul_f64 v[113:114], v[3:4], v[113:114]
	s_waitcnt vmcnt(40)
	v_fma_f64 v[157:158], v[102:103], v[182:183], -v[163:164]
	v_add_f64 v[111:112], v[111:112], v[115:116]
	v_fma_f64 v[115:116], v[104:105], v[182:183], v[117:118]
	v_add_f64 v[5:6], v[5:6], v[125:126]
	ds_read_b128 v[102:105], v106 offset:1376
	s_waitcnt vmcnt(39) lgkmcnt(1)
	v_mul_f64 v[125:126], v[109:110], v[169:170]
	v_mul_f64 v[117:118], v[107:108], v[169:170]
	s_waitcnt vmcnt(37)
	v_fma_f64 v[113:114], v[1:2], v[123:124], -v[113:114]
	v_fma_f64 v[123:124], v[3:4], v[123:124], v[149:150]
	ds_read_b128 v[1:4], v106 offset:1392
	v_add_f64 v[111:112], v[111:112], v[157:158]
	v_add_f64 v[5:6], v[5:6], v[115:116]
	s_waitcnt vmcnt(33) lgkmcnt(1)
	v_mul_f64 v[115:116], v[102:103], v[119:120]
	v_mul_f64 v[119:120], v[104:105], v[119:120]
	s_waitcnt vmcnt(32)
	v_fma_f64 v[125:126], v[107:108], v[184:185], -v[125:126]
	v_add_f64 v[111:112], v[111:112], v[113:114]
	v_fma_f64 v[113:114], v[109:110], v[184:185], v[117:118]
	v_add_f64 v[5:6], v[5:6], v[123:124]
	ds_read_b128 v[107:110], v106 offset:1408
	s_waitcnt vmcnt(31) lgkmcnt(1)
	v_mul_f64 v[123:124], v[3:4], v[135:136]
	v_mul_f64 v[117:118], v[1:2], v[135:136]
	s_waitcnt vmcnt(29)
	v_fma_f64 v[119:120], v[102:103], v[121:122], -v[119:120]
	v_fma_f64 v[115:116], v[104:105], v[121:122], v[115:116]
	ds_read_b128 v[102:105], v106 offset:1424
	v_add_f64 v[111:112], v[111:112], v[125:126]
	v_add_f64 v[5:6], v[5:6], v[113:114]
	s_waitcnt vmcnt(25) lgkmcnt(1)
	v_mul_f64 v[121:122], v[109:110], v[127:128]
	s_waitcnt vmcnt(24)
	v_fma_f64 v[123:124], v[1:2], v[179:180], -v[123:124]
	v_mul_f64 v[113:114], v[107:108], v[127:128]
	v_fma_f64 v[117:118], v[3:4], v[179:180], v[117:118]
	ds_read_b128 v[1:4], v106 offset:1440
	v_add_f64 v[111:112], v[111:112], v[119:120]
	v_add_f64 v[5:6], v[5:6], v[115:116]
	s_waitcnt vmcnt(23) lgkmcnt(1)
	v_mul_f64 v[119:120], v[104:105], v[139:140]
	v_mul_f64 v[115:116], v[102:103], v[139:140]
	s_waitcnt vmcnt(21)
	v_fma_f64 v[121:122], v[107:108], v[131:132], -v[121:122]
	v_fma_f64 v[113:114], v[109:110], v[131:132], v[113:114]
	ds_read_b128 v[107:110], v106 offset:1456
	v_add_f64 v[111:112], v[111:112], v[123:124]
	v_add_f64 v[5:6], v[5:6], v[117:118]
	s_waitcnt vmcnt(17) lgkmcnt(1)
	v_mul_f64 v[123:124], v[3:4], v[129:130]
	s_waitcnt vmcnt(16)
	v_fma_f64 v[119:120], v[102:103], v[143:144], -v[119:120]
	v_mul_f64 v[117:118], v[1:2], v[129:130]
	v_fma_f64 v[115:116], v[104:105], v[143:144], v[115:116]
	ds_read_b128 v[102:105], v106 offset:1472
	v_add_f64 v[111:112], v[111:112], v[121:122]
	v_add_f64 v[5:6], v[5:6], v[113:114]
	s_waitcnt vmcnt(15) lgkmcnt(1)
	v_mul_f64 v[121:122], v[109:110], v[147:148]
	v_mul_f64 v[113:114], v[107:108], v[147:148]
	s_waitcnt vmcnt(13)
	v_fma_f64 v[123:124], v[1:2], v[133:134], -v[123:124]
	v_fma_f64 v[117:118], v[3:4], v[133:134], v[117:118]
	ds_read_b128 v[1:4], v106 offset:1488
	v_add_f64 v[111:112], v[111:112], v[119:120]
	v_add_f64 v[5:6], v[5:6], v[115:116]
	s_waitcnt vmcnt(9) lgkmcnt(1)
	v_mul_f64 v[119:120], v[104:105], v[137:138]
	s_waitcnt vmcnt(8)
	v_fma_f64 v[107:108], v[107:108], v[151:152], -v[121:122]
	v_mul_f64 v[115:116], v[102:103], v[137:138]
	v_fma_f64 v[109:110], v[109:110], v[151:152], v[113:114]
	v_add_f64 v[111:112], v[111:112], v[123:124]
	v_add_f64 v[5:6], v[5:6], v[117:118]
	s_waitcnt vmcnt(7) lgkmcnt(0)
	v_mul_f64 v[117:118], v[3:4], v[155:156]
	v_mul_f64 v[113:114], v[1:2], v[155:156]
	s_waitcnt vmcnt(5)
	v_fma_f64 v[102:103], v[102:103], v[141:142], -v[119:120]
	v_fma_f64 v[104:105], v[104:105], v[141:142], v[115:116]
	v_add_f64 v[107:108], v[111:112], v[107:108]
	v_add_f64 v[5:6], v[5:6], v[109:110]
	s_waitcnt vmcnt(4)
	v_fma_f64 v[1:2], v[1:2], v[159:160], -v[117:118]
	v_fma_f64 v[3:4], v[3:4], v[159:160], v[113:114]
	v_add_f64 v[102:103], v[107:108], v[102:103]
	v_add_f64 v[5:6], v[5:6], v[104:105]
	;; [unrolled: 1-line block ×4, first 2 shown]
	s_waitcnt vmcnt(2)
	v_add_f64 v[1:2], v[145:146], -v[1:2]
	s_waitcnt vmcnt(0)
	v_add_f64 v[3:4], v[153:154], -v[3:4]
	buffer_store_dword v2, off, s[0:3], 0 offset:292
	buffer_store_dword v1, off, s[0:3], 0 offset:288
	;; [unrolled: 1-line block ×4, first 2 shown]
	v_cmpx_lt_u32_e32 16, v0
	s_cbranch_execz .LBB110_263
; %bb.262:
	v_mov_b32_e32 v4, s43
	s_clause 0x3
	buffer_load_dword v1, v4, s[0:3], 0 offen
	buffer_load_dword v2, v4, s[0:3], 0 offen offset:4
	buffer_load_dword v3, v4, s[0:3], 0 offen offset:8
	;; [unrolled: 1-line block ×3, first 2 shown]
	buffer_store_dword v106, off, s[0:3], 0 offset:272
	buffer_store_dword v106, off, s[0:3], 0 offset:276
	;; [unrolled: 1-line block ×4, first 2 shown]
	s_waitcnt vmcnt(0)
	ds_write_b128 v7, v[1:4]
.LBB110_263:
	s_or_b32 exec_lo, exec_lo, s4
	s_waitcnt lgkmcnt(0)
	s_waitcnt_vscnt null, 0x0
	s_barrier
	buffer_gl0_inv
	s_clause 0x37
	buffer_load_dword v104, off, s[0:3], 0 offset:296
	buffer_load_dword v105, off, s[0:3], 0 offset:300
	;; [unrolled: 1-line block ×56, first 2 shown]
	ds_read_b128 v[107:110], v106 offset:1024
	s_clause 0x2
	buffer_load_dword v164, off, s[0:3], 0 offset:524
	buffer_load_dword v168, off, s[0:3], 0 offset:500
	;; [unrolled: 1-line block ×3, first 2 shown]
	ds_read_b128 v[111:114], v106 offset:1040
	s_clause 0x4
	buffer_load_dword v172, off, s[0:3], 0 offset:540
	buffer_load_dword v173, off, s[0:3], 0 offset:552
	;; [unrolled: 1-line block ×5, first 2 shown]
	ds_read_b128 v[115:118], v106 offset:1056
	s_mov_b32 s4, exec_lo
	s_waitcnt vmcnt(62) lgkmcnt(2)
	v_mul_f64 v[169:170], v[109:110], v[104:105]
	v_mul_f64 v[104:105], v[107:108], v[104:105]
	s_waitcnt vmcnt(60) lgkmcnt(1)
	v_mul_f64 v[176:177], v[113:114], v[5:6]
	v_mul_f64 v[5:6], v[111:112], v[5:6]
	;; [unrolled: 3-line block ×3, first 2 shown]
	v_fma_f64 v[107:108], v[107:108], v[102:103], -v[169:170]
	v_fma_f64 v[109:110], v[109:110], v[102:103], v[104:105]
	s_clause 0x2
	buffer_load_dword v174, off, s[0:3], 0 offset:556
	buffer_load_dword v170, off, s[0:3], 0 offset:532
	;; [unrolled: 1-line block ×3, first 2 shown]
	s_waitcnt vmcnt(57)
	v_fma_f64 v[111:112], v[111:112], v[1:2], -v[176:177]
	ds_read_b128 v[102:105], v106 offset:1072
	v_fma_f64 v[5:6], v[113:114], v[1:2], v[5:6]
	s_clause 0x4
	buffer_load_dword v114, off, s[0:3], 0 offset:572
	buffer_load_dword v177, off, s[0:3], 0 offset:584
	;; [unrolled: 1-line block ×5, first 2 shown]
	s_waitcnt vmcnt(56)
	v_fma_f64 v[115:116], v[115:116], v[125:126], -v[180:181]
	ds_read_b128 v[1:4], v106 offset:1088
	v_fma_f64 v[117:118], v[117:118], v[125:126], v[178:179]
	s_clause 0x2
	buffer_load_dword v178, off, s[0:3], 0 offset:588
	buffer_load_dword v126, off, s[0:3], 0 offset:564
	;; [unrolled: 1-line block ×3, first 2 shown]
	v_add_f64 v[107:108], v[107:108], 0
	v_add_f64 v[109:110], v[109:110], 0
	s_waitcnt lgkmcnt(1)
	v_mul_f64 v[183:184], v[102:103], v[119:120]
	v_mul_f64 v[119:120], v[104:105], v[119:120]
	s_waitcnt vmcnt(58) lgkmcnt(0)
	v_mul_f64 v[179:180], v[1:2], v[121:122]
	v_mul_f64 v[121:122], v[3:4], v[121:122]
	v_add_f64 v[111:112], v[107:108], v[111:112]
	v_add_f64 v[5:6], v[109:110], v[5:6]
	ds_read_b128 v[107:110], v106 offset:1104
	s_waitcnt vmcnt(56)
	v_fma_f64 v[119:120], v[102:103], v[127:128], -v[119:120]
	s_waitcnt vmcnt(51)
	v_fma_f64 v[121:122], v[1:2], v[123:124], -v[121:122]
	s_waitcnt lgkmcnt(0)
	v_mul_f64 v[185:186], v[107:108], v[129:130]
	v_add_f64 v[111:112], v[111:112], v[115:116]
	v_fma_f64 v[115:116], v[104:105], v[127:128], v[183:184]
	v_add_f64 v[5:6], v[5:6], v[117:118]
	s_clause 0x4
	buffer_load_dword v118, off, s[0:3], 0 offset:604
	buffer_load_dword v127, off, s[0:3], 0 offset:616
	;; [unrolled: 1-line block ×5, first 2 shown]
	v_mul_f64 v[129:130], v[109:110], v[129:130]
	ds_read_b128 v[102:105], v106 offset:1120
	v_add_f64 v[111:112], v[111:112], v[119:120]
	v_fma_f64 v[119:120], v[3:4], v[123:124], v[179:180]
	v_add_f64 v[5:6], v[5:6], v[115:116]
	s_clause 0x2
	buffer_load_dword v128, off, s[0:3], 0 offset:620
	buffer_load_dword v116, off, s[0:3], 0 offset:596
	;; [unrolled: 1-line block ×3, first 2 shown]
	s_waitcnt vmcnt(58) lgkmcnt(0)
	v_mul_f64 v[123:124], v[102:103], v[131:132]
	v_mul_f64 v[131:132], v[104:105], v[131:132]
	s_waitcnt vmcnt(56)
	v_fma_f64 v[129:130], v[107:108], v[135:136], -v[129:130]
	ds_read_b128 v[1:4], v106 offset:1136
	v_add_f64 v[111:112], v[111:112], v[121:122]
	v_fma_f64 v[121:122], v[109:110], v[135:136], v[185:186]
	v_add_f64 v[5:6], v[5:6], v[119:120]
	s_clause 0x4
	buffer_load_dword v120, off, s[0:3], 0 offset:636
	buffer_load_dword v135, off, s[0:3], 0 offset:648
	;; [unrolled: 1-line block ×5, first 2 shown]
	ds_read_b128 v[107:110], v106 offset:1152
	s_waitcnt vmcnt(57) lgkmcnt(1)
	v_mul_f64 v[180:181], v[1:2], v[137:138]
	v_mul_f64 v[137:138], v[3:4], v[137:138]
	s_waitcnt vmcnt(56)
	v_fma_f64 v[131:132], v[102:103], v[133:134], -v[131:132]
	v_fma_f64 v[123:124], v[104:105], v[133:134], v[123:124]
	v_add_f64 v[111:112], v[111:112], v[129:130]
	v_add_f64 v[5:6], v[5:6], v[121:122]
	s_clause 0x2
	buffer_load_dword v136, off, s[0:3], 0 offset:652
	buffer_load_dword v122, off, s[0:3], 0 offset:628
	;; [unrolled: 1-line block ×3, first 2 shown]
	s_waitcnt vmcnt(58) lgkmcnt(0)
	v_mul_f64 v[133:134], v[109:110], v[139:140]
	ds_read_b128 v[102:105], v106 offset:1168
	s_waitcnt vmcnt(56)
	v_fma_f64 v[137:138], v[1:2], v[143:144], -v[137:138]
	v_mul_f64 v[129:130], v[107:108], v[139:140]
	v_add_f64 v[111:112], v[111:112], v[131:132]
	v_fma_f64 v[131:132], v[3:4], v[143:144], v[180:181]
	v_add_f64 v[5:6], v[5:6], v[123:124]
	s_clause 0x4
	buffer_load_dword v124, off, s[0:3], 0 offset:668
	buffer_load_dword v139, off, s[0:3], 0 offset:680
	buffer_load_dword v143, off, s[0:3], 0 offset:672
	buffer_load_dword v123, off, s[0:3], 0 offset:664
	buffer_load_dword v180, off, s[0:3], 0 offset:644
	s_waitcnt vmcnt(57) lgkmcnt(0)
	v_mul_f64 v[186:187], v[102:103], v[145:146]
	v_mul_f64 v[144:145], v[104:105], v[145:146]
	s_waitcnt vmcnt(56)
	v_fma_f64 v[133:134], v[107:108], v[141:142], -v[133:134]
	ds_read_b128 v[1:4], v106 offset:1184
	v_fma_f64 v[129:130], v[109:110], v[141:142], v[129:130]
	v_add_f64 v[111:112], v[111:112], v[137:138]
	v_add_f64 v[5:6], v[5:6], v[131:132]
	s_clause 0x2
	buffer_load_dword v140, off, s[0:3], 0 offset:684
	buffer_load_dword v132, off, s[0:3], 0 offset:660
	buffer_load_dword v131, off, s[0:3], 0 offset:656
	ds_read_b128 v[107:110], v106 offset:1200
	s_waitcnt vmcnt(58) lgkmcnt(1)
	v_mul_f64 v[141:142], v[3:4], v[147:148]
	s_waitcnt vmcnt(56)
	v_fma_f64 v[145:146], v[102:103], v[151:152], -v[144:145]
	v_mul_f64 v[137:138], v[1:2], v[147:148]
	v_add_f64 v[111:112], v[111:112], v[133:134]
	v_fma_f64 v[133:134], v[104:105], v[151:152], v[186:187]
	v_add_f64 v[5:6], v[5:6], v[129:130]
	s_clause 0x4
	buffer_load_dword v130, off, s[0:3], 0 offset:700
	buffer_load_dword v147, off, s[0:3], 0 offset:712
	buffer_load_dword v151, off, s[0:3], 0 offset:704
	buffer_load_dword v129, off, s[0:3], 0 offset:696
	buffer_load_dword v144, off, s[0:3], 0 offset:676
	s_waitcnt vmcnt(57) lgkmcnt(0)
	v_mul_f64 v[186:187], v[107:108], v[153:154]
	v_mul_f64 v[152:153], v[109:110], v[153:154]
	s_waitcnt vmcnt(56)
	v_fma_f64 v[141:142], v[1:2], v[149:150], -v[141:142]
	ds_read_b128 v[102:105], v106 offset:1216
	v_fma_f64 v[137:138], v[3:4], v[149:150], v[137:138]
	v_add_f64 v[111:112], v[111:112], v[145:146]
	v_add_f64 v[5:6], v[5:6], v[133:134]
	s_clause 0x2
	buffer_load_dword v148, off, s[0:3], 0 offset:716
	buffer_load_dword v134, off, s[0:3], 0 offset:692
	buffer_load_dword v133, off, s[0:3], 0 offset:688
	ds_read_b128 v[1:4], v106 offset:1232
	s_waitcnt vmcnt(58) lgkmcnt(1)
	v_mul_f64 v[149:150], v[104:105], v[155:156]
	s_waitcnt vmcnt(56)
	v_fma_f64 v[153:154], v[107:108], v[159:160], -v[152:153]
	v_mul_f64 v[145:146], v[102:103], v[155:156]
	v_add_f64 v[111:112], v[111:112], v[141:142]
	v_fma_f64 v[141:142], v[109:110], v[159:160], v[186:187]
	v_add_f64 v[5:6], v[5:6], v[137:138]
	s_clause 0x4
	buffer_load_dword v138, off, s[0:3], 0 offset:732
	buffer_load_dword v155, off, s[0:3], 0 offset:744
	buffer_load_dword v159, off, s[0:3], 0 offset:736
	buffer_load_dword v137, off, s[0:3], 0 offset:728
	buffer_load_dword v152, off, s[0:3], 0 offset:708
	s_waitcnt vmcnt(57) lgkmcnt(0)
	v_mul_f64 v[186:187], v[1:2], v[161:162]
	v_mul_f64 v[160:161], v[3:4], v[161:162]
	s_waitcnt vmcnt(56)
	v_fma_f64 v[149:150], v[102:103], v[157:158], -v[149:150]
	ds_read_b128 v[107:110], v106 offset:1248
	v_fma_f64 v[145:146], v[104:105], v[157:158], v[145:146]
	v_add_f64 v[111:112], v[111:112], v[153:154]
	v_add_f64 v[5:6], v[5:6], v[141:142]
	s_clause 0x2
	buffer_load_dword v156, off, s[0:3], 0 offset:748
	buffer_load_dword v142, off, s[0:3], 0 offset:724
	buffer_load_dword v141, off, s[0:3], 0 offset:720
	ds_read_b128 v[102:105], v106 offset:1264
	s_waitcnt vmcnt(58) lgkmcnt(1)
	v_mul_f64 v[157:158], v[109:110], v[163:164]
	s_waitcnt vmcnt(56)
	v_fma_f64 v[161:162], v[1:2], v[167:168], -v[160:161]
	v_mul_f64 v[153:154], v[107:108], v[163:164]
	v_add_f64 v[111:112], v[111:112], v[149:150]
	v_fma_f64 v[149:150], v[3:4], v[167:168], v[186:187]
	v_add_f64 v[5:6], v[5:6], v[145:146]
	s_clause 0x2
	buffer_load_dword v146, off, s[0:3], 0 offset:764
	buffer_load_dword v145, off, s[0:3], 0 offset:760
	;; [unrolled: 1-line block ×3, first 2 shown]
	s_waitcnt vmcnt(55) lgkmcnt(0)
	v_mul_f64 v[167:168], v[104:105], v[171:172]
	s_waitcnt vmcnt(54)
	v_fma_f64 v[157:158], v[107:108], v[165:166], -v[157:158]
	ds_read_b128 v[1:4], v106 offset:1280
	v_mul_f64 v[163:164], v[102:103], v[171:172]
	v_fma_f64 v[153:154], v[109:110], v[165:166], v[153:154]
	v_add_f64 v[111:112], v[111:112], v[161:162]
	v_add_f64 v[5:6], v[5:6], v[149:150]
	s_clause 0x1
	buffer_load_dword v150, off, s[0:3], 0 offset:756
	buffer_load_dword v149, off, s[0:3], 0 offset:752
	ds_read_b128 v[107:110], v106 offset:1296
	s_waitcnt vmcnt(55) lgkmcnt(1)
	v_mul_f64 v[165:166], v[3:4], v[173:174]
	v_mul_f64 v[161:162], v[1:2], v[173:174]
	s_waitcnt vmcnt(53)
	v_fma_f64 v[167:168], v[102:103], v[169:170], -v[167:168]
	v_add_f64 v[111:112], v[111:112], v[157:158]
	v_fma_f64 v[157:158], v[104:105], v[169:170], v[163:164]
	v_add_f64 v[5:6], v[5:6], v[153:154]
	ds_read_b128 v[102:105], v106 offset:1312
	s_waitcnt vmcnt(49) lgkmcnt(1)
	v_mul_f64 v[153:154], v[107:108], v[113:114]
	v_mul_f64 v[113:114], v[109:110], v[113:114]
	s_waitcnt vmcnt(48)
	v_fma_f64 v[163:164], v[1:2], v[175:176], -v[165:166]
	v_fma_f64 v[161:162], v[3:4], v[175:176], v[161:162]
	v_add_f64 v[111:112], v[111:112], v[167:168]
	s_waitcnt vmcnt(47) lgkmcnt(0)
	v_mul_f64 v[169:170], v[104:105], v[177:178]
	v_add_f64 v[5:6], v[5:6], v[157:158]
	s_clause 0x3
	buffer_load_dword v157, off, s[0:3], 0 offset:272
	buffer_load_dword v158, off, s[0:3], 0 offset:276
	;; [unrolled: 1-line block ×4, first 2 shown]
	ds_read_b128 v[1:4], v106 offset:1328
	s_waitcnt vmcnt(49)
	v_fma_f64 v[113:114], v[107:108], v[125:126], -v[113:114]
	v_mul_f64 v[167:168], v[102:103], v[177:178]
	v_fma_f64 v[125:126], v[109:110], v[125:126], v[153:154]
	ds_read_b128 v[107:110], v106 offset:1344
	v_add_f64 v[111:112], v[111:112], v[163:164]
	v_add_f64 v[5:6], v[5:6], v[161:162]
	s_waitcnt vmcnt(45) lgkmcnt(1)
	v_mul_f64 v[153:154], v[1:2], v[117:118]
	v_mul_f64 v[117:118], v[3:4], v[117:118]
	s_waitcnt vmcnt(44)
	v_fma_f64 v[161:162], v[102:103], v[182:183], -v[169:170]
	v_add_f64 v[111:112], v[111:112], v[113:114]
	v_fma_f64 v[113:114], v[104:105], v[182:183], v[167:168]
	v_add_f64 v[5:6], v[5:6], v[125:126]
	ds_read_b128 v[102:105], v106 offset:1360
	s_waitcnt vmcnt(43) lgkmcnt(1)
	v_mul_f64 v[125:126], v[107:108], v[127:128]
	v_mul_f64 v[127:128], v[109:110], v[127:128]
	s_waitcnt vmcnt(41)
	v_fma_f64 v[117:118], v[1:2], v[115:116], -v[117:118]
	v_fma_f64 v[115:116], v[3:4], v[115:116], v[153:154]
	ds_read_b128 v[1:4], v106 offset:1376
	v_add_f64 v[111:112], v[111:112], v[161:162]
	v_add_f64 v[5:6], v[5:6], v[113:114]
	s_waitcnt vmcnt(37) lgkmcnt(1)
	v_mul_f64 v[113:114], v[102:103], v[119:120]
	v_mul_f64 v[119:120], v[104:105], v[119:120]
	s_waitcnt vmcnt(36)
	v_fma_f64 v[127:128], v[107:108], v[184:185], -v[127:128]
	v_add_f64 v[111:112], v[111:112], v[117:118]
	v_fma_f64 v[117:118], v[109:110], v[184:185], v[125:126]
	v_add_f64 v[5:6], v[5:6], v[115:116]
	ds_read_b128 v[107:110], v106 offset:1392
	s_waitcnt vmcnt(35) lgkmcnt(1)
	v_mul_f64 v[125:126], v[3:4], v[135:136]
	v_mul_f64 v[115:116], v[1:2], v[135:136]
	s_waitcnt vmcnt(33)
	v_fma_f64 v[119:120], v[102:103], v[121:122], -v[119:120]
	v_fma_f64 v[113:114], v[104:105], v[121:122], v[113:114]
	ds_read_b128 v[102:105], v106 offset:1408
	v_add_f64 v[111:112], v[111:112], v[127:128]
	v_add_f64 v[5:6], v[5:6], v[117:118]
	s_waitcnt vmcnt(29) lgkmcnt(1)
	v_mul_f64 v[117:118], v[107:108], v[123:124]
	v_mul_f64 v[121:122], v[109:110], v[123:124]
	s_waitcnt vmcnt(28)
	v_fma_f64 v[123:124], v[1:2], v[179:180], -v[125:126]
	v_fma_f64 v[115:116], v[3:4], v[179:180], v[115:116]
	ds_read_b128 v[1:4], v106 offset:1424
	v_add_f64 v[111:112], v[111:112], v[119:120]
	v_add_f64 v[5:6], v[5:6], v[113:114]
	;; [unrolled: 9-line block ×3, first 2 shown]
	s_waitcnt vmcnt(21) lgkmcnt(1)
	v_mul_f64 v[123:124], v[3:4], v[129:130]
	s_waitcnt vmcnt(20)
	v_fma_f64 v[119:120], v[102:103], v[143:144], -v[119:120]
	v_mul_f64 v[115:116], v[1:2], v[129:130]
	v_fma_f64 v[113:114], v[104:105], v[143:144], v[113:114]
	ds_read_b128 v[102:105], v106 offset:1456
	v_add_f64 v[111:112], v[111:112], v[121:122]
	v_add_f64 v[5:6], v[5:6], v[117:118]
	s_waitcnt vmcnt(19) lgkmcnt(1)
	v_mul_f64 v[121:122], v[109:110], v[147:148]
	v_mul_f64 v[117:118], v[107:108], v[147:148]
	s_waitcnt vmcnt(17)
	v_fma_f64 v[123:124], v[1:2], v[133:134], -v[123:124]
	v_fma_f64 v[115:116], v[3:4], v[133:134], v[115:116]
	ds_read_b128 v[1:4], v106 offset:1472
	v_add_f64 v[111:112], v[111:112], v[119:120]
	v_add_f64 v[5:6], v[5:6], v[113:114]
	s_waitcnt vmcnt(13) lgkmcnt(1)
	v_mul_f64 v[119:120], v[104:105], v[137:138]
	s_waitcnt vmcnt(12)
	v_fma_f64 v[121:122], v[107:108], v[151:152], -v[121:122]
	v_mul_f64 v[113:114], v[102:103], v[137:138]
	v_fma_f64 v[117:118], v[109:110], v[151:152], v[117:118]
	ds_read_b128 v[106:109], v106 offset:1488
	v_add_f64 v[111:112], v[111:112], v[123:124]
	v_add_f64 v[5:6], v[5:6], v[115:116]
	s_waitcnt vmcnt(11) lgkmcnt(1)
	v_mul_f64 v[123:124], v[3:4], v[155:156]
	v_mul_f64 v[115:116], v[1:2], v[155:156]
	s_waitcnt vmcnt(9)
	v_fma_f64 v[102:103], v[102:103], v[141:142], -v[119:120]
	v_fma_f64 v[104:105], v[104:105], v[141:142], v[113:114]
	v_add_f64 v[110:111], v[111:112], v[121:122]
	v_add_f64 v[5:6], v[5:6], v[117:118]
	s_waitcnt vmcnt(7) lgkmcnt(0)
	v_mul_f64 v[117:118], v[108:109], v[145:146]
	s_waitcnt vmcnt(6)
	v_fma_f64 v[1:2], v[1:2], v[159:160], -v[123:124]
	v_mul_f64 v[112:113], v[106:107], v[145:146]
	v_fma_f64 v[3:4], v[3:4], v[159:160], v[115:116]
	v_add_f64 v[102:103], v[110:111], v[102:103]
	v_add_f64 v[5:6], v[5:6], v[104:105]
	s_waitcnt vmcnt(4)
	v_fma_f64 v[104:105], v[106:107], v[149:150], -v[117:118]
	v_add_f64 v[1:2], v[102:103], v[1:2]
	v_fma_f64 v[102:103], v[108:109], v[149:150], v[112:113]
	v_add_f64 v[3:4], v[5:6], v[3:4]
	v_add_f64 v[1:2], v[1:2], v[104:105]
	;; [unrolled: 1-line block ×3, first 2 shown]
	s_waitcnt vmcnt(2)
	v_add_f64 v[1:2], v[157:158], -v[1:2]
	s_waitcnt vmcnt(0)
	v_add_f64 v[3:4], v[165:166], -v[3:4]
	buffer_store_dword v2, off, s[0:3], 0 offset:276
	buffer_store_dword v1, off, s[0:3], 0 offset:272
	;; [unrolled: 1-line block ×4, first 2 shown]
	v_cmpx_lt_u32_e32 15, v0
	s_cbranch_execz .LBB110_265
; %bb.264:
	v_mov_b32_e32 v4, s44
	v_mov_b32_e32 v5, 0
	s_clause 0x3
	buffer_load_dword v1, v4, s[0:3], 0 offen
	buffer_load_dword v2, v4, s[0:3], 0 offen offset:4
	buffer_load_dword v3, v4, s[0:3], 0 offen offset:8
	;; [unrolled: 1-line block ×3, first 2 shown]
	buffer_store_dword v5, off, s[0:3], 0 offset:256
	buffer_store_dword v5, off, s[0:3], 0 offset:260
	;; [unrolled: 1-line block ×4, first 2 shown]
	s_waitcnt vmcnt(0)
	ds_write_b128 v7, v[1:4]
.LBB110_265:
	s_or_b32 exec_lo, exec_lo, s4
	s_waitcnt lgkmcnt(0)
	s_waitcnt_vscnt null, 0x0
	s_barrier
	buffer_gl0_inv
	s_clause 0x37
	buffer_load_dword v104, off, s[0:3], 0 offset:280
	buffer_load_dword v105, off, s[0:3], 0 offset:284
	buffer_load_dword v5, off, s[0:3], 0 offset:296
	buffer_load_dword v6, off, s[0:3], 0 offset:300
	buffer_load_dword v102, off, s[0:3], 0 offset:272
	buffer_load_dword v103, off, s[0:3], 0 offset:276
	buffer_load_dword v3, off, s[0:3], 0 offset:312
	buffer_load_dword v4, off, s[0:3], 0 offset:316
	buffer_load_dword v1, off, s[0:3], 0 offset:288
	buffer_load_dword v2, off, s[0:3], 0 offset:292
	buffer_load_dword v109, off, s[0:3], 0 offset:332
	buffer_load_dword v125, off, s[0:3], 0 offset:344
	buffer_load_dword v106, off, s[0:3], 0 offset:336
	buffer_load_dword v108, off, s[0:3], 0 offset:328
	buffer_load_dword v127, off, s[0:3], 0 offset:304
	buffer_load_dword v128, off, s[0:3], 0 offset:308
	buffer_load_dword v126, off, s[0:3], 0 offset:348
	buffer_load_dword v130, off, s[0:3], 0 offset:324
	buffer_load_dword v129, off, s[0:3], 0 offset:320
	buffer_load_dword v132, off, s[0:3], 0 offset:364
	buffer_load_dword v133, off, s[0:3], 0 offset:376
	buffer_load_dword v110, off, s[0:3], 0 offset:368
	buffer_load_dword v131, off, s[0:3], 0 offset:360
	buffer_load_dword v107, off, s[0:3], 0 offset:340
	buffer_load_dword v134, off, s[0:3], 0 offset:380
	buffer_load_dword v136, off, s[0:3], 0 offset:356
	buffer_load_dword v135, off, s[0:3], 0 offset:352
	buffer_load_dword v138, off, s[0:3], 0 offset:396
	buffer_load_dword v139, off, s[0:3], 0 offset:408
	buffer_load_dword v141, off, s[0:3], 0 offset:400
	buffer_load_dword v137, off, s[0:3], 0 offset:392
	buffer_load_dword v111, off, s[0:3], 0 offset:372
	buffer_load_dword v140, off, s[0:3], 0 offset:412
	buffer_load_dword v144, off, s[0:3], 0 offset:388
	buffer_load_dword v143, off, s[0:3], 0 offset:384
	buffer_load_dword v146, off, s[0:3], 0 offset:428
	buffer_load_dword v147, off, s[0:3], 0 offset:440
	buffer_load_dword v149, off, s[0:3], 0 offset:432
	buffer_load_dword v145, off, s[0:3], 0 offset:424
	buffer_load_dword v142, off, s[0:3], 0 offset:404
	buffer_load_dword v148, off, s[0:3], 0 offset:444
	buffer_load_dword v152, off, s[0:3], 0 offset:420
	buffer_load_dword v151, off, s[0:3], 0 offset:416
	buffer_load_dword v154, off, s[0:3], 0 offset:460
	buffer_load_dword v155, off, s[0:3], 0 offset:472
	buffer_load_dword v157, off, s[0:3], 0 offset:464
	buffer_load_dword v153, off, s[0:3], 0 offset:456
	buffer_load_dword v150, off, s[0:3], 0 offset:436
	buffer_load_dword v156, off, s[0:3], 0 offset:476
	buffer_load_dword v160, off, s[0:3], 0 offset:452
	buffer_load_dword v159, off, s[0:3], 0 offset:448
	buffer_load_dword v162, off, s[0:3], 0 offset:492
	buffer_load_dword v163, off, s[0:3], 0 offset:504
	buffer_load_dword v165, off, s[0:3], 0 offset:496
	buffer_load_dword v161, off, s[0:3], 0 offset:488
	buffer_load_dword v158, off, s[0:3], 0 offset:468
	v_mov_b32_e32 v124, 0
	s_mov_b32 s4, exec_lo
	ds_read_b128 v[112:115], v124 offset:1008
	s_clause 0x2
	buffer_load_dword v164, off, s[0:3], 0 offset:508
	buffer_load_dword v168, off, s[0:3], 0 offset:484
	;; [unrolled: 1-line block ×3, first 2 shown]
	ds_read_b128 v[116:119], v124 offset:1024
	s_clause 0x4
	buffer_load_dword v172, off, s[0:3], 0 offset:524
	buffer_load_dword v173, off, s[0:3], 0 offset:536
	;; [unrolled: 1-line block ×5, first 2 shown]
	ds_read_b128 v[120:123], v124 offset:1040
	s_waitcnt vmcnt(62) lgkmcnt(2)
	v_mul_f64 v[169:170], v[114:115], v[104:105]
	v_mul_f64 v[104:105], v[112:113], v[104:105]
	s_waitcnt vmcnt(60) lgkmcnt(1)
	v_mul_f64 v[176:177], v[118:119], v[5:6]
	v_mul_f64 v[5:6], v[116:117], v[5:6]
	;; [unrolled: 3-line block ×3, first 2 shown]
	v_fma_f64 v[112:113], v[112:113], v[102:103], -v[169:170]
	v_fma_f64 v[114:115], v[114:115], v[102:103], v[104:105]
	s_clause 0x2
	buffer_load_dword v174, off, s[0:3], 0 offset:540
	buffer_load_dword v170, off, s[0:3], 0 offset:516
	;; [unrolled: 1-line block ×3, first 2 shown]
	s_waitcnt vmcnt(57)
	v_fma_f64 v[116:117], v[116:117], v[1:2], -v[176:177]
	ds_read_b128 v[102:105], v124 offset:1056
	v_fma_f64 v[5:6], v[118:119], v[1:2], v[5:6]
	s_clause 0x4
	buffer_load_dword v119, off, s[0:3], 0 offset:556
	buffer_load_dword v177, off, s[0:3], 0 offset:568
	;; [unrolled: 1-line block ×5, first 2 shown]
	s_waitcnt vmcnt(56)
	v_fma_f64 v[120:121], v[120:121], v[127:128], -v[180:181]
	ds_read_b128 v[1:4], v124 offset:1072
	v_fma_f64 v[122:123], v[122:123], v[127:128], v[178:179]
	s_clause 0x2
	buffer_load_dword v178, off, s[0:3], 0 offset:572
	buffer_load_dword v128, off, s[0:3], 0 offset:548
	buffer_load_dword v127, off, s[0:3], 0 offset:544
	v_add_f64 v[112:113], v[112:113], 0
	v_add_f64 v[114:115], v[114:115], 0
	s_waitcnt lgkmcnt(1)
	v_mul_f64 v[183:184], v[102:103], v[108:109]
	v_mul_f64 v[108:109], v[104:105], v[108:109]
	s_waitcnt vmcnt(58) lgkmcnt(0)
	v_mul_f64 v[179:180], v[1:2], v[125:126]
	v_mul_f64 v[125:126], v[3:4], v[125:126]
	v_add_f64 v[116:117], v[112:113], v[116:117]
	v_add_f64 v[5:6], v[114:115], v[5:6]
	ds_read_b128 v[112:115], v124 offset:1088
	s_waitcnt vmcnt(56)
	v_fma_f64 v[108:109], v[102:103], v[129:130], -v[108:109]
	s_waitcnt vmcnt(51)
	v_fma_f64 v[125:126], v[1:2], v[106:107], -v[125:126]
	v_fma_f64 v[106:107], v[3:4], v[106:107], v[179:180]
	s_waitcnt lgkmcnt(0)
	v_mul_f64 v[185:186], v[112:113], v[131:132]
	v_add_f64 v[116:117], v[116:117], v[120:121]
	v_fma_f64 v[120:121], v[104:105], v[129:130], v[183:184]
	v_add_f64 v[5:6], v[5:6], v[122:123]
	s_clause 0x4
	buffer_load_dword v123, off, s[0:3], 0 offset:588
	buffer_load_dword v129, off, s[0:3], 0 offset:600
	;; [unrolled: 1-line block ×5, first 2 shown]
	v_mul_f64 v[131:132], v[114:115], v[131:132]
	ds_read_b128 v[102:105], v124 offset:1104
	s_waitcnt vmcnt(53)
	v_fma_f64 v[114:115], v[114:115], v[135:136], v[185:186]
	v_add_f64 v[108:109], v[116:117], v[108:109]
	s_clause 0x2
	buffer_load_dword v130, off, s[0:3], 0 offset:604
	buffer_load_dword v117, off, s[0:3], 0 offset:580
	;; [unrolled: 1-line block ×3, first 2 shown]
	v_add_f64 v[5:6], v[5:6], v[120:121]
	s_waitcnt lgkmcnt(0)
	v_mul_f64 v[120:121], v[102:103], v[133:134]
	v_mul_f64 v[133:134], v[104:105], v[133:134]
	v_fma_f64 v[112:113], v[112:113], v[135:136], -v[131:132]
	ds_read_b128 v[1:4], v124 offset:1120
	s_clause 0x4
	buffer_load_dword v132, off, s[0:3], 0 offset:620
	buffer_load_dword v135, off, s[0:3], 0 offset:632
	;; [unrolled: 1-line block ×5, first 2 shown]
	v_add_f64 v[125:126], v[108:109], v[125:126]
	v_add_f64 v[5:6], v[5:6], v[106:107]
	ds_read_b128 v[106:109], v124 offset:1136
	s_waitcnt vmcnt(57) lgkmcnt(1)
	v_mul_f64 v[180:181], v[1:2], v[137:138]
	v_mul_f64 v[137:138], v[3:4], v[137:138]
	s_waitcnt vmcnt(56)
	v_fma_f64 v[133:134], v[102:103], v[110:111], -v[133:134]
	v_fma_f64 v[110:111], v[104:105], v[110:111], v[120:121]
	v_add_f64 v[112:113], v[125:126], v[112:113]
	s_waitcnt vmcnt(55) lgkmcnt(0)
	v_mul_f64 v[125:126], v[108:109], v[139:140]
	v_add_f64 v[5:6], v[5:6], v[114:115]
	s_clause 0x2
	buffer_load_dword v136, off, s[0:3], 0 offset:636
	buffer_load_dword v115, off, s[0:3], 0 offset:612
	;; [unrolled: 1-line block ×3, first 2 shown]
	ds_read_b128 v[102:105], v124 offset:1152
	s_waitcnt vmcnt(56)
	v_fma_f64 v[137:138], v[1:2], v[143:144], -v[137:138]
	v_mul_f64 v[120:121], v[106:107], v[139:140]
	v_add_f64 v[112:113], v[112:113], v[133:134]
	v_fma_f64 v[133:134], v[3:4], v[143:144], v[180:181]
	v_add_f64 v[5:6], v[5:6], v[110:111]
	s_clause 0x4
	buffer_load_dword v111, off, s[0:3], 0 offset:652
	buffer_load_dword v139, off, s[0:3], 0 offset:664
	buffer_load_dword v143, off, s[0:3], 0 offset:656
	buffer_load_dword v110, off, s[0:3], 0 offset:648
	buffer_load_dword v180, off, s[0:3], 0 offset:628
	s_waitcnt vmcnt(57) lgkmcnt(0)
	v_mul_f64 v[186:187], v[102:103], v[145:146]
	v_mul_f64 v[144:145], v[104:105], v[145:146]
	s_waitcnt vmcnt(56)
	v_fma_f64 v[125:126], v[106:107], v[141:142], -v[125:126]
	ds_read_b128 v[1:4], v124 offset:1168
	v_fma_f64 v[120:121], v[108:109], v[141:142], v[120:121]
	v_add_f64 v[112:113], v[112:113], v[137:138]
	v_add_f64 v[5:6], v[5:6], v[133:134]
	s_clause 0x2
	buffer_load_dword v140, off, s[0:3], 0 offset:668
	buffer_load_dword v134, off, s[0:3], 0 offset:644
	buffer_load_dword v133, off, s[0:3], 0 offset:640
	ds_read_b128 v[106:109], v124 offset:1184
	s_waitcnt vmcnt(58) lgkmcnt(1)
	v_mul_f64 v[141:142], v[3:4], v[147:148]
	s_waitcnt vmcnt(56)
	v_fma_f64 v[145:146], v[102:103], v[151:152], -v[144:145]
	v_mul_f64 v[137:138], v[1:2], v[147:148]
	v_add_f64 v[112:113], v[112:113], v[125:126]
	v_fma_f64 v[125:126], v[104:105], v[151:152], v[186:187]
	v_add_f64 v[5:6], v[5:6], v[120:121]
	s_clause 0x4
	buffer_load_dword v121, off, s[0:3], 0 offset:684
	buffer_load_dword v147, off, s[0:3], 0 offset:696
	buffer_load_dword v151, off, s[0:3], 0 offset:688
	buffer_load_dword v120, off, s[0:3], 0 offset:680
	buffer_load_dword v144, off, s[0:3], 0 offset:660
	s_waitcnt vmcnt(57) lgkmcnt(0)
	v_mul_f64 v[186:187], v[106:107], v[153:154]
	v_mul_f64 v[152:153], v[108:109], v[153:154]
	s_waitcnt vmcnt(56)
	v_fma_f64 v[141:142], v[1:2], v[149:150], -v[141:142]
	ds_read_b128 v[102:105], v124 offset:1200
	v_fma_f64 v[137:138], v[3:4], v[149:150], v[137:138]
	v_add_f64 v[112:113], v[112:113], v[145:146]
	v_add_f64 v[5:6], v[5:6], v[125:126]
	s_clause 0x2
	buffer_load_dword v148, off, s[0:3], 0 offset:700
	buffer_load_dword v126, off, s[0:3], 0 offset:676
	buffer_load_dword v125, off, s[0:3], 0 offset:672
	ds_read_b128 v[1:4], v124 offset:1216
	s_waitcnt vmcnt(58) lgkmcnt(1)
	v_mul_f64 v[149:150], v[104:105], v[155:156]
	;; [unrolled: 28-line block ×3, first 2 shown]
	s_waitcnt vmcnt(56)
	v_fma_f64 v[161:162], v[1:2], v[167:168], -v[160:161]
	v_mul_f64 v[153:154], v[106:107], v[163:164]
	v_add_f64 v[112:113], v[112:113], v[149:150]
	v_fma_f64 v[149:150], v[3:4], v[167:168], v[186:187]
	v_add_f64 v[5:6], v[5:6], v[145:146]
	s_clause 0x4
	buffer_load_dword v146, off, s[0:3], 0 offset:748
	buffer_load_dword v163, off, s[0:3], 0 offset:760
	;; [unrolled: 1-line block ×5, first 2 shown]
	s_waitcnt vmcnt(57) lgkmcnt(0)
	v_mul_f64 v[186:187], v[102:103], v[171:172]
	v_mul_f64 v[171:172], v[104:105], v[171:172]
	s_waitcnt vmcnt(56)
	v_fma_f64 v[157:158], v[106:107], v[165:166], -v[157:158]
	ds_read_b128 v[1:4], v124 offset:1264
	v_fma_f64 v[153:154], v[108:109], v[165:166], v[153:154]
	v_add_f64 v[112:113], v[112:113], v[161:162]
	v_add_f64 v[5:6], v[5:6], v[149:150]
	s_clause 0x2
	buffer_load_dword v164, off, s[0:3], 0 offset:764
	buffer_load_dword v150, off, s[0:3], 0 offset:740
	;; [unrolled: 1-line block ×3, first 2 shown]
	ds_read_b128 v[106:109], v124 offset:1280
	buffer_load_dword v168, off, s[0:3], 0 offset:756
	s_waitcnt vmcnt(59) lgkmcnt(1)
	v_mul_f64 v[165:166], v[3:4], v[173:174]
	v_mul_f64 v[161:162], v[1:2], v[173:174]
	s_waitcnt vmcnt(57)
	v_fma_f64 v[171:172], v[102:103], v[169:170], -v[171:172]
	v_add_f64 v[112:113], v[112:113], v[157:158]
	v_fma_f64 v[157:158], v[104:105], v[169:170], v[186:187]
	v_add_f64 v[5:6], v[5:6], v[153:154]
	ds_read_b128 v[102:105], v124 offset:1296
	s_waitcnt vmcnt(53) lgkmcnt(1)
	v_mul_f64 v[153:154], v[106:107], v[118:119]
	v_mul_f64 v[118:119], v[108:109], v[118:119]
	s_waitcnt vmcnt(52)
	v_fma_f64 v[165:166], v[1:2], v[175:176], -v[165:166]
	v_fma_f64 v[161:162], v[3:4], v[175:176], v[161:162]
	ds_read_b128 v[1:4], v124 offset:1312
	v_add_f64 v[112:113], v[112:113], v[171:172]
	s_waitcnt vmcnt(51) lgkmcnt(1)
	v_mul_f64 v[169:170], v[104:105], v[177:178]
	v_add_f64 v[5:6], v[5:6], v[157:158]
	v_mul_f64 v[157:158], v[102:103], v[177:178]
	s_waitcnt vmcnt(49)
	v_fma_f64 v[118:119], v[106:107], v[127:128], -v[118:119]
	v_fma_f64 v[127:128], v[108:109], v[127:128], v[153:154]
	v_add_f64 v[112:113], v[112:113], v[165:166]
	v_add_f64 v[5:6], v[5:6], v[161:162]
	s_clause 0x3
	buffer_load_dword v153, off, s[0:3], 0 offset:256
	buffer_load_dword v154, off, s[0:3], 0 offset:260
	;; [unrolled: 1-line block ×4, first 2 shown]
	ds_read_b128 v[106:109], v124 offset:1328
	s_waitcnt vmcnt(49) lgkmcnt(1)
	v_mul_f64 v[165:166], v[1:2], v[122:123]
	v_mul_f64 v[122:123], v[3:4], v[122:123]
	s_waitcnt vmcnt(48)
	v_fma_f64 v[169:170], v[102:103], v[182:183], -v[169:170]
	v_add_f64 v[112:113], v[112:113], v[118:119]
	v_fma_f64 v[118:119], v[104:105], v[182:183], v[157:158]
	v_add_f64 v[5:6], v[5:6], v[127:128]
	ds_read_b128 v[102:105], v124 offset:1344
	s_waitcnt vmcnt(47) lgkmcnt(1)
	v_mul_f64 v[127:128], v[106:107], v[129:130]
	v_mul_f64 v[129:130], v[108:109], v[129:130]
	s_waitcnt vmcnt(45)
	v_fma_f64 v[122:123], v[1:2], v[116:117], -v[122:123]
	v_fma_f64 v[116:117], v[3:4], v[116:117], v[165:166]
	ds_read_b128 v[1:4], v124 offset:1360
	v_add_f64 v[112:113], v[112:113], v[169:170]
	v_add_f64 v[5:6], v[5:6], v[118:119]
	s_waitcnt vmcnt(41) lgkmcnt(1)
	v_mul_f64 v[118:119], v[102:103], v[131:132]
	v_mul_f64 v[131:132], v[104:105], v[131:132]
	s_waitcnt vmcnt(40)
	v_fma_f64 v[129:130], v[106:107], v[184:185], -v[129:130]
	v_add_f64 v[112:113], v[112:113], v[122:123]
	v_fma_f64 v[122:123], v[108:109], v[184:185], v[127:128]
	v_add_f64 v[5:6], v[5:6], v[116:117]
	ds_read_b128 v[106:109], v124 offset:1376
	s_waitcnt vmcnt(39) lgkmcnt(1)
	v_mul_f64 v[127:128], v[3:4], v[135:136]
	v_mul_f64 v[116:117], v[1:2], v[135:136]
	s_waitcnt vmcnt(37)
	v_fma_f64 v[131:132], v[102:103], v[114:115], -v[131:132]
	v_fma_f64 v[114:115], v[104:105], v[114:115], v[118:119]
	ds_read_b128 v[102:105], v124 offset:1392
	v_add_f64 v[112:113], v[112:113], v[129:130]
	v_add_f64 v[5:6], v[5:6], v[122:123]
	s_waitcnt vmcnt(33) lgkmcnt(1)
	v_mul_f64 v[118:119], v[106:107], v[110:111]
	v_mul_f64 v[110:111], v[108:109], v[110:111]
	s_waitcnt vmcnt(32)
	v_fma_f64 v[122:123], v[1:2], v[179:180], -v[127:128]
	v_fma_f64 v[116:117], v[3:4], v[179:180], v[116:117]
	ds_read_b128 v[1:4], v124 offset:1408
	v_add_f64 v[112:113], v[112:113], v[131:132]
	v_add_f64 v[5:6], v[5:6], v[114:115]
	;; [unrolled: 9-line block ×3, first 2 shown]
	s_waitcnt vmcnt(25) lgkmcnt(1)
	v_mul_f64 v[116:117], v[1:2], v[120:121]
	v_mul_f64 v[120:121], v[3:4], v[120:121]
	s_waitcnt vmcnt(24)
	v_fma_f64 v[122:123], v[102:103], v[143:144], -v[127:128]
	v_add_f64 v[110:111], v[112:113], v[110:111]
	v_fma_f64 v[112:113], v[104:105], v[143:144], v[114:115]
	v_add_f64 v[5:6], v[5:6], v[118:119]
	ds_read_b128 v[102:105], v124 offset:1440
	s_waitcnt vmcnt(23) lgkmcnt(1)
	v_mul_f64 v[118:119], v[108:109], v[147:148]
	v_mul_f64 v[114:115], v[106:107], v[147:148]
	s_waitcnt vmcnt(21)
	v_fma_f64 v[120:121], v[1:2], v[125:126], -v[120:121]
	v_fma_f64 v[116:117], v[3:4], v[125:126], v[116:117]
	ds_read_b128 v[1:4], v124 offset:1456
	v_add_f64 v[110:111], v[110:111], v[122:123]
	v_add_f64 v[5:6], v[5:6], v[112:113]
	s_waitcnt vmcnt(17) lgkmcnt(1)
	v_mul_f64 v[122:123], v[104:105], v[137:138]
	s_waitcnt vmcnt(16)
	v_fma_f64 v[118:119], v[106:107], v[151:152], -v[118:119]
	v_mul_f64 v[112:113], v[102:103], v[137:138]
	v_fma_f64 v[114:115], v[108:109], v[151:152], v[114:115]
	ds_read_b128 v[106:109], v124 offset:1472
	v_add_f64 v[110:111], v[110:111], v[120:121]
	v_add_f64 v[5:6], v[5:6], v[116:117]
	s_waitcnt vmcnt(15) lgkmcnt(1)
	v_mul_f64 v[120:121], v[3:4], v[155:156]
	v_mul_f64 v[116:117], v[1:2], v[155:156]
	s_waitcnt vmcnt(13)
	v_fma_f64 v[122:123], v[102:103], v[141:142], -v[122:123]
	v_fma_f64 v[112:113], v[104:105], v[141:142], v[112:113]
	ds_read_b128 v[102:105], v124 offset:1488
	v_add_f64 v[110:111], v[110:111], v[118:119]
	v_add_f64 v[5:6], v[5:6], v[114:115]
	s_waitcnt vmcnt(9) lgkmcnt(1)
	v_mul_f64 v[118:119], v[108:109], v[145:146]
	s_waitcnt vmcnt(8)
	v_fma_f64 v[1:2], v[1:2], v[159:160], -v[120:121]
	v_mul_f64 v[114:115], v[106:107], v[145:146]
	v_fma_f64 v[3:4], v[3:4], v[159:160], v[116:117]
	v_add_f64 v[110:111], v[110:111], v[122:123]
	v_add_f64 v[5:6], v[5:6], v[112:113]
	s_waitcnt vmcnt(7) lgkmcnt(0)
	v_mul_f64 v[116:117], v[104:105], v[163:164]
	v_mul_f64 v[112:113], v[102:103], v[163:164]
	s_waitcnt vmcnt(5)
	v_fma_f64 v[106:107], v[106:107], v[149:150], -v[118:119]
	v_fma_f64 v[108:109], v[108:109], v[149:150], v[114:115]
	v_add_f64 v[1:2], v[110:111], v[1:2]
	v_add_f64 v[3:4], v[5:6], v[3:4]
	s_waitcnt vmcnt(4)
	v_fma_f64 v[5:6], v[102:103], v[167:168], -v[116:117]
	v_fma_f64 v[102:103], v[104:105], v[167:168], v[112:113]
	v_add_f64 v[1:2], v[1:2], v[106:107]
	v_add_f64 v[3:4], v[3:4], v[108:109]
	;; [unrolled: 1-line block ×4, first 2 shown]
	s_waitcnt vmcnt(2)
	v_add_f64 v[1:2], v[153:154], -v[1:2]
	s_waitcnt vmcnt(0)
	v_add_f64 v[3:4], v[161:162], -v[3:4]
	buffer_store_dword v2, off, s[0:3], 0 offset:260
	buffer_store_dword v1, off, s[0:3], 0 offset:256
	;; [unrolled: 1-line block ×4, first 2 shown]
	v_cmpx_lt_u32_e32 14, v0
	s_cbranch_execz .LBB110_267
; %bb.266:
	v_mov_b32_e32 v4, s45
	s_clause 0x3
	buffer_load_dword v1, v4, s[0:3], 0 offen
	buffer_load_dword v2, v4, s[0:3], 0 offen offset:4
	buffer_load_dword v3, v4, s[0:3], 0 offen offset:8
	;; [unrolled: 1-line block ×3, first 2 shown]
	buffer_store_dword v124, off, s[0:3], 0 offset:240
	buffer_store_dword v124, off, s[0:3], 0 offset:244
	;; [unrolled: 1-line block ×4, first 2 shown]
	s_waitcnt vmcnt(0)
	ds_write_b128 v7, v[1:4]
.LBB110_267:
	s_or_b32 exec_lo, exec_lo, s4
	s_waitcnt lgkmcnt(0)
	s_waitcnt_vscnt null, 0x0
	s_barrier
	buffer_gl0_inv
	s_clause 0x37
	buffer_load_dword v104, off, s[0:3], 0 offset:264
	buffer_load_dword v105, off, s[0:3], 0 offset:268
	buffer_load_dword v5, off, s[0:3], 0 offset:280
	buffer_load_dword v6, off, s[0:3], 0 offset:284
	buffer_load_dword v102, off, s[0:3], 0 offset:256
	buffer_load_dword v103, off, s[0:3], 0 offset:260
	buffer_load_dword v3, off, s[0:3], 0 offset:296
	buffer_load_dword v4, off, s[0:3], 0 offset:300
	buffer_load_dword v1, off, s[0:3], 0 offset:272
	buffer_load_dword v2, off, s[0:3], 0 offset:276
	buffer_load_dword v109, off, s[0:3], 0 offset:316
	buffer_load_dword v112, off, s[0:3], 0 offset:328
	buffer_load_dword v106, off, s[0:3], 0 offset:320
	buffer_load_dword v108, off, s[0:3], 0 offset:312
	buffer_load_dword v120, off, s[0:3], 0 offset:288
	buffer_load_dword v121, off, s[0:3], 0 offset:292
	buffer_load_dword v113, off, s[0:3], 0 offset:332
	buffer_load_dword v115, off, s[0:3], 0 offset:308
	buffer_load_dword v114, off, s[0:3], 0 offset:304
	buffer_load_dword v117, off, s[0:3], 0 offset:348
	buffer_load_dword v122, off, s[0:3], 0 offset:360
	buffer_load_dword v110, off, s[0:3], 0 offset:352
	buffer_load_dword v116, off, s[0:3], 0 offset:344
	buffer_load_dword v107, off, s[0:3], 0 offset:324
	buffer_load_dword v123, off, s[0:3], 0 offset:364
	buffer_load_dword v138, off, s[0:3], 0 offset:340
	buffer_load_dword v137, off, s[0:3], 0 offset:336
	buffer_load_dword v140, off, s[0:3], 0 offset:380
	buffer_load_dword v141, off, s[0:3], 0 offset:392
	buffer_load_dword v118, off, s[0:3], 0 offset:384
	buffer_load_dword v139, off, s[0:3], 0 offset:376
	buffer_load_dword v111, off, s[0:3], 0 offset:356
	buffer_load_dword v142, off, s[0:3], 0 offset:396
	buffer_load_dword v144, off, s[0:3], 0 offset:372
	buffer_load_dword v143, off, s[0:3], 0 offset:368
	buffer_load_dword v146, off, s[0:3], 0 offset:412
	buffer_load_dword v147, off, s[0:3], 0 offset:424
	buffer_load_dword v149, off, s[0:3], 0 offset:416
	buffer_load_dword v145, off, s[0:3], 0 offset:408
	buffer_load_dword v119, off, s[0:3], 0 offset:388
	buffer_load_dword v148, off, s[0:3], 0 offset:428
	buffer_load_dword v152, off, s[0:3], 0 offset:404
	buffer_load_dword v151, off, s[0:3], 0 offset:400
	buffer_load_dword v154, off, s[0:3], 0 offset:444
	buffer_load_dword v155, off, s[0:3], 0 offset:456
	buffer_load_dword v157, off, s[0:3], 0 offset:448
	buffer_load_dword v153, off, s[0:3], 0 offset:440
	buffer_load_dword v150, off, s[0:3], 0 offset:420
	buffer_load_dword v156, off, s[0:3], 0 offset:460
	buffer_load_dword v160, off, s[0:3], 0 offset:436
	buffer_load_dword v159, off, s[0:3], 0 offset:432
	buffer_load_dword v162, off, s[0:3], 0 offset:476
	buffer_load_dword v163, off, s[0:3], 0 offset:488
	buffer_load_dword v165, off, s[0:3], 0 offset:480
	buffer_load_dword v161, off, s[0:3], 0 offset:472
	buffer_load_dword v158, off, s[0:3], 0 offset:452
	ds_read_b128 v[125:128], v124 offset:992
	s_clause 0x2
	buffer_load_dword v164, off, s[0:3], 0 offset:492
	buffer_load_dword v168, off, s[0:3], 0 offset:468
	;; [unrolled: 1-line block ×3, first 2 shown]
	ds_read_b128 v[129:132], v124 offset:1008
	s_clause 0x4
	buffer_load_dword v172, off, s[0:3], 0 offset:508
	buffer_load_dword v173, off, s[0:3], 0 offset:520
	;; [unrolled: 1-line block ×5, first 2 shown]
	ds_read_b128 v[133:136], v124 offset:1024
	s_mov_b32 s4, exec_lo
	s_waitcnt vmcnt(62) lgkmcnt(2)
	v_mul_f64 v[169:170], v[127:128], v[104:105]
	v_mul_f64 v[104:105], v[125:126], v[104:105]
	s_waitcnt vmcnt(60) lgkmcnt(1)
	v_mul_f64 v[176:177], v[131:132], v[5:6]
	v_mul_f64 v[5:6], v[129:130], v[5:6]
	;; [unrolled: 3-line block ×3, first 2 shown]
	v_fma_f64 v[125:126], v[125:126], v[102:103], -v[169:170]
	v_fma_f64 v[127:128], v[127:128], v[102:103], v[104:105]
	s_clause 0x2
	buffer_load_dword v174, off, s[0:3], 0 offset:524
	buffer_load_dword v170, off, s[0:3], 0 offset:500
	;; [unrolled: 1-line block ×3, first 2 shown]
	s_waitcnt vmcnt(57)
	v_fma_f64 v[129:130], v[129:130], v[1:2], -v[176:177]
	ds_read_b128 v[102:105], v124 offset:1040
	v_fma_f64 v[5:6], v[131:132], v[1:2], v[5:6]
	s_clause 0x4
	buffer_load_dword v132, off, s[0:3], 0 offset:540
	buffer_load_dword v177, off, s[0:3], 0 offset:552
	;; [unrolled: 1-line block ×5, first 2 shown]
	s_waitcnt vmcnt(56)
	v_fma_f64 v[133:134], v[133:134], v[120:121], -v[180:181]
	ds_read_b128 v[1:4], v124 offset:1056
	v_fma_f64 v[120:121], v[135:136], v[120:121], v[178:179]
	s_clause 0x2
	buffer_load_dword v178, off, s[0:3], 0 offset:556
	buffer_load_dword v136, off, s[0:3], 0 offset:532
	;; [unrolled: 1-line block ×3, first 2 shown]
	v_add_f64 v[125:126], v[125:126], 0
	v_add_f64 v[127:128], v[127:128], 0
	s_waitcnt lgkmcnt(1)
	v_mul_f64 v[183:184], v[102:103], v[108:109]
	v_mul_f64 v[108:109], v[104:105], v[108:109]
	s_waitcnt vmcnt(58) lgkmcnt(0)
	v_mul_f64 v[179:180], v[1:2], v[112:113]
	v_mul_f64 v[112:113], v[3:4], v[112:113]
	v_add_f64 v[129:130], v[125:126], v[129:130]
	v_add_f64 v[5:6], v[127:128], v[5:6]
	ds_read_b128 v[125:128], v124 offset:1072
	s_waitcnt vmcnt(56)
	v_fma_f64 v[108:109], v[102:103], v[114:115], -v[108:109]
	v_fma_f64 v[114:115], v[104:105], v[114:115], v[183:184]
	s_waitcnt vmcnt(51)
	v_fma_f64 v[112:113], v[1:2], v[106:107], -v[112:113]
	v_fma_f64 v[106:107], v[3:4], v[106:107], v[179:180]
	s_waitcnt lgkmcnt(0)
	v_mul_f64 v[185:186], v[125:126], v[116:117]
	v_add_f64 v[129:130], v[129:130], v[133:134]
	v_add_f64 v[5:6], v[5:6], v[120:121]
	s_clause 0x4
	buffer_load_dword v121, off, s[0:3], 0 offset:572
	buffer_load_dword v133, off, s[0:3], 0 offset:584
	;; [unrolled: 1-line block ×5, first 2 shown]
	v_mul_f64 v[116:117], v[127:128], v[116:117]
	ds_read_b128 v[102:105], v124 offset:1088
	v_add_f64 v[108:109], v[129:130], v[108:109]
	v_add_f64 v[5:6], v[5:6], v[114:115]
	s_clause 0x2
	buffer_load_dword v134, off, s[0:3], 0 offset:588
	buffer_load_dword v115, off, s[0:3], 0 offset:564
	;; [unrolled: 1-line block ×3, first 2 shown]
	s_waitcnt vmcnt(58) lgkmcnt(0)
	v_mul_f64 v[129:130], v[102:103], v[122:123]
	v_mul_f64 v[122:123], v[104:105], v[122:123]
	s_waitcnt vmcnt(56)
	v_fma_f64 v[116:117], v[125:126], v[137:138], -v[116:117]
	ds_read_b128 v[1:4], v124 offset:1104
	v_fma_f64 v[125:126], v[127:128], v[137:138], v[185:186]
	s_clause 0x4
	buffer_load_dword v128, off, s[0:3], 0 offset:604
	buffer_load_dword v137, off, s[0:3], 0 offset:616
	;; [unrolled: 1-line block ×5, first 2 shown]
	v_add_f64 v[112:113], v[108:109], v[112:113]
	v_add_f64 v[5:6], v[5:6], v[106:107]
	ds_read_b128 v[106:109], v124 offset:1120
	s_waitcnt vmcnt(57) lgkmcnt(1)
	v_mul_f64 v[180:181], v[1:2], v[139:140]
	v_mul_f64 v[139:140], v[3:4], v[139:140]
	s_waitcnt vmcnt(56)
	v_fma_f64 v[122:123], v[102:103], v[110:111], -v[122:123]
	v_fma_f64 v[110:111], v[104:105], v[110:111], v[129:130]
	s_waitcnt vmcnt(55) lgkmcnt(0)
	v_mul_f64 v[129:130], v[108:109], v[141:142]
	v_add_f64 v[112:113], v[112:113], v[116:117]
	v_add_f64 v[5:6], v[5:6], v[125:126]
	s_clause 0x2
	buffer_load_dword v138, off, s[0:3], 0 offset:620
	buffer_load_dword v117, off, s[0:3], 0 offset:596
	;; [unrolled: 1-line block ×3, first 2 shown]
	ds_read_b128 v[102:105], v124 offset:1136
	s_waitcnt vmcnt(56)
	v_fma_f64 v[139:140], v[1:2], v[143:144], -v[139:140]
	v_mul_f64 v[125:126], v[106:107], v[141:142]
	s_waitcnt vmcnt(51)
	v_fma_f64 v[129:130], v[106:107], v[118:119], -v[129:130]
	v_add_f64 v[112:113], v[112:113], v[122:123]
	v_fma_f64 v[122:123], v[3:4], v[143:144], v[180:181]
	v_add_f64 v[5:6], v[5:6], v[110:111]
	s_clause 0x4
	buffer_load_dword v111, off, s[0:3], 0 offset:636
	buffer_load_dword v141, off, s[0:3], 0 offset:648
	;; [unrolled: 1-line block ×5, first 2 shown]
	s_waitcnt lgkmcnt(0)
	v_mul_f64 v[186:187], v[102:103], v[145:146]
	v_mul_f64 v[144:145], v[104:105], v[145:146]
	ds_read_b128 v[1:4], v124 offset:1152
	v_fma_f64 v[118:119], v[108:109], v[118:119], v[125:126]
	v_add_f64 v[112:113], v[112:113], v[139:140]
	v_add_f64 v[5:6], v[5:6], v[122:123]
	s_clause 0x2
	buffer_load_dword v142, off, s[0:3], 0 offset:652
	buffer_load_dword v123, off, s[0:3], 0 offset:628
	;; [unrolled: 1-line block ×3, first 2 shown]
	s_waitcnt vmcnt(58) lgkmcnt(0)
	v_mul_f64 v[139:140], v[3:4], v[147:148]
	s_waitcnt vmcnt(56)
	v_fma_f64 v[145:146], v[102:103], v[151:152], -v[144:145]
	ds_read_b128 v[106:109], v124 offset:1168
	v_mul_f64 v[125:126], v[1:2], v[147:148]
	v_add_f64 v[112:113], v[112:113], v[129:130]
	v_fma_f64 v[129:130], v[104:105], v[151:152], v[186:187]
	v_add_f64 v[5:6], v[5:6], v[118:119]
	s_clause 0x4
	buffer_load_dword v119, off, s[0:3], 0 offset:668
	buffer_load_dword v147, off, s[0:3], 0 offset:680
	;; [unrolled: 1-line block ×5, first 2 shown]
	s_waitcnt vmcnt(57) lgkmcnt(0)
	v_mul_f64 v[186:187], v[106:107], v[153:154]
	v_mul_f64 v[152:153], v[108:109], v[153:154]
	s_waitcnt vmcnt(56)
	v_fma_f64 v[139:140], v[1:2], v[149:150], -v[139:140]
	ds_read_b128 v[102:105], v124 offset:1184
	v_fma_f64 v[125:126], v[3:4], v[149:150], v[125:126]
	v_add_f64 v[112:113], v[112:113], v[145:146]
	v_add_f64 v[5:6], v[5:6], v[129:130]
	s_clause 0x2
	buffer_load_dword v148, off, s[0:3], 0 offset:684
	buffer_load_dword v130, off, s[0:3], 0 offset:660
	;; [unrolled: 1-line block ×3, first 2 shown]
	ds_read_b128 v[1:4], v124 offset:1200
	s_waitcnt vmcnt(58) lgkmcnt(1)
	v_mul_f64 v[149:150], v[104:105], v[155:156]
	s_waitcnt vmcnt(56)
	v_fma_f64 v[153:154], v[106:107], v[159:160], -v[152:153]
	v_mul_f64 v[145:146], v[102:103], v[155:156]
	v_add_f64 v[112:113], v[112:113], v[139:140]
	v_fma_f64 v[139:140], v[108:109], v[159:160], v[186:187]
	v_add_f64 v[5:6], v[5:6], v[125:126]
	s_clause 0x4
	buffer_load_dword v126, off, s[0:3], 0 offset:700
	buffer_load_dword v155, off, s[0:3], 0 offset:712
	;; [unrolled: 1-line block ×5, first 2 shown]
	s_waitcnt vmcnt(57) lgkmcnt(0)
	v_mul_f64 v[186:187], v[1:2], v[161:162]
	v_mul_f64 v[160:161], v[3:4], v[161:162]
	s_waitcnt vmcnt(56)
	v_fma_f64 v[149:150], v[102:103], v[157:158], -v[149:150]
	ds_read_b128 v[106:109], v124 offset:1216
	v_fma_f64 v[145:146], v[104:105], v[157:158], v[145:146]
	v_add_f64 v[112:113], v[112:113], v[153:154]
	v_add_f64 v[5:6], v[5:6], v[139:140]
	s_clause 0x2
	buffer_load_dword v156, off, s[0:3], 0 offset:716
	buffer_load_dword v140, off, s[0:3], 0 offset:692
	;; [unrolled: 1-line block ×3, first 2 shown]
	ds_read_b128 v[102:105], v124 offset:1232
	s_waitcnt vmcnt(58) lgkmcnt(1)
	v_mul_f64 v[157:158], v[108:109], v[163:164]
	s_waitcnt vmcnt(56)
	v_fma_f64 v[161:162], v[1:2], v[167:168], -v[160:161]
	v_mul_f64 v[153:154], v[106:107], v[163:164]
	v_add_f64 v[112:113], v[112:113], v[149:150]
	v_fma_f64 v[149:150], v[3:4], v[167:168], v[186:187]
	v_add_f64 v[5:6], v[5:6], v[145:146]
	s_clause 0x4
	buffer_load_dword v146, off, s[0:3], 0 offset:732
	buffer_load_dword v163, off, s[0:3], 0 offset:744
	;; [unrolled: 1-line block ×5, first 2 shown]
	s_waitcnt vmcnt(57) lgkmcnt(0)
	v_mul_f64 v[186:187], v[102:103], v[171:172]
	v_mul_f64 v[171:172], v[104:105], v[171:172]
	s_waitcnt vmcnt(56)
	v_fma_f64 v[157:158], v[106:107], v[165:166], -v[157:158]
	ds_read_b128 v[1:4], v124 offset:1248
	v_fma_f64 v[153:154], v[108:109], v[165:166], v[153:154]
	v_add_f64 v[112:113], v[112:113], v[161:162]
	v_add_f64 v[5:6], v[5:6], v[149:150]
	s_clause 0x2
	buffer_load_dword v164, off, s[0:3], 0 offset:748
	buffer_load_dword v150, off, s[0:3], 0 offset:724
	;; [unrolled: 1-line block ×3, first 2 shown]
	ds_read_b128 v[106:109], v124 offset:1264
	s_waitcnt vmcnt(58) lgkmcnt(1)
	v_mul_f64 v[165:166], v[3:4], v[173:174]
	v_mul_f64 v[161:162], v[1:2], v[173:174]
	s_waitcnt vmcnt(56)
	v_fma_f64 v[171:172], v[102:103], v[169:170], -v[171:172]
	v_add_f64 v[112:113], v[112:113], v[157:158]
	v_fma_f64 v[157:158], v[104:105], v[169:170], v[186:187]
	v_add_f64 v[5:6], v[5:6], v[153:154]
	s_clause 0x2
	buffer_load_dword v154, off, s[0:3], 0 offset:764
	buffer_load_dword v153, off, s[0:3], 0 offset:760
	;; [unrolled: 1-line block ×3, first 2 shown]
	s_waitcnt vmcnt(55) lgkmcnt(0)
	v_mul_f64 v[169:170], v[106:107], v[131:132]
	v_mul_f64 v[131:132], v[108:109], v[131:132]
	ds_read_b128 v[102:105], v124 offset:1280
	s_waitcnt vmcnt(54)
	v_fma_f64 v[165:166], v[1:2], v[175:176], -v[165:166]
	v_fma_f64 v[161:162], v[3:4], v[175:176], v[161:162]
	v_add_f64 v[112:113], v[112:113], v[171:172]
	v_add_f64 v[5:6], v[5:6], v[157:158]
	s_clause 0x1
	buffer_load_dword v158, off, s[0:3], 0 offset:756
	buffer_load_dword v157, off, s[0:3], 0 offset:752
	s_waitcnt vmcnt(55) lgkmcnt(0)
	v_mul_f64 v[173:174], v[104:105], v[177:178]
	s_waitcnt vmcnt(53)
	v_fma_f64 v[131:132], v[106:107], v[135:136], -v[131:132]
	ds_read_b128 v[1:4], v124 offset:1296
	v_mul_f64 v[171:172], v[102:103], v[177:178]
	v_fma_f64 v[135:136], v[108:109], v[135:136], v[169:170]
	ds_read_b128 v[106:109], v124 offset:1312
	v_add_f64 v[112:113], v[112:113], v[165:166]
	v_add_f64 v[5:6], v[5:6], v[161:162]
	s_waitcnt vmcnt(49) lgkmcnt(1)
	v_mul_f64 v[161:162], v[1:2], v[120:121]
	v_mul_f64 v[120:121], v[3:4], v[120:121]
	s_waitcnt vmcnt(48)
	v_fma_f64 v[165:166], v[102:103], v[182:183], -v[173:174]
	v_add_f64 v[112:113], v[112:113], v[131:132]
	v_fma_f64 v[131:132], v[104:105], v[182:183], v[171:172]
	v_add_f64 v[5:6], v[5:6], v[135:136]
	s_clause 0x3
	buffer_load_dword v135, off, s[0:3], 0 offset:240
	buffer_load_dword v136, off, s[0:3], 0 offset:244
	;; [unrolled: 1-line block ×4, first 2 shown]
	ds_read_b128 v[102:105], v124 offset:1328
	s_waitcnt vmcnt(51) lgkmcnt(1)
	v_mul_f64 v[171:172], v[106:107], v[133:134]
	v_mul_f64 v[133:134], v[108:109], v[133:134]
	s_waitcnt vmcnt(49)
	v_fma_f64 v[120:121], v[1:2], v[114:115], -v[120:121]
	v_fma_f64 v[114:115], v[3:4], v[114:115], v[161:162]
	ds_read_b128 v[1:4], v124 offset:1344
	v_add_f64 v[112:113], v[112:113], v[165:166]
	v_add_f64 v[5:6], v[5:6], v[131:132]
	s_waitcnt vmcnt(45) lgkmcnt(1)
	v_mul_f64 v[131:132], v[102:103], v[127:128]
	v_mul_f64 v[127:128], v[104:105], v[127:128]
	s_waitcnt vmcnt(44)
	v_fma_f64 v[133:134], v[106:107], v[184:185], -v[133:134]
	v_add_f64 v[112:113], v[112:113], v[120:121]
	v_fma_f64 v[120:121], v[108:109], v[184:185], v[171:172]
	v_add_f64 v[5:6], v[5:6], v[114:115]
	ds_read_b128 v[106:109], v124 offset:1360
	s_waitcnt vmcnt(43) lgkmcnt(1)
	v_mul_f64 v[114:115], v[1:2], v[137:138]
	v_mul_f64 v[137:138], v[3:4], v[137:138]
	s_waitcnt vmcnt(41)
	v_fma_f64 v[127:128], v[102:103], v[116:117], -v[127:128]
	v_fma_f64 v[116:117], v[104:105], v[116:117], v[131:132]
	ds_read_b128 v[102:105], v124 offset:1376
	v_add_f64 v[112:113], v[112:113], v[133:134]
	v_add_f64 v[5:6], v[5:6], v[120:121]
	s_waitcnt vmcnt(37) lgkmcnt(1)
	v_mul_f64 v[120:121], v[106:107], v[110:111]
	v_mul_f64 v[110:111], v[108:109], v[110:111]
	s_waitcnt vmcnt(36)
	v_fma_f64 v[131:132], v[1:2], v[179:180], -v[137:138]
	v_fma_f64 v[114:115], v[3:4], v[179:180], v[114:115]
	ds_read_b128 v[1:4], v124 offset:1392
	v_add_f64 v[112:113], v[112:113], v[127:128]
	v_add_f64 v[5:6], v[5:6], v[116:117]
	;; [unrolled: 9-line block ×3, first 2 shown]
	s_waitcnt vmcnt(29) lgkmcnt(1)
	v_mul_f64 v[114:115], v[1:2], v[118:119]
	v_mul_f64 v[118:119], v[3:4], v[118:119]
	s_waitcnt vmcnt(28)
	v_fma_f64 v[122:123], v[102:103], v[143:144], -v[127:128]
	v_add_f64 v[110:111], v[112:113], v[110:111]
	v_fma_f64 v[112:113], v[104:105], v[143:144], v[116:117]
	v_add_f64 v[5:6], v[5:6], v[120:121]
	ds_read_b128 v[102:105], v124 offset:1424
	s_waitcnt vmcnt(27) lgkmcnt(1)
	v_mul_f64 v[120:121], v[108:109], v[147:148]
	v_mul_f64 v[116:117], v[106:107], v[147:148]
	s_waitcnt vmcnt(25)
	v_fma_f64 v[118:119], v[1:2], v[129:130], -v[118:119]
	v_fma_f64 v[114:115], v[3:4], v[129:130], v[114:115]
	ds_read_b128 v[1:4], v124 offset:1440
	v_add_f64 v[110:111], v[110:111], v[122:123]
	v_add_f64 v[5:6], v[5:6], v[112:113]
	s_waitcnt vmcnt(21) lgkmcnt(1)
	v_mul_f64 v[122:123], v[104:105], v[125:126]
	s_waitcnt vmcnt(20)
	v_fma_f64 v[120:121], v[106:107], v[151:152], -v[120:121]
	v_mul_f64 v[112:113], v[102:103], v[125:126]
	v_fma_f64 v[116:117], v[108:109], v[151:152], v[116:117]
	ds_read_b128 v[106:109], v124 offset:1456
	v_add_f64 v[110:111], v[110:111], v[118:119]
	v_add_f64 v[5:6], v[5:6], v[114:115]
	s_waitcnt vmcnt(19) lgkmcnt(1)
	v_mul_f64 v[118:119], v[3:4], v[155:156]
	v_mul_f64 v[114:115], v[1:2], v[155:156]
	s_waitcnt vmcnt(17)
	v_fma_f64 v[122:123], v[102:103], v[139:140], -v[122:123]
	v_fma_f64 v[112:113], v[104:105], v[139:140], v[112:113]
	ds_read_b128 v[102:105], v124 offset:1472
	v_add_f64 v[110:111], v[110:111], v[120:121]
	v_add_f64 v[5:6], v[5:6], v[116:117]
	s_waitcnt vmcnt(13) lgkmcnt(1)
	v_mul_f64 v[120:121], v[108:109], v[145:146]
	s_waitcnt vmcnt(12)
	v_fma_f64 v[118:119], v[1:2], v[159:160], -v[118:119]
	v_mul_f64 v[116:117], v[106:107], v[145:146]
	v_fma_f64 v[114:115], v[3:4], v[159:160], v[114:115]
	ds_read_b128 v[1:4], v124 offset:1488
	v_add_f64 v[110:111], v[110:111], v[122:123]
	v_add_f64 v[5:6], v[5:6], v[112:113]
	s_waitcnt vmcnt(11) lgkmcnt(1)
	v_mul_f64 v[122:123], v[104:105], v[163:164]
	v_mul_f64 v[112:113], v[102:103], v[163:164]
	s_waitcnt vmcnt(9)
	v_fma_f64 v[106:107], v[106:107], v[149:150], -v[120:121]
	v_fma_f64 v[108:109], v[108:109], v[149:150], v[116:117]
	v_add_f64 v[110:111], v[110:111], v[118:119]
	v_add_f64 v[5:6], v[5:6], v[114:115]
	s_waitcnt vmcnt(7) lgkmcnt(0)
	v_mul_f64 v[116:117], v[3:4], v[153:154]
	s_waitcnt vmcnt(6)
	v_fma_f64 v[102:103], v[102:103], v[167:168], -v[122:123]
	v_mul_f64 v[114:115], v[1:2], v[153:154]
	v_fma_f64 v[104:105], v[104:105], v[167:168], v[112:113]
	v_add_f64 v[106:107], v[110:111], v[106:107]
	v_add_f64 v[5:6], v[5:6], v[108:109]
	s_waitcnt vmcnt(4)
	v_fma_f64 v[1:2], v[1:2], v[157:158], -v[116:117]
	v_fma_f64 v[3:4], v[3:4], v[157:158], v[114:115]
	v_add_f64 v[102:103], v[106:107], v[102:103]
	v_add_f64 v[5:6], v[5:6], v[104:105]
	;; [unrolled: 1-line block ×4, first 2 shown]
	s_waitcnt vmcnt(2)
	v_add_f64 v[1:2], v[135:136], -v[1:2]
	s_waitcnt vmcnt(0)
	v_add_f64 v[3:4], v[169:170], -v[3:4]
	buffer_store_dword v2, off, s[0:3], 0 offset:244
	buffer_store_dword v1, off, s[0:3], 0 offset:240
	;; [unrolled: 1-line block ×4, first 2 shown]
	v_cmpx_lt_u32_e32 13, v0
	s_cbranch_execz .LBB110_269
; %bb.268:
	v_mov_b32_e32 v4, s46
	v_mov_b32_e32 v5, 0
	s_clause 0x3
	buffer_load_dword v1, v4, s[0:3], 0 offen
	buffer_load_dword v2, v4, s[0:3], 0 offen offset:4
	buffer_load_dword v3, v4, s[0:3], 0 offen offset:8
	;; [unrolled: 1-line block ×3, first 2 shown]
	buffer_store_dword v5, off, s[0:3], 0 offset:224
	buffer_store_dword v5, off, s[0:3], 0 offset:228
	;; [unrolled: 1-line block ×4, first 2 shown]
	s_waitcnt vmcnt(0)
	ds_write_b128 v7, v[1:4]
.LBB110_269:
	s_or_b32 exec_lo, exec_lo, s4
	s_waitcnt lgkmcnt(0)
	s_waitcnt_vscnt null, 0x0
	s_barrier
	buffer_gl0_inv
	s_clause 0x37
	buffer_load_dword v104, off, s[0:3], 0 offset:248
	buffer_load_dword v105, off, s[0:3], 0 offset:252
	;; [unrolled: 1-line block ×56, first 2 shown]
	v_mov_b32_e32 v146, 0
	s_mov_b32 s4, exec_lo
	ds_read_b128 v[134:137], v146 offset:976
	s_clause 0x2
	buffer_load_dword v164, off, s[0:3], 0 offset:476
	buffer_load_dword v168, off, s[0:3], 0 offset:452
	buffer_load_dword v167, off, s[0:3], 0 offset:448
	ds_read_b128 v[138:141], v146 offset:992
	s_clause 0x4
	buffer_load_dword v172, off, s[0:3], 0 offset:492
	buffer_load_dword v173, off, s[0:3], 0 offset:504
	;; [unrolled: 1-line block ×5, first 2 shown]
	ds_read_b128 v[142:145], v146 offset:1008
	s_waitcnt vmcnt(62) lgkmcnt(2)
	v_mul_f64 v[169:170], v[136:137], v[104:105]
	v_mul_f64 v[104:105], v[134:135], v[104:105]
	s_waitcnt vmcnt(60) lgkmcnt(1)
	v_mul_f64 v[176:177], v[140:141], v[5:6]
	v_mul_f64 v[5:6], v[138:139], v[5:6]
	;; [unrolled: 3-line block ×3, first 2 shown]
	v_fma_f64 v[134:135], v[134:135], v[102:103], -v[169:170]
	v_fma_f64 v[136:137], v[136:137], v[102:103], v[104:105]
	s_clause 0x2
	buffer_load_dword v174, off, s[0:3], 0 offset:508
	buffer_load_dword v170, off, s[0:3], 0 offset:484
	;; [unrolled: 1-line block ×3, first 2 shown]
	s_waitcnt vmcnt(57)
	v_fma_f64 v[138:139], v[138:139], v[1:2], -v[176:177]
	ds_read_b128 v[102:105], v146 offset:1024
	v_fma_f64 v[5:6], v[140:141], v[1:2], v[5:6]
	s_clause 0x4
	buffer_load_dword v141, off, s[0:3], 0 offset:524
	buffer_load_dword v177, off, s[0:3], 0 offset:536
	;; [unrolled: 1-line block ×5, first 2 shown]
	s_waitcnt vmcnt(56)
	v_fma_f64 v[142:143], v[142:143], v[120:121], -v[180:181]
	ds_read_b128 v[1:4], v146 offset:1040
	v_fma_f64 v[120:121], v[144:145], v[120:121], v[178:179]
	s_clause 0x2
	buffer_load_dword v178, off, s[0:3], 0 offset:540
	buffer_load_dword v145, off, s[0:3], 0 offset:516
	;; [unrolled: 1-line block ×3, first 2 shown]
	v_add_f64 v[134:135], v[134:135], 0
	v_add_f64 v[136:137], v[136:137], 0
	s_waitcnt lgkmcnt(1)
	v_mul_f64 v[183:184], v[102:103], v[108:109]
	v_mul_f64 v[108:109], v[104:105], v[108:109]
	s_waitcnt vmcnt(58) lgkmcnt(0)
	v_mul_f64 v[179:180], v[1:2], v[112:113]
	v_mul_f64 v[112:113], v[3:4], v[112:113]
	v_add_f64 v[138:139], v[134:135], v[138:139]
	v_add_f64 v[5:6], v[136:137], v[5:6]
	ds_read_b128 v[134:137], v146 offset:1056
	s_waitcnt vmcnt(56)
	v_fma_f64 v[108:109], v[102:103], v[114:115], -v[108:109]
	v_fma_f64 v[114:115], v[104:105], v[114:115], v[183:184]
	s_waitcnt vmcnt(51)
	v_fma_f64 v[112:113], v[1:2], v[106:107], -v[112:113]
	v_fma_f64 v[106:107], v[3:4], v[106:107], v[179:180]
	s_waitcnt lgkmcnt(0)
	v_mul_f64 v[185:186], v[134:135], v[116:117]
	v_add_f64 v[138:139], v[138:139], v[142:143]
	v_add_f64 v[5:6], v[5:6], v[120:121]
	s_clause 0x4
	buffer_load_dword v121, off, s[0:3], 0 offset:556
	buffer_load_dword v142, off, s[0:3], 0 offset:568
	buffer_load_dword v184, off, s[0:3], 0 offset:560
	buffer_load_dword v120, off, s[0:3], 0 offset:552
	buffer_load_dword v183, off, s[0:3], 0 offset:532
	v_mul_f64 v[116:117], v[136:137], v[116:117]
	ds_read_b128 v[102:105], v146 offset:1072
	v_add_f64 v[108:109], v[138:139], v[108:109]
	v_add_f64 v[5:6], v[5:6], v[114:115]
	s_clause 0x2
	buffer_load_dword v143, off, s[0:3], 0 offset:572
	buffer_load_dword v115, off, s[0:3], 0 offset:548
	;; [unrolled: 1-line block ×3, first 2 shown]
	s_waitcnt vmcnt(58) lgkmcnt(0)
	v_mul_f64 v[138:139], v[102:103], v[122:123]
	v_mul_f64 v[122:123], v[104:105], v[122:123]
	s_waitcnt vmcnt(56)
	v_fma_f64 v[116:117], v[134:135], v[124:125], -v[116:117]
	ds_read_b128 v[1:4], v146 offset:1088
	v_fma_f64 v[124:125], v[136:137], v[124:125], v[185:186]
	s_clause 0x4
	buffer_load_dword v135, off, s[0:3], 0 offset:588
	buffer_load_dword v136, off, s[0:3], 0 offset:600
	;; [unrolled: 1-line block ×5, first 2 shown]
	v_add_f64 v[112:113], v[108:109], v[112:113]
	v_add_f64 v[5:6], v[5:6], v[106:107]
	ds_read_b128 v[106:109], v146 offset:1104
	s_waitcnt vmcnt(57) lgkmcnt(1)
	v_mul_f64 v[180:181], v[1:2], v[126:127]
	v_mul_f64 v[126:127], v[3:4], v[126:127]
	s_waitcnt vmcnt(56)
	v_fma_f64 v[122:123], v[102:103], v[110:111], -v[122:123]
	v_fma_f64 v[110:111], v[104:105], v[110:111], v[138:139]
	v_add_f64 v[112:113], v[112:113], v[116:117]
	v_add_f64 v[5:6], v[5:6], v[124:125]
	s_clause 0x2
	buffer_load_dword v137, off, s[0:3], 0 offset:604
	buffer_load_dword v117, off, s[0:3], 0 offset:580
	buffer_load_dword v116, off, s[0:3], 0 offset:576
	s_waitcnt vmcnt(58) lgkmcnt(0)
	v_mul_f64 v[124:125], v[106:107], v[130:131]
	v_mul_f64 v[130:131], v[108:109], v[130:131]
	s_waitcnt vmcnt(56)
	v_fma_f64 v[126:127], v[1:2], v[132:133], -v[126:127]
	ds_read_b128 v[102:105], v146 offset:1120
	v_add_f64 v[112:113], v[112:113], v[122:123]
	v_fma_f64 v[122:123], v[3:4], v[132:133], v[180:181]
	v_add_f64 v[5:6], v[5:6], v[110:111]
	s_clause 0x4
	buffer_load_dword v111, off, s[0:3], 0 offset:620
	buffer_load_dword v132, off, s[0:3], 0 offset:632
	;; [unrolled: 1-line block ×5, first 2 shown]
	s_waitcnt vmcnt(57) lgkmcnt(0)
	v_mul_f64 v[186:187], v[102:103], v[147:148]
	v_mul_f64 v[147:148], v[104:105], v[147:148]
	s_waitcnt vmcnt(56)
	v_fma_f64 v[130:131], v[106:107], v[118:119], -v[130:131]
	ds_read_b128 v[1:4], v146 offset:1136
	v_fma_f64 v[118:119], v[108:109], v[118:119], v[124:125]
	v_add_f64 v[112:113], v[112:113], v[126:127]
	v_add_f64 v[5:6], v[5:6], v[122:123]
	s_clause 0x2
	buffer_load_dword v133, off, s[0:3], 0 offset:636
	buffer_load_dword v123, off, s[0:3], 0 offset:612
	;; [unrolled: 1-line block ×3, first 2 shown]
	ds_read_b128 v[106:109], v146 offset:1152
	s_waitcnt vmcnt(58) lgkmcnt(1)
	v_mul_f64 v[126:127], v[3:4], v[149:150]
	s_waitcnt vmcnt(56)
	v_fma_f64 v[147:148], v[102:103], v[151:152], -v[147:148]
	v_mul_f64 v[124:125], v[1:2], v[149:150]
	v_add_f64 v[112:113], v[112:113], v[130:131]
	v_fma_f64 v[130:131], v[104:105], v[151:152], v[186:187]
	v_add_f64 v[5:6], v[5:6], v[118:119]
	s_clause 0x4
	buffer_load_dword v119, off, s[0:3], 0 offset:652
	buffer_load_dword v149, off, s[0:3], 0 offset:664
	;; [unrolled: 1-line block ×5, first 2 shown]
	s_waitcnt vmcnt(57) lgkmcnt(0)
	v_mul_f64 v[186:187], v[106:107], v[153:154]
	v_mul_f64 v[152:153], v[108:109], v[153:154]
	s_waitcnt vmcnt(56)
	v_fma_f64 v[126:127], v[1:2], v[128:129], -v[126:127]
	ds_read_b128 v[102:105], v146 offset:1168
	v_fma_f64 v[124:125], v[3:4], v[128:129], v[124:125]
	s_clause 0x2
	buffer_load_dword v150, off, s[0:3], 0 offset:668
	buffer_load_dword v129, off, s[0:3], 0 offset:644
	;; [unrolled: 1-line block ×3, first 2 shown]
	ds_read_b128 v[1:4], v146 offset:1184
	v_add_f64 v[112:113], v[112:113], v[147:148]
	v_add_f64 v[5:6], v[5:6], v[130:131]
	s_waitcnt vmcnt(58) lgkmcnt(1)
	v_mul_f64 v[147:148], v[104:105], v[155:156]
	s_waitcnt vmcnt(56)
	v_fma_f64 v[153:154], v[106:107], v[159:160], -v[152:153]
	v_mul_f64 v[130:131], v[102:103], v[155:156]
	v_add_f64 v[112:113], v[112:113], v[126:127]
	v_fma_f64 v[126:127], v[108:109], v[159:160], v[186:187]
	v_add_f64 v[5:6], v[5:6], v[124:125]
	s_clause 0x4
	buffer_load_dword v125, off, s[0:3], 0 offset:684
	buffer_load_dword v155, off, s[0:3], 0 offset:696
	;; [unrolled: 1-line block ×5, first 2 shown]
	s_waitcnt vmcnt(57) lgkmcnt(0)
	v_mul_f64 v[186:187], v[1:2], v[161:162]
	v_mul_f64 v[160:161], v[3:4], v[161:162]
	s_waitcnt vmcnt(56)
	v_fma_f64 v[147:148], v[102:103], v[157:158], -v[147:148]
	ds_read_b128 v[106:109], v146 offset:1200
	v_fma_f64 v[130:131], v[104:105], v[157:158], v[130:131]
	v_add_f64 v[112:113], v[112:113], v[153:154]
	v_add_f64 v[5:6], v[5:6], v[126:127]
	s_clause 0x2
	buffer_load_dword v156, off, s[0:3], 0 offset:700
	buffer_load_dword v127, off, s[0:3], 0 offset:676
	;; [unrolled: 1-line block ×3, first 2 shown]
	ds_read_b128 v[102:105], v146 offset:1216
	s_waitcnt vmcnt(58) lgkmcnt(1)
	v_mul_f64 v[157:158], v[108:109], v[163:164]
	s_waitcnt vmcnt(56)
	v_fma_f64 v[161:162], v[1:2], v[167:168], -v[160:161]
	v_mul_f64 v[153:154], v[106:107], v[163:164]
	v_add_f64 v[112:113], v[112:113], v[147:148]
	v_fma_f64 v[147:148], v[3:4], v[167:168], v[186:187]
	v_add_f64 v[5:6], v[5:6], v[130:131]
	s_clause 0x4
	buffer_load_dword v131, off, s[0:3], 0 offset:716
	buffer_load_dword v163, off, s[0:3], 0 offset:728
	;; [unrolled: 1-line block ×5, first 2 shown]
	s_waitcnt vmcnt(57) lgkmcnt(0)
	v_mul_f64 v[186:187], v[102:103], v[171:172]
	v_mul_f64 v[171:172], v[104:105], v[171:172]
	s_waitcnt vmcnt(56)
	v_fma_f64 v[157:158], v[106:107], v[165:166], -v[157:158]
	ds_read_b128 v[1:4], v146 offset:1232
	v_fma_f64 v[153:154], v[108:109], v[165:166], v[153:154]
	v_add_f64 v[112:113], v[112:113], v[161:162]
	v_add_f64 v[5:6], v[5:6], v[147:148]
	s_clause 0x2
	buffer_load_dword v164, off, s[0:3], 0 offset:732
	buffer_load_dword v148, off, s[0:3], 0 offset:708
	;; [unrolled: 1-line block ×3, first 2 shown]
	ds_read_b128 v[106:109], v146 offset:1248
	s_waitcnt vmcnt(58) lgkmcnt(1)
	v_mul_f64 v[165:166], v[3:4], v[173:174]
	v_mul_f64 v[161:162], v[1:2], v[173:174]
	s_waitcnt vmcnt(56)
	v_fma_f64 v[171:172], v[102:103], v[169:170], -v[171:172]
	v_add_f64 v[112:113], v[112:113], v[157:158]
	v_fma_f64 v[157:158], v[104:105], v[169:170], v[186:187]
	v_add_f64 v[5:6], v[5:6], v[153:154]
	s_clause 0x4
	buffer_load_dword v154, off, s[0:3], 0 offset:748
	buffer_load_dword v169, off, s[0:3], 0 offset:760
	;; [unrolled: 1-line block ×5, first 2 shown]
	s_waitcnt vmcnt(57) lgkmcnt(0)
	v_mul_f64 v[186:187], v[106:107], v[140:141]
	v_mul_f64 v[140:141], v[108:109], v[140:141]
	ds_read_b128 v[102:105], v146 offset:1264
	s_waitcnt vmcnt(56)
	v_fma_f64 v[165:166], v[1:2], v[175:176], -v[165:166]
	v_fma_f64 v[161:162], v[3:4], v[175:176], v[161:162]
	v_add_f64 v[112:113], v[112:113], v[171:172]
	v_add_f64 v[5:6], v[5:6], v[157:158]
	s_clause 0x2
	buffer_load_dword v170, off, s[0:3], 0 offset:764
	buffer_load_dword v158, off, s[0:3], 0 offset:740
	;; [unrolled: 1-line block ×3, first 2 shown]
	s_waitcnt vmcnt(58) lgkmcnt(0)
	v_mul_f64 v[175:176], v[104:105], v[177:178]
	s_waitcnt vmcnt(56)
	v_fma_f64 v[140:141], v[106:107], v[144:145], -v[140:141]
	ds_read_b128 v[1:4], v146 offset:1280
	v_mul_f64 v[171:172], v[102:103], v[177:178]
	v_fma_f64 v[144:145], v[108:109], v[144:145], v[186:187]
	buffer_load_dword v174, off, s[0:3], 0 offset:756
	ds_read_b128 v[106:109], v146 offset:1296
	v_add_f64 v[112:113], v[112:113], v[165:166]
	v_add_f64 v[5:6], v[5:6], v[161:162]
	s_waitcnt vmcnt(53) lgkmcnt(1)
	v_mul_f64 v[161:162], v[1:2], v[120:121]
	v_mul_f64 v[120:121], v[3:4], v[120:121]
	s_waitcnt vmcnt(52)
	v_fma_f64 v[165:166], v[102:103], v[182:183], -v[175:176]
	v_add_f64 v[112:113], v[112:113], v[140:141]
	v_fma_f64 v[140:141], v[104:105], v[182:183], v[171:172]
	v_add_f64 v[5:6], v[5:6], v[144:145]
	ds_read_b128 v[102:105], v146 offset:1312
	s_waitcnt vmcnt(51) lgkmcnt(1)
	v_mul_f64 v[144:145], v[106:107], v[142:143]
	v_mul_f64 v[142:143], v[108:109], v[142:143]
	s_waitcnt vmcnt(49)
	v_fma_f64 v[120:121], v[1:2], v[114:115], -v[120:121]
	v_fma_f64 v[114:115], v[3:4], v[114:115], v[161:162]
	v_add_f64 v[112:113], v[112:113], v[165:166]
	s_waitcnt vmcnt(45) lgkmcnt(0)
	v_mul_f64 v[165:166], v[102:103], v[134:135]
	v_add_f64 v[5:6], v[5:6], v[140:141]
	s_clause 0x3
	buffer_load_dword v140, off, s[0:3], 0 offset:224
	buffer_load_dword v141, off, s[0:3], 0 offset:228
	;; [unrolled: 1-line block ×4, first 2 shown]
	v_mul_f64 v[134:135], v[104:105], v[134:135]
	ds_read_b128 v[1:4], v146 offset:1328
	s_waitcnt vmcnt(48)
	v_fma_f64 v[142:143], v[106:107], v[184:185], -v[142:143]
	v_add_f64 v[112:113], v[112:113], v[120:121]
	v_fma_f64 v[120:121], v[108:109], v[184:185], v[144:145]
	v_add_f64 v[5:6], v[5:6], v[114:115]
	ds_read_b128 v[106:109], v146 offset:1344
	s_waitcnt vmcnt(47) lgkmcnt(1)
	v_mul_f64 v[114:115], v[1:2], v[136:137]
	v_mul_f64 v[136:137], v[3:4], v[136:137]
	s_waitcnt vmcnt(45)
	v_fma_f64 v[134:135], v[102:103], v[116:117], -v[134:135]
	v_fma_f64 v[116:117], v[104:105], v[116:117], v[165:166]
	ds_read_b128 v[102:105], v146 offset:1360
	v_add_f64 v[112:113], v[112:113], v[142:143]
	v_add_f64 v[5:6], v[5:6], v[120:121]
	s_waitcnt vmcnt(41) lgkmcnt(1)
	v_mul_f64 v[120:121], v[106:107], v[110:111]
	v_mul_f64 v[110:111], v[108:109], v[110:111]
	s_waitcnt vmcnt(40)
	v_fma_f64 v[136:137], v[1:2], v[179:180], -v[136:137]
	v_fma_f64 v[114:115], v[3:4], v[179:180], v[114:115]
	ds_read_b128 v[1:4], v146 offset:1376
	v_add_f64 v[112:113], v[112:113], v[134:135]
	v_add_f64 v[5:6], v[5:6], v[116:117]
	s_waitcnt vmcnt(39) lgkmcnt(1)
	v_mul_f64 v[116:117], v[102:103], v[132:133]
	v_mul_f64 v[132:133], v[104:105], v[132:133]
	s_waitcnt vmcnt(37)
	v_fma_f64 v[110:111], v[106:107], v[122:123], -v[110:111]
	v_fma_f64 v[120:121], v[108:109], v[122:123], v[120:121]
	ds_read_b128 v[106:109], v146 offset:1392
	v_add_f64 v[112:113], v[112:113], v[136:137]
	v_add_f64 v[5:6], v[5:6], v[114:115]
	s_waitcnt vmcnt(33) lgkmcnt(1)
	v_mul_f64 v[114:115], v[1:2], v[118:119]
	v_mul_f64 v[118:119], v[3:4], v[118:119]
	s_waitcnt vmcnt(32)
	v_fma_f64 v[122:123], v[102:103], v[138:139], -v[132:133]
	v_add_f64 v[110:111], v[112:113], v[110:111]
	v_fma_f64 v[112:113], v[104:105], v[138:139], v[116:117]
	v_add_f64 v[5:6], v[5:6], v[120:121]
	ds_read_b128 v[102:105], v146 offset:1408
	s_waitcnt vmcnt(31) lgkmcnt(1)
	v_mul_f64 v[120:121], v[108:109], v[149:150]
	v_mul_f64 v[116:117], v[106:107], v[149:150]
	s_waitcnt vmcnt(29)
	v_fma_f64 v[114:115], v[3:4], v[128:129], v[114:115]
	v_fma_f64 v[118:119], v[1:2], v[128:129], -v[118:119]
	ds_read_b128 v[1:4], v146 offset:1424
	v_add_f64 v[110:111], v[110:111], v[122:123]
	v_add_f64 v[5:6], v[5:6], v[112:113]
	s_waitcnt vmcnt(25) lgkmcnt(1)
	v_mul_f64 v[122:123], v[104:105], v[124:125]
	s_waitcnt vmcnt(24)
	v_fma_f64 v[120:121], v[106:107], v[151:152], -v[120:121]
	v_mul_f64 v[112:113], v[102:103], v[124:125]
	v_fma_f64 v[116:117], v[108:109], v[151:152], v[116:117]
	ds_read_b128 v[106:109], v146 offset:1440
	v_add_f64 v[110:111], v[110:111], v[118:119]
	v_add_f64 v[5:6], v[5:6], v[114:115]
	s_waitcnt vmcnt(23) lgkmcnt(1)
	v_mul_f64 v[118:119], v[3:4], v[155:156]
	v_mul_f64 v[114:115], v[1:2], v[155:156]
	s_waitcnt vmcnt(21)
	v_fma_f64 v[122:123], v[102:103], v[126:127], -v[122:123]
	v_fma_f64 v[112:113], v[104:105], v[126:127], v[112:113]
	ds_read_b128 v[102:105], v146 offset:1456
	v_add_f64 v[110:111], v[110:111], v[120:121]
	v_add_f64 v[5:6], v[5:6], v[116:117]
	s_waitcnt vmcnt(17) lgkmcnt(1)
	v_mul_f64 v[120:121], v[108:109], v[130:131]
	s_waitcnt vmcnt(16)
	v_fma_f64 v[118:119], v[1:2], v[159:160], -v[118:119]
	v_mul_f64 v[116:117], v[106:107], v[130:131]
	v_fma_f64 v[114:115], v[3:4], v[159:160], v[114:115]
	ds_read_b128 v[1:4], v146 offset:1472
	v_add_f64 v[110:111], v[110:111], v[122:123]
	v_add_f64 v[5:6], v[5:6], v[112:113]
	s_waitcnt vmcnt(15) lgkmcnt(1)
	v_mul_f64 v[122:123], v[104:105], v[163:164]
	v_mul_f64 v[112:113], v[102:103], v[163:164]
	s_waitcnt vmcnt(13)
	v_fma_f64 v[120:121], v[106:107], v[147:148], -v[120:121]
	v_fma_f64 v[116:117], v[108:109], v[147:148], v[116:117]
	ds_read_b128 v[106:109], v146 offset:1488
	v_add_f64 v[110:111], v[110:111], v[118:119]
	v_add_f64 v[5:6], v[5:6], v[114:115]
	s_waitcnt vmcnt(9) lgkmcnt(1)
	v_mul_f64 v[118:119], v[3:4], v[153:154]
	s_waitcnt vmcnt(8)
	v_fma_f64 v[102:103], v[102:103], v[167:168], -v[122:123]
	v_mul_f64 v[114:115], v[1:2], v[153:154]
	v_fma_f64 v[104:105], v[104:105], v[167:168], v[112:113]
	v_add_f64 v[110:111], v[110:111], v[120:121]
	v_add_f64 v[5:6], v[5:6], v[116:117]
	s_waitcnt vmcnt(7) lgkmcnt(0)
	v_mul_f64 v[116:117], v[108:109], v[169:170]
	v_mul_f64 v[112:113], v[106:107], v[169:170]
	s_waitcnt vmcnt(5)
	v_fma_f64 v[1:2], v[1:2], v[157:158], -v[118:119]
	v_fma_f64 v[3:4], v[3:4], v[157:158], v[114:115]
	v_add_f64 v[102:103], v[110:111], v[102:103]
	v_add_f64 v[5:6], v[5:6], v[104:105]
	s_waitcnt vmcnt(4)
	v_fma_f64 v[104:105], v[106:107], v[173:174], -v[116:117]
	v_add_f64 v[1:2], v[102:103], v[1:2]
	v_fma_f64 v[102:103], v[108:109], v[173:174], v[112:113]
	v_add_f64 v[3:4], v[5:6], v[3:4]
	v_add_f64 v[1:2], v[1:2], v[104:105]
	;; [unrolled: 1-line block ×3, first 2 shown]
	s_waitcnt vmcnt(2)
	v_add_f64 v[1:2], v[140:141], -v[1:2]
	s_waitcnt vmcnt(0)
	v_add_f64 v[3:4], v[161:162], -v[3:4]
	buffer_store_dword v2, off, s[0:3], 0 offset:228
	buffer_store_dword v1, off, s[0:3], 0 offset:224
	;; [unrolled: 1-line block ×4, first 2 shown]
	v_cmpx_lt_u32_e32 12, v0
	s_cbranch_execz .LBB110_271
; %bb.270:
	v_mov_b32_e32 v4, s47
	s_clause 0x3
	buffer_load_dword v1, v4, s[0:3], 0 offen
	buffer_load_dword v2, v4, s[0:3], 0 offen offset:4
	buffer_load_dword v3, v4, s[0:3], 0 offen offset:8
	;; [unrolled: 1-line block ×3, first 2 shown]
	buffer_store_dword v146, off, s[0:3], 0 offset:208
	buffer_store_dword v146, off, s[0:3], 0 offset:212
	;; [unrolled: 1-line block ×4, first 2 shown]
	s_waitcnt vmcnt(0)
	ds_write_b128 v7, v[1:4]
.LBB110_271:
	s_or_b32 exec_lo, exec_lo, s4
	s_waitcnt lgkmcnt(0)
	s_waitcnt_vscnt null, 0x0
	s_barrier
	buffer_gl0_inv
	s_clause 0x37
	buffer_load_dword v104, off, s[0:3], 0 offset:232
	buffer_load_dword v105, off, s[0:3], 0 offset:236
	;; [unrolled: 1-line block ×56, first 2 shown]
	ds_read_b128 v[147:150], v146 offset:960
	s_clause 0x2
	buffer_load_dword v166, off, s[0:3], 0 offset:460
	buffer_load_dword v168, off, s[0:3], 0 offset:436
	;; [unrolled: 1-line block ×3, first 2 shown]
	ds_read_b128 v[151:154], v146 offset:976
	s_clause 0x4
	buffer_load_dword v172, off, s[0:3], 0 offset:476
	buffer_load_dword v173, off, s[0:3], 0 offset:488
	;; [unrolled: 1-line block ×5, first 2 shown]
	ds_read_b128 v[155:158], v146 offset:992
	s_mov_b32 s4, exec_lo
	s_waitcnt vmcnt(62) lgkmcnt(2)
	v_mul_f64 v[169:170], v[149:150], v[104:105]
	v_mul_f64 v[104:105], v[147:148], v[104:105]
	s_waitcnt vmcnt(60) lgkmcnt(1)
	v_mul_f64 v[176:177], v[153:154], v[5:6]
	v_mul_f64 v[5:6], v[151:152], v[5:6]
	;; [unrolled: 3-line block ×3, first 2 shown]
	v_fma_f64 v[147:148], v[147:148], v[102:103], -v[169:170]
	v_fma_f64 v[149:150], v[149:150], v[102:103], v[104:105]
	s_clause 0x2
	buffer_load_dword v174, off, s[0:3], 0 offset:492
	buffer_load_dword v170, off, s[0:3], 0 offset:468
	;; [unrolled: 1-line block ×3, first 2 shown]
	s_waitcnt vmcnt(57)
	v_fma_f64 v[151:152], v[151:152], v[1:2], -v[176:177]
	ds_read_b128 v[102:105], v146 offset:1008
	v_fma_f64 v[5:6], v[153:154], v[1:2], v[5:6]
	s_clause 0x4
	buffer_load_dword v154, off, s[0:3], 0 offset:508
	buffer_load_dword v177, off, s[0:3], 0 offset:520
	;; [unrolled: 1-line block ×5, first 2 shown]
	s_waitcnt vmcnt(56)
	v_fma_f64 v[155:156], v[155:156], v[120:121], -v[180:181]
	ds_read_b128 v[1:4], v146 offset:1024
	v_fma_f64 v[120:121], v[157:158], v[120:121], v[178:179]
	s_clause 0x2
	buffer_load_dword v178, off, s[0:3], 0 offset:524
	buffer_load_dword v158, off, s[0:3], 0 offset:500
	;; [unrolled: 1-line block ×3, first 2 shown]
	v_add_f64 v[147:148], v[147:148], 0
	v_add_f64 v[149:150], v[149:150], 0
	s_waitcnt lgkmcnt(1)
	v_mul_f64 v[183:184], v[102:103], v[108:109]
	v_mul_f64 v[108:109], v[104:105], v[108:109]
	s_waitcnt vmcnt(58) lgkmcnt(0)
	v_mul_f64 v[179:180], v[1:2], v[112:113]
	v_mul_f64 v[112:113], v[3:4], v[112:113]
	v_add_f64 v[151:152], v[147:148], v[151:152]
	v_add_f64 v[5:6], v[149:150], v[5:6]
	ds_read_b128 v[147:150], v146 offset:1040
	s_waitcnt vmcnt(56)
	v_fma_f64 v[108:109], v[102:103], v[114:115], -v[108:109]
	v_fma_f64 v[114:115], v[104:105], v[114:115], v[183:184]
	s_waitcnt vmcnt(51)
	v_fma_f64 v[112:113], v[1:2], v[106:107], -v[112:113]
	v_fma_f64 v[106:107], v[3:4], v[106:107], v[179:180]
	s_waitcnt lgkmcnt(0)
	v_mul_f64 v[185:186], v[147:148], v[116:117]
	v_add_f64 v[151:152], v[151:152], v[155:156]
	v_add_f64 v[5:6], v[5:6], v[120:121]
	s_clause 0x4
	buffer_load_dword v121, off, s[0:3], 0 offset:540
	buffer_load_dword v155, off, s[0:3], 0 offset:552
	;; [unrolled: 1-line block ×5, first 2 shown]
	v_mul_f64 v[116:117], v[149:150], v[116:117]
	ds_read_b128 v[102:105], v146 offset:1056
	v_add_f64 v[108:109], v[151:152], v[108:109]
	v_add_f64 v[5:6], v[5:6], v[114:115]
	s_clause 0x2
	buffer_load_dword v156, off, s[0:3], 0 offset:556
	buffer_load_dword v115, off, s[0:3], 0 offset:532
	;; [unrolled: 1-line block ×3, first 2 shown]
	s_waitcnt vmcnt(58) lgkmcnt(0)
	v_mul_f64 v[151:152], v[102:103], v[122:123]
	v_mul_f64 v[122:123], v[104:105], v[122:123]
	s_waitcnt vmcnt(56)
	v_fma_f64 v[116:117], v[147:148], v[124:125], -v[116:117]
	ds_read_b128 v[1:4], v146 offset:1072
	v_fma_f64 v[124:125], v[149:150], v[124:125], v[185:186]
	s_clause 0x4
	buffer_load_dword v148, off, s[0:3], 0 offset:572
	buffer_load_dword v149, off, s[0:3], 0 offset:584
	;; [unrolled: 1-line block ×5, first 2 shown]
	v_add_f64 v[112:113], v[108:109], v[112:113]
	v_add_f64 v[5:6], v[5:6], v[106:107]
	ds_read_b128 v[106:109], v146 offset:1088
	s_waitcnt vmcnt(57) lgkmcnt(1)
	v_mul_f64 v[180:181], v[1:2], v[126:127]
	v_mul_f64 v[126:127], v[3:4], v[126:127]
	s_waitcnt vmcnt(56)
	v_fma_f64 v[122:123], v[102:103], v[110:111], -v[122:123]
	v_fma_f64 v[110:111], v[104:105], v[110:111], v[151:152]
	v_add_f64 v[112:113], v[112:113], v[116:117]
	v_add_f64 v[5:6], v[5:6], v[124:125]
	s_clause 0x2
	buffer_load_dword v150, off, s[0:3], 0 offset:588
	buffer_load_dword v117, off, s[0:3], 0 offset:564
	;; [unrolled: 1-line block ×3, first 2 shown]
	s_waitcnt vmcnt(58) lgkmcnt(0)
	v_mul_f64 v[124:125], v[106:107], v[130:131]
	v_mul_f64 v[130:131], v[108:109], v[130:131]
	s_waitcnt vmcnt(56)
	v_fma_f64 v[126:127], v[1:2], v[132:133], -v[126:127]
	ds_read_b128 v[102:105], v146 offset:1104
	v_add_f64 v[112:113], v[112:113], v[122:123]
	v_fma_f64 v[122:123], v[3:4], v[132:133], v[180:181]
	v_add_f64 v[5:6], v[5:6], v[110:111]
	s_clause 0x4
	buffer_load_dword v111, off, s[0:3], 0 offset:604
	buffer_load_dword v132, off, s[0:3], 0 offset:616
	;; [unrolled: 1-line block ×5, first 2 shown]
	s_waitcnt vmcnt(57) lgkmcnt(0)
	v_mul_f64 v[186:187], v[102:103], v[134:135]
	v_mul_f64 v[134:135], v[104:105], v[134:135]
	s_waitcnt vmcnt(56)
	v_fma_f64 v[130:131], v[106:107], v[118:119], -v[130:131]
	ds_read_b128 v[1:4], v146 offset:1120
	v_fma_f64 v[118:119], v[108:109], v[118:119], v[124:125]
	v_add_f64 v[112:113], v[112:113], v[126:127]
	v_add_f64 v[5:6], v[5:6], v[122:123]
	s_clause 0x2
	buffer_load_dword v133, off, s[0:3], 0 offset:620
	buffer_load_dword v123, off, s[0:3], 0 offset:596
	buffer_load_dword v122, off, s[0:3], 0 offset:592
	ds_read_b128 v[106:109], v146 offset:1136
	s_waitcnt vmcnt(58) lgkmcnt(1)
	v_mul_f64 v[126:127], v[3:4], v[138:139]
	s_waitcnt vmcnt(56)
	v_fma_f64 v[134:135], v[102:103], v[140:141], -v[134:135]
	v_mul_f64 v[124:125], v[1:2], v[138:139]
	v_add_f64 v[112:113], v[112:113], v[130:131]
	v_fma_f64 v[130:131], v[104:105], v[140:141], v[186:187]
	v_add_f64 v[5:6], v[5:6], v[118:119]
	s_clause 0x4
	buffer_load_dword v119, off, s[0:3], 0 offset:636
	buffer_load_dword v138, off, s[0:3], 0 offset:648
	;; [unrolled: 1-line block ×5, first 2 shown]
	s_waitcnt vmcnt(57) lgkmcnt(0)
	v_mul_f64 v[186:187], v[106:107], v[142:143]
	v_mul_f64 v[141:142], v[108:109], v[142:143]
	s_waitcnt vmcnt(56)
	v_fma_f64 v[126:127], v[1:2], v[128:129], -v[126:127]
	ds_read_b128 v[102:105], v146 offset:1152
	v_fma_f64 v[124:125], v[3:4], v[128:129], v[124:125]
	s_clause 0x2
	buffer_load_dword v139, off, s[0:3], 0 offset:652
	buffer_load_dword v129, off, s[0:3], 0 offset:628
	;; [unrolled: 1-line block ×3, first 2 shown]
	ds_read_b128 v[1:4], v146 offset:1168
	v_add_f64 v[112:113], v[112:113], v[134:135]
	v_add_f64 v[5:6], v[5:6], v[130:131]
	s_waitcnt vmcnt(58) lgkmcnt(1)
	v_mul_f64 v[134:135], v[104:105], v[159:160]
	s_waitcnt vmcnt(56)
	v_fma_f64 v[142:143], v[106:107], v[161:162], -v[141:142]
	v_mul_f64 v[130:131], v[102:103], v[159:160]
	v_add_f64 v[112:113], v[112:113], v[126:127]
	v_fma_f64 v[126:127], v[108:109], v[161:162], v[186:187]
	v_add_f64 v[5:6], v[5:6], v[124:125]
	s_clause 0x4
	buffer_load_dword v125, off, s[0:3], 0 offset:668
	buffer_load_dword v159, off, s[0:3], 0 offset:680
	;; [unrolled: 1-line block ×5, first 2 shown]
	s_waitcnt vmcnt(57) lgkmcnt(0)
	v_mul_f64 v[186:187], v[1:2], v[163:164]
	v_mul_f64 v[162:163], v[3:4], v[163:164]
	s_waitcnt vmcnt(56)
	v_fma_f64 v[134:135], v[102:103], v[136:137], -v[134:135]
	ds_read_b128 v[106:109], v146 offset:1184
	v_fma_f64 v[130:131], v[104:105], v[136:137], v[130:131]
	v_add_f64 v[112:113], v[112:113], v[142:143]
	v_add_f64 v[5:6], v[5:6], v[126:127]
	s_clause 0x2
	buffer_load_dword v160, off, s[0:3], 0 offset:684
	buffer_load_dword v127, off, s[0:3], 0 offset:660
	;; [unrolled: 1-line block ×3, first 2 shown]
	ds_read_b128 v[102:105], v146 offset:1200
	s_waitcnt vmcnt(58) lgkmcnt(1)
	v_mul_f64 v[142:143], v[108:109], v[165:166]
	s_waitcnt vmcnt(56)
	v_fma_f64 v[163:164], v[1:2], v[167:168], -v[162:163]
	v_mul_f64 v[136:137], v[106:107], v[165:166]
	v_add_f64 v[112:113], v[112:113], v[134:135]
	v_fma_f64 v[134:135], v[3:4], v[167:168], v[186:187]
	v_add_f64 v[5:6], v[5:6], v[130:131]
	s_clause 0x4
	buffer_load_dword v131, off, s[0:3], 0 offset:700
	buffer_load_dword v165, off, s[0:3], 0 offset:712
	;; [unrolled: 1-line block ×5, first 2 shown]
	s_waitcnt vmcnt(57) lgkmcnt(0)
	v_mul_f64 v[186:187], v[102:103], v[171:172]
	v_mul_f64 v[171:172], v[104:105], v[171:172]
	s_waitcnt vmcnt(56)
	v_fma_f64 v[142:143], v[106:107], v[144:145], -v[142:143]
	ds_read_b128 v[1:4], v146 offset:1216
	v_fma_f64 v[136:137], v[108:109], v[144:145], v[136:137]
	v_add_f64 v[112:113], v[112:113], v[163:164]
	v_add_f64 v[5:6], v[5:6], v[134:135]
	s_clause 0x2
	buffer_load_dword v166, off, s[0:3], 0 offset:716
	buffer_load_dword v135, off, s[0:3], 0 offset:692
	;; [unrolled: 1-line block ×3, first 2 shown]
	ds_read_b128 v[106:109], v146 offset:1232
	s_waitcnt vmcnt(58) lgkmcnt(1)
	v_mul_f64 v[163:164], v[3:4], v[173:174]
	v_mul_f64 v[144:145], v[1:2], v[173:174]
	s_waitcnt vmcnt(56)
	v_fma_f64 v[171:172], v[102:103], v[169:170], -v[171:172]
	v_add_f64 v[112:113], v[112:113], v[142:143]
	v_fma_f64 v[142:143], v[104:105], v[169:170], v[186:187]
	v_add_f64 v[5:6], v[5:6], v[136:137]
	s_clause 0x4
	buffer_load_dword v137, off, s[0:3], 0 offset:732
	buffer_load_dword v169, off, s[0:3], 0 offset:744
	;; [unrolled: 1-line block ×5, first 2 shown]
	s_waitcnt vmcnt(57) lgkmcnt(0)
	v_mul_f64 v[186:187], v[106:107], v[153:154]
	v_mul_f64 v[153:154], v[108:109], v[153:154]
	ds_read_b128 v[102:105], v146 offset:1248
	s_waitcnt vmcnt(56)
	v_fma_f64 v[163:164], v[1:2], v[175:176], -v[163:164]
	v_fma_f64 v[144:145], v[3:4], v[175:176], v[144:145]
	v_add_f64 v[112:113], v[112:113], v[171:172]
	v_add_f64 v[5:6], v[5:6], v[142:143]
	s_clause 0x2
	buffer_load_dword v170, off, s[0:3], 0 offset:748
	buffer_load_dword v143, off, s[0:3], 0 offset:724
	buffer_load_dword v142, off, s[0:3], 0 offset:720
	s_waitcnt vmcnt(58) lgkmcnt(0)
	v_mul_f64 v[175:176], v[104:105], v[177:178]
	s_waitcnt vmcnt(56)
	v_fma_f64 v[153:154], v[106:107], v[157:158], -v[153:154]
	ds_read_b128 v[1:4], v146 offset:1264
	v_mul_f64 v[171:172], v[102:103], v[177:178]
	v_fma_f64 v[157:158], v[108:109], v[157:158], v[186:187]
	v_add_f64 v[112:113], v[112:113], v[163:164]
	v_add_f64 v[5:6], v[5:6], v[144:145]
	s_clause 0x2
	buffer_load_dword v145, off, s[0:3], 0 offset:764
	buffer_load_dword v144, off, s[0:3], 0 offset:760
	buffer_load_dword v174, off, s[0:3], 0 offset:740
	ds_read_b128 v[106:109], v146 offset:1280
	s_waitcnt vmcnt(55) lgkmcnt(1)
	v_mul_f64 v[163:164], v[1:2], v[120:121]
	v_mul_f64 v[120:121], v[3:4], v[120:121]
	s_waitcnt vmcnt(54)
	v_fma_f64 v[175:176], v[102:103], v[182:183], -v[175:176]
	v_add_f64 v[112:113], v[112:113], v[153:154]
	v_fma_f64 v[153:154], v[104:105], v[182:183], v[171:172]
	v_add_f64 v[5:6], v[5:6], v[157:158]
	s_clause 0x1
	buffer_load_dword v158, off, s[0:3], 0 offset:756
	buffer_load_dword v157, off, s[0:3], 0 offset:752
	ds_read_b128 v[102:105], v146 offset:1296
	s_waitcnt vmcnt(55) lgkmcnt(1)
	v_mul_f64 v[171:172], v[106:107], v[155:156]
	v_mul_f64 v[155:156], v[108:109], v[155:156]
	s_waitcnt vmcnt(53)
	v_fma_f64 v[120:121], v[1:2], v[114:115], -v[120:121]
	v_fma_f64 v[114:115], v[3:4], v[114:115], v[163:164]
	ds_read_b128 v[1:4], v146 offset:1312
	v_add_f64 v[112:113], v[112:113], v[175:176]
	v_add_f64 v[5:6], v[5:6], v[153:154]
	s_waitcnt vmcnt(49) lgkmcnt(1)
	v_mul_f64 v[153:154], v[102:103], v[147:148]
	v_mul_f64 v[147:148], v[104:105], v[147:148]
	s_waitcnt vmcnt(48)
	v_fma_f64 v[155:156], v[106:107], v[184:185], -v[155:156]
	v_add_f64 v[112:113], v[112:113], v[120:121]
	v_fma_f64 v[120:121], v[108:109], v[184:185], v[171:172]
	v_add_f64 v[5:6], v[5:6], v[114:115]
	s_clause 0x3
	buffer_load_dword v114, off, s[0:3], 0 offset:208
	buffer_load_dword v115, off, s[0:3], 0 offset:212
	;; [unrolled: 1-line block ×4, first 2 shown]
	ds_read_b128 v[106:109], v146 offset:1328
	s_waitcnt vmcnt(51) lgkmcnt(1)
	v_mul_f64 v[171:172], v[1:2], v[149:150]
	v_mul_f64 v[149:150], v[3:4], v[149:150]
	s_waitcnt vmcnt(49)
	v_fma_f64 v[147:148], v[102:103], v[116:117], -v[147:148]
	v_fma_f64 v[116:117], v[104:105], v[116:117], v[153:154]
	ds_read_b128 v[102:105], v146 offset:1344
	v_add_f64 v[112:113], v[112:113], v[155:156]
	v_add_f64 v[5:6], v[5:6], v[120:121]
	s_waitcnt vmcnt(45) lgkmcnt(1)
	v_mul_f64 v[120:121], v[106:107], v[110:111]
	v_mul_f64 v[110:111], v[108:109], v[110:111]
	s_waitcnt vmcnt(44)
	v_fma_f64 v[149:150], v[1:2], v[179:180], -v[149:150]
	v_add_f64 v[112:113], v[112:113], v[147:148]
	v_fma_f64 v[147:148], v[3:4], v[179:180], v[171:172]
	v_add_f64 v[5:6], v[5:6], v[116:117]
	ds_read_b128 v[1:4], v146 offset:1360
	s_waitcnt vmcnt(43) lgkmcnt(1)
	v_mul_f64 v[116:117], v[102:103], v[132:133]
	v_mul_f64 v[132:133], v[104:105], v[132:133]
	s_waitcnt vmcnt(41)
	v_fma_f64 v[110:111], v[106:107], v[122:123], -v[110:111]
	v_fma_f64 v[120:121], v[108:109], v[122:123], v[120:121]
	ds_read_b128 v[106:109], v146 offset:1376
	v_add_f64 v[112:113], v[112:113], v[149:150]
	v_add_f64 v[5:6], v[5:6], v[147:148]
	s_waitcnt vmcnt(37) lgkmcnt(1)
	v_mul_f64 v[122:123], v[1:2], v[118:119]
	v_mul_f64 v[118:119], v[3:4], v[118:119]
	s_waitcnt vmcnt(36)
	v_fma_f64 v[132:133], v[102:103], v[151:152], -v[132:133]
	v_add_f64 v[110:111], v[112:113], v[110:111]
	v_fma_f64 v[112:113], v[104:105], v[151:152], v[116:117]
	v_add_f64 v[5:6], v[5:6], v[120:121]
	s_waitcnt vmcnt(35) lgkmcnt(0)
	v_mul_f64 v[120:121], v[108:109], v[138:139]
	ds_read_b128 v[102:105], v146 offset:1392
	v_mul_f64 v[116:117], v[106:107], v[138:139]
	s_waitcnt vmcnt(33)
	v_fma_f64 v[122:123], v[3:4], v[128:129], v[122:123]
	v_fma_f64 v[118:119], v[1:2], v[128:129], -v[118:119]
	ds_read_b128 v[1:4], v146 offset:1408
	v_add_f64 v[110:111], v[110:111], v[132:133]
	v_add_f64 v[5:6], v[5:6], v[112:113]
	s_waitcnt vmcnt(29) lgkmcnt(1)
	v_mul_f64 v[112:113], v[102:103], v[124:125]
	v_mul_f64 v[124:125], v[104:105], v[124:125]
	s_waitcnt vmcnt(28)
	v_fma_f64 v[120:121], v[106:107], v[140:141], -v[120:121]
	v_fma_f64 v[116:117], v[108:109], v[140:141], v[116:117]
	ds_read_b128 v[106:109], v146 offset:1424
	v_add_f64 v[110:111], v[110:111], v[118:119]
	v_add_f64 v[5:6], v[5:6], v[122:123]
	s_waitcnt vmcnt(27) lgkmcnt(1)
	v_mul_f64 v[122:123], v[3:4], v[159:160]
	v_mul_f64 v[118:119], v[1:2], v[159:160]
	s_waitcnt vmcnt(25)
	v_fma_f64 v[124:125], v[102:103], v[126:127], -v[124:125]
	v_fma_f64 v[112:113], v[104:105], v[126:127], v[112:113]
	ds_read_b128 v[102:105], v146 offset:1440
	v_add_f64 v[110:111], v[110:111], v[120:121]
	v_add_f64 v[5:6], v[5:6], v[116:117]
	s_waitcnt vmcnt(21) lgkmcnt(1)
	v_mul_f64 v[120:121], v[108:109], v[130:131]
	s_waitcnt vmcnt(20)
	v_fma_f64 v[122:123], v[1:2], v[161:162], -v[122:123]
	v_mul_f64 v[116:117], v[106:107], v[130:131]
	v_fma_f64 v[118:119], v[3:4], v[161:162], v[118:119]
	ds_read_b128 v[1:4], v146 offset:1456
	v_add_f64 v[110:111], v[110:111], v[124:125]
	v_add_f64 v[5:6], v[5:6], v[112:113]
	s_waitcnt vmcnt(19) lgkmcnt(1)
	v_mul_f64 v[124:125], v[104:105], v[165:166]
	v_mul_f64 v[112:113], v[102:103], v[165:166]
	s_waitcnt vmcnt(17)
	v_fma_f64 v[120:121], v[106:107], v[134:135], -v[120:121]
	v_fma_f64 v[116:117], v[108:109], v[134:135], v[116:117]
	ds_read_b128 v[106:109], v146 offset:1472
	v_add_f64 v[110:111], v[110:111], v[122:123]
	v_add_f64 v[5:6], v[5:6], v[118:119]
	s_waitcnt vmcnt(13) lgkmcnt(1)
	v_mul_f64 v[122:123], v[3:4], v[136:137]
	s_waitcnt vmcnt(12)
	v_fma_f64 v[124:125], v[102:103], v[167:168], -v[124:125]
	v_mul_f64 v[118:119], v[1:2], v[136:137]
	v_fma_f64 v[112:113], v[104:105], v[167:168], v[112:113]
	ds_read_b128 v[102:105], v146 offset:1488
	v_add_f64 v[110:111], v[110:111], v[120:121]
	v_add_f64 v[5:6], v[5:6], v[116:117]
	s_waitcnt vmcnt(11) lgkmcnt(1)
	v_mul_f64 v[120:121], v[108:109], v[169:170]
	v_mul_f64 v[116:117], v[106:107], v[169:170]
	s_waitcnt vmcnt(9)
	v_fma_f64 v[1:2], v[1:2], v[142:143], -v[122:123]
	v_fma_f64 v[3:4], v[3:4], v[142:143], v[118:119]
	v_add_f64 v[110:111], v[110:111], v[124:125]
	v_add_f64 v[5:6], v[5:6], v[112:113]
	s_waitcnt vmcnt(7) lgkmcnt(0)
	v_mul_f64 v[118:119], v[104:105], v[144:145]
	s_waitcnt vmcnt(6)
	v_fma_f64 v[106:107], v[106:107], v[173:174], -v[120:121]
	v_mul_f64 v[112:113], v[102:103], v[144:145]
	v_fma_f64 v[108:109], v[108:109], v[173:174], v[116:117]
	v_add_f64 v[1:2], v[110:111], v[1:2]
	v_add_f64 v[3:4], v[5:6], v[3:4]
	s_waitcnt vmcnt(4)
	v_fma_f64 v[5:6], v[102:103], v[157:158], -v[118:119]
	v_fma_f64 v[102:103], v[104:105], v[157:158], v[112:113]
	v_add_f64 v[1:2], v[1:2], v[106:107]
	v_add_f64 v[3:4], v[3:4], v[108:109]
	;; [unrolled: 1-line block ×4, first 2 shown]
	s_waitcnt vmcnt(2)
	v_add_f64 v[1:2], v[114:115], -v[1:2]
	s_waitcnt vmcnt(0)
	v_add_f64 v[3:4], v[163:164], -v[3:4]
	buffer_store_dword v2, off, s[0:3], 0 offset:212
	buffer_store_dword v1, off, s[0:3], 0 offset:208
	;; [unrolled: 1-line block ×4, first 2 shown]
	v_cmpx_lt_u32_e32 11, v0
	s_cbranch_execz .LBB110_273
; %bb.272:
	v_mov_b32_e32 v4, s48
	v_mov_b32_e32 v5, 0
	s_clause 0x3
	buffer_load_dword v1, v4, s[0:3], 0 offen
	buffer_load_dword v2, v4, s[0:3], 0 offen offset:4
	buffer_load_dword v3, v4, s[0:3], 0 offen offset:8
	;; [unrolled: 1-line block ×3, first 2 shown]
	buffer_store_dword v5, off, s[0:3], 0 offset:192
	buffer_store_dword v5, off, s[0:3], 0 offset:196
	buffer_store_dword v5, off, s[0:3], 0 offset:200
	buffer_store_dword v5, off, s[0:3], 0 offset:204
	s_waitcnt vmcnt(0)
	ds_write_b128 v7, v[1:4]
.LBB110_273:
	s_or_b32 exec_lo, exec_lo, s4
	s_waitcnt lgkmcnt(0)
	s_waitcnt_vscnt null, 0x0
	s_barrier
	buffer_gl0_inv
	s_clause 0x37
	buffer_load_dword v104, off, s[0:3], 0 offset:216
	buffer_load_dword v105, off, s[0:3], 0 offset:220
	;; [unrolled: 1-line block ×56, first 2 shown]
	v_mov_b32_e32 v156, 0
	s_mov_b32 s4, exec_lo
	ds_read_b128 v[157:160], v156 offset:944
	s_clause 0x2
	buffer_load_dword v153, off, s[0:3], 0 offset:444
	buffer_load_dword v155, off, s[0:3], 0 offset:420
	;; [unrolled: 1-line block ×3, first 2 shown]
	ds_read_b128 v[161:164], v156 offset:960
	s_clause 0x4
	buffer_load_dword v172, off, s[0:3], 0 offset:460
	buffer_load_dword v173, off, s[0:3], 0 offset:472
	;; [unrolled: 1-line block ×5, first 2 shown]
	ds_read_b128 v[165:168], v156 offset:976
	s_waitcnt vmcnt(62) lgkmcnt(2)
	v_mul_f64 v[169:170], v[159:160], v[104:105]
	v_mul_f64 v[104:105], v[157:158], v[104:105]
	s_waitcnt vmcnt(60) lgkmcnt(1)
	v_mul_f64 v[176:177], v[163:164], v[5:6]
	v_mul_f64 v[5:6], v[161:162], v[5:6]
	;; [unrolled: 3-line block ×3, first 2 shown]
	v_fma_f64 v[157:158], v[157:158], v[102:103], -v[169:170]
	v_fma_f64 v[159:160], v[159:160], v[102:103], v[104:105]
	s_clause 0x2
	buffer_load_dword v174, off, s[0:3], 0 offset:476
	buffer_load_dword v170, off, s[0:3], 0 offset:452
	;; [unrolled: 1-line block ×3, first 2 shown]
	s_waitcnt vmcnt(57)
	v_fma_f64 v[161:162], v[161:162], v[1:2], -v[176:177]
	ds_read_b128 v[102:105], v156 offset:992
	v_fma_f64 v[5:6], v[163:164], v[1:2], v[5:6]
	s_clause 0x4
	buffer_load_dword v164, off, s[0:3], 0 offset:492
	buffer_load_dword v177, off, s[0:3], 0 offset:504
	;; [unrolled: 1-line block ×5, first 2 shown]
	s_waitcnt vmcnt(56)
	v_fma_f64 v[165:166], v[165:166], v[120:121], -v[180:181]
	ds_read_b128 v[1:4], v156 offset:1008
	v_fma_f64 v[120:121], v[167:168], v[120:121], v[178:179]
	s_clause 0x2
	buffer_load_dword v178, off, s[0:3], 0 offset:508
	buffer_load_dword v168, off, s[0:3], 0 offset:484
	;; [unrolled: 1-line block ×3, first 2 shown]
	v_add_f64 v[157:158], v[157:158], 0
	v_add_f64 v[159:160], v[159:160], 0
	s_waitcnt lgkmcnt(1)
	v_mul_f64 v[183:184], v[102:103], v[108:109]
	v_mul_f64 v[108:109], v[104:105], v[108:109]
	s_waitcnt vmcnt(58) lgkmcnt(0)
	v_mul_f64 v[179:180], v[1:2], v[112:113]
	v_mul_f64 v[112:113], v[3:4], v[112:113]
	v_add_f64 v[161:162], v[157:158], v[161:162]
	v_add_f64 v[5:6], v[159:160], v[5:6]
	ds_read_b128 v[157:160], v156 offset:1024
	s_waitcnt vmcnt(56)
	v_fma_f64 v[108:109], v[102:103], v[114:115], -v[108:109]
	v_fma_f64 v[114:115], v[104:105], v[114:115], v[183:184]
	s_waitcnt vmcnt(51)
	v_fma_f64 v[112:113], v[1:2], v[106:107], -v[112:113]
	v_fma_f64 v[106:107], v[3:4], v[106:107], v[179:180]
	s_waitcnt lgkmcnt(0)
	v_mul_f64 v[185:186], v[157:158], v[116:117]
	v_add_f64 v[161:162], v[161:162], v[165:166]
	v_add_f64 v[5:6], v[5:6], v[120:121]
	s_clause 0x4
	buffer_load_dword v121, off, s[0:3], 0 offset:524
	buffer_load_dword v165, off, s[0:3], 0 offset:536
	;; [unrolled: 1-line block ×5, first 2 shown]
	v_mul_f64 v[116:117], v[159:160], v[116:117]
	ds_read_b128 v[102:105], v156 offset:1040
	v_add_f64 v[108:109], v[161:162], v[108:109]
	v_add_f64 v[5:6], v[5:6], v[114:115]
	s_clause 0x2
	buffer_load_dword v166, off, s[0:3], 0 offset:540
	buffer_load_dword v115, off, s[0:3], 0 offset:516
	;; [unrolled: 1-line block ×3, first 2 shown]
	s_waitcnt vmcnt(58) lgkmcnt(0)
	v_mul_f64 v[161:162], v[102:103], v[122:123]
	v_mul_f64 v[122:123], v[104:105], v[122:123]
	s_waitcnt vmcnt(56)
	v_fma_f64 v[116:117], v[157:158], v[124:125], -v[116:117]
	ds_read_b128 v[1:4], v156 offset:1056
	v_fma_f64 v[124:125], v[159:160], v[124:125], v[185:186]
	s_clause 0x4
	buffer_load_dword v158, off, s[0:3], 0 offset:556
	buffer_load_dword v159, off, s[0:3], 0 offset:568
	;; [unrolled: 1-line block ×5, first 2 shown]
	v_add_f64 v[112:113], v[108:109], v[112:113]
	v_add_f64 v[5:6], v[5:6], v[106:107]
	ds_read_b128 v[106:109], v156 offset:1072
	s_waitcnt vmcnt(57) lgkmcnt(1)
	v_mul_f64 v[180:181], v[1:2], v[126:127]
	v_mul_f64 v[126:127], v[3:4], v[126:127]
	s_waitcnt vmcnt(56)
	v_fma_f64 v[122:123], v[102:103], v[110:111], -v[122:123]
	v_fma_f64 v[110:111], v[104:105], v[110:111], v[161:162]
	v_add_f64 v[112:113], v[112:113], v[116:117]
	v_add_f64 v[5:6], v[5:6], v[124:125]
	s_clause 0x2
	buffer_load_dword v160, off, s[0:3], 0 offset:572
	buffer_load_dword v117, off, s[0:3], 0 offset:548
	;; [unrolled: 1-line block ×3, first 2 shown]
	s_waitcnt vmcnt(58) lgkmcnt(0)
	v_mul_f64 v[124:125], v[106:107], v[130:131]
	v_mul_f64 v[130:131], v[108:109], v[130:131]
	s_waitcnt vmcnt(56)
	v_fma_f64 v[126:127], v[1:2], v[132:133], -v[126:127]
	ds_read_b128 v[102:105], v156 offset:1088
	v_add_f64 v[112:113], v[112:113], v[122:123]
	v_fma_f64 v[122:123], v[3:4], v[132:133], v[180:181]
	v_add_f64 v[5:6], v[5:6], v[110:111]
	s_clause 0x4
	buffer_load_dword v111, off, s[0:3], 0 offset:588
	buffer_load_dword v132, off, s[0:3], 0 offset:600
	;; [unrolled: 1-line block ×5, first 2 shown]
	s_waitcnt vmcnt(57) lgkmcnt(0)
	v_mul_f64 v[186:187], v[102:103], v[134:135]
	v_mul_f64 v[134:135], v[104:105], v[134:135]
	s_waitcnt vmcnt(56)
	v_fma_f64 v[130:131], v[106:107], v[118:119], -v[130:131]
	ds_read_b128 v[1:4], v156 offset:1104
	v_fma_f64 v[118:119], v[108:109], v[118:119], v[124:125]
	v_add_f64 v[112:113], v[112:113], v[126:127]
	v_add_f64 v[5:6], v[5:6], v[122:123]
	s_clause 0x2
	buffer_load_dword v133, off, s[0:3], 0 offset:604
	buffer_load_dword v123, off, s[0:3], 0 offset:580
	;; [unrolled: 1-line block ×3, first 2 shown]
	ds_read_b128 v[106:109], v156 offset:1120
	s_waitcnt vmcnt(58) lgkmcnt(1)
	v_mul_f64 v[126:127], v[3:4], v[138:139]
	s_waitcnt vmcnt(56)
	v_fma_f64 v[134:135], v[102:103], v[140:141], -v[134:135]
	v_mul_f64 v[124:125], v[1:2], v[138:139]
	v_add_f64 v[112:113], v[112:113], v[130:131]
	v_fma_f64 v[130:131], v[104:105], v[140:141], v[186:187]
	v_add_f64 v[5:6], v[5:6], v[118:119]
	s_clause 0x4
	buffer_load_dword v119, off, s[0:3], 0 offset:620
	buffer_load_dword v138, off, s[0:3], 0 offset:632
	;; [unrolled: 1-line block ×5, first 2 shown]
	s_waitcnt vmcnt(57) lgkmcnt(0)
	v_mul_f64 v[186:187], v[106:107], v[142:143]
	v_mul_f64 v[141:142], v[108:109], v[142:143]
	s_waitcnt vmcnt(56)
	v_fma_f64 v[126:127], v[1:2], v[128:129], -v[126:127]
	ds_read_b128 v[102:105], v156 offset:1136
	v_fma_f64 v[124:125], v[3:4], v[128:129], v[124:125]
	s_clause 0x2
	buffer_load_dword v139, off, s[0:3], 0 offset:636
	buffer_load_dword v129, off, s[0:3], 0 offset:612
	;; [unrolled: 1-line block ×3, first 2 shown]
	ds_read_b128 v[1:4], v156 offset:1152
	v_add_f64 v[112:113], v[112:113], v[134:135]
	v_add_f64 v[5:6], v[5:6], v[130:131]
	s_waitcnt vmcnt(58) lgkmcnt(1)
	v_mul_f64 v[134:135], v[104:105], v[146:147]
	s_waitcnt vmcnt(56)
	v_fma_f64 v[142:143], v[106:107], v[148:149], -v[141:142]
	v_mul_f64 v[130:131], v[102:103], v[146:147]
	v_add_f64 v[112:113], v[112:113], v[126:127]
	v_fma_f64 v[126:127], v[108:109], v[148:149], v[186:187]
	v_add_f64 v[5:6], v[5:6], v[124:125]
	s_clause 0x4
	buffer_load_dword v125, off, s[0:3], 0 offset:652
	buffer_load_dword v146, off, s[0:3], 0 offset:664
	;; [unrolled: 1-line block ×5, first 2 shown]
	s_waitcnt vmcnt(57) lgkmcnt(0)
	v_mul_f64 v[186:187], v[1:2], v[150:151]
	v_mul_f64 v[149:150], v[3:4], v[150:151]
	s_waitcnt vmcnt(56)
	v_fma_f64 v[134:135], v[102:103], v[136:137], -v[134:135]
	ds_read_b128 v[106:109], v156 offset:1168
	v_fma_f64 v[130:131], v[104:105], v[136:137], v[130:131]
	v_add_f64 v[112:113], v[112:113], v[142:143]
	v_add_f64 v[5:6], v[5:6], v[126:127]
	s_clause 0x2
	buffer_load_dword v147, off, s[0:3], 0 offset:668
	buffer_load_dword v127, off, s[0:3], 0 offset:644
	;; [unrolled: 1-line block ×3, first 2 shown]
	ds_read_b128 v[102:105], v156 offset:1184
	s_waitcnt vmcnt(58) lgkmcnt(1)
	v_mul_f64 v[142:143], v[108:109], v[152:153]
	s_waitcnt vmcnt(56)
	v_fma_f64 v[150:151], v[1:2], v[154:155], -v[149:150]
	v_mul_f64 v[136:137], v[106:107], v[152:153]
	v_add_f64 v[112:113], v[112:113], v[134:135]
	v_fma_f64 v[134:135], v[3:4], v[154:155], v[186:187]
	v_add_f64 v[5:6], v[5:6], v[130:131]
	s_clause 0x4
	buffer_load_dword v131, off, s[0:3], 0 offset:684
	buffer_load_dword v152, off, s[0:3], 0 offset:696
	buffer_load_dword v154, off, s[0:3], 0 offset:688
	buffer_load_dword v130, off, s[0:3], 0 offset:680
	buffer_load_dword v149, off, s[0:3], 0 offset:660
	s_waitcnt vmcnt(57) lgkmcnt(0)
	v_mul_f64 v[186:187], v[102:103], v[171:172]
	v_mul_f64 v[171:172], v[104:105], v[171:172]
	s_waitcnt vmcnt(56)
	v_fma_f64 v[142:143], v[106:107], v[144:145], -v[142:143]
	ds_read_b128 v[1:4], v156 offset:1200
	v_fma_f64 v[136:137], v[108:109], v[144:145], v[136:137]
	v_add_f64 v[112:113], v[112:113], v[150:151]
	v_add_f64 v[5:6], v[5:6], v[134:135]
	s_clause 0x2
	buffer_load_dword v153, off, s[0:3], 0 offset:700
	buffer_load_dword v135, off, s[0:3], 0 offset:676
	;; [unrolled: 1-line block ×3, first 2 shown]
	ds_read_b128 v[106:109], v156 offset:1216
	s_waitcnt vmcnt(58) lgkmcnt(1)
	v_mul_f64 v[150:151], v[3:4], v[173:174]
	v_mul_f64 v[144:145], v[1:2], v[173:174]
	s_waitcnt vmcnt(56)
	v_fma_f64 v[171:172], v[102:103], v[169:170], -v[171:172]
	v_add_f64 v[112:113], v[112:113], v[142:143]
	v_fma_f64 v[142:143], v[104:105], v[169:170], v[186:187]
	v_add_f64 v[5:6], v[5:6], v[136:137]
	s_clause 0x4
	buffer_load_dword v137, off, s[0:3], 0 offset:716
	buffer_load_dword v169, off, s[0:3], 0 offset:728
	;; [unrolled: 1-line block ×5, first 2 shown]
	s_waitcnt vmcnt(57) lgkmcnt(0)
	v_mul_f64 v[186:187], v[106:107], v[163:164]
	v_mul_f64 v[163:164], v[108:109], v[163:164]
	ds_read_b128 v[102:105], v156 offset:1232
	s_waitcnt vmcnt(56)
	v_fma_f64 v[150:151], v[1:2], v[175:176], -v[150:151]
	v_fma_f64 v[144:145], v[3:4], v[175:176], v[144:145]
	v_add_f64 v[112:113], v[112:113], v[171:172]
	v_add_f64 v[5:6], v[5:6], v[142:143]
	s_clause 0x2
	buffer_load_dword v170, off, s[0:3], 0 offset:732
	buffer_load_dword v143, off, s[0:3], 0 offset:708
	;; [unrolled: 1-line block ×3, first 2 shown]
	s_waitcnt vmcnt(58) lgkmcnt(0)
	v_mul_f64 v[175:176], v[104:105], v[177:178]
	s_waitcnt vmcnt(56)
	v_fma_f64 v[163:164], v[106:107], v[167:168], -v[163:164]
	ds_read_b128 v[1:4], v156 offset:1248
	v_mul_f64 v[171:172], v[102:103], v[177:178]
	v_add_f64 v[112:113], v[112:113], v[150:151]
	v_fma_f64 v[150:151], v[108:109], v[167:168], v[186:187]
	v_add_f64 v[5:6], v[5:6], v[144:145]
	s_clause 0x4
	buffer_load_dword v145, off, s[0:3], 0 offset:748
	buffer_load_dword v167, off, s[0:3], 0 offset:760
	;; [unrolled: 1-line block ×5, first 2 shown]
	ds_read_b128 v[106:109], v156 offset:1264
	s_waitcnt vmcnt(57) lgkmcnt(1)
	v_mul_f64 v[186:187], v[1:2], v[120:121]
	v_mul_f64 v[120:121], v[3:4], v[120:121]
	s_waitcnt vmcnt(56)
	v_fma_f64 v[175:176], v[102:103], v[182:183], -v[175:176]
	v_add_f64 v[112:113], v[112:113], v[163:164]
	v_fma_f64 v[163:164], v[104:105], v[182:183], v[171:172]
	v_add_f64 v[5:6], v[5:6], v[150:151]
	s_clause 0x2
	buffer_load_dword v168, off, s[0:3], 0 offset:764
	buffer_load_dword v151, off, s[0:3], 0 offset:740
	;; [unrolled: 1-line block ×3, first 2 shown]
	ds_read_b128 v[102:105], v156 offset:1280
	buffer_load_dword v178, off, s[0:3], 0 offset:756
	s_waitcnt vmcnt(59) lgkmcnt(1)
	v_mul_f64 v[171:172], v[106:107], v[165:166]
	v_mul_f64 v[165:166], v[108:109], v[165:166]
	s_waitcnt vmcnt(57)
	v_fma_f64 v[120:121], v[1:2], v[114:115], -v[120:121]
	v_fma_f64 v[114:115], v[3:4], v[114:115], v[186:187]
	ds_read_b128 v[1:4], v156 offset:1296
	v_add_f64 v[112:113], v[112:113], v[175:176]
	v_add_f64 v[5:6], v[5:6], v[163:164]
	s_waitcnt vmcnt(53) lgkmcnt(1)
	v_mul_f64 v[163:164], v[102:103], v[157:158]
	v_mul_f64 v[157:158], v[104:105], v[157:158]
	s_waitcnt vmcnt(52)
	v_fma_f64 v[165:166], v[106:107], v[184:185], -v[165:166]
	v_add_f64 v[112:113], v[112:113], v[120:121]
	v_fma_f64 v[120:121], v[108:109], v[184:185], v[171:172]
	v_add_f64 v[5:6], v[5:6], v[114:115]
	ds_read_b128 v[106:109], v156 offset:1312
	s_waitcnt vmcnt(51) lgkmcnt(1)
	v_mul_f64 v[114:115], v[1:2], v[159:160]
	v_mul_f64 v[159:160], v[3:4], v[159:160]
	s_waitcnt vmcnt(49)
	v_fma_f64 v[157:158], v[102:103], v[116:117], -v[157:158]
	v_fma_f64 v[116:117], v[104:105], v[116:117], v[163:164]
	v_add_f64 v[112:113], v[112:113], v[165:166]
	v_add_f64 v[5:6], v[5:6], v[120:121]
	s_clause 0x3
	buffer_load_dword v120, off, s[0:3], 0 offset:192
	buffer_load_dword v121, off, s[0:3], 0 offset:196
	;; [unrolled: 1-line block ×4, first 2 shown]
	ds_read_b128 v[102:105], v156 offset:1328
	s_waitcnt vmcnt(49) lgkmcnt(1)
	v_mul_f64 v[165:166], v[106:107], v[110:111]
	v_mul_f64 v[110:111], v[108:109], v[110:111]
	s_waitcnt vmcnt(48)
	v_fma_f64 v[159:160], v[1:2], v[179:180], -v[159:160]
	v_fma_f64 v[114:115], v[3:4], v[179:180], v[114:115]
	ds_read_b128 v[1:4], v156 offset:1344
	v_add_f64 v[112:113], v[112:113], v[157:158]
	v_add_f64 v[5:6], v[5:6], v[116:117]
	s_waitcnt vmcnt(47) lgkmcnt(1)
	v_mul_f64 v[116:117], v[102:103], v[132:133]
	v_mul_f64 v[132:133], v[104:105], v[132:133]
	s_waitcnt vmcnt(45)
	v_fma_f64 v[110:111], v[106:107], v[122:123], -v[110:111]
	v_fma_f64 v[122:123], v[108:109], v[122:123], v[165:166]
	ds_read_b128 v[106:109], v156 offset:1360
	v_add_f64 v[112:113], v[112:113], v[159:160]
	v_add_f64 v[5:6], v[5:6], v[114:115]
	s_waitcnt vmcnt(41) lgkmcnt(1)
	v_mul_f64 v[114:115], v[1:2], v[118:119]
	v_mul_f64 v[118:119], v[3:4], v[118:119]
	s_waitcnt vmcnt(40)
	v_fma_f64 v[132:133], v[102:103], v[161:162], -v[132:133]
	v_add_f64 v[110:111], v[112:113], v[110:111]
	v_fma_f64 v[112:113], v[104:105], v[161:162], v[116:117]
	v_add_f64 v[5:6], v[5:6], v[122:123]
	ds_read_b128 v[102:105], v156 offset:1376
	s_waitcnt vmcnt(39) lgkmcnt(1)
	v_mul_f64 v[122:123], v[108:109], v[138:139]
	v_mul_f64 v[116:117], v[106:107], v[138:139]
	s_waitcnt vmcnt(37)
	v_fma_f64 v[114:115], v[3:4], v[128:129], v[114:115]
	v_fma_f64 v[118:119], v[1:2], v[128:129], -v[118:119]
	ds_read_b128 v[1:4], v156 offset:1392
	v_add_f64 v[110:111], v[110:111], v[132:133]
	v_add_f64 v[5:6], v[5:6], v[112:113]
	s_waitcnt vmcnt(33) lgkmcnt(1)
	v_mul_f64 v[112:113], v[102:103], v[124:125]
	v_mul_f64 v[124:125], v[104:105], v[124:125]
	s_waitcnt vmcnt(32)
	v_fma_f64 v[122:123], v[106:107], v[140:141], -v[122:123]
	v_fma_f64 v[116:117], v[108:109], v[140:141], v[116:117]
	ds_read_b128 v[106:109], v156 offset:1408
	v_add_f64 v[110:111], v[110:111], v[118:119]
	v_add_f64 v[5:6], v[5:6], v[114:115]
	s_waitcnt vmcnt(31) lgkmcnt(1)
	v_mul_f64 v[118:119], v[3:4], v[146:147]
	v_mul_f64 v[114:115], v[1:2], v[146:147]
	s_waitcnt vmcnt(29)
	v_fma_f64 v[124:125], v[102:103], v[126:127], -v[124:125]
	v_fma_f64 v[112:113], v[104:105], v[126:127], v[112:113]
	ds_read_b128 v[102:105], v156 offset:1424
	v_add_f64 v[110:111], v[110:111], v[122:123]
	v_add_f64 v[5:6], v[5:6], v[116:117]
	s_waitcnt vmcnt(25) lgkmcnt(1)
	v_mul_f64 v[122:123], v[108:109], v[130:131]
	s_waitcnt vmcnt(24)
	v_fma_f64 v[118:119], v[1:2], v[148:149], -v[118:119]
	v_mul_f64 v[116:117], v[106:107], v[130:131]
	v_fma_f64 v[114:115], v[3:4], v[148:149], v[114:115]
	ds_read_b128 v[1:4], v156 offset:1440
	v_add_f64 v[110:111], v[110:111], v[124:125]
	v_add_f64 v[5:6], v[5:6], v[112:113]
	s_waitcnt vmcnt(23) lgkmcnt(1)
	v_mul_f64 v[124:125], v[104:105], v[152:153]
	v_mul_f64 v[112:113], v[102:103], v[152:153]
	s_waitcnt vmcnt(21)
	v_fma_f64 v[122:123], v[106:107], v[134:135], -v[122:123]
	v_fma_f64 v[116:117], v[108:109], v[134:135], v[116:117]
	ds_read_b128 v[106:109], v156 offset:1456
	v_add_f64 v[110:111], v[110:111], v[118:119]
	v_add_f64 v[5:6], v[5:6], v[114:115]
	s_waitcnt vmcnt(17) lgkmcnt(1)
	v_mul_f64 v[118:119], v[3:4], v[136:137]
	s_waitcnt vmcnt(16)
	v_fma_f64 v[124:125], v[102:103], v[154:155], -v[124:125]
	v_mul_f64 v[114:115], v[1:2], v[136:137]
	v_fma_f64 v[112:113], v[104:105], v[154:155], v[112:113]
	ds_read_b128 v[102:105], v156 offset:1472
	v_add_f64 v[110:111], v[110:111], v[122:123]
	v_add_f64 v[5:6], v[5:6], v[116:117]
	s_waitcnt vmcnt(15) lgkmcnt(1)
	v_mul_f64 v[122:123], v[108:109], v[169:170]
	v_mul_f64 v[116:117], v[106:107], v[169:170]
	s_waitcnt vmcnt(13)
	v_fma_f64 v[118:119], v[1:2], v[142:143], -v[118:119]
	v_fma_f64 v[114:115], v[3:4], v[142:143], v[114:115]
	ds_read_b128 v[1:4], v156 offset:1488
	v_add_f64 v[110:111], v[110:111], v[124:125]
	v_add_f64 v[5:6], v[5:6], v[112:113]
	s_waitcnt vmcnt(9) lgkmcnt(1)
	v_mul_f64 v[124:125], v[104:105], v[144:145]
	s_waitcnt vmcnt(8)
	v_fma_f64 v[106:107], v[106:107], v[173:174], -v[122:123]
	v_mul_f64 v[112:113], v[102:103], v[144:145]
	v_fma_f64 v[108:109], v[108:109], v[173:174], v[116:117]
	v_add_f64 v[110:111], v[110:111], v[118:119]
	v_add_f64 v[5:6], v[5:6], v[114:115]
	s_waitcnt vmcnt(7) lgkmcnt(0)
	v_mul_f64 v[116:117], v[3:4], v[167:168]
	v_mul_f64 v[114:115], v[1:2], v[167:168]
	s_waitcnt vmcnt(5)
	v_fma_f64 v[102:103], v[102:103], v[150:151], -v[124:125]
	v_fma_f64 v[104:105], v[104:105], v[150:151], v[112:113]
	v_add_f64 v[106:107], v[110:111], v[106:107]
	v_add_f64 v[5:6], v[5:6], v[108:109]
	s_waitcnt vmcnt(4)
	v_fma_f64 v[1:2], v[1:2], v[177:178], -v[116:117]
	v_fma_f64 v[3:4], v[3:4], v[177:178], v[114:115]
	v_add_f64 v[102:103], v[106:107], v[102:103]
	v_add_f64 v[5:6], v[5:6], v[104:105]
	;; [unrolled: 1-line block ×4, first 2 shown]
	s_waitcnt vmcnt(2)
	v_add_f64 v[1:2], v[120:121], -v[1:2]
	s_waitcnt vmcnt(0)
	v_add_f64 v[3:4], v[163:164], -v[3:4]
	buffer_store_dword v2, off, s[0:3], 0 offset:196
	buffer_store_dword v1, off, s[0:3], 0 offset:192
	;; [unrolled: 1-line block ×4, first 2 shown]
	v_cmpx_lt_u32_e32 10, v0
	s_cbranch_execz .LBB110_275
; %bb.274:
	v_mov_b32_e32 v4, s49
	s_clause 0x3
	buffer_load_dword v1, v4, s[0:3], 0 offen
	buffer_load_dword v2, v4, s[0:3], 0 offen offset:4
	buffer_load_dword v3, v4, s[0:3], 0 offen offset:8
	;; [unrolled: 1-line block ×3, first 2 shown]
	buffer_store_dword v156, off, s[0:3], 0 offset:176
	buffer_store_dword v156, off, s[0:3], 0 offset:180
	;; [unrolled: 1-line block ×4, first 2 shown]
	s_waitcnt vmcnt(0)
	ds_write_b128 v7, v[1:4]
.LBB110_275:
	s_or_b32 exec_lo, exec_lo, s4
	s_waitcnt lgkmcnt(0)
	s_waitcnt_vscnt null, 0x0
	s_barrier
	buffer_gl0_inv
	s_clause 0x37
	buffer_load_dword v104, off, s[0:3], 0 offset:200
	buffer_load_dword v105, off, s[0:3], 0 offset:204
	;; [unrolled: 1-line block ×56, first 2 shown]
	ds_read_b128 v[157:160], v156 offset:928
	s_clause 0x2
	buffer_load_dword v153, off, s[0:3], 0 offset:428
	buffer_load_dword v155, off, s[0:3], 0 offset:404
	;; [unrolled: 1-line block ×3, first 2 shown]
	ds_read_b128 v[161:164], v156 offset:944
	s_clause 0x4
	buffer_load_dword v172, off, s[0:3], 0 offset:444
	buffer_load_dword v173, off, s[0:3], 0 offset:456
	;; [unrolled: 1-line block ×5, first 2 shown]
	ds_read_b128 v[165:168], v156 offset:960
	s_mov_b32 s4, exec_lo
	s_waitcnt vmcnt(62) lgkmcnt(2)
	v_mul_f64 v[169:170], v[159:160], v[104:105]
	v_mul_f64 v[104:105], v[157:158], v[104:105]
	s_waitcnt vmcnt(60) lgkmcnt(1)
	v_mul_f64 v[176:177], v[163:164], v[5:6]
	v_mul_f64 v[5:6], v[161:162], v[5:6]
	;; [unrolled: 3-line block ×3, first 2 shown]
	v_fma_f64 v[157:158], v[157:158], v[102:103], -v[169:170]
	v_fma_f64 v[159:160], v[159:160], v[102:103], v[104:105]
	s_clause 0x2
	buffer_load_dword v174, off, s[0:3], 0 offset:460
	buffer_load_dword v170, off, s[0:3], 0 offset:436
	;; [unrolled: 1-line block ×3, first 2 shown]
	s_waitcnt vmcnt(57)
	v_fma_f64 v[161:162], v[161:162], v[1:2], -v[176:177]
	ds_read_b128 v[102:105], v156 offset:976
	v_fma_f64 v[5:6], v[163:164], v[1:2], v[5:6]
	s_clause 0x4
	buffer_load_dword v164, off, s[0:3], 0 offset:476
	buffer_load_dword v177, off, s[0:3], 0 offset:488
	;; [unrolled: 1-line block ×5, first 2 shown]
	s_waitcnt vmcnt(56)
	v_fma_f64 v[165:166], v[165:166], v[120:121], -v[180:181]
	ds_read_b128 v[1:4], v156 offset:992
	v_fma_f64 v[120:121], v[167:168], v[120:121], v[178:179]
	s_clause 0x2
	buffer_load_dword v178, off, s[0:3], 0 offset:492
	buffer_load_dword v168, off, s[0:3], 0 offset:468
	;; [unrolled: 1-line block ×3, first 2 shown]
	v_add_f64 v[157:158], v[157:158], 0
	v_add_f64 v[159:160], v[159:160], 0
	s_waitcnt lgkmcnt(1)
	v_mul_f64 v[183:184], v[102:103], v[108:109]
	v_mul_f64 v[108:109], v[104:105], v[108:109]
	s_waitcnt vmcnt(58) lgkmcnt(0)
	v_mul_f64 v[179:180], v[1:2], v[112:113]
	v_mul_f64 v[112:113], v[3:4], v[112:113]
	v_add_f64 v[161:162], v[157:158], v[161:162]
	v_add_f64 v[5:6], v[159:160], v[5:6]
	ds_read_b128 v[157:160], v156 offset:1008
	s_waitcnt vmcnt(56)
	v_fma_f64 v[108:109], v[102:103], v[114:115], -v[108:109]
	v_fma_f64 v[114:115], v[104:105], v[114:115], v[183:184]
	s_waitcnt vmcnt(51)
	v_fma_f64 v[112:113], v[1:2], v[106:107], -v[112:113]
	v_fma_f64 v[106:107], v[3:4], v[106:107], v[179:180]
	s_waitcnt lgkmcnt(0)
	v_mul_f64 v[185:186], v[157:158], v[116:117]
	v_add_f64 v[161:162], v[161:162], v[165:166]
	v_add_f64 v[5:6], v[5:6], v[120:121]
	s_clause 0x4
	buffer_load_dword v121, off, s[0:3], 0 offset:508
	buffer_load_dword v165, off, s[0:3], 0 offset:520
	buffer_load_dword v184, off, s[0:3], 0 offset:512
	buffer_load_dword v120, off, s[0:3], 0 offset:504
	buffer_load_dword v183, off, s[0:3], 0 offset:484
	v_mul_f64 v[116:117], v[159:160], v[116:117]
	ds_read_b128 v[102:105], v156 offset:1024
	v_add_f64 v[108:109], v[161:162], v[108:109]
	v_add_f64 v[5:6], v[5:6], v[114:115]
	s_clause 0x2
	buffer_load_dword v166, off, s[0:3], 0 offset:524
	buffer_load_dword v115, off, s[0:3], 0 offset:500
	;; [unrolled: 1-line block ×3, first 2 shown]
	s_waitcnt vmcnt(58) lgkmcnt(0)
	v_mul_f64 v[161:162], v[102:103], v[122:123]
	v_mul_f64 v[122:123], v[104:105], v[122:123]
	s_waitcnt vmcnt(56)
	v_fma_f64 v[116:117], v[157:158], v[124:125], -v[116:117]
	ds_read_b128 v[1:4], v156 offset:1040
	v_fma_f64 v[124:125], v[159:160], v[124:125], v[185:186]
	s_clause 0x4
	buffer_load_dword v158, off, s[0:3], 0 offset:540
	buffer_load_dword v159, off, s[0:3], 0 offset:552
	buffer_load_dword v179, off, s[0:3], 0 offset:544
	buffer_load_dword v157, off, s[0:3], 0 offset:536
	buffer_load_dword v185, off, s[0:3], 0 offset:516
	v_add_f64 v[112:113], v[108:109], v[112:113]
	v_add_f64 v[5:6], v[5:6], v[106:107]
	ds_read_b128 v[106:109], v156 offset:1056
	s_waitcnt vmcnt(57) lgkmcnt(1)
	v_mul_f64 v[180:181], v[1:2], v[126:127]
	v_mul_f64 v[126:127], v[3:4], v[126:127]
	s_waitcnt vmcnt(56)
	v_fma_f64 v[122:123], v[102:103], v[110:111], -v[122:123]
	v_fma_f64 v[110:111], v[104:105], v[110:111], v[161:162]
	v_add_f64 v[112:113], v[112:113], v[116:117]
	v_add_f64 v[5:6], v[5:6], v[124:125]
	s_clause 0x2
	buffer_load_dword v160, off, s[0:3], 0 offset:556
	buffer_load_dword v117, off, s[0:3], 0 offset:532
	buffer_load_dword v116, off, s[0:3], 0 offset:528
	s_waitcnt vmcnt(58) lgkmcnt(0)
	v_mul_f64 v[124:125], v[106:107], v[130:131]
	v_mul_f64 v[130:131], v[108:109], v[130:131]
	s_waitcnt vmcnt(56)
	v_fma_f64 v[126:127], v[1:2], v[132:133], -v[126:127]
	ds_read_b128 v[102:105], v156 offset:1072
	v_add_f64 v[112:113], v[112:113], v[122:123]
	v_fma_f64 v[122:123], v[3:4], v[132:133], v[180:181]
	v_add_f64 v[5:6], v[5:6], v[110:111]
	s_clause 0x4
	buffer_load_dword v111, off, s[0:3], 0 offset:572
	buffer_load_dword v132, off, s[0:3], 0 offset:584
	;; [unrolled: 1-line block ×5, first 2 shown]
	s_waitcnt vmcnt(57) lgkmcnt(0)
	v_mul_f64 v[186:187], v[102:103], v[134:135]
	v_mul_f64 v[134:135], v[104:105], v[134:135]
	s_waitcnt vmcnt(56)
	v_fma_f64 v[130:131], v[106:107], v[118:119], -v[130:131]
	ds_read_b128 v[1:4], v156 offset:1088
	v_fma_f64 v[118:119], v[108:109], v[118:119], v[124:125]
	v_add_f64 v[112:113], v[112:113], v[126:127]
	v_add_f64 v[5:6], v[5:6], v[122:123]
	s_clause 0x2
	buffer_load_dword v133, off, s[0:3], 0 offset:588
	buffer_load_dword v123, off, s[0:3], 0 offset:564
	;; [unrolled: 1-line block ×3, first 2 shown]
	ds_read_b128 v[106:109], v156 offset:1104
	s_waitcnt vmcnt(58) lgkmcnt(1)
	v_mul_f64 v[126:127], v[3:4], v[138:139]
	s_waitcnt vmcnt(56)
	v_fma_f64 v[134:135], v[102:103], v[140:141], -v[134:135]
	v_mul_f64 v[124:125], v[1:2], v[138:139]
	v_add_f64 v[112:113], v[112:113], v[130:131]
	v_fma_f64 v[130:131], v[104:105], v[140:141], v[186:187]
	v_add_f64 v[5:6], v[5:6], v[118:119]
	s_clause 0x4
	buffer_load_dword v119, off, s[0:3], 0 offset:604
	buffer_load_dword v138, off, s[0:3], 0 offset:616
	;; [unrolled: 1-line block ×5, first 2 shown]
	s_waitcnt vmcnt(57) lgkmcnt(0)
	v_mul_f64 v[186:187], v[106:107], v[142:143]
	v_mul_f64 v[141:142], v[108:109], v[142:143]
	s_waitcnt vmcnt(56)
	v_fma_f64 v[126:127], v[1:2], v[128:129], -v[126:127]
	ds_read_b128 v[102:105], v156 offset:1120
	v_fma_f64 v[124:125], v[3:4], v[128:129], v[124:125]
	s_clause 0x2
	buffer_load_dword v139, off, s[0:3], 0 offset:620
	buffer_load_dword v129, off, s[0:3], 0 offset:596
	;; [unrolled: 1-line block ×3, first 2 shown]
	ds_read_b128 v[1:4], v156 offset:1136
	v_add_f64 v[112:113], v[112:113], v[134:135]
	v_add_f64 v[5:6], v[5:6], v[130:131]
	s_waitcnt vmcnt(58) lgkmcnt(1)
	v_mul_f64 v[134:135], v[104:105], v[146:147]
	s_waitcnt vmcnt(56)
	v_fma_f64 v[142:143], v[106:107], v[148:149], -v[141:142]
	v_mul_f64 v[130:131], v[102:103], v[146:147]
	v_add_f64 v[112:113], v[112:113], v[126:127]
	v_fma_f64 v[126:127], v[108:109], v[148:149], v[186:187]
	v_add_f64 v[5:6], v[5:6], v[124:125]
	s_clause 0x4
	buffer_load_dword v125, off, s[0:3], 0 offset:636
	buffer_load_dword v146, off, s[0:3], 0 offset:648
	;; [unrolled: 1-line block ×5, first 2 shown]
	s_waitcnt vmcnt(57) lgkmcnt(0)
	v_mul_f64 v[186:187], v[1:2], v[150:151]
	v_mul_f64 v[149:150], v[3:4], v[150:151]
	s_waitcnt vmcnt(56)
	v_fma_f64 v[134:135], v[102:103], v[136:137], -v[134:135]
	ds_read_b128 v[106:109], v156 offset:1152
	v_fma_f64 v[130:131], v[104:105], v[136:137], v[130:131]
	v_add_f64 v[112:113], v[112:113], v[142:143]
	v_add_f64 v[5:6], v[5:6], v[126:127]
	s_clause 0x2
	buffer_load_dword v147, off, s[0:3], 0 offset:652
	buffer_load_dword v127, off, s[0:3], 0 offset:628
	;; [unrolled: 1-line block ×3, first 2 shown]
	ds_read_b128 v[102:105], v156 offset:1168
	s_waitcnt vmcnt(58) lgkmcnt(1)
	v_mul_f64 v[142:143], v[108:109], v[152:153]
	s_waitcnt vmcnt(56)
	v_fma_f64 v[150:151], v[1:2], v[154:155], -v[149:150]
	v_mul_f64 v[136:137], v[106:107], v[152:153]
	v_add_f64 v[112:113], v[112:113], v[134:135]
	v_fma_f64 v[134:135], v[3:4], v[154:155], v[186:187]
	v_add_f64 v[5:6], v[5:6], v[130:131]
	s_clause 0x4
	buffer_load_dword v131, off, s[0:3], 0 offset:668
	buffer_load_dword v152, off, s[0:3], 0 offset:680
	;; [unrolled: 1-line block ×5, first 2 shown]
	s_waitcnt vmcnt(57) lgkmcnt(0)
	v_mul_f64 v[186:187], v[102:103], v[171:172]
	v_mul_f64 v[171:172], v[104:105], v[171:172]
	s_waitcnt vmcnt(56)
	v_fma_f64 v[142:143], v[106:107], v[144:145], -v[142:143]
	ds_read_b128 v[1:4], v156 offset:1184
	v_fma_f64 v[136:137], v[108:109], v[144:145], v[136:137]
	v_add_f64 v[112:113], v[112:113], v[150:151]
	v_add_f64 v[5:6], v[5:6], v[134:135]
	s_clause 0x2
	buffer_load_dword v153, off, s[0:3], 0 offset:684
	buffer_load_dword v135, off, s[0:3], 0 offset:660
	;; [unrolled: 1-line block ×3, first 2 shown]
	ds_read_b128 v[106:109], v156 offset:1200
	s_waitcnt vmcnt(58) lgkmcnt(1)
	v_mul_f64 v[150:151], v[3:4], v[173:174]
	v_mul_f64 v[144:145], v[1:2], v[173:174]
	s_waitcnt vmcnt(56)
	v_fma_f64 v[171:172], v[102:103], v[169:170], -v[171:172]
	v_add_f64 v[112:113], v[112:113], v[142:143]
	v_fma_f64 v[142:143], v[104:105], v[169:170], v[186:187]
	v_add_f64 v[5:6], v[5:6], v[136:137]
	s_clause 0x4
	buffer_load_dword v137, off, s[0:3], 0 offset:700
	buffer_load_dword v169, off, s[0:3], 0 offset:712
	;; [unrolled: 1-line block ×5, first 2 shown]
	s_waitcnt vmcnt(57) lgkmcnt(0)
	v_mul_f64 v[186:187], v[106:107], v[163:164]
	v_mul_f64 v[163:164], v[108:109], v[163:164]
	ds_read_b128 v[102:105], v156 offset:1216
	s_waitcnt vmcnt(56)
	v_fma_f64 v[150:151], v[1:2], v[175:176], -v[150:151]
	v_fma_f64 v[144:145], v[3:4], v[175:176], v[144:145]
	v_add_f64 v[112:113], v[112:113], v[171:172]
	v_add_f64 v[5:6], v[5:6], v[142:143]
	s_clause 0x2
	buffer_load_dword v170, off, s[0:3], 0 offset:716
	buffer_load_dword v143, off, s[0:3], 0 offset:692
	buffer_load_dword v142, off, s[0:3], 0 offset:688
	s_waitcnt vmcnt(58) lgkmcnt(0)
	v_mul_f64 v[175:176], v[104:105], v[177:178]
	s_waitcnt vmcnt(56)
	v_fma_f64 v[163:164], v[106:107], v[167:168], -v[163:164]
	ds_read_b128 v[1:4], v156 offset:1232
	v_mul_f64 v[171:172], v[102:103], v[177:178]
	v_add_f64 v[112:113], v[112:113], v[150:151]
	v_fma_f64 v[150:151], v[108:109], v[167:168], v[186:187]
	v_add_f64 v[5:6], v[5:6], v[144:145]
	s_clause 0x4
	buffer_load_dword v145, off, s[0:3], 0 offset:732
	buffer_load_dword v167, off, s[0:3], 0 offset:744
	;; [unrolled: 1-line block ×5, first 2 shown]
	ds_read_b128 v[106:109], v156 offset:1248
	s_waitcnt vmcnt(57) lgkmcnt(1)
	v_mul_f64 v[186:187], v[1:2], v[120:121]
	v_mul_f64 v[120:121], v[3:4], v[120:121]
	s_waitcnt vmcnt(56)
	v_fma_f64 v[175:176], v[102:103], v[182:183], -v[175:176]
	v_add_f64 v[112:113], v[112:113], v[163:164]
	v_fma_f64 v[163:164], v[104:105], v[182:183], v[171:172]
	v_add_f64 v[5:6], v[5:6], v[150:151]
	s_clause 0x2
	buffer_load_dword v168, off, s[0:3], 0 offset:748
	buffer_load_dword v151, off, s[0:3], 0 offset:724
	;; [unrolled: 1-line block ×3, first 2 shown]
	ds_read_b128 v[102:105], v156 offset:1264
	s_waitcnt vmcnt(58) lgkmcnt(1)
	v_mul_f64 v[171:172], v[106:107], v[165:166]
	v_mul_f64 v[165:166], v[108:109], v[165:166]
	s_waitcnt vmcnt(56)
	v_fma_f64 v[120:121], v[1:2], v[114:115], -v[120:121]
	v_fma_f64 v[114:115], v[3:4], v[114:115], v[186:187]
	v_add_f64 v[112:113], v[112:113], v[175:176]
	v_add_f64 v[5:6], v[5:6], v[163:164]
	s_clause 0x2
	buffer_load_dword v164, off, s[0:3], 0 offset:764
	buffer_load_dword v163, off, s[0:3], 0 offset:760
	;; [unrolled: 1-line block ×3, first 2 shown]
	s_waitcnt vmcnt(55) lgkmcnt(0)
	v_mul_f64 v[175:176], v[102:103], v[157:158]
	v_mul_f64 v[157:158], v[104:105], v[157:158]
	ds_read_b128 v[1:4], v156 offset:1280
	s_waitcnt vmcnt(54)
	v_fma_f64 v[165:166], v[106:107], v[184:185], -v[165:166]
	v_add_f64 v[112:113], v[112:113], v[120:121]
	v_fma_f64 v[120:121], v[108:109], v[184:185], v[171:172]
	v_add_f64 v[5:6], v[5:6], v[114:115]
	s_clause 0x1
	buffer_load_dword v115, off, s[0:3], 0 offset:756
	buffer_load_dword v114, off, s[0:3], 0 offset:752
	ds_read_b128 v[106:109], v156 offset:1296
	s_waitcnt vmcnt(55) lgkmcnt(1)
	v_mul_f64 v[171:172], v[1:2], v[159:160]
	v_mul_f64 v[159:160], v[3:4], v[159:160]
	s_waitcnt vmcnt(53)
	v_fma_f64 v[157:158], v[102:103], v[116:117], -v[157:158]
	v_fma_f64 v[116:117], v[104:105], v[116:117], v[175:176]
	ds_read_b128 v[102:105], v156 offset:1312
	v_add_f64 v[112:113], v[112:113], v[165:166]
	v_add_f64 v[5:6], v[5:6], v[120:121]
	s_waitcnt vmcnt(49) lgkmcnt(1)
	v_mul_f64 v[120:121], v[106:107], v[110:111]
	v_mul_f64 v[110:111], v[108:109], v[110:111]
	s_waitcnt vmcnt(48)
	v_fma_f64 v[159:160], v[1:2], v[179:180], -v[159:160]
	v_add_f64 v[112:113], v[112:113], v[157:158]
	v_fma_f64 v[157:158], v[3:4], v[179:180], v[171:172]
	v_add_f64 v[5:6], v[5:6], v[116:117]
	s_clause 0x3
	buffer_load_dword v116, off, s[0:3], 0 offset:176
	buffer_load_dword v117, off, s[0:3], 0 offset:180
	;; [unrolled: 1-line block ×4, first 2 shown]
	ds_read_b128 v[1:4], v156 offset:1328
	s_waitcnt vmcnt(51) lgkmcnt(1)
	v_mul_f64 v[171:172], v[102:103], v[132:133]
	v_mul_f64 v[132:133], v[104:105], v[132:133]
	s_waitcnt vmcnt(49)
	v_fma_f64 v[110:111], v[106:107], v[122:123], -v[110:111]
	v_fma_f64 v[120:121], v[108:109], v[122:123], v[120:121]
	ds_read_b128 v[106:109], v156 offset:1344
	v_add_f64 v[112:113], v[112:113], v[159:160]
	v_add_f64 v[5:6], v[5:6], v[157:158]
	s_waitcnt vmcnt(45) lgkmcnt(1)
	v_mul_f64 v[122:123], v[1:2], v[118:119]
	v_mul_f64 v[118:119], v[3:4], v[118:119]
	s_waitcnt vmcnt(44)
	v_fma_f64 v[132:133], v[102:103], v[161:162], -v[132:133]
	v_add_f64 v[110:111], v[112:113], v[110:111]
	v_fma_f64 v[112:113], v[104:105], v[161:162], v[171:172]
	v_add_f64 v[5:6], v[5:6], v[120:121]
	s_waitcnt vmcnt(43) lgkmcnt(0)
	v_mul_f64 v[120:121], v[106:107], v[138:139]
	v_mul_f64 v[138:139], v[108:109], v[138:139]
	ds_read_b128 v[102:105], v156 offset:1360
	s_waitcnt vmcnt(41)
	v_fma_f64 v[122:123], v[3:4], v[128:129], v[122:123]
	v_fma_f64 v[118:119], v[1:2], v[128:129], -v[118:119]
	ds_read_b128 v[1:4], v156 offset:1376
	v_add_f64 v[110:111], v[110:111], v[132:133]
	v_add_f64 v[5:6], v[5:6], v[112:113]
	s_waitcnt vmcnt(37) lgkmcnt(1)
	v_mul_f64 v[112:113], v[102:103], v[124:125]
	v_mul_f64 v[124:125], v[104:105], v[124:125]
	s_waitcnt vmcnt(36)
	v_fma_f64 v[128:129], v[106:107], v[140:141], -v[138:139]
	v_add_f64 v[110:111], v[110:111], v[118:119]
	v_fma_f64 v[118:119], v[108:109], v[140:141], v[120:121]
	v_add_f64 v[5:6], v[5:6], v[122:123]
	ds_read_b128 v[106:109], v156 offset:1392
	s_waitcnt vmcnt(35) lgkmcnt(1)
	v_mul_f64 v[122:123], v[3:4], v[146:147]
	v_mul_f64 v[120:121], v[1:2], v[146:147]
	s_waitcnt vmcnt(33)
	v_fma_f64 v[124:125], v[102:103], v[126:127], -v[124:125]
	v_fma_f64 v[112:113], v[104:105], v[126:127], v[112:113]
	ds_read_b128 v[102:105], v156 offset:1408
	v_add_f64 v[110:111], v[110:111], v[128:129]
	v_add_f64 v[5:6], v[5:6], v[118:119]
	s_waitcnt vmcnt(29) lgkmcnt(1)
	v_mul_f64 v[126:127], v[108:109], v[130:131]
	s_waitcnt vmcnt(28)
	v_fma_f64 v[122:123], v[1:2], v[148:149], -v[122:123]
	v_mul_f64 v[118:119], v[106:107], v[130:131]
	v_fma_f64 v[120:121], v[3:4], v[148:149], v[120:121]
	ds_read_b128 v[1:4], v156 offset:1424
	v_add_f64 v[110:111], v[110:111], v[124:125]
	v_add_f64 v[5:6], v[5:6], v[112:113]
	s_waitcnt vmcnt(27) lgkmcnt(1)
	v_mul_f64 v[124:125], v[104:105], v[152:153]
	v_mul_f64 v[112:113], v[102:103], v[152:153]
	s_waitcnt vmcnt(25)
	v_fma_f64 v[126:127], v[106:107], v[134:135], -v[126:127]
	v_fma_f64 v[118:119], v[108:109], v[134:135], v[118:119]
	ds_read_b128 v[106:109], v156 offset:1440
	v_add_f64 v[110:111], v[110:111], v[122:123]
	v_add_f64 v[5:6], v[5:6], v[120:121]
	s_waitcnt vmcnt(21) lgkmcnt(1)
	v_mul_f64 v[122:123], v[3:4], v[136:137]
	s_waitcnt vmcnt(20)
	v_fma_f64 v[124:125], v[102:103], v[154:155], -v[124:125]
	v_mul_f64 v[120:121], v[1:2], v[136:137]
	v_fma_f64 v[112:113], v[104:105], v[154:155], v[112:113]
	ds_read_b128 v[102:105], v156 offset:1456
	v_add_f64 v[110:111], v[110:111], v[126:127]
	v_add_f64 v[5:6], v[5:6], v[118:119]
	;; [unrolled: 18-line block ×3, first 2 shown]
	s_waitcnt vmcnt(11) lgkmcnt(1)
	v_mul_f64 v[122:123], v[3:4], v[167:168]
	v_mul_f64 v[120:121], v[1:2], v[167:168]
	s_waitcnt vmcnt(9)
	v_fma_f64 v[102:103], v[102:103], v[150:151], -v[124:125]
	v_fma_f64 v[104:105], v[104:105], v[150:151], v[112:113]
	v_add_f64 v[110:111], v[110:111], v[126:127]
	v_add_f64 v[5:6], v[5:6], v[118:119]
	s_waitcnt vmcnt(7) lgkmcnt(0)
	v_mul_f64 v[118:119], v[108:109], v[163:164]
	s_waitcnt vmcnt(6)
	v_fma_f64 v[1:2], v[1:2], v[177:178], -v[122:123]
	v_mul_f64 v[112:113], v[106:107], v[163:164]
	v_fma_f64 v[3:4], v[3:4], v[177:178], v[120:121]
	v_add_f64 v[102:103], v[110:111], v[102:103]
	v_add_f64 v[5:6], v[5:6], v[104:105]
	s_waitcnt vmcnt(4)
	v_fma_f64 v[104:105], v[106:107], v[114:115], -v[118:119]
	v_add_f64 v[1:2], v[102:103], v[1:2]
	v_fma_f64 v[102:103], v[108:109], v[114:115], v[112:113]
	v_add_f64 v[3:4], v[5:6], v[3:4]
	v_add_f64 v[1:2], v[1:2], v[104:105]
	v_add_f64 v[3:4], v[3:4], v[102:103]
	s_waitcnt vmcnt(2)
	v_add_f64 v[1:2], v[116:117], -v[1:2]
	s_waitcnt vmcnt(0)
	v_add_f64 v[3:4], v[165:166], -v[3:4]
	buffer_store_dword v2, off, s[0:3], 0 offset:180
	buffer_store_dword v1, off, s[0:3], 0 offset:176
	;; [unrolled: 1-line block ×4, first 2 shown]
	v_cmpx_lt_u32_e32 9, v0
	s_cbranch_execz .LBB110_277
; %bb.276:
	v_mov_b32_e32 v4, s50
	v_mov_b32_e32 v5, 0
	s_clause 0x3
	buffer_load_dword v1, v4, s[0:3], 0 offen
	buffer_load_dword v2, v4, s[0:3], 0 offen offset:4
	buffer_load_dword v3, v4, s[0:3], 0 offen offset:8
	;; [unrolled: 1-line block ×3, first 2 shown]
	buffer_store_dword v5, off, s[0:3], 0 offset:160
	buffer_store_dword v5, off, s[0:3], 0 offset:164
	;; [unrolled: 1-line block ×4, first 2 shown]
	s_waitcnt vmcnt(0)
	ds_write_b128 v7, v[1:4]
.LBB110_277:
	s_or_b32 exec_lo, exec_lo, s4
	s_waitcnt lgkmcnt(0)
	s_waitcnt_vscnt null, 0x0
	s_barrier
	buffer_gl0_inv
	s_clause 0x37
	buffer_load_dword v104, off, s[0:3], 0 offset:184
	buffer_load_dword v105, off, s[0:3], 0 offset:188
	;; [unrolled: 1-line block ×56, first 2 shown]
	v_mov_b32_e32 v156, 0
	s_mov_b32 s4, exec_lo
	ds_read_b128 v[157:160], v156 offset:912
	s_clause 0x2
	buffer_load_dword v153, off, s[0:3], 0 offset:412
	buffer_load_dword v155, off, s[0:3], 0 offset:388
	;; [unrolled: 1-line block ×3, first 2 shown]
	ds_read_b128 v[161:164], v156 offset:928
	s_clause 0x4
	buffer_load_dword v172, off, s[0:3], 0 offset:428
	buffer_load_dword v173, off, s[0:3], 0 offset:440
	;; [unrolled: 1-line block ×5, first 2 shown]
	ds_read_b128 v[165:168], v156 offset:944
	s_waitcnt vmcnt(62) lgkmcnt(2)
	v_mul_f64 v[169:170], v[159:160], v[104:105]
	v_mul_f64 v[104:105], v[157:158], v[104:105]
	s_waitcnt vmcnt(60) lgkmcnt(1)
	v_mul_f64 v[176:177], v[163:164], v[5:6]
	v_mul_f64 v[5:6], v[161:162], v[5:6]
	;; [unrolled: 3-line block ×3, first 2 shown]
	v_fma_f64 v[157:158], v[157:158], v[102:103], -v[169:170]
	v_fma_f64 v[159:160], v[159:160], v[102:103], v[104:105]
	s_clause 0x2
	buffer_load_dword v174, off, s[0:3], 0 offset:444
	buffer_load_dword v170, off, s[0:3], 0 offset:420
	;; [unrolled: 1-line block ×3, first 2 shown]
	s_waitcnt vmcnt(57)
	v_fma_f64 v[161:162], v[161:162], v[1:2], -v[176:177]
	ds_read_b128 v[102:105], v156 offset:960
	v_fma_f64 v[5:6], v[163:164], v[1:2], v[5:6]
	s_clause 0x4
	buffer_load_dword v164, off, s[0:3], 0 offset:460
	buffer_load_dword v177, off, s[0:3], 0 offset:472
	;; [unrolled: 1-line block ×5, first 2 shown]
	s_waitcnt vmcnt(56)
	v_fma_f64 v[165:166], v[165:166], v[120:121], -v[180:181]
	ds_read_b128 v[1:4], v156 offset:976
	v_fma_f64 v[120:121], v[167:168], v[120:121], v[178:179]
	s_clause 0x2
	buffer_load_dword v178, off, s[0:3], 0 offset:476
	buffer_load_dword v168, off, s[0:3], 0 offset:452
	;; [unrolled: 1-line block ×3, first 2 shown]
	v_add_f64 v[157:158], v[157:158], 0
	v_add_f64 v[159:160], v[159:160], 0
	s_waitcnt lgkmcnt(1)
	v_mul_f64 v[183:184], v[102:103], v[108:109]
	v_mul_f64 v[108:109], v[104:105], v[108:109]
	s_waitcnt vmcnt(58) lgkmcnt(0)
	v_mul_f64 v[179:180], v[1:2], v[112:113]
	v_mul_f64 v[112:113], v[3:4], v[112:113]
	v_add_f64 v[161:162], v[157:158], v[161:162]
	v_add_f64 v[5:6], v[159:160], v[5:6]
	ds_read_b128 v[157:160], v156 offset:992
	s_waitcnt vmcnt(56)
	v_fma_f64 v[108:109], v[102:103], v[114:115], -v[108:109]
	v_fma_f64 v[114:115], v[104:105], v[114:115], v[183:184]
	s_waitcnt vmcnt(51)
	v_fma_f64 v[112:113], v[1:2], v[106:107], -v[112:113]
	v_fma_f64 v[106:107], v[3:4], v[106:107], v[179:180]
	s_waitcnt lgkmcnt(0)
	v_mul_f64 v[185:186], v[157:158], v[116:117]
	v_add_f64 v[161:162], v[161:162], v[165:166]
	v_add_f64 v[5:6], v[5:6], v[120:121]
	s_clause 0x4
	buffer_load_dword v121, off, s[0:3], 0 offset:492
	buffer_load_dword v165, off, s[0:3], 0 offset:504
	;; [unrolled: 1-line block ×5, first 2 shown]
	v_mul_f64 v[116:117], v[159:160], v[116:117]
	ds_read_b128 v[102:105], v156 offset:1008
	v_add_f64 v[108:109], v[161:162], v[108:109]
	v_add_f64 v[5:6], v[5:6], v[114:115]
	s_clause 0x2
	buffer_load_dword v166, off, s[0:3], 0 offset:508
	buffer_load_dword v115, off, s[0:3], 0 offset:484
	;; [unrolled: 1-line block ×3, first 2 shown]
	s_waitcnt vmcnt(58) lgkmcnt(0)
	v_mul_f64 v[161:162], v[102:103], v[122:123]
	v_mul_f64 v[122:123], v[104:105], v[122:123]
	s_waitcnt vmcnt(56)
	v_fma_f64 v[116:117], v[157:158], v[124:125], -v[116:117]
	ds_read_b128 v[1:4], v156 offset:1024
	v_fma_f64 v[124:125], v[159:160], v[124:125], v[185:186]
	s_clause 0x4
	buffer_load_dword v158, off, s[0:3], 0 offset:524
	buffer_load_dword v159, off, s[0:3], 0 offset:536
	;; [unrolled: 1-line block ×5, first 2 shown]
	v_add_f64 v[112:113], v[108:109], v[112:113]
	v_add_f64 v[5:6], v[5:6], v[106:107]
	ds_read_b128 v[106:109], v156 offset:1040
	s_waitcnt vmcnt(57) lgkmcnt(1)
	v_mul_f64 v[180:181], v[1:2], v[126:127]
	v_mul_f64 v[126:127], v[3:4], v[126:127]
	s_waitcnt vmcnt(56)
	v_fma_f64 v[122:123], v[102:103], v[110:111], -v[122:123]
	v_fma_f64 v[110:111], v[104:105], v[110:111], v[161:162]
	v_add_f64 v[112:113], v[112:113], v[116:117]
	v_add_f64 v[5:6], v[5:6], v[124:125]
	s_clause 0x2
	buffer_load_dword v160, off, s[0:3], 0 offset:540
	buffer_load_dword v117, off, s[0:3], 0 offset:516
	;; [unrolled: 1-line block ×3, first 2 shown]
	s_waitcnt vmcnt(58) lgkmcnt(0)
	v_mul_f64 v[124:125], v[106:107], v[130:131]
	v_mul_f64 v[130:131], v[108:109], v[130:131]
	s_waitcnt vmcnt(56)
	v_fma_f64 v[126:127], v[1:2], v[132:133], -v[126:127]
	ds_read_b128 v[102:105], v156 offset:1056
	v_add_f64 v[112:113], v[112:113], v[122:123]
	v_fma_f64 v[122:123], v[3:4], v[132:133], v[180:181]
	v_add_f64 v[5:6], v[5:6], v[110:111]
	s_clause 0x4
	buffer_load_dword v111, off, s[0:3], 0 offset:556
	buffer_load_dword v132, off, s[0:3], 0 offset:568
	;; [unrolled: 1-line block ×5, first 2 shown]
	s_waitcnt vmcnt(57) lgkmcnt(0)
	v_mul_f64 v[186:187], v[102:103], v[134:135]
	v_mul_f64 v[134:135], v[104:105], v[134:135]
	s_waitcnt vmcnt(56)
	v_fma_f64 v[130:131], v[106:107], v[118:119], -v[130:131]
	ds_read_b128 v[1:4], v156 offset:1072
	v_fma_f64 v[118:119], v[108:109], v[118:119], v[124:125]
	v_add_f64 v[112:113], v[112:113], v[126:127]
	v_add_f64 v[5:6], v[5:6], v[122:123]
	s_clause 0x2
	buffer_load_dword v133, off, s[0:3], 0 offset:572
	buffer_load_dword v123, off, s[0:3], 0 offset:548
	;; [unrolled: 1-line block ×3, first 2 shown]
	ds_read_b128 v[106:109], v156 offset:1088
	s_waitcnt vmcnt(58) lgkmcnt(1)
	v_mul_f64 v[126:127], v[3:4], v[138:139]
	s_waitcnt vmcnt(56)
	v_fma_f64 v[134:135], v[102:103], v[140:141], -v[134:135]
	v_mul_f64 v[124:125], v[1:2], v[138:139]
	v_add_f64 v[112:113], v[112:113], v[130:131]
	v_fma_f64 v[130:131], v[104:105], v[140:141], v[186:187]
	v_add_f64 v[5:6], v[5:6], v[118:119]
	s_clause 0x4
	buffer_load_dword v119, off, s[0:3], 0 offset:588
	buffer_load_dword v138, off, s[0:3], 0 offset:600
	;; [unrolled: 1-line block ×5, first 2 shown]
	s_waitcnt vmcnt(57) lgkmcnt(0)
	v_mul_f64 v[186:187], v[106:107], v[142:143]
	v_mul_f64 v[141:142], v[108:109], v[142:143]
	s_waitcnt vmcnt(56)
	v_fma_f64 v[126:127], v[1:2], v[128:129], -v[126:127]
	ds_read_b128 v[102:105], v156 offset:1104
	v_fma_f64 v[124:125], v[3:4], v[128:129], v[124:125]
	s_clause 0x2
	buffer_load_dword v139, off, s[0:3], 0 offset:604
	buffer_load_dword v129, off, s[0:3], 0 offset:580
	;; [unrolled: 1-line block ×3, first 2 shown]
	ds_read_b128 v[1:4], v156 offset:1120
	v_add_f64 v[112:113], v[112:113], v[134:135]
	v_add_f64 v[5:6], v[5:6], v[130:131]
	s_waitcnt vmcnt(58) lgkmcnt(1)
	v_mul_f64 v[134:135], v[104:105], v[146:147]
	s_waitcnt vmcnt(56)
	v_fma_f64 v[142:143], v[106:107], v[148:149], -v[141:142]
	v_mul_f64 v[130:131], v[102:103], v[146:147]
	v_add_f64 v[112:113], v[112:113], v[126:127]
	v_fma_f64 v[126:127], v[108:109], v[148:149], v[186:187]
	v_add_f64 v[5:6], v[5:6], v[124:125]
	s_clause 0x4
	buffer_load_dword v125, off, s[0:3], 0 offset:620
	buffer_load_dword v146, off, s[0:3], 0 offset:632
	;; [unrolled: 1-line block ×5, first 2 shown]
	s_waitcnt vmcnt(57) lgkmcnt(0)
	v_mul_f64 v[186:187], v[1:2], v[150:151]
	v_mul_f64 v[149:150], v[3:4], v[150:151]
	s_waitcnt vmcnt(56)
	v_fma_f64 v[134:135], v[102:103], v[136:137], -v[134:135]
	ds_read_b128 v[106:109], v156 offset:1136
	v_fma_f64 v[130:131], v[104:105], v[136:137], v[130:131]
	v_add_f64 v[112:113], v[112:113], v[142:143]
	v_add_f64 v[5:6], v[5:6], v[126:127]
	s_clause 0x2
	buffer_load_dword v147, off, s[0:3], 0 offset:636
	buffer_load_dword v127, off, s[0:3], 0 offset:612
	;; [unrolled: 1-line block ×3, first 2 shown]
	ds_read_b128 v[102:105], v156 offset:1152
	s_waitcnt vmcnt(58) lgkmcnt(1)
	v_mul_f64 v[142:143], v[108:109], v[152:153]
	s_waitcnt vmcnt(56)
	v_fma_f64 v[150:151], v[1:2], v[154:155], -v[149:150]
	v_mul_f64 v[136:137], v[106:107], v[152:153]
	v_add_f64 v[112:113], v[112:113], v[134:135]
	v_fma_f64 v[134:135], v[3:4], v[154:155], v[186:187]
	v_add_f64 v[5:6], v[5:6], v[130:131]
	s_clause 0x4
	buffer_load_dword v131, off, s[0:3], 0 offset:652
	buffer_load_dword v152, off, s[0:3], 0 offset:664
	;; [unrolled: 1-line block ×5, first 2 shown]
	s_waitcnt vmcnt(57) lgkmcnt(0)
	v_mul_f64 v[186:187], v[102:103], v[171:172]
	v_mul_f64 v[171:172], v[104:105], v[171:172]
	s_waitcnt vmcnt(56)
	v_fma_f64 v[142:143], v[106:107], v[144:145], -v[142:143]
	ds_read_b128 v[1:4], v156 offset:1168
	v_fma_f64 v[136:137], v[108:109], v[144:145], v[136:137]
	v_add_f64 v[112:113], v[112:113], v[150:151]
	v_add_f64 v[5:6], v[5:6], v[134:135]
	s_clause 0x2
	buffer_load_dword v153, off, s[0:3], 0 offset:668
	buffer_load_dword v135, off, s[0:3], 0 offset:644
	;; [unrolled: 1-line block ×3, first 2 shown]
	ds_read_b128 v[106:109], v156 offset:1184
	s_waitcnt vmcnt(58) lgkmcnt(1)
	v_mul_f64 v[150:151], v[3:4], v[173:174]
	v_mul_f64 v[144:145], v[1:2], v[173:174]
	s_waitcnt vmcnt(56)
	v_fma_f64 v[171:172], v[102:103], v[169:170], -v[171:172]
	v_add_f64 v[112:113], v[112:113], v[142:143]
	v_fma_f64 v[142:143], v[104:105], v[169:170], v[186:187]
	v_add_f64 v[5:6], v[5:6], v[136:137]
	s_clause 0x4
	buffer_load_dword v137, off, s[0:3], 0 offset:684
	buffer_load_dword v169, off, s[0:3], 0 offset:696
	;; [unrolled: 1-line block ×5, first 2 shown]
	s_waitcnt vmcnt(57) lgkmcnt(0)
	v_mul_f64 v[186:187], v[106:107], v[163:164]
	v_mul_f64 v[163:164], v[108:109], v[163:164]
	ds_read_b128 v[102:105], v156 offset:1200
	s_waitcnt vmcnt(56)
	v_fma_f64 v[150:151], v[1:2], v[175:176], -v[150:151]
	v_fma_f64 v[144:145], v[3:4], v[175:176], v[144:145]
	v_add_f64 v[112:113], v[112:113], v[171:172]
	v_add_f64 v[5:6], v[5:6], v[142:143]
	s_clause 0x2
	buffer_load_dword v170, off, s[0:3], 0 offset:700
	buffer_load_dword v143, off, s[0:3], 0 offset:676
	;; [unrolled: 1-line block ×3, first 2 shown]
	s_waitcnt vmcnt(58) lgkmcnt(0)
	v_mul_f64 v[175:176], v[104:105], v[177:178]
	s_waitcnt vmcnt(56)
	v_fma_f64 v[163:164], v[106:107], v[167:168], -v[163:164]
	ds_read_b128 v[1:4], v156 offset:1216
	v_mul_f64 v[171:172], v[102:103], v[177:178]
	v_add_f64 v[112:113], v[112:113], v[150:151]
	v_fma_f64 v[150:151], v[108:109], v[167:168], v[186:187]
	v_add_f64 v[5:6], v[5:6], v[144:145]
	s_clause 0x4
	buffer_load_dword v145, off, s[0:3], 0 offset:716
	buffer_load_dword v167, off, s[0:3], 0 offset:728
	;; [unrolled: 1-line block ×5, first 2 shown]
	ds_read_b128 v[106:109], v156 offset:1232
	s_waitcnt vmcnt(57) lgkmcnt(1)
	v_mul_f64 v[186:187], v[1:2], v[120:121]
	v_mul_f64 v[120:121], v[3:4], v[120:121]
	s_waitcnt vmcnt(56)
	v_fma_f64 v[175:176], v[102:103], v[182:183], -v[175:176]
	v_add_f64 v[112:113], v[112:113], v[163:164]
	v_fma_f64 v[163:164], v[104:105], v[182:183], v[171:172]
	v_add_f64 v[5:6], v[5:6], v[150:151]
	s_clause 0x2
	buffer_load_dword v168, off, s[0:3], 0 offset:732
	buffer_load_dword v151, off, s[0:3], 0 offset:708
	;; [unrolled: 1-line block ×3, first 2 shown]
	ds_read_b128 v[102:105], v156 offset:1248
	s_waitcnt vmcnt(58) lgkmcnt(1)
	v_mul_f64 v[171:172], v[106:107], v[165:166]
	v_mul_f64 v[165:166], v[108:109], v[165:166]
	s_waitcnt vmcnt(56)
	v_fma_f64 v[120:121], v[1:2], v[114:115], -v[120:121]
	v_fma_f64 v[114:115], v[3:4], v[114:115], v[186:187]
	v_add_f64 v[112:113], v[112:113], v[175:176]
	v_add_f64 v[5:6], v[5:6], v[163:164]
	s_clause 0x4
	buffer_load_dword v164, off, s[0:3], 0 offset:748
	buffer_load_dword v175, off, s[0:3], 0 offset:760
	buffer_load_dword v181, off, s[0:3], 0 offset:752
	buffer_load_dword v163, off, s[0:3], 0 offset:744
	buffer_load_dword v178, off, s[0:3], 0 offset:724
	s_waitcnt vmcnt(57) lgkmcnt(0)
	v_mul_f64 v[182:183], v[102:103], v[157:158]
	v_mul_f64 v[157:158], v[104:105], v[157:158]
	ds_read_b128 v[1:4], v156 offset:1264
	s_waitcnt vmcnt(56)
	v_fma_f64 v[165:166], v[106:107], v[184:185], -v[165:166]
	v_add_f64 v[112:113], v[112:113], v[120:121]
	v_fma_f64 v[120:121], v[108:109], v[184:185], v[171:172]
	v_add_f64 v[5:6], v[5:6], v[114:115]
	s_clause 0x2
	buffer_load_dword v176, off, s[0:3], 0 offset:764
	buffer_load_dword v115, off, s[0:3], 0 offset:740
	buffer_load_dword v114, off, s[0:3], 0 offset:736
	ds_read_b128 v[106:109], v156 offset:1280
	s_waitcnt vmcnt(58) lgkmcnt(1)
	v_mul_f64 v[171:172], v[1:2], v[159:160]
	v_mul_f64 v[159:160], v[3:4], v[159:160]
	s_waitcnt vmcnt(56)
	v_fma_f64 v[157:158], v[102:103], v[116:117], -v[157:158]
	v_fma_f64 v[116:117], v[104:105], v[116:117], v[182:183]
	buffer_load_dword v182, off, s[0:3], 0 offset:756
	ds_read_b128 v[102:105], v156 offset:1296
	v_add_f64 v[112:113], v[112:113], v[165:166]
	v_add_f64 v[5:6], v[5:6], v[120:121]
	s_waitcnt vmcnt(53) lgkmcnt(1)
	v_mul_f64 v[120:121], v[106:107], v[110:111]
	v_mul_f64 v[110:111], v[108:109], v[110:111]
	s_waitcnt vmcnt(52)
	v_fma_f64 v[159:160], v[1:2], v[179:180], -v[159:160]
	v_add_f64 v[112:113], v[112:113], v[157:158]
	v_fma_f64 v[157:158], v[3:4], v[179:180], v[171:172]
	v_add_f64 v[5:6], v[5:6], v[116:117]
	ds_read_b128 v[1:4], v156 offset:1312
	s_waitcnt vmcnt(51) lgkmcnt(1)
	v_mul_f64 v[116:117], v[102:103], v[132:133]
	v_mul_f64 v[132:133], v[104:105], v[132:133]
	s_waitcnt vmcnt(49)
	v_fma_f64 v[110:111], v[106:107], v[122:123], -v[110:111]
	v_fma_f64 v[120:121], v[108:109], v[122:123], v[120:121]
	v_add_f64 v[112:113], v[112:113], v[159:160]
	v_add_f64 v[5:6], v[5:6], v[157:158]
	s_clause 0x3
	buffer_load_dword v122, off, s[0:3], 0 offset:160
	buffer_load_dword v123, off, s[0:3], 0 offset:164
	buffer_load_dword v157, off, s[0:3], 0 offset:168
	buffer_load_dword v158, off, s[0:3], 0 offset:172
	ds_read_b128 v[106:109], v156 offset:1328
	s_waitcnt vmcnt(49) lgkmcnt(1)
	v_mul_f64 v[159:160], v[1:2], v[118:119]
	v_mul_f64 v[118:119], v[3:4], v[118:119]
	s_waitcnt vmcnt(48)
	v_fma_f64 v[132:133], v[102:103], v[161:162], -v[132:133]
	v_add_f64 v[110:111], v[112:113], v[110:111]
	v_fma_f64 v[112:113], v[104:105], v[161:162], v[116:117]
	v_add_f64 v[5:6], v[5:6], v[120:121]
	ds_read_b128 v[102:105], v156 offset:1344
	s_waitcnt vmcnt(47) lgkmcnt(1)
	v_mul_f64 v[120:121], v[108:109], v[138:139]
	v_mul_f64 v[116:117], v[106:107], v[138:139]
	s_waitcnt vmcnt(45)
	v_fma_f64 v[118:119], v[1:2], v[128:129], -v[118:119]
	v_fma_f64 v[128:129], v[3:4], v[128:129], v[159:160]
	ds_read_b128 v[1:4], v156 offset:1360
	v_add_f64 v[110:111], v[110:111], v[132:133]
	v_add_f64 v[5:6], v[5:6], v[112:113]
	s_waitcnt vmcnt(41) lgkmcnt(1)
	v_mul_f64 v[112:113], v[102:103], v[124:125]
	v_mul_f64 v[124:125], v[104:105], v[124:125]
	s_waitcnt vmcnt(40)
	v_fma_f64 v[120:121], v[106:107], v[140:141], -v[120:121]
	v_fma_f64 v[116:117], v[108:109], v[140:141], v[116:117]
	ds_read_b128 v[106:109], v156 offset:1376
	v_add_f64 v[110:111], v[110:111], v[118:119]
	v_add_f64 v[5:6], v[5:6], v[128:129]
	;; [unrolled: 9-line block ×3, first 2 shown]
	s_waitcnt vmcnt(33) lgkmcnt(1)
	v_mul_f64 v[120:121], v[108:109], v[130:131]
	s_waitcnt vmcnt(32)
	v_fma_f64 v[126:127], v[1:2], v[148:149], -v[128:129]
	v_mul_f64 v[116:117], v[106:107], v[130:131]
	v_fma_f64 v[118:119], v[3:4], v[148:149], v[118:119]
	ds_read_b128 v[1:4], v156 offset:1408
	v_add_f64 v[110:111], v[110:111], v[124:125]
	v_add_f64 v[5:6], v[5:6], v[112:113]
	s_waitcnt vmcnt(31) lgkmcnt(1)
	v_mul_f64 v[124:125], v[104:105], v[152:153]
	v_mul_f64 v[112:113], v[102:103], v[152:153]
	s_waitcnt vmcnt(29)
	v_fma_f64 v[120:121], v[106:107], v[134:135], -v[120:121]
	v_fma_f64 v[116:117], v[108:109], v[134:135], v[116:117]
	ds_read_b128 v[106:109], v156 offset:1424
	v_add_f64 v[110:111], v[110:111], v[126:127]
	v_add_f64 v[5:6], v[5:6], v[118:119]
	s_waitcnt vmcnt(25) lgkmcnt(1)
	v_mul_f64 v[126:127], v[3:4], v[136:137]
	s_waitcnt vmcnt(24)
	v_fma_f64 v[124:125], v[102:103], v[154:155], -v[124:125]
	v_mul_f64 v[118:119], v[1:2], v[136:137]
	v_fma_f64 v[112:113], v[104:105], v[154:155], v[112:113]
	ds_read_b128 v[102:105], v156 offset:1440
	v_add_f64 v[110:111], v[110:111], v[120:121]
	v_add_f64 v[5:6], v[5:6], v[116:117]
	s_waitcnt vmcnt(23) lgkmcnt(1)
	v_mul_f64 v[120:121], v[108:109], v[169:170]
	v_mul_f64 v[116:117], v[106:107], v[169:170]
	s_waitcnt vmcnt(21)
	v_fma_f64 v[126:127], v[1:2], v[142:143], -v[126:127]
	v_fma_f64 v[118:119], v[3:4], v[142:143], v[118:119]
	ds_read_b128 v[1:4], v156 offset:1456
	v_add_f64 v[110:111], v[110:111], v[124:125]
	v_add_f64 v[5:6], v[5:6], v[112:113]
	;; [unrolled: 18-line block ×3, first 2 shown]
	s_waitcnt vmcnt(9) lgkmcnt(1)
	v_mul_f64 v[120:121], v[108:109], v[163:164]
	s_waitcnt vmcnt(8)
	v_fma_f64 v[1:2], v[1:2], v[177:178], -v[126:127]
	v_mul_f64 v[116:117], v[106:107], v[163:164]
	v_fma_f64 v[3:4], v[3:4], v[177:178], v[118:119]
	v_add_f64 v[110:111], v[110:111], v[124:125]
	v_add_f64 v[5:6], v[5:6], v[112:113]
	s_waitcnt vmcnt(7) lgkmcnt(0)
	v_mul_f64 v[118:119], v[104:105], v[175:176]
	v_mul_f64 v[112:113], v[102:103], v[175:176]
	s_waitcnt vmcnt(5)
	v_fma_f64 v[106:107], v[106:107], v[114:115], -v[120:121]
	v_fma_f64 v[108:109], v[108:109], v[114:115], v[116:117]
	v_add_f64 v[1:2], v[110:111], v[1:2]
	v_add_f64 v[3:4], v[5:6], v[3:4]
	s_waitcnt vmcnt(4)
	v_fma_f64 v[5:6], v[102:103], v[181:182], -v[118:119]
	v_fma_f64 v[102:103], v[104:105], v[181:182], v[112:113]
	v_add_f64 v[1:2], v[1:2], v[106:107]
	v_add_f64 v[3:4], v[3:4], v[108:109]
	;; [unrolled: 1-line block ×4, first 2 shown]
	s_waitcnt vmcnt(2)
	v_add_f64 v[1:2], v[122:123], -v[1:2]
	s_waitcnt vmcnt(0)
	v_add_f64 v[3:4], v[157:158], -v[3:4]
	buffer_store_dword v2, off, s[0:3], 0 offset:164
	buffer_store_dword v1, off, s[0:3], 0 offset:160
	;; [unrolled: 1-line block ×4, first 2 shown]
	v_cmpx_lt_u32_e32 8, v0
	s_cbranch_execz .LBB110_279
; %bb.278:
	v_mov_b32_e32 v4, s51
	s_clause 0x3
	buffer_load_dword v1, v4, s[0:3], 0 offen
	buffer_load_dword v2, v4, s[0:3], 0 offen offset:4
	buffer_load_dword v3, v4, s[0:3], 0 offen offset:8
	;; [unrolled: 1-line block ×3, first 2 shown]
	buffer_store_dword v156, off, s[0:3], 0 offset:144
	buffer_store_dword v156, off, s[0:3], 0 offset:148
	;; [unrolled: 1-line block ×4, first 2 shown]
	s_waitcnt vmcnt(0)
	ds_write_b128 v7, v[1:4]
.LBB110_279:
	s_or_b32 exec_lo, exec_lo, s4
	s_waitcnt lgkmcnt(0)
	s_waitcnt_vscnt null, 0x0
	s_barrier
	buffer_gl0_inv
	s_clause 0x37
	buffer_load_dword v104, off, s[0:3], 0 offset:168
	buffer_load_dword v105, off, s[0:3], 0 offset:172
	;; [unrolled: 1-line block ×56, first 2 shown]
	ds_read_b128 v[157:160], v156 offset:896
	s_clause 0x2
	buffer_load_dword v153, off, s[0:3], 0 offset:396
	buffer_load_dword v155, off, s[0:3], 0 offset:372
	;; [unrolled: 1-line block ×3, first 2 shown]
	ds_read_b128 v[161:164], v156 offset:912
	s_clause 0x4
	buffer_load_dword v172, off, s[0:3], 0 offset:412
	buffer_load_dword v173, off, s[0:3], 0 offset:424
	;; [unrolled: 1-line block ×5, first 2 shown]
	ds_read_b128 v[165:168], v156 offset:928
	s_mov_b32 s4, exec_lo
	s_waitcnt vmcnt(62) lgkmcnt(2)
	v_mul_f64 v[169:170], v[159:160], v[104:105]
	v_mul_f64 v[104:105], v[157:158], v[104:105]
	s_waitcnt vmcnt(60) lgkmcnt(1)
	v_mul_f64 v[176:177], v[163:164], v[5:6]
	v_mul_f64 v[5:6], v[161:162], v[5:6]
	s_waitcnt vmcnt(56) lgkmcnt(0)
	v_mul_f64 v[180:181], v[167:168], v[3:4]
	v_mul_f64 v[178:179], v[165:166], v[3:4]
	v_fma_f64 v[157:158], v[157:158], v[102:103], -v[169:170]
	v_fma_f64 v[159:160], v[159:160], v[102:103], v[104:105]
	s_clause 0x2
	buffer_load_dword v174, off, s[0:3], 0 offset:428
	buffer_load_dword v170, off, s[0:3], 0 offset:404
	;; [unrolled: 1-line block ×3, first 2 shown]
	s_waitcnt vmcnt(57)
	v_fma_f64 v[161:162], v[161:162], v[1:2], -v[176:177]
	ds_read_b128 v[102:105], v156 offset:944
	v_fma_f64 v[5:6], v[163:164], v[1:2], v[5:6]
	s_clause 0x4
	buffer_load_dword v164, off, s[0:3], 0 offset:444
	buffer_load_dword v177, off, s[0:3], 0 offset:456
	;; [unrolled: 1-line block ×5, first 2 shown]
	s_waitcnt vmcnt(56)
	v_fma_f64 v[165:166], v[165:166], v[120:121], -v[180:181]
	ds_read_b128 v[1:4], v156 offset:960
	v_fma_f64 v[120:121], v[167:168], v[120:121], v[178:179]
	s_clause 0x2
	buffer_load_dword v178, off, s[0:3], 0 offset:460
	buffer_load_dword v168, off, s[0:3], 0 offset:436
	;; [unrolled: 1-line block ×3, first 2 shown]
	v_add_f64 v[157:158], v[157:158], 0
	v_add_f64 v[159:160], v[159:160], 0
	s_waitcnt lgkmcnt(1)
	v_mul_f64 v[183:184], v[102:103], v[108:109]
	v_mul_f64 v[108:109], v[104:105], v[108:109]
	s_waitcnt vmcnt(58) lgkmcnt(0)
	v_mul_f64 v[179:180], v[1:2], v[112:113]
	v_mul_f64 v[112:113], v[3:4], v[112:113]
	v_add_f64 v[161:162], v[157:158], v[161:162]
	v_add_f64 v[5:6], v[159:160], v[5:6]
	ds_read_b128 v[157:160], v156 offset:976
	s_waitcnt vmcnt(56)
	v_fma_f64 v[108:109], v[102:103], v[114:115], -v[108:109]
	v_fma_f64 v[114:115], v[104:105], v[114:115], v[183:184]
	s_waitcnt vmcnt(51)
	v_fma_f64 v[112:113], v[1:2], v[106:107], -v[112:113]
	v_fma_f64 v[106:107], v[3:4], v[106:107], v[179:180]
	s_waitcnt lgkmcnt(0)
	v_mul_f64 v[185:186], v[157:158], v[116:117]
	v_add_f64 v[161:162], v[161:162], v[165:166]
	v_add_f64 v[5:6], v[5:6], v[120:121]
	s_clause 0x4
	buffer_load_dword v121, off, s[0:3], 0 offset:476
	buffer_load_dword v165, off, s[0:3], 0 offset:488
	;; [unrolled: 1-line block ×5, first 2 shown]
	v_mul_f64 v[116:117], v[159:160], v[116:117]
	ds_read_b128 v[102:105], v156 offset:992
	v_add_f64 v[108:109], v[161:162], v[108:109]
	v_add_f64 v[5:6], v[5:6], v[114:115]
	s_clause 0x2
	buffer_load_dword v166, off, s[0:3], 0 offset:492
	buffer_load_dword v115, off, s[0:3], 0 offset:468
	;; [unrolled: 1-line block ×3, first 2 shown]
	s_waitcnt vmcnt(58) lgkmcnt(0)
	v_mul_f64 v[161:162], v[102:103], v[122:123]
	v_mul_f64 v[122:123], v[104:105], v[122:123]
	s_waitcnt vmcnt(56)
	v_fma_f64 v[116:117], v[157:158], v[124:125], -v[116:117]
	ds_read_b128 v[1:4], v156 offset:1008
	v_fma_f64 v[124:125], v[159:160], v[124:125], v[185:186]
	s_clause 0x4
	buffer_load_dword v158, off, s[0:3], 0 offset:508
	buffer_load_dword v159, off, s[0:3], 0 offset:520
	;; [unrolled: 1-line block ×5, first 2 shown]
	v_add_f64 v[112:113], v[108:109], v[112:113]
	v_add_f64 v[5:6], v[5:6], v[106:107]
	ds_read_b128 v[106:109], v156 offset:1024
	s_waitcnt vmcnt(57) lgkmcnt(1)
	v_mul_f64 v[180:181], v[1:2], v[126:127]
	v_mul_f64 v[126:127], v[3:4], v[126:127]
	s_waitcnt vmcnt(56)
	v_fma_f64 v[122:123], v[102:103], v[110:111], -v[122:123]
	v_fma_f64 v[110:111], v[104:105], v[110:111], v[161:162]
	v_add_f64 v[112:113], v[112:113], v[116:117]
	v_add_f64 v[5:6], v[5:6], v[124:125]
	s_clause 0x2
	buffer_load_dword v160, off, s[0:3], 0 offset:524
	buffer_load_dword v117, off, s[0:3], 0 offset:500
	;; [unrolled: 1-line block ×3, first 2 shown]
	s_waitcnt vmcnt(58) lgkmcnt(0)
	v_mul_f64 v[124:125], v[106:107], v[130:131]
	v_mul_f64 v[130:131], v[108:109], v[130:131]
	s_waitcnt vmcnt(56)
	v_fma_f64 v[126:127], v[1:2], v[132:133], -v[126:127]
	ds_read_b128 v[102:105], v156 offset:1040
	v_add_f64 v[112:113], v[112:113], v[122:123]
	v_fma_f64 v[122:123], v[3:4], v[132:133], v[180:181]
	v_add_f64 v[5:6], v[5:6], v[110:111]
	s_clause 0x4
	buffer_load_dword v111, off, s[0:3], 0 offset:540
	buffer_load_dword v132, off, s[0:3], 0 offset:552
	buffer_load_dword v161, off, s[0:3], 0 offset:544
	buffer_load_dword v110, off, s[0:3], 0 offset:536
	buffer_load_dword v180, off, s[0:3], 0 offset:516
	s_waitcnt vmcnt(57) lgkmcnt(0)
	v_mul_f64 v[186:187], v[102:103], v[134:135]
	v_mul_f64 v[134:135], v[104:105], v[134:135]
	s_waitcnt vmcnt(56)
	v_fma_f64 v[130:131], v[106:107], v[118:119], -v[130:131]
	ds_read_b128 v[1:4], v156 offset:1056
	v_fma_f64 v[118:119], v[108:109], v[118:119], v[124:125]
	v_add_f64 v[112:113], v[112:113], v[126:127]
	v_add_f64 v[5:6], v[5:6], v[122:123]
	s_clause 0x2
	buffer_load_dword v133, off, s[0:3], 0 offset:556
	buffer_load_dword v123, off, s[0:3], 0 offset:532
	;; [unrolled: 1-line block ×3, first 2 shown]
	ds_read_b128 v[106:109], v156 offset:1072
	s_waitcnt vmcnt(58) lgkmcnt(1)
	v_mul_f64 v[126:127], v[3:4], v[138:139]
	s_waitcnt vmcnt(56)
	v_fma_f64 v[134:135], v[102:103], v[140:141], -v[134:135]
	v_mul_f64 v[124:125], v[1:2], v[138:139]
	v_add_f64 v[112:113], v[112:113], v[130:131]
	v_fma_f64 v[130:131], v[104:105], v[140:141], v[186:187]
	v_add_f64 v[5:6], v[5:6], v[118:119]
	s_clause 0x4
	buffer_load_dword v119, off, s[0:3], 0 offset:572
	buffer_load_dword v138, off, s[0:3], 0 offset:584
	;; [unrolled: 1-line block ×5, first 2 shown]
	s_waitcnt vmcnt(57) lgkmcnt(0)
	v_mul_f64 v[186:187], v[106:107], v[142:143]
	v_mul_f64 v[141:142], v[108:109], v[142:143]
	s_waitcnt vmcnt(56)
	v_fma_f64 v[126:127], v[1:2], v[128:129], -v[126:127]
	ds_read_b128 v[102:105], v156 offset:1088
	v_fma_f64 v[124:125], v[3:4], v[128:129], v[124:125]
	s_clause 0x2
	buffer_load_dword v139, off, s[0:3], 0 offset:588
	buffer_load_dword v129, off, s[0:3], 0 offset:564
	;; [unrolled: 1-line block ×3, first 2 shown]
	ds_read_b128 v[1:4], v156 offset:1104
	v_add_f64 v[112:113], v[112:113], v[134:135]
	v_add_f64 v[5:6], v[5:6], v[130:131]
	s_waitcnt vmcnt(58) lgkmcnt(1)
	v_mul_f64 v[134:135], v[104:105], v[146:147]
	s_waitcnt vmcnt(56)
	v_fma_f64 v[142:143], v[106:107], v[148:149], -v[141:142]
	v_mul_f64 v[130:131], v[102:103], v[146:147]
	v_add_f64 v[112:113], v[112:113], v[126:127]
	v_fma_f64 v[126:127], v[108:109], v[148:149], v[186:187]
	v_add_f64 v[5:6], v[5:6], v[124:125]
	s_clause 0x4
	buffer_load_dword v125, off, s[0:3], 0 offset:604
	buffer_load_dword v146, off, s[0:3], 0 offset:616
	;; [unrolled: 1-line block ×5, first 2 shown]
	s_waitcnt vmcnt(57) lgkmcnt(0)
	v_mul_f64 v[186:187], v[1:2], v[150:151]
	v_mul_f64 v[149:150], v[3:4], v[150:151]
	s_waitcnt vmcnt(56)
	v_fma_f64 v[134:135], v[102:103], v[136:137], -v[134:135]
	ds_read_b128 v[106:109], v156 offset:1120
	v_fma_f64 v[130:131], v[104:105], v[136:137], v[130:131]
	v_add_f64 v[112:113], v[112:113], v[142:143]
	v_add_f64 v[5:6], v[5:6], v[126:127]
	s_clause 0x2
	buffer_load_dword v147, off, s[0:3], 0 offset:620
	buffer_load_dword v127, off, s[0:3], 0 offset:596
	;; [unrolled: 1-line block ×3, first 2 shown]
	ds_read_b128 v[102:105], v156 offset:1136
	s_waitcnt vmcnt(58) lgkmcnt(1)
	v_mul_f64 v[142:143], v[108:109], v[152:153]
	s_waitcnt vmcnt(56)
	v_fma_f64 v[150:151], v[1:2], v[154:155], -v[149:150]
	v_mul_f64 v[136:137], v[106:107], v[152:153]
	v_add_f64 v[112:113], v[112:113], v[134:135]
	v_fma_f64 v[134:135], v[3:4], v[154:155], v[186:187]
	v_add_f64 v[5:6], v[5:6], v[130:131]
	s_clause 0x4
	buffer_load_dword v131, off, s[0:3], 0 offset:636
	buffer_load_dword v152, off, s[0:3], 0 offset:648
	;; [unrolled: 1-line block ×5, first 2 shown]
	s_waitcnt vmcnt(57) lgkmcnt(0)
	v_mul_f64 v[186:187], v[102:103], v[171:172]
	v_mul_f64 v[171:172], v[104:105], v[171:172]
	s_waitcnt vmcnt(56)
	v_fma_f64 v[142:143], v[106:107], v[144:145], -v[142:143]
	ds_read_b128 v[1:4], v156 offset:1152
	v_fma_f64 v[136:137], v[108:109], v[144:145], v[136:137]
	v_add_f64 v[112:113], v[112:113], v[150:151]
	v_add_f64 v[5:6], v[5:6], v[134:135]
	s_clause 0x2
	buffer_load_dword v153, off, s[0:3], 0 offset:652
	buffer_load_dword v135, off, s[0:3], 0 offset:628
	;; [unrolled: 1-line block ×3, first 2 shown]
	ds_read_b128 v[106:109], v156 offset:1168
	s_waitcnt vmcnt(58) lgkmcnt(1)
	v_mul_f64 v[150:151], v[3:4], v[173:174]
	v_mul_f64 v[144:145], v[1:2], v[173:174]
	s_waitcnt vmcnt(56)
	v_fma_f64 v[171:172], v[102:103], v[169:170], -v[171:172]
	v_add_f64 v[112:113], v[112:113], v[142:143]
	v_fma_f64 v[142:143], v[104:105], v[169:170], v[186:187]
	v_add_f64 v[5:6], v[5:6], v[136:137]
	s_clause 0x4
	buffer_load_dword v137, off, s[0:3], 0 offset:668
	buffer_load_dword v169, off, s[0:3], 0 offset:680
	;; [unrolled: 1-line block ×5, first 2 shown]
	s_waitcnt vmcnt(57) lgkmcnt(0)
	v_mul_f64 v[186:187], v[106:107], v[163:164]
	v_mul_f64 v[163:164], v[108:109], v[163:164]
	ds_read_b128 v[102:105], v156 offset:1184
	s_waitcnt vmcnt(56)
	v_fma_f64 v[150:151], v[1:2], v[175:176], -v[150:151]
	v_fma_f64 v[144:145], v[3:4], v[175:176], v[144:145]
	v_add_f64 v[112:113], v[112:113], v[171:172]
	v_add_f64 v[5:6], v[5:6], v[142:143]
	s_clause 0x2
	buffer_load_dword v170, off, s[0:3], 0 offset:684
	buffer_load_dword v143, off, s[0:3], 0 offset:660
	;; [unrolled: 1-line block ×3, first 2 shown]
	s_waitcnt vmcnt(58) lgkmcnt(0)
	v_mul_f64 v[175:176], v[104:105], v[177:178]
	s_waitcnt vmcnt(56)
	v_fma_f64 v[163:164], v[106:107], v[167:168], -v[163:164]
	ds_read_b128 v[1:4], v156 offset:1200
	v_mul_f64 v[171:172], v[102:103], v[177:178]
	v_add_f64 v[112:113], v[112:113], v[150:151]
	v_fma_f64 v[150:151], v[108:109], v[167:168], v[186:187]
	v_add_f64 v[5:6], v[5:6], v[144:145]
	s_clause 0x4
	buffer_load_dword v145, off, s[0:3], 0 offset:700
	buffer_load_dword v167, off, s[0:3], 0 offset:712
	;; [unrolled: 1-line block ×5, first 2 shown]
	ds_read_b128 v[106:109], v156 offset:1216
	s_waitcnt vmcnt(57) lgkmcnt(1)
	v_mul_f64 v[186:187], v[1:2], v[120:121]
	v_mul_f64 v[120:121], v[3:4], v[120:121]
	s_waitcnt vmcnt(56)
	v_fma_f64 v[175:176], v[102:103], v[182:183], -v[175:176]
	v_add_f64 v[112:113], v[112:113], v[163:164]
	v_fma_f64 v[163:164], v[104:105], v[182:183], v[171:172]
	v_add_f64 v[5:6], v[5:6], v[150:151]
	s_clause 0x2
	buffer_load_dword v168, off, s[0:3], 0 offset:716
	buffer_load_dword v151, off, s[0:3], 0 offset:692
	;; [unrolled: 1-line block ×3, first 2 shown]
	ds_read_b128 v[102:105], v156 offset:1232
	s_waitcnt vmcnt(58) lgkmcnt(1)
	v_mul_f64 v[171:172], v[106:107], v[165:166]
	v_mul_f64 v[165:166], v[108:109], v[165:166]
	s_waitcnt vmcnt(56)
	v_fma_f64 v[120:121], v[1:2], v[114:115], -v[120:121]
	v_fma_f64 v[114:115], v[3:4], v[114:115], v[186:187]
	v_add_f64 v[112:113], v[112:113], v[175:176]
	v_add_f64 v[5:6], v[5:6], v[163:164]
	s_clause 0x4
	buffer_load_dword v164, off, s[0:3], 0 offset:732
	buffer_load_dword v175, off, s[0:3], 0 offset:744
	;; [unrolled: 1-line block ×5, first 2 shown]
	s_waitcnt vmcnt(57) lgkmcnt(0)
	v_mul_f64 v[182:183], v[102:103], v[157:158]
	v_mul_f64 v[157:158], v[104:105], v[157:158]
	ds_read_b128 v[1:4], v156 offset:1248
	s_waitcnt vmcnt(56)
	v_fma_f64 v[165:166], v[106:107], v[184:185], -v[165:166]
	v_add_f64 v[112:113], v[112:113], v[120:121]
	v_fma_f64 v[120:121], v[108:109], v[184:185], v[171:172]
	v_add_f64 v[5:6], v[5:6], v[114:115]
	s_clause 0x2
	buffer_load_dword v176, off, s[0:3], 0 offset:748
	buffer_load_dword v115, off, s[0:3], 0 offset:724
	;; [unrolled: 1-line block ×3, first 2 shown]
	ds_read_b128 v[106:109], v156 offset:1264
	s_waitcnt vmcnt(58) lgkmcnt(1)
	v_mul_f64 v[171:172], v[1:2], v[159:160]
	v_mul_f64 v[159:160], v[3:4], v[159:160]
	s_waitcnt vmcnt(56)
	v_fma_f64 v[157:158], v[102:103], v[116:117], -v[157:158]
	v_fma_f64 v[116:117], v[104:105], v[116:117], v[182:183]
	v_add_f64 v[112:113], v[112:113], v[165:166]
	v_add_f64 v[5:6], v[5:6], v[120:121]
	s_clause 0x2
	buffer_load_dword v121, off, s[0:3], 0 offset:764
	buffer_load_dword v120, off, s[0:3], 0 offset:760
	;; [unrolled: 1-line block ×3, first 2 shown]
	ds_read_b128 v[102:105], v156 offset:1280
	s_waitcnt vmcnt(55) lgkmcnt(1)
	v_mul_f64 v[165:166], v[106:107], v[110:111]
	v_mul_f64 v[110:111], v[108:109], v[110:111]
	s_waitcnt vmcnt(54)
	v_fma_f64 v[159:160], v[1:2], v[179:180], -v[159:160]
	v_add_f64 v[112:113], v[112:113], v[157:158]
	v_fma_f64 v[157:158], v[3:4], v[179:180], v[171:172]
	v_add_f64 v[5:6], v[5:6], v[116:117]
	s_clause 0x1
	buffer_load_dword v117, off, s[0:3], 0 offset:756
	buffer_load_dword v116, off, s[0:3], 0 offset:752
	ds_read_b128 v[1:4], v156 offset:1296
	s_waitcnt vmcnt(55) lgkmcnt(1)
	v_mul_f64 v[171:172], v[102:103], v[132:133]
	v_mul_f64 v[132:133], v[104:105], v[132:133]
	s_waitcnt vmcnt(53)
	v_fma_f64 v[110:111], v[106:107], v[122:123], -v[110:111]
	v_fma_f64 v[122:123], v[108:109], v[122:123], v[165:166]
	ds_read_b128 v[106:109], v156 offset:1312
	v_add_f64 v[112:113], v[112:113], v[159:160]
	v_add_f64 v[5:6], v[5:6], v[157:158]
	s_waitcnt vmcnt(49) lgkmcnt(1)
	v_mul_f64 v[157:158], v[1:2], v[118:119]
	v_mul_f64 v[118:119], v[3:4], v[118:119]
	s_waitcnt vmcnt(48)
	v_fma_f64 v[132:133], v[102:103], v[161:162], -v[132:133]
	v_add_f64 v[110:111], v[112:113], v[110:111]
	v_fma_f64 v[112:113], v[104:105], v[161:162], v[171:172]
	v_add_f64 v[5:6], v[5:6], v[122:123]
	s_clause 0x3
	buffer_load_dword v122, off, s[0:3], 0 offset:144
	buffer_load_dword v123, off, s[0:3], 0 offset:148
	;; [unrolled: 1-line block ×4, first 2 shown]
	s_waitcnt vmcnt(51) lgkmcnt(0)
	v_mul_f64 v[161:162], v[106:107], v[138:139]
	v_mul_f64 v[138:139], v[108:109], v[138:139]
	ds_read_b128 v[102:105], v156 offset:1328
	s_waitcnt vmcnt(49)
	v_fma_f64 v[118:119], v[1:2], v[128:129], -v[118:119]
	v_fma_f64 v[128:129], v[3:4], v[128:129], v[157:158]
	ds_read_b128 v[1:4], v156 offset:1344
	v_add_f64 v[110:111], v[110:111], v[132:133]
	v_add_f64 v[5:6], v[5:6], v[112:113]
	s_waitcnt vmcnt(45) lgkmcnt(1)
	v_mul_f64 v[112:113], v[102:103], v[124:125]
	v_mul_f64 v[124:125], v[104:105], v[124:125]
	s_waitcnt vmcnt(44)
	v_fma_f64 v[132:133], v[106:107], v[140:141], -v[138:139]
	v_add_f64 v[110:111], v[110:111], v[118:119]
	v_fma_f64 v[118:119], v[108:109], v[140:141], v[161:162]
	v_add_f64 v[5:6], v[5:6], v[128:129]
	ds_read_b128 v[106:109], v156 offset:1360
	s_waitcnt vmcnt(43) lgkmcnt(1)
	v_mul_f64 v[138:139], v[3:4], v[146:147]
	v_mul_f64 v[128:129], v[1:2], v[146:147]
	s_waitcnt vmcnt(41)
	v_fma_f64 v[124:125], v[102:103], v[126:127], -v[124:125]
	v_fma_f64 v[112:113], v[104:105], v[126:127], v[112:113]
	ds_read_b128 v[102:105], v156 offset:1376
	v_add_f64 v[110:111], v[110:111], v[132:133]
	v_add_f64 v[5:6], v[5:6], v[118:119]
	s_waitcnt vmcnt(37) lgkmcnt(1)
	v_mul_f64 v[118:119], v[106:107], v[130:131]
	v_mul_f64 v[126:127], v[108:109], v[130:131]
	s_waitcnt vmcnt(36)
	v_fma_f64 v[130:131], v[1:2], v[148:149], -v[138:139]
	v_add_f64 v[110:111], v[110:111], v[124:125]
	v_fma_f64 v[124:125], v[3:4], v[148:149], v[128:129]
	v_add_f64 v[5:6], v[5:6], v[112:113]
	ds_read_b128 v[1:4], v156 offset:1392
	s_waitcnt vmcnt(35) lgkmcnt(1)
	v_mul_f64 v[128:129], v[104:105], v[152:153]
	v_mul_f64 v[112:113], v[102:103], v[152:153]
	s_waitcnt vmcnt(33)
	v_fma_f64 v[126:127], v[106:107], v[134:135], -v[126:127]
	v_fma_f64 v[118:119], v[108:109], v[134:135], v[118:119]
	ds_read_b128 v[106:109], v156 offset:1408
	v_add_f64 v[110:111], v[110:111], v[130:131]
	v_add_f64 v[5:6], v[5:6], v[124:125]
	s_waitcnt vmcnt(29) lgkmcnt(1)
	v_mul_f64 v[130:131], v[3:4], v[136:137]
	s_waitcnt vmcnt(28)
	v_fma_f64 v[128:129], v[102:103], v[154:155], -v[128:129]
	v_mul_f64 v[124:125], v[1:2], v[136:137]
	v_fma_f64 v[112:113], v[104:105], v[154:155], v[112:113]
	ds_read_b128 v[102:105], v156 offset:1424
	v_add_f64 v[110:111], v[110:111], v[126:127]
	v_add_f64 v[5:6], v[5:6], v[118:119]
	s_waitcnt vmcnt(27) lgkmcnt(1)
	v_mul_f64 v[126:127], v[108:109], v[169:170]
	v_mul_f64 v[118:119], v[106:107], v[169:170]
	s_waitcnt vmcnt(25)
	v_fma_f64 v[130:131], v[1:2], v[142:143], -v[130:131]
	v_fma_f64 v[124:125], v[3:4], v[142:143], v[124:125]
	ds_read_b128 v[1:4], v156 offset:1440
	v_add_f64 v[110:111], v[110:111], v[128:129]
	v_add_f64 v[5:6], v[5:6], v[112:113]
	s_waitcnt vmcnt(21) lgkmcnt(1)
	v_mul_f64 v[128:129], v[104:105], v[144:145]
	s_waitcnt vmcnt(20)
	v_fma_f64 v[126:127], v[106:107], v[173:174], -v[126:127]
	v_mul_f64 v[112:113], v[102:103], v[144:145]
	v_fma_f64 v[118:119], v[108:109], v[173:174], v[118:119]
	ds_read_b128 v[106:109], v156 offset:1456
	v_add_f64 v[110:111], v[110:111], v[130:131]
	v_add_f64 v[5:6], v[5:6], v[124:125]
	;; [unrolled: 18-line block ×3, first 2 shown]
	s_waitcnt vmcnt(11) lgkmcnt(1)
	v_mul_f64 v[128:129], v[104:105], v[175:176]
	v_mul_f64 v[112:113], v[102:103], v[175:176]
	s_waitcnt vmcnt(9)
	v_fma_f64 v[106:107], v[106:107], v[114:115], -v[126:127]
	v_fma_f64 v[108:109], v[108:109], v[114:115], v[118:119]
	v_add_f64 v[110:111], v[110:111], v[130:131]
	v_add_f64 v[5:6], v[5:6], v[124:125]
	s_waitcnt vmcnt(7) lgkmcnt(0)
	v_mul_f64 v[118:119], v[3:4], v[120:121]
	s_waitcnt vmcnt(6)
	v_fma_f64 v[102:103], v[102:103], v[181:182], -v[128:129]
	v_mul_f64 v[114:115], v[1:2], v[120:121]
	v_fma_f64 v[104:105], v[104:105], v[181:182], v[112:113]
	v_add_f64 v[106:107], v[110:111], v[106:107]
	v_add_f64 v[5:6], v[5:6], v[108:109]
	s_waitcnt vmcnt(4)
	v_fma_f64 v[1:2], v[1:2], v[116:117], -v[118:119]
	v_fma_f64 v[3:4], v[3:4], v[116:117], v[114:115]
	v_add_f64 v[102:103], v[106:107], v[102:103]
	v_add_f64 v[5:6], v[5:6], v[104:105]
	;; [unrolled: 1-line block ×4, first 2 shown]
	s_waitcnt vmcnt(2)
	v_add_f64 v[1:2], v[122:123], -v[1:2]
	s_waitcnt vmcnt(0)
	v_add_f64 v[3:4], v[159:160], -v[3:4]
	buffer_store_dword v2, off, s[0:3], 0 offset:148
	buffer_store_dword v1, off, s[0:3], 0 offset:144
	;; [unrolled: 1-line block ×4, first 2 shown]
	v_cmpx_lt_u32_e32 7, v0
	s_cbranch_execz .LBB110_281
; %bb.280:
	v_mov_b32_e32 v4, s52
	v_mov_b32_e32 v5, 0
	s_clause 0x3
	buffer_load_dword v1, v4, s[0:3], 0 offen
	buffer_load_dword v2, v4, s[0:3], 0 offen offset:4
	buffer_load_dword v3, v4, s[0:3], 0 offen offset:8
	;; [unrolled: 1-line block ×3, first 2 shown]
	buffer_store_dword v5, off, s[0:3], 0 offset:128
	buffer_store_dword v5, off, s[0:3], 0 offset:132
	;; [unrolled: 1-line block ×4, first 2 shown]
	s_waitcnt vmcnt(0)
	ds_write_b128 v7, v[1:4]
.LBB110_281:
	s_or_b32 exec_lo, exec_lo, s4
	s_waitcnt lgkmcnt(0)
	s_waitcnt_vscnt null, 0x0
	s_barrier
	buffer_gl0_inv
	s_clause 0x37
	buffer_load_dword v104, off, s[0:3], 0 offset:152
	buffer_load_dword v105, off, s[0:3], 0 offset:156
	;; [unrolled: 1-line block ×56, first 2 shown]
	v_mov_b32_e32 v156, 0
	s_mov_b32 s4, exec_lo
	ds_read_b128 v[157:160], v156 offset:880
	s_clause 0x2
	buffer_load_dword v153, off, s[0:3], 0 offset:380
	buffer_load_dword v155, off, s[0:3], 0 offset:356
	;; [unrolled: 1-line block ×3, first 2 shown]
	ds_read_b128 v[161:164], v156 offset:896
	s_clause 0x4
	buffer_load_dword v172, off, s[0:3], 0 offset:396
	buffer_load_dword v173, off, s[0:3], 0 offset:408
	;; [unrolled: 1-line block ×5, first 2 shown]
	ds_read_b128 v[165:168], v156 offset:912
	s_waitcnt vmcnt(62) lgkmcnt(2)
	v_mul_f64 v[169:170], v[159:160], v[104:105]
	v_mul_f64 v[104:105], v[157:158], v[104:105]
	s_waitcnt vmcnt(60) lgkmcnt(1)
	v_mul_f64 v[176:177], v[163:164], v[5:6]
	v_mul_f64 v[5:6], v[161:162], v[5:6]
	;; [unrolled: 3-line block ×3, first 2 shown]
	v_fma_f64 v[157:158], v[157:158], v[102:103], -v[169:170]
	v_fma_f64 v[159:160], v[159:160], v[102:103], v[104:105]
	s_clause 0x2
	buffer_load_dword v174, off, s[0:3], 0 offset:412
	buffer_load_dword v170, off, s[0:3], 0 offset:388
	;; [unrolled: 1-line block ×3, first 2 shown]
	s_waitcnt vmcnt(57)
	v_fma_f64 v[161:162], v[161:162], v[1:2], -v[176:177]
	ds_read_b128 v[102:105], v156 offset:928
	v_fma_f64 v[5:6], v[163:164], v[1:2], v[5:6]
	s_clause 0x4
	buffer_load_dword v164, off, s[0:3], 0 offset:428
	buffer_load_dword v177, off, s[0:3], 0 offset:440
	;; [unrolled: 1-line block ×5, first 2 shown]
	s_waitcnt vmcnt(56)
	v_fma_f64 v[165:166], v[165:166], v[120:121], -v[180:181]
	ds_read_b128 v[1:4], v156 offset:944
	v_fma_f64 v[120:121], v[167:168], v[120:121], v[178:179]
	s_clause 0x2
	buffer_load_dword v178, off, s[0:3], 0 offset:444
	buffer_load_dword v168, off, s[0:3], 0 offset:420
	;; [unrolled: 1-line block ×3, first 2 shown]
	v_add_f64 v[157:158], v[157:158], 0
	v_add_f64 v[159:160], v[159:160], 0
	s_waitcnt lgkmcnt(1)
	v_mul_f64 v[183:184], v[102:103], v[108:109]
	v_mul_f64 v[108:109], v[104:105], v[108:109]
	s_waitcnt vmcnt(58) lgkmcnt(0)
	v_mul_f64 v[179:180], v[1:2], v[112:113]
	v_mul_f64 v[112:113], v[3:4], v[112:113]
	v_add_f64 v[161:162], v[157:158], v[161:162]
	v_add_f64 v[5:6], v[159:160], v[5:6]
	ds_read_b128 v[157:160], v156 offset:960
	s_waitcnt vmcnt(56)
	v_fma_f64 v[108:109], v[102:103], v[114:115], -v[108:109]
	v_fma_f64 v[114:115], v[104:105], v[114:115], v[183:184]
	s_waitcnt vmcnt(51)
	v_fma_f64 v[112:113], v[1:2], v[106:107], -v[112:113]
	v_fma_f64 v[106:107], v[3:4], v[106:107], v[179:180]
	s_waitcnt lgkmcnt(0)
	v_mul_f64 v[185:186], v[157:158], v[116:117]
	v_add_f64 v[161:162], v[161:162], v[165:166]
	v_add_f64 v[5:6], v[5:6], v[120:121]
	s_clause 0x4
	buffer_load_dword v121, off, s[0:3], 0 offset:460
	buffer_load_dword v165, off, s[0:3], 0 offset:472
	;; [unrolled: 1-line block ×5, first 2 shown]
	v_mul_f64 v[116:117], v[159:160], v[116:117]
	ds_read_b128 v[102:105], v156 offset:976
	v_add_f64 v[108:109], v[161:162], v[108:109]
	v_add_f64 v[5:6], v[5:6], v[114:115]
	s_clause 0x2
	buffer_load_dword v166, off, s[0:3], 0 offset:476
	buffer_load_dword v115, off, s[0:3], 0 offset:452
	;; [unrolled: 1-line block ×3, first 2 shown]
	s_waitcnt vmcnt(58) lgkmcnt(0)
	v_mul_f64 v[161:162], v[102:103], v[122:123]
	v_mul_f64 v[122:123], v[104:105], v[122:123]
	s_waitcnt vmcnt(56)
	v_fma_f64 v[116:117], v[157:158], v[124:125], -v[116:117]
	ds_read_b128 v[1:4], v156 offset:992
	v_fma_f64 v[124:125], v[159:160], v[124:125], v[185:186]
	s_clause 0x4
	buffer_load_dword v158, off, s[0:3], 0 offset:492
	buffer_load_dword v159, off, s[0:3], 0 offset:504
	buffer_load_dword v179, off, s[0:3], 0 offset:496
	buffer_load_dword v157, off, s[0:3], 0 offset:488
	buffer_load_dword v185, off, s[0:3], 0 offset:468
	v_add_f64 v[112:113], v[108:109], v[112:113]
	v_add_f64 v[5:6], v[5:6], v[106:107]
	ds_read_b128 v[106:109], v156 offset:1008
	s_waitcnt vmcnt(57) lgkmcnt(1)
	v_mul_f64 v[180:181], v[1:2], v[126:127]
	v_mul_f64 v[126:127], v[3:4], v[126:127]
	s_waitcnt vmcnt(56)
	v_fma_f64 v[122:123], v[102:103], v[110:111], -v[122:123]
	v_fma_f64 v[110:111], v[104:105], v[110:111], v[161:162]
	v_add_f64 v[112:113], v[112:113], v[116:117]
	v_add_f64 v[5:6], v[5:6], v[124:125]
	s_clause 0x2
	buffer_load_dword v160, off, s[0:3], 0 offset:508
	buffer_load_dword v117, off, s[0:3], 0 offset:484
	;; [unrolled: 1-line block ×3, first 2 shown]
	s_waitcnt vmcnt(58) lgkmcnt(0)
	v_mul_f64 v[124:125], v[106:107], v[130:131]
	v_mul_f64 v[130:131], v[108:109], v[130:131]
	s_waitcnt vmcnt(56)
	v_fma_f64 v[126:127], v[1:2], v[132:133], -v[126:127]
	ds_read_b128 v[102:105], v156 offset:1024
	v_add_f64 v[112:113], v[112:113], v[122:123]
	v_fma_f64 v[122:123], v[3:4], v[132:133], v[180:181]
	v_add_f64 v[5:6], v[5:6], v[110:111]
	s_clause 0x4
	buffer_load_dword v111, off, s[0:3], 0 offset:524
	buffer_load_dword v132, off, s[0:3], 0 offset:536
	;; [unrolled: 1-line block ×5, first 2 shown]
	s_waitcnt vmcnt(57) lgkmcnt(0)
	v_mul_f64 v[186:187], v[102:103], v[134:135]
	v_mul_f64 v[134:135], v[104:105], v[134:135]
	s_waitcnt vmcnt(56)
	v_fma_f64 v[130:131], v[106:107], v[118:119], -v[130:131]
	ds_read_b128 v[1:4], v156 offset:1040
	v_fma_f64 v[118:119], v[108:109], v[118:119], v[124:125]
	v_add_f64 v[112:113], v[112:113], v[126:127]
	v_add_f64 v[5:6], v[5:6], v[122:123]
	s_clause 0x2
	buffer_load_dword v133, off, s[0:3], 0 offset:540
	buffer_load_dword v123, off, s[0:3], 0 offset:516
	;; [unrolled: 1-line block ×3, first 2 shown]
	ds_read_b128 v[106:109], v156 offset:1056
	s_waitcnt vmcnt(58) lgkmcnt(1)
	v_mul_f64 v[126:127], v[3:4], v[138:139]
	s_waitcnt vmcnt(56)
	v_fma_f64 v[134:135], v[102:103], v[140:141], -v[134:135]
	v_mul_f64 v[124:125], v[1:2], v[138:139]
	v_add_f64 v[112:113], v[112:113], v[130:131]
	v_fma_f64 v[130:131], v[104:105], v[140:141], v[186:187]
	v_add_f64 v[5:6], v[5:6], v[118:119]
	s_clause 0x4
	buffer_load_dword v119, off, s[0:3], 0 offset:556
	buffer_load_dword v138, off, s[0:3], 0 offset:568
	;; [unrolled: 1-line block ×5, first 2 shown]
	s_waitcnt vmcnt(57) lgkmcnt(0)
	v_mul_f64 v[186:187], v[106:107], v[142:143]
	v_mul_f64 v[141:142], v[108:109], v[142:143]
	s_waitcnt vmcnt(56)
	v_fma_f64 v[126:127], v[1:2], v[128:129], -v[126:127]
	ds_read_b128 v[102:105], v156 offset:1072
	v_fma_f64 v[124:125], v[3:4], v[128:129], v[124:125]
	s_clause 0x2
	buffer_load_dword v139, off, s[0:3], 0 offset:572
	buffer_load_dword v129, off, s[0:3], 0 offset:548
	;; [unrolled: 1-line block ×3, first 2 shown]
	ds_read_b128 v[1:4], v156 offset:1088
	v_add_f64 v[112:113], v[112:113], v[134:135]
	v_add_f64 v[5:6], v[5:6], v[130:131]
	s_waitcnt vmcnt(58) lgkmcnt(1)
	v_mul_f64 v[134:135], v[104:105], v[146:147]
	s_waitcnt vmcnt(56)
	v_fma_f64 v[142:143], v[106:107], v[148:149], -v[141:142]
	v_mul_f64 v[130:131], v[102:103], v[146:147]
	v_add_f64 v[112:113], v[112:113], v[126:127]
	v_fma_f64 v[126:127], v[108:109], v[148:149], v[186:187]
	v_add_f64 v[5:6], v[5:6], v[124:125]
	s_clause 0x4
	buffer_load_dword v125, off, s[0:3], 0 offset:588
	buffer_load_dword v146, off, s[0:3], 0 offset:600
	;; [unrolled: 1-line block ×5, first 2 shown]
	s_waitcnt vmcnt(57) lgkmcnt(0)
	v_mul_f64 v[186:187], v[1:2], v[150:151]
	v_mul_f64 v[149:150], v[3:4], v[150:151]
	s_waitcnt vmcnt(56)
	v_fma_f64 v[134:135], v[102:103], v[136:137], -v[134:135]
	ds_read_b128 v[106:109], v156 offset:1104
	v_fma_f64 v[130:131], v[104:105], v[136:137], v[130:131]
	v_add_f64 v[112:113], v[112:113], v[142:143]
	v_add_f64 v[5:6], v[5:6], v[126:127]
	s_clause 0x2
	buffer_load_dword v147, off, s[0:3], 0 offset:604
	buffer_load_dword v127, off, s[0:3], 0 offset:580
	;; [unrolled: 1-line block ×3, first 2 shown]
	ds_read_b128 v[102:105], v156 offset:1120
	s_waitcnt vmcnt(58) lgkmcnt(1)
	v_mul_f64 v[142:143], v[108:109], v[152:153]
	s_waitcnt vmcnt(56)
	v_fma_f64 v[150:151], v[1:2], v[154:155], -v[149:150]
	v_mul_f64 v[136:137], v[106:107], v[152:153]
	v_add_f64 v[112:113], v[112:113], v[134:135]
	v_fma_f64 v[134:135], v[3:4], v[154:155], v[186:187]
	v_add_f64 v[5:6], v[5:6], v[130:131]
	s_clause 0x4
	buffer_load_dword v131, off, s[0:3], 0 offset:620
	buffer_load_dword v152, off, s[0:3], 0 offset:632
	;; [unrolled: 1-line block ×5, first 2 shown]
	s_waitcnt vmcnt(57) lgkmcnt(0)
	v_mul_f64 v[186:187], v[102:103], v[171:172]
	v_mul_f64 v[171:172], v[104:105], v[171:172]
	s_waitcnt vmcnt(56)
	v_fma_f64 v[142:143], v[106:107], v[144:145], -v[142:143]
	ds_read_b128 v[1:4], v156 offset:1136
	v_fma_f64 v[136:137], v[108:109], v[144:145], v[136:137]
	v_add_f64 v[112:113], v[112:113], v[150:151]
	v_add_f64 v[5:6], v[5:6], v[134:135]
	s_clause 0x2
	buffer_load_dword v153, off, s[0:3], 0 offset:636
	buffer_load_dword v135, off, s[0:3], 0 offset:612
	;; [unrolled: 1-line block ×3, first 2 shown]
	ds_read_b128 v[106:109], v156 offset:1152
	s_waitcnt vmcnt(58) lgkmcnt(1)
	v_mul_f64 v[150:151], v[3:4], v[173:174]
	v_mul_f64 v[144:145], v[1:2], v[173:174]
	s_waitcnt vmcnt(56)
	v_fma_f64 v[171:172], v[102:103], v[169:170], -v[171:172]
	v_add_f64 v[112:113], v[112:113], v[142:143]
	v_fma_f64 v[142:143], v[104:105], v[169:170], v[186:187]
	v_add_f64 v[5:6], v[5:6], v[136:137]
	s_clause 0x4
	buffer_load_dword v137, off, s[0:3], 0 offset:652
	buffer_load_dword v169, off, s[0:3], 0 offset:664
	buffer_load_dword v173, off, s[0:3], 0 offset:656
	buffer_load_dword v136, off, s[0:3], 0 offset:648
	buffer_load_dword v155, off, s[0:3], 0 offset:628
	s_waitcnt vmcnt(57) lgkmcnt(0)
	v_mul_f64 v[186:187], v[106:107], v[163:164]
	v_mul_f64 v[163:164], v[108:109], v[163:164]
	ds_read_b128 v[102:105], v156 offset:1168
	s_waitcnt vmcnt(56)
	v_fma_f64 v[150:151], v[1:2], v[175:176], -v[150:151]
	v_fma_f64 v[144:145], v[3:4], v[175:176], v[144:145]
	v_add_f64 v[112:113], v[112:113], v[171:172]
	v_add_f64 v[5:6], v[5:6], v[142:143]
	s_clause 0x2
	buffer_load_dword v170, off, s[0:3], 0 offset:668
	buffer_load_dword v143, off, s[0:3], 0 offset:644
	;; [unrolled: 1-line block ×3, first 2 shown]
	s_waitcnt vmcnt(58) lgkmcnt(0)
	v_mul_f64 v[175:176], v[104:105], v[177:178]
	s_waitcnt vmcnt(56)
	v_fma_f64 v[163:164], v[106:107], v[167:168], -v[163:164]
	ds_read_b128 v[1:4], v156 offset:1184
	v_mul_f64 v[171:172], v[102:103], v[177:178]
	v_add_f64 v[112:113], v[112:113], v[150:151]
	v_fma_f64 v[150:151], v[108:109], v[167:168], v[186:187]
	v_add_f64 v[5:6], v[5:6], v[144:145]
	s_clause 0x4
	buffer_load_dword v145, off, s[0:3], 0 offset:684
	buffer_load_dword v167, off, s[0:3], 0 offset:696
	;; [unrolled: 1-line block ×5, first 2 shown]
	ds_read_b128 v[106:109], v156 offset:1200
	s_waitcnt vmcnt(57) lgkmcnt(1)
	v_mul_f64 v[186:187], v[1:2], v[120:121]
	v_mul_f64 v[120:121], v[3:4], v[120:121]
	s_waitcnt vmcnt(56)
	v_fma_f64 v[175:176], v[102:103], v[182:183], -v[175:176]
	v_add_f64 v[112:113], v[112:113], v[163:164]
	v_fma_f64 v[163:164], v[104:105], v[182:183], v[171:172]
	v_add_f64 v[5:6], v[5:6], v[150:151]
	s_clause 0x2
	buffer_load_dword v168, off, s[0:3], 0 offset:700
	buffer_load_dword v151, off, s[0:3], 0 offset:676
	;; [unrolled: 1-line block ×3, first 2 shown]
	ds_read_b128 v[102:105], v156 offset:1216
	s_waitcnt vmcnt(58) lgkmcnt(1)
	v_mul_f64 v[171:172], v[106:107], v[165:166]
	v_mul_f64 v[165:166], v[108:109], v[165:166]
	s_waitcnt vmcnt(56)
	v_fma_f64 v[120:121], v[1:2], v[114:115], -v[120:121]
	v_fma_f64 v[114:115], v[3:4], v[114:115], v[186:187]
	v_add_f64 v[112:113], v[112:113], v[175:176]
	v_add_f64 v[5:6], v[5:6], v[163:164]
	s_clause 0x4
	buffer_load_dword v164, off, s[0:3], 0 offset:716
	buffer_load_dword v175, off, s[0:3], 0 offset:728
	;; [unrolled: 1-line block ×5, first 2 shown]
	s_waitcnt vmcnt(57) lgkmcnt(0)
	v_mul_f64 v[182:183], v[102:103], v[157:158]
	v_mul_f64 v[157:158], v[104:105], v[157:158]
	ds_read_b128 v[1:4], v156 offset:1232
	s_waitcnt vmcnt(56)
	v_fma_f64 v[165:166], v[106:107], v[184:185], -v[165:166]
	v_add_f64 v[112:113], v[112:113], v[120:121]
	v_fma_f64 v[120:121], v[108:109], v[184:185], v[171:172]
	v_add_f64 v[5:6], v[5:6], v[114:115]
	s_clause 0x2
	buffer_load_dword v176, off, s[0:3], 0 offset:732
	buffer_load_dword v115, off, s[0:3], 0 offset:708
	buffer_load_dword v114, off, s[0:3], 0 offset:704
	ds_read_b128 v[106:109], v156 offset:1248
	s_waitcnt vmcnt(58) lgkmcnt(1)
	v_mul_f64 v[171:172], v[1:2], v[159:160]
	v_mul_f64 v[159:160], v[3:4], v[159:160]
	s_waitcnt vmcnt(56)
	v_fma_f64 v[157:158], v[102:103], v[116:117], -v[157:158]
	v_fma_f64 v[116:117], v[104:105], v[116:117], v[182:183]
	v_add_f64 v[112:113], v[112:113], v[165:166]
	v_add_f64 v[5:6], v[5:6], v[120:121]
	s_clause 0x4
	buffer_load_dword v121, off, s[0:3], 0 offset:748
	buffer_load_dword v165, off, s[0:3], 0 offset:760
	;; [unrolled: 1-line block ×5, first 2 shown]
	ds_read_b128 v[102:105], v156 offset:1264
	s_waitcnt vmcnt(57) lgkmcnt(1)
	v_mul_f64 v[184:185], v[106:107], v[110:111]
	v_mul_f64 v[110:111], v[108:109], v[110:111]
	s_waitcnt vmcnt(56)
	v_fma_f64 v[159:160], v[1:2], v[179:180], -v[159:160]
	v_add_f64 v[112:113], v[112:113], v[157:158]
	v_fma_f64 v[157:158], v[3:4], v[179:180], v[171:172]
	v_add_f64 v[5:6], v[5:6], v[116:117]
	s_clause 0x2
	buffer_load_dword v166, off, s[0:3], 0 offset:764
	buffer_load_dword v117, off, s[0:3], 0 offset:740
	;; [unrolled: 1-line block ×3, first 2 shown]
	ds_read_b128 v[1:4], v156 offset:1280
	s_waitcnt vmcnt(58) lgkmcnt(1)
	v_mul_f64 v[171:172], v[102:103], v[132:133]
	v_mul_f64 v[132:133], v[104:105], v[132:133]
	s_waitcnt vmcnt(56)
	v_fma_f64 v[110:111], v[106:107], v[122:123], -v[110:111]
	v_fma_f64 v[122:123], v[108:109], v[122:123], v[184:185]
	buffer_load_dword v184, off, s[0:3], 0 offset:756
	ds_read_b128 v[106:109], v156 offset:1296
	v_add_f64 v[112:113], v[112:113], v[159:160]
	v_add_f64 v[5:6], v[5:6], v[157:158]
	s_waitcnt vmcnt(53) lgkmcnt(1)
	v_mul_f64 v[157:158], v[1:2], v[118:119]
	v_mul_f64 v[118:119], v[3:4], v[118:119]
	s_waitcnt vmcnt(52)
	v_fma_f64 v[132:133], v[102:103], v[161:162], -v[132:133]
	v_add_f64 v[110:111], v[112:113], v[110:111]
	v_fma_f64 v[112:113], v[104:105], v[161:162], v[171:172]
	v_add_f64 v[5:6], v[5:6], v[122:123]
	s_waitcnt vmcnt(51) lgkmcnt(0)
	v_mul_f64 v[122:123], v[106:107], v[138:139]
	v_mul_f64 v[138:139], v[108:109], v[138:139]
	ds_read_b128 v[102:105], v156 offset:1312
	s_waitcnt vmcnt(49)
	v_fma_f64 v[118:119], v[1:2], v[128:129], -v[118:119]
	v_fma_f64 v[128:129], v[3:4], v[128:129], v[157:158]
	v_add_f64 v[110:111], v[110:111], v[132:133]
	v_add_f64 v[5:6], v[5:6], v[112:113]
	s_clause 0x3
	buffer_load_dword v112, off, s[0:3], 0 offset:128
	buffer_load_dword v113, off, s[0:3], 0 offset:132
	;; [unrolled: 1-line block ×4, first 2 shown]
	ds_read_b128 v[1:4], v156 offset:1328
	s_waitcnt vmcnt(49) lgkmcnt(1)
	v_mul_f64 v[157:158], v[102:103], v[124:125]
	v_mul_f64 v[124:125], v[104:105], v[124:125]
	s_waitcnt vmcnt(48)
	v_fma_f64 v[138:139], v[106:107], v[140:141], -v[138:139]
	v_add_f64 v[110:111], v[110:111], v[118:119]
	v_fma_f64 v[118:119], v[108:109], v[140:141], v[122:123]
	v_add_f64 v[5:6], v[5:6], v[128:129]
	ds_read_b128 v[106:109], v156 offset:1344
	s_waitcnt vmcnt(47) lgkmcnt(1)
	v_mul_f64 v[128:129], v[3:4], v[146:147]
	v_mul_f64 v[122:123], v[1:2], v[146:147]
	s_waitcnt vmcnt(45)
	v_fma_f64 v[124:125], v[102:103], v[126:127], -v[124:125]
	v_fma_f64 v[126:127], v[104:105], v[126:127], v[157:158]
	ds_read_b128 v[102:105], v156 offset:1360
	v_add_f64 v[110:111], v[110:111], v[138:139]
	v_add_f64 v[5:6], v[5:6], v[118:119]
	s_waitcnt vmcnt(41) lgkmcnt(1)
	v_mul_f64 v[118:119], v[106:107], v[130:131]
	v_mul_f64 v[130:131], v[108:109], v[130:131]
	s_waitcnt vmcnt(40)
	v_fma_f64 v[128:129], v[1:2], v[148:149], -v[128:129]
	v_fma_f64 v[122:123], v[3:4], v[148:149], v[122:123]
	ds_read_b128 v[1:4], v156 offset:1376
	v_add_f64 v[110:111], v[110:111], v[124:125]
	v_add_f64 v[5:6], v[5:6], v[126:127]
	;; [unrolled: 9-line block ×3, first 2 shown]
	s_waitcnt vmcnt(33) lgkmcnt(1)
	v_mul_f64 v[128:129], v[3:4], v[136:137]
	s_waitcnt vmcnt(32)
	v_fma_f64 v[126:127], v[102:103], v[154:155], -v[126:127]
	v_mul_f64 v[122:123], v[1:2], v[136:137]
	v_fma_f64 v[124:125], v[104:105], v[154:155], v[124:125]
	ds_read_b128 v[102:105], v156 offset:1408
	v_add_f64 v[110:111], v[110:111], v[130:131]
	v_add_f64 v[5:6], v[5:6], v[118:119]
	s_waitcnt vmcnt(31) lgkmcnt(1)
	v_mul_f64 v[130:131], v[108:109], v[169:170]
	v_mul_f64 v[118:119], v[106:107], v[169:170]
	s_waitcnt vmcnt(29)
	v_fma_f64 v[128:129], v[1:2], v[142:143], -v[128:129]
	v_fma_f64 v[122:123], v[3:4], v[142:143], v[122:123]
	ds_read_b128 v[1:4], v156 offset:1424
	v_add_f64 v[110:111], v[110:111], v[126:127]
	v_add_f64 v[5:6], v[5:6], v[124:125]
	s_waitcnt vmcnt(25) lgkmcnt(1)
	v_mul_f64 v[126:127], v[104:105], v[144:145]
	s_waitcnt vmcnt(24)
	v_fma_f64 v[130:131], v[106:107], v[173:174], -v[130:131]
	v_mul_f64 v[124:125], v[102:103], v[144:145]
	v_fma_f64 v[118:119], v[108:109], v[173:174], v[118:119]
	ds_read_b128 v[106:109], v156 offset:1440
	v_add_f64 v[110:111], v[110:111], v[128:129]
	v_add_f64 v[5:6], v[5:6], v[122:123]
	s_waitcnt vmcnt(23) lgkmcnt(1)
	v_mul_f64 v[128:129], v[3:4], v[167:168]
	v_mul_f64 v[122:123], v[1:2], v[167:168]
	s_waitcnt vmcnt(21)
	v_fma_f64 v[126:127], v[102:103], v[150:151], -v[126:127]
	v_fma_f64 v[124:125], v[104:105], v[150:151], v[124:125]
	ds_read_b128 v[102:105], v156 offset:1456
	v_add_f64 v[110:111], v[110:111], v[130:131]
	v_add_f64 v[5:6], v[5:6], v[118:119]
	s_waitcnt vmcnt(17) lgkmcnt(1)
	v_mul_f64 v[130:131], v[108:109], v[163:164]
	s_waitcnt vmcnt(16)
	v_fma_f64 v[128:129], v[1:2], v[177:178], -v[128:129]
	v_mul_f64 v[118:119], v[106:107], v[163:164]
	v_fma_f64 v[122:123], v[3:4], v[177:178], v[122:123]
	ds_read_b128 v[1:4], v156 offset:1472
	v_add_f64 v[110:111], v[110:111], v[126:127]
	v_add_f64 v[5:6], v[5:6], v[124:125]
	s_waitcnt vmcnt(15) lgkmcnt(1)
	v_mul_f64 v[126:127], v[104:105], v[175:176]
	v_mul_f64 v[124:125], v[102:103], v[175:176]
	s_waitcnt vmcnt(13)
	v_fma_f64 v[130:131], v[106:107], v[114:115], -v[130:131]
	v_fma_f64 v[114:115], v[108:109], v[114:115], v[118:119]
	ds_read_b128 v[106:109], v156 offset:1488
	v_add_f64 v[110:111], v[110:111], v[128:129]
	v_add_f64 v[5:6], v[5:6], v[122:123]
	s_waitcnt vmcnt(9) lgkmcnt(1)
	v_mul_f64 v[118:119], v[1:2], v[120:121]
	v_mul_f64 v[120:121], v[3:4], v[120:121]
	s_waitcnt vmcnt(8)
	v_fma_f64 v[102:103], v[102:103], v[181:182], -v[126:127]
	v_fma_f64 v[104:105], v[104:105], v[181:182], v[124:125]
	v_add_f64 v[110:111], v[110:111], v[130:131]
	v_add_f64 v[5:6], v[5:6], v[114:115]
	s_waitcnt vmcnt(7) lgkmcnt(0)
	v_mul_f64 v[122:123], v[108:109], v[165:166]
	v_mul_f64 v[114:115], v[106:107], v[165:166]
	s_waitcnt vmcnt(5)
	v_fma_f64 v[1:2], v[1:2], v[116:117], -v[120:121]
	v_fma_f64 v[3:4], v[3:4], v[116:117], v[118:119]
	v_add_f64 v[102:103], v[110:111], v[102:103]
	v_add_f64 v[5:6], v[5:6], v[104:105]
	s_waitcnt vmcnt(4)
	v_fma_f64 v[104:105], v[106:107], v[183:184], -v[122:123]
	v_add_f64 v[1:2], v[102:103], v[1:2]
	v_fma_f64 v[102:103], v[108:109], v[183:184], v[114:115]
	v_add_f64 v[3:4], v[5:6], v[3:4]
	v_add_f64 v[1:2], v[1:2], v[104:105]
	;; [unrolled: 1-line block ×3, first 2 shown]
	s_waitcnt vmcnt(2)
	v_add_f64 v[1:2], v[112:113], -v[1:2]
	s_waitcnt vmcnt(0)
	v_add_f64 v[3:4], v[132:133], -v[3:4]
	buffer_store_dword v2, off, s[0:3], 0 offset:132
	buffer_store_dword v1, off, s[0:3], 0 offset:128
	;; [unrolled: 1-line block ×4, first 2 shown]
	v_cmpx_lt_u32_e32 6, v0
	s_cbranch_execz .LBB110_283
; %bb.282:
	v_mov_b32_e32 v4, s53
	s_clause 0x3
	buffer_load_dword v1, v4, s[0:3], 0 offen
	buffer_load_dword v2, v4, s[0:3], 0 offen offset:4
	buffer_load_dword v3, v4, s[0:3], 0 offen offset:8
	;; [unrolled: 1-line block ×3, first 2 shown]
	buffer_store_dword v156, off, s[0:3], 0 offset:112
	buffer_store_dword v156, off, s[0:3], 0 offset:116
	;; [unrolled: 1-line block ×4, first 2 shown]
	s_waitcnt vmcnt(0)
	ds_write_b128 v7, v[1:4]
.LBB110_283:
	s_or_b32 exec_lo, exec_lo, s4
	s_waitcnt lgkmcnt(0)
	s_waitcnt_vscnt null, 0x0
	s_barrier
	buffer_gl0_inv
	s_clause 0x37
	buffer_load_dword v104, off, s[0:3], 0 offset:136
	buffer_load_dword v105, off, s[0:3], 0 offset:140
	;; [unrolled: 1-line block ×56, first 2 shown]
	ds_read_b128 v[157:160], v156 offset:864
	s_clause 0x2
	buffer_load_dword v153, off, s[0:3], 0 offset:364
	buffer_load_dword v155, off, s[0:3], 0 offset:340
	;; [unrolled: 1-line block ×3, first 2 shown]
	ds_read_b128 v[161:164], v156 offset:880
	s_clause 0x4
	buffer_load_dword v172, off, s[0:3], 0 offset:380
	buffer_load_dword v173, off, s[0:3], 0 offset:392
	buffer_load_dword v175, off, s[0:3], 0 offset:384
	buffer_load_dword v171, off, s[0:3], 0 offset:376
	buffer_load_dword v145, off, s[0:3], 0 offset:356
	ds_read_b128 v[165:168], v156 offset:896
	s_mov_b32 s4, exec_lo
	s_waitcnt vmcnt(62) lgkmcnt(2)
	v_mul_f64 v[169:170], v[159:160], v[104:105]
	v_mul_f64 v[104:105], v[157:158], v[104:105]
	s_waitcnt vmcnt(60) lgkmcnt(1)
	v_mul_f64 v[176:177], v[163:164], v[5:6]
	v_mul_f64 v[5:6], v[161:162], v[5:6]
	;; [unrolled: 3-line block ×3, first 2 shown]
	v_fma_f64 v[157:158], v[157:158], v[102:103], -v[169:170]
	v_fma_f64 v[159:160], v[159:160], v[102:103], v[104:105]
	s_clause 0x2
	buffer_load_dword v174, off, s[0:3], 0 offset:396
	buffer_load_dword v170, off, s[0:3], 0 offset:372
	;; [unrolled: 1-line block ×3, first 2 shown]
	s_waitcnt vmcnt(57)
	v_fma_f64 v[161:162], v[161:162], v[1:2], -v[176:177]
	ds_read_b128 v[102:105], v156 offset:912
	v_fma_f64 v[5:6], v[163:164], v[1:2], v[5:6]
	s_clause 0x4
	buffer_load_dword v164, off, s[0:3], 0 offset:412
	buffer_load_dword v177, off, s[0:3], 0 offset:424
	;; [unrolled: 1-line block ×5, first 2 shown]
	s_waitcnt vmcnt(56)
	v_fma_f64 v[165:166], v[165:166], v[120:121], -v[180:181]
	ds_read_b128 v[1:4], v156 offset:928
	v_fma_f64 v[120:121], v[167:168], v[120:121], v[178:179]
	s_clause 0x2
	buffer_load_dword v178, off, s[0:3], 0 offset:428
	buffer_load_dword v168, off, s[0:3], 0 offset:404
	;; [unrolled: 1-line block ×3, first 2 shown]
	v_add_f64 v[157:158], v[157:158], 0
	v_add_f64 v[159:160], v[159:160], 0
	s_waitcnt lgkmcnt(1)
	v_mul_f64 v[183:184], v[102:103], v[108:109]
	v_mul_f64 v[108:109], v[104:105], v[108:109]
	s_waitcnt vmcnt(58) lgkmcnt(0)
	v_mul_f64 v[179:180], v[1:2], v[112:113]
	v_mul_f64 v[112:113], v[3:4], v[112:113]
	v_add_f64 v[161:162], v[157:158], v[161:162]
	v_add_f64 v[5:6], v[159:160], v[5:6]
	ds_read_b128 v[157:160], v156 offset:944
	s_waitcnt vmcnt(56)
	v_fma_f64 v[108:109], v[102:103], v[114:115], -v[108:109]
	v_fma_f64 v[114:115], v[104:105], v[114:115], v[183:184]
	s_waitcnt vmcnt(51)
	v_fma_f64 v[112:113], v[1:2], v[106:107], -v[112:113]
	v_fma_f64 v[106:107], v[3:4], v[106:107], v[179:180]
	s_waitcnt lgkmcnt(0)
	v_mul_f64 v[185:186], v[157:158], v[116:117]
	v_add_f64 v[161:162], v[161:162], v[165:166]
	v_add_f64 v[5:6], v[5:6], v[120:121]
	s_clause 0x4
	buffer_load_dword v121, off, s[0:3], 0 offset:444
	buffer_load_dword v165, off, s[0:3], 0 offset:456
	;; [unrolled: 1-line block ×5, first 2 shown]
	v_mul_f64 v[116:117], v[159:160], v[116:117]
	ds_read_b128 v[102:105], v156 offset:960
	v_add_f64 v[108:109], v[161:162], v[108:109]
	v_add_f64 v[5:6], v[5:6], v[114:115]
	s_clause 0x2
	buffer_load_dword v166, off, s[0:3], 0 offset:460
	buffer_load_dword v115, off, s[0:3], 0 offset:436
	;; [unrolled: 1-line block ×3, first 2 shown]
	s_waitcnt vmcnt(58) lgkmcnt(0)
	v_mul_f64 v[161:162], v[102:103], v[122:123]
	v_mul_f64 v[122:123], v[104:105], v[122:123]
	s_waitcnt vmcnt(56)
	v_fma_f64 v[116:117], v[157:158], v[124:125], -v[116:117]
	ds_read_b128 v[1:4], v156 offset:976
	v_fma_f64 v[124:125], v[159:160], v[124:125], v[185:186]
	s_clause 0x4
	buffer_load_dword v158, off, s[0:3], 0 offset:476
	buffer_load_dword v159, off, s[0:3], 0 offset:488
	;; [unrolled: 1-line block ×5, first 2 shown]
	v_add_f64 v[112:113], v[108:109], v[112:113]
	v_add_f64 v[5:6], v[5:6], v[106:107]
	ds_read_b128 v[106:109], v156 offset:992
	s_waitcnt vmcnt(57) lgkmcnt(1)
	v_mul_f64 v[180:181], v[1:2], v[126:127]
	v_mul_f64 v[126:127], v[3:4], v[126:127]
	s_waitcnt vmcnt(56)
	v_fma_f64 v[122:123], v[102:103], v[110:111], -v[122:123]
	v_fma_f64 v[110:111], v[104:105], v[110:111], v[161:162]
	v_add_f64 v[112:113], v[112:113], v[116:117]
	v_add_f64 v[5:6], v[5:6], v[124:125]
	s_clause 0x2
	buffer_load_dword v160, off, s[0:3], 0 offset:492
	buffer_load_dword v117, off, s[0:3], 0 offset:468
	;; [unrolled: 1-line block ×3, first 2 shown]
	s_waitcnt vmcnt(58) lgkmcnt(0)
	v_mul_f64 v[124:125], v[106:107], v[130:131]
	v_mul_f64 v[130:131], v[108:109], v[130:131]
	s_waitcnt vmcnt(56)
	v_fma_f64 v[126:127], v[1:2], v[132:133], -v[126:127]
	ds_read_b128 v[102:105], v156 offset:1008
	v_add_f64 v[112:113], v[112:113], v[122:123]
	v_fma_f64 v[122:123], v[3:4], v[132:133], v[180:181]
	v_add_f64 v[5:6], v[5:6], v[110:111]
	s_clause 0x4
	buffer_load_dword v111, off, s[0:3], 0 offset:508
	buffer_load_dword v132, off, s[0:3], 0 offset:520
	;; [unrolled: 1-line block ×5, first 2 shown]
	s_waitcnt vmcnt(57) lgkmcnt(0)
	v_mul_f64 v[186:187], v[102:103], v[134:135]
	v_mul_f64 v[134:135], v[104:105], v[134:135]
	s_waitcnt vmcnt(56)
	v_fma_f64 v[130:131], v[106:107], v[118:119], -v[130:131]
	ds_read_b128 v[1:4], v156 offset:1024
	v_fma_f64 v[118:119], v[108:109], v[118:119], v[124:125]
	v_add_f64 v[112:113], v[112:113], v[126:127]
	v_add_f64 v[5:6], v[5:6], v[122:123]
	s_clause 0x2
	buffer_load_dword v133, off, s[0:3], 0 offset:524
	buffer_load_dword v123, off, s[0:3], 0 offset:500
	;; [unrolled: 1-line block ×3, first 2 shown]
	ds_read_b128 v[106:109], v156 offset:1040
	s_waitcnt vmcnt(58) lgkmcnt(1)
	v_mul_f64 v[126:127], v[3:4], v[138:139]
	s_waitcnt vmcnt(56)
	v_fma_f64 v[134:135], v[102:103], v[140:141], -v[134:135]
	v_mul_f64 v[124:125], v[1:2], v[138:139]
	v_add_f64 v[112:113], v[112:113], v[130:131]
	v_fma_f64 v[130:131], v[104:105], v[140:141], v[186:187]
	v_add_f64 v[5:6], v[5:6], v[118:119]
	s_clause 0x4
	buffer_load_dword v119, off, s[0:3], 0 offset:540
	buffer_load_dword v138, off, s[0:3], 0 offset:552
	;; [unrolled: 1-line block ×5, first 2 shown]
	s_waitcnt vmcnt(57) lgkmcnt(0)
	v_mul_f64 v[186:187], v[106:107], v[142:143]
	v_mul_f64 v[141:142], v[108:109], v[142:143]
	s_waitcnt vmcnt(56)
	v_fma_f64 v[126:127], v[1:2], v[128:129], -v[126:127]
	ds_read_b128 v[102:105], v156 offset:1056
	v_fma_f64 v[124:125], v[3:4], v[128:129], v[124:125]
	s_clause 0x2
	buffer_load_dword v139, off, s[0:3], 0 offset:556
	buffer_load_dword v129, off, s[0:3], 0 offset:532
	;; [unrolled: 1-line block ×3, first 2 shown]
	ds_read_b128 v[1:4], v156 offset:1072
	v_add_f64 v[112:113], v[112:113], v[134:135]
	v_add_f64 v[5:6], v[5:6], v[130:131]
	s_waitcnt vmcnt(58) lgkmcnt(1)
	v_mul_f64 v[134:135], v[104:105], v[146:147]
	s_waitcnt vmcnt(56)
	v_fma_f64 v[142:143], v[106:107], v[148:149], -v[141:142]
	v_mul_f64 v[130:131], v[102:103], v[146:147]
	v_add_f64 v[112:113], v[112:113], v[126:127]
	v_fma_f64 v[126:127], v[108:109], v[148:149], v[186:187]
	v_add_f64 v[5:6], v[5:6], v[124:125]
	s_clause 0x4
	buffer_load_dword v125, off, s[0:3], 0 offset:572
	buffer_load_dword v146, off, s[0:3], 0 offset:584
	;; [unrolled: 1-line block ×5, first 2 shown]
	s_waitcnt vmcnt(57) lgkmcnt(0)
	v_mul_f64 v[186:187], v[1:2], v[150:151]
	v_mul_f64 v[149:150], v[3:4], v[150:151]
	s_waitcnt vmcnt(56)
	v_fma_f64 v[134:135], v[102:103], v[136:137], -v[134:135]
	ds_read_b128 v[106:109], v156 offset:1088
	v_fma_f64 v[130:131], v[104:105], v[136:137], v[130:131]
	v_add_f64 v[112:113], v[112:113], v[142:143]
	v_add_f64 v[5:6], v[5:6], v[126:127]
	s_clause 0x2
	buffer_load_dword v147, off, s[0:3], 0 offset:588
	buffer_load_dword v127, off, s[0:3], 0 offset:564
	;; [unrolled: 1-line block ×3, first 2 shown]
	ds_read_b128 v[102:105], v156 offset:1104
	s_waitcnt vmcnt(58) lgkmcnt(1)
	v_mul_f64 v[142:143], v[108:109], v[152:153]
	s_waitcnt vmcnt(56)
	v_fma_f64 v[150:151], v[1:2], v[154:155], -v[149:150]
	v_mul_f64 v[136:137], v[106:107], v[152:153]
	v_add_f64 v[112:113], v[112:113], v[134:135]
	v_fma_f64 v[134:135], v[3:4], v[154:155], v[186:187]
	v_add_f64 v[5:6], v[5:6], v[130:131]
	s_clause 0x4
	buffer_load_dword v131, off, s[0:3], 0 offset:604
	buffer_load_dword v152, off, s[0:3], 0 offset:616
	buffer_load_dword v154, off, s[0:3], 0 offset:608
	buffer_load_dword v130, off, s[0:3], 0 offset:600
	buffer_load_dword v149, off, s[0:3], 0 offset:580
	s_waitcnt vmcnt(57) lgkmcnt(0)
	v_mul_f64 v[186:187], v[102:103], v[171:172]
	v_mul_f64 v[171:172], v[104:105], v[171:172]
	s_waitcnt vmcnt(56)
	v_fma_f64 v[142:143], v[106:107], v[144:145], -v[142:143]
	ds_read_b128 v[1:4], v156 offset:1120
	v_fma_f64 v[136:137], v[108:109], v[144:145], v[136:137]
	v_add_f64 v[112:113], v[112:113], v[150:151]
	v_add_f64 v[5:6], v[5:6], v[134:135]
	s_clause 0x2
	buffer_load_dword v153, off, s[0:3], 0 offset:620
	buffer_load_dword v135, off, s[0:3], 0 offset:596
	;; [unrolled: 1-line block ×3, first 2 shown]
	ds_read_b128 v[106:109], v156 offset:1136
	s_waitcnt vmcnt(58) lgkmcnt(1)
	v_mul_f64 v[150:151], v[3:4], v[173:174]
	v_mul_f64 v[144:145], v[1:2], v[173:174]
	s_waitcnt vmcnt(56)
	v_fma_f64 v[171:172], v[102:103], v[169:170], -v[171:172]
	v_add_f64 v[112:113], v[112:113], v[142:143]
	v_fma_f64 v[142:143], v[104:105], v[169:170], v[186:187]
	v_add_f64 v[5:6], v[5:6], v[136:137]
	s_clause 0x4
	buffer_load_dword v137, off, s[0:3], 0 offset:636
	buffer_load_dword v169, off, s[0:3], 0 offset:648
	;; [unrolled: 1-line block ×5, first 2 shown]
	s_waitcnt vmcnt(57) lgkmcnt(0)
	v_mul_f64 v[186:187], v[106:107], v[163:164]
	v_mul_f64 v[163:164], v[108:109], v[163:164]
	ds_read_b128 v[102:105], v156 offset:1152
	s_waitcnt vmcnt(56)
	v_fma_f64 v[150:151], v[1:2], v[175:176], -v[150:151]
	v_fma_f64 v[144:145], v[3:4], v[175:176], v[144:145]
	v_add_f64 v[112:113], v[112:113], v[171:172]
	v_add_f64 v[5:6], v[5:6], v[142:143]
	s_clause 0x2
	buffer_load_dword v170, off, s[0:3], 0 offset:652
	buffer_load_dword v143, off, s[0:3], 0 offset:628
	;; [unrolled: 1-line block ×3, first 2 shown]
	s_waitcnt vmcnt(58) lgkmcnt(0)
	v_mul_f64 v[175:176], v[104:105], v[177:178]
	s_waitcnt vmcnt(56)
	v_fma_f64 v[163:164], v[106:107], v[167:168], -v[163:164]
	ds_read_b128 v[1:4], v156 offset:1168
	v_mul_f64 v[171:172], v[102:103], v[177:178]
	v_add_f64 v[112:113], v[112:113], v[150:151]
	v_fma_f64 v[150:151], v[108:109], v[167:168], v[186:187]
	v_add_f64 v[5:6], v[5:6], v[144:145]
	s_clause 0x4
	buffer_load_dword v145, off, s[0:3], 0 offset:668
	buffer_load_dword v167, off, s[0:3], 0 offset:680
	;; [unrolled: 1-line block ×5, first 2 shown]
	ds_read_b128 v[106:109], v156 offset:1184
	s_waitcnt vmcnt(57) lgkmcnt(1)
	v_mul_f64 v[186:187], v[1:2], v[120:121]
	v_mul_f64 v[120:121], v[3:4], v[120:121]
	s_waitcnt vmcnt(56)
	v_fma_f64 v[175:176], v[102:103], v[182:183], -v[175:176]
	v_add_f64 v[112:113], v[112:113], v[163:164]
	v_fma_f64 v[163:164], v[104:105], v[182:183], v[171:172]
	v_add_f64 v[5:6], v[5:6], v[150:151]
	s_clause 0x2
	buffer_load_dword v168, off, s[0:3], 0 offset:684
	buffer_load_dword v151, off, s[0:3], 0 offset:660
	;; [unrolled: 1-line block ×3, first 2 shown]
	ds_read_b128 v[102:105], v156 offset:1200
	s_waitcnt vmcnt(58) lgkmcnt(1)
	v_mul_f64 v[171:172], v[106:107], v[165:166]
	v_mul_f64 v[165:166], v[108:109], v[165:166]
	s_waitcnt vmcnt(56)
	v_fma_f64 v[120:121], v[1:2], v[114:115], -v[120:121]
	v_fma_f64 v[114:115], v[3:4], v[114:115], v[186:187]
	v_add_f64 v[112:113], v[112:113], v[175:176]
	v_add_f64 v[5:6], v[5:6], v[163:164]
	s_clause 0x4
	buffer_load_dword v164, off, s[0:3], 0 offset:700
	buffer_load_dword v175, off, s[0:3], 0 offset:712
	buffer_load_dword v181, off, s[0:3], 0 offset:704
	buffer_load_dword v163, off, s[0:3], 0 offset:696
	buffer_load_dword v178, off, s[0:3], 0 offset:676
	s_waitcnt vmcnt(57) lgkmcnt(0)
	v_mul_f64 v[182:183], v[102:103], v[157:158]
	v_mul_f64 v[157:158], v[104:105], v[157:158]
	ds_read_b128 v[1:4], v156 offset:1216
	s_waitcnt vmcnt(56)
	v_fma_f64 v[165:166], v[106:107], v[184:185], -v[165:166]
	v_add_f64 v[112:113], v[112:113], v[120:121]
	v_fma_f64 v[120:121], v[108:109], v[184:185], v[171:172]
	v_add_f64 v[5:6], v[5:6], v[114:115]
	s_clause 0x2
	buffer_load_dword v176, off, s[0:3], 0 offset:716
	buffer_load_dword v115, off, s[0:3], 0 offset:692
	;; [unrolled: 1-line block ×3, first 2 shown]
	ds_read_b128 v[106:109], v156 offset:1232
	s_waitcnt vmcnt(58) lgkmcnt(1)
	v_mul_f64 v[171:172], v[1:2], v[159:160]
	v_mul_f64 v[159:160], v[3:4], v[159:160]
	s_waitcnt vmcnt(56)
	v_fma_f64 v[157:158], v[102:103], v[116:117], -v[157:158]
	v_fma_f64 v[116:117], v[104:105], v[116:117], v[182:183]
	v_add_f64 v[112:113], v[112:113], v[165:166]
	v_add_f64 v[5:6], v[5:6], v[120:121]
	s_clause 0x4
	buffer_load_dword v121, off, s[0:3], 0 offset:732
	buffer_load_dword v165, off, s[0:3], 0 offset:744
	buffer_load_dword v183, off, s[0:3], 0 offset:736
	buffer_load_dword v120, off, s[0:3], 0 offset:728
	buffer_load_dword v182, off, s[0:3], 0 offset:708
	ds_read_b128 v[102:105], v156 offset:1248
	s_waitcnt vmcnt(57) lgkmcnt(1)
	v_mul_f64 v[184:185], v[106:107], v[110:111]
	v_mul_f64 v[110:111], v[108:109], v[110:111]
	s_waitcnt vmcnt(56)
	v_fma_f64 v[159:160], v[1:2], v[179:180], -v[159:160]
	v_add_f64 v[112:113], v[112:113], v[157:158]
	v_fma_f64 v[157:158], v[3:4], v[179:180], v[171:172]
	v_add_f64 v[5:6], v[5:6], v[116:117]
	s_clause 0x2
	buffer_load_dword v166, off, s[0:3], 0 offset:748
	buffer_load_dword v117, off, s[0:3], 0 offset:724
	;; [unrolled: 1-line block ×3, first 2 shown]
	ds_read_b128 v[1:4], v156 offset:1264
	s_waitcnt vmcnt(58) lgkmcnt(1)
	v_mul_f64 v[171:172], v[102:103], v[132:133]
	v_mul_f64 v[132:133], v[104:105], v[132:133]
	s_waitcnt vmcnt(56)
	v_fma_f64 v[110:111], v[106:107], v[122:123], -v[110:111]
	v_fma_f64 v[122:123], v[108:109], v[122:123], v[184:185]
	v_add_f64 v[112:113], v[112:113], v[159:160]
	v_add_f64 v[5:6], v[5:6], v[157:158]
	s_clause 0x2
	buffer_load_dword v158, off, s[0:3], 0 offset:764
	buffer_load_dword v157, off, s[0:3], 0 offset:760
	;; [unrolled: 1-line block ×3, first 2 shown]
	ds_read_b128 v[106:109], v156 offset:1280
	s_waitcnt vmcnt(55) lgkmcnt(1)
	v_mul_f64 v[159:160], v[1:2], v[118:119]
	v_mul_f64 v[118:119], v[3:4], v[118:119]
	s_waitcnt vmcnt(54)
	v_fma_f64 v[132:133], v[102:103], v[161:162], -v[132:133]
	v_add_f64 v[110:111], v[112:113], v[110:111]
	v_fma_f64 v[112:113], v[104:105], v[161:162], v[171:172]
	v_add_f64 v[5:6], v[5:6], v[122:123]
	s_clause 0x1
	buffer_load_dword v123, off, s[0:3], 0 offset:756
	buffer_load_dword v122, off, s[0:3], 0 offset:752
	s_waitcnt vmcnt(55) lgkmcnt(0)
	v_mul_f64 v[161:162], v[106:107], v[138:139]
	v_mul_f64 v[138:139], v[108:109], v[138:139]
	ds_read_b128 v[102:105], v156 offset:1296
	s_waitcnt vmcnt(53)
	v_fma_f64 v[118:119], v[1:2], v[128:129], -v[118:119]
	v_fma_f64 v[128:129], v[3:4], v[128:129], v[159:160]
	ds_read_b128 v[1:4], v156 offset:1312
	v_add_f64 v[110:111], v[110:111], v[132:133]
	v_add_f64 v[5:6], v[5:6], v[112:113]
	s_waitcnt vmcnt(49) lgkmcnt(1)
	v_mul_f64 v[112:113], v[102:103], v[124:125]
	v_mul_f64 v[124:125], v[104:105], v[124:125]
	s_waitcnt vmcnt(48)
	v_fma_f64 v[132:133], v[106:107], v[140:141], -v[138:139]
	v_add_f64 v[110:111], v[110:111], v[118:119]
	v_fma_f64 v[118:119], v[108:109], v[140:141], v[161:162]
	v_add_f64 v[5:6], v[5:6], v[128:129]
	s_clause 0x3
	buffer_load_dword v128, off, s[0:3], 0 offset:112
	buffer_load_dword v129, off, s[0:3], 0 offset:116
	;; [unrolled: 1-line block ×4, first 2 shown]
	ds_read_b128 v[106:109], v156 offset:1328
	s_waitcnt vmcnt(51) lgkmcnt(1)
	v_mul_f64 v[140:141], v[1:2], v[146:147]
	v_mul_f64 v[146:147], v[3:4], v[146:147]
	s_waitcnt vmcnt(49)
	v_fma_f64 v[124:125], v[102:103], v[126:127], -v[124:125]
	v_fma_f64 v[112:113], v[104:105], v[126:127], v[112:113]
	ds_read_b128 v[102:105], v156 offset:1344
	v_add_f64 v[110:111], v[110:111], v[132:133]
	v_add_f64 v[5:6], v[5:6], v[118:119]
	s_waitcnt vmcnt(45) lgkmcnt(1)
	v_mul_f64 v[118:119], v[106:107], v[130:131]
	v_mul_f64 v[126:127], v[108:109], v[130:131]
	s_waitcnt vmcnt(44)
	v_fma_f64 v[130:131], v[1:2], v[148:149], -v[146:147]
	v_add_f64 v[110:111], v[110:111], v[124:125]
	v_fma_f64 v[124:125], v[3:4], v[148:149], v[140:141]
	v_add_f64 v[5:6], v[5:6], v[112:113]
	ds_read_b128 v[1:4], v156 offset:1360
	s_waitcnt vmcnt(43) lgkmcnt(1)
	v_mul_f64 v[132:133], v[104:105], v[152:153]
	v_mul_f64 v[112:113], v[102:103], v[152:153]
	s_waitcnt vmcnt(41)
	v_fma_f64 v[126:127], v[106:107], v[134:135], -v[126:127]
	v_fma_f64 v[118:119], v[108:109], v[134:135], v[118:119]
	ds_read_b128 v[106:109], v156 offset:1376
	v_add_f64 v[110:111], v[110:111], v[130:131]
	v_add_f64 v[5:6], v[5:6], v[124:125]
	s_waitcnt vmcnt(37) lgkmcnt(1)
	v_mul_f64 v[130:131], v[3:4], v[136:137]
	s_waitcnt vmcnt(36)
	v_fma_f64 v[132:133], v[102:103], v[154:155], -v[132:133]
	v_mul_f64 v[124:125], v[1:2], v[136:137]
	v_fma_f64 v[112:113], v[104:105], v[154:155], v[112:113]
	ds_read_b128 v[102:105], v156 offset:1392
	v_add_f64 v[110:111], v[110:111], v[126:127]
	v_add_f64 v[5:6], v[5:6], v[118:119]
	s_waitcnt vmcnt(35) lgkmcnt(1)
	v_mul_f64 v[126:127], v[108:109], v[169:170]
	v_mul_f64 v[118:119], v[106:107], v[169:170]
	s_waitcnt vmcnt(33)
	v_fma_f64 v[130:131], v[1:2], v[142:143], -v[130:131]
	v_fma_f64 v[124:125], v[3:4], v[142:143], v[124:125]
	ds_read_b128 v[1:4], v156 offset:1408
	v_add_f64 v[110:111], v[110:111], v[132:133]
	v_add_f64 v[5:6], v[5:6], v[112:113]
	s_waitcnt vmcnt(29) lgkmcnt(1)
	v_mul_f64 v[132:133], v[104:105], v[144:145]
	s_waitcnt vmcnt(28)
	v_fma_f64 v[126:127], v[106:107], v[173:174], -v[126:127]
	v_mul_f64 v[112:113], v[102:103], v[144:145]
	v_fma_f64 v[118:119], v[108:109], v[173:174], v[118:119]
	ds_read_b128 v[106:109], v156 offset:1424
	v_add_f64 v[110:111], v[110:111], v[130:131]
	v_add_f64 v[5:6], v[5:6], v[124:125]
	s_waitcnt vmcnt(27) lgkmcnt(1)
	v_mul_f64 v[130:131], v[3:4], v[167:168]
	v_mul_f64 v[124:125], v[1:2], v[167:168]
	s_waitcnt vmcnt(25)
	v_fma_f64 v[132:133], v[102:103], v[150:151], -v[132:133]
	v_fma_f64 v[112:113], v[104:105], v[150:151], v[112:113]
	ds_read_b128 v[102:105], v156 offset:1440
	v_add_f64 v[110:111], v[110:111], v[126:127]
	v_add_f64 v[5:6], v[5:6], v[118:119]
	s_waitcnt vmcnt(21) lgkmcnt(1)
	v_mul_f64 v[126:127], v[108:109], v[163:164]
	s_waitcnt vmcnt(20)
	v_fma_f64 v[130:131], v[1:2], v[177:178], -v[130:131]
	v_mul_f64 v[118:119], v[106:107], v[163:164]
	v_fma_f64 v[124:125], v[3:4], v[177:178], v[124:125]
	ds_read_b128 v[1:4], v156 offset:1456
	v_add_f64 v[110:111], v[110:111], v[132:133]
	v_add_f64 v[5:6], v[5:6], v[112:113]
	s_waitcnt vmcnt(19) lgkmcnt(1)
	v_mul_f64 v[132:133], v[104:105], v[175:176]
	v_mul_f64 v[112:113], v[102:103], v[175:176]
	s_waitcnt vmcnt(17)
	v_fma_f64 v[126:127], v[106:107], v[114:115], -v[126:127]
	v_fma_f64 v[114:115], v[108:109], v[114:115], v[118:119]
	ds_read_b128 v[106:109], v156 offset:1472
	v_add_f64 v[110:111], v[110:111], v[130:131]
	v_add_f64 v[5:6], v[5:6], v[124:125]
	s_waitcnt vmcnt(13) lgkmcnt(1)
	v_mul_f64 v[118:119], v[1:2], v[120:121]
	v_mul_f64 v[120:121], v[3:4], v[120:121]
	s_waitcnt vmcnt(12)
	v_fma_f64 v[124:125], v[102:103], v[181:182], -v[132:133]
	v_fma_f64 v[112:113], v[104:105], v[181:182], v[112:113]
	ds_read_b128 v[102:105], v156 offset:1488
	v_add_f64 v[110:111], v[110:111], v[126:127]
	v_add_f64 v[5:6], v[5:6], v[114:115]
	s_waitcnt vmcnt(11) lgkmcnt(1)
	v_mul_f64 v[126:127], v[108:109], v[165:166]
	v_mul_f64 v[114:115], v[106:107], v[165:166]
	s_waitcnt vmcnt(9)
	v_fma_f64 v[1:2], v[1:2], v[116:117], -v[120:121]
	v_fma_f64 v[3:4], v[3:4], v[116:117], v[118:119]
	v_add_f64 v[110:111], v[110:111], v[124:125]
	v_add_f64 v[5:6], v[5:6], v[112:113]
	s_waitcnt vmcnt(7) lgkmcnt(0)
	v_mul_f64 v[116:117], v[104:105], v[157:158]
	s_waitcnt vmcnt(6)
	v_fma_f64 v[106:107], v[106:107], v[183:184], -v[126:127]
	v_mul_f64 v[112:113], v[102:103], v[157:158]
	v_fma_f64 v[108:109], v[108:109], v[183:184], v[114:115]
	v_add_f64 v[1:2], v[110:111], v[1:2]
	v_add_f64 v[3:4], v[5:6], v[3:4]
	s_waitcnt vmcnt(4)
	v_fma_f64 v[5:6], v[102:103], v[122:123], -v[116:117]
	v_fma_f64 v[102:103], v[104:105], v[122:123], v[112:113]
	v_add_f64 v[1:2], v[1:2], v[106:107]
	v_add_f64 v[3:4], v[3:4], v[108:109]
	v_add_f64 v[1:2], v[1:2], v[5:6]
	v_add_f64 v[3:4], v[3:4], v[102:103]
	s_waitcnt vmcnt(2)
	v_add_f64 v[1:2], v[128:129], -v[1:2]
	s_waitcnt vmcnt(0)
	v_add_f64 v[3:4], v[138:139], -v[3:4]
	buffer_store_dword v2, off, s[0:3], 0 offset:116
	buffer_store_dword v1, off, s[0:3], 0 offset:112
	;; [unrolled: 1-line block ×4, first 2 shown]
	v_cmpx_lt_u32_e32 5, v0
	s_cbranch_execz .LBB110_285
; %bb.284:
	v_mov_b32_e32 v4, s54
	v_mov_b32_e32 v5, 0
	s_clause 0x3
	buffer_load_dword v1, v4, s[0:3], 0 offen
	buffer_load_dword v2, v4, s[0:3], 0 offen offset:4
	buffer_load_dword v3, v4, s[0:3], 0 offen offset:8
	buffer_load_dword v4, v4, s[0:3], 0 offen offset:12
	buffer_store_dword v5, off, s[0:3], 0 offset:96
	buffer_store_dword v5, off, s[0:3], 0 offset:100
	buffer_store_dword v5, off, s[0:3], 0 offset:104
	buffer_store_dword v5, off, s[0:3], 0 offset:108
	s_waitcnt vmcnt(0)
	ds_write_b128 v7, v[1:4]
.LBB110_285:
	s_or_b32 exec_lo, exec_lo, s4
	s_waitcnt lgkmcnt(0)
	s_waitcnt_vscnt null, 0x0
	s_barrier
	buffer_gl0_inv
	s_clause 0x37
	buffer_load_dword v104, off, s[0:3], 0 offset:120
	buffer_load_dword v105, off, s[0:3], 0 offset:124
	;; [unrolled: 1-line block ×56, first 2 shown]
	v_mov_b32_e32 v156, 0
	s_mov_b32 s4, exec_lo
	ds_read_b128 v[157:160], v156 offset:848
	s_clause 0x2
	buffer_load_dword v153, off, s[0:3], 0 offset:348
	buffer_load_dword v155, off, s[0:3], 0 offset:324
	;; [unrolled: 1-line block ×3, first 2 shown]
	ds_read_b128 v[161:164], v156 offset:864
	s_clause 0x4
	buffer_load_dword v172, off, s[0:3], 0 offset:364
	buffer_load_dword v173, off, s[0:3], 0 offset:376
	;; [unrolled: 1-line block ×5, first 2 shown]
	ds_read_b128 v[165:168], v156 offset:880
	s_waitcnt vmcnt(62) lgkmcnt(2)
	v_mul_f64 v[169:170], v[159:160], v[104:105]
	v_mul_f64 v[104:105], v[157:158], v[104:105]
	s_waitcnt vmcnt(60) lgkmcnt(1)
	v_mul_f64 v[176:177], v[163:164], v[5:6]
	v_mul_f64 v[5:6], v[161:162], v[5:6]
	;; [unrolled: 3-line block ×3, first 2 shown]
	v_fma_f64 v[157:158], v[157:158], v[102:103], -v[169:170]
	v_fma_f64 v[159:160], v[159:160], v[102:103], v[104:105]
	s_clause 0x2
	buffer_load_dword v174, off, s[0:3], 0 offset:380
	buffer_load_dword v170, off, s[0:3], 0 offset:356
	;; [unrolled: 1-line block ×3, first 2 shown]
	s_waitcnt vmcnt(57)
	v_fma_f64 v[161:162], v[161:162], v[1:2], -v[176:177]
	ds_read_b128 v[102:105], v156 offset:896
	v_fma_f64 v[5:6], v[163:164], v[1:2], v[5:6]
	s_clause 0x4
	buffer_load_dword v164, off, s[0:3], 0 offset:396
	buffer_load_dword v177, off, s[0:3], 0 offset:408
	;; [unrolled: 1-line block ×5, first 2 shown]
	s_waitcnt vmcnt(56)
	v_fma_f64 v[165:166], v[165:166], v[120:121], -v[180:181]
	ds_read_b128 v[1:4], v156 offset:912
	v_fma_f64 v[120:121], v[167:168], v[120:121], v[178:179]
	s_clause 0x2
	buffer_load_dword v178, off, s[0:3], 0 offset:412
	buffer_load_dword v168, off, s[0:3], 0 offset:388
	;; [unrolled: 1-line block ×3, first 2 shown]
	v_add_f64 v[157:158], v[157:158], 0
	v_add_f64 v[159:160], v[159:160], 0
	s_waitcnt lgkmcnt(1)
	v_mul_f64 v[183:184], v[102:103], v[108:109]
	v_mul_f64 v[108:109], v[104:105], v[108:109]
	s_waitcnt vmcnt(58) lgkmcnt(0)
	v_mul_f64 v[179:180], v[1:2], v[112:113]
	v_mul_f64 v[112:113], v[3:4], v[112:113]
	v_add_f64 v[161:162], v[157:158], v[161:162]
	v_add_f64 v[5:6], v[159:160], v[5:6]
	ds_read_b128 v[157:160], v156 offset:928
	s_waitcnt vmcnt(56)
	v_fma_f64 v[108:109], v[102:103], v[114:115], -v[108:109]
	v_fma_f64 v[114:115], v[104:105], v[114:115], v[183:184]
	s_waitcnt vmcnt(51)
	v_fma_f64 v[112:113], v[1:2], v[106:107], -v[112:113]
	v_fma_f64 v[106:107], v[3:4], v[106:107], v[179:180]
	s_waitcnt lgkmcnt(0)
	v_mul_f64 v[185:186], v[157:158], v[116:117]
	v_add_f64 v[161:162], v[161:162], v[165:166]
	v_add_f64 v[5:6], v[5:6], v[120:121]
	s_clause 0x4
	buffer_load_dword v121, off, s[0:3], 0 offset:428
	buffer_load_dword v165, off, s[0:3], 0 offset:440
	;; [unrolled: 1-line block ×5, first 2 shown]
	v_mul_f64 v[116:117], v[159:160], v[116:117]
	ds_read_b128 v[102:105], v156 offset:944
	v_add_f64 v[108:109], v[161:162], v[108:109]
	v_add_f64 v[5:6], v[5:6], v[114:115]
	s_clause 0x2
	buffer_load_dword v166, off, s[0:3], 0 offset:444
	buffer_load_dword v115, off, s[0:3], 0 offset:420
	;; [unrolled: 1-line block ×3, first 2 shown]
	s_waitcnt vmcnt(58) lgkmcnt(0)
	v_mul_f64 v[161:162], v[102:103], v[122:123]
	v_mul_f64 v[122:123], v[104:105], v[122:123]
	s_waitcnt vmcnt(56)
	v_fma_f64 v[116:117], v[157:158], v[124:125], -v[116:117]
	ds_read_b128 v[1:4], v156 offset:960
	v_fma_f64 v[124:125], v[159:160], v[124:125], v[185:186]
	s_clause 0x4
	buffer_load_dword v158, off, s[0:3], 0 offset:460
	buffer_load_dword v159, off, s[0:3], 0 offset:472
	buffer_load_dword v179, off, s[0:3], 0 offset:464
	buffer_load_dword v157, off, s[0:3], 0 offset:456
	buffer_load_dword v185, off, s[0:3], 0 offset:436
	v_add_f64 v[112:113], v[108:109], v[112:113]
	v_add_f64 v[5:6], v[5:6], v[106:107]
	ds_read_b128 v[106:109], v156 offset:976
	s_waitcnt vmcnt(57) lgkmcnt(1)
	v_mul_f64 v[180:181], v[1:2], v[126:127]
	v_mul_f64 v[126:127], v[3:4], v[126:127]
	s_waitcnt vmcnt(56)
	v_fma_f64 v[122:123], v[102:103], v[110:111], -v[122:123]
	v_fma_f64 v[110:111], v[104:105], v[110:111], v[161:162]
	v_add_f64 v[112:113], v[112:113], v[116:117]
	v_add_f64 v[5:6], v[5:6], v[124:125]
	s_clause 0x2
	buffer_load_dword v160, off, s[0:3], 0 offset:476
	buffer_load_dword v117, off, s[0:3], 0 offset:452
	;; [unrolled: 1-line block ×3, first 2 shown]
	s_waitcnt vmcnt(58) lgkmcnt(0)
	v_mul_f64 v[124:125], v[106:107], v[130:131]
	v_mul_f64 v[130:131], v[108:109], v[130:131]
	s_waitcnt vmcnt(56)
	v_fma_f64 v[126:127], v[1:2], v[132:133], -v[126:127]
	ds_read_b128 v[102:105], v156 offset:992
	v_add_f64 v[112:113], v[112:113], v[122:123]
	v_fma_f64 v[122:123], v[3:4], v[132:133], v[180:181]
	v_add_f64 v[5:6], v[5:6], v[110:111]
	s_clause 0x4
	buffer_load_dword v111, off, s[0:3], 0 offset:492
	buffer_load_dword v132, off, s[0:3], 0 offset:504
	;; [unrolled: 1-line block ×5, first 2 shown]
	s_waitcnt vmcnt(57) lgkmcnt(0)
	v_mul_f64 v[186:187], v[102:103], v[134:135]
	v_mul_f64 v[134:135], v[104:105], v[134:135]
	s_waitcnt vmcnt(56)
	v_fma_f64 v[130:131], v[106:107], v[118:119], -v[130:131]
	ds_read_b128 v[1:4], v156 offset:1008
	v_fma_f64 v[118:119], v[108:109], v[118:119], v[124:125]
	v_add_f64 v[112:113], v[112:113], v[126:127]
	v_add_f64 v[5:6], v[5:6], v[122:123]
	s_clause 0x2
	buffer_load_dword v133, off, s[0:3], 0 offset:508
	buffer_load_dword v123, off, s[0:3], 0 offset:484
	;; [unrolled: 1-line block ×3, first 2 shown]
	ds_read_b128 v[106:109], v156 offset:1024
	s_waitcnt vmcnt(58) lgkmcnt(1)
	v_mul_f64 v[126:127], v[3:4], v[138:139]
	s_waitcnt vmcnt(56)
	v_fma_f64 v[134:135], v[102:103], v[140:141], -v[134:135]
	v_mul_f64 v[124:125], v[1:2], v[138:139]
	v_add_f64 v[112:113], v[112:113], v[130:131]
	v_fma_f64 v[130:131], v[104:105], v[140:141], v[186:187]
	v_add_f64 v[5:6], v[5:6], v[118:119]
	s_clause 0x4
	buffer_load_dword v119, off, s[0:3], 0 offset:524
	buffer_load_dword v138, off, s[0:3], 0 offset:536
	;; [unrolled: 1-line block ×5, first 2 shown]
	s_waitcnt vmcnt(57) lgkmcnt(0)
	v_mul_f64 v[186:187], v[106:107], v[142:143]
	v_mul_f64 v[141:142], v[108:109], v[142:143]
	s_waitcnt vmcnt(56)
	v_fma_f64 v[126:127], v[1:2], v[128:129], -v[126:127]
	ds_read_b128 v[102:105], v156 offset:1040
	v_fma_f64 v[124:125], v[3:4], v[128:129], v[124:125]
	s_clause 0x2
	buffer_load_dword v139, off, s[0:3], 0 offset:540
	buffer_load_dword v129, off, s[0:3], 0 offset:516
	;; [unrolled: 1-line block ×3, first 2 shown]
	ds_read_b128 v[1:4], v156 offset:1056
	v_add_f64 v[112:113], v[112:113], v[134:135]
	v_add_f64 v[5:6], v[5:6], v[130:131]
	s_waitcnt vmcnt(58) lgkmcnt(1)
	v_mul_f64 v[134:135], v[104:105], v[146:147]
	s_waitcnt vmcnt(56)
	v_fma_f64 v[142:143], v[106:107], v[148:149], -v[141:142]
	v_mul_f64 v[130:131], v[102:103], v[146:147]
	v_add_f64 v[112:113], v[112:113], v[126:127]
	v_fma_f64 v[126:127], v[108:109], v[148:149], v[186:187]
	v_add_f64 v[5:6], v[5:6], v[124:125]
	s_clause 0x4
	buffer_load_dword v125, off, s[0:3], 0 offset:556
	buffer_load_dword v146, off, s[0:3], 0 offset:568
	buffer_load_dword v148, off, s[0:3], 0 offset:560
	buffer_load_dword v124, off, s[0:3], 0 offset:552
	buffer_load_dword v141, off, s[0:3], 0 offset:532
	s_waitcnt vmcnt(57) lgkmcnt(0)
	v_mul_f64 v[186:187], v[1:2], v[150:151]
	v_mul_f64 v[149:150], v[3:4], v[150:151]
	s_waitcnt vmcnt(56)
	v_fma_f64 v[134:135], v[102:103], v[136:137], -v[134:135]
	ds_read_b128 v[106:109], v156 offset:1072
	v_fma_f64 v[130:131], v[104:105], v[136:137], v[130:131]
	v_add_f64 v[112:113], v[112:113], v[142:143]
	v_add_f64 v[5:6], v[5:6], v[126:127]
	s_clause 0x2
	buffer_load_dword v147, off, s[0:3], 0 offset:572
	buffer_load_dword v127, off, s[0:3], 0 offset:548
	;; [unrolled: 1-line block ×3, first 2 shown]
	ds_read_b128 v[102:105], v156 offset:1088
	s_waitcnt vmcnt(58) lgkmcnt(1)
	v_mul_f64 v[142:143], v[108:109], v[152:153]
	s_waitcnt vmcnt(56)
	v_fma_f64 v[150:151], v[1:2], v[154:155], -v[149:150]
	v_mul_f64 v[136:137], v[106:107], v[152:153]
	v_add_f64 v[112:113], v[112:113], v[134:135]
	v_fma_f64 v[134:135], v[3:4], v[154:155], v[186:187]
	v_add_f64 v[5:6], v[5:6], v[130:131]
	s_clause 0x4
	buffer_load_dword v131, off, s[0:3], 0 offset:588
	buffer_load_dword v152, off, s[0:3], 0 offset:600
	;; [unrolled: 1-line block ×5, first 2 shown]
	s_waitcnt vmcnt(57) lgkmcnt(0)
	v_mul_f64 v[186:187], v[102:103], v[171:172]
	v_mul_f64 v[171:172], v[104:105], v[171:172]
	s_waitcnt vmcnt(56)
	v_fma_f64 v[142:143], v[106:107], v[144:145], -v[142:143]
	ds_read_b128 v[1:4], v156 offset:1104
	v_fma_f64 v[136:137], v[108:109], v[144:145], v[136:137]
	v_add_f64 v[112:113], v[112:113], v[150:151]
	v_add_f64 v[5:6], v[5:6], v[134:135]
	s_clause 0x2
	buffer_load_dword v153, off, s[0:3], 0 offset:604
	buffer_load_dword v135, off, s[0:3], 0 offset:580
	;; [unrolled: 1-line block ×3, first 2 shown]
	ds_read_b128 v[106:109], v156 offset:1120
	s_waitcnt vmcnt(58) lgkmcnt(1)
	v_mul_f64 v[150:151], v[3:4], v[173:174]
	v_mul_f64 v[144:145], v[1:2], v[173:174]
	s_waitcnt vmcnt(56)
	v_fma_f64 v[171:172], v[102:103], v[169:170], -v[171:172]
	v_add_f64 v[112:113], v[112:113], v[142:143]
	v_fma_f64 v[142:143], v[104:105], v[169:170], v[186:187]
	v_add_f64 v[5:6], v[5:6], v[136:137]
	s_clause 0x4
	buffer_load_dword v137, off, s[0:3], 0 offset:620
	buffer_load_dword v169, off, s[0:3], 0 offset:632
	;; [unrolled: 1-line block ×5, first 2 shown]
	s_waitcnt vmcnt(57) lgkmcnt(0)
	v_mul_f64 v[186:187], v[106:107], v[163:164]
	v_mul_f64 v[163:164], v[108:109], v[163:164]
	ds_read_b128 v[102:105], v156 offset:1136
	s_waitcnt vmcnt(56)
	v_fma_f64 v[150:151], v[1:2], v[175:176], -v[150:151]
	v_fma_f64 v[144:145], v[3:4], v[175:176], v[144:145]
	v_add_f64 v[112:113], v[112:113], v[171:172]
	v_add_f64 v[5:6], v[5:6], v[142:143]
	s_clause 0x2
	buffer_load_dword v170, off, s[0:3], 0 offset:636
	buffer_load_dword v143, off, s[0:3], 0 offset:612
	buffer_load_dword v142, off, s[0:3], 0 offset:608
	s_waitcnt vmcnt(58) lgkmcnt(0)
	v_mul_f64 v[175:176], v[104:105], v[177:178]
	s_waitcnt vmcnt(56)
	v_fma_f64 v[163:164], v[106:107], v[167:168], -v[163:164]
	ds_read_b128 v[1:4], v156 offset:1152
	v_mul_f64 v[171:172], v[102:103], v[177:178]
	v_add_f64 v[112:113], v[112:113], v[150:151]
	v_fma_f64 v[150:151], v[108:109], v[167:168], v[186:187]
	v_add_f64 v[5:6], v[5:6], v[144:145]
	s_clause 0x4
	buffer_load_dword v145, off, s[0:3], 0 offset:652
	buffer_load_dword v167, off, s[0:3], 0 offset:664
	buffer_load_dword v177, off, s[0:3], 0 offset:656
	buffer_load_dword v144, off, s[0:3], 0 offset:648
	buffer_load_dword v174, off, s[0:3], 0 offset:628
	ds_read_b128 v[106:109], v156 offset:1168
	s_waitcnt vmcnt(57) lgkmcnt(1)
	v_mul_f64 v[186:187], v[1:2], v[120:121]
	v_mul_f64 v[120:121], v[3:4], v[120:121]
	s_waitcnt vmcnt(56)
	v_fma_f64 v[175:176], v[102:103], v[182:183], -v[175:176]
	v_add_f64 v[112:113], v[112:113], v[163:164]
	v_fma_f64 v[163:164], v[104:105], v[182:183], v[171:172]
	v_add_f64 v[5:6], v[5:6], v[150:151]
	s_clause 0x2
	buffer_load_dword v168, off, s[0:3], 0 offset:668
	buffer_load_dword v151, off, s[0:3], 0 offset:644
	;; [unrolled: 1-line block ×3, first 2 shown]
	ds_read_b128 v[102:105], v156 offset:1184
	s_waitcnt vmcnt(58) lgkmcnt(1)
	v_mul_f64 v[171:172], v[106:107], v[165:166]
	v_mul_f64 v[165:166], v[108:109], v[165:166]
	s_waitcnt vmcnt(56)
	v_fma_f64 v[120:121], v[1:2], v[114:115], -v[120:121]
	v_fma_f64 v[114:115], v[3:4], v[114:115], v[186:187]
	v_add_f64 v[112:113], v[112:113], v[175:176]
	v_add_f64 v[5:6], v[5:6], v[163:164]
	s_clause 0x4
	buffer_load_dword v164, off, s[0:3], 0 offset:684
	buffer_load_dword v175, off, s[0:3], 0 offset:696
	;; [unrolled: 1-line block ×5, first 2 shown]
	s_waitcnt vmcnt(57) lgkmcnt(0)
	v_mul_f64 v[182:183], v[102:103], v[157:158]
	v_mul_f64 v[157:158], v[104:105], v[157:158]
	ds_read_b128 v[1:4], v156 offset:1200
	s_waitcnt vmcnt(56)
	v_fma_f64 v[165:166], v[106:107], v[184:185], -v[165:166]
	v_add_f64 v[112:113], v[112:113], v[120:121]
	v_fma_f64 v[120:121], v[108:109], v[184:185], v[171:172]
	v_add_f64 v[5:6], v[5:6], v[114:115]
	s_clause 0x2
	buffer_load_dword v176, off, s[0:3], 0 offset:700
	buffer_load_dword v115, off, s[0:3], 0 offset:676
	;; [unrolled: 1-line block ×3, first 2 shown]
	ds_read_b128 v[106:109], v156 offset:1216
	s_waitcnt vmcnt(58) lgkmcnt(1)
	v_mul_f64 v[171:172], v[1:2], v[159:160]
	v_mul_f64 v[159:160], v[3:4], v[159:160]
	s_waitcnt vmcnt(56)
	v_fma_f64 v[157:158], v[102:103], v[116:117], -v[157:158]
	v_fma_f64 v[116:117], v[104:105], v[116:117], v[182:183]
	v_add_f64 v[112:113], v[112:113], v[165:166]
	v_add_f64 v[5:6], v[5:6], v[120:121]
	s_clause 0x4
	buffer_load_dword v121, off, s[0:3], 0 offset:716
	buffer_load_dword v165, off, s[0:3], 0 offset:728
	;; [unrolled: 1-line block ×5, first 2 shown]
	ds_read_b128 v[102:105], v156 offset:1232
	s_waitcnt vmcnt(57) lgkmcnt(1)
	v_mul_f64 v[184:185], v[106:107], v[110:111]
	v_mul_f64 v[110:111], v[108:109], v[110:111]
	s_waitcnt vmcnt(56)
	v_fma_f64 v[159:160], v[1:2], v[179:180], -v[159:160]
	v_add_f64 v[112:113], v[112:113], v[157:158]
	v_fma_f64 v[157:158], v[3:4], v[179:180], v[171:172]
	v_add_f64 v[5:6], v[5:6], v[116:117]
	s_clause 0x2
	buffer_load_dword v166, off, s[0:3], 0 offset:732
	buffer_load_dword v117, off, s[0:3], 0 offset:708
	;; [unrolled: 1-line block ×3, first 2 shown]
	ds_read_b128 v[1:4], v156 offset:1248
	s_waitcnt vmcnt(58) lgkmcnt(1)
	v_mul_f64 v[171:172], v[102:103], v[132:133]
	v_mul_f64 v[132:133], v[104:105], v[132:133]
	s_waitcnt vmcnt(56)
	v_fma_f64 v[110:111], v[106:107], v[122:123], -v[110:111]
	v_fma_f64 v[122:123], v[108:109], v[122:123], v[184:185]
	v_add_f64 v[112:113], v[112:113], v[159:160]
	v_add_f64 v[5:6], v[5:6], v[157:158]
	s_clause 0x4
	buffer_load_dword v158, off, s[0:3], 0 offset:748
	buffer_load_dword v159, off, s[0:3], 0 offset:760
	;; [unrolled: 1-line block ×5, first 2 shown]
	ds_read_b128 v[106:109], v156 offset:1264
	s_waitcnt vmcnt(57) lgkmcnt(1)
	v_mul_f64 v[185:186], v[1:2], v[118:119]
	v_mul_f64 v[118:119], v[3:4], v[118:119]
	s_waitcnt vmcnt(56)
	v_fma_f64 v[132:133], v[102:103], v[161:162], -v[132:133]
	v_add_f64 v[110:111], v[112:113], v[110:111]
	v_fma_f64 v[112:113], v[104:105], v[161:162], v[171:172]
	v_add_f64 v[5:6], v[5:6], v[122:123]
	s_clause 0x2
	buffer_load_dword v160, off, s[0:3], 0 offset:764
	buffer_load_dword v123, off, s[0:3], 0 offset:740
	;; [unrolled: 1-line block ×3, first 2 shown]
	s_waitcnt vmcnt(58) lgkmcnt(0)
	v_mul_f64 v[161:162], v[106:107], v[138:139]
	v_mul_f64 v[138:139], v[108:109], v[138:139]
	ds_read_b128 v[102:105], v156 offset:1280
	buffer_load_dword v180, off, s[0:3], 0 offset:756
	s_waitcnt vmcnt(57)
	v_fma_f64 v[118:119], v[1:2], v[128:129], -v[118:119]
	v_fma_f64 v[128:129], v[3:4], v[128:129], v[185:186]
	ds_read_b128 v[1:4], v156 offset:1296
	v_add_f64 v[110:111], v[110:111], v[132:133]
	v_add_f64 v[5:6], v[5:6], v[112:113]
	s_waitcnt vmcnt(53) lgkmcnt(1)
	v_mul_f64 v[112:113], v[102:103], v[124:125]
	v_mul_f64 v[124:125], v[104:105], v[124:125]
	s_waitcnt vmcnt(52)
	v_fma_f64 v[132:133], v[106:107], v[140:141], -v[138:139]
	v_add_f64 v[110:111], v[110:111], v[118:119]
	v_fma_f64 v[118:119], v[108:109], v[140:141], v[161:162]
	v_add_f64 v[5:6], v[5:6], v[128:129]
	ds_read_b128 v[106:109], v156 offset:1312
	s_waitcnt vmcnt(51) lgkmcnt(1)
	v_mul_f64 v[138:139], v[3:4], v[146:147]
	v_mul_f64 v[128:129], v[1:2], v[146:147]
	s_waitcnt vmcnt(49)
	v_fma_f64 v[124:125], v[102:103], v[126:127], -v[124:125]
	v_fma_f64 v[112:113], v[104:105], v[126:127], v[112:113]
	v_add_f64 v[110:111], v[110:111], v[132:133]
	v_add_f64 v[5:6], v[5:6], v[118:119]
	s_clause 0x3
	buffer_load_dword v118, off, s[0:3], 0 offset:96
	buffer_load_dword v119, off, s[0:3], 0 offset:100
	;; [unrolled: 1-line block ×4, first 2 shown]
	ds_read_b128 v[102:105], v156 offset:1328
	s_waitcnt vmcnt(49) lgkmcnt(1)
	v_mul_f64 v[132:133], v[106:107], v[130:131]
	v_mul_f64 v[130:131], v[108:109], v[130:131]
	s_waitcnt vmcnt(48)
	v_fma_f64 v[138:139], v[1:2], v[148:149], -v[138:139]
	v_add_f64 v[110:111], v[110:111], v[124:125]
	v_fma_f64 v[124:125], v[3:4], v[148:149], v[128:129]
	v_add_f64 v[5:6], v[5:6], v[112:113]
	ds_read_b128 v[1:4], v156 offset:1344
	s_waitcnt vmcnt(47) lgkmcnt(1)
	v_mul_f64 v[128:129], v[104:105], v[152:153]
	v_mul_f64 v[112:113], v[102:103], v[152:153]
	s_waitcnt vmcnt(45)
	v_fma_f64 v[130:131], v[106:107], v[134:135], -v[130:131]
	v_fma_f64 v[132:133], v[108:109], v[134:135], v[132:133]
	ds_read_b128 v[106:109], v156 offset:1360
	v_add_f64 v[110:111], v[110:111], v[138:139]
	v_add_f64 v[5:6], v[5:6], v[124:125]
	s_waitcnt vmcnt(41) lgkmcnt(1)
	v_mul_f64 v[134:135], v[3:4], v[136:137]
	s_waitcnt vmcnt(40)
	v_fma_f64 v[128:129], v[102:103], v[154:155], -v[128:129]
	v_mul_f64 v[124:125], v[1:2], v[136:137]
	v_fma_f64 v[112:113], v[104:105], v[154:155], v[112:113]
	ds_read_b128 v[102:105], v156 offset:1376
	v_add_f64 v[110:111], v[110:111], v[130:131]
	v_add_f64 v[5:6], v[5:6], v[132:133]
	s_waitcnt vmcnt(39) lgkmcnt(1)
	v_mul_f64 v[132:133], v[108:109], v[169:170]
	v_mul_f64 v[130:131], v[106:107], v[169:170]
	s_waitcnt vmcnt(37)
	v_fma_f64 v[134:135], v[1:2], v[142:143], -v[134:135]
	v_fma_f64 v[124:125], v[3:4], v[142:143], v[124:125]
	ds_read_b128 v[1:4], v156 offset:1392
	v_add_f64 v[110:111], v[110:111], v[128:129]
	v_add_f64 v[5:6], v[5:6], v[112:113]
	s_waitcnt vmcnt(33) lgkmcnt(1)
	v_mul_f64 v[128:129], v[104:105], v[144:145]
	s_waitcnt vmcnt(32)
	v_fma_f64 v[132:133], v[106:107], v[173:174], -v[132:133]
	v_mul_f64 v[112:113], v[102:103], v[144:145]
	v_fma_f64 v[130:131], v[108:109], v[173:174], v[130:131]
	ds_read_b128 v[106:109], v156 offset:1408
	v_add_f64 v[110:111], v[110:111], v[134:135]
	v_add_f64 v[5:6], v[5:6], v[124:125]
	;; [unrolled: 18-line block ×3, first 2 shown]
	s_waitcnt vmcnt(23) lgkmcnt(1)
	v_mul_f64 v[128:129], v[104:105], v[175:176]
	v_mul_f64 v[112:113], v[102:103], v[175:176]
	s_waitcnt vmcnt(21)
	v_fma_f64 v[132:133], v[106:107], v[114:115], -v[132:133]
	v_fma_f64 v[114:115], v[108:109], v[114:115], v[130:131]
	ds_read_b128 v[106:109], v156 offset:1456
	v_add_f64 v[110:111], v[110:111], v[134:135]
	v_add_f64 v[5:6], v[5:6], v[124:125]
	s_waitcnt vmcnt(17) lgkmcnt(1)
	v_mul_f64 v[124:125], v[1:2], v[120:121]
	v_mul_f64 v[120:121], v[3:4], v[120:121]
	s_waitcnt vmcnt(16)
	v_fma_f64 v[128:129], v[102:103], v[181:182], -v[128:129]
	v_fma_f64 v[112:113], v[104:105], v[181:182], v[112:113]
	ds_read_b128 v[102:105], v156 offset:1472
	v_add_f64 v[110:111], v[110:111], v[132:133]
	v_add_f64 v[5:6], v[5:6], v[114:115]
	;; [unrolled: 9-line block ×3, first 2 shown]
	s_waitcnt vmcnt(9) lgkmcnt(1)
	v_mul_f64 v[124:125], v[104:105], v[157:158]
	s_waitcnt vmcnt(8)
	v_fma_f64 v[106:107], v[106:107], v[183:184], -v[130:131]
	v_mul_f64 v[112:113], v[102:103], v[157:158]
	v_fma_f64 v[108:109], v[108:109], v[183:184], v[114:115]
	v_add_f64 v[110:111], v[110:111], v[120:121]
	v_add_f64 v[5:6], v[5:6], v[116:117]
	s_waitcnt vmcnt(7) lgkmcnt(0)
	v_mul_f64 v[116:117], v[3:4], v[159:160]
	v_mul_f64 v[114:115], v[1:2], v[159:160]
	s_waitcnt vmcnt(5)
	v_fma_f64 v[102:103], v[102:103], v[122:123], -v[124:125]
	v_fma_f64 v[104:105], v[104:105], v[122:123], v[112:113]
	v_add_f64 v[106:107], v[110:111], v[106:107]
	v_add_f64 v[5:6], v[5:6], v[108:109]
	s_waitcnt vmcnt(4)
	v_fma_f64 v[1:2], v[1:2], v[179:180], -v[116:117]
	v_fma_f64 v[3:4], v[3:4], v[179:180], v[114:115]
	v_add_f64 v[102:103], v[106:107], v[102:103]
	v_add_f64 v[5:6], v[5:6], v[104:105]
	;; [unrolled: 1-line block ×4, first 2 shown]
	s_waitcnt vmcnt(2)
	v_add_f64 v[1:2], v[118:119], -v[1:2]
	s_waitcnt vmcnt(0)
	v_add_f64 v[3:4], v[126:127], -v[3:4]
	buffer_store_dword v2, off, s[0:3], 0 offset:100
	buffer_store_dword v1, off, s[0:3], 0 offset:96
	;; [unrolled: 1-line block ×4, first 2 shown]
	v_cmpx_lt_u32_e32 4, v0
	s_cbranch_execz .LBB110_287
; %bb.286:
	v_mov_b32_e32 v4, s55
	s_clause 0x3
	buffer_load_dword v1, v4, s[0:3], 0 offen
	buffer_load_dword v2, v4, s[0:3], 0 offen offset:4
	buffer_load_dword v3, v4, s[0:3], 0 offen offset:8
	;; [unrolled: 1-line block ×3, first 2 shown]
	buffer_store_dword v156, off, s[0:3], 0 offset:80
	buffer_store_dword v156, off, s[0:3], 0 offset:84
	buffer_store_dword v156, off, s[0:3], 0 offset:88
	buffer_store_dword v156, off, s[0:3], 0 offset:92
	s_waitcnt vmcnt(0)
	ds_write_b128 v7, v[1:4]
.LBB110_287:
	s_or_b32 exec_lo, exec_lo, s4
	s_waitcnt lgkmcnt(0)
	s_waitcnt_vscnt null, 0x0
	s_barrier
	buffer_gl0_inv
	s_clause 0x37
	buffer_load_dword v104, off, s[0:3], 0 offset:104
	buffer_load_dword v105, off, s[0:3], 0 offset:108
	;; [unrolled: 1-line block ×56, first 2 shown]
	ds_read_b128 v[157:160], v156 offset:832
	s_clause 0x2
	buffer_load_dword v153, off, s[0:3], 0 offset:332
	buffer_load_dword v155, off, s[0:3], 0 offset:308
	;; [unrolled: 1-line block ×3, first 2 shown]
	ds_read_b128 v[161:164], v156 offset:848
	s_clause 0x4
	buffer_load_dword v172, off, s[0:3], 0 offset:348
	buffer_load_dword v173, off, s[0:3], 0 offset:360
	;; [unrolled: 1-line block ×5, first 2 shown]
	ds_read_b128 v[165:168], v156 offset:864
	s_mov_b32 s4, exec_lo
	s_waitcnt vmcnt(62) lgkmcnt(2)
	v_mul_f64 v[169:170], v[159:160], v[104:105]
	v_mul_f64 v[104:105], v[157:158], v[104:105]
	s_waitcnt vmcnt(60) lgkmcnt(1)
	v_mul_f64 v[176:177], v[163:164], v[5:6]
	v_mul_f64 v[5:6], v[161:162], v[5:6]
	;; [unrolled: 3-line block ×3, first 2 shown]
	v_fma_f64 v[157:158], v[157:158], v[102:103], -v[169:170]
	v_fma_f64 v[159:160], v[159:160], v[102:103], v[104:105]
	s_clause 0x2
	buffer_load_dword v174, off, s[0:3], 0 offset:364
	buffer_load_dword v170, off, s[0:3], 0 offset:340
	;; [unrolled: 1-line block ×3, first 2 shown]
	s_waitcnt vmcnt(57)
	v_fma_f64 v[161:162], v[161:162], v[1:2], -v[176:177]
	ds_read_b128 v[102:105], v156 offset:880
	v_fma_f64 v[5:6], v[163:164], v[1:2], v[5:6]
	s_clause 0x4
	buffer_load_dword v164, off, s[0:3], 0 offset:380
	buffer_load_dword v177, off, s[0:3], 0 offset:392
	;; [unrolled: 1-line block ×5, first 2 shown]
	s_waitcnt vmcnt(56)
	v_fma_f64 v[165:166], v[165:166], v[120:121], -v[180:181]
	ds_read_b128 v[1:4], v156 offset:896
	v_fma_f64 v[120:121], v[167:168], v[120:121], v[178:179]
	s_clause 0x2
	buffer_load_dword v178, off, s[0:3], 0 offset:396
	buffer_load_dword v168, off, s[0:3], 0 offset:372
	;; [unrolled: 1-line block ×3, first 2 shown]
	v_add_f64 v[157:158], v[157:158], 0
	v_add_f64 v[159:160], v[159:160], 0
	s_waitcnt lgkmcnt(1)
	v_mul_f64 v[183:184], v[102:103], v[108:109]
	v_mul_f64 v[108:109], v[104:105], v[108:109]
	s_waitcnt vmcnt(58) lgkmcnt(0)
	v_mul_f64 v[179:180], v[1:2], v[112:113]
	v_mul_f64 v[112:113], v[3:4], v[112:113]
	v_add_f64 v[161:162], v[157:158], v[161:162]
	v_add_f64 v[5:6], v[159:160], v[5:6]
	ds_read_b128 v[157:160], v156 offset:912
	s_waitcnt vmcnt(56)
	v_fma_f64 v[108:109], v[102:103], v[114:115], -v[108:109]
	v_fma_f64 v[114:115], v[104:105], v[114:115], v[183:184]
	s_waitcnt vmcnt(51)
	v_fma_f64 v[112:113], v[1:2], v[106:107], -v[112:113]
	v_fma_f64 v[106:107], v[3:4], v[106:107], v[179:180]
	s_waitcnt lgkmcnt(0)
	v_mul_f64 v[185:186], v[157:158], v[116:117]
	v_add_f64 v[161:162], v[161:162], v[165:166]
	v_add_f64 v[5:6], v[5:6], v[120:121]
	s_clause 0x4
	buffer_load_dword v121, off, s[0:3], 0 offset:412
	buffer_load_dword v165, off, s[0:3], 0 offset:424
	;; [unrolled: 1-line block ×5, first 2 shown]
	v_mul_f64 v[116:117], v[159:160], v[116:117]
	ds_read_b128 v[102:105], v156 offset:928
	v_add_f64 v[108:109], v[161:162], v[108:109]
	v_add_f64 v[5:6], v[5:6], v[114:115]
	s_clause 0x2
	buffer_load_dword v166, off, s[0:3], 0 offset:428
	buffer_load_dword v115, off, s[0:3], 0 offset:404
	;; [unrolled: 1-line block ×3, first 2 shown]
	s_waitcnt vmcnt(58) lgkmcnt(0)
	v_mul_f64 v[161:162], v[102:103], v[122:123]
	v_mul_f64 v[122:123], v[104:105], v[122:123]
	s_waitcnt vmcnt(56)
	v_fma_f64 v[116:117], v[157:158], v[124:125], -v[116:117]
	ds_read_b128 v[1:4], v156 offset:944
	v_fma_f64 v[124:125], v[159:160], v[124:125], v[185:186]
	s_clause 0x4
	buffer_load_dword v158, off, s[0:3], 0 offset:444
	buffer_load_dword v159, off, s[0:3], 0 offset:456
	;; [unrolled: 1-line block ×5, first 2 shown]
	v_add_f64 v[112:113], v[108:109], v[112:113]
	v_add_f64 v[5:6], v[5:6], v[106:107]
	ds_read_b128 v[106:109], v156 offset:960
	s_waitcnt vmcnt(57) lgkmcnt(1)
	v_mul_f64 v[180:181], v[1:2], v[126:127]
	v_mul_f64 v[126:127], v[3:4], v[126:127]
	s_waitcnt vmcnt(56)
	v_fma_f64 v[122:123], v[102:103], v[110:111], -v[122:123]
	v_fma_f64 v[110:111], v[104:105], v[110:111], v[161:162]
	v_add_f64 v[112:113], v[112:113], v[116:117]
	v_add_f64 v[5:6], v[5:6], v[124:125]
	s_clause 0x2
	buffer_load_dword v160, off, s[0:3], 0 offset:460
	buffer_load_dword v117, off, s[0:3], 0 offset:436
	;; [unrolled: 1-line block ×3, first 2 shown]
	s_waitcnt vmcnt(58) lgkmcnt(0)
	v_mul_f64 v[124:125], v[106:107], v[130:131]
	v_mul_f64 v[130:131], v[108:109], v[130:131]
	s_waitcnt vmcnt(56)
	v_fma_f64 v[126:127], v[1:2], v[132:133], -v[126:127]
	ds_read_b128 v[102:105], v156 offset:976
	v_add_f64 v[112:113], v[112:113], v[122:123]
	v_fma_f64 v[122:123], v[3:4], v[132:133], v[180:181]
	v_add_f64 v[5:6], v[5:6], v[110:111]
	s_clause 0x4
	buffer_load_dword v111, off, s[0:3], 0 offset:476
	buffer_load_dword v132, off, s[0:3], 0 offset:488
	;; [unrolled: 1-line block ×5, first 2 shown]
	s_waitcnt vmcnt(57) lgkmcnt(0)
	v_mul_f64 v[186:187], v[102:103], v[134:135]
	v_mul_f64 v[134:135], v[104:105], v[134:135]
	s_waitcnt vmcnt(56)
	v_fma_f64 v[130:131], v[106:107], v[118:119], -v[130:131]
	ds_read_b128 v[1:4], v156 offset:992
	v_fma_f64 v[118:119], v[108:109], v[118:119], v[124:125]
	v_add_f64 v[112:113], v[112:113], v[126:127]
	v_add_f64 v[5:6], v[5:6], v[122:123]
	s_clause 0x2
	buffer_load_dword v133, off, s[0:3], 0 offset:492
	buffer_load_dword v123, off, s[0:3], 0 offset:468
	buffer_load_dword v122, off, s[0:3], 0 offset:464
	ds_read_b128 v[106:109], v156 offset:1008
	s_waitcnt vmcnt(58) lgkmcnt(1)
	v_mul_f64 v[126:127], v[3:4], v[138:139]
	s_waitcnt vmcnt(56)
	v_fma_f64 v[134:135], v[102:103], v[140:141], -v[134:135]
	v_mul_f64 v[124:125], v[1:2], v[138:139]
	v_add_f64 v[112:113], v[112:113], v[130:131]
	v_fma_f64 v[130:131], v[104:105], v[140:141], v[186:187]
	v_add_f64 v[5:6], v[5:6], v[118:119]
	s_clause 0x4
	buffer_load_dword v119, off, s[0:3], 0 offset:508
	buffer_load_dword v138, off, s[0:3], 0 offset:520
	;; [unrolled: 1-line block ×5, first 2 shown]
	s_waitcnt vmcnt(57) lgkmcnt(0)
	v_mul_f64 v[186:187], v[106:107], v[142:143]
	v_mul_f64 v[141:142], v[108:109], v[142:143]
	s_waitcnt vmcnt(56)
	v_fma_f64 v[126:127], v[1:2], v[128:129], -v[126:127]
	ds_read_b128 v[102:105], v156 offset:1024
	v_fma_f64 v[124:125], v[3:4], v[128:129], v[124:125]
	s_clause 0x2
	buffer_load_dword v139, off, s[0:3], 0 offset:524
	buffer_load_dword v129, off, s[0:3], 0 offset:500
	;; [unrolled: 1-line block ×3, first 2 shown]
	ds_read_b128 v[1:4], v156 offset:1040
	v_add_f64 v[112:113], v[112:113], v[134:135]
	v_add_f64 v[5:6], v[5:6], v[130:131]
	s_waitcnt vmcnt(58) lgkmcnt(1)
	v_mul_f64 v[134:135], v[104:105], v[146:147]
	s_waitcnt vmcnt(56)
	v_fma_f64 v[142:143], v[106:107], v[148:149], -v[141:142]
	v_mul_f64 v[130:131], v[102:103], v[146:147]
	v_add_f64 v[112:113], v[112:113], v[126:127]
	v_fma_f64 v[126:127], v[108:109], v[148:149], v[186:187]
	v_add_f64 v[5:6], v[5:6], v[124:125]
	s_clause 0x4
	buffer_load_dword v125, off, s[0:3], 0 offset:540
	buffer_load_dword v146, off, s[0:3], 0 offset:552
	;; [unrolled: 1-line block ×5, first 2 shown]
	s_waitcnt vmcnt(57) lgkmcnt(0)
	v_mul_f64 v[186:187], v[1:2], v[150:151]
	v_mul_f64 v[149:150], v[3:4], v[150:151]
	s_waitcnt vmcnt(56)
	v_fma_f64 v[134:135], v[102:103], v[136:137], -v[134:135]
	ds_read_b128 v[106:109], v156 offset:1056
	v_fma_f64 v[130:131], v[104:105], v[136:137], v[130:131]
	v_add_f64 v[112:113], v[112:113], v[142:143]
	v_add_f64 v[5:6], v[5:6], v[126:127]
	s_clause 0x2
	buffer_load_dword v147, off, s[0:3], 0 offset:556
	buffer_load_dword v127, off, s[0:3], 0 offset:532
	;; [unrolled: 1-line block ×3, first 2 shown]
	ds_read_b128 v[102:105], v156 offset:1072
	s_waitcnt vmcnt(58) lgkmcnt(1)
	v_mul_f64 v[142:143], v[108:109], v[152:153]
	s_waitcnt vmcnt(56)
	v_fma_f64 v[150:151], v[1:2], v[154:155], -v[149:150]
	v_mul_f64 v[136:137], v[106:107], v[152:153]
	v_add_f64 v[112:113], v[112:113], v[134:135]
	v_fma_f64 v[134:135], v[3:4], v[154:155], v[186:187]
	v_add_f64 v[5:6], v[5:6], v[130:131]
	s_clause 0x4
	buffer_load_dword v131, off, s[0:3], 0 offset:572
	buffer_load_dword v152, off, s[0:3], 0 offset:584
	;; [unrolled: 1-line block ×5, first 2 shown]
	s_waitcnt vmcnt(57) lgkmcnt(0)
	v_mul_f64 v[186:187], v[102:103], v[171:172]
	v_mul_f64 v[171:172], v[104:105], v[171:172]
	s_waitcnt vmcnt(56)
	v_fma_f64 v[142:143], v[106:107], v[144:145], -v[142:143]
	ds_read_b128 v[1:4], v156 offset:1088
	v_fma_f64 v[136:137], v[108:109], v[144:145], v[136:137]
	v_add_f64 v[112:113], v[112:113], v[150:151]
	v_add_f64 v[5:6], v[5:6], v[134:135]
	s_clause 0x2
	buffer_load_dword v153, off, s[0:3], 0 offset:588
	buffer_load_dword v135, off, s[0:3], 0 offset:564
	;; [unrolled: 1-line block ×3, first 2 shown]
	ds_read_b128 v[106:109], v156 offset:1104
	s_waitcnt vmcnt(58) lgkmcnt(1)
	v_mul_f64 v[150:151], v[3:4], v[173:174]
	v_mul_f64 v[144:145], v[1:2], v[173:174]
	s_waitcnt vmcnt(56)
	v_fma_f64 v[171:172], v[102:103], v[169:170], -v[171:172]
	v_add_f64 v[112:113], v[112:113], v[142:143]
	v_fma_f64 v[142:143], v[104:105], v[169:170], v[186:187]
	v_add_f64 v[5:6], v[5:6], v[136:137]
	s_clause 0x4
	buffer_load_dword v137, off, s[0:3], 0 offset:604
	buffer_load_dword v169, off, s[0:3], 0 offset:616
	buffer_load_dword v173, off, s[0:3], 0 offset:608
	buffer_load_dword v136, off, s[0:3], 0 offset:600
	buffer_load_dword v155, off, s[0:3], 0 offset:580
	s_waitcnt vmcnt(57) lgkmcnt(0)
	v_mul_f64 v[186:187], v[106:107], v[163:164]
	v_mul_f64 v[163:164], v[108:109], v[163:164]
	ds_read_b128 v[102:105], v156 offset:1120
	s_waitcnt vmcnt(56)
	v_fma_f64 v[150:151], v[1:2], v[175:176], -v[150:151]
	v_fma_f64 v[144:145], v[3:4], v[175:176], v[144:145]
	v_add_f64 v[112:113], v[112:113], v[171:172]
	v_add_f64 v[5:6], v[5:6], v[142:143]
	s_clause 0x2
	buffer_load_dword v170, off, s[0:3], 0 offset:620
	buffer_load_dword v143, off, s[0:3], 0 offset:596
	;; [unrolled: 1-line block ×3, first 2 shown]
	s_waitcnt vmcnt(58) lgkmcnt(0)
	v_mul_f64 v[175:176], v[104:105], v[177:178]
	s_waitcnt vmcnt(56)
	v_fma_f64 v[163:164], v[106:107], v[167:168], -v[163:164]
	ds_read_b128 v[1:4], v156 offset:1136
	v_mul_f64 v[171:172], v[102:103], v[177:178]
	v_add_f64 v[112:113], v[112:113], v[150:151]
	v_fma_f64 v[150:151], v[108:109], v[167:168], v[186:187]
	v_add_f64 v[5:6], v[5:6], v[144:145]
	s_clause 0x4
	buffer_load_dword v145, off, s[0:3], 0 offset:636
	buffer_load_dword v167, off, s[0:3], 0 offset:648
	;; [unrolled: 1-line block ×5, first 2 shown]
	ds_read_b128 v[106:109], v156 offset:1152
	s_waitcnt vmcnt(57) lgkmcnt(1)
	v_mul_f64 v[186:187], v[1:2], v[120:121]
	v_mul_f64 v[120:121], v[3:4], v[120:121]
	s_waitcnt vmcnt(56)
	v_fma_f64 v[175:176], v[102:103], v[182:183], -v[175:176]
	v_add_f64 v[112:113], v[112:113], v[163:164]
	v_fma_f64 v[163:164], v[104:105], v[182:183], v[171:172]
	v_add_f64 v[5:6], v[5:6], v[150:151]
	s_clause 0x2
	buffer_load_dword v168, off, s[0:3], 0 offset:652
	buffer_load_dword v151, off, s[0:3], 0 offset:628
	;; [unrolled: 1-line block ×3, first 2 shown]
	ds_read_b128 v[102:105], v156 offset:1168
	s_waitcnt vmcnt(58) lgkmcnt(1)
	v_mul_f64 v[171:172], v[106:107], v[165:166]
	v_mul_f64 v[165:166], v[108:109], v[165:166]
	s_waitcnt vmcnt(56)
	v_fma_f64 v[120:121], v[1:2], v[114:115], -v[120:121]
	v_fma_f64 v[114:115], v[3:4], v[114:115], v[186:187]
	v_add_f64 v[112:113], v[112:113], v[175:176]
	v_add_f64 v[5:6], v[5:6], v[163:164]
	s_clause 0x4
	buffer_load_dword v164, off, s[0:3], 0 offset:668
	buffer_load_dword v175, off, s[0:3], 0 offset:680
	;; [unrolled: 1-line block ×5, first 2 shown]
	s_waitcnt vmcnt(57) lgkmcnt(0)
	v_mul_f64 v[182:183], v[102:103], v[157:158]
	v_mul_f64 v[157:158], v[104:105], v[157:158]
	ds_read_b128 v[1:4], v156 offset:1184
	s_waitcnt vmcnt(56)
	v_fma_f64 v[165:166], v[106:107], v[184:185], -v[165:166]
	v_add_f64 v[112:113], v[112:113], v[120:121]
	v_fma_f64 v[120:121], v[108:109], v[184:185], v[171:172]
	v_add_f64 v[5:6], v[5:6], v[114:115]
	s_clause 0x2
	buffer_load_dword v176, off, s[0:3], 0 offset:684
	buffer_load_dword v115, off, s[0:3], 0 offset:660
	;; [unrolled: 1-line block ×3, first 2 shown]
	ds_read_b128 v[106:109], v156 offset:1200
	s_waitcnt vmcnt(58) lgkmcnt(1)
	v_mul_f64 v[171:172], v[1:2], v[159:160]
	v_mul_f64 v[159:160], v[3:4], v[159:160]
	s_waitcnt vmcnt(56)
	v_fma_f64 v[157:158], v[102:103], v[116:117], -v[157:158]
	v_fma_f64 v[116:117], v[104:105], v[116:117], v[182:183]
	v_add_f64 v[112:113], v[112:113], v[165:166]
	v_add_f64 v[5:6], v[5:6], v[120:121]
	s_clause 0x4
	buffer_load_dword v121, off, s[0:3], 0 offset:700
	buffer_load_dword v165, off, s[0:3], 0 offset:712
	;; [unrolled: 1-line block ×5, first 2 shown]
	ds_read_b128 v[102:105], v156 offset:1216
	s_waitcnt vmcnt(57) lgkmcnt(1)
	v_mul_f64 v[184:185], v[106:107], v[110:111]
	v_mul_f64 v[110:111], v[108:109], v[110:111]
	s_waitcnt vmcnt(56)
	v_fma_f64 v[159:160], v[1:2], v[179:180], -v[159:160]
	v_add_f64 v[112:113], v[112:113], v[157:158]
	v_fma_f64 v[157:158], v[3:4], v[179:180], v[171:172]
	v_add_f64 v[5:6], v[5:6], v[116:117]
	s_clause 0x2
	buffer_load_dword v166, off, s[0:3], 0 offset:716
	buffer_load_dword v117, off, s[0:3], 0 offset:692
	;; [unrolled: 1-line block ×3, first 2 shown]
	ds_read_b128 v[1:4], v156 offset:1232
	s_waitcnt vmcnt(58) lgkmcnt(1)
	v_mul_f64 v[171:172], v[102:103], v[132:133]
	v_mul_f64 v[132:133], v[104:105], v[132:133]
	s_waitcnt vmcnt(56)
	v_fma_f64 v[110:111], v[106:107], v[122:123], -v[110:111]
	v_fma_f64 v[122:123], v[108:109], v[122:123], v[184:185]
	v_add_f64 v[112:113], v[112:113], v[159:160]
	v_add_f64 v[5:6], v[5:6], v[157:158]
	s_clause 0x4
	buffer_load_dword v158, off, s[0:3], 0 offset:732
	buffer_load_dword v159, off, s[0:3], 0 offset:744
	;; [unrolled: 1-line block ×5, first 2 shown]
	ds_read_b128 v[106:109], v156 offset:1248
	s_waitcnt vmcnt(57) lgkmcnt(1)
	v_mul_f64 v[185:186], v[1:2], v[118:119]
	v_mul_f64 v[118:119], v[3:4], v[118:119]
	s_waitcnt vmcnt(56)
	v_fma_f64 v[132:133], v[102:103], v[161:162], -v[132:133]
	v_add_f64 v[110:111], v[112:113], v[110:111]
	v_fma_f64 v[112:113], v[104:105], v[161:162], v[171:172]
	v_add_f64 v[5:6], v[5:6], v[122:123]
	s_clause 0x2
	buffer_load_dword v160, off, s[0:3], 0 offset:748
	buffer_load_dword v123, off, s[0:3], 0 offset:724
	;; [unrolled: 1-line block ×3, first 2 shown]
	s_waitcnt vmcnt(58) lgkmcnt(0)
	v_mul_f64 v[161:162], v[106:107], v[138:139]
	v_mul_f64 v[138:139], v[108:109], v[138:139]
	ds_read_b128 v[102:105], v156 offset:1264
	s_waitcnt vmcnt(56)
	v_fma_f64 v[118:119], v[1:2], v[128:129], -v[118:119]
	v_fma_f64 v[128:129], v[3:4], v[128:129], v[185:186]
	v_add_f64 v[110:111], v[110:111], v[132:133]
	v_add_f64 v[5:6], v[5:6], v[112:113]
	s_clause 0x2
	buffer_load_dword v113, off, s[0:3], 0 offset:764
	buffer_load_dword v112, off, s[0:3], 0 offset:760
	;; [unrolled: 1-line block ×3, first 2 shown]
	ds_read_b128 v[1:4], v156 offset:1280
	s_waitcnt vmcnt(55) lgkmcnt(1)
	v_mul_f64 v[132:133], v[102:103], v[124:125]
	v_mul_f64 v[124:125], v[104:105], v[124:125]
	s_waitcnt vmcnt(54)
	v_fma_f64 v[138:139], v[106:107], v[140:141], -v[138:139]
	v_add_f64 v[110:111], v[110:111], v[118:119]
	v_fma_f64 v[118:119], v[108:109], v[140:141], v[161:162]
	v_add_f64 v[5:6], v[5:6], v[128:129]
	s_clause 0x1
	buffer_load_dword v129, off, s[0:3], 0 offset:756
	buffer_load_dword v128, off, s[0:3], 0 offset:752
	ds_read_b128 v[106:109], v156 offset:1296
	s_waitcnt vmcnt(55) lgkmcnt(1)
	v_mul_f64 v[140:141], v[1:2], v[146:147]
	v_mul_f64 v[146:147], v[3:4], v[146:147]
	s_waitcnt vmcnt(53)
	v_fma_f64 v[124:125], v[102:103], v[126:127], -v[124:125]
	v_fma_f64 v[126:127], v[104:105], v[126:127], v[132:133]
	ds_read_b128 v[102:105], v156 offset:1312
	v_add_f64 v[110:111], v[110:111], v[138:139]
	v_add_f64 v[5:6], v[5:6], v[118:119]
	s_waitcnt vmcnt(49) lgkmcnt(1)
	v_mul_f64 v[118:119], v[106:107], v[130:131]
	v_mul_f64 v[130:131], v[108:109], v[130:131]
	s_waitcnt vmcnt(48)
	v_fma_f64 v[132:133], v[1:2], v[148:149], -v[146:147]
	v_add_f64 v[110:111], v[110:111], v[124:125]
	v_fma_f64 v[124:125], v[3:4], v[148:149], v[140:141]
	v_add_f64 v[5:6], v[5:6], v[126:127]
	s_clause 0x3
	buffer_load_dword v126, off, s[0:3], 0 offset:80
	buffer_load_dword v127, off, s[0:3], 0 offset:84
	;; [unrolled: 1-line block ×4, first 2 shown]
	ds_read_b128 v[1:4], v156 offset:1328
	s_waitcnt vmcnt(51) lgkmcnt(1)
	v_mul_f64 v[146:147], v[104:105], v[152:153]
	v_mul_f64 v[140:141], v[102:103], v[152:153]
	s_waitcnt vmcnt(49)
	v_fma_f64 v[130:131], v[106:107], v[134:135], -v[130:131]
	v_fma_f64 v[118:119], v[108:109], v[134:135], v[118:119]
	ds_read_b128 v[106:109], v156 offset:1344
	v_add_f64 v[110:111], v[110:111], v[132:133]
	v_add_f64 v[5:6], v[5:6], v[124:125]
	s_waitcnt vmcnt(45) lgkmcnt(1)
	v_mul_f64 v[132:133], v[3:4], v[136:137]
	s_waitcnt vmcnt(44)
	v_fma_f64 v[134:135], v[102:103], v[154:155], -v[146:147]
	v_mul_f64 v[124:125], v[1:2], v[136:137]
	v_add_f64 v[110:111], v[110:111], v[130:131]
	v_fma_f64 v[130:131], v[104:105], v[154:155], v[140:141]
	v_add_f64 v[5:6], v[5:6], v[118:119]
	ds_read_b128 v[102:105], v156 offset:1360
	s_waitcnt vmcnt(43) lgkmcnt(1)
	v_mul_f64 v[136:137], v[108:109], v[169:170]
	v_mul_f64 v[118:119], v[106:107], v[169:170]
	s_waitcnt vmcnt(41)
	v_fma_f64 v[132:133], v[1:2], v[142:143], -v[132:133]
	v_fma_f64 v[124:125], v[3:4], v[142:143], v[124:125]
	ds_read_b128 v[1:4], v156 offset:1376
	v_add_f64 v[110:111], v[110:111], v[134:135]
	v_add_f64 v[5:6], v[5:6], v[130:131]
	s_waitcnt vmcnt(37) lgkmcnt(1)
	v_mul_f64 v[134:135], v[104:105], v[144:145]
	s_waitcnt vmcnt(36)
	v_fma_f64 v[136:137], v[106:107], v[173:174], -v[136:137]
	v_mul_f64 v[130:131], v[102:103], v[144:145]
	v_fma_f64 v[118:119], v[108:109], v[173:174], v[118:119]
	ds_read_b128 v[106:109], v156 offset:1392
	v_add_f64 v[110:111], v[110:111], v[132:133]
	v_add_f64 v[5:6], v[5:6], v[124:125]
	s_waitcnt vmcnt(35) lgkmcnt(1)
	v_mul_f64 v[132:133], v[3:4], v[167:168]
	v_mul_f64 v[124:125], v[1:2], v[167:168]
	s_waitcnt vmcnt(33)
	v_fma_f64 v[134:135], v[102:103], v[150:151], -v[134:135]
	v_fma_f64 v[130:131], v[104:105], v[150:151], v[130:131]
	ds_read_b128 v[102:105], v156 offset:1408
	v_add_f64 v[110:111], v[110:111], v[136:137]
	v_add_f64 v[5:6], v[5:6], v[118:119]
	s_waitcnt vmcnt(29) lgkmcnt(1)
	v_mul_f64 v[136:137], v[108:109], v[163:164]
	s_waitcnt vmcnt(28)
	v_fma_f64 v[132:133], v[1:2], v[177:178], -v[132:133]
	v_mul_f64 v[118:119], v[106:107], v[163:164]
	v_fma_f64 v[124:125], v[3:4], v[177:178], v[124:125]
	ds_read_b128 v[1:4], v156 offset:1424
	v_add_f64 v[110:111], v[110:111], v[134:135]
	v_add_f64 v[5:6], v[5:6], v[130:131]
	s_waitcnt vmcnt(27) lgkmcnt(1)
	v_mul_f64 v[134:135], v[104:105], v[175:176]
	v_mul_f64 v[130:131], v[102:103], v[175:176]
	s_waitcnt vmcnt(25)
	v_fma_f64 v[136:137], v[106:107], v[114:115], -v[136:137]
	v_fma_f64 v[114:115], v[108:109], v[114:115], v[118:119]
	ds_read_b128 v[106:109], v156 offset:1440
	v_add_f64 v[110:111], v[110:111], v[132:133]
	v_add_f64 v[5:6], v[5:6], v[124:125]
	s_waitcnt vmcnt(21) lgkmcnt(1)
	v_mul_f64 v[118:119], v[1:2], v[120:121]
	v_mul_f64 v[120:121], v[3:4], v[120:121]
	s_waitcnt vmcnt(20)
	v_fma_f64 v[124:125], v[102:103], v[181:182], -v[134:135]
	;; [unrolled: 9-line block ×3, first 2 shown]
	v_fma_f64 v[116:117], v[3:4], v[116:117], v[118:119]
	ds_read_b128 v[1:4], v156 offset:1472
	v_add_f64 v[110:111], v[110:111], v[124:125]
	v_add_f64 v[5:6], v[5:6], v[130:131]
	s_waitcnt vmcnt(13) lgkmcnt(1)
	v_mul_f64 v[124:125], v[104:105], v[157:158]
	s_waitcnt vmcnt(12)
	v_fma_f64 v[130:131], v[106:107], v[183:184], -v[132:133]
	v_mul_f64 v[118:119], v[102:103], v[157:158]
	v_fma_f64 v[114:115], v[108:109], v[183:184], v[114:115]
	ds_read_b128 v[106:109], v156 offset:1488
	v_add_f64 v[110:111], v[110:111], v[120:121]
	v_add_f64 v[5:6], v[5:6], v[116:117]
	s_waitcnt vmcnt(11) lgkmcnt(1)
	v_mul_f64 v[120:121], v[3:4], v[159:160]
	v_mul_f64 v[116:117], v[1:2], v[159:160]
	s_waitcnt vmcnt(9)
	v_fma_f64 v[102:103], v[102:103], v[122:123], -v[124:125]
	v_fma_f64 v[104:105], v[104:105], v[122:123], v[118:119]
	v_add_f64 v[110:111], v[110:111], v[130:131]
	v_add_f64 v[5:6], v[5:6], v[114:115]
	s_waitcnt vmcnt(7) lgkmcnt(0)
	v_mul_f64 v[114:115], v[106:107], v[112:113]
	v_mul_f64 v[112:113], v[108:109], v[112:113]
	s_waitcnt vmcnt(6)
	v_fma_f64 v[1:2], v[1:2], v[179:180], -v[120:121]
	v_fma_f64 v[3:4], v[3:4], v[179:180], v[116:117]
	v_add_f64 v[102:103], v[110:111], v[102:103]
	v_add_f64 v[5:6], v[5:6], v[104:105]
	s_waitcnt vmcnt(4)
	v_fma_f64 v[104:105], v[106:107], v[128:129], -v[112:113]
	v_add_f64 v[1:2], v[102:103], v[1:2]
	v_fma_f64 v[102:103], v[108:109], v[128:129], v[114:115]
	v_add_f64 v[3:4], v[5:6], v[3:4]
	v_add_f64 v[1:2], v[1:2], v[104:105]
	;; [unrolled: 1-line block ×3, first 2 shown]
	s_waitcnt vmcnt(2)
	v_add_f64 v[1:2], v[126:127], -v[1:2]
	s_waitcnt vmcnt(0)
	v_add_f64 v[3:4], v[138:139], -v[3:4]
	buffer_store_dword v2, off, s[0:3], 0 offset:84
	buffer_store_dword v1, off, s[0:3], 0 offset:80
	;; [unrolled: 1-line block ×4, first 2 shown]
	v_cmpx_lt_u32_e32 3, v0
	s_cbranch_execz .LBB110_289
; %bb.288:
	v_mov_b32_e32 v4, s56
	v_mov_b32_e32 v5, 0
	s_clause 0x3
	buffer_load_dword v1, v4, s[0:3], 0 offen
	buffer_load_dword v2, v4, s[0:3], 0 offen offset:4
	buffer_load_dword v3, v4, s[0:3], 0 offen offset:8
	buffer_load_dword v4, v4, s[0:3], 0 offen offset:12
	buffer_store_dword v5, off, s[0:3], 0 offset:64
	buffer_store_dword v5, off, s[0:3], 0 offset:68
	buffer_store_dword v5, off, s[0:3], 0 offset:72
	buffer_store_dword v5, off, s[0:3], 0 offset:76
	s_waitcnt vmcnt(0)
	ds_write_b128 v7, v[1:4]
.LBB110_289:
	s_or_b32 exec_lo, exec_lo, s4
	s_waitcnt lgkmcnt(0)
	s_waitcnt_vscnt null, 0x0
	s_barrier
	buffer_gl0_inv
	s_clause 0x37
	buffer_load_dword v104, off, s[0:3], 0 offset:88
	buffer_load_dword v105, off, s[0:3], 0 offset:92
	;; [unrolled: 1-line block ×56, first 2 shown]
	v_mov_b32_e32 v156, 0
	s_mov_b32 s4, exec_lo
	ds_read_b128 v[157:160], v156 offset:816
	s_clause 0x2
	buffer_load_dword v153, off, s[0:3], 0 offset:316
	buffer_load_dword v155, off, s[0:3], 0 offset:292
	;; [unrolled: 1-line block ×3, first 2 shown]
	ds_read_b128 v[161:164], v156 offset:832
	s_clause 0x4
	buffer_load_dword v172, off, s[0:3], 0 offset:332
	buffer_load_dword v173, off, s[0:3], 0 offset:344
	;; [unrolled: 1-line block ×5, first 2 shown]
	ds_read_b128 v[165:168], v156 offset:848
	s_waitcnt vmcnt(62) lgkmcnt(2)
	v_mul_f64 v[169:170], v[159:160], v[104:105]
	v_mul_f64 v[104:105], v[157:158], v[104:105]
	s_waitcnt vmcnt(60) lgkmcnt(1)
	v_mul_f64 v[176:177], v[163:164], v[5:6]
	v_mul_f64 v[5:6], v[161:162], v[5:6]
	;; [unrolled: 3-line block ×3, first 2 shown]
	v_fma_f64 v[157:158], v[157:158], v[102:103], -v[169:170]
	v_fma_f64 v[159:160], v[159:160], v[102:103], v[104:105]
	s_clause 0x2
	buffer_load_dword v174, off, s[0:3], 0 offset:348
	buffer_load_dword v170, off, s[0:3], 0 offset:324
	;; [unrolled: 1-line block ×3, first 2 shown]
	s_waitcnt vmcnt(57)
	v_fma_f64 v[161:162], v[161:162], v[1:2], -v[176:177]
	ds_read_b128 v[102:105], v156 offset:864
	v_fma_f64 v[5:6], v[163:164], v[1:2], v[5:6]
	s_clause 0x4
	buffer_load_dword v164, off, s[0:3], 0 offset:364
	buffer_load_dword v177, off, s[0:3], 0 offset:376
	;; [unrolled: 1-line block ×5, first 2 shown]
	s_waitcnt vmcnt(56)
	v_fma_f64 v[165:166], v[165:166], v[120:121], -v[180:181]
	ds_read_b128 v[1:4], v156 offset:880
	v_fma_f64 v[120:121], v[167:168], v[120:121], v[178:179]
	s_clause 0x2
	buffer_load_dword v178, off, s[0:3], 0 offset:380
	buffer_load_dword v168, off, s[0:3], 0 offset:356
	;; [unrolled: 1-line block ×3, first 2 shown]
	v_add_f64 v[157:158], v[157:158], 0
	v_add_f64 v[159:160], v[159:160], 0
	s_waitcnt lgkmcnt(1)
	v_mul_f64 v[183:184], v[102:103], v[108:109]
	v_mul_f64 v[108:109], v[104:105], v[108:109]
	s_waitcnt vmcnt(58) lgkmcnt(0)
	v_mul_f64 v[179:180], v[1:2], v[112:113]
	v_mul_f64 v[112:113], v[3:4], v[112:113]
	v_add_f64 v[161:162], v[157:158], v[161:162]
	v_add_f64 v[5:6], v[159:160], v[5:6]
	ds_read_b128 v[157:160], v156 offset:896
	s_waitcnt vmcnt(56)
	v_fma_f64 v[108:109], v[102:103], v[114:115], -v[108:109]
	v_fma_f64 v[114:115], v[104:105], v[114:115], v[183:184]
	s_waitcnt vmcnt(51)
	v_fma_f64 v[112:113], v[1:2], v[106:107], -v[112:113]
	v_fma_f64 v[106:107], v[3:4], v[106:107], v[179:180]
	s_waitcnt lgkmcnt(0)
	v_mul_f64 v[185:186], v[157:158], v[116:117]
	v_add_f64 v[161:162], v[161:162], v[165:166]
	v_add_f64 v[5:6], v[5:6], v[120:121]
	s_clause 0x4
	buffer_load_dword v121, off, s[0:3], 0 offset:396
	buffer_load_dword v165, off, s[0:3], 0 offset:408
	;; [unrolled: 1-line block ×5, first 2 shown]
	v_mul_f64 v[116:117], v[159:160], v[116:117]
	ds_read_b128 v[102:105], v156 offset:912
	v_add_f64 v[108:109], v[161:162], v[108:109]
	v_add_f64 v[5:6], v[5:6], v[114:115]
	s_clause 0x2
	buffer_load_dword v166, off, s[0:3], 0 offset:412
	buffer_load_dword v115, off, s[0:3], 0 offset:388
	;; [unrolled: 1-line block ×3, first 2 shown]
	s_waitcnt vmcnt(58) lgkmcnt(0)
	v_mul_f64 v[161:162], v[102:103], v[122:123]
	v_mul_f64 v[122:123], v[104:105], v[122:123]
	s_waitcnt vmcnt(56)
	v_fma_f64 v[116:117], v[157:158], v[124:125], -v[116:117]
	ds_read_b128 v[1:4], v156 offset:928
	v_fma_f64 v[124:125], v[159:160], v[124:125], v[185:186]
	s_clause 0x4
	buffer_load_dword v158, off, s[0:3], 0 offset:428
	buffer_load_dword v159, off, s[0:3], 0 offset:440
	;; [unrolled: 1-line block ×5, first 2 shown]
	v_add_f64 v[112:113], v[108:109], v[112:113]
	v_add_f64 v[5:6], v[5:6], v[106:107]
	ds_read_b128 v[106:109], v156 offset:944
	s_waitcnt vmcnt(57) lgkmcnt(1)
	v_mul_f64 v[180:181], v[1:2], v[126:127]
	v_mul_f64 v[126:127], v[3:4], v[126:127]
	s_waitcnt vmcnt(56)
	v_fma_f64 v[122:123], v[102:103], v[110:111], -v[122:123]
	v_fma_f64 v[110:111], v[104:105], v[110:111], v[161:162]
	v_add_f64 v[112:113], v[112:113], v[116:117]
	v_add_f64 v[5:6], v[5:6], v[124:125]
	s_clause 0x2
	buffer_load_dword v160, off, s[0:3], 0 offset:444
	buffer_load_dword v117, off, s[0:3], 0 offset:420
	;; [unrolled: 1-line block ×3, first 2 shown]
	s_waitcnt vmcnt(58) lgkmcnt(0)
	v_mul_f64 v[124:125], v[106:107], v[130:131]
	v_mul_f64 v[130:131], v[108:109], v[130:131]
	s_waitcnt vmcnt(56)
	v_fma_f64 v[126:127], v[1:2], v[132:133], -v[126:127]
	ds_read_b128 v[102:105], v156 offset:960
	v_add_f64 v[112:113], v[112:113], v[122:123]
	v_fma_f64 v[122:123], v[3:4], v[132:133], v[180:181]
	v_add_f64 v[5:6], v[5:6], v[110:111]
	s_clause 0x4
	buffer_load_dword v111, off, s[0:3], 0 offset:460
	buffer_load_dword v132, off, s[0:3], 0 offset:472
	;; [unrolled: 1-line block ×5, first 2 shown]
	s_waitcnt vmcnt(57) lgkmcnt(0)
	v_mul_f64 v[186:187], v[102:103], v[134:135]
	v_mul_f64 v[134:135], v[104:105], v[134:135]
	s_waitcnt vmcnt(56)
	v_fma_f64 v[130:131], v[106:107], v[118:119], -v[130:131]
	ds_read_b128 v[1:4], v156 offset:976
	v_fma_f64 v[118:119], v[108:109], v[118:119], v[124:125]
	v_add_f64 v[112:113], v[112:113], v[126:127]
	v_add_f64 v[5:6], v[5:6], v[122:123]
	s_clause 0x2
	buffer_load_dword v133, off, s[0:3], 0 offset:476
	buffer_load_dword v123, off, s[0:3], 0 offset:452
	buffer_load_dword v122, off, s[0:3], 0 offset:448
	ds_read_b128 v[106:109], v156 offset:992
	s_waitcnt vmcnt(58) lgkmcnt(1)
	v_mul_f64 v[126:127], v[3:4], v[138:139]
	s_waitcnt vmcnt(56)
	v_fma_f64 v[134:135], v[102:103], v[140:141], -v[134:135]
	v_mul_f64 v[124:125], v[1:2], v[138:139]
	v_add_f64 v[112:113], v[112:113], v[130:131]
	v_fma_f64 v[130:131], v[104:105], v[140:141], v[186:187]
	v_add_f64 v[5:6], v[5:6], v[118:119]
	s_clause 0x4
	buffer_load_dword v119, off, s[0:3], 0 offset:492
	buffer_load_dword v138, off, s[0:3], 0 offset:504
	;; [unrolled: 1-line block ×5, first 2 shown]
	s_waitcnt vmcnt(57) lgkmcnt(0)
	v_mul_f64 v[186:187], v[106:107], v[142:143]
	v_mul_f64 v[141:142], v[108:109], v[142:143]
	s_waitcnt vmcnt(56)
	v_fma_f64 v[126:127], v[1:2], v[128:129], -v[126:127]
	ds_read_b128 v[102:105], v156 offset:1008
	v_fma_f64 v[124:125], v[3:4], v[128:129], v[124:125]
	s_clause 0x2
	buffer_load_dword v139, off, s[0:3], 0 offset:508
	buffer_load_dword v129, off, s[0:3], 0 offset:484
	;; [unrolled: 1-line block ×3, first 2 shown]
	ds_read_b128 v[1:4], v156 offset:1024
	v_add_f64 v[112:113], v[112:113], v[134:135]
	v_add_f64 v[5:6], v[5:6], v[130:131]
	s_waitcnt vmcnt(58) lgkmcnt(1)
	v_mul_f64 v[134:135], v[104:105], v[146:147]
	s_waitcnt vmcnt(56)
	v_fma_f64 v[142:143], v[106:107], v[148:149], -v[141:142]
	v_mul_f64 v[130:131], v[102:103], v[146:147]
	v_add_f64 v[112:113], v[112:113], v[126:127]
	v_fma_f64 v[126:127], v[108:109], v[148:149], v[186:187]
	v_add_f64 v[5:6], v[5:6], v[124:125]
	s_clause 0x4
	buffer_load_dword v125, off, s[0:3], 0 offset:524
	buffer_load_dword v146, off, s[0:3], 0 offset:536
	buffer_load_dword v148, off, s[0:3], 0 offset:528
	buffer_load_dword v124, off, s[0:3], 0 offset:520
	buffer_load_dword v141, off, s[0:3], 0 offset:500
	s_waitcnt vmcnt(57) lgkmcnt(0)
	v_mul_f64 v[186:187], v[1:2], v[150:151]
	v_mul_f64 v[149:150], v[3:4], v[150:151]
	s_waitcnt vmcnt(56)
	v_fma_f64 v[134:135], v[102:103], v[136:137], -v[134:135]
	ds_read_b128 v[106:109], v156 offset:1040
	v_fma_f64 v[130:131], v[104:105], v[136:137], v[130:131]
	v_add_f64 v[112:113], v[112:113], v[142:143]
	v_add_f64 v[5:6], v[5:6], v[126:127]
	s_clause 0x2
	buffer_load_dword v147, off, s[0:3], 0 offset:540
	buffer_load_dword v127, off, s[0:3], 0 offset:516
	;; [unrolled: 1-line block ×3, first 2 shown]
	ds_read_b128 v[102:105], v156 offset:1056
	s_waitcnt vmcnt(58) lgkmcnt(1)
	v_mul_f64 v[142:143], v[108:109], v[152:153]
	s_waitcnt vmcnt(56)
	v_fma_f64 v[150:151], v[1:2], v[154:155], -v[149:150]
	v_mul_f64 v[136:137], v[106:107], v[152:153]
	v_add_f64 v[112:113], v[112:113], v[134:135]
	v_fma_f64 v[134:135], v[3:4], v[154:155], v[186:187]
	v_add_f64 v[5:6], v[5:6], v[130:131]
	s_clause 0x4
	buffer_load_dword v131, off, s[0:3], 0 offset:556
	buffer_load_dword v152, off, s[0:3], 0 offset:568
	;; [unrolled: 1-line block ×5, first 2 shown]
	s_waitcnt vmcnt(57) lgkmcnt(0)
	v_mul_f64 v[186:187], v[102:103], v[171:172]
	v_mul_f64 v[171:172], v[104:105], v[171:172]
	s_waitcnt vmcnt(56)
	v_fma_f64 v[142:143], v[106:107], v[144:145], -v[142:143]
	ds_read_b128 v[1:4], v156 offset:1072
	v_fma_f64 v[136:137], v[108:109], v[144:145], v[136:137]
	v_add_f64 v[112:113], v[112:113], v[150:151]
	v_add_f64 v[5:6], v[5:6], v[134:135]
	s_clause 0x2
	buffer_load_dword v153, off, s[0:3], 0 offset:572
	buffer_load_dword v135, off, s[0:3], 0 offset:548
	;; [unrolled: 1-line block ×3, first 2 shown]
	ds_read_b128 v[106:109], v156 offset:1088
	s_waitcnt vmcnt(58) lgkmcnt(1)
	v_mul_f64 v[150:151], v[3:4], v[173:174]
	v_mul_f64 v[144:145], v[1:2], v[173:174]
	s_waitcnt vmcnt(56)
	v_fma_f64 v[171:172], v[102:103], v[169:170], -v[171:172]
	v_add_f64 v[112:113], v[112:113], v[142:143]
	v_fma_f64 v[142:143], v[104:105], v[169:170], v[186:187]
	v_add_f64 v[5:6], v[5:6], v[136:137]
	s_clause 0x4
	buffer_load_dword v137, off, s[0:3], 0 offset:588
	buffer_load_dword v169, off, s[0:3], 0 offset:600
	;; [unrolled: 1-line block ×5, first 2 shown]
	s_waitcnt vmcnt(57) lgkmcnt(0)
	v_mul_f64 v[186:187], v[106:107], v[163:164]
	v_mul_f64 v[163:164], v[108:109], v[163:164]
	ds_read_b128 v[102:105], v156 offset:1104
	s_waitcnt vmcnt(56)
	v_fma_f64 v[150:151], v[1:2], v[175:176], -v[150:151]
	v_fma_f64 v[144:145], v[3:4], v[175:176], v[144:145]
	v_add_f64 v[112:113], v[112:113], v[171:172]
	v_add_f64 v[5:6], v[5:6], v[142:143]
	s_clause 0x2
	buffer_load_dword v170, off, s[0:3], 0 offset:604
	buffer_load_dword v143, off, s[0:3], 0 offset:580
	;; [unrolled: 1-line block ×3, first 2 shown]
	s_waitcnt vmcnt(58) lgkmcnt(0)
	v_mul_f64 v[175:176], v[104:105], v[177:178]
	s_waitcnt vmcnt(56)
	v_fma_f64 v[163:164], v[106:107], v[167:168], -v[163:164]
	ds_read_b128 v[1:4], v156 offset:1120
	v_mul_f64 v[171:172], v[102:103], v[177:178]
	v_add_f64 v[112:113], v[112:113], v[150:151]
	v_fma_f64 v[150:151], v[108:109], v[167:168], v[186:187]
	v_add_f64 v[5:6], v[5:6], v[144:145]
	s_clause 0x4
	buffer_load_dword v145, off, s[0:3], 0 offset:620
	buffer_load_dword v167, off, s[0:3], 0 offset:632
	;; [unrolled: 1-line block ×5, first 2 shown]
	ds_read_b128 v[106:109], v156 offset:1136
	s_waitcnt vmcnt(57) lgkmcnt(1)
	v_mul_f64 v[186:187], v[1:2], v[120:121]
	v_mul_f64 v[120:121], v[3:4], v[120:121]
	s_waitcnt vmcnt(56)
	v_fma_f64 v[175:176], v[102:103], v[182:183], -v[175:176]
	v_add_f64 v[112:113], v[112:113], v[163:164]
	v_fma_f64 v[163:164], v[104:105], v[182:183], v[171:172]
	v_add_f64 v[5:6], v[5:6], v[150:151]
	s_clause 0x2
	buffer_load_dword v168, off, s[0:3], 0 offset:636
	buffer_load_dword v151, off, s[0:3], 0 offset:612
	buffer_load_dword v150, off, s[0:3], 0 offset:608
	ds_read_b128 v[102:105], v156 offset:1152
	s_waitcnt vmcnt(58) lgkmcnt(1)
	v_mul_f64 v[171:172], v[106:107], v[165:166]
	v_mul_f64 v[165:166], v[108:109], v[165:166]
	s_waitcnt vmcnt(56)
	v_fma_f64 v[120:121], v[1:2], v[114:115], -v[120:121]
	v_fma_f64 v[114:115], v[3:4], v[114:115], v[186:187]
	v_add_f64 v[112:113], v[112:113], v[175:176]
	v_add_f64 v[5:6], v[5:6], v[163:164]
	s_clause 0x4
	buffer_load_dword v164, off, s[0:3], 0 offset:652
	buffer_load_dword v175, off, s[0:3], 0 offset:664
	;; [unrolled: 1-line block ×5, first 2 shown]
	s_waitcnt vmcnt(57) lgkmcnt(0)
	v_mul_f64 v[182:183], v[102:103], v[157:158]
	v_mul_f64 v[157:158], v[104:105], v[157:158]
	ds_read_b128 v[1:4], v156 offset:1168
	s_waitcnt vmcnt(56)
	v_fma_f64 v[165:166], v[106:107], v[184:185], -v[165:166]
	v_add_f64 v[112:113], v[112:113], v[120:121]
	v_fma_f64 v[120:121], v[108:109], v[184:185], v[171:172]
	v_add_f64 v[5:6], v[5:6], v[114:115]
	s_clause 0x2
	buffer_load_dword v176, off, s[0:3], 0 offset:668
	buffer_load_dword v115, off, s[0:3], 0 offset:644
	;; [unrolled: 1-line block ×3, first 2 shown]
	ds_read_b128 v[106:109], v156 offset:1184
	s_waitcnt vmcnt(58) lgkmcnt(1)
	v_mul_f64 v[171:172], v[1:2], v[159:160]
	v_mul_f64 v[159:160], v[3:4], v[159:160]
	s_waitcnt vmcnt(56)
	v_fma_f64 v[157:158], v[102:103], v[116:117], -v[157:158]
	v_fma_f64 v[116:117], v[104:105], v[116:117], v[182:183]
	v_add_f64 v[112:113], v[112:113], v[165:166]
	v_add_f64 v[5:6], v[5:6], v[120:121]
	s_clause 0x4
	buffer_load_dword v121, off, s[0:3], 0 offset:684
	buffer_load_dword v165, off, s[0:3], 0 offset:696
	buffer_load_dword v183, off, s[0:3], 0 offset:688
	buffer_load_dword v120, off, s[0:3], 0 offset:680
	buffer_load_dword v182, off, s[0:3], 0 offset:660
	ds_read_b128 v[102:105], v156 offset:1200
	s_waitcnt vmcnt(57) lgkmcnt(1)
	v_mul_f64 v[184:185], v[106:107], v[110:111]
	v_mul_f64 v[110:111], v[108:109], v[110:111]
	s_waitcnt vmcnt(56)
	v_fma_f64 v[159:160], v[1:2], v[179:180], -v[159:160]
	v_add_f64 v[112:113], v[112:113], v[157:158]
	v_fma_f64 v[157:158], v[3:4], v[179:180], v[171:172]
	v_add_f64 v[5:6], v[5:6], v[116:117]
	s_clause 0x2
	buffer_load_dword v166, off, s[0:3], 0 offset:700
	buffer_load_dword v117, off, s[0:3], 0 offset:676
	;; [unrolled: 1-line block ×3, first 2 shown]
	ds_read_b128 v[1:4], v156 offset:1216
	s_waitcnt vmcnt(58) lgkmcnt(1)
	v_mul_f64 v[171:172], v[102:103], v[132:133]
	v_mul_f64 v[132:133], v[104:105], v[132:133]
	s_waitcnt vmcnt(56)
	v_fma_f64 v[110:111], v[106:107], v[122:123], -v[110:111]
	v_fma_f64 v[122:123], v[108:109], v[122:123], v[184:185]
	v_add_f64 v[112:113], v[112:113], v[159:160]
	v_add_f64 v[5:6], v[5:6], v[157:158]
	s_clause 0x4
	buffer_load_dword v158, off, s[0:3], 0 offset:716
	buffer_load_dword v159, off, s[0:3], 0 offset:728
	;; [unrolled: 1-line block ×5, first 2 shown]
	ds_read_b128 v[106:109], v156 offset:1232
	s_waitcnt vmcnt(57) lgkmcnt(1)
	v_mul_f64 v[185:186], v[1:2], v[118:119]
	v_mul_f64 v[118:119], v[3:4], v[118:119]
	s_waitcnt vmcnt(56)
	v_fma_f64 v[132:133], v[102:103], v[161:162], -v[132:133]
	v_add_f64 v[110:111], v[112:113], v[110:111]
	v_fma_f64 v[112:113], v[104:105], v[161:162], v[171:172]
	v_add_f64 v[5:6], v[5:6], v[122:123]
	s_clause 0x2
	buffer_load_dword v160, off, s[0:3], 0 offset:732
	buffer_load_dword v123, off, s[0:3], 0 offset:708
	;; [unrolled: 1-line block ×3, first 2 shown]
	s_waitcnt vmcnt(58) lgkmcnt(0)
	v_mul_f64 v[161:162], v[106:107], v[138:139]
	v_mul_f64 v[138:139], v[108:109], v[138:139]
	ds_read_b128 v[102:105], v156 offset:1248
	s_waitcnt vmcnt(56)
	v_fma_f64 v[118:119], v[1:2], v[128:129], -v[118:119]
	v_fma_f64 v[128:129], v[3:4], v[128:129], v[185:186]
	v_add_f64 v[110:111], v[110:111], v[132:133]
	v_add_f64 v[5:6], v[5:6], v[112:113]
	s_clause 0x4
	buffer_load_dword v113, off, s[0:3], 0 offset:748
	buffer_load_dword v132, off, s[0:3], 0 offset:760
	;; [unrolled: 1-line block ×5, first 2 shown]
	ds_read_b128 v[1:4], v156 offset:1264
	s_waitcnt vmcnt(57) lgkmcnt(1)
	v_mul_f64 v[185:186], v[102:103], v[124:125]
	v_mul_f64 v[124:125], v[104:105], v[124:125]
	s_waitcnt vmcnt(56)
	v_fma_f64 v[138:139], v[106:107], v[140:141], -v[138:139]
	v_add_f64 v[110:111], v[110:111], v[118:119]
	v_fma_f64 v[118:119], v[108:109], v[140:141], v[161:162]
	v_add_f64 v[5:6], v[5:6], v[128:129]
	s_clause 0x2
	buffer_load_dword v133, off, s[0:3], 0 offset:764
	buffer_load_dword v129, off, s[0:3], 0 offset:740
	;; [unrolled: 1-line block ×3, first 2 shown]
	ds_read_b128 v[106:109], v156 offset:1280
	buffer_load_dword v172, off, s[0:3], 0 offset:756
	s_waitcnt vmcnt(59) lgkmcnt(1)
	v_mul_f64 v[140:141], v[1:2], v[146:147]
	v_mul_f64 v[146:147], v[3:4], v[146:147]
	s_waitcnt vmcnt(57)
	v_fma_f64 v[124:125], v[102:103], v[126:127], -v[124:125]
	v_fma_f64 v[126:127], v[104:105], v[126:127], v[185:186]
	ds_read_b128 v[102:105], v156 offset:1296
	v_add_f64 v[110:111], v[110:111], v[138:139]
	v_add_f64 v[5:6], v[5:6], v[118:119]
	s_waitcnt vmcnt(53) lgkmcnt(1)
	v_mul_f64 v[118:119], v[106:107], v[130:131]
	v_mul_f64 v[130:131], v[108:109], v[130:131]
	s_waitcnt vmcnt(52)
	v_fma_f64 v[138:139], v[1:2], v[148:149], -v[146:147]
	v_add_f64 v[110:111], v[110:111], v[124:125]
	v_fma_f64 v[124:125], v[3:4], v[148:149], v[140:141]
	v_add_f64 v[5:6], v[5:6], v[126:127]
	ds_read_b128 v[1:4], v156 offset:1312
	s_waitcnt vmcnt(51) lgkmcnt(1)
	v_mul_f64 v[140:141], v[104:105], v[152:153]
	v_mul_f64 v[126:127], v[102:103], v[152:153]
	s_waitcnt vmcnt(49)
	v_fma_f64 v[130:131], v[106:107], v[134:135], -v[130:131]
	v_fma_f64 v[118:119], v[108:109], v[134:135], v[118:119]
	v_add_f64 v[110:111], v[110:111], v[138:139]
	v_add_f64 v[5:6], v[5:6], v[124:125]
	s_clause 0x3
	buffer_load_dword v124, off, s[0:3], 0 offset:64
	buffer_load_dword v125, off, s[0:3], 0 offset:68
	;; [unrolled: 1-line block ×4, first 2 shown]
	ds_read_b128 v[106:109], v156 offset:1328
	s_waitcnt vmcnt(49) lgkmcnt(1)
	v_mul_f64 v[138:139], v[1:2], v[136:137]
	v_mul_f64 v[136:137], v[3:4], v[136:137]
	s_waitcnt vmcnt(48)
	v_fma_f64 v[140:141], v[102:103], v[154:155], -v[140:141]
	v_fma_f64 v[126:127], v[104:105], v[154:155], v[126:127]
	ds_read_b128 v[102:105], v156 offset:1344
	v_add_f64 v[110:111], v[110:111], v[130:131]
	v_add_f64 v[5:6], v[5:6], v[118:119]
	s_waitcnt vmcnt(47) lgkmcnt(1)
	v_mul_f64 v[130:131], v[108:109], v[169:170]
	v_mul_f64 v[118:119], v[106:107], v[169:170]
	s_waitcnt vmcnt(45)
	v_fma_f64 v[136:137], v[1:2], v[142:143], -v[136:137]
	v_fma_f64 v[138:139], v[3:4], v[142:143], v[138:139]
	ds_read_b128 v[1:4], v156 offset:1360
	v_add_f64 v[110:111], v[110:111], v[140:141]
	v_add_f64 v[5:6], v[5:6], v[126:127]
	s_waitcnt vmcnt(41) lgkmcnt(1)
	v_mul_f64 v[140:141], v[104:105], v[144:145]
	s_waitcnt vmcnt(40)
	v_fma_f64 v[130:131], v[106:107], v[173:174], -v[130:131]
	v_mul_f64 v[126:127], v[102:103], v[144:145]
	v_fma_f64 v[118:119], v[108:109], v[173:174], v[118:119]
	ds_read_b128 v[106:109], v156 offset:1376
	v_add_f64 v[110:111], v[110:111], v[136:137]
	v_add_f64 v[5:6], v[5:6], v[138:139]
	s_waitcnt vmcnt(39) lgkmcnt(1)
	v_mul_f64 v[138:139], v[3:4], v[167:168]
	v_mul_f64 v[136:137], v[1:2], v[167:168]
	s_waitcnt vmcnt(37)
	v_fma_f64 v[140:141], v[102:103], v[150:151], -v[140:141]
	v_fma_f64 v[126:127], v[104:105], v[150:151], v[126:127]
	ds_read_b128 v[102:105], v156 offset:1392
	v_add_f64 v[110:111], v[110:111], v[130:131]
	v_add_f64 v[5:6], v[5:6], v[118:119]
	s_waitcnt vmcnt(33) lgkmcnt(1)
	v_mul_f64 v[130:131], v[108:109], v[163:164]
	s_waitcnt vmcnt(32)
	v_fma_f64 v[138:139], v[1:2], v[177:178], -v[138:139]
	v_mul_f64 v[118:119], v[106:107], v[163:164]
	v_fma_f64 v[136:137], v[3:4], v[177:178], v[136:137]
	ds_read_b128 v[1:4], v156 offset:1408
	v_add_f64 v[110:111], v[110:111], v[140:141]
	v_add_f64 v[5:6], v[5:6], v[126:127]
	s_waitcnt vmcnt(31) lgkmcnt(1)
	v_mul_f64 v[140:141], v[104:105], v[175:176]
	v_mul_f64 v[126:127], v[102:103], v[175:176]
	s_waitcnt vmcnt(29)
	v_fma_f64 v[130:131], v[106:107], v[114:115], -v[130:131]
	v_fma_f64 v[114:115], v[108:109], v[114:115], v[118:119]
	ds_read_b128 v[106:109], v156 offset:1424
	v_add_f64 v[110:111], v[110:111], v[138:139]
	v_add_f64 v[5:6], v[5:6], v[136:137]
	s_waitcnt vmcnt(25) lgkmcnt(1)
	v_mul_f64 v[118:119], v[1:2], v[120:121]
	v_mul_f64 v[120:121], v[3:4], v[120:121]
	s_waitcnt vmcnt(24)
	v_fma_f64 v[136:137], v[102:103], v[181:182], -v[140:141]
	;; [unrolled: 9-line block ×3, first 2 shown]
	v_fma_f64 v[116:117], v[3:4], v[116:117], v[118:119]
	ds_read_b128 v[1:4], v156 offset:1456
	v_add_f64 v[110:111], v[110:111], v[136:137]
	v_add_f64 v[5:6], v[5:6], v[126:127]
	s_waitcnt vmcnt(17) lgkmcnt(1)
	v_mul_f64 v[126:127], v[104:105], v[157:158]
	s_waitcnt vmcnt(16)
	v_fma_f64 v[130:131], v[106:107], v[183:184], -v[130:131]
	v_mul_f64 v[118:119], v[102:103], v[157:158]
	v_fma_f64 v[114:115], v[108:109], v[183:184], v[114:115]
	ds_read_b128 v[106:109], v156 offset:1472
	v_add_f64 v[110:111], v[110:111], v[120:121]
	v_add_f64 v[5:6], v[5:6], v[116:117]
	s_waitcnt vmcnt(15) lgkmcnt(1)
	v_mul_f64 v[120:121], v[3:4], v[159:160]
	v_mul_f64 v[116:117], v[1:2], v[159:160]
	s_waitcnt vmcnt(13)
	v_fma_f64 v[126:127], v[102:103], v[122:123], -v[126:127]
	v_fma_f64 v[118:119], v[104:105], v[122:123], v[118:119]
	ds_read_b128 v[102:105], v156 offset:1488
	v_add_f64 v[110:111], v[110:111], v[130:131]
	v_add_f64 v[5:6], v[5:6], v[114:115]
	s_waitcnt vmcnt(9) lgkmcnt(1)
	v_mul_f64 v[114:115], v[106:107], v[112:113]
	v_mul_f64 v[112:113], v[108:109], v[112:113]
	s_waitcnt vmcnt(8)
	v_fma_f64 v[1:2], v[1:2], v[179:180], -v[120:121]
	v_fma_f64 v[3:4], v[3:4], v[179:180], v[116:117]
	v_add_f64 v[110:111], v[110:111], v[126:127]
	v_add_f64 v[5:6], v[5:6], v[118:119]
	s_waitcnt vmcnt(7) lgkmcnt(0)
	v_mul_f64 v[118:119], v[104:105], v[132:133]
	v_mul_f64 v[116:117], v[102:103], v[132:133]
	s_waitcnt vmcnt(5)
	v_fma_f64 v[106:107], v[106:107], v[128:129], -v[112:113]
	v_fma_f64 v[108:109], v[108:109], v[128:129], v[114:115]
	v_add_f64 v[1:2], v[110:111], v[1:2]
	v_add_f64 v[3:4], v[5:6], v[3:4]
	s_waitcnt vmcnt(4)
	v_fma_f64 v[5:6], v[102:103], v[171:172], -v[118:119]
	v_fma_f64 v[102:103], v[104:105], v[171:172], v[116:117]
	v_add_f64 v[1:2], v[1:2], v[106:107]
	v_add_f64 v[3:4], v[3:4], v[108:109]
	;; [unrolled: 1-line block ×4, first 2 shown]
	s_waitcnt vmcnt(2)
	v_add_f64 v[1:2], v[124:125], -v[1:2]
	s_waitcnt vmcnt(0)
	v_add_f64 v[3:4], v[134:135], -v[3:4]
	buffer_store_dword v2, off, s[0:3], 0 offset:68
	buffer_store_dword v1, off, s[0:3], 0 offset:64
	;; [unrolled: 1-line block ×4, first 2 shown]
	v_cmpx_lt_u32_e32 2, v0
	s_cbranch_execz .LBB110_291
; %bb.290:
	v_mov_b32_e32 v4, s57
	s_clause 0x3
	buffer_load_dword v1, v4, s[0:3], 0 offen
	buffer_load_dword v2, v4, s[0:3], 0 offen offset:4
	buffer_load_dword v3, v4, s[0:3], 0 offen offset:8
	;; [unrolled: 1-line block ×3, first 2 shown]
	buffer_store_dword v156, off, s[0:3], 0 offset:48
	buffer_store_dword v156, off, s[0:3], 0 offset:52
	;; [unrolled: 1-line block ×4, first 2 shown]
	s_waitcnt vmcnt(0)
	ds_write_b128 v7, v[1:4]
.LBB110_291:
	s_or_b32 exec_lo, exec_lo, s4
	s_waitcnt lgkmcnt(0)
	s_waitcnt_vscnt null, 0x0
	s_barrier
	buffer_gl0_inv
	s_clause 0x37
	buffer_load_dword v104, off, s[0:3], 0 offset:72
	buffer_load_dword v105, off, s[0:3], 0 offset:76
	;; [unrolled: 1-line block ×56, first 2 shown]
	ds_read_b128 v[157:160], v156 offset:800
	s_clause 0x2
	buffer_load_dword v153, off, s[0:3], 0 offset:300
	buffer_load_dword v155, off, s[0:3], 0 offset:276
	;; [unrolled: 1-line block ×3, first 2 shown]
	ds_read_b128 v[161:164], v156 offset:816
	s_clause 0x4
	buffer_load_dword v172, off, s[0:3], 0 offset:316
	buffer_load_dword v173, off, s[0:3], 0 offset:328
	;; [unrolled: 1-line block ×5, first 2 shown]
	ds_read_b128 v[165:168], v156 offset:832
	s_mov_b32 s4, exec_lo
	s_waitcnt vmcnt(62) lgkmcnt(2)
	v_mul_f64 v[169:170], v[159:160], v[104:105]
	v_mul_f64 v[104:105], v[157:158], v[104:105]
	s_waitcnt vmcnt(60) lgkmcnt(1)
	v_mul_f64 v[176:177], v[163:164], v[5:6]
	v_mul_f64 v[5:6], v[161:162], v[5:6]
	s_waitcnt vmcnt(56) lgkmcnt(0)
	v_mul_f64 v[180:181], v[167:168], v[3:4]
	v_mul_f64 v[178:179], v[165:166], v[3:4]
	v_fma_f64 v[157:158], v[157:158], v[102:103], -v[169:170]
	v_fma_f64 v[159:160], v[159:160], v[102:103], v[104:105]
	s_clause 0x2
	buffer_load_dword v174, off, s[0:3], 0 offset:332
	buffer_load_dword v170, off, s[0:3], 0 offset:308
	;; [unrolled: 1-line block ×3, first 2 shown]
	s_waitcnt vmcnt(57)
	v_fma_f64 v[161:162], v[161:162], v[1:2], -v[176:177]
	ds_read_b128 v[102:105], v156 offset:848
	v_fma_f64 v[5:6], v[163:164], v[1:2], v[5:6]
	s_clause 0x4
	buffer_load_dword v164, off, s[0:3], 0 offset:348
	buffer_load_dword v177, off, s[0:3], 0 offset:360
	;; [unrolled: 1-line block ×5, first 2 shown]
	s_waitcnt vmcnt(56)
	v_fma_f64 v[165:166], v[165:166], v[120:121], -v[180:181]
	ds_read_b128 v[1:4], v156 offset:864
	v_fma_f64 v[120:121], v[167:168], v[120:121], v[178:179]
	s_clause 0x2
	buffer_load_dword v178, off, s[0:3], 0 offset:364
	buffer_load_dword v168, off, s[0:3], 0 offset:340
	;; [unrolled: 1-line block ×3, first 2 shown]
	v_add_f64 v[157:158], v[157:158], 0
	v_add_f64 v[159:160], v[159:160], 0
	s_waitcnt lgkmcnt(1)
	v_mul_f64 v[183:184], v[102:103], v[108:109]
	v_mul_f64 v[108:109], v[104:105], v[108:109]
	s_waitcnt vmcnt(58) lgkmcnt(0)
	v_mul_f64 v[179:180], v[1:2], v[112:113]
	v_mul_f64 v[112:113], v[3:4], v[112:113]
	v_add_f64 v[161:162], v[157:158], v[161:162]
	v_add_f64 v[5:6], v[159:160], v[5:6]
	ds_read_b128 v[157:160], v156 offset:880
	s_waitcnt vmcnt(56)
	v_fma_f64 v[108:109], v[102:103], v[114:115], -v[108:109]
	v_fma_f64 v[114:115], v[104:105], v[114:115], v[183:184]
	s_waitcnt vmcnt(51)
	v_fma_f64 v[112:113], v[1:2], v[106:107], -v[112:113]
	v_fma_f64 v[106:107], v[3:4], v[106:107], v[179:180]
	s_waitcnt lgkmcnt(0)
	v_mul_f64 v[185:186], v[157:158], v[116:117]
	v_add_f64 v[161:162], v[161:162], v[165:166]
	v_add_f64 v[5:6], v[5:6], v[120:121]
	s_clause 0x4
	buffer_load_dword v121, off, s[0:3], 0 offset:380
	buffer_load_dword v165, off, s[0:3], 0 offset:392
	;; [unrolled: 1-line block ×5, first 2 shown]
	v_mul_f64 v[116:117], v[159:160], v[116:117]
	ds_read_b128 v[102:105], v156 offset:896
	v_add_f64 v[108:109], v[161:162], v[108:109]
	v_add_f64 v[5:6], v[5:6], v[114:115]
	s_clause 0x2
	buffer_load_dword v166, off, s[0:3], 0 offset:396
	buffer_load_dword v115, off, s[0:3], 0 offset:372
	;; [unrolled: 1-line block ×3, first 2 shown]
	s_waitcnt vmcnt(58) lgkmcnt(0)
	v_mul_f64 v[161:162], v[102:103], v[122:123]
	v_mul_f64 v[122:123], v[104:105], v[122:123]
	s_waitcnt vmcnt(56)
	v_fma_f64 v[116:117], v[157:158], v[124:125], -v[116:117]
	ds_read_b128 v[1:4], v156 offset:912
	v_fma_f64 v[124:125], v[159:160], v[124:125], v[185:186]
	s_clause 0x4
	buffer_load_dword v158, off, s[0:3], 0 offset:412
	buffer_load_dword v159, off, s[0:3], 0 offset:424
	;; [unrolled: 1-line block ×5, first 2 shown]
	v_add_f64 v[112:113], v[108:109], v[112:113]
	v_add_f64 v[5:6], v[5:6], v[106:107]
	ds_read_b128 v[106:109], v156 offset:928
	s_waitcnt vmcnt(57) lgkmcnt(1)
	v_mul_f64 v[180:181], v[1:2], v[126:127]
	v_mul_f64 v[126:127], v[3:4], v[126:127]
	s_waitcnt vmcnt(56)
	v_fma_f64 v[122:123], v[102:103], v[110:111], -v[122:123]
	v_fma_f64 v[110:111], v[104:105], v[110:111], v[161:162]
	v_add_f64 v[112:113], v[112:113], v[116:117]
	v_add_f64 v[5:6], v[5:6], v[124:125]
	s_clause 0x2
	buffer_load_dword v160, off, s[0:3], 0 offset:428
	buffer_load_dword v117, off, s[0:3], 0 offset:404
	;; [unrolled: 1-line block ×3, first 2 shown]
	s_waitcnt vmcnt(58) lgkmcnt(0)
	v_mul_f64 v[124:125], v[106:107], v[130:131]
	v_mul_f64 v[130:131], v[108:109], v[130:131]
	s_waitcnt vmcnt(56)
	v_fma_f64 v[126:127], v[1:2], v[132:133], -v[126:127]
	ds_read_b128 v[102:105], v156 offset:944
	v_add_f64 v[112:113], v[112:113], v[122:123]
	v_fma_f64 v[122:123], v[3:4], v[132:133], v[180:181]
	v_add_f64 v[5:6], v[5:6], v[110:111]
	s_clause 0x4
	buffer_load_dword v111, off, s[0:3], 0 offset:444
	buffer_load_dword v132, off, s[0:3], 0 offset:456
	;; [unrolled: 1-line block ×5, first 2 shown]
	s_waitcnt vmcnt(57) lgkmcnt(0)
	v_mul_f64 v[186:187], v[102:103], v[134:135]
	v_mul_f64 v[134:135], v[104:105], v[134:135]
	s_waitcnt vmcnt(56)
	v_fma_f64 v[130:131], v[106:107], v[118:119], -v[130:131]
	ds_read_b128 v[1:4], v156 offset:960
	v_fma_f64 v[118:119], v[108:109], v[118:119], v[124:125]
	v_add_f64 v[112:113], v[112:113], v[126:127]
	v_add_f64 v[5:6], v[5:6], v[122:123]
	s_clause 0x2
	buffer_load_dword v133, off, s[0:3], 0 offset:460
	buffer_load_dword v123, off, s[0:3], 0 offset:436
	;; [unrolled: 1-line block ×3, first 2 shown]
	ds_read_b128 v[106:109], v156 offset:976
	s_waitcnt vmcnt(58) lgkmcnt(1)
	v_mul_f64 v[126:127], v[3:4], v[138:139]
	s_waitcnt vmcnt(56)
	v_fma_f64 v[134:135], v[102:103], v[140:141], -v[134:135]
	v_mul_f64 v[124:125], v[1:2], v[138:139]
	v_add_f64 v[112:113], v[112:113], v[130:131]
	v_fma_f64 v[130:131], v[104:105], v[140:141], v[186:187]
	v_add_f64 v[5:6], v[5:6], v[118:119]
	s_clause 0x4
	buffer_load_dword v119, off, s[0:3], 0 offset:476
	buffer_load_dword v138, off, s[0:3], 0 offset:488
	;; [unrolled: 1-line block ×5, first 2 shown]
	s_waitcnt vmcnt(57) lgkmcnt(0)
	v_mul_f64 v[186:187], v[106:107], v[142:143]
	v_mul_f64 v[141:142], v[108:109], v[142:143]
	s_waitcnt vmcnt(56)
	v_fma_f64 v[126:127], v[1:2], v[128:129], -v[126:127]
	ds_read_b128 v[102:105], v156 offset:992
	v_fma_f64 v[124:125], v[3:4], v[128:129], v[124:125]
	s_clause 0x2
	buffer_load_dword v139, off, s[0:3], 0 offset:492
	buffer_load_dword v129, off, s[0:3], 0 offset:468
	;; [unrolled: 1-line block ×3, first 2 shown]
	ds_read_b128 v[1:4], v156 offset:1008
	v_add_f64 v[112:113], v[112:113], v[134:135]
	v_add_f64 v[5:6], v[5:6], v[130:131]
	s_waitcnt vmcnt(58) lgkmcnt(1)
	v_mul_f64 v[134:135], v[104:105], v[146:147]
	s_waitcnt vmcnt(56)
	v_fma_f64 v[142:143], v[106:107], v[148:149], -v[141:142]
	v_mul_f64 v[130:131], v[102:103], v[146:147]
	v_add_f64 v[112:113], v[112:113], v[126:127]
	v_fma_f64 v[126:127], v[108:109], v[148:149], v[186:187]
	v_add_f64 v[5:6], v[5:6], v[124:125]
	s_clause 0x4
	buffer_load_dword v125, off, s[0:3], 0 offset:508
	buffer_load_dword v146, off, s[0:3], 0 offset:520
	;; [unrolled: 1-line block ×5, first 2 shown]
	s_waitcnt vmcnt(57) lgkmcnt(0)
	v_mul_f64 v[186:187], v[1:2], v[150:151]
	v_mul_f64 v[149:150], v[3:4], v[150:151]
	s_waitcnt vmcnt(56)
	v_fma_f64 v[134:135], v[102:103], v[136:137], -v[134:135]
	ds_read_b128 v[106:109], v156 offset:1024
	v_fma_f64 v[130:131], v[104:105], v[136:137], v[130:131]
	v_add_f64 v[112:113], v[112:113], v[142:143]
	v_add_f64 v[5:6], v[5:6], v[126:127]
	s_clause 0x2
	buffer_load_dword v147, off, s[0:3], 0 offset:524
	buffer_load_dword v127, off, s[0:3], 0 offset:500
	;; [unrolled: 1-line block ×3, first 2 shown]
	ds_read_b128 v[102:105], v156 offset:1040
	s_waitcnt vmcnt(58) lgkmcnt(1)
	v_mul_f64 v[142:143], v[108:109], v[152:153]
	s_waitcnt vmcnt(56)
	v_fma_f64 v[150:151], v[1:2], v[154:155], -v[149:150]
	v_mul_f64 v[136:137], v[106:107], v[152:153]
	v_add_f64 v[112:113], v[112:113], v[134:135]
	v_fma_f64 v[134:135], v[3:4], v[154:155], v[186:187]
	v_add_f64 v[5:6], v[5:6], v[130:131]
	s_clause 0x4
	buffer_load_dword v131, off, s[0:3], 0 offset:540
	buffer_load_dword v152, off, s[0:3], 0 offset:552
	;; [unrolled: 1-line block ×5, first 2 shown]
	s_waitcnt vmcnt(57) lgkmcnt(0)
	v_mul_f64 v[186:187], v[102:103], v[171:172]
	v_mul_f64 v[171:172], v[104:105], v[171:172]
	s_waitcnt vmcnt(56)
	v_fma_f64 v[142:143], v[106:107], v[144:145], -v[142:143]
	ds_read_b128 v[1:4], v156 offset:1056
	v_fma_f64 v[136:137], v[108:109], v[144:145], v[136:137]
	v_add_f64 v[112:113], v[112:113], v[150:151]
	v_add_f64 v[5:6], v[5:6], v[134:135]
	s_clause 0x2
	buffer_load_dword v153, off, s[0:3], 0 offset:556
	buffer_load_dword v135, off, s[0:3], 0 offset:532
	;; [unrolled: 1-line block ×3, first 2 shown]
	ds_read_b128 v[106:109], v156 offset:1072
	s_waitcnt vmcnt(58) lgkmcnt(1)
	v_mul_f64 v[150:151], v[3:4], v[173:174]
	v_mul_f64 v[144:145], v[1:2], v[173:174]
	s_waitcnt vmcnt(56)
	v_fma_f64 v[171:172], v[102:103], v[169:170], -v[171:172]
	v_add_f64 v[112:113], v[112:113], v[142:143]
	v_fma_f64 v[142:143], v[104:105], v[169:170], v[186:187]
	v_add_f64 v[5:6], v[5:6], v[136:137]
	s_clause 0x4
	buffer_load_dword v137, off, s[0:3], 0 offset:572
	buffer_load_dword v169, off, s[0:3], 0 offset:584
	;; [unrolled: 1-line block ×5, first 2 shown]
	s_waitcnt vmcnt(57) lgkmcnt(0)
	v_mul_f64 v[186:187], v[106:107], v[163:164]
	v_mul_f64 v[163:164], v[108:109], v[163:164]
	ds_read_b128 v[102:105], v156 offset:1088
	s_waitcnt vmcnt(56)
	v_fma_f64 v[150:151], v[1:2], v[175:176], -v[150:151]
	v_fma_f64 v[144:145], v[3:4], v[175:176], v[144:145]
	v_add_f64 v[112:113], v[112:113], v[171:172]
	v_add_f64 v[5:6], v[5:6], v[142:143]
	s_clause 0x2
	buffer_load_dword v170, off, s[0:3], 0 offset:588
	buffer_load_dword v143, off, s[0:3], 0 offset:564
	;; [unrolled: 1-line block ×3, first 2 shown]
	s_waitcnt vmcnt(58) lgkmcnt(0)
	v_mul_f64 v[175:176], v[104:105], v[177:178]
	s_waitcnt vmcnt(56)
	v_fma_f64 v[163:164], v[106:107], v[167:168], -v[163:164]
	ds_read_b128 v[1:4], v156 offset:1104
	v_mul_f64 v[171:172], v[102:103], v[177:178]
	v_add_f64 v[112:113], v[112:113], v[150:151]
	v_fma_f64 v[150:151], v[108:109], v[167:168], v[186:187]
	v_add_f64 v[5:6], v[5:6], v[144:145]
	s_clause 0x4
	buffer_load_dword v145, off, s[0:3], 0 offset:604
	buffer_load_dword v167, off, s[0:3], 0 offset:616
	;; [unrolled: 1-line block ×5, first 2 shown]
	ds_read_b128 v[106:109], v156 offset:1120
	s_waitcnt vmcnt(57) lgkmcnt(1)
	v_mul_f64 v[186:187], v[1:2], v[120:121]
	v_mul_f64 v[120:121], v[3:4], v[120:121]
	s_waitcnt vmcnt(56)
	v_fma_f64 v[175:176], v[102:103], v[182:183], -v[175:176]
	v_add_f64 v[112:113], v[112:113], v[163:164]
	v_fma_f64 v[163:164], v[104:105], v[182:183], v[171:172]
	v_add_f64 v[5:6], v[5:6], v[150:151]
	s_clause 0x2
	buffer_load_dword v168, off, s[0:3], 0 offset:620
	buffer_load_dword v151, off, s[0:3], 0 offset:596
	;; [unrolled: 1-line block ×3, first 2 shown]
	ds_read_b128 v[102:105], v156 offset:1136
	s_waitcnt vmcnt(58) lgkmcnt(1)
	v_mul_f64 v[171:172], v[106:107], v[165:166]
	v_mul_f64 v[165:166], v[108:109], v[165:166]
	s_waitcnt vmcnt(56)
	v_fma_f64 v[120:121], v[1:2], v[114:115], -v[120:121]
	v_fma_f64 v[114:115], v[3:4], v[114:115], v[186:187]
	v_add_f64 v[112:113], v[112:113], v[175:176]
	v_add_f64 v[5:6], v[5:6], v[163:164]
	s_clause 0x4
	buffer_load_dword v164, off, s[0:3], 0 offset:636
	buffer_load_dword v175, off, s[0:3], 0 offset:648
	;; [unrolled: 1-line block ×5, first 2 shown]
	s_waitcnt vmcnt(57) lgkmcnt(0)
	v_mul_f64 v[182:183], v[102:103], v[157:158]
	v_mul_f64 v[157:158], v[104:105], v[157:158]
	ds_read_b128 v[1:4], v156 offset:1152
	s_waitcnt vmcnt(56)
	v_fma_f64 v[165:166], v[106:107], v[184:185], -v[165:166]
	v_add_f64 v[112:113], v[112:113], v[120:121]
	v_fma_f64 v[120:121], v[108:109], v[184:185], v[171:172]
	v_add_f64 v[5:6], v[5:6], v[114:115]
	s_clause 0x2
	buffer_load_dword v176, off, s[0:3], 0 offset:652
	buffer_load_dword v115, off, s[0:3], 0 offset:628
	;; [unrolled: 1-line block ×3, first 2 shown]
	ds_read_b128 v[106:109], v156 offset:1168
	s_waitcnt vmcnt(58) lgkmcnt(1)
	v_mul_f64 v[171:172], v[1:2], v[159:160]
	v_mul_f64 v[159:160], v[3:4], v[159:160]
	s_waitcnt vmcnt(56)
	v_fma_f64 v[157:158], v[102:103], v[116:117], -v[157:158]
	v_fma_f64 v[116:117], v[104:105], v[116:117], v[182:183]
	v_add_f64 v[112:113], v[112:113], v[165:166]
	v_add_f64 v[5:6], v[5:6], v[120:121]
	s_clause 0x4
	buffer_load_dword v121, off, s[0:3], 0 offset:668
	buffer_load_dword v165, off, s[0:3], 0 offset:680
	;; [unrolled: 1-line block ×5, first 2 shown]
	ds_read_b128 v[102:105], v156 offset:1184
	s_waitcnt vmcnt(57) lgkmcnt(1)
	v_mul_f64 v[184:185], v[106:107], v[110:111]
	v_mul_f64 v[110:111], v[108:109], v[110:111]
	s_waitcnt vmcnt(56)
	v_fma_f64 v[159:160], v[1:2], v[179:180], -v[159:160]
	v_add_f64 v[112:113], v[112:113], v[157:158]
	v_fma_f64 v[157:158], v[3:4], v[179:180], v[171:172]
	v_add_f64 v[5:6], v[5:6], v[116:117]
	s_clause 0x2
	buffer_load_dword v166, off, s[0:3], 0 offset:684
	buffer_load_dword v117, off, s[0:3], 0 offset:660
	;; [unrolled: 1-line block ×3, first 2 shown]
	ds_read_b128 v[1:4], v156 offset:1200
	s_waitcnt vmcnt(58) lgkmcnt(1)
	v_mul_f64 v[171:172], v[102:103], v[132:133]
	v_mul_f64 v[132:133], v[104:105], v[132:133]
	s_waitcnt vmcnt(56)
	v_fma_f64 v[110:111], v[106:107], v[122:123], -v[110:111]
	v_fma_f64 v[122:123], v[108:109], v[122:123], v[184:185]
	v_add_f64 v[112:113], v[112:113], v[159:160]
	v_add_f64 v[5:6], v[5:6], v[157:158]
	s_clause 0x4
	buffer_load_dword v158, off, s[0:3], 0 offset:700
	buffer_load_dword v159, off, s[0:3], 0 offset:712
	;; [unrolled: 1-line block ×5, first 2 shown]
	ds_read_b128 v[106:109], v156 offset:1216
	s_waitcnt vmcnt(57) lgkmcnt(1)
	v_mul_f64 v[185:186], v[1:2], v[118:119]
	v_mul_f64 v[118:119], v[3:4], v[118:119]
	s_waitcnt vmcnt(56)
	v_fma_f64 v[132:133], v[102:103], v[161:162], -v[132:133]
	v_add_f64 v[110:111], v[112:113], v[110:111]
	v_fma_f64 v[112:113], v[104:105], v[161:162], v[171:172]
	v_add_f64 v[5:6], v[5:6], v[122:123]
	s_clause 0x2
	buffer_load_dword v160, off, s[0:3], 0 offset:716
	buffer_load_dword v123, off, s[0:3], 0 offset:692
	;; [unrolled: 1-line block ×3, first 2 shown]
	s_waitcnt vmcnt(58) lgkmcnt(0)
	v_mul_f64 v[161:162], v[106:107], v[138:139]
	v_mul_f64 v[138:139], v[108:109], v[138:139]
	ds_read_b128 v[102:105], v156 offset:1232
	s_waitcnt vmcnt(56)
	v_fma_f64 v[118:119], v[1:2], v[128:129], -v[118:119]
	v_fma_f64 v[128:129], v[3:4], v[128:129], v[185:186]
	v_add_f64 v[110:111], v[110:111], v[132:133]
	v_add_f64 v[5:6], v[5:6], v[112:113]
	s_clause 0x4
	buffer_load_dword v113, off, s[0:3], 0 offset:732
	buffer_load_dword v132, off, s[0:3], 0 offset:744
	;; [unrolled: 1-line block ×5, first 2 shown]
	ds_read_b128 v[1:4], v156 offset:1248
	s_waitcnt vmcnt(57) lgkmcnt(1)
	v_mul_f64 v[185:186], v[102:103], v[124:125]
	v_mul_f64 v[124:125], v[104:105], v[124:125]
	s_waitcnt vmcnt(56)
	v_fma_f64 v[138:139], v[106:107], v[140:141], -v[138:139]
	v_add_f64 v[110:111], v[110:111], v[118:119]
	v_fma_f64 v[118:119], v[108:109], v[140:141], v[161:162]
	v_add_f64 v[5:6], v[5:6], v[128:129]
	s_clause 0x2
	buffer_load_dword v133, off, s[0:3], 0 offset:748
	buffer_load_dword v129, off, s[0:3], 0 offset:724
	;; [unrolled: 1-line block ×3, first 2 shown]
	ds_read_b128 v[106:109], v156 offset:1264
	s_waitcnt vmcnt(58) lgkmcnt(1)
	v_mul_f64 v[140:141], v[1:2], v[146:147]
	v_mul_f64 v[146:147], v[3:4], v[146:147]
	s_waitcnt vmcnt(56)
	v_fma_f64 v[124:125], v[102:103], v[126:127], -v[124:125]
	v_fma_f64 v[126:127], v[104:105], v[126:127], v[185:186]
	v_add_f64 v[110:111], v[110:111], v[138:139]
	v_add_f64 v[5:6], v[5:6], v[118:119]
	s_clause 0x2
	buffer_load_dword v119, off, s[0:3], 0 offset:764
	buffer_load_dword v118, off, s[0:3], 0 offset:760
	;; [unrolled: 1-line block ×3, first 2 shown]
	ds_read_b128 v[102:105], v156 offset:1280
	s_waitcnt vmcnt(55) lgkmcnt(1)
	v_mul_f64 v[138:139], v[106:107], v[130:131]
	v_mul_f64 v[130:131], v[108:109], v[130:131]
	s_waitcnt vmcnt(54)
	v_fma_f64 v[146:147], v[1:2], v[148:149], -v[146:147]
	v_add_f64 v[110:111], v[110:111], v[124:125]
	v_fma_f64 v[124:125], v[3:4], v[148:149], v[140:141]
	v_add_f64 v[5:6], v[5:6], v[126:127]
	s_clause 0x1
	buffer_load_dword v127, off, s[0:3], 0 offset:756
	buffer_load_dword v126, off, s[0:3], 0 offset:752
	ds_read_b128 v[1:4], v156 offset:1296
	s_waitcnt vmcnt(55) lgkmcnt(1)
	v_mul_f64 v[148:149], v[104:105], v[152:153]
	v_mul_f64 v[140:141], v[102:103], v[152:153]
	s_waitcnt vmcnt(53)
	v_fma_f64 v[130:131], v[106:107], v[134:135], -v[130:131]
	v_fma_f64 v[134:135], v[108:109], v[134:135], v[138:139]
	ds_read_b128 v[106:109], v156 offset:1312
	v_add_f64 v[110:111], v[110:111], v[146:147]
	v_add_f64 v[5:6], v[5:6], v[124:125]
	s_waitcnt vmcnt(49) lgkmcnt(1)
	v_mul_f64 v[124:125], v[1:2], v[136:137]
	v_mul_f64 v[136:137], v[3:4], v[136:137]
	s_waitcnt vmcnt(48)
	v_fma_f64 v[138:139], v[102:103], v[154:155], -v[148:149]
	v_add_f64 v[110:111], v[110:111], v[130:131]
	v_fma_f64 v[130:131], v[104:105], v[154:155], v[140:141]
	v_add_f64 v[5:6], v[5:6], v[134:135]
	s_clause 0x3
	buffer_load_dword v134, off, s[0:3], 0 offset:48
	buffer_load_dword v135, off, s[0:3], 0 offset:52
	;; [unrolled: 1-line block ×4, first 2 shown]
	ds_read_b128 v[102:105], v156 offset:1328
	s_waitcnt vmcnt(51) lgkmcnt(1)
	v_mul_f64 v[148:149], v[108:109], v[169:170]
	v_mul_f64 v[146:147], v[106:107], v[169:170]
	s_waitcnt vmcnt(49)
	v_fma_f64 v[136:137], v[1:2], v[142:143], -v[136:137]
	v_fma_f64 v[124:125], v[3:4], v[142:143], v[124:125]
	ds_read_b128 v[1:4], v156 offset:1344
	v_add_f64 v[110:111], v[110:111], v[138:139]
	v_add_f64 v[5:6], v[5:6], v[130:131]
	s_waitcnt vmcnt(45) lgkmcnt(1)
	v_mul_f64 v[138:139], v[104:105], v[144:145]
	s_waitcnt vmcnt(44)
	v_fma_f64 v[142:143], v[106:107], v[173:174], -v[148:149]
	v_mul_f64 v[130:131], v[102:103], v[144:145]
	v_add_f64 v[110:111], v[110:111], v[136:137]
	v_fma_f64 v[136:137], v[108:109], v[173:174], v[146:147]
	v_add_f64 v[5:6], v[5:6], v[124:125]
	ds_read_b128 v[106:109], v156 offset:1360
	s_waitcnt vmcnt(43) lgkmcnt(1)
	v_mul_f64 v[144:145], v[3:4], v[167:168]
	v_mul_f64 v[124:125], v[1:2], v[167:168]
	s_waitcnt vmcnt(41)
	v_fma_f64 v[138:139], v[102:103], v[150:151], -v[138:139]
	v_fma_f64 v[130:131], v[104:105], v[150:151], v[130:131]
	ds_read_b128 v[102:105], v156 offset:1376
	v_add_f64 v[110:111], v[110:111], v[142:143]
	v_add_f64 v[5:6], v[5:6], v[136:137]
	s_waitcnt vmcnt(37) lgkmcnt(1)
	v_mul_f64 v[142:143], v[108:109], v[163:164]
	s_waitcnt vmcnt(36)
	v_fma_f64 v[144:145], v[1:2], v[177:178], -v[144:145]
	v_mul_f64 v[136:137], v[106:107], v[163:164]
	v_fma_f64 v[124:125], v[3:4], v[177:178], v[124:125]
	ds_read_b128 v[1:4], v156 offset:1392
	v_add_f64 v[110:111], v[110:111], v[138:139]
	v_add_f64 v[5:6], v[5:6], v[130:131]
	s_waitcnt vmcnt(35) lgkmcnt(1)
	v_mul_f64 v[138:139], v[104:105], v[175:176]
	v_mul_f64 v[130:131], v[102:103], v[175:176]
	s_waitcnt vmcnt(33)
	v_fma_f64 v[142:143], v[106:107], v[114:115], -v[142:143]
	v_fma_f64 v[114:115], v[108:109], v[114:115], v[136:137]
	ds_read_b128 v[106:109], v156 offset:1408
	v_add_f64 v[110:111], v[110:111], v[144:145]
	v_add_f64 v[5:6], v[5:6], v[124:125]
	s_waitcnt vmcnt(29) lgkmcnt(1)
	v_mul_f64 v[124:125], v[1:2], v[120:121]
	v_mul_f64 v[120:121], v[3:4], v[120:121]
	s_waitcnt vmcnt(28)
	v_fma_f64 v[136:137], v[102:103], v[181:182], -v[138:139]
	;; [unrolled: 9-line block ×3, first 2 shown]
	v_fma_f64 v[116:117], v[3:4], v[116:117], v[124:125]
	ds_read_b128 v[1:4], v156 offset:1440
	v_add_f64 v[110:111], v[110:111], v[136:137]
	v_add_f64 v[5:6], v[5:6], v[130:131]
	s_waitcnt vmcnt(21) lgkmcnt(1)
	v_mul_f64 v[130:131], v[104:105], v[157:158]
	s_waitcnt vmcnt(20)
	v_fma_f64 v[136:137], v[106:107], v[183:184], -v[138:139]
	v_mul_f64 v[124:125], v[102:103], v[157:158]
	v_fma_f64 v[114:115], v[108:109], v[183:184], v[114:115]
	ds_read_b128 v[106:109], v156 offset:1456
	v_add_f64 v[110:111], v[110:111], v[120:121]
	v_add_f64 v[5:6], v[5:6], v[116:117]
	s_waitcnt vmcnt(19) lgkmcnt(1)
	v_mul_f64 v[120:121], v[3:4], v[159:160]
	v_mul_f64 v[116:117], v[1:2], v[159:160]
	s_waitcnt vmcnt(17)
	v_fma_f64 v[130:131], v[102:103], v[122:123], -v[130:131]
	v_fma_f64 v[122:123], v[104:105], v[122:123], v[124:125]
	ds_read_b128 v[102:105], v156 offset:1472
	v_add_f64 v[110:111], v[110:111], v[136:137]
	v_add_f64 v[5:6], v[5:6], v[114:115]
	s_waitcnt vmcnt(13) lgkmcnt(1)
	v_mul_f64 v[114:115], v[106:107], v[112:113]
	v_mul_f64 v[112:113], v[108:109], v[112:113]
	s_waitcnt vmcnt(12)
	v_fma_f64 v[120:121], v[1:2], v[179:180], -v[120:121]
	;; [unrolled: 9-line block ×3, first 2 shown]
	v_fma_f64 v[108:109], v[108:109], v[128:129], v[114:115]
	v_add_f64 v[110:111], v[110:111], v[120:121]
	v_add_f64 v[5:6], v[5:6], v[116:117]
	s_waitcnt vmcnt(7) lgkmcnt(0)
	v_mul_f64 v[114:115], v[3:4], v[118:119]
	s_waitcnt vmcnt(6)
	v_fma_f64 v[102:103], v[102:103], v[171:172], -v[124:125]
	v_mul_f64 v[112:113], v[1:2], v[118:119]
	v_fma_f64 v[104:105], v[104:105], v[171:172], v[122:123]
	v_add_f64 v[106:107], v[110:111], v[106:107]
	v_add_f64 v[5:6], v[5:6], v[108:109]
	s_waitcnt vmcnt(4)
	v_fma_f64 v[1:2], v[1:2], v[126:127], -v[114:115]
	v_fma_f64 v[3:4], v[3:4], v[126:127], v[112:113]
	v_add_f64 v[102:103], v[106:107], v[102:103]
	v_add_f64 v[5:6], v[5:6], v[104:105]
	;; [unrolled: 1-line block ×4, first 2 shown]
	s_waitcnt vmcnt(2)
	v_add_f64 v[1:2], v[134:135], -v[1:2]
	s_waitcnt vmcnt(0)
	v_add_f64 v[3:4], v[140:141], -v[3:4]
	buffer_store_dword v2, off, s[0:3], 0 offset:52
	buffer_store_dword v1, off, s[0:3], 0 offset:48
	;; [unrolled: 1-line block ×4, first 2 shown]
	v_cmpx_lt_u32_e32 1, v0
	s_cbranch_execz .LBB110_293
; %bb.292:
	v_mov_b32_e32 v4, s58
	v_mov_b32_e32 v5, 0
	s_clause 0x3
	buffer_load_dword v1, v4, s[0:3], 0 offen
	buffer_load_dword v2, v4, s[0:3], 0 offen offset:4
	buffer_load_dword v3, v4, s[0:3], 0 offen offset:8
	buffer_load_dword v4, v4, s[0:3], 0 offen offset:12
	buffer_store_dword v5, off, s[0:3], 0 offset:32
	buffer_store_dword v5, off, s[0:3], 0 offset:36
	;; [unrolled: 1-line block ×4, first 2 shown]
	s_waitcnt vmcnt(0)
	ds_write_b128 v7, v[1:4]
.LBB110_293:
	s_or_b32 exec_lo, exec_lo, s4
	s_waitcnt lgkmcnt(0)
	s_waitcnt_vscnt null, 0x0
	s_barrier
	buffer_gl0_inv
	s_clause 0x37
	buffer_load_dword v108, off, s[0:3], 0 offset:56
	buffer_load_dword v109, off, s[0:3], 0 offset:60
	;; [unrolled: 1-line block ×56, first 2 shown]
	v_mov_b32_e32 v162, 0
	s_mov_b32 s4, exec_lo
	ds_read_b128 v[163:166], v162 offset:784
	s_clause 0x2
	buffer_load_dword v157, off, s[0:3], 0 offset:284
	buffer_load_dword v159, off, s[0:3], 0 offset:260
	;; [unrolled: 1-line block ×3, first 2 shown]
	ds_read_b128 v[1:4], v162 offset:800
	s_clause 0x4
	buffer_load_dword v172, off, s[0:3], 0 offset:300
	buffer_load_dword v173, off, s[0:3], 0 offset:312
	;; [unrolled: 1-line block ×5, first 2 shown]
	ds_read_b128 v[167:170], v162 offset:816
	s_clause 0x2
	buffer_load_dword v174, off, s[0:3], 0 offset:316
	buffer_load_dword v179, off, s[0:3], 0 offset:292
	;; [unrolled: 1-line block ×3, first 2 shown]
	s_waitcnt vmcnt(62) lgkmcnt(2)
	v_mul_f64 v[160:161], v[165:166], v[108:109]
	v_mul_f64 v[108:109], v[163:164], v[108:109]
	s_waitcnt lgkmcnt(1)
	v_mul_f64 v[176:177], v[3:4], v[104:105]
	s_waitcnt vmcnt(61)
	v_fma_f64 v[160:161], v[163:164], v[106:107], -v[160:161]
	v_mul_f64 v[163:164], v[1:2], v[104:105]
	v_fma_f64 v[108:109], v[165:166], v[106:107], v[108:109]
	s_waitcnt vmcnt(59) lgkmcnt(0)
	v_mul_f64 v[165:166], v[167:168], v[102:103]
	v_mul_f64 v[102:103], v[169:170], v[102:103]
	s_waitcnt vmcnt(57)
	v_fma_f64 v[180:181], v[1:2], v[5:6], -v[176:177]
	ds_read_b128 v[104:107], v162 offset:832
	s_clause 0x4
	buffer_load_dword v183, off, s[0:3], 0 offset:332
	buffer_load_dword v184, off, s[0:3], 0 offset:344
	;; [unrolled: 1-line block ×5, first 2 shown]
	v_add_f64 v[160:161], v[160:161], 0
	v_fma_f64 v[5:6], v[3:4], v[5:6], v[163:164]
	v_add_f64 v[108:109], v[108:109], 0
	ds_read_b128 v[1:4], v162 offset:848
	s_waitcnt vmcnt(58) lgkmcnt(1)
	v_mul_f64 v[187:188], v[104:105], v[112:113]
	v_mul_f64 v[112:113], v[106:107], v[112:113]
	s_waitcnt vmcnt(56)
	v_fma_f64 v[102:103], v[167:168], v[124:125], -v[102:103]
	v_fma_f64 v[124:125], v[169:170], v[124:125], v[165:166]
	s_clause 0x2
	buffer_load_dword v185, off, s[0:3], 0 offset:348
	buffer_load_dword v168, off, s[0:3], 0 offset:324
	;; [unrolled: 1-line block ×3, first 2 shown]
	ds_read_b128 v[163:166], v162 offset:864
	v_add_f64 v[160:161], v[160:161], v[180:181]
	v_add_f64 v[5:6], v[108:109], v[5:6]
	s_waitcnt vmcnt(58) lgkmcnt(1)
	v_mul_f64 v[108:109], v[1:2], v[116:117]
	v_mul_f64 v[116:117], v[3:4], v[116:117]
	s_waitcnt vmcnt(56)
	v_fma_f64 v[112:113], v[104:105], v[118:119], -v[112:113]
	v_fma_f64 v[106:107], v[106:107], v[118:119], v[187:188]
	s_waitcnt vmcnt(52) lgkmcnt(0)
	v_mul_f64 v[180:181], v[163:164], v[120:121]
	v_mul_f64 v[120:121], v[165:166], v[120:121]
	v_add_f64 v[160:161], v[160:161], v[102:103]
	v_add_f64 v[5:6], v[5:6], v[124:125]
	s_clause 0x4
	buffer_load_dword v119, off, s[0:3], 0 offset:364
	buffer_load_dword v124, off, s[0:3], 0 offset:376
	;; [unrolled: 1-line block ×5, first 2 shown]
	s_waitcnt vmcnt(56)
	v_fma_f64 v[116:117], v[1:2], v[110:111], -v[116:117]
	ds_read_b128 v[102:105], v162 offset:880
	v_fma_f64 v[108:109], v[3:4], v[110:111], v[108:109]
	s_clause 0x2
	buffer_load_dword v125, off, s[0:3], 0 offset:380
	buffer_load_dword v111, off, s[0:3], 0 offset:356
	;; [unrolled: 1-line block ×3, first 2 shown]
	s_waitcnt vmcnt(56)
	v_fma_f64 v[120:121], v[163:164], v[128:129], -v[120:121]
	ds_read_b128 v[1:4], v162 offset:896
	v_add_f64 v[112:113], v[160:161], v[112:113]
	v_add_f64 v[5:6], v[5:6], v[106:107]
	s_waitcnt lgkmcnt(1)
	v_mul_f64 v[160:161], v[102:103], v[126:127]
	v_mul_f64 v[126:127], v[104:105], v[126:127]
	v_add_f64 v[112:113], v[112:113], v[116:117]
	v_fma_f64 v[116:117], v[165:166], v[128:129], v[180:181]
	v_add_f64 v[5:6], v[5:6], v[108:109]
	s_clause 0x4
	buffer_load_dword v129, off, s[0:3], 0 offset:396
	buffer_load_dword v163, off, s[0:3], 0 offset:408
	;; [unrolled: 1-line block ×5, first 2 shown]
	s_waitcnt vmcnt(57) lgkmcnt(0)
	v_mul_f64 v[180:181], v[1:2], v[130:131]
	v_mul_f64 v[130:131], v[3:4], v[130:131]
	s_waitcnt vmcnt(56)
	v_fma_f64 v[126:127], v[102:103], v[114:115], -v[126:127]
	ds_read_b128 v[106:109], v162 offset:912
	v_fma_f64 v[114:115], v[104:105], v[114:115], v[160:161]
	v_add_f64 v[112:113], v[112:113], v[120:121]
	v_add_f64 v[5:6], v[5:6], v[116:117]
	s_clause 0x2
	buffer_load_dword v164, off, s[0:3], 0 offset:412
	buffer_load_dword v117, off, s[0:3], 0 offset:388
	;; [unrolled: 1-line block ×3, first 2 shown]
	ds_read_b128 v[102:105], v162 offset:928
	s_waitcnt vmcnt(58) lgkmcnt(1)
	v_mul_f64 v[120:121], v[106:107], v[134:135]
	v_mul_f64 v[134:135], v[108:109], v[134:135]
	s_waitcnt vmcnt(56)
	v_fma_f64 v[130:131], v[1:2], v[136:137], -v[130:131]
	v_add_f64 v[112:113], v[112:113], v[126:127]
	v_fma_f64 v[126:127], v[3:4], v[136:137], v[180:181]
	v_add_f64 v[5:6], v[5:6], v[114:115]
	s_clause 0x4
	buffer_load_dword v115, off, s[0:3], 0 offset:428
	buffer_load_dword v136, off, s[0:3], 0 offset:440
	;; [unrolled: 1-line block ×5, first 2 shown]
	s_waitcnt vmcnt(57) lgkmcnt(0)
	v_mul_f64 v[180:181], v[102:103], v[138:139]
	v_mul_f64 v[138:139], v[104:105], v[138:139]
	s_waitcnt vmcnt(56)
	v_fma_f64 v[134:135], v[106:107], v[122:123], -v[134:135]
	ds_read_b128 v[1:4], v162 offset:944
	v_fma_f64 v[120:121], v[108:109], v[122:123], v[120:121]
	s_clause 0x2
	buffer_load_dword v137, off, s[0:3], 0 offset:444
	buffer_load_dword v123, off, s[0:3], 0 offset:420
	;; [unrolled: 1-line block ×3, first 2 shown]
	ds_read_b128 v[106:109], v162 offset:960
	v_add_f64 v[112:113], v[112:113], v[130:131]
	v_add_f64 v[5:6], v[5:6], v[126:127]
	s_waitcnt vmcnt(58) lgkmcnt(1)
	v_mul_f64 v[130:131], v[3:4], v[142:143]
	s_waitcnt vmcnt(56)
	v_fma_f64 v[138:139], v[102:103], v[144:145], -v[138:139]
	v_mul_f64 v[126:127], v[1:2], v[142:143]
	v_add_f64 v[112:113], v[112:113], v[134:135]
	v_fma_f64 v[134:135], v[104:105], v[144:145], v[180:181]
	v_add_f64 v[5:6], v[5:6], v[120:121]
	s_clause 0x4
	buffer_load_dword v121, off, s[0:3], 0 offset:460
	buffer_load_dword v142, off, s[0:3], 0 offset:472
	buffer_load_dword v144, off, s[0:3], 0 offset:464
	buffer_load_dword v120, off, s[0:3], 0 offset:456
	buffer_load_dword v161, off, s[0:3], 0 offset:436
	s_waitcnt vmcnt(57) lgkmcnt(0)
	v_mul_f64 v[180:181], v[106:107], v[146:147]
	v_mul_f64 v[145:146], v[108:109], v[146:147]
	s_waitcnt vmcnt(56)
	v_fma_f64 v[130:131], v[1:2], v[132:133], -v[130:131]
	ds_read_b128 v[102:105], v162 offset:976
	v_fma_f64 v[126:127], v[3:4], v[132:133], v[126:127]
	s_clause 0x2
	buffer_load_dword v143, off, s[0:3], 0 offset:476
	buffer_load_dword v133, off, s[0:3], 0 offset:452
	;; [unrolled: 1-line block ×3, first 2 shown]
	ds_read_b128 v[1:4], v162 offset:992
	v_add_f64 v[112:113], v[112:113], v[138:139]
	v_add_f64 v[5:6], v[5:6], v[134:135]
	s_waitcnt vmcnt(58) lgkmcnt(1)
	v_mul_f64 v[138:139], v[104:105], v[150:151]
	s_waitcnt vmcnt(56)
	v_fma_f64 v[146:147], v[106:107], v[152:153], -v[145:146]
	v_mul_f64 v[134:135], v[102:103], v[150:151]
	v_add_f64 v[112:113], v[112:113], v[130:131]
	v_fma_f64 v[130:131], v[108:109], v[152:153], v[180:181]
	v_add_f64 v[5:6], v[5:6], v[126:127]
	s_clause 0x4
	buffer_load_dword v127, off, s[0:3], 0 offset:492
	buffer_load_dword v150, off, s[0:3], 0 offset:504
	;; [unrolled: 1-line block ×5, first 2 shown]
	s_waitcnt vmcnt(57) lgkmcnt(0)
	v_mul_f64 v[180:181], v[1:2], v[154:155]
	v_mul_f64 v[153:154], v[3:4], v[154:155]
	s_waitcnt vmcnt(56)
	v_fma_f64 v[138:139], v[102:103], v[140:141], -v[138:139]
	ds_read_b128 v[106:109], v162 offset:1008
	v_fma_f64 v[134:135], v[104:105], v[140:141], v[134:135]
	v_add_f64 v[112:113], v[112:113], v[146:147]
	v_add_f64 v[5:6], v[5:6], v[130:131]
	s_clause 0x2
	buffer_load_dword v151, off, s[0:3], 0 offset:508
	buffer_load_dword v131, off, s[0:3], 0 offset:484
	buffer_load_dword v130, off, s[0:3], 0 offset:480
	ds_read_b128 v[102:105], v162 offset:1024
	s_waitcnt vmcnt(58) lgkmcnt(1)
	v_mul_f64 v[146:147], v[108:109], v[156:157]
	s_waitcnt vmcnt(56)
	v_fma_f64 v[154:155], v[1:2], v[158:159], -v[153:154]
	v_mul_f64 v[140:141], v[106:107], v[156:157]
	v_add_f64 v[112:113], v[112:113], v[138:139]
	v_fma_f64 v[138:139], v[3:4], v[158:159], v[180:181]
	v_add_f64 v[5:6], v[5:6], v[134:135]
	s_clause 0x4
	buffer_load_dword v135, off, s[0:3], 0 offset:524
	buffer_load_dword v156, off, s[0:3], 0 offset:536
	;; [unrolled: 1-line block ×5, first 2 shown]
	s_waitcnt vmcnt(57) lgkmcnt(0)
	v_mul_f64 v[180:181], v[102:103], v[171:172]
	v_mul_f64 v[171:172], v[104:105], v[171:172]
	s_waitcnt vmcnt(56)
	v_fma_f64 v[146:147], v[106:107], v[148:149], -v[146:147]
	ds_read_b128 v[1:4], v162 offset:1040
	v_fma_f64 v[140:141], v[108:109], v[148:149], v[140:141]
	v_add_f64 v[112:113], v[112:113], v[154:155]
	v_add_f64 v[5:6], v[5:6], v[138:139]
	s_clause 0x2
	buffer_load_dword v157, off, s[0:3], 0 offset:540
	buffer_load_dword v139, off, s[0:3], 0 offset:516
	;; [unrolled: 1-line block ×3, first 2 shown]
	ds_read_b128 v[106:109], v162 offset:1056
	s_waitcnt vmcnt(58) lgkmcnt(1)
	v_mul_f64 v[154:155], v[3:4], v[173:174]
	s_waitcnt vmcnt(56)
	v_fma_f64 v[171:172], v[102:103], v[178:179], -v[171:172]
	v_mul_f64 v[148:149], v[1:2], v[173:174]
	v_add_f64 v[112:113], v[112:113], v[146:147]
	v_fma_f64 v[146:147], v[104:105], v[178:179], v[180:181]
	v_add_f64 v[5:6], v[5:6], v[140:141]
	s_clause 0x4
	buffer_load_dword v141, off, s[0:3], 0 offset:556
	buffer_load_dword v173, off, s[0:3], 0 offset:568
	;; [unrolled: 1-line block ×5, first 2 shown]
	s_waitcnt vmcnt(57) lgkmcnt(0)
	v_mul_f64 v[180:181], v[108:109], v[182:183]
	s_waitcnt vmcnt(56)
	v_fma_f64 v[154:155], v[1:2], v[175:176], -v[154:155]
	ds_read_b128 v[102:105], v162 offset:1072
	v_mul_f64 v[178:179], v[106:107], v[182:183]
	v_fma_f64 v[148:149], v[3:4], v[175:176], v[148:149]
	v_add_f64 v[112:113], v[112:113], v[171:172]
	v_add_f64 v[5:6], v[5:6], v[146:147]
	s_clause 0x2
	buffer_load_dword v174, off, s[0:3], 0 offset:572
	buffer_load_dword v147, off, s[0:3], 0 offset:548
	;; [unrolled: 1-line block ×3, first 2 shown]
	s_waitcnt vmcnt(58) lgkmcnt(0)
	v_mul_f64 v[175:176], v[104:105], v[184:185]
	s_waitcnt vmcnt(56)
	v_fma_f64 v[180:181], v[106:107], v[167:168], -v[180:181]
	ds_read_b128 v[1:4], v162 offset:1088
	v_mul_f64 v[171:172], v[102:103], v[184:185]
	v_add_f64 v[112:113], v[112:113], v[154:155]
	v_fma_f64 v[154:155], v[108:109], v[167:168], v[178:179]
	v_add_f64 v[5:6], v[5:6], v[148:149]
	s_clause 0x4
	buffer_load_dword v149, off, s[0:3], 0 offset:588
	buffer_load_dword v167, off, s[0:3], 0 offset:600
	;; [unrolled: 1-line block ×5, first 2 shown]
	ds_read_b128 v[106:109], v162 offset:1104
	s_waitcnt vmcnt(57) lgkmcnt(1)
	v_mul_f64 v[182:183], v[1:2], v[118:119]
	v_mul_f64 v[118:119], v[3:4], v[118:119]
	s_waitcnt vmcnt(56)
	v_fma_f64 v[175:176], v[102:103], v[186:187], -v[175:176]
	v_fma_f64 v[171:172], v[104:105], v[186:187], v[171:172]
	v_add_f64 v[112:113], v[112:113], v[180:181]
	v_add_f64 v[5:6], v[5:6], v[154:155]
	s_clause 0x2
	buffer_load_dword v168, off, s[0:3], 0 offset:604
	buffer_load_dword v155, off, s[0:3], 0 offset:580
	;; [unrolled: 1-line block ×3, first 2 shown]
	s_waitcnt vmcnt(58) lgkmcnt(0)
	v_mul_f64 v[184:185], v[106:107], v[124:125]
	v_mul_f64 v[124:125], v[108:109], v[124:125]
	ds_read_b128 v[102:105], v162 offset:1120
	s_waitcnt vmcnt(56)
	v_fma_f64 v[118:119], v[1:2], v[110:111], -v[118:119]
	v_fma_f64 v[110:111], v[3:4], v[110:111], v[182:183]
	v_add_f64 v[112:113], v[112:113], v[175:176]
	v_add_f64 v[5:6], v[5:6], v[171:172]
	s_clause 0x4
	buffer_load_dword v172, off, s[0:3], 0 offset:620
	buffer_load_dword v175, off, s[0:3], 0 offset:632
	;; [unrolled: 1-line block ×5, first 2 shown]
	ds_read_b128 v[1:4], v162 offset:1136
	s_waitcnt vmcnt(57) lgkmcnt(1)
	v_mul_f64 v[182:183], v[102:103], v[128:129]
	v_mul_f64 v[128:129], v[104:105], v[128:129]
	s_waitcnt vmcnt(56)
	v_fma_f64 v[124:125], v[106:107], v[169:170], -v[124:125]
	v_add_f64 v[112:113], v[112:113], v[118:119]
	v_fma_f64 v[118:119], v[108:109], v[169:170], v[184:185]
	v_add_f64 v[5:6], v[5:6], v[110:111]
	s_clause 0x2
	buffer_load_dword v176, off, s[0:3], 0 offset:636
	buffer_load_dword v111, off, s[0:3], 0 offset:612
	;; [unrolled: 1-line block ×3, first 2 shown]
	ds_read_b128 v[106:109], v162 offset:1152
	s_waitcnt vmcnt(58) lgkmcnt(1)
	v_mul_f64 v[169:170], v[1:2], v[163:164]
	v_mul_f64 v[163:164], v[3:4], v[163:164]
	s_waitcnt vmcnt(56)
	v_fma_f64 v[128:129], v[102:103], v[116:117], -v[128:129]
	v_fma_f64 v[116:117], v[104:105], v[116:117], v[182:183]
	v_add_f64 v[112:113], v[112:113], v[124:125]
	v_add_f64 v[5:6], v[5:6], v[118:119]
	s_clause 0x4
	buffer_load_dword v119, off, s[0:3], 0 offset:652
	buffer_load_dword v124, off, s[0:3], 0 offset:664
	;; [unrolled: 1-line block ×5, first 2 shown]
	ds_read_b128 v[102:105], v162 offset:1168
	s_waitcnt vmcnt(57) lgkmcnt(1)
	v_mul_f64 v[184:185], v[106:107], v[114:115]
	v_mul_f64 v[114:115], v[108:109], v[114:115]
	s_waitcnt vmcnt(56)
	v_fma_f64 v[163:164], v[1:2], v[165:166], -v[163:164]
	v_add_f64 v[112:113], v[112:113], v[128:129]
	v_fma_f64 v[128:129], v[3:4], v[165:166], v[169:170]
	v_add_f64 v[5:6], v[5:6], v[116:117]
	s_clause 0x2
	buffer_load_dword v125, off, s[0:3], 0 offset:668
	buffer_load_dword v117, off, s[0:3], 0 offset:644
	buffer_load_dword v116, off, s[0:3], 0 offset:640
	s_waitcnt vmcnt(58) lgkmcnt(0)
	v_mul_f64 v[165:166], v[102:103], v[136:137]
	v_mul_f64 v[136:137], v[104:105], v[136:137]
	ds_read_b128 v[1:4], v162 offset:1184
	s_waitcnt vmcnt(56)
	v_fma_f64 v[114:115], v[106:107], v[122:123], -v[114:115]
	v_fma_f64 v[122:123], v[108:109], v[122:123], v[184:185]
	v_add_f64 v[112:113], v[112:113], v[163:164]
	v_add_f64 v[5:6], v[5:6], v[128:129]
	s_clause 0x4
	buffer_load_dword v129, off, s[0:3], 0 offset:684
	buffer_load_dword v163, off, s[0:3], 0 offset:696
	;; [unrolled: 1-line block ×5, first 2 shown]
	ds_read_b128 v[106:109], v162 offset:1200
	s_waitcnt vmcnt(57) lgkmcnt(1)
	v_mul_f64 v[185:186], v[1:2], v[120:121]
	v_mul_f64 v[120:121], v[3:4], v[120:121]
	s_waitcnt vmcnt(56)
	v_fma_f64 v[136:137], v[102:103], v[160:161], -v[136:137]
	v_add_f64 v[112:113], v[112:113], v[114:115]
	v_fma_f64 v[114:115], v[104:105], v[160:161], v[165:166]
	v_add_f64 v[5:6], v[5:6], v[122:123]
	s_clause 0x2
	buffer_load_dword v164, off, s[0:3], 0 offset:700
	buffer_load_dword v123, off, s[0:3], 0 offset:676
	;; [unrolled: 1-line block ×3, first 2 shown]
	s_waitcnt vmcnt(58) lgkmcnt(0)
	v_mul_f64 v[160:161], v[106:107], v[142:143]
	v_mul_f64 v[142:143], v[108:109], v[142:143]
	ds_read_b128 v[102:105], v162 offset:1216
	s_waitcnt vmcnt(56)
	v_fma_f64 v[120:121], v[1:2], v[132:133], -v[120:121]
	v_fma_f64 v[132:133], v[3:4], v[132:133], v[185:186]
	v_add_f64 v[112:113], v[112:113], v[136:137]
	v_add_f64 v[5:6], v[5:6], v[114:115]
	s_clause 0x4
	buffer_load_dword v115, off, s[0:3], 0 offset:716
	buffer_load_dword v136, off, s[0:3], 0 offset:728
	;; [unrolled: 1-line block ×5, first 2 shown]
	ds_read_b128 v[1:4], v162 offset:1232
	s_waitcnt vmcnt(57) lgkmcnt(1)
	v_mul_f64 v[185:186], v[102:103], v[126:127]
	v_mul_f64 v[126:127], v[104:105], v[126:127]
	s_waitcnt vmcnt(56)
	v_fma_f64 v[142:143], v[106:107], v[144:145], -v[142:143]
	v_add_f64 v[112:113], v[112:113], v[120:121]
	v_fma_f64 v[120:121], v[108:109], v[144:145], v[160:161]
	v_add_f64 v[5:6], v[5:6], v[132:133]
	s_clause 0x2
	buffer_load_dword v137, off, s[0:3], 0 offset:732
	buffer_load_dword v133, off, s[0:3], 0 offset:708
	;; [unrolled: 1-line block ×3, first 2 shown]
	ds_read_b128 v[106:109], v162 offset:1248
	s_waitcnt vmcnt(58) lgkmcnt(1)
	v_mul_f64 v[144:145], v[1:2], v[150:151]
	v_mul_f64 v[150:151], v[3:4], v[150:151]
	s_waitcnt vmcnt(56)
	v_fma_f64 v[126:127], v[102:103], v[130:131], -v[126:127]
	v_fma_f64 v[130:131], v[104:105], v[130:131], v[185:186]
	v_add_f64 v[112:113], v[112:113], v[142:143]
	v_add_f64 v[5:6], v[5:6], v[120:121]
	s_clause 0x4
	buffer_load_dword v121, off, s[0:3], 0 offset:748
	buffer_load_dword v142, off, s[0:3], 0 offset:760
	;; [unrolled: 1-line block ×5, first 2 shown]
	ds_read_b128 v[102:105], v162 offset:1264
	s_waitcnt vmcnt(57) lgkmcnt(1)
	v_mul_f64 v[185:186], v[106:107], v[134:135]
	v_mul_f64 v[134:135], v[108:109], v[134:135]
	s_waitcnt vmcnt(56)
	v_fma_f64 v[150:151], v[1:2], v[152:153], -v[150:151]
	v_add_f64 v[112:113], v[112:113], v[126:127]
	v_fma_f64 v[126:127], v[3:4], v[152:153], v[144:145]
	v_add_f64 v[5:6], v[5:6], v[130:131]
	s_clause 0x2
	buffer_load_dword v143, off, s[0:3], 0 offset:764
	buffer_load_dword v131, off, s[0:3], 0 offset:740
	;; [unrolled: 1-line block ×3, first 2 shown]
	ds_read_b128 v[1:4], v162 offset:1280
	buffer_load_dword v161, off, s[0:3], 0 offset:756
	s_waitcnt vmcnt(59) lgkmcnt(1)
	v_mul_f64 v[152:153], v[104:105], v[156:157]
	v_mul_f64 v[144:145], v[102:103], v[156:157]
	s_waitcnt vmcnt(57)
	v_fma_f64 v[134:135], v[106:107], v[138:139], -v[134:135]
	v_fma_f64 v[138:139], v[108:109], v[138:139], v[185:186]
	ds_read_b128 v[106:109], v162 offset:1296
	v_add_f64 v[112:113], v[112:113], v[150:151]
	v_add_f64 v[5:6], v[5:6], v[126:127]
	s_waitcnt vmcnt(53) lgkmcnt(1)
	v_mul_f64 v[126:127], v[1:2], v[140:141]
	v_mul_f64 v[140:141], v[3:4], v[140:141]
	s_waitcnt vmcnt(52)
	v_fma_f64 v[150:151], v[102:103], v[158:159], -v[152:153]
	v_add_f64 v[112:113], v[112:113], v[134:135]
	v_fma_f64 v[134:135], v[104:105], v[158:159], v[144:145]
	v_add_f64 v[5:6], v[5:6], v[138:139]
	ds_read_b128 v[102:105], v162 offset:1312
	s_waitcnt vmcnt(51) lgkmcnt(1)
	v_mul_f64 v[144:145], v[108:109], v[173:174]
	v_mul_f64 v[138:139], v[106:107], v[173:174]
	s_waitcnt vmcnt(49)
	v_fma_f64 v[140:141], v[1:2], v[146:147], -v[140:141]
	v_fma_f64 v[126:127], v[3:4], v[146:147], v[126:127]
	v_add_f64 v[112:113], v[112:113], v[150:151]
	v_add_f64 v[5:6], v[5:6], v[134:135]
	s_clause 0x3
	buffer_load_dword v134, off, s[0:3], 0 offset:32
	buffer_load_dword v135, off, s[0:3], 0 offset:36
	;; [unrolled: 1-line block ×4, first 2 shown]
	ds_read_b128 v[1:4], v162 offset:1328
	s_waitcnt vmcnt(49) lgkmcnt(1)
	v_mul_f64 v[150:151], v[102:103], v[148:149]
	v_mul_f64 v[148:149], v[104:105], v[148:149]
	s_waitcnt vmcnt(48)
	v_fma_f64 v[144:145], v[106:107], v[177:178], -v[144:145]
	v_fma_f64 v[138:139], v[108:109], v[177:178], v[138:139]
	ds_read_b128 v[106:109], v162 offset:1344
	v_add_f64 v[112:113], v[112:113], v[140:141]
	v_add_f64 v[5:6], v[5:6], v[126:127]
	s_waitcnt vmcnt(47) lgkmcnt(1)
	v_mul_f64 v[140:141], v[3:4], v[167:168]
	v_mul_f64 v[126:127], v[1:2], v[167:168]
	s_waitcnt vmcnt(45)
	v_fma_f64 v[148:149], v[102:103], v[154:155], -v[148:149]
	v_add_f64 v[112:113], v[112:113], v[144:145]
	v_fma_f64 v[144:145], v[104:105], v[154:155], v[150:151]
	v_add_f64 v[5:6], v[5:6], v[138:139]
	ds_read_b128 v[102:105], v162 offset:1360
	s_waitcnt vmcnt(41) lgkmcnt(1)
	v_mul_f64 v[150:151], v[108:109], v[171:172]
	s_waitcnt vmcnt(40)
	v_fma_f64 v[140:141], v[1:2], v[179:180], -v[140:141]
	v_mul_f64 v[138:139], v[106:107], v[171:172]
	v_fma_f64 v[126:127], v[3:4], v[179:180], v[126:127]
	ds_read_b128 v[1:4], v162 offset:1376
	v_add_f64 v[112:113], v[112:113], v[148:149]
	v_add_f64 v[5:6], v[5:6], v[144:145]
	s_waitcnt vmcnt(39) lgkmcnt(1)
	v_mul_f64 v[148:149], v[104:105], v[175:176]
	v_mul_f64 v[144:145], v[102:103], v[175:176]
	s_waitcnt vmcnt(37)
	v_fma_f64 v[150:151], v[106:107], v[110:111], -v[150:151]
	v_fma_f64 v[110:111], v[108:109], v[110:111], v[138:139]
	ds_read_b128 v[106:109], v162 offset:1392
	v_add_f64 v[112:113], v[112:113], v[140:141]
	v_add_f64 v[5:6], v[5:6], v[126:127]
	s_waitcnt vmcnt(33) lgkmcnt(1)
	v_mul_f64 v[126:127], v[1:2], v[118:119]
	v_mul_f64 v[118:119], v[3:4], v[118:119]
	s_waitcnt vmcnt(32)
	v_fma_f64 v[138:139], v[102:103], v[181:182], -v[148:149]
	;; [unrolled: 9-line block ×7, first 2 shown]
	v_fma_f64 v[110:111], v[108:109], v[132:133], v[110:111]
	ds_read_b128 v[106:109], v162 offset:1488
	v_add_f64 v[112:113], v[112:113], v[118:119]
	v_add_f64 v[5:6], v[5:6], v[116:117]
	s_waitcnt vmcnt(9) lgkmcnt(1)
	v_mul_f64 v[118:119], v[3:4], v[120:121]
	s_waitcnt vmcnt(8)
	v_fma_f64 v[102:103], v[102:103], v[165:166], -v[124:125]
	v_mul_f64 v[116:117], v[1:2], v[120:121]
	v_fma_f64 v[104:105], v[104:105], v[165:166], v[122:123]
	v_add_f64 v[112:113], v[112:113], v[114:115]
	v_add_f64 v[5:6], v[5:6], v[110:111]
	s_waitcnt vmcnt(7) lgkmcnt(0)
	v_mul_f64 v[114:115], v[108:109], v[142:143]
	v_mul_f64 v[110:111], v[106:107], v[142:143]
	s_waitcnt vmcnt(5)
	v_fma_f64 v[1:2], v[1:2], v[130:131], -v[118:119]
	v_fma_f64 v[3:4], v[3:4], v[130:131], v[116:117]
	v_add_f64 v[102:103], v[112:113], v[102:103]
	v_add_f64 v[5:6], v[5:6], v[104:105]
	s_waitcnt vmcnt(4)
	v_fma_f64 v[104:105], v[106:107], v[160:161], -v[114:115]
	v_add_f64 v[1:2], v[102:103], v[1:2]
	v_fma_f64 v[102:103], v[108:109], v[160:161], v[110:111]
	v_add_f64 v[3:4], v[5:6], v[3:4]
	v_add_f64 v[1:2], v[1:2], v[104:105]
	;; [unrolled: 1-line block ×3, first 2 shown]
	s_waitcnt vmcnt(2)
	v_add_f64 v[1:2], v[134:135], -v[1:2]
	s_waitcnt vmcnt(0)
	v_add_f64 v[3:4], v[146:147], -v[3:4]
	buffer_store_dword v2, off, s[0:3], 0 offset:36
	buffer_store_dword v1, off, s[0:3], 0 offset:32
	;; [unrolled: 1-line block ×4, first 2 shown]
	v_cmpx_ne_u32_e32 0, v0
	s_cbranch_execz .LBB110_295
; %bb.294:
	s_clause 0x3
	buffer_load_dword v0, off, s[0:3], 0 offset:16
	buffer_load_dword v1, off, s[0:3], 0 offset:20
	;; [unrolled: 1-line block ×4, first 2 shown]
	buffer_store_dword v162, off, s[0:3], 0 offset:16
	buffer_store_dword v162, off, s[0:3], 0 offset:20
	buffer_store_dword v162, off, s[0:3], 0 offset:24
	buffer_store_dword v162, off, s[0:3], 0 offset:28
	s_waitcnt vmcnt(0)
	ds_write_b128 v7, v[0:3]
.LBB110_295:
	s_or_b32 exec_lo, exec_lo, s4
	s_waitcnt lgkmcnt(0)
	s_waitcnt_vscnt null, 0x0
	s_barrier
	buffer_gl0_inv
	s_clause 0x37
	buffer_load_dword v110, off, s[0:3], 0 offset:40
	buffer_load_dword v111, off, s[0:3], 0 offset:44
	;; [unrolled: 1-line block ×56, first 2 shown]
	ds_read_b128 v[4:7], v162 offset:768
	s_clause 0x2
	buffer_load_dword v159, off, s[0:3], 0 offset:268
	buffer_load_dword v161, off, s[0:3], 0 offset:244
	;; [unrolled: 1-line block ×3, first 2 shown]
	ds_read_b128 v[0:3], v162 offset:784
	s_clause 0x4
	buffer_load_dword v170, off, s[0:3], 0 offset:284
	buffer_load_dword v171, off, s[0:3], 0 offset:296
	;; [unrolled: 1-line block ×5, first 2 shown]
	ds_read_b128 v[163:166], v162 offset:800
	s_and_b32 vcc_lo, exec_lo, s59
	s_waitcnt vmcnt(62) lgkmcnt(2)
	v_mul_f64 v[167:168], v[6:7], v[110:111]
	v_mul_f64 v[110:111], v[4:5], v[110:111]
	s_waitcnt vmcnt(60) lgkmcnt(1)
	v_mul_f64 v[174:175], v[2:3], v[106:107]
	v_mul_f64 v[106:107], v[0:1], v[106:107]
	;; [unrolled: 3-line block ×3, first 2 shown]
	v_fma_f64 v[167:168], v[4:5], v[108:109], -v[167:168]
	v_fma_f64 v[108:109], v[6:7], v[108:109], v[110:111]
	s_clause 0x2
	buffer_load_dword v172, off, s[0:3], 0 offset:300
	buffer_load_dword v111, off, s[0:3], 0 offset:276
	;; [unrolled: 1-line block ×3, first 2 shown]
	s_waitcnt vmcnt(57)
	v_fma_f64 v[178:179], v[0:1], v[102:103], -v[174:175]
	ds_read_b128 v[4:7], v162 offset:816
	v_fma_f64 v[102:103], v[2:3], v[102:103], v[106:107]
	s_waitcnt vmcnt(51)
	v_fma_f64 v[163:164], v[163:164], v[126:127], -v[104:105]
	v_fma_f64 v[126:127], v[165:166], v[126:127], v[176:177]
	v_add_f64 v[167:168], v[167:168], 0
	v_add_f64 v[106:107], v[108:109], 0
	s_clause 0x4
	buffer_load_dword v109, off, s[0:3], 0 offset:316
	buffer_load_dword v175, off, s[0:3], 0 offset:328
	;; [unrolled: 1-line block ×5, first 2 shown]
	s_waitcnt lgkmcnt(0)
	v_mul_f64 v[181:182], v[4:5], v[114:115]
	v_mul_f64 v[114:115], v[6:7], v[114:115]
	ds_read_b128 v[0:3], v162 offset:832
	s_clause 0x2
	buffer_load_dword v176, off, s[0:3], 0 offset:332
	buffer_load_dword v166, off, s[0:3], 0 offset:308
	;; [unrolled: 1-line block ×3, first 2 shown]
	v_add_f64 v[167:168], v[167:168], v[178:179]
	v_add_f64 v[106:107], v[106:107], v[102:103]
	ds_read_b128 v[102:105], v162 offset:848
	s_waitcnt vmcnt(58) lgkmcnt(1)
	v_mul_f64 v[177:178], v[0:1], v[118:119]
	v_mul_f64 v[118:119], v[2:3], v[118:119]
	s_waitcnt vmcnt(56)
	v_fma_f64 v[114:115], v[4:5], v[120:121], -v[114:115]
	v_fma_f64 v[120:121], v[6:7], v[120:121], v[181:182]
	s_waitcnt vmcnt(52) lgkmcnt(0)
	v_mul_f64 v[183:184], v[102:103], v[122:123]
	v_add_f64 v[163:164], v[167:168], v[163:164]
	v_add_f64 v[106:107], v[106:107], v[126:127]
	s_clause 0x4
	buffer_load_dword v127, off, s[0:3], 0 offset:348
	buffer_load_dword v167, off, s[0:3], 0 offset:360
	;; [unrolled: 1-line block ×5, first 2 shown]
	v_mul_f64 v[122:123], v[104:105], v[122:123]
	s_waitcnt vmcnt(56)
	v_fma_f64 v[118:119], v[0:1], v[112:113], -v[118:119]
	ds_read_b128 v[4:7], v162 offset:864
	v_fma_f64 v[112:113], v[2:3], v[112:113], v[177:178]
	v_add_f64 v[114:115], v[163:164], v[114:115]
	v_add_f64 v[106:107], v[106:107], v[120:121]
	s_clause 0x2
	buffer_load_dword v168, off, s[0:3], 0 offset:364
	buffer_load_dword v121, off, s[0:3], 0 offset:340
	;; [unrolled: 1-line block ×3, first 2 shown]
	s_waitcnt vmcnt(58) lgkmcnt(0)
	v_mul_f64 v[163:164], v[4:5], v[128:129]
	v_mul_f64 v[128:129], v[6:7], v[128:129]
	s_waitcnt vmcnt(56)
	v_fma_f64 v[122:123], v[102:103], v[130:131], -v[122:123]
	ds_read_b128 v[0:3], v162 offset:880
	v_add_f64 v[114:115], v[114:115], v[118:119]
	v_fma_f64 v[118:119], v[104:105], v[130:131], v[183:184]
	v_add_f64 v[106:107], v[106:107], v[112:113]
	s_clause 0x4
	buffer_load_dword v113, off, s[0:3], 0 offset:380
	buffer_load_dword v130, off, s[0:3], 0 offset:392
	;; [unrolled: 1-line block ×5, first 2 shown]
	s_waitcnt vmcnt(57) lgkmcnt(0)
	v_mul_f64 v[178:179], v[0:1], v[132:133]
	v_mul_f64 v[132:133], v[2:3], v[132:133]
	s_waitcnt vmcnt(56)
	v_fma_f64 v[128:129], v[4:5], v[116:117], -v[128:129]
	ds_read_b128 v[102:105], v162 offset:896
	v_fma_f64 v[116:117], v[6:7], v[116:117], v[163:164]
	v_add_f64 v[114:115], v[114:115], v[122:123]
	v_add_f64 v[106:107], v[106:107], v[118:119]
	s_clause 0x2
	buffer_load_dword v131, off, s[0:3], 0 offset:396
	buffer_load_dword v119, off, s[0:3], 0 offset:372
	;; [unrolled: 1-line block ×3, first 2 shown]
	ds_read_b128 v[4:7], v162 offset:912
	s_waitcnt vmcnt(58) lgkmcnt(1)
	v_mul_f64 v[122:123], v[102:103], v[136:137]
	v_mul_f64 v[136:137], v[104:105], v[136:137]
	s_waitcnt vmcnt(56)
	v_fma_f64 v[132:133], v[0:1], v[138:139], -v[132:133]
	v_add_f64 v[114:115], v[114:115], v[128:129]
	v_fma_f64 v[128:129], v[2:3], v[138:139], v[178:179]
	v_add_f64 v[106:107], v[106:107], v[116:117]
	s_clause 0x4
	buffer_load_dword v117, off, s[0:3], 0 offset:412
	buffer_load_dword v138, off, s[0:3], 0 offset:424
	buffer_load_dword v163, off, s[0:3], 0 offset:416
	buffer_load_dword v116, off, s[0:3], 0 offset:408
	buffer_load_dword v178, off, s[0:3], 0 offset:388
	s_waitcnt vmcnt(57) lgkmcnt(0)
	v_mul_f64 v[184:185], v[4:5], v[140:141]
	v_mul_f64 v[140:141], v[6:7], v[140:141]
	s_waitcnt vmcnt(56)
	v_fma_f64 v[136:137], v[102:103], v[124:125], -v[136:137]
	ds_read_b128 v[0:3], v162 offset:928
	v_fma_f64 v[122:123], v[104:105], v[124:125], v[122:123]
	s_clause 0x2
	buffer_load_dword v139, off, s[0:3], 0 offset:428
	buffer_load_dword v125, off, s[0:3], 0 offset:404
	;; [unrolled: 1-line block ×3, first 2 shown]
	ds_read_b128 v[102:105], v162 offset:944
	v_add_f64 v[114:115], v[114:115], v[132:133]
	v_add_f64 v[106:107], v[106:107], v[128:129]
	s_waitcnt vmcnt(58) lgkmcnt(1)
	v_mul_f64 v[132:133], v[2:3], v[144:145]
	s_waitcnt vmcnt(56)
	v_fma_f64 v[140:141], v[4:5], v[146:147], -v[140:141]
	v_mul_f64 v[128:129], v[0:1], v[144:145]
	v_add_f64 v[114:115], v[114:115], v[136:137]
	v_fma_f64 v[136:137], v[6:7], v[146:147], v[184:185]
	v_add_f64 v[106:107], v[106:107], v[122:123]
	s_clause 0x4
	buffer_load_dword v123, off, s[0:3], 0 offset:444
	buffer_load_dword v144, off, s[0:3], 0 offset:456
	;; [unrolled: 1-line block ×5, first 2 shown]
	s_waitcnt vmcnt(57) lgkmcnt(0)
	v_mul_f64 v[184:185], v[102:103], v[148:149]
	v_mul_f64 v[147:148], v[104:105], v[148:149]
	s_waitcnt vmcnt(56)
	v_fma_f64 v[132:133], v[0:1], v[134:135], -v[132:133]
	ds_read_b128 v[4:7], v162 offset:960
	v_fma_f64 v[128:129], v[2:3], v[134:135], v[128:129]
	s_clause 0x2
	buffer_load_dword v145, off, s[0:3], 0 offset:460
	buffer_load_dword v135, off, s[0:3], 0 offset:436
	;; [unrolled: 1-line block ×3, first 2 shown]
	ds_read_b128 v[0:3], v162 offset:976
	v_add_f64 v[114:115], v[114:115], v[140:141]
	v_add_f64 v[106:107], v[106:107], v[136:137]
	s_waitcnt vmcnt(58) lgkmcnt(1)
	v_mul_f64 v[140:141], v[6:7], v[152:153]
	s_waitcnt vmcnt(56)
	v_fma_f64 v[148:149], v[102:103], v[154:155], -v[147:148]
	v_mul_f64 v[136:137], v[4:5], v[152:153]
	v_add_f64 v[114:115], v[114:115], v[132:133]
	v_fma_f64 v[132:133], v[104:105], v[154:155], v[184:185]
	v_add_f64 v[106:107], v[106:107], v[128:129]
	s_clause 0x4
	buffer_load_dword v129, off, s[0:3], 0 offset:476
	buffer_load_dword v152, off, s[0:3], 0 offset:488
	;; [unrolled: 1-line block ×5, first 2 shown]
	s_waitcnt vmcnt(57) lgkmcnt(0)
	v_mul_f64 v[184:185], v[0:1], v[156:157]
	v_mul_f64 v[155:156], v[2:3], v[156:157]
	s_waitcnt vmcnt(56)
	v_fma_f64 v[140:141], v[4:5], v[142:143], -v[140:141]
	ds_read_b128 v[102:105], v162 offset:992
	v_fma_f64 v[136:137], v[6:7], v[142:143], v[136:137]
	v_add_f64 v[114:115], v[114:115], v[148:149]
	v_add_f64 v[106:107], v[106:107], v[132:133]
	s_clause 0x2
	buffer_load_dword v153, off, s[0:3], 0 offset:492
	buffer_load_dword v133, off, s[0:3], 0 offset:468
	;; [unrolled: 1-line block ×3, first 2 shown]
	ds_read_b128 v[4:7], v162 offset:1008
	s_waitcnt vmcnt(58) lgkmcnt(1)
	v_mul_f64 v[148:149], v[104:105], v[158:159]
	s_waitcnt vmcnt(56)
	v_fma_f64 v[156:157], v[0:1], v[160:161], -v[155:156]
	v_mul_f64 v[142:143], v[102:103], v[158:159]
	v_add_f64 v[114:115], v[114:115], v[140:141]
	v_fma_f64 v[140:141], v[2:3], v[160:161], v[184:185]
	v_add_f64 v[106:107], v[106:107], v[136:137]
	s_clause 0x4
	buffer_load_dword v137, off, s[0:3], 0 offset:508
	buffer_load_dword v158, off, s[0:3], 0 offset:520
	;; [unrolled: 1-line block ×5, first 2 shown]
	s_waitcnt vmcnt(57) lgkmcnt(0)
	v_mul_f64 v[184:185], v[4:5], v[169:170]
	v_mul_f64 v[169:170], v[6:7], v[169:170]
	s_waitcnt vmcnt(56)
	v_fma_f64 v[148:149], v[102:103], v[150:151], -v[148:149]
	ds_read_b128 v[0:3], v162 offset:1024
	v_fma_f64 v[142:143], v[104:105], v[150:151], v[142:143]
	v_add_f64 v[114:115], v[114:115], v[156:157]
	v_add_f64 v[106:107], v[106:107], v[140:141]
	s_clause 0x2
	buffer_load_dword v159, off, s[0:3], 0 offset:524
	buffer_load_dword v141, off, s[0:3], 0 offset:500
	;; [unrolled: 1-line block ×3, first 2 shown]
	ds_read_b128 v[102:105], v162 offset:1040
	s_waitcnt vmcnt(58) lgkmcnt(1)
	v_mul_f64 v[156:157], v[2:3], v[171:172]
	v_mul_f64 v[150:151], v[0:1], v[171:172]
	s_waitcnt vmcnt(56)
	v_fma_f64 v[169:170], v[4:5], v[110:111], -v[169:170]
	v_fma_f64 v[110:111], v[6:7], v[110:111], v[184:185]
	v_add_f64 v[114:115], v[114:115], v[148:149]
	v_add_f64 v[106:107], v[106:107], v[142:143]
	s_clause 0x4
	buffer_load_dword v143, off, s[0:3], 0 offset:540
	buffer_load_dword v148, off, s[0:3], 0 offset:552
	;; [unrolled: 1-line block ×5, first 2 shown]
	ds_read_b128 v[4:7], v162 offset:1056
	s_waitcnt vmcnt(57) lgkmcnt(1)
	v_mul_f64 v[184:185], v[102:103], v[108:109]
	v_mul_f64 v[108:109], v[104:105], v[108:109]
	s_waitcnt vmcnt(56)
	v_fma_f64 v[156:157], v[0:1], v[173:174], -v[156:157]
	v_fma_f64 v[150:151], v[2:3], v[173:174], v[150:151]
	v_add_f64 v[114:115], v[114:115], v[169:170]
	v_add_f64 v[106:107], v[106:107], v[110:111]
	s_clause 0x2
	buffer_load_dword v149, off, s[0:3], 0 offset:556
	buffer_load_dword v111, off, s[0:3], 0 offset:532
	;; [unrolled: 1-line block ×3, first 2 shown]
	s_waitcnt vmcnt(58) lgkmcnt(0)
	v_mul_f64 v[173:174], v[6:7], v[175:176]
	ds_read_b128 v[0:3], v162 offset:1072
	v_mul_f64 v[169:170], v[4:5], v[175:176]
	s_waitcnt vmcnt(56)
	v_fma_f64 v[108:109], v[102:103], v[165:166], -v[108:109]
	v_add_f64 v[114:115], v[114:115], v[156:157]
	v_fma_f64 v[156:157], v[104:105], v[165:166], v[184:185]
	v_add_f64 v[106:107], v[106:107], v[150:151]
	s_clause 0x4
	buffer_load_dword v151, off, s[0:3], 0 offset:572
	buffer_load_dword v165, off, s[0:3], 0 offset:584
	;; [unrolled: 1-line block ×5, first 2 shown]
	ds_read_b128 v[102:105], v162 offset:1088
	s_waitcnt vmcnt(57) lgkmcnt(1)
	v_mul_f64 v[184:185], v[0:1], v[126:127]
	v_mul_f64 v[126:127], v[2:3], v[126:127]
	s_waitcnt vmcnt(56)
	v_fma_f64 v[173:174], v[4:5], v[180:181], -v[173:174]
	v_add_f64 v[108:109], v[114:115], v[108:109]
	v_fma_f64 v[114:115], v[6:7], v[180:181], v[169:170]
	v_add_f64 v[106:107], v[106:107], v[156:157]
	s_clause 0x2
	buffer_load_dword v166, off, s[0:3], 0 offset:588
	buffer_load_dword v157, off, s[0:3], 0 offset:564
	;; [unrolled: 1-line block ×3, first 2 shown]
	ds_read_b128 v[4:7], v162 offset:1104
	s_waitcnt vmcnt(58) lgkmcnt(1)
	v_mul_f64 v[169:170], v[102:103], v[167:168]
	v_mul_f64 v[167:168], v[104:105], v[167:168]
	s_waitcnt vmcnt(56)
	v_fma_f64 v[126:127], v[0:1], v[120:121], -v[126:127]
	v_fma_f64 v[120:121], v[2:3], v[120:121], v[184:185]
	v_add_f64 v[108:109], v[108:109], v[173:174]
	v_add_f64 v[106:107], v[106:107], v[114:115]
	s_clause 0x4
	buffer_load_dword v115, off, s[0:3], 0 offset:604
	buffer_load_dword v173, off, s[0:3], 0 offset:616
	;; [unrolled: 1-line block ×5, first 2 shown]
	ds_read_b128 v[0:3], v162 offset:1120
	s_waitcnt vmcnt(57) lgkmcnt(1)
	v_mul_f64 v[180:181], v[4:5], v[112:113]
	v_mul_f64 v[112:113], v[6:7], v[112:113]
	s_waitcnt vmcnt(56)
	v_fma_f64 v[167:168], v[102:103], v[182:183], -v[167:168]
	v_add_f64 v[108:109], v[108:109], v[126:127]
	v_fma_f64 v[126:127], v[104:105], v[182:183], v[169:170]
	v_add_f64 v[106:107], v[106:107], v[120:121]
	s_clause 0x2
	buffer_load_dword v174, off, s[0:3], 0 offset:620
	buffer_load_dword v121, off, s[0:3], 0 offset:596
	;; [unrolled: 1-line block ×3, first 2 shown]
	ds_read_b128 v[102:105], v162 offset:1136
	s_waitcnt vmcnt(58) lgkmcnt(1)
	v_mul_f64 v[169:170], v[0:1], v[130:131]
	v_mul_f64 v[130:131], v[2:3], v[130:131]
	s_waitcnt vmcnt(56)
	v_fma_f64 v[112:113], v[4:5], v[118:119], -v[112:113]
	v_fma_f64 v[118:119], v[6:7], v[118:119], v[180:181]
	v_add_f64 v[108:109], v[108:109], v[167:168]
	v_add_f64 v[106:107], v[106:107], v[126:127]
	s_clause 0x4
	buffer_load_dword v127, off, s[0:3], 0 offset:636
	buffer_load_dword v167, off, s[0:3], 0 offset:648
	;; [unrolled: 1-line block ×5, first 2 shown]
	ds_read_b128 v[4:7], v162 offset:1152
	s_waitcnt vmcnt(57) lgkmcnt(1)
	v_mul_f64 v[182:183], v[102:103], v[116:117]
	v_mul_f64 v[116:117], v[104:105], v[116:117]
	s_waitcnt vmcnt(56)
	v_fma_f64 v[130:131], v[0:1], v[177:178], -v[130:131]
	v_add_f64 v[108:109], v[108:109], v[112:113]
	v_fma_f64 v[112:113], v[2:3], v[177:178], v[169:170]
	v_add_f64 v[106:107], v[106:107], v[118:119]
	s_clause 0x2
	buffer_load_dword v168, off, s[0:3], 0 offset:652
	buffer_load_dword v119, off, s[0:3], 0 offset:628
	;; [unrolled: 1-line block ×3, first 2 shown]
	s_waitcnt vmcnt(58) lgkmcnt(0)
	v_mul_f64 v[169:170], v[4:5], v[138:139]
	v_mul_f64 v[138:139], v[6:7], v[138:139]
	ds_read_b128 v[0:3], v162 offset:1168
	s_waitcnt vmcnt(56)
	v_fma_f64 v[116:117], v[102:103], v[124:125], -v[116:117]
	v_fma_f64 v[124:125], v[104:105], v[124:125], v[182:183]
	v_add_f64 v[108:109], v[108:109], v[130:131]
	v_add_f64 v[106:107], v[106:107], v[112:113]
	s_clause 0x4
	buffer_load_dword v113, off, s[0:3], 0 offset:668
	buffer_load_dword v130, off, s[0:3], 0 offset:680
	buffer_load_dword v177, off, s[0:3], 0 offset:672
	buffer_load_dword v112, off, s[0:3], 0 offset:664
	buffer_load_dword v182, off, s[0:3], 0 offset:644
	ds_read_b128 v[102:105], v162 offset:1184
	s_waitcnt vmcnt(57) lgkmcnt(1)
	v_mul_f64 v[183:184], v[0:1], v[122:123]
	v_mul_f64 v[122:123], v[2:3], v[122:123]
	s_waitcnt vmcnt(56)
	v_fma_f64 v[138:139], v[4:5], v[163:164], -v[138:139]
	v_add_f64 v[108:109], v[108:109], v[116:117]
	v_fma_f64 v[116:117], v[6:7], v[163:164], v[169:170]
	v_add_f64 v[106:107], v[106:107], v[124:125]
	s_clause 0x2
	buffer_load_dword v131, off, s[0:3], 0 offset:684
	buffer_load_dword v125, off, s[0:3], 0 offset:660
	;; [unrolled: 1-line block ×3, first 2 shown]
	s_waitcnt vmcnt(58) lgkmcnt(0)
	v_mul_f64 v[163:164], v[102:103], v[144:145]
	v_mul_f64 v[144:145], v[104:105], v[144:145]
	ds_read_b128 v[4:7], v162 offset:1200
	s_waitcnt vmcnt(56)
	v_fma_f64 v[122:123], v[0:1], v[134:135], -v[122:123]
	v_fma_f64 v[134:135], v[2:3], v[134:135], v[183:184]
	v_add_f64 v[108:109], v[108:109], v[138:139]
	v_add_f64 v[106:107], v[106:107], v[116:117]
	s_clause 0x4
	buffer_load_dword v117, off, s[0:3], 0 offset:700
	buffer_load_dword v138, off, s[0:3], 0 offset:712
	;; [unrolled: 1-line block ×5, first 2 shown]
	ds_read_b128 v[0:3], v162 offset:1216
	s_waitcnt vmcnt(57) lgkmcnt(1)
	v_mul_f64 v[183:184], v[4:5], v[128:129]
	v_mul_f64 v[128:129], v[6:7], v[128:129]
	s_waitcnt vmcnt(56)
	v_fma_f64 v[144:145], v[102:103], v[146:147], -v[144:145]
	v_add_f64 v[108:109], v[108:109], v[122:123]
	v_fma_f64 v[122:123], v[104:105], v[146:147], v[163:164]
	v_add_f64 v[106:107], v[106:107], v[134:135]
	s_clause 0x2
	buffer_load_dword v139, off, s[0:3], 0 offset:716
	buffer_load_dword v135, off, s[0:3], 0 offset:692
	;; [unrolled: 1-line block ×3, first 2 shown]
	ds_read_b128 v[102:105], v162 offset:1232
	s_waitcnt vmcnt(58) lgkmcnt(1)
	v_mul_f64 v[146:147], v[0:1], v[152:153]
	v_mul_f64 v[152:153], v[2:3], v[152:153]
	s_waitcnt vmcnt(56)
	v_fma_f64 v[128:129], v[4:5], v[132:133], -v[128:129]
	v_fma_f64 v[132:133], v[6:7], v[132:133], v[183:184]
	v_add_f64 v[108:109], v[108:109], v[144:145]
	v_add_f64 v[106:107], v[106:107], v[122:123]
	s_clause 0x4
	buffer_load_dword v123, off, s[0:3], 0 offset:732
	buffer_load_dword v144, off, s[0:3], 0 offset:744
	;; [unrolled: 1-line block ×5, first 2 shown]
	ds_read_b128 v[4:7], v162 offset:1248
	s_waitcnt vmcnt(57) lgkmcnt(1)
	v_mul_f64 v[183:184], v[102:103], v[136:137]
	v_mul_f64 v[136:137], v[104:105], v[136:137]
	s_waitcnt vmcnt(56)
	v_fma_f64 v[152:153], v[0:1], v[154:155], -v[152:153]
	v_add_f64 v[108:109], v[108:109], v[128:129]
	v_fma_f64 v[128:129], v[2:3], v[154:155], v[146:147]
	v_add_f64 v[106:107], v[106:107], v[132:133]
	s_clause 0x2
	buffer_load_dword v145, off, s[0:3], 0 offset:748
	buffer_load_dword v133, off, s[0:3], 0 offset:724
	;; [unrolled: 1-line block ×3, first 2 shown]
	ds_read_b128 v[0:3], v162 offset:1264
	s_waitcnt vmcnt(58) lgkmcnt(1)
	v_mul_f64 v[154:155], v[6:7], v[158:159]
	v_mul_f64 v[146:147], v[4:5], v[158:159]
	s_waitcnt vmcnt(56)
	v_fma_f64 v[136:137], v[102:103], v[140:141], -v[136:137]
	v_fma_f64 v[140:141], v[104:105], v[140:141], v[183:184]
	v_add_f64 v[108:109], v[108:109], v[152:153]
	v_add_f64 v[106:107], v[106:107], v[128:129]
	s_clause 0x2
	buffer_load_dword v129, off, s[0:3], 0 offset:764
	buffer_load_dword v128, off, s[0:3], 0 offset:760
	;; [unrolled: 1-line block ×3, first 2 shown]
	ds_read_b128 v[102:105], v162 offset:1280
	s_waitcnt vmcnt(55) lgkmcnt(1)
	v_mul_f64 v[152:153], v[0:1], v[142:143]
	v_mul_f64 v[142:143], v[2:3], v[142:143]
	s_waitcnt vmcnt(54)
	v_fma_f64 v[154:155], v[4:5], v[160:161], -v[154:155]
	v_add_f64 v[108:109], v[108:109], v[136:137]
	v_fma_f64 v[136:137], v[6:7], v[160:161], v[146:147]
	v_add_f64 v[106:107], v[106:107], v[140:141]
	s_clause 0x1
	buffer_load_dword v141, off, s[0:3], 0 offset:756
	buffer_load_dword v140, off, s[0:3], 0 offset:752
	ds_read_b128 v[4:7], v162 offset:1296
	s_waitcnt vmcnt(55) lgkmcnt(1)
	v_mul_f64 v[146:147], v[102:103], v[148:149]
	v_mul_f64 v[148:149], v[104:105], v[148:149]
	s_waitcnt vmcnt(53)
	v_fma_f64 v[142:143], v[0:1], v[110:111], -v[142:143]
	v_fma_f64 v[110:111], v[2:3], v[110:111], v[152:153]
	ds_read_b128 v[0:3], v162 offset:1312
	v_add_f64 v[108:109], v[108:109], v[154:155]
	v_add_f64 v[106:107], v[106:107], v[136:137]
	s_waitcnt vmcnt(49) lgkmcnt(1)
	v_mul_f64 v[136:137], v[4:5], v[150:151]
	v_mul_f64 v[150:151], v[6:7], v[150:151]
	s_waitcnt vmcnt(48)
	v_fma_f64 v[148:149], v[102:103], v[171:172], -v[148:149]
	v_add_f64 v[108:109], v[108:109], v[142:143]
	v_fma_f64 v[142:143], v[104:105], v[171:172], v[146:147]
	v_add_f64 v[106:107], v[106:107], v[110:111]
	s_clause 0x3
	buffer_load_dword v110, off, s[0:3], 0 offset:16
	buffer_load_dword v111, off, s[0:3], 0 offset:20
	;; [unrolled: 1-line block ×4, first 2 shown]
	ds_read_b128 v[102:105], v162 offset:1328
	s_waitcnt vmcnt(51) lgkmcnt(1)
	v_mul_f64 v[154:155], v[2:3], v[165:166]
	v_mul_f64 v[152:153], v[0:1], v[165:166]
	s_waitcnt vmcnt(49)
	v_fma_f64 v[150:151], v[4:5], v[156:157], -v[150:151]
	v_fma_f64 v[136:137], v[6:7], v[156:157], v[136:137]
	ds_read_b128 v[4:7], v162 offset:1344
	v_add_f64 v[108:109], v[108:109], v[148:149]
	v_add_f64 v[106:107], v[106:107], v[142:143]
	s_waitcnt vmcnt(45) lgkmcnt(1)
	v_mul_f64 v[142:143], v[102:103], v[114:115]
	v_mul_f64 v[114:115], v[104:105], v[114:115]
	s_waitcnt vmcnt(44)
	v_fma_f64 v[148:149], v[0:1], v[175:176], -v[154:155]
	v_add_f64 v[108:109], v[108:109], v[150:151]
	v_fma_f64 v[150:151], v[2:3], v[175:176], v[152:153]
	v_add_f64 v[106:107], v[106:107], v[136:137]
	ds_read_b128 v[0:3], v162 offset:1360
	s_waitcnt vmcnt(43) lgkmcnt(1)
	v_mul_f64 v[152:153], v[6:7], v[173:174]
	v_mul_f64 v[136:137], v[4:5], v[173:174]
	s_waitcnt vmcnt(41)
	v_fma_f64 v[114:115], v[102:103], v[120:121], -v[114:115]
	v_fma_f64 v[120:121], v[104:105], v[120:121], v[142:143]
	ds_read_b128 v[102:105], v162 offset:1376
	v_add_f64 v[108:109], v[108:109], v[148:149]
	v_add_f64 v[106:107], v[106:107], v[150:151]
	s_waitcnt vmcnt(37) lgkmcnt(1)
	v_mul_f64 v[142:143], v[0:1], v[126:127]
	v_mul_f64 v[126:127], v[2:3], v[126:127]
	s_waitcnt vmcnt(36)
	v_fma_f64 v[148:149], v[4:5], v[179:180], -v[152:153]
	v_add_f64 v[108:109], v[108:109], v[114:115]
	v_fma_f64 v[114:115], v[6:7], v[179:180], v[136:137]
	v_add_f64 v[106:107], v[106:107], v[120:121]
	ds_read_b128 v[4:7], v162 offset:1392
	s_waitcnt vmcnt(35) lgkmcnt(1)
	v_mul_f64 v[136:137], v[104:105], v[167:168]
	v_mul_f64 v[120:121], v[102:103], v[167:168]
	s_waitcnt vmcnt(33)
	v_fma_f64 v[126:127], v[0:1], v[118:119], -v[126:127]
	v_fma_f64 v[118:119], v[2:3], v[118:119], v[142:143]
	ds_read_b128 v[0:3], v162 offset:1408
	v_add_f64 v[108:109], v[108:109], v[148:149]
	v_add_f64 v[106:107], v[106:107], v[114:115]
	s_waitcnt vmcnt(29) lgkmcnt(1)
	v_mul_f64 v[114:115], v[4:5], v[112:113]
	v_mul_f64 v[112:113], v[6:7], v[112:113]
	s_waitcnt vmcnt(28)
	v_fma_f64 v[136:137], v[102:103], v[181:182], -v[136:137]
	v_fma_f64 v[120:121], v[104:105], v[181:182], v[120:121]
	ds_read_b128 v[102:105], v162 offset:1424
	v_add_f64 v[108:109], v[108:109], v[126:127]
	v_add_f64 v[106:107], v[106:107], v[118:119]
	;; [unrolled: 9-line block ×3, first 2 shown]
	s_waitcnt vmcnt(21) lgkmcnt(1)
	v_mul_f64 v[120:121], v[102:103], v[116:117]
	v_mul_f64 v[116:117], v[104:105], v[116:117]
	s_waitcnt vmcnt(20)
	v_fma_f64 v[124:125], v[0:1], v[177:178], -v[126:127]
	v_add_f64 v[108:109], v[108:109], v[112:113]
	v_fma_f64 v[112:113], v[2:3], v[177:178], v[118:119]
	v_add_f64 v[106:107], v[106:107], v[114:115]
	ds_read_b128 v[0:3], v162 offset:1456
	s_waitcnt vmcnt(19) lgkmcnt(1)
	v_mul_f64 v[118:119], v[6:7], v[138:139]
	v_mul_f64 v[114:115], v[4:5], v[138:139]
	s_waitcnt vmcnt(17)
	v_fma_f64 v[116:117], v[102:103], v[134:135], -v[116:117]
	v_fma_f64 v[120:121], v[104:105], v[134:135], v[120:121]
	ds_read_b128 v[102:105], v162 offset:1472
	v_add_f64 v[108:109], v[108:109], v[124:125]
	v_add_f64 v[106:107], v[106:107], v[112:113]
	s_waitcnt vmcnt(13) lgkmcnt(1)
	v_mul_f64 v[112:113], v[0:1], v[122:123]
	v_mul_f64 v[122:123], v[2:3], v[122:123]
	s_waitcnt vmcnt(12)
	v_fma_f64 v[118:119], v[4:5], v[169:170], -v[118:119]
	v_fma_f64 v[114:115], v[6:7], v[169:170], v[114:115]
	ds_read_b128 v[4:7], v162 offset:1488
	v_add_f64 v[108:109], v[108:109], v[116:117]
	v_add_f64 v[106:107], v[106:107], v[120:121]
	s_waitcnt vmcnt(11) lgkmcnt(1)
	v_mul_f64 v[120:121], v[104:105], v[144:145]
	v_mul_f64 v[116:117], v[102:103], v[144:145]
	s_waitcnt vmcnt(9)
	v_fma_f64 v[0:1], v[0:1], v[132:133], -v[122:123]
	v_fma_f64 v[2:3], v[2:3], v[132:133], v[112:113]
	v_add_f64 v[108:109], v[108:109], v[118:119]
	v_add_f64 v[106:107], v[106:107], v[114:115]
	s_waitcnt vmcnt(7) lgkmcnt(0)
	v_mul_f64 v[114:115], v[6:7], v[128:129]
	s_waitcnt vmcnt(6)
	v_fma_f64 v[102:103], v[102:103], v[163:164], -v[120:121]
	v_mul_f64 v[112:113], v[4:5], v[128:129]
	v_fma_f64 v[104:105], v[104:105], v[163:164], v[116:117]
	v_add_f64 v[0:1], v[108:109], v[0:1]
	v_add_f64 v[2:3], v[106:107], v[2:3]
	s_waitcnt vmcnt(4)
	v_fma_f64 v[4:5], v[4:5], v[140:141], -v[114:115]
	v_fma_f64 v[6:7], v[6:7], v[140:141], v[112:113]
	v_add_f64 v[0:1], v[0:1], v[102:103]
	v_add_f64 v[2:3], v[2:3], v[104:105]
	;; [unrolled: 1-line block ×4, first 2 shown]
	s_waitcnt vmcnt(2)
	v_add_f64 v[0:1], v[110:111], -v[0:1]
	s_waitcnt vmcnt(0)
	v_add_f64 v[2:3], v[146:147], -v[2:3]
	buffer_store_dword v1, off, s[0:3], 0 offset:20
	buffer_store_dword v0, off, s[0:3], 0 offset:16
	;; [unrolled: 1-line block ×4, first 2 shown]
	s_cbranch_vccz .LBB110_388
; %bb.296:
	v_mov_b32_e32 v0, 0
	global_load_dword v1, v0, s[12:13] offset:180
	s_waitcnt vmcnt(0)
	v_add_nc_u32_e32 v1, -1, v1
	v_cmp_ne_u32_e32 vcc_lo, 45, v1
	s_cbranch_vccz .LBB110_298
; %bb.297:
	v_lshlrev_b32_e32 v1, 4, v1
	v_mov_b32_e32 v2, s9
	v_add_nc_u32_e32 v1, 16, v1
	s_clause 0x7
	buffer_load_dword v3, v1, s[0:3], 0 offen
	buffer_load_dword v4, v1, s[0:3], 0 offen offset:4
	buffer_load_dword v5, v1, s[0:3], 0 offen offset:8
	;; [unrolled: 1-line block ×6, first 2 shown]
	buffer_load_dword v104, v2, s[0:3], 0 offen
	s_waitcnt vmcnt(7)
	buffer_store_dword v3, v2, s[0:3], 0 offen
	s_waitcnt vmcnt(6)
	buffer_store_dword v4, v2, s[0:3], 0 offen offset:4
	s_waitcnt vmcnt(5)
	buffer_store_dword v5, v2, s[0:3], 0 offen offset:8
	;; [unrolled: 2-line block ×6, first 2 shown]
	s_waitcnt vmcnt(0)
	buffer_store_dword v104, v1, s[0:3], 0 offen
.LBB110_298:
	global_load_dword v0, v0, s[12:13] offset:176
	s_waitcnt vmcnt(0)
	v_add_nc_u32_e32 v0, -1, v0
	v_cmp_eq_u32_e32 vcc_lo, 44, v0
	s_cbranch_vccnz .LBB110_300
; %bb.299:
	v_lshlrev_b32_e32 v0, 4, v0
	v_mov_b32_e32 v1, s14
	v_add_nc_u32_e32 v0, 16, v0
	s_clause 0x7
	buffer_load_dword v2, v0, s[0:3], 0 offen
	buffer_load_dword v3, v0, s[0:3], 0 offen offset:4
	buffer_load_dword v4, v0, s[0:3], 0 offen offset:8
	;; [unrolled: 1-line block ×6, first 2 shown]
	buffer_load_dword v103, v1, s[0:3], 0 offen
	s_waitcnt vmcnt(7)
	buffer_store_dword v2, v1, s[0:3], 0 offen
	s_waitcnt vmcnt(6)
	buffer_store_dword v3, v1, s[0:3], 0 offen offset:4
	s_waitcnt vmcnt(5)
	buffer_store_dword v4, v1, s[0:3], 0 offen offset:8
	;; [unrolled: 2-line block ×6, first 2 shown]
	s_waitcnt vmcnt(0)
	buffer_store_dword v103, v0, s[0:3], 0 offen
.LBB110_300:
	v_mov_b32_e32 v0, 0
	global_load_dword v1, v0, s[12:13] offset:172
	s_waitcnt vmcnt(0)
	v_add_nc_u32_e32 v1, -1, v1
	v_cmp_eq_u32_e32 vcc_lo, 43, v1
	s_cbranch_vccnz .LBB110_302
; %bb.301:
	v_lshlrev_b32_e32 v1, 4, v1
	v_mov_b32_e32 v2, s15
	v_add_nc_u32_e32 v1, 16, v1
	s_clause 0x7
	buffer_load_dword v3, v1, s[0:3], 0 offen
	buffer_load_dword v4, v1, s[0:3], 0 offen offset:4
	buffer_load_dword v5, v1, s[0:3], 0 offen offset:8
	buffer_load_dword v6, v1, s[0:3], 0 offen offset:12
	buffer_load_dword v7, v2, s[0:3], 0 offen offset:12
	buffer_load_dword v102, v2, s[0:3], 0 offen offset:8
	buffer_load_dword v103, v2, s[0:3], 0 offen offset:4
	buffer_load_dword v104, v2, s[0:3], 0 offen
	s_waitcnt vmcnt(7)
	buffer_store_dword v3, v2, s[0:3], 0 offen
	s_waitcnt vmcnt(6)
	buffer_store_dword v4, v2, s[0:3], 0 offen offset:4
	s_waitcnt vmcnt(5)
	buffer_store_dword v5, v2, s[0:3], 0 offen offset:8
	;; [unrolled: 2-line block ×6, first 2 shown]
	s_waitcnt vmcnt(0)
	buffer_store_dword v104, v1, s[0:3], 0 offen
.LBB110_302:
	global_load_dword v0, v0, s[12:13] offset:168
	s_waitcnt vmcnt(0)
	v_add_nc_u32_e32 v0, -1, v0
	v_cmp_eq_u32_e32 vcc_lo, 42, v0
	s_cbranch_vccnz .LBB110_304
; %bb.303:
	v_lshlrev_b32_e32 v0, 4, v0
	v_mov_b32_e32 v1, s16
	v_add_nc_u32_e32 v0, 16, v0
	s_clause 0x7
	buffer_load_dword v2, v0, s[0:3], 0 offen
	buffer_load_dword v3, v0, s[0:3], 0 offen offset:4
	buffer_load_dword v4, v0, s[0:3], 0 offen offset:8
	;; [unrolled: 1-line block ×6, first 2 shown]
	buffer_load_dword v103, v1, s[0:3], 0 offen
	s_waitcnt vmcnt(7)
	buffer_store_dword v2, v1, s[0:3], 0 offen
	s_waitcnt vmcnt(6)
	buffer_store_dword v3, v1, s[0:3], 0 offen offset:4
	s_waitcnt vmcnt(5)
	buffer_store_dword v4, v1, s[0:3], 0 offen offset:8
	;; [unrolled: 2-line block ×6, first 2 shown]
	s_waitcnt vmcnt(0)
	buffer_store_dword v103, v0, s[0:3], 0 offen
.LBB110_304:
	v_mov_b32_e32 v0, 0
	global_load_dword v1, v0, s[12:13] offset:164
	s_waitcnt vmcnt(0)
	v_add_nc_u32_e32 v1, -1, v1
	v_cmp_eq_u32_e32 vcc_lo, 41, v1
	s_cbranch_vccnz .LBB110_306
; %bb.305:
	v_lshlrev_b32_e32 v1, 4, v1
	v_mov_b32_e32 v2, s17
	v_add_nc_u32_e32 v1, 16, v1
	s_clause 0x7
	buffer_load_dword v3, v1, s[0:3], 0 offen
	buffer_load_dword v4, v1, s[0:3], 0 offen offset:4
	buffer_load_dword v5, v1, s[0:3], 0 offen offset:8
	;; [unrolled: 1-line block ×6, first 2 shown]
	buffer_load_dword v104, v2, s[0:3], 0 offen
	s_waitcnt vmcnt(7)
	buffer_store_dword v3, v2, s[0:3], 0 offen
	s_waitcnt vmcnt(6)
	buffer_store_dword v4, v2, s[0:3], 0 offen offset:4
	s_waitcnt vmcnt(5)
	buffer_store_dword v5, v2, s[0:3], 0 offen offset:8
	;; [unrolled: 2-line block ×6, first 2 shown]
	s_waitcnt vmcnt(0)
	buffer_store_dword v104, v1, s[0:3], 0 offen
.LBB110_306:
	global_load_dword v0, v0, s[12:13] offset:160
	s_waitcnt vmcnt(0)
	v_add_nc_u32_e32 v0, -1, v0
	v_cmp_eq_u32_e32 vcc_lo, 40, v0
	s_cbranch_vccnz .LBB110_308
; %bb.307:
	v_lshlrev_b32_e32 v0, 4, v0
	v_mov_b32_e32 v1, s18
	v_add_nc_u32_e32 v0, 16, v0
	s_clause 0x7
	buffer_load_dword v2, v0, s[0:3], 0 offen
	buffer_load_dword v3, v0, s[0:3], 0 offen offset:4
	buffer_load_dword v4, v0, s[0:3], 0 offen offset:8
	buffer_load_dword v5, v0, s[0:3], 0 offen offset:12
	buffer_load_dword v6, v1, s[0:3], 0 offen offset:12
	buffer_load_dword v7, v1, s[0:3], 0 offen offset:8
	buffer_load_dword v102, v1, s[0:3], 0 offen offset:4
	buffer_load_dword v103, v1, s[0:3], 0 offen
	s_waitcnt vmcnt(7)
	buffer_store_dword v2, v1, s[0:3], 0 offen
	s_waitcnt vmcnt(6)
	buffer_store_dword v3, v1, s[0:3], 0 offen offset:4
	s_waitcnt vmcnt(5)
	buffer_store_dword v4, v1, s[0:3], 0 offen offset:8
	s_waitcnt vmcnt(4)
	buffer_store_dword v5, v1, s[0:3], 0 offen offset:12
	s_waitcnt vmcnt(3)
	buffer_store_dword v6, v0, s[0:3], 0 offen offset:12
	s_waitcnt vmcnt(2)
	buffer_store_dword v7, v0, s[0:3], 0 offen offset:8
	s_waitcnt vmcnt(1)
	buffer_store_dword v102, v0, s[0:3], 0 offen offset:4
	s_waitcnt vmcnt(0)
	buffer_store_dword v103, v0, s[0:3], 0 offen
.LBB110_308:
	v_mov_b32_e32 v0, 0
	global_load_dword v1, v0, s[12:13] offset:156
	s_waitcnt vmcnt(0)
	v_add_nc_u32_e32 v1, -1, v1
	v_cmp_eq_u32_e32 vcc_lo, 39, v1
	s_cbranch_vccnz .LBB110_310
; %bb.309:
	v_lshlrev_b32_e32 v1, 4, v1
	v_mov_b32_e32 v2, s19
	v_add_nc_u32_e32 v1, 16, v1
	s_clause 0x7
	buffer_load_dword v3, v1, s[0:3], 0 offen
	buffer_load_dword v4, v1, s[0:3], 0 offen offset:4
	buffer_load_dword v5, v1, s[0:3], 0 offen offset:8
	;; [unrolled: 1-line block ×6, first 2 shown]
	buffer_load_dword v104, v2, s[0:3], 0 offen
	s_waitcnt vmcnt(7)
	buffer_store_dword v3, v2, s[0:3], 0 offen
	s_waitcnt vmcnt(6)
	buffer_store_dword v4, v2, s[0:3], 0 offen offset:4
	s_waitcnt vmcnt(5)
	buffer_store_dword v5, v2, s[0:3], 0 offen offset:8
	;; [unrolled: 2-line block ×6, first 2 shown]
	s_waitcnt vmcnt(0)
	buffer_store_dword v104, v1, s[0:3], 0 offen
.LBB110_310:
	global_load_dword v0, v0, s[12:13] offset:152
	s_waitcnt vmcnt(0)
	v_add_nc_u32_e32 v0, -1, v0
	v_cmp_eq_u32_e32 vcc_lo, 38, v0
	s_cbranch_vccnz .LBB110_312
; %bb.311:
	v_lshlrev_b32_e32 v0, 4, v0
	v_mov_b32_e32 v1, s20
	v_add_nc_u32_e32 v0, 16, v0
	s_clause 0x7
	buffer_load_dword v2, v0, s[0:3], 0 offen
	buffer_load_dword v3, v0, s[0:3], 0 offen offset:4
	buffer_load_dword v4, v0, s[0:3], 0 offen offset:8
	;; [unrolled: 1-line block ×6, first 2 shown]
	buffer_load_dword v103, v1, s[0:3], 0 offen
	s_waitcnt vmcnt(7)
	buffer_store_dword v2, v1, s[0:3], 0 offen
	s_waitcnt vmcnt(6)
	buffer_store_dword v3, v1, s[0:3], 0 offen offset:4
	s_waitcnt vmcnt(5)
	buffer_store_dword v4, v1, s[0:3], 0 offen offset:8
	;; [unrolled: 2-line block ×6, first 2 shown]
	s_waitcnt vmcnt(0)
	buffer_store_dword v103, v0, s[0:3], 0 offen
.LBB110_312:
	v_mov_b32_e32 v0, 0
	global_load_dword v1, v0, s[12:13] offset:148
	s_waitcnt vmcnt(0)
	v_add_nc_u32_e32 v1, -1, v1
	v_cmp_eq_u32_e32 vcc_lo, 37, v1
	s_cbranch_vccnz .LBB110_314
; %bb.313:
	v_lshlrev_b32_e32 v1, 4, v1
	v_mov_b32_e32 v2, s21
	v_add_nc_u32_e32 v1, 16, v1
	s_clause 0x7
	buffer_load_dword v3, v1, s[0:3], 0 offen
	buffer_load_dword v4, v1, s[0:3], 0 offen offset:4
	buffer_load_dword v5, v1, s[0:3], 0 offen offset:8
	;; [unrolled: 1-line block ×6, first 2 shown]
	buffer_load_dword v104, v2, s[0:3], 0 offen
	s_waitcnt vmcnt(7)
	buffer_store_dword v3, v2, s[0:3], 0 offen
	s_waitcnt vmcnt(6)
	buffer_store_dword v4, v2, s[0:3], 0 offen offset:4
	s_waitcnt vmcnt(5)
	buffer_store_dword v5, v2, s[0:3], 0 offen offset:8
	;; [unrolled: 2-line block ×6, first 2 shown]
	s_waitcnt vmcnt(0)
	buffer_store_dword v104, v1, s[0:3], 0 offen
.LBB110_314:
	global_load_dword v0, v0, s[12:13] offset:144
	s_waitcnt vmcnt(0)
	v_add_nc_u32_e32 v0, -1, v0
	v_cmp_eq_u32_e32 vcc_lo, 36, v0
	s_cbranch_vccnz .LBB110_316
; %bb.315:
	v_lshlrev_b32_e32 v0, 4, v0
	v_mov_b32_e32 v1, s22
	v_add_nc_u32_e32 v0, 16, v0
	s_clause 0x7
	buffer_load_dword v2, v0, s[0:3], 0 offen
	buffer_load_dword v3, v0, s[0:3], 0 offen offset:4
	buffer_load_dword v4, v0, s[0:3], 0 offen offset:8
	;; [unrolled: 1-line block ×6, first 2 shown]
	buffer_load_dword v103, v1, s[0:3], 0 offen
	s_waitcnt vmcnt(7)
	buffer_store_dword v2, v1, s[0:3], 0 offen
	s_waitcnt vmcnt(6)
	buffer_store_dword v3, v1, s[0:3], 0 offen offset:4
	s_waitcnt vmcnt(5)
	buffer_store_dword v4, v1, s[0:3], 0 offen offset:8
	;; [unrolled: 2-line block ×6, first 2 shown]
	s_waitcnt vmcnt(0)
	buffer_store_dword v103, v0, s[0:3], 0 offen
.LBB110_316:
	v_mov_b32_e32 v0, 0
	global_load_dword v1, v0, s[12:13] offset:140
	s_waitcnt vmcnt(0)
	v_add_nc_u32_e32 v1, -1, v1
	v_cmp_eq_u32_e32 vcc_lo, 35, v1
	s_cbranch_vccnz .LBB110_318
; %bb.317:
	v_lshlrev_b32_e32 v1, 4, v1
	v_mov_b32_e32 v2, s23
	v_add_nc_u32_e32 v1, 16, v1
	s_clause 0x7
	buffer_load_dword v3, v1, s[0:3], 0 offen
	buffer_load_dword v4, v1, s[0:3], 0 offen offset:4
	buffer_load_dword v5, v1, s[0:3], 0 offen offset:8
	;; [unrolled: 1-line block ×6, first 2 shown]
	buffer_load_dword v104, v2, s[0:3], 0 offen
	s_waitcnt vmcnt(7)
	buffer_store_dword v3, v2, s[0:3], 0 offen
	s_waitcnt vmcnt(6)
	buffer_store_dword v4, v2, s[0:3], 0 offen offset:4
	s_waitcnt vmcnt(5)
	buffer_store_dword v5, v2, s[0:3], 0 offen offset:8
	;; [unrolled: 2-line block ×6, first 2 shown]
	s_waitcnt vmcnt(0)
	buffer_store_dword v104, v1, s[0:3], 0 offen
.LBB110_318:
	global_load_dword v0, v0, s[12:13] offset:136
	s_waitcnt vmcnt(0)
	v_add_nc_u32_e32 v0, -1, v0
	v_cmp_eq_u32_e32 vcc_lo, 34, v0
	s_cbranch_vccnz .LBB110_320
; %bb.319:
	v_lshlrev_b32_e32 v0, 4, v0
	v_mov_b32_e32 v1, s24
	v_add_nc_u32_e32 v0, 16, v0
	s_clause 0x7
	buffer_load_dword v2, v0, s[0:3], 0 offen
	buffer_load_dword v3, v0, s[0:3], 0 offen offset:4
	buffer_load_dword v4, v0, s[0:3], 0 offen offset:8
	;; [unrolled: 1-line block ×6, first 2 shown]
	buffer_load_dword v103, v1, s[0:3], 0 offen
	s_waitcnt vmcnt(7)
	buffer_store_dword v2, v1, s[0:3], 0 offen
	s_waitcnt vmcnt(6)
	buffer_store_dword v3, v1, s[0:3], 0 offen offset:4
	s_waitcnt vmcnt(5)
	buffer_store_dword v4, v1, s[0:3], 0 offen offset:8
	;; [unrolled: 2-line block ×6, first 2 shown]
	s_waitcnt vmcnt(0)
	buffer_store_dword v103, v0, s[0:3], 0 offen
.LBB110_320:
	v_mov_b32_e32 v0, 0
	global_load_dword v1, v0, s[12:13] offset:132
	s_waitcnt vmcnt(0)
	v_add_nc_u32_e32 v1, -1, v1
	v_cmp_eq_u32_e32 vcc_lo, 33, v1
	s_cbranch_vccnz .LBB110_322
; %bb.321:
	v_lshlrev_b32_e32 v1, 4, v1
	v_mov_b32_e32 v2, s25
	v_add_nc_u32_e32 v1, 16, v1
	s_clause 0x7
	buffer_load_dword v3, v1, s[0:3], 0 offen
	buffer_load_dword v4, v1, s[0:3], 0 offen offset:4
	buffer_load_dword v5, v1, s[0:3], 0 offen offset:8
	;; [unrolled: 1-line block ×6, first 2 shown]
	buffer_load_dword v104, v2, s[0:3], 0 offen
	s_waitcnt vmcnt(7)
	buffer_store_dword v3, v2, s[0:3], 0 offen
	s_waitcnt vmcnt(6)
	buffer_store_dword v4, v2, s[0:3], 0 offen offset:4
	s_waitcnt vmcnt(5)
	buffer_store_dword v5, v2, s[0:3], 0 offen offset:8
	;; [unrolled: 2-line block ×6, first 2 shown]
	s_waitcnt vmcnt(0)
	buffer_store_dword v104, v1, s[0:3], 0 offen
.LBB110_322:
	global_load_dword v0, v0, s[12:13] offset:128
	s_waitcnt vmcnt(0)
	v_add_nc_u32_e32 v0, -1, v0
	v_cmp_eq_u32_e32 vcc_lo, 32, v0
	s_cbranch_vccnz .LBB110_324
; %bb.323:
	v_lshlrev_b32_e32 v0, 4, v0
	v_mov_b32_e32 v1, s26
	v_add_nc_u32_e32 v0, 16, v0
	s_clause 0x7
	buffer_load_dword v2, v0, s[0:3], 0 offen
	buffer_load_dword v3, v0, s[0:3], 0 offen offset:4
	buffer_load_dword v4, v0, s[0:3], 0 offen offset:8
	;; [unrolled: 1-line block ×6, first 2 shown]
	buffer_load_dword v103, v1, s[0:3], 0 offen
	s_waitcnt vmcnt(7)
	buffer_store_dword v2, v1, s[0:3], 0 offen
	s_waitcnt vmcnt(6)
	buffer_store_dword v3, v1, s[0:3], 0 offen offset:4
	s_waitcnt vmcnt(5)
	buffer_store_dword v4, v1, s[0:3], 0 offen offset:8
	;; [unrolled: 2-line block ×6, first 2 shown]
	s_waitcnt vmcnt(0)
	buffer_store_dword v103, v0, s[0:3], 0 offen
.LBB110_324:
	v_mov_b32_e32 v0, 0
	global_load_dword v1, v0, s[12:13] offset:124
	s_waitcnt vmcnt(0)
	v_add_nc_u32_e32 v1, -1, v1
	v_cmp_eq_u32_e32 vcc_lo, 31, v1
	s_cbranch_vccnz .LBB110_326
; %bb.325:
	v_lshlrev_b32_e32 v1, 4, v1
	v_mov_b32_e32 v2, s27
	v_add_nc_u32_e32 v1, 16, v1
	s_clause 0x7
	buffer_load_dword v3, v1, s[0:3], 0 offen
	buffer_load_dword v4, v1, s[0:3], 0 offen offset:4
	buffer_load_dword v5, v1, s[0:3], 0 offen offset:8
	buffer_load_dword v6, v1, s[0:3], 0 offen offset:12
	buffer_load_dword v7, v2, s[0:3], 0 offen offset:12
	buffer_load_dword v102, v2, s[0:3], 0 offen offset:8
	buffer_load_dword v103, v2, s[0:3], 0 offen offset:4
	buffer_load_dword v104, v2, s[0:3], 0 offen
	s_waitcnt vmcnt(7)
	buffer_store_dword v3, v2, s[0:3], 0 offen
	s_waitcnt vmcnt(6)
	buffer_store_dword v4, v2, s[0:3], 0 offen offset:4
	s_waitcnt vmcnt(5)
	buffer_store_dword v5, v2, s[0:3], 0 offen offset:8
	;; [unrolled: 2-line block ×6, first 2 shown]
	s_waitcnt vmcnt(0)
	buffer_store_dword v104, v1, s[0:3], 0 offen
.LBB110_326:
	global_load_dword v0, v0, s[12:13] offset:120
	s_waitcnt vmcnt(0)
	v_add_nc_u32_e32 v0, -1, v0
	v_cmp_eq_u32_e32 vcc_lo, 30, v0
	s_cbranch_vccnz .LBB110_328
; %bb.327:
	v_lshlrev_b32_e32 v0, 4, v0
	v_mov_b32_e32 v1, s28
	v_add_nc_u32_e32 v0, 16, v0
	s_clause 0x7
	buffer_load_dword v2, v0, s[0:3], 0 offen
	buffer_load_dword v3, v0, s[0:3], 0 offen offset:4
	buffer_load_dword v4, v0, s[0:3], 0 offen offset:8
	;; [unrolled: 1-line block ×6, first 2 shown]
	buffer_load_dword v103, v1, s[0:3], 0 offen
	s_waitcnt vmcnt(7)
	buffer_store_dword v2, v1, s[0:3], 0 offen
	s_waitcnt vmcnt(6)
	buffer_store_dword v3, v1, s[0:3], 0 offen offset:4
	s_waitcnt vmcnt(5)
	buffer_store_dword v4, v1, s[0:3], 0 offen offset:8
	s_waitcnt vmcnt(4)
	buffer_store_dword v5, v1, s[0:3], 0 offen offset:12
	s_waitcnt vmcnt(3)
	buffer_store_dword v6, v0, s[0:3], 0 offen offset:12
	s_waitcnt vmcnt(2)
	buffer_store_dword v7, v0, s[0:3], 0 offen offset:8
	s_waitcnt vmcnt(1)
	buffer_store_dword v102, v0, s[0:3], 0 offen offset:4
	s_waitcnt vmcnt(0)
	buffer_store_dword v103, v0, s[0:3], 0 offen
.LBB110_328:
	v_mov_b32_e32 v0, 0
	global_load_dword v1, v0, s[12:13] offset:116
	s_waitcnt vmcnt(0)
	v_add_nc_u32_e32 v1, -1, v1
	v_cmp_eq_u32_e32 vcc_lo, 29, v1
	s_cbranch_vccnz .LBB110_330
; %bb.329:
	v_lshlrev_b32_e32 v1, 4, v1
	v_mov_b32_e32 v2, s29
	v_add_nc_u32_e32 v1, 16, v1
	s_clause 0x7
	buffer_load_dword v3, v1, s[0:3], 0 offen
	buffer_load_dword v4, v1, s[0:3], 0 offen offset:4
	buffer_load_dword v5, v1, s[0:3], 0 offen offset:8
	;; [unrolled: 1-line block ×6, first 2 shown]
	buffer_load_dword v104, v2, s[0:3], 0 offen
	s_waitcnt vmcnt(7)
	buffer_store_dword v3, v2, s[0:3], 0 offen
	s_waitcnt vmcnt(6)
	buffer_store_dword v4, v2, s[0:3], 0 offen offset:4
	s_waitcnt vmcnt(5)
	buffer_store_dword v5, v2, s[0:3], 0 offen offset:8
	;; [unrolled: 2-line block ×6, first 2 shown]
	s_waitcnt vmcnt(0)
	buffer_store_dword v104, v1, s[0:3], 0 offen
.LBB110_330:
	global_load_dword v0, v0, s[12:13] offset:112
	s_waitcnt vmcnt(0)
	v_add_nc_u32_e32 v0, -1, v0
	v_cmp_eq_u32_e32 vcc_lo, 28, v0
	s_cbranch_vccnz .LBB110_332
; %bb.331:
	v_lshlrev_b32_e32 v0, 4, v0
	v_mov_b32_e32 v1, s30
	v_add_nc_u32_e32 v0, 16, v0
	s_clause 0x7
	buffer_load_dword v2, v0, s[0:3], 0 offen
	buffer_load_dword v3, v0, s[0:3], 0 offen offset:4
	buffer_load_dword v4, v0, s[0:3], 0 offen offset:8
	;; [unrolled: 1-line block ×6, first 2 shown]
	buffer_load_dword v103, v1, s[0:3], 0 offen
	s_waitcnt vmcnt(7)
	buffer_store_dword v2, v1, s[0:3], 0 offen
	s_waitcnt vmcnt(6)
	buffer_store_dword v3, v1, s[0:3], 0 offen offset:4
	s_waitcnt vmcnt(5)
	buffer_store_dword v4, v1, s[0:3], 0 offen offset:8
	;; [unrolled: 2-line block ×6, first 2 shown]
	s_waitcnt vmcnt(0)
	buffer_store_dword v103, v0, s[0:3], 0 offen
.LBB110_332:
	v_mov_b32_e32 v0, 0
	global_load_dword v1, v0, s[12:13] offset:108
	s_waitcnt vmcnt(0)
	v_add_nc_u32_e32 v1, -1, v1
	v_cmp_eq_u32_e32 vcc_lo, 27, v1
	s_cbranch_vccnz .LBB110_334
; %bb.333:
	v_lshlrev_b32_e32 v1, 4, v1
	v_mov_b32_e32 v2, s31
	v_add_nc_u32_e32 v1, 16, v1
	s_clause 0x7
	buffer_load_dword v3, v1, s[0:3], 0 offen
	buffer_load_dword v4, v1, s[0:3], 0 offen offset:4
	buffer_load_dword v5, v1, s[0:3], 0 offen offset:8
	;; [unrolled: 1-line block ×6, first 2 shown]
	buffer_load_dword v104, v2, s[0:3], 0 offen
	s_waitcnt vmcnt(7)
	buffer_store_dword v3, v2, s[0:3], 0 offen
	s_waitcnt vmcnt(6)
	buffer_store_dword v4, v2, s[0:3], 0 offen offset:4
	s_waitcnt vmcnt(5)
	buffer_store_dword v5, v2, s[0:3], 0 offen offset:8
	s_waitcnt vmcnt(4)
	buffer_store_dword v6, v2, s[0:3], 0 offen offset:12
	s_waitcnt vmcnt(3)
	buffer_store_dword v7, v1, s[0:3], 0 offen offset:12
	s_waitcnt vmcnt(2)
	buffer_store_dword v102, v1, s[0:3], 0 offen offset:8
	s_waitcnt vmcnt(1)
	buffer_store_dword v103, v1, s[0:3], 0 offen offset:4
	s_waitcnt vmcnt(0)
	buffer_store_dword v104, v1, s[0:3], 0 offen
.LBB110_334:
	global_load_dword v0, v0, s[12:13] offset:104
	s_waitcnt vmcnt(0)
	v_add_nc_u32_e32 v0, -1, v0
	v_cmp_eq_u32_e32 vcc_lo, 26, v0
	s_cbranch_vccnz .LBB110_336
; %bb.335:
	v_lshlrev_b32_e32 v0, 4, v0
	v_mov_b32_e32 v1, s33
	v_add_nc_u32_e32 v0, 16, v0
	s_clause 0x7
	buffer_load_dword v2, v0, s[0:3], 0 offen
	buffer_load_dword v3, v0, s[0:3], 0 offen offset:4
	buffer_load_dword v4, v0, s[0:3], 0 offen offset:8
	;; [unrolled: 1-line block ×6, first 2 shown]
	buffer_load_dword v103, v1, s[0:3], 0 offen
	s_waitcnt vmcnt(7)
	buffer_store_dword v2, v1, s[0:3], 0 offen
	s_waitcnt vmcnt(6)
	buffer_store_dword v3, v1, s[0:3], 0 offen offset:4
	s_waitcnt vmcnt(5)
	buffer_store_dword v4, v1, s[0:3], 0 offen offset:8
	;; [unrolled: 2-line block ×6, first 2 shown]
	s_waitcnt vmcnt(0)
	buffer_store_dword v103, v0, s[0:3], 0 offen
.LBB110_336:
	v_mov_b32_e32 v0, 0
	global_load_dword v1, v0, s[12:13] offset:100
	s_waitcnt vmcnt(0)
	v_add_nc_u32_e32 v1, -1, v1
	v_cmp_eq_u32_e32 vcc_lo, 25, v1
	s_cbranch_vccnz .LBB110_338
; %bb.337:
	v_lshlrev_b32_e32 v1, 4, v1
	v_mov_b32_e32 v2, s34
	v_add_nc_u32_e32 v1, 16, v1
	s_clause 0x7
	buffer_load_dword v3, v1, s[0:3], 0 offen
	buffer_load_dword v4, v1, s[0:3], 0 offen offset:4
	buffer_load_dword v5, v1, s[0:3], 0 offen offset:8
	buffer_load_dword v6, v1, s[0:3], 0 offen offset:12
	buffer_load_dword v7, v2, s[0:3], 0 offen offset:12
	buffer_load_dword v102, v2, s[0:3], 0 offen offset:8
	buffer_load_dword v103, v2, s[0:3], 0 offen offset:4
	buffer_load_dword v104, v2, s[0:3], 0 offen
	s_waitcnt vmcnt(7)
	buffer_store_dword v3, v2, s[0:3], 0 offen
	s_waitcnt vmcnt(6)
	buffer_store_dword v4, v2, s[0:3], 0 offen offset:4
	s_waitcnt vmcnt(5)
	buffer_store_dword v5, v2, s[0:3], 0 offen offset:8
	;; [unrolled: 2-line block ×6, first 2 shown]
	s_waitcnt vmcnt(0)
	buffer_store_dword v104, v1, s[0:3], 0 offen
.LBB110_338:
	global_load_dword v0, v0, s[12:13] offset:96
	s_waitcnt vmcnt(0)
	v_add_nc_u32_e32 v0, -1, v0
	v_cmp_eq_u32_e32 vcc_lo, 24, v0
	s_cbranch_vccnz .LBB110_340
; %bb.339:
	v_lshlrev_b32_e32 v0, 4, v0
	v_mov_b32_e32 v1, s35
	v_add_nc_u32_e32 v0, 16, v0
	s_clause 0x7
	buffer_load_dword v2, v0, s[0:3], 0 offen
	buffer_load_dword v3, v0, s[0:3], 0 offen offset:4
	buffer_load_dword v4, v0, s[0:3], 0 offen offset:8
	;; [unrolled: 1-line block ×6, first 2 shown]
	buffer_load_dword v103, v1, s[0:3], 0 offen
	s_waitcnt vmcnt(7)
	buffer_store_dword v2, v1, s[0:3], 0 offen
	s_waitcnt vmcnt(6)
	buffer_store_dword v3, v1, s[0:3], 0 offen offset:4
	s_waitcnt vmcnt(5)
	buffer_store_dword v4, v1, s[0:3], 0 offen offset:8
	;; [unrolled: 2-line block ×6, first 2 shown]
	s_waitcnt vmcnt(0)
	buffer_store_dword v103, v0, s[0:3], 0 offen
.LBB110_340:
	v_mov_b32_e32 v0, 0
	global_load_dword v1, v0, s[12:13] offset:92
	s_waitcnt vmcnt(0)
	v_add_nc_u32_e32 v1, -1, v1
	v_cmp_eq_u32_e32 vcc_lo, 23, v1
	s_cbranch_vccnz .LBB110_342
; %bb.341:
	v_lshlrev_b32_e32 v1, 4, v1
	v_mov_b32_e32 v2, s36
	v_add_nc_u32_e32 v1, 16, v1
	s_clause 0x7
	buffer_load_dword v3, v1, s[0:3], 0 offen
	buffer_load_dword v4, v1, s[0:3], 0 offen offset:4
	buffer_load_dword v5, v1, s[0:3], 0 offen offset:8
	buffer_load_dword v6, v1, s[0:3], 0 offen offset:12
	buffer_load_dword v7, v2, s[0:3], 0 offen offset:12
	buffer_load_dword v102, v2, s[0:3], 0 offen offset:8
	buffer_load_dword v103, v2, s[0:3], 0 offen offset:4
	buffer_load_dword v104, v2, s[0:3], 0 offen
	s_waitcnt vmcnt(7)
	buffer_store_dword v3, v2, s[0:3], 0 offen
	s_waitcnt vmcnt(6)
	buffer_store_dword v4, v2, s[0:3], 0 offen offset:4
	s_waitcnt vmcnt(5)
	buffer_store_dword v5, v2, s[0:3], 0 offen offset:8
	;; [unrolled: 2-line block ×6, first 2 shown]
	s_waitcnt vmcnt(0)
	buffer_store_dword v104, v1, s[0:3], 0 offen
.LBB110_342:
	global_load_dword v0, v0, s[12:13] offset:88
	s_waitcnt vmcnt(0)
	v_add_nc_u32_e32 v0, -1, v0
	v_cmp_eq_u32_e32 vcc_lo, 22, v0
	s_cbranch_vccnz .LBB110_344
; %bb.343:
	v_lshlrev_b32_e32 v0, 4, v0
	v_mov_b32_e32 v1, s37
	v_add_nc_u32_e32 v0, 16, v0
	s_clause 0x7
	buffer_load_dword v2, v0, s[0:3], 0 offen
	buffer_load_dword v3, v0, s[0:3], 0 offen offset:4
	buffer_load_dword v4, v0, s[0:3], 0 offen offset:8
	buffer_load_dword v5, v0, s[0:3], 0 offen offset:12
	buffer_load_dword v6, v1, s[0:3], 0 offen offset:12
	buffer_load_dword v7, v1, s[0:3], 0 offen offset:8
	buffer_load_dword v102, v1, s[0:3], 0 offen offset:4
	buffer_load_dword v103, v1, s[0:3], 0 offen
	s_waitcnt vmcnt(7)
	buffer_store_dword v2, v1, s[0:3], 0 offen
	s_waitcnt vmcnt(6)
	buffer_store_dword v3, v1, s[0:3], 0 offen offset:4
	s_waitcnt vmcnt(5)
	buffer_store_dword v4, v1, s[0:3], 0 offen offset:8
	;; [unrolled: 2-line block ×6, first 2 shown]
	s_waitcnt vmcnt(0)
	buffer_store_dword v103, v0, s[0:3], 0 offen
.LBB110_344:
	v_mov_b32_e32 v0, 0
	global_load_dword v1, v0, s[12:13] offset:84
	s_waitcnt vmcnt(0)
	v_add_nc_u32_e32 v1, -1, v1
	v_cmp_eq_u32_e32 vcc_lo, 21, v1
	s_cbranch_vccnz .LBB110_346
; %bb.345:
	v_lshlrev_b32_e32 v1, 4, v1
	v_mov_b32_e32 v2, s38
	v_add_nc_u32_e32 v1, 16, v1
	s_clause 0x7
	buffer_load_dword v3, v1, s[0:3], 0 offen
	buffer_load_dword v4, v1, s[0:3], 0 offen offset:4
	buffer_load_dword v5, v1, s[0:3], 0 offen offset:8
	;; [unrolled: 1-line block ×6, first 2 shown]
	buffer_load_dword v104, v2, s[0:3], 0 offen
	s_waitcnt vmcnt(7)
	buffer_store_dword v3, v2, s[0:3], 0 offen
	s_waitcnt vmcnt(6)
	buffer_store_dword v4, v2, s[0:3], 0 offen offset:4
	s_waitcnt vmcnt(5)
	buffer_store_dword v5, v2, s[0:3], 0 offen offset:8
	s_waitcnt vmcnt(4)
	buffer_store_dword v6, v2, s[0:3], 0 offen offset:12
	s_waitcnt vmcnt(3)
	buffer_store_dword v7, v1, s[0:3], 0 offen offset:12
	s_waitcnt vmcnt(2)
	buffer_store_dword v102, v1, s[0:3], 0 offen offset:8
	s_waitcnt vmcnt(1)
	buffer_store_dword v103, v1, s[0:3], 0 offen offset:4
	s_waitcnt vmcnt(0)
	buffer_store_dword v104, v1, s[0:3], 0 offen
.LBB110_346:
	global_load_dword v0, v0, s[12:13] offset:80
	s_waitcnt vmcnt(0)
	v_add_nc_u32_e32 v0, -1, v0
	v_cmp_eq_u32_e32 vcc_lo, 20, v0
	s_cbranch_vccnz .LBB110_348
; %bb.347:
	v_lshlrev_b32_e32 v0, 4, v0
	v_mov_b32_e32 v1, s39
	v_add_nc_u32_e32 v0, 16, v0
	s_clause 0x7
	buffer_load_dword v2, v0, s[0:3], 0 offen
	buffer_load_dword v3, v0, s[0:3], 0 offen offset:4
	buffer_load_dword v4, v0, s[0:3], 0 offen offset:8
	;; [unrolled: 1-line block ×6, first 2 shown]
	buffer_load_dword v103, v1, s[0:3], 0 offen
	s_waitcnt vmcnt(7)
	buffer_store_dword v2, v1, s[0:3], 0 offen
	s_waitcnt vmcnt(6)
	buffer_store_dword v3, v1, s[0:3], 0 offen offset:4
	s_waitcnt vmcnt(5)
	buffer_store_dword v4, v1, s[0:3], 0 offen offset:8
	;; [unrolled: 2-line block ×6, first 2 shown]
	s_waitcnt vmcnt(0)
	buffer_store_dword v103, v0, s[0:3], 0 offen
.LBB110_348:
	v_mov_b32_e32 v0, 0
	global_load_dword v1, v0, s[12:13] offset:76
	s_waitcnt vmcnt(0)
	v_add_nc_u32_e32 v1, -1, v1
	v_cmp_eq_u32_e32 vcc_lo, 19, v1
	s_cbranch_vccnz .LBB110_350
; %bb.349:
	v_lshlrev_b32_e32 v1, 4, v1
	v_mov_b32_e32 v2, s40
	v_add_nc_u32_e32 v1, 16, v1
	s_clause 0x7
	buffer_load_dword v3, v1, s[0:3], 0 offen
	buffer_load_dword v4, v1, s[0:3], 0 offen offset:4
	buffer_load_dword v5, v1, s[0:3], 0 offen offset:8
	;; [unrolled: 1-line block ×6, first 2 shown]
	buffer_load_dword v104, v2, s[0:3], 0 offen
	s_waitcnt vmcnt(7)
	buffer_store_dword v3, v2, s[0:3], 0 offen
	s_waitcnt vmcnt(6)
	buffer_store_dword v4, v2, s[0:3], 0 offen offset:4
	s_waitcnt vmcnt(5)
	buffer_store_dword v5, v2, s[0:3], 0 offen offset:8
	;; [unrolled: 2-line block ×6, first 2 shown]
	s_waitcnt vmcnt(0)
	buffer_store_dword v104, v1, s[0:3], 0 offen
.LBB110_350:
	global_load_dword v0, v0, s[12:13] offset:72
	s_waitcnt vmcnt(0)
	v_add_nc_u32_e32 v0, -1, v0
	v_cmp_eq_u32_e32 vcc_lo, 18, v0
	s_cbranch_vccnz .LBB110_352
; %bb.351:
	v_lshlrev_b32_e32 v0, 4, v0
	v_mov_b32_e32 v1, s41
	v_add_nc_u32_e32 v0, 16, v0
	s_clause 0x7
	buffer_load_dword v2, v0, s[0:3], 0 offen
	buffer_load_dword v3, v0, s[0:3], 0 offen offset:4
	buffer_load_dword v4, v0, s[0:3], 0 offen offset:8
	;; [unrolled: 1-line block ×6, first 2 shown]
	buffer_load_dword v103, v1, s[0:3], 0 offen
	s_waitcnt vmcnt(7)
	buffer_store_dword v2, v1, s[0:3], 0 offen
	s_waitcnt vmcnt(6)
	buffer_store_dword v3, v1, s[0:3], 0 offen offset:4
	s_waitcnt vmcnt(5)
	buffer_store_dword v4, v1, s[0:3], 0 offen offset:8
	;; [unrolled: 2-line block ×6, first 2 shown]
	s_waitcnt vmcnt(0)
	buffer_store_dword v103, v0, s[0:3], 0 offen
.LBB110_352:
	v_mov_b32_e32 v0, 0
	global_load_dword v1, v0, s[12:13] offset:68
	s_waitcnt vmcnt(0)
	v_add_nc_u32_e32 v1, -1, v1
	v_cmp_eq_u32_e32 vcc_lo, 17, v1
	s_cbranch_vccnz .LBB110_354
; %bb.353:
	v_lshlrev_b32_e32 v1, 4, v1
	v_mov_b32_e32 v2, s42
	v_add_nc_u32_e32 v1, 16, v1
	s_clause 0x7
	buffer_load_dword v3, v1, s[0:3], 0 offen
	buffer_load_dword v4, v1, s[0:3], 0 offen offset:4
	buffer_load_dword v5, v1, s[0:3], 0 offen offset:8
	;; [unrolled: 1-line block ×6, first 2 shown]
	buffer_load_dword v104, v2, s[0:3], 0 offen
	s_waitcnt vmcnt(7)
	buffer_store_dword v3, v2, s[0:3], 0 offen
	s_waitcnt vmcnt(6)
	buffer_store_dword v4, v2, s[0:3], 0 offen offset:4
	s_waitcnt vmcnt(5)
	buffer_store_dword v5, v2, s[0:3], 0 offen offset:8
	s_waitcnt vmcnt(4)
	buffer_store_dword v6, v2, s[0:3], 0 offen offset:12
	s_waitcnt vmcnt(3)
	buffer_store_dword v7, v1, s[0:3], 0 offen offset:12
	s_waitcnt vmcnt(2)
	buffer_store_dword v102, v1, s[0:3], 0 offen offset:8
	s_waitcnt vmcnt(1)
	buffer_store_dword v103, v1, s[0:3], 0 offen offset:4
	s_waitcnt vmcnt(0)
	buffer_store_dword v104, v1, s[0:3], 0 offen
.LBB110_354:
	global_load_dword v0, v0, s[12:13] offset:64
	s_waitcnt vmcnt(0)
	v_add_nc_u32_e32 v0, -1, v0
	v_cmp_eq_u32_e32 vcc_lo, 16, v0
	s_cbranch_vccnz .LBB110_356
; %bb.355:
	v_lshlrev_b32_e32 v0, 4, v0
	v_mov_b32_e32 v1, s43
	v_add_nc_u32_e32 v0, 16, v0
	s_clause 0x7
	buffer_load_dword v2, v0, s[0:3], 0 offen
	buffer_load_dword v3, v0, s[0:3], 0 offen offset:4
	buffer_load_dword v4, v0, s[0:3], 0 offen offset:8
	;; [unrolled: 1-line block ×6, first 2 shown]
	buffer_load_dword v103, v1, s[0:3], 0 offen
	s_waitcnt vmcnt(7)
	buffer_store_dword v2, v1, s[0:3], 0 offen
	s_waitcnt vmcnt(6)
	buffer_store_dword v3, v1, s[0:3], 0 offen offset:4
	s_waitcnt vmcnt(5)
	buffer_store_dword v4, v1, s[0:3], 0 offen offset:8
	;; [unrolled: 2-line block ×6, first 2 shown]
	s_waitcnt vmcnt(0)
	buffer_store_dword v103, v0, s[0:3], 0 offen
.LBB110_356:
	v_mov_b32_e32 v0, 0
	global_load_dword v1, v0, s[12:13] offset:60
	s_waitcnt vmcnt(0)
	v_add_nc_u32_e32 v1, -1, v1
	v_cmp_eq_u32_e32 vcc_lo, 15, v1
	s_cbranch_vccnz .LBB110_358
; %bb.357:
	v_lshlrev_b32_e32 v1, 4, v1
	v_mov_b32_e32 v2, s44
	v_add_nc_u32_e32 v1, 16, v1
	s_clause 0x7
	buffer_load_dword v3, v1, s[0:3], 0 offen
	buffer_load_dword v4, v1, s[0:3], 0 offen offset:4
	buffer_load_dword v5, v1, s[0:3], 0 offen offset:8
	;; [unrolled: 1-line block ×6, first 2 shown]
	buffer_load_dword v104, v2, s[0:3], 0 offen
	s_waitcnt vmcnt(7)
	buffer_store_dword v3, v2, s[0:3], 0 offen
	s_waitcnt vmcnt(6)
	buffer_store_dword v4, v2, s[0:3], 0 offen offset:4
	s_waitcnt vmcnt(5)
	buffer_store_dword v5, v2, s[0:3], 0 offen offset:8
	;; [unrolled: 2-line block ×6, first 2 shown]
	s_waitcnt vmcnt(0)
	buffer_store_dword v104, v1, s[0:3], 0 offen
.LBB110_358:
	global_load_dword v0, v0, s[12:13] offset:56
	s_waitcnt vmcnt(0)
	v_add_nc_u32_e32 v0, -1, v0
	v_cmp_eq_u32_e32 vcc_lo, 14, v0
	s_cbranch_vccnz .LBB110_360
; %bb.359:
	v_lshlrev_b32_e32 v0, 4, v0
	v_mov_b32_e32 v1, s45
	v_add_nc_u32_e32 v0, 16, v0
	s_clause 0x7
	buffer_load_dword v2, v0, s[0:3], 0 offen
	buffer_load_dword v3, v0, s[0:3], 0 offen offset:4
	buffer_load_dword v4, v0, s[0:3], 0 offen offset:8
	;; [unrolled: 1-line block ×6, first 2 shown]
	buffer_load_dword v103, v1, s[0:3], 0 offen
	s_waitcnt vmcnt(7)
	buffer_store_dword v2, v1, s[0:3], 0 offen
	s_waitcnt vmcnt(6)
	buffer_store_dword v3, v1, s[0:3], 0 offen offset:4
	s_waitcnt vmcnt(5)
	buffer_store_dword v4, v1, s[0:3], 0 offen offset:8
	;; [unrolled: 2-line block ×6, first 2 shown]
	s_waitcnt vmcnt(0)
	buffer_store_dword v103, v0, s[0:3], 0 offen
.LBB110_360:
	v_mov_b32_e32 v0, 0
	global_load_dword v1, v0, s[12:13] offset:52
	s_waitcnt vmcnt(0)
	v_add_nc_u32_e32 v1, -1, v1
	v_cmp_eq_u32_e32 vcc_lo, 13, v1
	s_cbranch_vccnz .LBB110_362
; %bb.361:
	v_lshlrev_b32_e32 v1, 4, v1
	v_mov_b32_e32 v2, s46
	v_add_nc_u32_e32 v1, 16, v1
	s_clause 0x7
	buffer_load_dword v3, v1, s[0:3], 0 offen
	buffer_load_dword v4, v1, s[0:3], 0 offen offset:4
	buffer_load_dword v5, v1, s[0:3], 0 offen offset:8
	;; [unrolled: 1-line block ×6, first 2 shown]
	buffer_load_dword v104, v2, s[0:3], 0 offen
	s_waitcnt vmcnt(7)
	buffer_store_dword v3, v2, s[0:3], 0 offen
	s_waitcnt vmcnt(6)
	buffer_store_dword v4, v2, s[0:3], 0 offen offset:4
	s_waitcnt vmcnt(5)
	buffer_store_dword v5, v2, s[0:3], 0 offen offset:8
	;; [unrolled: 2-line block ×6, first 2 shown]
	s_waitcnt vmcnt(0)
	buffer_store_dword v104, v1, s[0:3], 0 offen
.LBB110_362:
	global_load_dword v0, v0, s[12:13] offset:48
	s_waitcnt vmcnt(0)
	v_add_nc_u32_e32 v0, -1, v0
	v_cmp_eq_u32_e32 vcc_lo, 12, v0
	s_cbranch_vccnz .LBB110_364
; %bb.363:
	v_lshlrev_b32_e32 v0, 4, v0
	v_mov_b32_e32 v1, s47
	v_add_nc_u32_e32 v0, 16, v0
	s_clause 0x7
	buffer_load_dword v2, v0, s[0:3], 0 offen
	buffer_load_dword v3, v0, s[0:3], 0 offen offset:4
	buffer_load_dword v4, v0, s[0:3], 0 offen offset:8
	;; [unrolled: 1-line block ×6, first 2 shown]
	buffer_load_dword v103, v1, s[0:3], 0 offen
	s_waitcnt vmcnt(7)
	buffer_store_dword v2, v1, s[0:3], 0 offen
	s_waitcnt vmcnt(6)
	buffer_store_dword v3, v1, s[0:3], 0 offen offset:4
	s_waitcnt vmcnt(5)
	buffer_store_dword v4, v1, s[0:3], 0 offen offset:8
	;; [unrolled: 2-line block ×6, first 2 shown]
	s_waitcnt vmcnt(0)
	buffer_store_dword v103, v0, s[0:3], 0 offen
.LBB110_364:
	v_mov_b32_e32 v0, 0
	global_load_dword v1, v0, s[12:13] offset:44
	s_waitcnt vmcnt(0)
	v_add_nc_u32_e32 v1, -1, v1
	v_cmp_eq_u32_e32 vcc_lo, 11, v1
	s_cbranch_vccnz .LBB110_366
; %bb.365:
	v_lshlrev_b32_e32 v1, 4, v1
	v_mov_b32_e32 v2, s48
	v_add_nc_u32_e32 v1, 16, v1
	s_clause 0x7
	buffer_load_dword v3, v1, s[0:3], 0 offen
	buffer_load_dword v4, v1, s[0:3], 0 offen offset:4
	buffer_load_dword v5, v1, s[0:3], 0 offen offset:8
	;; [unrolled: 1-line block ×6, first 2 shown]
	buffer_load_dword v104, v2, s[0:3], 0 offen
	s_waitcnt vmcnt(7)
	buffer_store_dword v3, v2, s[0:3], 0 offen
	s_waitcnt vmcnt(6)
	buffer_store_dword v4, v2, s[0:3], 0 offen offset:4
	s_waitcnt vmcnt(5)
	buffer_store_dword v5, v2, s[0:3], 0 offen offset:8
	;; [unrolled: 2-line block ×6, first 2 shown]
	s_waitcnt vmcnt(0)
	buffer_store_dword v104, v1, s[0:3], 0 offen
.LBB110_366:
	global_load_dword v0, v0, s[12:13] offset:40
	s_waitcnt vmcnt(0)
	v_add_nc_u32_e32 v0, -1, v0
	v_cmp_eq_u32_e32 vcc_lo, 10, v0
	s_cbranch_vccnz .LBB110_368
; %bb.367:
	v_lshlrev_b32_e32 v0, 4, v0
	v_mov_b32_e32 v1, s49
	v_add_nc_u32_e32 v0, 16, v0
	s_clause 0x7
	buffer_load_dword v2, v0, s[0:3], 0 offen
	buffer_load_dword v3, v0, s[0:3], 0 offen offset:4
	buffer_load_dword v4, v0, s[0:3], 0 offen offset:8
	;; [unrolled: 1-line block ×6, first 2 shown]
	buffer_load_dword v103, v1, s[0:3], 0 offen
	s_waitcnt vmcnt(7)
	buffer_store_dword v2, v1, s[0:3], 0 offen
	s_waitcnt vmcnt(6)
	buffer_store_dword v3, v1, s[0:3], 0 offen offset:4
	s_waitcnt vmcnt(5)
	buffer_store_dword v4, v1, s[0:3], 0 offen offset:8
	;; [unrolled: 2-line block ×6, first 2 shown]
	s_waitcnt vmcnt(0)
	buffer_store_dword v103, v0, s[0:3], 0 offen
.LBB110_368:
	v_mov_b32_e32 v0, 0
	global_load_dword v1, v0, s[12:13] offset:36
	s_waitcnt vmcnt(0)
	v_add_nc_u32_e32 v1, -1, v1
	v_cmp_eq_u32_e32 vcc_lo, 9, v1
	s_cbranch_vccnz .LBB110_370
; %bb.369:
	v_lshlrev_b32_e32 v1, 4, v1
	v_mov_b32_e32 v2, s50
	v_add_nc_u32_e32 v1, 16, v1
	s_clause 0x7
	buffer_load_dword v3, v1, s[0:3], 0 offen
	buffer_load_dword v4, v1, s[0:3], 0 offen offset:4
	buffer_load_dword v5, v1, s[0:3], 0 offen offset:8
	;; [unrolled: 1-line block ×6, first 2 shown]
	buffer_load_dword v104, v2, s[0:3], 0 offen
	s_waitcnt vmcnt(7)
	buffer_store_dword v3, v2, s[0:3], 0 offen
	s_waitcnt vmcnt(6)
	buffer_store_dword v4, v2, s[0:3], 0 offen offset:4
	s_waitcnt vmcnt(5)
	buffer_store_dword v5, v2, s[0:3], 0 offen offset:8
	;; [unrolled: 2-line block ×6, first 2 shown]
	s_waitcnt vmcnt(0)
	buffer_store_dword v104, v1, s[0:3], 0 offen
.LBB110_370:
	global_load_dword v0, v0, s[12:13] offset:32
	s_waitcnt vmcnt(0)
	v_add_nc_u32_e32 v0, -1, v0
	v_cmp_eq_u32_e32 vcc_lo, 8, v0
	s_cbranch_vccnz .LBB110_372
; %bb.371:
	v_lshlrev_b32_e32 v0, 4, v0
	v_mov_b32_e32 v1, s51
	v_add_nc_u32_e32 v0, 16, v0
	s_clause 0x7
	buffer_load_dword v2, v0, s[0:3], 0 offen
	buffer_load_dword v3, v0, s[0:3], 0 offen offset:4
	buffer_load_dword v4, v0, s[0:3], 0 offen offset:8
	;; [unrolled: 1-line block ×6, first 2 shown]
	buffer_load_dword v103, v1, s[0:3], 0 offen
	s_waitcnt vmcnt(7)
	buffer_store_dword v2, v1, s[0:3], 0 offen
	s_waitcnt vmcnt(6)
	buffer_store_dword v3, v1, s[0:3], 0 offen offset:4
	s_waitcnt vmcnt(5)
	buffer_store_dword v4, v1, s[0:3], 0 offen offset:8
	;; [unrolled: 2-line block ×6, first 2 shown]
	s_waitcnt vmcnt(0)
	buffer_store_dword v103, v0, s[0:3], 0 offen
.LBB110_372:
	v_mov_b32_e32 v0, 0
	global_load_dword v1, v0, s[12:13] offset:28
	s_waitcnt vmcnt(0)
	v_add_nc_u32_e32 v1, -1, v1
	v_cmp_eq_u32_e32 vcc_lo, 7, v1
	s_cbranch_vccnz .LBB110_374
; %bb.373:
	v_lshlrev_b32_e32 v1, 4, v1
	v_mov_b32_e32 v2, s52
	v_add_nc_u32_e32 v1, 16, v1
	s_clause 0x7
	buffer_load_dword v3, v1, s[0:3], 0 offen
	buffer_load_dword v4, v1, s[0:3], 0 offen offset:4
	buffer_load_dword v5, v1, s[0:3], 0 offen offset:8
	buffer_load_dword v6, v1, s[0:3], 0 offen offset:12
	buffer_load_dword v7, v2, s[0:3], 0 offen offset:12
	buffer_load_dword v102, v2, s[0:3], 0 offen offset:8
	buffer_load_dword v103, v2, s[0:3], 0 offen offset:4
	buffer_load_dword v104, v2, s[0:3], 0 offen
	s_waitcnt vmcnt(7)
	buffer_store_dword v3, v2, s[0:3], 0 offen
	s_waitcnt vmcnt(6)
	buffer_store_dword v4, v2, s[0:3], 0 offen offset:4
	s_waitcnt vmcnt(5)
	buffer_store_dword v5, v2, s[0:3], 0 offen offset:8
	;; [unrolled: 2-line block ×6, first 2 shown]
	s_waitcnt vmcnt(0)
	buffer_store_dword v104, v1, s[0:3], 0 offen
.LBB110_374:
	global_load_dword v0, v0, s[12:13] offset:24
	s_waitcnt vmcnt(0)
	v_add_nc_u32_e32 v0, -1, v0
	v_cmp_eq_u32_e32 vcc_lo, 6, v0
	s_cbranch_vccnz .LBB110_376
; %bb.375:
	v_lshlrev_b32_e32 v0, 4, v0
	v_mov_b32_e32 v1, s53
	v_add_nc_u32_e32 v0, 16, v0
	s_clause 0x7
	buffer_load_dword v2, v0, s[0:3], 0 offen
	buffer_load_dword v3, v0, s[0:3], 0 offen offset:4
	buffer_load_dword v4, v0, s[0:3], 0 offen offset:8
	;; [unrolled: 1-line block ×6, first 2 shown]
	buffer_load_dword v103, v1, s[0:3], 0 offen
	s_waitcnt vmcnt(7)
	buffer_store_dword v2, v1, s[0:3], 0 offen
	s_waitcnt vmcnt(6)
	buffer_store_dword v3, v1, s[0:3], 0 offen offset:4
	s_waitcnt vmcnt(5)
	buffer_store_dword v4, v1, s[0:3], 0 offen offset:8
	s_waitcnt vmcnt(4)
	buffer_store_dword v5, v1, s[0:3], 0 offen offset:12
	s_waitcnt vmcnt(3)
	buffer_store_dword v6, v0, s[0:3], 0 offen offset:12
	s_waitcnt vmcnt(2)
	buffer_store_dword v7, v0, s[0:3], 0 offen offset:8
	s_waitcnt vmcnt(1)
	buffer_store_dword v102, v0, s[0:3], 0 offen offset:4
	s_waitcnt vmcnt(0)
	buffer_store_dword v103, v0, s[0:3], 0 offen
.LBB110_376:
	v_mov_b32_e32 v0, 0
	global_load_dword v1, v0, s[12:13] offset:20
	s_waitcnt vmcnt(0)
	v_add_nc_u32_e32 v1, -1, v1
	v_cmp_eq_u32_e32 vcc_lo, 5, v1
	s_cbranch_vccnz .LBB110_378
; %bb.377:
	v_lshlrev_b32_e32 v1, 4, v1
	v_mov_b32_e32 v2, s54
	v_add_nc_u32_e32 v1, 16, v1
	s_clause 0x7
	buffer_load_dword v3, v1, s[0:3], 0 offen
	buffer_load_dword v4, v1, s[0:3], 0 offen offset:4
	buffer_load_dword v5, v1, s[0:3], 0 offen offset:8
	;; [unrolled: 1-line block ×6, first 2 shown]
	buffer_load_dword v104, v2, s[0:3], 0 offen
	s_waitcnt vmcnt(7)
	buffer_store_dword v3, v2, s[0:3], 0 offen
	s_waitcnt vmcnt(6)
	buffer_store_dword v4, v2, s[0:3], 0 offen offset:4
	s_waitcnt vmcnt(5)
	buffer_store_dword v5, v2, s[0:3], 0 offen offset:8
	s_waitcnt vmcnt(4)
	buffer_store_dword v6, v2, s[0:3], 0 offen offset:12
	s_waitcnt vmcnt(3)
	buffer_store_dword v7, v1, s[0:3], 0 offen offset:12
	s_waitcnt vmcnt(2)
	buffer_store_dword v102, v1, s[0:3], 0 offen offset:8
	s_waitcnt vmcnt(1)
	buffer_store_dword v103, v1, s[0:3], 0 offen offset:4
	s_waitcnt vmcnt(0)
	buffer_store_dword v104, v1, s[0:3], 0 offen
.LBB110_378:
	global_load_dword v0, v0, s[12:13] offset:16
	s_waitcnt vmcnt(0)
	v_add_nc_u32_e32 v0, -1, v0
	v_cmp_eq_u32_e32 vcc_lo, 4, v0
	s_cbranch_vccnz .LBB110_380
; %bb.379:
	v_lshlrev_b32_e32 v0, 4, v0
	v_mov_b32_e32 v1, s55
	v_add_nc_u32_e32 v0, 16, v0
	s_clause 0x7
	buffer_load_dword v2, v0, s[0:3], 0 offen
	buffer_load_dword v3, v0, s[0:3], 0 offen offset:4
	buffer_load_dword v4, v0, s[0:3], 0 offen offset:8
	;; [unrolled: 1-line block ×6, first 2 shown]
	buffer_load_dword v103, v1, s[0:3], 0 offen
	s_waitcnt vmcnt(7)
	buffer_store_dword v2, v1, s[0:3], 0 offen
	s_waitcnt vmcnt(6)
	buffer_store_dword v3, v1, s[0:3], 0 offen offset:4
	s_waitcnt vmcnt(5)
	buffer_store_dword v4, v1, s[0:3], 0 offen offset:8
	;; [unrolled: 2-line block ×6, first 2 shown]
	s_waitcnt vmcnt(0)
	buffer_store_dword v103, v0, s[0:3], 0 offen
.LBB110_380:
	v_mov_b32_e32 v0, 0
	global_load_dword v1, v0, s[12:13] offset:12
	s_waitcnt vmcnt(0)
	v_add_nc_u32_e32 v1, -1, v1
	v_cmp_eq_u32_e32 vcc_lo, 3, v1
	s_cbranch_vccnz .LBB110_382
; %bb.381:
	v_lshlrev_b32_e32 v1, 4, v1
	v_mov_b32_e32 v2, s56
	v_add_nc_u32_e32 v1, 16, v1
	s_clause 0x7
	buffer_load_dword v3, v1, s[0:3], 0 offen
	buffer_load_dword v4, v1, s[0:3], 0 offen offset:4
	buffer_load_dword v5, v1, s[0:3], 0 offen offset:8
	;; [unrolled: 1-line block ×6, first 2 shown]
	buffer_load_dword v104, v2, s[0:3], 0 offen
	s_waitcnt vmcnt(7)
	buffer_store_dword v3, v2, s[0:3], 0 offen
	s_waitcnt vmcnt(6)
	buffer_store_dword v4, v2, s[0:3], 0 offen offset:4
	s_waitcnt vmcnt(5)
	buffer_store_dword v5, v2, s[0:3], 0 offen offset:8
	;; [unrolled: 2-line block ×6, first 2 shown]
	s_waitcnt vmcnt(0)
	buffer_store_dword v104, v1, s[0:3], 0 offen
.LBB110_382:
	global_load_dword v0, v0, s[12:13] offset:8
	s_waitcnt vmcnt(0)
	v_add_nc_u32_e32 v0, -1, v0
	v_cmp_eq_u32_e32 vcc_lo, 2, v0
	s_cbranch_vccnz .LBB110_384
; %bb.383:
	v_lshlrev_b32_e32 v0, 4, v0
	v_mov_b32_e32 v1, s57
	v_add_nc_u32_e32 v0, 16, v0
	s_clause 0x7
	buffer_load_dword v2, v0, s[0:3], 0 offen
	buffer_load_dword v3, v0, s[0:3], 0 offen offset:4
	buffer_load_dword v4, v0, s[0:3], 0 offen offset:8
	;; [unrolled: 1-line block ×6, first 2 shown]
	buffer_load_dword v103, v1, s[0:3], 0 offen
	s_waitcnt vmcnt(7)
	buffer_store_dword v2, v1, s[0:3], 0 offen
	s_waitcnt vmcnt(6)
	buffer_store_dword v3, v1, s[0:3], 0 offen offset:4
	s_waitcnt vmcnt(5)
	buffer_store_dword v4, v1, s[0:3], 0 offen offset:8
	;; [unrolled: 2-line block ×6, first 2 shown]
	s_waitcnt vmcnt(0)
	buffer_store_dword v103, v0, s[0:3], 0 offen
.LBB110_384:
	v_mov_b32_e32 v0, 0
	global_load_dword v1, v0, s[12:13] offset:4
	s_waitcnt vmcnt(0)
	v_add_nc_u32_e32 v1, -1, v1
	v_cmp_eq_u32_e32 vcc_lo, 1, v1
	s_cbranch_vccnz .LBB110_386
; %bb.385:
	v_lshlrev_b32_e32 v1, 4, v1
	v_mov_b32_e32 v2, s58
	v_add_nc_u32_e32 v1, 16, v1
	s_clause 0x7
	buffer_load_dword v3, v1, s[0:3], 0 offen
	buffer_load_dword v4, v1, s[0:3], 0 offen offset:4
	buffer_load_dword v5, v1, s[0:3], 0 offen offset:8
	;; [unrolled: 1-line block ×6, first 2 shown]
	buffer_load_dword v104, v2, s[0:3], 0 offen
	s_waitcnt vmcnt(7)
	buffer_store_dword v3, v2, s[0:3], 0 offen
	s_waitcnt vmcnt(6)
	buffer_store_dword v4, v2, s[0:3], 0 offen offset:4
	s_waitcnt vmcnt(5)
	buffer_store_dword v5, v2, s[0:3], 0 offen offset:8
	;; [unrolled: 2-line block ×6, first 2 shown]
	s_waitcnt vmcnt(0)
	buffer_store_dword v104, v1, s[0:3], 0 offen
.LBB110_386:
	global_load_dword v0, v0, s[12:13]
	s_waitcnt vmcnt(0)
	v_add_nc_u32_e32 v0, -1, v0
	v_cmp_eq_u32_e32 vcc_lo, 0, v0
	s_cbranch_vccnz .LBB110_388
; %bb.387:
	v_lshlrev_b32_e32 v0, 4, v0
	v_add_nc_u32_e32 v0, 16, v0
	s_clause 0x7
	buffer_load_dword v1, v0, s[0:3], 0 offen
	buffer_load_dword v2, v0, s[0:3], 0 offen offset:4
	buffer_load_dword v3, v0, s[0:3], 0 offen offset:8
	buffer_load_dword v4, v0, s[0:3], 0 offen offset:12
	buffer_load_dword v5, off, s[0:3], 0 offset:28
	buffer_load_dword v6, off, s[0:3], 0 offset:24
	;; [unrolled: 1-line block ×4, first 2 shown]
	s_waitcnt vmcnt(7)
	buffer_store_dword v1, off, s[0:3], 0 offset:16
	s_waitcnt vmcnt(6)
	buffer_store_dword v2, off, s[0:3], 0 offset:20
	;; [unrolled: 2-line block ×4, first 2 shown]
	s_waitcnt vmcnt(3)
	buffer_store_dword v5, v0, s[0:3], 0 offen offset:12
	s_waitcnt vmcnt(2)
	buffer_store_dword v6, v0, s[0:3], 0 offen offset:8
	;; [unrolled: 2-line block ×3, first 2 shown]
	s_waitcnt vmcnt(0)
	buffer_store_dword v102, v0, s[0:3], 0 offen
.LBB110_388:
	s_clause 0x3
	buffer_load_dword v0, off, s[0:3], 0 offset:16
	buffer_load_dword v1, off, s[0:3], 0 offset:20
	;; [unrolled: 1-line block ×4, first 2 shown]
	v_mov_b32_e32 v4, s58
	s_waitcnt vmcnt(0)
	flat_store_dwordx4 v[8:9], v[0:3]
	s_clause 0x3
	buffer_load_dword v0, v4, s[0:3], 0 offen
	buffer_load_dword v1, v4, s[0:3], 0 offen offset:4
	buffer_load_dword v2, v4, s[0:3], 0 offen offset:8
	buffer_load_dword v3, v4, s[0:3], 0 offen offset:12
	v_mov_b32_e32 v4, s57
	s_waitcnt vmcnt(0)
	flat_store_dwordx4 v[62:63], v[0:3]
	s_clause 0x3
	buffer_load_dword v0, v4, s[0:3], 0 offen
	buffer_load_dword v1, v4, s[0:3], 0 offen offset:4
	buffer_load_dword v2, v4, s[0:3], 0 offen offset:8
	buffer_load_dword v3, v4, s[0:3], 0 offen offset:12
	;; [unrolled: 8-line block ×46, first 2 shown]
	s_waitcnt vmcnt(0)
	flat_store_dwordx4 v[100:101], v[0:3]
	s_endpgm
	.section	.rodata,"a",@progbits
	.p2align	6, 0x0
	.amdhsa_kernel _ZN9rocsolver6v33100L18getri_kernel_smallILi47E19rocblas_complex_numIdEPKPS3_EEvT1_iilPiilS8_bb
		.amdhsa_group_segment_fixed_size 1512
		.amdhsa_private_segment_fixed_size 784
		.amdhsa_kernarg_size 60
		.amdhsa_user_sgpr_count 6
		.amdhsa_user_sgpr_private_segment_buffer 1
		.amdhsa_user_sgpr_dispatch_ptr 0
		.amdhsa_user_sgpr_queue_ptr 0
		.amdhsa_user_sgpr_kernarg_segment_ptr 1
		.amdhsa_user_sgpr_dispatch_id 0
		.amdhsa_user_sgpr_flat_scratch_init 0
		.amdhsa_user_sgpr_private_segment_size 0
		.amdhsa_wavefront_size32 1
		.amdhsa_uses_dynamic_stack 0
		.amdhsa_system_sgpr_private_segment_wavefront_offset 1
		.amdhsa_system_sgpr_workgroup_id_x 1
		.amdhsa_system_sgpr_workgroup_id_y 0
		.amdhsa_system_sgpr_workgroup_id_z 0
		.amdhsa_system_sgpr_workgroup_info 0
		.amdhsa_system_vgpr_workitem_id 0
		.amdhsa_next_free_vgpr 189
		.amdhsa_next_free_sgpr 81
		.amdhsa_reserve_vcc 1
		.amdhsa_reserve_flat_scratch 0
		.amdhsa_float_round_mode_32 0
		.amdhsa_float_round_mode_16_64 0
		.amdhsa_float_denorm_mode_32 3
		.amdhsa_float_denorm_mode_16_64 3
		.amdhsa_dx10_clamp 1
		.amdhsa_ieee_mode 1
		.amdhsa_fp16_overflow 0
		.amdhsa_workgroup_processor_mode 1
		.amdhsa_memory_ordered 1
		.amdhsa_forward_progress 1
		.amdhsa_shared_vgpr_count 0
		.amdhsa_exception_fp_ieee_invalid_op 0
		.amdhsa_exception_fp_denorm_src 0
		.amdhsa_exception_fp_ieee_div_zero 0
		.amdhsa_exception_fp_ieee_overflow 0
		.amdhsa_exception_fp_ieee_underflow 0
		.amdhsa_exception_fp_ieee_inexact 0
		.amdhsa_exception_int_div_zero 0
	.end_amdhsa_kernel
	.section	.text._ZN9rocsolver6v33100L18getri_kernel_smallILi47E19rocblas_complex_numIdEPKPS3_EEvT1_iilPiilS8_bb,"axG",@progbits,_ZN9rocsolver6v33100L18getri_kernel_smallILi47E19rocblas_complex_numIdEPKPS3_EEvT1_iilPiilS8_bb,comdat
.Lfunc_end110:
	.size	_ZN9rocsolver6v33100L18getri_kernel_smallILi47E19rocblas_complex_numIdEPKPS3_EEvT1_iilPiilS8_bb, .Lfunc_end110-_ZN9rocsolver6v33100L18getri_kernel_smallILi47E19rocblas_complex_numIdEPKPS3_EEvT1_iilPiilS8_bb
                                        ; -- End function
	.set _ZN9rocsolver6v33100L18getri_kernel_smallILi47E19rocblas_complex_numIdEPKPS3_EEvT1_iilPiilS8_bb.num_vgpr, 189
	.set _ZN9rocsolver6v33100L18getri_kernel_smallILi47E19rocblas_complex_numIdEPKPS3_EEvT1_iilPiilS8_bb.num_agpr, 0
	.set _ZN9rocsolver6v33100L18getri_kernel_smallILi47E19rocblas_complex_numIdEPKPS3_EEvT1_iilPiilS8_bb.numbered_sgpr, 81
	.set _ZN9rocsolver6v33100L18getri_kernel_smallILi47E19rocblas_complex_numIdEPKPS3_EEvT1_iilPiilS8_bb.num_named_barrier, 0
	.set _ZN9rocsolver6v33100L18getri_kernel_smallILi47E19rocblas_complex_numIdEPKPS3_EEvT1_iilPiilS8_bb.private_seg_size, 784
	.set _ZN9rocsolver6v33100L18getri_kernel_smallILi47E19rocblas_complex_numIdEPKPS3_EEvT1_iilPiilS8_bb.uses_vcc, 1
	.set _ZN9rocsolver6v33100L18getri_kernel_smallILi47E19rocblas_complex_numIdEPKPS3_EEvT1_iilPiilS8_bb.uses_flat_scratch, 0
	.set _ZN9rocsolver6v33100L18getri_kernel_smallILi47E19rocblas_complex_numIdEPKPS3_EEvT1_iilPiilS8_bb.has_dyn_sized_stack, 0
	.set _ZN9rocsolver6v33100L18getri_kernel_smallILi47E19rocblas_complex_numIdEPKPS3_EEvT1_iilPiilS8_bb.has_recursion, 0
	.set _ZN9rocsolver6v33100L18getri_kernel_smallILi47E19rocblas_complex_numIdEPKPS3_EEvT1_iilPiilS8_bb.has_indirect_call, 0
	.section	.AMDGPU.csdata,"",@progbits
; Kernel info:
; codeLenInByte = 150328
; TotalNumSgprs: 83
; NumVgprs: 189
; ScratchSize: 784
; MemoryBound: 0
; FloatMode: 240
; IeeeMode: 1
; LDSByteSize: 1512 bytes/workgroup (compile time only)
; SGPRBlocks: 0
; VGPRBlocks: 23
; NumSGPRsForWavesPerEU: 83
; NumVGPRsForWavesPerEU: 189
; Occupancy: 5
; WaveLimiterHint : 1
; COMPUTE_PGM_RSRC2:SCRATCH_EN: 1
; COMPUTE_PGM_RSRC2:USER_SGPR: 6
; COMPUTE_PGM_RSRC2:TRAP_HANDLER: 0
; COMPUTE_PGM_RSRC2:TGID_X_EN: 1
; COMPUTE_PGM_RSRC2:TGID_Y_EN: 0
; COMPUTE_PGM_RSRC2:TGID_Z_EN: 0
; COMPUTE_PGM_RSRC2:TIDIG_COMP_CNT: 0
	.section	.text._ZN9rocsolver6v33100L18getri_kernel_smallILi48E19rocblas_complex_numIdEPKPS3_EEvT1_iilPiilS8_bb,"axG",@progbits,_ZN9rocsolver6v33100L18getri_kernel_smallILi48E19rocblas_complex_numIdEPKPS3_EEvT1_iilPiilS8_bb,comdat
	.globl	_ZN9rocsolver6v33100L18getri_kernel_smallILi48E19rocblas_complex_numIdEPKPS3_EEvT1_iilPiilS8_bb ; -- Begin function _ZN9rocsolver6v33100L18getri_kernel_smallILi48E19rocblas_complex_numIdEPKPS3_EEvT1_iilPiilS8_bb
	.p2align	8
	.type	_ZN9rocsolver6v33100L18getri_kernel_smallILi48E19rocblas_complex_numIdEPKPS3_EEvT1_iilPiilS8_bb,@function
_ZN9rocsolver6v33100L18getri_kernel_smallILi48E19rocblas_complex_numIdEPKPS3_EEvT1_iilPiilS8_bb: ; @_ZN9rocsolver6v33100L18getri_kernel_smallILi48E19rocblas_complex_numIdEPKPS3_EEvT1_iilPiilS8_bb
; %bb.0:
	s_add_u32 s0, s0, s7
	s_addc_u32 s1, s1, 0
	s_mov_b32 s7, exec_lo
	v_cmpx_gt_u32_e32 48, v0
	s_cbranch_execz .LBB111_206
; %bb.1:
	s_clause 0x2
	s_load_dword s16, s[4:5], 0x38
	s_load_dwordx2 s[12:13], s[4:5], 0x0
	s_load_dwordx4 s[8:11], s[4:5], 0x28
	s_waitcnt lgkmcnt(0)
	s_bitcmp1_b32 s16, 8
	s_cselect_b32 s60, -1, 0
	s_ashr_i32 s7, s6, 31
	s_lshl_b64 s[14:15], s[6:7], 3
	s_add_u32 s12, s12, s14
	s_addc_u32 s13, s13, s15
	s_load_dwordx2 s[14:15], s[12:13], 0x0
	s_bfe_u32 s12, s16, 0x10008
	s_cmp_eq_u32 s12, 0
                                        ; implicit-def: $sgpr12_sgpr13
	s_cbranch_scc1 .LBB111_3
; %bb.2:
	s_clause 0x1
	s_load_dword s12, s[4:5], 0x20
	s_load_dwordx2 s[16:17], s[4:5], 0x18
	s_mul_i32 s13, s8, s7
	s_mul_hi_u32 s18, s8, s6
	s_mul_i32 s9, s9, s6
	s_add_i32 s13, s18, s13
	s_mul_i32 s8, s8, s6
	s_add_i32 s9, s13, s9
	s_lshl_b64 s[8:9], s[8:9], 2
	s_waitcnt lgkmcnt(0)
	s_ashr_i32 s13, s12, 31
	s_add_u32 s16, s16, s8
	s_addc_u32 s17, s17, s9
	s_lshl_b64 s[8:9], s[12:13], 2
	s_add_u32 s12, s16, s8
	s_addc_u32 s13, s17, s9
.LBB111_3:
	s_clause 0x1
	s_load_dwordx2 s[8:9], s[4:5], 0x8
	s_load_dword s61, s[4:5], 0x38
	v_lshlrev_b32_e32 v107, 4, v0
	s_movk_i32 s16, 0xa0
	s_movk_i32 s17, 0xb0
	;; [unrolled: 1-line block ×17, first 2 shown]
	s_waitcnt lgkmcnt(0)
	s_ashr_i32 s5, s8, 31
	s_mov_b32 s4, s8
	v_add3_u32 v5, s9, s9, v0
	s_lshl_b64 s[4:5], s[4:5], 4
	s_movk_i32 s62, 0x1b0
	s_add_u32 s8, s14, s4
	s_addc_u32 s14, s15, s5
	v_add_co_u32 v9, s4, s8, v107
	v_add_co_ci_u32_e64 v10, null, s14, 0, s4
	s_mov_b32 s4, s9
	s_ashr_i32 s5, s9, 31
	v_ashrrev_i32_e32 v6, 31, v5
	flat_load_dwordx4 v[1:4], v[9:10]
	s_lshl_b64 s[4:5], s[4:5], 4
	s_movk_i32 s15, 0x90
	v_add_co_u32 v63, vcc_lo, v9, s4
	v_add_co_ci_u32_e64 v64, null, s5, v10, vcc_lo
	v_lshlrev_b64 v[6:7], 4, v[5:6]
	v_add_nc_u32_e32 v5, s9, v5
	s_movk_i32 s4, 0x50
	s_movk_i32 s63, 0x1c0
	;; [unrolled: 1-line block ×4, first 2 shown]
	v_add_co_u32 v61, vcc_lo, s8, v6
	v_add_co_ci_u32_e64 v62, null, s14, v7, vcc_lo
	v_ashrrev_i32_e32 v6, 31, v5
	s_movk_i32 s66, 0x1f0
	s_movk_i32 s67, 0x200
	;; [unrolled: 1-line block ×4, first 2 shown]
	v_lshlrev_b64 v[6:7], 4, v[5:6]
	v_add_nc_u32_e32 v5, s9, v5
	s_movk_i32 s70, 0x230
	s_movk_i32 s71, 0x240
	;; [unrolled: 1-line block ×4, first 2 shown]
	v_add_co_u32 v57, vcc_lo, s8, v6
	v_add_co_ci_u32_e64 v58, null, s14, v7, vcc_lo
	v_ashrrev_i32_e32 v6, 31, v5
	s_movk_i32 s74, 0x270
	s_movk_i32 s75, 0x280
	;; [unrolled: 1-line block ×4, first 2 shown]
	v_lshlrev_b64 v[6:7], 4, v[5:6]
	v_add_nc_u32_e32 v5, s9, v5
	s_movk_i32 s78, 0x2b0
	s_movk_i32 s79, 0x2c0
	;; [unrolled: 1-line block ×4, first 2 shown]
	v_add_co_u32 v55, vcc_lo, s8, v6
	v_add_co_ci_u32_e64 v56, null, s14, v7, vcc_lo
	v_ashrrev_i32_e32 v6, 31, v5
	s_movk_i32 s82, 0x2f0
	s_add_i32 s55, s4, 16
	s_add_i32 s51, s15, 16
	s_add_i32 s50, s16, 16
	v_lshlrev_b64 v[6:7], 4, v[5:6]
	v_add_nc_u32_e32 v5, s9, v5
	s_add_i32 s49, s17, 16
	s_add_i32 s48, s18, 16
	s_add_i32 s47, s19, 16
	s_add_i32 s46, s20, 16
	v_add_co_u32 v53, vcc_lo, s8, v6
	v_add_co_ci_u32_e64 v54, null, s14, v7, vcc_lo
	v_ashrrev_i32_e32 v6, 31, v5
	s_add_i32 s45, s21, 16
	s_add_i32 s44, s22, 16
	s_add_i32 s43, s23, 16
	s_add_i32 s42, s24, 16
	v_lshlrev_b64 v[6:7], 4, v[5:6]
	v_add_nc_u32_e32 v5, s9, v5
	s_add_i32 s41, s25, 16
	s_add_i32 s40, s26, 16
	s_add_i32 s39, s27, 16
	s_add_i32 s38, s28, 16
	v_add_co_u32 v51, vcc_lo, s8, v6
	v_add_co_ci_u32_e64 v52, null, s14, v7, vcc_lo
	v_ashrrev_i32_e32 v6, 31, v5
	s_add_i32 s37, s29, 16
	;; [unrolled: 13-line block ×4, first 2 shown]
	s_add_i32 s19, s75, 16
	s_add_i32 s18, s76, 16
	;; [unrolled: 1-line block ×3, first 2 shown]
	v_lshlrev_b64 v[6:7], 4, v[5:6]
	v_add_nc_u32_e32 v5, s9, v5
	s_add_i32 s16, s78, 16
	s_add_i32 s15, s79, 16
	s_mov_b32 s5, -1
	s_mov_b32 s59, 32
	v_add_co_u32 v45, vcc_lo, s8, v6
	v_add_co_ci_u32_e64 v46, null, s14, v7, vcc_lo
	v_ashrrev_i32_e32 v6, 31, v5
	s_mov_b32 s58, 48
	s_mov_b32 s57, 64
	s_movk_i32 s56, 0x50
	s_waitcnt vmcnt(0) lgkmcnt(0)
	buffer_store_dword v4, off, s[0:3], 0 offset:28
	buffer_store_dword v3, off, s[0:3], 0 offset:24
	buffer_store_dword v2, off, s[0:3], 0 offset:20
	buffer_store_dword v1, off, s[0:3], 0 offset:16
	flat_load_dwordx4 v[1:4], v[63:64]
	v_lshlrev_b64 v[6:7], 4, v[5:6]
	v_add_nc_u32_e32 v5, s9, v5
	s_waitcnt vmcnt(0) lgkmcnt(0)
	buffer_store_dword v4, off, s[0:3], 0 offset:44
	buffer_store_dword v3, off, s[0:3], 0 offset:40
	buffer_store_dword v2, off, s[0:3], 0 offset:36
	buffer_store_dword v1, off, s[0:3], 0 offset:32
	flat_load_dwordx4 v[1:4], v[61:62]
	v_add_co_u32 v43, vcc_lo, s8, v6
	v_add_co_ci_u32_e64 v44, null, s14, v7, vcc_lo
	v_ashrrev_i32_e32 v6, 31, v5
	s_waitcnt vmcnt(0) lgkmcnt(0)
	buffer_store_dword v4, off, s[0:3], 0 offset:60
	buffer_store_dword v3, off, s[0:3], 0 offset:56
	buffer_store_dword v2, off, s[0:3], 0 offset:52
	buffer_store_dword v1, off, s[0:3], 0 offset:48
	flat_load_dwordx4 v[1:4], v[57:58]
	v_lshlrev_b64 v[6:7], 4, v[5:6]
	v_add_nc_u32_e32 v5, s9, v5
	s_waitcnt vmcnt(0) lgkmcnt(0)
	buffer_store_dword v4, off, s[0:3], 0 offset:76
	buffer_store_dword v3, off, s[0:3], 0 offset:72
	buffer_store_dword v2, off, s[0:3], 0 offset:68
	buffer_store_dword v1, off, s[0:3], 0 offset:64
	flat_load_dwordx4 v[1:4], v[55:56]
	v_add_co_u32 v41, vcc_lo, s8, v6
	v_add_co_ci_u32_e64 v42, null, s14, v7, vcc_lo
	v_ashrrev_i32_e32 v6, 31, v5
	;; [unrolled: 17-line block ×8, first 2 shown]
	s_waitcnt vmcnt(0) lgkmcnt(0)
	buffer_store_dword v4, off, s[0:3], 0 offset:284
	buffer_store_dword v3, off, s[0:3], 0 offset:280
	;; [unrolled: 1-line block ×4, first 2 shown]
	flat_load_dwordx4 v[1:4], v[27:28]
	v_lshlrev_b64 v[6:7], 4, v[5:6]
	v_add_nc_u32_e32 v5, s9, v5
	s_waitcnt vmcnt(0) lgkmcnt(0)
	buffer_store_dword v4, off, s[0:3], 0 offset:300
	buffer_store_dword v3, off, s[0:3], 0 offset:296
	;; [unrolled: 1-line block ×4, first 2 shown]
	v_add_co_u32 v25, vcc_lo, s8, v6
	v_add_co_ci_u32_e64 v26, null, s14, v7, vcc_lo
	v_ashrrev_i32_e32 v6, 31, v5
	flat_load_dwordx4 v[1:4], v[25:26]
	s_waitcnt vmcnt(0) lgkmcnt(0)
	buffer_store_dword v4, off, s[0:3], 0 offset:316
	buffer_store_dword v3, off, s[0:3], 0 offset:312
	buffer_store_dword v2, off, s[0:3], 0 offset:308
	buffer_store_dword v1, off, s[0:3], 0 offset:304
	v_lshlrev_b64 v[6:7], 4, v[5:6]
	v_add_nc_u32_e32 v5, s9, v5
	v_add_co_u32 v23, vcc_lo, s8, v6
	v_add_co_ci_u32_e64 v24, null, s14, v7, vcc_lo
	v_ashrrev_i32_e32 v6, 31, v5
	flat_load_dwordx4 v[1:4], v[23:24]
	s_waitcnt vmcnt(0) lgkmcnt(0)
	buffer_store_dword v4, off, s[0:3], 0 offset:332
	buffer_store_dword v3, off, s[0:3], 0 offset:328
	buffer_store_dword v2, off, s[0:3], 0 offset:324
	buffer_store_dword v1, off, s[0:3], 0 offset:320
	v_lshlrev_b64 v[6:7], 4, v[5:6]
	v_add_nc_u32_e32 v5, s9, v5
	;; [unrolled: 11-line block ×28, first 2 shown]
	s_movk_i32 s9, 0x70
	s_add_i32 s53, s9, 16
	s_add_i32 s9, s81, 16
	v_add_co_u32 v101, vcc_lo, s8, v6
	v_add_co_ci_u32_e64 v102, null, s14, v7, vcc_lo
	v_ashrrev_i32_e32 v6, 31, v5
	flat_load_dwordx4 v[1:4], v[101:102]
	s_waitcnt vmcnt(0) lgkmcnt(0)
	buffer_store_dword v4, off, s[0:3], 0 offset:764
	buffer_store_dword v3, off, s[0:3], 0 offset:760
	;; [unrolled: 1-line block ×4, first 2 shown]
	v_lshlrev_b64 v[5:6], 4, v[5:6]
	v_add_co_u32 v103, vcc_lo, s8, v5
	v_add_co_ci_u32_e64 v104, null, s14, v6, vcc_lo
	s_movk_i32 s8, 0x60
	s_movk_i32 s14, 0x80
	s_add_i32 s54, s8, 16
	flat_load_dwordx4 v[1:4], v[103:104]
	s_add_i32 s52, s14, 16
	s_add_i32 s14, s80, 16
	;; [unrolled: 1-line block ×3, first 2 shown]
	s_bitcmp0_b32 s61, 0
	s_waitcnt vmcnt(0) lgkmcnt(0)
	buffer_store_dword v4, off, s[0:3], 0 offset:780
	buffer_store_dword v3, off, s[0:3], 0 offset:776
	;; [unrolled: 1-line block ×4, first 2 shown]
	s_cbranch_scc1 .LBB111_204
; %bb.4:
	v_cmp_eq_u32_e64 s4, 0, v0
	s_and_saveexec_b32 s5, s4
; %bb.5:
	v_mov_b32_e32 v1, 0
	ds_write_b32 v1, v1 offset:1536
; %bb.6:
	s_or_b32 exec_lo, exec_lo, s5
	v_lshl_add_u32 v108, v0, 4, 16
	s_waitcnt lgkmcnt(0)
	s_waitcnt_vscnt null, 0x0
	s_barrier
	buffer_gl0_inv
	s_clause 0x3
	buffer_load_dword v1, v108, s[0:3], 0 offen
	buffer_load_dword v2, v108, s[0:3], 0 offen offset:4
	buffer_load_dword v3, v108, s[0:3], 0 offen offset:8
	;; [unrolled: 1-line block ×3, first 2 shown]
	s_waitcnt vmcnt(2)
	v_cmp_eq_f64_e32 vcc_lo, 0, v[1:2]
	s_waitcnt vmcnt(0)
	v_cmp_eq_f64_e64 s5, 0, v[3:4]
	s_and_b32 s5, vcc_lo, s5
	s_and_saveexec_b32 s61, s5
	s_cbranch_execz .LBB111_10
; %bb.7:
	v_mov_b32_e32 v1, 0
	s_mov_b32 s62, 0
	ds_read_b32 v2, v1 offset:1536
	s_waitcnt lgkmcnt(0)
	v_readfirstlane_b32 s5, v2
	v_add_nc_u32_e32 v2, 1, v0
	s_cmp_eq_u32 s5, 0
	v_cmp_gt_i32_e32 vcc_lo, s5, v2
	s_cselect_b32 s63, -1, 0
	s_or_b32 s63, s63, vcc_lo
	s_and_b32 exec_lo, exec_lo, s63
	s_cbranch_execz .LBB111_10
; %bb.8:
	v_mov_b32_e32 v3, s5
.LBB111_9:                              ; =>This Inner Loop Header: Depth=1
	ds_cmpst_rtn_b32 v3, v1, v3, v2 offset:1536
	s_waitcnt lgkmcnt(0)
	v_cmp_ne_u32_e32 vcc_lo, 0, v3
	v_cmp_le_i32_e64 s5, v3, v2
	s_and_b32 s5, vcc_lo, s5
	s_and_b32 s5, exec_lo, s5
	s_or_b32 s62, s5, s62
	s_andn2_b32 exec_lo, exec_lo, s62
	s_cbranch_execnz .LBB111_9
.LBB111_10:
	s_or_b32 exec_lo, exec_lo, s61
	v_mov_b32_e32 v1, 0
	s_barrier
	buffer_gl0_inv
	ds_read_b32 v2, v1 offset:1536
	s_and_saveexec_b32 s5, s4
	s_cbranch_execz .LBB111_12
; %bb.11:
	s_lshl_b64 s[62:63], s[6:7], 2
	s_add_u32 s62, s10, s62
	s_addc_u32 s63, s11, s63
	s_waitcnt lgkmcnt(0)
	global_store_dword v1, v2, s[62:63]
.LBB111_12:
	s_or_b32 exec_lo, exec_lo, s5
	s_waitcnt lgkmcnt(0)
	v_cmp_ne_u32_e32 vcc_lo, 0, v2
	s_mov_b32 s5, 0
	s_cbranch_vccnz .LBB111_204
; %bb.13:
	s_clause 0x3
	buffer_load_dword v7, v108, s[0:3], 0 offen
	buffer_load_dword v8, v108, s[0:3], 0 offen offset:4
	buffer_load_dword v105, v108, s[0:3], 0 offen offset:8
	;; [unrolled: 1-line block ×3, first 2 shown]
                                        ; implicit-def: $vgpr5_vgpr6
                                        ; implicit-def: $vgpr3_vgpr4
	s_waitcnt vmcnt(0)
	v_cmp_ngt_f64_e64 s5, |v[7:8]|, |v[105:106]|
	s_and_saveexec_b32 s61, s5
	s_xor_b32 s5, exec_lo, s61
	s_cbranch_execz .LBB111_15
; %bb.14:
	v_div_scale_f64 v[1:2], null, v[105:106], v[105:106], v[7:8]
	v_div_scale_f64 v[109:110], vcc_lo, v[7:8], v[105:106], v[7:8]
	v_rcp_f64_e32 v[3:4], v[1:2]
	v_fma_f64 v[5:6], -v[1:2], v[3:4], 1.0
	v_fma_f64 v[3:4], v[3:4], v[5:6], v[3:4]
	v_fma_f64 v[5:6], -v[1:2], v[3:4], 1.0
	v_fma_f64 v[3:4], v[3:4], v[5:6], v[3:4]
	v_mul_f64 v[5:6], v[109:110], v[3:4]
	v_fma_f64 v[1:2], -v[1:2], v[5:6], v[109:110]
	v_div_fmas_f64 v[1:2], v[1:2], v[3:4], v[5:6]
	v_div_fixup_f64 v[1:2], v[1:2], v[105:106], v[7:8]
	v_fma_f64 v[3:4], v[7:8], v[1:2], v[105:106]
	v_div_scale_f64 v[5:6], null, v[3:4], v[3:4], 1.0
	v_div_scale_f64 v[109:110], vcc_lo, 1.0, v[3:4], 1.0
	v_rcp_f64_e32 v[7:8], v[5:6]
	v_fma_f64 v[105:106], -v[5:6], v[7:8], 1.0
	v_fma_f64 v[7:8], v[7:8], v[105:106], v[7:8]
	v_fma_f64 v[105:106], -v[5:6], v[7:8], 1.0
	v_fma_f64 v[7:8], v[7:8], v[105:106], v[7:8]
	v_mul_f64 v[105:106], v[109:110], v[7:8]
	v_fma_f64 v[5:6], -v[5:6], v[105:106], v[109:110]
	v_div_fmas_f64 v[5:6], v[5:6], v[7:8], v[105:106]
                                        ; implicit-def: $vgpr7_vgpr8
                                        ; implicit-def: $vgpr105_vgpr106
	v_div_fixup_f64 v[3:4], v[5:6], v[3:4], 1.0
	v_mul_f64 v[5:6], v[1:2], v[3:4]
	v_xor_b32_e32 v4, 0x80000000, v4
	v_xor_b32_e32 v2, 0x80000000, v6
	v_mov_b32_e32 v1, v5
.LBB111_15:
	s_andn2_saveexec_b32 s5, s5
	s_cbranch_execz .LBB111_17
; %bb.16:
	v_div_scale_f64 v[1:2], null, v[7:8], v[7:8], v[105:106]
	v_div_scale_f64 v[109:110], vcc_lo, v[105:106], v[7:8], v[105:106]
	v_rcp_f64_e32 v[3:4], v[1:2]
	v_fma_f64 v[5:6], -v[1:2], v[3:4], 1.0
	v_fma_f64 v[3:4], v[3:4], v[5:6], v[3:4]
	v_fma_f64 v[5:6], -v[1:2], v[3:4], 1.0
	v_fma_f64 v[3:4], v[3:4], v[5:6], v[3:4]
	v_mul_f64 v[5:6], v[109:110], v[3:4]
	v_fma_f64 v[1:2], -v[1:2], v[5:6], v[109:110]
	v_div_fmas_f64 v[1:2], v[1:2], v[3:4], v[5:6]
	v_div_fixup_f64 v[1:2], v[1:2], v[7:8], v[105:106]
	v_fma_f64 v[3:4], v[105:106], v[1:2], v[7:8]
	v_div_scale_f64 v[5:6], null, v[3:4], v[3:4], 1.0
	v_rcp_f64_e32 v[7:8], v[5:6]
	v_fma_f64 v[105:106], -v[5:6], v[7:8], 1.0
	v_fma_f64 v[7:8], v[7:8], v[105:106], v[7:8]
	v_fma_f64 v[105:106], -v[5:6], v[7:8], 1.0
	v_fma_f64 v[7:8], v[7:8], v[105:106], v[7:8]
	v_div_scale_f64 v[105:106], vcc_lo, 1.0, v[3:4], 1.0
	v_mul_f64 v[109:110], v[105:106], v[7:8]
	v_fma_f64 v[5:6], -v[5:6], v[109:110], v[105:106]
	v_div_fmas_f64 v[5:6], v[5:6], v[7:8], v[109:110]
	v_div_fixup_f64 v[5:6], v[5:6], v[3:4], 1.0
	v_mul_f64 v[3:4], v[1:2], -v[5:6]
	v_xor_b32_e32 v2, 0x80000000, v6
	v_mov_b32_e32 v1, v5
.LBB111_17:
	s_or_b32 exec_lo, exec_lo, s5
	v_mov_b32_e32 v7, s59
	buffer_store_dword v6, v108, s[0:3], 0 offen offset:4
	buffer_store_dword v5, v108, s[0:3], 0 offen
	buffer_store_dword v4, v108, s[0:3], 0 offen offset:12
	buffer_store_dword v3, v108, s[0:3], 0 offen offset:8
	v_xor_b32_e32 v4, 0x80000000, v4
	v_add_nc_u32_e32 v5, 0x300, v107
	s_clause 0x3
	buffer_load_dword v112, v7, s[0:3], 0 offen offset:12
	buffer_load_dword v111, v7, s[0:3], 0 offen offset:8
	;; [unrolled: 1-line block ×3, first 2 shown]
	buffer_load_dword v109, v7, s[0:3], 0 offen
	ds_write_b128 v107, v[1:4]
	s_waitcnt vmcnt(0)
	ds_write_b128 v107, v[109:112] offset:768
	s_waitcnt lgkmcnt(0)
	s_waitcnt_vscnt null, 0x0
	s_barrier
	buffer_gl0_inv
	s_and_saveexec_b32 s5, s4
	s_cbranch_execz .LBB111_19
; %bb.18:
	s_clause 0x3
	buffer_load_dword v6, v108, s[0:3], 0 offen offset:8
	buffer_load_dword v7, v108, s[0:3], 0 offen offset:12
	buffer_load_dword v105, v108, s[0:3], 0 offen
	buffer_load_dword v106, v108, s[0:3], 0 offen offset:4
	ds_read_b128 v[1:4], v5
	v_mov_b32_e32 v8, 0
	ds_read_b128 v[109:112], v8 offset:16
	s_waitcnt vmcnt(2) lgkmcnt(1)
	v_mul_f64 v[113:114], v[1:2], v[6:7]
	v_mul_f64 v[6:7], v[3:4], v[6:7]
	s_waitcnt vmcnt(0)
	v_fma_f64 v[3:4], v[3:4], v[105:106], v[113:114]
	v_fma_f64 v[1:2], v[1:2], v[105:106], -v[6:7]
	v_add_f64 v[3:4], v[3:4], 0
	v_add_f64 v[1:2], v[1:2], 0
	s_waitcnt lgkmcnt(0)
	v_mul_f64 v[6:7], v[3:4], v[111:112]
	v_mul_f64 v[105:106], v[1:2], v[111:112]
	v_fma_f64 v[1:2], v[1:2], v[109:110], -v[6:7]
	v_fma_f64 v[3:4], v[3:4], v[109:110], v[105:106]
	buffer_store_dword v1, off, s[0:3], 0 offset:32
	buffer_store_dword v2, off, s[0:3], 0 offset:36
	;; [unrolled: 1-line block ×4, first 2 shown]
.LBB111_19:
	s_or_b32 exec_lo, exec_lo, s5
	v_mov_b32_e32 v4, s58
	s_waitcnt_vscnt null, 0x0
	s_barrier
	buffer_gl0_inv
	s_mov_b32 s5, exec_lo
	s_clause 0x3
	buffer_load_dword v1, v4, s[0:3], 0 offen
	buffer_load_dword v2, v4, s[0:3], 0 offen offset:4
	buffer_load_dword v3, v4, s[0:3], 0 offen offset:8
	;; [unrolled: 1-line block ×3, first 2 shown]
	s_waitcnt vmcnt(0)
	ds_write_b128 v5, v[1:4]
	s_waitcnt lgkmcnt(0)
	s_barrier
	buffer_gl0_inv
	v_cmpx_gt_u32_e32 2, v0
	s_cbranch_execz .LBB111_23
; %bb.20:
	s_clause 0x3
	buffer_load_dword v6, v108, s[0:3], 0 offen offset:8
	buffer_load_dword v7, v108, s[0:3], 0 offen offset:12
	buffer_load_dword v105, v108, s[0:3], 0 offen
	buffer_load_dword v106, v108, s[0:3], 0 offen offset:4
	ds_read_b128 v[1:4], v5
	s_waitcnt vmcnt(2) lgkmcnt(0)
	v_mul_f64 v[108:109], v[3:4], v[6:7]
	v_mul_f64 v[6:7], v[1:2], v[6:7]
	s_waitcnt vmcnt(0)
	v_fma_f64 v[1:2], v[1:2], v[105:106], -v[108:109]
	v_fma_f64 v[3:4], v[3:4], v[105:106], v[6:7]
	v_add_f64 v[1:2], v[1:2], 0
	v_add_f64 v[3:4], v[3:4], 0
	s_and_saveexec_b32 s61, s4
	s_cbranch_execz .LBB111_22
; %bb.21:
	s_clause 0x3
	buffer_load_dword v6, off, s[0:3], 0 offset:40
	buffer_load_dword v7, off, s[0:3], 0 offset:44
	;; [unrolled: 1-line block ×4, first 2 shown]
	v_mov_b32_e32 v8, 0
	ds_read_b128 v[108:111], v8 offset:784
	s_waitcnt vmcnt(2) lgkmcnt(0)
	v_mul_f64 v[112:113], v[108:109], v[6:7]
	v_mul_f64 v[6:7], v[110:111], v[6:7]
	s_waitcnt vmcnt(0)
	v_fma_f64 v[110:111], v[110:111], v[105:106], v[112:113]
	v_fma_f64 v[6:7], v[108:109], v[105:106], -v[6:7]
	v_add_f64 v[3:4], v[3:4], v[110:111]
	v_add_f64 v[1:2], v[1:2], v[6:7]
.LBB111_22:
	s_or_b32 exec_lo, exec_lo, s61
	v_mov_b32_e32 v6, 0
	ds_read_b128 v[108:111], v6 offset:32
	s_waitcnt lgkmcnt(0)
	v_mul_f64 v[6:7], v[3:4], v[110:111]
	v_mul_f64 v[105:106], v[1:2], v[110:111]
	v_fma_f64 v[1:2], v[1:2], v[108:109], -v[6:7]
	v_fma_f64 v[3:4], v[3:4], v[108:109], v[105:106]
	buffer_store_dword v2, off, s[0:3], 0 offset:52
	buffer_store_dword v1, off, s[0:3], 0 offset:48
	;; [unrolled: 1-line block ×4, first 2 shown]
.LBB111_23:
	s_or_b32 exec_lo, exec_lo, s5
	v_mov_b32_e32 v4, s57
	s_waitcnt_vscnt null, 0x0
	s_barrier
	buffer_gl0_inv
	v_add_nc_u32_e32 v6, -1, v0
	s_clause 0x3
	buffer_load_dword v1, v4, s[0:3], 0 offen
	buffer_load_dword v2, v4, s[0:3], 0 offen offset:4
	buffer_load_dword v3, v4, s[0:3], 0 offen offset:8
	;; [unrolled: 1-line block ×3, first 2 shown]
	s_mov_b32 s4, exec_lo
	s_waitcnt vmcnt(0)
	ds_write_b128 v5, v[1:4]
	s_waitcnt lgkmcnt(0)
	s_barrier
	buffer_gl0_inv
	v_cmpx_gt_u32_e32 3, v0
	s_cbranch_execz .LBB111_27
; %bb.24:
	v_mov_b32_e32 v1, 0
	v_mov_b32_e32 v3, 0
	v_add_nc_u32_e32 v7, -1, v0
	v_add_nc_u32_e32 v8, 0x300, v107
	v_mov_b32_e32 v2, 0
	v_mov_b32_e32 v4, 0
	v_add_nc_u32_e32 v105, 16, v107
	s_mov_b32 s5, 0
	.p2align	6
.LBB111_25:                             ; =>This Inner Loop Header: Depth=1
	s_clause 0x3
	buffer_load_dword v112, v105, s[0:3], 0 offen offset:8
	buffer_load_dword v113, v105, s[0:3], 0 offen offset:12
	buffer_load_dword v114, v105, s[0:3], 0 offen
	buffer_load_dword v115, v105, s[0:3], 0 offen offset:4
	ds_read_b128 v[108:111], v8
	v_add_nc_u32_e32 v7, 1, v7
	v_add_nc_u32_e32 v8, 16, v8
	;; [unrolled: 1-line block ×3, first 2 shown]
	v_cmp_lt_u32_e32 vcc_lo, 1, v7
	s_or_b32 s5, vcc_lo, s5
	s_waitcnt vmcnt(2) lgkmcnt(0)
	v_mul_f64 v[116:117], v[110:111], v[112:113]
	v_mul_f64 v[112:113], v[108:109], v[112:113]
	s_waitcnt vmcnt(0)
	v_fma_f64 v[108:109], v[108:109], v[114:115], -v[116:117]
	v_fma_f64 v[110:111], v[110:111], v[114:115], v[112:113]
	v_add_f64 v[3:4], v[3:4], v[108:109]
	v_add_f64 v[1:2], v[1:2], v[110:111]
	s_andn2_b32 exec_lo, exec_lo, s5
	s_cbranch_execnz .LBB111_25
; %bb.26:
	s_or_b32 exec_lo, exec_lo, s5
	v_mov_b32_e32 v7, 0
	ds_read_b128 v[108:111], v7 offset:48
	s_waitcnt lgkmcnt(0)
	v_mul_f64 v[7:8], v[1:2], v[110:111]
	v_mul_f64 v[105:106], v[3:4], v[110:111]
	v_fma_f64 v[3:4], v[3:4], v[108:109], -v[7:8]
	v_fma_f64 v[1:2], v[1:2], v[108:109], v[105:106]
	buffer_store_dword v4, off, s[0:3], 0 offset:68
	buffer_store_dword v3, off, s[0:3], 0 offset:64
	;; [unrolled: 1-line block ×4, first 2 shown]
.LBB111_27:
	s_or_b32 exec_lo, exec_lo, s4
	v_mov_b32_e32 v4, s56
	s_waitcnt_vscnt null, 0x0
	s_barrier
	buffer_gl0_inv
	s_mov_b32 s4, exec_lo
	s_clause 0x3
	buffer_load_dword v1, v4, s[0:3], 0 offen
	buffer_load_dword v2, v4, s[0:3], 0 offen offset:4
	buffer_load_dword v3, v4, s[0:3], 0 offen offset:8
	;; [unrolled: 1-line block ×3, first 2 shown]
	s_waitcnt vmcnt(0)
	ds_write_b128 v5, v[1:4]
	s_waitcnt lgkmcnt(0)
	s_barrier
	buffer_gl0_inv
	v_cmpx_gt_u32_e32 4, v0
	s_cbranch_execz .LBB111_31
; %bb.28:
	v_mov_b32_e32 v1, 0
	v_mov_b32_e32 v3, 0
	v_add_nc_u32_e32 v7, -1, v0
	v_add_nc_u32_e32 v8, 0x300, v107
	v_mov_b32_e32 v2, 0
	v_mov_b32_e32 v4, 0
	v_add_nc_u32_e32 v105, 16, v107
	s_mov_b32 s5, 0
	.p2align	6
.LBB111_29:                             ; =>This Inner Loop Header: Depth=1
	s_clause 0x3
	buffer_load_dword v112, v105, s[0:3], 0 offen offset:8
	buffer_load_dword v113, v105, s[0:3], 0 offen offset:12
	buffer_load_dword v114, v105, s[0:3], 0 offen
	buffer_load_dword v115, v105, s[0:3], 0 offen offset:4
	ds_read_b128 v[108:111], v8
	v_add_nc_u32_e32 v7, 1, v7
	v_add_nc_u32_e32 v8, 16, v8
	;; [unrolled: 1-line block ×3, first 2 shown]
	v_cmp_lt_u32_e32 vcc_lo, 2, v7
	s_or_b32 s5, vcc_lo, s5
	s_waitcnt vmcnt(2) lgkmcnt(0)
	v_mul_f64 v[116:117], v[110:111], v[112:113]
	v_mul_f64 v[112:113], v[108:109], v[112:113]
	s_waitcnt vmcnt(0)
	v_fma_f64 v[108:109], v[108:109], v[114:115], -v[116:117]
	v_fma_f64 v[110:111], v[110:111], v[114:115], v[112:113]
	v_add_f64 v[3:4], v[3:4], v[108:109]
	v_add_f64 v[1:2], v[1:2], v[110:111]
	s_andn2_b32 exec_lo, exec_lo, s5
	s_cbranch_execnz .LBB111_29
; %bb.30:
	s_or_b32 exec_lo, exec_lo, s5
	v_mov_b32_e32 v7, 0
	ds_read_b128 v[108:111], v7 offset:64
	s_waitcnt lgkmcnt(0)
	v_mul_f64 v[7:8], v[1:2], v[110:111]
	v_mul_f64 v[105:106], v[3:4], v[110:111]
	v_fma_f64 v[3:4], v[3:4], v[108:109], -v[7:8]
	v_fma_f64 v[1:2], v[1:2], v[108:109], v[105:106]
	buffer_store_dword v4, off, s[0:3], 0 offset:84
	buffer_store_dword v3, off, s[0:3], 0 offset:80
	;; [unrolled: 1-line block ×4, first 2 shown]
.LBB111_31:
	s_or_b32 exec_lo, exec_lo, s4
	v_mov_b32_e32 v4, s55
	s_waitcnt_vscnt null, 0x0
	s_barrier
	buffer_gl0_inv
	s_mov_b32 s4, exec_lo
	s_clause 0x3
	buffer_load_dword v1, v4, s[0:3], 0 offen
	buffer_load_dword v2, v4, s[0:3], 0 offen offset:4
	buffer_load_dword v3, v4, s[0:3], 0 offen offset:8
	;; [unrolled: 1-line block ×3, first 2 shown]
	s_waitcnt vmcnt(0)
	ds_write_b128 v5, v[1:4]
	s_waitcnt lgkmcnt(0)
	s_barrier
	buffer_gl0_inv
	v_cmpx_gt_u32_e32 5, v0
	s_cbranch_execz .LBB111_35
; %bb.32:
	v_mov_b32_e32 v1, 0
	v_mov_b32_e32 v3, 0
	v_add_nc_u32_e32 v7, -1, v0
	v_add_nc_u32_e32 v8, 0x300, v107
	v_mov_b32_e32 v2, 0
	v_mov_b32_e32 v4, 0
	v_add_nc_u32_e32 v105, 16, v107
	s_mov_b32 s5, 0
	.p2align	6
.LBB111_33:                             ; =>This Inner Loop Header: Depth=1
	s_clause 0x3
	buffer_load_dword v112, v105, s[0:3], 0 offen offset:8
	buffer_load_dword v113, v105, s[0:3], 0 offen offset:12
	buffer_load_dword v114, v105, s[0:3], 0 offen
	buffer_load_dword v115, v105, s[0:3], 0 offen offset:4
	ds_read_b128 v[108:111], v8
	v_add_nc_u32_e32 v7, 1, v7
	v_add_nc_u32_e32 v8, 16, v8
	;; [unrolled: 1-line block ×3, first 2 shown]
	v_cmp_lt_u32_e32 vcc_lo, 3, v7
	s_or_b32 s5, vcc_lo, s5
	s_waitcnt vmcnt(2) lgkmcnt(0)
	v_mul_f64 v[116:117], v[110:111], v[112:113]
	v_mul_f64 v[112:113], v[108:109], v[112:113]
	s_waitcnt vmcnt(0)
	v_fma_f64 v[108:109], v[108:109], v[114:115], -v[116:117]
	v_fma_f64 v[110:111], v[110:111], v[114:115], v[112:113]
	v_add_f64 v[3:4], v[3:4], v[108:109]
	v_add_f64 v[1:2], v[1:2], v[110:111]
	s_andn2_b32 exec_lo, exec_lo, s5
	s_cbranch_execnz .LBB111_33
; %bb.34:
	s_or_b32 exec_lo, exec_lo, s5
	v_mov_b32_e32 v7, 0
	ds_read_b128 v[108:111], v7 offset:80
	s_waitcnt lgkmcnt(0)
	v_mul_f64 v[7:8], v[1:2], v[110:111]
	v_mul_f64 v[105:106], v[3:4], v[110:111]
	v_fma_f64 v[3:4], v[3:4], v[108:109], -v[7:8]
	v_fma_f64 v[1:2], v[1:2], v[108:109], v[105:106]
	buffer_store_dword v4, off, s[0:3], 0 offset:100
	buffer_store_dword v3, off, s[0:3], 0 offset:96
	buffer_store_dword v2, off, s[0:3], 0 offset:108
	buffer_store_dword v1, off, s[0:3], 0 offset:104
.LBB111_35:
	s_or_b32 exec_lo, exec_lo, s4
	v_mov_b32_e32 v4, s54
	s_waitcnt_vscnt null, 0x0
	s_barrier
	buffer_gl0_inv
	s_mov_b32 s4, exec_lo
	s_clause 0x3
	buffer_load_dword v1, v4, s[0:3], 0 offen
	buffer_load_dword v2, v4, s[0:3], 0 offen offset:4
	buffer_load_dword v3, v4, s[0:3], 0 offen offset:8
	;; [unrolled: 1-line block ×3, first 2 shown]
	s_waitcnt vmcnt(0)
	ds_write_b128 v5, v[1:4]
	s_waitcnt lgkmcnt(0)
	s_barrier
	buffer_gl0_inv
	v_cmpx_gt_u32_e32 6, v0
	s_cbranch_execz .LBB111_39
; %bb.36:
	v_mov_b32_e32 v1, 0
	v_mov_b32_e32 v3, 0
	v_add_nc_u32_e32 v7, -1, v0
	v_add_nc_u32_e32 v8, 0x300, v107
	v_mov_b32_e32 v2, 0
	v_mov_b32_e32 v4, 0
	v_add_nc_u32_e32 v105, 16, v107
	s_mov_b32 s5, 0
	.p2align	6
.LBB111_37:                             ; =>This Inner Loop Header: Depth=1
	s_clause 0x3
	buffer_load_dword v112, v105, s[0:3], 0 offen offset:8
	buffer_load_dword v113, v105, s[0:3], 0 offen offset:12
	buffer_load_dword v114, v105, s[0:3], 0 offen
	buffer_load_dword v115, v105, s[0:3], 0 offen offset:4
	ds_read_b128 v[108:111], v8
	v_add_nc_u32_e32 v7, 1, v7
	v_add_nc_u32_e32 v8, 16, v8
	;; [unrolled: 1-line block ×3, first 2 shown]
	v_cmp_lt_u32_e32 vcc_lo, 4, v7
	s_or_b32 s5, vcc_lo, s5
	s_waitcnt vmcnt(2) lgkmcnt(0)
	v_mul_f64 v[116:117], v[110:111], v[112:113]
	v_mul_f64 v[112:113], v[108:109], v[112:113]
	s_waitcnt vmcnt(0)
	v_fma_f64 v[108:109], v[108:109], v[114:115], -v[116:117]
	v_fma_f64 v[110:111], v[110:111], v[114:115], v[112:113]
	v_add_f64 v[3:4], v[3:4], v[108:109]
	v_add_f64 v[1:2], v[1:2], v[110:111]
	s_andn2_b32 exec_lo, exec_lo, s5
	s_cbranch_execnz .LBB111_37
; %bb.38:
	s_or_b32 exec_lo, exec_lo, s5
	v_mov_b32_e32 v7, 0
	ds_read_b128 v[108:111], v7 offset:96
	s_waitcnt lgkmcnt(0)
	v_mul_f64 v[7:8], v[1:2], v[110:111]
	v_mul_f64 v[105:106], v[3:4], v[110:111]
	v_fma_f64 v[3:4], v[3:4], v[108:109], -v[7:8]
	v_fma_f64 v[1:2], v[1:2], v[108:109], v[105:106]
	buffer_store_dword v4, off, s[0:3], 0 offset:116
	buffer_store_dword v3, off, s[0:3], 0 offset:112
	;; [unrolled: 1-line block ×4, first 2 shown]
.LBB111_39:
	s_or_b32 exec_lo, exec_lo, s4
	v_mov_b32_e32 v4, s53
	s_waitcnt_vscnt null, 0x0
	s_barrier
	buffer_gl0_inv
	s_mov_b32 s4, exec_lo
	s_clause 0x3
	buffer_load_dword v1, v4, s[0:3], 0 offen
	buffer_load_dword v2, v4, s[0:3], 0 offen offset:4
	buffer_load_dword v3, v4, s[0:3], 0 offen offset:8
	;; [unrolled: 1-line block ×3, first 2 shown]
	s_waitcnt vmcnt(0)
	ds_write_b128 v5, v[1:4]
	s_waitcnt lgkmcnt(0)
	s_barrier
	buffer_gl0_inv
	v_cmpx_gt_u32_e32 7, v0
	s_cbranch_execz .LBB111_43
; %bb.40:
	v_mov_b32_e32 v1, 0
	v_mov_b32_e32 v3, 0
	v_add_nc_u32_e32 v7, -1, v0
	v_add_nc_u32_e32 v8, 0x300, v107
	v_mov_b32_e32 v2, 0
	v_mov_b32_e32 v4, 0
	v_add_nc_u32_e32 v105, 16, v107
	s_mov_b32 s5, 0
	.p2align	6
.LBB111_41:                             ; =>This Inner Loop Header: Depth=1
	s_clause 0x3
	buffer_load_dword v112, v105, s[0:3], 0 offen offset:8
	buffer_load_dword v113, v105, s[0:3], 0 offen offset:12
	buffer_load_dword v114, v105, s[0:3], 0 offen
	buffer_load_dword v115, v105, s[0:3], 0 offen offset:4
	ds_read_b128 v[108:111], v8
	v_add_nc_u32_e32 v7, 1, v7
	v_add_nc_u32_e32 v8, 16, v8
	;; [unrolled: 1-line block ×3, first 2 shown]
	v_cmp_lt_u32_e32 vcc_lo, 5, v7
	s_or_b32 s5, vcc_lo, s5
	s_waitcnt vmcnt(2) lgkmcnt(0)
	v_mul_f64 v[116:117], v[110:111], v[112:113]
	v_mul_f64 v[112:113], v[108:109], v[112:113]
	s_waitcnt vmcnt(0)
	v_fma_f64 v[108:109], v[108:109], v[114:115], -v[116:117]
	v_fma_f64 v[110:111], v[110:111], v[114:115], v[112:113]
	v_add_f64 v[3:4], v[3:4], v[108:109]
	v_add_f64 v[1:2], v[1:2], v[110:111]
	s_andn2_b32 exec_lo, exec_lo, s5
	s_cbranch_execnz .LBB111_41
; %bb.42:
	s_or_b32 exec_lo, exec_lo, s5
	v_mov_b32_e32 v7, 0
	ds_read_b128 v[108:111], v7 offset:112
	s_waitcnt lgkmcnt(0)
	v_mul_f64 v[7:8], v[1:2], v[110:111]
	v_mul_f64 v[105:106], v[3:4], v[110:111]
	v_fma_f64 v[3:4], v[3:4], v[108:109], -v[7:8]
	v_fma_f64 v[1:2], v[1:2], v[108:109], v[105:106]
	buffer_store_dword v4, off, s[0:3], 0 offset:132
	buffer_store_dword v3, off, s[0:3], 0 offset:128
	;; [unrolled: 1-line block ×4, first 2 shown]
.LBB111_43:
	s_or_b32 exec_lo, exec_lo, s4
	v_mov_b32_e32 v4, s52
	s_waitcnt_vscnt null, 0x0
	s_barrier
	buffer_gl0_inv
	s_mov_b32 s4, exec_lo
	s_clause 0x3
	buffer_load_dword v1, v4, s[0:3], 0 offen
	buffer_load_dword v2, v4, s[0:3], 0 offen offset:4
	buffer_load_dword v3, v4, s[0:3], 0 offen offset:8
	;; [unrolled: 1-line block ×3, first 2 shown]
	s_waitcnt vmcnt(0)
	ds_write_b128 v5, v[1:4]
	s_waitcnt lgkmcnt(0)
	s_barrier
	buffer_gl0_inv
	v_cmpx_gt_u32_e32 8, v0
	s_cbranch_execz .LBB111_47
; %bb.44:
	v_mov_b32_e32 v1, 0
	v_mov_b32_e32 v3, 0
	v_add_nc_u32_e32 v7, -1, v0
	v_add_nc_u32_e32 v8, 0x300, v107
	v_mov_b32_e32 v2, 0
	v_mov_b32_e32 v4, 0
	v_add_nc_u32_e32 v105, 16, v107
	s_mov_b32 s5, 0
	.p2align	6
.LBB111_45:                             ; =>This Inner Loop Header: Depth=1
	s_clause 0x3
	buffer_load_dword v112, v105, s[0:3], 0 offen offset:8
	buffer_load_dword v113, v105, s[0:3], 0 offen offset:12
	buffer_load_dword v114, v105, s[0:3], 0 offen
	buffer_load_dword v115, v105, s[0:3], 0 offen offset:4
	ds_read_b128 v[108:111], v8
	v_add_nc_u32_e32 v7, 1, v7
	v_add_nc_u32_e32 v8, 16, v8
	;; [unrolled: 1-line block ×3, first 2 shown]
	v_cmp_lt_u32_e32 vcc_lo, 6, v7
	s_or_b32 s5, vcc_lo, s5
	s_waitcnt vmcnt(2) lgkmcnt(0)
	v_mul_f64 v[116:117], v[110:111], v[112:113]
	v_mul_f64 v[112:113], v[108:109], v[112:113]
	s_waitcnt vmcnt(0)
	v_fma_f64 v[108:109], v[108:109], v[114:115], -v[116:117]
	v_fma_f64 v[110:111], v[110:111], v[114:115], v[112:113]
	v_add_f64 v[3:4], v[3:4], v[108:109]
	v_add_f64 v[1:2], v[1:2], v[110:111]
	s_andn2_b32 exec_lo, exec_lo, s5
	s_cbranch_execnz .LBB111_45
; %bb.46:
	s_or_b32 exec_lo, exec_lo, s5
	v_mov_b32_e32 v7, 0
	ds_read_b128 v[108:111], v7 offset:128
	s_waitcnt lgkmcnt(0)
	v_mul_f64 v[7:8], v[1:2], v[110:111]
	v_mul_f64 v[105:106], v[3:4], v[110:111]
	v_fma_f64 v[3:4], v[3:4], v[108:109], -v[7:8]
	v_fma_f64 v[1:2], v[1:2], v[108:109], v[105:106]
	buffer_store_dword v4, off, s[0:3], 0 offset:148
	buffer_store_dword v3, off, s[0:3], 0 offset:144
	;; [unrolled: 1-line block ×4, first 2 shown]
.LBB111_47:
	s_or_b32 exec_lo, exec_lo, s4
	v_mov_b32_e32 v4, s51
	s_waitcnt_vscnt null, 0x0
	s_barrier
	buffer_gl0_inv
	s_mov_b32 s4, exec_lo
	s_clause 0x3
	buffer_load_dword v1, v4, s[0:3], 0 offen
	buffer_load_dword v2, v4, s[0:3], 0 offen offset:4
	buffer_load_dword v3, v4, s[0:3], 0 offen offset:8
	;; [unrolled: 1-line block ×3, first 2 shown]
	s_waitcnt vmcnt(0)
	ds_write_b128 v5, v[1:4]
	s_waitcnt lgkmcnt(0)
	s_barrier
	buffer_gl0_inv
	v_cmpx_gt_u32_e32 9, v0
	s_cbranch_execz .LBB111_51
; %bb.48:
	v_mov_b32_e32 v1, 0
	v_mov_b32_e32 v3, 0
	v_add_nc_u32_e32 v7, -1, v0
	v_add_nc_u32_e32 v8, 0x300, v107
	v_mov_b32_e32 v2, 0
	v_mov_b32_e32 v4, 0
	v_add_nc_u32_e32 v105, 16, v107
	s_mov_b32 s5, 0
	.p2align	6
.LBB111_49:                             ; =>This Inner Loop Header: Depth=1
	s_clause 0x3
	buffer_load_dword v112, v105, s[0:3], 0 offen offset:8
	buffer_load_dword v113, v105, s[0:3], 0 offen offset:12
	buffer_load_dword v114, v105, s[0:3], 0 offen
	buffer_load_dword v115, v105, s[0:3], 0 offen offset:4
	ds_read_b128 v[108:111], v8
	v_add_nc_u32_e32 v7, 1, v7
	v_add_nc_u32_e32 v8, 16, v8
	;; [unrolled: 1-line block ×3, first 2 shown]
	v_cmp_lt_u32_e32 vcc_lo, 7, v7
	s_or_b32 s5, vcc_lo, s5
	s_waitcnt vmcnt(2) lgkmcnt(0)
	v_mul_f64 v[116:117], v[110:111], v[112:113]
	v_mul_f64 v[112:113], v[108:109], v[112:113]
	s_waitcnt vmcnt(0)
	v_fma_f64 v[108:109], v[108:109], v[114:115], -v[116:117]
	v_fma_f64 v[110:111], v[110:111], v[114:115], v[112:113]
	v_add_f64 v[3:4], v[3:4], v[108:109]
	v_add_f64 v[1:2], v[1:2], v[110:111]
	s_andn2_b32 exec_lo, exec_lo, s5
	s_cbranch_execnz .LBB111_49
; %bb.50:
	s_or_b32 exec_lo, exec_lo, s5
	v_mov_b32_e32 v7, 0
	ds_read_b128 v[108:111], v7 offset:144
	s_waitcnt lgkmcnt(0)
	v_mul_f64 v[7:8], v[1:2], v[110:111]
	v_mul_f64 v[105:106], v[3:4], v[110:111]
	v_fma_f64 v[3:4], v[3:4], v[108:109], -v[7:8]
	v_fma_f64 v[1:2], v[1:2], v[108:109], v[105:106]
	buffer_store_dword v4, off, s[0:3], 0 offset:164
	buffer_store_dword v3, off, s[0:3], 0 offset:160
	;; [unrolled: 1-line block ×4, first 2 shown]
.LBB111_51:
	s_or_b32 exec_lo, exec_lo, s4
	v_mov_b32_e32 v4, s50
	s_waitcnt_vscnt null, 0x0
	s_barrier
	buffer_gl0_inv
	s_mov_b32 s4, exec_lo
	s_clause 0x3
	buffer_load_dword v1, v4, s[0:3], 0 offen
	buffer_load_dword v2, v4, s[0:3], 0 offen offset:4
	buffer_load_dword v3, v4, s[0:3], 0 offen offset:8
	;; [unrolled: 1-line block ×3, first 2 shown]
	s_waitcnt vmcnt(0)
	ds_write_b128 v5, v[1:4]
	s_waitcnt lgkmcnt(0)
	s_barrier
	buffer_gl0_inv
	v_cmpx_gt_u32_e32 10, v0
	s_cbranch_execz .LBB111_55
; %bb.52:
	v_mov_b32_e32 v1, 0
	v_mov_b32_e32 v3, 0
	v_add_nc_u32_e32 v7, -1, v0
	v_add_nc_u32_e32 v8, 0x300, v107
	v_mov_b32_e32 v2, 0
	v_mov_b32_e32 v4, 0
	v_add_nc_u32_e32 v105, 16, v107
	s_mov_b32 s5, 0
	.p2align	6
.LBB111_53:                             ; =>This Inner Loop Header: Depth=1
	s_clause 0x3
	buffer_load_dword v112, v105, s[0:3], 0 offen offset:8
	buffer_load_dword v113, v105, s[0:3], 0 offen offset:12
	buffer_load_dword v114, v105, s[0:3], 0 offen
	buffer_load_dword v115, v105, s[0:3], 0 offen offset:4
	ds_read_b128 v[108:111], v8
	v_add_nc_u32_e32 v7, 1, v7
	v_add_nc_u32_e32 v8, 16, v8
	;; [unrolled: 1-line block ×3, first 2 shown]
	v_cmp_lt_u32_e32 vcc_lo, 8, v7
	s_or_b32 s5, vcc_lo, s5
	s_waitcnt vmcnt(2) lgkmcnt(0)
	v_mul_f64 v[116:117], v[110:111], v[112:113]
	v_mul_f64 v[112:113], v[108:109], v[112:113]
	s_waitcnt vmcnt(0)
	v_fma_f64 v[108:109], v[108:109], v[114:115], -v[116:117]
	v_fma_f64 v[110:111], v[110:111], v[114:115], v[112:113]
	v_add_f64 v[3:4], v[3:4], v[108:109]
	v_add_f64 v[1:2], v[1:2], v[110:111]
	s_andn2_b32 exec_lo, exec_lo, s5
	s_cbranch_execnz .LBB111_53
; %bb.54:
	s_or_b32 exec_lo, exec_lo, s5
	v_mov_b32_e32 v7, 0
	ds_read_b128 v[108:111], v7 offset:160
	s_waitcnt lgkmcnt(0)
	v_mul_f64 v[7:8], v[1:2], v[110:111]
	v_mul_f64 v[105:106], v[3:4], v[110:111]
	v_fma_f64 v[3:4], v[3:4], v[108:109], -v[7:8]
	v_fma_f64 v[1:2], v[1:2], v[108:109], v[105:106]
	buffer_store_dword v4, off, s[0:3], 0 offset:180
	buffer_store_dword v3, off, s[0:3], 0 offset:176
	;; [unrolled: 1-line block ×4, first 2 shown]
.LBB111_55:
	s_or_b32 exec_lo, exec_lo, s4
	v_mov_b32_e32 v4, s49
	s_waitcnt_vscnt null, 0x0
	s_barrier
	buffer_gl0_inv
	s_mov_b32 s4, exec_lo
	s_clause 0x3
	buffer_load_dword v1, v4, s[0:3], 0 offen
	buffer_load_dword v2, v4, s[0:3], 0 offen offset:4
	buffer_load_dword v3, v4, s[0:3], 0 offen offset:8
	;; [unrolled: 1-line block ×3, first 2 shown]
	s_waitcnt vmcnt(0)
	ds_write_b128 v5, v[1:4]
	s_waitcnt lgkmcnt(0)
	s_barrier
	buffer_gl0_inv
	v_cmpx_gt_u32_e32 11, v0
	s_cbranch_execz .LBB111_59
; %bb.56:
	v_mov_b32_e32 v1, 0
	v_mov_b32_e32 v3, 0
	v_add_nc_u32_e32 v7, -1, v0
	v_add_nc_u32_e32 v8, 0x300, v107
	v_mov_b32_e32 v2, 0
	v_mov_b32_e32 v4, 0
	v_add_nc_u32_e32 v105, 16, v107
	s_mov_b32 s5, 0
	.p2align	6
.LBB111_57:                             ; =>This Inner Loop Header: Depth=1
	s_clause 0x3
	buffer_load_dword v112, v105, s[0:3], 0 offen offset:8
	buffer_load_dword v113, v105, s[0:3], 0 offen offset:12
	buffer_load_dword v114, v105, s[0:3], 0 offen
	buffer_load_dword v115, v105, s[0:3], 0 offen offset:4
	ds_read_b128 v[108:111], v8
	v_add_nc_u32_e32 v7, 1, v7
	v_add_nc_u32_e32 v8, 16, v8
	;; [unrolled: 1-line block ×3, first 2 shown]
	v_cmp_lt_u32_e32 vcc_lo, 9, v7
	s_or_b32 s5, vcc_lo, s5
	s_waitcnt vmcnt(2) lgkmcnt(0)
	v_mul_f64 v[116:117], v[110:111], v[112:113]
	v_mul_f64 v[112:113], v[108:109], v[112:113]
	s_waitcnt vmcnt(0)
	v_fma_f64 v[108:109], v[108:109], v[114:115], -v[116:117]
	v_fma_f64 v[110:111], v[110:111], v[114:115], v[112:113]
	v_add_f64 v[3:4], v[3:4], v[108:109]
	v_add_f64 v[1:2], v[1:2], v[110:111]
	s_andn2_b32 exec_lo, exec_lo, s5
	s_cbranch_execnz .LBB111_57
; %bb.58:
	s_or_b32 exec_lo, exec_lo, s5
	v_mov_b32_e32 v7, 0
	ds_read_b128 v[108:111], v7 offset:176
	s_waitcnt lgkmcnt(0)
	v_mul_f64 v[7:8], v[1:2], v[110:111]
	v_mul_f64 v[105:106], v[3:4], v[110:111]
	v_fma_f64 v[3:4], v[3:4], v[108:109], -v[7:8]
	v_fma_f64 v[1:2], v[1:2], v[108:109], v[105:106]
	buffer_store_dword v4, off, s[0:3], 0 offset:196
	buffer_store_dword v3, off, s[0:3], 0 offset:192
	;; [unrolled: 1-line block ×4, first 2 shown]
.LBB111_59:
	s_or_b32 exec_lo, exec_lo, s4
	v_mov_b32_e32 v4, s48
	s_waitcnt_vscnt null, 0x0
	s_barrier
	buffer_gl0_inv
	s_mov_b32 s4, exec_lo
	s_clause 0x3
	buffer_load_dword v1, v4, s[0:3], 0 offen
	buffer_load_dword v2, v4, s[0:3], 0 offen offset:4
	buffer_load_dword v3, v4, s[0:3], 0 offen offset:8
	;; [unrolled: 1-line block ×3, first 2 shown]
	s_waitcnt vmcnt(0)
	ds_write_b128 v5, v[1:4]
	s_waitcnt lgkmcnt(0)
	s_barrier
	buffer_gl0_inv
	v_cmpx_gt_u32_e32 12, v0
	s_cbranch_execz .LBB111_63
; %bb.60:
	v_mov_b32_e32 v1, 0
	v_mov_b32_e32 v3, 0
	v_add_nc_u32_e32 v7, -1, v0
	v_add_nc_u32_e32 v8, 0x300, v107
	v_mov_b32_e32 v2, 0
	v_mov_b32_e32 v4, 0
	v_add_nc_u32_e32 v105, 16, v107
	s_mov_b32 s5, 0
	.p2align	6
.LBB111_61:                             ; =>This Inner Loop Header: Depth=1
	s_clause 0x3
	buffer_load_dword v112, v105, s[0:3], 0 offen offset:8
	buffer_load_dword v113, v105, s[0:3], 0 offen offset:12
	buffer_load_dword v114, v105, s[0:3], 0 offen
	buffer_load_dword v115, v105, s[0:3], 0 offen offset:4
	ds_read_b128 v[108:111], v8
	v_add_nc_u32_e32 v7, 1, v7
	v_add_nc_u32_e32 v8, 16, v8
	;; [unrolled: 1-line block ×3, first 2 shown]
	v_cmp_lt_u32_e32 vcc_lo, 10, v7
	s_or_b32 s5, vcc_lo, s5
	s_waitcnt vmcnt(2) lgkmcnt(0)
	v_mul_f64 v[116:117], v[110:111], v[112:113]
	v_mul_f64 v[112:113], v[108:109], v[112:113]
	s_waitcnt vmcnt(0)
	v_fma_f64 v[108:109], v[108:109], v[114:115], -v[116:117]
	v_fma_f64 v[110:111], v[110:111], v[114:115], v[112:113]
	v_add_f64 v[3:4], v[3:4], v[108:109]
	v_add_f64 v[1:2], v[1:2], v[110:111]
	s_andn2_b32 exec_lo, exec_lo, s5
	s_cbranch_execnz .LBB111_61
; %bb.62:
	s_or_b32 exec_lo, exec_lo, s5
	v_mov_b32_e32 v7, 0
	ds_read_b128 v[108:111], v7 offset:192
	s_waitcnt lgkmcnt(0)
	v_mul_f64 v[7:8], v[1:2], v[110:111]
	v_mul_f64 v[105:106], v[3:4], v[110:111]
	v_fma_f64 v[3:4], v[3:4], v[108:109], -v[7:8]
	v_fma_f64 v[1:2], v[1:2], v[108:109], v[105:106]
	buffer_store_dword v4, off, s[0:3], 0 offset:212
	buffer_store_dword v3, off, s[0:3], 0 offset:208
	;; [unrolled: 1-line block ×4, first 2 shown]
.LBB111_63:
	s_or_b32 exec_lo, exec_lo, s4
	v_mov_b32_e32 v4, s47
	s_waitcnt_vscnt null, 0x0
	s_barrier
	buffer_gl0_inv
	s_mov_b32 s4, exec_lo
	s_clause 0x3
	buffer_load_dword v1, v4, s[0:3], 0 offen
	buffer_load_dword v2, v4, s[0:3], 0 offen offset:4
	buffer_load_dword v3, v4, s[0:3], 0 offen offset:8
	;; [unrolled: 1-line block ×3, first 2 shown]
	s_waitcnt vmcnt(0)
	ds_write_b128 v5, v[1:4]
	s_waitcnt lgkmcnt(0)
	s_barrier
	buffer_gl0_inv
	v_cmpx_gt_u32_e32 13, v0
	s_cbranch_execz .LBB111_67
; %bb.64:
	v_mov_b32_e32 v1, 0
	v_mov_b32_e32 v3, 0
	v_add_nc_u32_e32 v7, -1, v0
	v_add_nc_u32_e32 v8, 0x300, v107
	v_mov_b32_e32 v2, 0
	v_mov_b32_e32 v4, 0
	v_add_nc_u32_e32 v105, 16, v107
	s_mov_b32 s5, 0
	.p2align	6
.LBB111_65:                             ; =>This Inner Loop Header: Depth=1
	s_clause 0x3
	buffer_load_dword v112, v105, s[0:3], 0 offen offset:8
	buffer_load_dword v113, v105, s[0:3], 0 offen offset:12
	buffer_load_dword v114, v105, s[0:3], 0 offen
	buffer_load_dword v115, v105, s[0:3], 0 offen offset:4
	ds_read_b128 v[108:111], v8
	v_add_nc_u32_e32 v7, 1, v7
	v_add_nc_u32_e32 v8, 16, v8
	;; [unrolled: 1-line block ×3, first 2 shown]
	v_cmp_lt_u32_e32 vcc_lo, 11, v7
	s_or_b32 s5, vcc_lo, s5
	s_waitcnt vmcnt(2) lgkmcnt(0)
	v_mul_f64 v[116:117], v[110:111], v[112:113]
	v_mul_f64 v[112:113], v[108:109], v[112:113]
	s_waitcnt vmcnt(0)
	v_fma_f64 v[108:109], v[108:109], v[114:115], -v[116:117]
	v_fma_f64 v[110:111], v[110:111], v[114:115], v[112:113]
	v_add_f64 v[3:4], v[3:4], v[108:109]
	v_add_f64 v[1:2], v[1:2], v[110:111]
	s_andn2_b32 exec_lo, exec_lo, s5
	s_cbranch_execnz .LBB111_65
; %bb.66:
	s_or_b32 exec_lo, exec_lo, s5
	v_mov_b32_e32 v7, 0
	ds_read_b128 v[108:111], v7 offset:208
	s_waitcnt lgkmcnt(0)
	v_mul_f64 v[7:8], v[1:2], v[110:111]
	v_mul_f64 v[105:106], v[3:4], v[110:111]
	v_fma_f64 v[3:4], v[3:4], v[108:109], -v[7:8]
	v_fma_f64 v[1:2], v[1:2], v[108:109], v[105:106]
	buffer_store_dword v4, off, s[0:3], 0 offset:228
	buffer_store_dword v3, off, s[0:3], 0 offset:224
	buffer_store_dword v2, off, s[0:3], 0 offset:236
	buffer_store_dword v1, off, s[0:3], 0 offset:232
.LBB111_67:
	s_or_b32 exec_lo, exec_lo, s4
	v_mov_b32_e32 v4, s46
	s_waitcnt_vscnt null, 0x0
	s_barrier
	buffer_gl0_inv
	s_mov_b32 s4, exec_lo
	s_clause 0x3
	buffer_load_dword v1, v4, s[0:3], 0 offen
	buffer_load_dword v2, v4, s[0:3], 0 offen offset:4
	buffer_load_dword v3, v4, s[0:3], 0 offen offset:8
	;; [unrolled: 1-line block ×3, first 2 shown]
	s_waitcnt vmcnt(0)
	ds_write_b128 v5, v[1:4]
	s_waitcnt lgkmcnt(0)
	s_barrier
	buffer_gl0_inv
	v_cmpx_gt_u32_e32 14, v0
	s_cbranch_execz .LBB111_71
; %bb.68:
	v_mov_b32_e32 v1, 0
	v_mov_b32_e32 v3, 0
	v_add_nc_u32_e32 v7, -1, v0
	v_add_nc_u32_e32 v8, 0x300, v107
	v_mov_b32_e32 v2, 0
	v_mov_b32_e32 v4, 0
	v_add_nc_u32_e32 v105, 16, v107
	s_mov_b32 s5, 0
	.p2align	6
.LBB111_69:                             ; =>This Inner Loop Header: Depth=1
	s_clause 0x3
	buffer_load_dword v112, v105, s[0:3], 0 offen offset:8
	buffer_load_dword v113, v105, s[0:3], 0 offen offset:12
	buffer_load_dword v114, v105, s[0:3], 0 offen
	buffer_load_dword v115, v105, s[0:3], 0 offen offset:4
	ds_read_b128 v[108:111], v8
	v_add_nc_u32_e32 v7, 1, v7
	v_add_nc_u32_e32 v8, 16, v8
	;; [unrolled: 1-line block ×3, first 2 shown]
	v_cmp_lt_u32_e32 vcc_lo, 12, v7
	s_or_b32 s5, vcc_lo, s5
	s_waitcnt vmcnt(2) lgkmcnt(0)
	v_mul_f64 v[116:117], v[110:111], v[112:113]
	v_mul_f64 v[112:113], v[108:109], v[112:113]
	s_waitcnt vmcnt(0)
	v_fma_f64 v[108:109], v[108:109], v[114:115], -v[116:117]
	v_fma_f64 v[110:111], v[110:111], v[114:115], v[112:113]
	v_add_f64 v[3:4], v[3:4], v[108:109]
	v_add_f64 v[1:2], v[1:2], v[110:111]
	s_andn2_b32 exec_lo, exec_lo, s5
	s_cbranch_execnz .LBB111_69
; %bb.70:
	s_or_b32 exec_lo, exec_lo, s5
	v_mov_b32_e32 v7, 0
	ds_read_b128 v[108:111], v7 offset:224
	s_waitcnt lgkmcnt(0)
	v_mul_f64 v[7:8], v[1:2], v[110:111]
	v_mul_f64 v[105:106], v[3:4], v[110:111]
	v_fma_f64 v[3:4], v[3:4], v[108:109], -v[7:8]
	v_fma_f64 v[1:2], v[1:2], v[108:109], v[105:106]
	buffer_store_dword v4, off, s[0:3], 0 offset:244
	buffer_store_dword v3, off, s[0:3], 0 offset:240
	;; [unrolled: 1-line block ×4, first 2 shown]
.LBB111_71:
	s_or_b32 exec_lo, exec_lo, s4
	v_mov_b32_e32 v4, s45
	s_waitcnt_vscnt null, 0x0
	s_barrier
	buffer_gl0_inv
	s_mov_b32 s4, exec_lo
	s_clause 0x3
	buffer_load_dword v1, v4, s[0:3], 0 offen
	buffer_load_dword v2, v4, s[0:3], 0 offen offset:4
	buffer_load_dword v3, v4, s[0:3], 0 offen offset:8
	;; [unrolled: 1-line block ×3, first 2 shown]
	s_waitcnt vmcnt(0)
	ds_write_b128 v5, v[1:4]
	s_waitcnt lgkmcnt(0)
	s_barrier
	buffer_gl0_inv
	v_cmpx_gt_u32_e32 15, v0
	s_cbranch_execz .LBB111_75
; %bb.72:
	v_mov_b32_e32 v1, 0
	v_mov_b32_e32 v3, 0
	v_add_nc_u32_e32 v7, -1, v0
	v_add_nc_u32_e32 v8, 0x300, v107
	v_mov_b32_e32 v2, 0
	v_mov_b32_e32 v4, 0
	v_add_nc_u32_e32 v105, 16, v107
	s_mov_b32 s5, 0
	.p2align	6
.LBB111_73:                             ; =>This Inner Loop Header: Depth=1
	s_clause 0x3
	buffer_load_dword v112, v105, s[0:3], 0 offen offset:8
	buffer_load_dword v113, v105, s[0:3], 0 offen offset:12
	buffer_load_dword v114, v105, s[0:3], 0 offen
	buffer_load_dword v115, v105, s[0:3], 0 offen offset:4
	ds_read_b128 v[108:111], v8
	v_add_nc_u32_e32 v7, 1, v7
	v_add_nc_u32_e32 v8, 16, v8
	;; [unrolled: 1-line block ×3, first 2 shown]
	v_cmp_lt_u32_e32 vcc_lo, 13, v7
	s_or_b32 s5, vcc_lo, s5
	s_waitcnt vmcnt(2) lgkmcnt(0)
	v_mul_f64 v[116:117], v[110:111], v[112:113]
	v_mul_f64 v[112:113], v[108:109], v[112:113]
	s_waitcnt vmcnt(0)
	v_fma_f64 v[108:109], v[108:109], v[114:115], -v[116:117]
	v_fma_f64 v[110:111], v[110:111], v[114:115], v[112:113]
	v_add_f64 v[3:4], v[3:4], v[108:109]
	v_add_f64 v[1:2], v[1:2], v[110:111]
	s_andn2_b32 exec_lo, exec_lo, s5
	s_cbranch_execnz .LBB111_73
; %bb.74:
	s_or_b32 exec_lo, exec_lo, s5
	v_mov_b32_e32 v7, 0
	ds_read_b128 v[108:111], v7 offset:240
	s_waitcnt lgkmcnt(0)
	v_mul_f64 v[7:8], v[1:2], v[110:111]
	v_mul_f64 v[105:106], v[3:4], v[110:111]
	v_fma_f64 v[3:4], v[3:4], v[108:109], -v[7:8]
	v_fma_f64 v[1:2], v[1:2], v[108:109], v[105:106]
	buffer_store_dword v4, off, s[0:3], 0 offset:260
	buffer_store_dword v3, off, s[0:3], 0 offset:256
	;; [unrolled: 1-line block ×4, first 2 shown]
.LBB111_75:
	s_or_b32 exec_lo, exec_lo, s4
	v_mov_b32_e32 v4, s44
	s_waitcnt_vscnt null, 0x0
	s_barrier
	buffer_gl0_inv
	s_mov_b32 s4, exec_lo
	s_clause 0x3
	buffer_load_dword v1, v4, s[0:3], 0 offen
	buffer_load_dword v2, v4, s[0:3], 0 offen offset:4
	buffer_load_dword v3, v4, s[0:3], 0 offen offset:8
	;; [unrolled: 1-line block ×3, first 2 shown]
	s_waitcnt vmcnt(0)
	ds_write_b128 v5, v[1:4]
	s_waitcnt lgkmcnt(0)
	s_barrier
	buffer_gl0_inv
	v_cmpx_gt_u32_e32 16, v0
	s_cbranch_execz .LBB111_79
; %bb.76:
	v_mov_b32_e32 v1, 0
	v_mov_b32_e32 v3, 0
	v_add_nc_u32_e32 v7, -1, v0
	v_add_nc_u32_e32 v8, 0x300, v107
	v_mov_b32_e32 v2, 0
	v_mov_b32_e32 v4, 0
	v_add_nc_u32_e32 v105, 16, v107
	s_mov_b32 s5, 0
	.p2align	6
.LBB111_77:                             ; =>This Inner Loop Header: Depth=1
	s_clause 0x3
	buffer_load_dword v112, v105, s[0:3], 0 offen offset:8
	buffer_load_dword v113, v105, s[0:3], 0 offen offset:12
	buffer_load_dword v114, v105, s[0:3], 0 offen
	buffer_load_dword v115, v105, s[0:3], 0 offen offset:4
	ds_read_b128 v[108:111], v8
	v_add_nc_u32_e32 v7, 1, v7
	v_add_nc_u32_e32 v8, 16, v8
	v_add_nc_u32_e32 v105, 16, v105
	v_cmp_lt_u32_e32 vcc_lo, 14, v7
	s_or_b32 s5, vcc_lo, s5
	s_waitcnt vmcnt(2) lgkmcnt(0)
	v_mul_f64 v[116:117], v[110:111], v[112:113]
	v_mul_f64 v[112:113], v[108:109], v[112:113]
	s_waitcnt vmcnt(0)
	v_fma_f64 v[108:109], v[108:109], v[114:115], -v[116:117]
	v_fma_f64 v[110:111], v[110:111], v[114:115], v[112:113]
	v_add_f64 v[3:4], v[3:4], v[108:109]
	v_add_f64 v[1:2], v[1:2], v[110:111]
	s_andn2_b32 exec_lo, exec_lo, s5
	s_cbranch_execnz .LBB111_77
; %bb.78:
	s_or_b32 exec_lo, exec_lo, s5
	v_mov_b32_e32 v7, 0
	ds_read_b128 v[108:111], v7 offset:256
	s_waitcnt lgkmcnt(0)
	v_mul_f64 v[7:8], v[1:2], v[110:111]
	v_mul_f64 v[105:106], v[3:4], v[110:111]
	v_fma_f64 v[3:4], v[3:4], v[108:109], -v[7:8]
	v_fma_f64 v[1:2], v[1:2], v[108:109], v[105:106]
	buffer_store_dword v4, off, s[0:3], 0 offset:276
	buffer_store_dword v3, off, s[0:3], 0 offset:272
	;; [unrolled: 1-line block ×4, first 2 shown]
.LBB111_79:
	s_or_b32 exec_lo, exec_lo, s4
	v_mov_b32_e32 v4, s43
	s_waitcnt_vscnt null, 0x0
	s_barrier
	buffer_gl0_inv
	s_mov_b32 s4, exec_lo
	s_clause 0x3
	buffer_load_dword v1, v4, s[0:3], 0 offen
	buffer_load_dword v2, v4, s[0:3], 0 offen offset:4
	buffer_load_dword v3, v4, s[0:3], 0 offen offset:8
	;; [unrolled: 1-line block ×3, first 2 shown]
	s_waitcnt vmcnt(0)
	ds_write_b128 v5, v[1:4]
	s_waitcnt lgkmcnt(0)
	s_barrier
	buffer_gl0_inv
	v_cmpx_gt_u32_e32 17, v0
	s_cbranch_execz .LBB111_83
; %bb.80:
	v_mov_b32_e32 v1, 0
	v_mov_b32_e32 v3, 0
	v_add_nc_u32_e32 v7, -1, v0
	v_add_nc_u32_e32 v8, 0x300, v107
	v_mov_b32_e32 v2, 0
	v_mov_b32_e32 v4, 0
	v_add_nc_u32_e32 v105, 16, v107
	s_mov_b32 s5, 0
	.p2align	6
.LBB111_81:                             ; =>This Inner Loop Header: Depth=1
	s_clause 0x3
	buffer_load_dword v112, v105, s[0:3], 0 offen offset:8
	buffer_load_dword v113, v105, s[0:3], 0 offen offset:12
	buffer_load_dword v114, v105, s[0:3], 0 offen
	buffer_load_dword v115, v105, s[0:3], 0 offen offset:4
	ds_read_b128 v[108:111], v8
	v_add_nc_u32_e32 v7, 1, v7
	v_add_nc_u32_e32 v8, 16, v8
	;; [unrolled: 1-line block ×3, first 2 shown]
	v_cmp_lt_u32_e32 vcc_lo, 15, v7
	s_or_b32 s5, vcc_lo, s5
	s_waitcnt vmcnt(2) lgkmcnt(0)
	v_mul_f64 v[116:117], v[110:111], v[112:113]
	v_mul_f64 v[112:113], v[108:109], v[112:113]
	s_waitcnt vmcnt(0)
	v_fma_f64 v[108:109], v[108:109], v[114:115], -v[116:117]
	v_fma_f64 v[110:111], v[110:111], v[114:115], v[112:113]
	v_add_f64 v[3:4], v[3:4], v[108:109]
	v_add_f64 v[1:2], v[1:2], v[110:111]
	s_andn2_b32 exec_lo, exec_lo, s5
	s_cbranch_execnz .LBB111_81
; %bb.82:
	s_or_b32 exec_lo, exec_lo, s5
	v_mov_b32_e32 v7, 0
	ds_read_b128 v[108:111], v7 offset:272
	s_waitcnt lgkmcnt(0)
	v_mul_f64 v[7:8], v[1:2], v[110:111]
	v_mul_f64 v[105:106], v[3:4], v[110:111]
	v_fma_f64 v[3:4], v[3:4], v[108:109], -v[7:8]
	v_fma_f64 v[1:2], v[1:2], v[108:109], v[105:106]
	buffer_store_dword v4, off, s[0:3], 0 offset:292
	buffer_store_dword v3, off, s[0:3], 0 offset:288
	;; [unrolled: 1-line block ×4, first 2 shown]
.LBB111_83:
	s_or_b32 exec_lo, exec_lo, s4
	v_mov_b32_e32 v4, s42
	s_waitcnt_vscnt null, 0x0
	s_barrier
	buffer_gl0_inv
	s_mov_b32 s4, exec_lo
	s_clause 0x3
	buffer_load_dword v1, v4, s[0:3], 0 offen
	buffer_load_dword v2, v4, s[0:3], 0 offen offset:4
	buffer_load_dword v3, v4, s[0:3], 0 offen offset:8
	;; [unrolled: 1-line block ×3, first 2 shown]
	s_waitcnt vmcnt(0)
	ds_write_b128 v5, v[1:4]
	s_waitcnt lgkmcnt(0)
	s_barrier
	buffer_gl0_inv
	v_cmpx_gt_u32_e32 18, v0
	s_cbranch_execz .LBB111_87
; %bb.84:
	v_mov_b32_e32 v1, 0
	v_mov_b32_e32 v3, 0
	v_add_nc_u32_e32 v7, -1, v0
	v_add_nc_u32_e32 v8, 0x300, v107
	v_mov_b32_e32 v2, 0
	v_mov_b32_e32 v4, 0
	v_add_nc_u32_e32 v105, 16, v107
	s_mov_b32 s5, 0
	.p2align	6
.LBB111_85:                             ; =>This Inner Loop Header: Depth=1
	s_clause 0x3
	buffer_load_dword v112, v105, s[0:3], 0 offen offset:8
	buffer_load_dword v113, v105, s[0:3], 0 offen offset:12
	buffer_load_dword v114, v105, s[0:3], 0 offen
	buffer_load_dword v115, v105, s[0:3], 0 offen offset:4
	ds_read_b128 v[108:111], v8
	v_add_nc_u32_e32 v7, 1, v7
	v_add_nc_u32_e32 v8, 16, v8
	;; [unrolled: 1-line block ×3, first 2 shown]
	v_cmp_lt_u32_e32 vcc_lo, 16, v7
	s_or_b32 s5, vcc_lo, s5
	s_waitcnt vmcnt(2) lgkmcnt(0)
	v_mul_f64 v[116:117], v[110:111], v[112:113]
	v_mul_f64 v[112:113], v[108:109], v[112:113]
	s_waitcnt vmcnt(0)
	v_fma_f64 v[108:109], v[108:109], v[114:115], -v[116:117]
	v_fma_f64 v[110:111], v[110:111], v[114:115], v[112:113]
	v_add_f64 v[3:4], v[3:4], v[108:109]
	v_add_f64 v[1:2], v[1:2], v[110:111]
	s_andn2_b32 exec_lo, exec_lo, s5
	s_cbranch_execnz .LBB111_85
; %bb.86:
	s_or_b32 exec_lo, exec_lo, s5
	v_mov_b32_e32 v7, 0
	ds_read_b128 v[108:111], v7 offset:288
	s_waitcnt lgkmcnt(0)
	v_mul_f64 v[7:8], v[1:2], v[110:111]
	v_mul_f64 v[105:106], v[3:4], v[110:111]
	v_fma_f64 v[3:4], v[3:4], v[108:109], -v[7:8]
	v_fma_f64 v[1:2], v[1:2], v[108:109], v[105:106]
	buffer_store_dword v4, off, s[0:3], 0 offset:308
	buffer_store_dword v3, off, s[0:3], 0 offset:304
	;; [unrolled: 1-line block ×4, first 2 shown]
.LBB111_87:
	s_or_b32 exec_lo, exec_lo, s4
	v_mov_b32_e32 v4, s41
	s_waitcnt_vscnt null, 0x0
	s_barrier
	buffer_gl0_inv
	s_mov_b32 s4, exec_lo
	s_clause 0x3
	buffer_load_dword v1, v4, s[0:3], 0 offen
	buffer_load_dword v2, v4, s[0:3], 0 offen offset:4
	buffer_load_dword v3, v4, s[0:3], 0 offen offset:8
	;; [unrolled: 1-line block ×3, first 2 shown]
	s_waitcnt vmcnt(0)
	ds_write_b128 v5, v[1:4]
	s_waitcnt lgkmcnt(0)
	s_barrier
	buffer_gl0_inv
	v_cmpx_gt_u32_e32 19, v0
	s_cbranch_execz .LBB111_91
; %bb.88:
	v_mov_b32_e32 v1, 0
	v_mov_b32_e32 v3, 0
	v_add_nc_u32_e32 v7, -1, v0
	v_add_nc_u32_e32 v8, 0x300, v107
	v_mov_b32_e32 v2, 0
	v_mov_b32_e32 v4, 0
	v_add_nc_u32_e32 v105, 16, v107
	s_mov_b32 s5, 0
	.p2align	6
.LBB111_89:                             ; =>This Inner Loop Header: Depth=1
	s_clause 0x3
	buffer_load_dword v112, v105, s[0:3], 0 offen offset:8
	buffer_load_dword v113, v105, s[0:3], 0 offen offset:12
	buffer_load_dword v114, v105, s[0:3], 0 offen
	buffer_load_dword v115, v105, s[0:3], 0 offen offset:4
	ds_read_b128 v[108:111], v8
	v_add_nc_u32_e32 v7, 1, v7
	v_add_nc_u32_e32 v8, 16, v8
	;; [unrolled: 1-line block ×3, first 2 shown]
	v_cmp_lt_u32_e32 vcc_lo, 17, v7
	s_or_b32 s5, vcc_lo, s5
	s_waitcnt vmcnt(2) lgkmcnt(0)
	v_mul_f64 v[116:117], v[110:111], v[112:113]
	v_mul_f64 v[112:113], v[108:109], v[112:113]
	s_waitcnt vmcnt(0)
	v_fma_f64 v[108:109], v[108:109], v[114:115], -v[116:117]
	v_fma_f64 v[110:111], v[110:111], v[114:115], v[112:113]
	v_add_f64 v[3:4], v[3:4], v[108:109]
	v_add_f64 v[1:2], v[1:2], v[110:111]
	s_andn2_b32 exec_lo, exec_lo, s5
	s_cbranch_execnz .LBB111_89
; %bb.90:
	s_or_b32 exec_lo, exec_lo, s5
	v_mov_b32_e32 v7, 0
	ds_read_b128 v[108:111], v7 offset:304
	s_waitcnt lgkmcnt(0)
	v_mul_f64 v[7:8], v[1:2], v[110:111]
	v_mul_f64 v[105:106], v[3:4], v[110:111]
	v_fma_f64 v[3:4], v[3:4], v[108:109], -v[7:8]
	v_fma_f64 v[1:2], v[1:2], v[108:109], v[105:106]
	buffer_store_dword v4, off, s[0:3], 0 offset:324
	buffer_store_dword v3, off, s[0:3], 0 offset:320
	;; [unrolled: 1-line block ×4, first 2 shown]
.LBB111_91:
	s_or_b32 exec_lo, exec_lo, s4
	v_mov_b32_e32 v4, s40
	s_waitcnt_vscnt null, 0x0
	s_barrier
	buffer_gl0_inv
	s_mov_b32 s4, exec_lo
	s_clause 0x3
	buffer_load_dword v1, v4, s[0:3], 0 offen
	buffer_load_dword v2, v4, s[0:3], 0 offen offset:4
	buffer_load_dword v3, v4, s[0:3], 0 offen offset:8
	;; [unrolled: 1-line block ×3, first 2 shown]
	s_waitcnt vmcnt(0)
	ds_write_b128 v5, v[1:4]
	s_waitcnt lgkmcnt(0)
	s_barrier
	buffer_gl0_inv
	v_cmpx_gt_u32_e32 20, v0
	s_cbranch_execz .LBB111_95
; %bb.92:
	v_mov_b32_e32 v1, 0
	v_mov_b32_e32 v3, 0
	v_add_nc_u32_e32 v7, -1, v0
	v_add_nc_u32_e32 v8, 0x300, v107
	v_mov_b32_e32 v2, 0
	v_mov_b32_e32 v4, 0
	v_add_nc_u32_e32 v105, 16, v107
	s_mov_b32 s5, 0
	.p2align	6
.LBB111_93:                             ; =>This Inner Loop Header: Depth=1
	s_clause 0x3
	buffer_load_dword v112, v105, s[0:3], 0 offen offset:8
	buffer_load_dword v113, v105, s[0:3], 0 offen offset:12
	buffer_load_dword v114, v105, s[0:3], 0 offen
	buffer_load_dword v115, v105, s[0:3], 0 offen offset:4
	ds_read_b128 v[108:111], v8
	v_add_nc_u32_e32 v7, 1, v7
	v_add_nc_u32_e32 v8, 16, v8
	;; [unrolled: 1-line block ×3, first 2 shown]
	v_cmp_lt_u32_e32 vcc_lo, 18, v7
	s_or_b32 s5, vcc_lo, s5
	s_waitcnt vmcnt(2) lgkmcnt(0)
	v_mul_f64 v[116:117], v[110:111], v[112:113]
	v_mul_f64 v[112:113], v[108:109], v[112:113]
	s_waitcnt vmcnt(0)
	v_fma_f64 v[108:109], v[108:109], v[114:115], -v[116:117]
	v_fma_f64 v[110:111], v[110:111], v[114:115], v[112:113]
	v_add_f64 v[3:4], v[3:4], v[108:109]
	v_add_f64 v[1:2], v[1:2], v[110:111]
	s_andn2_b32 exec_lo, exec_lo, s5
	s_cbranch_execnz .LBB111_93
; %bb.94:
	s_or_b32 exec_lo, exec_lo, s5
	v_mov_b32_e32 v7, 0
	ds_read_b128 v[108:111], v7 offset:320
	s_waitcnt lgkmcnt(0)
	v_mul_f64 v[7:8], v[1:2], v[110:111]
	v_mul_f64 v[105:106], v[3:4], v[110:111]
	v_fma_f64 v[3:4], v[3:4], v[108:109], -v[7:8]
	v_fma_f64 v[1:2], v[1:2], v[108:109], v[105:106]
	buffer_store_dword v4, off, s[0:3], 0 offset:340
	buffer_store_dword v3, off, s[0:3], 0 offset:336
	;; [unrolled: 1-line block ×4, first 2 shown]
.LBB111_95:
	s_or_b32 exec_lo, exec_lo, s4
	v_mov_b32_e32 v4, s39
	s_waitcnt_vscnt null, 0x0
	s_barrier
	buffer_gl0_inv
	s_mov_b32 s4, exec_lo
	s_clause 0x3
	buffer_load_dword v1, v4, s[0:3], 0 offen
	buffer_load_dword v2, v4, s[0:3], 0 offen offset:4
	buffer_load_dword v3, v4, s[0:3], 0 offen offset:8
	;; [unrolled: 1-line block ×3, first 2 shown]
	s_waitcnt vmcnt(0)
	ds_write_b128 v5, v[1:4]
	s_waitcnt lgkmcnt(0)
	s_barrier
	buffer_gl0_inv
	v_cmpx_gt_u32_e32 21, v0
	s_cbranch_execz .LBB111_99
; %bb.96:
	v_mov_b32_e32 v1, 0
	v_mov_b32_e32 v3, 0
	v_add_nc_u32_e32 v7, -1, v0
	v_add_nc_u32_e32 v8, 0x300, v107
	v_mov_b32_e32 v2, 0
	v_mov_b32_e32 v4, 0
	v_add_nc_u32_e32 v105, 16, v107
	s_mov_b32 s5, 0
	.p2align	6
.LBB111_97:                             ; =>This Inner Loop Header: Depth=1
	s_clause 0x3
	buffer_load_dword v112, v105, s[0:3], 0 offen offset:8
	buffer_load_dword v113, v105, s[0:3], 0 offen offset:12
	buffer_load_dword v114, v105, s[0:3], 0 offen
	buffer_load_dword v115, v105, s[0:3], 0 offen offset:4
	ds_read_b128 v[108:111], v8
	v_add_nc_u32_e32 v7, 1, v7
	v_add_nc_u32_e32 v8, 16, v8
	;; [unrolled: 1-line block ×3, first 2 shown]
	v_cmp_lt_u32_e32 vcc_lo, 19, v7
	s_or_b32 s5, vcc_lo, s5
	s_waitcnt vmcnt(2) lgkmcnt(0)
	v_mul_f64 v[116:117], v[110:111], v[112:113]
	v_mul_f64 v[112:113], v[108:109], v[112:113]
	s_waitcnt vmcnt(0)
	v_fma_f64 v[108:109], v[108:109], v[114:115], -v[116:117]
	v_fma_f64 v[110:111], v[110:111], v[114:115], v[112:113]
	v_add_f64 v[3:4], v[3:4], v[108:109]
	v_add_f64 v[1:2], v[1:2], v[110:111]
	s_andn2_b32 exec_lo, exec_lo, s5
	s_cbranch_execnz .LBB111_97
; %bb.98:
	s_or_b32 exec_lo, exec_lo, s5
	v_mov_b32_e32 v7, 0
	ds_read_b128 v[108:111], v7 offset:336
	s_waitcnt lgkmcnt(0)
	v_mul_f64 v[7:8], v[1:2], v[110:111]
	v_mul_f64 v[105:106], v[3:4], v[110:111]
	v_fma_f64 v[3:4], v[3:4], v[108:109], -v[7:8]
	v_fma_f64 v[1:2], v[1:2], v[108:109], v[105:106]
	buffer_store_dword v4, off, s[0:3], 0 offset:356
	buffer_store_dword v3, off, s[0:3], 0 offset:352
	;; [unrolled: 1-line block ×4, first 2 shown]
.LBB111_99:
	s_or_b32 exec_lo, exec_lo, s4
	v_mov_b32_e32 v4, s38
	s_waitcnt_vscnt null, 0x0
	s_barrier
	buffer_gl0_inv
	s_mov_b32 s4, exec_lo
	s_clause 0x3
	buffer_load_dword v1, v4, s[0:3], 0 offen
	buffer_load_dword v2, v4, s[0:3], 0 offen offset:4
	buffer_load_dword v3, v4, s[0:3], 0 offen offset:8
	;; [unrolled: 1-line block ×3, first 2 shown]
	s_waitcnt vmcnt(0)
	ds_write_b128 v5, v[1:4]
	s_waitcnt lgkmcnt(0)
	s_barrier
	buffer_gl0_inv
	v_cmpx_gt_u32_e32 22, v0
	s_cbranch_execz .LBB111_103
; %bb.100:
	v_mov_b32_e32 v1, 0
	v_mov_b32_e32 v3, 0
	v_add_nc_u32_e32 v7, -1, v0
	v_add_nc_u32_e32 v8, 0x300, v107
	v_mov_b32_e32 v2, 0
	v_mov_b32_e32 v4, 0
	v_add_nc_u32_e32 v105, 16, v107
	s_mov_b32 s5, 0
	.p2align	6
.LBB111_101:                            ; =>This Inner Loop Header: Depth=1
	s_clause 0x3
	buffer_load_dword v112, v105, s[0:3], 0 offen offset:8
	buffer_load_dword v113, v105, s[0:3], 0 offen offset:12
	buffer_load_dword v114, v105, s[0:3], 0 offen
	buffer_load_dword v115, v105, s[0:3], 0 offen offset:4
	ds_read_b128 v[108:111], v8
	v_add_nc_u32_e32 v7, 1, v7
	v_add_nc_u32_e32 v8, 16, v8
	;; [unrolled: 1-line block ×3, first 2 shown]
	v_cmp_lt_u32_e32 vcc_lo, 20, v7
	s_or_b32 s5, vcc_lo, s5
	s_waitcnt vmcnt(2) lgkmcnt(0)
	v_mul_f64 v[116:117], v[110:111], v[112:113]
	v_mul_f64 v[112:113], v[108:109], v[112:113]
	s_waitcnt vmcnt(0)
	v_fma_f64 v[108:109], v[108:109], v[114:115], -v[116:117]
	v_fma_f64 v[110:111], v[110:111], v[114:115], v[112:113]
	v_add_f64 v[3:4], v[3:4], v[108:109]
	v_add_f64 v[1:2], v[1:2], v[110:111]
	s_andn2_b32 exec_lo, exec_lo, s5
	s_cbranch_execnz .LBB111_101
; %bb.102:
	s_or_b32 exec_lo, exec_lo, s5
	v_mov_b32_e32 v7, 0
	ds_read_b128 v[108:111], v7 offset:352
	s_waitcnt lgkmcnt(0)
	v_mul_f64 v[7:8], v[1:2], v[110:111]
	v_mul_f64 v[105:106], v[3:4], v[110:111]
	v_fma_f64 v[3:4], v[3:4], v[108:109], -v[7:8]
	v_fma_f64 v[1:2], v[1:2], v[108:109], v[105:106]
	buffer_store_dword v4, off, s[0:3], 0 offset:372
	buffer_store_dword v3, off, s[0:3], 0 offset:368
	;; [unrolled: 1-line block ×4, first 2 shown]
.LBB111_103:
	s_or_b32 exec_lo, exec_lo, s4
	v_mov_b32_e32 v4, s37
	s_waitcnt_vscnt null, 0x0
	s_barrier
	buffer_gl0_inv
	s_mov_b32 s4, exec_lo
	s_clause 0x3
	buffer_load_dword v1, v4, s[0:3], 0 offen
	buffer_load_dword v2, v4, s[0:3], 0 offen offset:4
	buffer_load_dword v3, v4, s[0:3], 0 offen offset:8
	;; [unrolled: 1-line block ×3, first 2 shown]
	s_waitcnt vmcnt(0)
	ds_write_b128 v5, v[1:4]
	s_waitcnt lgkmcnt(0)
	s_barrier
	buffer_gl0_inv
	v_cmpx_gt_u32_e32 23, v0
	s_cbranch_execz .LBB111_107
; %bb.104:
	v_mov_b32_e32 v1, 0
	v_mov_b32_e32 v3, 0
	v_add_nc_u32_e32 v7, -1, v0
	v_add_nc_u32_e32 v8, 0x300, v107
	v_mov_b32_e32 v2, 0
	v_mov_b32_e32 v4, 0
	v_add_nc_u32_e32 v105, 16, v107
	s_mov_b32 s5, 0
	.p2align	6
.LBB111_105:                            ; =>This Inner Loop Header: Depth=1
	s_clause 0x3
	buffer_load_dword v112, v105, s[0:3], 0 offen offset:8
	buffer_load_dword v113, v105, s[0:3], 0 offen offset:12
	buffer_load_dword v114, v105, s[0:3], 0 offen
	buffer_load_dword v115, v105, s[0:3], 0 offen offset:4
	ds_read_b128 v[108:111], v8
	v_add_nc_u32_e32 v7, 1, v7
	v_add_nc_u32_e32 v8, 16, v8
	;; [unrolled: 1-line block ×3, first 2 shown]
	v_cmp_lt_u32_e32 vcc_lo, 21, v7
	s_or_b32 s5, vcc_lo, s5
	s_waitcnt vmcnt(2) lgkmcnt(0)
	v_mul_f64 v[116:117], v[110:111], v[112:113]
	v_mul_f64 v[112:113], v[108:109], v[112:113]
	s_waitcnt vmcnt(0)
	v_fma_f64 v[108:109], v[108:109], v[114:115], -v[116:117]
	v_fma_f64 v[110:111], v[110:111], v[114:115], v[112:113]
	v_add_f64 v[3:4], v[3:4], v[108:109]
	v_add_f64 v[1:2], v[1:2], v[110:111]
	s_andn2_b32 exec_lo, exec_lo, s5
	s_cbranch_execnz .LBB111_105
; %bb.106:
	s_or_b32 exec_lo, exec_lo, s5
	v_mov_b32_e32 v7, 0
	ds_read_b128 v[108:111], v7 offset:368
	s_waitcnt lgkmcnt(0)
	v_mul_f64 v[7:8], v[1:2], v[110:111]
	v_mul_f64 v[105:106], v[3:4], v[110:111]
	v_fma_f64 v[3:4], v[3:4], v[108:109], -v[7:8]
	v_fma_f64 v[1:2], v[1:2], v[108:109], v[105:106]
	buffer_store_dword v4, off, s[0:3], 0 offset:388
	buffer_store_dword v3, off, s[0:3], 0 offset:384
	;; [unrolled: 1-line block ×4, first 2 shown]
.LBB111_107:
	s_or_b32 exec_lo, exec_lo, s4
	v_mov_b32_e32 v4, s36
	s_waitcnt_vscnt null, 0x0
	s_barrier
	buffer_gl0_inv
	s_mov_b32 s4, exec_lo
	s_clause 0x3
	buffer_load_dword v1, v4, s[0:3], 0 offen
	buffer_load_dword v2, v4, s[0:3], 0 offen offset:4
	buffer_load_dword v3, v4, s[0:3], 0 offen offset:8
	;; [unrolled: 1-line block ×3, first 2 shown]
	s_waitcnt vmcnt(0)
	ds_write_b128 v5, v[1:4]
	s_waitcnt lgkmcnt(0)
	s_barrier
	buffer_gl0_inv
	v_cmpx_gt_u32_e32 24, v0
	s_cbranch_execz .LBB111_111
; %bb.108:
	v_mov_b32_e32 v1, 0
	v_mov_b32_e32 v3, 0
	v_add_nc_u32_e32 v7, -1, v0
	v_add_nc_u32_e32 v8, 0x300, v107
	v_mov_b32_e32 v2, 0
	v_mov_b32_e32 v4, 0
	v_add_nc_u32_e32 v105, 16, v107
	s_mov_b32 s5, 0
	.p2align	6
.LBB111_109:                            ; =>This Inner Loop Header: Depth=1
	s_clause 0x3
	buffer_load_dword v112, v105, s[0:3], 0 offen offset:8
	buffer_load_dword v113, v105, s[0:3], 0 offen offset:12
	buffer_load_dword v114, v105, s[0:3], 0 offen
	buffer_load_dword v115, v105, s[0:3], 0 offen offset:4
	ds_read_b128 v[108:111], v8
	v_add_nc_u32_e32 v7, 1, v7
	v_add_nc_u32_e32 v8, 16, v8
	v_add_nc_u32_e32 v105, 16, v105
	v_cmp_lt_u32_e32 vcc_lo, 22, v7
	s_or_b32 s5, vcc_lo, s5
	s_waitcnt vmcnt(2) lgkmcnt(0)
	v_mul_f64 v[116:117], v[110:111], v[112:113]
	v_mul_f64 v[112:113], v[108:109], v[112:113]
	s_waitcnt vmcnt(0)
	v_fma_f64 v[108:109], v[108:109], v[114:115], -v[116:117]
	v_fma_f64 v[110:111], v[110:111], v[114:115], v[112:113]
	v_add_f64 v[3:4], v[3:4], v[108:109]
	v_add_f64 v[1:2], v[1:2], v[110:111]
	s_andn2_b32 exec_lo, exec_lo, s5
	s_cbranch_execnz .LBB111_109
; %bb.110:
	s_or_b32 exec_lo, exec_lo, s5
	v_mov_b32_e32 v7, 0
	ds_read_b128 v[108:111], v7 offset:384
	s_waitcnt lgkmcnt(0)
	v_mul_f64 v[7:8], v[1:2], v[110:111]
	v_mul_f64 v[105:106], v[3:4], v[110:111]
	v_fma_f64 v[3:4], v[3:4], v[108:109], -v[7:8]
	v_fma_f64 v[1:2], v[1:2], v[108:109], v[105:106]
	buffer_store_dword v4, off, s[0:3], 0 offset:404
	buffer_store_dword v3, off, s[0:3], 0 offset:400
	;; [unrolled: 1-line block ×4, first 2 shown]
.LBB111_111:
	s_or_b32 exec_lo, exec_lo, s4
	v_mov_b32_e32 v4, s35
	s_waitcnt_vscnt null, 0x0
	s_barrier
	buffer_gl0_inv
	s_mov_b32 s4, exec_lo
	s_clause 0x3
	buffer_load_dword v1, v4, s[0:3], 0 offen
	buffer_load_dword v2, v4, s[0:3], 0 offen offset:4
	buffer_load_dword v3, v4, s[0:3], 0 offen offset:8
	;; [unrolled: 1-line block ×3, first 2 shown]
	s_waitcnt vmcnt(0)
	ds_write_b128 v5, v[1:4]
	s_waitcnt lgkmcnt(0)
	s_barrier
	buffer_gl0_inv
	v_cmpx_gt_u32_e32 25, v0
	s_cbranch_execz .LBB111_115
; %bb.112:
	v_mov_b32_e32 v1, 0
	v_mov_b32_e32 v3, 0
	v_add_nc_u32_e32 v7, -1, v0
	v_add_nc_u32_e32 v8, 0x300, v107
	v_mov_b32_e32 v2, 0
	v_mov_b32_e32 v4, 0
	v_add_nc_u32_e32 v105, 16, v107
	s_mov_b32 s5, 0
	.p2align	6
.LBB111_113:                            ; =>This Inner Loop Header: Depth=1
	s_clause 0x3
	buffer_load_dword v112, v105, s[0:3], 0 offen offset:8
	buffer_load_dword v113, v105, s[0:3], 0 offen offset:12
	buffer_load_dword v114, v105, s[0:3], 0 offen
	buffer_load_dword v115, v105, s[0:3], 0 offen offset:4
	ds_read_b128 v[108:111], v8
	v_add_nc_u32_e32 v7, 1, v7
	v_add_nc_u32_e32 v8, 16, v8
	;; [unrolled: 1-line block ×3, first 2 shown]
	v_cmp_lt_u32_e32 vcc_lo, 23, v7
	s_or_b32 s5, vcc_lo, s5
	s_waitcnt vmcnt(2) lgkmcnt(0)
	v_mul_f64 v[116:117], v[110:111], v[112:113]
	v_mul_f64 v[112:113], v[108:109], v[112:113]
	s_waitcnt vmcnt(0)
	v_fma_f64 v[108:109], v[108:109], v[114:115], -v[116:117]
	v_fma_f64 v[110:111], v[110:111], v[114:115], v[112:113]
	v_add_f64 v[3:4], v[3:4], v[108:109]
	v_add_f64 v[1:2], v[1:2], v[110:111]
	s_andn2_b32 exec_lo, exec_lo, s5
	s_cbranch_execnz .LBB111_113
; %bb.114:
	s_or_b32 exec_lo, exec_lo, s5
	v_mov_b32_e32 v7, 0
	ds_read_b128 v[108:111], v7 offset:400
	s_waitcnt lgkmcnt(0)
	v_mul_f64 v[7:8], v[1:2], v[110:111]
	v_mul_f64 v[105:106], v[3:4], v[110:111]
	v_fma_f64 v[3:4], v[3:4], v[108:109], -v[7:8]
	v_fma_f64 v[1:2], v[1:2], v[108:109], v[105:106]
	buffer_store_dword v4, off, s[0:3], 0 offset:420
	buffer_store_dword v3, off, s[0:3], 0 offset:416
	;; [unrolled: 1-line block ×4, first 2 shown]
.LBB111_115:
	s_or_b32 exec_lo, exec_lo, s4
	v_mov_b32_e32 v4, s34
	s_waitcnt_vscnt null, 0x0
	s_barrier
	buffer_gl0_inv
	s_mov_b32 s4, exec_lo
	s_clause 0x3
	buffer_load_dword v1, v4, s[0:3], 0 offen
	buffer_load_dword v2, v4, s[0:3], 0 offen offset:4
	buffer_load_dword v3, v4, s[0:3], 0 offen offset:8
	;; [unrolled: 1-line block ×3, first 2 shown]
	s_waitcnt vmcnt(0)
	ds_write_b128 v5, v[1:4]
	s_waitcnt lgkmcnt(0)
	s_barrier
	buffer_gl0_inv
	v_cmpx_gt_u32_e32 26, v0
	s_cbranch_execz .LBB111_119
; %bb.116:
	v_mov_b32_e32 v1, 0
	v_mov_b32_e32 v3, 0
	v_add_nc_u32_e32 v7, -1, v0
	v_add_nc_u32_e32 v8, 0x300, v107
	v_mov_b32_e32 v2, 0
	v_mov_b32_e32 v4, 0
	v_add_nc_u32_e32 v105, 16, v107
	s_mov_b32 s5, 0
	.p2align	6
.LBB111_117:                            ; =>This Inner Loop Header: Depth=1
	s_clause 0x3
	buffer_load_dword v112, v105, s[0:3], 0 offen offset:8
	buffer_load_dword v113, v105, s[0:3], 0 offen offset:12
	buffer_load_dword v114, v105, s[0:3], 0 offen
	buffer_load_dword v115, v105, s[0:3], 0 offen offset:4
	ds_read_b128 v[108:111], v8
	v_add_nc_u32_e32 v7, 1, v7
	v_add_nc_u32_e32 v8, 16, v8
	;; [unrolled: 1-line block ×3, first 2 shown]
	v_cmp_lt_u32_e32 vcc_lo, 24, v7
	s_or_b32 s5, vcc_lo, s5
	s_waitcnt vmcnt(2) lgkmcnt(0)
	v_mul_f64 v[116:117], v[110:111], v[112:113]
	v_mul_f64 v[112:113], v[108:109], v[112:113]
	s_waitcnt vmcnt(0)
	v_fma_f64 v[108:109], v[108:109], v[114:115], -v[116:117]
	v_fma_f64 v[110:111], v[110:111], v[114:115], v[112:113]
	v_add_f64 v[3:4], v[3:4], v[108:109]
	v_add_f64 v[1:2], v[1:2], v[110:111]
	s_andn2_b32 exec_lo, exec_lo, s5
	s_cbranch_execnz .LBB111_117
; %bb.118:
	s_or_b32 exec_lo, exec_lo, s5
	v_mov_b32_e32 v7, 0
	ds_read_b128 v[108:111], v7 offset:416
	s_waitcnt lgkmcnt(0)
	v_mul_f64 v[7:8], v[1:2], v[110:111]
	v_mul_f64 v[105:106], v[3:4], v[110:111]
	v_fma_f64 v[3:4], v[3:4], v[108:109], -v[7:8]
	v_fma_f64 v[1:2], v[1:2], v[108:109], v[105:106]
	buffer_store_dword v4, off, s[0:3], 0 offset:436
	buffer_store_dword v3, off, s[0:3], 0 offset:432
	;; [unrolled: 1-line block ×4, first 2 shown]
.LBB111_119:
	s_or_b32 exec_lo, exec_lo, s4
	v_mov_b32_e32 v4, s33
	s_waitcnt_vscnt null, 0x0
	s_barrier
	buffer_gl0_inv
	s_mov_b32 s4, exec_lo
	s_clause 0x3
	buffer_load_dword v1, v4, s[0:3], 0 offen
	buffer_load_dword v2, v4, s[0:3], 0 offen offset:4
	buffer_load_dword v3, v4, s[0:3], 0 offen offset:8
	;; [unrolled: 1-line block ×3, first 2 shown]
	s_waitcnt vmcnt(0)
	ds_write_b128 v5, v[1:4]
	s_waitcnt lgkmcnt(0)
	s_barrier
	buffer_gl0_inv
	v_cmpx_gt_u32_e32 27, v0
	s_cbranch_execz .LBB111_123
; %bb.120:
	v_mov_b32_e32 v1, 0
	v_mov_b32_e32 v3, 0
	v_add_nc_u32_e32 v7, -1, v0
	v_add_nc_u32_e32 v8, 0x300, v107
	v_mov_b32_e32 v2, 0
	v_mov_b32_e32 v4, 0
	v_add_nc_u32_e32 v105, 16, v107
	s_mov_b32 s5, 0
	.p2align	6
.LBB111_121:                            ; =>This Inner Loop Header: Depth=1
	s_clause 0x3
	buffer_load_dword v112, v105, s[0:3], 0 offen offset:8
	buffer_load_dword v113, v105, s[0:3], 0 offen offset:12
	buffer_load_dword v114, v105, s[0:3], 0 offen
	buffer_load_dword v115, v105, s[0:3], 0 offen offset:4
	ds_read_b128 v[108:111], v8
	v_add_nc_u32_e32 v7, 1, v7
	v_add_nc_u32_e32 v8, 16, v8
	;; [unrolled: 1-line block ×3, first 2 shown]
	v_cmp_lt_u32_e32 vcc_lo, 25, v7
	s_or_b32 s5, vcc_lo, s5
	s_waitcnt vmcnt(2) lgkmcnt(0)
	v_mul_f64 v[116:117], v[110:111], v[112:113]
	v_mul_f64 v[112:113], v[108:109], v[112:113]
	s_waitcnt vmcnt(0)
	v_fma_f64 v[108:109], v[108:109], v[114:115], -v[116:117]
	v_fma_f64 v[110:111], v[110:111], v[114:115], v[112:113]
	v_add_f64 v[3:4], v[3:4], v[108:109]
	v_add_f64 v[1:2], v[1:2], v[110:111]
	s_andn2_b32 exec_lo, exec_lo, s5
	s_cbranch_execnz .LBB111_121
; %bb.122:
	s_or_b32 exec_lo, exec_lo, s5
	v_mov_b32_e32 v7, 0
	ds_read_b128 v[108:111], v7 offset:432
	s_waitcnt lgkmcnt(0)
	v_mul_f64 v[7:8], v[1:2], v[110:111]
	v_mul_f64 v[105:106], v[3:4], v[110:111]
	v_fma_f64 v[3:4], v[3:4], v[108:109], -v[7:8]
	v_fma_f64 v[1:2], v[1:2], v[108:109], v[105:106]
	buffer_store_dword v4, off, s[0:3], 0 offset:452
	buffer_store_dword v3, off, s[0:3], 0 offset:448
	buffer_store_dword v2, off, s[0:3], 0 offset:460
	buffer_store_dword v1, off, s[0:3], 0 offset:456
.LBB111_123:
	s_or_b32 exec_lo, exec_lo, s4
	v_mov_b32_e32 v4, s31
	s_waitcnt_vscnt null, 0x0
	s_barrier
	buffer_gl0_inv
	s_mov_b32 s4, exec_lo
	s_clause 0x3
	buffer_load_dword v1, v4, s[0:3], 0 offen
	buffer_load_dword v2, v4, s[0:3], 0 offen offset:4
	buffer_load_dword v3, v4, s[0:3], 0 offen offset:8
	;; [unrolled: 1-line block ×3, first 2 shown]
	s_waitcnt vmcnt(0)
	ds_write_b128 v5, v[1:4]
	s_waitcnt lgkmcnt(0)
	s_barrier
	buffer_gl0_inv
	v_cmpx_gt_u32_e32 28, v0
	s_cbranch_execz .LBB111_127
; %bb.124:
	v_mov_b32_e32 v1, 0
	v_mov_b32_e32 v3, 0
	v_add_nc_u32_e32 v7, -1, v0
	v_add_nc_u32_e32 v8, 0x300, v107
	v_mov_b32_e32 v2, 0
	v_mov_b32_e32 v4, 0
	v_add_nc_u32_e32 v105, 16, v107
	s_mov_b32 s5, 0
	.p2align	6
.LBB111_125:                            ; =>This Inner Loop Header: Depth=1
	s_clause 0x3
	buffer_load_dword v112, v105, s[0:3], 0 offen offset:8
	buffer_load_dword v113, v105, s[0:3], 0 offen offset:12
	buffer_load_dword v114, v105, s[0:3], 0 offen
	buffer_load_dword v115, v105, s[0:3], 0 offen offset:4
	ds_read_b128 v[108:111], v8
	v_add_nc_u32_e32 v7, 1, v7
	v_add_nc_u32_e32 v8, 16, v8
	;; [unrolled: 1-line block ×3, first 2 shown]
	v_cmp_lt_u32_e32 vcc_lo, 26, v7
	s_or_b32 s5, vcc_lo, s5
	s_waitcnt vmcnt(2) lgkmcnt(0)
	v_mul_f64 v[116:117], v[110:111], v[112:113]
	v_mul_f64 v[112:113], v[108:109], v[112:113]
	s_waitcnt vmcnt(0)
	v_fma_f64 v[108:109], v[108:109], v[114:115], -v[116:117]
	v_fma_f64 v[110:111], v[110:111], v[114:115], v[112:113]
	v_add_f64 v[3:4], v[3:4], v[108:109]
	v_add_f64 v[1:2], v[1:2], v[110:111]
	s_andn2_b32 exec_lo, exec_lo, s5
	s_cbranch_execnz .LBB111_125
; %bb.126:
	s_or_b32 exec_lo, exec_lo, s5
	v_mov_b32_e32 v7, 0
	ds_read_b128 v[108:111], v7 offset:448
	s_waitcnt lgkmcnt(0)
	v_mul_f64 v[7:8], v[1:2], v[110:111]
	v_mul_f64 v[105:106], v[3:4], v[110:111]
	v_fma_f64 v[3:4], v[3:4], v[108:109], -v[7:8]
	v_fma_f64 v[1:2], v[1:2], v[108:109], v[105:106]
	buffer_store_dword v4, off, s[0:3], 0 offset:468
	buffer_store_dword v3, off, s[0:3], 0 offset:464
	;; [unrolled: 1-line block ×4, first 2 shown]
.LBB111_127:
	s_or_b32 exec_lo, exec_lo, s4
	v_mov_b32_e32 v4, s30
	s_waitcnt_vscnt null, 0x0
	s_barrier
	buffer_gl0_inv
	s_mov_b32 s4, exec_lo
	s_clause 0x3
	buffer_load_dword v1, v4, s[0:3], 0 offen
	buffer_load_dword v2, v4, s[0:3], 0 offen offset:4
	buffer_load_dword v3, v4, s[0:3], 0 offen offset:8
	;; [unrolled: 1-line block ×3, first 2 shown]
	s_waitcnt vmcnt(0)
	ds_write_b128 v5, v[1:4]
	s_waitcnt lgkmcnt(0)
	s_barrier
	buffer_gl0_inv
	v_cmpx_gt_u32_e32 29, v0
	s_cbranch_execz .LBB111_131
; %bb.128:
	v_mov_b32_e32 v1, 0
	v_mov_b32_e32 v3, 0
	v_add_nc_u32_e32 v7, -1, v0
	v_add_nc_u32_e32 v8, 0x300, v107
	v_mov_b32_e32 v2, 0
	v_mov_b32_e32 v4, 0
	v_add_nc_u32_e32 v105, 16, v107
	s_mov_b32 s5, 0
	.p2align	6
.LBB111_129:                            ; =>This Inner Loop Header: Depth=1
	s_clause 0x3
	buffer_load_dword v112, v105, s[0:3], 0 offen offset:8
	buffer_load_dword v113, v105, s[0:3], 0 offen offset:12
	buffer_load_dword v114, v105, s[0:3], 0 offen
	buffer_load_dword v115, v105, s[0:3], 0 offen offset:4
	ds_read_b128 v[108:111], v8
	v_add_nc_u32_e32 v7, 1, v7
	v_add_nc_u32_e32 v8, 16, v8
	;; [unrolled: 1-line block ×3, first 2 shown]
	v_cmp_lt_u32_e32 vcc_lo, 27, v7
	s_or_b32 s5, vcc_lo, s5
	s_waitcnt vmcnt(2) lgkmcnt(0)
	v_mul_f64 v[116:117], v[110:111], v[112:113]
	v_mul_f64 v[112:113], v[108:109], v[112:113]
	s_waitcnt vmcnt(0)
	v_fma_f64 v[108:109], v[108:109], v[114:115], -v[116:117]
	v_fma_f64 v[110:111], v[110:111], v[114:115], v[112:113]
	v_add_f64 v[3:4], v[3:4], v[108:109]
	v_add_f64 v[1:2], v[1:2], v[110:111]
	s_andn2_b32 exec_lo, exec_lo, s5
	s_cbranch_execnz .LBB111_129
; %bb.130:
	s_or_b32 exec_lo, exec_lo, s5
	v_mov_b32_e32 v7, 0
	ds_read_b128 v[108:111], v7 offset:464
	s_waitcnt lgkmcnt(0)
	v_mul_f64 v[7:8], v[1:2], v[110:111]
	v_mul_f64 v[105:106], v[3:4], v[110:111]
	v_fma_f64 v[3:4], v[3:4], v[108:109], -v[7:8]
	v_fma_f64 v[1:2], v[1:2], v[108:109], v[105:106]
	buffer_store_dword v4, off, s[0:3], 0 offset:484
	buffer_store_dword v3, off, s[0:3], 0 offset:480
	;; [unrolled: 1-line block ×4, first 2 shown]
.LBB111_131:
	s_or_b32 exec_lo, exec_lo, s4
	v_mov_b32_e32 v4, s29
	s_waitcnt_vscnt null, 0x0
	s_barrier
	buffer_gl0_inv
	s_mov_b32 s4, exec_lo
	s_clause 0x3
	buffer_load_dword v1, v4, s[0:3], 0 offen
	buffer_load_dword v2, v4, s[0:3], 0 offen offset:4
	buffer_load_dword v3, v4, s[0:3], 0 offen offset:8
	;; [unrolled: 1-line block ×3, first 2 shown]
	s_waitcnt vmcnt(0)
	ds_write_b128 v5, v[1:4]
	s_waitcnt lgkmcnt(0)
	s_barrier
	buffer_gl0_inv
	v_cmpx_gt_u32_e32 30, v0
	s_cbranch_execz .LBB111_135
; %bb.132:
	v_mov_b32_e32 v1, 0
	v_mov_b32_e32 v3, 0
	v_add_nc_u32_e32 v7, -1, v0
	v_add_nc_u32_e32 v8, 0x300, v107
	v_mov_b32_e32 v2, 0
	v_mov_b32_e32 v4, 0
	v_add_nc_u32_e32 v105, 16, v107
	s_mov_b32 s5, 0
	.p2align	6
.LBB111_133:                            ; =>This Inner Loop Header: Depth=1
	s_clause 0x3
	buffer_load_dword v112, v105, s[0:3], 0 offen offset:8
	buffer_load_dword v113, v105, s[0:3], 0 offen offset:12
	buffer_load_dword v114, v105, s[0:3], 0 offen
	buffer_load_dword v115, v105, s[0:3], 0 offen offset:4
	ds_read_b128 v[108:111], v8
	v_add_nc_u32_e32 v7, 1, v7
	v_add_nc_u32_e32 v8, 16, v8
	;; [unrolled: 1-line block ×3, first 2 shown]
	v_cmp_lt_u32_e32 vcc_lo, 28, v7
	s_or_b32 s5, vcc_lo, s5
	s_waitcnt vmcnt(2) lgkmcnt(0)
	v_mul_f64 v[116:117], v[110:111], v[112:113]
	v_mul_f64 v[112:113], v[108:109], v[112:113]
	s_waitcnt vmcnt(0)
	v_fma_f64 v[108:109], v[108:109], v[114:115], -v[116:117]
	v_fma_f64 v[110:111], v[110:111], v[114:115], v[112:113]
	v_add_f64 v[3:4], v[3:4], v[108:109]
	v_add_f64 v[1:2], v[1:2], v[110:111]
	s_andn2_b32 exec_lo, exec_lo, s5
	s_cbranch_execnz .LBB111_133
; %bb.134:
	s_or_b32 exec_lo, exec_lo, s5
	v_mov_b32_e32 v7, 0
	ds_read_b128 v[108:111], v7 offset:480
	s_waitcnt lgkmcnt(0)
	v_mul_f64 v[7:8], v[1:2], v[110:111]
	v_mul_f64 v[105:106], v[3:4], v[110:111]
	v_fma_f64 v[3:4], v[3:4], v[108:109], -v[7:8]
	v_fma_f64 v[1:2], v[1:2], v[108:109], v[105:106]
	buffer_store_dword v4, off, s[0:3], 0 offset:500
	buffer_store_dword v3, off, s[0:3], 0 offset:496
	;; [unrolled: 1-line block ×4, first 2 shown]
.LBB111_135:
	s_or_b32 exec_lo, exec_lo, s4
	v_mov_b32_e32 v4, s28
	s_waitcnt_vscnt null, 0x0
	s_barrier
	buffer_gl0_inv
	s_mov_b32 s4, exec_lo
	s_clause 0x3
	buffer_load_dword v1, v4, s[0:3], 0 offen
	buffer_load_dword v2, v4, s[0:3], 0 offen offset:4
	buffer_load_dword v3, v4, s[0:3], 0 offen offset:8
	;; [unrolled: 1-line block ×3, first 2 shown]
	s_waitcnt vmcnt(0)
	ds_write_b128 v5, v[1:4]
	s_waitcnt lgkmcnt(0)
	s_barrier
	buffer_gl0_inv
	v_cmpx_gt_u32_e32 31, v0
	s_cbranch_execz .LBB111_139
; %bb.136:
	v_mov_b32_e32 v1, 0
	v_mov_b32_e32 v3, 0
	v_add_nc_u32_e32 v7, -1, v0
	v_add_nc_u32_e32 v8, 0x300, v107
	v_mov_b32_e32 v2, 0
	v_mov_b32_e32 v4, 0
	v_add_nc_u32_e32 v105, 16, v107
	s_mov_b32 s5, 0
	.p2align	6
.LBB111_137:                            ; =>This Inner Loop Header: Depth=1
	s_clause 0x3
	buffer_load_dword v112, v105, s[0:3], 0 offen offset:8
	buffer_load_dword v113, v105, s[0:3], 0 offen offset:12
	buffer_load_dword v114, v105, s[0:3], 0 offen
	buffer_load_dword v115, v105, s[0:3], 0 offen offset:4
	ds_read_b128 v[108:111], v8
	v_add_nc_u32_e32 v7, 1, v7
	v_add_nc_u32_e32 v8, 16, v8
	;; [unrolled: 1-line block ×3, first 2 shown]
	v_cmp_lt_u32_e32 vcc_lo, 29, v7
	s_or_b32 s5, vcc_lo, s5
	s_waitcnt vmcnt(2) lgkmcnt(0)
	v_mul_f64 v[116:117], v[110:111], v[112:113]
	v_mul_f64 v[112:113], v[108:109], v[112:113]
	s_waitcnt vmcnt(0)
	v_fma_f64 v[108:109], v[108:109], v[114:115], -v[116:117]
	v_fma_f64 v[110:111], v[110:111], v[114:115], v[112:113]
	v_add_f64 v[3:4], v[3:4], v[108:109]
	v_add_f64 v[1:2], v[1:2], v[110:111]
	s_andn2_b32 exec_lo, exec_lo, s5
	s_cbranch_execnz .LBB111_137
; %bb.138:
	s_or_b32 exec_lo, exec_lo, s5
	v_mov_b32_e32 v7, 0
	ds_read_b128 v[108:111], v7 offset:496
	s_waitcnt lgkmcnt(0)
	v_mul_f64 v[7:8], v[1:2], v[110:111]
	v_mul_f64 v[105:106], v[3:4], v[110:111]
	v_fma_f64 v[3:4], v[3:4], v[108:109], -v[7:8]
	v_fma_f64 v[1:2], v[1:2], v[108:109], v[105:106]
	buffer_store_dword v4, off, s[0:3], 0 offset:516
	buffer_store_dword v3, off, s[0:3], 0 offset:512
	;; [unrolled: 1-line block ×4, first 2 shown]
.LBB111_139:
	s_or_b32 exec_lo, exec_lo, s4
	v_mov_b32_e32 v4, s27
	s_waitcnt_vscnt null, 0x0
	s_barrier
	buffer_gl0_inv
	s_mov_b32 s4, exec_lo
	s_clause 0x3
	buffer_load_dword v1, v4, s[0:3], 0 offen
	buffer_load_dword v2, v4, s[0:3], 0 offen offset:4
	buffer_load_dword v3, v4, s[0:3], 0 offen offset:8
	;; [unrolled: 1-line block ×3, first 2 shown]
	s_waitcnt vmcnt(0)
	ds_write_b128 v5, v[1:4]
	s_waitcnt lgkmcnt(0)
	s_barrier
	buffer_gl0_inv
	v_cmpx_gt_u32_e32 32, v0
	s_cbranch_execz .LBB111_143
; %bb.140:
	v_mov_b32_e32 v1, 0
	v_mov_b32_e32 v3, 0
	v_add_nc_u32_e32 v7, -1, v0
	v_add_nc_u32_e32 v8, 0x300, v107
	v_mov_b32_e32 v2, 0
	v_mov_b32_e32 v4, 0
	v_add_nc_u32_e32 v105, 16, v107
	s_mov_b32 s5, 0
	.p2align	6
.LBB111_141:                            ; =>This Inner Loop Header: Depth=1
	s_clause 0x3
	buffer_load_dword v112, v105, s[0:3], 0 offen offset:8
	buffer_load_dword v113, v105, s[0:3], 0 offen offset:12
	buffer_load_dword v114, v105, s[0:3], 0 offen
	buffer_load_dword v115, v105, s[0:3], 0 offen offset:4
	ds_read_b128 v[108:111], v8
	v_add_nc_u32_e32 v7, 1, v7
	v_add_nc_u32_e32 v8, 16, v8
	;; [unrolled: 1-line block ×3, first 2 shown]
	v_cmp_lt_u32_e32 vcc_lo, 30, v7
	s_or_b32 s5, vcc_lo, s5
	s_waitcnt vmcnt(2) lgkmcnt(0)
	v_mul_f64 v[116:117], v[110:111], v[112:113]
	v_mul_f64 v[112:113], v[108:109], v[112:113]
	s_waitcnt vmcnt(0)
	v_fma_f64 v[108:109], v[108:109], v[114:115], -v[116:117]
	v_fma_f64 v[110:111], v[110:111], v[114:115], v[112:113]
	v_add_f64 v[3:4], v[3:4], v[108:109]
	v_add_f64 v[1:2], v[1:2], v[110:111]
	s_andn2_b32 exec_lo, exec_lo, s5
	s_cbranch_execnz .LBB111_141
; %bb.142:
	s_or_b32 exec_lo, exec_lo, s5
	v_mov_b32_e32 v7, 0
	ds_read_b128 v[108:111], v7 offset:512
	s_waitcnt lgkmcnt(0)
	v_mul_f64 v[7:8], v[1:2], v[110:111]
	v_mul_f64 v[105:106], v[3:4], v[110:111]
	v_fma_f64 v[3:4], v[3:4], v[108:109], -v[7:8]
	v_fma_f64 v[1:2], v[1:2], v[108:109], v[105:106]
	buffer_store_dword v4, off, s[0:3], 0 offset:532
	buffer_store_dword v3, off, s[0:3], 0 offset:528
	;; [unrolled: 1-line block ×4, first 2 shown]
.LBB111_143:
	s_or_b32 exec_lo, exec_lo, s4
	v_mov_b32_e32 v4, s26
	s_waitcnt_vscnt null, 0x0
	s_barrier
	buffer_gl0_inv
	s_mov_b32 s4, exec_lo
	s_clause 0x3
	buffer_load_dword v1, v4, s[0:3], 0 offen
	buffer_load_dword v2, v4, s[0:3], 0 offen offset:4
	buffer_load_dword v3, v4, s[0:3], 0 offen offset:8
	;; [unrolled: 1-line block ×3, first 2 shown]
	s_waitcnt vmcnt(0)
	ds_write_b128 v5, v[1:4]
	s_waitcnt lgkmcnt(0)
	s_barrier
	buffer_gl0_inv
	v_cmpx_gt_u32_e32 33, v0
	s_cbranch_execz .LBB111_147
; %bb.144:
	v_mov_b32_e32 v1, 0
	v_mov_b32_e32 v3, 0
	v_add_nc_u32_e32 v7, -1, v0
	v_add_nc_u32_e32 v8, 0x300, v107
	v_mov_b32_e32 v2, 0
	v_mov_b32_e32 v4, 0
	v_add_nc_u32_e32 v105, 16, v107
	s_mov_b32 s5, 0
	.p2align	6
.LBB111_145:                            ; =>This Inner Loop Header: Depth=1
	s_clause 0x3
	buffer_load_dword v112, v105, s[0:3], 0 offen offset:8
	buffer_load_dword v113, v105, s[0:3], 0 offen offset:12
	buffer_load_dword v114, v105, s[0:3], 0 offen
	buffer_load_dword v115, v105, s[0:3], 0 offen offset:4
	ds_read_b128 v[108:111], v8
	v_add_nc_u32_e32 v7, 1, v7
	v_add_nc_u32_e32 v8, 16, v8
	;; [unrolled: 1-line block ×3, first 2 shown]
	v_cmp_lt_u32_e32 vcc_lo, 31, v7
	s_or_b32 s5, vcc_lo, s5
	s_waitcnt vmcnt(2) lgkmcnt(0)
	v_mul_f64 v[116:117], v[110:111], v[112:113]
	v_mul_f64 v[112:113], v[108:109], v[112:113]
	s_waitcnt vmcnt(0)
	v_fma_f64 v[108:109], v[108:109], v[114:115], -v[116:117]
	v_fma_f64 v[110:111], v[110:111], v[114:115], v[112:113]
	v_add_f64 v[3:4], v[3:4], v[108:109]
	v_add_f64 v[1:2], v[1:2], v[110:111]
	s_andn2_b32 exec_lo, exec_lo, s5
	s_cbranch_execnz .LBB111_145
; %bb.146:
	s_or_b32 exec_lo, exec_lo, s5
	v_mov_b32_e32 v7, 0
	ds_read_b128 v[108:111], v7 offset:528
	s_waitcnt lgkmcnt(0)
	v_mul_f64 v[7:8], v[1:2], v[110:111]
	v_mul_f64 v[105:106], v[3:4], v[110:111]
	v_fma_f64 v[3:4], v[3:4], v[108:109], -v[7:8]
	v_fma_f64 v[1:2], v[1:2], v[108:109], v[105:106]
	buffer_store_dword v4, off, s[0:3], 0 offset:548
	buffer_store_dword v3, off, s[0:3], 0 offset:544
	;; [unrolled: 1-line block ×4, first 2 shown]
.LBB111_147:
	s_or_b32 exec_lo, exec_lo, s4
	v_mov_b32_e32 v4, s25
	s_waitcnt_vscnt null, 0x0
	s_barrier
	buffer_gl0_inv
	s_mov_b32 s4, exec_lo
	s_clause 0x3
	buffer_load_dword v1, v4, s[0:3], 0 offen
	buffer_load_dword v2, v4, s[0:3], 0 offen offset:4
	buffer_load_dword v3, v4, s[0:3], 0 offen offset:8
	;; [unrolled: 1-line block ×3, first 2 shown]
	s_waitcnt vmcnt(0)
	ds_write_b128 v5, v[1:4]
	s_waitcnt lgkmcnt(0)
	s_barrier
	buffer_gl0_inv
	v_cmpx_gt_u32_e32 34, v0
	s_cbranch_execz .LBB111_151
; %bb.148:
	v_mov_b32_e32 v1, 0
	v_mov_b32_e32 v3, 0
	v_add_nc_u32_e32 v7, -1, v0
	v_add_nc_u32_e32 v8, 0x300, v107
	v_mov_b32_e32 v2, 0
	v_mov_b32_e32 v4, 0
	v_add_nc_u32_e32 v105, 16, v107
	s_mov_b32 s5, 0
	.p2align	6
.LBB111_149:                            ; =>This Inner Loop Header: Depth=1
	s_clause 0x3
	buffer_load_dword v112, v105, s[0:3], 0 offen offset:8
	buffer_load_dword v113, v105, s[0:3], 0 offen offset:12
	buffer_load_dword v114, v105, s[0:3], 0 offen
	buffer_load_dword v115, v105, s[0:3], 0 offen offset:4
	ds_read_b128 v[108:111], v8
	v_add_nc_u32_e32 v7, 1, v7
	v_add_nc_u32_e32 v8, 16, v8
	;; [unrolled: 1-line block ×3, first 2 shown]
	v_cmp_lt_u32_e32 vcc_lo, 32, v7
	s_or_b32 s5, vcc_lo, s5
	s_waitcnt vmcnt(2) lgkmcnt(0)
	v_mul_f64 v[116:117], v[110:111], v[112:113]
	v_mul_f64 v[112:113], v[108:109], v[112:113]
	s_waitcnt vmcnt(0)
	v_fma_f64 v[108:109], v[108:109], v[114:115], -v[116:117]
	v_fma_f64 v[110:111], v[110:111], v[114:115], v[112:113]
	v_add_f64 v[3:4], v[3:4], v[108:109]
	v_add_f64 v[1:2], v[1:2], v[110:111]
	s_andn2_b32 exec_lo, exec_lo, s5
	s_cbranch_execnz .LBB111_149
; %bb.150:
	s_or_b32 exec_lo, exec_lo, s5
	v_mov_b32_e32 v7, 0
	ds_read_b128 v[108:111], v7 offset:544
	s_waitcnt lgkmcnt(0)
	v_mul_f64 v[7:8], v[1:2], v[110:111]
	v_mul_f64 v[105:106], v[3:4], v[110:111]
	v_fma_f64 v[3:4], v[3:4], v[108:109], -v[7:8]
	v_fma_f64 v[1:2], v[1:2], v[108:109], v[105:106]
	buffer_store_dword v4, off, s[0:3], 0 offset:564
	buffer_store_dword v3, off, s[0:3], 0 offset:560
	;; [unrolled: 1-line block ×4, first 2 shown]
.LBB111_151:
	s_or_b32 exec_lo, exec_lo, s4
	v_mov_b32_e32 v4, s24
	s_waitcnt_vscnt null, 0x0
	s_barrier
	buffer_gl0_inv
	s_mov_b32 s4, exec_lo
	s_clause 0x3
	buffer_load_dword v1, v4, s[0:3], 0 offen
	buffer_load_dword v2, v4, s[0:3], 0 offen offset:4
	buffer_load_dword v3, v4, s[0:3], 0 offen offset:8
	;; [unrolled: 1-line block ×3, first 2 shown]
	s_waitcnt vmcnt(0)
	ds_write_b128 v5, v[1:4]
	s_waitcnt lgkmcnt(0)
	s_barrier
	buffer_gl0_inv
	v_cmpx_gt_u32_e32 35, v0
	s_cbranch_execz .LBB111_155
; %bb.152:
	v_mov_b32_e32 v1, 0
	v_mov_b32_e32 v3, 0
	v_add_nc_u32_e32 v7, -1, v0
	v_add_nc_u32_e32 v8, 0x300, v107
	v_mov_b32_e32 v2, 0
	v_mov_b32_e32 v4, 0
	v_add_nc_u32_e32 v105, 16, v107
	s_mov_b32 s5, 0
	.p2align	6
.LBB111_153:                            ; =>This Inner Loop Header: Depth=1
	s_clause 0x3
	buffer_load_dword v112, v105, s[0:3], 0 offen offset:8
	buffer_load_dword v113, v105, s[0:3], 0 offen offset:12
	buffer_load_dword v114, v105, s[0:3], 0 offen
	buffer_load_dword v115, v105, s[0:3], 0 offen offset:4
	ds_read_b128 v[108:111], v8
	v_add_nc_u32_e32 v7, 1, v7
	v_add_nc_u32_e32 v8, 16, v8
	;; [unrolled: 1-line block ×3, first 2 shown]
	v_cmp_lt_u32_e32 vcc_lo, 33, v7
	s_or_b32 s5, vcc_lo, s5
	s_waitcnt vmcnt(2) lgkmcnt(0)
	v_mul_f64 v[116:117], v[110:111], v[112:113]
	v_mul_f64 v[112:113], v[108:109], v[112:113]
	s_waitcnt vmcnt(0)
	v_fma_f64 v[108:109], v[108:109], v[114:115], -v[116:117]
	v_fma_f64 v[110:111], v[110:111], v[114:115], v[112:113]
	v_add_f64 v[3:4], v[3:4], v[108:109]
	v_add_f64 v[1:2], v[1:2], v[110:111]
	s_andn2_b32 exec_lo, exec_lo, s5
	s_cbranch_execnz .LBB111_153
; %bb.154:
	s_or_b32 exec_lo, exec_lo, s5
	v_mov_b32_e32 v7, 0
	ds_read_b128 v[108:111], v7 offset:560
	s_waitcnt lgkmcnt(0)
	v_mul_f64 v[7:8], v[1:2], v[110:111]
	v_mul_f64 v[105:106], v[3:4], v[110:111]
	v_fma_f64 v[3:4], v[3:4], v[108:109], -v[7:8]
	v_fma_f64 v[1:2], v[1:2], v[108:109], v[105:106]
	buffer_store_dword v4, off, s[0:3], 0 offset:580
	buffer_store_dword v3, off, s[0:3], 0 offset:576
	;; [unrolled: 1-line block ×4, first 2 shown]
.LBB111_155:
	s_or_b32 exec_lo, exec_lo, s4
	v_mov_b32_e32 v4, s23
	s_waitcnt_vscnt null, 0x0
	s_barrier
	buffer_gl0_inv
	s_mov_b32 s4, exec_lo
	s_clause 0x3
	buffer_load_dword v1, v4, s[0:3], 0 offen
	buffer_load_dword v2, v4, s[0:3], 0 offen offset:4
	buffer_load_dword v3, v4, s[0:3], 0 offen offset:8
	buffer_load_dword v4, v4, s[0:3], 0 offen offset:12
	s_waitcnt vmcnt(0)
	ds_write_b128 v5, v[1:4]
	s_waitcnt lgkmcnt(0)
	s_barrier
	buffer_gl0_inv
	v_cmpx_gt_u32_e32 36, v0
	s_cbranch_execz .LBB111_159
; %bb.156:
	v_mov_b32_e32 v1, 0
	v_mov_b32_e32 v3, 0
	v_add_nc_u32_e32 v7, -1, v0
	v_add_nc_u32_e32 v8, 0x300, v107
	v_mov_b32_e32 v2, 0
	v_mov_b32_e32 v4, 0
	v_add_nc_u32_e32 v105, 16, v107
	s_mov_b32 s5, 0
	.p2align	6
.LBB111_157:                            ; =>This Inner Loop Header: Depth=1
	s_clause 0x3
	buffer_load_dword v112, v105, s[0:3], 0 offen offset:8
	buffer_load_dword v113, v105, s[0:3], 0 offen offset:12
	buffer_load_dword v114, v105, s[0:3], 0 offen
	buffer_load_dword v115, v105, s[0:3], 0 offen offset:4
	ds_read_b128 v[108:111], v8
	v_add_nc_u32_e32 v7, 1, v7
	v_add_nc_u32_e32 v8, 16, v8
	;; [unrolled: 1-line block ×3, first 2 shown]
	v_cmp_lt_u32_e32 vcc_lo, 34, v7
	s_or_b32 s5, vcc_lo, s5
	s_waitcnt vmcnt(2) lgkmcnt(0)
	v_mul_f64 v[116:117], v[110:111], v[112:113]
	v_mul_f64 v[112:113], v[108:109], v[112:113]
	s_waitcnt vmcnt(0)
	v_fma_f64 v[108:109], v[108:109], v[114:115], -v[116:117]
	v_fma_f64 v[110:111], v[110:111], v[114:115], v[112:113]
	v_add_f64 v[3:4], v[3:4], v[108:109]
	v_add_f64 v[1:2], v[1:2], v[110:111]
	s_andn2_b32 exec_lo, exec_lo, s5
	s_cbranch_execnz .LBB111_157
; %bb.158:
	s_or_b32 exec_lo, exec_lo, s5
	v_mov_b32_e32 v7, 0
	ds_read_b128 v[108:111], v7 offset:576
	s_waitcnt lgkmcnt(0)
	v_mul_f64 v[7:8], v[1:2], v[110:111]
	v_mul_f64 v[105:106], v[3:4], v[110:111]
	v_fma_f64 v[3:4], v[3:4], v[108:109], -v[7:8]
	v_fma_f64 v[1:2], v[1:2], v[108:109], v[105:106]
	buffer_store_dword v4, off, s[0:3], 0 offset:596
	buffer_store_dword v3, off, s[0:3], 0 offset:592
	;; [unrolled: 1-line block ×4, first 2 shown]
.LBB111_159:
	s_or_b32 exec_lo, exec_lo, s4
	v_mov_b32_e32 v4, s22
	s_waitcnt_vscnt null, 0x0
	s_barrier
	buffer_gl0_inv
	s_mov_b32 s4, exec_lo
	s_clause 0x3
	buffer_load_dword v1, v4, s[0:3], 0 offen
	buffer_load_dword v2, v4, s[0:3], 0 offen offset:4
	buffer_load_dword v3, v4, s[0:3], 0 offen offset:8
	;; [unrolled: 1-line block ×3, first 2 shown]
	s_waitcnt vmcnt(0)
	ds_write_b128 v5, v[1:4]
	s_waitcnt lgkmcnt(0)
	s_barrier
	buffer_gl0_inv
	v_cmpx_gt_u32_e32 37, v0
	s_cbranch_execz .LBB111_163
; %bb.160:
	v_mov_b32_e32 v1, 0
	v_mov_b32_e32 v3, 0
	v_add_nc_u32_e32 v7, -1, v0
	v_add_nc_u32_e32 v8, 0x300, v107
	v_mov_b32_e32 v2, 0
	v_mov_b32_e32 v4, 0
	v_add_nc_u32_e32 v105, 16, v107
	s_mov_b32 s5, 0
	.p2align	6
.LBB111_161:                            ; =>This Inner Loop Header: Depth=1
	s_clause 0x3
	buffer_load_dword v112, v105, s[0:3], 0 offen offset:8
	buffer_load_dword v113, v105, s[0:3], 0 offen offset:12
	buffer_load_dword v114, v105, s[0:3], 0 offen
	buffer_load_dword v115, v105, s[0:3], 0 offen offset:4
	ds_read_b128 v[108:111], v8
	v_add_nc_u32_e32 v7, 1, v7
	v_add_nc_u32_e32 v8, 16, v8
	;; [unrolled: 1-line block ×3, first 2 shown]
	v_cmp_lt_u32_e32 vcc_lo, 35, v7
	s_or_b32 s5, vcc_lo, s5
	s_waitcnt vmcnt(2) lgkmcnt(0)
	v_mul_f64 v[116:117], v[110:111], v[112:113]
	v_mul_f64 v[112:113], v[108:109], v[112:113]
	s_waitcnt vmcnt(0)
	v_fma_f64 v[108:109], v[108:109], v[114:115], -v[116:117]
	v_fma_f64 v[110:111], v[110:111], v[114:115], v[112:113]
	v_add_f64 v[3:4], v[3:4], v[108:109]
	v_add_f64 v[1:2], v[1:2], v[110:111]
	s_andn2_b32 exec_lo, exec_lo, s5
	s_cbranch_execnz .LBB111_161
; %bb.162:
	s_or_b32 exec_lo, exec_lo, s5
	v_mov_b32_e32 v7, 0
	ds_read_b128 v[108:111], v7 offset:592
	s_waitcnt lgkmcnt(0)
	v_mul_f64 v[7:8], v[1:2], v[110:111]
	v_mul_f64 v[105:106], v[3:4], v[110:111]
	v_fma_f64 v[3:4], v[3:4], v[108:109], -v[7:8]
	v_fma_f64 v[1:2], v[1:2], v[108:109], v[105:106]
	buffer_store_dword v4, off, s[0:3], 0 offset:612
	buffer_store_dword v3, off, s[0:3], 0 offset:608
	;; [unrolled: 1-line block ×4, first 2 shown]
.LBB111_163:
	s_or_b32 exec_lo, exec_lo, s4
	v_mov_b32_e32 v4, s21
	s_waitcnt_vscnt null, 0x0
	s_barrier
	buffer_gl0_inv
	s_mov_b32 s4, exec_lo
	s_clause 0x3
	buffer_load_dword v1, v4, s[0:3], 0 offen
	buffer_load_dword v2, v4, s[0:3], 0 offen offset:4
	buffer_load_dword v3, v4, s[0:3], 0 offen offset:8
	;; [unrolled: 1-line block ×3, first 2 shown]
	s_waitcnt vmcnt(0)
	ds_write_b128 v5, v[1:4]
	s_waitcnt lgkmcnt(0)
	s_barrier
	buffer_gl0_inv
	v_cmpx_gt_u32_e32 38, v0
	s_cbranch_execz .LBB111_167
; %bb.164:
	v_mov_b32_e32 v1, 0
	v_mov_b32_e32 v3, 0
	v_add_nc_u32_e32 v7, -1, v0
	v_add_nc_u32_e32 v8, 0x300, v107
	v_mov_b32_e32 v2, 0
	v_mov_b32_e32 v4, 0
	v_add_nc_u32_e32 v105, 16, v107
	s_mov_b32 s5, 0
	.p2align	6
.LBB111_165:                            ; =>This Inner Loop Header: Depth=1
	s_clause 0x3
	buffer_load_dword v112, v105, s[0:3], 0 offen offset:8
	buffer_load_dword v113, v105, s[0:3], 0 offen offset:12
	buffer_load_dword v114, v105, s[0:3], 0 offen
	buffer_load_dword v115, v105, s[0:3], 0 offen offset:4
	ds_read_b128 v[108:111], v8
	v_add_nc_u32_e32 v7, 1, v7
	v_add_nc_u32_e32 v8, 16, v8
	;; [unrolled: 1-line block ×3, first 2 shown]
	v_cmp_lt_u32_e32 vcc_lo, 36, v7
	s_or_b32 s5, vcc_lo, s5
	s_waitcnt vmcnt(2) lgkmcnt(0)
	v_mul_f64 v[116:117], v[110:111], v[112:113]
	v_mul_f64 v[112:113], v[108:109], v[112:113]
	s_waitcnt vmcnt(0)
	v_fma_f64 v[108:109], v[108:109], v[114:115], -v[116:117]
	v_fma_f64 v[110:111], v[110:111], v[114:115], v[112:113]
	v_add_f64 v[3:4], v[3:4], v[108:109]
	v_add_f64 v[1:2], v[1:2], v[110:111]
	s_andn2_b32 exec_lo, exec_lo, s5
	s_cbranch_execnz .LBB111_165
; %bb.166:
	s_or_b32 exec_lo, exec_lo, s5
	v_mov_b32_e32 v7, 0
	ds_read_b128 v[108:111], v7 offset:608
	s_waitcnt lgkmcnt(0)
	v_mul_f64 v[7:8], v[1:2], v[110:111]
	v_mul_f64 v[105:106], v[3:4], v[110:111]
	v_fma_f64 v[3:4], v[3:4], v[108:109], -v[7:8]
	v_fma_f64 v[1:2], v[1:2], v[108:109], v[105:106]
	buffer_store_dword v4, off, s[0:3], 0 offset:628
	buffer_store_dword v3, off, s[0:3], 0 offset:624
	;; [unrolled: 1-line block ×4, first 2 shown]
.LBB111_167:
	s_or_b32 exec_lo, exec_lo, s4
	v_mov_b32_e32 v4, s20
	s_waitcnt_vscnt null, 0x0
	s_barrier
	buffer_gl0_inv
	s_mov_b32 s4, exec_lo
	s_clause 0x3
	buffer_load_dword v1, v4, s[0:3], 0 offen
	buffer_load_dword v2, v4, s[0:3], 0 offen offset:4
	buffer_load_dword v3, v4, s[0:3], 0 offen offset:8
	;; [unrolled: 1-line block ×3, first 2 shown]
	s_waitcnt vmcnt(0)
	ds_write_b128 v5, v[1:4]
	s_waitcnt lgkmcnt(0)
	s_barrier
	buffer_gl0_inv
	v_cmpx_gt_u32_e32 39, v0
	s_cbranch_execz .LBB111_171
; %bb.168:
	v_mov_b32_e32 v1, 0
	v_mov_b32_e32 v3, 0
	v_add_nc_u32_e32 v7, -1, v0
	v_add_nc_u32_e32 v8, 0x300, v107
	v_mov_b32_e32 v2, 0
	v_mov_b32_e32 v4, 0
	v_add_nc_u32_e32 v105, 16, v107
	s_mov_b32 s5, 0
	.p2align	6
.LBB111_169:                            ; =>This Inner Loop Header: Depth=1
	s_clause 0x3
	buffer_load_dword v112, v105, s[0:3], 0 offen offset:8
	buffer_load_dword v113, v105, s[0:3], 0 offen offset:12
	buffer_load_dword v114, v105, s[0:3], 0 offen
	buffer_load_dword v115, v105, s[0:3], 0 offen offset:4
	ds_read_b128 v[108:111], v8
	v_add_nc_u32_e32 v7, 1, v7
	v_add_nc_u32_e32 v8, 16, v8
	;; [unrolled: 1-line block ×3, first 2 shown]
	v_cmp_lt_u32_e32 vcc_lo, 37, v7
	s_or_b32 s5, vcc_lo, s5
	s_waitcnt vmcnt(2) lgkmcnt(0)
	v_mul_f64 v[116:117], v[110:111], v[112:113]
	v_mul_f64 v[112:113], v[108:109], v[112:113]
	s_waitcnt vmcnt(0)
	v_fma_f64 v[108:109], v[108:109], v[114:115], -v[116:117]
	v_fma_f64 v[110:111], v[110:111], v[114:115], v[112:113]
	v_add_f64 v[3:4], v[3:4], v[108:109]
	v_add_f64 v[1:2], v[1:2], v[110:111]
	s_andn2_b32 exec_lo, exec_lo, s5
	s_cbranch_execnz .LBB111_169
; %bb.170:
	s_or_b32 exec_lo, exec_lo, s5
	v_mov_b32_e32 v7, 0
	ds_read_b128 v[108:111], v7 offset:624
	s_waitcnt lgkmcnt(0)
	v_mul_f64 v[7:8], v[1:2], v[110:111]
	v_mul_f64 v[105:106], v[3:4], v[110:111]
	v_fma_f64 v[3:4], v[3:4], v[108:109], -v[7:8]
	v_fma_f64 v[1:2], v[1:2], v[108:109], v[105:106]
	buffer_store_dword v4, off, s[0:3], 0 offset:644
	buffer_store_dword v3, off, s[0:3], 0 offset:640
	;; [unrolled: 1-line block ×4, first 2 shown]
.LBB111_171:
	s_or_b32 exec_lo, exec_lo, s4
	v_mov_b32_e32 v4, s19
	s_waitcnt_vscnt null, 0x0
	s_barrier
	buffer_gl0_inv
	s_mov_b32 s4, exec_lo
	s_clause 0x3
	buffer_load_dword v1, v4, s[0:3], 0 offen
	buffer_load_dword v2, v4, s[0:3], 0 offen offset:4
	buffer_load_dword v3, v4, s[0:3], 0 offen offset:8
	;; [unrolled: 1-line block ×3, first 2 shown]
	s_waitcnt vmcnt(0)
	ds_write_b128 v5, v[1:4]
	s_waitcnt lgkmcnt(0)
	s_barrier
	buffer_gl0_inv
	v_cmpx_gt_u32_e32 40, v0
	s_cbranch_execz .LBB111_175
; %bb.172:
	v_mov_b32_e32 v1, 0
	v_mov_b32_e32 v3, 0
	v_add_nc_u32_e32 v7, -1, v0
	v_add_nc_u32_e32 v8, 0x300, v107
	v_mov_b32_e32 v2, 0
	v_mov_b32_e32 v4, 0
	v_add_nc_u32_e32 v105, 16, v107
	s_mov_b32 s5, 0
	.p2align	6
.LBB111_173:                            ; =>This Inner Loop Header: Depth=1
	s_clause 0x3
	buffer_load_dword v112, v105, s[0:3], 0 offen offset:8
	buffer_load_dword v113, v105, s[0:3], 0 offen offset:12
	buffer_load_dword v114, v105, s[0:3], 0 offen
	buffer_load_dword v115, v105, s[0:3], 0 offen offset:4
	ds_read_b128 v[108:111], v8
	v_add_nc_u32_e32 v7, 1, v7
	v_add_nc_u32_e32 v8, 16, v8
	;; [unrolled: 1-line block ×3, first 2 shown]
	v_cmp_lt_u32_e32 vcc_lo, 38, v7
	s_or_b32 s5, vcc_lo, s5
	s_waitcnt vmcnt(2) lgkmcnt(0)
	v_mul_f64 v[116:117], v[110:111], v[112:113]
	v_mul_f64 v[112:113], v[108:109], v[112:113]
	s_waitcnt vmcnt(0)
	v_fma_f64 v[108:109], v[108:109], v[114:115], -v[116:117]
	v_fma_f64 v[110:111], v[110:111], v[114:115], v[112:113]
	v_add_f64 v[3:4], v[3:4], v[108:109]
	v_add_f64 v[1:2], v[1:2], v[110:111]
	s_andn2_b32 exec_lo, exec_lo, s5
	s_cbranch_execnz .LBB111_173
; %bb.174:
	s_or_b32 exec_lo, exec_lo, s5
	v_mov_b32_e32 v7, 0
	ds_read_b128 v[108:111], v7 offset:640
	s_waitcnt lgkmcnt(0)
	v_mul_f64 v[7:8], v[1:2], v[110:111]
	v_mul_f64 v[105:106], v[3:4], v[110:111]
	v_fma_f64 v[3:4], v[3:4], v[108:109], -v[7:8]
	v_fma_f64 v[1:2], v[1:2], v[108:109], v[105:106]
	buffer_store_dword v4, off, s[0:3], 0 offset:660
	buffer_store_dword v3, off, s[0:3], 0 offset:656
	;; [unrolled: 1-line block ×4, first 2 shown]
.LBB111_175:
	s_or_b32 exec_lo, exec_lo, s4
	v_mov_b32_e32 v4, s18
	s_waitcnt_vscnt null, 0x0
	s_barrier
	buffer_gl0_inv
	s_mov_b32 s4, exec_lo
	s_clause 0x3
	buffer_load_dword v1, v4, s[0:3], 0 offen
	buffer_load_dword v2, v4, s[0:3], 0 offen offset:4
	buffer_load_dword v3, v4, s[0:3], 0 offen offset:8
	buffer_load_dword v4, v4, s[0:3], 0 offen offset:12
	s_waitcnt vmcnt(0)
	ds_write_b128 v5, v[1:4]
	s_waitcnt lgkmcnt(0)
	s_barrier
	buffer_gl0_inv
	v_cmpx_gt_u32_e32 41, v0
	s_cbranch_execz .LBB111_179
; %bb.176:
	v_mov_b32_e32 v1, 0
	v_mov_b32_e32 v3, 0
	v_add_nc_u32_e32 v7, -1, v0
	v_add_nc_u32_e32 v8, 0x300, v107
	v_mov_b32_e32 v2, 0
	v_mov_b32_e32 v4, 0
	v_add_nc_u32_e32 v105, 16, v107
	s_mov_b32 s5, 0
	.p2align	6
.LBB111_177:                            ; =>This Inner Loop Header: Depth=1
	s_clause 0x3
	buffer_load_dword v112, v105, s[0:3], 0 offen offset:8
	buffer_load_dword v113, v105, s[0:3], 0 offen offset:12
	buffer_load_dword v114, v105, s[0:3], 0 offen
	buffer_load_dword v115, v105, s[0:3], 0 offen offset:4
	ds_read_b128 v[108:111], v8
	v_add_nc_u32_e32 v7, 1, v7
	v_add_nc_u32_e32 v8, 16, v8
	;; [unrolled: 1-line block ×3, first 2 shown]
	v_cmp_lt_u32_e32 vcc_lo, 39, v7
	s_or_b32 s5, vcc_lo, s5
	s_waitcnt vmcnt(2) lgkmcnt(0)
	v_mul_f64 v[116:117], v[110:111], v[112:113]
	v_mul_f64 v[112:113], v[108:109], v[112:113]
	s_waitcnt vmcnt(0)
	v_fma_f64 v[108:109], v[108:109], v[114:115], -v[116:117]
	v_fma_f64 v[110:111], v[110:111], v[114:115], v[112:113]
	v_add_f64 v[3:4], v[3:4], v[108:109]
	v_add_f64 v[1:2], v[1:2], v[110:111]
	s_andn2_b32 exec_lo, exec_lo, s5
	s_cbranch_execnz .LBB111_177
; %bb.178:
	s_or_b32 exec_lo, exec_lo, s5
	v_mov_b32_e32 v7, 0
	ds_read_b128 v[108:111], v7 offset:656
	s_waitcnt lgkmcnt(0)
	v_mul_f64 v[7:8], v[1:2], v[110:111]
	v_mul_f64 v[105:106], v[3:4], v[110:111]
	v_fma_f64 v[3:4], v[3:4], v[108:109], -v[7:8]
	v_fma_f64 v[1:2], v[1:2], v[108:109], v[105:106]
	buffer_store_dword v4, off, s[0:3], 0 offset:676
	buffer_store_dword v3, off, s[0:3], 0 offset:672
	;; [unrolled: 1-line block ×4, first 2 shown]
.LBB111_179:
	s_or_b32 exec_lo, exec_lo, s4
	v_mov_b32_e32 v4, s17
	s_waitcnt_vscnt null, 0x0
	s_barrier
	buffer_gl0_inv
	s_mov_b32 s4, exec_lo
	s_clause 0x3
	buffer_load_dword v1, v4, s[0:3], 0 offen
	buffer_load_dword v2, v4, s[0:3], 0 offen offset:4
	buffer_load_dword v3, v4, s[0:3], 0 offen offset:8
	buffer_load_dword v4, v4, s[0:3], 0 offen offset:12
	s_waitcnt vmcnt(0)
	ds_write_b128 v5, v[1:4]
	s_waitcnt lgkmcnt(0)
	s_barrier
	buffer_gl0_inv
	v_cmpx_gt_u32_e32 42, v0
	s_cbranch_execz .LBB111_183
; %bb.180:
	v_mov_b32_e32 v1, 0
	v_mov_b32_e32 v3, 0
	v_add_nc_u32_e32 v7, -1, v0
	v_add_nc_u32_e32 v8, 0x300, v107
	v_mov_b32_e32 v2, 0
	v_mov_b32_e32 v4, 0
	v_add_nc_u32_e32 v105, 16, v107
	s_mov_b32 s5, 0
	.p2align	6
.LBB111_181:                            ; =>This Inner Loop Header: Depth=1
	s_clause 0x3
	buffer_load_dword v112, v105, s[0:3], 0 offen offset:8
	buffer_load_dword v113, v105, s[0:3], 0 offen offset:12
	buffer_load_dword v114, v105, s[0:3], 0 offen
	buffer_load_dword v115, v105, s[0:3], 0 offen offset:4
	ds_read_b128 v[108:111], v8
	v_add_nc_u32_e32 v7, 1, v7
	v_add_nc_u32_e32 v8, 16, v8
	;; [unrolled: 1-line block ×3, first 2 shown]
	v_cmp_lt_u32_e32 vcc_lo, 40, v7
	s_or_b32 s5, vcc_lo, s5
	s_waitcnt vmcnt(2) lgkmcnt(0)
	v_mul_f64 v[116:117], v[110:111], v[112:113]
	v_mul_f64 v[112:113], v[108:109], v[112:113]
	s_waitcnt vmcnt(0)
	v_fma_f64 v[108:109], v[108:109], v[114:115], -v[116:117]
	v_fma_f64 v[110:111], v[110:111], v[114:115], v[112:113]
	v_add_f64 v[3:4], v[3:4], v[108:109]
	v_add_f64 v[1:2], v[1:2], v[110:111]
	s_andn2_b32 exec_lo, exec_lo, s5
	s_cbranch_execnz .LBB111_181
; %bb.182:
	s_or_b32 exec_lo, exec_lo, s5
	v_mov_b32_e32 v7, 0
	ds_read_b128 v[108:111], v7 offset:672
	s_waitcnt lgkmcnt(0)
	v_mul_f64 v[7:8], v[1:2], v[110:111]
	v_mul_f64 v[105:106], v[3:4], v[110:111]
	v_fma_f64 v[3:4], v[3:4], v[108:109], -v[7:8]
	v_fma_f64 v[1:2], v[1:2], v[108:109], v[105:106]
	buffer_store_dword v4, off, s[0:3], 0 offset:692
	buffer_store_dword v3, off, s[0:3], 0 offset:688
	;; [unrolled: 1-line block ×4, first 2 shown]
.LBB111_183:
	s_or_b32 exec_lo, exec_lo, s4
	v_mov_b32_e32 v4, s16
	s_waitcnt_vscnt null, 0x0
	s_barrier
	buffer_gl0_inv
	s_mov_b32 s4, exec_lo
	s_clause 0x3
	buffer_load_dword v1, v4, s[0:3], 0 offen
	buffer_load_dword v2, v4, s[0:3], 0 offen offset:4
	buffer_load_dword v3, v4, s[0:3], 0 offen offset:8
	buffer_load_dword v4, v4, s[0:3], 0 offen offset:12
	s_waitcnt vmcnt(0)
	ds_write_b128 v5, v[1:4]
	s_waitcnt lgkmcnt(0)
	s_barrier
	buffer_gl0_inv
	v_cmpx_gt_u32_e32 43, v0
	s_cbranch_execz .LBB111_187
; %bb.184:
	v_mov_b32_e32 v1, 0
	v_mov_b32_e32 v3, 0
	v_add_nc_u32_e32 v7, -1, v0
	v_add_nc_u32_e32 v8, 0x300, v107
	v_mov_b32_e32 v2, 0
	v_mov_b32_e32 v4, 0
	v_add_nc_u32_e32 v105, 16, v107
	s_mov_b32 s5, 0
	.p2align	6
.LBB111_185:                            ; =>This Inner Loop Header: Depth=1
	s_clause 0x3
	buffer_load_dword v112, v105, s[0:3], 0 offen offset:8
	buffer_load_dword v113, v105, s[0:3], 0 offen offset:12
	buffer_load_dword v114, v105, s[0:3], 0 offen
	buffer_load_dword v115, v105, s[0:3], 0 offen offset:4
	ds_read_b128 v[108:111], v8
	v_add_nc_u32_e32 v7, 1, v7
	v_add_nc_u32_e32 v8, 16, v8
	;; [unrolled: 1-line block ×3, first 2 shown]
	v_cmp_lt_u32_e32 vcc_lo, 41, v7
	s_or_b32 s5, vcc_lo, s5
	s_waitcnt vmcnt(2) lgkmcnt(0)
	v_mul_f64 v[116:117], v[110:111], v[112:113]
	v_mul_f64 v[112:113], v[108:109], v[112:113]
	s_waitcnt vmcnt(0)
	v_fma_f64 v[108:109], v[108:109], v[114:115], -v[116:117]
	v_fma_f64 v[110:111], v[110:111], v[114:115], v[112:113]
	v_add_f64 v[3:4], v[3:4], v[108:109]
	v_add_f64 v[1:2], v[1:2], v[110:111]
	s_andn2_b32 exec_lo, exec_lo, s5
	s_cbranch_execnz .LBB111_185
; %bb.186:
	s_or_b32 exec_lo, exec_lo, s5
	v_mov_b32_e32 v7, 0
	ds_read_b128 v[108:111], v7 offset:688
	s_waitcnt lgkmcnt(0)
	v_mul_f64 v[7:8], v[1:2], v[110:111]
	v_mul_f64 v[105:106], v[3:4], v[110:111]
	v_fma_f64 v[3:4], v[3:4], v[108:109], -v[7:8]
	v_fma_f64 v[1:2], v[1:2], v[108:109], v[105:106]
	buffer_store_dword v4, off, s[0:3], 0 offset:708
	buffer_store_dword v3, off, s[0:3], 0 offset:704
	;; [unrolled: 1-line block ×4, first 2 shown]
.LBB111_187:
	s_or_b32 exec_lo, exec_lo, s4
	v_mov_b32_e32 v4, s15
	s_waitcnt_vscnt null, 0x0
	s_barrier
	buffer_gl0_inv
	s_mov_b32 s4, exec_lo
	s_clause 0x3
	buffer_load_dword v1, v4, s[0:3], 0 offen
	buffer_load_dword v2, v4, s[0:3], 0 offen offset:4
	buffer_load_dword v3, v4, s[0:3], 0 offen offset:8
	;; [unrolled: 1-line block ×3, first 2 shown]
	s_waitcnt vmcnt(0)
	ds_write_b128 v5, v[1:4]
	s_waitcnt lgkmcnt(0)
	s_barrier
	buffer_gl0_inv
	v_cmpx_gt_u32_e32 44, v0
	s_cbranch_execz .LBB111_191
; %bb.188:
	v_mov_b32_e32 v1, 0
	v_mov_b32_e32 v3, 0
	v_add_nc_u32_e32 v7, -1, v0
	v_add_nc_u32_e32 v8, 0x300, v107
	v_mov_b32_e32 v2, 0
	v_mov_b32_e32 v4, 0
	v_add_nc_u32_e32 v105, 16, v107
	s_mov_b32 s5, 0
	.p2align	6
.LBB111_189:                            ; =>This Inner Loop Header: Depth=1
	s_clause 0x3
	buffer_load_dword v112, v105, s[0:3], 0 offen offset:8
	buffer_load_dword v113, v105, s[0:3], 0 offen offset:12
	buffer_load_dword v114, v105, s[0:3], 0 offen
	buffer_load_dword v115, v105, s[0:3], 0 offen offset:4
	ds_read_b128 v[108:111], v8
	v_add_nc_u32_e32 v7, 1, v7
	v_add_nc_u32_e32 v8, 16, v8
	;; [unrolled: 1-line block ×3, first 2 shown]
	v_cmp_lt_u32_e32 vcc_lo, 42, v7
	s_or_b32 s5, vcc_lo, s5
	s_waitcnt vmcnt(2) lgkmcnt(0)
	v_mul_f64 v[116:117], v[110:111], v[112:113]
	v_mul_f64 v[112:113], v[108:109], v[112:113]
	s_waitcnt vmcnt(0)
	v_fma_f64 v[108:109], v[108:109], v[114:115], -v[116:117]
	v_fma_f64 v[110:111], v[110:111], v[114:115], v[112:113]
	v_add_f64 v[3:4], v[3:4], v[108:109]
	v_add_f64 v[1:2], v[1:2], v[110:111]
	s_andn2_b32 exec_lo, exec_lo, s5
	s_cbranch_execnz .LBB111_189
; %bb.190:
	s_or_b32 exec_lo, exec_lo, s5
	v_mov_b32_e32 v7, 0
	ds_read_b128 v[108:111], v7 offset:704
	s_waitcnt lgkmcnt(0)
	v_mul_f64 v[7:8], v[1:2], v[110:111]
	v_mul_f64 v[105:106], v[3:4], v[110:111]
	v_fma_f64 v[3:4], v[3:4], v[108:109], -v[7:8]
	v_fma_f64 v[1:2], v[1:2], v[108:109], v[105:106]
	buffer_store_dword v4, off, s[0:3], 0 offset:724
	buffer_store_dword v3, off, s[0:3], 0 offset:720
	;; [unrolled: 1-line block ×4, first 2 shown]
.LBB111_191:
	s_or_b32 exec_lo, exec_lo, s4
	v_mov_b32_e32 v4, s14
	s_waitcnt_vscnt null, 0x0
	s_barrier
	buffer_gl0_inv
	s_mov_b32 s4, exec_lo
	s_clause 0x3
	buffer_load_dword v1, v4, s[0:3], 0 offen
	buffer_load_dword v2, v4, s[0:3], 0 offen offset:4
	buffer_load_dword v3, v4, s[0:3], 0 offen offset:8
	buffer_load_dword v4, v4, s[0:3], 0 offen offset:12
	s_waitcnt vmcnt(0)
	ds_write_b128 v5, v[1:4]
	s_waitcnt lgkmcnt(0)
	s_barrier
	buffer_gl0_inv
	v_cmpx_gt_u32_e32 45, v0
	s_cbranch_execz .LBB111_195
; %bb.192:
	v_mov_b32_e32 v1, 0
	v_mov_b32_e32 v3, 0
	v_add_nc_u32_e32 v7, -1, v0
	v_add_nc_u32_e32 v8, 0x300, v107
	v_mov_b32_e32 v2, 0
	v_mov_b32_e32 v4, 0
	v_add_nc_u32_e32 v105, 16, v107
	s_mov_b32 s5, 0
	.p2align	6
.LBB111_193:                            ; =>This Inner Loop Header: Depth=1
	s_clause 0x3
	buffer_load_dword v112, v105, s[0:3], 0 offen offset:8
	buffer_load_dword v113, v105, s[0:3], 0 offen offset:12
	buffer_load_dword v114, v105, s[0:3], 0 offen
	buffer_load_dword v115, v105, s[0:3], 0 offen offset:4
	ds_read_b128 v[108:111], v8
	v_add_nc_u32_e32 v7, 1, v7
	v_add_nc_u32_e32 v8, 16, v8
	;; [unrolled: 1-line block ×3, first 2 shown]
	v_cmp_lt_u32_e32 vcc_lo, 43, v7
	s_or_b32 s5, vcc_lo, s5
	s_waitcnt vmcnt(2) lgkmcnt(0)
	v_mul_f64 v[116:117], v[110:111], v[112:113]
	v_mul_f64 v[112:113], v[108:109], v[112:113]
	s_waitcnt vmcnt(0)
	v_fma_f64 v[108:109], v[108:109], v[114:115], -v[116:117]
	v_fma_f64 v[110:111], v[110:111], v[114:115], v[112:113]
	v_add_f64 v[3:4], v[3:4], v[108:109]
	v_add_f64 v[1:2], v[1:2], v[110:111]
	s_andn2_b32 exec_lo, exec_lo, s5
	s_cbranch_execnz .LBB111_193
; %bb.194:
	s_or_b32 exec_lo, exec_lo, s5
	v_mov_b32_e32 v7, 0
	ds_read_b128 v[108:111], v7 offset:720
	s_waitcnt lgkmcnt(0)
	v_mul_f64 v[7:8], v[1:2], v[110:111]
	v_mul_f64 v[105:106], v[3:4], v[110:111]
	v_fma_f64 v[3:4], v[3:4], v[108:109], -v[7:8]
	v_fma_f64 v[1:2], v[1:2], v[108:109], v[105:106]
	buffer_store_dword v4, off, s[0:3], 0 offset:740
	buffer_store_dword v3, off, s[0:3], 0 offset:736
	buffer_store_dword v2, off, s[0:3], 0 offset:748
	buffer_store_dword v1, off, s[0:3], 0 offset:744
.LBB111_195:
	s_or_b32 exec_lo, exec_lo, s4
	v_mov_b32_e32 v4, s9
	s_waitcnt_vscnt null, 0x0
	s_barrier
	buffer_gl0_inv
	s_mov_b32 s4, exec_lo
	s_clause 0x3
	buffer_load_dword v1, v4, s[0:3], 0 offen
	buffer_load_dword v2, v4, s[0:3], 0 offen offset:4
	buffer_load_dword v3, v4, s[0:3], 0 offen offset:8
	;; [unrolled: 1-line block ×3, first 2 shown]
	s_waitcnt vmcnt(0)
	ds_write_b128 v5, v[1:4]
	s_waitcnt lgkmcnt(0)
	s_barrier
	buffer_gl0_inv
	v_cmpx_gt_u32_e32 46, v0
	s_cbranch_execz .LBB111_199
; %bb.196:
	v_mov_b32_e32 v1, 0
	v_mov_b32_e32 v3, 0
	v_add_nc_u32_e32 v7, -1, v0
	v_add_nc_u32_e32 v8, 0x300, v107
	v_mov_b32_e32 v2, 0
	v_mov_b32_e32 v4, 0
	v_add_nc_u32_e32 v105, 16, v107
	s_mov_b32 s5, 0
	.p2align	6
.LBB111_197:                            ; =>This Inner Loop Header: Depth=1
	s_clause 0x3
	buffer_load_dword v112, v105, s[0:3], 0 offen offset:8
	buffer_load_dword v113, v105, s[0:3], 0 offen offset:12
	buffer_load_dword v114, v105, s[0:3], 0 offen
	buffer_load_dword v115, v105, s[0:3], 0 offen offset:4
	ds_read_b128 v[108:111], v8
	v_add_nc_u32_e32 v7, 1, v7
	v_add_nc_u32_e32 v8, 16, v8
	;; [unrolled: 1-line block ×3, first 2 shown]
	v_cmp_lt_u32_e32 vcc_lo, 44, v7
	s_or_b32 s5, vcc_lo, s5
	s_waitcnt vmcnt(2) lgkmcnt(0)
	v_mul_f64 v[116:117], v[110:111], v[112:113]
	v_mul_f64 v[112:113], v[108:109], v[112:113]
	s_waitcnt vmcnt(0)
	v_fma_f64 v[108:109], v[108:109], v[114:115], -v[116:117]
	v_fma_f64 v[110:111], v[110:111], v[114:115], v[112:113]
	v_add_f64 v[3:4], v[3:4], v[108:109]
	v_add_f64 v[1:2], v[1:2], v[110:111]
	s_andn2_b32 exec_lo, exec_lo, s5
	s_cbranch_execnz .LBB111_197
; %bb.198:
	s_or_b32 exec_lo, exec_lo, s5
	v_mov_b32_e32 v7, 0
	ds_read_b128 v[108:111], v7 offset:736
	s_waitcnt lgkmcnt(0)
	v_mul_f64 v[7:8], v[1:2], v[110:111]
	v_mul_f64 v[105:106], v[3:4], v[110:111]
	v_fma_f64 v[3:4], v[3:4], v[108:109], -v[7:8]
	v_fma_f64 v[1:2], v[1:2], v[108:109], v[105:106]
	buffer_store_dword v4, off, s[0:3], 0 offset:756
	buffer_store_dword v3, off, s[0:3], 0 offset:752
	;; [unrolled: 1-line block ×4, first 2 shown]
.LBB111_199:
	s_or_b32 exec_lo, exec_lo, s4
	v_mov_b32_e32 v4, s8
	s_waitcnt_vscnt null, 0x0
	s_barrier
	buffer_gl0_inv
	s_mov_b32 s4, exec_lo
	s_clause 0x3
	buffer_load_dword v1, v4, s[0:3], 0 offen
	buffer_load_dword v2, v4, s[0:3], 0 offen offset:4
	buffer_load_dword v3, v4, s[0:3], 0 offen offset:8
	;; [unrolled: 1-line block ×3, first 2 shown]
	s_waitcnt vmcnt(0)
	ds_write_b128 v5, v[1:4]
	s_waitcnt lgkmcnt(0)
	s_barrier
	buffer_gl0_inv
	v_cmpx_ne_u32_e32 47, v0
	s_cbranch_execz .LBB111_203
; %bb.200:
	v_mov_b32_e32 v1, 0
	v_mov_b32_e32 v3, 0
	;; [unrolled: 1-line block ×4, first 2 shown]
	v_add_nc_u32_e32 v7, 16, v107
	s_mov_b32 s5, 0
	.p2align	6
.LBB111_201:                            ; =>This Inner Loop Header: Depth=1
	s_clause 0x3
	buffer_load_dword v109, v7, s[0:3], 0 offen offset:8
	buffer_load_dword v110, v7, s[0:3], 0 offen offset:12
	buffer_load_dword v111, v7, s[0:3], 0 offen
	buffer_load_dword v112, v7, s[0:3], 0 offen offset:4
	ds_read_b128 v[105:108], v5
	v_add_nc_u32_e32 v6, 1, v6
	v_add_nc_u32_e32 v5, 16, v5
	;; [unrolled: 1-line block ×3, first 2 shown]
	v_cmp_lt_u32_e32 vcc_lo, 45, v6
	s_or_b32 s5, vcc_lo, s5
	s_waitcnt vmcnt(2) lgkmcnt(0)
	v_mul_f64 v[113:114], v[107:108], v[109:110]
	v_mul_f64 v[109:110], v[105:106], v[109:110]
	s_waitcnt vmcnt(0)
	v_fma_f64 v[105:106], v[105:106], v[111:112], -v[113:114]
	v_fma_f64 v[107:108], v[107:108], v[111:112], v[109:110]
	v_add_f64 v[3:4], v[3:4], v[105:106]
	v_add_f64 v[1:2], v[1:2], v[107:108]
	s_andn2_b32 exec_lo, exec_lo, s5
	s_cbranch_execnz .LBB111_201
; %bb.202:
	s_or_b32 exec_lo, exec_lo, s5
	v_mov_b32_e32 v5, 0
	ds_read_b128 v[5:8], v5 offset:752
	s_waitcnt lgkmcnt(0)
	v_mul_f64 v[105:106], v[1:2], v[7:8]
	v_mul_f64 v[7:8], v[3:4], v[7:8]
	v_fma_f64 v[3:4], v[3:4], v[5:6], -v[105:106]
	v_fma_f64 v[1:2], v[1:2], v[5:6], v[7:8]
	buffer_store_dword v4, off, s[0:3], 0 offset:772
	buffer_store_dword v3, off, s[0:3], 0 offset:768
	;; [unrolled: 1-line block ×4, first 2 shown]
.LBB111_203:
	s_or_b32 exec_lo, exec_lo, s4
	s_mov_b32 s5, -1
	s_waitcnt_vscnt null, 0x0
	s_barrier
	buffer_gl0_inv
.LBB111_204:
	s_and_b32 vcc_lo, exec_lo, s5
	s_cbranch_vccz .LBB111_206
; %bb.205:
	s_lshl_b64 s[4:5], s[6:7], 2
	v_mov_b32_e32 v1, 0
	s_add_u32 s4, s10, s4
	s_addc_u32 s5, s11, s5
	global_load_dword v1, v1, s[4:5]
	s_waitcnt vmcnt(0)
	v_cmp_ne_u32_e32 vcc_lo, 0, v1
	s_cbranch_vccz .LBB111_207
.LBB111_206:
	s_endpgm
.LBB111_207:
	v_lshl_add_u32 v165, v0, 4, 0x300
	s_mov_b32 s4, exec_lo
	v_cmpx_eq_u32_e32 47, v0
	s_cbranch_execz .LBB111_209
; %bb.208:
	v_mov_b32_e32 v4, s9
	v_mov_b32_e32 v5, 0
	s_clause 0x3
	buffer_load_dword v1, v4, s[0:3], 0 offen
	buffer_load_dword v2, v4, s[0:3], 0 offen offset:4
	buffer_load_dword v3, v4, s[0:3], 0 offen offset:8
	;; [unrolled: 1-line block ×3, first 2 shown]
	buffer_store_dword v5, off, s[0:3], 0 offset:752
	buffer_store_dword v5, off, s[0:3], 0 offset:756
	;; [unrolled: 1-line block ×4, first 2 shown]
	s_waitcnt vmcnt(0)
	ds_write_b128 v165, v[1:4]
.LBB111_209:
	s_or_b32 exec_lo, exec_lo, s4
	s_waitcnt lgkmcnt(0)
	s_waitcnt_vscnt null, 0x0
	s_barrier
	buffer_gl0_inv
	s_clause 0x7
	buffer_load_dword v6, off, s[0:3], 0 offset:776
	buffer_load_dword v7, off, s[0:3], 0 offset:780
	;; [unrolled: 1-line block ×8, first 2 shown]
	v_mov_b32_e32 v1, 0
	s_mov_b32 s4, exec_lo
	ds_read_b128 v[2:5], v1 offset:1520
	s_waitcnt vmcnt(6) lgkmcnt(0)
	v_mul_f64 v[111:112], v[4:5], v[6:7]
	v_mul_f64 v[6:7], v[2:3], v[6:7]
	s_waitcnt vmcnt(4)
	v_fma_f64 v[2:3], v[2:3], v[105:106], -v[111:112]
	v_fma_f64 v[4:5], v[4:5], v[105:106], v[6:7]
	v_add_f64 v[2:3], v[2:3], 0
	v_add_f64 v[4:5], v[4:5], 0
	s_waitcnt vmcnt(2)
	v_add_f64 v[2:3], v[107:108], -v[2:3]
	s_waitcnt vmcnt(0)
	v_add_f64 v[4:5], v[109:110], -v[4:5]
	buffer_store_dword v2, off, s[0:3], 0 offset:752
	buffer_store_dword v3, off, s[0:3], 0 offset:756
	;; [unrolled: 1-line block ×4, first 2 shown]
	v_cmpx_lt_u32_e32 45, v0
	s_cbranch_execz .LBB111_211
; %bb.210:
	v_mov_b32_e32 v5, s14
	s_clause 0x3
	buffer_load_dword v2, v5, s[0:3], 0 offen
	buffer_load_dword v3, v5, s[0:3], 0 offen offset:4
	buffer_load_dword v4, v5, s[0:3], 0 offen offset:8
	;; [unrolled: 1-line block ×3, first 2 shown]
	buffer_store_dword v1, off, s[0:3], 0 offset:736
	buffer_store_dword v1, off, s[0:3], 0 offset:740
	;; [unrolled: 1-line block ×4, first 2 shown]
	s_waitcnt vmcnt(0)
	ds_write_b128 v165, v[2:5]
.LBB111_211:
	s_or_b32 exec_lo, exec_lo, s4
	s_waitcnt lgkmcnt(0)
	s_waitcnt_vscnt null, 0x0
	s_barrier
	buffer_gl0_inv
	s_clause 0xb
	buffer_load_dword v6, off, s[0:3], 0 offset:760
	buffer_load_dword v7, off, s[0:3], 0 offset:764
	;; [unrolled: 1-line block ×12, first 2 shown]
	ds_read_b128 v[2:5], v1 offset:1504
	ds_read_b128 v[105:108], v1 offset:1520
	s_mov_b32 s4, exec_lo
	s_waitcnt vmcnt(10) lgkmcnt(1)
	v_mul_f64 v[119:120], v[4:5], v[6:7]
	v_mul_f64 v[6:7], v[2:3], v[6:7]
	s_waitcnt vmcnt(8) lgkmcnt(0)
	v_mul_f64 v[121:122], v[107:108], v[109:110]
	v_mul_f64 v[109:110], v[105:106], v[109:110]
	s_waitcnt vmcnt(6)
	v_fma_f64 v[1:2], v[2:3], v[111:112], -v[119:120]
	v_fma_f64 v[3:4], v[4:5], v[111:112], v[6:7]
	s_waitcnt vmcnt(4)
	v_fma_f64 v[5:6], v[105:106], v[113:114], -v[121:122]
	v_fma_f64 v[7:8], v[107:108], v[113:114], v[109:110]
	v_add_f64 v[1:2], v[1:2], 0
	v_add_f64 v[3:4], v[3:4], 0
	;; [unrolled: 1-line block ×4, first 2 shown]
	s_waitcnt vmcnt(2)
	v_add_f64 v[1:2], v[115:116], -v[1:2]
	s_waitcnt vmcnt(0)
	v_add_f64 v[3:4], v[117:118], -v[3:4]
	buffer_store_dword v1, off, s[0:3], 0 offset:736
	buffer_store_dword v2, off, s[0:3], 0 offset:740
	;; [unrolled: 1-line block ×4, first 2 shown]
	v_cmpx_lt_u32_e32 44, v0
	s_cbranch_execz .LBB111_213
; %bb.212:
	v_mov_b32_e32 v4, s15
	v_mov_b32_e32 v5, 0
	s_clause 0x3
	buffer_load_dword v1, v4, s[0:3], 0 offen
	buffer_load_dword v2, v4, s[0:3], 0 offen offset:4
	buffer_load_dword v3, v4, s[0:3], 0 offen offset:8
	buffer_load_dword v4, v4, s[0:3], 0 offen offset:12
	buffer_store_dword v5, off, s[0:3], 0 offset:720
	buffer_store_dword v5, off, s[0:3], 0 offset:724
	;; [unrolled: 1-line block ×4, first 2 shown]
	s_waitcnt vmcnt(0)
	ds_write_b128 v165, v[1:4]
.LBB111_213:
	s_or_b32 exec_lo, exec_lo, s4
	s_waitcnt lgkmcnt(0)
	s_waitcnt_vscnt null, 0x0
	s_barrier
	buffer_gl0_inv
	s_clause 0xf
	buffer_load_dword v6, off, s[0:3], 0 offset:744
	buffer_load_dword v7, off, s[0:3], 0 offset:748
	;; [unrolled: 1-line block ×16, first 2 shown]
	v_mov_b32_e32 v1, 0
	ds_read_b128 v[2:5], v1 offset:1488
	ds_read_b128 v[105:108], v1 offset:1504
	;; [unrolled: 1-line block ×3, first 2 shown]
	s_mov_b32 s4, exec_lo
	s_waitcnt vmcnt(14) lgkmcnt(2)
	v_mul_f64 v[127:128], v[4:5], v[6:7]
	v_mul_f64 v[6:7], v[2:3], v[6:7]
	s_waitcnt vmcnt(12) lgkmcnt(1)
	v_mul_f64 v[129:130], v[107:108], v[113:114]
	v_mul_f64 v[113:114], v[105:106], v[113:114]
	s_waitcnt vmcnt(10)
	v_fma_f64 v[2:3], v[2:3], v[115:116], -v[127:128]
	v_fma_f64 v[4:5], v[4:5], v[115:116], v[6:7]
	s_waitcnt vmcnt(8) lgkmcnt(0)
	v_mul_f64 v[115:116], v[111:112], v[117:118]
	s_waitcnt vmcnt(6)
	v_fma_f64 v[105:106], v[105:106], v[119:120], -v[129:130]
	v_mul_f64 v[6:7], v[109:110], v[117:118]
	v_fma_f64 v[107:108], v[107:108], v[119:120], v[113:114]
	v_add_f64 v[2:3], v[2:3], 0
	v_add_f64 v[4:5], v[4:5], 0
	s_waitcnt vmcnt(4)
	v_fma_f64 v[109:110], v[109:110], v[121:122], -v[115:116]
	v_fma_f64 v[6:7], v[111:112], v[121:122], v[6:7]
	v_add_f64 v[2:3], v[2:3], v[105:106]
	v_add_f64 v[4:5], v[4:5], v[107:108]
	v_add_f64 v[2:3], v[2:3], v[109:110]
	v_add_f64 v[4:5], v[4:5], v[6:7]
	s_waitcnt vmcnt(2)
	v_add_f64 v[2:3], v[123:124], -v[2:3]
	s_waitcnt vmcnt(0)
	v_add_f64 v[4:5], v[125:126], -v[4:5]
	buffer_store_dword v2, off, s[0:3], 0 offset:720
	buffer_store_dword v3, off, s[0:3], 0 offset:724
	;; [unrolled: 1-line block ×4, first 2 shown]
	v_cmpx_lt_u32_e32 43, v0
	s_cbranch_execz .LBB111_215
; %bb.214:
	v_mov_b32_e32 v5, s16
	s_clause 0x3
	buffer_load_dword v2, v5, s[0:3], 0 offen
	buffer_load_dword v3, v5, s[0:3], 0 offen offset:4
	buffer_load_dword v4, v5, s[0:3], 0 offen offset:8
	;; [unrolled: 1-line block ×3, first 2 shown]
	buffer_store_dword v1, off, s[0:3], 0 offset:704
	buffer_store_dword v1, off, s[0:3], 0 offset:708
	;; [unrolled: 1-line block ×4, first 2 shown]
	s_waitcnt vmcnt(0)
	ds_write_b128 v165, v[2:5]
.LBB111_215:
	s_or_b32 exec_lo, exec_lo, s4
	s_waitcnt lgkmcnt(0)
	s_waitcnt_vscnt null, 0x0
	s_barrier
	buffer_gl0_inv
	s_clause 0x13
	buffer_load_dword v6, off, s[0:3], 0 offset:728
	buffer_load_dword v7, off, s[0:3], 0 offset:732
	;; [unrolled: 1-line block ×20, first 2 shown]
	ds_read_b128 v[2:5], v1 offset:1472
	ds_read_b128 v[105:108], v1 offset:1488
	;; [unrolled: 1-line block ×3, first 2 shown]
	s_mov_b32 s4, exec_lo
	s_waitcnt vmcnt(18) lgkmcnt(2)
	v_mul_f64 v[131:132], v[4:5], v[6:7]
	v_mul_f64 v[6:7], v[2:3], v[6:7]
	s_waitcnt vmcnt(16) lgkmcnt(1)
	v_mul_f64 v[133:134], v[107:108], v[113:114]
	v_mul_f64 v[113:114], v[105:106], v[113:114]
	s_waitcnt vmcnt(14)
	v_fma_f64 v[131:132], v[2:3], v[115:116], -v[131:132]
	v_fma_f64 v[5:6], v[4:5], v[115:116], v[6:7]
	s_waitcnt vmcnt(12) lgkmcnt(0)
	v_mul_f64 v[7:8], v[109:110], v[117:118]
	v_mul_f64 v[115:116], v[111:112], v[117:118]
	s_waitcnt vmcnt(10)
	v_fma_f64 v[105:106], v[105:106], v[119:120], -v[133:134]
	ds_read_b128 v[1:4], v1 offset:1520
	v_fma_f64 v[107:108], v[107:108], v[119:120], v[113:114]
	v_add_f64 v[117:118], v[131:132], 0
	v_add_f64 v[5:6], v[5:6], 0
	s_waitcnt vmcnt(6)
	v_fma_f64 v[7:8], v[111:112], v[123:124], v[7:8]
	s_waitcnt lgkmcnt(0)
	v_mul_f64 v[119:120], v[3:4], v[121:122]
	v_fma_f64 v[109:110], v[109:110], v[123:124], -v[115:116]
	v_mul_f64 v[113:114], v[1:2], v[121:122]
	v_add_f64 v[105:106], v[117:118], v[105:106]
	v_add_f64 v[5:6], v[5:6], v[107:108]
	s_waitcnt vmcnt(4)
	v_fma_f64 v[1:2], v[1:2], v[125:126], -v[119:120]
	v_fma_f64 v[3:4], v[3:4], v[125:126], v[113:114]
	v_add_f64 v[105:106], v[105:106], v[109:110]
	v_add_f64 v[5:6], v[5:6], v[7:8]
	;; [unrolled: 1-line block ×4, first 2 shown]
	s_waitcnt vmcnt(2)
	v_add_f64 v[1:2], v[127:128], -v[1:2]
	s_waitcnt vmcnt(0)
	v_add_f64 v[3:4], v[129:130], -v[3:4]
	buffer_store_dword v1, off, s[0:3], 0 offset:704
	buffer_store_dword v2, off, s[0:3], 0 offset:708
	;; [unrolled: 1-line block ×4, first 2 shown]
	v_cmpx_lt_u32_e32 42, v0
	s_cbranch_execz .LBB111_217
; %bb.216:
	v_mov_b32_e32 v4, s17
	v_mov_b32_e32 v5, 0
	s_clause 0x3
	buffer_load_dword v1, v4, s[0:3], 0 offen
	buffer_load_dword v2, v4, s[0:3], 0 offen offset:4
	buffer_load_dword v3, v4, s[0:3], 0 offen offset:8
	buffer_load_dword v4, v4, s[0:3], 0 offen offset:12
	buffer_store_dword v5, off, s[0:3], 0 offset:688
	buffer_store_dword v5, off, s[0:3], 0 offset:692
	;; [unrolled: 1-line block ×4, first 2 shown]
	s_waitcnt vmcnt(0)
	ds_write_b128 v165, v[1:4]
.LBB111_217:
	s_or_b32 exec_lo, exec_lo, s4
	s_waitcnt lgkmcnt(0)
	s_waitcnt_vscnt null, 0x0
	s_barrier
	buffer_gl0_inv
	s_clause 0x17
	buffer_load_dword v6, off, s[0:3], 0 offset:712
	buffer_load_dword v7, off, s[0:3], 0 offset:716
	;; [unrolled: 1-line block ×24, first 2 shown]
	v_mov_b32_e32 v1, 0
	ds_read_b128 v[2:5], v1 offset:1456
	ds_read_b128 v[105:108], v1 offset:1472
	;; [unrolled: 1-line block ×3, first 2 shown]
	s_mov_b32 s4, exec_lo
	s_waitcnt vmcnt(22) lgkmcnt(2)
	v_mul_f64 v[135:136], v[4:5], v[6:7]
	v_mul_f64 v[6:7], v[2:3], v[6:7]
	s_waitcnt vmcnt(20) lgkmcnt(1)
	v_mul_f64 v[137:138], v[107:108], v[113:114]
	v_mul_f64 v[113:114], v[105:106], v[113:114]
	s_waitcnt vmcnt(18)
	v_fma_f64 v[135:136], v[2:3], v[115:116], -v[135:136]
	v_fma_f64 v[6:7], v[4:5], v[115:116], v[6:7]
	ds_read_b128 v[2:5], v1 offset:1504
	s_waitcnt vmcnt(16) lgkmcnt(1)
	v_mul_f64 v[115:116], v[109:110], v[117:118]
	v_mul_f64 v[117:118], v[111:112], v[117:118]
	s_waitcnt vmcnt(14)
	v_fma_f64 v[137:138], v[105:106], v[119:120], -v[137:138]
	v_fma_f64 v[113:114], v[107:108], v[119:120], v[113:114]
	ds_read_b128 v[105:108], v1 offset:1520
	s_waitcnt vmcnt(10) lgkmcnt(1)
	v_mul_f64 v[119:120], v[2:3], v[121:122]
	v_add_f64 v[135:136], v[135:136], 0
	v_add_f64 v[6:7], v[6:7], 0
	v_mul_f64 v[121:122], v[4:5], v[121:122]
	s_waitcnt vmcnt(8)
	v_fma_f64 v[109:110], v[109:110], v[127:128], -v[117:118]
	v_fma_f64 v[111:112], v[111:112], v[127:128], v[115:116]
	s_waitcnt vmcnt(7) lgkmcnt(0)
	v_mul_f64 v[115:116], v[107:108], v[123:124]
	s_waitcnt vmcnt(5)
	v_fma_f64 v[4:5], v[4:5], v[129:130], v[119:120]
	v_add_f64 v[117:118], v[135:136], v[137:138]
	v_add_f64 v[6:7], v[6:7], v[113:114]
	v_fma_f64 v[2:3], v[2:3], v[129:130], -v[121:122]
	v_mul_f64 v[113:114], v[105:106], v[123:124]
	s_waitcnt vmcnt(4)
	v_fma_f64 v[105:106], v[105:106], v[125:126], -v[115:116]
	v_add_f64 v[109:110], v[117:118], v[109:110]
	v_add_f64 v[6:7], v[6:7], v[111:112]
	v_fma_f64 v[107:108], v[107:108], v[125:126], v[113:114]
	v_add_f64 v[2:3], v[109:110], v[2:3]
	v_add_f64 v[4:5], v[6:7], v[4:5]
	;; [unrolled: 1-line block ×4, first 2 shown]
	s_waitcnt vmcnt(2)
	v_add_f64 v[2:3], v[131:132], -v[2:3]
	s_waitcnt vmcnt(0)
	v_add_f64 v[4:5], v[133:134], -v[4:5]
	buffer_store_dword v3, off, s[0:3], 0 offset:692
	buffer_store_dword v2, off, s[0:3], 0 offset:688
	;; [unrolled: 1-line block ×4, first 2 shown]
	v_cmpx_lt_u32_e32 41, v0
	s_cbranch_execz .LBB111_219
; %bb.218:
	v_mov_b32_e32 v5, s18
	s_clause 0x3
	buffer_load_dword v2, v5, s[0:3], 0 offen
	buffer_load_dword v3, v5, s[0:3], 0 offen offset:4
	buffer_load_dword v4, v5, s[0:3], 0 offen offset:8
	;; [unrolled: 1-line block ×3, first 2 shown]
	buffer_store_dword v1, off, s[0:3], 0 offset:672
	buffer_store_dword v1, off, s[0:3], 0 offset:676
	;; [unrolled: 1-line block ×4, first 2 shown]
	s_waitcnt vmcnt(0)
	ds_write_b128 v165, v[2:5]
.LBB111_219:
	s_or_b32 exec_lo, exec_lo, s4
	s_waitcnt lgkmcnt(0)
	s_waitcnt_vscnt null, 0x0
	s_barrier
	buffer_gl0_inv
	s_clause 0x1b
	buffer_load_dword v6, off, s[0:3], 0 offset:696
	buffer_load_dword v7, off, s[0:3], 0 offset:700
	;; [unrolled: 1-line block ×28, first 2 shown]
	ds_read_b128 v[2:5], v1 offset:1440
	ds_read_b128 v[105:108], v1 offset:1456
	;; [unrolled: 1-line block ×3, first 2 shown]
	s_mov_b32 s4, exec_lo
	s_waitcnt vmcnt(26) lgkmcnt(2)
	v_mul_f64 v[139:140], v[4:5], v[6:7]
	v_mul_f64 v[6:7], v[2:3], v[6:7]
	s_waitcnt vmcnt(24) lgkmcnt(1)
	v_mul_f64 v[141:142], v[107:108], v[113:114]
	v_mul_f64 v[113:114], v[105:106], v[113:114]
	s_waitcnt vmcnt(22)
	v_fma_f64 v[139:140], v[2:3], v[115:116], -v[139:140]
	v_fma_f64 v[6:7], v[4:5], v[115:116], v[6:7]
	ds_read_b128 v[2:5], v1 offset:1488
	s_waitcnt vmcnt(20) lgkmcnt(1)
	v_mul_f64 v[115:116], v[109:110], v[117:118]
	v_mul_f64 v[117:118], v[111:112], v[117:118]
	s_waitcnt vmcnt(18)
	v_fma_f64 v[141:142], v[105:106], v[119:120], -v[141:142]
	v_fma_f64 v[113:114], v[107:108], v[119:120], v[113:114]
	ds_read_b128 v[105:108], v1 offset:1504
	s_waitcnt vmcnt(14) lgkmcnt(1)
	v_mul_f64 v[119:120], v[2:3], v[121:122]
	v_add_f64 v[139:140], v[139:140], 0
	v_add_f64 v[6:7], v[6:7], 0
	v_mul_f64 v[121:122], v[4:5], v[121:122]
	s_waitcnt vmcnt(12)
	v_fma_f64 v[117:118], v[109:110], v[127:128], -v[117:118]
	v_fma_f64 v[115:116], v[111:112], v[127:128], v[115:116]
	ds_read_b128 v[109:112], v1 offset:1520
	v_add_f64 v[139:140], v[139:140], v[141:142]
	v_add_f64 v[6:7], v[6:7], v[113:114]
	s_waitcnt vmcnt(11) lgkmcnt(1)
	v_mul_f64 v[113:114], v[105:106], v[123:124]
	v_mul_f64 v[123:124], v[107:108], v[123:124]
	s_waitcnt vmcnt(9)
	v_fma_f64 v[1:2], v[2:3], v[129:130], -v[121:122]
	v_fma_f64 v[3:4], v[4:5], v[129:130], v[119:120]
	v_add_f64 v[117:118], v[139:140], v[117:118]
	v_add_f64 v[5:6], v[6:7], v[115:116]
	s_waitcnt vmcnt(7) lgkmcnt(0)
	v_mul_f64 v[115:116], v[111:112], v[131:132]
	s_waitcnt vmcnt(6)
	v_fma_f64 v[105:106], v[105:106], v[125:126], -v[123:124]
	v_mul_f64 v[7:8], v[109:110], v[131:132]
	v_fma_f64 v[107:108], v[107:108], v[125:126], v[113:114]
	v_add_f64 v[1:2], v[117:118], v[1:2]
	v_add_f64 v[3:4], v[5:6], v[3:4]
	s_waitcnt vmcnt(4)
	v_fma_f64 v[5:6], v[109:110], v[133:134], -v[115:116]
	v_fma_f64 v[7:8], v[111:112], v[133:134], v[7:8]
	v_add_f64 v[1:2], v[1:2], v[105:106]
	v_add_f64 v[3:4], v[3:4], v[107:108]
	;; [unrolled: 1-line block ×4, first 2 shown]
	s_waitcnt vmcnt(2)
	v_add_f64 v[1:2], v[135:136], -v[1:2]
	s_waitcnt vmcnt(0)
	v_add_f64 v[3:4], v[137:138], -v[3:4]
	buffer_store_dword v2, off, s[0:3], 0 offset:676
	buffer_store_dword v1, off, s[0:3], 0 offset:672
	;; [unrolled: 1-line block ×4, first 2 shown]
	v_cmpx_lt_u32_e32 40, v0
	s_cbranch_execz .LBB111_221
; %bb.220:
	v_mov_b32_e32 v4, s19
	v_mov_b32_e32 v5, 0
	s_clause 0x3
	buffer_load_dword v1, v4, s[0:3], 0 offen
	buffer_load_dword v2, v4, s[0:3], 0 offen offset:4
	buffer_load_dword v3, v4, s[0:3], 0 offen offset:8
	;; [unrolled: 1-line block ×3, first 2 shown]
	buffer_store_dword v5, off, s[0:3], 0 offset:656
	buffer_store_dword v5, off, s[0:3], 0 offset:660
	;; [unrolled: 1-line block ×4, first 2 shown]
	s_waitcnt vmcnt(0)
	ds_write_b128 v165, v[1:4]
.LBB111_221:
	s_or_b32 exec_lo, exec_lo, s4
	s_waitcnt lgkmcnt(0)
	s_waitcnt_vscnt null, 0x0
	s_barrier
	buffer_gl0_inv
	s_clause 0x1f
	buffer_load_dword v6, off, s[0:3], 0 offset:680
	buffer_load_dword v7, off, s[0:3], 0 offset:684
	;; [unrolled: 1-line block ×32, first 2 shown]
	v_mov_b32_e32 v1, 0
	ds_read_b128 v[2:5], v1 offset:1424
	ds_read_b128 v[105:108], v1 offset:1440
	;; [unrolled: 1-line block ×3, first 2 shown]
	s_mov_b32 s4, exec_lo
	s_waitcnt vmcnt(30) lgkmcnt(2)
	v_mul_f64 v[143:144], v[4:5], v[6:7]
	v_mul_f64 v[6:7], v[2:3], v[6:7]
	s_waitcnt vmcnt(28) lgkmcnt(1)
	v_mul_f64 v[145:146], v[107:108], v[113:114]
	v_mul_f64 v[113:114], v[105:106], v[113:114]
	s_waitcnt vmcnt(26)
	v_fma_f64 v[143:144], v[2:3], v[115:116], -v[143:144]
	v_fma_f64 v[6:7], v[4:5], v[115:116], v[6:7]
	ds_read_b128 v[2:5], v1 offset:1472
	s_waitcnt vmcnt(24) lgkmcnt(1)
	v_mul_f64 v[115:116], v[109:110], v[117:118]
	v_mul_f64 v[117:118], v[111:112], v[117:118]
	s_waitcnt vmcnt(22)
	v_fma_f64 v[145:146], v[105:106], v[119:120], -v[145:146]
	v_fma_f64 v[113:114], v[107:108], v[119:120], v[113:114]
	ds_read_b128 v[105:108], v1 offset:1488
	s_waitcnt vmcnt(18) lgkmcnt(1)
	v_mul_f64 v[119:120], v[2:3], v[121:122]
	v_add_f64 v[143:144], v[143:144], 0
	v_add_f64 v[6:7], v[6:7], 0
	v_mul_f64 v[121:122], v[4:5], v[121:122]
	s_waitcnt vmcnt(16)
	v_fma_f64 v[117:118], v[109:110], v[127:128], -v[117:118]
	v_fma_f64 v[115:116], v[111:112], v[127:128], v[115:116]
	ds_read_b128 v[109:112], v1 offset:1504
	s_waitcnt vmcnt(13)
	v_fma_f64 v[119:120], v[4:5], v[129:130], v[119:120]
	v_add_f64 v[143:144], v[143:144], v[145:146]
	v_add_f64 v[6:7], v[6:7], v[113:114]
	s_waitcnt lgkmcnt(1)
	v_mul_f64 v[113:114], v[105:106], v[123:124]
	v_mul_f64 v[123:124], v[107:108], v[123:124]
	v_fma_f64 v[121:122], v[2:3], v[129:130], -v[121:122]
	s_waitcnt vmcnt(9) lgkmcnt(0)
	v_mul_f64 v[127:128], v[111:112], v[131:132]
	ds_read_b128 v[2:5], v1 offset:1520
	v_add_f64 v[117:118], v[143:144], v[117:118]
	v_add_f64 v[6:7], v[6:7], v[115:116]
	v_mul_f64 v[115:116], v[109:110], v[131:132]
	s_waitcnt vmcnt(8)
	v_fma_f64 v[105:106], v[105:106], v[125:126], -v[123:124]
	v_fma_f64 v[107:108], v[107:108], v[125:126], v[113:114]
	s_waitcnt vmcnt(5)
	v_fma_f64 v[109:110], v[109:110], v[137:138], -v[127:128]
	s_waitcnt lgkmcnt(0)
	v_mul_f64 v[113:114], v[2:3], v[133:134]
	v_add_f64 v[117:118], v[117:118], v[121:122]
	v_add_f64 v[6:7], v[6:7], v[119:120]
	v_mul_f64 v[119:120], v[4:5], v[133:134]
	v_fma_f64 v[111:112], v[111:112], v[137:138], v[115:116]
	s_waitcnt vmcnt(4)
	v_fma_f64 v[4:5], v[4:5], v[135:136], v[113:114]
	v_add_f64 v[105:106], v[117:118], v[105:106]
	v_add_f64 v[6:7], v[6:7], v[107:108]
	v_fma_f64 v[2:3], v[2:3], v[135:136], -v[119:120]
	v_add_f64 v[105:106], v[105:106], v[109:110]
	v_add_f64 v[6:7], v[6:7], v[111:112]
	;; [unrolled: 1-line block ×4, first 2 shown]
	s_waitcnt vmcnt(2)
	v_add_f64 v[2:3], v[139:140], -v[2:3]
	s_waitcnt vmcnt(0)
	v_add_f64 v[4:5], v[141:142], -v[4:5]
	buffer_store_dword v3, off, s[0:3], 0 offset:660
	buffer_store_dword v2, off, s[0:3], 0 offset:656
	;; [unrolled: 1-line block ×4, first 2 shown]
	v_cmpx_lt_u32_e32 39, v0
	s_cbranch_execz .LBB111_223
; %bb.222:
	v_mov_b32_e32 v5, s20
	s_clause 0x3
	buffer_load_dword v2, v5, s[0:3], 0 offen
	buffer_load_dword v3, v5, s[0:3], 0 offen offset:4
	buffer_load_dword v4, v5, s[0:3], 0 offen offset:8
	;; [unrolled: 1-line block ×3, first 2 shown]
	buffer_store_dword v1, off, s[0:3], 0 offset:640
	buffer_store_dword v1, off, s[0:3], 0 offset:644
	;; [unrolled: 1-line block ×4, first 2 shown]
	s_waitcnt vmcnt(0)
	ds_write_b128 v165, v[2:5]
.LBB111_223:
	s_or_b32 exec_lo, exec_lo, s4
	s_waitcnt lgkmcnt(0)
	s_waitcnt_vscnt null, 0x0
	s_barrier
	buffer_gl0_inv
	s_clause 0x23
	buffer_load_dword v6, off, s[0:3], 0 offset:664
	buffer_load_dword v7, off, s[0:3], 0 offset:668
	;; [unrolled: 1-line block ×36, first 2 shown]
	ds_read_b128 v[2:5], v1 offset:1408
	ds_read_b128 v[105:108], v1 offset:1424
	ds_read_b128 v[109:112], v1 offset:1440
	s_mov_b32 s4, exec_lo
	s_waitcnt vmcnt(34) lgkmcnt(2)
	v_mul_f64 v[147:148], v[4:5], v[6:7]
	v_mul_f64 v[6:7], v[2:3], v[6:7]
	s_waitcnt vmcnt(32) lgkmcnt(1)
	v_mul_f64 v[149:150], v[107:108], v[113:114]
	v_mul_f64 v[113:114], v[105:106], v[113:114]
	s_waitcnt vmcnt(30)
	v_fma_f64 v[147:148], v[2:3], v[115:116], -v[147:148]
	v_fma_f64 v[6:7], v[4:5], v[115:116], v[6:7]
	ds_read_b128 v[2:5], v1 offset:1456
	s_waitcnt vmcnt(28) lgkmcnt(1)
	v_mul_f64 v[115:116], v[109:110], v[117:118]
	v_mul_f64 v[117:118], v[111:112], v[117:118]
	s_waitcnt vmcnt(26)
	v_fma_f64 v[149:150], v[105:106], v[119:120], -v[149:150]
	v_fma_f64 v[113:114], v[107:108], v[119:120], v[113:114]
	ds_read_b128 v[105:108], v1 offset:1472
	s_waitcnt vmcnt(22) lgkmcnt(1)
	v_mul_f64 v[119:120], v[2:3], v[121:122]
	v_add_f64 v[147:148], v[147:148], 0
	v_add_f64 v[6:7], v[6:7], 0
	v_mul_f64 v[121:122], v[4:5], v[121:122]
	s_waitcnt vmcnt(20)
	v_fma_f64 v[117:118], v[109:110], v[127:128], -v[117:118]
	v_fma_f64 v[115:116], v[111:112], v[127:128], v[115:116]
	ds_read_b128 v[109:112], v1 offset:1488
	s_waitcnt vmcnt(17)
	v_fma_f64 v[119:120], v[4:5], v[129:130], v[119:120]
	v_add_f64 v[147:148], v[147:148], v[149:150]
	v_add_f64 v[6:7], v[6:7], v[113:114]
	s_waitcnt lgkmcnt(1)
	v_mul_f64 v[113:114], v[105:106], v[123:124]
	v_mul_f64 v[123:124], v[107:108], v[123:124]
	v_fma_f64 v[121:122], v[2:3], v[129:130], -v[121:122]
	s_waitcnt vmcnt(13) lgkmcnt(0)
	v_mul_f64 v[127:128], v[111:112], v[131:132]
	ds_read_b128 v[2:5], v1 offset:1504
	v_add_f64 v[117:118], v[147:148], v[117:118]
	v_add_f64 v[6:7], v[6:7], v[115:116]
	v_mul_f64 v[115:116], v[109:110], v[131:132]
	s_waitcnt vmcnt(12)
	v_fma_f64 v[123:124], v[105:106], v[125:126], -v[123:124]
	v_fma_f64 v[113:114], v[107:108], v[125:126], v[113:114]
	ds_read_b128 v[105:108], v1 offset:1520
	s_waitcnt vmcnt(9)
	v_fma_f64 v[109:110], v[109:110], v[137:138], -v[127:128]
	v_add_f64 v[117:118], v[117:118], v[121:122]
	v_add_f64 v[6:7], v[6:7], v[119:120]
	s_waitcnt lgkmcnt(1)
	v_mul_f64 v[121:122], v[4:5], v[133:134]
	v_mul_f64 v[119:120], v[2:3], v[133:134]
	v_fma_f64 v[111:112], v[111:112], v[137:138], v[115:116]
	s_waitcnt vmcnt(7) lgkmcnt(0)
	v_mul_f64 v[115:116], v[107:108], v[139:140]
	v_add_f64 v[117:118], v[117:118], v[123:124]
	v_add_f64 v[6:7], v[6:7], v[113:114]
	s_waitcnt vmcnt(6)
	v_fma_f64 v[1:2], v[2:3], v[135:136], -v[121:122]
	v_mul_f64 v[113:114], v[105:106], v[139:140]
	v_fma_f64 v[3:4], v[4:5], v[135:136], v[119:120]
	v_add_f64 v[109:110], v[117:118], v[109:110]
	v_add_f64 v[5:6], v[6:7], v[111:112]
	s_waitcnt vmcnt(4)
	v_fma_f64 v[7:8], v[105:106], v[141:142], -v[115:116]
	v_fma_f64 v[105:106], v[107:108], v[141:142], v[113:114]
	v_add_f64 v[1:2], v[109:110], v[1:2]
	v_add_f64 v[3:4], v[5:6], v[3:4]
	;; [unrolled: 1-line block ×4, first 2 shown]
	s_waitcnt vmcnt(2)
	v_add_f64 v[1:2], v[143:144], -v[1:2]
	s_waitcnt vmcnt(0)
	v_add_f64 v[3:4], v[145:146], -v[3:4]
	buffer_store_dword v2, off, s[0:3], 0 offset:644
	buffer_store_dword v1, off, s[0:3], 0 offset:640
	;; [unrolled: 1-line block ×4, first 2 shown]
	v_cmpx_lt_u32_e32 38, v0
	s_cbranch_execz .LBB111_225
; %bb.224:
	v_mov_b32_e32 v4, s21
	v_mov_b32_e32 v5, 0
	s_clause 0x3
	buffer_load_dword v1, v4, s[0:3], 0 offen
	buffer_load_dword v2, v4, s[0:3], 0 offen offset:4
	buffer_load_dword v3, v4, s[0:3], 0 offen offset:8
	;; [unrolled: 1-line block ×3, first 2 shown]
	buffer_store_dword v5, off, s[0:3], 0 offset:624
	buffer_store_dword v5, off, s[0:3], 0 offset:628
	;; [unrolled: 1-line block ×4, first 2 shown]
	s_waitcnt vmcnt(0)
	ds_write_b128 v165, v[1:4]
.LBB111_225:
	s_or_b32 exec_lo, exec_lo, s4
	s_waitcnt lgkmcnt(0)
	s_waitcnt_vscnt null, 0x0
	s_barrier
	buffer_gl0_inv
	s_clause 0x27
	buffer_load_dword v6, off, s[0:3], 0 offset:648
	buffer_load_dword v7, off, s[0:3], 0 offset:652
	;; [unrolled: 1-line block ×40, first 2 shown]
	v_mov_b32_e32 v1, 0
	ds_read_b128 v[2:5], v1 offset:1392
	ds_read_b128 v[105:108], v1 offset:1408
	;; [unrolled: 1-line block ×3, first 2 shown]
	s_mov_b32 s4, exec_lo
	s_waitcnt vmcnt(38) lgkmcnt(2)
	v_mul_f64 v[151:152], v[4:5], v[6:7]
	v_mul_f64 v[6:7], v[2:3], v[6:7]
	s_waitcnt vmcnt(36) lgkmcnt(1)
	v_mul_f64 v[153:154], v[107:108], v[113:114]
	v_mul_f64 v[113:114], v[105:106], v[113:114]
	s_waitcnt vmcnt(34)
	v_fma_f64 v[151:152], v[2:3], v[115:116], -v[151:152]
	v_fma_f64 v[6:7], v[4:5], v[115:116], v[6:7]
	ds_read_b128 v[2:5], v1 offset:1440
	s_waitcnt vmcnt(32) lgkmcnt(1)
	v_mul_f64 v[115:116], v[109:110], v[117:118]
	v_mul_f64 v[117:118], v[111:112], v[117:118]
	s_waitcnt vmcnt(30)
	v_fma_f64 v[153:154], v[105:106], v[119:120], -v[153:154]
	v_fma_f64 v[113:114], v[107:108], v[119:120], v[113:114]
	ds_read_b128 v[105:108], v1 offset:1456
	s_waitcnt vmcnt(26) lgkmcnt(1)
	v_mul_f64 v[119:120], v[2:3], v[121:122]
	v_add_f64 v[151:152], v[151:152], 0
	v_add_f64 v[6:7], v[6:7], 0
	v_mul_f64 v[121:122], v[4:5], v[121:122]
	s_waitcnt vmcnt(24)
	v_fma_f64 v[117:118], v[109:110], v[127:128], -v[117:118]
	v_fma_f64 v[115:116], v[111:112], v[127:128], v[115:116]
	ds_read_b128 v[109:112], v1 offset:1472
	s_waitcnt vmcnt(21)
	v_fma_f64 v[119:120], v[4:5], v[129:130], v[119:120]
	v_add_f64 v[151:152], v[151:152], v[153:154]
	v_add_f64 v[6:7], v[6:7], v[113:114]
	s_waitcnt lgkmcnt(1)
	v_mul_f64 v[113:114], v[105:106], v[123:124]
	v_mul_f64 v[123:124], v[107:108], v[123:124]
	v_fma_f64 v[121:122], v[2:3], v[129:130], -v[121:122]
	s_waitcnt vmcnt(17) lgkmcnt(0)
	v_mul_f64 v[127:128], v[111:112], v[131:132]
	ds_read_b128 v[2:5], v1 offset:1488
	v_add_f64 v[117:118], v[151:152], v[117:118]
	v_add_f64 v[6:7], v[6:7], v[115:116]
	v_mul_f64 v[115:116], v[109:110], v[131:132]
	s_waitcnt vmcnt(16)
	v_fma_f64 v[123:124], v[105:106], v[125:126], -v[123:124]
	v_fma_f64 v[113:114], v[107:108], v[125:126], v[113:114]
	ds_read_b128 v[105:108], v1 offset:1504
	s_waitcnt vmcnt(13)
	v_fma_f64 v[125:126], v[109:110], v[137:138], -v[127:128]
	v_add_f64 v[117:118], v[117:118], v[121:122]
	v_add_f64 v[6:7], v[6:7], v[119:120]
	s_waitcnt lgkmcnt(1)
	v_mul_f64 v[121:122], v[4:5], v[133:134]
	v_mul_f64 v[119:120], v[2:3], v[133:134]
	v_fma_f64 v[115:116], v[111:112], v[137:138], v[115:116]
	ds_read_b128 v[109:112], v1 offset:1520
	v_add_f64 v[117:118], v[117:118], v[123:124]
	v_add_f64 v[6:7], v[6:7], v[113:114]
	s_waitcnt vmcnt(9) lgkmcnt(1)
	v_mul_f64 v[123:124], v[107:108], v[139:140]
	s_waitcnt vmcnt(8)
	v_fma_f64 v[2:3], v[2:3], v[135:136], -v[121:122]
	v_mul_f64 v[113:114], v[105:106], v[139:140]
	v_fma_f64 v[4:5], v[4:5], v[135:136], v[119:120]
	s_waitcnt vmcnt(7) lgkmcnt(0)
	v_mul_f64 v[119:120], v[111:112], v[141:142]
	v_add_f64 v[117:118], v[117:118], v[125:126]
	v_add_f64 v[6:7], v[6:7], v[115:116]
	s_waitcnt vmcnt(5)
	v_fma_f64 v[105:106], v[105:106], v[145:146], -v[123:124]
	v_mul_f64 v[115:116], v[109:110], v[141:142]
	v_fma_f64 v[107:108], v[107:108], v[145:146], v[113:114]
	v_add_f64 v[2:3], v[117:118], v[2:3]
	v_add_f64 v[4:5], v[6:7], v[4:5]
	s_waitcnt vmcnt(4)
	v_fma_f64 v[6:7], v[109:110], v[143:144], -v[119:120]
	v_add_f64 v[2:3], v[2:3], v[105:106]
	v_fma_f64 v[105:106], v[111:112], v[143:144], v[115:116]
	v_add_f64 v[4:5], v[4:5], v[107:108]
	v_add_f64 v[2:3], v[2:3], v[6:7]
	;; [unrolled: 1-line block ×3, first 2 shown]
	s_waitcnt vmcnt(2)
	v_add_f64 v[2:3], v[147:148], -v[2:3]
	s_waitcnt vmcnt(0)
	v_add_f64 v[4:5], v[149:150], -v[4:5]
	buffer_store_dword v3, off, s[0:3], 0 offset:628
	buffer_store_dword v2, off, s[0:3], 0 offset:624
	;; [unrolled: 1-line block ×4, first 2 shown]
	v_cmpx_lt_u32_e32 37, v0
	s_cbranch_execz .LBB111_227
; %bb.226:
	v_mov_b32_e32 v5, s22
	s_clause 0x3
	buffer_load_dword v2, v5, s[0:3], 0 offen
	buffer_load_dword v3, v5, s[0:3], 0 offen offset:4
	buffer_load_dword v4, v5, s[0:3], 0 offen offset:8
	;; [unrolled: 1-line block ×3, first 2 shown]
	buffer_store_dword v1, off, s[0:3], 0 offset:608
	buffer_store_dword v1, off, s[0:3], 0 offset:612
	;; [unrolled: 1-line block ×4, first 2 shown]
	s_waitcnt vmcnt(0)
	ds_write_b128 v165, v[2:5]
.LBB111_227:
	s_or_b32 exec_lo, exec_lo, s4
	s_waitcnt lgkmcnt(0)
	s_waitcnt_vscnt null, 0x0
	s_barrier
	buffer_gl0_inv
	s_clause 0x2b
	buffer_load_dword v6, off, s[0:3], 0 offset:632
	buffer_load_dword v7, off, s[0:3], 0 offset:636
	;; [unrolled: 1-line block ×44, first 2 shown]
	ds_read_b128 v[2:5], v1 offset:1376
	ds_read_b128 v[105:108], v1 offset:1392
	;; [unrolled: 1-line block ×3, first 2 shown]
	s_mov_b32 s4, exec_lo
	s_waitcnt vmcnt(42) lgkmcnt(2)
	v_mul_f64 v[155:156], v[4:5], v[6:7]
	v_mul_f64 v[6:7], v[2:3], v[6:7]
	s_waitcnt vmcnt(40) lgkmcnt(1)
	v_mul_f64 v[157:158], v[107:108], v[113:114]
	v_mul_f64 v[113:114], v[105:106], v[113:114]
	s_waitcnt vmcnt(38)
	v_fma_f64 v[155:156], v[2:3], v[115:116], -v[155:156]
	v_fma_f64 v[6:7], v[4:5], v[115:116], v[6:7]
	ds_read_b128 v[2:5], v1 offset:1424
	s_waitcnt vmcnt(36) lgkmcnt(1)
	v_mul_f64 v[115:116], v[109:110], v[117:118]
	v_mul_f64 v[117:118], v[111:112], v[117:118]
	s_waitcnt vmcnt(34)
	v_fma_f64 v[157:158], v[105:106], v[119:120], -v[157:158]
	v_fma_f64 v[113:114], v[107:108], v[119:120], v[113:114]
	ds_read_b128 v[105:108], v1 offset:1440
	s_waitcnt vmcnt(32) lgkmcnt(1)
	v_mul_f64 v[119:120], v[2:3], v[121:122]
	v_add_f64 v[155:156], v[155:156], 0
	v_add_f64 v[6:7], v[6:7], 0
	v_mul_f64 v[121:122], v[4:5], v[121:122]
	s_waitcnt vmcnt(30)
	v_fma_f64 v[117:118], v[109:110], v[123:124], -v[117:118]
	v_fma_f64 v[115:116], v[111:112], v[123:124], v[115:116]
	ds_read_b128 v[109:112], v1 offset:1456
	s_waitcnt vmcnt(28) lgkmcnt(1)
	v_mul_f64 v[123:124], v[107:108], v[125:126]
	s_waitcnt vmcnt(26)
	v_fma_f64 v[119:120], v[4:5], v[127:128], v[119:120]
	v_add_f64 v[155:156], v[155:156], v[157:158]
	v_add_f64 v[6:7], v[6:7], v[113:114]
	v_fma_f64 v[121:122], v[2:3], v[127:128], -v[121:122]
	v_mul_f64 v[113:114], v[105:106], v[125:126]
	s_waitcnt vmcnt(24) lgkmcnt(0)
	v_mul_f64 v[125:126], v[111:112], v[129:130]
	ds_read_b128 v[2:5], v1 offset:1472
	s_waitcnt vmcnt(22)
	v_fma_f64 v[123:124], v[105:106], v[131:132], -v[123:124]
	v_add_f64 v[117:118], v[155:156], v[117:118]
	v_add_f64 v[6:7], v[6:7], v[115:116]
	v_mul_f64 v[115:116], v[109:110], v[129:130]
	v_fma_f64 v[113:114], v[107:108], v[131:132], v[113:114]
	ds_read_b128 v[105:108], v1 offset:1488
	s_waitcnt vmcnt(18)
	v_fma_f64 v[125:126], v[109:110], v[135:136], -v[125:126]
	v_add_f64 v[117:118], v[117:118], v[121:122]
	v_add_f64 v[6:7], v[6:7], v[119:120]
	s_waitcnt lgkmcnt(1)
	v_mul_f64 v[121:122], v[4:5], v[133:134]
	v_mul_f64 v[119:120], v[2:3], v[133:134]
	v_fma_f64 v[115:116], v[111:112], v[135:136], v[115:116]
	ds_read_b128 v[109:112], v1 offset:1504
	v_add_f64 v[117:118], v[117:118], v[123:124]
	v_add_f64 v[6:7], v[6:7], v[113:114]
	s_waitcnt vmcnt(16) lgkmcnt(1)
	v_mul_f64 v[123:124], v[107:108], v[137:138]
	s_waitcnt vmcnt(14)
	v_fma_f64 v[121:122], v[2:3], v[139:140], -v[121:122]
	v_mul_f64 v[113:114], v[105:106], v[137:138]
	v_fma_f64 v[119:120], v[4:5], v[139:140], v[119:120]
	ds_read_b128 v[1:4], v1 offset:1520
	v_add_f64 v[117:118], v[117:118], v[125:126]
	v_add_f64 v[5:6], v[6:7], v[115:116]
	s_waitcnt vmcnt(12) lgkmcnt(1)
	v_mul_f64 v[115:116], v[111:112], v[141:142]
	s_waitcnt vmcnt(10)
	v_fma_f64 v[105:106], v[105:106], v[143:144], -v[123:124]
	v_mul_f64 v[7:8], v[109:110], v[141:142]
	v_fma_f64 v[107:108], v[107:108], v[143:144], v[113:114]
	s_waitcnt vmcnt(8) lgkmcnt(0)
	v_mul_f64 v[113:114], v[1:2], v[145:146]
	v_add_f64 v[117:118], v[117:118], v[121:122]
	v_add_f64 v[5:6], v[5:6], v[119:120]
	v_mul_f64 v[119:120], v[3:4], v[145:146]
	s_waitcnt vmcnt(6)
	v_fma_f64 v[109:110], v[109:110], v[147:148], -v[115:116]
	v_fma_f64 v[7:8], v[111:112], v[147:148], v[7:8]
	s_waitcnt vmcnt(4)
	v_fma_f64 v[3:4], v[3:4], v[149:150], v[113:114]
	v_add_f64 v[105:106], v[117:118], v[105:106]
	v_add_f64 v[5:6], v[5:6], v[107:108]
	v_fma_f64 v[1:2], v[1:2], v[149:150], -v[119:120]
	v_add_f64 v[105:106], v[105:106], v[109:110]
	v_add_f64 v[5:6], v[5:6], v[7:8]
	;; [unrolled: 1-line block ×4, first 2 shown]
	s_waitcnt vmcnt(2)
	v_add_f64 v[1:2], v[151:152], -v[1:2]
	s_waitcnt vmcnt(0)
	v_add_f64 v[3:4], v[153:154], -v[3:4]
	buffer_store_dword v2, off, s[0:3], 0 offset:612
	buffer_store_dword v1, off, s[0:3], 0 offset:608
	;; [unrolled: 1-line block ×4, first 2 shown]
	v_cmpx_lt_u32_e32 36, v0
	s_cbranch_execz .LBB111_229
; %bb.228:
	v_mov_b32_e32 v4, s23
	v_mov_b32_e32 v5, 0
	s_clause 0x3
	buffer_load_dword v1, v4, s[0:3], 0 offen
	buffer_load_dword v2, v4, s[0:3], 0 offen offset:4
	buffer_load_dword v3, v4, s[0:3], 0 offen offset:8
	;; [unrolled: 1-line block ×3, first 2 shown]
	buffer_store_dword v5, off, s[0:3], 0 offset:592
	buffer_store_dword v5, off, s[0:3], 0 offset:596
	;; [unrolled: 1-line block ×4, first 2 shown]
	s_waitcnt vmcnt(0)
	ds_write_b128 v165, v[1:4]
.LBB111_229:
	s_or_b32 exec_lo, exec_lo, s4
	s_waitcnt lgkmcnt(0)
	s_waitcnt_vscnt null, 0x0
	s_barrier
	buffer_gl0_inv
	s_clause 0x2f
	buffer_load_dword v6, off, s[0:3], 0 offset:616
	buffer_load_dword v7, off, s[0:3], 0 offset:620
	;; [unrolled: 1-line block ×48, first 2 shown]
	v_mov_b32_e32 v1, 0
	ds_read_b128 v[2:5], v1 offset:1360
	ds_read_b128 v[105:108], v1 offset:1376
	;; [unrolled: 1-line block ×3, first 2 shown]
	s_mov_b32 s4, exec_lo
	s_waitcnt vmcnt(46) lgkmcnt(2)
	v_mul_f64 v[159:160], v[4:5], v[6:7]
	v_mul_f64 v[6:7], v[2:3], v[6:7]
	s_waitcnt vmcnt(44) lgkmcnt(1)
	v_mul_f64 v[161:162], v[107:108], v[113:114]
	v_mul_f64 v[113:114], v[105:106], v[113:114]
	s_waitcnt vmcnt(42)
	v_fma_f64 v[159:160], v[2:3], v[115:116], -v[159:160]
	v_fma_f64 v[6:7], v[4:5], v[115:116], v[6:7]
	ds_read_b128 v[2:5], v1 offset:1408
	s_waitcnt vmcnt(40) lgkmcnt(1)
	v_mul_f64 v[115:116], v[109:110], v[117:118]
	v_mul_f64 v[117:118], v[111:112], v[117:118]
	s_waitcnt vmcnt(38)
	v_fma_f64 v[161:162], v[105:106], v[119:120], -v[161:162]
	v_fma_f64 v[113:114], v[107:108], v[119:120], v[113:114]
	ds_read_b128 v[105:108], v1 offset:1424
	s_waitcnt vmcnt(34) lgkmcnt(1)
	v_mul_f64 v[119:120], v[2:3], v[121:122]
	v_add_f64 v[159:160], v[159:160], 0
	v_add_f64 v[6:7], v[6:7], 0
	v_mul_f64 v[121:122], v[4:5], v[121:122]
	s_waitcnt vmcnt(32)
	v_fma_f64 v[117:118], v[109:110], v[127:128], -v[117:118]
	v_fma_f64 v[115:116], v[111:112], v[127:128], v[115:116]
	ds_read_b128 v[109:112], v1 offset:1440
	s_waitcnt vmcnt(29)
	v_fma_f64 v[119:120], v[4:5], v[129:130], v[119:120]
	v_add_f64 v[159:160], v[159:160], v[161:162]
	v_add_f64 v[6:7], v[6:7], v[113:114]
	s_waitcnt lgkmcnt(1)
	v_mul_f64 v[113:114], v[105:106], v[123:124]
	v_mul_f64 v[123:124], v[107:108], v[123:124]
	v_fma_f64 v[121:122], v[2:3], v[129:130], -v[121:122]
	s_waitcnt vmcnt(25) lgkmcnt(0)
	v_mul_f64 v[127:128], v[111:112], v[131:132]
	ds_read_b128 v[2:5], v1 offset:1456
	v_add_f64 v[117:118], v[159:160], v[117:118]
	v_add_f64 v[6:7], v[6:7], v[115:116]
	v_mul_f64 v[115:116], v[109:110], v[131:132]
	s_waitcnt vmcnt(24)
	v_fma_f64 v[123:124], v[105:106], v[125:126], -v[123:124]
	v_fma_f64 v[113:114], v[107:108], v[125:126], v[113:114]
	ds_read_b128 v[105:108], v1 offset:1472
	s_waitcnt vmcnt(21)
	v_fma_f64 v[125:126], v[109:110], v[137:138], -v[127:128]
	v_add_f64 v[117:118], v[117:118], v[121:122]
	v_add_f64 v[6:7], v[6:7], v[119:120]
	s_waitcnt lgkmcnt(1)
	v_mul_f64 v[121:122], v[4:5], v[133:134]
	v_mul_f64 v[119:120], v[2:3], v[133:134]
	v_fma_f64 v[115:116], v[111:112], v[137:138], v[115:116]
	ds_read_b128 v[109:112], v1 offset:1488
	v_add_f64 v[117:118], v[117:118], v[123:124]
	v_add_f64 v[6:7], v[6:7], v[113:114]
	s_waitcnt vmcnt(17) lgkmcnt(1)
	v_mul_f64 v[123:124], v[107:108], v[139:140]
	s_waitcnt vmcnt(16)
	v_fma_f64 v[121:122], v[2:3], v[135:136], -v[121:122]
	v_mul_f64 v[113:114], v[105:106], v[139:140]
	v_fma_f64 v[119:120], v[4:5], v[135:136], v[119:120]
	ds_read_b128 v[2:5], v1 offset:1504
	v_add_f64 v[117:118], v[117:118], v[125:126]
	v_add_f64 v[6:7], v[6:7], v[115:116]
	s_waitcnt vmcnt(15) lgkmcnt(1)
	v_mul_f64 v[125:126], v[111:112], v[141:142]
	s_waitcnt vmcnt(13)
	v_fma_f64 v[123:124], v[105:106], v[145:146], -v[123:124]
	;; [unrolled: 9-line block ×3, first 2 shown]
	v_mul_f64 v[119:120], v[2:3], v[147:148]
	v_fma_f64 v[111:112], v[111:112], v[143:144], v[115:116]
	s_waitcnt vmcnt(7) lgkmcnt(0)
	v_mul_f64 v[115:116], v[107:108], v[149:150]
	v_add_f64 v[117:118], v[117:118], v[123:124]
	v_add_f64 v[6:7], v[6:7], v[113:114]
	s_waitcnt vmcnt(5)
	v_fma_f64 v[2:3], v[2:3], v[153:154], -v[121:122]
	v_mul_f64 v[113:114], v[105:106], v[149:150]
	v_fma_f64 v[4:5], v[4:5], v[153:154], v[119:120]
	s_waitcnt vmcnt(4)
	v_fma_f64 v[105:106], v[105:106], v[151:152], -v[115:116]
	v_add_f64 v[109:110], v[117:118], v[109:110]
	v_add_f64 v[6:7], v[6:7], v[111:112]
	v_fma_f64 v[107:108], v[107:108], v[151:152], v[113:114]
	v_add_f64 v[2:3], v[109:110], v[2:3]
	v_add_f64 v[4:5], v[6:7], v[4:5]
	;; [unrolled: 1-line block ×4, first 2 shown]
	s_waitcnt vmcnt(2)
	v_add_f64 v[2:3], v[155:156], -v[2:3]
	s_waitcnt vmcnt(0)
	v_add_f64 v[4:5], v[157:158], -v[4:5]
	buffer_store_dword v3, off, s[0:3], 0 offset:596
	buffer_store_dword v2, off, s[0:3], 0 offset:592
	;; [unrolled: 1-line block ×4, first 2 shown]
	v_cmpx_lt_u32_e32 35, v0
	s_cbranch_execz .LBB111_231
; %bb.230:
	v_mov_b32_e32 v5, s24
	s_clause 0x3
	buffer_load_dword v2, v5, s[0:3], 0 offen
	buffer_load_dword v3, v5, s[0:3], 0 offen offset:4
	buffer_load_dword v4, v5, s[0:3], 0 offen offset:8
	buffer_load_dword v5, v5, s[0:3], 0 offen offset:12
	buffer_store_dword v1, off, s[0:3], 0 offset:576
	buffer_store_dword v1, off, s[0:3], 0 offset:580
	;; [unrolled: 1-line block ×4, first 2 shown]
	s_waitcnt vmcnt(0)
	ds_write_b128 v165, v[2:5]
.LBB111_231:
	s_or_b32 exec_lo, exec_lo, s4
	s_waitcnt lgkmcnt(0)
	s_waitcnt_vscnt null, 0x0
	s_barrier
	buffer_gl0_inv
	s_clause 0x2f
	buffer_load_dword v6, off, s[0:3], 0 offset:600
	buffer_load_dword v7, off, s[0:3], 0 offset:604
	;; [unrolled: 1-line block ×48, first 2 shown]
	ds_read_b128 v[2:5], v1 offset:1344
	s_clause 0x3
	buffer_load_dword v159, off, s[0:3], 0 offset:576
	buffer_load_dword v160, off, s[0:3], 0 offset:580
	buffer_load_dword v161, off, s[0:3], 0 offset:584
	buffer_load_dword v162, off, s[0:3], 0 offset:588
	ds_read_b128 v[105:108], v1 offset:1360
	ds_read_b128 v[109:112], v1 offset:1376
	s_mov_b32 s4, exec_lo
	s_waitcnt vmcnt(50) lgkmcnt(2)
	v_mul_f64 v[163:164], v[4:5], v[6:7]
	v_mul_f64 v[6:7], v[2:3], v[6:7]
	s_waitcnt vmcnt(48) lgkmcnt(1)
	v_mul_f64 v[166:167], v[107:108], v[113:114]
	v_mul_f64 v[113:114], v[105:106], v[113:114]
	s_waitcnt vmcnt(46)
	v_fma_f64 v[163:164], v[2:3], v[115:116], -v[163:164]
	v_fma_f64 v[6:7], v[4:5], v[115:116], v[6:7]
	s_waitcnt vmcnt(44) lgkmcnt(0)
	v_mul_f64 v[115:116], v[109:110], v[117:118]
	v_mul_f64 v[117:118], v[111:112], v[117:118]
	s_waitcnt vmcnt(42)
	v_fma_f64 v[166:167], v[105:106], v[119:120], -v[166:167]
	ds_read_b128 v[2:5], v1 offset:1392
	v_fma_f64 v[113:114], v[107:108], v[119:120], v[113:114]
	ds_read_b128 v[105:108], v1 offset:1408
	v_add_f64 v[163:164], v[163:164], 0
	v_add_f64 v[6:7], v[6:7], 0
	s_waitcnt vmcnt(36)
	v_fma_f64 v[115:116], v[111:112], v[127:128], v[115:116]
	s_waitcnt lgkmcnt(1)
	v_mul_f64 v[119:120], v[2:3], v[121:122]
	v_mul_f64 v[121:122], v[4:5], v[121:122]
	v_fma_f64 v[117:118], v[109:110], v[127:128], -v[117:118]
	ds_read_b128 v[109:112], v1 offset:1424
	v_add_f64 v[163:164], v[163:164], v[166:167]
	v_add_f64 v[6:7], v[6:7], v[113:114]
	s_waitcnt vmcnt(35) lgkmcnt(1)
	v_mul_f64 v[113:114], v[105:106], v[123:124]
	v_mul_f64 v[123:124], v[107:108], v[123:124]
	s_waitcnt vmcnt(33)
	v_fma_f64 v[121:122], v[2:3], v[129:130], -v[121:122]
	v_fma_f64 v[119:120], v[4:5], v[129:130], v[119:120]
	ds_read_b128 v[2:5], v1 offset:1440
	s_waitcnt vmcnt(29) lgkmcnt(1)
	v_mul_f64 v[127:128], v[111:112], v[131:132]
	v_add_f64 v[117:118], v[163:164], v[117:118]
	v_add_f64 v[6:7], v[6:7], v[115:116]
	v_mul_f64 v[115:116], v[109:110], v[131:132]
	s_waitcnt vmcnt(28)
	v_fma_f64 v[123:124], v[105:106], v[125:126], -v[123:124]
	v_fma_f64 v[113:114], v[107:108], v[125:126], v[113:114]
	ds_read_b128 v[105:108], v1 offset:1456
	s_waitcnt vmcnt(25)
	v_fma_f64 v[125:126], v[109:110], v[137:138], -v[127:128]
	v_add_f64 v[117:118], v[117:118], v[121:122]
	v_add_f64 v[6:7], v[6:7], v[119:120]
	s_waitcnt lgkmcnt(1)
	v_mul_f64 v[121:122], v[4:5], v[133:134]
	v_mul_f64 v[119:120], v[2:3], v[133:134]
	v_fma_f64 v[115:116], v[111:112], v[137:138], v[115:116]
	ds_read_b128 v[109:112], v1 offset:1472
	v_add_f64 v[117:118], v[117:118], v[123:124]
	v_add_f64 v[6:7], v[6:7], v[113:114]
	s_waitcnt vmcnt(21) lgkmcnt(1)
	v_mul_f64 v[123:124], v[107:108], v[139:140]
	s_waitcnt vmcnt(20)
	v_fma_f64 v[121:122], v[2:3], v[135:136], -v[121:122]
	v_mul_f64 v[113:114], v[105:106], v[139:140]
	v_fma_f64 v[119:120], v[4:5], v[135:136], v[119:120]
	ds_read_b128 v[2:5], v1 offset:1488
	v_add_f64 v[117:118], v[117:118], v[125:126]
	v_add_f64 v[6:7], v[6:7], v[115:116]
	s_waitcnt vmcnt(19) lgkmcnt(1)
	v_mul_f64 v[125:126], v[111:112], v[141:142]
	s_waitcnt vmcnt(17)
	v_fma_f64 v[123:124], v[105:106], v[145:146], -v[123:124]
	v_mul_f64 v[115:116], v[109:110], v[141:142]
	v_fma_f64 v[113:114], v[107:108], v[145:146], v[113:114]
	ds_read_b128 v[105:108], v1 offset:1504
	v_add_f64 v[117:118], v[117:118], v[121:122]
	v_add_f64 v[6:7], v[6:7], v[119:120]
	s_waitcnt vmcnt(13) lgkmcnt(1)
	v_mul_f64 v[121:122], v[4:5], v[147:148]
	s_waitcnt vmcnt(12)
	v_fma_f64 v[125:126], v[109:110], v[143:144], -v[125:126]
	v_mul_f64 v[119:120], v[2:3], v[147:148]
	v_fma_f64 v[115:116], v[111:112], v[143:144], v[115:116]
	ds_read_b128 v[109:112], v1 offset:1520
	v_add_f64 v[117:118], v[117:118], v[123:124]
	v_add_f64 v[6:7], v[6:7], v[113:114]
	s_waitcnt vmcnt(11) lgkmcnt(1)
	v_mul_f64 v[123:124], v[107:108], v[149:150]
	s_waitcnt vmcnt(9)
	v_fma_f64 v[1:2], v[2:3], v[153:154], -v[121:122]
	v_mul_f64 v[113:114], v[105:106], v[149:150]
	v_fma_f64 v[3:4], v[4:5], v[153:154], v[119:120]
	v_add_f64 v[117:118], v[117:118], v[125:126]
	v_add_f64 v[5:6], v[6:7], v[115:116]
	s_waitcnt vmcnt(7) lgkmcnt(0)
	v_mul_f64 v[115:116], v[111:112], v[155:156]
	s_waitcnt vmcnt(6)
	v_fma_f64 v[105:106], v[105:106], v[151:152], -v[123:124]
	v_mul_f64 v[7:8], v[109:110], v[155:156]
	v_fma_f64 v[107:108], v[107:108], v[151:152], v[113:114]
	v_add_f64 v[1:2], v[117:118], v[1:2]
	v_add_f64 v[3:4], v[5:6], v[3:4]
	s_waitcnt vmcnt(4)
	v_fma_f64 v[5:6], v[109:110], v[157:158], -v[115:116]
	v_fma_f64 v[7:8], v[111:112], v[157:158], v[7:8]
	v_add_f64 v[1:2], v[1:2], v[105:106]
	v_add_f64 v[3:4], v[3:4], v[107:108]
	;; [unrolled: 1-line block ×4, first 2 shown]
	s_waitcnt vmcnt(2)
	v_add_f64 v[1:2], v[159:160], -v[1:2]
	s_waitcnt vmcnt(0)
	v_add_f64 v[3:4], v[161:162], -v[3:4]
	buffer_store_dword v2, off, s[0:3], 0 offset:580
	buffer_store_dword v1, off, s[0:3], 0 offset:576
	;; [unrolled: 1-line block ×4, first 2 shown]
	v_cmpx_lt_u32_e32 34, v0
	s_cbranch_execz .LBB111_233
; %bb.232:
	v_mov_b32_e32 v4, s25
	v_mov_b32_e32 v5, 0
	s_clause 0x3
	buffer_load_dword v1, v4, s[0:3], 0 offen
	buffer_load_dword v2, v4, s[0:3], 0 offen offset:4
	buffer_load_dword v3, v4, s[0:3], 0 offen offset:8
	;; [unrolled: 1-line block ×3, first 2 shown]
	buffer_store_dword v5, off, s[0:3], 0 offset:560
	buffer_store_dword v5, off, s[0:3], 0 offset:564
	;; [unrolled: 1-line block ×4, first 2 shown]
	s_waitcnt vmcnt(0)
	ds_write_b128 v165, v[1:4]
.LBB111_233:
	s_or_b32 exec_lo, exec_lo, s4
	s_waitcnt lgkmcnt(0)
	s_waitcnt_vscnt null, 0x0
	s_barrier
	buffer_gl0_inv
	s_clause 0x33
	buffer_load_dword v6, off, s[0:3], 0 offset:584
	buffer_load_dword v7, off, s[0:3], 0 offset:588
	;; [unrolled: 1-line block ×52, first 2 shown]
	v_mov_b32_e32 v1, 0
	ds_read_b128 v[2:5], v1 offset:1328
	ds_read_b128 v[105:108], v1 offset:1344
	s_clause 0x3
	buffer_load_dword v166, off, s[0:3], 0 offset:560
	buffer_load_dword v167, off, s[0:3], 0 offset:564
	;; [unrolled: 1-line block ×4, first 2 shown]
	ds_read_b128 v[109:112], v1 offset:1360
	s_mov_b32 s4, exec_lo
	s_waitcnt vmcnt(54) lgkmcnt(2)
	v_mul_f64 v[163:164], v[4:5], v[6:7]
	v_mul_f64 v[6:7], v[2:3], v[6:7]
	s_waitcnt vmcnt(52) lgkmcnt(1)
	v_mul_f64 v[170:171], v[107:108], v[113:114]
	v_mul_f64 v[113:114], v[105:106], v[113:114]
	s_waitcnt vmcnt(50)
	v_fma_f64 v[163:164], v[2:3], v[115:116], -v[163:164]
	v_fma_f64 v[6:7], v[4:5], v[115:116], v[6:7]
	ds_read_b128 v[2:5], v1 offset:1376
	s_waitcnt vmcnt(48) lgkmcnt(1)
	v_mul_f64 v[115:116], v[109:110], v[117:118]
	v_mul_f64 v[117:118], v[111:112], v[117:118]
	s_waitcnt vmcnt(46)
	v_fma_f64 v[170:171], v[105:106], v[119:120], -v[170:171]
	v_fma_f64 v[113:114], v[107:108], v[119:120], v[113:114]
	ds_read_b128 v[105:108], v1 offset:1392
	s_waitcnt vmcnt(42) lgkmcnt(1)
	v_mul_f64 v[119:120], v[2:3], v[121:122]
	v_add_f64 v[163:164], v[163:164], 0
	v_add_f64 v[6:7], v[6:7], 0
	v_mul_f64 v[121:122], v[4:5], v[121:122]
	s_waitcnt vmcnt(40)
	v_fma_f64 v[117:118], v[109:110], v[127:128], -v[117:118]
	v_fma_f64 v[115:116], v[111:112], v[127:128], v[115:116]
	ds_read_b128 v[109:112], v1 offset:1408
	s_waitcnt vmcnt(37)
	v_fma_f64 v[119:120], v[4:5], v[129:130], v[119:120]
	v_add_f64 v[163:164], v[163:164], v[170:171]
	v_add_f64 v[6:7], v[6:7], v[113:114]
	s_waitcnt lgkmcnt(1)
	v_mul_f64 v[113:114], v[105:106], v[123:124]
	v_mul_f64 v[123:124], v[107:108], v[123:124]
	v_fma_f64 v[121:122], v[2:3], v[129:130], -v[121:122]
	s_waitcnt vmcnt(33) lgkmcnt(0)
	v_mul_f64 v[127:128], v[111:112], v[131:132]
	ds_read_b128 v[2:5], v1 offset:1424
	v_add_f64 v[117:118], v[163:164], v[117:118]
	v_add_f64 v[6:7], v[6:7], v[115:116]
	v_mul_f64 v[115:116], v[109:110], v[131:132]
	s_waitcnt vmcnt(32)
	v_fma_f64 v[123:124], v[105:106], v[125:126], -v[123:124]
	v_fma_f64 v[113:114], v[107:108], v[125:126], v[113:114]
	ds_read_b128 v[105:108], v1 offset:1440
	s_waitcnt vmcnt(29)
	v_fma_f64 v[125:126], v[109:110], v[137:138], -v[127:128]
	v_add_f64 v[117:118], v[117:118], v[121:122]
	v_add_f64 v[6:7], v[6:7], v[119:120]
	s_waitcnt lgkmcnt(1)
	v_mul_f64 v[121:122], v[4:5], v[133:134]
	v_mul_f64 v[119:120], v[2:3], v[133:134]
	v_fma_f64 v[115:116], v[111:112], v[137:138], v[115:116]
	ds_read_b128 v[109:112], v1 offset:1456
	v_add_f64 v[117:118], v[117:118], v[123:124]
	v_add_f64 v[6:7], v[6:7], v[113:114]
	s_waitcnt vmcnt(25) lgkmcnt(1)
	v_mul_f64 v[123:124], v[107:108], v[139:140]
	s_waitcnt vmcnt(24)
	v_fma_f64 v[121:122], v[2:3], v[135:136], -v[121:122]
	v_mul_f64 v[113:114], v[105:106], v[139:140]
	v_fma_f64 v[119:120], v[4:5], v[135:136], v[119:120]
	ds_read_b128 v[2:5], v1 offset:1472
	v_add_f64 v[117:118], v[117:118], v[125:126]
	v_add_f64 v[6:7], v[6:7], v[115:116]
	s_waitcnt vmcnt(23) lgkmcnt(1)
	v_mul_f64 v[125:126], v[111:112], v[141:142]
	s_waitcnt vmcnt(21)
	v_fma_f64 v[123:124], v[105:106], v[145:146], -v[123:124]
	;; [unrolled: 9-line block ×5, first 2 shown]
	v_mul_f64 v[115:116], v[109:110], v[155:156]
	v_fma_f64 v[107:108], v[107:108], v[151:152], v[113:114]
	s_waitcnt vmcnt(7) lgkmcnt(0)
	v_mul_f64 v[113:114], v[2:3], v[157:158]
	v_add_f64 v[117:118], v[117:118], v[121:122]
	v_add_f64 v[6:7], v[6:7], v[119:120]
	v_mul_f64 v[119:120], v[4:5], v[157:158]
	s_waitcnt vmcnt(5)
	v_fma_f64 v[109:110], v[109:110], v[161:162], -v[125:126]
	v_fma_f64 v[111:112], v[111:112], v[161:162], v[115:116]
	s_waitcnt vmcnt(4)
	v_fma_f64 v[4:5], v[4:5], v[159:160], v[113:114]
	v_add_f64 v[105:106], v[117:118], v[105:106]
	v_add_f64 v[6:7], v[6:7], v[107:108]
	v_fma_f64 v[2:3], v[2:3], v[159:160], -v[119:120]
	v_add_f64 v[105:106], v[105:106], v[109:110]
	v_add_f64 v[6:7], v[6:7], v[111:112]
	;; [unrolled: 1-line block ×4, first 2 shown]
	s_waitcnt vmcnt(2)
	v_add_f64 v[2:3], v[166:167], -v[2:3]
	s_waitcnt vmcnt(0)
	v_add_f64 v[4:5], v[168:169], -v[4:5]
	buffer_store_dword v3, off, s[0:3], 0 offset:564
	buffer_store_dword v2, off, s[0:3], 0 offset:560
	buffer_store_dword v5, off, s[0:3], 0 offset:572
	buffer_store_dword v4, off, s[0:3], 0 offset:568
	v_cmpx_lt_u32_e32 33, v0
	s_cbranch_execz .LBB111_235
; %bb.234:
	v_mov_b32_e32 v5, s26
	s_clause 0x3
	buffer_load_dword v2, v5, s[0:3], 0 offen
	buffer_load_dword v3, v5, s[0:3], 0 offen offset:4
	buffer_load_dword v4, v5, s[0:3], 0 offen offset:8
	;; [unrolled: 1-line block ×3, first 2 shown]
	buffer_store_dword v1, off, s[0:3], 0 offset:544
	buffer_store_dword v1, off, s[0:3], 0 offset:548
	;; [unrolled: 1-line block ×4, first 2 shown]
	s_waitcnt vmcnt(0)
	ds_write_b128 v165, v[2:5]
.LBB111_235:
	s_or_b32 exec_lo, exec_lo, s4
	s_waitcnt lgkmcnt(0)
	s_waitcnt_vscnt null, 0x0
	s_barrier
	buffer_gl0_inv
	s_clause 0x35
	buffer_load_dword v6, off, s[0:3], 0 offset:568
	buffer_load_dword v7, off, s[0:3], 0 offset:572
	;; [unrolled: 1-line block ×54, first 2 shown]
	ds_read_b128 v[2:5], v1 offset:1312
	s_clause 0x1
	buffer_load_dword v167, off, s[0:3], 0 offset:772
	buffer_load_dword v166, off, s[0:3], 0 offset:768
	ds_read_b128 v[105:108], v1 offset:1328
	ds_read_b128 v[109:112], v1 offset:1344
	s_mov_b32 s4, exec_lo
	s_waitcnt vmcnt(54) lgkmcnt(2)
	v_mul_f64 v[168:169], v[4:5], v[6:7]
	v_mul_f64 v[6:7], v[2:3], v[6:7]
	s_waitcnt vmcnt(52) lgkmcnt(1)
	v_mul_f64 v[170:171], v[107:108], v[113:114]
	v_mul_f64 v[113:114], v[105:106], v[113:114]
	;; [unrolled: 3-line block ×3, first 2 shown]
	v_fma_f64 v[168:169], v[2:3], v[115:116], -v[168:169]
	v_fma_f64 v[6:7], v[4:5], v[115:116], v[6:7]
	s_clause 0x3
	buffer_load_dword v115, off, s[0:3], 0 offset:544
	buffer_load_dword v116, off, s[0:3], 0 offset:548
	;; [unrolled: 1-line block ×4, first 2 shown]
	s_waitcnt vmcnt(50)
	v_fma_f64 v[170:171], v[105:106], v[119:120], -v[170:171]
	ds_read_b128 v[2:5], v1 offset:1360
	v_fma_f64 v[113:114], v[107:108], v[119:120], v[113:114]
	ds_read_b128 v[105:108], v1 offset:1376
	s_waitcnt vmcnt(44)
	v_fma_f64 v[117:118], v[109:110], v[127:128], -v[117:118]
	v_fma_f64 v[127:128], v[111:112], v[127:128], v[174:175]
	ds_read_b128 v[109:112], v1 offset:1392
	v_add_f64 v[168:169], v[168:169], 0
	v_add_f64 v[6:7], v[6:7], 0
	s_waitcnt lgkmcnt(2)
	v_mul_f64 v[119:120], v[2:3], v[121:122]
	v_mul_f64 v[121:122], v[4:5], v[121:122]
	v_add_f64 v[168:169], v[168:169], v[170:171]
	v_add_f64 v[6:7], v[6:7], v[113:114]
	s_waitcnt vmcnt(43) lgkmcnt(1)
	v_mul_f64 v[113:114], v[105:106], v[123:124]
	v_mul_f64 v[123:124], v[107:108], v[123:124]
	s_waitcnt vmcnt(41)
	v_fma_f64 v[121:122], v[2:3], v[129:130], -v[121:122]
	v_fma_f64 v[119:120], v[4:5], v[129:130], v[119:120]
	ds_read_b128 v[2:5], v1 offset:1408
	s_waitcnt vmcnt(37) lgkmcnt(1)
	v_mul_f64 v[129:130], v[111:112], v[131:132]
	v_add_f64 v[117:118], v[168:169], v[117:118]
	v_add_f64 v[6:7], v[6:7], v[127:128]
	v_mul_f64 v[127:128], v[109:110], v[131:132]
	s_waitcnt vmcnt(36)
	v_fma_f64 v[123:124], v[105:106], v[125:126], -v[123:124]
	v_fma_f64 v[113:114], v[107:108], v[125:126], v[113:114]
	ds_read_b128 v[105:108], v1 offset:1424
	s_waitcnt vmcnt(33)
	v_fma_f64 v[125:126], v[109:110], v[137:138], -v[129:130]
	v_add_f64 v[117:118], v[117:118], v[121:122]
	v_add_f64 v[6:7], v[6:7], v[119:120]
	s_waitcnt lgkmcnt(1)
	v_mul_f64 v[121:122], v[4:5], v[133:134]
	v_mul_f64 v[119:120], v[2:3], v[133:134]
	v_add_f64 v[117:118], v[117:118], v[123:124]
	v_fma_f64 v[123:124], v[111:112], v[137:138], v[127:128]
	v_add_f64 v[6:7], v[6:7], v[113:114]
	ds_read_b128 v[109:112], v1 offset:1440
	s_waitcnt vmcnt(29) lgkmcnt(1)
	v_mul_f64 v[127:128], v[107:108], v[139:140]
	s_waitcnt vmcnt(28)
	v_fma_f64 v[121:122], v[2:3], v[135:136], -v[121:122]
	v_mul_f64 v[113:114], v[105:106], v[139:140]
	v_fma_f64 v[119:120], v[4:5], v[135:136], v[119:120]
	ds_read_b128 v[2:5], v1 offset:1456
	v_add_f64 v[117:118], v[117:118], v[125:126]
	s_waitcnt vmcnt(27) lgkmcnt(1)
	v_mul_f64 v[125:126], v[111:112], v[141:142]
	v_add_f64 v[6:7], v[6:7], v[123:124]
	v_mul_f64 v[123:124], v[109:110], v[141:142]
	s_waitcnt vmcnt(25)
	v_fma_f64 v[127:128], v[105:106], v[145:146], -v[127:128]
	v_fma_f64 v[113:114], v[107:108], v[145:146], v[113:114]
	ds_read_b128 v[105:108], v1 offset:1472
	v_add_f64 v[117:118], v[117:118], v[121:122]
	s_waitcnt vmcnt(21) lgkmcnt(1)
	v_mul_f64 v[121:122], v[4:5], v[147:148]
	v_add_f64 v[6:7], v[6:7], v[119:120]
	s_waitcnt vmcnt(20)
	v_fma_f64 v[125:126], v[109:110], v[143:144], -v[125:126]
	v_mul_f64 v[119:120], v[2:3], v[147:148]
	v_fma_f64 v[123:124], v[111:112], v[143:144], v[123:124]
	ds_read_b128 v[109:112], v1 offset:1488
	v_add_f64 v[117:118], v[117:118], v[127:128]
	s_waitcnt vmcnt(19) lgkmcnt(1)
	v_mul_f64 v[127:128], v[107:108], v[149:150]
	v_add_f64 v[6:7], v[6:7], v[113:114]
	s_waitcnt vmcnt(17)
	v_fma_f64 v[121:122], v[2:3], v[153:154], -v[121:122]
	v_mul_f64 v[113:114], v[105:106], v[149:150]
	;; [unrolled: 9-line block ×4, first 2 shown]
	v_fma_f64 v[111:112], v[111:112], v[161:162], v[123:124]
	s_waitcnt vmcnt(7) lgkmcnt(0)
	v_mul_f64 v[123:124], v[107:108], v[163:164]
	v_add_f64 v[117:118], v[117:118], v[127:128]
	s_waitcnt vmcnt(6)
	v_fma_f64 v[1:2], v[2:3], v[159:160], -v[121:122]
	v_add_f64 v[6:7], v[6:7], v[113:114]
	v_mul_f64 v[113:114], v[105:106], v[163:164]
	v_fma_f64 v[3:4], v[4:5], v[159:160], v[119:120]
	v_add_f64 v[109:110], v[117:118], v[109:110]
	v_add_f64 v[5:6], v[6:7], v[111:112]
	s_waitcnt vmcnt(4)
	v_fma_f64 v[7:8], v[105:106], v[166:167], -v[123:124]
	v_fma_f64 v[105:106], v[107:108], v[166:167], v[113:114]
	v_add_f64 v[1:2], v[109:110], v[1:2]
	v_add_f64 v[3:4], v[5:6], v[3:4]
	;; [unrolled: 1-line block ×4, first 2 shown]
	s_waitcnt vmcnt(2)
	v_add_f64 v[1:2], v[115:116], -v[1:2]
	s_waitcnt vmcnt(0)
	v_add_f64 v[3:4], v[172:173], -v[3:4]
	buffer_store_dword v2, off, s[0:3], 0 offset:548
	buffer_store_dword v1, off, s[0:3], 0 offset:544
	;; [unrolled: 1-line block ×4, first 2 shown]
	v_cmpx_lt_u32_e32 32, v0
	s_cbranch_execz .LBB111_237
; %bb.236:
	v_mov_b32_e32 v4, s27
	v_mov_b32_e32 v5, 0
	s_clause 0x3
	buffer_load_dword v1, v4, s[0:3], 0 offen
	buffer_load_dword v2, v4, s[0:3], 0 offen offset:4
	buffer_load_dword v3, v4, s[0:3], 0 offen offset:8
	;; [unrolled: 1-line block ×3, first 2 shown]
	buffer_store_dword v5, off, s[0:3], 0 offset:528
	buffer_store_dword v5, off, s[0:3], 0 offset:532
	;; [unrolled: 1-line block ×4, first 2 shown]
	s_waitcnt vmcnt(0)
	ds_write_b128 v165, v[1:4]
.LBB111_237:
	s_or_b32 exec_lo, exec_lo, s4
	s_waitcnt lgkmcnt(0)
	s_waitcnt_vscnt null, 0x0
	s_barrier
	buffer_gl0_inv
	s_clause 0x37
	buffer_load_dword v6, off, s[0:3], 0 offset:552
	buffer_load_dword v7, off, s[0:3], 0 offset:556
	;; [unrolled: 1-line block ×56, first 2 shown]
	v_mov_b32_e32 v1, 0
	s_mov_b32 s4, exec_lo
	ds_read_b128 v[2:5], v1 offset:1296
	s_clause 0x2
	buffer_load_dword v167, off, s[0:3], 0 offset:780
	buffer_load_dword v171, off, s[0:3], 0 offset:756
	;; [unrolled: 1-line block ×3, first 2 shown]
	ds_read_b128 v[105:108], v1 offset:1312
	ds_read_b128 v[109:112], v1 offset:1328
	buffer_load_dword v169, off, s[0:3], 0 offset:772
	s_waitcnt vmcnt(58) lgkmcnt(2)
	v_mul_f64 v[172:173], v[4:5], v[6:7]
	v_mul_f64 v[6:7], v[2:3], v[6:7]
	s_waitcnt vmcnt(56) lgkmcnt(1)
	v_mul_f64 v[174:175], v[107:108], v[113:114]
	v_mul_f64 v[113:114], v[105:106], v[113:114]
	s_waitcnt vmcnt(54)
	v_fma_f64 v[172:173], v[2:3], v[115:116], -v[172:173]
	v_fma_f64 v[6:7], v[4:5], v[115:116], v[6:7]
	s_waitcnt vmcnt(52) lgkmcnt(0)
	v_mul_f64 v[115:116], v[109:110], v[117:118]
	v_mul_f64 v[117:118], v[111:112], v[117:118]
	s_waitcnt vmcnt(50)
	v_fma_f64 v[174:175], v[105:106], v[119:120], -v[174:175]
	ds_read_b128 v[2:5], v1 offset:1344
	v_fma_f64 v[113:114], v[107:108], v[119:120], v[113:114]
	s_clause 0x3
	buffer_load_dword v119, off, s[0:3], 0 offset:528
	buffer_load_dword v120, off, s[0:3], 0 offset:532
	;; [unrolled: 1-line block ×4, first 2 shown]
	ds_read_b128 v[105:108], v1 offset:1360
	v_add_f64 v[172:173], v[172:173], 0
	v_add_f64 v[6:7], v[6:7], 0
	s_waitcnt vmcnt(48)
	v_fma_f64 v[115:116], v[111:112], v[127:128], v[115:116]
	s_waitcnt lgkmcnt(1)
	v_mul_f64 v[178:179], v[2:3], v[121:122]
	v_mul_f64 v[121:122], v[4:5], v[121:122]
	v_fma_f64 v[117:118], v[109:110], v[127:128], -v[117:118]
	ds_read_b128 v[109:112], v1 offset:1376
	v_add_f64 v[172:173], v[172:173], v[174:175]
	v_add_f64 v[6:7], v[6:7], v[113:114]
	s_waitcnt vmcnt(47) lgkmcnt(1)
	v_mul_f64 v[113:114], v[105:106], v[123:124]
	v_mul_f64 v[123:124], v[107:108], v[123:124]
	s_waitcnt vmcnt(45)
	v_fma_f64 v[121:122], v[2:3], v[129:130], -v[121:122]
	v_fma_f64 v[127:128], v[4:5], v[129:130], v[178:179]
	s_waitcnt vmcnt(41) lgkmcnt(0)
	v_mul_f64 v[129:130], v[111:112], v[131:132]
	ds_read_b128 v[2:5], v1 offset:1392
	v_add_f64 v[117:118], v[172:173], v[117:118]
	v_add_f64 v[6:7], v[6:7], v[115:116]
	v_mul_f64 v[115:116], v[109:110], v[131:132]
	s_waitcnt vmcnt(40)
	v_fma_f64 v[123:124], v[105:106], v[125:126], -v[123:124]
	v_fma_f64 v[113:114], v[107:108], v[125:126], v[113:114]
	ds_read_b128 v[105:108], v1 offset:1408
	s_waitcnt vmcnt(39) lgkmcnt(1)
	v_mul_f64 v[125:126], v[4:5], v[133:134]
	v_add_f64 v[117:118], v[117:118], v[121:122]
	v_add_f64 v[6:7], v[6:7], v[127:128]
	s_waitcnt vmcnt(37)
	v_fma_f64 v[127:128], v[109:110], v[137:138], -v[129:130]
	v_mul_f64 v[121:122], v[2:3], v[133:134]
	v_fma_f64 v[115:116], v[111:112], v[137:138], v[115:116]
	ds_read_b128 v[109:112], v1 offset:1424
	s_waitcnt vmcnt(32)
	v_fma_f64 v[125:126], v[2:3], v[135:136], -v[125:126]
	v_add_f64 v[117:118], v[117:118], v[123:124]
	v_add_f64 v[6:7], v[6:7], v[113:114]
	s_waitcnt lgkmcnt(1)
	v_mul_f64 v[123:124], v[107:108], v[139:140]
	v_mul_f64 v[113:114], v[105:106], v[139:140]
	v_fma_f64 v[121:122], v[4:5], v[135:136], v[121:122]
	ds_read_b128 v[2:5], v1 offset:1440
	v_add_f64 v[117:118], v[117:118], v[127:128]
	v_add_f64 v[6:7], v[6:7], v[115:116]
	s_waitcnt vmcnt(31) lgkmcnt(1)
	v_mul_f64 v[127:128], v[111:112], v[141:142]
	s_waitcnt vmcnt(29)
	v_fma_f64 v[123:124], v[105:106], v[145:146], -v[123:124]
	v_mul_f64 v[115:116], v[109:110], v[141:142]
	v_fma_f64 v[113:114], v[107:108], v[145:146], v[113:114]
	ds_read_b128 v[105:108], v1 offset:1456
	v_add_f64 v[117:118], v[117:118], v[125:126]
	v_add_f64 v[6:7], v[6:7], v[121:122]
	s_waitcnt vmcnt(25) lgkmcnt(1)
	v_mul_f64 v[125:126], v[4:5], v[147:148]
	s_waitcnt vmcnt(24)
	v_fma_f64 v[127:128], v[109:110], v[143:144], -v[127:128]
	;; [unrolled: 9-line block ×6, first 2 shown]
	v_mul_f64 v[113:114], v[105:106], v[163:164]
	v_fma_f64 v[4:5], v[4:5], v[159:160], v[121:122]
	s_waitcnt vmcnt(7) lgkmcnt(0)
	v_mul_f64 v[121:122], v[111:112], v[166:167]
	v_add_f64 v[117:118], v[117:118], v[127:128]
	v_add_f64 v[6:7], v[6:7], v[115:116]
	s_waitcnt vmcnt(5)
	v_fma_f64 v[105:106], v[105:106], v[170:171], -v[123:124]
	v_mul_f64 v[115:116], v[109:110], v[166:167]
	v_fma_f64 v[107:108], v[107:108], v[170:171], v[113:114]
	v_add_f64 v[2:3], v[117:118], v[2:3]
	v_add_f64 v[4:5], v[6:7], v[4:5]
	s_waitcnt vmcnt(4)
	v_fma_f64 v[6:7], v[109:110], v[168:169], -v[121:122]
	v_add_f64 v[2:3], v[2:3], v[105:106]
	v_fma_f64 v[105:106], v[111:112], v[168:169], v[115:116]
	v_add_f64 v[4:5], v[4:5], v[107:108]
	v_add_f64 v[2:3], v[2:3], v[6:7]
	;; [unrolled: 1-line block ×3, first 2 shown]
	s_waitcnt vmcnt(2)
	v_add_f64 v[2:3], v[119:120], -v[2:3]
	s_waitcnt vmcnt(0)
	v_add_f64 v[4:5], v[176:177], -v[4:5]
	buffer_store_dword v3, off, s[0:3], 0 offset:532
	buffer_store_dword v2, off, s[0:3], 0 offset:528
	;; [unrolled: 1-line block ×4, first 2 shown]
	v_cmpx_lt_u32_e32 31, v0
	s_cbranch_execz .LBB111_239
; %bb.238:
	v_mov_b32_e32 v5, s28
	s_clause 0x3
	buffer_load_dword v2, v5, s[0:3], 0 offen
	buffer_load_dword v3, v5, s[0:3], 0 offen offset:4
	buffer_load_dword v4, v5, s[0:3], 0 offen offset:8
	;; [unrolled: 1-line block ×3, first 2 shown]
	buffer_store_dword v1, off, s[0:3], 0 offset:512
	buffer_store_dword v1, off, s[0:3], 0 offset:516
	;; [unrolled: 1-line block ×4, first 2 shown]
	s_waitcnt vmcnt(0)
	ds_write_b128 v165, v[2:5]
.LBB111_239:
	s_or_b32 exec_lo, exec_lo, s4
	s_waitcnt lgkmcnt(0)
	s_waitcnt_vscnt null, 0x0
	s_barrier
	buffer_gl0_inv
	s_clause 0x37
	buffer_load_dword v6, off, s[0:3], 0 offset:536
	buffer_load_dword v7, off, s[0:3], 0 offset:540
	;; [unrolled: 1-line block ×56, first 2 shown]
	ds_read_b128 v[2:5], v1 offset:1280
	s_clause 0x2
	buffer_load_dword v167, off, s[0:3], 0 offset:764
	buffer_load_dword v171, off, s[0:3], 0 offset:740
	;; [unrolled: 1-line block ×3, first 2 shown]
	ds_read_b128 v[105:108], v1 offset:1296
	s_clause 0x2
	buffer_load_dword v175, off, s[0:3], 0 offset:780
	buffer_load_dword v174, off, s[0:3], 0 offset:776
	;; [unrolled: 1-line block ×3, first 2 shown]
	ds_read_b128 v[109:112], v1 offset:1312
	s_mov_b32 s4, exec_lo
	s_waitcnt vmcnt(60) lgkmcnt(2)
	v_mul_f64 v[172:173], v[4:5], v[6:7]
	v_mul_f64 v[6:7], v[2:3], v[6:7]
	s_waitcnt vmcnt(58) lgkmcnt(1)
	v_mul_f64 v[176:177], v[107:108], v[113:114]
	v_mul_f64 v[113:114], v[105:106], v[113:114]
	;; [unrolled: 3-line block ×3, first 2 shown]
	v_fma_f64 v[172:173], v[2:3], v[115:116], -v[172:173]
	v_fma_f64 v[6:7], v[4:5], v[115:116], v[6:7]
	s_clause 0x1
	buffer_load_dword v116, off, s[0:3], 0 offset:772
	buffer_load_dword v115, off, s[0:3], 0 offset:768
	s_waitcnt vmcnt(54)
	v_fma_f64 v[176:177], v[105:106], v[119:120], -v[176:177]
	ds_read_b128 v[2:5], v1 offset:1328
	v_fma_f64 v[113:114], v[107:108], v[119:120], v[113:114]
	ds_read_b128 v[105:108], v1 offset:1344
	s_waitcnt vmcnt(48)
	v_fma_f64 v[117:118], v[109:110], v[127:128], -v[117:118]
	v_fma_f64 v[127:128], v[111:112], v[127:128], v[178:179]
	v_add_f64 v[172:173], v[172:173], 0
	v_add_f64 v[6:7], v[6:7], 0
	s_waitcnt lgkmcnt(1)
	v_mul_f64 v[119:120], v[2:3], v[121:122]
	v_mul_f64 v[121:122], v[4:5], v[121:122]
	s_waitcnt vmcnt(47) lgkmcnt(0)
	v_mul_f64 v[178:179], v[105:106], v[123:124]
	v_mul_f64 v[123:124], v[107:108], v[123:124]
	v_add_f64 v[172:173], v[172:173], v[176:177]
	v_add_f64 v[6:7], v[6:7], v[113:114]
	s_clause 0x3
	buffer_load_dword v113, off, s[0:3], 0 offset:512
	buffer_load_dword v114, off, s[0:3], 0 offset:516
	;; [unrolled: 1-line block ×4, first 2 shown]
	s_waitcnt vmcnt(49)
	v_fma_f64 v[121:122], v[2:3], v[129:130], -v[121:122]
	ds_read_b128 v[109:112], v1 offset:1360
	v_fma_f64 v[119:120], v[4:5], v[129:130], v[119:120]
	ds_read_b128 v[2:5], v1 offset:1376
	s_waitcnt vmcnt(44)
	v_fma_f64 v[123:124], v[105:106], v[125:126], -v[123:124]
	v_add_f64 v[117:118], v[172:173], v[117:118]
	v_add_f64 v[6:7], v[6:7], v[127:128]
	s_waitcnt lgkmcnt(1)
	v_mul_f64 v[129:130], v[111:112], v[131:132]
	v_mul_f64 v[127:128], v[109:110], v[131:132]
	v_add_f64 v[117:118], v[117:118], v[121:122]
	v_fma_f64 v[121:122], v[107:108], v[125:126], v[178:179]
	v_add_f64 v[6:7], v[6:7], v[119:120]
	s_waitcnt vmcnt(43) lgkmcnt(0)
	v_mul_f64 v[125:126], v[4:5], v[133:134]
	s_waitcnt vmcnt(41)
	v_fma_f64 v[129:130], v[109:110], v[137:138], -v[129:130]
	ds_read_b128 v[105:108], v1 offset:1392
	v_mul_f64 v[119:120], v[2:3], v[133:134]
	v_add_f64 v[117:118], v[117:118], v[123:124]
	v_fma_f64 v[123:124], v[111:112], v[137:138], v[127:128]
	v_add_f64 v[6:7], v[6:7], v[121:122]
	ds_read_b128 v[109:112], v1 offset:1408
	s_waitcnt vmcnt(37) lgkmcnt(1)
	v_mul_f64 v[127:128], v[107:108], v[139:140]
	s_waitcnt vmcnt(36)
	v_fma_f64 v[125:126], v[2:3], v[135:136], -v[125:126]
	v_mul_f64 v[121:122], v[105:106], v[139:140]
	v_fma_f64 v[119:120], v[4:5], v[135:136], v[119:120]
	ds_read_b128 v[2:5], v1 offset:1424
	v_add_f64 v[117:118], v[117:118], v[129:130]
	s_waitcnt vmcnt(35) lgkmcnt(1)
	v_mul_f64 v[129:130], v[111:112], v[141:142]
	v_add_f64 v[6:7], v[6:7], v[123:124]
	v_mul_f64 v[123:124], v[109:110], v[141:142]
	s_waitcnt vmcnt(33)
	v_fma_f64 v[127:128], v[105:106], v[145:146], -v[127:128]
	v_fma_f64 v[121:122], v[107:108], v[145:146], v[121:122]
	ds_read_b128 v[105:108], v1 offset:1440
	v_add_f64 v[117:118], v[117:118], v[125:126]
	s_waitcnt vmcnt(29) lgkmcnt(1)
	v_mul_f64 v[125:126], v[4:5], v[147:148]
	v_add_f64 v[6:7], v[6:7], v[119:120]
	s_waitcnt vmcnt(28)
	v_fma_f64 v[129:130], v[109:110], v[143:144], -v[129:130]
	v_mul_f64 v[119:120], v[2:3], v[147:148]
	v_fma_f64 v[123:124], v[111:112], v[143:144], v[123:124]
	ds_read_b128 v[109:112], v1 offset:1456
	v_add_f64 v[117:118], v[117:118], v[127:128]
	s_waitcnt vmcnt(27) lgkmcnt(1)
	v_mul_f64 v[127:128], v[107:108], v[149:150]
	v_add_f64 v[6:7], v[6:7], v[121:122]
	s_waitcnt vmcnt(25)
	v_fma_f64 v[125:126], v[2:3], v[153:154], -v[125:126]
	v_mul_f64 v[121:122], v[105:106], v[149:150]
	;; [unrolled: 9-line block ×5, first 2 shown]
	v_fma_f64 v[119:120], v[4:5], v[159:160], v[119:120]
	ds_read_b128 v[1:4], v1 offset:1520
	v_add_f64 v[117:118], v[117:118], v[129:130]
	s_waitcnt vmcnt(9)
	v_fma_f64 v[105:106], v[105:106], v[170:171], -v[127:128]
	v_add_f64 v[5:6], v[6:7], v[123:124]
	s_waitcnt lgkmcnt(1)
	v_mul_f64 v[123:124], v[111:112], v[166:167]
	v_mul_f64 v[7:8], v[109:110], v[166:167]
	v_fma_f64 v[107:108], v[107:108], v[170:171], v[121:122]
	s_waitcnt vmcnt(7) lgkmcnt(0)
	v_mul_f64 v[121:122], v[3:4], v[174:175]
	v_add_f64 v[117:118], v[117:118], v[125:126]
	v_add_f64 v[5:6], v[5:6], v[119:120]
	s_waitcnt vmcnt(6)
	v_fma_f64 v[109:110], v[109:110], v[168:169], -v[123:124]
	v_mul_f64 v[119:120], v[1:2], v[174:175]
	v_fma_f64 v[7:8], v[111:112], v[168:169], v[7:8]
	v_add_f64 v[105:106], v[117:118], v[105:106]
	v_add_f64 v[5:6], v[5:6], v[107:108]
	s_waitcnt vmcnt(4)
	v_fma_f64 v[1:2], v[1:2], v[115:116], -v[121:122]
	v_fma_f64 v[3:4], v[3:4], v[115:116], v[119:120]
	v_add_f64 v[105:106], v[105:106], v[109:110]
	v_add_f64 v[5:6], v[5:6], v[7:8]
	;; [unrolled: 1-line block ×4, first 2 shown]
	s_waitcnt vmcnt(2)
	v_add_f64 v[1:2], v[113:114], -v[1:2]
	s_waitcnt vmcnt(0)
	v_add_f64 v[3:4], v[176:177], -v[3:4]
	buffer_store_dword v2, off, s[0:3], 0 offset:516
	buffer_store_dword v1, off, s[0:3], 0 offset:512
	;; [unrolled: 1-line block ×4, first 2 shown]
	v_cmpx_lt_u32_e32 30, v0
	s_cbranch_execz .LBB111_241
; %bb.240:
	v_mov_b32_e32 v4, s29
	v_mov_b32_e32 v5, 0
	s_clause 0x3
	buffer_load_dword v1, v4, s[0:3], 0 offen
	buffer_load_dword v2, v4, s[0:3], 0 offen offset:4
	buffer_load_dword v3, v4, s[0:3], 0 offen offset:8
	;; [unrolled: 1-line block ×3, first 2 shown]
	buffer_store_dword v5, off, s[0:3], 0 offset:496
	buffer_store_dword v5, off, s[0:3], 0 offset:500
	;; [unrolled: 1-line block ×4, first 2 shown]
	s_waitcnt vmcnt(0)
	ds_write_b128 v165, v[1:4]
.LBB111_241:
	s_or_b32 exec_lo, exec_lo, s4
	s_waitcnt lgkmcnt(0)
	s_waitcnt_vscnt null, 0x0
	s_barrier
	buffer_gl0_inv
	s_clause 0x37
	buffer_load_dword v6, off, s[0:3], 0 offset:520
	buffer_load_dword v7, off, s[0:3], 0 offset:524
	;; [unrolled: 1-line block ×56, first 2 shown]
	v_mov_b32_e32 v1, 0
	s_mov_b32 s4, exec_lo
	ds_read_b128 v[2:5], v1 offset:1264
	s_clause 0x2
	buffer_load_dword v167, off, s[0:3], 0 offset:748
	buffer_load_dword v171, off, s[0:3], 0 offset:724
	;; [unrolled: 1-line block ×3, first 2 shown]
	ds_read_b128 v[105:108], v1 offset:1280
	s_clause 0x4
	buffer_load_dword v175, off, s[0:3], 0 offset:764
	buffer_load_dword v176, off, s[0:3], 0 offset:776
	;; [unrolled: 1-line block ×5, first 2 shown]
	ds_read_b128 v[109:112], v1 offset:1296
	s_waitcnt vmcnt(62) lgkmcnt(2)
	v_mul_f64 v[172:173], v[4:5], v[6:7]
	v_mul_f64 v[6:7], v[2:3], v[6:7]
	s_waitcnt vmcnt(60) lgkmcnt(1)
	v_mul_f64 v[179:180], v[107:108], v[113:114]
	v_mul_f64 v[113:114], v[105:106], v[113:114]
	;; [unrolled: 3-line block ×3, first 2 shown]
	v_fma_f64 v[172:173], v[2:3], v[115:116], -v[172:173]
	v_fma_f64 v[6:7], v[4:5], v[115:116], v[6:7]
	s_clause 0x2
	buffer_load_dword v177, off, s[0:3], 0 offset:780
	buffer_load_dword v116, off, s[0:3], 0 offset:756
	;; [unrolled: 1-line block ×3, first 2 shown]
	s_waitcnt vmcnt(57)
	v_fma_f64 v[183:184], v[105:106], v[119:120], -v[179:180]
	ds_read_b128 v[2:5], v1 offset:1312
	v_fma_f64 v[113:114], v[107:108], v[119:120], v[113:114]
	buffer_load_dword v179, off, s[0:3], 0 offset:772
	ds_read_b128 v[105:108], v1 offset:1328
	s_waitcnt vmcnt(52)
	v_fma_f64 v[117:118], v[109:110], v[127:128], -v[117:118]
	v_fma_f64 v[127:128], v[111:112], v[127:128], v[181:182]
	ds_read_b128 v[109:112], v1 offset:1344
	v_add_f64 v[172:173], v[172:173], 0
	v_add_f64 v[6:7], v[6:7], 0
	s_waitcnt lgkmcnt(2)
	v_mul_f64 v[119:120], v[2:3], v[121:122]
	v_mul_f64 v[121:122], v[4:5], v[121:122]
	v_add_f64 v[172:173], v[172:173], v[183:184]
	v_add_f64 v[6:7], v[6:7], v[113:114]
	s_waitcnt vmcnt(51) lgkmcnt(1)
	v_mul_f64 v[113:114], v[105:106], v[123:124]
	v_mul_f64 v[123:124], v[107:108], v[123:124]
	s_waitcnt vmcnt(49)
	v_fma_f64 v[121:122], v[2:3], v[129:130], -v[121:122]
	v_fma_f64 v[119:120], v[4:5], v[129:130], v[119:120]
	v_add_f64 v[117:118], v[172:173], v[117:118]
	v_add_f64 v[6:7], v[6:7], v[127:128]
	s_clause 0x3
	buffer_load_dword v127, off, s[0:3], 0 offset:496
	buffer_load_dword v128, off, s[0:3], 0 offset:500
	buffer_load_dword v129, off, s[0:3], 0 offset:504
	buffer_load_dword v130, off, s[0:3], 0 offset:508
	s_waitcnt vmcnt(49) lgkmcnt(0)
	v_mul_f64 v[172:173], v[109:110], v[131:132]
	v_mul_f64 v[131:132], v[111:112], v[131:132]
	s_waitcnt vmcnt(48)
	v_fma_f64 v[123:124], v[105:106], v[125:126], -v[123:124]
	ds_read_b128 v[2:5], v1 offset:1360
	v_fma_f64 v[113:114], v[107:108], v[125:126], v[113:114]
	ds_read_b128 v[105:108], v1 offset:1376
	v_add_f64 v[117:118], v[117:118], v[121:122]
	v_add_f64 v[6:7], v[6:7], v[119:120]
	s_waitcnt vmcnt(47) lgkmcnt(1)
	v_mul_f64 v[121:122], v[4:5], v[133:134]
	s_waitcnt vmcnt(45)
	v_fma_f64 v[125:126], v[109:110], v[137:138], -v[131:132]
	v_mul_f64 v[119:120], v[2:3], v[133:134]
	s_waitcnt vmcnt(41) lgkmcnt(0)
	v_mul_f64 v[131:132], v[107:108], v[139:140]
	v_add_f64 v[117:118], v[117:118], v[123:124]
	v_fma_f64 v[123:124], v[111:112], v[137:138], v[172:173]
	v_add_f64 v[6:7], v[6:7], v[113:114]
	ds_read_b128 v[109:112], v1 offset:1392
	s_waitcnt vmcnt(40)
	v_fma_f64 v[121:122], v[2:3], v[135:136], -v[121:122]
	v_mul_f64 v[113:114], v[105:106], v[139:140]
	v_fma_f64 v[119:120], v[4:5], v[135:136], v[119:120]
	ds_read_b128 v[2:5], v1 offset:1408
	s_waitcnt vmcnt(37)
	v_fma_f64 v[131:132], v[105:106], v[145:146], -v[131:132]
	v_add_f64 v[117:118], v[117:118], v[125:126]
	s_waitcnt lgkmcnt(1)
	v_mul_f64 v[125:126], v[111:112], v[141:142]
	v_add_f64 v[6:7], v[6:7], v[123:124]
	v_mul_f64 v[123:124], v[109:110], v[141:142]
	v_fma_f64 v[113:114], v[107:108], v[145:146], v[113:114]
	ds_read_b128 v[105:108], v1 offset:1424
	v_add_f64 v[117:118], v[117:118], v[121:122]
	s_waitcnt vmcnt(33) lgkmcnt(1)
	v_mul_f64 v[121:122], v[4:5], v[147:148]
	v_add_f64 v[6:7], v[6:7], v[119:120]
	s_waitcnt vmcnt(32)
	v_fma_f64 v[125:126], v[109:110], v[143:144], -v[125:126]
	v_mul_f64 v[119:120], v[2:3], v[147:148]
	v_fma_f64 v[123:124], v[111:112], v[143:144], v[123:124]
	ds_read_b128 v[109:112], v1 offset:1440
	v_add_f64 v[117:118], v[117:118], v[131:132]
	s_waitcnt vmcnt(31) lgkmcnt(1)
	v_mul_f64 v[131:132], v[107:108], v[149:150]
	v_add_f64 v[6:7], v[6:7], v[113:114]
	s_waitcnt vmcnt(29)
	v_fma_f64 v[121:122], v[2:3], v[153:154], -v[121:122]
	;; [unrolled: 9-line block ×7, first 2 shown]
	v_mul_f64 v[119:120], v[2:3], v[174:175]
	v_fma_f64 v[111:112], v[111:112], v[168:169], v[123:124]
	v_add_f64 v[117:118], v[117:118], v[131:132]
	v_add_f64 v[6:7], v[6:7], v[113:114]
	s_waitcnt vmcnt(7) lgkmcnt(0)
	v_mul_f64 v[123:124], v[107:108], v[176:177]
	v_mul_f64 v[113:114], v[105:106], v[176:177]
	s_waitcnt vmcnt(5)
	v_fma_f64 v[2:3], v[2:3], v[115:116], -v[121:122]
	v_fma_f64 v[4:5], v[4:5], v[115:116], v[119:120]
	v_add_f64 v[109:110], v[117:118], v[109:110]
	v_add_f64 v[6:7], v[6:7], v[111:112]
	s_waitcnt vmcnt(4)
	v_fma_f64 v[105:106], v[105:106], v[178:179], -v[123:124]
	v_fma_f64 v[107:108], v[107:108], v[178:179], v[113:114]
	v_add_f64 v[2:3], v[109:110], v[2:3]
	v_add_f64 v[4:5], v[6:7], v[4:5]
	;; [unrolled: 1-line block ×4, first 2 shown]
	s_waitcnt vmcnt(2)
	v_add_f64 v[2:3], v[127:128], -v[2:3]
	s_waitcnt vmcnt(0)
	v_add_f64 v[4:5], v[129:130], -v[4:5]
	buffer_store_dword v3, off, s[0:3], 0 offset:500
	buffer_store_dword v2, off, s[0:3], 0 offset:496
	;; [unrolled: 1-line block ×4, first 2 shown]
	v_cmpx_lt_u32_e32 29, v0
	s_cbranch_execz .LBB111_243
; %bb.242:
	v_mov_b32_e32 v5, s30
	s_clause 0x3
	buffer_load_dword v2, v5, s[0:3], 0 offen
	buffer_load_dword v3, v5, s[0:3], 0 offen offset:4
	buffer_load_dword v4, v5, s[0:3], 0 offen offset:8
	;; [unrolled: 1-line block ×3, first 2 shown]
	buffer_store_dword v1, off, s[0:3], 0 offset:480
	buffer_store_dword v1, off, s[0:3], 0 offset:484
	;; [unrolled: 1-line block ×4, first 2 shown]
	s_waitcnt vmcnt(0)
	ds_write_b128 v165, v[2:5]
.LBB111_243:
	s_or_b32 exec_lo, exec_lo, s4
	s_waitcnt lgkmcnt(0)
	s_waitcnt_vscnt null, 0x0
	s_barrier
	buffer_gl0_inv
	s_clause 0x37
	buffer_load_dword v6, off, s[0:3], 0 offset:504
	buffer_load_dword v7, off, s[0:3], 0 offset:508
	;; [unrolled: 1-line block ×56, first 2 shown]
	ds_read_b128 v[2:5], v1 offset:1248
	s_clause 0x2
	buffer_load_dword v167, off, s[0:3], 0 offset:732
	buffer_load_dword v171, off, s[0:3], 0 offset:708
	;; [unrolled: 1-line block ×3, first 2 shown]
	ds_read_b128 v[105:108], v1 offset:1264
	s_clause 0x4
	buffer_load_dword v175, off, s[0:3], 0 offset:748
	buffer_load_dword v176, off, s[0:3], 0 offset:760
	;; [unrolled: 1-line block ×5, first 2 shown]
	ds_read_b128 v[109:112], v1 offset:1280
	s_mov_b32 s4, exec_lo
	s_waitcnt vmcnt(62) lgkmcnt(2)
	v_mul_f64 v[172:173], v[4:5], v[6:7]
	v_mul_f64 v[6:7], v[2:3], v[6:7]
	s_waitcnt vmcnt(60) lgkmcnt(1)
	v_mul_f64 v[179:180], v[107:108], v[113:114]
	v_mul_f64 v[113:114], v[105:106], v[113:114]
	;; [unrolled: 3-line block ×3, first 2 shown]
	v_fma_f64 v[172:173], v[2:3], v[115:116], -v[172:173]
	v_fma_f64 v[6:7], v[4:5], v[115:116], v[6:7]
	s_clause 0x2
	buffer_load_dword v177, off, s[0:3], 0 offset:764
	buffer_load_dword v116, off, s[0:3], 0 offset:740
	buffer_load_dword v115, off, s[0:3], 0 offset:736
	s_waitcnt vmcnt(57)
	v_fma_f64 v[183:184], v[105:106], v[119:120], -v[179:180]
	ds_read_b128 v[2:5], v1 offset:1296
	v_fma_f64 v[113:114], v[107:108], v[119:120], v[113:114]
	s_clause 0x2
	buffer_load_dword v120, off, s[0:3], 0 offset:780
	buffer_load_dword v119, off, s[0:3], 0 offset:776
	;; [unrolled: 1-line block ×3, first 2 shown]
	s_waitcnt vmcnt(54)
	v_fma_f64 v[117:118], v[109:110], v[127:128], -v[117:118]
	ds_read_b128 v[105:108], v1 offset:1312
	v_fma_f64 v[127:128], v[111:112], v[127:128], v[181:182]
	v_add_f64 v[172:173], v[172:173], 0
	v_add_f64 v[6:7], v[6:7], 0
	s_waitcnt lgkmcnt(1)
	v_mul_f64 v[185:186], v[2:3], v[121:122]
	v_mul_f64 v[121:122], v[4:5], v[121:122]
	s_waitcnt vmcnt(53) lgkmcnt(0)
	v_mul_f64 v[180:181], v[105:106], v[123:124]
	v_mul_f64 v[123:124], v[107:108], v[123:124]
	v_add_f64 v[172:173], v[172:173], v[183:184]
	v_add_f64 v[6:7], v[6:7], v[113:114]
	s_clause 0x1
	buffer_load_dword v114, off, s[0:3], 0 offset:772
	buffer_load_dword v113, off, s[0:3], 0 offset:768
	s_waitcnt vmcnt(53)
	v_fma_f64 v[121:122], v[2:3], v[129:130], -v[121:122]
	ds_read_b128 v[109:112], v1 offset:1328
	v_fma_f64 v[129:130], v[4:5], v[129:130], v[185:186]
	ds_read_b128 v[2:5], v1 offset:1344
	s_waitcnt vmcnt(48)
	v_fma_f64 v[123:124], v[105:106], v[125:126], -v[123:124]
	v_add_f64 v[117:118], v[172:173], v[117:118]
	v_add_f64 v[6:7], v[6:7], v[127:128]
	s_waitcnt lgkmcnt(1)
	v_mul_f64 v[127:128], v[109:110], v[131:132]
	v_mul_f64 v[131:132], v[111:112], v[131:132]
	s_waitcnt vmcnt(47) lgkmcnt(0)
	v_mul_f64 v[172:173], v[2:3], v[133:134]
	v_mul_f64 v[133:134], v[4:5], v[133:134]
	v_add_f64 v[117:118], v[117:118], v[121:122]
	v_fma_f64 v[121:122], v[107:108], v[125:126], v[180:181]
	v_add_f64 v[6:7], v[6:7], v[129:130]
	s_clause 0x3
	buffer_load_dword v125, off, s[0:3], 0 offset:480
	buffer_load_dword v126, off, s[0:3], 0 offset:484
	;; [unrolled: 1-line block ×4, first 2 shown]
	s_waitcnt vmcnt(49)
	v_fma_f64 v[131:132], v[109:110], v[137:138], -v[131:132]
	ds_read_b128 v[105:108], v1 offset:1360
	s_waitcnt vmcnt(44)
	v_fma_f64 v[133:134], v[2:3], v[135:136], -v[133:134]
	v_add_f64 v[117:118], v[117:118], v[123:124]
	v_fma_f64 v[123:124], v[111:112], v[137:138], v[127:128]
	v_add_f64 v[6:7], v[6:7], v[121:122]
	ds_read_b128 v[109:112], v1 offset:1376
	s_waitcnt lgkmcnt(1)
	v_mul_f64 v[127:128], v[107:108], v[139:140]
	v_mul_f64 v[121:122], v[105:106], v[139:140]
	v_add_f64 v[117:118], v[117:118], v[131:132]
	v_fma_f64 v[131:132], v[4:5], v[135:136], v[172:173]
	v_add_f64 v[6:7], v[6:7], v[123:124]
	s_waitcnt vmcnt(43) lgkmcnt(0)
	v_mul_f64 v[135:136], v[111:112], v[141:142]
	s_waitcnt vmcnt(41)
	v_fma_f64 v[127:128], v[105:106], v[145:146], -v[127:128]
	ds_read_b128 v[2:5], v1 offset:1392
	v_mul_f64 v[123:124], v[109:110], v[141:142]
	v_fma_f64 v[121:122], v[107:108], v[145:146], v[121:122]
	ds_read_b128 v[105:108], v1 offset:1408
	v_add_f64 v[117:118], v[117:118], v[133:134]
	v_add_f64 v[6:7], v[6:7], v[131:132]
	s_waitcnt vmcnt(37) lgkmcnt(1)
	v_mul_f64 v[133:134], v[4:5], v[147:148]
	s_waitcnt vmcnt(36)
	v_fma_f64 v[135:136], v[109:110], v[143:144], -v[135:136]
	v_mul_f64 v[131:132], v[2:3], v[147:148]
	v_fma_f64 v[123:124], v[111:112], v[143:144], v[123:124]
	ds_read_b128 v[109:112], v1 offset:1424
	v_add_f64 v[117:118], v[117:118], v[127:128]
	s_waitcnt vmcnt(35) lgkmcnt(1)
	v_mul_f64 v[127:128], v[107:108], v[149:150]
	v_add_f64 v[6:7], v[6:7], v[121:122]
	s_waitcnt vmcnt(33)
	v_fma_f64 v[133:134], v[2:3], v[153:154], -v[133:134]
	v_mul_f64 v[121:122], v[105:106], v[149:150]
	v_fma_f64 v[131:132], v[4:5], v[153:154], v[131:132]
	ds_read_b128 v[2:5], v1 offset:1440
	v_add_f64 v[117:118], v[117:118], v[135:136]
	s_waitcnt vmcnt(29) lgkmcnt(1)
	v_mul_f64 v[135:136], v[111:112], v[155:156]
	v_add_f64 v[6:7], v[6:7], v[123:124]
	;; [unrolled: 9-line block ×6, first 2 shown]
	s_waitcnt vmcnt(12)
	v_fma_f64 v[135:136], v[109:110], v[168:169], -v[135:136]
	v_mul_f64 v[131:132], v[2:3], v[174:175]
	v_fma_f64 v[123:124], v[111:112], v[168:169], v[123:124]
	ds_read_b128 v[109:112], v1 offset:1520
	v_add_f64 v[117:118], v[117:118], v[127:128]
	v_add_f64 v[6:7], v[6:7], v[121:122]
	s_waitcnt vmcnt(11) lgkmcnt(1)
	v_mul_f64 v[127:128], v[107:108], v[176:177]
	v_mul_f64 v[121:122], v[105:106], v[176:177]
	s_waitcnt vmcnt(9)
	v_fma_f64 v[1:2], v[2:3], v[115:116], -v[133:134]
	v_fma_f64 v[3:4], v[4:5], v[115:116], v[131:132]
	s_waitcnt vmcnt(7) lgkmcnt(0)
	v_mul_f64 v[115:116], v[111:112], v[119:120]
	v_add_f64 v[117:118], v[117:118], v[135:136]
	v_add_f64 v[5:6], v[6:7], v[123:124]
	v_mul_f64 v[7:8], v[109:110], v[119:120]
	s_waitcnt vmcnt(6)
	v_fma_f64 v[105:106], v[105:106], v[178:179], -v[127:128]
	v_fma_f64 v[107:108], v[107:108], v[178:179], v[121:122]
	v_add_f64 v[1:2], v[117:118], v[1:2]
	v_add_f64 v[3:4], v[5:6], v[3:4]
	s_waitcnt vmcnt(4)
	v_fma_f64 v[5:6], v[109:110], v[113:114], -v[115:116]
	v_fma_f64 v[7:8], v[111:112], v[113:114], v[7:8]
	v_add_f64 v[1:2], v[1:2], v[105:106]
	v_add_f64 v[3:4], v[3:4], v[107:108]
	;; [unrolled: 1-line block ×4, first 2 shown]
	s_waitcnt vmcnt(2)
	v_add_f64 v[1:2], v[125:126], -v[1:2]
	s_waitcnt vmcnt(0)
	v_add_f64 v[3:4], v[129:130], -v[3:4]
	buffer_store_dword v2, off, s[0:3], 0 offset:484
	buffer_store_dword v1, off, s[0:3], 0 offset:480
	;; [unrolled: 1-line block ×4, first 2 shown]
	v_cmpx_lt_u32_e32 28, v0
	s_cbranch_execz .LBB111_245
; %bb.244:
	v_mov_b32_e32 v4, s31
	v_mov_b32_e32 v5, 0
	s_clause 0x3
	buffer_load_dword v1, v4, s[0:3], 0 offen
	buffer_load_dword v2, v4, s[0:3], 0 offen offset:4
	buffer_load_dword v3, v4, s[0:3], 0 offen offset:8
	;; [unrolled: 1-line block ×3, first 2 shown]
	buffer_store_dword v5, off, s[0:3], 0 offset:464
	buffer_store_dword v5, off, s[0:3], 0 offset:468
	;; [unrolled: 1-line block ×4, first 2 shown]
	s_waitcnt vmcnt(0)
	ds_write_b128 v165, v[1:4]
.LBB111_245:
	s_or_b32 exec_lo, exec_lo, s4
	s_waitcnt lgkmcnt(0)
	s_waitcnt_vscnt null, 0x0
	s_barrier
	buffer_gl0_inv
	s_clause 0x37
	buffer_load_dword v6, off, s[0:3], 0 offset:488
	buffer_load_dword v7, off, s[0:3], 0 offset:492
	;; [unrolled: 1-line block ×56, first 2 shown]
	v_mov_b32_e32 v1, 0
	s_mov_b32 s4, exec_lo
	ds_read_b128 v[2:5], v1 offset:1232
	s_clause 0x2
	buffer_load_dword v167, off, s[0:3], 0 offset:716
	buffer_load_dword v171, off, s[0:3], 0 offset:692
	;; [unrolled: 1-line block ×3, first 2 shown]
	ds_read_b128 v[105:108], v1 offset:1248
	s_clause 0x4
	buffer_load_dword v175, off, s[0:3], 0 offset:732
	buffer_load_dword v176, off, s[0:3], 0 offset:744
	;; [unrolled: 1-line block ×5, first 2 shown]
	ds_read_b128 v[109:112], v1 offset:1264
	s_waitcnt vmcnt(62) lgkmcnt(2)
	v_mul_f64 v[172:173], v[4:5], v[6:7]
	v_mul_f64 v[6:7], v[2:3], v[6:7]
	s_waitcnt vmcnt(60) lgkmcnt(1)
	v_mul_f64 v[179:180], v[107:108], v[113:114]
	v_mul_f64 v[113:114], v[105:106], v[113:114]
	s_waitcnt vmcnt(56) lgkmcnt(0)
	v_mul_f64 v[181:182], v[109:110], v[117:118]
	v_mul_f64 v[117:118], v[111:112], v[117:118]
	v_fma_f64 v[172:173], v[2:3], v[115:116], -v[172:173]
	v_fma_f64 v[6:7], v[4:5], v[115:116], v[6:7]
	s_clause 0x2
	buffer_load_dword v177, off, s[0:3], 0 offset:748
	buffer_load_dword v116, off, s[0:3], 0 offset:724
	;; [unrolled: 1-line block ×3, first 2 shown]
	s_waitcnt vmcnt(57)
	v_fma_f64 v[183:184], v[105:106], v[119:120], -v[179:180]
	ds_read_b128 v[2:5], v1 offset:1280
	v_fma_f64 v[113:114], v[107:108], v[119:120], v[113:114]
	s_clause 0x4
	buffer_load_dword v120, off, s[0:3], 0 offset:764
	buffer_load_dword v180, off, s[0:3], 0 offset:776
	;; [unrolled: 1-line block ×5, first 2 shown]
	s_waitcnt vmcnt(56)
	v_fma_f64 v[117:118], v[109:110], v[127:128], -v[117:118]
	ds_read_b128 v[105:108], v1 offset:1296
	v_fma_f64 v[127:128], v[111:112], v[127:128], v[181:182]
	v_add_f64 v[172:173], v[172:173], 0
	v_add_f64 v[6:7], v[6:7], 0
	s_waitcnt lgkmcnt(1)
	v_mul_f64 v[186:187], v[2:3], v[121:122]
	v_mul_f64 v[121:122], v[4:5], v[121:122]
	v_add_f64 v[172:173], v[172:173], v[183:184]
	v_add_f64 v[6:7], v[6:7], v[113:114]
	s_clause 0x2
	buffer_load_dword v181, off, s[0:3], 0 offset:780
	buffer_load_dword v114, off, s[0:3], 0 offset:756
	;; [unrolled: 1-line block ×3, first 2 shown]
	s_waitcnt vmcnt(58) lgkmcnt(0)
	v_mul_f64 v[182:183], v[105:106], v[123:124]
	v_mul_f64 v[123:124], v[107:108], v[123:124]
	s_waitcnt vmcnt(56)
	v_fma_f64 v[121:122], v[2:3], v[129:130], -v[121:122]
	ds_read_b128 v[109:112], v1 offset:1312
	v_fma_f64 v[129:130], v[4:5], v[129:130], v[186:187]
	buffer_load_dword v186, off, s[0:3], 0 offset:772
	ds_read_b128 v[2:5], v1 offset:1328
	v_add_f64 v[117:118], v[172:173], v[117:118]
	v_add_f64 v[6:7], v[6:7], v[127:128]
	s_waitcnt vmcnt(53) lgkmcnt(1)
	v_mul_f64 v[127:128], v[109:110], v[131:132]
	v_mul_f64 v[131:132], v[111:112], v[131:132]
	s_waitcnt vmcnt(52)
	v_fma_f64 v[123:124], v[105:106], v[125:126], -v[123:124]
	v_add_f64 v[117:118], v[117:118], v[121:122]
	v_fma_f64 v[121:122], v[107:108], v[125:126], v[182:183]
	v_add_f64 v[6:7], v[6:7], v[129:130]
	s_waitcnt vmcnt(51) lgkmcnt(0)
	v_mul_f64 v[129:130], v[4:5], v[133:134]
	ds_read_b128 v[105:108], v1 offset:1344
	s_waitcnt vmcnt(49)
	v_fma_f64 v[131:132], v[109:110], v[137:138], -v[131:132]
	v_mul_f64 v[125:126], v[2:3], v[133:134]
	v_add_f64 v[117:118], v[117:118], v[123:124]
	v_fma_f64 v[123:124], v[111:112], v[137:138], v[127:128]
	v_add_f64 v[6:7], v[6:7], v[121:122]
	s_clause 0x3
	buffer_load_dword v121, off, s[0:3], 0 offset:464
	buffer_load_dword v122, off, s[0:3], 0 offset:468
	;; [unrolled: 1-line block ×4, first 2 shown]
	s_waitcnt vmcnt(49) lgkmcnt(0)
	v_mul_f64 v[137:138], v[107:108], v[139:140]
	s_waitcnt vmcnt(48)
	v_fma_f64 v[129:130], v[2:3], v[135:136], -v[129:130]
	ds_read_b128 v[109:112], v1 offset:1360
	v_mul_f64 v[133:134], v[105:106], v[139:140]
	v_fma_f64 v[125:126], v[4:5], v[135:136], v[125:126]
	ds_read_b128 v[2:5], v1 offset:1376
	v_add_f64 v[117:118], v[117:118], v[131:132]
	v_add_f64 v[6:7], v[6:7], v[123:124]
	s_waitcnt vmcnt(47) lgkmcnt(1)
	v_mul_f64 v[131:132], v[111:112], v[141:142]
	s_waitcnt vmcnt(45)
	v_fma_f64 v[135:136], v[105:106], v[145:146], -v[137:138]
	v_mul_f64 v[123:124], v[109:110], v[141:142]
	v_add_f64 v[117:118], v[117:118], v[129:130]
	v_fma_f64 v[129:130], v[107:108], v[145:146], v[133:134]
	v_add_f64 v[6:7], v[6:7], v[125:126]
	s_waitcnt vmcnt(41) lgkmcnt(0)
	v_mul_f64 v[133:134], v[4:5], v[147:148]
	s_waitcnt vmcnt(40)
	v_fma_f64 v[131:132], v[109:110], v[143:144], -v[131:132]
	ds_read_b128 v[105:108], v1 offset:1392
	v_mul_f64 v[125:126], v[2:3], v[147:148]
	v_fma_f64 v[123:124], v[111:112], v[143:144], v[123:124]
	ds_read_b128 v[109:112], v1 offset:1408
	v_add_f64 v[117:118], v[117:118], v[135:136]
	v_add_f64 v[6:7], v[6:7], v[129:130]
	s_waitcnt vmcnt(39) lgkmcnt(1)
	v_mul_f64 v[135:136], v[107:108], v[149:150]
	s_waitcnt vmcnt(37)
	v_fma_f64 v[133:134], v[2:3], v[153:154], -v[133:134]
	v_mul_f64 v[129:130], v[105:106], v[149:150]
	v_fma_f64 v[125:126], v[4:5], v[153:154], v[125:126]
	ds_read_b128 v[2:5], v1 offset:1424
	v_add_f64 v[117:118], v[117:118], v[131:132]
	s_waitcnt vmcnt(33) lgkmcnt(1)
	v_mul_f64 v[131:132], v[111:112], v[155:156]
	v_add_f64 v[6:7], v[6:7], v[123:124]
	s_waitcnt vmcnt(32)
	v_fma_f64 v[135:136], v[105:106], v[151:152], -v[135:136]
	v_mul_f64 v[123:124], v[109:110], v[155:156]
	v_fma_f64 v[129:130], v[107:108], v[151:152], v[129:130]
	ds_read_b128 v[105:108], v1 offset:1440
	v_add_f64 v[117:118], v[117:118], v[133:134]
	s_waitcnt vmcnt(31) lgkmcnt(1)
	v_mul_f64 v[133:134], v[4:5], v[157:158]
	v_add_f64 v[6:7], v[6:7], v[125:126]
	;; [unrolled: 9-line block ×5, first 2 shown]
	s_waitcnt vmcnt(16)
	v_fma_f64 v[131:132], v[109:110], v[168:169], -v[131:132]
	v_mul_f64 v[125:126], v[2:3], v[174:175]
	v_fma_f64 v[123:124], v[111:112], v[168:169], v[123:124]
	ds_read_b128 v[109:112], v1 offset:1504
	v_add_f64 v[117:118], v[117:118], v[135:136]
	v_add_f64 v[6:7], v[6:7], v[129:130]
	s_waitcnt vmcnt(15) lgkmcnt(1)
	v_mul_f64 v[135:136], v[107:108], v[176:177]
	v_mul_f64 v[129:130], v[105:106], v[176:177]
	s_waitcnt vmcnt(13)
	v_fma_f64 v[133:134], v[2:3], v[115:116], -v[133:134]
	v_fma_f64 v[115:116], v[4:5], v[115:116], v[125:126]
	ds_read_b128 v[2:5], v1 offset:1520
	v_add_f64 v[117:118], v[117:118], v[131:132]
	v_add_f64 v[6:7], v[6:7], v[123:124]
	s_waitcnt vmcnt(9) lgkmcnt(1)
	v_mul_f64 v[123:124], v[109:110], v[119:120]
	v_mul_f64 v[119:120], v[111:112], v[119:120]
	s_waitcnt vmcnt(8)
	v_fma_f64 v[105:106], v[105:106], v[178:179], -v[135:136]
	v_fma_f64 v[107:108], v[107:108], v[178:179], v[129:130]
	v_add_f64 v[117:118], v[117:118], v[133:134]
	v_add_f64 v[6:7], v[6:7], v[115:116]
	s_waitcnt vmcnt(7) lgkmcnt(0)
	v_mul_f64 v[125:126], v[4:5], v[180:181]
	v_mul_f64 v[115:116], v[2:3], v[180:181]
	s_waitcnt vmcnt(5)
	v_fma_f64 v[109:110], v[109:110], v[113:114], -v[119:120]
	v_fma_f64 v[111:112], v[111:112], v[113:114], v[123:124]
	v_add_f64 v[105:106], v[117:118], v[105:106]
	v_add_f64 v[6:7], v[6:7], v[107:108]
	s_waitcnt vmcnt(4)
	v_fma_f64 v[2:3], v[2:3], v[185:186], -v[125:126]
	v_fma_f64 v[4:5], v[4:5], v[185:186], v[115:116]
	v_add_f64 v[105:106], v[105:106], v[109:110]
	v_add_f64 v[6:7], v[6:7], v[111:112]
	;; [unrolled: 1-line block ×4, first 2 shown]
	s_waitcnt vmcnt(2)
	v_add_f64 v[2:3], v[121:122], -v[2:3]
	s_waitcnt vmcnt(0)
	v_add_f64 v[4:5], v[127:128], -v[4:5]
	buffer_store_dword v3, off, s[0:3], 0 offset:468
	buffer_store_dword v2, off, s[0:3], 0 offset:464
	;; [unrolled: 1-line block ×4, first 2 shown]
	v_cmpx_lt_u32_e32 27, v0
	s_cbranch_execz .LBB111_247
; %bb.246:
	v_mov_b32_e32 v5, s33
	s_clause 0x3
	buffer_load_dword v2, v5, s[0:3], 0 offen
	buffer_load_dword v3, v5, s[0:3], 0 offen offset:4
	buffer_load_dword v4, v5, s[0:3], 0 offen offset:8
	;; [unrolled: 1-line block ×3, first 2 shown]
	buffer_store_dword v1, off, s[0:3], 0 offset:448
	buffer_store_dword v1, off, s[0:3], 0 offset:452
	;; [unrolled: 1-line block ×4, first 2 shown]
	s_waitcnt vmcnt(0)
	ds_write_b128 v165, v[2:5]
.LBB111_247:
	s_or_b32 exec_lo, exec_lo, s4
	s_waitcnt lgkmcnt(0)
	s_waitcnt_vscnt null, 0x0
	s_barrier
	buffer_gl0_inv
	s_clause 0x37
	buffer_load_dword v6, off, s[0:3], 0 offset:472
	buffer_load_dword v7, off, s[0:3], 0 offset:476
	;; [unrolled: 1-line block ×56, first 2 shown]
	ds_read_b128 v[2:5], v1 offset:1216
	s_clause 0x2
	buffer_load_dword v167, off, s[0:3], 0 offset:700
	buffer_load_dword v171, off, s[0:3], 0 offset:676
	;; [unrolled: 1-line block ×3, first 2 shown]
	ds_read_b128 v[105:108], v1 offset:1232
	s_clause 0x4
	buffer_load_dword v175, off, s[0:3], 0 offset:716
	buffer_load_dword v176, off, s[0:3], 0 offset:728
	;; [unrolled: 1-line block ×5, first 2 shown]
	ds_read_b128 v[109:112], v1 offset:1248
	s_mov_b32 s4, exec_lo
	s_waitcnt vmcnt(62) lgkmcnt(2)
	v_mul_f64 v[172:173], v[4:5], v[6:7]
	v_mul_f64 v[6:7], v[2:3], v[6:7]
	s_waitcnt vmcnt(60) lgkmcnt(1)
	v_mul_f64 v[179:180], v[107:108], v[113:114]
	v_mul_f64 v[113:114], v[105:106], v[113:114]
	;; [unrolled: 3-line block ×3, first 2 shown]
	v_fma_f64 v[172:173], v[2:3], v[115:116], -v[172:173]
	v_fma_f64 v[6:7], v[4:5], v[115:116], v[6:7]
	s_clause 0x2
	buffer_load_dword v177, off, s[0:3], 0 offset:732
	buffer_load_dword v116, off, s[0:3], 0 offset:708
	;; [unrolled: 1-line block ×3, first 2 shown]
	s_waitcnt vmcnt(57)
	v_fma_f64 v[183:184], v[105:106], v[119:120], -v[179:180]
	ds_read_b128 v[2:5], v1 offset:1264
	v_fma_f64 v[113:114], v[107:108], v[119:120], v[113:114]
	s_clause 0x4
	buffer_load_dword v120, off, s[0:3], 0 offset:748
	buffer_load_dword v180, off, s[0:3], 0 offset:760
	;; [unrolled: 1-line block ×5, first 2 shown]
	s_waitcnt vmcnt(56)
	v_fma_f64 v[117:118], v[109:110], v[127:128], -v[117:118]
	ds_read_b128 v[105:108], v1 offset:1280
	v_fma_f64 v[127:128], v[111:112], v[127:128], v[181:182]
	v_add_f64 v[172:173], v[172:173], 0
	v_add_f64 v[6:7], v[6:7], 0
	s_waitcnt lgkmcnt(1)
	v_mul_f64 v[186:187], v[2:3], v[121:122]
	v_mul_f64 v[121:122], v[4:5], v[121:122]
	v_add_f64 v[172:173], v[172:173], v[183:184]
	v_add_f64 v[6:7], v[6:7], v[113:114]
	s_clause 0x2
	buffer_load_dword v181, off, s[0:3], 0 offset:764
	buffer_load_dword v114, off, s[0:3], 0 offset:740
	;; [unrolled: 1-line block ×3, first 2 shown]
	s_waitcnt vmcnt(58) lgkmcnt(0)
	v_mul_f64 v[182:183], v[105:106], v[123:124]
	v_mul_f64 v[123:124], v[107:108], v[123:124]
	s_waitcnt vmcnt(56)
	v_fma_f64 v[121:122], v[2:3], v[129:130], -v[121:122]
	ds_read_b128 v[109:112], v1 offset:1296
	v_fma_f64 v[129:130], v[4:5], v[129:130], v[186:187]
	v_add_f64 v[117:118], v[172:173], v[117:118]
	v_add_f64 v[6:7], v[6:7], v[127:128]
	s_clause 0x2
	buffer_load_dword v128, off, s[0:3], 0 offset:780
	buffer_load_dword v127, off, s[0:3], 0 offset:776
	;; [unrolled: 1-line block ×3, first 2 shown]
	ds_read_b128 v[2:5], v1 offset:1312
	s_waitcnt vmcnt(55) lgkmcnt(1)
	v_mul_f64 v[172:173], v[109:110], v[131:132]
	v_mul_f64 v[131:132], v[111:112], v[131:132]
	s_waitcnt vmcnt(54)
	v_fma_f64 v[123:124], v[105:106], v[125:126], -v[123:124]
	v_add_f64 v[117:118], v[117:118], v[121:122]
	v_fma_f64 v[121:122], v[107:108], v[125:126], v[182:183]
	v_add_f64 v[6:7], v[6:7], v[129:130]
	s_clause 0x1
	buffer_load_dword v126, off, s[0:3], 0 offset:772
	buffer_load_dword v125, off, s[0:3], 0 offset:768
	s_waitcnt vmcnt(55) lgkmcnt(0)
	v_mul_f64 v[129:130], v[2:3], v[133:134]
	v_mul_f64 v[133:134], v[4:5], v[133:134]
	s_waitcnt vmcnt(53)
	v_fma_f64 v[131:132], v[109:110], v[137:138], -v[131:132]
	ds_read_b128 v[105:108], v1 offset:1328
	v_add_f64 v[117:118], v[117:118], v[123:124]
	v_fma_f64 v[123:124], v[111:112], v[137:138], v[172:173]
	v_add_f64 v[6:7], v[6:7], v[121:122]
	ds_read_b128 v[109:112], v1 offset:1344
	s_waitcnt vmcnt(48)
	v_fma_f64 v[129:130], v[4:5], v[135:136], v[129:130]
	s_waitcnt lgkmcnt(1)
	v_mul_f64 v[137:138], v[107:108], v[139:140]
	v_fma_f64 v[133:134], v[2:3], v[135:136], -v[133:134]
	v_mul_f64 v[121:122], v[105:106], v[139:140]
	v_add_f64 v[117:118], v[117:118], v[131:132]
	s_waitcnt vmcnt(47) lgkmcnt(0)
	v_mul_f64 v[139:140], v[111:112], v[141:142]
	v_add_f64 v[6:7], v[6:7], v[123:124]
	s_clause 0x3
	buffer_load_dword v123, off, s[0:3], 0 offset:448
	buffer_load_dword v124, off, s[0:3], 0 offset:452
	;; [unrolled: 1-line block ×4, first 2 shown]
	ds_read_b128 v[2:5], v1 offset:1360
	s_waitcnt vmcnt(49)
	v_fma_f64 v[137:138], v[105:106], v[145:146], -v[137:138]
	v_mul_f64 v[135:136], v[109:110], v[141:142]
	v_fma_f64 v[121:122], v[107:108], v[145:146], v[121:122]
	ds_read_b128 v[105:108], v1 offset:1376
	v_add_f64 v[117:118], v[117:118], v[133:134]
	s_waitcnt vmcnt(44)
	v_fma_f64 v[139:140], v[109:110], v[143:144], -v[139:140]
	v_add_f64 v[6:7], v[6:7], v[129:130]
	s_waitcnt lgkmcnt(1)
	v_mul_f64 v[133:134], v[4:5], v[147:148]
	v_mul_f64 v[129:130], v[2:3], v[147:148]
	v_fma_f64 v[135:136], v[111:112], v[143:144], v[135:136]
	ds_read_b128 v[109:112], v1 offset:1392
	v_add_f64 v[117:118], v[117:118], v[137:138]
	s_waitcnt vmcnt(43) lgkmcnt(1)
	v_mul_f64 v[137:138], v[107:108], v[149:150]
	v_add_f64 v[6:7], v[6:7], v[121:122]
	s_waitcnt vmcnt(41)
	v_fma_f64 v[133:134], v[2:3], v[153:154], -v[133:134]
	v_mul_f64 v[121:122], v[105:106], v[149:150]
	v_fma_f64 v[129:130], v[4:5], v[153:154], v[129:130]
	ds_read_b128 v[2:5], v1 offset:1408
	v_add_f64 v[117:118], v[117:118], v[139:140]
	s_waitcnt vmcnt(37) lgkmcnt(1)
	v_mul_f64 v[139:140], v[111:112], v[155:156]
	v_add_f64 v[6:7], v[6:7], v[135:136]
	s_waitcnt vmcnt(36)
	v_fma_f64 v[137:138], v[105:106], v[151:152], -v[137:138]
	v_mul_f64 v[135:136], v[109:110], v[155:156]
	v_fma_f64 v[121:122], v[107:108], v[151:152], v[121:122]
	ds_read_b128 v[105:108], v1 offset:1424
	v_add_f64 v[117:118], v[117:118], v[133:134]
	s_waitcnt vmcnt(35) lgkmcnt(1)
	v_mul_f64 v[133:134], v[4:5], v[157:158]
	v_add_f64 v[6:7], v[6:7], v[129:130]
	s_waitcnt vmcnt(33)
	v_fma_f64 v[139:140], v[109:110], v[161:162], -v[139:140]
	v_mul_f64 v[129:130], v[2:3], v[157:158]
	v_fma_f64 v[135:136], v[111:112], v[161:162], v[135:136]
	ds_read_b128 v[109:112], v1 offset:1440
	v_add_f64 v[117:118], v[117:118], v[137:138]
	s_waitcnt vmcnt(29) lgkmcnt(1)
	v_mul_f64 v[137:138], v[107:108], v[163:164]
	v_add_f64 v[6:7], v[6:7], v[121:122]
	s_waitcnt vmcnt(28)
	v_fma_f64 v[133:134], v[2:3], v[159:160], -v[133:134]
	v_mul_f64 v[121:122], v[105:106], v[163:164]
	v_fma_f64 v[129:130], v[4:5], v[159:160], v[129:130]
	ds_read_b128 v[2:5], v1 offset:1456
	v_add_f64 v[117:118], v[117:118], v[139:140]
	s_waitcnt vmcnt(27) lgkmcnt(1)
	v_mul_f64 v[139:140], v[111:112], v[166:167]
	v_add_f64 v[6:7], v[6:7], v[135:136]
	s_waitcnt vmcnt(25)
	v_fma_f64 v[137:138], v[105:106], v[170:171], -v[137:138]
	v_mul_f64 v[135:136], v[109:110], v[166:167]
	v_fma_f64 v[121:122], v[107:108], v[170:171], v[121:122]
	ds_read_b128 v[105:108], v1 offset:1472
	v_add_f64 v[117:118], v[117:118], v[133:134]
	s_waitcnt vmcnt(21) lgkmcnt(1)
	v_mul_f64 v[133:134], v[4:5], v[174:175]
	v_add_f64 v[6:7], v[6:7], v[129:130]
	s_waitcnt vmcnt(20)
	v_fma_f64 v[139:140], v[109:110], v[168:169], -v[139:140]
	v_mul_f64 v[129:130], v[2:3], v[174:175]
	v_fma_f64 v[135:136], v[111:112], v[168:169], v[135:136]
	ds_read_b128 v[109:112], v1 offset:1488
	v_add_f64 v[117:118], v[117:118], v[137:138]
	v_add_f64 v[6:7], v[6:7], v[121:122]
	s_waitcnt vmcnt(19) lgkmcnt(1)
	v_mul_f64 v[137:138], v[107:108], v[176:177]
	v_mul_f64 v[121:122], v[105:106], v[176:177]
	s_waitcnt vmcnt(17)
	v_fma_f64 v[133:134], v[2:3], v[115:116], -v[133:134]
	v_fma_f64 v[115:116], v[4:5], v[115:116], v[129:130]
	ds_read_b128 v[2:5], v1 offset:1504
	s_waitcnt vmcnt(13) lgkmcnt(1)
	v_mul_f64 v[129:130], v[109:110], v[119:120]
	v_mul_f64 v[119:120], v[111:112], v[119:120]
	v_add_f64 v[117:118], v[117:118], v[139:140]
	v_add_f64 v[6:7], v[6:7], v[135:136]
	s_waitcnt vmcnt(12)
	v_fma_f64 v[135:136], v[105:106], v[178:179], -v[137:138]
	v_fma_f64 v[121:122], v[107:108], v[178:179], v[121:122]
	ds_read_b128 v[105:108], v1 offset:1520
	v_add_f64 v[117:118], v[117:118], v[133:134]
	v_add_f64 v[6:7], v[6:7], v[115:116]
	s_waitcnt vmcnt(11) lgkmcnt(1)
	v_mul_f64 v[133:134], v[4:5], v[180:181]
	v_mul_f64 v[115:116], v[2:3], v[180:181]
	s_waitcnt vmcnt(9)
	v_fma_f64 v[109:110], v[109:110], v[113:114], -v[119:120]
	v_fma_f64 v[111:112], v[111:112], v[113:114], v[129:130]
	v_add_f64 v[117:118], v[117:118], v[135:136]
	v_add_f64 v[6:7], v[6:7], v[121:122]
	s_waitcnt vmcnt(7) lgkmcnt(0)
	v_mul_f64 v[119:120], v[107:108], v[127:128]
	s_waitcnt vmcnt(6)
	v_fma_f64 v[1:2], v[2:3], v[185:186], -v[133:134]
	v_mul_f64 v[113:114], v[105:106], v[127:128]
	v_fma_f64 v[3:4], v[4:5], v[185:186], v[115:116]
	v_add_f64 v[109:110], v[117:118], v[109:110]
	v_add_f64 v[5:6], v[6:7], v[111:112]
	s_waitcnt vmcnt(4)
	v_fma_f64 v[7:8], v[105:106], v[125:126], -v[119:120]
	v_fma_f64 v[105:106], v[107:108], v[125:126], v[113:114]
	v_add_f64 v[1:2], v[109:110], v[1:2]
	v_add_f64 v[3:4], v[5:6], v[3:4]
	;; [unrolled: 1-line block ×4, first 2 shown]
	s_waitcnt vmcnt(2)
	v_add_f64 v[1:2], v[123:124], -v[1:2]
	s_waitcnt vmcnt(0)
	v_add_f64 v[3:4], v[131:132], -v[3:4]
	buffer_store_dword v2, off, s[0:3], 0 offset:452
	buffer_store_dword v1, off, s[0:3], 0 offset:448
	;; [unrolled: 1-line block ×4, first 2 shown]
	v_cmpx_lt_u32_e32 26, v0
	s_cbranch_execz .LBB111_249
; %bb.248:
	v_mov_b32_e32 v4, s34
	v_mov_b32_e32 v5, 0
	s_clause 0x3
	buffer_load_dword v1, v4, s[0:3], 0 offen
	buffer_load_dword v2, v4, s[0:3], 0 offen offset:4
	buffer_load_dword v3, v4, s[0:3], 0 offen offset:8
	;; [unrolled: 1-line block ×3, first 2 shown]
	buffer_store_dword v5, off, s[0:3], 0 offset:432
	buffer_store_dword v5, off, s[0:3], 0 offset:436
	;; [unrolled: 1-line block ×4, first 2 shown]
	s_waitcnt vmcnt(0)
	ds_write_b128 v165, v[1:4]
.LBB111_249:
	s_or_b32 exec_lo, exec_lo, s4
	s_waitcnt lgkmcnt(0)
	s_waitcnt_vscnt null, 0x0
	s_barrier
	buffer_gl0_inv
	s_clause 0x37
	buffer_load_dword v6, off, s[0:3], 0 offset:456
	buffer_load_dword v7, off, s[0:3], 0 offset:460
	;; [unrolled: 1-line block ×56, first 2 shown]
	v_mov_b32_e32 v1, 0
	s_mov_b32 s4, exec_lo
	ds_read_b128 v[2:5], v1 offset:1200
	s_clause 0x2
	buffer_load_dword v167, off, s[0:3], 0 offset:684
	buffer_load_dword v171, off, s[0:3], 0 offset:660
	;; [unrolled: 1-line block ×3, first 2 shown]
	ds_read_b128 v[105:108], v1 offset:1216
	s_clause 0x4
	buffer_load_dword v175, off, s[0:3], 0 offset:700
	buffer_load_dword v176, off, s[0:3], 0 offset:712
	;; [unrolled: 1-line block ×5, first 2 shown]
	ds_read_b128 v[109:112], v1 offset:1232
	s_waitcnt vmcnt(62) lgkmcnt(2)
	v_mul_f64 v[172:173], v[4:5], v[6:7]
	v_mul_f64 v[6:7], v[2:3], v[6:7]
	s_waitcnt vmcnt(60) lgkmcnt(1)
	v_mul_f64 v[179:180], v[107:108], v[113:114]
	v_mul_f64 v[113:114], v[105:106], v[113:114]
	;; [unrolled: 3-line block ×3, first 2 shown]
	v_fma_f64 v[172:173], v[2:3], v[115:116], -v[172:173]
	v_fma_f64 v[6:7], v[4:5], v[115:116], v[6:7]
	s_clause 0x2
	buffer_load_dword v177, off, s[0:3], 0 offset:716
	buffer_load_dword v116, off, s[0:3], 0 offset:692
	;; [unrolled: 1-line block ×3, first 2 shown]
	s_waitcnt vmcnt(57)
	v_fma_f64 v[183:184], v[105:106], v[119:120], -v[179:180]
	ds_read_b128 v[2:5], v1 offset:1248
	v_fma_f64 v[113:114], v[107:108], v[119:120], v[113:114]
	s_clause 0x4
	buffer_load_dword v120, off, s[0:3], 0 offset:732
	buffer_load_dword v180, off, s[0:3], 0 offset:744
	;; [unrolled: 1-line block ×5, first 2 shown]
	s_waitcnt vmcnt(56)
	v_fma_f64 v[117:118], v[109:110], v[127:128], -v[117:118]
	ds_read_b128 v[105:108], v1 offset:1264
	v_fma_f64 v[127:128], v[111:112], v[127:128], v[181:182]
	v_add_f64 v[172:173], v[172:173], 0
	v_add_f64 v[6:7], v[6:7], 0
	s_waitcnt lgkmcnt(1)
	v_mul_f64 v[186:187], v[2:3], v[121:122]
	v_mul_f64 v[121:122], v[4:5], v[121:122]
	v_add_f64 v[172:173], v[172:173], v[183:184]
	v_add_f64 v[6:7], v[6:7], v[113:114]
	s_clause 0x2
	buffer_load_dword v181, off, s[0:3], 0 offset:748
	buffer_load_dword v114, off, s[0:3], 0 offset:724
	;; [unrolled: 1-line block ×3, first 2 shown]
	s_waitcnt vmcnt(58) lgkmcnt(0)
	v_mul_f64 v[182:183], v[105:106], v[123:124]
	v_mul_f64 v[123:124], v[107:108], v[123:124]
	s_waitcnt vmcnt(56)
	v_fma_f64 v[121:122], v[2:3], v[129:130], -v[121:122]
	ds_read_b128 v[109:112], v1 offset:1280
	v_fma_f64 v[129:130], v[4:5], v[129:130], v[186:187]
	v_add_f64 v[117:118], v[172:173], v[117:118]
	v_add_f64 v[6:7], v[6:7], v[127:128]
	s_clause 0x4
	buffer_load_dword v128, off, s[0:3], 0 offset:764
	buffer_load_dword v172, off, s[0:3], 0 offset:776
	;; [unrolled: 1-line block ×5, first 2 shown]
	ds_read_b128 v[2:5], v1 offset:1296
	s_waitcnt vmcnt(57) lgkmcnt(1)
	v_mul_f64 v[188:189], v[109:110], v[131:132]
	v_mul_f64 v[131:132], v[111:112], v[131:132]
	s_waitcnt vmcnt(56)
	v_fma_f64 v[123:124], v[105:106], v[125:126], -v[123:124]
	v_add_f64 v[117:118], v[117:118], v[121:122]
	v_fma_f64 v[121:122], v[107:108], v[125:126], v[182:183]
	v_add_f64 v[6:7], v[6:7], v[129:130]
	s_clause 0x2
	buffer_load_dword v173, off, s[0:3], 0 offset:780
	buffer_load_dword v126, off, s[0:3], 0 offset:756
	buffer_load_dword v125, off, s[0:3], 0 offset:752
	s_waitcnt vmcnt(58) lgkmcnt(0)
	v_mul_f64 v[129:130], v[2:3], v[133:134]
	v_mul_f64 v[133:134], v[4:5], v[133:134]
	s_waitcnt vmcnt(56)
	v_fma_f64 v[131:132], v[109:110], v[137:138], -v[131:132]
	ds_read_b128 v[105:108], v1 offset:1312
	v_add_f64 v[117:118], v[117:118], v[123:124]
	v_fma_f64 v[123:124], v[111:112], v[137:138], v[188:189]
	v_add_f64 v[6:7], v[6:7], v[121:122]
	buffer_load_dword v188, off, s[0:3], 0 offset:772
	ds_read_b128 v[109:112], v1 offset:1328
	s_waitcnt vmcnt(53) lgkmcnt(1)
	v_mul_f64 v[137:138], v[107:108], v[139:140]
	s_waitcnt vmcnt(52)
	v_fma_f64 v[133:134], v[2:3], v[135:136], -v[133:134]
	v_mul_f64 v[121:122], v[105:106], v[139:140]
	v_fma_f64 v[129:130], v[4:5], v[135:136], v[129:130]
	ds_read_b128 v[2:5], v1 offset:1344
	v_add_f64 v[117:118], v[117:118], v[131:132]
	v_add_f64 v[6:7], v[6:7], v[123:124]
	s_waitcnt vmcnt(51) lgkmcnt(1)
	v_mul_f64 v[131:132], v[111:112], v[141:142]
	v_mul_f64 v[123:124], v[109:110], v[141:142]
	s_waitcnt vmcnt(49)
	v_fma_f64 v[135:136], v[105:106], v[145:146], -v[137:138]
	v_fma_f64 v[121:122], v[107:108], v[145:146], v[121:122]
	s_waitcnt vmcnt(45) lgkmcnt(0)
	v_mul_f64 v[139:140], v[4:5], v[147:148]
	v_mul_f64 v[137:138], v[2:3], v[147:148]
	v_add_f64 v[117:118], v[117:118], v[133:134]
	v_add_f64 v[6:7], v[6:7], v[129:130]
	s_clause 0x3
	buffer_load_dword v129, off, s[0:3], 0 offset:432
	buffer_load_dword v130, off, s[0:3], 0 offset:436
	;; [unrolled: 1-line block ×4, first 2 shown]
	s_waitcnt vmcnt(48)
	v_fma_f64 v[131:132], v[109:110], v[143:144], -v[131:132]
	ds_read_b128 v[105:108], v1 offset:1360
	v_fma_f64 v[123:124], v[111:112], v[143:144], v[123:124]
	ds_read_b128 v[109:112], v1 offset:1376
	s_waitcnt vmcnt(45)
	v_fma_f64 v[139:140], v[2:3], v[153:154], -v[139:140]
	v_add_f64 v[117:118], v[117:118], v[135:136]
	v_add_f64 v[6:7], v[6:7], v[121:122]
	s_waitcnt lgkmcnt(1)
	v_mul_f64 v[135:136], v[107:108], v[149:150]
	v_mul_f64 v[121:122], v[105:106], v[149:150]
	v_add_f64 v[117:118], v[117:118], v[131:132]
	v_fma_f64 v[131:132], v[4:5], v[153:154], v[137:138]
	v_add_f64 v[6:7], v[6:7], v[123:124]
	s_waitcnt vmcnt(41) lgkmcnt(0)
	v_mul_f64 v[137:138], v[111:112], v[155:156]
	s_waitcnt vmcnt(40)
	v_fma_f64 v[135:136], v[105:106], v[151:152], -v[135:136]
	ds_read_b128 v[2:5], v1 offset:1392
	v_mul_f64 v[123:124], v[109:110], v[155:156]
	v_fma_f64 v[121:122], v[107:108], v[151:152], v[121:122]
	ds_read_b128 v[105:108], v1 offset:1408
	v_add_f64 v[117:118], v[117:118], v[139:140]
	v_add_f64 v[6:7], v[6:7], v[131:132]
	s_waitcnt vmcnt(39) lgkmcnt(1)
	v_mul_f64 v[139:140], v[4:5], v[157:158]
	s_waitcnt vmcnt(37)
	v_fma_f64 v[137:138], v[109:110], v[161:162], -v[137:138]
	v_mul_f64 v[131:132], v[2:3], v[157:158]
	v_fma_f64 v[123:124], v[111:112], v[161:162], v[123:124]
	ds_read_b128 v[109:112], v1 offset:1424
	v_add_f64 v[117:118], v[117:118], v[135:136]
	s_waitcnt vmcnt(33) lgkmcnt(1)
	v_mul_f64 v[135:136], v[107:108], v[163:164]
	v_add_f64 v[6:7], v[6:7], v[121:122]
	s_waitcnt vmcnt(32)
	v_fma_f64 v[139:140], v[2:3], v[159:160], -v[139:140]
	v_mul_f64 v[121:122], v[105:106], v[163:164]
	v_fma_f64 v[131:132], v[4:5], v[159:160], v[131:132]
	ds_read_b128 v[2:5], v1 offset:1440
	v_add_f64 v[117:118], v[117:118], v[137:138]
	s_waitcnt vmcnt(31) lgkmcnt(1)
	v_mul_f64 v[137:138], v[111:112], v[166:167]
	v_add_f64 v[6:7], v[6:7], v[123:124]
	;; [unrolled: 9-line block ×3, first 2 shown]
	s_waitcnt vmcnt(24)
	v_fma_f64 v[137:138], v[109:110], v[168:169], -v[137:138]
	v_mul_f64 v[131:132], v[2:3], v[174:175]
	v_fma_f64 v[123:124], v[111:112], v[168:169], v[123:124]
	ds_read_b128 v[109:112], v1 offset:1472
	v_add_f64 v[117:118], v[117:118], v[135:136]
	v_add_f64 v[6:7], v[6:7], v[121:122]
	s_waitcnt vmcnt(23) lgkmcnt(1)
	v_mul_f64 v[135:136], v[107:108], v[176:177]
	v_mul_f64 v[121:122], v[105:106], v[176:177]
	s_waitcnt vmcnt(21)
	v_fma_f64 v[139:140], v[2:3], v[115:116], -v[139:140]
	v_fma_f64 v[115:116], v[4:5], v[115:116], v[131:132]
	ds_read_b128 v[2:5], v1 offset:1488
	v_add_f64 v[117:118], v[117:118], v[137:138]
	v_add_f64 v[6:7], v[6:7], v[123:124]
	s_waitcnt vmcnt(17) lgkmcnt(1)
	v_mul_f64 v[123:124], v[109:110], v[119:120]
	v_mul_f64 v[119:120], v[111:112], v[119:120]
	s_waitcnt vmcnt(16)
	v_fma_f64 v[131:132], v[105:106], v[178:179], -v[135:136]
	v_fma_f64 v[121:122], v[107:108], v[178:179], v[121:122]
	ds_read_b128 v[105:108], v1 offset:1504
	v_add_f64 v[117:118], v[117:118], v[139:140]
	v_add_f64 v[6:7], v[6:7], v[115:116]
	s_waitcnt vmcnt(15) lgkmcnt(1)
	v_mul_f64 v[135:136], v[4:5], v[180:181]
	v_mul_f64 v[115:116], v[2:3], v[180:181]
	s_waitcnt vmcnt(13)
	v_fma_f64 v[119:120], v[109:110], v[113:114], -v[119:120]
	v_fma_f64 v[113:114], v[111:112], v[113:114], v[123:124]
	ds_read_b128 v[109:112], v1 offset:1520
	v_add_f64 v[117:118], v[117:118], v[131:132]
	v_add_f64 v[6:7], v[6:7], v[121:122]
	s_waitcnt vmcnt(9) lgkmcnt(1)
	v_mul_f64 v[123:124], v[107:108], v[127:128]
	s_waitcnt vmcnt(8)
	v_fma_f64 v[2:3], v[2:3], v[185:186], -v[135:136]
	v_mul_f64 v[121:122], v[105:106], v[127:128]
	v_fma_f64 v[4:5], v[4:5], v[185:186], v[115:116]
	v_add_f64 v[117:118], v[117:118], v[119:120]
	v_add_f64 v[6:7], v[6:7], v[113:114]
	s_waitcnt vmcnt(7) lgkmcnt(0)
	v_mul_f64 v[115:116], v[111:112], v[172:173]
	v_mul_f64 v[113:114], v[109:110], v[172:173]
	s_waitcnt vmcnt(5)
	v_fma_f64 v[105:106], v[105:106], v[125:126], -v[123:124]
	v_fma_f64 v[107:108], v[107:108], v[125:126], v[121:122]
	v_add_f64 v[2:3], v[117:118], v[2:3]
	v_add_f64 v[4:5], v[6:7], v[4:5]
	s_waitcnt vmcnt(4)
	v_fma_f64 v[6:7], v[109:110], v[187:188], -v[115:116]
	v_add_f64 v[2:3], v[2:3], v[105:106]
	v_fma_f64 v[105:106], v[111:112], v[187:188], v[113:114]
	v_add_f64 v[4:5], v[4:5], v[107:108]
	v_add_f64 v[2:3], v[2:3], v[6:7]
	;; [unrolled: 1-line block ×3, first 2 shown]
	s_waitcnt vmcnt(2)
	v_add_f64 v[2:3], v[129:130], -v[2:3]
	s_waitcnt vmcnt(0)
	v_add_f64 v[4:5], v[133:134], -v[4:5]
	buffer_store_dword v3, off, s[0:3], 0 offset:436
	buffer_store_dword v2, off, s[0:3], 0 offset:432
	;; [unrolled: 1-line block ×4, first 2 shown]
	v_cmpx_lt_u32_e32 25, v0
	s_cbranch_execz .LBB111_251
; %bb.250:
	v_mov_b32_e32 v5, s35
	s_clause 0x3
	buffer_load_dword v2, v5, s[0:3], 0 offen
	buffer_load_dword v3, v5, s[0:3], 0 offen offset:4
	buffer_load_dword v4, v5, s[0:3], 0 offen offset:8
	;; [unrolled: 1-line block ×3, first 2 shown]
	buffer_store_dword v1, off, s[0:3], 0 offset:416
	buffer_store_dword v1, off, s[0:3], 0 offset:420
	buffer_store_dword v1, off, s[0:3], 0 offset:424
	buffer_store_dword v1, off, s[0:3], 0 offset:428
	s_waitcnt vmcnt(0)
	ds_write_b128 v165, v[2:5]
.LBB111_251:
	s_or_b32 exec_lo, exec_lo, s4
	s_waitcnt lgkmcnt(0)
	s_waitcnt_vscnt null, 0x0
	s_barrier
	buffer_gl0_inv
	s_clause 0x37
	buffer_load_dword v6, off, s[0:3], 0 offset:440
	buffer_load_dword v7, off, s[0:3], 0 offset:444
	;; [unrolled: 1-line block ×56, first 2 shown]
	ds_read_b128 v[2:5], v1 offset:1184
	s_clause 0x2
	buffer_load_dword v167, off, s[0:3], 0 offset:668
	buffer_load_dword v171, off, s[0:3], 0 offset:644
	;; [unrolled: 1-line block ×3, first 2 shown]
	ds_read_b128 v[105:108], v1 offset:1200
	s_clause 0x4
	buffer_load_dword v175, off, s[0:3], 0 offset:684
	buffer_load_dword v176, off, s[0:3], 0 offset:696
	;; [unrolled: 1-line block ×5, first 2 shown]
	ds_read_b128 v[109:112], v1 offset:1216
	s_mov_b32 s4, exec_lo
	s_waitcnt vmcnt(62) lgkmcnt(2)
	v_mul_f64 v[172:173], v[4:5], v[6:7]
	v_mul_f64 v[6:7], v[2:3], v[6:7]
	s_waitcnt vmcnt(60) lgkmcnt(1)
	v_mul_f64 v[179:180], v[107:108], v[113:114]
	v_mul_f64 v[113:114], v[105:106], v[113:114]
	;; [unrolled: 3-line block ×3, first 2 shown]
	v_fma_f64 v[172:173], v[2:3], v[115:116], -v[172:173]
	v_fma_f64 v[6:7], v[4:5], v[115:116], v[6:7]
	s_clause 0x2
	buffer_load_dword v177, off, s[0:3], 0 offset:700
	buffer_load_dword v116, off, s[0:3], 0 offset:676
	;; [unrolled: 1-line block ×3, first 2 shown]
	s_waitcnt vmcnt(57)
	v_fma_f64 v[183:184], v[105:106], v[119:120], -v[179:180]
	ds_read_b128 v[2:5], v1 offset:1232
	v_fma_f64 v[113:114], v[107:108], v[119:120], v[113:114]
	s_clause 0x4
	buffer_load_dword v120, off, s[0:3], 0 offset:716
	buffer_load_dword v180, off, s[0:3], 0 offset:728
	;; [unrolled: 1-line block ×5, first 2 shown]
	s_waitcnt vmcnt(56)
	v_fma_f64 v[117:118], v[109:110], v[127:128], -v[117:118]
	ds_read_b128 v[105:108], v1 offset:1248
	v_fma_f64 v[127:128], v[111:112], v[127:128], v[181:182]
	v_add_f64 v[172:173], v[172:173], 0
	v_add_f64 v[6:7], v[6:7], 0
	s_waitcnt lgkmcnt(1)
	v_mul_f64 v[186:187], v[2:3], v[121:122]
	v_mul_f64 v[121:122], v[4:5], v[121:122]
	v_add_f64 v[172:173], v[172:173], v[183:184]
	v_add_f64 v[6:7], v[6:7], v[113:114]
	s_clause 0x2
	buffer_load_dword v181, off, s[0:3], 0 offset:732
	buffer_load_dword v114, off, s[0:3], 0 offset:708
	;; [unrolled: 1-line block ×3, first 2 shown]
	s_waitcnt vmcnt(58) lgkmcnt(0)
	v_mul_f64 v[182:183], v[105:106], v[123:124]
	v_mul_f64 v[123:124], v[107:108], v[123:124]
	s_waitcnt vmcnt(56)
	v_fma_f64 v[121:122], v[2:3], v[129:130], -v[121:122]
	ds_read_b128 v[109:112], v1 offset:1264
	v_fma_f64 v[129:130], v[4:5], v[129:130], v[186:187]
	v_add_f64 v[117:118], v[172:173], v[117:118]
	v_add_f64 v[6:7], v[6:7], v[127:128]
	s_clause 0x4
	buffer_load_dword v128, off, s[0:3], 0 offset:748
	buffer_load_dword v172, off, s[0:3], 0 offset:760
	;; [unrolled: 1-line block ×5, first 2 shown]
	ds_read_b128 v[2:5], v1 offset:1280
	s_waitcnt vmcnt(57) lgkmcnt(1)
	v_mul_f64 v[188:189], v[109:110], v[131:132]
	v_mul_f64 v[131:132], v[111:112], v[131:132]
	s_waitcnt vmcnt(56)
	v_fma_f64 v[123:124], v[105:106], v[125:126], -v[123:124]
	v_add_f64 v[117:118], v[117:118], v[121:122]
	v_fma_f64 v[121:122], v[107:108], v[125:126], v[182:183]
	v_add_f64 v[6:7], v[6:7], v[129:130]
	s_clause 0x2
	buffer_load_dword v173, off, s[0:3], 0 offset:764
	buffer_load_dword v126, off, s[0:3], 0 offset:740
	;; [unrolled: 1-line block ×3, first 2 shown]
	s_waitcnt vmcnt(58) lgkmcnt(0)
	v_mul_f64 v[129:130], v[2:3], v[133:134]
	v_mul_f64 v[133:134], v[4:5], v[133:134]
	s_waitcnt vmcnt(56)
	v_fma_f64 v[131:132], v[109:110], v[137:138], -v[131:132]
	ds_read_b128 v[105:108], v1 offset:1296
	v_add_f64 v[117:118], v[117:118], v[123:124]
	v_fma_f64 v[123:124], v[111:112], v[137:138], v[188:189]
	v_add_f64 v[6:7], v[6:7], v[121:122]
	s_clause 0x2
	buffer_load_dword v122, off, s[0:3], 0 offset:780
	buffer_load_dword v121, off, s[0:3], 0 offset:776
	;; [unrolled: 1-line block ×3, first 2 shown]
	ds_read_b128 v[109:112], v1 offset:1312
	s_waitcnt vmcnt(55) lgkmcnt(1)
	v_mul_f64 v[137:138], v[105:106], v[139:140]
	v_mul_f64 v[139:140], v[107:108], v[139:140]
	s_waitcnt vmcnt(54)
	v_fma_f64 v[133:134], v[2:3], v[135:136], -v[133:134]
	v_fma_f64 v[129:130], v[4:5], v[135:136], v[129:130]
	v_add_f64 v[117:118], v[117:118], v[131:132]
	v_add_f64 v[6:7], v[6:7], v[123:124]
	s_clause 0x1
	buffer_load_dword v124, off, s[0:3], 0 offset:772
	buffer_load_dword v123, off, s[0:3], 0 offset:768
	s_waitcnt vmcnt(55) lgkmcnt(0)
	v_mul_f64 v[135:136], v[111:112], v[141:142]
	ds_read_b128 v[2:5], v1 offset:1328
	s_waitcnt vmcnt(53)
	v_fma_f64 v[139:140], v[105:106], v[145:146], -v[139:140]
	v_mul_f64 v[131:132], v[109:110], v[141:142]
	v_add_f64 v[117:118], v[117:118], v[133:134]
	v_fma_f64 v[133:134], v[107:108], v[145:146], v[137:138]
	v_add_f64 v[6:7], v[6:7], v[129:130]
	ds_read_b128 v[105:108], v1 offset:1344
	s_waitcnt vmcnt(49) lgkmcnt(1)
	v_mul_f64 v[137:138], v[4:5], v[147:148]
	s_waitcnt vmcnt(48)
	v_fma_f64 v[135:136], v[109:110], v[143:144], -v[135:136]
	v_mul_f64 v[129:130], v[2:3], v[147:148]
	v_fma_f64 v[131:132], v[111:112], v[143:144], v[131:132]
	v_add_f64 v[117:118], v[117:118], v[139:140]
	s_waitcnt vmcnt(47) lgkmcnt(0)
	v_mul_f64 v[143:144], v[107:108], v[149:150]
	v_add_f64 v[6:7], v[6:7], v[133:134]
	s_clause 0x3
	buffer_load_dword v133, off, s[0:3], 0 offset:416
	buffer_load_dword v134, off, s[0:3], 0 offset:420
	buffer_load_dword v139, off, s[0:3], 0 offset:424
	buffer_load_dword v140, off, s[0:3], 0 offset:428
	s_waitcnt vmcnt(49)
	v_fma_f64 v[137:138], v[2:3], v[153:154], -v[137:138]
	ds_read_b128 v[109:112], v1 offset:1360
	v_mul_f64 v[141:142], v[105:106], v[149:150]
	v_fma_f64 v[129:130], v[4:5], v[153:154], v[129:130]
	ds_read_b128 v[2:5], v1 offset:1376
	v_add_f64 v[117:118], v[117:118], v[135:136]
	s_waitcnt vmcnt(44)
	v_fma_f64 v[143:144], v[105:106], v[151:152], -v[143:144]
	v_add_f64 v[6:7], v[6:7], v[131:132]
	s_waitcnt lgkmcnt(1)
	v_mul_f64 v[135:136], v[111:112], v[155:156]
	v_mul_f64 v[131:132], v[109:110], v[155:156]
	v_add_f64 v[117:118], v[117:118], v[137:138]
	v_fma_f64 v[137:138], v[107:108], v[151:152], v[141:142]
	v_add_f64 v[6:7], v[6:7], v[129:130]
	s_waitcnt vmcnt(43) lgkmcnt(0)
	v_mul_f64 v[141:142], v[4:5], v[157:158]
	s_waitcnt vmcnt(41)
	v_fma_f64 v[135:136], v[109:110], v[161:162], -v[135:136]
	ds_read_b128 v[105:108], v1 offset:1392
	v_mul_f64 v[129:130], v[2:3], v[157:158]
	v_fma_f64 v[131:132], v[111:112], v[161:162], v[131:132]
	ds_read_b128 v[109:112], v1 offset:1408
	v_add_f64 v[117:118], v[117:118], v[143:144]
	v_add_f64 v[6:7], v[6:7], v[137:138]
	s_waitcnt vmcnt(37) lgkmcnt(1)
	v_mul_f64 v[143:144], v[107:108], v[163:164]
	s_waitcnt vmcnt(36)
	v_fma_f64 v[141:142], v[2:3], v[159:160], -v[141:142]
	v_mul_f64 v[137:138], v[105:106], v[163:164]
	v_fma_f64 v[129:130], v[4:5], v[159:160], v[129:130]
	ds_read_b128 v[2:5], v1 offset:1424
	v_add_f64 v[117:118], v[117:118], v[135:136]
	s_waitcnt vmcnt(35) lgkmcnt(1)
	v_mul_f64 v[135:136], v[111:112], v[166:167]
	v_add_f64 v[6:7], v[6:7], v[131:132]
	s_waitcnt vmcnt(33)
	v_fma_f64 v[143:144], v[105:106], v[170:171], -v[143:144]
	v_mul_f64 v[131:132], v[109:110], v[166:167]
	v_fma_f64 v[137:138], v[107:108], v[170:171], v[137:138]
	ds_read_b128 v[105:108], v1 offset:1440
	v_add_f64 v[117:118], v[117:118], v[141:142]
	s_waitcnt vmcnt(29) lgkmcnt(1)
	v_mul_f64 v[141:142], v[4:5], v[174:175]
	v_add_f64 v[6:7], v[6:7], v[129:130]
	s_waitcnt vmcnt(28)
	v_fma_f64 v[135:136], v[109:110], v[168:169], -v[135:136]
	v_mul_f64 v[129:130], v[2:3], v[174:175]
	v_fma_f64 v[131:132], v[111:112], v[168:169], v[131:132]
	ds_read_b128 v[109:112], v1 offset:1456
	v_add_f64 v[117:118], v[117:118], v[143:144]
	v_add_f64 v[6:7], v[6:7], v[137:138]
	s_waitcnt vmcnt(27) lgkmcnt(1)
	v_mul_f64 v[143:144], v[107:108], v[176:177]
	v_mul_f64 v[137:138], v[105:106], v[176:177]
	s_waitcnt vmcnt(25)
	v_fma_f64 v[141:142], v[2:3], v[115:116], -v[141:142]
	v_fma_f64 v[115:116], v[4:5], v[115:116], v[129:130]
	ds_read_b128 v[2:5], v1 offset:1472
	s_waitcnt vmcnt(21) lgkmcnt(1)
	v_mul_f64 v[129:130], v[109:110], v[119:120]
	v_mul_f64 v[119:120], v[111:112], v[119:120]
	v_add_f64 v[117:118], v[117:118], v[135:136]
	v_add_f64 v[6:7], v[6:7], v[131:132]
	s_waitcnt vmcnt(20)
	v_fma_f64 v[131:132], v[105:106], v[178:179], -v[143:144]
	v_fma_f64 v[135:136], v[107:108], v[178:179], v[137:138]
	ds_read_b128 v[105:108], v1 offset:1488
	v_add_f64 v[117:118], v[117:118], v[141:142]
	v_add_f64 v[6:7], v[6:7], v[115:116]
	s_waitcnt vmcnt(19) lgkmcnt(1)
	v_mul_f64 v[137:138], v[4:5], v[180:181]
	v_mul_f64 v[115:116], v[2:3], v[180:181]
	s_waitcnt vmcnt(17)
	v_fma_f64 v[119:120], v[109:110], v[113:114], -v[119:120]
	v_fma_f64 v[113:114], v[111:112], v[113:114], v[129:130]
	ds_read_b128 v[109:112], v1 offset:1504
	v_add_f64 v[117:118], v[117:118], v[131:132]
	v_add_f64 v[6:7], v[6:7], v[135:136]
	s_waitcnt vmcnt(13) lgkmcnt(1)
	v_mul_f64 v[129:130], v[105:106], v[127:128]
	v_mul_f64 v[127:128], v[107:108], v[127:128]
	;; [unrolled: 9-line block ×3, first 2 shown]
	s_waitcnt vmcnt(9)
	v_fma_f64 v[105:106], v[105:106], v[125:126], -v[127:128]
	v_fma_f64 v[107:108], v[107:108], v[125:126], v[129:130]
	v_add_f64 v[117:118], v[117:118], v[131:132]
	v_add_f64 v[5:6], v[5:6], v[115:116]
	s_waitcnt vmcnt(7) lgkmcnt(0)
	v_mul_f64 v[119:120], v[3:4], v[121:122]
	s_waitcnt vmcnt(6)
	v_fma_f64 v[109:110], v[109:110], v[187:188], -v[113:114]
	v_mul_f64 v[115:116], v[1:2], v[121:122]
	v_fma_f64 v[7:8], v[111:112], v[187:188], v[7:8]
	v_add_f64 v[105:106], v[117:118], v[105:106]
	v_add_f64 v[5:6], v[5:6], v[107:108]
	s_waitcnt vmcnt(4)
	v_fma_f64 v[1:2], v[1:2], v[123:124], -v[119:120]
	v_fma_f64 v[3:4], v[3:4], v[123:124], v[115:116]
	v_add_f64 v[105:106], v[105:106], v[109:110]
	v_add_f64 v[5:6], v[5:6], v[7:8]
	;; [unrolled: 1-line block ×4, first 2 shown]
	s_waitcnt vmcnt(2)
	v_add_f64 v[1:2], v[133:134], -v[1:2]
	s_waitcnt vmcnt(0)
	v_add_f64 v[3:4], v[139:140], -v[3:4]
	buffer_store_dword v2, off, s[0:3], 0 offset:420
	buffer_store_dword v1, off, s[0:3], 0 offset:416
	;; [unrolled: 1-line block ×4, first 2 shown]
	v_cmpx_lt_u32_e32 24, v0
	s_cbranch_execz .LBB111_253
; %bb.252:
	v_mov_b32_e32 v4, s36
	v_mov_b32_e32 v5, 0
	s_clause 0x3
	buffer_load_dword v1, v4, s[0:3], 0 offen
	buffer_load_dword v2, v4, s[0:3], 0 offen offset:4
	buffer_load_dword v3, v4, s[0:3], 0 offen offset:8
	;; [unrolled: 1-line block ×3, first 2 shown]
	buffer_store_dword v5, off, s[0:3], 0 offset:400
	buffer_store_dword v5, off, s[0:3], 0 offset:404
	;; [unrolled: 1-line block ×4, first 2 shown]
	s_waitcnt vmcnt(0)
	ds_write_b128 v165, v[1:4]
.LBB111_253:
	s_or_b32 exec_lo, exec_lo, s4
	s_waitcnt lgkmcnt(0)
	s_waitcnt_vscnt null, 0x0
	s_barrier
	buffer_gl0_inv
	s_clause 0x37
	buffer_load_dword v6, off, s[0:3], 0 offset:424
	buffer_load_dword v7, off, s[0:3], 0 offset:428
	;; [unrolled: 1-line block ×56, first 2 shown]
	v_mov_b32_e32 v1, 0
	s_mov_b32 s4, exec_lo
	ds_read_b128 v[2:5], v1 offset:1168
	s_clause 0x2
	buffer_load_dword v167, off, s[0:3], 0 offset:652
	buffer_load_dword v171, off, s[0:3], 0 offset:628
	;; [unrolled: 1-line block ×3, first 2 shown]
	ds_read_b128 v[105:108], v1 offset:1184
	s_clause 0x4
	buffer_load_dword v175, off, s[0:3], 0 offset:668
	buffer_load_dword v176, off, s[0:3], 0 offset:680
	;; [unrolled: 1-line block ×5, first 2 shown]
	ds_read_b128 v[109:112], v1 offset:1200
	s_waitcnt vmcnt(62) lgkmcnt(2)
	v_mul_f64 v[172:173], v[4:5], v[6:7]
	v_mul_f64 v[6:7], v[2:3], v[6:7]
	s_waitcnt vmcnt(60) lgkmcnt(1)
	v_mul_f64 v[179:180], v[107:108], v[113:114]
	v_mul_f64 v[113:114], v[105:106], v[113:114]
	;; [unrolled: 3-line block ×3, first 2 shown]
	v_fma_f64 v[172:173], v[2:3], v[115:116], -v[172:173]
	v_fma_f64 v[6:7], v[4:5], v[115:116], v[6:7]
	s_clause 0x2
	buffer_load_dword v177, off, s[0:3], 0 offset:684
	buffer_load_dword v116, off, s[0:3], 0 offset:660
	;; [unrolled: 1-line block ×3, first 2 shown]
	s_waitcnt vmcnt(57)
	v_fma_f64 v[183:184], v[105:106], v[119:120], -v[179:180]
	ds_read_b128 v[2:5], v1 offset:1216
	v_fma_f64 v[113:114], v[107:108], v[119:120], v[113:114]
	s_clause 0x4
	buffer_load_dword v120, off, s[0:3], 0 offset:700
	buffer_load_dword v180, off, s[0:3], 0 offset:712
	;; [unrolled: 1-line block ×5, first 2 shown]
	s_waitcnt vmcnt(56)
	v_fma_f64 v[117:118], v[109:110], v[127:128], -v[117:118]
	ds_read_b128 v[105:108], v1 offset:1232
	v_fma_f64 v[127:128], v[111:112], v[127:128], v[181:182]
	v_add_f64 v[172:173], v[172:173], 0
	v_add_f64 v[6:7], v[6:7], 0
	s_waitcnt lgkmcnt(1)
	v_mul_f64 v[186:187], v[2:3], v[121:122]
	v_mul_f64 v[121:122], v[4:5], v[121:122]
	v_add_f64 v[172:173], v[172:173], v[183:184]
	v_add_f64 v[6:7], v[6:7], v[113:114]
	s_clause 0x2
	buffer_load_dword v181, off, s[0:3], 0 offset:716
	buffer_load_dword v114, off, s[0:3], 0 offset:692
	;; [unrolled: 1-line block ×3, first 2 shown]
	s_waitcnt vmcnt(58) lgkmcnt(0)
	v_mul_f64 v[182:183], v[105:106], v[123:124]
	v_mul_f64 v[123:124], v[107:108], v[123:124]
	s_waitcnt vmcnt(56)
	v_fma_f64 v[121:122], v[2:3], v[129:130], -v[121:122]
	ds_read_b128 v[109:112], v1 offset:1248
	v_fma_f64 v[129:130], v[4:5], v[129:130], v[186:187]
	v_add_f64 v[117:118], v[172:173], v[117:118]
	v_add_f64 v[6:7], v[6:7], v[127:128]
	s_clause 0x4
	buffer_load_dword v128, off, s[0:3], 0 offset:732
	buffer_load_dword v172, off, s[0:3], 0 offset:744
	;; [unrolled: 1-line block ×5, first 2 shown]
	ds_read_b128 v[2:5], v1 offset:1264
	s_waitcnt vmcnt(57) lgkmcnt(1)
	v_mul_f64 v[188:189], v[109:110], v[131:132]
	v_mul_f64 v[131:132], v[111:112], v[131:132]
	s_waitcnt vmcnt(56)
	v_fma_f64 v[123:124], v[105:106], v[125:126], -v[123:124]
	v_add_f64 v[117:118], v[117:118], v[121:122]
	v_fma_f64 v[121:122], v[107:108], v[125:126], v[182:183]
	v_add_f64 v[6:7], v[6:7], v[129:130]
	s_clause 0x2
	buffer_load_dword v173, off, s[0:3], 0 offset:748
	buffer_load_dword v126, off, s[0:3], 0 offset:724
	;; [unrolled: 1-line block ×3, first 2 shown]
	s_waitcnt vmcnt(58) lgkmcnt(0)
	v_mul_f64 v[129:130], v[2:3], v[133:134]
	v_mul_f64 v[133:134], v[4:5], v[133:134]
	s_waitcnt vmcnt(56)
	v_fma_f64 v[131:132], v[109:110], v[137:138], -v[131:132]
	ds_read_b128 v[105:108], v1 offset:1280
	v_add_f64 v[117:118], v[117:118], v[123:124]
	v_fma_f64 v[123:124], v[111:112], v[137:138], v[188:189]
	v_add_f64 v[6:7], v[6:7], v[121:122]
	s_clause 0x4
	buffer_load_dword v122, off, s[0:3], 0 offset:764
	buffer_load_dword v137, off, s[0:3], 0 offset:776
	;; [unrolled: 1-line block ×5, first 2 shown]
	ds_read_b128 v[109:112], v1 offset:1296
	s_waitcnt vmcnt(57) lgkmcnt(1)
	v_mul_f64 v[183:184], v[105:106], v[139:140]
	v_mul_f64 v[139:140], v[107:108], v[139:140]
	s_waitcnt vmcnt(56)
	v_fma_f64 v[133:134], v[2:3], v[135:136], -v[133:134]
	v_fma_f64 v[129:130], v[4:5], v[135:136], v[129:130]
	v_add_f64 v[117:118], v[117:118], v[131:132]
	v_add_f64 v[6:7], v[6:7], v[123:124]
	s_clause 0x2
	buffer_load_dword v138, off, s[0:3], 0 offset:780
	buffer_load_dword v124, off, s[0:3], 0 offset:756
	;; [unrolled: 1-line block ×3, first 2 shown]
	s_waitcnt vmcnt(58) lgkmcnt(0)
	v_mul_f64 v[135:136], v[111:112], v[141:142]
	ds_read_b128 v[2:5], v1 offset:1312
	s_waitcnt vmcnt(56)
	v_fma_f64 v[139:140], v[105:106], v[145:146], -v[139:140]
	v_mul_f64 v[131:132], v[109:110], v[141:142]
	v_add_f64 v[117:118], v[117:118], v[133:134]
	v_fma_f64 v[133:134], v[107:108], v[145:146], v[183:184]
	v_add_f64 v[6:7], v[6:7], v[129:130]
	buffer_load_dword v183, off, s[0:3], 0 offset:772
	ds_read_b128 v[105:108], v1 offset:1328
	s_waitcnt vmcnt(53) lgkmcnt(1)
	v_mul_f64 v[141:142], v[4:5], v[147:148]
	s_waitcnt vmcnt(52)
	v_fma_f64 v[135:136], v[109:110], v[143:144], -v[135:136]
	v_mul_f64 v[129:130], v[2:3], v[147:148]
	v_fma_f64 v[131:132], v[111:112], v[143:144], v[131:132]
	ds_read_b128 v[109:112], v1 offset:1344
	v_add_f64 v[117:118], v[117:118], v[139:140]
	v_add_f64 v[6:7], v[6:7], v[133:134]
	s_waitcnt vmcnt(51) lgkmcnt(1)
	v_mul_f64 v[139:140], v[107:108], v[149:150]
	v_mul_f64 v[133:134], v[105:106], v[149:150]
	s_waitcnt vmcnt(49)
	v_fma_f64 v[141:142], v[2:3], v[153:154], -v[141:142]
	v_fma_f64 v[129:130], v[4:5], v[153:154], v[129:130]
	s_waitcnt vmcnt(45) lgkmcnt(0)
	v_mul_f64 v[145:146], v[111:112], v[155:156]
	v_mul_f64 v[143:144], v[109:110], v[155:156]
	v_add_f64 v[117:118], v[117:118], v[135:136]
	v_add_f64 v[6:7], v[6:7], v[131:132]
	s_clause 0x3
	buffer_load_dword v131, off, s[0:3], 0 offset:400
	buffer_load_dword v132, off, s[0:3], 0 offset:404
	;; [unrolled: 1-line block ×4, first 2 shown]
	s_waitcnt vmcnt(48)
	v_fma_f64 v[139:140], v[105:106], v[151:152], -v[139:140]
	ds_read_b128 v[2:5], v1 offset:1360
	v_fma_f64 v[133:134], v[107:108], v[151:152], v[133:134]
	ds_read_b128 v[105:108], v1 offset:1376
	s_waitcnt vmcnt(45)
	v_fma_f64 v[145:146], v[109:110], v[161:162], -v[145:146]
	v_add_f64 v[117:118], v[117:118], v[141:142]
	v_add_f64 v[6:7], v[6:7], v[129:130]
	s_waitcnt lgkmcnt(1)
	v_mul_f64 v[141:142], v[4:5], v[157:158]
	v_mul_f64 v[129:130], v[2:3], v[157:158]
	v_add_f64 v[117:118], v[117:118], v[139:140]
	v_fma_f64 v[139:140], v[111:112], v[161:162], v[143:144]
	v_add_f64 v[6:7], v[6:7], v[133:134]
	s_waitcnt vmcnt(41) lgkmcnt(0)
	v_mul_f64 v[143:144], v[107:108], v[163:164]
	s_waitcnt vmcnt(40)
	v_fma_f64 v[141:142], v[2:3], v[159:160], -v[141:142]
	ds_read_b128 v[109:112], v1 offset:1392
	v_mul_f64 v[133:134], v[105:106], v[163:164]
	v_fma_f64 v[129:130], v[4:5], v[159:160], v[129:130]
	ds_read_b128 v[2:5], v1 offset:1408
	v_add_f64 v[117:118], v[117:118], v[145:146]
	v_add_f64 v[6:7], v[6:7], v[139:140]
	s_waitcnt vmcnt(39) lgkmcnt(1)
	v_mul_f64 v[145:146], v[111:112], v[166:167]
	s_waitcnt vmcnt(37)
	v_fma_f64 v[143:144], v[105:106], v[170:171], -v[143:144]
	v_mul_f64 v[139:140], v[109:110], v[166:167]
	v_fma_f64 v[133:134], v[107:108], v[170:171], v[133:134]
	ds_read_b128 v[105:108], v1 offset:1424
	v_add_f64 v[117:118], v[117:118], v[141:142]
	s_waitcnt vmcnt(33) lgkmcnt(1)
	v_mul_f64 v[141:142], v[4:5], v[174:175]
	v_add_f64 v[6:7], v[6:7], v[129:130]
	s_waitcnt vmcnt(32)
	v_fma_f64 v[145:146], v[109:110], v[168:169], -v[145:146]
	v_mul_f64 v[129:130], v[2:3], v[174:175]
	v_fma_f64 v[139:140], v[111:112], v[168:169], v[139:140]
	ds_read_b128 v[109:112], v1 offset:1440
	v_add_f64 v[117:118], v[117:118], v[143:144]
	v_add_f64 v[6:7], v[6:7], v[133:134]
	s_waitcnt vmcnt(31) lgkmcnt(1)
	v_mul_f64 v[143:144], v[107:108], v[176:177]
	v_mul_f64 v[133:134], v[105:106], v[176:177]
	s_waitcnt vmcnt(29)
	v_fma_f64 v[141:142], v[2:3], v[115:116], -v[141:142]
	v_fma_f64 v[115:116], v[4:5], v[115:116], v[129:130]
	ds_read_b128 v[2:5], v1 offset:1456
	s_waitcnt vmcnt(25) lgkmcnt(1)
	v_mul_f64 v[129:130], v[109:110], v[119:120]
	v_mul_f64 v[119:120], v[111:112], v[119:120]
	v_add_f64 v[117:118], v[117:118], v[145:146]
	v_add_f64 v[6:7], v[6:7], v[139:140]
	s_waitcnt vmcnt(24)
	v_fma_f64 v[139:140], v[105:106], v[178:179], -v[143:144]
	v_fma_f64 v[133:134], v[107:108], v[178:179], v[133:134]
	ds_read_b128 v[105:108], v1 offset:1472
	v_add_f64 v[117:118], v[117:118], v[141:142]
	v_add_f64 v[6:7], v[6:7], v[115:116]
	s_waitcnt vmcnt(23) lgkmcnt(1)
	v_mul_f64 v[141:142], v[4:5], v[180:181]
	v_mul_f64 v[115:116], v[2:3], v[180:181]
	s_waitcnt vmcnt(21)
	v_fma_f64 v[119:120], v[109:110], v[113:114], -v[119:120]
	v_fma_f64 v[113:114], v[111:112], v[113:114], v[129:130]
	ds_read_b128 v[109:112], v1 offset:1488
	v_add_f64 v[117:118], v[117:118], v[139:140]
	v_add_f64 v[6:7], v[6:7], v[133:134]
	s_waitcnt vmcnt(17) lgkmcnt(1)
	v_mul_f64 v[129:130], v[105:106], v[127:128]
	v_mul_f64 v[127:128], v[107:108], v[127:128]
	;; [unrolled: 9-line block ×4, first 2 shown]
	s_waitcnt vmcnt(8)
	v_fma_f64 v[109:110], v[109:110], v[187:188], -v[119:120]
	v_fma_f64 v[111:112], v[111:112], v[187:188], v[113:114]
	v_add_f64 v[117:118], v[117:118], v[127:128]
	v_add_f64 v[6:7], v[6:7], v[125:126]
	s_waitcnt vmcnt(7) lgkmcnt(0)
	v_mul_f64 v[119:120], v[107:108], v[137:138]
	v_mul_f64 v[113:114], v[105:106], v[137:138]
	s_waitcnt vmcnt(5)
	v_fma_f64 v[2:3], v[2:3], v[123:124], -v[121:122]
	v_fma_f64 v[4:5], v[4:5], v[123:124], v[115:116]
	v_add_f64 v[109:110], v[117:118], v[109:110]
	v_add_f64 v[6:7], v[6:7], v[111:112]
	s_waitcnt vmcnt(4)
	v_fma_f64 v[105:106], v[105:106], v[182:183], -v[119:120]
	v_fma_f64 v[107:108], v[107:108], v[182:183], v[113:114]
	v_add_f64 v[2:3], v[109:110], v[2:3]
	v_add_f64 v[4:5], v[6:7], v[4:5]
	;; [unrolled: 1-line block ×4, first 2 shown]
	s_waitcnt vmcnt(2)
	v_add_f64 v[2:3], v[131:132], -v[2:3]
	s_waitcnt vmcnt(0)
	v_add_f64 v[4:5], v[135:136], -v[4:5]
	buffer_store_dword v3, off, s[0:3], 0 offset:404
	buffer_store_dword v2, off, s[0:3], 0 offset:400
	;; [unrolled: 1-line block ×4, first 2 shown]
	v_cmpx_lt_u32_e32 23, v0
	s_cbranch_execz .LBB111_255
; %bb.254:
	v_mov_b32_e32 v5, s37
	s_clause 0x3
	buffer_load_dword v2, v5, s[0:3], 0 offen
	buffer_load_dword v3, v5, s[0:3], 0 offen offset:4
	buffer_load_dword v4, v5, s[0:3], 0 offen offset:8
	;; [unrolled: 1-line block ×3, first 2 shown]
	buffer_store_dword v1, off, s[0:3], 0 offset:384
	buffer_store_dword v1, off, s[0:3], 0 offset:388
	;; [unrolled: 1-line block ×4, first 2 shown]
	s_waitcnt vmcnt(0)
	ds_write_b128 v165, v[2:5]
.LBB111_255:
	s_or_b32 exec_lo, exec_lo, s4
	s_waitcnt lgkmcnt(0)
	s_waitcnt_vscnt null, 0x0
	s_barrier
	buffer_gl0_inv
	s_clause 0x37
	buffer_load_dword v6, off, s[0:3], 0 offset:408
	buffer_load_dword v7, off, s[0:3], 0 offset:412
	;; [unrolled: 1-line block ×56, first 2 shown]
	ds_read_b128 v[2:5], v1 offset:1152
	s_clause 0x2
	buffer_load_dword v167, off, s[0:3], 0 offset:636
	buffer_load_dword v171, off, s[0:3], 0 offset:612
	;; [unrolled: 1-line block ×3, first 2 shown]
	ds_read_b128 v[105:108], v1 offset:1168
	s_clause 0x4
	buffer_load_dword v175, off, s[0:3], 0 offset:652
	buffer_load_dword v176, off, s[0:3], 0 offset:664
	;; [unrolled: 1-line block ×5, first 2 shown]
	ds_read_b128 v[109:112], v1 offset:1184
	s_mov_b32 s4, exec_lo
	s_waitcnt vmcnt(62) lgkmcnt(2)
	v_mul_f64 v[172:173], v[4:5], v[6:7]
	v_mul_f64 v[6:7], v[2:3], v[6:7]
	s_waitcnt vmcnt(60) lgkmcnt(1)
	v_mul_f64 v[179:180], v[107:108], v[113:114]
	v_mul_f64 v[113:114], v[105:106], v[113:114]
	;; [unrolled: 3-line block ×3, first 2 shown]
	v_fma_f64 v[172:173], v[2:3], v[115:116], -v[172:173]
	v_fma_f64 v[6:7], v[4:5], v[115:116], v[6:7]
	s_clause 0x2
	buffer_load_dword v177, off, s[0:3], 0 offset:668
	buffer_load_dword v116, off, s[0:3], 0 offset:644
	buffer_load_dword v115, off, s[0:3], 0 offset:640
	s_waitcnt vmcnt(57)
	v_fma_f64 v[183:184], v[105:106], v[119:120], -v[179:180]
	ds_read_b128 v[2:5], v1 offset:1200
	v_fma_f64 v[113:114], v[107:108], v[119:120], v[113:114]
	s_clause 0x4
	buffer_load_dword v120, off, s[0:3], 0 offset:684
	buffer_load_dword v180, off, s[0:3], 0 offset:696
	;; [unrolled: 1-line block ×5, first 2 shown]
	s_waitcnt vmcnt(56)
	v_fma_f64 v[117:118], v[109:110], v[127:128], -v[117:118]
	ds_read_b128 v[105:108], v1 offset:1216
	v_fma_f64 v[127:128], v[111:112], v[127:128], v[181:182]
	v_add_f64 v[172:173], v[172:173], 0
	v_add_f64 v[6:7], v[6:7], 0
	s_waitcnt lgkmcnt(1)
	v_mul_f64 v[186:187], v[2:3], v[121:122]
	v_mul_f64 v[121:122], v[4:5], v[121:122]
	v_add_f64 v[172:173], v[172:173], v[183:184]
	v_add_f64 v[6:7], v[6:7], v[113:114]
	s_clause 0x2
	buffer_load_dword v181, off, s[0:3], 0 offset:700
	buffer_load_dword v114, off, s[0:3], 0 offset:676
	;; [unrolled: 1-line block ×3, first 2 shown]
	s_waitcnt vmcnt(58) lgkmcnt(0)
	v_mul_f64 v[182:183], v[105:106], v[123:124]
	v_mul_f64 v[123:124], v[107:108], v[123:124]
	s_waitcnt vmcnt(56)
	v_fma_f64 v[121:122], v[2:3], v[129:130], -v[121:122]
	ds_read_b128 v[109:112], v1 offset:1232
	v_fma_f64 v[129:130], v[4:5], v[129:130], v[186:187]
	v_add_f64 v[117:118], v[172:173], v[117:118]
	v_add_f64 v[6:7], v[6:7], v[127:128]
	s_clause 0x4
	buffer_load_dword v128, off, s[0:3], 0 offset:716
	buffer_load_dword v172, off, s[0:3], 0 offset:728
	;; [unrolled: 1-line block ×5, first 2 shown]
	ds_read_b128 v[2:5], v1 offset:1248
	s_waitcnt vmcnt(57) lgkmcnt(1)
	v_mul_f64 v[188:189], v[109:110], v[131:132]
	v_mul_f64 v[131:132], v[111:112], v[131:132]
	s_waitcnt vmcnt(56)
	v_fma_f64 v[123:124], v[105:106], v[125:126], -v[123:124]
	v_add_f64 v[117:118], v[117:118], v[121:122]
	v_fma_f64 v[121:122], v[107:108], v[125:126], v[182:183]
	v_add_f64 v[6:7], v[6:7], v[129:130]
	s_clause 0x2
	buffer_load_dword v173, off, s[0:3], 0 offset:732
	buffer_load_dword v126, off, s[0:3], 0 offset:708
	;; [unrolled: 1-line block ×3, first 2 shown]
	s_waitcnt vmcnt(58) lgkmcnt(0)
	v_mul_f64 v[129:130], v[2:3], v[133:134]
	v_mul_f64 v[133:134], v[4:5], v[133:134]
	s_waitcnt vmcnt(56)
	v_fma_f64 v[131:132], v[109:110], v[137:138], -v[131:132]
	ds_read_b128 v[105:108], v1 offset:1264
	v_add_f64 v[117:118], v[117:118], v[123:124]
	v_fma_f64 v[123:124], v[111:112], v[137:138], v[188:189]
	v_add_f64 v[6:7], v[6:7], v[121:122]
	s_clause 0x4
	buffer_load_dword v122, off, s[0:3], 0 offset:748
	buffer_load_dword v137, off, s[0:3], 0 offset:760
	buffer_load_dword v182, off, s[0:3], 0 offset:752
	buffer_load_dword v121, off, s[0:3], 0 offset:744
	buffer_load_dword v188, off, s[0:3], 0 offset:724
	ds_read_b128 v[109:112], v1 offset:1280
	s_waitcnt vmcnt(57) lgkmcnt(1)
	v_mul_f64 v[183:184], v[105:106], v[139:140]
	v_mul_f64 v[139:140], v[107:108], v[139:140]
	s_waitcnt vmcnt(56)
	v_fma_f64 v[133:134], v[2:3], v[135:136], -v[133:134]
	v_fma_f64 v[129:130], v[4:5], v[135:136], v[129:130]
	v_add_f64 v[117:118], v[117:118], v[131:132]
	v_add_f64 v[6:7], v[6:7], v[123:124]
	s_clause 0x2
	buffer_load_dword v138, off, s[0:3], 0 offset:764
	buffer_load_dword v124, off, s[0:3], 0 offset:740
	;; [unrolled: 1-line block ×3, first 2 shown]
	s_waitcnt vmcnt(58) lgkmcnt(0)
	v_mul_f64 v[135:136], v[111:112], v[141:142]
	ds_read_b128 v[2:5], v1 offset:1296
	s_waitcnt vmcnt(56)
	v_fma_f64 v[139:140], v[105:106], v[145:146], -v[139:140]
	v_mul_f64 v[131:132], v[109:110], v[141:142]
	v_add_f64 v[117:118], v[117:118], v[133:134]
	v_fma_f64 v[133:134], v[107:108], v[145:146], v[183:184]
	v_add_f64 v[6:7], v[6:7], v[129:130]
	s_clause 0x2
	buffer_load_dword v130, off, s[0:3], 0 offset:780
	buffer_load_dword v129, off, s[0:3], 0 offset:776
	;; [unrolled: 1-line block ×3, first 2 shown]
	s_waitcnt vmcnt(55) lgkmcnt(0)
	v_mul_f64 v[145:146], v[4:5], v[147:148]
	s_waitcnt vmcnt(54)
	v_fma_f64 v[135:136], v[109:110], v[143:144], -v[135:136]
	ds_read_b128 v[105:108], v1 offset:1312
	v_mul_f64 v[141:142], v[2:3], v[147:148]
	v_fma_f64 v[131:132], v[111:112], v[143:144], v[131:132]
	v_add_f64 v[117:118], v[117:118], v[139:140]
	v_add_f64 v[6:7], v[6:7], v[133:134]
	s_clause 0x1
	buffer_load_dword v134, off, s[0:3], 0 offset:772
	buffer_load_dword v133, off, s[0:3], 0 offset:768
	s_waitcnt vmcnt(55) lgkmcnt(0)
	v_mul_f64 v[143:144], v[107:108], v[149:150]
	s_waitcnt vmcnt(53)
	v_fma_f64 v[145:146], v[2:3], v[153:154], -v[145:146]
	ds_read_b128 v[109:112], v1 offset:1328
	v_mul_f64 v[139:140], v[105:106], v[149:150]
	v_add_f64 v[117:118], v[117:118], v[135:136]
	v_fma_f64 v[135:136], v[4:5], v[153:154], v[141:142]
	v_add_f64 v[6:7], v[6:7], v[131:132]
	ds_read_b128 v[2:5], v1 offset:1344
	s_waitcnt vmcnt(49) lgkmcnt(1)
	v_mul_f64 v[141:142], v[111:112], v[155:156]
	s_waitcnt vmcnt(48)
	v_fma_f64 v[143:144], v[105:106], v[151:152], -v[143:144]
	v_mul_f64 v[131:132], v[109:110], v[155:156]
	v_fma_f64 v[139:140], v[107:108], v[151:152], v[139:140]
	v_add_f64 v[117:118], v[117:118], v[145:146]
	s_waitcnt vmcnt(47) lgkmcnt(0)
	v_mul_f64 v[149:150], v[4:5], v[157:158]
	v_add_f64 v[6:7], v[6:7], v[135:136]
	s_clause 0x3
	buffer_load_dword v135, off, s[0:3], 0 offset:384
	buffer_load_dword v136, off, s[0:3], 0 offset:388
	;; [unrolled: 1-line block ×4, first 2 shown]
	s_waitcnt vmcnt(49)
	v_fma_f64 v[141:142], v[109:110], v[161:162], -v[141:142]
	ds_read_b128 v[105:108], v1 offset:1360
	v_mul_f64 v[147:148], v[2:3], v[157:158]
	v_fma_f64 v[131:132], v[111:112], v[161:162], v[131:132]
	ds_read_b128 v[109:112], v1 offset:1376
	v_add_f64 v[117:118], v[117:118], v[143:144]
	s_waitcnt vmcnt(44)
	v_fma_f64 v[149:150], v[2:3], v[159:160], -v[149:150]
	v_add_f64 v[6:7], v[6:7], v[139:140]
	s_waitcnt lgkmcnt(1)
	v_mul_f64 v[143:144], v[107:108], v[163:164]
	v_mul_f64 v[139:140], v[105:106], v[163:164]
	v_add_f64 v[117:118], v[117:118], v[141:142]
	v_fma_f64 v[141:142], v[4:5], v[159:160], v[147:148]
	v_add_f64 v[6:7], v[6:7], v[131:132]
	s_waitcnt vmcnt(43) lgkmcnt(0)
	v_mul_f64 v[147:148], v[111:112], v[166:167]
	s_waitcnt vmcnt(41)
	v_fma_f64 v[143:144], v[105:106], v[170:171], -v[143:144]
	ds_read_b128 v[2:5], v1 offset:1392
	v_mul_f64 v[131:132], v[109:110], v[166:167]
	v_fma_f64 v[139:140], v[107:108], v[170:171], v[139:140]
	ds_read_b128 v[105:108], v1 offset:1408
	v_add_f64 v[117:118], v[117:118], v[149:150]
	v_add_f64 v[6:7], v[6:7], v[141:142]
	s_waitcnt vmcnt(37) lgkmcnt(1)
	v_mul_f64 v[149:150], v[4:5], v[174:175]
	s_waitcnt vmcnt(36)
	v_fma_f64 v[147:148], v[109:110], v[168:169], -v[147:148]
	v_mul_f64 v[141:142], v[2:3], v[174:175]
	v_fma_f64 v[131:132], v[111:112], v[168:169], v[131:132]
	ds_read_b128 v[109:112], v1 offset:1424
	v_add_f64 v[117:118], v[117:118], v[143:144]
	v_add_f64 v[6:7], v[6:7], v[139:140]
	s_waitcnt vmcnt(35) lgkmcnt(1)
	v_mul_f64 v[143:144], v[107:108], v[176:177]
	v_mul_f64 v[139:140], v[105:106], v[176:177]
	s_waitcnt vmcnt(33)
	v_fma_f64 v[149:150], v[2:3], v[115:116], -v[149:150]
	v_fma_f64 v[115:116], v[4:5], v[115:116], v[141:142]
	ds_read_b128 v[2:5], v1 offset:1440
	v_add_f64 v[117:118], v[117:118], v[147:148]
	v_add_f64 v[6:7], v[6:7], v[131:132]
	s_waitcnt vmcnt(29) lgkmcnt(1)
	v_mul_f64 v[131:132], v[109:110], v[119:120]
	v_mul_f64 v[119:120], v[111:112], v[119:120]
	s_waitcnt vmcnt(28)
	v_fma_f64 v[141:142], v[105:106], v[178:179], -v[143:144]
	;; [unrolled: 9-line block ×7, first 2 shown]
	v_fma_f64 v[3:4], v[4:5], v[123:124], v[115:116]
	v_add_f64 v[117:118], v[117:118], v[119:120]
	v_add_f64 v[5:6], v[6:7], v[113:114]
	s_waitcnt vmcnt(7) lgkmcnt(0)
	v_mul_f64 v[113:114], v[111:112], v[129:130]
	s_waitcnt vmcnt(6)
	v_fma_f64 v[105:106], v[105:106], v[182:183], -v[127:128]
	v_mul_f64 v[7:8], v[109:110], v[129:130]
	v_fma_f64 v[107:108], v[107:108], v[182:183], v[125:126]
	v_add_f64 v[1:2], v[117:118], v[1:2]
	v_add_f64 v[3:4], v[5:6], v[3:4]
	s_waitcnt vmcnt(4)
	v_fma_f64 v[5:6], v[109:110], v[133:134], -v[113:114]
	v_fma_f64 v[7:8], v[111:112], v[133:134], v[7:8]
	v_add_f64 v[1:2], v[1:2], v[105:106]
	v_add_f64 v[3:4], v[3:4], v[107:108]
	;; [unrolled: 1-line block ×4, first 2 shown]
	s_waitcnt vmcnt(2)
	v_add_f64 v[1:2], v[135:136], -v[1:2]
	s_waitcnt vmcnt(0)
	v_add_f64 v[3:4], v[145:146], -v[3:4]
	buffer_store_dword v2, off, s[0:3], 0 offset:388
	buffer_store_dword v1, off, s[0:3], 0 offset:384
	;; [unrolled: 1-line block ×4, first 2 shown]
	v_cmpx_lt_u32_e32 22, v0
	s_cbranch_execz .LBB111_257
; %bb.256:
	v_mov_b32_e32 v4, s38
	v_mov_b32_e32 v5, 0
	s_clause 0x3
	buffer_load_dword v1, v4, s[0:3], 0 offen
	buffer_load_dword v2, v4, s[0:3], 0 offen offset:4
	buffer_load_dword v3, v4, s[0:3], 0 offen offset:8
	;; [unrolled: 1-line block ×3, first 2 shown]
	buffer_store_dword v5, off, s[0:3], 0 offset:368
	buffer_store_dword v5, off, s[0:3], 0 offset:372
	;; [unrolled: 1-line block ×4, first 2 shown]
	s_waitcnt vmcnt(0)
	ds_write_b128 v165, v[1:4]
.LBB111_257:
	s_or_b32 exec_lo, exec_lo, s4
	s_waitcnt lgkmcnt(0)
	s_waitcnt_vscnt null, 0x0
	s_barrier
	buffer_gl0_inv
	s_clause 0x37
	buffer_load_dword v6, off, s[0:3], 0 offset:392
	buffer_load_dword v7, off, s[0:3], 0 offset:396
	;; [unrolled: 1-line block ×56, first 2 shown]
	v_mov_b32_e32 v1, 0
	s_mov_b32 s4, exec_lo
	ds_read_b128 v[2:5], v1 offset:1136
	s_clause 0x2
	buffer_load_dword v167, off, s[0:3], 0 offset:620
	buffer_load_dword v171, off, s[0:3], 0 offset:596
	;; [unrolled: 1-line block ×3, first 2 shown]
	ds_read_b128 v[105:108], v1 offset:1152
	s_clause 0x4
	buffer_load_dword v175, off, s[0:3], 0 offset:636
	buffer_load_dword v176, off, s[0:3], 0 offset:648
	;; [unrolled: 1-line block ×5, first 2 shown]
	ds_read_b128 v[109:112], v1 offset:1168
	s_waitcnt vmcnt(62) lgkmcnt(2)
	v_mul_f64 v[172:173], v[4:5], v[6:7]
	v_mul_f64 v[6:7], v[2:3], v[6:7]
	s_waitcnt vmcnt(60) lgkmcnt(1)
	v_mul_f64 v[179:180], v[107:108], v[113:114]
	v_mul_f64 v[113:114], v[105:106], v[113:114]
	;; [unrolled: 3-line block ×3, first 2 shown]
	v_fma_f64 v[172:173], v[2:3], v[115:116], -v[172:173]
	v_fma_f64 v[6:7], v[4:5], v[115:116], v[6:7]
	s_clause 0x2
	buffer_load_dword v177, off, s[0:3], 0 offset:652
	buffer_load_dword v116, off, s[0:3], 0 offset:628
	;; [unrolled: 1-line block ×3, first 2 shown]
	s_waitcnt vmcnt(57)
	v_fma_f64 v[183:184], v[105:106], v[119:120], -v[179:180]
	ds_read_b128 v[2:5], v1 offset:1184
	v_fma_f64 v[113:114], v[107:108], v[119:120], v[113:114]
	s_clause 0x4
	buffer_load_dword v120, off, s[0:3], 0 offset:668
	buffer_load_dword v180, off, s[0:3], 0 offset:680
	;; [unrolled: 1-line block ×5, first 2 shown]
	s_waitcnt vmcnt(56)
	v_fma_f64 v[117:118], v[109:110], v[127:128], -v[117:118]
	ds_read_b128 v[105:108], v1 offset:1200
	v_fma_f64 v[127:128], v[111:112], v[127:128], v[181:182]
	v_add_f64 v[172:173], v[172:173], 0
	v_add_f64 v[6:7], v[6:7], 0
	s_waitcnt lgkmcnt(1)
	v_mul_f64 v[186:187], v[2:3], v[121:122]
	v_mul_f64 v[121:122], v[4:5], v[121:122]
	v_add_f64 v[172:173], v[172:173], v[183:184]
	v_add_f64 v[6:7], v[6:7], v[113:114]
	s_clause 0x2
	buffer_load_dword v181, off, s[0:3], 0 offset:684
	buffer_load_dword v114, off, s[0:3], 0 offset:660
	;; [unrolled: 1-line block ×3, first 2 shown]
	s_waitcnt vmcnt(58) lgkmcnt(0)
	v_mul_f64 v[182:183], v[105:106], v[123:124]
	v_mul_f64 v[123:124], v[107:108], v[123:124]
	s_waitcnt vmcnt(56)
	v_fma_f64 v[121:122], v[2:3], v[129:130], -v[121:122]
	ds_read_b128 v[109:112], v1 offset:1216
	v_fma_f64 v[129:130], v[4:5], v[129:130], v[186:187]
	v_add_f64 v[117:118], v[172:173], v[117:118]
	v_add_f64 v[6:7], v[6:7], v[127:128]
	s_clause 0x4
	buffer_load_dword v128, off, s[0:3], 0 offset:700
	buffer_load_dword v172, off, s[0:3], 0 offset:712
	;; [unrolled: 1-line block ×5, first 2 shown]
	ds_read_b128 v[2:5], v1 offset:1232
	s_waitcnt vmcnt(57) lgkmcnt(1)
	v_mul_f64 v[188:189], v[109:110], v[131:132]
	v_mul_f64 v[131:132], v[111:112], v[131:132]
	s_waitcnt vmcnt(56)
	v_fma_f64 v[123:124], v[105:106], v[125:126], -v[123:124]
	v_add_f64 v[117:118], v[117:118], v[121:122]
	v_fma_f64 v[121:122], v[107:108], v[125:126], v[182:183]
	v_add_f64 v[6:7], v[6:7], v[129:130]
	s_clause 0x2
	buffer_load_dword v173, off, s[0:3], 0 offset:716
	buffer_load_dword v126, off, s[0:3], 0 offset:692
	buffer_load_dword v125, off, s[0:3], 0 offset:688
	s_waitcnt vmcnt(58) lgkmcnt(0)
	v_mul_f64 v[129:130], v[2:3], v[133:134]
	v_mul_f64 v[133:134], v[4:5], v[133:134]
	s_waitcnt vmcnt(56)
	v_fma_f64 v[131:132], v[109:110], v[137:138], -v[131:132]
	ds_read_b128 v[105:108], v1 offset:1248
	v_add_f64 v[117:118], v[117:118], v[123:124]
	v_fma_f64 v[123:124], v[111:112], v[137:138], v[188:189]
	v_add_f64 v[6:7], v[6:7], v[121:122]
	s_clause 0x4
	buffer_load_dword v122, off, s[0:3], 0 offset:732
	buffer_load_dword v137, off, s[0:3], 0 offset:744
	;; [unrolled: 1-line block ×5, first 2 shown]
	ds_read_b128 v[109:112], v1 offset:1264
	s_waitcnt vmcnt(57) lgkmcnt(1)
	v_mul_f64 v[183:184], v[105:106], v[139:140]
	v_mul_f64 v[139:140], v[107:108], v[139:140]
	s_waitcnt vmcnt(56)
	v_fma_f64 v[133:134], v[2:3], v[135:136], -v[133:134]
	v_fma_f64 v[129:130], v[4:5], v[135:136], v[129:130]
	v_add_f64 v[117:118], v[117:118], v[131:132]
	v_add_f64 v[6:7], v[6:7], v[123:124]
	s_clause 0x2
	buffer_load_dword v138, off, s[0:3], 0 offset:748
	buffer_load_dword v124, off, s[0:3], 0 offset:724
	;; [unrolled: 1-line block ×3, first 2 shown]
	s_waitcnt vmcnt(58) lgkmcnt(0)
	v_mul_f64 v[135:136], v[111:112], v[141:142]
	ds_read_b128 v[2:5], v1 offset:1280
	s_waitcnt vmcnt(56)
	v_fma_f64 v[139:140], v[105:106], v[145:146], -v[139:140]
	v_mul_f64 v[131:132], v[109:110], v[141:142]
	v_add_f64 v[117:118], v[117:118], v[133:134]
	v_fma_f64 v[133:134], v[107:108], v[145:146], v[183:184]
	v_add_f64 v[6:7], v[6:7], v[129:130]
	s_clause 0x4
	buffer_load_dword v130, off, s[0:3], 0 offset:764
	buffer_load_dword v141, off, s[0:3], 0 offset:776
	buffer_load_dword v145, off, s[0:3], 0 offset:768
	buffer_load_dword v129, off, s[0:3], 0 offset:760
	buffer_load_dword v183, off, s[0:3], 0 offset:740
	s_waitcnt vmcnt(57) lgkmcnt(0)
	v_mul_f64 v[189:190], v[2:3], v[147:148]
	v_mul_f64 v[146:147], v[4:5], v[147:148]
	s_waitcnt vmcnt(56)
	v_fma_f64 v[135:136], v[109:110], v[143:144], -v[135:136]
	ds_read_b128 v[105:108], v1 offset:1296
	v_fma_f64 v[131:132], v[111:112], v[143:144], v[131:132]
	v_add_f64 v[117:118], v[117:118], v[139:140]
	v_add_f64 v[6:7], v[6:7], v[133:134]
	s_clause 0x2
	buffer_load_dword v142, off, s[0:3], 0 offset:780
	buffer_load_dword v134, off, s[0:3], 0 offset:756
	;; [unrolled: 1-line block ×3, first 2 shown]
	ds_read_b128 v[109:112], v1 offset:1312
	s_waitcnt vmcnt(58) lgkmcnt(1)
	v_mul_f64 v[143:144], v[107:108], v[149:150]
	s_waitcnt vmcnt(56)
	v_fma_f64 v[147:148], v[2:3], v[153:154], -v[146:147]
	v_mul_f64 v[139:140], v[105:106], v[149:150]
	buffer_load_dword v146, off, s[0:3], 0 offset:772
	v_add_f64 v[117:118], v[117:118], v[135:136]
	v_fma_f64 v[135:136], v[4:5], v[153:154], v[189:190]
	v_add_f64 v[6:7], v[6:7], v[131:132]
	ds_read_b128 v[2:5], v1 offset:1328
	s_waitcnt vmcnt(53) lgkmcnt(1)
	v_mul_f64 v[149:150], v[111:112], v[155:156]
	s_waitcnt vmcnt(52)
	v_fma_f64 v[143:144], v[105:106], v[151:152], -v[143:144]
	v_mul_f64 v[131:132], v[109:110], v[155:156]
	v_fma_f64 v[139:140], v[107:108], v[151:152], v[139:140]
	ds_read_b128 v[105:108], v1 offset:1344
	v_add_f64 v[117:118], v[117:118], v[147:148]
	s_waitcnt vmcnt(51) lgkmcnt(1)
	v_mul_f64 v[147:148], v[4:5], v[157:158]
	v_add_f64 v[6:7], v[6:7], v[135:136]
	v_mul_f64 v[135:136], v[2:3], v[157:158]
	s_waitcnt vmcnt(49)
	v_fma_f64 v[149:150], v[109:110], v[161:162], -v[149:150]
	v_fma_f64 v[131:132], v[111:112], v[161:162], v[131:132]
	s_waitcnt vmcnt(45) lgkmcnt(0)
	v_mul_f64 v[153:154], v[107:108], v[163:164]
	v_mul_f64 v[151:152], v[105:106], v[163:164]
	v_add_f64 v[117:118], v[117:118], v[143:144]
	s_waitcnt vmcnt(44)
	v_fma_f64 v[147:148], v[2:3], v[159:160], -v[147:148]
	v_add_f64 v[6:7], v[6:7], v[139:140]
	s_clause 0x3
	buffer_load_dword v139, off, s[0:3], 0 offset:368
	buffer_load_dword v140, off, s[0:3], 0 offset:372
	buffer_load_dword v143, off, s[0:3], 0 offset:376
	buffer_load_dword v144, off, s[0:3], 0 offset:380
	ds_read_b128 v[109:112], v1 offset:1360
	v_fma_f64 v[135:136], v[4:5], v[159:160], v[135:136]
	ds_read_b128 v[2:5], v1 offset:1376
	s_waitcnt vmcnt(45)
	v_fma_f64 v[153:154], v[105:106], v[170:171], -v[153:154]
	v_add_f64 v[117:118], v[117:118], v[149:150]
	v_add_f64 v[6:7], v[6:7], v[131:132]
	s_waitcnt lgkmcnt(1)
	v_mul_f64 v[149:150], v[111:112], v[166:167]
	v_mul_f64 v[131:132], v[109:110], v[166:167]
	v_add_f64 v[117:118], v[117:118], v[147:148]
	v_fma_f64 v[147:148], v[107:108], v[170:171], v[151:152]
	v_add_f64 v[6:7], v[6:7], v[135:136]
	s_waitcnt vmcnt(41) lgkmcnt(0)
	v_mul_f64 v[151:152], v[4:5], v[174:175]
	s_waitcnt vmcnt(40)
	v_fma_f64 v[149:150], v[109:110], v[168:169], -v[149:150]
	ds_read_b128 v[105:108], v1 offset:1392
	v_mul_f64 v[135:136], v[2:3], v[174:175]
	v_fma_f64 v[131:132], v[111:112], v[168:169], v[131:132]
	ds_read_b128 v[109:112], v1 offset:1408
	v_add_f64 v[117:118], v[117:118], v[153:154]
	v_add_f64 v[6:7], v[6:7], v[147:148]
	s_waitcnt vmcnt(39) lgkmcnt(1)
	v_mul_f64 v[153:154], v[107:108], v[176:177]
	v_mul_f64 v[147:148], v[105:106], v[176:177]
	s_waitcnt vmcnt(37)
	v_fma_f64 v[151:152], v[2:3], v[115:116], -v[151:152]
	v_fma_f64 v[115:116], v[4:5], v[115:116], v[135:136]
	ds_read_b128 v[2:5], v1 offset:1424
	v_add_f64 v[117:118], v[117:118], v[149:150]
	v_add_f64 v[6:7], v[6:7], v[131:132]
	s_waitcnt vmcnt(33) lgkmcnt(1)
	v_mul_f64 v[131:132], v[109:110], v[119:120]
	v_mul_f64 v[119:120], v[111:112], v[119:120]
	s_waitcnt vmcnt(32)
	v_fma_f64 v[135:136], v[105:106], v[178:179], -v[153:154]
	;; [unrolled: 9-line block ×7, first 2 shown]
	v_fma_f64 v[115:116], v[4:5], v[123:124], v[115:116]
	ds_read_b128 v[2:5], v1 offset:1520
	v_add_f64 v[117:118], v[117:118], v[119:120]
	v_add_f64 v[6:7], v[6:7], v[113:114]
	s_waitcnt vmcnt(9) lgkmcnt(1)
	v_mul_f64 v[119:120], v[111:112], v[129:130]
	s_waitcnt vmcnt(8)
	v_fma_f64 v[105:106], v[105:106], v[182:183], -v[127:128]
	v_mul_f64 v[113:114], v[109:110], v[129:130]
	v_fma_f64 v[107:108], v[107:108], v[182:183], v[125:126]
	v_add_f64 v[117:118], v[117:118], v[121:122]
	v_add_f64 v[6:7], v[6:7], v[115:116]
	s_waitcnt vmcnt(7) lgkmcnt(0)
	v_mul_f64 v[121:122], v[4:5], v[141:142]
	v_mul_f64 v[115:116], v[2:3], v[141:142]
	s_waitcnt vmcnt(5)
	v_fma_f64 v[109:110], v[109:110], v[133:134], -v[119:120]
	v_fma_f64 v[111:112], v[111:112], v[133:134], v[113:114]
	v_add_f64 v[105:106], v[117:118], v[105:106]
	v_add_f64 v[6:7], v[6:7], v[107:108]
	s_waitcnt vmcnt(4)
	v_fma_f64 v[2:3], v[2:3], v[145:146], -v[121:122]
	v_fma_f64 v[4:5], v[4:5], v[145:146], v[115:116]
	v_add_f64 v[105:106], v[105:106], v[109:110]
	v_add_f64 v[6:7], v[6:7], v[111:112]
	;; [unrolled: 1-line block ×4, first 2 shown]
	s_waitcnt vmcnt(2)
	v_add_f64 v[2:3], v[139:140], -v[2:3]
	s_waitcnt vmcnt(0)
	v_add_f64 v[4:5], v[143:144], -v[4:5]
	buffer_store_dword v3, off, s[0:3], 0 offset:372
	buffer_store_dword v2, off, s[0:3], 0 offset:368
	;; [unrolled: 1-line block ×4, first 2 shown]
	v_cmpx_lt_u32_e32 21, v0
	s_cbranch_execz .LBB111_259
; %bb.258:
	v_mov_b32_e32 v5, s39
	s_clause 0x3
	buffer_load_dword v2, v5, s[0:3], 0 offen
	buffer_load_dword v3, v5, s[0:3], 0 offen offset:4
	buffer_load_dword v4, v5, s[0:3], 0 offen offset:8
	;; [unrolled: 1-line block ×3, first 2 shown]
	buffer_store_dword v1, off, s[0:3], 0 offset:352
	buffer_store_dword v1, off, s[0:3], 0 offset:356
	;; [unrolled: 1-line block ×4, first 2 shown]
	s_waitcnt vmcnt(0)
	ds_write_b128 v165, v[2:5]
.LBB111_259:
	s_or_b32 exec_lo, exec_lo, s4
	s_waitcnt lgkmcnt(0)
	s_waitcnt_vscnt null, 0x0
	s_barrier
	buffer_gl0_inv
	s_clause 0x37
	buffer_load_dword v6, off, s[0:3], 0 offset:376
	buffer_load_dword v7, off, s[0:3], 0 offset:380
	;; [unrolled: 1-line block ×56, first 2 shown]
	ds_read_b128 v[2:5], v1 offset:1120
	s_clause 0x2
	buffer_load_dword v167, off, s[0:3], 0 offset:604
	buffer_load_dword v171, off, s[0:3], 0 offset:580
	;; [unrolled: 1-line block ×3, first 2 shown]
	ds_read_b128 v[105:108], v1 offset:1136
	s_clause 0x4
	buffer_load_dword v175, off, s[0:3], 0 offset:620
	buffer_load_dword v176, off, s[0:3], 0 offset:632
	;; [unrolled: 1-line block ×5, first 2 shown]
	ds_read_b128 v[109:112], v1 offset:1152
	s_mov_b32 s4, exec_lo
	s_waitcnt vmcnt(62) lgkmcnt(2)
	v_mul_f64 v[172:173], v[4:5], v[6:7]
	v_mul_f64 v[6:7], v[2:3], v[6:7]
	s_waitcnt vmcnt(60) lgkmcnt(1)
	v_mul_f64 v[179:180], v[107:108], v[113:114]
	v_mul_f64 v[113:114], v[105:106], v[113:114]
	;; [unrolled: 3-line block ×3, first 2 shown]
	v_fma_f64 v[172:173], v[2:3], v[115:116], -v[172:173]
	v_fma_f64 v[6:7], v[4:5], v[115:116], v[6:7]
	s_clause 0x2
	buffer_load_dword v177, off, s[0:3], 0 offset:636
	buffer_load_dword v116, off, s[0:3], 0 offset:612
	;; [unrolled: 1-line block ×3, first 2 shown]
	s_waitcnt vmcnt(57)
	v_fma_f64 v[183:184], v[105:106], v[119:120], -v[179:180]
	ds_read_b128 v[2:5], v1 offset:1168
	v_fma_f64 v[113:114], v[107:108], v[119:120], v[113:114]
	s_clause 0x4
	buffer_load_dword v120, off, s[0:3], 0 offset:652
	buffer_load_dword v180, off, s[0:3], 0 offset:664
	buffer_load_dword v185, off, s[0:3], 0 offset:656
	buffer_load_dword v119, off, s[0:3], 0 offset:648
	buffer_load_dword v179, off, s[0:3], 0 offset:628
	s_waitcnt vmcnt(56)
	v_fma_f64 v[117:118], v[109:110], v[127:128], -v[117:118]
	ds_read_b128 v[105:108], v1 offset:1184
	v_fma_f64 v[127:128], v[111:112], v[127:128], v[181:182]
	v_add_f64 v[172:173], v[172:173], 0
	v_add_f64 v[6:7], v[6:7], 0
	s_waitcnt lgkmcnt(1)
	v_mul_f64 v[186:187], v[2:3], v[121:122]
	v_mul_f64 v[121:122], v[4:5], v[121:122]
	v_add_f64 v[172:173], v[172:173], v[183:184]
	v_add_f64 v[6:7], v[6:7], v[113:114]
	s_clause 0x2
	buffer_load_dword v181, off, s[0:3], 0 offset:668
	buffer_load_dword v114, off, s[0:3], 0 offset:644
	;; [unrolled: 1-line block ×3, first 2 shown]
	s_waitcnt vmcnt(58) lgkmcnt(0)
	v_mul_f64 v[182:183], v[105:106], v[123:124]
	v_mul_f64 v[123:124], v[107:108], v[123:124]
	s_waitcnt vmcnt(56)
	v_fma_f64 v[121:122], v[2:3], v[129:130], -v[121:122]
	ds_read_b128 v[109:112], v1 offset:1200
	v_fma_f64 v[129:130], v[4:5], v[129:130], v[186:187]
	v_add_f64 v[117:118], v[172:173], v[117:118]
	v_add_f64 v[6:7], v[6:7], v[127:128]
	s_clause 0x4
	buffer_load_dword v128, off, s[0:3], 0 offset:684
	buffer_load_dword v172, off, s[0:3], 0 offset:696
	buffer_load_dword v187, off, s[0:3], 0 offset:688
	buffer_load_dword v127, off, s[0:3], 0 offset:680
	buffer_load_dword v186, off, s[0:3], 0 offset:660
	ds_read_b128 v[2:5], v1 offset:1216
	s_waitcnt vmcnt(57) lgkmcnt(1)
	v_mul_f64 v[188:189], v[109:110], v[131:132]
	v_mul_f64 v[131:132], v[111:112], v[131:132]
	s_waitcnt vmcnt(56)
	v_fma_f64 v[123:124], v[105:106], v[125:126], -v[123:124]
	v_add_f64 v[117:118], v[117:118], v[121:122]
	v_fma_f64 v[121:122], v[107:108], v[125:126], v[182:183]
	v_add_f64 v[6:7], v[6:7], v[129:130]
	s_clause 0x2
	buffer_load_dword v173, off, s[0:3], 0 offset:700
	buffer_load_dword v126, off, s[0:3], 0 offset:676
	;; [unrolled: 1-line block ×3, first 2 shown]
	s_waitcnt vmcnt(58) lgkmcnt(0)
	v_mul_f64 v[129:130], v[2:3], v[133:134]
	v_mul_f64 v[133:134], v[4:5], v[133:134]
	s_waitcnt vmcnt(56)
	v_fma_f64 v[131:132], v[109:110], v[137:138], -v[131:132]
	ds_read_b128 v[105:108], v1 offset:1232
	v_add_f64 v[117:118], v[117:118], v[123:124]
	v_fma_f64 v[123:124], v[111:112], v[137:138], v[188:189]
	v_add_f64 v[6:7], v[6:7], v[121:122]
	s_clause 0x4
	buffer_load_dword v122, off, s[0:3], 0 offset:716
	buffer_load_dword v137, off, s[0:3], 0 offset:728
	;; [unrolled: 1-line block ×5, first 2 shown]
	ds_read_b128 v[109:112], v1 offset:1248
	s_waitcnt vmcnt(57) lgkmcnt(1)
	v_mul_f64 v[183:184], v[105:106], v[139:140]
	v_mul_f64 v[139:140], v[107:108], v[139:140]
	s_waitcnt vmcnt(56)
	v_fma_f64 v[133:134], v[2:3], v[135:136], -v[133:134]
	v_fma_f64 v[129:130], v[4:5], v[135:136], v[129:130]
	v_add_f64 v[117:118], v[117:118], v[131:132]
	v_add_f64 v[6:7], v[6:7], v[123:124]
	s_clause 0x2
	buffer_load_dword v138, off, s[0:3], 0 offset:732
	buffer_load_dword v124, off, s[0:3], 0 offset:708
	;; [unrolled: 1-line block ×3, first 2 shown]
	s_waitcnt vmcnt(58) lgkmcnt(0)
	v_mul_f64 v[135:136], v[111:112], v[141:142]
	ds_read_b128 v[2:5], v1 offset:1264
	s_waitcnt vmcnt(56)
	v_fma_f64 v[139:140], v[105:106], v[145:146], -v[139:140]
	v_mul_f64 v[131:132], v[109:110], v[141:142]
	v_add_f64 v[117:118], v[117:118], v[133:134]
	v_fma_f64 v[133:134], v[107:108], v[145:146], v[183:184]
	v_add_f64 v[6:7], v[6:7], v[129:130]
	s_clause 0x4
	buffer_load_dword v130, off, s[0:3], 0 offset:748
	buffer_load_dword v141, off, s[0:3], 0 offset:760
	;; [unrolled: 1-line block ×5, first 2 shown]
	s_waitcnt vmcnt(57) lgkmcnt(0)
	v_mul_f64 v[189:190], v[2:3], v[147:148]
	v_mul_f64 v[146:147], v[4:5], v[147:148]
	s_waitcnt vmcnt(56)
	v_fma_f64 v[135:136], v[109:110], v[143:144], -v[135:136]
	ds_read_b128 v[105:108], v1 offset:1280
	v_fma_f64 v[131:132], v[111:112], v[143:144], v[131:132]
	v_add_f64 v[117:118], v[117:118], v[139:140]
	v_add_f64 v[6:7], v[6:7], v[133:134]
	s_clause 0x2
	buffer_load_dword v142, off, s[0:3], 0 offset:764
	buffer_load_dword v134, off, s[0:3], 0 offset:740
	;; [unrolled: 1-line block ×3, first 2 shown]
	ds_read_b128 v[109:112], v1 offset:1296
	s_waitcnt vmcnt(58) lgkmcnt(1)
	v_mul_f64 v[143:144], v[107:108], v[149:150]
	s_waitcnt vmcnt(56)
	v_fma_f64 v[147:148], v[2:3], v[153:154], -v[146:147]
	v_mul_f64 v[139:140], v[105:106], v[149:150]
	v_add_f64 v[117:118], v[117:118], v[135:136]
	v_fma_f64 v[135:136], v[4:5], v[153:154], v[189:190]
	v_add_f64 v[6:7], v[6:7], v[131:132]
	s_clause 0x2
	buffer_load_dword v132, off, s[0:3], 0 offset:780
	buffer_load_dword v131, off, s[0:3], 0 offset:776
	;; [unrolled: 1-line block ×3, first 2 shown]
	s_waitcnt vmcnt(55) lgkmcnt(0)
	v_mul_f64 v[153:154], v[111:112], v[155:156]
	s_waitcnt vmcnt(54)
	v_fma_f64 v[143:144], v[105:106], v[151:152], -v[143:144]
	ds_read_b128 v[2:5], v1 offset:1312
	v_mul_f64 v[149:150], v[109:110], v[155:156]
	v_fma_f64 v[139:140], v[107:108], v[151:152], v[139:140]
	v_add_f64 v[117:118], v[117:118], v[147:148]
	v_add_f64 v[6:7], v[6:7], v[135:136]
	s_clause 0x1
	buffer_load_dword v136, off, s[0:3], 0 offset:772
	buffer_load_dword v135, off, s[0:3], 0 offset:768
	s_waitcnt vmcnt(55) lgkmcnt(0)
	v_mul_f64 v[151:152], v[4:5], v[157:158]
	s_waitcnt vmcnt(53)
	v_fma_f64 v[153:154], v[109:110], v[161:162], -v[153:154]
	ds_read_b128 v[105:108], v1 offset:1328
	v_mul_f64 v[147:148], v[2:3], v[157:158]
	v_add_f64 v[117:118], v[117:118], v[143:144]
	v_fma_f64 v[143:144], v[111:112], v[161:162], v[149:150]
	v_add_f64 v[6:7], v[6:7], v[139:140]
	ds_read_b128 v[109:112], v1 offset:1344
	s_waitcnt vmcnt(49) lgkmcnt(1)
	v_mul_f64 v[149:150], v[107:108], v[163:164]
	s_waitcnt vmcnt(48)
	v_fma_f64 v[151:152], v[2:3], v[159:160], -v[151:152]
	v_mul_f64 v[139:140], v[105:106], v[163:164]
	v_fma_f64 v[147:148], v[4:5], v[159:160], v[147:148]
	v_add_f64 v[117:118], v[117:118], v[153:154]
	s_waitcnt vmcnt(47) lgkmcnt(0)
	v_mul_f64 v[157:158], v[111:112], v[166:167]
	v_add_f64 v[6:7], v[6:7], v[143:144]
	s_clause 0x3
	buffer_load_dword v143, off, s[0:3], 0 offset:352
	buffer_load_dword v144, off, s[0:3], 0 offset:356
	;; [unrolled: 1-line block ×4, first 2 shown]
	s_waitcnt vmcnt(49)
	v_fma_f64 v[149:150], v[105:106], v[170:171], -v[149:150]
	ds_read_b128 v[2:5], v1 offset:1360
	v_mul_f64 v[155:156], v[109:110], v[166:167]
	v_fma_f64 v[139:140], v[107:108], v[170:171], v[139:140]
	ds_read_b128 v[105:108], v1 offset:1376
	v_add_f64 v[117:118], v[117:118], v[151:152]
	s_waitcnt vmcnt(44)
	v_fma_f64 v[157:158], v[109:110], v[168:169], -v[157:158]
	v_add_f64 v[6:7], v[6:7], v[147:148]
	s_waitcnt lgkmcnt(1)
	v_mul_f64 v[151:152], v[4:5], v[174:175]
	v_mul_f64 v[147:148], v[2:3], v[174:175]
	v_add_f64 v[117:118], v[117:118], v[149:150]
	v_fma_f64 v[149:150], v[111:112], v[168:169], v[155:156]
	v_add_f64 v[6:7], v[6:7], v[139:140]
	ds_read_b128 v[109:112], v1 offset:1392
	s_waitcnt vmcnt(43) lgkmcnt(1)
	v_mul_f64 v[155:156], v[107:108], v[176:177]
	v_mul_f64 v[139:140], v[105:106], v[176:177]
	s_waitcnt vmcnt(41)
	v_fma_f64 v[151:152], v[2:3], v[115:116], -v[151:152]
	v_fma_f64 v[115:116], v[4:5], v[115:116], v[147:148]
	ds_read_b128 v[2:5], v1 offset:1408
	v_add_f64 v[117:118], v[117:118], v[157:158]
	s_waitcnt vmcnt(37) lgkmcnt(1)
	v_mul_f64 v[147:148], v[109:110], v[119:120]
	v_add_f64 v[6:7], v[6:7], v[149:150]
	v_mul_f64 v[119:120], v[111:112], v[119:120]
	s_waitcnt vmcnt(36)
	v_fma_f64 v[149:150], v[105:106], v[178:179], -v[155:156]
	v_fma_f64 v[139:140], v[107:108], v[178:179], v[139:140]
	ds_read_b128 v[105:108], v1 offset:1424
	v_add_f64 v[117:118], v[117:118], v[151:152]
	v_add_f64 v[6:7], v[6:7], v[115:116]
	s_waitcnt vmcnt(35) lgkmcnt(1)
	v_mul_f64 v[151:152], v[4:5], v[180:181]
	v_mul_f64 v[115:116], v[2:3], v[180:181]
	s_waitcnt vmcnt(33)
	v_fma_f64 v[119:120], v[109:110], v[113:114], -v[119:120]
	v_fma_f64 v[113:114], v[111:112], v[113:114], v[147:148]
	ds_read_b128 v[109:112], v1 offset:1440
	v_add_f64 v[117:118], v[117:118], v[149:150]
	v_add_f64 v[6:7], v[6:7], v[139:140]
	s_waitcnt vmcnt(29) lgkmcnt(1)
	v_mul_f64 v[139:140], v[105:106], v[127:128]
	;; [unrolled: 9-line block ×6, first 2 shown]
	s_waitcnt vmcnt(12)
	v_fma_f64 v[123:124], v[105:106], v[182:183], -v[127:128]
	v_mul_f64 v[113:114], v[109:110], v[129:130]
	v_add_f64 v[117:118], v[117:118], v[121:122]
	v_fma_f64 v[121:122], v[107:108], v[182:183], v[125:126]
	v_add_f64 v[6:7], v[6:7], v[115:116]
	ds_read_b128 v[105:108], v1 offset:1520
	s_waitcnt vmcnt(11) lgkmcnt(1)
	v_mul_f64 v[125:126], v[4:5], v[141:142]
	v_mul_f64 v[115:116], v[2:3], v[141:142]
	s_waitcnt vmcnt(9)
	v_fma_f64 v[109:110], v[109:110], v[133:134], -v[119:120]
	v_fma_f64 v[111:112], v[111:112], v[133:134], v[113:114]
	v_add_f64 v[117:118], v[117:118], v[123:124]
	v_add_f64 v[6:7], v[6:7], v[121:122]
	s_waitcnt vmcnt(7) lgkmcnt(0)
	v_mul_f64 v[119:120], v[107:108], v[131:132]
	s_waitcnt vmcnt(6)
	v_fma_f64 v[1:2], v[2:3], v[145:146], -v[125:126]
	v_mul_f64 v[113:114], v[105:106], v[131:132]
	v_fma_f64 v[3:4], v[4:5], v[145:146], v[115:116]
	v_add_f64 v[109:110], v[117:118], v[109:110]
	v_add_f64 v[5:6], v[6:7], v[111:112]
	s_waitcnt vmcnt(4)
	v_fma_f64 v[7:8], v[105:106], v[135:136], -v[119:120]
	v_fma_f64 v[105:106], v[107:108], v[135:136], v[113:114]
	v_add_f64 v[1:2], v[109:110], v[1:2]
	v_add_f64 v[3:4], v[5:6], v[3:4]
	;; [unrolled: 1-line block ×4, first 2 shown]
	s_waitcnt vmcnt(2)
	v_add_f64 v[1:2], v[143:144], -v[1:2]
	s_waitcnt vmcnt(0)
	v_add_f64 v[3:4], v[153:154], -v[3:4]
	buffer_store_dword v2, off, s[0:3], 0 offset:356
	buffer_store_dword v1, off, s[0:3], 0 offset:352
	;; [unrolled: 1-line block ×4, first 2 shown]
	v_cmpx_lt_u32_e32 20, v0
	s_cbranch_execz .LBB111_261
; %bb.260:
	v_mov_b32_e32 v4, s40
	v_mov_b32_e32 v5, 0
	s_clause 0x3
	buffer_load_dword v1, v4, s[0:3], 0 offen
	buffer_load_dword v2, v4, s[0:3], 0 offen offset:4
	buffer_load_dword v3, v4, s[0:3], 0 offen offset:8
	buffer_load_dword v4, v4, s[0:3], 0 offen offset:12
	buffer_store_dword v5, off, s[0:3], 0 offset:336
	buffer_store_dword v5, off, s[0:3], 0 offset:340
	buffer_store_dword v5, off, s[0:3], 0 offset:344
	buffer_store_dword v5, off, s[0:3], 0 offset:348
	s_waitcnt vmcnt(0)
	ds_write_b128 v165, v[1:4]
.LBB111_261:
	s_or_b32 exec_lo, exec_lo, s4
	s_waitcnt lgkmcnt(0)
	s_waitcnt_vscnt null, 0x0
	s_barrier
	buffer_gl0_inv
	s_clause 0x37
	buffer_load_dword v6, off, s[0:3], 0 offset:360
	buffer_load_dword v7, off, s[0:3], 0 offset:364
	buffer_load_dword v113, off, s[0:3], 0 offset:376
	buffer_load_dword v114, off, s[0:3], 0 offset:380
	buffer_load_dword v115, off, s[0:3], 0 offset:352
	buffer_load_dword v116, off, s[0:3], 0 offset:356
	buffer_load_dword v117, off, s[0:3], 0 offset:392
	buffer_load_dword v118, off, s[0:3], 0 offset:396
	buffer_load_dword v119, off, s[0:3], 0 offset:368
	buffer_load_dword v120, off, s[0:3], 0 offset:372
	buffer_load_dword v122, off, s[0:3], 0 offset:412
	buffer_load_dword v123, off, s[0:3], 0 offset:424
	buffer_load_dword v125, off, s[0:3], 0 offset:416
	buffer_load_dword v121, off, s[0:3], 0 offset:408
	buffer_load_dword v127, off, s[0:3], 0 offset:384
	buffer_load_dword v128, off, s[0:3], 0 offset:388
	buffer_load_dword v124, off, s[0:3], 0 offset:428
	buffer_load_dword v130, off, s[0:3], 0 offset:404
	buffer_load_dword v129, off, s[0:3], 0 offset:400
	buffer_load_dword v132, off, s[0:3], 0 offset:444
	buffer_load_dword v133, off, s[0:3], 0 offset:456
	buffer_load_dword v135, off, s[0:3], 0 offset:448
	buffer_load_dword v131, off, s[0:3], 0 offset:440
	buffer_load_dword v126, off, s[0:3], 0 offset:420
	buffer_load_dword v134, off, s[0:3], 0 offset:460
	buffer_load_dword v138, off, s[0:3], 0 offset:436
	buffer_load_dword v137, off, s[0:3], 0 offset:432
	buffer_load_dword v140, off, s[0:3], 0 offset:476
	buffer_load_dword v141, off, s[0:3], 0 offset:488
	buffer_load_dword v143, off, s[0:3], 0 offset:480
	buffer_load_dword v139, off, s[0:3], 0 offset:472
	buffer_load_dword v136, off, s[0:3], 0 offset:452
	buffer_load_dword v142, off, s[0:3], 0 offset:492
	buffer_load_dword v146, off, s[0:3], 0 offset:468
	buffer_load_dword v145, off, s[0:3], 0 offset:464
	buffer_load_dword v148, off, s[0:3], 0 offset:508
	buffer_load_dword v149, off, s[0:3], 0 offset:520
	buffer_load_dword v151, off, s[0:3], 0 offset:512
	buffer_load_dword v147, off, s[0:3], 0 offset:504
	buffer_load_dword v144, off, s[0:3], 0 offset:484
	buffer_load_dword v150, off, s[0:3], 0 offset:524
	buffer_load_dword v154, off, s[0:3], 0 offset:500
	buffer_load_dword v153, off, s[0:3], 0 offset:496
	buffer_load_dword v156, off, s[0:3], 0 offset:540
	buffer_load_dword v157, off, s[0:3], 0 offset:552
	buffer_load_dword v159, off, s[0:3], 0 offset:544
	buffer_load_dword v155, off, s[0:3], 0 offset:536
	buffer_load_dword v152, off, s[0:3], 0 offset:516
	buffer_load_dword v158, off, s[0:3], 0 offset:556
	buffer_load_dword v162, off, s[0:3], 0 offset:532
	buffer_load_dword v161, off, s[0:3], 0 offset:528
	buffer_load_dword v164, off, s[0:3], 0 offset:572
	buffer_load_dword v166, off, s[0:3], 0 offset:584
	buffer_load_dword v168, off, s[0:3], 0 offset:576
	buffer_load_dword v163, off, s[0:3], 0 offset:568
	buffer_load_dword v160, off, s[0:3], 0 offset:548
	v_mov_b32_e32 v1, 0
	s_mov_b32 s4, exec_lo
	ds_read_b128 v[2:5], v1 offset:1104
	s_clause 0x2
	buffer_load_dword v167, off, s[0:3], 0 offset:588
	buffer_load_dword v171, off, s[0:3], 0 offset:564
	;; [unrolled: 1-line block ×3, first 2 shown]
	ds_read_b128 v[105:108], v1 offset:1120
	s_clause 0x4
	buffer_load_dword v175, off, s[0:3], 0 offset:604
	buffer_load_dword v176, off, s[0:3], 0 offset:616
	;; [unrolled: 1-line block ×5, first 2 shown]
	ds_read_b128 v[109:112], v1 offset:1136
	s_waitcnt vmcnt(62) lgkmcnt(2)
	v_mul_f64 v[172:173], v[4:5], v[6:7]
	v_mul_f64 v[6:7], v[2:3], v[6:7]
	s_waitcnt vmcnt(60) lgkmcnt(1)
	v_mul_f64 v[179:180], v[107:108], v[113:114]
	v_mul_f64 v[113:114], v[105:106], v[113:114]
	;; [unrolled: 3-line block ×3, first 2 shown]
	v_fma_f64 v[172:173], v[2:3], v[115:116], -v[172:173]
	v_fma_f64 v[6:7], v[4:5], v[115:116], v[6:7]
	s_clause 0x2
	buffer_load_dword v177, off, s[0:3], 0 offset:620
	buffer_load_dword v116, off, s[0:3], 0 offset:596
	;; [unrolled: 1-line block ×3, first 2 shown]
	s_waitcnt vmcnt(57)
	v_fma_f64 v[183:184], v[105:106], v[119:120], -v[179:180]
	ds_read_b128 v[2:5], v1 offset:1152
	v_fma_f64 v[113:114], v[107:108], v[119:120], v[113:114]
	s_clause 0x4
	buffer_load_dword v120, off, s[0:3], 0 offset:636
	buffer_load_dword v180, off, s[0:3], 0 offset:648
	;; [unrolled: 1-line block ×5, first 2 shown]
	s_waitcnt vmcnt(56)
	v_fma_f64 v[117:118], v[109:110], v[127:128], -v[117:118]
	ds_read_b128 v[105:108], v1 offset:1168
	v_fma_f64 v[127:128], v[111:112], v[127:128], v[181:182]
	v_add_f64 v[172:173], v[172:173], 0
	v_add_f64 v[6:7], v[6:7], 0
	s_waitcnt lgkmcnt(1)
	v_mul_f64 v[186:187], v[2:3], v[121:122]
	v_mul_f64 v[121:122], v[4:5], v[121:122]
	v_add_f64 v[172:173], v[172:173], v[183:184]
	v_add_f64 v[6:7], v[6:7], v[113:114]
	s_clause 0x2
	buffer_load_dword v181, off, s[0:3], 0 offset:652
	buffer_load_dword v114, off, s[0:3], 0 offset:628
	;; [unrolled: 1-line block ×3, first 2 shown]
	s_waitcnt vmcnt(58) lgkmcnt(0)
	v_mul_f64 v[182:183], v[105:106], v[123:124]
	v_mul_f64 v[123:124], v[107:108], v[123:124]
	s_waitcnt vmcnt(56)
	v_fma_f64 v[121:122], v[2:3], v[129:130], -v[121:122]
	ds_read_b128 v[109:112], v1 offset:1184
	v_fma_f64 v[129:130], v[4:5], v[129:130], v[186:187]
	v_add_f64 v[117:118], v[172:173], v[117:118]
	v_add_f64 v[6:7], v[6:7], v[127:128]
	s_clause 0x4
	buffer_load_dword v128, off, s[0:3], 0 offset:668
	buffer_load_dword v172, off, s[0:3], 0 offset:680
	buffer_load_dword v187, off, s[0:3], 0 offset:672
	buffer_load_dword v127, off, s[0:3], 0 offset:664
	buffer_load_dword v186, off, s[0:3], 0 offset:644
	ds_read_b128 v[2:5], v1 offset:1200
	s_waitcnt vmcnt(57) lgkmcnt(1)
	v_mul_f64 v[188:189], v[109:110], v[131:132]
	v_mul_f64 v[131:132], v[111:112], v[131:132]
	s_waitcnt vmcnt(56)
	v_fma_f64 v[123:124], v[105:106], v[125:126], -v[123:124]
	v_add_f64 v[117:118], v[117:118], v[121:122]
	v_fma_f64 v[121:122], v[107:108], v[125:126], v[182:183]
	v_add_f64 v[6:7], v[6:7], v[129:130]
	s_clause 0x2
	buffer_load_dword v173, off, s[0:3], 0 offset:684
	buffer_load_dword v126, off, s[0:3], 0 offset:660
	;; [unrolled: 1-line block ×3, first 2 shown]
	s_waitcnt vmcnt(58) lgkmcnt(0)
	v_mul_f64 v[129:130], v[2:3], v[133:134]
	v_mul_f64 v[133:134], v[4:5], v[133:134]
	s_waitcnt vmcnt(56)
	v_fma_f64 v[131:132], v[109:110], v[137:138], -v[131:132]
	ds_read_b128 v[105:108], v1 offset:1216
	v_add_f64 v[117:118], v[117:118], v[123:124]
	v_fma_f64 v[123:124], v[111:112], v[137:138], v[188:189]
	v_add_f64 v[6:7], v[6:7], v[121:122]
	s_clause 0x4
	buffer_load_dword v122, off, s[0:3], 0 offset:700
	buffer_load_dword v137, off, s[0:3], 0 offset:712
	;; [unrolled: 1-line block ×5, first 2 shown]
	ds_read_b128 v[109:112], v1 offset:1232
	s_waitcnt vmcnt(57) lgkmcnt(1)
	v_mul_f64 v[183:184], v[105:106], v[139:140]
	v_mul_f64 v[139:140], v[107:108], v[139:140]
	s_waitcnt vmcnt(56)
	v_fma_f64 v[133:134], v[2:3], v[135:136], -v[133:134]
	v_fma_f64 v[129:130], v[4:5], v[135:136], v[129:130]
	v_add_f64 v[117:118], v[117:118], v[131:132]
	v_add_f64 v[6:7], v[6:7], v[123:124]
	s_clause 0x2
	buffer_load_dword v138, off, s[0:3], 0 offset:716
	buffer_load_dword v124, off, s[0:3], 0 offset:692
	;; [unrolled: 1-line block ×3, first 2 shown]
	s_waitcnt vmcnt(58) lgkmcnt(0)
	v_mul_f64 v[135:136], v[111:112], v[141:142]
	ds_read_b128 v[2:5], v1 offset:1248
	s_waitcnt vmcnt(56)
	v_fma_f64 v[139:140], v[105:106], v[145:146], -v[139:140]
	v_mul_f64 v[131:132], v[109:110], v[141:142]
	v_add_f64 v[117:118], v[117:118], v[133:134]
	v_fma_f64 v[133:134], v[107:108], v[145:146], v[183:184]
	v_add_f64 v[6:7], v[6:7], v[129:130]
	s_clause 0x4
	buffer_load_dword v130, off, s[0:3], 0 offset:732
	buffer_load_dword v141, off, s[0:3], 0 offset:744
	;; [unrolled: 1-line block ×5, first 2 shown]
	s_waitcnt vmcnt(57) lgkmcnt(0)
	v_mul_f64 v[189:190], v[2:3], v[147:148]
	v_mul_f64 v[146:147], v[4:5], v[147:148]
	s_waitcnt vmcnt(56)
	v_fma_f64 v[135:136], v[109:110], v[143:144], -v[135:136]
	ds_read_b128 v[105:108], v1 offset:1264
	v_fma_f64 v[131:132], v[111:112], v[143:144], v[131:132]
	v_add_f64 v[117:118], v[117:118], v[139:140]
	v_add_f64 v[6:7], v[6:7], v[133:134]
	s_clause 0x2
	buffer_load_dword v142, off, s[0:3], 0 offset:748
	buffer_load_dword v134, off, s[0:3], 0 offset:724
	;; [unrolled: 1-line block ×3, first 2 shown]
	ds_read_b128 v[109:112], v1 offset:1280
	s_waitcnt vmcnt(58) lgkmcnt(1)
	v_mul_f64 v[143:144], v[107:108], v[149:150]
	s_waitcnt vmcnt(56)
	v_fma_f64 v[147:148], v[2:3], v[153:154], -v[146:147]
	v_mul_f64 v[139:140], v[105:106], v[149:150]
	v_add_f64 v[117:118], v[117:118], v[135:136]
	v_fma_f64 v[135:136], v[4:5], v[153:154], v[189:190]
	v_add_f64 v[6:7], v[6:7], v[131:132]
	s_clause 0x4
	buffer_load_dword v132, off, s[0:3], 0 offset:764
	buffer_load_dword v149, off, s[0:3], 0 offset:776
	;; [unrolled: 1-line block ×5, first 2 shown]
	s_waitcnt vmcnt(57) lgkmcnt(0)
	v_mul_f64 v[189:190], v[109:110], v[155:156]
	v_mul_f64 v[154:155], v[111:112], v[155:156]
	s_waitcnt vmcnt(56)
	v_fma_f64 v[143:144], v[105:106], v[151:152], -v[143:144]
	ds_read_b128 v[2:5], v1 offset:1296
	v_fma_f64 v[139:140], v[107:108], v[151:152], v[139:140]
	v_add_f64 v[117:118], v[117:118], v[147:148]
	v_add_f64 v[6:7], v[6:7], v[135:136]
	s_clause 0x2
	buffer_load_dword v150, off, s[0:3], 0 offset:780
	buffer_load_dword v136, off, s[0:3], 0 offset:756
	;; [unrolled: 1-line block ×3, first 2 shown]
	ds_read_b128 v[105:108], v1 offset:1312
	s_waitcnt vmcnt(58) lgkmcnt(1)
	v_mul_f64 v[151:152], v[4:5], v[157:158]
	s_waitcnt vmcnt(56)
	v_fma_f64 v[155:156], v[109:110], v[161:162], -v[154:155]
	v_mul_f64 v[147:148], v[2:3], v[157:158]
	buffer_load_dword v154, off, s[0:3], 0 offset:772
	v_add_f64 v[117:118], v[117:118], v[143:144]
	v_fma_f64 v[143:144], v[111:112], v[161:162], v[189:190]
	v_add_f64 v[6:7], v[6:7], v[139:140]
	ds_read_b128 v[109:112], v1 offset:1328
	s_waitcnt vmcnt(53) lgkmcnt(1)
	v_mul_f64 v[157:158], v[107:108], v[163:164]
	s_waitcnt vmcnt(52)
	v_fma_f64 v[151:152], v[2:3], v[159:160], -v[151:152]
	v_mul_f64 v[139:140], v[105:106], v[163:164]
	v_fma_f64 v[147:148], v[4:5], v[159:160], v[147:148]
	ds_read_b128 v[2:5], v1 offset:1344
	v_add_f64 v[117:118], v[117:118], v[155:156]
	s_waitcnt vmcnt(51) lgkmcnt(1)
	v_mul_f64 v[155:156], v[111:112], v[166:167]
	v_add_f64 v[6:7], v[6:7], v[143:144]
	v_mul_f64 v[143:144], v[109:110], v[166:167]
	s_waitcnt vmcnt(49)
	v_fma_f64 v[157:158], v[105:106], v[170:171], -v[157:158]
	v_fma_f64 v[139:140], v[107:108], v[170:171], v[139:140]
	s_waitcnt vmcnt(45) lgkmcnt(0)
	v_mul_f64 v[161:162], v[4:5], v[174:175]
	v_mul_f64 v[159:160], v[2:3], v[174:175]
	v_add_f64 v[117:118], v[117:118], v[151:152]
	s_waitcnt vmcnt(44)
	v_fma_f64 v[155:156], v[109:110], v[168:169], -v[155:156]
	v_add_f64 v[6:7], v[6:7], v[147:148]
	s_clause 0x3
	buffer_load_dword v147, off, s[0:3], 0 offset:336
	buffer_load_dword v148, off, s[0:3], 0 offset:340
	;; [unrolled: 1-line block ×4, first 2 shown]
	ds_read_b128 v[105:108], v1 offset:1360
	v_fma_f64 v[143:144], v[111:112], v[168:169], v[143:144]
	ds_read_b128 v[109:112], v1 offset:1376
	v_add_f64 v[117:118], v[117:118], v[157:158]
	v_add_f64 v[6:7], v[6:7], v[139:140]
	s_waitcnt vmcnt(47) lgkmcnt(1)
	v_mul_f64 v[157:158], v[107:108], v[176:177]
	v_mul_f64 v[139:140], v[105:106], v[176:177]
	s_waitcnt vmcnt(45)
	v_fma_f64 v[161:162], v[2:3], v[115:116], -v[161:162]
	v_fma_f64 v[115:116], v[4:5], v[115:116], v[159:160]
	ds_read_b128 v[2:5], v1 offset:1392
	v_add_f64 v[117:118], v[117:118], v[155:156]
	v_add_f64 v[6:7], v[6:7], v[143:144]
	s_waitcnt vmcnt(41) lgkmcnt(1)
	v_mul_f64 v[143:144], v[109:110], v[119:120]
	v_mul_f64 v[119:120], v[111:112], v[119:120]
	s_waitcnt vmcnt(40)
	v_fma_f64 v[155:156], v[105:106], v[178:179], -v[157:158]
	;; [unrolled: 9-line block ×7, first 2 shown]
	v_fma_f64 v[115:116], v[4:5], v[123:124], v[115:116]
	ds_read_b128 v[2:5], v1 offset:1488
	v_add_f64 v[117:118], v[117:118], v[119:120]
	v_add_f64 v[6:7], v[6:7], v[113:114]
	s_waitcnt vmcnt(17) lgkmcnt(1)
	v_mul_f64 v[119:120], v[111:112], v[129:130]
	s_waitcnt vmcnt(16)
	v_fma_f64 v[123:124], v[105:106], v[182:183], -v[127:128]
	v_mul_f64 v[113:114], v[109:110], v[129:130]
	v_add_f64 v[117:118], v[117:118], v[121:122]
	v_fma_f64 v[121:122], v[107:108], v[182:183], v[125:126]
	v_add_f64 v[6:7], v[6:7], v[115:116]
	ds_read_b128 v[105:108], v1 offset:1504
	s_waitcnt vmcnt(15) lgkmcnt(1)
	v_mul_f64 v[125:126], v[4:5], v[141:142]
	v_mul_f64 v[115:116], v[2:3], v[141:142]
	s_waitcnt vmcnt(13)
	v_fma_f64 v[119:120], v[109:110], v[133:134], -v[119:120]
	v_fma_f64 v[113:114], v[111:112], v[133:134], v[113:114]
	ds_read_b128 v[109:112], v1 offset:1520
	v_add_f64 v[117:118], v[117:118], v[123:124]
	v_add_f64 v[6:7], v[6:7], v[121:122]
	s_waitcnt vmcnt(9) lgkmcnt(1)
	v_mul_f64 v[123:124], v[107:108], v[131:132]
	s_waitcnt vmcnt(8)
	v_fma_f64 v[2:3], v[2:3], v[145:146], -v[125:126]
	v_mul_f64 v[121:122], v[105:106], v[131:132]
	v_fma_f64 v[4:5], v[4:5], v[145:146], v[115:116]
	v_add_f64 v[117:118], v[117:118], v[119:120]
	v_add_f64 v[6:7], v[6:7], v[113:114]
	s_waitcnt vmcnt(7) lgkmcnt(0)
	v_mul_f64 v[115:116], v[111:112], v[149:150]
	v_mul_f64 v[113:114], v[109:110], v[149:150]
	s_waitcnt vmcnt(5)
	v_fma_f64 v[105:106], v[105:106], v[135:136], -v[123:124]
	v_fma_f64 v[107:108], v[107:108], v[135:136], v[121:122]
	v_add_f64 v[2:3], v[117:118], v[2:3]
	v_add_f64 v[4:5], v[6:7], v[4:5]
	s_waitcnt vmcnt(4)
	v_fma_f64 v[6:7], v[109:110], v[153:154], -v[115:116]
	v_add_f64 v[2:3], v[2:3], v[105:106]
	v_fma_f64 v[105:106], v[111:112], v[153:154], v[113:114]
	v_add_f64 v[4:5], v[4:5], v[107:108]
	v_add_f64 v[2:3], v[2:3], v[6:7]
	v_add_f64 v[4:5], v[4:5], v[105:106]
	s_waitcnt vmcnt(2)
	v_add_f64 v[2:3], v[147:148], -v[2:3]
	s_waitcnt vmcnt(0)
	v_add_f64 v[4:5], v[151:152], -v[4:5]
	buffer_store_dword v3, off, s[0:3], 0 offset:340
	buffer_store_dword v2, off, s[0:3], 0 offset:336
	;; [unrolled: 1-line block ×4, first 2 shown]
	v_cmpx_lt_u32_e32 19, v0
	s_cbranch_execz .LBB111_263
; %bb.262:
	v_mov_b32_e32 v5, s41
	s_clause 0x3
	buffer_load_dword v2, v5, s[0:3], 0 offen
	buffer_load_dword v3, v5, s[0:3], 0 offen offset:4
	buffer_load_dword v4, v5, s[0:3], 0 offen offset:8
	;; [unrolled: 1-line block ×3, first 2 shown]
	buffer_store_dword v1, off, s[0:3], 0 offset:320
	buffer_store_dword v1, off, s[0:3], 0 offset:324
	;; [unrolled: 1-line block ×4, first 2 shown]
	s_waitcnt vmcnt(0)
	ds_write_b128 v165, v[2:5]
.LBB111_263:
	s_or_b32 exec_lo, exec_lo, s4
	s_waitcnt lgkmcnt(0)
	s_waitcnt_vscnt null, 0x0
	s_barrier
	buffer_gl0_inv
	s_clause 0x37
	buffer_load_dword v6, off, s[0:3], 0 offset:344
	buffer_load_dword v7, off, s[0:3], 0 offset:348
	;; [unrolled: 1-line block ×56, first 2 shown]
	ds_read_b128 v[2:5], v1 offset:1088
	s_clause 0x2
	buffer_load_dword v167, off, s[0:3], 0 offset:572
	buffer_load_dword v171, off, s[0:3], 0 offset:548
	;; [unrolled: 1-line block ×3, first 2 shown]
	ds_read_b128 v[105:108], v1 offset:1104
	s_clause 0x4
	buffer_load_dword v175, off, s[0:3], 0 offset:588
	buffer_load_dword v176, off, s[0:3], 0 offset:600
	;; [unrolled: 1-line block ×5, first 2 shown]
	ds_read_b128 v[109:112], v1 offset:1120
	s_mov_b32 s4, exec_lo
	s_waitcnt vmcnt(62) lgkmcnt(2)
	v_mul_f64 v[172:173], v[4:5], v[6:7]
	v_mul_f64 v[6:7], v[2:3], v[6:7]
	s_waitcnt vmcnt(60) lgkmcnt(1)
	v_mul_f64 v[179:180], v[107:108], v[113:114]
	v_mul_f64 v[113:114], v[105:106], v[113:114]
	;; [unrolled: 3-line block ×3, first 2 shown]
	v_fma_f64 v[172:173], v[2:3], v[115:116], -v[172:173]
	v_fma_f64 v[6:7], v[4:5], v[115:116], v[6:7]
	s_clause 0x2
	buffer_load_dword v177, off, s[0:3], 0 offset:604
	buffer_load_dword v116, off, s[0:3], 0 offset:580
	;; [unrolled: 1-line block ×3, first 2 shown]
	s_waitcnt vmcnt(57)
	v_fma_f64 v[183:184], v[105:106], v[119:120], -v[179:180]
	ds_read_b128 v[2:5], v1 offset:1136
	v_fma_f64 v[113:114], v[107:108], v[119:120], v[113:114]
	s_clause 0x4
	buffer_load_dword v120, off, s[0:3], 0 offset:620
	buffer_load_dword v180, off, s[0:3], 0 offset:632
	;; [unrolled: 1-line block ×5, first 2 shown]
	s_waitcnt vmcnt(56)
	v_fma_f64 v[117:118], v[109:110], v[127:128], -v[117:118]
	ds_read_b128 v[105:108], v1 offset:1152
	v_fma_f64 v[127:128], v[111:112], v[127:128], v[181:182]
	v_add_f64 v[172:173], v[172:173], 0
	v_add_f64 v[6:7], v[6:7], 0
	s_waitcnt lgkmcnt(1)
	v_mul_f64 v[186:187], v[2:3], v[121:122]
	v_mul_f64 v[121:122], v[4:5], v[121:122]
	v_add_f64 v[172:173], v[172:173], v[183:184]
	v_add_f64 v[6:7], v[6:7], v[113:114]
	s_clause 0x2
	buffer_load_dword v181, off, s[0:3], 0 offset:636
	buffer_load_dword v114, off, s[0:3], 0 offset:612
	;; [unrolled: 1-line block ×3, first 2 shown]
	s_waitcnt vmcnt(58) lgkmcnt(0)
	v_mul_f64 v[182:183], v[105:106], v[123:124]
	v_mul_f64 v[123:124], v[107:108], v[123:124]
	s_waitcnt vmcnt(56)
	v_fma_f64 v[121:122], v[2:3], v[129:130], -v[121:122]
	ds_read_b128 v[109:112], v1 offset:1168
	v_fma_f64 v[129:130], v[4:5], v[129:130], v[186:187]
	v_add_f64 v[117:118], v[172:173], v[117:118]
	v_add_f64 v[6:7], v[6:7], v[127:128]
	s_clause 0x4
	buffer_load_dword v128, off, s[0:3], 0 offset:652
	buffer_load_dword v172, off, s[0:3], 0 offset:664
	;; [unrolled: 1-line block ×5, first 2 shown]
	ds_read_b128 v[2:5], v1 offset:1184
	s_waitcnt vmcnt(57) lgkmcnt(1)
	v_mul_f64 v[188:189], v[109:110], v[131:132]
	v_mul_f64 v[131:132], v[111:112], v[131:132]
	s_waitcnt vmcnt(56)
	v_fma_f64 v[123:124], v[105:106], v[125:126], -v[123:124]
	v_add_f64 v[117:118], v[117:118], v[121:122]
	v_fma_f64 v[121:122], v[107:108], v[125:126], v[182:183]
	v_add_f64 v[6:7], v[6:7], v[129:130]
	s_clause 0x2
	buffer_load_dword v173, off, s[0:3], 0 offset:668
	buffer_load_dword v126, off, s[0:3], 0 offset:644
	;; [unrolled: 1-line block ×3, first 2 shown]
	s_waitcnt vmcnt(58) lgkmcnt(0)
	v_mul_f64 v[129:130], v[2:3], v[133:134]
	v_mul_f64 v[133:134], v[4:5], v[133:134]
	s_waitcnt vmcnt(56)
	v_fma_f64 v[131:132], v[109:110], v[137:138], -v[131:132]
	ds_read_b128 v[105:108], v1 offset:1200
	v_add_f64 v[117:118], v[117:118], v[123:124]
	v_fma_f64 v[123:124], v[111:112], v[137:138], v[188:189]
	v_add_f64 v[6:7], v[6:7], v[121:122]
	s_clause 0x4
	buffer_load_dword v122, off, s[0:3], 0 offset:684
	buffer_load_dword v137, off, s[0:3], 0 offset:696
	;; [unrolled: 1-line block ×5, first 2 shown]
	ds_read_b128 v[109:112], v1 offset:1216
	s_waitcnt vmcnt(57) lgkmcnt(1)
	v_mul_f64 v[183:184], v[105:106], v[139:140]
	v_mul_f64 v[139:140], v[107:108], v[139:140]
	s_waitcnt vmcnt(56)
	v_fma_f64 v[133:134], v[2:3], v[135:136], -v[133:134]
	v_fma_f64 v[129:130], v[4:5], v[135:136], v[129:130]
	v_add_f64 v[117:118], v[117:118], v[131:132]
	v_add_f64 v[6:7], v[6:7], v[123:124]
	s_clause 0x2
	buffer_load_dword v138, off, s[0:3], 0 offset:700
	buffer_load_dword v124, off, s[0:3], 0 offset:676
	;; [unrolled: 1-line block ×3, first 2 shown]
	s_waitcnt vmcnt(58) lgkmcnt(0)
	v_mul_f64 v[135:136], v[111:112], v[141:142]
	ds_read_b128 v[2:5], v1 offset:1232
	s_waitcnt vmcnt(56)
	v_fma_f64 v[139:140], v[105:106], v[145:146], -v[139:140]
	v_mul_f64 v[131:132], v[109:110], v[141:142]
	v_add_f64 v[117:118], v[117:118], v[133:134]
	v_fma_f64 v[133:134], v[107:108], v[145:146], v[183:184]
	v_add_f64 v[6:7], v[6:7], v[129:130]
	s_clause 0x4
	buffer_load_dword v130, off, s[0:3], 0 offset:716
	buffer_load_dword v141, off, s[0:3], 0 offset:728
	buffer_load_dword v145, off, s[0:3], 0 offset:720
	buffer_load_dword v129, off, s[0:3], 0 offset:712
	buffer_load_dword v183, off, s[0:3], 0 offset:692
	s_waitcnt vmcnt(57) lgkmcnt(0)
	v_mul_f64 v[189:190], v[2:3], v[147:148]
	v_mul_f64 v[146:147], v[4:5], v[147:148]
	s_waitcnt vmcnt(56)
	v_fma_f64 v[135:136], v[109:110], v[143:144], -v[135:136]
	ds_read_b128 v[105:108], v1 offset:1248
	v_fma_f64 v[131:132], v[111:112], v[143:144], v[131:132]
	v_add_f64 v[117:118], v[117:118], v[139:140]
	v_add_f64 v[6:7], v[6:7], v[133:134]
	s_clause 0x2
	buffer_load_dword v142, off, s[0:3], 0 offset:732
	buffer_load_dword v134, off, s[0:3], 0 offset:708
	;; [unrolled: 1-line block ×3, first 2 shown]
	ds_read_b128 v[109:112], v1 offset:1264
	s_waitcnt vmcnt(58) lgkmcnt(1)
	v_mul_f64 v[143:144], v[107:108], v[149:150]
	s_waitcnt vmcnt(56)
	v_fma_f64 v[147:148], v[2:3], v[153:154], -v[146:147]
	v_mul_f64 v[139:140], v[105:106], v[149:150]
	v_add_f64 v[117:118], v[117:118], v[135:136]
	v_fma_f64 v[135:136], v[4:5], v[153:154], v[189:190]
	v_add_f64 v[6:7], v[6:7], v[131:132]
	s_clause 0x4
	buffer_load_dword v132, off, s[0:3], 0 offset:748
	buffer_load_dword v149, off, s[0:3], 0 offset:760
	;; [unrolled: 1-line block ×5, first 2 shown]
	s_waitcnt vmcnt(57) lgkmcnt(0)
	v_mul_f64 v[189:190], v[109:110], v[155:156]
	v_mul_f64 v[154:155], v[111:112], v[155:156]
	s_waitcnt vmcnt(56)
	v_fma_f64 v[143:144], v[105:106], v[151:152], -v[143:144]
	ds_read_b128 v[2:5], v1 offset:1280
	v_fma_f64 v[139:140], v[107:108], v[151:152], v[139:140]
	v_add_f64 v[117:118], v[117:118], v[147:148]
	v_add_f64 v[6:7], v[6:7], v[135:136]
	s_clause 0x2
	buffer_load_dword v150, off, s[0:3], 0 offset:764
	buffer_load_dword v136, off, s[0:3], 0 offset:740
	buffer_load_dword v135, off, s[0:3], 0 offset:736
	ds_read_b128 v[105:108], v1 offset:1296
	s_waitcnt vmcnt(58) lgkmcnt(1)
	v_mul_f64 v[151:152], v[4:5], v[157:158]
	s_waitcnt vmcnt(56)
	v_fma_f64 v[155:156], v[109:110], v[161:162], -v[154:155]
	v_mul_f64 v[147:148], v[2:3], v[157:158]
	v_add_f64 v[117:118], v[117:118], v[143:144]
	v_fma_f64 v[143:144], v[111:112], v[161:162], v[189:190]
	v_add_f64 v[6:7], v[6:7], v[139:140]
	s_clause 0x2
	buffer_load_dword v140, off, s[0:3], 0 offset:780
	buffer_load_dword v139, off, s[0:3], 0 offset:776
	;; [unrolled: 1-line block ×3, first 2 shown]
	s_waitcnt vmcnt(55) lgkmcnt(0)
	v_mul_f64 v[161:162], v[107:108], v[163:164]
	s_waitcnt vmcnt(54)
	v_fma_f64 v[151:152], v[2:3], v[159:160], -v[151:152]
	ds_read_b128 v[109:112], v1 offset:1312
	v_mul_f64 v[157:158], v[105:106], v[163:164]
	v_fma_f64 v[147:148], v[4:5], v[159:160], v[147:148]
	v_add_f64 v[117:118], v[117:118], v[155:156]
	v_add_f64 v[6:7], v[6:7], v[143:144]
	s_clause 0x1
	buffer_load_dword v144, off, s[0:3], 0 offset:772
	buffer_load_dword v143, off, s[0:3], 0 offset:768
	s_waitcnt vmcnt(55) lgkmcnt(0)
	v_mul_f64 v[159:160], v[111:112], v[166:167]
	s_waitcnt vmcnt(53)
	v_fma_f64 v[161:162], v[105:106], v[170:171], -v[161:162]
	ds_read_b128 v[2:5], v1 offset:1328
	v_mul_f64 v[155:156], v[109:110], v[166:167]
	v_add_f64 v[117:118], v[117:118], v[151:152]
	v_fma_f64 v[151:152], v[107:108], v[170:171], v[157:158]
	v_add_f64 v[6:7], v[6:7], v[147:148]
	ds_read_b128 v[105:108], v1 offset:1344
	s_waitcnt vmcnt(49) lgkmcnt(1)
	v_mul_f64 v[157:158], v[4:5], v[174:175]
	s_waitcnt vmcnt(48)
	v_fma_f64 v[159:160], v[109:110], v[168:169], -v[159:160]
	v_mul_f64 v[147:148], v[2:3], v[174:175]
	v_fma_f64 v[155:156], v[111:112], v[168:169], v[155:156]
	v_add_f64 v[117:118], v[117:118], v[161:162]
	v_add_f64 v[6:7], v[6:7], v[151:152]
	s_clause 0x3
	buffer_load_dword v151, off, s[0:3], 0 offset:320
	buffer_load_dword v152, off, s[0:3], 0 offset:324
	;; [unrolled: 1-line block ×4, first 2 shown]
	ds_read_b128 v[109:112], v1 offset:1360
	s_waitcnt vmcnt(51) lgkmcnt(1)
	v_mul_f64 v[166:167], v[107:108], v[176:177]
	v_mul_f64 v[163:164], v[105:106], v[176:177]
	s_waitcnt vmcnt(49)
	v_fma_f64 v[157:158], v[2:3], v[115:116], -v[157:158]
	v_fma_f64 v[115:116], v[4:5], v[115:116], v[147:148]
	ds_read_b128 v[2:5], v1 offset:1376
	v_add_f64 v[117:118], v[117:118], v[159:160]
	v_add_f64 v[6:7], v[6:7], v[155:156]
	s_waitcnt vmcnt(45) lgkmcnt(1)
	v_mul_f64 v[147:148], v[109:110], v[119:120]
	v_mul_f64 v[119:120], v[111:112], v[119:120]
	s_waitcnt vmcnt(44)
	v_fma_f64 v[155:156], v[105:106], v[178:179], -v[166:167]
	v_add_f64 v[117:118], v[117:118], v[157:158]
	v_fma_f64 v[157:158], v[107:108], v[178:179], v[163:164]
	v_add_f64 v[6:7], v[6:7], v[115:116]
	ds_read_b128 v[105:108], v1 offset:1392
	s_waitcnt vmcnt(43) lgkmcnt(1)
	v_mul_f64 v[159:160], v[4:5], v[180:181]
	v_mul_f64 v[115:116], v[2:3], v[180:181]
	s_waitcnt vmcnt(41)
	v_fma_f64 v[119:120], v[109:110], v[113:114], -v[119:120]
	v_fma_f64 v[113:114], v[111:112], v[113:114], v[147:148]
	ds_read_b128 v[109:112], v1 offset:1408
	v_add_f64 v[117:118], v[117:118], v[155:156]
	v_add_f64 v[6:7], v[6:7], v[157:158]
	s_waitcnt vmcnt(37) lgkmcnt(1)
	v_mul_f64 v[147:148], v[105:106], v[127:128]
	v_mul_f64 v[127:128], v[107:108], v[127:128]
	s_waitcnt vmcnt(36)
	v_fma_f64 v[155:156], v[2:3], v[185:186], -v[159:160]
	v_fma_f64 v[115:116], v[4:5], v[185:186], v[115:116]
	ds_read_b128 v[2:5], v1 offset:1424
	v_add_f64 v[117:118], v[117:118], v[119:120]
	v_add_f64 v[6:7], v[6:7], v[113:114]
	;; [unrolled: 9-line block ×5, first 2 shown]
	s_waitcnt vmcnt(21) lgkmcnt(1)
	v_mul_f64 v[119:120], v[111:112], v[129:130]
	s_waitcnt vmcnt(20)
	v_fma_f64 v[123:124], v[105:106], v[182:183], -v[127:128]
	v_mul_f64 v[113:114], v[109:110], v[129:130]
	v_add_f64 v[117:118], v[117:118], v[121:122]
	v_fma_f64 v[121:122], v[107:108], v[182:183], v[125:126]
	v_add_f64 v[6:7], v[6:7], v[115:116]
	ds_read_b128 v[105:108], v1 offset:1488
	s_waitcnt vmcnt(19) lgkmcnt(1)
	v_mul_f64 v[125:126], v[4:5], v[141:142]
	v_mul_f64 v[115:116], v[2:3], v[141:142]
	s_waitcnt vmcnt(17)
	v_fma_f64 v[119:120], v[109:110], v[133:134], -v[119:120]
	v_fma_f64 v[113:114], v[111:112], v[133:134], v[113:114]
	ds_read_b128 v[109:112], v1 offset:1504
	v_add_f64 v[117:118], v[117:118], v[123:124]
	v_add_f64 v[6:7], v[6:7], v[121:122]
	s_waitcnt vmcnt(13) lgkmcnt(1)
	v_mul_f64 v[123:124], v[107:108], v[131:132]
	s_waitcnt vmcnt(12)
	v_fma_f64 v[125:126], v[2:3], v[145:146], -v[125:126]
	v_mul_f64 v[121:122], v[105:106], v[131:132]
	v_fma_f64 v[115:116], v[4:5], v[145:146], v[115:116]
	ds_read_b128 v[1:4], v1 offset:1520
	v_add_f64 v[117:118], v[117:118], v[119:120]
	v_add_f64 v[5:6], v[6:7], v[113:114]
	s_waitcnt vmcnt(11) lgkmcnt(1)
	v_mul_f64 v[113:114], v[111:112], v[149:150]
	v_mul_f64 v[7:8], v[109:110], v[149:150]
	s_waitcnt vmcnt(9)
	v_fma_f64 v[105:106], v[105:106], v[135:136], -v[123:124]
	v_fma_f64 v[107:108], v[107:108], v[135:136], v[121:122]
	v_add_f64 v[117:118], v[117:118], v[125:126]
	v_add_f64 v[5:6], v[5:6], v[115:116]
	s_waitcnt vmcnt(7) lgkmcnt(0)
	v_mul_f64 v[119:120], v[3:4], v[139:140]
	s_waitcnt vmcnt(6)
	v_fma_f64 v[109:110], v[109:110], v[153:154], -v[113:114]
	v_mul_f64 v[115:116], v[1:2], v[139:140]
	v_fma_f64 v[7:8], v[111:112], v[153:154], v[7:8]
	v_add_f64 v[105:106], v[117:118], v[105:106]
	v_add_f64 v[5:6], v[5:6], v[107:108]
	s_waitcnt vmcnt(4)
	v_fma_f64 v[1:2], v[1:2], v[143:144], -v[119:120]
	v_fma_f64 v[3:4], v[3:4], v[143:144], v[115:116]
	v_add_f64 v[105:106], v[105:106], v[109:110]
	v_add_f64 v[5:6], v[5:6], v[7:8]
	;; [unrolled: 1-line block ×4, first 2 shown]
	s_waitcnt vmcnt(2)
	v_add_f64 v[1:2], v[151:152], -v[1:2]
	s_waitcnt vmcnt(0)
	v_add_f64 v[3:4], v[161:162], -v[3:4]
	buffer_store_dword v2, off, s[0:3], 0 offset:324
	buffer_store_dword v1, off, s[0:3], 0 offset:320
	;; [unrolled: 1-line block ×4, first 2 shown]
	v_cmpx_lt_u32_e32 18, v0
	s_cbranch_execz .LBB111_265
; %bb.264:
	v_mov_b32_e32 v4, s42
	v_mov_b32_e32 v5, 0
	s_clause 0x3
	buffer_load_dword v1, v4, s[0:3], 0 offen
	buffer_load_dword v2, v4, s[0:3], 0 offen offset:4
	buffer_load_dword v3, v4, s[0:3], 0 offen offset:8
	;; [unrolled: 1-line block ×3, first 2 shown]
	buffer_store_dword v5, off, s[0:3], 0 offset:304
	buffer_store_dword v5, off, s[0:3], 0 offset:308
	;; [unrolled: 1-line block ×4, first 2 shown]
	s_waitcnt vmcnt(0)
	ds_write_b128 v165, v[1:4]
.LBB111_265:
	s_or_b32 exec_lo, exec_lo, s4
	s_waitcnt lgkmcnt(0)
	s_waitcnt_vscnt null, 0x0
	s_barrier
	buffer_gl0_inv
	s_clause 0x37
	buffer_load_dword v105, off, s[0:3], 0 offset:328
	buffer_load_dword v106, off, s[0:3], 0 offset:332
	;; [unrolled: 1-line block ×56, first 2 shown]
	v_mov_b32_e32 v107, 0
	s_mov_b32 s4, exec_lo
	ds_read_b128 v[5:8], v107 offset:1072
	s_clause 0x2
	buffer_load_dword v167, off, s[0:3], 0 offset:556
	buffer_load_dword v171, off, s[0:3], 0 offset:532
	;; [unrolled: 1-line block ×3, first 2 shown]
	ds_read_b128 v[108:111], v107 offset:1088
	s_clause 0x4
	buffer_load_dword v175, off, s[0:3], 0 offset:572
	buffer_load_dword v176, off, s[0:3], 0 offset:584
	;; [unrolled: 1-line block ×5, first 2 shown]
	ds_read_b128 v[112:115], v107 offset:1104
	s_waitcnt vmcnt(62) lgkmcnt(2)
	v_mul_f64 v[172:173], v[7:8], v[105:106]
	v_mul_f64 v[105:106], v[5:6], v[105:106]
	s_waitcnt vmcnt(60) lgkmcnt(1)
	v_mul_f64 v[179:180], v[110:111], v[116:117]
	v_mul_f64 v[116:117], v[108:109], v[116:117]
	;; [unrolled: 3-line block ×3, first 2 shown]
	v_fma_f64 v[172:173], v[5:6], v[118:119], -v[172:173]
	v_fma_f64 v[105:106], v[7:8], v[118:119], v[105:106]
	s_clause 0x2
	buffer_load_dword v177, off, s[0:3], 0 offset:588
	buffer_load_dword v119, off, s[0:3], 0 offset:564
	;; [unrolled: 1-line block ×3, first 2 shown]
	s_waitcnt vmcnt(57)
	v_fma_f64 v[108:109], v[108:109], v[1:2], -v[179:180]
	ds_read_b128 v[5:8], v107 offset:1120
	v_fma_f64 v[110:111], v[110:111], v[1:2], v[116:117]
	s_clause 0x4
	buffer_load_dword v117, off, s[0:3], 0 offset:604
	buffer_load_dword v180, off, s[0:3], 0 offset:616
	;; [unrolled: 1-line block ×5, first 2 shown]
	s_waitcnt vmcnt(56)
	v_fma_f64 v[112:113], v[112:113], v[126:127], -v[183:184]
	ds_read_b128 v[1:4], v107 offset:1136
	v_fma_f64 v[114:115], v[114:115], v[126:127], v[181:182]
	s_clause 0x2
	buffer_load_dword v181, off, s[0:3], 0 offset:620
	buffer_load_dword v127, off, s[0:3], 0 offset:596
	;; [unrolled: 1-line block ×3, first 2 shown]
	v_add_f64 v[172:173], v[172:173], 0
	v_add_f64 v[105:106], v[105:106], 0
	s_waitcnt lgkmcnt(1)
	v_mul_f64 v[186:187], v[5:6], v[120:121]
	v_mul_f64 v[120:121], v[7:8], v[120:121]
	s_waitcnt vmcnt(58) lgkmcnt(0)
	v_mul_f64 v[182:183], v[1:2], v[122:123]
	v_mul_f64 v[122:123], v[3:4], v[122:123]
	v_add_f64 v[172:173], v[172:173], v[108:109]
	v_add_f64 v[105:106], v[105:106], v[110:111]
	ds_read_b128 v[108:111], v107 offset:1152
	s_waitcnt vmcnt(56)
	v_fma_f64 v[120:121], v[5:6], v[128:129], -v[120:121]
	v_fma_f64 v[128:129], v[7:8], v[128:129], v[186:187]
	s_waitcnt vmcnt(51)
	v_fma_f64 v[122:123], v[1:2], v[124:125], -v[122:123]
	s_waitcnt lgkmcnt(0)
	v_mul_f64 v[188:189], v[108:109], v[130:131]
	v_add_f64 v[112:113], v[172:173], v[112:113]
	v_add_f64 v[105:106], v[105:106], v[114:115]
	s_clause 0x4
	buffer_load_dword v115, off, s[0:3], 0 offset:636
	buffer_load_dword v172, off, s[0:3], 0 offset:648
	;; [unrolled: 1-line block ×5, first 2 shown]
	v_mul_f64 v[130:131], v[110:111], v[130:131]
	ds_read_b128 v[5:8], v107 offset:1168
	v_add_f64 v[112:113], v[112:113], v[120:121]
	v_fma_f64 v[120:121], v[3:4], v[124:125], v[182:183]
	v_add_f64 v[105:106], v[105:106], v[128:129]
	s_clause 0x2
	buffer_load_dword v173, off, s[0:3], 0 offset:652
	buffer_load_dword v125, off, s[0:3], 0 offset:628
	;; [unrolled: 1-line block ×3, first 2 shown]
	s_waitcnt vmcnt(58) lgkmcnt(0)
	v_mul_f64 v[128:129], v[5:6], v[132:133]
	v_mul_f64 v[132:133], v[7:8], v[132:133]
	s_waitcnt vmcnt(56)
	v_fma_f64 v[130:131], v[108:109], v[136:137], -v[130:131]
	ds_read_b128 v[1:4], v107 offset:1184
	v_add_f64 v[112:113], v[112:113], v[122:123]
	v_fma_f64 v[122:123], v[110:111], v[136:137], v[188:189]
	v_add_f64 v[105:106], v[105:106], v[120:121]
	s_clause 0x4
	buffer_load_dword v121, off, s[0:3], 0 offset:668
	buffer_load_dword v136, off, s[0:3], 0 offset:680
	;; [unrolled: 1-line block ×5, first 2 shown]
	ds_read_b128 v[108:111], v107 offset:1200
	s_waitcnt vmcnt(57) lgkmcnt(1)
	v_mul_f64 v[183:184], v[1:2], v[138:139]
	v_mul_f64 v[138:139], v[3:4], v[138:139]
	s_waitcnt vmcnt(56)
	v_fma_f64 v[132:133], v[5:6], v[134:135], -v[132:133]
	v_fma_f64 v[128:129], v[7:8], v[134:135], v[128:129]
	v_add_f64 v[112:113], v[112:113], v[130:131]
	v_add_f64 v[105:106], v[105:106], v[122:123]
	s_clause 0x2
	buffer_load_dword v137, off, s[0:3], 0 offset:684
	buffer_load_dword v123, off, s[0:3], 0 offset:660
	;; [unrolled: 1-line block ×3, first 2 shown]
	s_waitcnt vmcnt(58) lgkmcnt(0)
	v_mul_f64 v[134:135], v[110:111], v[140:141]
	ds_read_b128 v[5:8], v107 offset:1216
	s_waitcnt vmcnt(56)
	v_fma_f64 v[138:139], v[1:2], v[144:145], -v[138:139]
	v_mul_f64 v[130:131], v[108:109], v[140:141]
	v_add_f64 v[112:113], v[112:113], v[132:133]
	v_fma_f64 v[132:133], v[3:4], v[144:145], v[183:184]
	v_add_f64 v[105:106], v[105:106], v[128:129]
	s_clause 0x4
	buffer_load_dword v129, off, s[0:3], 0 offset:700
	buffer_load_dword v140, off, s[0:3], 0 offset:712
	buffer_load_dword v144, off, s[0:3], 0 offset:704
	buffer_load_dword v128, off, s[0:3], 0 offset:696
	buffer_load_dword v183, off, s[0:3], 0 offset:676
	s_waitcnt vmcnt(57) lgkmcnt(0)
	v_mul_f64 v[189:190], v[5:6], v[146:147]
	v_mul_f64 v[145:146], v[7:8], v[146:147]
	s_waitcnt vmcnt(56)
	v_fma_f64 v[134:135], v[108:109], v[142:143], -v[134:135]
	ds_read_b128 v[1:4], v107 offset:1232
	v_fma_f64 v[130:131], v[110:111], v[142:143], v[130:131]
	v_add_f64 v[112:113], v[112:113], v[138:139]
	v_add_f64 v[105:106], v[105:106], v[132:133]
	s_clause 0x2
	buffer_load_dword v141, off, s[0:3], 0 offset:716
	buffer_load_dword v133, off, s[0:3], 0 offset:692
	buffer_load_dword v132, off, s[0:3], 0 offset:688
	ds_read_b128 v[108:111], v107 offset:1248
	s_waitcnt vmcnt(58) lgkmcnt(1)
	v_mul_f64 v[142:143], v[3:4], v[148:149]
	s_waitcnt vmcnt(56)
	v_fma_f64 v[146:147], v[5:6], v[152:153], -v[145:146]
	v_mul_f64 v[138:139], v[1:2], v[148:149]
	v_add_f64 v[112:113], v[112:113], v[134:135]
	v_fma_f64 v[134:135], v[7:8], v[152:153], v[189:190]
	v_add_f64 v[105:106], v[105:106], v[130:131]
	s_clause 0x4
	buffer_load_dword v131, off, s[0:3], 0 offset:732
	buffer_load_dword v148, off, s[0:3], 0 offset:744
	buffer_load_dword v152, off, s[0:3], 0 offset:736
	buffer_load_dword v130, off, s[0:3], 0 offset:728
	buffer_load_dword v145, off, s[0:3], 0 offset:708
	s_waitcnt vmcnt(57) lgkmcnt(0)
	v_mul_f64 v[189:190], v[108:109], v[154:155]
	v_mul_f64 v[153:154], v[110:111], v[154:155]
	s_waitcnt vmcnt(56)
	v_fma_f64 v[142:143], v[1:2], v[150:151], -v[142:143]
	ds_read_b128 v[5:8], v107 offset:1264
	v_fma_f64 v[138:139], v[3:4], v[150:151], v[138:139]
	v_add_f64 v[112:113], v[112:113], v[146:147]
	v_add_f64 v[105:106], v[105:106], v[134:135]
	s_clause 0x2
	buffer_load_dword v149, off, s[0:3], 0 offset:748
	buffer_load_dword v135, off, s[0:3], 0 offset:724
	buffer_load_dword v134, off, s[0:3], 0 offset:720
	ds_read_b128 v[1:4], v107 offset:1280
	s_waitcnt vmcnt(58) lgkmcnt(1)
	v_mul_f64 v[150:151], v[7:8], v[156:157]
	;; [unrolled: 28-line block ×3, first 2 shown]
	s_waitcnt vmcnt(56)
	v_fma_f64 v[162:163], v[1:2], v[170:171], -v[161:162]
	v_mul_f64 v[154:155], v[108:109], v[166:167]
	buffer_load_dword v161, off, s[0:3], 0 offset:772
	v_add_f64 v[112:113], v[112:113], v[150:151]
	v_fma_f64 v[150:151], v[3:4], v[170:171], v[189:190]
	v_add_f64 v[105:106], v[105:106], v[146:147]
	ds_read_b128 v[1:4], v107 offset:1328
	s_waitcnt vmcnt(53) lgkmcnt(1)
	v_mul_f64 v[166:167], v[7:8], v[174:175]
	s_waitcnt vmcnt(52)
	v_fma_f64 v[158:159], v[108:109], v[168:169], -v[158:159]
	v_mul_f64 v[146:147], v[5:6], v[174:175]
	v_fma_f64 v[154:155], v[110:111], v[168:169], v[154:155]
	ds_read_b128 v[108:111], v107 offset:1344
	v_add_f64 v[112:113], v[112:113], v[162:163]
	v_add_f64 v[105:106], v[105:106], v[150:151]
	s_waitcnt vmcnt(51) lgkmcnt(1)
	v_mul_f64 v[162:163], v[3:4], v[176:177]
	v_mul_f64 v[150:151], v[1:2], v[176:177]
	s_waitcnt vmcnt(49)
	v_fma_f64 v[166:167], v[5:6], v[118:119], -v[166:167]
	v_fma_f64 v[118:119], v[7:8], v[118:119], v[146:147]
	v_add_f64 v[112:113], v[112:113], v[158:159]
	s_waitcnt vmcnt(45) lgkmcnt(0)
	v_mul_f64 v[158:159], v[108:109], v[116:117]
	v_add_f64 v[105:106], v[105:106], v[154:155]
	s_clause 0x3
	buffer_load_dword v146, off, s[0:3], 0 offset:304
	buffer_load_dword v147, off, s[0:3], 0 offset:308
	buffer_load_dword v154, off, s[0:3], 0 offset:312
	buffer_load_dword v155, off, s[0:3], 0 offset:316
	v_mul_f64 v[116:117], v[110:111], v[116:117]
	ds_read_b128 v[5:8], v107 offset:1360
	s_waitcnt vmcnt(48)
	v_fma_f64 v[162:163], v[1:2], v[178:179], -v[162:163]
	v_fma_f64 v[150:151], v[3:4], v[178:179], v[150:151]
	ds_read_b128 v[1:4], v107 offset:1376
	v_add_f64 v[112:113], v[112:113], v[166:167]
	v_add_f64 v[105:106], v[105:106], v[118:119]
	s_waitcnt vmcnt(47) lgkmcnt(1)
	v_mul_f64 v[166:167], v[7:8], v[180:181]
	s_waitcnt vmcnt(45)
	v_fma_f64 v[116:117], v[108:109], v[126:127], -v[116:117]
	v_mul_f64 v[118:119], v[5:6], v[180:181]
	v_fma_f64 v[126:127], v[110:111], v[126:127], v[158:159]
	ds_read_b128 v[108:111], v107 offset:1392
	v_add_f64 v[112:113], v[112:113], v[162:163]
	v_add_f64 v[105:106], v[105:106], v[150:151]
	s_waitcnt vmcnt(41) lgkmcnt(1)
	v_mul_f64 v[150:151], v[1:2], v[114:115]
	v_mul_f64 v[114:115], v[3:4], v[114:115]
	s_waitcnt vmcnt(40)
	v_fma_f64 v[158:159], v[5:6], v[185:186], -v[166:167]
	v_add_f64 v[112:113], v[112:113], v[116:117]
	v_fma_f64 v[116:117], v[7:8], v[185:186], v[118:119]
	v_add_f64 v[105:106], v[105:106], v[126:127]
	ds_read_b128 v[5:8], v107 offset:1408
	s_waitcnt vmcnt(39) lgkmcnt(1)
	v_mul_f64 v[126:127], v[110:111], v[172:173]
	v_mul_f64 v[118:119], v[108:109], v[172:173]
	s_waitcnt vmcnt(37)
	v_fma_f64 v[114:115], v[1:2], v[124:125], -v[114:115]
	v_fma_f64 v[124:125], v[3:4], v[124:125], v[150:151]
	ds_read_b128 v[1:4], v107 offset:1424
	v_add_f64 v[112:113], v[112:113], v[158:159]
	v_add_f64 v[105:106], v[105:106], v[116:117]
	s_waitcnt vmcnt(33) lgkmcnt(1)
	v_mul_f64 v[116:117], v[5:6], v[120:121]
	v_mul_f64 v[120:121], v[7:8], v[120:121]
	s_waitcnt vmcnt(32)
	v_fma_f64 v[126:127], v[108:109], v[187:188], -v[126:127]
	v_add_f64 v[112:113], v[112:113], v[114:115]
	v_fma_f64 v[114:115], v[110:111], v[187:188], v[118:119]
	v_add_f64 v[105:106], v[105:106], v[124:125]
	ds_read_b128 v[108:111], v107 offset:1440
	s_waitcnt vmcnt(31) lgkmcnt(1)
	v_mul_f64 v[124:125], v[3:4], v[136:137]
	v_mul_f64 v[118:119], v[1:2], v[136:137]
	s_waitcnt vmcnt(29)
	v_fma_f64 v[120:121], v[5:6], v[122:123], -v[120:121]
	v_fma_f64 v[116:117], v[7:8], v[122:123], v[116:117]
	ds_read_b128 v[5:8], v107 offset:1456
	v_add_f64 v[112:113], v[112:113], v[126:127]
	v_add_f64 v[105:106], v[105:106], v[114:115]
	s_waitcnt vmcnt(25) lgkmcnt(1)
	v_mul_f64 v[122:123], v[110:111], v[128:129]
	s_waitcnt vmcnt(24)
	v_fma_f64 v[124:125], v[1:2], v[182:183], -v[124:125]
	v_mul_f64 v[114:115], v[108:109], v[128:129]
	v_fma_f64 v[118:119], v[3:4], v[182:183], v[118:119]
	ds_read_b128 v[1:4], v107 offset:1472
	v_add_f64 v[112:113], v[112:113], v[120:121]
	v_add_f64 v[105:106], v[105:106], v[116:117]
	s_waitcnt vmcnt(23) lgkmcnt(1)
	v_mul_f64 v[120:121], v[7:8], v[140:141]
	v_mul_f64 v[116:117], v[5:6], v[140:141]
	s_waitcnt vmcnt(21)
	v_fma_f64 v[122:123], v[108:109], v[132:133], -v[122:123]
	v_fma_f64 v[114:115], v[110:111], v[132:133], v[114:115]
	ds_read_b128 v[108:111], v107 offset:1488
	v_add_f64 v[112:113], v[112:113], v[124:125]
	v_add_f64 v[105:106], v[105:106], v[118:119]
	s_waitcnt vmcnt(17) lgkmcnt(1)
	v_mul_f64 v[124:125], v[3:4], v[130:131]
	s_waitcnt vmcnt(16)
	v_fma_f64 v[120:121], v[5:6], v[144:145], -v[120:121]
	v_mul_f64 v[118:119], v[1:2], v[130:131]
	v_fma_f64 v[116:117], v[7:8], v[144:145], v[116:117]
	ds_read_b128 v[5:8], v107 offset:1504
	v_add_f64 v[112:113], v[112:113], v[122:123]
	v_add_f64 v[105:106], v[105:106], v[114:115]
	s_waitcnt vmcnt(15) lgkmcnt(1)
	v_mul_f64 v[122:123], v[110:111], v[148:149]
	v_mul_f64 v[114:115], v[108:109], v[148:149]
	s_waitcnt vmcnt(13)
	v_fma_f64 v[124:125], v[1:2], v[134:135], -v[124:125]
	v_fma_f64 v[118:119], v[3:4], v[134:135], v[118:119]
	ds_read_b128 v[1:4], v107 offset:1520
	v_add_f64 v[112:113], v[112:113], v[120:121]
	v_add_f64 v[105:106], v[105:106], v[116:117]
	s_waitcnt vmcnt(9) lgkmcnt(1)
	v_mul_f64 v[120:121], v[7:8], v[138:139]
	s_waitcnt vmcnt(8)
	v_fma_f64 v[108:109], v[108:109], v[152:153], -v[122:123]
	v_mul_f64 v[116:117], v[5:6], v[138:139]
	v_fma_f64 v[110:111], v[110:111], v[152:153], v[114:115]
	v_add_f64 v[112:113], v[112:113], v[124:125]
	v_add_f64 v[105:106], v[105:106], v[118:119]
	s_waitcnt vmcnt(7) lgkmcnt(0)
	v_mul_f64 v[118:119], v[3:4], v[156:157]
	v_mul_f64 v[114:115], v[1:2], v[156:157]
	s_waitcnt vmcnt(5)
	v_fma_f64 v[5:6], v[5:6], v[142:143], -v[120:121]
	v_fma_f64 v[7:8], v[7:8], v[142:143], v[116:117]
	v_add_f64 v[108:109], v[112:113], v[108:109]
	v_add_f64 v[105:106], v[105:106], v[110:111]
	s_waitcnt vmcnt(4)
	v_fma_f64 v[1:2], v[1:2], v[160:161], -v[118:119]
	v_fma_f64 v[3:4], v[3:4], v[160:161], v[114:115]
	v_add_f64 v[5:6], v[108:109], v[5:6]
	v_add_f64 v[7:8], v[105:106], v[7:8]
	;; [unrolled: 1-line block ×4, first 2 shown]
	s_waitcnt vmcnt(2)
	v_add_f64 v[1:2], v[146:147], -v[1:2]
	s_waitcnt vmcnt(0)
	v_add_f64 v[3:4], v[154:155], -v[3:4]
	buffer_store_dword v2, off, s[0:3], 0 offset:308
	buffer_store_dword v1, off, s[0:3], 0 offset:304
	;; [unrolled: 1-line block ×4, first 2 shown]
	v_cmpx_lt_u32_e32 17, v0
	s_cbranch_execz .LBB111_267
; %bb.266:
	v_mov_b32_e32 v4, s43
	s_clause 0x3
	buffer_load_dword v1, v4, s[0:3], 0 offen
	buffer_load_dword v2, v4, s[0:3], 0 offen offset:4
	buffer_load_dword v3, v4, s[0:3], 0 offen offset:8
	;; [unrolled: 1-line block ×3, first 2 shown]
	buffer_store_dword v107, off, s[0:3], 0 offset:288
	buffer_store_dword v107, off, s[0:3], 0 offset:292
	;; [unrolled: 1-line block ×4, first 2 shown]
	s_waitcnt vmcnt(0)
	ds_write_b128 v165, v[1:4]
.LBB111_267:
	s_or_b32 exec_lo, exec_lo, s4
	s_waitcnt lgkmcnt(0)
	s_waitcnt_vscnt null, 0x0
	s_barrier
	buffer_gl0_inv
	s_clause 0x37
	buffer_load_dword v105, off, s[0:3], 0 offset:312
	buffer_load_dword v106, off, s[0:3], 0 offset:316
	;; [unrolled: 1-line block ×56, first 2 shown]
	ds_read_b128 v[108:111], v107 offset:1056
	s_clause 0x2
	buffer_load_dword v167, off, s[0:3], 0 offset:540
	buffer_load_dword v171, off, s[0:3], 0 offset:516
	;; [unrolled: 1-line block ×3, first 2 shown]
	ds_read_b128 v[112:115], v107 offset:1072
	s_clause 0x4
	buffer_load_dword v175, off, s[0:3], 0 offset:556
	buffer_load_dword v176, off, s[0:3], 0 offset:568
	buffer_load_dword v178, off, s[0:3], 0 offset:560
	buffer_load_dword v174, off, s[0:3], 0 offset:552
	buffer_load_dword v169, off, s[0:3], 0 offset:532
	ds_read_b128 v[116:119], v107 offset:1088
	s_clause 0x2
	buffer_load_dword v177, off, s[0:3], 0 offset:572
	buffer_load_dword v182, off, s[0:3], 0 offset:548
	;; [unrolled: 1-line block ×3, first 2 shown]
	s_mov_b32 s4, exec_lo
	s_waitcnt vmcnt(62) lgkmcnt(2)
	v_mul_f64 v[172:173], v[110:111], v[105:106]
	v_mul_f64 v[105:106], v[108:109], v[105:106]
	s_waitcnt lgkmcnt(1)
	v_mul_f64 v[179:180], v[114:115], v[5:6]
	s_waitcnt vmcnt(59) lgkmcnt(0)
	v_mul_f64 v[183:184], v[118:119], v[3:4]
	v_fma_f64 v[108:109], v[108:109], v[7:8], -v[172:173]
	v_mul_f64 v[172:173], v[112:113], v[5:6]
	v_fma_f64 v[105:106], v[110:111], v[7:8], v[105:106]
	s_waitcnt vmcnt(57)
	v_fma_f64 v[112:113], v[112:113], v[1:2], -v[179:180]
	ds_read_b128 v[5:8], v107 offset:1104
	v_mul_f64 v[110:111], v[116:117], v[3:4]
	s_waitcnt vmcnt(51)
	v_fma_f64 v[116:117], v[116:117], v[126:127], -v[183:184]
	v_add_f64 v[108:109], v[108:109], 0
	v_fma_f64 v[114:115], v[114:115], v[1:2], v[172:173]
	v_add_f64 v[105:106], v[105:106], 0
	s_clause 0x4
	buffer_load_dword v173, off, s[0:3], 0 offset:588
	buffer_load_dword v185, off, s[0:3], 0 offset:600
	;; [unrolled: 1-line block ×5, first 2 shown]
	s_waitcnt lgkmcnt(0)
	v_mul_f64 v[188:189], v[5:6], v[120:121]
	v_mul_f64 v[120:121], v[7:8], v[120:121]
	ds_read_b128 v[1:4], v107 offset:1120
	v_fma_f64 v[118:119], v[118:119], v[126:127], v[110:111]
	v_add_f64 v[112:113], v[108:109], v[112:113]
	v_add_f64 v[105:106], v[105:106], v[114:115]
	s_clause 0x2
	buffer_load_dword v186, off, s[0:3], 0 offset:604
	buffer_load_dword v115, off, s[0:3], 0 offset:580
	;; [unrolled: 1-line block ×3, first 2 shown]
	s_waitcnt vmcnt(58) lgkmcnt(0)
	v_mul_f64 v[126:127], v[1:2], v[122:123]
	v_mul_f64 v[122:123], v[3:4], v[122:123]
	s_waitcnt vmcnt(56)
	v_fma_f64 v[120:121], v[5:6], v[128:129], -v[120:121]
	ds_read_b128 v[108:111], v107 offset:1136
	v_add_f64 v[112:113], v[112:113], v[116:117]
	v_fma_f64 v[116:117], v[7:8], v[128:129], v[188:189]
	v_add_f64 v[105:106], v[105:106], v[118:119]
	s_clause 0x4
	buffer_load_dword v119, off, s[0:3], 0 offset:620
	buffer_load_dword v128, off, s[0:3], 0 offset:632
	;; [unrolled: 1-line block ×5, first 2 shown]
	ds_read_b128 v[5:8], v107 offset:1152
	s_waitcnt vmcnt(57) lgkmcnt(1)
	v_mul_f64 v[189:190], v[108:109], v[130:131]
	v_mul_f64 v[130:131], v[110:111], v[130:131]
	s_waitcnt vmcnt(56)
	v_fma_f64 v[122:123], v[1:2], v[124:125], -v[122:123]
	v_add_f64 v[112:113], v[112:113], v[120:121]
	v_fma_f64 v[120:121], v[3:4], v[124:125], v[126:127]
	v_add_f64 v[105:106], v[105:106], v[116:117]
	s_clause 0x2
	buffer_load_dword v129, off, s[0:3], 0 offset:636
	buffer_load_dword v117, off, s[0:3], 0 offset:612
	buffer_load_dword v116, off, s[0:3], 0 offset:608
	s_waitcnt vmcnt(58) lgkmcnt(0)
	v_mul_f64 v[126:127], v[7:8], v[132:133]
	ds_read_b128 v[1:4], v107 offset:1168
	s_waitcnt vmcnt(56)
	v_fma_f64 v[130:131], v[108:109], v[136:137], -v[130:131]
	v_mul_f64 v[124:125], v[5:6], v[132:133]
	v_add_f64 v[112:113], v[112:113], v[122:123]
	v_fma_f64 v[122:123], v[110:111], v[136:137], v[189:190]
	v_add_f64 v[105:106], v[105:106], v[120:121]
	s_clause 0x4
	buffer_load_dword v121, off, s[0:3], 0 offset:652
	buffer_load_dword v132, off, s[0:3], 0 offset:664
	buffer_load_dword v136, off, s[0:3], 0 offset:656
	buffer_load_dword v120, off, s[0:3], 0 offset:648
	buffer_load_dword v184, off, s[0:3], 0 offset:628
	s_waitcnt vmcnt(57) lgkmcnt(0)
	v_mul_f64 v[189:190], v[1:2], v[138:139]
	v_mul_f64 v[137:138], v[3:4], v[138:139]
	s_waitcnt vmcnt(56)
	v_fma_f64 v[126:127], v[5:6], v[134:135], -v[126:127]
	ds_read_b128 v[108:111], v107 offset:1184
	v_fma_f64 v[124:125], v[7:8], v[134:135], v[124:125]
	v_add_f64 v[112:113], v[112:113], v[130:131]
	v_add_f64 v[105:106], v[105:106], v[122:123]
	s_clause 0x2
	buffer_load_dword v133, off, s[0:3], 0 offset:668
	buffer_load_dword v123, off, s[0:3], 0 offset:644
	buffer_load_dword v122, off, s[0:3], 0 offset:640
	ds_read_b128 v[5:8], v107 offset:1200
	s_waitcnt vmcnt(58) lgkmcnt(1)
	v_mul_f64 v[134:135], v[110:111], v[140:141]
	s_waitcnt vmcnt(56)
	v_fma_f64 v[138:139], v[1:2], v[144:145], -v[137:138]
	v_mul_f64 v[130:131], v[108:109], v[140:141]
	v_add_f64 v[112:113], v[112:113], v[126:127]
	v_fma_f64 v[126:127], v[3:4], v[144:145], v[189:190]
	v_add_f64 v[105:106], v[105:106], v[124:125]
	s_clause 0x4
	buffer_load_dword v125, off, s[0:3], 0 offset:684
	buffer_load_dword v140, off, s[0:3], 0 offset:696
	buffer_load_dword v144, off, s[0:3], 0 offset:688
	buffer_load_dword v124, off, s[0:3], 0 offset:680
	buffer_load_dword v137, off, s[0:3], 0 offset:660
	s_waitcnt vmcnt(57) lgkmcnt(0)
	v_mul_f64 v[189:190], v[5:6], v[146:147]
	v_mul_f64 v[145:146], v[7:8], v[146:147]
	s_waitcnt vmcnt(56)
	v_fma_f64 v[134:135], v[108:109], v[142:143], -v[134:135]
	ds_read_b128 v[1:4], v107 offset:1216
	v_fma_f64 v[130:131], v[110:111], v[142:143], v[130:131]
	v_add_f64 v[112:113], v[112:113], v[138:139]
	v_add_f64 v[105:106], v[105:106], v[126:127]
	s_clause 0x2
	buffer_load_dword v141, off, s[0:3], 0 offset:700
	buffer_load_dword v127, off, s[0:3], 0 offset:676
	buffer_load_dword v126, off, s[0:3], 0 offset:672
	ds_read_b128 v[108:111], v107 offset:1232
	s_waitcnt vmcnt(58) lgkmcnt(1)
	v_mul_f64 v[142:143], v[3:4], v[148:149]
	;; [unrolled: 28-line block ×4, first 2 shown]
	s_waitcnt vmcnt(56)
	v_fma_f64 v[162:163], v[1:2], v[170:171], -v[161:162]
	v_mul_f64 v[154:155], v[108:109], v[166:167]
	v_add_f64 v[112:113], v[112:113], v[150:151]
	v_fma_f64 v[150:151], v[3:4], v[170:171], v[189:190]
	v_add_f64 v[105:106], v[105:106], v[146:147]
	s_clause 0x2
	buffer_load_dword v147, off, s[0:3], 0 offset:780
	buffer_load_dword v146, off, s[0:3], 0 offset:776
	;; [unrolled: 1-line block ×3, first 2 shown]
	s_waitcnt vmcnt(55) lgkmcnt(0)
	v_mul_f64 v[170:171], v[7:8], v[174:175]
	s_waitcnt vmcnt(54)
	v_fma_f64 v[158:159], v[108:109], v[168:169], -v[158:159]
	ds_read_b128 v[1:4], v107 offset:1312
	v_mul_f64 v[166:167], v[5:6], v[174:175]
	v_fma_f64 v[154:155], v[110:111], v[168:169], v[154:155]
	v_add_f64 v[112:113], v[112:113], v[162:163]
	v_add_f64 v[105:106], v[105:106], v[150:151]
	s_clause 0x1
	buffer_load_dword v151, off, s[0:3], 0 offset:772
	buffer_load_dword v150, off, s[0:3], 0 offset:768
	s_waitcnt vmcnt(55) lgkmcnt(0)
	v_mul_f64 v[168:169], v[3:4], v[176:177]
	s_waitcnt vmcnt(53)
	v_fma_f64 v[170:171], v[5:6], v[181:182], -v[170:171]
	ds_read_b128 v[108:111], v107 offset:1328
	v_mul_f64 v[162:163], v[1:2], v[176:177]
	v_add_f64 v[112:113], v[112:113], v[158:159]
	v_fma_f64 v[158:159], v[7:8], v[181:182], v[166:167]
	v_add_f64 v[105:106], v[105:106], v[154:155]
	ds_read_b128 v[5:8], v107 offset:1344
	s_waitcnt vmcnt(49) lgkmcnt(1)
	v_mul_f64 v[166:167], v[110:111], v[172:173]
	s_waitcnt vmcnt(48)
	v_fma_f64 v[168:169], v[1:2], v[178:179], -v[168:169]
	v_mul_f64 v[154:155], v[108:109], v[172:173]
	v_fma_f64 v[162:163], v[3:4], v[178:179], v[162:163]
	v_add_f64 v[112:113], v[112:113], v[170:171]
	v_add_f64 v[105:106], v[105:106], v[158:159]
	s_clause 0x3
	buffer_load_dword v158, off, s[0:3], 0 offset:288
	buffer_load_dword v159, off, s[0:3], 0 offset:292
	;; [unrolled: 1-line block ×4, first 2 shown]
	ds_read_b128 v[1:4], v107 offset:1360
	s_waitcnt vmcnt(51) lgkmcnt(1)
	v_mul_f64 v[174:175], v[7:8], v[185:186]
	v_mul_f64 v[172:173], v[5:6], v[185:186]
	s_waitcnt vmcnt(49)
	v_fma_f64 v[166:167], v[108:109], v[114:115], -v[166:167]
	v_fma_f64 v[114:115], v[110:111], v[114:115], v[154:155]
	ds_read_b128 v[108:111], v107 offset:1376
	v_add_f64 v[112:113], v[112:113], v[168:169]
	v_add_f64 v[105:106], v[105:106], v[162:163]
	s_waitcnt vmcnt(45) lgkmcnt(1)
	v_mul_f64 v[154:155], v[1:2], v[118:119]
	v_mul_f64 v[118:119], v[3:4], v[118:119]
	s_waitcnt vmcnt(44)
	v_fma_f64 v[162:163], v[5:6], v[187:188], -v[174:175]
	v_add_f64 v[112:113], v[112:113], v[166:167]
	v_fma_f64 v[166:167], v[7:8], v[187:188], v[172:173]
	v_add_f64 v[105:106], v[105:106], v[114:115]
	ds_read_b128 v[5:8], v107 offset:1392
	s_waitcnt vmcnt(43) lgkmcnt(1)
	v_mul_f64 v[114:115], v[108:109], v[128:129]
	v_mul_f64 v[128:129], v[110:111], v[128:129]
	s_waitcnt vmcnt(41)
	v_fma_f64 v[118:119], v[1:2], v[116:117], -v[118:119]
	v_fma_f64 v[116:117], v[3:4], v[116:117], v[154:155]
	ds_read_b128 v[1:4], v107 offset:1408
	v_add_f64 v[112:113], v[112:113], v[162:163]
	v_add_f64 v[105:106], v[105:106], v[166:167]
	s_waitcnt vmcnt(37) lgkmcnt(1)
	v_mul_f64 v[154:155], v[5:6], v[120:121]
	v_mul_f64 v[120:121], v[7:8], v[120:121]
	s_waitcnt vmcnt(36)
	v_fma_f64 v[128:129], v[108:109], v[183:184], -v[128:129]
	v_fma_f64 v[114:115], v[110:111], v[183:184], v[114:115]
	ds_read_b128 v[108:111], v107 offset:1424
	v_add_f64 v[112:113], v[112:113], v[118:119]
	v_add_f64 v[105:106], v[105:106], v[116:117]
	;; [unrolled: 9-line block ×5, first 2 shown]
	s_waitcnt vmcnt(21) lgkmcnt(1)
	v_mul_f64 v[118:119], v[3:4], v[130:131]
	s_waitcnt vmcnt(20)
	v_fma_f64 v[122:123], v[5:6], v[144:145], -v[122:123]
	v_mul_f64 v[116:117], v[1:2], v[130:131]
	v_fma_f64 v[120:121], v[7:8], v[144:145], v[120:121]
	ds_read_b128 v[5:8], v107 offset:1488
	v_add_f64 v[112:113], v[112:113], v[124:125]
	v_add_f64 v[105:106], v[105:106], v[114:115]
	s_waitcnt vmcnt(19) lgkmcnt(1)
	v_mul_f64 v[124:125], v[110:111], v[148:149]
	v_mul_f64 v[114:115], v[108:109], v[148:149]
	s_waitcnt vmcnt(17)
	v_fma_f64 v[118:119], v[1:2], v[134:135], -v[118:119]
	v_fma_f64 v[116:117], v[3:4], v[134:135], v[116:117]
	ds_read_b128 v[1:4], v107 offset:1504
	v_add_f64 v[112:113], v[112:113], v[122:123]
	v_add_f64 v[105:106], v[105:106], v[120:121]
	s_waitcnt vmcnt(13) lgkmcnt(1)
	v_mul_f64 v[122:123], v[7:8], v[138:139]
	s_waitcnt vmcnt(12)
	v_fma_f64 v[124:125], v[108:109], v[152:153], -v[124:125]
	v_mul_f64 v[120:121], v[5:6], v[138:139]
	v_fma_f64 v[109:110], v[110:111], v[152:153], v[114:115]
	v_add_f64 v[112:113], v[112:113], v[118:119]
	v_add_f64 v[114:115], v[105:106], v[116:117]
	ds_read_b128 v[105:108], v107 offset:1520
	s_waitcnt vmcnt(11) lgkmcnt(1)
	v_mul_f64 v[118:119], v[3:4], v[156:157]
	v_mul_f64 v[116:117], v[1:2], v[156:157]
	s_waitcnt vmcnt(9)
	v_fma_f64 v[5:6], v[5:6], v[142:143], -v[122:123]
	v_fma_f64 v[7:8], v[7:8], v[142:143], v[120:121]
	v_add_f64 v[111:112], v[112:113], v[124:125]
	v_add_f64 v[109:110], v[114:115], v[109:110]
	s_waitcnt vmcnt(7) lgkmcnt(0)
	v_mul_f64 v[120:121], v[107:108], v[146:147]
	s_waitcnt vmcnt(6)
	v_fma_f64 v[1:2], v[1:2], v[160:161], -v[118:119]
	v_mul_f64 v[113:114], v[105:106], v[146:147]
	v_fma_f64 v[3:4], v[3:4], v[160:161], v[116:117]
	v_add_f64 v[5:6], v[111:112], v[5:6]
	v_add_f64 v[7:8], v[109:110], v[7:8]
	s_waitcnt vmcnt(4)
	v_fma_f64 v[105:106], v[105:106], v[150:151], -v[120:121]
	v_add_f64 v[1:2], v[5:6], v[1:2]
	v_fma_f64 v[5:6], v[107:108], v[150:151], v[113:114]
	v_add_f64 v[3:4], v[7:8], v[3:4]
	v_add_f64 v[1:2], v[1:2], v[105:106]
	;; [unrolled: 1-line block ×3, first 2 shown]
	s_waitcnt vmcnt(2)
	v_add_f64 v[1:2], v[158:159], -v[1:2]
	s_waitcnt vmcnt(0)
	v_add_f64 v[3:4], v[170:171], -v[3:4]
	buffer_store_dword v2, off, s[0:3], 0 offset:292
	buffer_store_dword v1, off, s[0:3], 0 offset:288
	;; [unrolled: 1-line block ×4, first 2 shown]
	v_cmpx_lt_u32_e32 16, v0
	s_cbranch_execz .LBB111_269
; %bb.268:
	v_mov_b32_e32 v4, s44
	v_mov_b32_e32 v5, 0
	s_clause 0x3
	buffer_load_dword v1, v4, s[0:3], 0 offen
	buffer_load_dword v2, v4, s[0:3], 0 offen offset:4
	buffer_load_dword v3, v4, s[0:3], 0 offen offset:8
	;; [unrolled: 1-line block ×3, first 2 shown]
	buffer_store_dword v5, off, s[0:3], 0 offset:272
	buffer_store_dword v5, off, s[0:3], 0 offset:276
	;; [unrolled: 1-line block ×4, first 2 shown]
	s_waitcnt vmcnt(0)
	ds_write_b128 v165, v[1:4]
.LBB111_269:
	s_or_b32 exec_lo, exec_lo, s4
	s_waitcnt lgkmcnt(0)
	s_waitcnt_vscnt null, 0x0
	s_barrier
	buffer_gl0_inv
	s_clause 0x37
	buffer_load_dword v105, off, s[0:3], 0 offset:296
	buffer_load_dword v106, off, s[0:3], 0 offset:300
	;; [unrolled: 1-line block ×56, first 2 shown]
	v_mov_b32_e32 v125, 0
	s_mov_b32 s4, exec_lo
	ds_read_b128 v[113:116], v125 offset:1040
	s_clause 0x2
	buffer_load_dword v167, off, s[0:3], 0 offset:524
	buffer_load_dword v171, off, s[0:3], 0 offset:500
	;; [unrolled: 1-line block ×3, first 2 shown]
	ds_read_b128 v[117:120], v125 offset:1056
	s_clause 0x4
	buffer_load_dword v175, off, s[0:3], 0 offset:540
	buffer_load_dword v176, off, s[0:3], 0 offset:552
	;; [unrolled: 1-line block ×5, first 2 shown]
	ds_read_b128 v[121:124], v125 offset:1072
	s_clause 0x2
	buffer_load_dword v177, off, s[0:3], 0 offset:556
	buffer_load_dword v182, off, s[0:3], 0 offset:532
	;; [unrolled: 1-line block ×3, first 2 shown]
	s_waitcnt vmcnt(62) lgkmcnt(2)
	v_mul_f64 v[172:173], v[115:116], v[105:106]
	v_mul_f64 v[105:106], v[113:114], v[105:106]
	s_waitcnt lgkmcnt(1)
	v_mul_f64 v[179:180], v[119:120], v[5:6]
	s_waitcnt vmcnt(59) lgkmcnt(0)
	v_mul_f64 v[183:184], v[123:124], v[3:4]
	v_fma_f64 v[113:114], v[113:114], v[7:8], -v[172:173]
	v_mul_f64 v[172:173], v[117:118], v[5:6]
	v_fma_f64 v[105:106], v[115:116], v[7:8], v[105:106]
	s_waitcnt vmcnt(57)
	v_fma_f64 v[117:118], v[117:118], v[1:2], -v[179:180]
	ds_read_b128 v[5:8], v125 offset:1088
	v_mul_f64 v[115:116], v[121:122], v[3:4]
	s_waitcnt vmcnt(51)
	v_fma_f64 v[121:122], v[121:122], v[128:129], -v[183:184]
	v_add_f64 v[113:114], v[113:114], 0
	v_fma_f64 v[119:120], v[119:120], v[1:2], v[172:173]
	v_add_f64 v[105:106], v[105:106], 0
	s_clause 0x4
	buffer_load_dword v173, off, s[0:3], 0 offset:572
	buffer_load_dword v185, off, s[0:3], 0 offset:584
	;; [unrolled: 1-line block ×5, first 2 shown]
	s_waitcnt lgkmcnt(0)
	v_mul_f64 v[188:189], v[5:6], v[109:110]
	v_mul_f64 v[109:110], v[7:8], v[109:110]
	ds_read_b128 v[1:4], v125 offset:1104
	v_fma_f64 v[123:124], v[123:124], v[128:129], v[115:116]
	v_add_f64 v[117:118], v[113:114], v[117:118]
	v_add_f64 v[105:106], v[105:106], v[119:120]
	s_clause 0x2
	buffer_load_dword v186, off, s[0:3], 0 offset:588
	buffer_load_dword v120, off, s[0:3], 0 offset:564
	;; [unrolled: 1-line block ×3, first 2 shown]
	s_waitcnt vmcnt(58) lgkmcnt(0)
	v_mul_f64 v[128:129], v[1:2], v[126:127]
	v_mul_f64 v[126:127], v[3:4], v[126:127]
	s_waitcnt vmcnt(56)
	v_fma_f64 v[109:110], v[5:6], v[130:131], -v[109:110]
	ds_read_b128 v[113:116], v125 offset:1120
	v_add_f64 v[117:118], v[117:118], v[121:122]
	v_fma_f64 v[121:122], v[7:8], v[130:131], v[188:189]
	v_add_f64 v[105:106], v[105:106], v[123:124]
	s_clause 0x4
	buffer_load_dword v124, off, s[0:3], 0 offset:604
	buffer_load_dword v130, off, s[0:3], 0 offset:616
	;; [unrolled: 1-line block ×5, first 2 shown]
	ds_read_b128 v[5:8], v125 offset:1136
	s_waitcnt vmcnt(57) lgkmcnt(1)
	v_mul_f64 v[189:190], v[113:114], v[132:133]
	v_mul_f64 v[132:133], v[115:116], v[132:133]
	s_waitcnt vmcnt(56)
	v_fma_f64 v[126:127], v[1:2], v[107:108], -v[126:127]
	v_fma_f64 v[107:108], v[3:4], v[107:108], v[128:129]
	v_add_f64 v[109:110], v[117:118], v[109:110]
	s_clause 0x2
	buffer_load_dword v131, off, s[0:3], 0 offset:620
	buffer_load_dword v118, off, s[0:3], 0 offset:596
	buffer_load_dword v117, off, s[0:3], 0 offset:592
	v_add_f64 v[105:106], v[105:106], v[121:122]
	s_waitcnt vmcnt(58) lgkmcnt(0)
	v_mul_f64 v[128:129], v[7:8], v[134:135]
	ds_read_b128 v[1:4], v125 offset:1152
	v_mul_f64 v[121:122], v[5:6], v[134:135]
	s_waitcnt vmcnt(56)
	v_fma_f64 v[113:114], v[113:114], v[136:137], -v[132:133]
	v_fma_f64 v[115:116], v[115:116], v[136:137], v[189:190]
	s_clause 0x4
	buffer_load_dword v133, off, s[0:3], 0 offset:636
	buffer_load_dword v134, off, s[0:3], 0 offset:648
	;; [unrolled: 1-line block ×5, first 2 shown]
	v_add_f64 v[109:110], v[109:110], v[126:127]
	v_add_f64 v[126:127], v[105:106], v[107:108]
	s_waitcnt vmcnt(57) lgkmcnt(0)
	v_mul_f64 v[189:190], v[1:2], v[138:139]
	v_mul_f64 v[137:138], v[3:4], v[138:139]
	s_waitcnt vmcnt(56)
	v_fma_f64 v[128:129], v[5:6], v[111:112], -v[128:129]
	ds_read_b128 v[105:108], v125 offset:1168
	v_fma_f64 v[111:112], v[7:8], v[111:112], v[121:122]
	v_add_f64 v[109:110], v[109:110], v[113:114]
	v_add_f64 v[113:114], v[126:127], v[115:116]
	s_clause 0x2
	buffer_load_dword v135, off, s[0:3], 0 offset:652
	buffer_load_dword v116, off, s[0:3], 0 offset:628
	;; [unrolled: 1-line block ×3, first 2 shown]
	s_waitcnt vmcnt(58) lgkmcnt(0)
	v_mul_f64 v[126:127], v[107:108], v[140:141]
	s_waitcnt vmcnt(56)
	v_fma_f64 v[138:139], v[1:2], v[144:145], -v[137:138]
	ds_read_b128 v[5:8], v125 offset:1184
	v_mul_f64 v[121:122], v[105:106], v[140:141]
	v_add_f64 v[109:110], v[109:110], v[128:129]
	v_fma_f64 v[128:129], v[3:4], v[144:145], v[189:190]
	v_add_f64 v[111:112], v[113:114], v[111:112]
	s_clause 0x4
	buffer_load_dword v114, off, s[0:3], 0 offset:668
	buffer_load_dword v140, off, s[0:3], 0 offset:680
	buffer_load_dword v144, off, s[0:3], 0 offset:672
	buffer_load_dword v113, off, s[0:3], 0 offset:664
	buffer_load_dword v137, off, s[0:3], 0 offset:644
	s_waitcnt vmcnt(57) lgkmcnt(0)
	v_mul_f64 v[189:190], v[5:6], v[146:147]
	v_mul_f64 v[145:146], v[7:8], v[146:147]
	s_waitcnt vmcnt(56)
	v_fma_f64 v[126:127], v[105:106], v[142:143], -v[126:127]
	ds_read_b128 v[1:4], v125 offset:1200
	v_fma_f64 v[121:122], v[107:108], v[142:143], v[121:122]
	v_add_f64 v[109:110], v[109:110], v[138:139]
	v_add_f64 v[111:112], v[111:112], v[128:129]
	s_clause 0x2
	buffer_load_dword v141, off, s[0:3], 0 offset:684
	buffer_load_dword v129, off, s[0:3], 0 offset:660
	buffer_load_dword v128, off, s[0:3], 0 offset:656
	ds_read_b128 v[105:108], v125 offset:1216
	s_waitcnt vmcnt(58) lgkmcnt(1)
	v_mul_f64 v[142:143], v[3:4], v[148:149]
	s_waitcnt vmcnt(56)
	v_fma_f64 v[146:147], v[5:6], v[152:153], -v[145:146]
	v_mul_f64 v[138:139], v[1:2], v[148:149]
	v_add_f64 v[109:110], v[109:110], v[126:127]
	v_fma_f64 v[126:127], v[7:8], v[152:153], v[189:190]
	v_add_f64 v[111:112], v[111:112], v[121:122]
	s_clause 0x4
	buffer_load_dword v122, off, s[0:3], 0 offset:700
	buffer_load_dword v148, off, s[0:3], 0 offset:712
	buffer_load_dword v152, off, s[0:3], 0 offset:704
	buffer_load_dword v121, off, s[0:3], 0 offset:696
	buffer_load_dword v145, off, s[0:3], 0 offset:676
	s_waitcnt vmcnt(57) lgkmcnt(0)
	v_mul_f64 v[189:190], v[105:106], v[154:155]
	v_mul_f64 v[153:154], v[107:108], v[154:155]
	s_waitcnt vmcnt(56)
	v_fma_f64 v[142:143], v[1:2], v[150:151], -v[142:143]
	ds_read_b128 v[5:8], v125 offset:1232
	v_fma_f64 v[138:139], v[3:4], v[150:151], v[138:139]
	v_add_f64 v[109:110], v[109:110], v[146:147]
	v_add_f64 v[111:112], v[111:112], v[126:127]
	s_clause 0x2
	buffer_load_dword v149, off, s[0:3], 0 offset:716
	buffer_load_dword v127, off, s[0:3], 0 offset:692
	buffer_load_dword v126, off, s[0:3], 0 offset:688
	ds_read_b128 v[1:4], v125 offset:1248
	s_waitcnt vmcnt(58) lgkmcnt(1)
	v_mul_f64 v[150:151], v[7:8], v[156:157]
	s_waitcnt vmcnt(56)
	v_fma_f64 v[154:155], v[105:106], v[160:161], -v[153:154]
	;; [unrolled: 28-line block ×4, first 2 shown]
	v_mul_f64 v[162:163], v[1:2], v[176:177]
	buffer_load_dword v171, off, s[0:3], 0 offset:772
	v_add_f64 v[109:110], v[109:110], v[158:159]
	v_fma_f64 v[158:159], v[7:8], v[181:182], v[189:190]
	v_add_f64 v[111:112], v[111:112], v[154:155]
	ds_read_b128 v[5:8], v125 offset:1328
	s_waitcnt vmcnt(53) lgkmcnt(1)
	v_mul_f64 v[154:155], v[105:106], v[172:173]
	v_mul_f64 v[172:173], v[107:108], v[172:173]
	s_waitcnt vmcnt(52)
	v_fma_f64 v[168:169], v[1:2], v[178:179], -v[168:169]
	v_fma_f64 v[162:163], v[3:4], v[178:179], v[162:163]
	ds_read_b128 v[1:4], v125 offset:1344
	v_add_f64 v[109:110], v[109:110], v[174:175]
	v_add_f64 v[111:112], v[111:112], v[158:159]
	s_waitcnt vmcnt(51) lgkmcnt(1)
	v_mul_f64 v[174:175], v[7:8], v[185:186]
	v_mul_f64 v[158:159], v[5:6], v[185:186]
	s_waitcnt vmcnt(49)
	v_fma_f64 v[172:173], v[105:106], v[119:120], -v[172:173]
	v_fma_f64 v[119:120], v[107:108], v[119:120], v[154:155]
	v_add_f64 v[109:110], v[109:110], v[168:169]
	v_add_f64 v[111:112], v[111:112], v[162:163]
	s_clause 0x3
	buffer_load_dword v154, off, s[0:3], 0 offset:272
	buffer_load_dword v155, off, s[0:3], 0 offset:276
	;; [unrolled: 1-line block ×4, first 2 shown]
	ds_read_b128 v[105:108], v125 offset:1360
	s_waitcnt vmcnt(49) lgkmcnt(1)
	v_mul_f64 v[168:169], v[1:2], v[123:124]
	v_mul_f64 v[123:124], v[3:4], v[123:124]
	s_waitcnt vmcnt(48)
	v_fma_f64 v[174:175], v[5:6], v[187:188], -v[174:175]
	v_fma_f64 v[158:159], v[7:8], v[187:188], v[158:159]
	ds_read_b128 v[5:8], v125 offset:1376
	v_add_f64 v[109:110], v[109:110], v[172:173]
	v_add_f64 v[111:112], v[111:112], v[119:120]
	s_waitcnt vmcnt(47) lgkmcnt(1)
	v_mul_f64 v[119:120], v[105:106], v[130:131]
	v_mul_f64 v[130:131], v[107:108], v[130:131]
	s_waitcnt vmcnt(45)
	v_fma_f64 v[123:124], v[1:2], v[117:118], -v[123:124]
	v_fma_f64 v[117:118], v[3:4], v[117:118], v[168:169]
	ds_read_b128 v[1:4], v125 offset:1392
	v_add_f64 v[109:110], v[109:110], v[174:175]
	v_add_f64 v[111:112], v[111:112], v[158:159]
	s_waitcnt vmcnt(41) lgkmcnt(1)
	v_mul_f64 v[158:159], v[5:6], v[132:133]
	v_mul_f64 v[132:133], v[7:8], v[132:133]
	s_waitcnt vmcnt(40)
	v_fma_f64 v[119:120], v[107:108], v[183:184], v[119:120]
	v_fma_f64 v[130:131], v[105:106], v[183:184], -v[130:131]
	ds_read_b128 v[105:108], v125 offset:1408
	v_add_f64 v[109:110], v[109:110], v[123:124]
	v_add_f64 v[111:112], v[111:112], v[117:118]
	s_waitcnt vmcnt(39) lgkmcnt(1)
	v_mul_f64 v[123:124], v[3:4], v[134:135]
	v_mul_f64 v[117:118], v[1:2], v[134:135]
	s_waitcnt vmcnt(37)
	v_fma_f64 v[132:133], v[5:6], v[115:116], -v[132:133]
	v_fma_f64 v[115:116], v[7:8], v[115:116], v[158:159]
	ds_read_b128 v[5:8], v125 offset:1424
	v_add_f64 v[109:110], v[109:110], v[130:131]
	v_add_f64 v[111:112], v[111:112], v[119:120]
	s_waitcnt vmcnt(33) lgkmcnt(1)
	v_mul_f64 v[119:120], v[105:106], v[113:114]
	v_mul_f64 v[113:114], v[107:108], v[113:114]
	s_waitcnt vmcnt(32)
	v_fma_f64 v[123:124], v[1:2], v[136:137], -v[123:124]
	v_fma_f64 v[117:118], v[3:4], v[136:137], v[117:118]
	;; [unrolled: 9-line block ×3, first 2 shown]
	ds_read_b128 v[105:108], v125 offset:1456
	v_add_f64 v[109:110], v[109:110], v[123:124]
	v_add_f64 v[111:112], v[111:112], v[117:118]
	s_waitcnt vmcnt(25) lgkmcnt(1)
	v_mul_f64 v[117:118], v[1:2], v[121:122]
	v_mul_f64 v[121:122], v[3:4], v[121:122]
	s_waitcnt vmcnt(24)
	v_fma_f64 v[123:124], v[5:6], v[144:145], -v[130:131]
	v_add_f64 v[109:110], v[109:110], v[113:114]
	v_fma_f64 v[113:114], v[7:8], v[144:145], v[115:116]
	v_add_f64 v[111:112], v[111:112], v[119:120]
	ds_read_b128 v[5:8], v125 offset:1472
	s_waitcnt vmcnt(23) lgkmcnt(1)
	v_mul_f64 v[119:120], v[107:108], v[148:149]
	v_mul_f64 v[115:116], v[105:106], v[148:149]
	s_waitcnt vmcnt(21)
	v_fma_f64 v[121:122], v[1:2], v[126:127], -v[121:122]
	v_fma_f64 v[117:118], v[3:4], v[126:127], v[117:118]
	ds_read_b128 v[1:4], v125 offset:1488
	v_add_f64 v[109:110], v[109:110], v[123:124]
	v_add_f64 v[111:112], v[111:112], v[113:114]
	s_waitcnt vmcnt(17) lgkmcnt(1)
	v_mul_f64 v[123:124], v[7:8], v[138:139]
	s_waitcnt vmcnt(16)
	v_fma_f64 v[119:120], v[105:106], v[152:153], -v[119:120]
	v_mul_f64 v[113:114], v[5:6], v[138:139]
	v_fma_f64 v[115:116], v[107:108], v[152:153], v[115:116]
	ds_read_b128 v[105:108], v125 offset:1504
	v_add_f64 v[109:110], v[109:110], v[121:122]
	v_add_f64 v[111:112], v[111:112], v[117:118]
	s_waitcnt vmcnt(15) lgkmcnt(1)
	v_mul_f64 v[121:122], v[3:4], v[156:157]
	v_mul_f64 v[117:118], v[1:2], v[156:157]
	s_waitcnt vmcnt(13)
	v_fma_f64 v[123:124], v[5:6], v[142:143], -v[123:124]
	v_fma_f64 v[113:114], v[7:8], v[142:143], v[113:114]
	ds_read_b128 v[5:8], v125 offset:1520
	v_add_f64 v[109:110], v[109:110], v[119:120]
	v_add_f64 v[111:112], v[111:112], v[115:116]
	s_waitcnt vmcnt(9) lgkmcnt(1)
	v_mul_f64 v[119:120], v[107:108], v[146:147]
	s_waitcnt vmcnt(8)
	v_fma_f64 v[1:2], v[1:2], v[160:161], -v[121:122]
	v_mul_f64 v[115:116], v[105:106], v[146:147]
	v_fma_f64 v[3:4], v[3:4], v[160:161], v[117:118]
	v_add_f64 v[109:110], v[109:110], v[123:124]
	v_add_f64 v[111:112], v[111:112], v[113:114]
	s_waitcnt vmcnt(7) lgkmcnt(0)
	v_mul_f64 v[117:118], v[7:8], v[166:167]
	v_mul_f64 v[113:114], v[5:6], v[166:167]
	s_waitcnt vmcnt(5)
	v_fma_f64 v[105:106], v[105:106], v[150:151], -v[119:120]
	v_fma_f64 v[107:108], v[107:108], v[150:151], v[115:116]
	v_add_f64 v[1:2], v[109:110], v[1:2]
	v_add_f64 v[3:4], v[111:112], v[3:4]
	s_waitcnt vmcnt(4)
	v_fma_f64 v[5:6], v[5:6], v[170:171], -v[117:118]
	v_fma_f64 v[7:8], v[7:8], v[170:171], v[113:114]
	v_add_f64 v[1:2], v[1:2], v[105:106]
	v_add_f64 v[3:4], v[3:4], v[107:108]
	;; [unrolled: 1-line block ×4, first 2 shown]
	s_waitcnt vmcnt(2)
	v_add_f64 v[1:2], v[154:155], -v[1:2]
	s_waitcnt vmcnt(0)
	v_add_f64 v[3:4], v[162:163], -v[3:4]
	buffer_store_dword v2, off, s[0:3], 0 offset:276
	buffer_store_dword v1, off, s[0:3], 0 offset:272
	;; [unrolled: 1-line block ×4, first 2 shown]
	v_cmpx_lt_u32_e32 15, v0
	s_cbranch_execz .LBB111_271
; %bb.270:
	v_mov_b32_e32 v4, s45
	s_clause 0x3
	buffer_load_dword v1, v4, s[0:3], 0 offen
	buffer_load_dword v2, v4, s[0:3], 0 offen offset:4
	buffer_load_dword v3, v4, s[0:3], 0 offen offset:8
	;; [unrolled: 1-line block ×3, first 2 shown]
	buffer_store_dword v125, off, s[0:3], 0 offset:256
	buffer_store_dword v125, off, s[0:3], 0 offset:260
	;; [unrolled: 1-line block ×4, first 2 shown]
	s_waitcnt vmcnt(0)
	ds_write_b128 v165, v[1:4]
.LBB111_271:
	s_or_b32 exec_lo, exec_lo, s4
	s_waitcnt lgkmcnt(0)
	s_waitcnt_vscnt null, 0x0
	s_barrier
	buffer_gl0_inv
	s_clause 0x37
	buffer_load_dword v105, off, s[0:3], 0 offset:280
	buffer_load_dword v106, off, s[0:3], 0 offset:284
	buffer_load_dword v5, off, s[0:3], 0 offset:296
	buffer_load_dword v6, off, s[0:3], 0 offset:300
	buffer_load_dword v7, off, s[0:3], 0 offset:272
	buffer_load_dword v8, off, s[0:3], 0 offset:276
	buffer_load_dword v3, off, s[0:3], 0 offset:312
	buffer_load_dword v4, off, s[0:3], 0 offset:316
	buffer_load_dword v1, off, s[0:3], 0 offset:288
	buffer_load_dword v2, off, s[0:3], 0 offset:292
	buffer_load_dword v110, off, s[0:3], 0 offset:332
	buffer_load_dword v113, off, s[0:3], 0 offset:344
	buffer_load_dword v107, off, s[0:3], 0 offset:336
	buffer_load_dword v109, off, s[0:3], 0 offset:328
	buffer_load_dword v121, off, s[0:3], 0 offset:304
	buffer_load_dword v122, off, s[0:3], 0 offset:308
	buffer_load_dword v114, off, s[0:3], 0 offset:348
	buffer_load_dword v116, off, s[0:3], 0 offset:324
	buffer_load_dword v115, off, s[0:3], 0 offset:320
	buffer_load_dword v118, off, s[0:3], 0 offset:364
	buffer_load_dword v123, off, s[0:3], 0 offset:376
	buffer_load_dword v111, off, s[0:3], 0 offset:368
	buffer_load_dword v117, off, s[0:3], 0 offset:360
	buffer_load_dword v108, off, s[0:3], 0 offset:340
	buffer_load_dword v124, off, s[0:3], 0 offset:380
	buffer_load_dword v139, off, s[0:3], 0 offset:356
	buffer_load_dword v138, off, s[0:3], 0 offset:352
	buffer_load_dword v141, off, s[0:3], 0 offset:396
	buffer_load_dword v142, off, s[0:3], 0 offset:408
	buffer_load_dword v119, off, s[0:3], 0 offset:400
	buffer_load_dword v140, off, s[0:3], 0 offset:392
	buffer_load_dword v112, off, s[0:3], 0 offset:372
	buffer_load_dword v143, off, s[0:3], 0 offset:412
	buffer_load_dword v145, off, s[0:3], 0 offset:388
	buffer_load_dword v144, off, s[0:3], 0 offset:384
	buffer_load_dword v147, off, s[0:3], 0 offset:428
	buffer_load_dword v148, off, s[0:3], 0 offset:440
	buffer_load_dword v150, off, s[0:3], 0 offset:432
	buffer_load_dword v146, off, s[0:3], 0 offset:424
	buffer_load_dword v120, off, s[0:3], 0 offset:404
	buffer_load_dword v149, off, s[0:3], 0 offset:444
	buffer_load_dword v153, off, s[0:3], 0 offset:420
	buffer_load_dword v152, off, s[0:3], 0 offset:416
	buffer_load_dword v155, off, s[0:3], 0 offset:460
	buffer_load_dword v156, off, s[0:3], 0 offset:472
	buffer_load_dword v158, off, s[0:3], 0 offset:464
	buffer_load_dword v154, off, s[0:3], 0 offset:456
	buffer_load_dword v151, off, s[0:3], 0 offset:436
	buffer_load_dword v157, off, s[0:3], 0 offset:476
	buffer_load_dword v161, off, s[0:3], 0 offset:452
	buffer_load_dword v160, off, s[0:3], 0 offset:448
	buffer_load_dword v163, off, s[0:3], 0 offset:492
	buffer_load_dword v166, off, s[0:3], 0 offset:504
	buffer_load_dword v168, off, s[0:3], 0 offset:496
	buffer_load_dword v162, off, s[0:3], 0 offset:488
	buffer_load_dword v159, off, s[0:3], 0 offset:468
	ds_read_b128 v[126:129], v125 offset:1024
	s_clause 0x2
	buffer_load_dword v167, off, s[0:3], 0 offset:508
	buffer_load_dword v171, off, s[0:3], 0 offset:484
	;; [unrolled: 1-line block ×3, first 2 shown]
	ds_read_b128 v[130:133], v125 offset:1040
	s_clause 0x4
	buffer_load_dword v175, off, s[0:3], 0 offset:524
	buffer_load_dword v176, off, s[0:3], 0 offset:536
	;; [unrolled: 1-line block ×5, first 2 shown]
	ds_read_b128 v[134:137], v125 offset:1056
	s_clause 0x2
	buffer_load_dword v177, off, s[0:3], 0 offset:540
	buffer_load_dword v182, off, s[0:3], 0 offset:516
	;; [unrolled: 1-line block ×3, first 2 shown]
	s_mov_b32 s4, exec_lo
	s_waitcnt vmcnt(62) lgkmcnt(2)
	v_mul_f64 v[172:173], v[128:129], v[105:106]
	v_mul_f64 v[105:106], v[126:127], v[105:106]
	s_waitcnt lgkmcnt(1)
	v_mul_f64 v[179:180], v[132:133], v[5:6]
	s_waitcnt vmcnt(59) lgkmcnt(0)
	v_mul_f64 v[183:184], v[136:137], v[3:4]
	v_fma_f64 v[126:127], v[126:127], v[7:8], -v[172:173]
	v_mul_f64 v[172:173], v[130:131], v[5:6]
	v_fma_f64 v[105:106], v[128:129], v[7:8], v[105:106]
	s_waitcnt vmcnt(57)
	v_fma_f64 v[130:131], v[130:131], v[1:2], -v[179:180]
	ds_read_b128 v[5:8], v125 offset:1072
	v_mul_f64 v[128:129], v[134:135], v[3:4]
	s_waitcnt vmcnt(51)
	v_fma_f64 v[134:135], v[134:135], v[121:122], -v[183:184]
	v_add_f64 v[126:127], v[126:127], 0
	v_fma_f64 v[132:133], v[132:133], v[1:2], v[172:173]
	v_add_f64 v[105:106], v[105:106], 0
	s_clause 0x4
	buffer_load_dword v173, off, s[0:3], 0 offset:556
	buffer_load_dword v185, off, s[0:3], 0 offset:568
	;; [unrolled: 1-line block ×5, first 2 shown]
	s_waitcnt lgkmcnt(0)
	v_mul_f64 v[188:189], v[5:6], v[109:110]
	v_mul_f64 v[109:110], v[7:8], v[109:110]
	ds_read_b128 v[1:4], v125 offset:1088
	v_fma_f64 v[121:122], v[136:137], v[121:122], v[128:129]
	v_add_f64 v[130:131], v[126:127], v[130:131]
	v_add_f64 v[105:106], v[105:106], v[132:133]
	s_clause 0x2
	buffer_load_dword v186, off, s[0:3], 0 offset:572
	buffer_load_dword v133, off, s[0:3], 0 offset:548
	;; [unrolled: 1-line block ×3, first 2 shown]
	s_waitcnt vmcnt(58) lgkmcnt(0)
	v_mul_f64 v[136:137], v[1:2], v[113:114]
	v_mul_f64 v[113:114], v[3:4], v[113:114]
	s_waitcnt vmcnt(56)
	v_fma_f64 v[109:110], v[5:6], v[115:116], -v[109:110]
	ds_read_b128 v[126:129], v125 offset:1104
	v_fma_f64 v[115:116], v[7:8], v[115:116], v[188:189]
	v_add_f64 v[130:131], v[130:131], v[134:135]
	v_add_f64 v[105:106], v[105:106], v[121:122]
	s_clause 0x4
	buffer_load_dword v122, off, s[0:3], 0 offset:588
	buffer_load_dword v134, off, s[0:3], 0 offset:600
	;; [unrolled: 1-line block ×5, first 2 shown]
	ds_read_b128 v[5:8], v125 offset:1120
	s_waitcnt vmcnt(57) lgkmcnt(1)
	v_mul_f64 v[189:190], v[126:127], v[117:118]
	v_mul_f64 v[117:118], v[128:129], v[117:118]
	s_waitcnt vmcnt(56)
	v_fma_f64 v[113:114], v[1:2], v[107:108], -v[113:114]
	v_fma_f64 v[107:108], v[3:4], v[107:108], v[136:137]
	v_add_f64 v[109:110], v[130:131], v[109:110]
	v_add_f64 v[105:106], v[105:106], v[115:116]
	s_clause 0x2
	buffer_load_dword v135, off, s[0:3], 0 offset:604
	buffer_load_dword v116, off, s[0:3], 0 offset:580
	;; [unrolled: 1-line block ×3, first 2 shown]
	s_waitcnt vmcnt(58) lgkmcnt(0)
	v_mul_f64 v[130:131], v[5:6], v[123:124]
	v_mul_f64 v[123:124], v[7:8], v[123:124]
	s_waitcnt vmcnt(56)
	v_fma_f64 v[117:118], v[126:127], v[138:139], -v[117:118]
	ds_read_b128 v[1:4], v125 offset:1136
	v_add_f64 v[109:110], v[109:110], v[113:114]
	v_fma_f64 v[113:114], v[128:129], v[138:139], v[189:190]
	v_add_f64 v[126:127], v[105:106], v[107:108]
	s_clause 0x4
	buffer_load_dword v129, off, s[0:3], 0 offset:620
	buffer_load_dword v136, off, s[0:3], 0 offset:632
	;; [unrolled: 1-line block ×5, first 2 shown]
	ds_read_b128 v[105:108], v125 offset:1152
	s_waitcnt vmcnt(57) lgkmcnt(1)
	v_mul_f64 v[189:190], v[1:2], v[140:141]
	v_mul_f64 v[139:140], v[3:4], v[140:141]
	s_waitcnt vmcnt(56)
	v_fma_f64 v[123:124], v[5:6], v[111:112], -v[123:124]
	v_fma_f64 v[111:112], v[7:8], v[111:112], v[130:131]
	v_add_f64 v[109:110], v[109:110], v[117:118]
	s_clause 0x2
	buffer_load_dword v137, off, s[0:3], 0 offset:636
	buffer_load_dword v118, off, s[0:3], 0 offset:612
	;; [unrolled: 1-line block ×3, first 2 shown]
	v_add_f64 v[113:114], v[126:127], v[113:114]
	s_waitcnt vmcnt(58) lgkmcnt(0)
	v_mul_f64 v[130:131], v[107:108], v[142:143]
	ds_read_b128 v[5:8], v125 offset:1168
	v_mul_f64 v[126:127], v[105:106], v[142:143]
	s_waitcnt vmcnt(56)
	v_fma_f64 v[140:141], v[1:2], v[144:145], -v[139:140]
	v_add_f64 v[109:110], v[109:110], v[123:124]
	v_fma_f64 v[123:124], v[3:4], v[144:145], v[189:190]
	v_add_f64 v[111:112], v[113:114], v[111:112]
	s_clause 0x4
	buffer_load_dword v114, off, s[0:3], 0 offset:652
	buffer_load_dword v142, off, s[0:3], 0 offset:664
	buffer_load_dword v144, off, s[0:3], 0 offset:656
	buffer_load_dword v113, off, s[0:3], 0 offset:648
	buffer_load_dword v139, off, s[0:3], 0 offset:628
	s_waitcnt vmcnt(57) lgkmcnt(0)
	v_mul_f64 v[189:190], v[5:6], v[146:147]
	v_mul_f64 v[145:146], v[7:8], v[146:147]
	s_waitcnt vmcnt(56)
	v_fma_f64 v[130:131], v[105:106], v[119:120], -v[130:131]
	ds_read_b128 v[1:4], v125 offset:1184
	v_fma_f64 v[119:120], v[107:108], v[119:120], v[126:127]
	v_add_f64 v[109:110], v[109:110], v[140:141]
	v_add_f64 v[111:112], v[111:112], v[123:124]
	s_clause 0x2
	buffer_load_dword v143, off, s[0:3], 0 offset:668
	buffer_load_dword v124, off, s[0:3], 0 offset:644
	buffer_load_dword v123, off, s[0:3], 0 offset:640
	ds_read_b128 v[105:108], v125 offset:1200
	s_waitcnt vmcnt(58) lgkmcnt(1)
	v_mul_f64 v[140:141], v[3:4], v[148:149]
	s_waitcnt vmcnt(56)
	v_fma_f64 v[146:147], v[5:6], v[152:153], -v[145:146]
	v_mul_f64 v[126:127], v[1:2], v[148:149]
	v_add_f64 v[109:110], v[109:110], v[130:131]
	v_fma_f64 v[130:131], v[7:8], v[152:153], v[189:190]
	v_add_f64 v[111:112], v[111:112], v[119:120]
	s_clause 0x4
	buffer_load_dword v120, off, s[0:3], 0 offset:684
	buffer_load_dword v148, off, s[0:3], 0 offset:696
	buffer_load_dword v152, off, s[0:3], 0 offset:688
	buffer_load_dword v119, off, s[0:3], 0 offset:680
	buffer_load_dword v145, off, s[0:3], 0 offset:660
	s_waitcnt vmcnt(57) lgkmcnt(0)
	v_mul_f64 v[189:190], v[105:106], v[154:155]
	v_mul_f64 v[153:154], v[107:108], v[154:155]
	s_waitcnt vmcnt(56)
	v_fma_f64 v[140:141], v[1:2], v[150:151], -v[140:141]
	ds_read_b128 v[5:8], v125 offset:1216
	v_fma_f64 v[126:127], v[3:4], v[150:151], v[126:127]
	v_add_f64 v[109:110], v[109:110], v[146:147]
	v_add_f64 v[111:112], v[111:112], v[130:131]
	s_clause 0x2
	buffer_load_dword v149, off, s[0:3], 0 offset:700
	buffer_load_dword v131, off, s[0:3], 0 offset:676
	buffer_load_dword v130, off, s[0:3], 0 offset:672
	ds_read_b128 v[1:4], v125 offset:1232
	s_waitcnt vmcnt(58) lgkmcnt(1)
	v_mul_f64 v[150:151], v[7:8], v[156:157]
	s_waitcnt vmcnt(56)
	v_fma_f64 v[154:155], v[105:106], v[160:161], -v[153:154]
	v_mul_f64 v[146:147], v[5:6], v[156:157]
	;; [unrolled: 28-line block ×4, first 2 shown]
	v_add_f64 v[109:110], v[109:110], v[158:159]
	v_fma_f64 v[158:159], v[7:8], v[181:182], v[189:190]
	v_add_f64 v[111:112], v[111:112], v[154:155]
	s_clause 0x2
	buffer_load_dword v155, off, s[0:3], 0 offset:780
	buffer_load_dword v154, off, s[0:3], 0 offset:776
	;; [unrolled: 1-line block ×3, first 2 shown]
	ds_read_b128 v[5:8], v125 offset:1312
	s_waitcnt vmcnt(55) lgkmcnt(1)
	v_mul_f64 v[176:177], v[105:106], v[172:173]
	v_mul_f64 v[172:173], v[107:108], v[172:173]
	s_waitcnt vmcnt(54)
	v_fma_f64 v[168:169], v[1:2], v[178:179], -v[168:169]
	v_fma_f64 v[162:163], v[3:4], v[178:179], v[162:163]
	v_add_f64 v[109:110], v[109:110], v[174:175]
	v_add_f64 v[111:112], v[111:112], v[158:159]
	s_clause 0x1
	buffer_load_dword v159, off, s[0:3], 0 offset:772
	buffer_load_dword v158, off, s[0:3], 0 offset:768
	ds_read_b128 v[1:4], v125 offset:1328
	s_waitcnt vmcnt(55) lgkmcnt(1)
	v_mul_f64 v[178:179], v[7:8], v[185:186]
	v_mul_f64 v[174:175], v[5:6], v[185:186]
	s_waitcnt vmcnt(53)
	v_fma_f64 v[172:173], v[105:106], v[132:133], -v[172:173]
	v_fma_f64 v[132:133], v[107:108], v[132:133], v[176:177]
	ds_read_b128 v[105:108], v125 offset:1344
	v_add_f64 v[109:110], v[109:110], v[168:169]
	v_add_f64 v[111:112], v[111:112], v[162:163]
	s_waitcnt vmcnt(49) lgkmcnt(1)
	v_mul_f64 v[162:163], v[1:2], v[121:122]
	v_mul_f64 v[121:122], v[3:4], v[121:122]
	s_waitcnt vmcnt(48)
	v_fma_f64 v[168:169], v[5:6], v[187:188], -v[178:179]
	v_add_f64 v[109:110], v[109:110], v[172:173]
	v_fma_f64 v[172:173], v[7:8], v[187:188], v[174:175]
	v_add_f64 v[111:112], v[111:112], v[132:133]
	s_clause 0x3
	buffer_load_dword v132, off, s[0:3], 0 offset:256
	buffer_load_dword v133, off, s[0:3], 0 offset:260
	;; [unrolled: 1-line block ×4, first 2 shown]
	ds_read_b128 v[5:8], v125 offset:1360
	s_waitcnt vmcnt(51) lgkmcnt(1)
	v_mul_f64 v[176:177], v[105:106], v[134:135]
	v_mul_f64 v[134:135], v[107:108], v[134:135]
	s_waitcnt vmcnt(49)
	v_fma_f64 v[121:122], v[1:2], v[115:116], -v[121:122]
	v_fma_f64 v[115:116], v[3:4], v[115:116], v[162:163]
	ds_read_b128 v[1:4], v125 offset:1376
	v_add_f64 v[109:110], v[109:110], v[168:169]
	v_add_f64 v[111:112], v[111:112], v[172:173]
	s_waitcnt vmcnt(45) lgkmcnt(1)
	v_mul_f64 v[162:163], v[5:6], v[128:129]
	v_mul_f64 v[128:129], v[7:8], v[128:129]
	s_waitcnt vmcnt(44)
	v_fma_f64 v[134:135], v[105:106], v[183:184], -v[134:135]
	v_add_f64 v[109:110], v[109:110], v[121:122]
	v_fma_f64 v[121:122], v[107:108], v[183:184], v[176:177]
	v_add_f64 v[111:112], v[111:112], v[115:116]
	ds_read_b128 v[105:108], v125 offset:1392
	s_waitcnt vmcnt(43) lgkmcnt(1)
	v_mul_f64 v[115:116], v[1:2], v[136:137]
	v_mul_f64 v[136:137], v[3:4], v[136:137]
	s_waitcnt vmcnt(41)
	v_fma_f64 v[128:129], v[5:6], v[117:118], -v[128:129]
	v_fma_f64 v[117:118], v[7:8], v[117:118], v[162:163]
	ds_read_b128 v[5:8], v125 offset:1408
	v_add_f64 v[109:110], v[109:110], v[134:135]
	v_add_f64 v[111:112], v[111:112], v[121:122]
	s_waitcnt vmcnt(37) lgkmcnt(1)
	v_mul_f64 v[121:122], v[105:106], v[113:114]
	v_mul_f64 v[113:114], v[107:108], v[113:114]
	s_waitcnt vmcnt(36)
	v_fma_f64 v[134:135], v[1:2], v[138:139], -v[136:137]
	v_fma_f64 v[115:116], v[3:4], v[138:139], v[115:116]
	ds_read_b128 v[1:4], v125 offset:1424
	v_add_f64 v[109:110], v[109:110], v[128:129]
	v_add_f64 v[111:112], v[111:112], v[117:118]
	;; [unrolled: 9-line block ×3, first 2 shown]
	s_waitcnt vmcnt(29) lgkmcnt(1)
	v_mul_f64 v[115:116], v[1:2], v[119:120]
	v_mul_f64 v[119:120], v[3:4], v[119:120]
	s_waitcnt vmcnt(28)
	v_fma_f64 v[123:124], v[5:6], v[144:145], -v[128:129]
	v_add_f64 v[109:110], v[109:110], v[113:114]
	v_fma_f64 v[113:114], v[7:8], v[144:145], v[117:118]
	v_add_f64 v[111:112], v[111:112], v[121:122]
	ds_read_b128 v[5:8], v125 offset:1456
	s_waitcnt vmcnt(27) lgkmcnt(1)
	v_mul_f64 v[121:122], v[107:108], v[148:149]
	v_mul_f64 v[117:118], v[105:106], v[148:149]
	s_waitcnt vmcnt(25)
	v_fma_f64 v[119:120], v[1:2], v[130:131], -v[119:120]
	v_fma_f64 v[115:116], v[3:4], v[130:131], v[115:116]
	ds_read_b128 v[1:4], v125 offset:1472
	v_add_f64 v[109:110], v[109:110], v[123:124]
	v_add_f64 v[111:112], v[111:112], v[113:114]
	s_waitcnt vmcnt(21) lgkmcnt(1)
	v_mul_f64 v[123:124], v[7:8], v[126:127]
	s_waitcnt vmcnt(20)
	v_fma_f64 v[121:122], v[105:106], v[152:153], -v[121:122]
	v_mul_f64 v[113:114], v[5:6], v[126:127]
	v_fma_f64 v[117:118], v[107:108], v[152:153], v[117:118]
	ds_read_b128 v[105:108], v125 offset:1488
	v_add_f64 v[109:110], v[109:110], v[119:120]
	v_add_f64 v[111:112], v[111:112], v[115:116]
	s_waitcnt vmcnt(19) lgkmcnt(1)
	v_mul_f64 v[119:120], v[3:4], v[156:157]
	v_mul_f64 v[115:116], v[1:2], v[156:157]
	s_waitcnt vmcnt(17)
	v_fma_f64 v[123:124], v[5:6], v[140:141], -v[123:124]
	v_fma_f64 v[113:114], v[7:8], v[140:141], v[113:114]
	ds_read_b128 v[5:8], v125 offset:1504
	v_add_f64 v[109:110], v[109:110], v[121:122]
	v_add_f64 v[111:112], v[111:112], v[117:118]
	s_waitcnt vmcnt(13) lgkmcnt(1)
	v_mul_f64 v[121:122], v[107:108], v[146:147]
	s_waitcnt vmcnt(12)
	v_fma_f64 v[119:120], v[1:2], v[160:161], -v[119:120]
	v_mul_f64 v[117:118], v[105:106], v[146:147]
	v_fma_f64 v[115:116], v[3:4], v[160:161], v[115:116]
	ds_read_b128 v[1:4], v125 offset:1520
	v_add_f64 v[109:110], v[109:110], v[123:124]
	v_add_f64 v[111:112], v[111:112], v[113:114]
	s_waitcnt vmcnt(11) lgkmcnt(1)
	v_mul_f64 v[123:124], v[7:8], v[166:167]
	v_mul_f64 v[113:114], v[5:6], v[166:167]
	s_waitcnt vmcnt(9)
	v_fma_f64 v[105:106], v[105:106], v[150:151], -v[121:122]
	v_fma_f64 v[107:108], v[107:108], v[150:151], v[117:118]
	v_add_f64 v[109:110], v[109:110], v[119:120]
	v_add_f64 v[111:112], v[111:112], v[115:116]
	s_waitcnt vmcnt(7) lgkmcnt(0)
	v_mul_f64 v[117:118], v[3:4], v[154:155]
	s_waitcnt vmcnt(6)
	v_fma_f64 v[5:6], v[5:6], v[170:171], -v[123:124]
	v_mul_f64 v[115:116], v[1:2], v[154:155]
	v_fma_f64 v[7:8], v[7:8], v[170:171], v[113:114]
	v_add_f64 v[105:106], v[109:110], v[105:106]
	v_add_f64 v[107:108], v[111:112], v[107:108]
	s_waitcnt vmcnt(4)
	v_fma_f64 v[1:2], v[1:2], v[158:159], -v[117:118]
	v_fma_f64 v[3:4], v[3:4], v[158:159], v[115:116]
	v_add_f64 v[5:6], v[105:106], v[5:6]
	v_add_f64 v[7:8], v[107:108], v[7:8]
	;; [unrolled: 1-line block ×4, first 2 shown]
	s_waitcnt vmcnt(2)
	v_add_f64 v[1:2], v[132:133], -v[1:2]
	s_waitcnt vmcnt(0)
	v_add_f64 v[3:4], v[174:175], -v[3:4]
	buffer_store_dword v2, off, s[0:3], 0 offset:260
	buffer_store_dword v1, off, s[0:3], 0 offset:256
	;; [unrolled: 1-line block ×4, first 2 shown]
	v_cmpx_lt_u32_e32 14, v0
	s_cbranch_execz .LBB111_273
; %bb.272:
	v_mov_b32_e32 v4, s46
	v_mov_b32_e32 v5, 0
	s_clause 0x3
	buffer_load_dword v1, v4, s[0:3], 0 offen
	buffer_load_dword v2, v4, s[0:3], 0 offen offset:4
	buffer_load_dword v3, v4, s[0:3], 0 offen offset:8
	;; [unrolled: 1-line block ×3, first 2 shown]
	buffer_store_dword v5, off, s[0:3], 0 offset:240
	buffer_store_dword v5, off, s[0:3], 0 offset:244
	;; [unrolled: 1-line block ×4, first 2 shown]
	s_waitcnt vmcnt(0)
	ds_write_b128 v165, v[1:4]
.LBB111_273:
	s_or_b32 exec_lo, exec_lo, s4
	s_waitcnt lgkmcnt(0)
	s_waitcnt_vscnt null, 0x0
	s_barrier
	buffer_gl0_inv
	s_clause 0x37
	buffer_load_dword v105, off, s[0:3], 0 offset:264
	buffer_load_dword v106, off, s[0:3], 0 offset:268
	;; [unrolled: 1-line block ×56, first 2 shown]
	v_mov_b32_e32 v147, 0
	s_mov_b32 s4, exec_lo
	ds_read_b128 v[135:138], v147 offset:1008
	s_clause 0x2
	buffer_load_dword v167, off, s[0:3], 0 offset:492
	buffer_load_dword v171, off, s[0:3], 0 offset:468
	;; [unrolled: 1-line block ×3, first 2 shown]
	ds_read_b128 v[139:142], v147 offset:1024
	s_clause 0x4
	buffer_load_dword v175, off, s[0:3], 0 offset:508
	buffer_load_dword v176, off, s[0:3], 0 offset:520
	;; [unrolled: 1-line block ×5, first 2 shown]
	ds_read_b128 v[143:146], v147 offset:1040
	s_clause 0x2
	buffer_load_dword v177, off, s[0:3], 0 offset:524
	buffer_load_dword v182, off, s[0:3], 0 offset:500
	;; [unrolled: 1-line block ×3, first 2 shown]
	s_waitcnt vmcnt(62) lgkmcnt(2)
	v_mul_f64 v[172:173], v[137:138], v[105:106]
	v_mul_f64 v[105:106], v[135:136], v[105:106]
	s_waitcnt lgkmcnt(1)
	v_mul_f64 v[179:180], v[141:142], v[5:6]
	s_waitcnt vmcnt(59) lgkmcnt(0)
	v_mul_f64 v[183:184], v[145:146], v[3:4]
	v_fma_f64 v[135:136], v[135:136], v[7:8], -v[172:173]
	v_mul_f64 v[172:173], v[139:140], v[5:6]
	v_fma_f64 v[105:106], v[137:138], v[7:8], v[105:106]
	s_waitcnt vmcnt(57)
	v_fma_f64 v[139:140], v[139:140], v[1:2], -v[179:180]
	ds_read_b128 v[5:8], v147 offset:1056
	v_mul_f64 v[137:138], v[143:144], v[3:4]
	s_waitcnt vmcnt(51)
	v_fma_f64 v[143:144], v[143:144], v[121:122], -v[183:184]
	v_add_f64 v[135:136], v[135:136], 0
	v_fma_f64 v[141:142], v[141:142], v[1:2], v[172:173]
	v_add_f64 v[105:106], v[105:106], 0
	s_clause 0x4
	buffer_load_dword v173, off, s[0:3], 0 offset:540
	buffer_load_dword v185, off, s[0:3], 0 offset:552
	;; [unrolled: 1-line block ×5, first 2 shown]
	s_waitcnt lgkmcnt(0)
	v_mul_f64 v[188:189], v[5:6], v[109:110]
	v_mul_f64 v[109:110], v[7:8], v[109:110]
	ds_read_b128 v[1:4], v147 offset:1072
	v_fma_f64 v[121:122], v[145:146], v[121:122], v[137:138]
	v_add_f64 v[139:140], v[135:136], v[139:140]
	v_add_f64 v[105:106], v[105:106], v[141:142]
	s_clause 0x2
	buffer_load_dword v186, off, s[0:3], 0 offset:556
	buffer_load_dword v142, off, s[0:3], 0 offset:532
	;; [unrolled: 1-line block ×3, first 2 shown]
	s_waitcnt vmcnt(58) lgkmcnt(0)
	v_mul_f64 v[145:146], v[1:2], v[113:114]
	v_mul_f64 v[113:114], v[3:4], v[113:114]
	s_waitcnt vmcnt(56)
	v_fma_f64 v[109:110], v[5:6], v[115:116], -v[109:110]
	ds_read_b128 v[135:138], v147 offset:1088
	v_fma_f64 v[115:116], v[7:8], v[115:116], v[188:189]
	v_add_f64 v[139:140], v[139:140], v[143:144]
	v_add_f64 v[105:106], v[105:106], v[121:122]
	s_clause 0x4
	buffer_load_dword v122, off, s[0:3], 0 offset:572
	buffer_load_dword v143, off, s[0:3], 0 offset:584
	;; [unrolled: 1-line block ×5, first 2 shown]
	ds_read_b128 v[5:8], v147 offset:1104
	s_waitcnt vmcnt(57) lgkmcnt(1)
	v_mul_f64 v[189:190], v[135:136], v[117:118]
	v_mul_f64 v[117:118], v[137:138], v[117:118]
	s_waitcnt vmcnt(56)
	v_fma_f64 v[113:114], v[1:2], v[107:108], -v[113:114]
	v_fma_f64 v[107:108], v[3:4], v[107:108], v[145:146]
	v_add_f64 v[109:110], v[139:140], v[109:110]
	v_add_f64 v[105:106], v[105:106], v[115:116]
	s_clause 0x2
	buffer_load_dword v144, off, s[0:3], 0 offset:588
	buffer_load_dword v116, off, s[0:3], 0 offset:564
	buffer_load_dword v115, off, s[0:3], 0 offset:560
	s_waitcnt vmcnt(58) lgkmcnt(0)
	v_mul_f64 v[139:140], v[5:6], v[123:124]
	v_mul_f64 v[123:124], v[7:8], v[123:124]
	s_waitcnt vmcnt(56)
	v_fma_f64 v[117:118], v[135:136], v[125:126], -v[117:118]
	ds_read_b128 v[1:4], v147 offset:1120
	v_add_f64 v[109:110], v[109:110], v[113:114]
	v_fma_f64 v[113:114], v[137:138], v[125:126], v[189:190]
	v_add_f64 v[125:126], v[105:106], v[107:108]
	s_clause 0x4
	buffer_load_dword v136, off, s[0:3], 0 offset:604
	buffer_load_dword v137, off, s[0:3], 0 offset:616
	;; [unrolled: 1-line block ×5, first 2 shown]
	ds_read_b128 v[105:108], v147 offset:1136
	s_waitcnt vmcnt(57) lgkmcnt(1)
	v_mul_f64 v[189:190], v[1:2], v[127:128]
	v_mul_f64 v[127:128], v[3:4], v[127:128]
	s_waitcnt vmcnt(56)
	v_fma_f64 v[123:124], v[5:6], v[111:112], -v[123:124]
	v_fma_f64 v[111:112], v[7:8], v[111:112], v[139:140]
	v_add_f64 v[109:110], v[109:110], v[117:118]
	s_clause 0x2
	buffer_load_dword v138, off, s[0:3], 0 offset:620
	buffer_load_dword v118, off, s[0:3], 0 offset:596
	buffer_load_dword v117, off, s[0:3], 0 offset:592
	v_add_f64 v[113:114], v[125:126], v[113:114]
	s_waitcnt vmcnt(58) lgkmcnt(0)
	v_mul_f64 v[125:126], v[105:106], v[131:132]
	v_mul_f64 v[131:132], v[107:108], v[131:132]
	ds_read_b128 v[5:8], v147 offset:1152
	s_waitcnt vmcnt(56)
	v_fma_f64 v[127:128], v[1:2], v[133:134], -v[127:128]
	v_add_f64 v[109:110], v[109:110], v[123:124]
	v_fma_f64 v[123:124], v[3:4], v[133:134], v[189:190]
	v_add_f64 v[111:112], v[113:114], v[111:112]
	s_clause 0x4
	buffer_load_dword v114, off, s[0:3], 0 offset:636
	buffer_load_dword v133, off, s[0:3], 0 offset:648
	;; [unrolled: 1-line block ×5, first 2 shown]
	s_waitcnt vmcnt(57) lgkmcnt(0)
	v_mul_f64 v[189:190], v[5:6], v[148:149]
	v_mul_f64 v[148:149], v[7:8], v[148:149]
	s_waitcnt vmcnt(56)
	v_fma_f64 v[131:132], v[105:106], v[119:120], -v[131:132]
	ds_read_b128 v[1:4], v147 offset:1168
	v_fma_f64 v[119:120], v[107:108], v[119:120], v[125:126]
	v_add_f64 v[109:110], v[109:110], v[127:128]
	v_add_f64 v[111:112], v[111:112], v[123:124]
	s_clause 0x2
	buffer_load_dword v134, off, s[0:3], 0 offset:652
	buffer_load_dword v124, off, s[0:3], 0 offset:628
	;; [unrolled: 1-line block ×3, first 2 shown]
	ds_read_b128 v[105:108], v147 offset:1184
	s_waitcnt vmcnt(58) lgkmcnt(1)
	v_mul_f64 v[127:128], v[3:4], v[150:151]
	s_waitcnt vmcnt(56)
	v_fma_f64 v[148:149], v[5:6], v[152:153], -v[148:149]
	v_mul_f64 v[125:126], v[1:2], v[150:151]
	v_add_f64 v[109:110], v[109:110], v[131:132]
	v_fma_f64 v[131:132], v[7:8], v[152:153], v[189:190]
	v_add_f64 v[111:112], v[111:112], v[119:120]
	s_clause 0x4
	buffer_load_dword v120, off, s[0:3], 0 offset:668
	buffer_load_dword v150, off, s[0:3], 0 offset:680
	;; [unrolled: 1-line block ×5, first 2 shown]
	s_waitcnt vmcnt(57) lgkmcnt(0)
	v_mul_f64 v[189:190], v[105:106], v[154:155]
	v_mul_f64 v[153:154], v[107:108], v[154:155]
	s_waitcnt vmcnt(56)
	v_fma_f64 v[127:128], v[1:2], v[129:130], -v[127:128]
	ds_read_b128 v[5:8], v147 offset:1200
	v_fma_f64 v[125:126], v[3:4], v[129:130], v[125:126]
	s_clause 0x2
	buffer_load_dword v151, off, s[0:3], 0 offset:684
	buffer_load_dword v130, off, s[0:3], 0 offset:660
	;; [unrolled: 1-line block ×3, first 2 shown]
	ds_read_b128 v[1:4], v147 offset:1216
	v_add_f64 v[109:110], v[109:110], v[148:149]
	v_add_f64 v[111:112], v[111:112], v[131:132]
	s_waitcnt vmcnt(58) lgkmcnt(1)
	v_mul_f64 v[148:149], v[7:8], v[156:157]
	s_waitcnt vmcnt(56)
	v_fma_f64 v[154:155], v[105:106], v[160:161], -v[153:154]
	v_mul_f64 v[131:132], v[5:6], v[156:157]
	v_add_f64 v[109:110], v[109:110], v[127:128]
	v_fma_f64 v[127:128], v[107:108], v[160:161], v[189:190]
	v_add_f64 v[111:112], v[111:112], v[125:126]
	s_clause 0x4
	buffer_load_dword v126, off, s[0:3], 0 offset:700
	buffer_load_dword v156, off, s[0:3], 0 offset:712
	;; [unrolled: 1-line block ×5, first 2 shown]
	s_waitcnt vmcnt(57) lgkmcnt(0)
	v_mul_f64 v[189:190], v[1:2], v[162:163]
	v_mul_f64 v[161:162], v[3:4], v[162:163]
	s_waitcnt vmcnt(56)
	v_fma_f64 v[148:149], v[5:6], v[158:159], -v[148:149]
	ds_read_b128 v[105:108], v147 offset:1232
	v_fma_f64 v[131:132], v[7:8], v[158:159], v[131:132]
	v_add_f64 v[109:110], v[109:110], v[154:155]
	v_add_f64 v[111:112], v[111:112], v[127:128]
	s_clause 0x2
	buffer_load_dword v157, off, s[0:3], 0 offset:716
	buffer_load_dword v128, off, s[0:3], 0 offset:692
	;; [unrolled: 1-line block ×3, first 2 shown]
	ds_read_b128 v[5:8], v147 offset:1248
	s_waitcnt vmcnt(58) lgkmcnt(1)
	v_mul_f64 v[158:159], v[107:108], v[166:167]
	s_waitcnt vmcnt(56)
	v_fma_f64 v[162:163], v[1:2], v[170:171], -v[161:162]
	v_mul_f64 v[154:155], v[105:106], v[166:167]
	v_add_f64 v[109:110], v[109:110], v[148:149]
	v_fma_f64 v[148:149], v[3:4], v[170:171], v[189:190]
	v_add_f64 v[111:112], v[111:112], v[131:132]
	s_clause 0x4
	buffer_load_dword v132, off, s[0:3], 0 offset:732
	buffer_load_dword v166, off, s[0:3], 0 offset:744
	buffer_load_dword v170, off, s[0:3], 0 offset:736
	buffer_load_dword v131, off, s[0:3], 0 offset:728
	buffer_load_dword v161, off, s[0:3], 0 offset:708
	s_waitcnt vmcnt(57) lgkmcnt(0)
	v_mul_f64 v[189:190], v[5:6], v[174:175]
	v_mul_f64 v[174:175], v[7:8], v[174:175]
	s_waitcnt vmcnt(56)
	v_fma_f64 v[158:159], v[105:106], v[168:169], -v[158:159]
	ds_read_b128 v[1:4], v147 offset:1264
	v_fma_f64 v[154:155], v[107:108], v[168:169], v[154:155]
	v_add_f64 v[109:110], v[109:110], v[162:163]
	v_add_f64 v[111:112], v[111:112], v[148:149]
	s_clause 0x2
	buffer_load_dword v167, off, s[0:3], 0 offset:748
	buffer_load_dword v149, off, s[0:3], 0 offset:724
	;; [unrolled: 1-line block ×3, first 2 shown]
	ds_read_b128 v[105:108], v147 offset:1280
	s_waitcnt vmcnt(58) lgkmcnt(1)
	v_mul_f64 v[168:169], v[3:4], v[176:177]
	s_waitcnt vmcnt(56)
	v_fma_f64 v[174:175], v[5:6], v[181:182], -v[174:175]
	v_mul_f64 v[162:163], v[1:2], v[176:177]
	v_add_f64 v[109:110], v[109:110], v[158:159]
	v_fma_f64 v[158:159], v[7:8], v[181:182], v[189:190]
	v_add_f64 v[111:112], v[111:112], v[154:155]
	s_clause 0x4
	buffer_load_dword v155, off, s[0:3], 0 offset:764
	buffer_load_dword v176, off, s[0:3], 0 offset:776
	;; [unrolled: 1-line block ×5, first 2 shown]
	ds_read_b128 v[5:8], v147 offset:1296
	s_waitcnt vmcnt(57) lgkmcnt(1)
	v_mul_f64 v[181:182], v[105:106], v[172:173]
	v_mul_f64 v[172:173], v[107:108], v[172:173]
	s_waitcnt vmcnt(56)
	v_fma_f64 v[168:169], v[1:2], v[178:179], -v[168:169]
	v_fma_f64 v[162:163], v[3:4], v[178:179], v[162:163]
	v_add_f64 v[109:110], v[109:110], v[174:175]
	v_add_f64 v[111:112], v[111:112], v[158:159]
	s_clause 0x2
	buffer_load_dword v177, off, s[0:3], 0 offset:780
	buffer_load_dword v159, off, s[0:3], 0 offset:756
	;; [unrolled: 1-line block ×3, first 2 shown]
	ds_read_b128 v[1:4], v147 offset:1312
	s_waitcnt vmcnt(58) lgkmcnt(1)
	v_mul_f64 v[178:179], v[7:8], v[185:186]
	v_mul_f64 v[174:175], v[5:6], v[185:186]
	s_waitcnt vmcnt(56)
	v_fma_f64 v[172:173], v[105:106], v[141:142], -v[172:173]
	v_fma_f64 v[141:142], v[107:108], v[141:142], v[181:182]
	buffer_load_dword v181, off, s[0:3], 0 offset:772
	ds_read_b128 v[105:108], v147 offset:1328
	v_add_f64 v[109:110], v[109:110], v[168:169]
	v_add_f64 v[111:112], v[111:112], v[162:163]
	s_waitcnt vmcnt(53) lgkmcnt(1)
	v_mul_f64 v[162:163], v[1:2], v[121:122]
	v_mul_f64 v[121:122], v[3:4], v[121:122]
	s_waitcnt vmcnt(52)
	v_fma_f64 v[168:169], v[5:6], v[187:188], -v[178:179]
	v_add_f64 v[109:110], v[109:110], v[172:173]
	v_fma_f64 v[172:173], v[7:8], v[187:188], v[174:175]
	v_add_f64 v[111:112], v[111:112], v[141:142]
	ds_read_b128 v[5:8], v147 offset:1344
	s_waitcnt vmcnt(51) lgkmcnt(1)
	v_mul_f64 v[141:142], v[105:106], v[143:144]
	v_mul_f64 v[143:144], v[107:108], v[143:144]
	s_waitcnt vmcnt(49)
	v_fma_f64 v[121:122], v[1:2], v[115:116], -v[121:122]
	v_fma_f64 v[115:116], v[3:4], v[115:116], v[162:163]
	v_add_f64 v[109:110], v[109:110], v[168:169]
	s_clause 0x3
	buffer_load_dword v162, off, s[0:3], 0 offset:240
	buffer_load_dword v163, off, s[0:3], 0 offset:244
	;; [unrolled: 1-line block ×4, first 2 shown]
	v_add_f64 v[111:112], v[111:112], v[172:173]
	ds_read_b128 v[1:4], v147 offset:1360
	s_waitcnt vmcnt(49) lgkmcnt(1)
	v_mul_f64 v[172:173], v[5:6], v[135:136]
	v_mul_f64 v[135:136], v[7:8], v[135:136]
	s_waitcnt vmcnt(48)
	v_fma_f64 v[143:144], v[105:106], v[183:184], -v[143:144]
	v_add_f64 v[109:110], v[109:110], v[121:122]
	v_fma_f64 v[121:122], v[107:108], v[183:184], v[141:142]
	v_add_f64 v[111:112], v[111:112], v[115:116]
	ds_read_b128 v[105:108], v147 offset:1376
	s_waitcnt vmcnt(47) lgkmcnt(1)
	v_mul_f64 v[115:116], v[1:2], v[137:138]
	v_mul_f64 v[137:138], v[3:4], v[137:138]
	s_waitcnt vmcnt(45)
	v_fma_f64 v[135:136], v[5:6], v[117:118], -v[135:136]
	v_fma_f64 v[117:118], v[7:8], v[117:118], v[172:173]
	ds_read_b128 v[5:8], v147 offset:1392
	v_add_f64 v[109:110], v[109:110], v[143:144]
	v_add_f64 v[111:112], v[111:112], v[121:122]
	s_waitcnt vmcnt(41) lgkmcnt(1)
	v_mul_f64 v[121:122], v[105:106], v[113:114]
	v_mul_f64 v[113:114], v[107:108], v[113:114]
	s_waitcnt vmcnt(40)
	v_fma_f64 v[137:138], v[1:2], v[145:146], -v[137:138]
	v_fma_f64 v[115:116], v[3:4], v[145:146], v[115:116]
	ds_read_b128 v[1:4], v147 offset:1408
	v_add_f64 v[109:110], v[109:110], v[135:136]
	v_add_f64 v[111:112], v[111:112], v[117:118]
	;; [unrolled: 9-line block ×3, first 2 shown]
	s_waitcnt vmcnt(33) lgkmcnt(1)
	v_mul_f64 v[115:116], v[1:2], v[119:120]
	v_mul_f64 v[119:120], v[3:4], v[119:120]
	s_waitcnt vmcnt(32)
	v_fma_f64 v[123:124], v[5:6], v[139:140], -v[133:134]
	v_add_f64 v[109:110], v[109:110], v[113:114]
	v_fma_f64 v[113:114], v[7:8], v[139:140], v[117:118]
	v_add_f64 v[111:112], v[111:112], v[121:122]
	ds_read_b128 v[5:8], v147 offset:1440
	s_waitcnt vmcnt(31) lgkmcnt(1)
	v_mul_f64 v[121:122], v[107:108], v[150:151]
	v_mul_f64 v[117:118], v[105:106], v[150:151]
	s_waitcnt vmcnt(29)
	v_fma_f64 v[115:116], v[3:4], v[129:130], v[115:116]
	v_fma_f64 v[119:120], v[1:2], v[129:130], -v[119:120]
	ds_read_b128 v[1:4], v147 offset:1456
	v_add_f64 v[109:110], v[109:110], v[123:124]
	v_add_f64 v[111:112], v[111:112], v[113:114]
	s_waitcnt vmcnt(25) lgkmcnt(1)
	v_mul_f64 v[123:124], v[7:8], v[125:126]
	s_waitcnt vmcnt(24)
	v_fma_f64 v[121:122], v[105:106], v[152:153], -v[121:122]
	v_mul_f64 v[113:114], v[5:6], v[125:126]
	v_fma_f64 v[117:118], v[107:108], v[152:153], v[117:118]
	ds_read_b128 v[105:108], v147 offset:1472
	v_add_f64 v[109:110], v[109:110], v[119:120]
	v_add_f64 v[111:112], v[111:112], v[115:116]
	s_waitcnt vmcnt(23) lgkmcnt(1)
	v_mul_f64 v[119:120], v[3:4], v[156:157]
	v_mul_f64 v[115:116], v[1:2], v[156:157]
	s_waitcnt vmcnt(21)
	v_fma_f64 v[123:124], v[5:6], v[127:128], -v[123:124]
	v_fma_f64 v[113:114], v[7:8], v[127:128], v[113:114]
	ds_read_b128 v[5:8], v147 offset:1488
	v_add_f64 v[109:110], v[109:110], v[121:122]
	v_add_f64 v[111:112], v[111:112], v[117:118]
	s_waitcnt vmcnt(17) lgkmcnt(1)
	v_mul_f64 v[121:122], v[107:108], v[131:132]
	s_waitcnt vmcnt(16)
	v_fma_f64 v[119:120], v[1:2], v[160:161], -v[119:120]
	v_mul_f64 v[117:118], v[105:106], v[131:132]
	v_fma_f64 v[115:116], v[3:4], v[160:161], v[115:116]
	ds_read_b128 v[1:4], v147 offset:1504
	v_add_f64 v[109:110], v[109:110], v[123:124]
	v_add_f64 v[111:112], v[111:112], v[113:114]
	s_waitcnt vmcnt(15) lgkmcnt(1)
	v_mul_f64 v[123:124], v[7:8], v[166:167]
	v_mul_f64 v[113:114], v[5:6], v[166:167]
	s_waitcnt vmcnt(13)
	v_fma_f64 v[121:122], v[105:106], v[148:149], -v[121:122]
	v_fma_f64 v[117:118], v[107:108], v[148:149], v[117:118]
	ds_read_b128 v[105:108], v147 offset:1520
	v_add_f64 v[109:110], v[109:110], v[119:120]
	v_add_f64 v[111:112], v[111:112], v[115:116]
	s_waitcnt vmcnt(9) lgkmcnt(1)
	v_mul_f64 v[119:120], v[3:4], v[154:155]
	s_waitcnt vmcnt(8)
	v_fma_f64 v[5:6], v[5:6], v[170:171], -v[123:124]
	v_mul_f64 v[115:116], v[1:2], v[154:155]
	v_fma_f64 v[7:8], v[7:8], v[170:171], v[113:114]
	v_add_f64 v[109:110], v[109:110], v[121:122]
	v_add_f64 v[111:112], v[111:112], v[117:118]
	s_waitcnt vmcnt(7) lgkmcnt(0)
	v_mul_f64 v[117:118], v[107:108], v[176:177]
	v_mul_f64 v[113:114], v[105:106], v[176:177]
	s_waitcnt vmcnt(5)
	v_fma_f64 v[1:2], v[1:2], v[158:159], -v[119:120]
	v_fma_f64 v[3:4], v[3:4], v[158:159], v[115:116]
	v_add_f64 v[5:6], v[109:110], v[5:6]
	v_add_f64 v[7:8], v[111:112], v[7:8]
	s_waitcnt vmcnt(4)
	v_fma_f64 v[105:106], v[105:106], v[180:181], -v[117:118]
	v_add_f64 v[1:2], v[5:6], v[1:2]
	v_fma_f64 v[5:6], v[107:108], v[180:181], v[113:114]
	v_add_f64 v[3:4], v[7:8], v[3:4]
	v_add_f64 v[1:2], v[1:2], v[105:106]
	;; [unrolled: 1-line block ×3, first 2 shown]
	s_waitcnt vmcnt(2)
	v_add_f64 v[1:2], v[162:163], -v[1:2]
	s_waitcnt vmcnt(0)
	v_add_f64 v[3:4], v[168:169], -v[3:4]
	buffer_store_dword v2, off, s[0:3], 0 offset:244
	buffer_store_dword v1, off, s[0:3], 0 offset:240
	;; [unrolled: 1-line block ×4, first 2 shown]
	v_cmpx_lt_u32_e32 13, v0
	s_cbranch_execz .LBB111_275
; %bb.274:
	v_mov_b32_e32 v4, s47
	s_clause 0x3
	buffer_load_dword v1, v4, s[0:3], 0 offen
	buffer_load_dword v2, v4, s[0:3], 0 offen offset:4
	buffer_load_dword v3, v4, s[0:3], 0 offen offset:8
	;; [unrolled: 1-line block ×3, first 2 shown]
	buffer_store_dword v147, off, s[0:3], 0 offset:224
	buffer_store_dword v147, off, s[0:3], 0 offset:228
	;; [unrolled: 1-line block ×4, first 2 shown]
	s_waitcnt vmcnt(0)
	ds_write_b128 v165, v[1:4]
.LBB111_275:
	s_or_b32 exec_lo, exec_lo, s4
	s_waitcnt lgkmcnt(0)
	s_waitcnt_vscnt null, 0x0
	s_barrier
	buffer_gl0_inv
	s_clause 0x37
	buffer_load_dword v105, off, s[0:3], 0 offset:248
	buffer_load_dword v106, off, s[0:3], 0 offset:252
	buffer_load_dword v5, off, s[0:3], 0 offset:264
	buffer_load_dword v6, off, s[0:3], 0 offset:268
	buffer_load_dword v7, off, s[0:3], 0 offset:240
	buffer_load_dword v8, off, s[0:3], 0 offset:244
	buffer_load_dword v3, off, s[0:3], 0 offset:280
	buffer_load_dword v4, off, s[0:3], 0 offset:284
	buffer_load_dword v1, off, s[0:3], 0 offset:256
	buffer_load_dword v2, off, s[0:3], 0 offset:260
	buffer_load_dword v110, off, s[0:3], 0 offset:300
	buffer_load_dword v113, off, s[0:3], 0 offset:312
	buffer_load_dword v107, off, s[0:3], 0 offset:304
	buffer_load_dword v109, off, s[0:3], 0 offset:296
	buffer_load_dword v121, off, s[0:3], 0 offset:272
	buffer_load_dword v122, off, s[0:3], 0 offset:276
	buffer_load_dword v114, off, s[0:3], 0 offset:316
	buffer_load_dword v116, off, s[0:3], 0 offset:292
	buffer_load_dword v115, off, s[0:3], 0 offset:288
	buffer_load_dword v118, off, s[0:3], 0 offset:332
	buffer_load_dword v123, off, s[0:3], 0 offset:344
	buffer_load_dword v111, off, s[0:3], 0 offset:336
	buffer_load_dword v117, off, s[0:3], 0 offset:328
	buffer_load_dword v108, off, s[0:3], 0 offset:308
	buffer_load_dword v124, off, s[0:3], 0 offset:348
	buffer_load_dword v126, off, s[0:3], 0 offset:324
	buffer_load_dword v125, off, s[0:3], 0 offset:320
	buffer_load_dword v128, off, s[0:3], 0 offset:364
	buffer_load_dword v131, off, s[0:3], 0 offset:376
	buffer_load_dword v119, off, s[0:3], 0 offset:368
	buffer_load_dword v127, off, s[0:3], 0 offset:360
	buffer_load_dword v112, off, s[0:3], 0 offset:340
	buffer_load_dword v132, off, s[0:3], 0 offset:380
	buffer_load_dword v134, off, s[0:3], 0 offset:356
	buffer_load_dword v133, off, s[0:3], 0 offset:352
	buffer_load_dword v136, off, s[0:3], 0 offset:396
	buffer_load_dword v139, off, s[0:3], 0 offset:408
	buffer_load_dword v129, off, s[0:3], 0 offset:400
	buffer_load_dword v135, off, s[0:3], 0 offset:392
	buffer_load_dword v120, off, s[0:3], 0 offset:372
	buffer_load_dword v140, off, s[0:3], 0 offset:412
	buffer_load_dword v142, off, s[0:3], 0 offset:388
	buffer_load_dword v141, off, s[0:3], 0 offset:384
	buffer_load_dword v144, off, s[0:3], 0 offset:428
	buffer_load_dword v160, off, s[0:3], 0 offset:440
	buffer_load_dword v137, off, s[0:3], 0 offset:432
	buffer_load_dword v143, off, s[0:3], 0 offset:424
	buffer_load_dword v130, off, s[0:3], 0 offset:404
	buffer_load_dword v161, off, s[0:3], 0 offset:444
	buffer_load_dword v163, off, s[0:3], 0 offset:420
	buffer_load_dword v162, off, s[0:3], 0 offset:416
	buffer_load_dword v167, off, s[0:3], 0 offset:460
	buffer_load_dword v168, off, s[0:3], 0 offset:472
	buffer_load_dword v145, off, s[0:3], 0 offset:464
	buffer_load_dword v166, off, s[0:3], 0 offset:456
	buffer_load_dword v138, off, s[0:3], 0 offset:436
	ds_read_b128 v[148:151], v147 offset:992
	s_clause 0x2
	buffer_load_dword v169, off, s[0:3], 0 offset:476
	buffer_load_dword v171, off, s[0:3], 0 offset:452
	;; [unrolled: 1-line block ×3, first 2 shown]
	ds_read_b128 v[152:155], v147 offset:1008
	s_clause 0x4
	buffer_load_dword v175, off, s[0:3], 0 offset:492
	buffer_load_dword v176, off, s[0:3], 0 offset:504
	;; [unrolled: 1-line block ×5, first 2 shown]
	ds_read_b128 v[156:159], v147 offset:1024
	s_clause 0x2
	buffer_load_dword v177, off, s[0:3], 0 offset:508
	buffer_load_dword v182, off, s[0:3], 0 offset:484
	;; [unrolled: 1-line block ×3, first 2 shown]
	s_mov_b32 s4, exec_lo
	s_waitcnt vmcnt(62) lgkmcnt(2)
	v_mul_f64 v[172:173], v[150:151], v[105:106]
	v_mul_f64 v[105:106], v[148:149], v[105:106]
	s_waitcnt lgkmcnt(1)
	v_mul_f64 v[179:180], v[154:155], v[5:6]
	s_waitcnt vmcnt(59) lgkmcnt(0)
	v_mul_f64 v[183:184], v[158:159], v[3:4]
	v_fma_f64 v[148:149], v[148:149], v[7:8], -v[172:173]
	v_mul_f64 v[172:173], v[152:153], v[5:6]
	v_fma_f64 v[105:106], v[150:151], v[7:8], v[105:106]
	s_waitcnt vmcnt(57)
	v_fma_f64 v[152:153], v[152:153], v[1:2], -v[179:180]
	ds_read_b128 v[5:8], v147 offset:1040
	v_mul_f64 v[150:151], v[156:157], v[3:4]
	s_waitcnt vmcnt(51)
	v_fma_f64 v[156:157], v[156:157], v[121:122], -v[183:184]
	v_add_f64 v[148:149], v[148:149], 0
	v_fma_f64 v[154:155], v[154:155], v[1:2], v[172:173]
	v_add_f64 v[105:106], v[105:106], 0
	s_clause 0x4
	buffer_load_dword v173, off, s[0:3], 0 offset:524
	buffer_load_dword v185, off, s[0:3], 0 offset:536
	;; [unrolled: 1-line block ×5, first 2 shown]
	s_waitcnt lgkmcnt(0)
	v_mul_f64 v[188:189], v[5:6], v[109:110]
	v_mul_f64 v[109:110], v[7:8], v[109:110]
	ds_read_b128 v[1:4], v147 offset:1056
	v_fma_f64 v[121:122], v[158:159], v[121:122], v[150:151]
	v_add_f64 v[152:153], v[148:149], v[152:153]
	v_add_f64 v[105:106], v[105:106], v[154:155]
	s_clause 0x2
	buffer_load_dword v186, off, s[0:3], 0 offset:540
	buffer_load_dword v155, off, s[0:3], 0 offset:516
	;; [unrolled: 1-line block ×3, first 2 shown]
	s_waitcnt vmcnt(58) lgkmcnt(0)
	v_mul_f64 v[158:159], v[1:2], v[113:114]
	v_mul_f64 v[113:114], v[3:4], v[113:114]
	s_waitcnt vmcnt(56)
	v_fma_f64 v[109:110], v[5:6], v[115:116], -v[109:110]
	ds_read_b128 v[148:151], v147 offset:1072
	v_fma_f64 v[115:116], v[7:8], v[115:116], v[188:189]
	v_add_f64 v[152:153], v[152:153], v[156:157]
	v_add_f64 v[105:106], v[105:106], v[121:122]
	s_clause 0x4
	buffer_load_dword v122, off, s[0:3], 0 offset:556
	buffer_load_dword v156, off, s[0:3], 0 offset:568
	;; [unrolled: 1-line block ×5, first 2 shown]
	ds_read_b128 v[5:8], v147 offset:1088
	s_waitcnt vmcnt(57) lgkmcnt(1)
	v_mul_f64 v[189:190], v[148:149], v[117:118]
	v_mul_f64 v[117:118], v[150:151], v[117:118]
	s_waitcnt vmcnt(56)
	v_fma_f64 v[113:114], v[1:2], v[107:108], -v[113:114]
	v_fma_f64 v[107:108], v[3:4], v[107:108], v[158:159]
	v_add_f64 v[109:110], v[152:153], v[109:110]
	v_add_f64 v[105:106], v[105:106], v[115:116]
	s_clause 0x2
	buffer_load_dword v157, off, s[0:3], 0 offset:572
	buffer_load_dword v116, off, s[0:3], 0 offset:548
	;; [unrolled: 1-line block ×3, first 2 shown]
	s_waitcnt vmcnt(58) lgkmcnt(0)
	v_mul_f64 v[152:153], v[5:6], v[123:124]
	v_mul_f64 v[123:124], v[7:8], v[123:124]
	s_waitcnt vmcnt(56)
	v_fma_f64 v[117:118], v[148:149], v[125:126], -v[117:118]
	ds_read_b128 v[1:4], v147 offset:1104
	v_add_f64 v[109:110], v[109:110], v[113:114]
	v_fma_f64 v[113:114], v[150:151], v[125:126], v[189:190]
	v_add_f64 v[125:126], v[105:106], v[107:108]
	s_clause 0x4
	buffer_load_dword v149, off, s[0:3], 0 offset:588
	buffer_load_dword v150, off, s[0:3], 0 offset:600
	;; [unrolled: 1-line block ×5, first 2 shown]
	ds_read_b128 v[105:108], v147 offset:1120
	s_waitcnt vmcnt(57) lgkmcnt(1)
	v_mul_f64 v[189:190], v[1:2], v[127:128]
	v_mul_f64 v[127:128], v[3:4], v[127:128]
	s_waitcnt vmcnt(56)
	v_fma_f64 v[123:124], v[5:6], v[111:112], -v[123:124]
	v_fma_f64 v[111:112], v[7:8], v[111:112], v[152:153]
	v_add_f64 v[109:110], v[109:110], v[117:118]
	s_clause 0x2
	buffer_load_dword v151, off, s[0:3], 0 offset:604
	buffer_load_dword v118, off, s[0:3], 0 offset:580
	;; [unrolled: 1-line block ×3, first 2 shown]
	v_add_f64 v[113:114], v[125:126], v[113:114]
	s_waitcnt vmcnt(58) lgkmcnt(0)
	v_mul_f64 v[125:126], v[105:106], v[131:132]
	v_mul_f64 v[131:132], v[107:108], v[131:132]
	ds_read_b128 v[5:8], v147 offset:1136
	s_waitcnt vmcnt(56)
	v_fma_f64 v[127:128], v[1:2], v[133:134], -v[127:128]
	v_add_f64 v[109:110], v[109:110], v[123:124]
	v_fma_f64 v[123:124], v[3:4], v[133:134], v[189:190]
	v_add_f64 v[111:112], v[113:114], v[111:112]
	s_clause 0x4
	buffer_load_dword v114, off, s[0:3], 0 offset:620
	buffer_load_dword v133, off, s[0:3], 0 offset:632
	;; [unrolled: 1-line block ×5, first 2 shown]
	s_waitcnt vmcnt(57) lgkmcnt(0)
	v_mul_f64 v[189:190], v[5:6], v[135:136]
	v_mul_f64 v[135:136], v[7:8], v[135:136]
	s_waitcnt vmcnt(56)
	v_fma_f64 v[131:132], v[105:106], v[119:120], -v[131:132]
	ds_read_b128 v[1:4], v147 offset:1152
	v_fma_f64 v[119:120], v[107:108], v[119:120], v[125:126]
	v_add_f64 v[109:110], v[109:110], v[127:128]
	v_add_f64 v[111:112], v[111:112], v[123:124]
	s_clause 0x2
	buffer_load_dword v134, off, s[0:3], 0 offset:636
	buffer_load_dword v124, off, s[0:3], 0 offset:612
	buffer_load_dword v123, off, s[0:3], 0 offset:608
	ds_read_b128 v[105:108], v147 offset:1168
	s_waitcnt vmcnt(58) lgkmcnt(1)
	v_mul_f64 v[127:128], v[3:4], v[139:140]
	s_waitcnt vmcnt(56)
	v_fma_f64 v[135:136], v[5:6], v[141:142], -v[135:136]
	v_mul_f64 v[125:126], v[1:2], v[139:140]
	v_add_f64 v[109:110], v[109:110], v[131:132]
	v_fma_f64 v[131:132], v[7:8], v[141:142], v[189:190]
	v_add_f64 v[111:112], v[111:112], v[119:120]
	s_clause 0x4
	buffer_load_dword v120, off, s[0:3], 0 offset:652
	buffer_load_dword v139, off, s[0:3], 0 offset:664
	;; [unrolled: 1-line block ×5, first 2 shown]
	s_waitcnt vmcnt(57) lgkmcnt(0)
	v_mul_f64 v[189:190], v[105:106], v[143:144]
	v_mul_f64 v[142:143], v[107:108], v[143:144]
	s_waitcnt vmcnt(56)
	v_fma_f64 v[127:128], v[1:2], v[129:130], -v[127:128]
	ds_read_b128 v[5:8], v147 offset:1184
	v_fma_f64 v[125:126], v[3:4], v[129:130], v[125:126]
	s_clause 0x2
	buffer_load_dword v140, off, s[0:3], 0 offset:668
	buffer_load_dword v130, off, s[0:3], 0 offset:644
	;; [unrolled: 1-line block ×3, first 2 shown]
	ds_read_b128 v[1:4], v147 offset:1200
	v_add_f64 v[109:110], v[109:110], v[135:136]
	v_add_f64 v[111:112], v[111:112], v[131:132]
	s_waitcnt vmcnt(58) lgkmcnt(1)
	v_mul_f64 v[135:136], v[7:8], v[160:161]
	s_waitcnt vmcnt(56)
	v_fma_f64 v[143:144], v[105:106], v[162:163], -v[142:143]
	v_mul_f64 v[131:132], v[5:6], v[160:161]
	v_add_f64 v[109:110], v[109:110], v[127:128]
	v_fma_f64 v[127:128], v[107:108], v[162:163], v[189:190]
	v_add_f64 v[111:112], v[111:112], v[125:126]
	s_clause 0x4
	buffer_load_dword v126, off, s[0:3], 0 offset:684
	buffer_load_dword v160, off, s[0:3], 0 offset:696
	;; [unrolled: 1-line block ×5, first 2 shown]
	s_waitcnt vmcnt(57) lgkmcnt(0)
	v_mul_f64 v[163:164], v[1:2], v[166:167]
	v_mul_f64 v[166:167], v[3:4], v[166:167]
	s_waitcnt vmcnt(56)
	v_fma_f64 v[135:136], v[5:6], v[137:138], -v[135:136]
	ds_read_b128 v[105:108], v147 offset:1216
	v_fma_f64 v[131:132], v[7:8], v[137:138], v[131:132]
	v_add_f64 v[109:110], v[109:110], v[143:144]
	v_add_f64 v[111:112], v[111:112], v[127:128]
	s_clause 0x2
	buffer_load_dword v161, off, s[0:3], 0 offset:700
	buffer_load_dword v128, off, s[0:3], 0 offset:676
	;; [unrolled: 1-line block ×3, first 2 shown]
	ds_read_b128 v[5:8], v147 offset:1232
	s_waitcnt vmcnt(58) lgkmcnt(1)
	v_mul_f64 v[143:144], v[107:108], v[168:169]
	s_waitcnt vmcnt(56)
	v_fma_f64 v[166:167], v[1:2], v[170:171], -v[166:167]
	v_mul_f64 v[137:138], v[105:106], v[168:169]
	v_add_f64 v[109:110], v[109:110], v[135:136]
	v_fma_f64 v[135:136], v[3:4], v[170:171], v[163:164]
	v_add_f64 v[111:112], v[111:112], v[131:132]
	s_clause 0x4
	buffer_load_dword v132, off, s[0:3], 0 offset:716
	buffer_load_dword v168, off, s[0:3], 0 offset:728
	;; [unrolled: 1-line block ×5, first 2 shown]
	s_waitcnt vmcnt(57) lgkmcnt(0)
	v_mul_f64 v[189:190], v[5:6], v[174:175]
	v_mul_f64 v[174:175], v[7:8], v[174:175]
	s_waitcnt vmcnt(56)
	v_fma_f64 v[143:144], v[105:106], v[145:146], -v[143:144]
	ds_read_b128 v[1:4], v147 offset:1248
	v_fma_f64 v[137:138], v[107:108], v[145:146], v[137:138]
	v_add_f64 v[109:110], v[109:110], v[166:167]
	v_add_f64 v[111:112], v[111:112], v[135:136]
	s_clause 0x2
	buffer_load_dword v169, off, s[0:3], 0 offset:732
	buffer_load_dword v136, off, s[0:3], 0 offset:708
	;; [unrolled: 1-line block ×3, first 2 shown]
	ds_read_b128 v[105:108], v147 offset:1264
	s_waitcnt vmcnt(58) lgkmcnt(1)
	v_mul_f64 v[166:167], v[3:4], v[176:177]
	s_waitcnt vmcnt(56)
	v_fma_f64 v[174:175], v[5:6], v[181:182], -v[174:175]
	v_mul_f64 v[145:146], v[1:2], v[176:177]
	v_add_f64 v[109:110], v[109:110], v[143:144]
	v_fma_f64 v[143:144], v[7:8], v[181:182], v[189:190]
	v_add_f64 v[111:112], v[111:112], v[137:138]
	s_clause 0x4
	buffer_load_dword v138, off, s[0:3], 0 offset:748
	buffer_load_dword v176, off, s[0:3], 0 offset:760
	;; [unrolled: 1-line block ×5, first 2 shown]
	ds_read_b128 v[5:8], v147 offset:1280
	s_waitcnt vmcnt(57) lgkmcnt(1)
	v_mul_f64 v[181:182], v[105:106], v[172:173]
	v_mul_f64 v[172:173], v[107:108], v[172:173]
	s_waitcnt vmcnt(56)
	v_fma_f64 v[166:167], v[1:2], v[178:179], -v[166:167]
	v_fma_f64 v[145:146], v[3:4], v[178:179], v[145:146]
	v_add_f64 v[109:110], v[109:110], v[174:175]
	v_add_f64 v[111:112], v[111:112], v[143:144]
	s_clause 0x2
	buffer_load_dword v177, off, s[0:3], 0 offset:764
	buffer_load_dword v144, off, s[0:3], 0 offset:740
	;; [unrolled: 1-line block ×3, first 2 shown]
	ds_read_b128 v[1:4], v147 offset:1296
	s_waitcnt vmcnt(58) lgkmcnt(1)
	v_mul_f64 v[178:179], v[7:8], v[185:186]
	v_mul_f64 v[174:175], v[5:6], v[185:186]
	s_waitcnt vmcnt(56)
	v_fma_f64 v[172:173], v[105:106], v[154:155], -v[172:173]
	v_fma_f64 v[154:155], v[107:108], v[154:155], v[181:182]
	v_add_f64 v[109:110], v[109:110], v[166:167]
	v_add_f64 v[111:112], v[111:112], v[145:146]
	s_clause 0x2
	buffer_load_dword v146, off, s[0:3], 0 offset:780
	buffer_load_dword v145, off, s[0:3], 0 offset:776
	;; [unrolled: 1-line block ×3, first 2 shown]
	ds_read_b128 v[105:108], v147 offset:1312
	s_waitcnt vmcnt(55) lgkmcnt(1)
	v_mul_f64 v[166:167], v[1:2], v[121:122]
	v_mul_f64 v[121:122], v[3:4], v[121:122]
	s_waitcnt vmcnt(54)
	v_fma_f64 v[178:179], v[5:6], v[187:188], -v[178:179]
	v_add_f64 v[109:110], v[109:110], v[172:173]
	v_fma_f64 v[172:173], v[7:8], v[187:188], v[174:175]
	v_add_f64 v[111:112], v[111:112], v[154:155]
	s_clause 0x1
	buffer_load_dword v155, off, s[0:3], 0 offset:772
	buffer_load_dword v154, off, s[0:3], 0 offset:768
	ds_read_b128 v[5:8], v147 offset:1328
	s_waitcnt vmcnt(55) lgkmcnt(1)
	v_mul_f64 v[174:175], v[105:106], v[156:157]
	v_mul_f64 v[156:157], v[107:108], v[156:157]
	s_waitcnt vmcnt(53)
	v_fma_f64 v[121:122], v[1:2], v[115:116], -v[121:122]
	v_fma_f64 v[115:116], v[3:4], v[115:116], v[166:167]
	ds_read_b128 v[1:4], v147 offset:1344
	v_add_f64 v[109:110], v[109:110], v[178:179]
	v_add_f64 v[111:112], v[111:112], v[172:173]
	s_waitcnt vmcnt(49) lgkmcnt(1)
	v_mul_f64 v[166:167], v[5:6], v[148:149]
	v_mul_f64 v[148:149], v[7:8], v[148:149]
	s_waitcnt vmcnt(48)
	v_fma_f64 v[156:157], v[105:106], v[183:184], -v[156:157]
	v_add_f64 v[109:110], v[109:110], v[121:122]
	v_fma_f64 v[121:122], v[107:108], v[183:184], v[174:175]
	v_add_f64 v[111:112], v[111:112], v[115:116]
	s_clause 0x3
	buffer_load_dword v115, off, s[0:3], 0 offset:224
	buffer_load_dword v116, off, s[0:3], 0 offset:228
	;; [unrolled: 1-line block ×4, first 2 shown]
	ds_read_b128 v[105:108], v147 offset:1360
	s_waitcnt vmcnt(51) lgkmcnt(1)
	v_mul_f64 v[174:175], v[1:2], v[150:151]
	v_mul_f64 v[150:151], v[3:4], v[150:151]
	s_waitcnt vmcnt(49)
	v_fma_f64 v[148:149], v[5:6], v[117:118], -v[148:149]
	v_fma_f64 v[117:118], v[7:8], v[117:118], v[166:167]
	ds_read_b128 v[5:8], v147 offset:1376
	v_add_f64 v[109:110], v[109:110], v[156:157]
	v_add_f64 v[111:112], v[111:112], v[121:122]
	s_waitcnt vmcnt(45) lgkmcnt(1)
	v_mul_f64 v[121:122], v[105:106], v[113:114]
	v_mul_f64 v[113:114], v[107:108], v[113:114]
	s_waitcnt vmcnt(44)
	v_fma_f64 v[150:151], v[1:2], v[158:159], -v[150:151]
	v_add_f64 v[109:110], v[109:110], v[148:149]
	v_fma_f64 v[148:149], v[3:4], v[158:159], v[174:175]
	v_add_f64 v[111:112], v[111:112], v[117:118]
	ds_read_b128 v[1:4], v147 offset:1392
	s_waitcnt vmcnt(43) lgkmcnt(1)
	v_mul_f64 v[117:118], v[5:6], v[133:134]
	v_mul_f64 v[133:134], v[7:8], v[133:134]
	s_waitcnt vmcnt(41)
	v_fma_f64 v[113:114], v[105:106], v[123:124], -v[113:114]
	v_fma_f64 v[121:122], v[107:108], v[123:124], v[121:122]
	ds_read_b128 v[105:108], v147 offset:1408
	v_add_f64 v[109:110], v[109:110], v[150:151]
	v_add_f64 v[111:112], v[111:112], v[148:149]
	s_waitcnt vmcnt(37) lgkmcnt(1)
	v_mul_f64 v[123:124], v[1:2], v[119:120]
	v_mul_f64 v[119:120], v[3:4], v[119:120]
	s_waitcnt vmcnt(36)
	v_fma_f64 v[133:134], v[5:6], v[152:153], -v[133:134]
	v_add_f64 v[109:110], v[109:110], v[113:114]
	v_fma_f64 v[113:114], v[7:8], v[152:153], v[117:118]
	v_add_f64 v[111:112], v[111:112], v[121:122]
	s_waitcnt vmcnt(35) lgkmcnt(0)
	v_mul_f64 v[121:122], v[107:108], v[139:140]
	ds_read_b128 v[5:8], v147 offset:1424
	v_mul_f64 v[117:118], v[105:106], v[139:140]
	s_waitcnt vmcnt(33)
	v_fma_f64 v[123:124], v[3:4], v[129:130], v[123:124]
	v_fma_f64 v[119:120], v[1:2], v[129:130], -v[119:120]
	ds_read_b128 v[1:4], v147 offset:1440
	v_add_f64 v[109:110], v[109:110], v[133:134]
	v_add_f64 v[111:112], v[111:112], v[113:114]
	s_waitcnt vmcnt(29) lgkmcnt(1)
	v_mul_f64 v[113:114], v[5:6], v[125:126]
	v_mul_f64 v[125:126], v[7:8], v[125:126]
	s_waitcnt vmcnt(28)
	v_fma_f64 v[121:122], v[105:106], v[141:142], -v[121:122]
	v_fma_f64 v[117:118], v[107:108], v[141:142], v[117:118]
	ds_read_b128 v[105:108], v147 offset:1456
	v_add_f64 v[109:110], v[109:110], v[119:120]
	v_add_f64 v[111:112], v[111:112], v[123:124]
	s_waitcnt vmcnt(27) lgkmcnt(1)
	v_mul_f64 v[123:124], v[3:4], v[160:161]
	v_mul_f64 v[119:120], v[1:2], v[160:161]
	s_waitcnt vmcnt(25)
	v_fma_f64 v[125:126], v[5:6], v[127:128], -v[125:126]
	v_fma_f64 v[113:114], v[7:8], v[127:128], v[113:114]
	ds_read_b128 v[5:8], v147 offset:1472
	v_add_f64 v[109:110], v[109:110], v[121:122]
	v_add_f64 v[111:112], v[111:112], v[117:118]
	s_waitcnt vmcnt(21) lgkmcnt(1)
	v_mul_f64 v[121:122], v[107:108], v[131:132]
	s_waitcnt vmcnt(20)
	v_fma_f64 v[123:124], v[1:2], v[162:163], -v[123:124]
	v_mul_f64 v[117:118], v[105:106], v[131:132]
	v_fma_f64 v[119:120], v[3:4], v[162:163], v[119:120]
	ds_read_b128 v[1:4], v147 offset:1488
	v_add_f64 v[109:110], v[109:110], v[125:126]
	v_add_f64 v[111:112], v[111:112], v[113:114]
	s_waitcnt vmcnt(19) lgkmcnt(1)
	v_mul_f64 v[125:126], v[7:8], v[168:169]
	v_mul_f64 v[113:114], v[5:6], v[168:169]
	s_waitcnt vmcnt(17)
	v_fma_f64 v[121:122], v[105:106], v[135:136], -v[121:122]
	v_fma_f64 v[117:118], v[107:108], v[135:136], v[117:118]
	ds_read_b128 v[105:108], v147 offset:1504
	v_add_f64 v[109:110], v[109:110], v[123:124]
	v_add_f64 v[111:112], v[111:112], v[119:120]
	s_waitcnt vmcnt(13) lgkmcnt(1)
	v_mul_f64 v[123:124], v[3:4], v[137:138]
	s_waitcnt vmcnt(12)
	v_fma_f64 v[125:126], v[5:6], v[170:171], -v[125:126]
	v_mul_f64 v[119:120], v[1:2], v[137:138]
	v_fma_f64 v[113:114], v[7:8], v[170:171], v[113:114]
	ds_read_b128 v[5:8], v147 offset:1520
	v_add_f64 v[109:110], v[109:110], v[121:122]
	v_add_f64 v[111:112], v[111:112], v[117:118]
	s_waitcnt vmcnt(11) lgkmcnt(1)
	v_mul_f64 v[121:122], v[107:108], v[176:177]
	v_mul_f64 v[117:118], v[105:106], v[176:177]
	s_waitcnt vmcnt(9)
	v_fma_f64 v[1:2], v[1:2], v[143:144], -v[123:124]
	v_fma_f64 v[3:4], v[3:4], v[143:144], v[119:120]
	v_add_f64 v[109:110], v[109:110], v[125:126]
	v_add_f64 v[111:112], v[111:112], v[113:114]
	s_waitcnt vmcnt(7) lgkmcnt(0)
	v_mul_f64 v[119:120], v[7:8], v[145:146]
	s_waitcnt vmcnt(6)
	v_fma_f64 v[105:106], v[105:106], v[180:181], -v[121:122]
	v_mul_f64 v[113:114], v[5:6], v[145:146]
	v_fma_f64 v[107:108], v[107:108], v[180:181], v[117:118]
	v_add_f64 v[1:2], v[109:110], v[1:2]
	v_add_f64 v[3:4], v[111:112], v[3:4]
	s_waitcnt vmcnt(4)
	v_fma_f64 v[5:6], v[5:6], v[154:155], -v[119:120]
	v_fma_f64 v[7:8], v[7:8], v[154:155], v[113:114]
	v_add_f64 v[1:2], v[1:2], v[105:106]
	v_add_f64 v[3:4], v[3:4], v[107:108]
	;; [unrolled: 1-line block ×4, first 2 shown]
	s_waitcnt vmcnt(2)
	v_add_f64 v[1:2], v[115:116], -v[1:2]
	s_waitcnt vmcnt(0)
	v_add_f64 v[3:4], v[172:173], -v[3:4]
	buffer_store_dword v2, off, s[0:3], 0 offset:228
	buffer_store_dword v1, off, s[0:3], 0 offset:224
	buffer_store_dword v4, off, s[0:3], 0 offset:236
	buffer_store_dword v3, off, s[0:3], 0 offset:232
	v_cmpx_lt_u32_e32 12, v0
	s_cbranch_execz .LBB111_277
; %bb.276:
	v_mov_b32_e32 v4, s48
	v_mov_b32_e32 v5, 0
	s_clause 0x3
	buffer_load_dword v1, v4, s[0:3], 0 offen
	buffer_load_dword v2, v4, s[0:3], 0 offen offset:4
	buffer_load_dword v3, v4, s[0:3], 0 offen offset:8
	;; [unrolled: 1-line block ×3, first 2 shown]
	buffer_store_dword v5, off, s[0:3], 0 offset:208
	buffer_store_dword v5, off, s[0:3], 0 offset:212
	;; [unrolled: 1-line block ×4, first 2 shown]
	s_waitcnt vmcnt(0)
	ds_write_b128 v165, v[1:4]
.LBB111_277:
	s_or_b32 exec_lo, exec_lo, s4
	s_waitcnt lgkmcnt(0)
	s_waitcnt_vscnt null, 0x0
	s_barrier
	buffer_gl0_inv
	s_clause 0x37
	buffer_load_dword v105, off, s[0:3], 0 offset:232
	buffer_load_dword v106, off, s[0:3], 0 offset:236
	;; [unrolled: 1-line block ×56, first 2 shown]
	v_mov_b32_e32 v157, 0
	s_mov_b32 s4, exec_lo
	ds_read_b128 v[158:161], v157 offset:976
	s_clause 0x2
	buffer_load_dword v154, off, s[0:3], 0 offset:460
	buffer_load_dword v156, off, s[0:3], 0 offset:436
	;; [unrolled: 1-line block ×3, first 2 shown]
	ds_read_b128 v[166:169], v157 offset:992
	s_clause 0x4
	buffer_load_dword v175, off, s[0:3], 0 offset:476
	buffer_load_dword v176, off, s[0:3], 0 offset:488
	;; [unrolled: 1-line block ×5, first 2 shown]
	ds_read_b128 v[170:173], v157 offset:1008
	s_clause 0x2
	buffer_load_dword v177, off, s[0:3], 0 offset:492
	buffer_load_dword v182, off, s[0:3], 0 offset:468
	;; [unrolled: 1-line block ×3, first 2 shown]
	s_waitcnt vmcnt(62) lgkmcnt(2)
	v_mul_f64 v[162:163], v[160:161], v[105:106]
	v_mul_f64 v[105:106], v[158:159], v[105:106]
	s_waitcnt lgkmcnt(1)
	v_mul_f64 v[179:180], v[168:169], v[5:6]
	s_waitcnt vmcnt(59) lgkmcnt(0)
	v_mul_f64 v[183:184], v[172:173], v[3:4]
	v_fma_f64 v[158:159], v[158:159], v[7:8], -v[162:163]
	v_mul_f64 v[162:163], v[166:167], v[5:6]
	v_fma_f64 v[105:106], v[160:161], v[7:8], v[105:106]
	s_waitcnt vmcnt(57)
	v_fma_f64 v[166:167], v[166:167], v[1:2], -v[179:180]
	ds_read_b128 v[5:8], v157 offset:1024
	v_mul_f64 v[160:161], v[170:171], v[3:4]
	s_waitcnt vmcnt(51)
	v_fma_f64 v[170:171], v[170:171], v[121:122], -v[183:184]
	v_add_f64 v[158:159], v[158:159], 0
	v_fma_f64 v[162:163], v[168:169], v[1:2], v[162:163]
	v_add_f64 v[105:106], v[105:106], 0
	s_clause 0x4
	buffer_load_dword v169, off, s[0:3], 0 offset:508
	buffer_load_dword v185, off, s[0:3], 0 offset:520
	;; [unrolled: 1-line block ×5, first 2 shown]
	s_waitcnt lgkmcnt(0)
	v_mul_f64 v[188:189], v[5:6], v[109:110]
	v_mul_f64 v[109:110], v[7:8], v[109:110]
	ds_read_b128 v[1:4], v157 offset:1040
	v_fma_f64 v[121:122], v[172:173], v[121:122], v[160:161]
	v_add_f64 v[166:167], v[158:159], v[166:167]
	v_add_f64 v[105:106], v[105:106], v[162:163]
	s_clause 0x2
	buffer_load_dword v186, off, s[0:3], 0 offset:524
	buffer_load_dword v163, off, s[0:3], 0 offset:500
	;; [unrolled: 1-line block ×3, first 2 shown]
	s_waitcnt vmcnt(58) lgkmcnt(0)
	v_mul_f64 v[172:173], v[1:2], v[113:114]
	v_mul_f64 v[113:114], v[3:4], v[113:114]
	s_waitcnt vmcnt(56)
	v_fma_f64 v[109:110], v[5:6], v[115:116], -v[109:110]
	ds_read_b128 v[158:161], v157 offset:1056
	v_fma_f64 v[115:116], v[7:8], v[115:116], v[188:189]
	v_add_f64 v[166:167], v[166:167], v[170:171]
	v_add_f64 v[105:106], v[105:106], v[121:122]
	s_clause 0x4
	buffer_load_dword v122, off, s[0:3], 0 offset:540
	buffer_load_dword v170, off, s[0:3], 0 offset:552
	;; [unrolled: 1-line block ×5, first 2 shown]
	ds_read_b128 v[5:8], v157 offset:1072
	s_waitcnt vmcnt(57) lgkmcnt(1)
	v_mul_f64 v[189:190], v[158:159], v[117:118]
	v_mul_f64 v[117:118], v[160:161], v[117:118]
	s_waitcnt vmcnt(56)
	v_fma_f64 v[113:114], v[1:2], v[107:108], -v[113:114]
	v_fma_f64 v[107:108], v[3:4], v[107:108], v[172:173]
	v_add_f64 v[109:110], v[166:167], v[109:110]
	v_add_f64 v[105:106], v[105:106], v[115:116]
	s_clause 0x2
	buffer_load_dword v171, off, s[0:3], 0 offset:556
	buffer_load_dword v116, off, s[0:3], 0 offset:532
	;; [unrolled: 1-line block ×3, first 2 shown]
	s_waitcnt vmcnt(58) lgkmcnt(0)
	v_mul_f64 v[166:167], v[5:6], v[123:124]
	v_mul_f64 v[123:124], v[7:8], v[123:124]
	s_waitcnt vmcnt(56)
	v_fma_f64 v[117:118], v[158:159], v[125:126], -v[117:118]
	ds_read_b128 v[1:4], v157 offset:1088
	v_add_f64 v[109:110], v[109:110], v[113:114]
	v_fma_f64 v[113:114], v[160:161], v[125:126], v[189:190]
	v_add_f64 v[125:126], v[105:106], v[107:108]
	s_clause 0x4
	buffer_load_dword v159, off, s[0:3], 0 offset:572
	buffer_load_dword v160, off, s[0:3], 0 offset:584
	;; [unrolled: 1-line block ×5, first 2 shown]
	ds_read_b128 v[105:108], v157 offset:1104
	s_waitcnt vmcnt(57) lgkmcnt(1)
	v_mul_f64 v[189:190], v[1:2], v[127:128]
	v_mul_f64 v[127:128], v[3:4], v[127:128]
	s_waitcnt vmcnt(56)
	v_fma_f64 v[123:124], v[5:6], v[111:112], -v[123:124]
	v_fma_f64 v[111:112], v[7:8], v[111:112], v[166:167]
	v_add_f64 v[109:110], v[109:110], v[117:118]
	s_clause 0x2
	buffer_load_dword v161, off, s[0:3], 0 offset:588
	buffer_load_dword v118, off, s[0:3], 0 offset:564
	;; [unrolled: 1-line block ×3, first 2 shown]
	v_add_f64 v[113:114], v[125:126], v[113:114]
	s_waitcnt vmcnt(58) lgkmcnt(0)
	v_mul_f64 v[125:126], v[105:106], v[131:132]
	v_mul_f64 v[131:132], v[107:108], v[131:132]
	ds_read_b128 v[5:8], v157 offset:1120
	s_waitcnt vmcnt(56)
	v_fma_f64 v[127:128], v[1:2], v[133:134], -v[127:128]
	v_add_f64 v[109:110], v[109:110], v[123:124]
	v_fma_f64 v[123:124], v[3:4], v[133:134], v[189:190]
	v_add_f64 v[111:112], v[113:114], v[111:112]
	s_clause 0x4
	buffer_load_dword v114, off, s[0:3], 0 offset:604
	buffer_load_dword v133, off, s[0:3], 0 offset:616
	;; [unrolled: 1-line block ×5, first 2 shown]
	s_waitcnt vmcnt(57) lgkmcnt(0)
	v_mul_f64 v[189:190], v[5:6], v[135:136]
	v_mul_f64 v[135:136], v[7:8], v[135:136]
	s_waitcnt vmcnt(56)
	v_fma_f64 v[131:132], v[105:106], v[119:120], -v[131:132]
	ds_read_b128 v[1:4], v157 offset:1136
	v_fma_f64 v[119:120], v[107:108], v[119:120], v[125:126]
	v_add_f64 v[109:110], v[109:110], v[127:128]
	v_add_f64 v[111:112], v[111:112], v[123:124]
	s_clause 0x2
	buffer_load_dword v134, off, s[0:3], 0 offset:620
	buffer_load_dword v124, off, s[0:3], 0 offset:596
	;; [unrolled: 1-line block ×3, first 2 shown]
	ds_read_b128 v[105:108], v157 offset:1152
	s_waitcnt vmcnt(58) lgkmcnt(1)
	v_mul_f64 v[127:128], v[3:4], v[139:140]
	s_waitcnt vmcnt(56)
	v_fma_f64 v[135:136], v[5:6], v[141:142], -v[135:136]
	v_mul_f64 v[125:126], v[1:2], v[139:140]
	v_add_f64 v[109:110], v[109:110], v[131:132]
	v_fma_f64 v[131:132], v[7:8], v[141:142], v[189:190]
	v_add_f64 v[111:112], v[111:112], v[119:120]
	s_clause 0x4
	buffer_load_dword v120, off, s[0:3], 0 offset:636
	buffer_load_dword v139, off, s[0:3], 0 offset:648
	;; [unrolled: 1-line block ×5, first 2 shown]
	s_waitcnt vmcnt(57) lgkmcnt(0)
	v_mul_f64 v[189:190], v[105:106], v[143:144]
	v_mul_f64 v[142:143], v[107:108], v[143:144]
	s_waitcnt vmcnt(56)
	v_fma_f64 v[127:128], v[1:2], v[129:130], -v[127:128]
	ds_read_b128 v[5:8], v157 offset:1168
	v_fma_f64 v[125:126], v[3:4], v[129:130], v[125:126]
	s_clause 0x2
	buffer_load_dword v140, off, s[0:3], 0 offset:652
	buffer_load_dword v130, off, s[0:3], 0 offset:628
	;; [unrolled: 1-line block ×3, first 2 shown]
	ds_read_b128 v[1:4], v157 offset:1184
	v_add_f64 v[109:110], v[109:110], v[135:136]
	v_add_f64 v[111:112], v[111:112], v[131:132]
	s_waitcnt vmcnt(58) lgkmcnt(1)
	v_mul_f64 v[135:136], v[7:8], v[147:148]
	s_waitcnt vmcnt(56)
	v_fma_f64 v[143:144], v[105:106], v[149:150], -v[142:143]
	v_mul_f64 v[131:132], v[5:6], v[147:148]
	v_add_f64 v[109:110], v[109:110], v[127:128]
	v_fma_f64 v[127:128], v[107:108], v[149:150], v[189:190]
	v_add_f64 v[111:112], v[111:112], v[125:126]
	s_clause 0x4
	buffer_load_dword v126, off, s[0:3], 0 offset:668
	buffer_load_dword v147, off, s[0:3], 0 offset:680
	;; [unrolled: 1-line block ×5, first 2 shown]
	s_waitcnt vmcnt(57) lgkmcnt(0)
	v_mul_f64 v[189:190], v[1:2], v[151:152]
	v_mul_f64 v[150:151], v[3:4], v[151:152]
	s_waitcnt vmcnt(56)
	v_fma_f64 v[135:136], v[5:6], v[137:138], -v[135:136]
	ds_read_b128 v[105:108], v157 offset:1200
	v_fma_f64 v[131:132], v[7:8], v[137:138], v[131:132]
	v_add_f64 v[109:110], v[109:110], v[143:144]
	v_add_f64 v[111:112], v[111:112], v[127:128]
	s_clause 0x2
	buffer_load_dword v148, off, s[0:3], 0 offset:684
	buffer_load_dword v128, off, s[0:3], 0 offset:660
	;; [unrolled: 1-line block ×3, first 2 shown]
	ds_read_b128 v[5:8], v157 offset:1216
	s_waitcnt vmcnt(58) lgkmcnt(1)
	v_mul_f64 v[143:144], v[107:108], v[153:154]
	s_waitcnt vmcnt(56)
	v_fma_f64 v[151:152], v[1:2], v[155:156], -v[150:151]
	v_mul_f64 v[137:138], v[105:106], v[153:154]
	v_add_f64 v[109:110], v[109:110], v[135:136]
	v_fma_f64 v[135:136], v[3:4], v[155:156], v[189:190]
	v_add_f64 v[111:112], v[111:112], v[131:132]
	s_clause 0x4
	buffer_load_dword v132, off, s[0:3], 0 offset:700
	buffer_load_dword v153, off, s[0:3], 0 offset:712
	;; [unrolled: 1-line block ×5, first 2 shown]
	s_waitcnt vmcnt(57) lgkmcnt(0)
	v_mul_f64 v[189:190], v[5:6], v[174:175]
	v_mul_f64 v[174:175], v[7:8], v[174:175]
	s_waitcnt vmcnt(56)
	v_fma_f64 v[143:144], v[105:106], v[145:146], -v[143:144]
	ds_read_b128 v[1:4], v157 offset:1232
	v_fma_f64 v[137:138], v[107:108], v[145:146], v[137:138]
	v_add_f64 v[109:110], v[109:110], v[151:152]
	v_add_f64 v[111:112], v[111:112], v[135:136]
	s_clause 0x2
	buffer_load_dword v154, off, s[0:3], 0 offset:716
	buffer_load_dword v136, off, s[0:3], 0 offset:692
	;; [unrolled: 1-line block ×3, first 2 shown]
	ds_read_b128 v[105:108], v157 offset:1248
	s_waitcnt vmcnt(58) lgkmcnt(1)
	v_mul_f64 v[151:152], v[3:4], v[176:177]
	s_waitcnt vmcnt(56)
	v_fma_f64 v[174:175], v[5:6], v[181:182], -v[174:175]
	v_mul_f64 v[145:146], v[1:2], v[176:177]
	v_add_f64 v[109:110], v[109:110], v[143:144]
	v_fma_f64 v[143:144], v[7:8], v[181:182], v[189:190]
	v_add_f64 v[111:112], v[111:112], v[137:138]
	s_clause 0x4
	buffer_load_dword v138, off, s[0:3], 0 offset:732
	buffer_load_dword v176, off, s[0:3], 0 offset:744
	;; [unrolled: 1-line block ×5, first 2 shown]
	ds_read_b128 v[5:8], v157 offset:1264
	s_waitcnt vmcnt(57) lgkmcnt(1)
	v_mul_f64 v[181:182], v[105:106], v[168:169]
	v_mul_f64 v[168:169], v[107:108], v[168:169]
	s_waitcnt vmcnt(56)
	v_fma_f64 v[151:152], v[1:2], v[178:179], -v[151:152]
	v_fma_f64 v[145:146], v[3:4], v[178:179], v[145:146]
	v_add_f64 v[109:110], v[109:110], v[174:175]
	v_add_f64 v[111:112], v[111:112], v[143:144]
	s_clause 0x2
	buffer_load_dword v177, off, s[0:3], 0 offset:748
	buffer_load_dword v144, off, s[0:3], 0 offset:724
	;; [unrolled: 1-line block ×3, first 2 shown]
	ds_read_b128 v[1:4], v157 offset:1280
	s_waitcnt vmcnt(58) lgkmcnt(1)
	v_mul_f64 v[178:179], v[7:8], v[185:186]
	v_mul_f64 v[174:175], v[5:6], v[185:186]
	s_waitcnt vmcnt(56)
	v_fma_f64 v[168:169], v[105:106], v[162:163], -v[168:169]
	v_add_f64 v[109:110], v[109:110], v[151:152]
	v_fma_f64 v[151:152], v[107:108], v[162:163], v[181:182]
	v_add_f64 v[111:112], v[111:112], v[145:146]
	s_clause 0x4
	buffer_load_dword v146, off, s[0:3], 0 offset:764
	buffer_load_dword v162, off, s[0:3], 0 offset:776
	;; [unrolled: 1-line block ×5, first 2 shown]
	ds_read_b128 v[105:108], v157 offset:1296
	s_waitcnt vmcnt(57) lgkmcnt(1)
	v_mul_f64 v[189:190], v[1:2], v[121:122]
	v_mul_f64 v[121:122], v[3:4], v[121:122]
	s_waitcnt vmcnt(56)
	v_fma_f64 v[178:179], v[5:6], v[187:188], -v[178:179]
	v_add_f64 v[109:110], v[109:110], v[168:169]
	v_fma_f64 v[168:169], v[7:8], v[187:188], v[174:175]
	v_add_f64 v[111:112], v[111:112], v[151:152]
	s_clause 0x2
	buffer_load_dword v163, off, s[0:3], 0 offset:780
	buffer_load_dword v152, off, s[0:3], 0 offset:756
	;; [unrolled: 1-line block ×3, first 2 shown]
	ds_read_b128 v[5:8], v157 offset:1312
	buffer_load_dword v186, off, s[0:3], 0 offset:772
	s_waitcnt vmcnt(59) lgkmcnt(1)
	v_mul_f64 v[174:175], v[105:106], v[170:171]
	v_mul_f64 v[170:171], v[107:108], v[170:171]
	s_waitcnt vmcnt(57)
	v_fma_f64 v[121:122], v[1:2], v[115:116], -v[121:122]
	v_fma_f64 v[115:116], v[3:4], v[115:116], v[189:190]
	ds_read_b128 v[1:4], v157 offset:1328
	v_add_f64 v[109:110], v[109:110], v[178:179]
	v_add_f64 v[111:112], v[111:112], v[168:169]
	s_waitcnt vmcnt(53) lgkmcnt(1)
	v_mul_f64 v[168:169], v[5:6], v[158:159]
	v_mul_f64 v[158:159], v[7:8], v[158:159]
	s_waitcnt vmcnt(52)
	v_fma_f64 v[170:171], v[105:106], v[183:184], -v[170:171]
	v_add_f64 v[109:110], v[109:110], v[121:122]
	v_fma_f64 v[121:122], v[107:108], v[183:184], v[174:175]
	v_add_f64 v[111:112], v[111:112], v[115:116]
	ds_read_b128 v[105:108], v157 offset:1344
	s_waitcnt vmcnt(51) lgkmcnt(1)
	v_mul_f64 v[115:116], v[1:2], v[160:161]
	v_mul_f64 v[160:161], v[3:4], v[160:161]
	s_waitcnt vmcnt(49)
	v_fma_f64 v[158:159], v[5:6], v[117:118], -v[158:159]
	v_fma_f64 v[117:118], v[7:8], v[117:118], v[168:169]
	v_add_f64 v[109:110], v[109:110], v[170:171]
	v_add_f64 v[111:112], v[111:112], v[121:122]
	s_clause 0x3
	buffer_load_dword v121, off, s[0:3], 0 offset:208
	buffer_load_dword v122, off, s[0:3], 0 offset:212
	buffer_load_dword v168, off, s[0:3], 0 offset:216
	buffer_load_dword v169, off, s[0:3], 0 offset:220
	ds_read_b128 v[5:8], v157 offset:1360
	s_waitcnt vmcnt(49) lgkmcnt(1)
	v_mul_f64 v[170:171], v[105:106], v[113:114]
	v_mul_f64 v[113:114], v[107:108], v[113:114]
	s_waitcnt vmcnt(48)
	v_fma_f64 v[160:161], v[1:2], v[172:173], -v[160:161]
	v_fma_f64 v[115:116], v[3:4], v[172:173], v[115:116]
	ds_read_b128 v[1:4], v157 offset:1376
	v_add_f64 v[109:110], v[109:110], v[158:159]
	v_add_f64 v[111:112], v[111:112], v[117:118]
	s_waitcnt vmcnt(47) lgkmcnt(1)
	v_mul_f64 v[117:118], v[5:6], v[133:134]
	v_mul_f64 v[133:134], v[7:8], v[133:134]
	s_waitcnt vmcnt(45)
	v_fma_f64 v[113:114], v[105:106], v[123:124], -v[113:114]
	v_fma_f64 v[123:124], v[107:108], v[123:124], v[170:171]
	ds_read_b128 v[105:108], v157 offset:1392
	v_add_f64 v[109:110], v[109:110], v[160:161]
	v_add_f64 v[111:112], v[111:112], v[115:116]
	s_waitcnt vmcnt(41) lgkmcnt(1)
	v_mul_f64 v[115:116], v[1:2], v[119:120]
	v_mul_f64 v[119:120], v[3:4], v[119:120]
	s_waitcnt vmcnt(40)
	v_fma_f64 v[133:134], v[5:6], v[166:167], -v[133:134]
	v_add_f64 v[109:110], v[109:110], v[113:114]
	v_fma_f64 v[113:114], v[7:8], v[166:167], v[117:118]
	v_add_f64 v[111:112], v[111:112], v[123:124]
	ds_read_b128 v[5:8], v157 offset:1408
	s_waitcnt vmcnt(39) lgkmcnt(1)
	v_mul_f64 v[123:124], v[107:108], v[139:140]
	v_mul_f64 v[117:118], v[105:106], v[139:140]
	s_waitcnt vmcnt(37)
	v_fma_f64 v[115:116], v[3:4], v[129:130], v[115:116]
	v_fma_f64 v[119:120], v[1:2], v[129:130], -v[119:120]
	ds_read_b128 v[1:4], v157 offset:1424
	v_add_f64 v[109:110], v[109:110], v[133:134]
	v_add_f64 v[111:112], v[111:112], v[113:114]
	s_waitcnt vmcnt(33) lgkmcnt(1)
	v_mul_f64 v[113:114], v[5:6], v[125:126]
	v_mul_f64 v[125:126], v[7:8], v[125:126]
	s_waitcnt vmcnt(32)
	v_fma_f64 v[123:124], v[105:106], v[141:142], -v[123:124]
	v_fma_f64 v[117:118], v[107:108], v[141:142], v[117:118]
	ds_read_b128 v[105:108], v157 offset:1440
	v_add_f64 v[109:110], v[109:110], v[119:120]
	v_add_f64 v[111:112], v[111:112], v[115:116]
	s_waitcnt vmcnt(31) lgkmcnt(1)
	v_mul_f64 v[119:120], v[3:4], v[147:148]
	v_mul_f64 v[115:116], v[1:2], v[147:148]
	s_waitcnt vmcnt(29)
	v_fma_f64 v[125:126], v[5:6], v[127:128], -v[125:126]
	v_fma_f64 v[113:114], v[7:8], v[127:128], v[113:114]
	ds_read_b128 v[5:8], v157 offset:1456
	v_add_f64 v[109:110], v[109:110], v[123:124]
	v_add_f64 v[111:112], v[111:112], v[117:118]
	s_waitcnt vmcnt(25) lgkmcnt(1)
	v_mul_f64 v[123:124], v[107:108], v[131:132]
	s_waitcnt vmcnt(24)
	v_fma_f64 v[119:120], v[1:2], v[149:150], -v[119:120]
	v_mul_f64 v[117:118], v[105:106], v[131:132]
	v_fma_f64 v[115:116], v[3:4], v[149:150], v[115:116]
	ds_read_b128 v[1:4], v157 offset:1472
	v_add_f64 v[109:110], v[109:110], v[125:126]
	v_add_f64 v[111:112], v[111:112], v[113:114]
	s_waitcnt vmcnt(23) lgkmcnt(1)
	v_mul_f64 v[125:126], v[7:8], v[153:154]
	v_mul_f64 v[113:114], v[5:6], v[153:154]
	s_waitcnt vmcnt(21)
	v_fma_f64 v[123:124], v[105:106], v[135:136], -v[123:124]
	v_fma_f64 v[117:118], v[107:108], v[135:136], v[117:118]
	ds_read_b128 v[105:108], v157 offset:1488
	v_add_f64 v[109:110], v[109:110], v[119:120]
	v_add_f64 v[111:112], v[111:112], v[115:116]
	s_waitcnt vmcnt(17) lgkmcnt(1)
	v_mul_f64 v[119:120], v[3:4], v[137:138]
	s_waitcnt vmcnt(16)
	v_fma_f64 v[125:126], v[5:6], v[155:156], -v[125:126]
	v_mul_f64 v[115:116], v[1:2], v[137:138]
	;; [unrolled: 18-line block ×3, first 2 shown]
	v_fma_f64 v[107:108], v[107:108], v[180:181], v[117:118]
	v_add_f64 v[109:110], v[109:110], v[119:120]
	v_add_f64 v[111:112], v[111:112], v[115:116]
	s_waitcnt vmcnt(7) lgkmcnt(0)
	v_mul_f64 v[117:118], v[3:4], v[162:163]
	v_mul_f64 v[115:116], v[1:2], v[162:163]
	s_waitcnt vmcnt(5)
	v_fma_f64 v[5:6], v[5:6], v[151:152], -v[125:126]
	v_fma_f64 v[7:8], v[7:8], v[151:152], v[113:114]
	v_add_f64 v[105:106], v[109:110], v[105:106]
	v_add_f64 v[107:108], v[111:112], v[107:108]
	s_waitcnt vmcnt(4)
	v_fma_f64 v[1:2], v[1:2], v[185:186], -v[117:118]
	v_fma_f64 v[3:4], v[3:4], v[185:186], v[115:116]
	v_add_f64 v[5:6], v[105:106], v[5:6]
	v_add_f64 v[7:8], v[107:108], v[7:8]
	;; [unrolled: 1-line block ×4, first 2 shown]
	s_waitcnt vmcnt(2)
	v_add_f64 v[1:2], v[121:122], -v[1:2]
	s_waitcnt vmcnt(0)
	v_add_f64 v[3:4], v[168:169], -v[3:4]
	buffer_store_dword v2, off, s[0:3], 0 offset:212
	buffer_store_dword v1, off, s[0:3], 0 offset:208
	;; [unrolled: 1-line block ×4, first 2 shown]
	v_cmpx_lt_u32_e32 11, v0
	s_cbranch_execz .LBB111_279
; %bb.278:
	v_mov_b32_e32 v4, s49
	s_clause 0x3
	buffer_load_dword v1, v4, s[0:3], 0 offen
	buffer_load_dword v2, v4, s[0:3], 0 offen offset:4
	buffer_load_dword v3, v4, s[0:3], 0 offen offset:8
	buffer_load_dword v4, v4, s[0:3], 0 offen offset:12
	buffer_store_dword v157, off, s[0:3], 0 offset:192
	buffer_store_dword v157, off, s[0:3], 0 offset:196
	;; [unrolled: 1-line block ×4, first 2 shown]
	s_waitcnt vmcnt(0)
	ds_write_b128 v165, v[1:4]
.LBB111_279:
	s_or_b32 exec_lo, exec_lo, s4
	s_waitcnt lgkmcnt(0)
	s_waitcnt_vscnt null, 0x0
	s_barrier
	buffer_gl0_inv
	s_clause 0x37
	buffer_load_dword v105, off, s[0:3], 0 offset:216
	buffer_load_dword v106, off, s[0:3], 0 offset:220
	buffer_load_dword v5, off, s[0:3], 0 offset:232
	buffer_load_dword v6, off, s[0:3], 0 offset:236
	buffer_load_dword v7, off, s[0:3], 0 offset:208
	buffer_load_dword v8, off, s[0:3], 0 offset:212
	buffer_load_dword v3, off, s[0:3], 0 offset:248
	buffer_load_dword v4, off, s[0:3], 0 offset:252
	buffer_load_dword v1, off, s[0:3], 0 offset:224
	buffer_load_dword v2, off, s[0:3], 0 offset:228
	buffer_load_dword v110, off, s[0:3], 0 offset:268
	buffer_load_dword v113, off, s[0:3], 0 offset:280
	buffer_load_dword v107, off, s[0:3], 0 offset:272
	buffer_load_dword v109, off, s[0:3], 0 offset:264
	buffer_load_dword v121, off, s[0:3], 0 offset:240
	buffer_load_dword v122, off, s[0:3], 0 offset:244
	buffer_load_dword v114, off, s[0:3], 0 offset:284
	buffer_load_dword v116, off, s[0:3], 0 offset:260
	buffer_load_dword v115, off, s[0:3], 0 offset:256
	buffer_load_dword v118, off, s[0:3], 0 offset:300
	buffer_load_dword v123, off, s[0:3], 0 offset:312
	buffer_load_dword v111, off, s[0:3], 0 offset:304
	buffer_load_dword v117, off, s[0:3], 0 offset:296
	buffer_load_dword v108, off, s[0:3], 0 offset:276
	buffer_load_dword v124, off, s[0:3], 0 offset:316
	buffer_load_dword v126, off, s[0:3], 0 offset:292
	buffer_load_dword v125, off, s[0:3], 0 offset:288
	buffer_load_dword v128, off, s[0:3], 0 offset:332
	buffer_load_dword v131, off, s[0:3], 0 offset:344
	buffer_load_dword v119, off, s[0:3], 0 offset:336
	buffer_load_dword v127, off, s[0:3], 0 offset:328
	buffer_load_dword v112, off, s[0:3], 0 offset:308
	buffer_load_dword v132, off, s[0:3], 0 offset:348
	buffer_load_dword v134, off, s[0:3], 0 offset:324
	buffer_load_dword v133, off, s[0:3], 0 offset:320
	buffer_load_dword v136, off, s[0:3], 0 offset:364
	buffer_load_dword v139, off, s[0:3], 0 offset:376
	buffer_load_dword v129, off, s[0:3], 0 offset:368
	buffer_load_dword v135, off, s[0:3], 0 offset:360
	buffer_load_dword v120, off, s[0:3], 0 offset:340
	buffer_load_dword v140, off, s[0:3], 0 offset:380
	buffer_load_dword v142, off, s[0:3], 0 offset:356
	buffer_load_dword v141, off, s[0:3], 0 offset:352
	buffer_load_dword v144, off, s[0:3], 0 offset:396
	buffer_load_dword v147, off, s[0:3], 0 offset:408
	buffer_load_dword v137, off, s[0:3], 0 offset:400
	buffer_load_dword v143, off, s[0:3], 0 offset:392
	buffer_load_dword v130, off, s[0:3], 0 offset:372
	buffer_load_dword v148, off, s[0:3], 0 offset:412
	buffer_load_dword v150, off, s[0:3], 0 offset:388
	buffer_load_dword v149, off, s[0:3], 0 offset:384
	buffer_load_dword v152, off, s[0:3], 0 offset:428
	buffer_load_dword v153, off, s[0:3], 0 offset:440
	buffer_load_dword v145, off, s[0:3], 0 offset:432
	buffer_load_dword v151, off, s[0:3], 0 offset:424
	buffer_load_dword v138, off, s[0:3], 0 offset:404
	ds_read_b128 v[158:161], v157 offset:960
	s_clause 0x2
	buffer_load_dword v154, off, s[0:3], 0 offset:444
	buffer_load_dword v156, off, s[0:3], 0 offset:420
	;; [unrolled: 1-line block ×3, first 2 shown]
	ds_read_b128 v[166:169], v157 offset:976
	s_clause 0x4
	buffer_load_dword v175, off, s[0:3], 0 offset:460
	buffer_load_dword v176, off, s[0:3], 0 offset:472
	;; [unrolled: 1-line block ×5, first 2 shown]
	ds_read_b128 v[170:173], v157 offset:992
	s_clause 0x2
	buffer_load_dword v177, off, s[0:3], 0 offset:476
	buffer_load_dword v182, off, s[0:3], 0 offset:452
	;; [unrolled: 1-line block ×3, first 2 shown]
	s_mov_b32 s4, exec_lo
	s_waitcnt vmcnt(62) lgkmcnt(2)
	v_mul_f64 v[162:163], v[160:161], v[105:106]
	v_mul_f64 v[105:106], v[158:159], v[105:106]
	s_waitcnt lgkmcnt(1)
	v_mul_f64 v[179:180], v[168:169], v[5:6]
	s_waitcnt vmcnt(59) lgkmcnt(0)
	v_mul_f64 v[183:184], v[172:173], v[3:4]
	v_fma_f64 v[158:159], v[158:159], v[7:8], -v[162:163]
	v_mul_f64 v[162:163], v[166:167], v[5:6]
	v_fma_f64 v[105:106], v[160:161], v[7:8], v[105:106]
	s_waitcnt vmcnt(57)
	v_fma_f64 v[166:167], v[166:167], v[1:2], -v[179:180]
	ds_read_b128 v[5:8], v157 offset:1008
	v_mul_f64 v[160:161], v[170:171], v[3:4]
	s_waitcnt vmcnt(51)
	v_fma_f64 v[170:171], v[170:171], v[121:122], -v[183:184]
	v_add_f64 v[158:159], v[158:159], 0
	v_fma_f64 v[162:163], v[168:169], v[1:2], v[162:163]
	v_add_f64 v[105:106], v[105:106], 0
	s_clause 0x4
	buffer_load_dword v169, off, s[0:3], 0 offset:492
	buffer_load_dword v185, off, s[0:3], 0 offset:504
	buffer_load_dword v187, off, s[0:3], 0 offset:496
	buffer_load_dword v168, off, s[0:3], 0 offset:488
	buffer_load_dword v179, off, s[0:3], 0 offset:468
	s_waitcnt lgkmcnt(0)
	v_mul_f64 v[188:189], v[5:6], v[109:110]
	v_mul_f64 v[109:110], v[7:8], v[109:110]
	ds_read_b128 v[1:4], v157 offset:1024
	v_fma_f64 v[121:122], v[172:173], v[121:122], v[160:161]
	v_add_f64 v[166:167], v[158:159], v[166:167]
	v_add_f64 v[105:106], v[105:106], v[162:163]
	s_clause 0x2
	buffer_load_dword v186, off, s[0:3], 0 offset:508
	buffer_load_dword v163, off, s[0:3], 0 offset:484
	;; [unrolled: 1-line block ×3, first 2 shown]
	s_waitcnt vmcnt(58) lgkmcnt(0)
	v_mul_f64 v[172:173], v[1:2], v[113:114]
	v_mul_f64 v[113:114], v[3:4], v[113:114]
	s_waitcnt vmcnt(56)
	v_fma_f64 v[109:110], v[5:6], v[115:116], -v[109:110]
	ds_read_b128 v[158:161], v157 offset:1040
	v_fma_f64 v[115:116], v[7:8], v[115:116], v[188:189]
	v_add_f64 v[166:167], v[166:167], v[170:171]
	v_add_f64 v[105:106], v[105:106], v[121:122]
	s_clause 0x4
	buffer_load_dword v122, off, s[0:3], 0 offset:524
	buffer_load_dword v170, off, s[0:3], 0 offset:536
	;; [unrolled: 1-line block ×5, first 2 shown]
	ds_read_b128 v[5:8], v157 offset:1056
	s_waitcnt vmcnt(57) lgkmcnt(1)
	v_mul_f64 v[189:190], v[158:159], v[117:118]
	v_mul_f64 v[117:118], v[160:161], v[117:118]
	s_waitcnt vmcnt(56)
	v_fma_f64 v[113:114], v[1:2], v[107:108], -v[113:114]
	v_fma_f64 v[107:108], v[3:4], v[107:108], v[172:173]
	v_add_f64 v[109:110], v[166:167], v[109:110]
	v_add_f64 v[105:106], v[105:106], v[115:116]
	s_clause 0x2
	buffer_load_dword v171, off, s[0:3], 0 offset:540
	buffer_load_dword v116, off, s[0:3], 0 offset:516
	;; [unrolled: 1-line block ×3, first 2 shown]
	s_waitcnt vmcnt(58) lgkmcnt(0)
	v_mul_f64 v[166:167], v[5:6], v[123:124]
	v_mul_f64 v[123:124], v[7:8], v[123:124]
	s_waitcnt vmcnt(56)
	v_fma_f64 v[117:118], v[158:159], v[125:126], -v[117:118]
	ds_read_b128 v[1:4], v157 offset:1072
	v_add_f64 v[109:110], v[109:110], v[113:114]
	v_fma_f64 v[113:114], v[160:161], v[125:126], v[189:190]
	v_add_f64 v[125:126], v[105:106], v[107:108]
	s_clause 0x4
	buffer_load_dword v159, off, s[0:3], 0 offset:556
	buffer_load_dword v160, off, s[0:3], 0 offset:568
	;; [unrolled: 1-line block ×5, first 2 shown]
	ds_read_b128 v[105:108], v157 offset:1088
	s_waitcnt vmcnt(57) lgkmcnt(1)
	v_mul_f64 v[189:190], v[1:2], v[127:128]
	v_mul_f64 v[127:128], v[3:4], v[127:128]
	s_waitcnt vmcnt(56)
	v_fma_f64 v[123:124], v[5:6], v[111:112], -v[123:124]
	v_fma_f64 v[111:112], v[7:8], v[111:112], v[166:167]
	v_add_f64 v[109:110], v[109:110], v[117:118]
	s_clause 0x2
	buffer_load_dword v161, off, s[0:3], 0 offset:572
	buffer_load_dword v118, off, s[0:3], 0 offset:548
	;; [unrolled: 1-line block ×3, first 2 shown]
	v_add_f64 v[113:114], v[125:126], v[113:114]
	s_waitcnt vmcnt(58) lgkmcnt(0)
	v_mul_f64 v[125:126], v[105:106], v[131:132]
	v_mul_f64 v[131:132], v[107:108], v[131:132]
	ds_read_b128 v[5:8], v157 offset:1104
	s_waitcnt vmcnt(56)
	v_fma_f64 v[127:128], v[1:2], v[133:134], -v[127:128]
	v_add_f64 v[109:110], v[109:110], v[123:124]
	v_fma_f64 v[123:124], v[3:4], v[133:134], v[189:190]
	v_add_f64 v[111:112], v[113:114], v[111:112]
	s_clause 0x4
	buffer_load_dword v114, off, s[0:3], 0 offset:588
	buffer_load_dword v133, off, s[0:3], 0 offset:600
	;; [unrolled: 1-line block ×5, first 2 shown]
	s_waitcnt vmcnt(57) lgkmcnt(0)
	v_mul_f64 v[189:190], v[5:6], v[135:136]
	v_mul_f64 v[135:136], v[7:8], v[135:136]
	s_waitcnt vmcnt(56)
	v_fma_f64 v[131:132], v[105:106], v[119:120], -v[131:132]
	ds_read_b128 v[1:4], v157 offset:1120
	v_fma_f64 v[119:120], v[107:108], v[119:120], v[125:126]
	v_add_f64 v[109:110], v[109:110], v[127:128]
	v_add_f64 v[111:112], v[111:112], v[123:124]
	s_clause 0x2
	buffer_load_dword v134, off, s[0:3], 0 offset:604
	buffer_load_dword v124, off, s[0:3], 0 offset:580
	;; [unrolled: 1-line block ×3, first 2 shown]
	ds_read_b128 v[105:108], v157 offset:1136
	s_waitcnt vmcnt(58) lgkmcnt(1)
	v_mul_f64 v[127:128], v[3:4], v[139:140]
	s_waitcnt vmcnt(56)
	v_fma_f64 v[135:136], v[5:6], v[141:142], -v[135:136]
	v_mul_f64 v[125:126], v[1:2], v[139:140]
	v_add_f64 v[109:110], v[109:110], v[131:132]
	v_fma_f64 v[131:132], v[7:8], v[141:142], v[189:190]
	v_add_f64 v[111:112], v[111:112], v[119:120]
	s_clause 0x4
	buffer_load_dword v120, off, s[0:3], 0 offset:620
	buffer_load_dword v139, off, s[0:3], 0 offset:632
	;; [unrolled: 1-line block ×5, first 2 shown]
	s_waitcnt vmcnt(57) lgkmcnt(0)
	v_mul_f64 v[189:190], v[105:106], v[143:144]
	v_mul_f64 v[142:143], v[107:108], v[143:144]
	s_waitcnt vmcnt(56)
	v_fma_f64 v[127:128], v[1:2], v[129:130], -v[127:128]
	ds_read_b128 v[5:8], v157 offset:1152
	v_fma_f64 v[125:126], v[3:4], v[129:130], v[125:126]
	s_clause 0x2
	buffer_load_dword v140, off, s[0:3], 0 offset:636
	buffer_load_dword v130, off, s[0:3], 0 offset:612
	;; [unrolled: 1-line block ×3, first 2 shown]
	ds_read_b128 v[1:4], v157 offset:1168
	v_add_f64 v[109:110], v[109:110], v[135:136]
	v_add_f64 v[111:112], v[111:112], v[131:132]
	s_waitcnt vmcnt(58) lgkmcnt(1)
	v_mul_f64 v[135:136], v[7:8], v[147:148]
	s_waitcnt vmcnt(56)
	v_fma_f64 v[143:144], v[105:106], v[149:150], -v[142:143]
	v_mul_f64 v[131:132], v[5:6], v[147:148]
	v_add_f64 v[109:110], v[109:110], v[127:128]
	v_fma_f64 v[127:128], v[107:108], v[149:150], v[189:190]
	v_add_f64 v[111:112], v[111:112], v[125:126]
	s_clause 0x4
	buffer_load_dword v126, off, s[0:3], 0 offset:652
	buffer_load_dword v147, off, s[0:3], 0 offset:664
	;; [unrolled: 1-line block ×5, first 2 shown]
	s_waitcnt vmcnt(57) lgkmcnt(0)
	v_mul_f64 v[189:190], v[1:2], v[151:152]
	v_mul_f64 v[150:151], v[3:4], v[151:152]
	s_waitcnt vmcnt(56)
	v_fma_f64 v[135:136], v[5:6], v[137:138], -v[135:136]
	ds_read_b128 v[105:108], v157 offset:1184
	v_fma_f64 v[131:132], v[7:8], v[137:138], v[131:132]
	v_add_f64 v[109:110], v[109:110], v[143:144]
	v_add_f64 v[111:112], v[111:112], v[127:128]
	s_clause 0x2
	buffer_load_dword v148, off, s[0:3], 0 offset:668
	buffer_load_dword v128, off, s[0:3], 0 offset:644
	buffer_load_dword v127, off, s[0:3], 0 offset:640
	ds_read_b128 v[5:8], v157 offset:1200
	s_waitcnt vmcnt(58) lgkmcnt(1)
	v_mul_f64 v[143:144], v[107:108], v[153:154]
	s_waitcnt vmcnt(56)
	v_fma_f64 v[151:152], v[1:2], v[155:156], -v[150:151]
	v_mul_f64 v[137:138], v[105:106], v[153:154]
	v_add_f64 v[109:110], v[109:110], v[135:136]
	v_fma_f64 v[135:136], v[3:4], v[155:156], v[189:190]
	v_add_f64 v[111:112], v[111:112], v[131:132]
	s_clause 0x4
	buffer_load_dword v132, off, s[0:3], 0 offset:684
	buffer_load_dword v153, off, s[0:3], 0 offset:696
	;; [unrolled: 1-line block ×5, first 2 shown]
	s_waitcnt vmcnt(57) lgkmcnt(0)
	v_mul_f64 v[189:190], v[5:6], v[174:175]
	v_mul_f64 v[174:175], v[7:8], v[174:175]
	s_waitcnt vmcnt(56)
	v_fma_f64 v[143:144], v[105:106], v[145:146], -v[143:144]
	ds_read_b128 v[1:4], v157 offset:1216
	v_fma_f64 v[137:138], v[107:108], v[145:146], v[137:138]
	v_add_f64 v[109:110], v[109:110], v[151:152]
	v_add_f64 v[111:112], v[111:112], v[135:136]
	s_clause 0x2
	buffer_load_dword v154, off, s[0:3], 0 offset:700
	buffer_load_dword v136, off, s[0:3], 0 offset:676
	;; [unrolled: 1-line block ×3, first 2 shown]
	ds_read_b128 v[105:108], v157 offset:1232
	s_waitcnt vmcnt(58) lgkmcnt(1)
	v_mul_f64 v[151:152], v[3:4], v[176:177]
	s_waitcnt vmcnt(56)
	v_fma_f64 v[174:175], v[5:6], v[181:182], -v[174:175]
	v_mul_f64 v[145:146], v[1:2], v[176:177]
	v_add_f64 v[109:110], v[109:110], v[143:144]
	v_fma_f64 v[143:144], v[7:8], v[181:182], v[189:190]
	v_add_f64 v[111:112], v[111:112], v[137:138]
	s_clause 0x4
	buffer_load_dword v138, off, s[0:3], 0 offset:716
	buffer_load_dword v176, off, s[0:3], 0 offset:728
	;; [unrolled: 1-line block ×5, first 2 shown]
	ds_read_b128 v[5:8], v157 offset:1248
	s_waitcnt vmcnt(57) lgkmcnt(1)
	v_mul_f64 v[181:182], v[105:106], v[168:169]
	v_mul_f64 v[168:169], v[107:108], v[168:169]
	s_waitcnt vmcnt(56)
	v_fma_f64 v[151:152], v[1:2], v[178:179], -v[151:152]
	v_fma_f64 v[145:146], v[3:4], v[178:179], v[145:146]
	v_add_f64 v[109:110], v[109:110], v[174:175]
	v_add_f64 v[111:112], v[111:112], v[143:144]
	s_clause 0x2
	buffer_load_dword v177, off, s[0:3], 0 offset:732
	buffer_load_dword v144, off, s[0:3], 0 offset:708
	;; [unrolled: 1-line block ×3, first 2 shown]
	ds_read_b128 v[1:4], v157 offset:1264
	s_waitcnt vmcnt(58) lgkmcnt(1)
	v_mul_f64 v[178:179], v[7:8], v[185:186]
	v_mul_f64 v[174:175], v[5:6], v[185:186]
	s_waitcnt vmcnt(56)
	v_fma_f64 v[168:169], v[105:106], v[162:163], -v[168:169]
	v_add_f64 v[109:110], v[109:110], v[151:152]
	v_fma_f64 v[151:152], v[107:108], v[162:163], v[181:182]
	v_add_f64 v[111:112], v[111:112], v[145:146]
	s_clause 0x4
	buffer_load_dword v146, off, s[0:3], 0 offset:748
	buffer_load_dword v162, off, s[0:3], 0 offset:760
	;; [unrolled: 1-line block ×5, first 2 shown]
	ds_read_b128 v[105:108], v157 offset:1280
	s_waitcnt vmcnt(57) lgkmcnt(1)
	v_mul_f64 v[189:190], v[1:2], v[121:122]
	v_mul_f64 v[121:122], v[3:4], v[121:122]
	s_waitcnt vmcnt(56)
	v_fma_f64 v[178:179], v[5:6], v[187:188], -v[178:179]
	v_add_f64 v[109:110], v[109:110], v[168:169]
	v_fma_f64 v[168:169], v[7:8], v[187:188], v[174:175]
	v_add_f64 v[111:112], v[111:112], v[151:152]
	s_clause 0x2
	buffer_load_dword v163, off, s[0:3], 0 offset:764
	buffer_load_dword v152, off, s[0:3], 0 offset:740
	;; [unrolled: 1-line block ×3, first 2 shown]
	ds_read_b128 v[5:8], v157 offset:1296
	s_waitcnt vmcnt(58) lgkmcnt(1)
	v_mul_f64 v[174:175], v[105:106], v[170:171]
	v_mul_f64 v[170:171], v[107:108], v[170:171]
	s_waitcnt vmcnt(56)
	v_fma_f64 v[121:122], v[1:2], v[115:116], -v[121:122]
	v_fma_f64 v[115:116], v[3:4], v[115:116], v[189:190]
	v_add_f64 v[109:110], v[109:110], v[178:179]
	v_add_f64 v[111:112], v[111:112], v[168:169]
	s_clause 0x2
	buffer_load_dword v169, off, s[0:3], 0 offset:780
	buffer_load_dword v168, off, s[0:3], 0 offset:776
	;; [unrolled: 1-line block ×3, first 2 shown]
	ds_read_b128 v[1:4], v157 offset:1312
	s_waitcnt vmcnt(55) lgkmcnt(1)
	v_mul_f64 v[178:179], v[5:6], v[158:159]
	v_mul_f64 v[158:159], v[7:8], v[158:159]
	s_waitcnt vmcnt(54)
	v_fma_f64 v[170:171], v[105:106], v[183:184], -v[170:171]
	v_add_f64 v[109:110], v[109:110], v[121:122]
	v_fma_f64 v[121:122], v[107:108], v[183:184], v[174:175]
	v_add_f64 v[111:112], v[111:112], v[115:116]
	s_clause 0x1
	buffer_load_dword v116, off, s[0:3], 0 offset:772
	buffer_load_dword v115, off, s[0:3], 0 offset:768
	ds_read_b128 v[105:108], v157 offset:1328
	s_waitcnt vmcnt(55) lgkmcnt(1)
	v_mul_f64 v[174:175], v[1:2], v[160:161]
	v_mul_f64 v[160:161], v[3:4], v[160:161]
	s_waitcnt vmcnt(53)
	v_fma_f64 v[158:159], v[5:6], v[117:118], -v[158:159]
	v_fma_f64 v[117:118], v[7:8], v[117:118], v[178:179]
	ds_read_b128 v[5:8], v157 offset:1344
	v_add_f64 v[109:110], v[109:110], v[170:171]
	v_add_f64 v[111:112], v[111:112], v[121:122]
	s_waitcnt vmcnt(49) lgkmcnt(1)
	v_mul_f64 v[121:122], v[105:106], v[113:114]
	v_mul_f64 v[113:114], v[107:108], v[113:114]
	s_waitcnt vmcnt(48)
	v_fma_f64 v[160:161], v[1:2], v[172:173], -v[160:161]
	v_add_f64 v[109:110], v[109:110], v[158:159]
	v_fma_f64 v[158:159], v[3:4], v[172:173], v[174:175]
	v_add_f64 v[111:112], v[111:112], v[117:118]
	s_clause 0x3
	buffer_load_dword v117, off, s[0:3], 0 offset:192
	buffer_load_dword v118, off, s[0:3], 0 offset:196
	;; [unrolled: 1-line block ×4, first 2 shown]
	ds_read_b128 v[1:4], v157 offset:1360
	s_waitcnt vmcnt(51) lgkmcnt(1)
	v_mul_f64 v[172:173], v[5:6], v[133:134]
	v_mul_f64 v[133:134], v[7:8], v[133:134]
	s_waitcnt vmcnt(49)
	v_fma_f64 v[113:114], v[105:106], v[123:124], -v[113:114]
	v_fma_f64 v[121:122], v[107:108], v[123:124], v[121:122]
	ds_read_b128 v[105:108], v157 offset:1376
	v_add_f64 v[109:110], v[109:110], v[160:161]
	v_add_f64 v[111:112], v[111:112], v[158:159]
	s_waitcnt vmcnt(45) lgkmcnt(1)
	v_mul_f64 v[123:124], v[1:2], v[119:120]
	v_mul_f64 v[119:120], v[3:4], v[119:120]
	s_waitcnt vmcnt(44)
	v_fma_f64 v[133:134], v[5:6], v[166:167], -v[133:134]
	v_add_f64 v[109:110], v[109:110], v[113:114]
	v_fma_f64 v[113:114], v[7:8], v[166:167], v[172:173]
	v_add_f64 v[111:112], v[111:112], v[121:122]
	s_waitcnt vmcnt(43) lgkmcnt(0)
	v_mul_f64 v[121:122], v[105:106], v[139:140]
	v_mul_f64 v[139:140], v[107:108], v[139:140]
	ds_read_b128 v[5:8], v157 offset:1392
	s_waitcnt vmcnt(41)
	v_fma_f64 v[123:124], v[3:4], v[129:130], v[123:124]
	v_fma_f64 v[119:120], v[1:2], v[129:130], -v[119:120]
	ds_read_b128 v[1:4], v157 offset:1408
	v_add_f64 v[109:110], v[109:110], v[133:134]
	v_add_f64 v[111:112], v[111:112], v[113:114]
	s_waitcnt vmcnt(37) lgkmcnt(1)
	v_mul_f64 v[113:114], v[5:6], v[125:126]
	v_mul_f64 v[125:126], v[7:8], v[125:126]
	s_waitcnt vmcnt(36)
	v_fma_f64 v[129:130], v[105:106], v[141:142], -v[139:140]
	v_add_f64 v[109:110], v[109:110], v[119:120]
	v_fma_f64 v[119:120], v[107:108], v[141:142], v[121:122]
	v_add_f64 v[111:112], v[111:112], v[123:124]
	ds_read_b128 v[105:108], v157 offset:1424
	s_waitcnt vmcnt(35) lgkmcnt(1)
	v_mul_f64 v[123:124], v[3:4], v[147:148]
	v_mul_f64 v[121:122], v[1:2], v[147:148]
	s_waitcnt vmcnt(33)
	v_fma_f64 v[125:126], v[5:6], v[127:128], -v[125:126]
	v_fma_f64 v[113:114], v[7:8], v[127:128], v[113:114]
	ds_read_b128 v[5:8], v157 offset:1440
	v_add_f64 v[109:110], v[109:110], v[129:130]
	v_add_f64 v[111:112], v[111:112], v[119:120]
	s_waitcnt vmcnt(29) lgkmcnt(1)
	v_mul_f64 v[127:128], v[107:108], v[131:132]
	s_waitcnt vmcnt(28)
	v_fma_f64 v[123:124], v[1:2], v[149:150], -v[123:124]
	v_mul_f64 v[119:120], v[105:106], v[131:132]
	v_fma_f64 v[121:122], v[3:4], v[149:150], v[121:122]
	ds_read_b128 v[1:4], v157 offset:1456
	v_add_f64 v[109:110], v[109:110], v[125:126]
	v_add_f64 v[111:112], v[111:112], v[113:114]
	s_waitcnt vmcnt(27) lgkmcnt(1)
	v_mul_f64 v[125:126], v[7:8], v[153:154]
	v_mul_f64 v[113:114], v[5:6], v[153:154]
	s_waitcnt vmcnt(25)
	v_fma_f64 v[127:128], v[105:106], v[135:136], -v[127:128]
	v_fma_f64 v[119:120], v[107:108], v[135:136], v[119:120]
	ds_read_b128 v[105:108], v157 offset:1472
	v_add_f64 v[109:110], v[109:110], v[123:124]
	v_add_f64 v[111:112], v[111:112], v[121:122]
	s_waitcnt vmcnt(21) lgkmcnt(1)
	v_mul_f64 v[123:124], v[3:4], v[137:138]
	s_waitcnt vmcnt(20)
	v_fma_f64 v[125:126], v[5:6], v[155:156], -v[125:126]
	v_mul_f64 v[121:122], v[1:2], v[137:138]
	v_fma_f64 v[113:114], v[7:8], v[155:156], v[113:114]
	ds_read_b128 v[5:8], v157 offset:1488
	v_add_f64 v[109:110], v[109:110], v[127:128]
	v_add_f64 v[111:112], v[111:112], v[119:120]
	;; [unrolled: 18-line block ×3, first 2 shown]
	s_waitcnt vmcnt(11) lgkmcnt(1)
	v_mul_f64 v[123:124], v[3:4], v[162:163]
	v_mul_f64 v[121:122], v[1:2], v[162:163]
	s_waitcnt vmcnt(9)
	v_fma_f64 v[5:6], v[5:6], v[151:152], -v[125:126]
	v_fma_f64 v[7:8], v[7:8], v[151:152], v[113:114]
	v_add_f64 v[109:110], v[109:110], v[127:128]
	v_add_f64 v[111:112], v[111:112], v[119:120]
	s_waitcnt vmcnt(7) lgkmcnt(0)
	v_mul_f64 v[119:120], v[107:108], v[168:169]
	s_waitcnt vmcnt(6)
	v_fma_f64 v[1:2], v[1:2], v[185:186], -v[123:124]
	v_mul_f64 v[113:114], v[105:106], v[168:169]
	v_fma_f64 v[3:4], v[3:4], v[185:186], v[121:122]
	v_add_f64 v[5:6], v[109:110], v[5:6]
	v_add_f64 v[7:8], v[111:112], v[7:8]
	s_waitcnt vmcnt(4)
	v_fma_f64 v[105:106], v[105:106], v[115:116], -v[119:120]
	v_add_f64 v[1:2], v[5:6], v[1:2]
	v_fma_f64 v[5:6], v[107:108], v[115:116], v[113:114]
	v_add_f64 v[3:4], v[7:8], v[3:4]
	v_add_f64 v[1:2], v[1:2], v[105:106]
	;; [unrolled: 1-line block ×3, first 2 shown]
	s_waitcnt vmcnt(2)
	v_add_f64 v[1:2], v[117:118], -v[1:2]
	s_waitcnt vmcnt(0)
	v_add_f64 v[3:4], v[170:171], -v[3:4]
	buffer_store_dword v2, off, s[0:3], 0 offset:196
	buffer_store_dword v1, off, s[0:3], 0 offset:192
	;; [unrolled: 1-line block ×4, first 2 shown]
	v_cmpx_lt_u32_e32 10, v0
	s_cbranch_execz .LBB111_281
; %bb.280:
	v_mov_b32_e32 v4, s50
	v_mov_b32_e32 v5, 0
	s_clause 0x3
	buffer_load_dword v1, v4, s[0:3], 0 offen
	buffer_load_dword v2, v4, s[0:3], 0 offen offset:4
	buffer_load_dword v3, v4, s[0:3], 0 offen offset:8
	;; [unrolled: 1-line block ×3, first 2 shown]
	buffer_store_dword v5, off, s[0:3], 0 offset:176
	buffer_store_dword v5, off, s[0:3], 0 offset:180
	;; [unrolled: 1-line block ×4, first 2 shown]
	s_waitcnt vmcnt(0)
	ds_write_b128 v165, v[1:4]
.LBB111_281:
	s_or_b32 exec_lo, exec_lo, s4
	s_waitcnt lgkmcnt(0)
	s_waitcnt_vscnt null, 0x0
	s_barrier
	buffer_gl0_inv
	s_clause 0x37
	buffer_load_dword v105, off, s[0:3], 0 offset:200
	buffer_load_dword v106, off, s[0:3], 0 offset:204
	;; [unrolled: 1-line block ×56, first 2 shown]
	v_mov_b32_e32 v157, 0
	s_mov_b32 s4, exec_lo
	ds_read_b128 v[158:161], v157 offset:944
	s_clause 0x2
	buffer_load_dword v154, off, s[0:3], 0 offset:428
	buffer_load_dword v156, off, s[0:3], 0 offset:404
	;; [unrolled: 1-line block ×3, first 2 shown]
	ds_read_b128 v[166:169], v157 offset:960
	s_clause 0x4
	buffer_load_dword v175, off, s[0:3], 0 offset:444
	buffer_load_dword v176, off, s[0:3], 0 offset:456
	buffer_load_dword v178, off, s[0:3], 0 offset:448
	buffer_load_dword v174, off, s[0:3], 0 offset:440
	buffer_load_dword v146, off, s[0:3], 0 offset:420
	ds_read_b128 v[170:173], v157 offset:976
	s_clause 0x2
	buffer_load_dword v177, off, s[0:3], 0 offset:460
	buffer_load_dword v182, off, s[0:3], 0 offset:436
	buffer_load_dword v181, off, s[0:3], 0 offset:432
	s_waitcnt vmcnt(62) lgkmcnt(2)
	v_mul_f64 v[162:163], v[160:161], v[105:106]
	v_mul_f64 v[105:106], v[158:159], v[105:106]
	s_waitcnt lgkmcnt(1)
	v_mul_f64 v[179:180], v[168:169], v[5:6]
	s_waitcnt vmcnt(59) lgkmcnt(0)
	v_mul_f64 v[183:184], v[172:173], v[3:4]
	v_fma_f64 v[158:159], v[158:159], v[7:8], -v[162:163]
	v_mul_f64 v[162:163], v[166:167], v[5:6]
	v_fma_f64 v[105:106], v[160:161], v[7:8], v[105:106]
	s_waitcnt vmcnt(57)
	v_fma_f64 v[166:167], v[166:167], v[1:2], -v[179:180]
	ds_read_b128 v[5:8], v157 offset:992
	v_mul_f64 v[160:161], v[170:171], v[3:4]
	s_waitcnt vmcnt(51)
	v_fma_f64 v[170:171], v[170:171], v[121:122], -v[183:184]
	v_add_f64 v[158:159], v[158:159], 0
	v_fma_f64 v[162:163], v[168:169], v[1:2], v[162:163]
	v_add_f64 v[105:106], v[105:106], 0
	s_clause 0x4
	buffer_load_dword v169, off, s[0:3], 0 offset:476
	buffer_load_dword v185, off, s[0:3], 0 offset:488
	;; [unrolled: 1-line block ×5, first 2 shown]
	s_waitcnt lgkmcnt(0)
	v_mul_f64 v[188:189], v[5:6], v[109:110]
	v_mul_f64 v[109:110], v[7:8], v[109:110]
	ds_read_b128 v[1:4], v157 offset:1008
	v_fma_f64 v[121:122], v[172:173], v[121:122], v[160:161]
	v_add_f64 v[166:167], v[158:159], v[166:167]
	v_add_f64 v[105:106], v[105:106], v[162:163]
	s_clause 0x2
	buffer_load_dword v186, off, s[0:3], 0 offset:492
	buffer_load_dword v163, off, s[0:3], 0 offset:468
	;; [unrolled: 1-line block ×3, first 2 shown]
	s_waitcnt vmcnt(58) lgkmcnt(0)
	v_mul_f64 v[172:173], v[1:2], v[113:114]
	v_mul_f64 v[113:114], v[3:4], v[113:114]
	s_waitcnt vmcnt(56)
	v_fma_f64 v[109:110], v[5:6], v[115:116], -v[109:110]
	ds_read_b128 v[158:161], v157 offset:1024
	v_fma_f64 v[115:116], v[7:8], v[115:116], v[188:189]
	v_add_f64 v[166:167], v[166:167], v[170:171]
	v_add_f64 v[105:106], v[105:106], v[121:122]
	s_clause 0x4
	buffer_load_dword v122, off, s[0:3], 0 offset:508
	buffer_load_dword v170, off, s[0:3], 0 offset:520
	;; [unrolled: 1-line block ×5, first 2 shown]
	ds_read_b128 v[5:8], v157 offset:1040
	s_waitcnt vmcnt(57) lgkmcnt(1)
	v_mul_f64 v[189:190], v[158:159], v[117:118]
	v_mul_f64 v[117:118], v[160:161], v[117:118]
	s_waitcnt vmcnt(56)
	v_fma_f64 v[113:114], v[1:2], v[107:108], -v[113:114]
	v_fma_f64 v[107:108], v[3:4], v[107:108], v[172:173]
	v_add_f64 v[109:110], v[166:167], v[109:110]
	v_add_f64 v[105:106], v[105:106], v[115:116]
	s_clause 0x2
	buffer_load_dword v171, off, s[0:3], 0 offset:524
	buffer_load_dword v116, off, s[0:3], 0 offset:500
	;; [unrolled: 1-line block ×3, first 2 shown]
	s_waitcnt vmcnt(58) lgkmcnt(0)
	v_mul_f64 v[166:167], v[5:6], v[123:124]
	v_mul_f64 v[123:124], v[7:8], v[123:124]
	s_waitcnt vmcnt(56)
	v_fma_f64 v[117:118], v[158:159], v[125:126], -v[117:118]
	ds_read_b128 v[1:4], v157 offset:1056
	v_add_f64 v[109:110], v[109:110], v[113:114]
	v_fma_f64 v[113:114], v[160:161], v[125:126], v[189:190]
	v_add_f64 v[125:126], v[105:106], v[107:108]
	s_clause 0x4
	buffer_load_dword v159, off, s[0:3], 0 offset:540
	buffer_load_dword v160, off, s[0:3], 0 offset:552
	;; [unrolled: 1-line block ×5, first 2 shown]
	ds_read_b128 v[105:108], v157 offset:1072
	s_waitcnt vmcnt(57) lgkmcnt(1)
	v_mul_f64 v[189:190], v[1:2], v[127:128]
	v_mul_f64 v[127:128], v[3:4], v[127:128]
	s_waitcnt vmcnt(56)
	v_fma_f64 v[123:124], v[5:6], v[111:112], -v[123:124]
	v_fma_f64 v[111:112], v[7:8], v[111:112], v[166:167]
	v_add_f64 v[109:110], v[109:110], v[117:118]
	s_clause 0x2
	buffer_load_dword v161, off, s[0:3], 0 offset:556
	buffer_load_dword v118, off, s[0:3], 0 offset:532
	buffer_load_dword v117, off, s[0:3], 0 offset:528
	v_add_f64 v[113:114], v[125:126], v[113:114]
	s_waitcnt vmcnt(58) lgkmcnt(0)
	v_mul_f64 v[125:126], v[105:106], v[131:132]
	v_mul_f64 v[131:132], v[107:108], v[131:132]
	ds_read_b128 v[5:8], v157 offset:1088
	s_waitcnt vmcnt(56)
	v_fma_f64 v[127:128], v[1:2], v[133:134], -v[127:128]
	v_add_f64 v[109:110], v[109:110], v[123:124]
	v_fma_f64 v[123:124], v[3:4], v[133:134], v[189:190]
	v_add_f64 v[111:112], v[113:114], v[111:112]
	s_clause 0x4
	buffer_load_dword v114, off, s[0:3], 0 offset:572
	buffer_load_dword v133, off, s[0:3], 0 offset:584
	;; [unrolled: 1-line block ×5, first 2 shown]
	s_waitcnt vmcnt(57) lgkmcnt(0)
	v_mul_f64 v[189:190], v[5:6], v[135:136]
	v_mul_f64 v[135:136], v[7:8], v[135:136]
	s_waitcnt vmcnt(56)
	v_fma_f64 v[131:132], v[105:106], v[119:120], -v[131:132]
	ds_read_b128 v[1:4], v157 offset:1104
	v_fma_f64 v[119:120], v[107:108], v[119:120], v[125:126]
	v_add_f64 v[109:110], v[109:110], v[127:128]
	v_add_f64 v[111:112], v[111:112], v[123:124]
	s_clause 0x2
	buffer_load_dword v134, off, s[0:3], 0 offset:588
	buffer_load_dword v124, off, s[0:3], 0 offset:564
	;; [unrolled: 1-line block ×3, first 2 shown]
	ds_read_b128 v[105:108], v157 offset:1120
	s_waitcnt vmcnt(58) lgkmcnt(1)
	v_mul_f64 v[127:128], v[3:4], v[139:140]
	s_waitcnt vmcnt(56)
	v_fma_f64 v[135:136], v[5:6], v[141:142], -v[135:136]
	v_mul_f64 v[125:126], v[1:2], v[139:140]
	v_add_f64 v[109:110], v[109:110], v[131:132]
	v_fma_f64 v[131:132], v[7:8], v[141:142], v[189:190]
	v_add_f64 v[111:112], v[111:112], v[119:120]
	s_clause 0x4
	buffer_load_dword v120, off, s[0:3], 0 offset:604
	buffer_load_dword v139, off, s[0:3], 0 offset:616
	;; [unrolled: 1-line block ×5, first 2 shown]
	s_waitcnt vmcnt(57) lgkmcnt(0)
	v_mul_f64 v[189:190], v[105:106], v[143:144]
	v_mul_f64 v[142:143], v[107:108], v[143:144]
	s_waitcnt vmcnt(56)
	v_fma_f64 v[127:128], v[1:2], v[129:130], -v[127:128]
	ds_read_b128 v[5:8], v157 offset:1136
	v_fma_f64 v[125:126], v[3:4], v[129:130], v[125:126]
	s_clause 0x2
	buffer_load_dword v140, off, s[0:3], 0 offset:620
	buffer_load_dword v130, off, s[0:3], 0 offset:596
	;; [unrolled: 1-line block ×3, first 2 shown]
	ds_read_b128 v[1:4], v157 offset:1152
	v_add_f64 v[109:110], v[109:110], v[135:136]
	v_add_f64 v[111:112], v[111:112], v[131:132]
	s_waitcnt vmcnt(58) lgkmcnt(1)
	v_mul_f64 v[135:136], v[7:8], v[147:148]
	s_waitcnt vmcnt(56)
	v_fma_f64 v[143:144], v[105:106], v[149:150], -v[142:143]
	v_mul_f64 v[131:132], v[5:6], v[147:148]
	v_add_f64 v[109:110], v[109:110], v[127:128]
	v_fma_f64 v[127:128], v[107:108], v[149:150], v[189:190]
	v_add_f64 v[111:112], v[111:112], v[125:126]
	s_clause 0x4
	buffer_load_dword v126, off, s[0:3], 0 offset:636
	buffer_load_dword v147, off, s[0:3], 0 offset:648
	;; [unrolled: 1-line block ×5, first 2 shown]
	s_waitcnt vmcnt(57) lgkmcnt(0)
	v_mul_f64 v[189:190], v[1:2], v[151:152]
	v_mul_f64 v[150:151], v[3:4], v[151:152]
	s_waitcnt vmcnt(56)
	v_fma_f64 v[135:136], v[5:6], v[137:138], -v[135:136]
	ds_read_b128 v[105:108], v157 offset:1168
	v_fma_f64 v[131:132], v[7:8], v[137:138], v[131:132]
	v_add_f64 v[109:110], v[109:110], v[143:144]
	v_add_f64 v[111:112], v[111:112], v[127:128]
	s_clause 0x2
	buffer_load_dword v148, off, s[0:3], 0 offset:652
	buffer_load_dword v128, off, s[0:3], 0 offset:628
	;; [unrolled: 1-line block ×3, first 2 shown]
	ds_read_b128 v[5:8], v157 offset:1184
	s_waitcnt vmcnt(58) lgkmcnt(1)
	v_mul_f64 v[143:144], v[107:108], v[153:154]
	s_waitcnt vmcnt(56)
	v_fma_f64 v[151:152], v[1:2], v[155:156], -v[150:151]
	v_mul_f64 v[137:138], v[105:106], v[153:154]
	v_add_f64 v[109:110], v[109:110], v[135:136]
	v_fma_f64 v[135:136], v[3:4], v[155:156], v[189:190]
	v_add_f64 v[111:112], v[111:112], v[131:132]
	s_clause 0x4
	buffer_load_dword v132, off, s[0:3], 0 offset:668
	buffer_load_dword v153, off, s[0:3], 0 offset:680
	;; [unrolled: 1-line block ×5, first 2 shown]
	s_waitcnt vmcnt(57) lgkmcnt(0)
	v_mul_f64 v[189:190], v[5:6], v[174:175]
	v_mul_f64 v[174:175], v[7:8], v[174:175]
	s_waitcnt vmcnt(56)
	v_fma_f64 v[143:144], v[105:106], v[145:146], -v[143:144]
	ds_read_b128 v[1:4], v157 offset:1200
	v_fma_f64 v[137:138], v[107:108], v[145:146], v[137:138]
	v_add_f64 v[109:110], v[109:110], v[151:152]
	v_add_f64 v[111:112], v[111:112], v[135:136]
	s_clause 0x2
	buffer_load_dword v154, off, s[0:3], 0 offset:684
	buffer_load_dword v136, off, s[0:3], 0 offset:660
	;; [unrolled: 1-line block ×3, first 2 shown]
	ds_read_b128 v[105:108], v157 offset:1216
	s_waitcnt vmcnt(58) lgkmcnt(1)
	v_mul_f64 v[151:152], v[3:4], v[176:177]
	s_waitcnt vmcnt(56)
	v_fma_f64 v[174:175], v[5:6], v[181:182], -v[174:175]
	v_mul_f64 v[145:146], v[1:2], v[176:177]
	v_add_f64 v[109:110], v[109:110], v[143:144]
	v_fma_f64 v[143:144], v[7:8], v[181:182], v[189:190]
	v_add_f64 v[111:112], v[111:112], v[137:138]
	s_clause 0x4
	buffer_load_dword v138, off, s[0:3], 0 offset:700
	buffer_load_dword v176, off, s[0:3], 0 offset:712
	;; [unrolled: 1-line block ×5, first 2 shown]
	ds_read_b128 v[5:8], v157 offset:1232
	s_waitcnt vmcnt(57) lgkmcnt(1)
	v_mul_f64 v[181:182], v[105:106], v[168:169]
	v_mul_f64 v[168:169], v[107:108], v[168:169]
	s_waitcnt vmcnt(56)
	v_fma_f64 v[151:152], v[1:2], v[178:179], -v[151:152]
	v_fma_f64 v[145:146], v[3:4], v[178:179], v[145:146]
	v_add_f64 v[109:110], v[109:110], v[174:175]
	v_add_f64 v[111:112], v[111:112], v[143:144]
	s_clause 0x2
	buffer_load_dword v177, off, s[0:3], 0 offset:716
	buffer_load_dword v144, off, s[0:3], 0 offset:692
	;; [unrolled: 1-line block ×3, first 2 shown]
	ds_read_b128 v[1:4], v157 offset:1248
	s_waitcnt vmcnt(58) lgkmcnt(1)
	v_mul_f64 v[178:179], v[7:8], v[185:186]
	v_mul_f64 v[174:175], v[5:6], v[185:186]
	s_waitcnt vmcnt(56)
	v_fma_f64 v[168:169], v[105:106], v[162:163], -v[168:169]
	v_add_f64 v[109:110], v[109:110], v[151:152]
	v_fma_f64 v[151:152], v[107:108], v[162:163], v[181:182]
	v_add_f64 v[111:112], v[111:112], v[145:146]
	s_clause 0x4
	buffer_load_dword v146, off, s[0:3], 0 offset:732
	buffer_load_dword v162, off, s[0:3], 0 offset:744
	;; [unrolled: 1-line block ×5, first 2 shown]
	ds_read_b128 v[105:108], v157 offset:1264
	s_waitcnt vmcnt(57) lgkmcnt(1)
	v_mul_f64 v[189:190], v[1:2], v[121:122]
	v_mul_f64 v[121:122], v[3:4], v[121:122]
	s_waitcnt vmcnt(56)
	v_fma_f64 v[178:179], v[5:6], v[187:188], -v[178:179]
	v_add_f64 v[109:110], v[109:110], v[168:169]
	v_fma_f64 v[168:169], v[7:8], v[187:188], v[174:175]
	v_add_f64 v[111:112], v[111:112], v[151:152]
	s_clause 0x2
	buffer_load_dword v163, off, s[0:3], 0 offset:748
	buffer_load_dword v152, off, s[0:3], 0 offset:724
	;; [unrolled: 1-line block ×3, first 2 shown]
	ds_read_b128 v[5:8], v157 offset:1280
	s_waitcnt vmcnt(58) lgkmcnt(1)
	v_mul_f64 v[174:175], v[105:106], v[170:171]
	v_mul_f64 v[170:171], v[107:108], v[170:171]
	s_waitcnt vmcnt(56)
	v_fma_f64 v[121:122], v[1:2], v[115:116], -v[121:122]
	v_fma_f64 v[115:116], v[3:4], v[115:116], v[189:190]
	v_add_f64 v[109:110], v[109:110], v[178:179]
	v_add_f64 v[111:112], v[111:112], v[168:169]
	s_clause 0x4
	buffer_load_dword v169, off, s[0:3], 0 offset:764
	buffer_load_dword v178, off, s[0:3], 0 offset:776
	;; [unrolled: 1-line block ×5, first 2 shown]
	ds_read_b128 v[1:4], v157 offset:1296
	s_waitcnt vmcnt(57) lgkmcnt(1)
	v_mul_f64 v[187:188], v[5:6], v[158:159]
	v_mul_f64 v[158:159], v[7:8], v[158:159]
	s_waitcnt vmcnt(56)
	v_fma_f64 v[170:171], v[105:106], v[183:184], -v[170:171]
	v_add_f64 v[109:110], v[109:110], v[121:122]
	v_fma_f64 v[121:122], v[107:108], v[183:184], v[174:175]
	v_add_f64 v[111:112], v[111:112], v[115:116]
	s_clause 0x2
	buffer_load_dword v179, off, s[0:3], 0 offset:780
	buffer_load_dword v116, off, s[0:3], 0 offset:756
	;; [unrolled: 1-line block ×3, first 2 shown]
	ds_read_b128 v[105:108], v157 offset:1312
	buffer_load_dword v183, off, s[0:3], 0 offset:772
	s_waitcnt vmcnt(59) lgkmcnt(1)
	v_mul_f64 v[174:175], v[1:2], v[160:161]
	v_mul_f64 v[160:161], v[3:4], v[160:161]
	s_waitcnt vmcnt(57)
	v_fma_f64 v[158:159], v[5:6], v[117:118], -v[158:159]
	v_fma_f64 v[117:118], v[7:8], v[117:118], v[187:188]
	ds_read_b128 v[5:8], v157 offset:1328
	v_add_f64 v[109:110], v[109:110], v[170:171]
	v_add_f64 v[111:112], v[111:112], v[121:122]
	s_waitcnt vmcnt(53) lgkmcnt(1)
	v_mul_f64 v[121:122], v[105:106], v[113:114]
	v_mul_f64 v[113:114], v[107:108], v[113:114]
	s_waitcnt vmcnt(52)
	v_fma_f64 v[160:161], v[1:2], v[172:173], -v[160:161]
	v_add_f64 v[109:110], v[109:110], v[158:159]
	v_fma_f64 v[158:159], v[3:4], v[172:173], v[174:175]
	v_add_f64 v[111:112], v[111:112], v[117:118]
	ds_read_b128 v[1:4], v157 offset:1344
	s_waitcnt vmcnt(51) lgkmcnt(1)
	v_mul_f64 v[117:118], v[5:6], v[133:134]
	v_mul_f64 v[133:134], v[7:8], v[133:134]
	s_waitcnt vmcnt(49)
	v_fma_f64 v[113:114], v[105:106], v[123:124], -v[113:114]
	v_fma_f64 v[121:122], v[107:108], v[123:124], v[121:122]
	v_add_f64 v[109:110], v[109:110], v[160:161]
	v_add_f64 v[111:112], v[111:112], v[158:159]
	s_clause 0x3
	buffer_load_dword v123, off, s[0:3], 0 offset:176
	buffer_load_dword v124, off, s[0:3], 0 offset:180
	;; [unrolled: 1-line block ×4, first 2 shown]
	ds_read_b128 v[105:108], v157 offset:1360
	s_waitcnt vmcnt(49) lgkmcnt(1)
	v_mul_f64 v[160:161], v[1:2], v[119:120]
	v_mul_f64 v[119:120], v[3:4], v[119:120]
	s_waitcnt vmcnt(48)
	v_fma_f64 v[133:134], v[5:6], v[166:167], -v[133:134]
	v_add_f64 v[109:110], v[109:110], v[113:114]
	v_fma_f64 v[113:114], v[7:8], v[166:167], v[117:118]
	v_add_f64 v[111:112], v[111:112], v[121:122]
	ds_read_b128 v[5:8], v157 offset:1376
	s_waitcnt vmcnt(47) lgkmcnt(1)
	v_mul_f64 v[121:122], v[107:108], v[139:140]
	v_mul_f64 v[117:118], v[105:106], v[139:140]
	s_waitcnt vmcnt(45)
	v_fma_f64 v[119:120], v[1:2], v[129:130], -v[119:120]
	v_fma_f64 v[129:130], v[3:4], v[129:130], v[160:161]
	ds_read_b128 v[1:4], v157 offset:1392
	v_add_f64 v[109:110], v[109:110], v[133:134]
	v_add_f64 v[111:112], v[111:112], v[113:114]
	s_waitcnt vmcnt(41) lgkmcnt(1)
	v_mul_f64 v[113:114], v[5:6], v[125:126]
	v_mul_f64 v[125:126], v[7:8], v[125:126]
	s_waitcnt vmcnt(40)
	v_fma_f64 v[121:122], v[105:106], v[141:142], -v[121:122]
	v_fma_f64 v[117:118], v[107:108], v[141:142], v[117:118]
	ds_read_b128 v[105:108], v157 offset:1408
	v_add_f64 v[109:110], v[109:110], v[119:120]
	v_add_f64 v[111:112], v[111:112], v[129:130]
	;; [unrolled: 9-line block ×3, first 2 shown]
	s_waitcnt vmcnt(33) lgkmcnt(1)
	v_mul_f64 v[121:122], v[107:108], v[131:132]
	s_waitcnt vmcnt(32)
	v_fma_f64 v[127:128], v[1:2], v[149:150], -v[129:130]
	v_mul_f64 v[117:118], v[105:106], v[131:132]
	v_fma_f64 v[119:120], v[3:4], v[149:150], v[119:120]
	ds_read_b128 v[1:4], v157 offset:1440
	v_add_f64 v[109:110], v[109:110], v[125:126]
	v_add_f64 v[111:112], v[111:112], v[113:114]
	s_waitcnt vmcnt(31) lgkmcnt(1)
	v_mul_f64 v[125:126], v[7:8], v[153:154]
	v_mul_f64 v[113:114], v[5:6], v[153:154]
	s_waitcnt vmcnt(29)
	v_fma_f64 v[121:122], v[105:106], v[135:136], -v[121:122]
	v_fma_f64 v[117:118], v[107:108], v[135:136], v[117:118]
	ds_read_b128 v[105:108], v157 offset:1456
	v_add_f64 v[109:110], v[109:110], v[127:128]
	v_add_f64 v[111:112], v[111:112], v[119:120]
	s_waitcnt vmcnt(25) lgkmcnt(1)
	v_mul_f64 v[127:128], v[3:4], v[137:138]
	s_waitcnt vmcnt(24)
	v_fma_f64 v[125:126], v[5:6], v[155:156], -v[125:126]
	v_mul_f64 v[119:120], v[1:2], v[137:138]
	v_fma_f64 v[113:114], v[7:8], v[155:156], v[113:114]
	ds_read_b128 v[5:8], v157 offset:1472
	v_add_f64 v[109:110], v[109:110], v[121:122]
	v_add_f64 v[111:112], v[111:112], v[117:118]
	s_waitcnt vmcnt(23) lgkmcnt(1)
	v_mul_f64 v[121:122], v[107:108], v[176:177]
	v_mul_f64 v[117:118], v[105:106], v[176:177]
	s_waitcnt vmcnt(21)
	v_fma_f64 v[127:128], v[1:2], v[143:144], -v[127:128]
	v_fma_f64 v[119:120], v[3:4], v[143:144], v[119:120]
	ds_read_b128 v[1:4], v157 offset:1488
	v_add_f64 v[109:110], v[109:110], v[125:126]
	v_add_f64 v[111:112], v[111:112], v[113:114]
	;; [unrolled: 18-line block ×3, first 2 shown]
	s_waitcnt vmcnt(9) lgkmcnt(1)
	v_mul_f64 v[121:122], v[107:108], v[168:169]
	s_waitcnt vmcnt(8)
	v_fma_f64 v[1:2], v[1:2], v[185:186], -v[127:128]
	v_mul_f64 v[117:118], v[105:106], v[168:169]
	v_fma_f64 v[3:4], v[3:4], v[185:186], v[119:120]
	v_add_f64 v[109:110], v[109:110], v[125:126]
	v_add_f64 v[111:112], v[111:112], v[113:114]
	s_waitcnt vmcnt(7) lgkmcnt(0)
	v_mul_f64 v[119:120], v[7:8], v[178:179]
	v_mul_f64 v[113:114], v[5:6], v[178:179]
	s_waitcnt vmcnt(5)
	v_fma_f64 v[105:106], v[105:106], v[115:116], -v[121:122]
	v_fma_f64 v[107:108], v[107:108], v[115:116], v[117:118]
	v_add_f64 v[1:2], v[109:110], v[1:2]
	v_add_f64 v[3:4], v[111:112], v[3:4]
	s_waitcnt vmcnt(4)
	v_fma_f64 v[5:6], v[5:6], v[182:183], -v[119:120]
	v_fma_f64 v[7:8], v[7:8], v[182:183], v[113:114]
	v_add_f64 v[1:2], v[1:2], v[105:106]
	v_add_f64 v[3:4], v[3:4], v[107:108]
	v_add_f64 v[1:2], v[1:2], v[5:6]
	v_add_f64 v[3:4], v[3:4], v[7:8]
	s_waitcnt vmcnt(2)
	v_add_f64 v[1:2], v[123:124], -v[1:2]
	s_waitcnt vmcnt(0)
	v_add_f64 v[3:4], v[158:159], -v[3:4]
	buffer_store_dword v2, off, s[0:3], 0 offset:180
	buffer_store_dword v1, off, s[0:3], 0 offset:176
	;; [unrolled: 1-line block ×4, first 2 shown]
	v_cmpx_lt_u32_e32 9, v0
	s_cbranch_execz .LBB111_283
; %bb.282:
	v_mov_b32_e32 v4, s51
	s_clause 0x3
	buffer_load_dword v1, v4, s[0:3], 0 offen
	buffer_load_dword v2, v4, s[0:3], 0 offen offset:4
	buffer_load_dword v3, v4, s[0:3], 0 offen offset:8
	;; [unrolled: 1-line block ×3, first 2 shown]
	buffer_store_dword v157, off, s[0:3], 0 offset:160
	buffer_store_dword v157, off, s[0:3], 0 offset:164
	;; [unrolled: 1-line block ×4, first 2 shown]
	s_waitcnt vmcnt(0)
	ds_write_b128 v165, v[1:4]
.LBB111_283:
	s_or_b32 exec_lo, exec_lo, s4
	s_waitcnt lgkmcnt(0)
	s_waitcnt_vscnt null, 0x0
	s_barrier
	buffer_gl0_inv
	s_clause 0x37
	buffer_load_dword v105, off, s[0:3], 0 offset:184
	buffer_load_dword v106, off, s[0:3], 0 offset:188
	;; [unrolled: 1-line block ×56, first 2 shown]
	ds_read_b128 v[158:161], v157 offset:928
	s_clause 0x2
	buffer_load_dword v154, off, s[0:3], 0 offset:412
	buffer_load_dword v156, off, s[0:3], 0 offset:388
	;; [unrolled: 1-line block ×3, first 2 shown]
	ds_read_b128 v[166:169], v157 offset:944
	s_clause 0x4
	buffer_load_dword v175, off, s[0:3], 0 offset:428
	buffer_load_dword v176, off, s[0:3], 0 offset:440
	;; [unrolled: 1-line block ×5, first 2 shown]
	ds_read_b128 v[170:173], v157 offset:960
	s_clause 0x2
	buffer_load_dword v177, off, s[0:3], 0 offset:444
	buffer_load_dword v182, off, s[0:3], 0 offset:420
	;; [unrolled: 1-line block ×3, first 2 shown]
	s_mov_b32 s4, exec_lo
	s_waitcnt vmcnt(62) lgkmcnt(2)
	v_mul_f64 v[162:163], v[160:161], v[105:106]
	v_mul_f64 v[105:106], v[158:159], v[105:106]
	s_waitcnt lgkmcnt(1)
	v_mul_f64 v[179:180], v[168:169], v[5:6]
	s_waitcnt vmcnt(59) lgkmcnt(0)
	v_mul_f64 v[183:184], v[172:173], v[3:4]
	v_fma_f64 v[158:159], v[158:159], v[7:8], -v[162:163]
	v_mul_f64 v[162:163], v[166:167], v[5:6]
	v_fma_f64 v[105:106], v[160:161], v[7:8], v[105:106]
	s_waitcnt vmcnt(57)
	v_fma_f64 v[166:167], v[166:167], v[1:2], -v[179:180]
	ds_read_b128 v[5:8], v157 offset:976
	v_mul_f64 v[160:161], v[170:171], v[3:4]
	s_waitcnt vmcnt(51)
	v_fma_f64 v[170:171], v[170:171], v[121:122], -v[183:184]
	v_add_f64 v[158:159], v[158:159], 0
	v_fma_f64 v[162:163], v[168:169], v[1:2], v[162:163]
	v_add_f64 v[105:106], v[105:106], 0
	s_clause 0x4
	buffer_load_dword v169, off, s[0:3], 0 offset:460
	buffer_load_dword v185, off, s[0:3], 0 offset:472
	buffer_load_dword v187, off, s[0:3], 0 offset:464
	buffer_load_dword v168, off, s[0:3], 0 offset:456
	buffer_load_dword v179, off, s[0:3], 0 offset:436
	s_waitcnt lgkmcnt(0)
	v_mul_f64 v[188:189], v[5:6], v[109:110]
	v_mul_f64 v[109:110], v[7:8], v[109:110]
	ds_read_b128 v[1:4], v157 offset:992
	v_fma_f64 v[121:122], v[172:173], v[121:122], v[160:161]
	v_add_f64 v[166:167], v[158:159], v[166:167]
	v_add_f64 v[105:106], v[105:106], v[162:163]
	s_clause 0x2
	buffer_load_dword v186, off, s[0:3], 0 offset:476
	buffer_load_dword v163, off, s[0:3], 0 offset:452
	;; [unrolled: 1-line block ×3, first 2 shown]
	s_waitcnt vmcnt(58) lgkmcnt(0)
	v_mul_f64 v[172:173], v[1:2], v[113:114]
	v_mul_f64 v[113:114], v[3:4], v[113:114]
	s_waitcnt vmcnt(56)
	v_fma_f64 v[109:110], v[5:6], v[115:116], -v[109:110]
	ds_read_b128 v[158:161], v157 offset:1008
	v_fma_f64 v[115:116], v[7:8], v[115:116], v[188:189]
	v_add_f64 v[166:167], v[166:167], v[170:171]
	v_add_f64 v[105:106], v[105:106], v[121:122]
	s_clause 0x4
	buffer_load_dword v122, off, s[0:3], 0 offset:492
	buffer_load_dword v170, off, s[0:3], 0 offset:504
	;; [unrolled: 1-line block ×5, first 2 shown]
	ds_read_b128 v[5:8], v157 offset:1024
	s_waitcnt vmcnt(57) lgkmcnt(1)
	v_mul_f64 v[189:190], v[158:159], v[117:118]
	v_mul_f64 v[117:118], v[160:161], v[117:118]
	s_waitcnt vmcnt(56)
	v_fma_f64 v[113:114], v[1:2], v[107:108], -v[113:114]
	v_fma_f64 v[107:108], v[3:4], v[107:108], v[172:173]
	v_add_f64 v[109:110], v[166:167], v[109:110]
	v_add_f64 v[105:106], v[105:106], v[115:116]
	s_clause 0x2
	buffer_load_dword v171, off, s[0:3], 0 offset:508
	buffer_load_dword v116, off, s[0:3], 0 offset:484
	;; [unrolled: 1-line block ×3, first 2 shown]
	s_waitcnt vmcnt(58) lgkmcnt(0)
	v_mul_f64 v[166:167], v[5:6], v[123:124]
	v_mul_f64 v[123:124], v[7:8], v[123:124]
	s_waitcnt vmcnt(56)
	v_fma_f64 v[117:118], v[158:159], v[125:126], -v[117:118]
	ds_read_b128 v[1:4], v157 offset:1040
	v_add_f64 v[109:110], v[109:110], v[113:114]
	v_fma_f64 v[113:114], v[160:161], v[125:126], v[189:190]
	v_add_f64 v[125:126], v[105:106], v[107:108]
	s_clause 0x4
	buffer_load_dword v159, off, s[0:3], 0 offset:524
	buffer_load_dword v160, off, s[0:3], 0 offset:536
	;; [unrolled: 1-line block ×5, first 2 shown]
	ds_read_b128 v[105:108], v157 offset:1056
	s_waitcnt vmcnt(57) lgkmcnt(1)
	v_mul_f64 v[189:190], v[1:2], v[127:128]
	v_mul_f64 v[127:128], v[3:4], v[127:128]
	s_waitcnt vmcnt(56)
	v_fma_f64 v[123:124], v[5:6], v[111:112], -v[123:124]
	v_fma_f64 v[111:112], v[7:8], v[111:112], v[166:167]
	v_add_f64 v[109:110], v[109:110], v[117:118]
	s_clause 0x2
	buffer_load_dword v161, off, s[0:3], 0 offset:540
	buffer_load_dword v118, off, s[0:3], 0 offset:516
	;; [unrolled: 1-line block ×3, first 2 shown]
	v_add_f64 v[113:114], v[125:126], v[113:114]
	s_waitcnt vmcnt(58) lgkmcnt(0)
	v_mul_f64 v[125:126], v[105:106], v[131:132]
	v_mul_f64 v[131:132], v[107:108], v[131:132]
	ds_read_b128 v[5:8], v157 offset:1072
	s_waitcnt vmcnt(56)
	v_fma_f64 v[127:128], v[1:2], v[133:134], -v[127:128]
	v_add_f64 v[109:110], v[109:110], v[123:124]
	v_fma_f64 v[123:124], v[3:4], v[133:134], v[189:190]
	v_add_f64 v[111:112], v[113:114], v[111:112]
	s_clause 0x4
	buffer_load_dword v114, off, s[0:3], 0 offset:556
	buffer_load_dword v133, off, s[0:3], 0 offset:568
	;; [unrolled: 1-line block ×5, first 2 shown]
	s_waitcnt vmcnt(57) lgkmcnt(0)
	v_mul_f64 v[189:190], v[5:6], v[135:136]
	v_mul_f64 v[135:136], v[7:8], v[135:136]
	s_waitcnt vmcnt(56)
	v_fma_f64 v[131:132], v[105:106], v[119:120], -v[131:132]
	ds_read_b128 v[1:4], v157 offset:1088
	v_fma_f64 v[119:120], v[107:108], v[119:120], v[125:126]
	v_add_f64 v[109:110], v[109:110], v[127:128]
	v_add_f64 v[111:112], v[111:112], v[123:124]
	s_clause 0x2
	buffer_load_dword v134, off, s[0:3], 0 offset:572
	buffer_load_dword v124, off, s[0:3], 0 offset:548
	;; [unrolled: 1-line block ×3, first 2 shown]
	ds_read_b128 v[105:108], v157 offset:1104
	s_waitcnt vmcnt(58) lgkmcnt(1)
	v_mul_f64 v[127:128], v[3:4], v[139:140]
	s_waitcnt vmcnt(56)
	v_fma_f64 v[135:136], v[5:6], v[141:142], -v[135:136]
	v_mul_f64 v[125:126], v[1:2], v[139:140]
	v_add_f64 v[109:110], v[109:110], v[131:132]
	v_fma_f64 v[131:132], v[7:8], v[141:142], v[189:190]
	v_add_f64 v[111:112], v[111:112], v[119:120]
	s_clause 0x4
	buffer_load_dword v120, off, s[0:3], 0 offset:588
	buffer_load_dword v139, off, s[0:3], 0 offset:600
	;; [unrolled: 1-line block ×5, first 2 shown]
	s_waitcnt vmcnt(57) lgkmcnt(0)
	v_mul_f64 v[189:190], v[105:106], v[143:144]
	v_mul_f64 v[142:143], v[107:108], v[143:144]
	s_waitcnt vmcnt(56)
	v_fma_f64 v[127:128], v[1:2], v[129:130], -v[127:128]
	ds_read_b128 v[5:8], v157 offset:1120
	v_fma_f64 v[125:126], v[3:4], v[129:130], v[125:126]
	s_clause 0x2
	buffer_load_dword v140, off, s[0:3], 0 offset:604
	buffer_load_dword v130, off, s[0:3], 0 offset:580
	;; [unrolled: 1-line block ×3, first 2 shown]
	ds_read_b128 v[1:4], v157 offset:1136
	v_add_f64 v[109:110], v[109:110], v[135:136]
	v_add_f64 v[111:112], v[111:112], v[131:132]
	s_waitcnt vmcnt(58) lgkmcnt(1)
	v_mul_f64 v[135:136], v[7:8], v[147:148]
	s_waitcnt vmcnt(56)
	v_fma_f64 v[143:144], v[105:106], v[149:150], -v[142:143]
	v_mul_f64 v[131:132], v[5:6], v[147:148]
	v_add_f64 v[109:110], v[109:110], v[127:128]
	v_fma_f64 v[127:128], v[107:108], v[149:150], v[189:190]
	v_add_f64 v[111:112], v[111:112], v[125:126]
	s_clause 0x4
	buffer_load_dword v126, off, s[0:3], 0 offset:620
	buffer_load_dword v147, off, s[0:3], 0 offset:632
	;; [unrolled: 1-line block ×5, first 2 shown]
	s_waitcnt vmcnt(57) lgkmcnt(0)
	v_mul_f64 v[189:190], v[1:2], v[151:152]
	v_mul_f64 v[150:151], v[3:4], v[151:152]
	s_waitcnt vmcnt(56)
	v_fma_f64 v[135:136], v[5:6], v[137:138], -v[135:136]
	ds_read_b128 v[105:108], v157 offset:1152
	v_fma_f64 v[131:132], v[7:8], v[137:138], v[131:132]
	v_add_f64 v[109:110], v[109:110], v[143:144]
	v_add_f64 v[111:112], v[111:112], v[127:128]
	s_clause 0x2
	buffer_load_dword v148, off, s[0:3], 0 offset:636
	buffer_load_dword v128, off, s[0:3], 0 offset:612
	;; [unrolled: 1-line block ×3, first 2 shown]
	ds_read_b128 v[5:8], v157 offset:1168
	s_waitcnt vmcnt(58) lgkmcnt(1)
	v_mul_f64 v[143:144], v[107:108], v[153:154]
	s_waitcnt vmcnt(56)
	v_fma_f64 v[151:152], v[1:2], v[155:156], -v[150:151]
	v_mul_f64 v[137:138], v[105:106], v[153:154]
	v_add_f64 v[109:110], v[109:110], v[135:136]
	v_fma_f64 v[135:136], v[3:4], v[155:156], v[189:190]
	v_add_f64 v[111:112], v[111:112], v[131:132]
	s_clause 0x4
	buffer_load_dword v132, off, s[0:3], 0 offset:652
	buffer_load_dword v153, off, s[0:3], 0 offset:664
	;; [unrolled: 1-line block ×5, first 2 shown]
	s_waitcnt vmcnt(57) lgkmcnt(0)
	v_mul_f64 v[189:190], v[5:6], v[174:175]
	v_mul_f64 v[174:175], v[7:8], v[174:175]
	s_waitcnt vmcnt(56)
	v_fma_f64 v[143:144], v[105:106], v[145:146], -v[143:144]
	ds_read_b128 v[1:4], v157 offset:1184
	v_fma_f64 v[137:138], v[107:108], v[145:146], v[137:138]
	v_add_f64 v[109:110], v[109:110], v[151:152]
	v_add_f64 v[111:112], v[111:112], v[135:136]
	s_clause 0x2
	buffer_load_dword v154, off, s[0:3], 0 offset:668
	buffer_load_dword v136, off, s[0:3], 0 offset:644
	;; [unrolled: 1-line block ×3, first 2 shown]
	ds_read_b128 v[105:108], v157 offset:1200
	s_waitcnt vmcnt(58) lgkmcnt(1)
	v_mul_f64 v[151:152], v[3:4], v[176:177]
	s_waitcnt vmcnt(56)
	v_fma_f64 v[174:175], v[5:6], v[181:182], -v[174:175]
	v_mul_f64 v[145:146], v[1:2], v[176:177]
	v_add_f64 v[109:110], v[109:110], v[143:144]
	v_fma_f64 v[143:144], v[7:8], v[181:182], v[189:190]
	v_add_f64 v[111:112], v[111:112], v[137:138]
	s_clause 0x4
	buffer_load_dword v138, off, s[0:3], 0 offset:684
	buffer_load_dword v176, off, s[0:3], 0 offset:696
	;; [unrolled: 1-line block ×5, first 2 shown]
	ds_read_b128 v[5:8], v157 offset:1216
	s_waitcnt vmcnt(57) lgkmcnt(1)
	v_mul_f64 v[181:182], v[105:106], v[168:169]
	v_mul_f64 v[168:169], v[107:108], v[168:169]
	s_waitcnt vmcnt(56)
	v_fma_f64 v[151:152], v[1:2], v[178:179], -v[151:152]
	v_fma_f64 v[145:146], v[3:4], v[178:179], v[145:146]
	v_add_f64 v[109:110], v[109:110], v[174:175]
	v_add_f64 v[111:112], v[111:112], v[143:144]
	s_clause 0x2
	buffer_load_dword v177, off, s[0:3], 0 offset:700
	buffer_load_dword v144, off, s[0:3], 0 offset:676
	;; [unrolled: 1-line block ×3, first 2 shown]
	ds_read_b128 v[1:4], v157 offset:1232
	s_waitcnt vmcnt(58) lgkmcnt(1)
	v_mul_f64 v[178:179], v[7:8], v[185:186]
	v_mul_f64 v[174:175], v[5:6], v[185:186]
	s_waitcnt vmcnt(56)
	v_fma_f64 v[168:169], v[105:106], v[162:163], -v[168:169]
	v_add_f64 v[109:110], v[109:110], v[151:152]
	v_fma_f64 v[151:152], v[107:108], v[162:163], v[181:182]
	v_add_f64 v[111:112], v[111:112], v[145:146]
	s_clause 0x4
	buffer_load_dword v146, off, s[0:3], 0 offset:716
	buffer_load_dword v162, off, s[0:3], 0 offset:728
	;; [unrolled: 1-line block ×5, first 2 shown]
	ds_read_b128 v[105:108], v157 offset:1248
	s_waitcnt vmcnt(57) lgkmcnt(1)
	v_mul_f64 v[189:190], v[1:2], v[121:122]
	v_mul_f64 v[121:122], v[3:4], v[121:122]
	s_waitcnt vmcnt(56)
	v_fma_f64 v[178:179], v[5:6], v[187:188], -v[178:179]
	v_add_f64 v[109:110], v[109:110], v[168:169]
	v_fma_f64 v[168:169], v[7:8], v[187:188], v[174:175]
	v_add_f64 v[111:112], v[111:112], v[151:152]
	s_clause 0x2
	buffer_load_dword v163, off, s[0:3], 0 offset:732
	buffer_load_dword v152, off, s[0:3], 0 offset:708
	;; [unrolled: 1-line block ×3, first 2 shown]
	ds_read_b128 v[5:8], v157 offset:1264
	s_waitcnt vmcnt(58) lgkmcnt(1)
	v_mul_f64 v[174:175], v[105:106], v[170:171]
	v_mul_f64 v[170:171], v[107:108], v[170:171]
	s_waitcnt vmcnt(56)
	v_fma_f64 v[121:122], v[1:2], v[115:116], -v[121:122]
	v_fma_f64 v[115:116], v[3:4], v[115:116], v[189:190]
	v_add_f64 v[109:110], v[109:110], v[178:179]
	v_add_f64 v[111:112], v[111:112], v[168:169]
	s_clause 0x4
	buffer_load_dword v169, off, s[0:3], 0 offset:748
	buffer_load_dword v178, off, s[0:3], 0 offset:760
	;; [unrolled: 1-line block ×5, first 2 shown]
	ds_read_b128 v[1:4], v157 offset:1280
	s_waitcnt vmcnt(57) lgkmcnt(1)
	v_mul_f64 v[187:188], v[5:6], v[158:159]
	v_mul_f64 v[158:159], v[7:8], v[158:159]
	s_waitcnt vmcnt(56)
	v_fma_f64 v[170:171], v[105:106], v[183:184], -v[170:171]
	v_add_f64 v[109:110], v[109:110], v[121:122]
	v_fma_f64 v[121:122], v[107:108], v[183:184], v[174:175]
	v_add_f64 v[111:112], v[111:112], v[115:116]
	s_clause 0x2
	buffer_load_dword v179, off, s[0:3], 0 offset:764
	buffer_load_dword v116, off, s[0:3], 0 offset:740
	;; [unrolled: 1-line block ×3, first 2 shown]
	ds_read_b128 v[105:108], v157 offset:1296
	s_waitcnt vmcnt(58) lgkmcnt(1)
	v_mul_f64 v[174:175], v[1:2], v[160:161]
	v_mul_f64 v[160:161], v[3:4], v[160:161]
	s_waitcnt vmcnt(56)
	v_fma_f64 v[158:159], v[5:6], v[117:118], -v[158:159]
	v_fma_f64 v[117:118], v[7:8], v[117:118], v[187:188]
	v_add_f64 v[109:110], v[109:110], v[170:171]
	v_add_f64 v[111:112], v[111:112], v[121:122]
	s_clause 0x2
	buffer_load_dword v122, off, s[0:3], 0 offset:780
	buffer_load_dword v121, off, s[0:3], 0 offset:776
	;; [unrolled: 1-line block ×3, first 2 shown]
	ds_read_b128 v[5:8], v157 offset:1312
	s_waitcnt vmcnt(55) lgkmcnt(1)
	v_mul_f64 v[170:171], v[105:106], v[113:114]
	v_mul_f64 v[113:114], v[107:108], v[113:114]
	s_waitcnt vmcnt(54)
	v_fma_f64 v[160:161], v[1:2], v[172:173], -v[160:161]
	v_add_f64 v[109:110], v[109:110], v[158:159]
	v_fma_f64 v[158:159], v[3:4], v[172:173], v[174:175]
	v_add_f64 v[111:112], v[111:112], v[117:118]
	s_clause 0x1
	buffer_load_dword v118, off, s[0:3], 0 offset:772
	buffer_load_dword v117, off, s[0:3], 0 offset:768
	ds_read_b128 v[1:4], v157 offset:1328
	s_waitcnt vmcnt(55) lgkmcnt(1)
	v_mul_f64 v[172:173], v[5:6], v[133:134]
	v_mul_f64 v[133:134], v[7:8], v[133:134]
	s_waitcnt vmcnt(53)
	v_fma_f64 v[113:114], v[105:106], v[123:124], -v[113:114]
	v_fma_f64 v[123:124], v[107:108], v[123:124], v[170:171]
	ds_read_b128 v[105:108], v157 offset:1344
	v_add_f64 v[109:110], v[109:110], v[160:161]
	v_add_f64 v[111:112], v[111:112], v[158:159]
	s_waitcnt vmcnt(49) lgkmcnt(1)
	v_mul_f64 v[158:159], v[1:2], v[119:120]
	v_mul_f64 v[119:120], v[3:4], v[119:120]
	s_waitcnt vmcnt(48)
	v_fma_f64 v[133:134], v[5:6], v[166:167], -v[133:134]
	v_add_f64 v[109:110], v[109:110], v[113:114]
	v_fma_f64 v[113:114], v[7:8], v[166:167], v[172:173]
	v_add_f64 v[111:112], v[111:112], v[123:124]
	s_clause 0x3
	buffer_load_dword v123, off, s[0:3], 0 offset:160
	buffer_load_dword v124, off, s[0:3], 0 offset:164
	;; [unrolled: 1-line block ×4, first 2 shown]
	s_waitcnt vmcnt(51) lgkmcnt(0)
	v_mul_f64 v[166:167], v[105:106], v[139:140]
	v_mul_f64 v[139:140], v[107:108], v[139:140]
	ds_read_b128 v[5:8], v157 offset:1360
	s_waitcnt vmcnt(49)
	v_fma_f64 v[119:120], v[1:2], v[129:130], -v[119:120]
	v_fma_f64 v[129:130], v[3:4], v[129:130], v[158:159]
	ds_read_b128 v[1:4], v157 offset:1376
	v_add_f64 v[109:110], v[109:110], v[133:134]
	v_add_f64 v[111:112], v[111:112], v[113:114]
	s_waitcnt vmcnt(45) lgkmcnt(1)
	v_mul_f64 v[113:114], v[5:6], v[125:126]
	v_mul_f64 v[125:126], v[7:8], v[125:126]
	s_waitcnt vmcnt(44)
	v_fma_f64 v[133:134], v[105:106], v[141:142], -v[139:140]
	v_add_f64 v[109:110], v[109:110], v[119:120]
	v_fma_f64 v[119:120], v[107:108], v[141:142], v[166:167]
	v_add_f64 v[111:112], v[111:112], v[129:130]
	ds_read_b128 v[105:108], v157 offset:1392
	s_waitcnt vmcnt(43) lgkmcnt(1)
	v_mul_f64 v[139:140], v[3:4], v[147:148]
	v_mul_f64 v[129:130], v[1:2], v[147:148]
	s_waitcnt vmcnt(41)
	v_fma_f64 v[125:126], v[5:6], v[127:128], -v[125:126]
	v_fma_f64 v[113:114], v[7:8], v[127:128], v[113:114]
	ds_read_b128 v[5:8], v157 offset:1408
	v_add_f64 v[109:110], v[109:110], v[133:134]
	v_add_f64 v[111:112], v[111:112], v[119:120]
	s_waitcnt vmcnt(37) lgkmcnt(1)
	v_mul_f64 v[119:120], v[105:106], v[131:132]
	v_mul_f64 v[127:128], v[107:108], v[131:132]
	s_waitcnt vmcnt(36)
	v_fma_f64 v[131:132], v[1:2], v[149:150], -v[139:140]
	v_add_f64 v[109:110], v[109:110], v[125:126]
	v_fma_f64 v[125:126], v[3:4], v[149:150], v[129:130]
	v_add_f64 v[111:112], v[111:112], v[113:114]
	ds_read_b128 v[1:4], v157 offset:1424
	s_waitcnt vmcnt(35) lgkmcnt(1)
	v_mul_f64 v[129:130], v[7:8], v[153:154]
	v_mul_f64 v[113:114], v[5:6], v[153:154]
	s_waitcnt vmcnt(33)
	v_fma_f64 v[127:128], v[105:106], v[135:136], -v[127:128]
	v_fma_f64 v[119:120], v[107:108], v[135:136], v[119:120]
	ds_read_b128 v[105:108], v157 offset:1440
	v_add_f64 v[109:110], v[109:110], v[131:132]
	v_add_f64 v[111:112], v[111:112], v[125:126]
	s_waitcnt vmcnt(29) lgkmcnt(1)
	v_mul_f64 v[131:132], v[3:4], v[137:138]
	s_waitcnt vmcnt(28)
	v_fma_f64 v[129:130], v[5:6], v[155:156], -v[129:130]
	v_mul_f64 v[125:126], v[1:2], v[137:138]
	v_fma_f64 v[113:114], v[7:8], v[155:156], v[113:114]
	ds_read_b128 v[5:8], v157 offset:1456
	v_add_f64 v[109:110], v[109:110], v[127:128]
	v_add_f64 v[111:112], v[111:112], v[119:120]
	s_waitcnt vmcnt(27) lgkmcnt(1)
	v_mul_f64 v[127:128], v[107:108], v[176:177]
	v_mul_f64 v[119:120], v[105:106], v[176:177]
	s_waitcnt vmcnt(25)
	v_fma_f64 v[131:132], v[1:2], v[143:144], -v[131:132]
	v_fma_f64 v[125:126], v[3:4], v[143:144], v[125:126]
	ds_read_b128 v[1:4], v157 offset:1472
	v_add_f64 v[109:110], v[109:110], v[129:130]
	v_add_f64 v[111:112], v[111:112], v[113:114]
	s_waitcnt vmcnt(21) lgkmcnt(1)
	v_mul_f64 v[129:130], v[7:8], v[145:146]
	s_waitcnt vmcnt(20)
	v_fma_f64 v[127:128], v[105:106], v[180:181], -v[127:128]
	v_mul_f64 v[113:114], v[5:6], v[145:146]
	v_fma_f64 v[119:120], v[107:108], v[180:181], v[119:120]
	ds_read_b128 v[105:108], v157 offset:1488
	v_add_f64 v[109:110], v[109:110], v[131:132]
	v_add_f64 v[111:112], v[111:112], v[125:126]
	;; [unrolled: 18-line block ×3, first 2 shown]
	s_waitcnt vmcnt(11) lgkmcnt(1)
	v_mul_f64 v[129:130], v[7:8], v[178:179]
	v_mul_f64 v[113:114], v[5:6], v[178:179]
	s_waitcnt vmcnt(9)
	v_fma_f64 v[105:106], v[105:106], v[115:116], -v[127:128]
	v_fma_f64 v[107:108], v[107:108], v[115:116], v[119:120]
	v_add_f64 v[109:110], v[109:110], v[131:132]
	v_add_f64 v[111:112], v[111:112], v[125:126]
	s_waitcnt vmcnt(7) lgkmcnt(0)
	v_mul_f64 v[119:120], v[3:4], v[121:122]
	s_waitcnt vmcnt(6)
	v_fma_f64 v[5:6], v[5:6], v[182:183], -v[129:130]
	v_mul_f64 v[115:116], v[1:2], v[121:122]
	v_fma_f64 v[7:8], v[7:8], v[182:183], v[113:114]
	v_add_f64 v[105:106], v[109:110], v[105:106]
	v_add_f64 v[107:108], v[111:112], v[107:108]
	s_waitcnt vmcnt(4)
	v_fma_f64 v[1:2], v[1:2], v[117:118], -v[119:120]
	v_fma_f64 v[3:4], v[3:4], v[117:118], v[115:116]
	v_add_f64 v[5:6], v[105:106], v[5:6]
	v_add_f64 v[7:8], v[107:108], v[7:8]
	;; [unrolled: 1-line block ×4, first 2 shown]
	s_waitcnt vmcnt(2)
	v_add_f64 v[1:2], v[123:124], -v[1:2]
	s_waitcnt vmcnt(0)
	v_add_f64 v[3:4], v[160:161], -v[3:4]
	buffer_store_dword v2, off, s[0:3], 0 offset:164
	buffer_store_dword v1, off, s[0:3], 0 offset:160
	;; [unrolled: 1-line block ×4, first 2 shown]
	v_cmpx_lt_u32_e32 8, v0
	s_cbranch_execz .LBB111_285
; %bb.284:
	v_mov_b32_e32 v4, s52
	v_mov_b32_e32 v5, 0
	s_clause 0x3
	buffer_load_dword v1, v4, s[0:3], 0 offen
	buffer_load_dword v2, v4, s[0:3], 0 offen offset:4
	buffer_load_dword v3, v4, s[0:3], 0 offen offset:8
	;; [unrolled: 1-line block ×3, first 2 shown]
	buffer_store_dword v5, off, s[0:3], 0 offset:144
	buffer_store_dword v5, off, s[0:3], 0 offset:148
	;; [unrolled: 1-line block ×4, first 2 shown]
	s_waitcnt vmcnt(0)
	ds_write_b128 v165, v[1:4]
.LBB111_285:
	s_or_b32 exec_lo, exec_lo, s4
	s_waitcnt lgkmcnt(0)
	s_waitcnt_vscnt null, 0x0
	s_barrier
	buffer_gl0_inv
	s_clause 0x37
	buffer_load_dword v105, off, s[0:3], 0 offset:168
	buffer_load_dword v106, off, s[0:3], 0 offset:172
	;; [unrolled: 1-line block ×56, first 2 shown]
	v_mov_b32_e32 v157, 0
	s_mov_b32 s4, exec_lo
	ds_read_b128 v[158:161], v157 offset:912
	s_clause 0x2
	buffer_load_dword v154, off, s[0:3], 0 offset:396
	buffer_load_dword v156, off, s[0:3], 0 offset:372
	;; [unrolled: 1-line block ×3, first 2 shown]
	ds_read_b128 v[166:169], v157 offset:928
	s_clause 0x4
	buffer_load_dword v175, off, s[0:3], 0 offset:412
	buffer_load_dword v176, off, s[0:3], 0 offset:424
	;; [unrolled: 1-line block ×5, first 2 shown]
	ds_read_b128 v[170:173], v157 offset:944
	s_clause 0x2
	buffer_load_dword v177, off, s[0:3], 0 offset:428
	buffer_load_dword v182, off, s[0:3], 0 offset:404
	;; [unrolled: 1-line block ×3, first 2 shown]
	s_waitcnt vmcnt(62) lgkmcnt(2)
	v_mul_f64 v[162:163], v[160:161], v[105:106]
	v_mul_f64 v[105:106], v[158:159], v[105:106]
	s_waitcnt lgkmcnt(1)
	v_mul_f64 v[179:180], v[168:169], v[5:6]
	s_waitcnt vmcnt(59) lgkmcnt(0)
	v_mul_f64 v[183:184], v[172:173], v[3:4]
	v_fma_f64 v[158:159], v[158:159], v[7:8], -v[162:163]
	v_mul_f64 v[162:163], v[166:167], v[5:6]
	v_fma_f64 v[105:106], v[160:161], v[7:8], v[105:106]
	s_waitcnt vmcnt(57)
	v_fma_f64 v[166:167], v[166:167], v[1:2], -v[179:180]
	ds_read_b128 v[5:8], v157 offset:960
	v_mul_f64 v[160:161], v[170:171], v[3:4]
	s_waitcnt vmcnt(51)
	v_fma_f64 v[170:171], v[170:171], v[121:122], -v[183:184]
	v_add_f64 v[158:159], v[158:159], 0
	v_fma_f64 v[162:163], v[168:169], v[1:2], v[162:163]
	v_add_f64 v[105:106], v[105:106], 0
	s_clause 0x4
	buffer_load_dword v169, off, s[0:3], 0 offset:444
	buffer_load_dword v185, off, s[0:3], 0 offset:456
	;; [unrolled: 1-line block ×5, first 2 shown]
	s_waitcnt lgkmcnt(0)
	v_mul_f64 v[188:189], v[5:6], v[109:110]
	v_mul_f64 v[109:110], v[7:8], v[109:110]
	ds_read_b128 v[1:4], v157 offset:976
	v_fma_f64 v[121:122], v[172:173], v[121:122], v[160:161]
	v_add_f64 v[166:167], v[158:159], v[166:167]
	v_add_f64 v[105:106], v[105:106], v[162:163]
	s_clause 0x2
	buffer_load_dword v186, off, s[0:3], 0 offset:460
	buffer_load_dword v163, off, s[0:3], 0 offset:436
	;; [unrolled: 1-line block ×3, first 2 shown]
	s_waitcnt vmcnt(58) lgkmcnt(0)
	v_mul_f64 v[172:173], v[1:2], v[113:114]
	v_mul_f64 v[113:114], v[3:4], v[113:114]
	s_waitcnt vmcnt(56)
	v_fma_f64 v[109:110], v[5:6], v[115:116], -v[109:110]
	ds_read_b128 v[158:161], v157 offset:992
	v_fma_f64 v[115:116], v[7:8], v[115:116], v[188:189]
	v_add_f64 v[166:167], v[166:167], v[170:171]
	v_add_f64 v[105:106], v[105:106], v[121:122]
	s_clause 0x4
	buffer_load_dword v122, off, s[0:3], 0 offset:476
	buffer_load_dword v170, off, s[0:3], 0 offset:488
	;; [unrolled: 1-line block ×5, first 2 shown]
	ds_read_b128 v[5:8], v157 offset:1008
	s_waitcnt vmcnt(57) lgkmcnt(1)
	v_mul_f64 v[189:190], v[158:159], v[117:118]
	v_mul_f64 v[117:118], v[160:161], v[117:118]
	s_waitcnt vmcnt(56)
	v_fma_f64 v[113:114], v[1:2], v[107:108], -v[113:114]
	v_fma_f64 v[107:108], v[3:4], v[107:108], v[172:173]
	v_add_f64 v[109:110], v[166:167], v[109:110]
	v_add_f64 v[105:106], v[105:106], v[115:116]
	s_clause 0x2
	buffer_load_dword v171, off, s[0:3], 0 offset:492
	buffer_load_dword v116, off, s[0:3], 0 offset:468
	;; [unrolled: 1-line block ×3, first 2 shown]
	s_waitcnt vmcnt(58) lgkmcnt(0)
	v_mul_f64 v[166:167], v[5:6], v[123:124]
	v_mul_f64 v[123:124], v[7:8], v[123:124]
	s_waitcnt vmcnt(56)
	v_fma_f64 v[117:118], v[158:159], v[125:126], -v[117:118]
	ds_read_b128 v[1:4], v157 offset:1024
	v_add_f64 v[109:110], v[109:110], v[113:114]
	v_fma_f64 v[113:114], v[160:161], v[125:126], v[189:190]
	v_add_f64 v[125:126], v[105:106], v[107:108]
	s_clause 0x4
	buffer_load_dword v159, off, s[0:3], 0 offset:508
	buffer_load_dword v160, off, s[0:3], 0 offset:520
	buffer_load_dword v172, off, s[0:3], 0 offset:512
	buffer_load_dword v158, off, s[0:3], 0 offset:504
	buffer_load_dword v184, off, s[0:3], 0 offset:484
	ds_read_b128 v[105:108], v157 offset:1040
	s_waitcnt vmcnt(57) lgkmcnt(1)
	v_mul_f64 v[189:190], v[1:2], v[127:128]
	v_mul_f64 v[127:128], v[3:4], v[127:128]
	s_waitcnt vmcnt(56)
	v_fma_f64 v[123:124], v[5:6], v[111:112], -v[123:124]
	v_fma_f64 v[111:112], v[7:8], v[111:112], v[166:167]
	v_add_f64 v[109:110], v[109:110], v[117:118]
	s_clause 0x2
	buffer_load_dword v161, off, s[0:3], 0 offset:524
	buffer_load_dword v118, off, s[0:3], 0 offset:500
	;; [unrolled: 1-line block ×3, first 2 shown]
	v_add_f64 v[113:114], v[125:126], v[113:114]
	s_waitcnt vmcnt(58) lgkmcnt(0)
	v_mul_f64 v[125:126], v[105:106], v[131:132]
	v_mul_f64 v[131:132], v[107:108], v[131:132]
	ds_read_b128 v[5:8], v157 offset:1056
	s_waitcnt vmcnt(56)
	v_fma_f64 v[127:128], v[1:2], v[133:134], -v[127:128]
	v_add_f64 v[109:110], v[109:110], v[123:124]
	v_fma_f64 v[123:124], v[3:4], v[133:134], v[189:190]
	v_add_f64 v[111:112], v[113:114], v[111:112]
	s_clause 0x4
	buffer_load_dword v114, off, s[0:3], 0 offset:540
	buffer_load_dword v133, off, s[0:3], 0 offset:552
	;; [unrolled: 1-line block ×5, first 2 shown]
	s_waitcnt vmcnt(57) lgkmcnt(0)
	v_mul_f64 v[189:190], v[5:6], v[135:136]
	v_mul_f64 v[135:136], v[7:8], v[135:136]
	s_waitcnt vmcnt(56)
	v_fma_f64 v[131:132], v[105:106], v[119:120], -v[131:132]
	ds_read_b128 v[1:4], v157 offset:1072
	v_fma_f64 v[119:120], v[107:108], v[119:120], v[125:126]
	v_add_f64 v[109:110], v[109:110], v[127:128]
	v_add_f64 v[111:112], v[111:112], v[123:124]
	s_clause 0x2
	buffer_load_dword v134, off, s[0:3], 0 offset:556
	buffer_load_dword v124, off, s[0:3], 0 offset:532
	;; [unrolled: 1-line block ×3, first 2 shown]
	ds_read_b128 v[105:108], v157 offset:1088
	s_waitcnt vmcnt(58) lgkmcnt(1)
	v_mul_f64 v[127:128], v[3:4], v[139:140]
	s_waitcnt vmcnt(56)
	v_fma_f64 v[135:136], v[5:6], v[141:142], -v[135:136]
	v_mul_f64 v[125:126], v[1:2], v[139:140]
	v_add_f64 v[109:110], v[109:110], v[131:132]
	v_fma_f64 v[131:132], v[7:8], v[141:142], v[189:190]
	v_add_f64 v[111:112], v[111:112], v[119:120]
	s_clause 0x4
	buffer_load_dword v120, off, s[0:3], 0 offset:572
	buffer_load_dword v139, off, s[0:3], 0 offset:584
	;; [unrolled: 1-line block ×5, first 2 shown]
	s_waitcnt vmcnt(57) lgkmcnt(0)
	v_mul_f64 v[189:190], v[105:106], v[143:144]
	v_mul_f64 v[142:143], v[107:108], v[143:144]
	s_waitcnt vmcnt(56)
	v_fma_f64 v[127:128], v[1:2], v[129:130], -v[127:128]
	ds_read_b128 v[5:8], v157 offset:1104
	v_fma_f64 v[125:126], v[3:4], v[129:130], v[125:126]
	s_clause 0x2
	buffer_load_dword v140, off, s[0:3], 0 offset:588
	buffer_load_dword v130, off, s[0:3], 0 offset:564
	;; [unrolled: 1-line block ×3, first 2 shown]
	ds_read_b128 v[1:4], v157 offset:1120
	v_add_f64 v[109:110], v[109:110], v[135:136]
	v_add_f64 v[111:112], v[111:112], v[131:132]
	s_waitcnt vmcnt(58) lgkmcnt(1)
	v_mul_f64 v[135:136], v[7:8], v[147:148]
	s_waitcnt vmcnt(56)
	v_fma_f64 v[143:144], v[105:106], v[149:150], -v[142:143]
	v_mul_f64 v[131:132], v[5:6], v[147:148]
	v_add_f64 v[109:110], v[109:110], v[127:128]
	v_fma_f64 v[127:128], v[107:108], v[149:150], v[189:190]
	v_add_f64 v[111:112], v[111:112], v[125:126]
	s_clause 0x4
	buffer_load_dword v126, off, s[0:3], 0 offset:604
	buffer_load_dword v147, off, s[0:3], 0 offset:616
	;; [unrolled: 1-line block ×5, first 2 shown]
	s_waitcnt vmcnt(57) lgkmcnt(0)
	v_mul_f64 v[189:190], v[1:2], v[151:152]
	v_mul_f64 v[150:151], v[3:4], v[151:152]
	s_waitcnt vmcnt(56)
	v_fma_f64 v[135:136], v[5:6], v[137:138], -v[135:136]
	ds_read_b128 v[105:108], v157 offset:1136
	v_fma_f64 v[131:132], v[7:8], v[137:138], v[131:132]
	v_add_f64 v[109:110], v[109:110], v[143:144]
	v_add_f64 v[111:112], v[111:112], v[127:128]
	s_clause 0x2
	buffer_load_dword v148, off, s[0:3], 0 offset:620
	buffer_load_dword v128, off, s[0:3], 0 offset:596
	buffer_load_dword v127, off, s[0:3], 0 offset:592
	ds_read_b128 v[5:8], v157 offset:1152
	s_waitcnt vmcnt(58) lgkmcnt(1)
	v_mul_f64 v[143:144], v[107:108], v[153:154]
	s_waitcnt vmcnt(56)
	v_fma_f64 v[151:152], v[1:2], v[155:156], -v[150:151]
	v_mul_f64 v[137:138], v[105:106], v[153:154]
	v_add_f64 v[109:110], v[109:110], v[135:136]
	v_fma_f64 v[135:136], v[3:4], v[155:156], v[189:190]
	v_add_f64 v[111:112], v[111:112], v[131:132]
	s_clause 0x4
	buffer_load_dword v132, off, s[0:3], 0 offset:636
	buffer_load_dword v153, off, s[0:3], 0 offset:648
	;; [unrolled: 1-line block ×5, first 2 shown]
	s_waitcnt vmcnt(57) lgkmcnt(0)
	v_mul_f64 v[189:190], v[5:6], v[174:175]
	v_mul_f64 v[174:175], v[7:8], v[174:175]
	s_waitcnt vmcnt(56)
	v_fma_f64 v[143:144], v[105:106], v[145:146], -v[143:144]
	ds_read_b128 v[1:4], v157 offset:1168
	v_fma_f64 v[137:138], v[107:108], v[145:146], v[137:138]
	v_add_f64 v[109:110], v[109:110], v[151:152]
	v_add_f64 v[111:112], v[111:112], v[135:136]
	s_clause 0x2
	buffer_load_dword v154, off, s[0:3], 0 offset:652
	buffer_load_dword v136, off, s[0:3], 0 offset:628
	;; [unrolled: 1-line block ×3, first 2 shown]
	ds_read_b128 v[105:108], v157 offset:1184
	s_waitcnt vmcnt(58) lgkmcnt(1)
	v_mul_f64 v[151:152], v[3:4], v[176:177]
	s_waitcnt vmcnt(56)
	v_fma_f64 v[174:175], v[5:6], v[181:182], -v[174:175]
	v_mul_f64 v[145:146], v[1:2], v[176:177]
	v_add_f64 v[109:110], v[109:110], v[143:144]
	v_fma_f64 v[143:144], v[7:8], v[181:182], v[189:190]
	v_add_f64 v[111:112], v[111:112], v[137:138]
	s_clause 0x4
	buffer_load_dword v138, off, s[0:3], 0 offset:668
	buffer_load_dword v176, off, s[0:3], 0 offset:680
	;; [unrolled: 1-line block ×5, first 2 shown]
	ds_read_b128 v[5:8], v157 offset:1200
	s_waitcnt vmcnt(57) lgkmcnt(1)
	v_mul_f64 v[181:182], v[105:106], v[168:169]
	v_mul_f64 v[168:169], v[107:108], v[168:169]
	s_waitcnt vmcnt(56)
	v_fma_f64 v[151:152], v[1:2], v[178:179], -v[151:152]
	v_fma_f64 v[145:146], v[3:4], v[178:179], v[145:146]
	v_add_f64 v[109:110], v[109:110], v[174:175]
	v_add_f64 v[111:112], v[111:112], v[143:144]
	s_clause 0x2
	buffer_load_dword v177, off, s[0:3], 0 offset:684
	buffer_load_dword v144, off, s[0:3], 0 offset:660
	;; [unrolled: 1-line block ×3, first 2 shown]
	ds_read_b128 v[1:4], v157 offset:1216
	s_waitcnt vmcnt(58) lgkmcnt(1)
	v_mul_f64 v[178:179], v[7:8], v[185:186]
	v_mul_f64 v[174:175], v[5:6], v[185:186]
	s_waitcnt vmcnt(56)
	v_fma_f64 v[168:169], v[105:106], v[162:163], -v[168:169]
	v_add_f64 v[109:110], v[109:110], v[151:152]
	v_fma_f64 v[151:152], v[107:108], v[162:163], v[181:182]
	v_add_f64 v[111:112], v[111:112], v[145:146]
	s_clause 0x4
	buffer_load_dword v146, off, s[0:3], 0 offset:700
	buffer_load_dword v162, off, s[0:3], 0 offset:712
	;; [unrolled: 1-line block ×5, first 2 shown]
	ds_read_b128 v[105:108], v157 offset:1232
	s_waitcnt vmcnt(57) lgkmcnt(1)
	v_mul_f64 v[189:190], v[1:2], v[121:122]
	v_mul_f64 v[121:122], v[3:4], v[121:122]
	s_waitcnt vmcnt(56)
	v_fma_f64 v[178:179], v[5:6], v[187:188], -v[178:179]
	v_add_f64 v[109:110], v[109:110], v[168:169]
	v_fma_f64 v[168:169], v[7:8], v[187:188], v[174:175]
	v_add_f64 v[111:112], v[111:112], v[151:152]
	s_clause 0x2
	buffer_load_dword v163, off, s[0:3], 0 offset:716
	buffer_load_dword v152, off, s[0:3], 0 offset:692
	;; [unrolled: 1-line block ×3, first 2 shown]
	ds_read_b128 v[5:8], v157 offset:1248
	s_waitcnt vmcnt(58) lgkmcnt(1)
	v_mul_f64 v[174:175], v[105:106], v[170:171]
	v_mul_f64 v[170:171], v[107:108], v[170:171]
	s_waitcnt vmcnt(56)
	v_fma_f64 v[121:122], v[1:2], v[115:116], -v[121:122]
	v_fma_f64 v[115:116], v[3:4], v[115:116], v[189:190]
	v_add_f64 v[109:110], v[109:110], v[178:179]
	v_add_f64 v[111:112], v[111:112], v[168:169]
	s_clause 0x4
	buffer_load_dword v169, off, s[0:3], 0 offset:732
	buffer_load_dword v178, off, s[0:3], 0 offset:744
	;; [unrolled: 1-line block ×5, first 2 shown]
	ds_read_b128 v[1:4], v157 offset:1264
	s_waitcnt vmcnt(57) lgkmcnt(1)
	v_mul_f64 v[187:188], v[5:6], v[158:159]
	v_mul_f64 v[158:159], v[7:8], v[158:159]
	s_waitcnt vmcnt(56)
	v_fma_f64 v[170:171], v[105:106], v[183:184], -v[170:171]
	v_add_f64 v[109:110], v[109:110], v[121:122]
	v_fma_f64 v[121:122], v[107:108], v[183:184], v[174:175]
	v_add_f64 v[111:112], v[111:112], v[115:116]
	s_clause 0x2
	buffer_load_dword v179, off, s[0:3], 0 offset:748
	buffer_load_dword v116, off, s[0:3], 0 offset:724
	;; [unrolled: 1-line block ×3, first 2 shown]
	ds_read_b128 v[105:108], v157 offset:1280
	s_waitcnt vmcnt(58) lgkmcnt(1)
	v_mul_f64 v[174:175], v[1:2], v[160:161]
	v_mul_f64 v[160:161], v[3:4], v[160:161]
	s_waitcnt vmcnt(56)
	v_fma_f64 v[158:159], v[5:6], v[117:118], -v[158:159]
	v_fma_f64 v[117:118], v[7:8], v[117:118], v[187:188]
	v_add_f64 v[109:110], v[109:110], v[170:171]
	v_add_f64 v[111:112], v[111:112], v[121:122]
	s_clause 0x4
	buffer_load_dword v122, off, s[0:3], 0 offset:764
	buffer_load_dword v170, off, s[0:3], 0 offset:776
	;; [unrolled: 1-line block ×5, first 2 shown]
	ds_read_b128 v[5:8], v157 offset:1296
	s_waitcnt vmcnt(57) lgkmcnt(1)
	v_mul_f64 v[188:189], v[105:106], v[113:114]
	v_mul_f64 v[113:114], v[107:108], v[113:114]
	s_waitcnt vmcnt(56)
	v_fma_f64 v[160:161], v[1:2], v[172:173], -v[160:161]
	v_add_f64 v[109:110], v[109:110], v[158:159]
	v_fma_f64 v[158:159], v[3:4], v[172:173], v[174:175]
	v_add_f64 v[111:112], v[111:112], v[117:118]
	s_clause 0x2
	buffer_load_dword v171, off, s[0:3], 0 offset:780
	buffer_load_dword v118, off, s[0:3], 0 offset:756
	;; [unrolled: 1-line block ×3, first 2 shown]
	ds_read_b128 v[1:4], v157 offset:1312
	s_waitcnt vmcnt(58) lgkmcnt(1)
	v_mul_f64 v[172:173], v[5:6], v[133:134]
	v_mul_f64 v[133:134], v[7:8], v[133:134]
	s_waitcnt vmcnt(56)
	v_fma_f64 v[113:114], v[105:106], v[123:124], -v[113:114]
	v_fma_f64 v[123:124], v[107:108], v[123:124], v[188:189]
	buffer_load_dword v188, off, s[0:3], 0 offset:772
	ds_read_b128 v[105:108], v157 offset:1328
	v_add_f64 v[109:110], v[109:110], v[160:161]
	v_add_f64 v[111:112], v[111:112], v[158:159]
	s_waitcnt vmcnt(53) lgkmcnt(1)
	v_mul_f64 v[158:159], v[1:2], v[119:120]
	v_mul_f64 v[119:120], v[3:4], v[119:120]
	s_waitcnt vmcnt(52)
	v_fma_f64 v[133:134], v[5:6], v[166:167], -v[133:134]
	v_add_f64 v[109:110], v[109:110], v[113:114]
	v_fma_f64 v[113:114], v[7:8], v[166:167], v[172:173]
	v_add_f64 v[111:112], v[111:112], v[123:124]
	s_waitcnt vmcnt(51) lgkmcnt(0)
	v_mul_f64 v[123:124], v[105:106], v[139:140]
	v_mul_f64 v[139:140], v[107:108], v[139:140]
	ds_read_b128 v[5:8], v157 offset:1344
	s_waitcnt vmcnt(49)
	v_fma_f64 v[119:120], v[1:2], v[129:130], -v[119:120]
	v_fma_f64 v[129:130], v[3:4], v[129:130], v[158:159]
	v_add_f64 v[109:110], v[109:110], v[133:134]
	v_add_f64 v[111:112], v[111:112], v[113:114]
	s_clause 0x3
	buffer_load_dword v113, off, s[0:3], 0 offset:144
	buffer_load_dword v114, off, s[0:3], 0 offset:148
	;; [unrolled: 1-line block ×4, first 2 shown]
	ds_read_b128 v[1:4], v157 offset:1360
	s_waitcnt vmcnt(49) lgkmcnt(1)
	v_mul_f64 v[158:159], v[5:6], v[125:126]
	v_mul_f64 v[125:126], v[7:8], v[125:126]
	s_waitcnt vmcnt(48)
	v_fma_f64 v[139:140], v[105:106], v[141:142], -v[139:140]
	v_add_f64 v[109:110], v[109:110], v[119:120]
	v_fma_f64 v[119:120], v[107:108], v[141:142], v[123:124]
	v_add_f64 v[111:112], v[111:112], v[129:130]
	ds_read_b128 v[105:108], v157 offset:1376
	s_waitcnt vmcnt(47) lgkmcnt(1)
	v_mul_f64 v[129:130], v[3:4], v[147:148]
	v_mul_f64 v[123:124], v[1:2], v[147:148]
	s_waitcnt vmcnt(45)
	v_fma_f64 v[125:126], v[5:6], v[127:128], -v[125:126]
	v_fma_f64 v[127:128], v[7:8], v[127:128], v[158:159]
	ds_read_b128 v[5:8], v157 offset:1392
	v_add_f64 v[109:110], v[109:110], v[139:140]
	v_add_f64 v[111:112], v[111:112], v[119:120]
	s_waitcnt vmcnt(41) lgkmcnt(1)
	v_mul_f64 v[119:120], v[105:106], v[131:132]
	v_mul_f64 v[131:132], v[107:108], v[131:132]
	s_waitcnt vmcnt(40)
	v_fma_f64 v[129:130], v[1:2], v[149:150], -v[129:130]
	v_fma_f64 v[123:124], v[3:4], v[149:150], v[123:124]
	ds_read_b128 v[1:4], v157 offset:1408
	v_add_f64 v[109:110], v[109:110], v[125:126]
	v_add_f64 v[111:112], v[111:112], v[127:128]
	;; [unrolled: 9-line block ×3, first 2 shown]
	s_waitcnt vmcnt(33) lgkmcnt(1)
	v_mul_f64 v[129:130], v[3:4], v[137:138]
	s_waitcnt vmcnt(32)
	v_fma_f64 v[127:128], v[5:6], v[155:156], -v[127:128]
	v_mul_f64 v[123:124], v[1:2], v[137:138]
	v_fma_f64 v[125:126], v[7:8], v[155:156], v[125:126]
	ds_read_b128 v[5:8], v157 offset:1440
	v_add_f64 v[109:110], v[109:110], v[131:132]
	v_add_f64 v[111:112], v[111:112], v[119:120]
	s_waitcnt vmcnt(31) lgkmcnt(1)
	v_mul_f64 v[131:132], v[107:108], v[176:177]
	v_mul_f64 v[119:120], v[105:106], v[176:177]
	s_waitcnt vmcnt(29)
	v_fma_f64 v[129:130], v[1:2], v[143:144], -v[129:130]
	v_fma_f64 v[123:124], v[3:4], v[143:144], v[123:124]
	ds_read_b128 v[1:4], v157 offset:1456
	v_add_f64 v[109:110], v[109:110], v[127:128]
	v_add_f64 v[111:112], v[111:112], v[125:126]
	s_waitcnt vmcnt(25) lgkmcnt(1)
	v_mul_f64 v[127:128], v[7:8], v[145:146]
	s_waitcnt vmcnt(24)
	v_fma_f64 v[131:132], v[105:106], v[180:181], -v[131:132]
	v_mul_f64 v[125:126], v[5:6], v[145:146]
	v_fma_f64 v[119:120], v[107:108], v[180:181], v[119:120]
	ds_read_b128 v[105:108], v157 offset:1472
	v_add_f64 v[109:110], v[109:110], v[129:130]
	v_add_f64 v[111:112], v[111:112], v[123:124]
	s_waitcnt vmcnt(23) lgkmcnt(1)
	v_mul_f64 v[129:130], v[3:4], v[162:163]
	v_mul_f64 v[123:124], v[1:2], v[162:163]
	s_waitcnt vmcnt(21)
	v_fma_f64 v[127:128], v[5:6], v[151:152], -v[127:128]
	v_fma_f64 v[125:126], v[7:8], v[151:152], v[125:126]
	ds_read_b128 v[5:8], v157 offset:1488
	v_add_f64 v[109:110], v[109:110], v[131:132]
	v_add_f64 v[111:112], v[111:112], v[119:120]
	;; [unrolled: 18-line block ×3, first 2 shown]
	s_waitcnt vmcnt(9) lgkmcnt(1)
	v_mul_f64 v[119:120], v[1:2], v[121:122]
	v_mul_f64 v[121:122], v[3:4], v[121:122]
	s_waitcnt vmcnt(8)
	v_fma_f64 v[5:6], v[5:6], v[182:183], -v[127:128]
	v_fma_f64 v[7:8], v[7:8], v[182:183], v[125:126]
	v_add_f64 v[109:110], v[109:110], v[131:132]
	v_add_f64 v[111:112], v[111:112], v[115:116]
	s_waitcnt vmcnt(7) lgkmcnt(0)
	v_mul_f64 v[123:124], v[107:108], v[170:171]
	v_mul_f64 v[115:116], v[105:106], v[170:171]
	s_waitcnt vmcnt(5)
	v_fma_f64 v[1:2], v[1:2], v[117:118], -v[121:122]
	v_fma_f64 v[3:4], v[3:4], v[117:118], v[119:120]
	v_add_f64 v[5:6], v[109:110], v[5:6]
	v_add_f64 v[7:8], v[111:112], v[7:8]
	s_waitcnt vmcnt(4)
	v_fma_f64 v[105:106], v[105:106], v[187:188], -v[123:124]
	v_add_f64 v[1:2], v[5:6], v[1:2]
	v_fma_f64 v[5:6], v[107:108], v[187:188], v[115:116]
	v_add_f64 v[3:4], v[7:8], v[3:4]
	v_add_f64 v[1:2], v[1:2], v[105:106]
	;; [unrolled: 1-line block ×3, first 2 shown]
	s_waitcnt vmcnt(2)
	v_add_f64 v[1:2], v[113:114], -v[1:2]
	s_waitcnt vmcnt(0)
	v_add_f64 v[3:4], v[133:134], -v[3:4]
	buffer_store_dword v2, off, s[0:3], 0 offset:148
	buffer_store_dword v1, off, s[0:3], 0 offset:144
	;; [unrolled: 1-line block ×4, first 2 shown]
	v_cmpx_lt_u32_e32 7, v0
	s_cbranch_execz .LBB111_287
; %bb.286:
	v_mov_b32_e32 v4, s53
	s_clause 0x3
	buffer_load_dword v1, v4, s[0:3], 0 offen
	buffer_load_dword v2, v4, s[0:3], 0 offen offset:4
	buffer_load_dword v3, v4, s[0:3], 0 offen offset:8
	;; [unrolled: 1-line block ×3, first 2 shown]
	buffer_store_dword v157, off, s[0:3], 0 offset:128
	buffer_store_dword v157, off, s[0:3], 0 offset:132
	;; [unrolled: 1-line block ×4, first 2 shown]
	s_waitcnt vmcnt(0)
	ds_write_b128 v165, v[1:4]
.LBB111_287:
	s_or_b32 exec_lo, exec_lo, s4
	s_waitcnt lgkmcnt(0)
	s_waitcnt_vscnt null, 0x0
	s_barrier
	buffer_gl0_inv
	s_clause 0x37
	buffer_load_dword v105, off, s[0:3], 0 offset:152
	buffer_load_dword v106, off, s[0:3], 0 offset:156
	;; [unrolled: 1-line block ×56, first 2 shown]
	ds_read_b128 v[158:161], v157 offset:896
	s_clause 0x2
	buffer_load_dword v154, off, s[0:3], 0 offset:380
	buffer_load_dword v156, off, s[0:3], 0 offset:356
	;; [unrolled: 1-line block ×3, first 2 shown]
	ds_read_b128 v[166:169], v157 offset:912
	s_clause 0x4
	buffer_load_dword v175, off, s[0:3], 0 offset:396
	buffer_load_dword v176, off, s[0:3], 0 offset:408
	;; [unrolled: 1-line block ×5, first 2 shown]
	ds_read_b128 v[170:173], v157 offset:928
	s_clause 0x2
	buffer_load_dword v177, off, s[0:3], 0 offset:412
	buffer_load_dword v182, off, s[0:3], 0 offset:388
	;; [unrolled: 1-line block ×3, first 2 shown]
	s_mov_b32 s4, exec_lo
	s_waitcnt vmcnt(62) lgkmcnt(2)
	v_mul_f64 v[162:163], v[160:161], v[105:106]
	v_mul_f64 v[105:106], v[158:159], v[105:106]
	s_waitcnt lgkmcnt(1)
	v_mul_f64 v[179:180], v[168:169], v[5:6]
	s_waitcnt vmcnt(59) lgkmcnt(0)
	v_mul_f64 v[183:184], v[172:173], v[3:4]
	v_fma_f64 v[158:159], v[158:159], v[7:8], -v[162:163]
	v_mul_f64 v[162:163], v[166:167], v[5:6]
	v_fma_f64 v[105:106], v[160:161], v[7:8], v[105:106]
	s_waitcnt vmcnt(57)
	v_fma_f64 v[166:167], v[166:167], v[1:2], -v[179:180]
	ds_read_b128 v[5:8], v157 offset:944
	v_mul_f64 v[160:161], v[170:171], v[3:4]
	s_waitcnt vmcnt(51)
	v_fma_f64 v[170:171], v[170:171], v[121:122], -v[183:184]
	v_add_f64 v[158:159], v[158:159], 0
	v_fma_f64 v[162:163], v[168:169], v[1:2], v[162:163]
	v_add_f64 v[105:106], v[105:106], 0
	s_clause 0x4
	buffer_load_dword v169, off, s[0:3], 0 offset:428
	buffer_load_dword v185, off, s[0:3], 0 offset:440
	;; [unrolled: 1-line block ×5, first 2 shown]
	s_waitcnt lgkmcnt(0)
	v_mul_f64 v[188:189], v[5:6], v[109:110]
	v_mul_f64 v[109:110], v[7:8], v[109:110]
	ds_read_b128 v[1:4], v157 offset:960
	v_fma_f64 v[121:122], v[172:173], v[121:122], v[160:161]
	v_add_f64 v[166:167], v[158:159], v[166:167]
	v_add_f64 v[105:106], v[105:106], v[162:163]
	s_clause 0x2
	buffer_load_dword v186, off, s[0:3], 0 offset:444
	buffer_load_dword v163, off, s[0:3], 0 offset:420
	;; [unrolled: 1-line block ×3, first 2 shown]
	s_waitcnt vmcnt(58) lgkmcnt(0)
	v_mul_f64 v[172:173], v[1:2], v[113:114]
	v_mul_f64 v[113:114], v[3:4], v[113:114]
	s_waitcnt vmcnt(56)
	v_fma_f64 v[109:110], v[5:6], v[115:116], -v[109:110]
	ds_read_b128 v[158:161], v157 offset:976
	v_fma_f64 v[115:116], v[7:8], v[115:116], v[188:189]
	v_add_f64 v[166:167], v[166:167], v[170:171]
	v_add_f64 v[105:106], v[105:106], v[121:122]
	s_clause 0x4
	buffer_load_dword v122, off, s[0:3], 0 offset:460
	buffer_load_dword v170, off, s[0:3], 0 offset:472
	;; [unrolled: 1-line block ×5, first 2 shown]
	ds_read_b128 v[5:8], v157 offset:992
	s_waitcnt vmcnt(57) lgkmcnt(1)
	v_mul_f64 v[189:190], v[158:159], v[117:118]
	v_mul_f64 v[117:118], v[160:161], v[117:118]
	s_waitcnt vmcnt(56)
	v_fma_f64 v[113:114], v[1:2], v[107:108], -v[113:114]
	v_fma_f64 v[107:108], v[3:4], v[107:108], v[172:173]
	v_add_f64 v[109:110], v[166:167], v[109:110]
	v_add_f64 v[105:106], v[105:106], v[115:116]
	s_clause 0x2
	buffer_load_dword v171, off, s[0:3], 0 offset:476
	buffer_load_dword v116, off, s[0:3], 0 offset:452
	buffer_load_dword v115, off, s[0:3], 0 offset:448
	s_waitcnt vmcnt(58) lgkmcnt(0)
	v_mul_f64 v[166:167], v[5:6], v[123:124]
	v_mul_f64 v[123:124], v[7:8], v[123:124]
	s_waitcnt vmcnt(56)
	v_fma_f64 v[117:118], v[158:159], v[125:126], -v[117:118]
	ds_read_b128 v[1:4], v157 offset:1008
	v_add_f64 v[109:110], v[109:110], v[113:114]
	v_fma_f64 v[113:114], v[160:161], v[125:126], v[189:190]
	v_add_f64 v[125:126], v[105:106], v[107:108]
	s_clause 0x4
	buffer_load_dword v159, off, s[0:3], 0 offset:492
	buffer_load_dword v160, off, s[0:3], 0 offset:504
	buffer_load_dword v172, off, s[0:3], 0 offset:496
	buffer_load_dword v158, off, s[0:3], 0 offset:488
	buffer_load_dword v184, off, s[0:3], 0 offset:468
	ds_read_b128 v[105:108], v157 offset:1024
	s_waitcnt vmcnt(57) lgkmcnt(1)
	v_mul_f64 v[189:190], v[1:2], v[127:128]
	v_mul_f64 v[127:128], v[3:4], v[127:128]
	s_waitcnt vmcnt(56)
	v_fma_f64 v[123:124], v[5:6], v[111:112], -v[123:124]
	v_fma_f64 v[111:112], v[7:8], v[111:112], v[166:167]
	v_add_f64 v[109:110], v[109:110], v[117:118]
	s_clause 0x2
	buffer_load_dword v161, off, s[0:3], 0 offset:508
	buffer_load_dword v118, off, s[0:3], 0 offset:484
	;; [unrolled: 1-line block ×3, first 2 shown]
	v_add_f64 v[113:114], v[125:126], v[113:114]
	s_waitcnt vmcnt(58) lgkmcnt(0)
	v_mul_f64 v[125:126], v[105:106], v[131:132]
	v_mul_f64 v[131:132], v[107:108], v[131:132]
	ds_read_b128 v[5:8], v157 offset:1040
	s_waitcnt vmcnt(56)
	v_fma_f64 v[127:128], v[1:2], v[133:134], -v[127:128]
	v_add_f64 v[109:110], v[109:110], v[123:124]
	v_fma_f64 v[123:124], v[3:4], v[133:134], v[189:190]
	v_add_f64 v[111:112], v[113:114], v[111:112]
	s_clause 0x4
	buffer_load_dword v114, off, s[0:3], 0 offset:524
	buffer_load_dword v133, off, s[0:3], 0 offset:536
	;; [unrolled: 1-line block ×5, first 2 shown]
	s_waitcnt vmcnt(57) lgkmcnt(0)
	v_mul_f64 v[189:190], v[5:6], v[135:136]
	v_mul_f64 v[135:136], v[7:8], v[135:136]
	s_waitcnt vmcnt(56)
	v_fma_f64 v[131:132], v[105:106], v[119:120], -v[131:132]
	ds_read_b128 v[1:4], v157 offset:1056
	v_fma_f64 v[119:120], v[107:108], v[119:120], v[125:126]
	v_add_f64 v[109:110], v[109:110], v[127:128]
	v_add_f64 v[111:112], v[111:112], v[123:124]
	s_clause 0x2
	buffer_load_dword v134, off, s[0:3], 0 offset:540
	buffer_load_dword v124, off, s[0:3], 0 offset:516
	;; [unrolled: 1-line block ×3, first 2 shown]
	ds_read_b128 v[105:108], v157 offset:1072
	s_waitcnt vmcnt(58) lgkmcnt(1)
	v_mul_f64 v[127:128], v[3:4], v[139:140]
	s_waitcnt vmcnt(56)
	v_fma_f64 v[135:136], v[5:6], v[141:142], -v[135:136]
	v_mul_f64 v[125:126], v[1:2], v[139:140]
	v_add_f64 v[109:110], v[109:110], v[131:132]
	v_fma_f64 v[131:132], v[7:8], v[141:142], v[189:190]
	v_add_f64 v[111:112], v[111:112], v[119:120]
	s_clause 0x4
	buffer_load_dword v120, off, s[0:3], 0 offset:556
	buffer_load_dword v139, off, s[0:3], 0 offset:568
	;; [unrolled: 1-line block ×5, first 2 shown]
	s_waitcnt vmcnt(57) lgkmcnt(0)
	v_mul_f64 v[189:190], v[105:106], v[143:144]
	v_mul_f64 v[142:143], v[107:108], v[143:144]
	s_waitcnt vmcnt(56)
	v_fma_f64 v[127:128], v[1:2], v[129:130], -v[127:128]
	ds_read_b128 v[5:8], v157 offset:1088
	v_fma_f64 v[125:126], v[3:4], v[129:130], v[125:126]
	s_clause 0x2
	buffer_load_dword v140, off, s[0:3], 0 offset:572
	buffer_load_dword v130, off, s[0:3], 0 offset:548
	buffer_load_dword v129, off, s[0:3], 0 offset:544
	ds_read_b128 v[1:4], v157 offset:1104
	v_add_f64 v[109:110], v[109:110], v[135:136]
	v_add_f64 v[111:112], v[111:112], v[131:132]
	s_waitcnt vmcnt(58) lgkmcnt(1)
	v_mul_f64 v[135:136], v[7:8], v[147:148]
	s_waitcnt vmcnt(56)
	v_fma_f64 v[143:144], v[105:106], v[149:150], -v[142:143]
	v_mul_f64 v[131:132], v[5:6], v[147:148]
	v_add_f64 v[109:110], v[109:110], v[127:128]
	v_fma_f64 v[127:128], v[107:108], v[149:150], v[189:190]
	v_add_f64 v[111:112], v[111:112], v[125:126]
	s_clause 0x4
	buffer_load_dword v126, off, s[0:3], 0 offset:588
	buffer_load_dword v147, off, s[0:3], 0 offset:600
	;; [unrolled: 1-line block ×5, first 2 shown]
	s_waitcnt vmcnt(57) lgkmcnt(0)
	v_mul_f64 v[189:190], v[1:2], v[151:152]
	v_mul_f64 v[150:151], v[3:4], v[151:152]
	s_waitcnt vmcnt(56)
	v_fma_f64 v[135:136], v[5:6], v[137:138], -v[135:136]
	ds_read_b128 v[105:108], v157 offset:1120
	v_fma_f64 v[131:132], v[7:8], v[137:138], v[131:132]
	v_add_f64 v[109:110], v[109:110], v[143:144]
	v_add_f64 v[111:112], v[111:112], v[127:128]
	s_clause 0x2
	buffer_load_dword v148, off, s[0:3], 0 offset:604
	buffer_load_dword v128, off, s[0:3], 0 offset:580
	;; [unrolled: 1-line block ×3, first 2 shown]
	ds_read_b128 v[5:8], v157 offset:1136
	s_waitcnt vmcnt(58) lgkmcnt(1)
	v_mul_f64 v[143:144], v[107:108], v[153:154]
	s_waitcnt vmcnt(56)
	v_fma_f64 v[151:152], v[1:2], v[155:156], -v[150:151]
	v_mul_f64 v[137:138], v[105:106], v[153:154]
	v_add_f64 v[109:110], v[109:110], v[135:136]
	v_fma_f64 v[135:136], v[3:4], v[155:156], v[189:190]
	v_add_f64 v[111:112], v[111:112], v[131:132]
	s_clause 0x4
	buffer_load_dword v132, off, s[0:3], 0 offset:620
	buffer_load_dword v153, off, s[0:3], 0 offset:632
	;; [unrolled: 1-line block ×5, first 2 shown]
	s_waitcnt vmcnt(57) lgkmcnt(0)
	v_mul_f64 v[189:190], v[5:6], v[174:175]
	v_mul_f64 v[174:175], v[7:8], v[174:175]
	s_waitcnt vmcnt(56)
	v_fma_f64 v[143:144], v[105:106], v[145:146], -v[143:144]
	ds_read_b128 v[1:4], v157 offset:1152
	v_fma_f64 v[137:138], v[107:108], v[145:146], v[137:138]
	v_add_f64 v[109:110], v[109:110], v[151:152]
	v_add_f64 v[111:112], v[111:112], v[135:136]
	s_clause 0x2
	buffer_load_dword v154, off, s[0:3], 0 offset:636
	buffer_load_dword v136, off, s[0:3], 0 offset:612
	;; [unrolled: 1-line block ×3, first 2 shown]
	ds_read_b128 v[105:108], v157 offset:1168
	s_waitcnt vmcnt(58) lgkmcnt(1)
	v_mul_f64 v[151:152], v[3:4], v[176:177]
	s_waitcnt vmcnt(56)
	v_fma_f64 v[174:175], v[5:6], v[181:182], -v[174:175]
	v_mul_f64 v[145:146], v[1:2], v[176:177]
	v_add_f64 v[109:110], v[109:110], v[143:144]
	v_fma_f64 v[143:144], v[7:8], v[181:182], v[189:190]
	v_add_f64 v[111:112], v[111:112], v[137:138]
	s_clause 0x4
	buffer_load_dword v138, off, s[0:3], 0 offset:652
	buffer_load_dword v176, off, s[0:3], 0 offset:664
	;; [unrolled: 1-line block ×5, first 2 shown]
	ds_read_b128 v[5:8], v157 offset:1184
	s_waitcnt vmcnt(57) lgkmcnt(1)
	v_mul_f64 v[181:182], v[105:106], v[168:169]
	v_mul_f64 v[168:169], v[107:108], v[168:169]
	s_waitcnt vmcnt(56)
	v_fma_f64 v[151:152], v[1:2], v[178:179], -v[151:152]
	v_fma_f64 v[145:146], v[3:4], v[178:179], v[145:146]
	v_add_f64 v[109:110], v[109:110], v[174:175]
	v_add_f64 v[111:112], v[111:112], v[143:144]
	s_clause 0x2
	buffer_load_dword v177, off, s[0:3], 0 offset:668
	buffer_load_dword v144, off, s[0:3], 0 offset:644
	;; [unrolled: 1-line block ×3, first 2 shown]
	ds_read_b128 v[1:4], v157 offset:1200
	s_waitcnt vmcnt(58) lgkmcnt(1)
	v_mul_f64 v[178:179], v[7:8], v[185:186]
	v_mul_f64 v[174:175], v[5:6], v[185:186]
	s_waitcnt vmcnt(56)
	v_fma_f64 v[168:169], v[105:106], v[162:163], -v[168:169]
	v_add_f64 v[109:110], v[109:110], v[151:152]
	v_fma_f64 v[151:152], v[107:108], v[162:163], v[181:182]
	v_add_f64 v[111:112], v[111:112], v[145:146]
	s_clause 0x4
	buffer_load_dword v146, off, s[0:3], 0 offset:684
	buffer_load_dword v162, off, s[0:3], 0 offset:696
	buffer_load_dword v185, off, s[0:3], 0 offset:688
	buffer_load_dword v145, off, s[0:3], 0 offset:680
	buffer_load_dword v181, off, s[0:3], 0 offset:660
	ds_read_b128 v[105:108], v157 offset:1216
	s_waitcnt vmcnt(57) lgkmcnt(1)
	v_mul_f64 v[189:190], v[1:2], v[121:122]
	v_mul_f64 v[121:122], v[3:4], v[121:122]
	s_waitcnt vmcnt(56)
	v_fma_f64 v[178:179], v[5:6], v[187:188], -v[178:179]
	v_add_f64 v[109:110], v[109:110], v[168:169]
	v_fma_f64 v[168:169], v[7:8], v[187:188], v[174:175]
	v_add_f64 v[111:112], v[111:112], v[151:152]
	s_clause 0x2
	buffer_load_dword v163, off, s[0:3], 0 offset:700
	buffer_load_dword v152, off, s[0:3], 0 offset:676
	buffer_load_dword v151, off, s[0:3], 0 offset:672
	ds_read_b128 v[5:8], v157 offset:1232
	s_waitcnt vmcnt(58) lgkmcnt(1)
	v_mul_f64 v[174:175], v[105:106], v[170:171]
	v_mul_f64 v[170:171], v[107:108], v[170:171]
	s_waitcnt vmcnt(56)
	v_fma_f64 v[121:122], v[1:2], v[115:116], -v[121:122]
	v_fma_f64 v[115:116], v[3:4], v[115:116], v[189:190]
	v_add_f64 v[109:110], v[109:110], v[178:179]
	v_add_f64 v[111:112], v[111:112], v[168:169]
	s_clause 0x4
	buffer_load_dword v169, off, s[0:3], 0 offset:716
	buffer_load_dword v178, off, s[0:3], 0 offset:728
	buffer_load_dword v182, off, s[0:3], 0 offset:720
	buffer_load_dword v168, off, s[0:3], 0 offset:712
	buffer_load_dword v186, off, s[0:3], 0 offset:692
	ds_read_b128 v[1:4], v157 offset:1248
	s_waitcnt vmcnt(57) lgkmcnt(1)
	v_mul_f64 v[187:188], v[5:6], v[158:159]
	v_mul_f64 v[158:159], v[7:8], v[158:159]
	s_waitcnt vmcnt(56)
	v_fma_f64 v[170:171], v[105:106], v[183:184], -v[170:171]
	v_add_f64 v[109:110], v[109:110], v[121:122]
	v_fma_f64 v[121:122], v[107:108], v[183:184], v[174:175]
	v_add_f64 v[111:112], v[111:112], v[115:116]
	s_clause 0x2
	buffer_load_dword v179, off, s[0:3], 0 offset:732
	buffer_load_dword v116, off, s[0:3], 0 offset:708
	buffer_load_dword v115, off, s[0:3], 0 offset:704
	ds_read_b128 v[105:108], v157 offset:1264
	s_waitcnt vmcnt(58) lgkmcnt(1)
	v_mul_f64 v[174:175], v[1:2], v[160:161]
	v_mul_f64 v[160:161], v[3:4], v[160:161]
	s_waitcnt vmcnt(56)
	v_fma_f64 v[158:159], v[5:6], v[117:118], -v[158:159]
	v_fma_f64 v[117:118], v[7:8], v[117:118], v[187:188]
	v_add_f64 v[109:110], v[109:110], v[170:171]
	;; [unrolled: 28-line block ×3, first 2 shown]
	v_add_f64 v[111:112], v[111:112], v[158:159]
	s_clause 0x2
	buffer_load_dword v159, off, s[0:3], 0 offset:780
	buffer_load_dword v158, off, s[0:3], 0 offset:776
	;; [unrolled: 1-line block ×3, first 2 shown]
	ds_read_b128 v[105:108], v157 offset:1312
	s_waitcnt vmcnt(55) lgkmcnt(1)
	v_mul_f64 v[160:161], v[1:2], v[119:120]
	v_mul_f64 v[119:120], v[3:4], v[119:120]
	s_waitcnt vmcnt(54)
	v_fma_f64 v[133:134], v[5:6], v[166:167], -v[133:134]
	v_add_f64 v[109:110], v[109:110], v[113:114]
	v_fma_f64 v[113:114], v[7:8], v[166:167], v[172:173]
	v_add_f64 v[111:112], v[111:112], v[123:124]
	s_clause 0x1
	buffer_load_dword v124, off, s[0:3], 0 offset:772
	buffer_load_dword v123, off, s[0:3], 0 offset:768
	s_waitcnt vmcnt(55) lgkmcnt(0)
	v_mul_f64 v[166:167], v[105:106], v[139:140]
	v_mul_f64 v[139:140], v[107:108], v[139:140]
	ds_read_b128 v[5:8], v157 offset:1328
	s_waitcnt vmcnt(53)
	v_fma_f64 v[119:120], v[1:2], v[129:130], -v[119:120]
	v_fma_f64 v[129:130], v[3:4], v[129:130], v[160:161]
	ds_read_b128 v[1:4], v157 offset:1344
	v_add_f64 v[109:110], v[109:110], v[133:134]
	v_add_f64 v[111:112], v[111:112], v[113:114]
	s_waitcnt vmcnt(49) lgkmcnt(1)
	v_mul_f64 v[113:114], v[5:6], v[125:126]
	v_mul_f64 v[125:126], v[7:8], v[125:126]
	s_waitcnt vmcnt(48)
	v_fma_f64 v[133:134], v[105:106], v[141:142], -v[139:140]
	v_add_f64 v[109:110], v[109:110], v[119:120]
	v_fma_f64 v[119:120], v[107:108], v[141:142], v[166:167]
	v_add_f64 v[111:112], v[111:112], v[129:130]
	s_clause 0x3
	buffer_load_dword v129, off, s[0:3], 0 offset:128
	buffer_load_dword v130, off, s[0:3], 0 offset:132
	;; [unrolled: 1-line block ×4, first 2 shown]
	ds_read_b128 v[105:108], v157 offset:1360
	s_waitcnt vmcnt(51) lgkmcnt(1)
	v_mul_f64 v[141:142], v[1:2], v[147:148]
	v_mul_f64 v[147:148], v[3:4], v[147:148]
	s_waitcnt vmcnt(49)
	v_fma_f64 v[125:126], v[5:6], v[127:128], -v[125:126]
	v_fma_f64 v[113:114], v[7:8], v[127:128], v[113:114]
	ds_read_b128 v[5:8], v157 offset:1376
	v_add_f64 v[109:110], v[109:110], v[133:134]
	v_add_f64 v[111:112], v[111:112], v[119:120]
	s_waitcnt vmcnt(45) lgkmcnt(1)
	v_mul_f64 v[119:120], v[105:106], v[131:132]
	v_mul_f64 v[127:128], v[107:108], v[131:132]
	s_waitcnt vmcnt(44)
	v_fma_f64 v[131:132], v[1:2], v[149:150], -v[147:148]
	v_add_f64 v[109:110], v[109:110], v[125:126]
	v_fma_f64 v[125:126], v[3:4], v[149:150], v[141:142]
	v_add_f64 v[111:112], v[111:112], v[113:114]
	ds_read_b128 v[1:4], v157 offset:1392
	s_waitcnt vmcnt(43) lgkmcnt(1)
	v_mul_f64 v[133:134], v[7:8], v[153:154]
	v_mul_f64 v[113:114], v[5:6], v[153:154]
	s_waitcnt vmcnt(41)
	v_fma_f64 v[127:128], v[105:106], v[135:136], -v[127:128]
	v_fma_f64 v[119:120], v[107:108], v[135:136], v[119:120]
	ds_read_b128 v[105:108], v157 offset:1408
	v_add_f64 v[109:110], v[109:110], v[131:132]
	v_add_f64 v[111:112], v[111:112], v[125:126]
	s_waitcnt vmcnt(37) lgkmcnt(1)
	v_mul_f64 v[131:132], v[3:4], v[137:138]
	s_waitcnt vmcnt(36)
	v_fma_f64 v[133:134], v[5:6], v[155:156], -v[133:134]
	v_mul_f64 v[125:126], v[1:2], v[137:138]
	v_fma_f64 v[113:114], v[7:8], v[155:156], v[113:114]
	ds_read_b128 v[5:8], v157 offset:1424
	v_add_f64 v[109:110], v[109:110], v[127:128]
	v_add_f64 v[111:112], v[111:112], v[119:120]
	s_waitcnt vmcnt(35) lgkmcnt(1)
	v_mul_f64 v[127:128], v[107:108], v[176:177]
	v_mul_f64 v[119:120], v[105:106], v[176:177]
	s_waitcnt vmcnt(33)
	v_fma_f64 v[131:132], v[1:2], v[143:144], -v[131:132]
	v_fma_f64 v[125:126], v[3:4], v[143:144], v[125:126]
	ds_read_b128 v[1:4], v157 offset:1440
	v_add_f64 v[109:110], v[109:110], v[133:134]
	v_add_f64 v[111:112], v[111:112], v[113:114]
	s_waitcnt vmcnt(29) lgkmcnt(1)
	v_mul_f64 v[133:134], v[7:8], v[145:146]
	s_waitcnt vmcnt(28)
	v_fma_f64 v[127:128], v[105:106], v[180:181], -v[127:128]
	v_mul_f64 v[113:114], v[5:6], v[145:146]
	v_fma_f64 v[119:120], v[107:108], v[180:181], v[119:120]
	ds_read_b128 v[105:108], v157 offset:1456
	v_add_f64 v[109:110], v[109:110], v[131:132]
	v_add_f64 v[111:112], v[111:112], v[125:126]
	;; [unrolled: 18-line block ×3, first 2 shown]
	s_waitcnt vmcnt(19) lgkmcnt(1)
	v_mul_f64 v[133:134], v[7:8], v[178:179]
	v_mul_f64 v[113:114], v[5:6], v[178:179]
	s_waitcnt vmcnt(17)
	v_fma_f64 v[127:128], v[105:106], v[115:116], -v[127:128]
	v_fma_f64 v[115:116], v[107:108], v[115:116], v[119:120]
	ds_read_b128 v[105:108], v157 offset:1504
	v_add_f64 v[109:110], v[109:110], v[131:132]
	v_add_f64 v[111:112], v[111:112], v[125:126]
	s_waitcnt vmcnt(13) lgkmcnt(1)
	v_mul_f64 v[119:120], v[1:2], v[121:122]
	v_mul_f64 v[121:122], v[3:4], v[121:122]
	s_waitcnt vmcnt(12)
	v_fma_f64 v[125:126], v[5:6], v[182:183], -v[133:134]
	v_fma_f64 v[113:114], v[7:8], v[182:183], v[113:114]
	ds_read_b128 v[5:8], v157 offset:1520
	v_add_f64 v[109:110], v[109:110], v[127:128]
	v_add_f64 v[111:112], v[111:112], v[115:116]
	s_waitcnt vmcnt(11) lgkmcnt(1)
	v_mul_f64 v[127:128], v[107:108], v[170:171]
	v_mul_f64 v[115:116], v[105:106], v[170:171]
	s_waitcnt vmcnt(9)
	v_fma_f64 v[1:2], v[1:2], v[117:118], -v[121:122]
	v_fma_f64 v[3:4], v[3:4], v[117:118], v[119:120]
	v_add_f64 v[109:110], v[109:110], v[125:126]
	v_add_f64 v[111:112], v[111:112], v[113:114]
	s_waitcnt vmcnt(7) lgkmcnt(0)
	v_mul_f64 v[117:118], v[7:8], v[158:159]
	s_waitcnt vmcnt(6)
	v_fma_f64 v[105:106], v[105:106], v[187:188], -v[127:128]
	v_mul_f64 v[113:114], v[5:6], v[158:159]
	v_fma_f64 v[107:108], v[107:108], v[187:188], v[115:116]
	v_add_f64 v[1:2], v[109:110], v[1:2]
	v_add_f64 v[3:4], v[111:112], v[3:4]
	s_waitcnt vmcnt(4)
	v_fma_f64 v[5:6], v[5:6], v[123:124], -v[117:118]
	v_fma_f64 v[7:8], v[7:8], v[123:124], v[113:114]
	v_add_f64 v[1:2], v[1:2], v[105:106]
	v_add_f64 v[3:4], v[3:4], v[107:108]
	;; [unrolled: 1-line block ×4, first 2 shown]
	s_waitcnt vmcnt(2)
	v_add_f64 v[1:2], v[129:130], -v[1:2]
	s_waitcnt vmcnt(0)
	v_add_f64 v[3:4], v[139:140], -v[3:4]
	buffer_store_dword v2, off, s[0:3], 0 offset:132
	buffer_store_dword v1, off, s[0:3], 0 offset:128
	;; [unrolled: 1-line block ×4, first 2 shown]
	v_cmpx_lt_u32_e32 6, v0
	s_cbranch_execz .LBB111_289
; %bb.288:
	v_mov_b32_e32 v4, s54
	v_mov_b32_e32 v5, 0
	s_clause 0x3
	buffer_load_dword v1, v4, s[0:3], 0 offen
	buffer_load_dword v2, v4, s[0:3], 0 offen offset:4
	buffer_load_dword v3, v4, s[0:3], 0 offen offset:8
	buffer_load_dword v4, v4, s[0:3], 0 offen offset:12
	buffer_store_dword v5, off, s[0:3], 0 offset:112
	buffer_store_dword v5, off, s[0:3], 0 offset:116
	;; [unrolled: 1-line block ×4, first 2 shown]
	s_waitcnt vmcnt(0)
	ds_write_b128 v165, v[1:4]
.LBB111_289:
	s_or_b32 exec_lo, exec_lo, s4
	s_waitcnt lgkmcnt(0)
	s_waitcnt_vscnt null, 0x0
	s_barrier
	buffer_gl0_inv
	s_clause 0x37
	buffer_load_dword v105, off, s[0:3], 0 offset:136
	buffer_load_dword v106, off, s[0:3], 0 offset:140
	;; [unrolled: 1-line block ×56, first 2 shown]
	v_mov_b32_e32 v157, 0
	s_mov_b32 s4, exec_lo
	ds_read_b128 v[158:161], v157 offset:880
	s_clause 0x2
	buffer_load_dword v154, off, s[0:3], 0 offset:364
	buffer_load_dword v156, off, s[0:3], 0 offset:340
	;; [unrolled: 1-line block ×3, first 2 shown]
	ds_read_b128 v[166:169], v157 offset:896
	s_clause 0x4
	buffer_load_dword v175, off, s[0:3], 0 offset:380
	buffer_load_dword v176, off, s[0:3], 0 offset:392
	;; [unrolled: 1-line block ×5, first 2 shown]
	ds_read_b128 v[170:173], v157 offset:912
	s_clause 0x2
	buffer_load_dword v177, off, s[0:3], 0 offset:396
	buffer_load_dword v182, off, s[0:3], 0 offset:372
	;; [unrolled: 1-line block ×3, first 2 shown]
	s_waitcnt vmcnt(62) lgkmcnt(2)
	v_mul_f64 v[162:163], v[160:161], v[105:106]
	v_mul_f64 v[105:106], v[158:159], v[105:106]
	s_waitcnt lgkmcnt(1)
	v_mul_f64 v[179:180], v[168:169], v[5:6]
	s_waitcnt vmcnt(59) lgkmcnt(0)
	v_mul_f64 v[183:184], v[172:173], v[3:4]
	v_fma_f64 v[158:159], v[158:159], v[7:8], -v[162:163]
	v_mul_f64 v[162:163], v[166:167], v[5:6]
	v_fma_f64 v[105:106], v[160:161], v[7:8], v[105:106]
	s_waitcnt vmcnt(57)
	v_fma_f64 v[166:167], v[166:167], v[1:2], -v[179:180]
	ds_read_b128 v[5:8], v157 offset:928
	v_mul_f64 v[160:161], v[170:171], v[3:4]
	s_waitcnt vmcnt(51)
	v_fma_f64 v[170:171], v[170:171], v[121:122], -v[183:184]
	v_add_f64 v[158:159], v[158:159], 0
	v_fma_f64 v[162:163], v[168:169], v[1:2], v[162:163]
	v_add_f64 v[105:106], v[105:106], 0
	s_clause 0x4
	buffer_load_dword v169, off, s[0:3], 0 offset:412
	buffer_load_dword v185, off, s[0:3], 0 offset:424
	buffer_load_dword v187, off, s[0:3], 0 offset:416
	buffer_load_dword v168, off, s[0:3], 0 offset:408
	buffer_load_dword v179, off, s[0:3], 0 offset:388
	s_waitcnt lgkmcnt(0)
	v_mul_f64 v[188:189], v[5:6], v[109:110]
	v_mul_f64 v[109:110], v[7:8], v[109:110]
	ds_read_b128 v[1:4], v157 offset:944
	v_fma_f64 v[121:122], v[172:173], v[121:122], v[160:161]
	v_add_f64 v[166:167], v[158:159], v[166:167]
	v_add_f64 v[105:106], v[105:106], v[162:163]
	s_clause 0x2
	buffer_load_dword v186, off, s[0:3], 0 offset:428
	buffer_load_dword v163, off, s[0:3], 0 offset:404
	;; [unrolled: 1-line block ×3, first 2 shown]
	s_waitcnt vmcnt(58) lgkmcnt(0)
	v_mul_f64 v[172:173], v[1:2], v[113:114]
	v_mul_f64 v[113:114], v[3:4], v[113:114]
	s_waitcnt vmcnt(56)
	v_fma_f64 v[109:110], v[5:6], v[115:116], -v[109:110]
	ds_read_b128 v[158:161], v157 offset:960
	v_fma_f64 v[115:116], v[7:8], v[115:116], v[188:189]
	v_add_f64 v[166:167], v[166:167], v[170:171]
	v_add_f64 v[105:106], v[105:106], v[121:122]
	s_clause 0x4
	buffer_load_dword v122, off, s[0:3], 0 offset:444
	buffer_load_dword v170, off, s[0:3], 0 offset:456
	;; [unrolled: 1-line block ×5, first 2 shown]
	ds_read_b128 v[5:8], v157 offset:976
	s_waitcnt vmcnt(57) lgkmcnt(1)
	v_mul_f64 v[189:190], v[158:159], v[117:118]
	v_mul_f64 v[117:118], v[160:161], v[117:118]
	s_waitcnt vmcnt(56)
	v_fma_f64 v[113:114], v[1:2], v[107:108], -v[113:114]
	v_fma_f64 v[107:108], v[3:4], v[107:108], v[172:173]
	v_add_f64 v[109:110], v[166:167], v[109:110]
	v_add_f64 v[105:106], v[105:106], v[115:116]
	s_clause 0x2
	buffer_load_dword v171, off, s[0:3], 0 offset:460
	buffer_load_dword v116, off, s[0:3], 0 offset:436
	;; [unrolled: 1-line block ×3, first 2 shown]
	s_waitcnt vmcnt(58) lgkmcnt(0)
	v_mul_f64 v[166:167], v[5:6], v[123:124]
	v_mul_f64 v[123:124], v[7:8], v[123:124]
	s_waitcnt vmcnt(56)
	v_fma_f64 v[117:118], v[158:159], v[125:126], -v[117:118]
	ds_read_b128 v[1:4], v157 offset:992
	v_add_f64 v[109:110], v[109:110], v[113:114]
	v_fma_f64 v[113:114], v[160:161], v[125:126], v[189:190]
	v_add_f64 v[125:126], v[105:106], v[107:108]
	s_clause 0x4
	buffer_load_dword v159, off, s[0:3], 0 offset:476
	buffer_load_dword v160, off, s[0:3], 0 offset:488
	buffer_load_dword v172, off, s[0:3], 0 offset:480
	buffer_load_dword v158, off, s[0:3], 0 offset:472
	buffer_load_dword v184, off, s[0:3], 0 offset:452
	ds_read_b128 v[105:108], v157 offset:1008
	s_waitcnt vmcnt(57) lgkmcnt(1)
	v_mul_f64 v[189:190], v[1:2], v[127:128]
	v_mul_f64 v[127:128], v[3:4], v[127:128]
	s_waitcnt vmcnt(56)
	v_fma_f64 v[123:124], v[5:6], v[111:112], -v[123:124]
	v_fma_f64 v[111:112], v[7:8], v[111:112], v[166:167]
	v_add_f64 v[109:110], v[109:110], v[117:118]
	s_clause 0x2
	buffer_load_dword v161, off, s[0:3], 0 offset:492
	buffer_load_dword v118, off, s[0:3], 0 offset:468
	;; [unrolled: 1-line block ×3, first 2 shown]
	v_add_f64 v[113:114], v[125:126], v[113:114]
	s_waitcnt vmcnt(58) lgkmcnt(0)
	v_mul_f64 v[125:126], v[105:106], v[131:132]
	v_mul_f64 v[131:132], v[107:108], v[131:132]
	ds_read_b128 v[5:8], v157 offset:1024
	s_waitcnt vmcnt(56)
	v_fma_f64 v[127:128], v[1:2], v[133:134], -v[127:128]
	v_add_f64 v[109:110], v[109:110], v[123:124]
	v_fma_f64 v[123:124], v[3:4], v[133:134], v[189:190]
	v_add_f64 v[111:112], v[113:114], v[111:112]
	s_clause 0x4
	buffer_load_dword v114, off, s[0:3], 0 offset:508
	buffer_load_dword v133, off, s[0:3], 0 offset:520
	;; [unrolled: 1-line block ×5, first 2 shown]
	s_waitcnt vmcnt(57) lgkmcnt(0)
	v_mul_f64 v[189:190], v[5:6], v[135:136]
	v_mul_f64 v[135:136], v[7:8], v[135:136]
	s_waitcnt vmcnt(56)
	v_fma_f64 v[131:132], v[105:106], v[119:120], -v[131:132]
	ds_read_b128 v[1:4], v157 offset:1040
	v_fma_f64 v[119:120], v[107:108], v[119:120], v[125:126]
	v_add_f64 v[109:110], v[109:110], v[127:128]
	v_add_f64 v[111:112], v[111:112], v[123:124]
	s_clause 0x2
	buffer_load_dword v134, off, s[0:3], 0 offset:524
	buffer_load_dword v124, off, s[0:3], 0 offset:500
	;; [unrolled: 1-line block ×3, first 2 shown]
	ds_read_b128 v[105:108], v157 offset:1056
	s_waitcnt vmcnt(58) lgkmcnt(1)
	v_mul_f64 v[127:128], v[3:4], v[139:140]
	s_waitcnt vmcnt(56)
	v_fma_f64 v[135:136], v[5:6], v[141:142], -v[135:136]
	v_mul_f64 v[125:126], v[1:2], v[139:140]
	v_add_f64 v[109:110], v[109:110], v[131:132]
	v_fma_f64 v[131:132], v[7:8], v[141:142], v[189:190]
	v_add_f64 v[111:112], v[111:112], v[119:120]
	s_clause 0x4
	buffer_load_dword v120, off, s[0:3], 0 offset:540
	buffer_load_dword v139, off, s[0:3], 0 offset:552
	;; [unrolled: 1-line block ×5, first 2 shown]
	s_waitcnt vmcnt(57) lgkmcnt(0)
	v_mul_f64 v[189:190], v[105:106], v[143:144]
	v_mul_f64 v[142:143], v[107:108], v[143:144]
	s_waitcnt vmcnt(56)
	v_fma_f64 v[127:128], v[1:2], v[129:130], -v[127:128]
	ds_read_b128 v[5:8], v157 offset:1072
	v_fma_f64 v[125:126], v[3:4], v[129:130], v[125:126]
	s_clause 0x2
	buffer_load_dword v140, off, s[0:3], 0 offset:556
	buffer_load_dword v130, off, s[0:3], 0 offset:532
	;; [unrolled: 1-line block ×3, first 2 shown]
	ds_read_b128 v[1:4], v157 offset:1088
	v_add_f64 v[109:110], v[109:110], v[135:136]
	v_add_f64 v[111:112], v[111:112], v[131:132]
	s_waitcnt vmcnt(58) lgkmcnt(1)
	v_mul_f64 v[135:136], v[7:8], v[147:148]
	s_waitcnt vmcnt(56)
	v_fma_f64 v[143:144], v[105:106], v[149:150], -v[142:143]
	v_mul_f64 v[131:132], v[5:6], v[147:148]
	v_add_f64 v[109:110], v[109:110], v[127:128]
	v_fma_f64 v[127:128], v[107:108], v[149:150], v[189:190]
	v_add_f64 v[111:112], v[111:112], v[125:126]
	s_clause 0x4
	buffer_load_dword v126, off, s[0:3], 0 offset:572
	buffer_load_dword v147, off, s[0:3], 0 offset:584
	;; [unrolled: 1-line block ×5, first 2 shown]
	s_waitcnt vmcnt(57) lgkmcnt(0)
	v_mul_f64 v[189:190], v[1:2], v[151:152]
	v_mul_f64 v[150:151], v[3:4], v[151:152]
	s_waitcnt vmcnt(56)
	v_fma_f64 v[135:136], v[5:6], v[137:138], -v[135:136]
	ds_read_b128 v[105:108], v157 offset:1104
	v_fma_f64 v[131:132], v[7:8], v[137:138], v[131:132]
	v_add_f64 v[109:110], v[109:110], v[143:144]
	v_add_f64 v[111:112], v[111:112], v[127:128]
	s_clause 0x2
	buffer_load_dword v148, off, s[0:3], 0 offset:588
	buffer_load_dword v128, off, s[0:3], 0 offset:564
	;; [unrolled: 1-line block ×3, first 2 shown]
	ds_read_b128 v[5:8], v157 offset:1120
	s_waitcnt vmcnt(58) lgkmcnt(1)
	v_mul_f64 v[143:144], v[107:108], v[153:154]
	s_waitcnt vmcnt(56)
	v_fma_f64 v[151:152], v[1:2], v[155:156], -v[150:151]
	v_mul_f64 v[137:138], v[105:106], v[153:154]
	v_add_f64 v[109:110], v[109:110], v[135:136]
	v_fma_f64 v[135:136], v[3:4], v[155:156], v[189:190]
	v_add_f64 v[111:112], v[111:112], v[131:132]
	s_clause 0x4
	buffer_load_dword v132, off, s[0:3], 0 offset:604
	buffer_load_dword v153, off, s[0:3], 0 offset:616
	buffer_load_dword v155, off, s[0:3], 0 offset:608
	buffer_load_dword v131, off, s[0:3], 0 offset:600
	buffer_load_dword v150, off, s[0:3], 0 offset:580
	s_waitcnt vmcnt(57) lgkmcnt(0)
	v_mul_f64 v[189:190], v[5:6], v[174:175]
	v_mul_f64 v[174:175], v[7:8], v[174:175]
	s_waitcnt vmcnt(56)
	v_fma_f64 v[143:144], v[105:106], v[145:146], -v[143:144]
	ds_read_b128 v[1:4], v157 offset:1136
	v_fma_f64 v[137:138], v[107:108], v[145:146], v[137:138]
	v_add_f64 v[109:110], v[109:110], v[151:152]
	v_add_f64 v[111:112], v[111:112], v[135:136]
	s_clause 0x2
	buffer_load_dword v154, off, s[0:3], 0 offset:620
	buffer_load_dword v136, off, s[0:3], 0 offset:596
	;; [unrolled: 1-line block ×3, first 2 shown]
	ds_read_b128 v[105:108], v157 offset:1152
	s_waitcnt vmcnt(58) lgkmcnt(1)
	v_mul_f64 v[151:152], v[3:4], v[176:177]
	s_waitcnt vmcnt(56)
	v_fma_f64 v[174:175], v[5:6], v[181:182], -v[174:175]
	v_mul_f64 v[145:146], v[1:2], v[176:177]
	v_add_f64 v[109:110], v[109:110], v[143:144]
	v_fma_f64 v[143:144], v[7:8], v[181:182], v[189:190]
	v_add_f64 v[111:112], v[111:112], v[137:138]
	s_clause 0x4
	buffer_load_dword v138, off, s[0:3], 0 offset:636
	buffer_load_dword v176, off, s[0:3], 0 offset:648
	;; [unrolled: 1-line block ×5, first 2 shown]
	ds_read_b128 v[5:8], v157 offset:1168
	s_waitcnt vmcnt(57) lgkmcnt(1)
	v_mul_f64 v[181:182], v[105:106], v[168:169]
	v_mul_f64 v[168:169], v[107:108], v[168:169]
	s_waitcnt vmcnt(56)
	v_fma_f64 v[151:152], v[1:2], v[178:179], -v[151:152]
	v_fma_f64 v[145:146], v[3:4], v[178:179], v[145:146]
	v_add_f64 v[109:110], v[109:110], v[174:175]
	v_add_f64 v[111:112], v[111:112], v[143:144]
	s_clause 0x2
	buffer_load_dword v177, off, s[0:3], 0 offset:652
	buffer_load_dword v144, off, s[0:3], 0 offset:628
	;; [unrolled: 1-line block ×3, first 2 shown]
	ds_read_b128 v[1:4], v157 offset:1184
	s_waitcnt vmcnt(58) lgkmcnt(1)
	v_mul_f64 v[178:179], v[7:8], v[185:186]
	v_mul_f64 v[174:175], v[5:6], v[185:186]
	s_waitcnt vmcnt(56)
	v_fma_f64 v[168:169], v[105:106], v[162:163], -v[168:169]
	v_add_f64 v[109:110], v[109:110], v[151:152]
	v_fma_f64 v[151:152], v[107:108], v[162:163], v[181:182]
	v_add_f64 v[111:112], v[111:112], v[145:146]
	s_clause 0x4
	buffer_load_dword v146, off, s[0:3], 0 offset:668
	buffer_load_dword v162, off, s[0:3], 0 offset:680
	buffer_load_dword v185, off, s[0:3], 0 offset:672
	buffer_load_dword v145, off, s[0:3], 0 offset:664
	buffer_load_dword v181, off, s[0:3], 0 offset:644
	ds_read_b128 v[105:108], v157 offset:1200
	s_waitcnt vmcnt(57) lgkmcnt(1)
	v_mul_f64 v[189:190], v[1:2], v[121:122]
	v_mul_f64 v[121:122], v[3:4], v[121:122]
	s_waitcnt vmcnt(56)
	v_fma_f64 v[178:179], v[5:6], v[187:188], -v[178:179]
	v_add_f64 v[109:110], v[109:110], v[168:169]
	v_fma_f64 v[168:169], v[7:8], v[187:188], v[174:175]
	v_add_f64 v[111:112], v[111:112], v[151:152]
	s_clause 0x2
	buffer_load_dword v163, off, s[0:3], 0 offset:684
	buffer_load_dword v152, off, s[0:3], 0 offset:660
	buffer_load_dword v151, off, s[0:3], 0 offset:656
	ds_read_b128 v[5:8], v157 offset:1216
	s_waitcnt vmcnt(58) lgkmcnt(1)
	v_mul_f64 v[174:175], v[105:106], v[170:171]
	v_mul_f64 v[170:171], v[107:108], v[170:171]
	s_waitcnt vmcnt(56)
	v_fma_f64 v[121:122], v[1:2], v[115:116], -v[121:122]
	v_fma_f64 v[115:116], v[3:4], v[115:116], v[189:190]
	v_add_f64 v[109:110], v[109:110], v[178:179]
	v_add_f64 v[111:112], v[111:112], v[168:169]
	s_clause 0x4
	buffer_load_dword v169, off, s[0:3], 0 offset:700
	buffer_load_dword v178, off, s[0:3], 0 offset:712
	buffer_load_dword v182, off, s[0:3], 0 offset:704
	buffer_load_dword v168, off, s[0:3], 0 offset:696
	buffer_load_dword v186, off, s[0:3], 0 offset:676
	ds_read_b128 v[1:4], v157 offset:1232
	s_waitcnt vmcnt(57) lgkmcnt(1)
	v_mul_f64 v[187:188], v[5:6], v[158:159]
	v_mul_f64 v[158:159], v[7:8], v[158:159]
	s_waitcnt vmcnt(56)
	v_fma_f64 v[170:171], v[105:106], v[183:184], -v[170:171]
	v_add_f64 v[109:110], v[109:110], v[121:122]
	v_fma_f64 v[121:122], v[107:108], v[183:184], v[174:175]
	v_add_f64 v[111:112], v[111:112], v[115:116]
	s_clause 0x2
	buffer_load_dword v179, off, s[0:3], 0 offset:716
	buffer_load_dword v116, off, s[0:3], 0 offset:692
	buffer_load_dword v115, off, s[0:3], 0 offset:688
	ds_read_b128 v[105:108], v157 offset:1248
	s_waitcnt vmcnt(58) lgkmcnt(1)
	v_mul_f64 v[174:175], v[1:2], v[160:161]
	v_mul_f64 v[160:161], v[3:4], v[160:161]
	s_waitcnt vmcnt(56)
	v_fma_f64 v[158:159], v[5:6], v[117:118], -v[158:159]
	v_fma_f64 v[117:118], v[7:8], v[117:118], v[187:188]
	v_add_f64 v[109:110], v[109:110], v[170:171]
	;; [unrolled: 28-line block ×3, first 2 shown]
	v_add_f64 v[111:112], v[111:112], v[158:159]
	s_clause 0x4
	buffer_load_dword v159, off, s[0:3], 0 offset:764
	buffer_load_dword v160, off, s[0:3], 0 offset:776
	;; [unrolled: 1-line block ×5, first 2 shown]
	ds_read_b128 v[105:108], v157 offset:1296
	s_waitcnt vmcnt(57) lgkmcnt(1)
	v_mul_f64 v[189:190], v[1:2], v[119:120]
	v_mul_f64 v[119:120], v[3:4], v[119:120]
	s_waitcnt vmcnt(56)
	v_fma_f64 v[133:134], v[5:6], v[166:167], -v[133:134]
	v_add_f64 v[109:110], v[109:110], v[113:114]
	v_fma_f64 v[113:114], v[7:8], v[166:167], v[172:173]
	v_add_f64 v[111:112], v[111:112], v[123:124]
	s_clause 0x2
	buffer_load_dword v161, off, s[0:3], 0 offset:780
	buffer_load_dword v124, off, s[0:3], 0 offset:756
	;; [unrolled: 1-line block ×3, first 2 shown]
	s_waitcnt vmcnt(58) lgkmcnt(0)
	v_mul_f64 v[166:167], v[105:106], v[139:140]
	v_mul_f64 v[139:140], v[107:108], v[139:140]
	ds_read_b128 v[5:8], v157 offset:1312
	buffer_load_dword v175, off, s[0:3], 0 offset:772
	s_waitcnt vmcnt(57)
	v_fma_f64 v[119:120], v[1:2], v[129:130], -v[119:120]
	v_fma_f64 v[129:130], v[3:4], v[129:130], v[189:190]
	ds_read_b128 v[1:4], v157 offset:1328
	v_add_f64 v[109:110], v[109:110], v[133:134]
	v_add_f64 v[111:112], v[111:112], v[113:114]
	s_waitcnt vmcnt(53) lgkmcnt(1)
	v_mul_f64 v[113:114], v[5:6], v[125:126]
	v_mul_f64 v[125:126], v[7:8], v[125:126]
	s_waitcnt vmcnt(52)
	v_fma_f64 v[133:134], v[105:106], v[141:142], -v[139:140]
	v_add_f64 v[109:110], v[109:110], v[119:120]
	v_fma_f64 v[119:120], v[107:108], v[141:142], v[166:167]
	v_add_f64 v[111:112], v[111:112], v[129:130]
	ds_read_b128 v[105:108], v157 offset:1344
	s_waitcnt vmcnt(51) lgkmcnt(1)
	v_mul_f64 v[139:140], v[3:4], v[147:148]
	v_mul_f64 v[129:130], v[1:2], v[147:148]
	s_waitcnt vmcnt(49)
	v_fma_f64 v[125:126], v[5:6], v[127:128], -v[125:126]
	v_fma_f64 v[113:114], v[7:8], v[127:128], v[113:114]
	v_add_f64 v[109:110], v[109:110], v[133:134]
	v_add_f64 v[111:112], v[111:112], v[119:120]
	s_clause 0x3
	buffer_load_dword v119, off, s[0:3], 0 offset:112
	buffer_load_dword v120, off, s[0:3], 0 offset:116
	buffer_load_dword v127, off, s[0:3], 0 offset:120
	buffer_load_dword v128, off, s[0:3], 0 offset:124
	ds_read_b128 v[5:8], v157 offset:1360
	s_waitcnt vmcnt(49) lgkmcnt(1)
	v_mul_f64 v[133:134], v[105:106], v[131:132]
	v_mul_f64 v[131:132], v[107:108], v[131:132]
	s_waitcnt vmcnt(48)
	v_fma_f64 v[139:140], v[1:2], v[149:150], -v[139:140]
	v_add_f64 v[109:110], v[109:110], v[125:126]
	v_fma_f64 v[125:126], v[3:4], v[149:150], v[129:130]
	v_add_f64 v[111:112], v[111:112], v[113:114]
	ds_read_b128 v[1:4], v157 offset:1376
	s_waitcnt vmcnt(47) lgkmcnt(1)
	v_mul_f64 v[129:130], v[7:8], v[153:154]
	v_mul_f64 v[113:114], v[5:6], v[153:154]
	s_waitcnt vmcnt(45)
	v_fma_f64 v[131:132], v[105:106], v[135:136], -v[131:132]
	v_fma_f64 v[133:134], v[107:108], v[135:136], v[133:134]
	ds_read_b128 v[105:108], v157 offset:1392
	v_add_f64 v[109:110], v[109:110], v[139:140]
	v_add_f64 v[111:112], v[111:112], v[125:126]
	s_waitcnt vmcnt(41) lgkmcnt(1)
	v_mul_f64 v[135:136], v[3:4], v[137:138]
	s_waitcnt vmcnt(40)
	v_fma_f64 v[129:130], v[5:6], v[155:156], -v[129:130]
	v_mul_f64 v[125:126], v[1:2], v[137:138]
	v_fma_f64 v[113:114], v[7:8], v[155:156], v[113:114]
	ds_read_b128 v[5:8], v157 offset:1408
	v_add_f64 v[109:110], v[109:110], v[131:132]
	v_add_f64 v[111:112], v[111:112], v[133:134]
	s_waitcnt vmcnt(39) lgkmcnt(1)
	v_mul_f64 v[133:134], v[107:108], v[176:177]
	v_mul_f64 v[131:132], v[105:106], v[176:177]
	s_waitcnt vmcnt(37)
	v_fma_f64 v[135:136], v[1:2], v[143:144], -v[135:136]
	v_fma_f64 v[125:126], v[3:4], v[143:144], v[125:126]
	ds_read_b128 v[1:4], v157 offset:1424
	v_add_f64 v[109:110], v[109:110], v[129:130]
	v_add_f64 v[111:112], v[111:112], v[113:114]
	s_waitcnt vmcnt(33) lgkmcnt(1)
	v_mul_f64 v[129:130], v[7:8], v[145:146]
	s_waitcnt vmcnt(32)
	v_fma_f64 v[133:134], v[105:106], v[180:181], -v[133:134]
	v_mul_f64 v[113:114], v[5:6], v[145:146]
	v_fma_f64 v[131:132], v[107:108], v[180:181], v[131:132]
	ds_read_b128 v[105:108], v157 offset:1440
	v_add_f64 v[109:110], v[109:110], v[135:136]
	v_add_f64 v[111:112], v[111:112], v[125:126]
	;; [unrolled: 18-line block ×3, first 2 shown]
	s_waitcnt vmcnt(23) lgkmcnt(1)
	v_mul_f64 v[129:130], v[7:8], v[178:179]
	v_mul_f64 v[113:114], v[5:6], v[178:179]
	s_waitcnt vmcnt(21)
	v_fma_f64 v[133:134], v[105:106], v[115:116], -v[133:134]
	v_fma_f64 v[115:116], v[107:108], v[115:116], v[131:132]
	ds_read_b128 v[105:108], v157 offset:1488
	v_add_f64 v[109:110], v[109:110], v[135:136]
	v_add_f64 v[111:112], v[111:112], v[125:126]
	s_waitcnt vmcnt(17) lgkmcnt(1)
	v_mul_f64 v[125:126], v[1:2], v[121:122]
	v_mul_f64 v[121:122], v[3:4], v[121:122]
	s_waitcnt vmcnt(16)
	v_fma_f64 v[129:130], v[5:6], v[182:183], -v[129:130]
	v_fma_f64 v[113:114], v[7:8], v[182:183], v[113:114]
	ds_read_b128 v[5:8], v157 offset:1504
	v_add_f64 v[109:110], v[109:110], v[133:134]
	v_add_f64 v[111:112], v[111:112], v[115:116]
	;; [unrolled: 9-line block ×3, first 2 shown]
	s_waitcnt vmcnt(9) lgkmcnt(1)
	v_mul_f64 v[125:126], v[7:8], v[158:159]
	s_waitcnt vmcnt(8)
	v_fma_f64 v[105:106], v[105:106], v[187:188], -v[131:132]
	v_mul_f64 v[113:114], v[5:6], v[158:159]
	v_fma_f64 v[107:108], v[107:108], v[187:188], v[115:116]
	v_add_f64 v[109:110], v[109:110], v[121:122]
	v_add_f64 v[111:112], v[111:112], v[117:118]
	s_waitcnt vmcnt(7) lgkmcnt(0)
	v_mul_f64 v[117:118], v[3:4], v[160:161]
	v_mul_f64 v[115:116], v[1:2], v[160:161]
	s_waitcnt vmcnt(5)
	v_fma_f64 v[5:6], v[5:6], v[123:124], -v[125:126]
	v_fma_f64 v[7:8], v[7:8], v[123:124], v[113:114]
	v_add_f64 v[105:106], v[109:110], v[105:106]
	v_add_f64 v[107:108], v[111:112], v[107:108]
	s_waitcnt vmcnt(4)
	v_fma_f64 v[1:2], v[1:2], v[174:175], -v[117:118]
	v_fma_f64 v[3:4], v[3:4], v[174:175], v[115:116]
	v_add_f64 v[5:6], v[105:106], v[5:6]
	v_add_f64 v[7:8], v[107:108], v[7:8]
	;; [unrolled: 1-line block ×4, first 2 shown]
	s_waitcnt vmcnt(2)
	v_add_f64 v[1:2], v[119:120], -v[1:2]
	s_waitcnt vmcnt(0)
	v_add_f64 v[3:4], v[127:128], -v[3:4]
	buffer_store_dword v2, off, s[0:3], 0 offset:116
	buffer_store_dword v1, off, s[0:3], 0 offset:112
	;; [unrolled: 1-line block ×4, first 2 shown]
	v_cmpx_lt_u32_e32 5, v0
	s_cbranch_execz .LBB111_291
; %bb.290:
	v_mov_b32_e32 v4, s55
	s_clause 0x3
	buffer_load_dword v1, v4, s[0:3], 0 offen
	buffer_load_dword v2, v4, s[0:3], 0 offen offset:4
	buffer_load_dword v3, v4, s[0:3], 0 offen offset:8
	buffer_load_dword v4, v4, s[0:3], 0 offen offset:12
	buffer_store_dword v157, off, s[0:3], 0 offset:96
	buffer_store_dword v157, off, s[0:3], 0 offset:100
	;; [unrolled: 1-line block ×4, first 2 shown]
	s_waitcnt vmcnt(0)
	ds_write_b128 v165, v[1:4]
.LBB111_291:
	s_or_b32 exec_lo, exec_lo, s4
	s_waitcnt lgkmcnt(0)
	s_waitcnt_vscnt null, 0x0
	s_barrier
	buffer_gl0_inv
	s_clause 0x37
	buffer_load_dword v105, off, s[0:3], 0 offset:120
	buffer_load_dword v106, off, s[0:3], 0 offset:124
	;; [unrolled: 1-line block ×56, first 2 shown]
	ds_read_b128 v[158:161], v157 offset:864
	s_clause 0x2
	buffer_load_dword v154, off, s[0:3], 0 offset:348
	buffer_load_dword v156, off, s[0:3], 0 offset:324
	;; [unrolled: 1-line block ×3, first 2 shown]
	ds_read_b128 v[166:169], v157 offset:880
	s_clause 0x4
	buffer_load_dword v175, off, s[0:3], 0 offset:364
	buffer_load_dword v176, off, s[0:3], 0 offset:376
	;; [unrolled: 1-line block ×5, first 2 shown]
	ds_read_b128 v[170:173], v157 offset:896
	s_clause 0x2
	buffer_load_dword v177, off, s[0:3], 0 offset:380
	buffer_load_dword v182, off, s[0:3], 0 offset:356
	;; [unrolled: 1-line block ×3, first 2 shown]
	s_mov_b32 s4, exec_lo
	s_waitcnt vmcnt(62) lgkmcnt(2)
	v_mul_f64 v[162:163], v[160:161], v[105:106]
	v_mul_f64 v[105:106], v[158:159], v[105:106]
	s_waitcnt lgkmcnt(1)
	v_mul_f64 v[179:180], v[168:169], v[5:6]
	s_waitcnt vmcnt(59) lgkmcnt(0)
	v_mul_f64 v[183:184], v[172:173], v[3:4]
	v_fma_f64 v[158:159], v[158:159], v[7:8], -v[162:163]
	v_mul_f64 v[162:163], v[166:167], v[5:6]
	v_fma_f64 v[105:106], v[160:161], v[7:8], v[105:106]
	s_waitcnt vmcnt(57)
	v_fma_f64 v[166:167], v[166:167], v[1:2], -v[179:180]
	ds_read_b128 v[5:8], v157 offset:912
	v_mul_f64 v[160:161], v[170:171], v[3:4]
	s_waitcnt vmcnt(51)
	v_fma_f64 v[170:171], v[170:171], v[121:122], -v[183:184]
	v_add_f64 v[158:159], v[158:159], 0
	v_fma_f64 v[162:163], v[168:169], v[1:2], v[162:163]
	v_add_f64 v[105:106], v[105:106], 0
	s_clause 0x4
	buffer_load_dword v169, off, s[0:3], 0 offset:396
	buffer_load_dword v185, off, s[0:3], 0 offset:408
	;; [unrolled: 1-line block ×5, first 2 shown]
	s_waitcnt lgkmcnt(0)
	v_mul_f64 v[188:189], v[5:6], v[109:110]
	v_mul_f64 v[109:110], v[7:8], v[109:110]
	ds_read_b128 v[1:4], v157 offset:928
	v_fma_f64 v[121:122], v[172:173], v[121:122], v[160:161]
	v_add_f64 v[166:167], v[158:159], v[166:167]
	v_add_f64 v[105:106], v[105:106], v[162:163]
	s_clause 0x2
	buffer_load_dword v186, off, s[0:3], 0 offset:412
	buffer_load_dword v163, off, s[0:3], 0 offset:388
	buffer_load_dword v162, off, s[0:3], 0 offset:384
	s_waitcnt vmcnt(58) lgkmcnt(0)
	v_mul_f64 v[172:173], v[1:2], v[113:114]
	v_mul_f64 v[113:114], v[3:4], v[113:114]
	s_waitcnt vmcnt(56)
	v_fma_f64 v[109:110], v[5:6], v[115:116], -v[109:110]
	ds_read_b128 v[158:161], v157 offset:944
	v_fma_f64 v[115:116], v[7:8], v[115:116], v[188:189]
	v_add_f64 v[166:167], v[166:167], v[170:171]
	v_add_f64 v[105:106], v[105:106], v[121:122]
	s_clause 0x4
	buffer_load_dword v122, off, s[0:3], 0 offset:428
	buffer_load_dword v170, off, s[0:3], 0 offset:440
	;; [unrolled: 1-line block ×5, first 2 shown]
	ds_read_b128 v[5:8], v157 offset:960
	s_waitcnt vmcnt(57) lgkmcnt(1)
	v_mul_f64 v[189:190], v[158:159], v[117:118]
	v_mul_f64 v[117:118], v[160:161], v[117:118]
	s_waitcnt vmcnt(56)
	v_fma_f64 v[113:114], v[1:2], v[107:108], -v[113:114]
	v_fma_f64 v[107:108], v[3:4], v[107:108], v[172:173]
	v_add_f64 v[109:110], v[166:167], v[109:110]
	v_add_f64 v[105:106], v[105:106], v[115:116]
	s_clause 0x2
	buffer_load_dword v171, off, s[0:3], 0 offset:444
	buffer_load_dword v116, off, s[0:3], 0 offset:420
	;; [unrolled: 1-line block ×3, first 2 shown]
	s_waitcnt vmcnt(58) lgkmcnt(0)
	v_mul_f64 v[166:167], v[5:6], v[123:124]
	v_mul_f64 v[123:124], v[7:8], v[123:124]
	s_waitcnt vmcnt(56)
	v_fma_f64 v[117:118], v[158:159], v[125:126], -v[117:118]
	ds_read_b128 v[1:4], v157 offset:976
	v_add_f64 v[109:110], v[109:110], v[113:114]
	v_fma_f64 v[113:114], v[160:161], v[125:126], v[189:190]
	v_add_f64 v[125:126], v[105:106], v[107:108]
	s_clause 0x4
	buffer_load_dword v159, off, s[0:3], 0 offset:460
	buffer_load_dword v160, off, s[0:3], 0 offset:472
	;; [unrolled: 1-line block ×5, first 2 shown]
	ds_read_b128 v[105:108], v157 offset:992
	s_waitcnt vmcnt(57) lgkmcnt(1)
	v_mul_f64 v[189:190], v[1:2], v[127:128]
	v_mul_f64 v[127:128], v[3:4], v[127:128]
	s_waitcnt vmcnt(56)
	v_fma_f64 v[123:124], v[5:6], v[111:112], -v[123:124]
	v_fma_f64 v[111:112], v[7:8], v[111:112], v[166:167]
	v_add_f64 v[109:110], v[109:110], v[117:118]
	s_clause 0x2
	buffer_load_dword v161, off, s[0:3], 0 offset:476
	buffer_load_dword v118, off, s[0:3], 0 offset:452
	;; [unrolled: 1-line block ×3, first 2 shown]
	v_add_f64 v[113:114], v[125:126], v[113:114]
	s_waitcnt vmcnt(58) lgkmcnt(0)
	v_mul_f64 v[125:126], v[105:106], v[131:132]
	v_mul_f64 v[131:132], v[107:108], v[131:132]
	ds_read_b128 v[5:8], v157 offset:1008
	s_waitcnt vmcnt(56)
	v_fma_f64 v[127:128], v[1:2], v[133:134], -v[127:128]
	v_add_f64 v[109:110], v[109:110], v[123:124]
	v_fma_f64 v[123:124], v[3:4], v[133:134], v[189:190]
	v_add_f64 v[111:112], v[113:114], v[111:112]
	s_clause 0x4
	buffer_load_dword v114, off, s[0:3], 0 offset:492
	buffer_load_dword v133, off, s[0:3], 0 offset:504
	;; [unrolled: 1-line block ×5, first 2 shown]
	s_waitcnt vmcnt(57) lgkmcnt(0)
	v_mul_f64 v[189:190], v[5:6], v[135:136]
	v_mul_f64 v[135:136], v[7:8], v[135:136]
	s_waitcnt vmcnt(56)
	v_fma_f64 v[131:132], v[105:106], v[119:120], -v[131:132]
	ds_read_b128 v[1:4], v157 offset:1024
	v_fma_f64 v[119:120], v[107:108], v[119:120], v[125:126]
	v_add_f64 v[109:110], v[109:110], v[127:128]
	v_add_f64 v[111:112], v[111:112], v[123:124]
	s_clause 0x2
	buffer_load_dword v134, off, s[0:3], 0 offset:508
	buffer_load_dword v124, off, s[0:3], 0 offset:484
	;; [unrolled: 1-line block ×3, first 2 shown]
	ds_read_b128 v[105:108], v157 offset:1040
	s_waitcnt vmcnt(58) lgkmcnt(1)
	v_mul_f64 v[127:128], v[3:4], v[139:140]
	s_waitcnt vmcnt(56)
	v_fma_f64 v[135:136], v[5:6], v[141:142], -v[135:136]
	v_mul_f64 v[125:126], v[1:2], v[139:140]
	v_add_f64 v[109:110], v[109:110], v[131:132]
	v_fma_f64 v[131:132], v[7:8], v[141:142], v[189:190]
	v_add_f64 v[111:112], v[111:112], v[119:120]
	s_clause 0x4
	buffer_load_dword v120, off, s[0:3], 0 offset:524
	buffer_load_dword v139, off, s[0:3], 0 offset:536
	;; [unrolled: 1-line block ×5, first 2 shown]
	s_waitcnt vmcnt(57) lgkmcnt(0)
	v_mul_f64 v[189:190], v[105:106], v[143:144]
	v_mul_f64 v[142:143], v[107:108], v[143:144]
	s_waitcnt vmcnt(56)
	v_fma_f64 v[127:128], v[1:2], v[129:130], -v[127:128]
	ds_read_b128 v[5:8], v157 offset:1056
	v_fma_f64 v[125:126], v[3:4], v[129:130], v[125:126]
	s_clause 0x2
	buffer_load_dword v140, off, s[0:3], 0 offset:540
	buffer_load_dword v130, off, s[0:3], 0 offset:516
	;; [unrolled: 1-line block ×3, first 2 shown]
	ds_read_b128 v[1:4], v157 offset:1072
	v_add_f64 v[109:110], v[109:110], v[135:136]
	v_add_f64 v[111:112], v[111:112], v[131:132]
	s_waitcnt vmcnt(58) lgkmcnt(1)
	v_mul_f64 v[135:136], v[7:8], v[147:148]
	s_waitcnt vmcnt(56)
	v_fma_f64 v[143:144], v[105:106], v[149:150], -v[142:143]
	v_mul_f64 v[131:132], v[5:6], v[147:148]
	v_add_f64 v[109:110], v[109:110], v[127:128]
	v_fma_f64 v[127:128], v[107:108], v[149:150], v[189:190]
	v_add_f64 v[111:112], v[111:112], v[125:126]
	s_clause 0x4
	buffer_load_dword v126, off, s[0:3], 0 offset:556
	buffer_load_dword v147, off, s[0:3], 0 offset:568
	;; [unrolled: 1-line block ×5, first 2 shown]
	s_waitcnt vmcnt(57) lgkmcnt(0)
	v_mul_f64 v[189:190], v[1:2], v[151:152]
	v_mul_f64 v[150:151], v[3:4], v[151:152]
	s_waitcnt vmcnt(56)
	v_fma_f64 v[135:136], v[5:6], v[137:138], -v[135:136]
	ds_read_b128 v[105:108], v157 offset:1088
	v_fma_f64 v[131:132], v[7:8], v[137:138], v[131:132]
	v_add_f64 v[109:110], v[109:110], v[143:144]
	v_add_f64 v[111:112], v[111:112], v[127:128]
	s_clause 0x2
	buffer_load_dword v148, off, s[0:3], 0 offset:572
	buffer_load_dword v128, off, s[0:3], 0 offset:548
	;; [unrolled: 1-line block ×3, first 2 shown]
	ds_read_b128 v[5:8], v157 offset:1104
	s_waitcnt vmcnt(58) lgkmcnt(1)
	v_mul_f64 v[143:144], v[107:108], v[153:154]
	s_waitcnt vmcnt(56)
	v_fma_f64 v[151:152], v[1:2], v[155:156], -v[150:151]
	v_mul_f64 v[137:138], v[105:106], v[153:154]
	v_add_f64 v[109:110], v[109:110], v[135:136]
	v_fma_f64 v[135:136], v[3:4], v[155:156], v[189:190]
	v_add_f64 v[111:112], v[111:112], v[131:132]
	s_clause 0x4
	buffer_load_dword v132, off, s[0:3], 0 offset:588
	buffer_load_dword v153, off, s[0:3], 0 offset:600
	;; [unrolled: 1-line block ×5, first 2 shown]
	s_waitcnt vmcnt(57) lgkmcnt(0)
	v_mul_f64 v[189:190], v[5:6], v[174:175]
	v_mul_f64 v[174:175], v[7:8], v[174:175]
	s_waitcnt vmcnt(56)
	v_fma_f64 v[143:144], v[105:106], v[145:146], -v[143:144]
	ds_read_b128 v[1:4], v157 offset:1120
	v_fma_f64 v[137:138], v[107:108], v[145:146], v[137:138]
	v_add_f64 v[109:110], v[109:110], v[151:152]
	v_add_f64 v[111:112], v[111:112], v[135:136]
	s_clause 0x2
	buffer_load_dword v154, off, s[0:3], 0 offset:604
	buffer_load_dword v136, off, s[0:3], 0 offset:580
	;; [unrolled: 1-line block ×3, first 2 shown]
	ds_read_b128 v[105:108], v157 offset:1136
	s_waitcnt vmcnt(58) lgkmcnt(1)
	v_mul_f64 v[151:152], v[3:4], v[176:177]
	s_waitcnt vmcnt(56)
	v_fma_f64 v[174:175], v[5:6], v[181:182], -v[174:175]
	v_mul_f64 v[145:146], v[1:2], v[176:177]
	v_add_f64 v[109:110], v[109:110], v[143:144]
	v_fma_f64 v[143:144], v[7:8], v[181:182], v[189:190]
	v_add_f64 v[111:112], v[111:112], v[137:138]
	s_clause 0x4
	buffer_load_dword v138, off, s[0:3], 0 offset:620
	buffer_load_dword v176, off, s[0:3], 0 offset:632
	;; [unrolled: 1-line block ×5, first 2 shown]
	ds_read_b128 v[5:8], v157 offset:1152
	s_waitcnt vmcnt(57) lgkmcnt(1)
	v_mul_f64 v[181:182], v[105:106], v[168:169]
	v_mul_f64 v[168:169], v[107:108], v[168:169]
	s_waitcnt vmcnt(56)
	v_fma_f64 v[151:152], v[1:2], v[178:179], -v[151:152]
	v_fma_f64 v[145:146], v[3:4], v[178:179], v[145:146]
	v_add_f64 v[109:110], v[109:110], v[174:175]
	v_add_f64 v[111:112], v[111:112], v[143:144]
	s_clause 0x2
	buffer_load_dword v177, off, s[0:3], 0 offset:636
	buffer_load_dword v144, off, s[0:3], 0 offset:612
	;; [unrolled: 1-line block ×3, first 2 shown]
	ds_read_b128 v[1:4], v157 offset:1168
	s_waitcnt vmcnt(58) lgkmcnt(1)
	v_mul_f64 v[178:179], v[7:8], v[185:186]
	v_mul_f64 v[174:175], v[5:6], v[185:186]
	s_waitcnt vmcnt(56)
	v_fma_f64 v[168:169], v[105:106], v[162:163], -v[168:169]
	v_add_f64 v[109:110], v[109:110], v[151:152]
	v_fma_f64 v[151:152], v[107:108], v[162:163], v[181:182]
	v_add_f64 v[111:112], v[111:112], v[145:146]
	s_clause 0x4
	buffer_load_dword v146, off, s[0:3], 0 offset:652
	buffer_load_dword v162, off, s[0:3], 0 offset:664
	buffer_load_dword v185, off, s[0:3], 0 offset:656
	buffer_load_dword v145, off, s[0:3], 0 offset:648
	buffer_load_dword v181, off, s[0:3], 0 offset:628
	ds_read_b128 v[105:108], v157 offset:1184
	s_waitcnt vmcnt(57) lgkmcnt(1)
	v_mul_f64 v[189:190], v[1:2], v[121:122]
	v_mul_f64 v[121:122], v[3:4], v[121:122]
	s_waitcnt vmcnt(56)
	v_fma_f64 v[178:179], v[5:6], v[187:188], -v[178:179]
	v_add_f64 v[109:110], v[109:110], v[168:169]
	v_fma_f64 v[168:169], v[7:8], v[187:188], v[174:175]
	v_add_f64 v[111:112], v[111:112], v[151:152]
	s_clause 0x2
	buffer_load_dword v163, off, s[0:3], 0 offset:668
	buffer_load_dword v152, off, s[0:3], 0 offset:644
	buffer_load_dword v151, off, s[0:3], 0 offset:640
	ds_read_b128 v[5:8], v157 offset:1200
	s_waitcnt vmcnt(58) lgkmcnt(1)
	v_mul_f64 v[174:175], v[105:106], v[170:171]
	v_mul_f64 v[170:171], v[107:108], v[170:171]
	s_waitcnt vmcnt(56)
	v_fma_f64 v[121:122], v[1:2], v[115:116], -v[121:122]
	v_fma_f64 v[115:116], v[3:4], v[115:116], v[189:190]
	v_add_f64 v[109:110], v[109:110], v[178:179]
	v_add_f64 v[111:112], v[111:112], v[168:169]
	s_clause 0x4
	buffer_load_dword v169, off, s[0:3], 0 offset:684
	buffer_load_dword v178, off, s[0:3], 0 offset:696
	buffer_load_dword v182, off, s[0:3], 0 offset:688
	buffer_load_dword v168, off, s[0:3], 0 offset:680
	buffer_load_dword v186, off, s[0:3], 0 offset:660
	ds_read_b128 v[1:4], v157 offset:1216
	s_waitcnt vmcnt(57) lgkmcnt(1)
	v_mul_f64 v[187:188], v[5:6], v[158:159]
	v_mul_f64 v[158:159], v[7:8], v[158:159]
	s_waitcnt vmcnt(56)
	v_fma_f64 v[170:171], v[105:106], v[183:184], -v[170:171]
	v_add_f64 v[109:110], v[109:110], v[121:122]
	v_fma_f64 v[121:122], v[107:108], v[183:184], v[174:175]
	v_add_f64 v[111:112], v[111:112], v[115:116]
	s_clause 0x2
	buffer_load_dword v179, off, s[0:3], 0 offset:700
	buffer_load_dword v116, off, s[0:3], 0 offset:676
	buffer_load_dword v115, off, s[0:3], 0 offset:672
	ds_read_b128 v[105:108], v157 offset:1232
	s_waitcnt vmcnt(58) lgkmcnt(1)
	v_mul_f64 v[174:175], v[1:2], v[160:161]
	v_mul_f64 v[160:161], v[3:4], v[160:161]
	s_waitcnt vmcnt(56)
	v_fma_f64 v[158:159], v[5:6], v[117:118], -v[158:159]
	v_fma_f64 v[117:118], v[7:8], v[117:118], v[187:188]
	v_add_f64 v[109:110], v[109:110], v[170:171]
	;; [unrolled: 28-line block ×3, first 2 shown]
	v_add_f64 v[111:112], v[111:112], v[158:159]
	s_clause 0x4
	buffer_load_dword v159, off, s[0:3], 0 offset:748
	buffer_load_dword v160, off, s[0:3], 0 offset:760
	;; [unrolled: 1-line block ×5, first 2 shown]
	ds_read_b128 v[105:108], v157 offset:1280
	s_waitcnt vmcnt(57) lgkmcnt(1)
	v_mul_f64 v[189:190], v[1:2], v[119:120]
	v_mul_f64 v[119:120], v[3:4], v[119:120]
	s_waitcnt vmcnt(56)
	v_fma_f64 v[133:134], v[5:6], v[166:167], -v[133:134]
	v_add_f64 v[109:110], v[109:110], v[113:114]
	v_fma_f64 v[113:114], v[7:8], v[166:167], v[172:173]
	v_add_f64 v[111:112], v[111:112], v[123:124]
	s_clause 0x2
	buffer_load_dword v161, off, s[0:3], 0 offset:764
	buffer_load_dword v124, off, s[0:3], 0 offset:740
	;; [unrolled: 1-line block ×3, first 2 shown]
	s_waitcnt vmcnt(58) lgkmcnt(0)
	v_mul_f64 v[166:167], v[105:106], v[139:140]
	v_mul_f64 v[139:140], v[107:108], v[139:140]
	ds_read_b128 v[5:8], v157 offset:1296
	s_waitcnt vmcnt(56)
	v_fma_f64 v[119:120], v[1:2], v[129:130], -v[119:120]
	v_fma_f64 v[129:130], v[3:4], v[129:130], v[189:190]
	v_add_f64 v[109:110], v[109:110], v[133:134]
	v_add_f64 v[111:112], v[111:112], v[113:114]
	s_clause 0x2
	buffer_load_dword v114, off, s[0:3], 0 offset:780
	buffer_load_dword v113, off, s[0:3], 0 offset:776
	;; [unrolled: 1-line block ×3, first 2 shown]
	ds_read_b128 v[1:4], v157 offset:1312
	s_waitcnt vmcnt(55) lgkmcnt(1)
	v_mul_f64 v[133:134], v[5:6], v[125:126]
	v_mul_f64 v[125:126], v[7:8], v[125:126]
	s_waitcnt vmcnt(54)
	v_fma_f64 v[139:140], v[105:106], v[141:142], -v[139:140]
	v_add_f64 v[109:110], v[109:110], v[119:120]
	v_fma_f64 v[119:120], v[107:108], v[141:142], v[166:167]
	v_add_f64 v[111:112], v[111:112], v[129:130]
	s_clause 0x1
	buffer_load_dword v130, off, s[0:3], 0 offset:772
	buffer_load_dword v129, off, s[0:3], 0 offset:768
	ds_read_b128 v[105:108], v157 offset:1328
	s_waitcnt vmcnt(55) lgkmcnt(1)
	v_mul_f64 v[141:142], v[1:2], v[147:148]
	v_mul_f64 v[147:148], v[3:4], v[147:148]
	s_waitcnt vmcnt(53)
	v_fma_f64 v[125:126], v[5:6], v[127:128], -v[125:126]
	v_fma_f64 v[127:128], v[7:8], v[127:128], v[133:134]
	ds_read_b128 v[5:8], v157 offset:1344
	v_add_f64 v[109:110], v[109:110], v[139:140]
	v_add_f64 v[111:112], v[111:112], v[119:120]
	s_waitcnt vmcnt(49) lgkmcnt(1)
	v_mul_f64 v[119:120], v[105:106], v[131:132]
	v_mul_f64 v[131:132], v[107:108], v[131:132]
	s_waitcnt vmcnt(48)
	v_fma_f64 v[133:134], v[1:2], v[149:150], -v[147:148]
	v_add_f64 v[109:110], v[109:110], v[125:126]
	v_fma_f64 v[125:126], v[3:4], v[149:150], v[141:142]
	v_add_f64 v[111:112], v[111:112], v[127:128]
	s_clause 0x3
	buffer_load_dword v127, off, s[0:3], 0 offset:96
	buffer_load_dword v128, off, s[0:3], 0 offset:100
	;; [unrolled: 1-line block ×4, first 2 shown]
	ds_read_b128 v[1:4], v157 offset:1360
	s_waitcnt vmcnt(51) lgkmcnt(1)
	v_mul_f64 v[147:148], v[7:8], v[153:154]
	v_mul_f64 v[141:142], v[5:6], v[153:154]
	s_waitcnt vmcnt(49)
	v_fma_f64 v[131:132], v[105:106], v[135:136], -v[131:132]
	v_fma_f64 v[119:120], v[107:108], v[135:136], v[119:120]
	ds_read_b128 v[105:108], v157 offset:1376
	v_add_f64 v[109:110], v[109:110], v[133:134]
	v_add_f64 v[111:112], v[111:112], v[125:126]
	s_waitcnt vmcnt(45) lgkmcnt(1)
	v_mul_f64 v[133:134], v[3:4], v[137:138]
	s_waitcnt vmcnt(44)
	v_fma_f64 v[135:136], v[5:6], v[155:156], -v[147:148]
	v_mul_f64 v[125:126], v[1:2], v[137:138]
	v_add_f64 v[109:110], v[109:110], v[131:132]
	v_fma_f64 v[131:132], v[7:8], v[155:156], v[141:142]
	v_add_f64 v[111:112], v[111:112], v[119:120]
	ds_read_b128 v[5:8], v157 offset:1392
	s_waitcnt vmcnt(43) lgkmcnt(1)
	v_mul_f64 v[137:138], v[107:108], v[176:177]
	v_mul_f64 v[119:120], v[105:106], v[176:177]
	s_waitcnt vmcnt(41)
	v_fma_f64 v[133:134], v[1:2], v[143:144], -v[133:134]
	v_fma_f64 v[125:126], v[3:4], v[143:144], v[125:126]
	ds_read_b128 v[1:4], v157 offset:1408
	v_add_f64 v[109:110], v[109:110], v[135:136]
	v_add_f64 v[111:112], v[111:112], v[131:132]
	s_waitcnt vmcnt(37) lgkmcnt(1)
	v_mul_f64 v[135:136], v[7:8], v[145:146]
	s_waitcnt vmcnt(36)
	v_fma_f64 v[137:138], v[105:106], v[180:181], -v[137:138]
	v_mul_f64 v[131:132], v[5:6], v[145:146]
	v_fma_f64 v[119:120], v[107:108], v[180:181], v[119:120]
	ds_read_b128 v[105:108], v157 offset:1424
	v_add_f64 v[109:110], v[109:110], v[133:134]
	v_add_f64 v[111:112], v[111:112], v[125:126]
	s_waitcnt vmcnt(35) lgkmcnt(1)
	v_mul_f64 v[133:134], v[3:4], v[162:163]
	v_mul_f64 v[125:126], v[1:2], v[162:163]
	s_waitcnt vmcnt(33)
	v_fma_f64 v[135:136], v[5:6], v[151:152], -v[135:136]
	v_fma_f64 v[131:132], v[7:8], v[151:152], v[131:132]
	ds_read_b128 v[5:8], v157 offset:1440
	v_add_f64 v[109:110], v[109:110], v[137:138]
	v_add_f64 v[111:112], v[111:112], v[119:120]
	s_waitcnt vmcnt(29) lgkmcnt(1)
	v_mul_f64 v[137:138], v[107:108], v[168:169]
	s_waitcnt vmcnt(28)
	v_fma_f64 v[133:134], v[1:2], v[185:186], -v[133:134]
	v_mul_f64 v[119:120], v[105:106], v[168:169]
	v_fma_f64 v[125:126], v[3:4], v[185:186], v[125:126]
	ds_read_b128 v[1:4], v157 offset:1456
	v_add_f64 v[109:110], v[109:110], v[135:136]
	v_add_f64 v[111:112], v[111:112], v[131:132]
	s_waitcnt vmcnt(27) lgkmcnt(1)
	v_mul_f64 v[135:136], v[7:8], v[178:179]
	v_mul_f64 v[131:132], v[5:6], v[178:179]
	s_waitcnt vmcnt(25)
	v_fma_f64 v[137:138], v[105:106], v[115:116], -v[137:138]
	v_fma_f64 v[115:116], v[107:108], v[115:116], v[119:120]
	ds_read_b128 v[105:108], v157 offset:1472
	v_add_f64 v[109:110], v[109:110], v[133:134]
	v_add_f64 v[111:112], v[111:112], v[125:126]
	s_waitcnt vmcnt(21) lgkmcnt(1)
	v_mul_f64 v[119:120], v[1:2], v[121:122]
	v_mul_f64 v[121:122], v[3:4], v[121:122]
	s_waitcnt vmcnt(20)
	v_fma_f64 v[125:126], v[5:6], v[182:183], -v[135:136]
	;; [unrolled: 9-line block ×3, first 2 shown]
	v_fma_f64 v[117:118], v[3:4], v[117:118], v[119:120]
	ds_read_b128 v[1:4], v157 offset:1504
	v_add_f64 v[109:110], v[109:110], v[125:126]
	v_add_f64 v[111:112], v[111:112], v[131:132]
	s_waitcnt vmcnt(13) lgkmcnt(1)
	v_mul_f64 v[125:126], v[7:8], v[158:159]
	s_waitcnt vmcnt(12)
	v_fma_f64 v[131:132], v[105:106], v[187:188], -v[133:134]
	v_mul_f64 v[119:120], v[5:6], v[158:159]
	v_fma_f64 v[115:116], v[107:108], v[187:188], v[115:116]
	ds_read_b128 v[105:108], v157 offset:1520
	v_add_f64 v[109:110], v[109:110], v[121:122]
	v_add_f64 v[111:112], v[111:112], v[117:118]
	s_waitcnt vmcnt(11) lgkmcnt(1)
	v_mul_f64 v[121:122], v[3:4], v[160:161]
	v_mul_f64 v[117:118], v[1:2], v[160:161]
	s_waitcnt vmcnt(9)
	v_fma_f64 v[5:6], v[5:6], v[123:124], -v[125:126]
	v_fma_f64 v[7:8], v[7:8], v[123:124], v[119:120]
	v_add_f64 v[109:110], v[109:110], v[131:132]
	v_add_f64 v[111:112], v[111:112], v[115:116]
	s_waitcnt vmcnt(7) lgkmcnt(0)
	v_mul_f64 v[115:116], v[105:106], v[113:114]
	v_mul_f64 v[113:114], v[107:108], v[113:114]
	s_waitcnt vmcnt(6)
	v_fma_f64 v[1:2], v[1:2], v[174:175], -v[121:122]
	v_fma_f64 v[3:4], v[3:4], v[174:175], v[117:118]
	v_add_f64 v[5:6], v[109:110], v[5:6]
	v_add_f64 v[7:8], v[111:112], v[7:8]
	s_waitcnt vmcnt(4)
	v_fma_f64 v[105:106], v[105:106], v[129:130], -v[113:114]
	v_add_f64 v[1:2], v[5:6], v[1:2]
	v_fma_f64 v[5:6], v[107:108], v[129:130], v[115:116]
	v_add_f64 v[3:4], v[7:8], v[3:4]
	v_add_f64 v[1:2], v[1:2], v[105:106]
	;; [unrolled: 1-line block ×3, first 2 shown]
	s_waitcnt vmcnt(2)
	v_add_f64 v[1:2], v[127:128], -v[1:2]
	s_waitcnt vmcnt(0)
	v_add_f64 v[3:4], v[139:140], -v[3:4]
	buffer_store_dword v2, off, s[0:3], 0 offset:100
	buffer_store_dword v1, off, s[0:3], 0 offset:96
	;; [unrolled: 1-line block ×4, first 2 shown]
	v_cmpx_lt_u32_e32 4, v0
	s_cbranch_execz .LBB111_293
; %bb.292:
	v_mov_b32_e32 v4, s56
	v_mov_b32_e32 v5, 0
	s_clause 0x3
	buffer_load_dword v1, v4, s[0:3], 0 offen
	buffer_load_dword v2, v4, s[0:3], 0 offen offset:4
	buffer_load_dword v3, v4, s[0:3], 0 offen offset:8
	;; [unrolled: 1-line block ×3, first 2 shown]
	buffer_store_dword v5, off, s[0:3], 0 offset:80
	buffer_store_dword v5, off, s[0:3], 0 offset:84
	;; [unrolled: 1-line block ×4, first 2 shown]
	s_waitcnt vmcnt(0)
	ds_write_b128 v165, v[1:4]
.LBB111_293:
	s_or_b32 exec_lo, exec_lo, s4
	s_waitcnt lgkmcnt(0)
	s_waitcnt_vscnt null, 0x0
	s_barrier
	buffer_gl0_inv
	s_clause 0x37
	buffer_load_dword v105, off, s[0:3], 0 offset:104
	buffer_load_dword v106, off, s[0:3], 0 offset:108
	buffer_load_dword v5, off, s[0:3], 0 offset:120
	buffer_load_dword v6, off, s[0:3], 0 offset:124
	buffer_load_dword v7, off, s[0:3], 0 offset:96
	buffer_load_dword v8, off, s[0:3], 0 offset:100
	buffer_load_dword v3, off, s[0:3], 0 offset:136
	buffer_load_dword v4, off, s[0:3], 0 offset:140
	buffer_load_dword v1, off, s[0:3], 0 offset:112
	buffer_load_dword v2, off, s[0:3], 0 offset:116
	buffer_load_dword v110, off, s[0:3], 0 offset:156
	buffer_load_dword v113, off, s[0:3], 0 offset:168
	buffer_load_dword v107, off, s[0:3], 0 offset:160
	buffer_load_dword v109, off, s[0:3], 0 offset:152
	buffer_load_dword v121, off, s[0:3], 0 offset:128
	buffer_load_dword v122, off, s[0:3], 0 offset:132
	buffer_load_dword v114, off, s[0:3], 0 offset:172
	buffer_load_dword v116, off, s[0:3], 0 offset:148
	buffer_load_dword v115, off, s[0:3], 0 offset:144
	buffer_load_dword v118, off, s[0:3], 0 offset:188
	buffer_load_dword v123, off, s[0:3], 0 offset:200
	buffer_load_dword v111, off, s[0:3], 0 offset:192
	buffer_load_dword v117, off, s[0:3], 0 offset:184
	buffer_load_dword v108, off, s[0:3], 0 offset:164
	buffer_load_dword v124, off, s[0:3], 0 offset:204
	buffer_load_dword v126, off, s[0:3], 0 offset:180
	buffer_load_dword v125, off, s[0:3], 0 offset:176
	buffer_load_dword v128, off, s[0:3], 0 offset:220
	buffer_load_dword v131, off, s[0:3], 0 offset:232
	buffer_load_dword v119, off, s[0:3], 0 offset:224
	buffer_load_dword v127, off, s[0:3], 0 offset:216
	buffer_load_dword v112, off, s[0:3], 0 offset:196
	buffer_load_dword v132, off, s[0:3], 0 offset:236
	buffer_load_dword v134, off, s[0:3], 0 offset:212
	buffer_load_dword v133, off, s[0:3], 0 offset:208
	buffer_load_dword v136, off, s[0:3], 0 offset:252
	buffer_load_dword v139, off, s[0:3], 0 offset:264
	buffer_load_dword v129, off, s[0:3], 0 offset:256
	buffer_load_dword v135, off, s[0:3], 0 offset:248
	buffer_load_dword v120, off, s[0:3], 0 offset:228
	buffer_load_dword v140, off, s[0:3], 0 offset:268
	buffer_load_dword v142, off, s[0:3], 0 offset:244
	buffer_load_dword v141, off, s[0:3], 0 offset:240
	buffer_load_dword v144, off, s[0:3], 0 offset:284
	buffer_load_dword v147, off, s[0:3], 0 offset:296
	buffer_load_dword v137, off, s[0:3], 0 offset:288
	buffer_load_dword v143, off, s[0:3], 0 offset:280
	buffer_load_dword v130, off, s[0:3], 0 offset:260
	buffer_load_dword v148, off, s[0:3], 0 offset:300
	buffer_load_dword v150, off, s[0:3], 0 offset:276
	buffer_load_dword v149, off, s[0:3], 0 offset:272
	buffer_load_dword v152, off, s[0:3], 0 offset:316
	buffer_load_dword v153, off, s[0:3], 0 offset:328
	buffer_load_dword v145, off, s[0:3], 0 offset:320
	buffer_load_dword v151, off, s[0:3], 0 offset:312
	buffer_load_dword v138, off, s[0:3], 0 offset:292
	v_mov_b32_e32 v157, 0
	s_mov_b32 s4, exec_lo
	ds_read_b128 v[158:161], v157 offset:848
	s_clause 0x2
	buffer_load_dword v154, off, s[0:3], 0 offset:332
	buffer_load_dword v156, off, s[0:3], 0 offset:308
	;; [unrolled: 1-line block ×3, first 2 shown]
	ds_read_b128 v[166:169], v157 offset:864
	s_clause 0x4
	buffer_load_dword v175, off, s[0:3], 0 offset:348
	buffer_load_dword v176, off, s[0:3], 0 offset:360
	;; [unrolled: 1-line block ×5, first 2 shown]
	ds_read_b128 v[170:173], v157 offset:880
	s_clause 0x2
	buffer_load_dword v177, off, s[0:3], 0 offset:364
	buffer_load_dword v182, off, s[0:3], 0 offset:340
	;; [unrolled: 1-line block ×3, first 2 shown]
	s_waitcnt vmcnt(62) lgkmcnt(2)
	v_mul_f64 v[162:163], v[160:161], v[105:106]
	v_mul_f64 v[105:106], v[158:159], v[105:106]
	s_waitcnt lgkmcnt(1)
	v_mul_f64 v[179:180], v[168:169], v[5:6]
	s_waitcnt vmcnt(59) lgkmcnt(0)
	v_mul_f64 v[183:184], v[172:173], v[3:4]
	v_fma_f64 v[158:159], v[158:159], v[7:8], -v[162:163]
	v_mul_f64 v[162:163], v[166:167], v[5:6]
	v_fma_f64 v[105:106], v[160:161], v[7:8], v[105:106]
	s_waitcnt vmcnt(57)
	v_fma_f64 v[166:167], v[166:167], v[1:2], -v[179:180]
	ds_read_b128 v[5:8], v157 offset:896
	v_mul_f64 v[160:161], v[170:171], v[3:4]
	s_waitcnt vmcnt(51)
	v_fma_f64 v[170:171], v[170:171], v[121:122], -v[183:184]
	v_add_f64 v[158:159], v[158:159], 0
	v_fma_f64 v[162:163], v[168:169], v[1:2], v[162:163]
	v_add_f64 v[105:106], v[105:106], 0
	s_clause 0x4
	buffer_load_dword v169, off, s[0:3], 0 offset:380
	buffer_load_dword v185, off, s[0:3], 0 offset:392
	;; [unrolled: 1-line block ×5, first 2 shown]
	s_waitcnt lgkmcnt(0)
	v_mul_f64 v[188:189], v[5:6], v[109:110]
	v_mul_f64 v[109:110], v[7:8], v[109:110]
	ds_read_b128 v[1:4], v157 offset:912
	v_fma_f64 v[121:122], v[172:173], v[121:122], v[160:161]
	v_add_f64 v[166:167], v[158:159], v[166:167]
	v_add_f64 v[105:106], v[105:106], v[162:163]
	s_clause 0x2
	buffer_load_dword v186, off, s[0:3], 0 offset:396
	buffer_load_dword v163, off, s[0:3], 0 offset:372
	;; [unrolled: 1-line block ×3, first 2 shown]
	s_waitcnt vmcnt(58) lgkmcnt(0)
	v_mul_f64 v[172:173], v[1:2], v[113:114]
	v_mul_f64 v[113:114], v[3:4], v[113:114]
	s_waitcnt vmcnt(56)
	v_fma_f64 v[109:110], v[5:6], v[115:116], -v[109:110]
	ds_read_b128 v[158:161], v157 offset:928
	v_fma_f64 v[115:116], v[7:8], v[115:116], v[188:189]
	v_add_f64 v[166:167], v[166:167], v[170:171]
	v_add_f64 v[105:106], v[105:106], v[121:122]
	s_clause 0x4
	buffer_load_dword v122, off, s[0:3], 0 offset:412
	buffer_load_dword v170, off, s[0:3], 0 offset:424
	buffer_load_dword v183, off, s[0:3], 0 offset:416
	buffer_load_dword v121, off, s[0:3], 0 offset:408
	buffer_load_dword v188, off, s[0:3], 0 offset:388
	ds_read_b128 v[5:8], v157 offset:944
	s_waitcnt vmcnt(57) lgkmcnt(1)
	v_mul_f64 v[189:190], v[158:159], v[117:118]
	v_mul_f64 v[117:118], v[160:161], v[117:118]
	s_waitcnt vmcnt(56)
	v_fma_f64 v[113:114], v[1:2], v[107:108], -v[113:114]
	v_fma_f64 v[107:108], v[3:4], v[107:108], v[172:173]
	v_add_f64 v[109:110], v[166:167], v[109:110]
	v_add_f64 v[105:106], v[105:106], v[115:116]
	s_clause 0x2
	buffer_load_dword v171, off, s[0:3], 0 offset:428
	buffer_load_dword v116, off, s[0:3], 0 offset:404
	;; [unrolled: 1-line block ×3, first 2 shown]
	s_waitcnt vmcnt(58) lgkmcnt(0)
	v_mul_f64 v[166:167], v[5:6], v[123:124]
	v_mul_f64 v[123:124], v[7:8], v[123:124]
	s_waitcnt vmcnt(56)
	v_fma_f64 v[117:118], v[158:159], v[125:126], -v[117:118]
	ds_read_b128 v[1:4], v157 offset:960
	v_add_f64 v[109:110], v[109:110], v[113:114]
	v_fma_f64 v[113:114], v[160:161], v[125:126], v[189:190]
	v_add_f64 v[125:126], v[105:106], v[107:108]
	s_clause 0x4
	buffer_load_dword v159, off, s[0:3], 0 offset:444
	buffer_load_dword v160, off, s[0:3], 0 offset:456
	;; [unrolled: 1-line block ×5, first 2 shown]
	ds_read_b128 v[105:108], v157 offset:976
	s_waitcnt vmcnt(57) lgkmcnt(1)
	v_mul_f64 v[189:190], v[1:2], v[127:128]
	v_mul_f64 v[127:128], v[3:4], v[127:128]
	s_waitcnt vmcnt(56)
	v_fma_f64 v[123:124], v[5:6], v[111:112], -v[123:124]
	v_fma_f64 v[111:112], v[7:8], v[111:112], v[166:167]
	v_add_f64 v[109:110], v[109:110], v[117:118]
	s_clause 0x2
	buffer_load_dword v161, off, s[0:3], 0 offset:460
	buffer_load_dword v118, off, s[0:3], 0 offset:436
	;; [unrolled: 1-line block ×3, first 2 shown]
	v_add_f64 v[113:114], v[125:126], v[113:114]
	s_waitcnt vmcnt(58) lgkmcnt(0)
	v_mul_f64 v[125:126], v[105:106], v[131:132]
	v_mul_f64 v[131:132], v[107:108], v[131:132]
	ds_read_b128 v[5:8], v157 offset:992
	s_waitcnt vmcnt(56)
	v_fma_f64 v[127:128], v[1:2], v[133:134], -v[127:128]
	v_add_f64 v[109:110], v[109:110], v[123:124]
	v_fma_f64 v[123:124], v[3:4], v[133:134], v[189:190]
	v_add_f64 v[111:112], v[113:114], v[111:112]
	s_clause 0x4
	buffer_load_dword v114, off, s[0:3], 0 offset:476
	buffer_load_dword v133, off, s[0:3], 0 offset:488
	;; [unrolled: 1-line block ×5, first 2 shown]
	s_waitcnt vmcnt(57) lgkmcnt(0)
	v_mul_f64 v[189:190], v[5:6], v[135:136]
	v_mul_f64 v[135:136], v[7:8], v[135:136]
	s_waitcnt vmcnt(56)
	v_fma_f64 v[131:132], v[105:106], v[119:120], -v[131:132]
	ds_read_b128 v[1:4], v157 offset:1008
	v_fma_f64 v[119:120], v[107:108], v[119:120], v[125:126]
	v_add_f64 v[109:110], v[109:110], v[127:128]
	v_add_f64 v[111:112], v[111:112], v[123:124]
	s_clause 0x2
	buffer_load_dword v134, off, s[0:3], 0 offset:492
	buffer_load_dword v124, off, s[0:3], 0 offset:468
	;; [unrolled: 1-line block ×3, first 2 shown]
	ds_read_b128 v[105:108], v157 offset:1024
	s_waitcnt vmcnt(58) lgkmcnt(1)
	v_mul_f64 v[127:128], v[3:4], v[139:140]
	s_waitcnt vmcnt(56)
	v_fma_f64 v[135:136], v[5:6], v[141:142], -v[135:136]
	v_mul_f64 v[125:126], v[1:2], v[139:140]
	v_add_f64 v[109:110], v[109:110], v[131:132]
	v_fma_f64 v[131:132], v[7:8], v[141:142], v[189:190]
	v_add_f64 v[111:112], v[111:112], v[119:120]
	s_clause 0x4
	buffer_load_dword v120, off, s[0:3], 0 offset:508
	buffer_load_dword v139, off, s[0:3], 0 offset:520
	;; [unrolled: 1-line block ×5, first 2 shown]
	s_waitcnt vmcnt(57) lgkmcnt(0)
	v_mul_f64 v[189:190], v[105:106], v[143:144]
	v_mul_f64 v[142:143], v[107:108], v[143:144]
	s_waitcnt vmcnt(56)
	v_fma_f64 v[127:128], v[1:2], v[129:130], -v[127:128]
	ds_read_b128 v[5:8], v157 offset:1040
	v_fma_f64 v[125:126], v[3:4], v[129:130], v[125:126]
	s_clause 0x2
	buffer_load_dword v140, off, s[0:3], 0 offset:524
	buffer_load_dword v130, off, s[0:3], 0 offset:500
	;; [unrolled: 1-line block ×3, first 2 shown]
	ds_read_b128 v[1:4], v157 offset:1056
	v_add_f64 v[109:110], v[109:110], v[135:136]
	v_add_f64 v[111:112], v[111:112], v[131:132]
	s_waitcnt vmcnt(58) lgkmcnt(1)
	v_mul_f64 v[135:136], v[7:8], v[147:148]
	s_waitcnt vmcnt(56)
	v_fma_f64 v[143:144], v[105:106], v[149:150], -v[142:143]
	v_mul_f64 v[131:132], v[5:6], v[147:148]
	v_add_f64 v[109:110], v[109:110], v[127:128]
	v_fma_f64 v[127:128], v[107:108], v[149:150], v[189:190]
	v_add_f64 v[111:112], v[111:112], v[125:126]
	s_clause 0x4
	buffer_load_dword v126, off, s[0:3], 0 offset:540
	buffer_load_dword v147, off, s[0:3], 0 offset:552
	;; [unrolled: 1-line block ×5, first 2 shown]
	s_waitcnt vmcnt(57) lgkmcnt(0)
	v_mul_f64 v[189:190], v[1:2], v[151:152]
	v_mul_f64 v[150:151], v[3:4], v[151:152]
	s_waitcnt vmcnt(56)
	v_fma_f64 v[135:136], v[5:6], v[137:138], -v[135:136]
	ds_read_b128 v[105:108], v157 offset:1072
	v_fma_f64 v[131:132], v[7:8], v[137:138], v[131:132]
	v_add_f64 v[109:110], v[109:110], v[143:144]
	v_add_f64 v[111:112], v[111:112], v[127:128]
	s_clause 0x2
	buffer_load_dword v148, off, s[0:3], 0 offset:556
	buffer_load_dword v128, off, s[0:3], 0 offset:532
	;; [unrolled: 1-line block ×3, first 2 shown]
	ds_read_b128 v[5:8], v157 offset:1088
	s_waitcnt vmcnt(58) lgkmcnt(1)
	v_mul_f64 v[143:144], v[107:108], v[153:154]
	s_waitcnt vmcnt(56)
	v_fma_f64 v[151:152], v[1:2], v[155:156], -v[150:151]
	v_mul_f64 v[137:138], v[105:106], v[153:154]
	v_add_f64 v[109:110], v[109:110], v[135:136]
	v_fma_f64 v[135:136], v[3:4], v[155:156], v[189:190]
	v_add_f64 v[111:112], v[111:112], v[131:132]
	s_clause 0x4
	buffer_load_dword v132, off, s[0:3], 0 offset:572
	buffer_load_dword v153, off, s[0:3], 0 offset:584
	;; [unrolled: 1-line block ×5, first 2 shown]
	s_waitcnt vmcnt(57) lgkmcnt(0)
	v_mul_f64 v[189:190], v[5:6], v[174:175]
	v_mul_f64 v[174:175], v[7:8], v[174:175]
	s_waitcnt vmcnt(56)
	v_fma_f64 v[143:144], v[105:106], v[145:146], -v[143:144]
	ds_read_b128 v[1:4], v157 offset:1104
	v_fma_f64 v[137:138], v[107:108], v[145:146], v[137:138]
	v_add_f64 v[109:110], v[109:110], v[151:152]
	v_add_f64 v[111:112], v[111:112], v[135:136]
	s_clause 0x2
	buffer_load_dword v154, off, s[0:3], 0 offset:588
	buffer_load_dword v136, off, s[0:3], 0 offset:564
	;; [unrolled: 1-line block ×3, first 2 shown]
	ds_read_b128 v[105:108], v157 offset:1120
	s_waitcnt vmcnt(58) lgkmcnt(1)
	v_mul_f64 v[151:152], v[3:4], v[176:177]
	s_waitcnt vmcnt(56)
	v_fma_f64 v[174:175], v[5:6], v[181:182], -v[174:175]
	v_mul_f64 v[145:146], v[1:2], v[176:177]
	v_add_f64 v[109:110], v[109:110], v[143:144]
	v_fma_f64 v[143:144], v[7:8], v[181:182], v[189:190]
	v_add_f64 v[111:112], v[111:112], v[137:138]
	s_clause 0x4
	buffer_load_dword v138, off, s[0:3], 0 offset:604
	buffer_load_dword v176, off, s[0:3], 0 offset:616
	;; [unrolled: 1-line block ×5, first 2 shown]
	ds_read_b128 v[5:8], v157 offset:1136
	s_waitcnt vmcnt(57) lgkmcnt(1)
	v_mul_f64 v[181:182], v[105:106], v[168:169]
	v_mul_f64 v[168:169], v[107:108], v[168:169]
	s_waitcnt vmcnt(56)
	v_fma_f64 v[151:152], v[1:2], v[178:179], -v[151:152]
	v_fma_f64 v[145:146], v[3:4], v[178:179], v[145:146]
	v_add_f64 v[109:110], v[109:110], v[174:175]
	v_add_f64 v[111:112], v[111:112], v[143:144]
	s_clause 0x2
	buffer_load_dword v177, off, s[0:3], 0 offset:620
	buffer_load_dword v144, off, s[0:3], 0 offset:596
	;; [unrolled: 1-line block ×3, first 2 shown]
	ds_read_b128 v[1:4], v157 offset:1152
	s_waitcnt vmcnt(58) lgkmcnt(1)
	v_mul_f64 v[178:179], v[7:8], v[185:186]
	v_mul_f64 v[174:175], v[5:6], v[185:186]
	s_waitcnt vmcnt(56)
	v_fma_f64 v[168:169], v[105:106], v[162:163], -v[168:169]
	v_add_f64 v[109:110], v[109:110], v[151:152]
	v_fma_f64 v[151:152], v[107:108], v[162:163], v[181:182]
	v_add_f64 v[111:112], v[111:112], v[145:146]
	s_clause 0x4
	buffer_load_dword v146, off, s[0:3], 0 offset:636
	buffer_load_dword v162, off, s[0:3], 0 offset:648
	buffer_load_dword v185, off, s[0:3], 0 offset:640
	buffer_load_dword v145, off, s[0:3], 0 offset:632
	buffer_load_dword v181, off, s[0:3], 0 offset:612
	ds_read_b128 v[105:108], v157 offset:1168
	s_waitcnt vmcnt(57) lgkmcnt(1)
	v_mul_f64 v[189:190], v[1:2], v[121:122]
	v_mul_f64 v[121:122], v[3:4], v[121:122]
	s_waitcnt vmcnt(56)
	v_fma_f64 v[178:179], v[5:6], v[187:188], -v[178:179]
	v_add_f64 v[109:110], v[109:110], v[168:169]
	v_fma_f64 v[168:169], v[7:8], v[187:188], v[174:175]
	v_add_f64 v[111:112], v[111:112], v[151:152]
	s_clause 0x2
	buffer_load_dword v163, off, s[0:3], 0 offset:652
	buffer_load_dword v152, off, s[0:3], 0 offset:628
	buffer_load_dword v151, off, s[0:3], 0 offset:624
	ds_read_b128 v[5:8], v157 offset:1184
	s_waitcnt vmcnt(58) lgkmcnt(1)
	v_mul_f64 v[174:175], v[105:106], v[170:171]
	v_mul_f64 v[170:171], v[107:108], v[170:171]
	s_waitcnt vmcnt(56)
	v_fma_f64 v[121:122], v[1:2], v[115:116], -v[121:122]
	v_fma_f64 v[115:116], v[3:4], v[115:116], v[189:190]
	v_add_f64 v[109:110], v[109:110], v[178:179]
	v_add_f64 v[111:112], v[111:112], v[168:169]
	s_clause 0x4
	buffer_load_dword v169, off, s[0:3], 0 offset:668
	buffer_load_dword v178, off, s[0:3], 0 offset:680
	buffer_load_dword v182, off, s[0:3], 0 offset:672
	buffer_load_dword v168, off, s[0:3], 0 offset:664
	buffer_load_dword v186, off, s[0:3], 0 offset:644
	ds_read_b128 v[1:4], v157 offset:1200
	s_waitcnt vmcnt(57) lgkmcnt(1)
	v_mul_f64 v[187:188], v[5:6], v[158:159]
	v_mul_f64 v[158:159], v[7:8], v[158:159]
	s_waitcnt vmcnt(56)
	v_fma_f64 v[170:171], v[105:106], v[183:184], -v[170:171]
	v_add_f64 v[109:110], v[109:110], v[121:122]
	v_fma_f64 v[121:122], v[107:108], v[183:184], v[174:175]
	v_add_f64 v[111:112], v[111:112], v[115:116]
	s_clause 0x2
	buffer_load_dword v179, off, s[0:3], 0 offset:684
	buffer_load_dword v116, off, s[0:3], 0 offset:660
	buffer_load_dword v115, off, s[0:3], 0 offset:656
	ds_read_b128 v[105:108], v157 offset:1216
	s_waitcnt vmcnt(58) lgkmcnt(1)
	v_mul_f64 v[174:175], v[1:2], v[160:161]
	v_mul_f64 v[160:161], v[3:4], v[160:161]
	s_waitcnt vmcnt(56)
	v_fma_f64 v[158:159], v[5:6], v[117:118], -v[158:159]
	v_fma_f64 v[117:118], v[7:8], v[117:118], v[187:188]
	v_add_f64 v[109:110], v[109:110], v[170:171]
	;; [unrolled: 28-line block ×3, first 2 shown]
	v_add_f64 v[111:112], v[111:112], v[158:159]
	s_clause 0x4
	buffer_load_dword v159, off, s[0:3], 0 offset:732
	buffer_load_dword v160, off, s[0:3], 0 offset:744
	;; [unrolled: 1-line block ×5, first 2 shown]
	ds_read_b128 v[105:108], v157 offset:1264
	s_waitcnt vmcnt(57) lgkmcnt(1)
	v_mul_f64 v[189:190], v[1:2], v[119:120]
	v_mul_f64 v[119:120], v[3:4], v[119:120]
	s_waitcnt vmcnt(56)
	v_fma_f64 v[133:134], v[5:6], v[166:167], -v[133:134]
	v_add_f64 v[109:110], v[109:110], v[113:114]
	v_fma_f64 v[113:114], v[7:8], v[166:167], v[172:173]
	v_add_f64 v[111:112], v[111:112], v[123:124]
	s_clause 0x2
	buffer_load_dword v161, off, s[0:3], 0 offset:748
	buffer_load_dword v124, off, s[0:3], 0 offset:724
	;; [unrolled: 1-line block ×3, first 2 shown]
	s_waitcnt vmcnt(58) lgkmcnt(0)
	v_mul_f64 v[166:167], v[105:106], v[139:140]
	v_mul_f64 v[139:140], v[107:108], v[139:140]
	ds_read_b128 v[5:8], v157 offset:1280
	s_waitcnt vmcnt(56)
	v_fma_f64 v[119:120], v[1:2], v[129:130], -v[119:120]
	v_fma_f64 v[129:130], v[3:4], v[129:130], v[189:190]
	v_add_f64 v[109:110], v[109:110], v[133:134]
	v_add_f64 v[111:112], v[111:112], v[113:114]
	s_clause 0x4
	buffer_load_dword v114, off, s[0:3], 0 offset:764
	buffer_load_dword v133, off, s[0:3], 0 offset:776
	;; [unrolled: 1-line block ×5, first 2 shown]
	ds_read_b128 v[1:4], v157 offset:1296
	s_waitcnt vmcnt(57) lgkmcnt(1)
	v_mul_f64 v[189:190], v[5:6], v[125:126]
	v_mul_f64 v[125:126], v[7:8], v[125:126]
	s_waitcnt vmcnt(56)
	v_fma_f64 v[139:140], v[105:106], v[141:142], -v[139:140]
	v_add_f64 v[109:110], v[109:110], v[119:120]
	v_fma_f64 v[119:120], v[107:108], v[141:142], v[166:167]
	v_add_f64 v[111:112], v[111:112], v[129:130]
	s_clause 0x2
	buffer_load_dword v134, off, s[0:3], 0 offset:780
	buffer_load_dword v130, off, s[0:3], 0 offset:756
	;; [unrolled: 1-line block ×3, first 2 shown]
	ds_read_b128 v[105:108], v157 offset:1312
	buffer_load_dword v173, off, s[0:3], 0 offset:772
	s_waitcnt vmcnt(59) lgkmcnt(1)
	v_mul_f64 v[141:142], v[1:2], v[147:148]
	v_mul_f64 v[147:148], v[3:4], v[147:148]
	s_waitcnt vmcnt(57)
	v_fma_f64 v[125:126], v[5:6], v[127:128], -v[125:126]
	v_fma_f64 v[127:128], v[7:8], v[127:128], v[189:190]
	ds_read_b128 v[5:8], v157 offset:1328
	v_add_f64 v[109:110], v[109:110], v[139:140]
	v_add_f64 v[111:112], v[111:112], v[119:120]
	s_waitcnt vmcnt(53) lgkmcnt(1)
	v_mul_f64 v[119:120], v[105:106], v[131:132]
	v_mul_f64 v[131:132], v[107:108], v[131:132]
	s_waitcnt vmcnt(52)
	v_fma_f64 v[139:140], v[1:2], v[149:150], -v[147:148]
	v_add_f64 v[109:110], v[109:110], v[125:126]
	v_fma_f64 v[125:126], v[3:4], v[149:150], v[141:142]
	v_add_f64 v[111:112], v[111:112], v[127:128]
	ds_read_b128 v[1:4], v157 offset:1344
	s_waitcnt vmcnt(51) lgkmcnt(1)
	v_mul_f64 v[141:142], v[7:8], v[153:154]
	v_mul_f64 v[127:128], v[5:6], v[153:154]
	s_waitcnt vmcnt(49)
	v_fma_f64 v[131:132], v[105:106], v[135:136], -v[131:132]
	v_fma_f64 v[119:120], v[107:108], v[135:136], v[119:120]
	v_add_f64 v[109:110], v[109:110], v[139:140]
	v_add_f64 v[111:112], v[111:112], v[125:126]
	s_clause 0x3
	buffer_load_dword v125, off, s[0:3], 0 offset:80
	buffer_load_dword v126, off, s[0:3], 0 offset:84
	;; [unrolled: 1-line block ×4, first 2 shown]
	ds_read_b128 v[105:108], v157 offset:1360
	s_waitcnt vmcnt(49) lgkmcnt(1)
	v_mul_f64 v[139:140], v[1:2], v[137:138]
	v_mul_f64 v[137:138], v[3:4], v[137:138]
	s_waitcnt vmcnt(48)
	v_fma_f64 v[141:142], v[5:6], v[155:156], -v[141:142]
	v_fma_f64 v[127:128], v[7:8], v[155:156], v[127:128]
	ds_read_b128 v[5:8], v157 offset:1376
	v_add_f64 v[109:110], v[109:110], v[131:132]
	v_add_f64 v[111:112], v[111:112], v[119:120]
	s_waitcnt vmcnt(47) lgkmcnt(1)
	v_mul_f64 v[131:132], v[107:108], v[176:177]
	v_mul_f64 v[119:120], v[105:106], v[176:177]
	s_waitcnt vmcnt(45)
	v_fma_f64 v[137:138], v[1:2], v[143:144], -v[137:138]
	v_fma_f64 v[139:140], v[3:4], v[143:144], v[139:140]
	ds_read_b128 v[1:4], v157 offset:1392
	v_add_f64 v[109:110], v[109:110], v[141:142]
	v_add_f64 v[111:112], v[111:112], v[127:128]
	s_waitcnt vmcnt(41) lgkmcnt(1)
	v_mul_f64 v[141:142], v[7:8], v[145:146]
	s_waitcnt vmcnt(40)
	v_fma_f64 v[131:132], v[105:106], v[180:181], -v[131:132]
	v_mul_f64 v[127:128], v[5:6], v[145:146]
	v_fma_f64 v[119:120], v[107:108], v[180:181], v[119:120]
	ds_read_b128 v[105:108], v157 offset:1408
	v_add_f64 v[109:110], v[109:110], v[137:138]
	v_add_f64 v[111:112], v[111:112], v[139:140]
	s_waitcnt vmcnt(39) lgkmcnt(1)
	v_mul_f64 v[139:140], v[3:4], v[162:163]
	v_mul_f64 v[137:138], v[1:2], v[162:163]
	s_waitcnt vmcnt(37)
	v_fma_f64 v[141:142], v[5:6], v[151:152], -v[141:142]
	v_fma_f64 v[127:128], v[7:8], v[151:152], v[127:128]
	ds_read_b128 v[5:8], v157 offset:1424
	v_add_f64 v[109:110], v[109:110], v[131:132]
	v_add_f64 v[111:112], v[111:112], v[119:120]
	s_waitcnt vmcnt(33) lgkmcnt(1)
	v_mul_f64 v[131:132], v[107:108], v[168:169]
	s_waitcnt vmcnt(32)
	v_fma_f64 v[139:140], v[1:2], v[185:186], -v[139:140]
	v_mul_f64 v[119:120], v[105:106], v[168:169]
	v_fma_f64 v[137:138], v[3:4], v[185:186], v[137:138]
	ds_read_b128 v[1:4], v157 offset:1440
	v_add_f64 v[109:110], v[109:110], v[141:142]
	v_add_f64 v[111:112], v[111:112], v[127:128]
	s_waitcnt vmcnt(31) lgkmcnt(1)
	v_mul_f64 v[141:142], v[7:8], v[178:179]
	v_mul_f64 v[127:128], v[5:6], v[178:179]
	s_waitcnt vmcnt(29)
	v_fma_f64 v[131:132], v[105:106], v[115:116], -v[131:132]
	v_fma_f64 v[115:116], v[107:108], v[115:116], v[119:120]
	ds_read_b128 v[105:108], v157 offset:1456
	v_add_f64 v[109:110], v[109:110], v[139:140]
	v_add_f64 v[111:112], v[111:112], v[137:138]
	s_waitcnt vmcnt(25) lgkmcnt(1)
	v_mul_f64 v[119:120], v[1:2], v[121:122]
	v_mul_f64 v[121:122], v[3:4], v[121:122]
	s_waitcnt vmcnt(24)
	v_fma_f64 v[137:138], v[5:6], v[182:183], -v[141:142]
	;; [unrolled: 9-line block ×3, first 2 shown]
	v_fma_f64 v[117:118], v[3:4], v[117:118], v[119:120]
	ds_read_b128 v[1:4], v157 offset:1488
	v_add_f64 v[109:110], v[109:110], v[137:138]
	v_add_f64 v[111:112], v[111:112], v[127:128]
	s_waitcnt vmcnt(17) lgkmcnt(1)
	v_mul_f64 v[127:128], v[7:8], v[158:159]
	s_waitcnt vmcnt(16)
	v_fma_f64 v[131:132], v[105:106], v[187:188], -v[131:132]
	v_mul_f64 v[119:120], v[5:6], v[158:159]
	v_fma_f64 v[115:116], v[107:108], v[187:188], v[115:116]
	ds_read_b128 v[105:108], v157 offset:1504
	v_add_f64 v[109:110], v[109:110], v[121:122]
	v_add_f64 v[111:112], v[111:112], v[117:118]
	s_waitcnt vmcnt(15) lgkmcnt(1)
	v_mul_f64 v[121:122], v[3:4], v[160:161]
	v_mul_f64 v[117:118], v[1:2], v[160:161]
	s_waitcnt vmcnt(13)
	v_fma_f64 v[127:128], v[5:6], v[123:124], -v[127:128]
	v_fma_f64 v[119:120], v[7:8], v[123:124], v[119:120]
	ds_read_b128 v[5:8], v157 offset:1520
	v_add_f64 v[109:110], v[109:110], v[131:132]
	v_add_f64 v[111:112], v[111:112], v[115:116]
	s_waitcnt vmcnt(9) lgkmcnt(1)
	v_mul_f64 v[115:116], v[105:106], v[113:114]
	v_mul_f64 v[113:114], v[107:108], v[113:114]
	s_waitcnt vmcnt(8)
	v_fma_f64 v[1:2], v[1:2], v[174:175], -v[121:122]
	v_fma_f64 v[3:4], v[3:4], v[174:175], v[117:118]
	v_add_f64 v[109:110], v[109:110], v[127:128]
	v_add_f64 v[111:112], v[111:112], v[119:120]
	s_waitcnt vmcnt(7) lgkmcnt(0)
	v_mul_f64 v[119:120], v[7:8], v[133:134]
	v_mul_f64 v[117:118], v[5:6], v[133:134]
	s_waitcnt vmcnt(5)
	v_fma_f64 v[105:106], v[105:106], v[129:130], -v[113:114]
	v_fma_f64 v[107:108], v[107:108], v[129:130], v[115:116]
	v_add_f64 v[1:2], v[109:110], v[1:2]
	v_add_f64 v[3:4], v[111:112], v[3:4]
	s_waitcnt vmcnt(4)
	v_fma_f64 v[5:6], v[5:6], v[172:173], -v[119:120]
	v_fma_f64 v[7:8], v[7:8], v[172:173], v[117:118]
	v_add_f64 v[1:2], v[1:2], v[105:106]
	v_add_f64 v[3:4], v[3:4], v[107:108]
	v_add_f64 v[1:2], v[1:2], v[5:6]
	v_add_f64 v[3:4], v[3:4], v[7:8]
	s_waitcnt vmcnt(2)
	v_add_f64 v[1:2], v[125:126], -v[1:2]
	s_waitcnt vmcnt(0)
	v_add_f64 v[3:4], v[135:136], -v[3:4]
	buffer_store_dword v2, off, s[0:3], 0 offset:84
	buffer_store_dword v1, off, s[0:3], 0 offset:80
	;; [unrolled: 1-line block ×4, first 2 shown]
	v_cmpx_lt_u32_e32 3, v0
	s_cbranch_execz .LBB111_295
; %bb.294:
	v_mov_b32_e32 v4, s57
	s_clause 0x3
	buffer_load_dword v1, v4, s[0:3], 0 offen
	buffer_load_dword v2, v4, s[0:3], 0 offen offset:4
	buffer_load_dword v3, v4, s[0:3], 0 offen offset:8
	;; [unrolled: 1-line block ×3, first 2 shown]
	buffer_store_dword v157, off, s[0:3], 0 offset:64
	buffer_store_dword v157, off, s[0:3], 0 offset:68
	;; [unrolled: 1-line block ×4, first 2 shown]
	s_waitcnt vmcnt(0)
	ds_write_b128 v165, v[1:4]
.LBB111_295:
	s_or_b32 exec_lo, exec_lo, s4
	s_waitcnt lgkmcnt(0)
	s_waitcnt_vscnt null, 0x0
	s_barrier
	buffer_gl0_inv
	s_clause 0x37
	buffer_load_dword v105, off, s[0:3], 0 offset:88
	buffer_load_dword v106, off, s[0:3], 0 offset:92
	;; [unrolled: 1-line block ×56, first 2 shown]
	ds_read_b128 v[158:161], v157 offset:832
	s_clause 0x2
	buffer_load_dword v154, off, s[0:3], 0 offset:316
	buffer_load_dword v156, off, s[0:3], 0 offset:292
	;; [unrolled: 1-line block ×3, first 2 shown]
	ds_read_b128 v[166:169], v157 offset:848
	s_clause 0x4
	buffer_load_dword v175, off, s[0:3], 0 offset:332
	buffer_load_dword v176, off, s[0:3], 0 offset:344
	;; [unrolled: 1-line block ×5, first 2 shown]
	ds_read_b128 v[170:173], v157 offset:864
	s_clause 0x2
	buffer_load_dword v177, off, s[0:3], 0 offset:348
	buffer_load_dword v182, off, s[0:3], 0 offset:324
	;; [unrolled: 1-line block ×3, first 2 shown]
	s_mov_b32 s4, exec_lo
	s_waitcnt vmcnt(62) lgkmcnt(2)
	v_mul_f64 v[162:163], v[160:161], v[105:106]
	v_mul_f64 v[105:106], v[158:159], v[105:106]
	s_waitcnt lgkmcnt(1)
	v_mul_f64 v[179:180], v[168:169], v[5:6]
	s_waitcnt vmcnt(59) lgkmcnt(0)
	v_mul_f64 v[183:184], v[172:173], v[3:4]
	v_fma_f64 v[158:159], v[158:159], v[7:8], -v[162:163]
	v_mul_f64 v[162:163], v[166:167], v[5:6]
	v_fma_f64 v[105:106], v[160:161], v[7:8], v[105:106]
	s_waitcnt vmcnt(57)
	v_fma_f64 v[166:167], v[166:167], v[1:2], -v[179:180]
	ds_read_b128 v[5:8], v157 offset:880
	v_mul_f64 v[160:161], v[170:171], v[3:4]
	s_waitcnt vmcnt(51)
	v_fma_f64 v[170:171], v[170:171], v[121:122], -v[183:184]
	v_add_f64 v[158:159], v[158:159], 0
	v_fma_f64 v[162:163], v[168:169], v[1:2], v[162:163]
	v_add_f64 v[105:106], v[105:106], 0
	s_clause 0x4
	buffer_load_dword v169, off, s[0:3], 0 offset:364
	buffer_load_dword v185, off, s[0:3], 0 offset:376
	;; [unrolled: 1-line block ×5, first 2 shown]
	s_waitcnt lgkmcnt(0)
	v_mul_f64 v[188:189], v[5:6], v[109:110]
	v_mul_f64 v[109:110], v[7:8], v[109:110]
	ds_read_b128 v[1:4], v157 offset:896
	v_fma_f64 v[121:122], v[172:173], v[121:122], v[160:161]
	v_add_f64 v[166:167], v[158:159], v[166:167]
	v_add_f64 v[105:106], v[105:106], v[162:163]
	s_clause 0x2
	buffer_load_dword v186, off, s[0:3], 0 offset:380
	buffer_load_dword v163, off, s[0:3], 0 offset:356
	;; [unrolled: 1-line block ×3, first 2 shown]
	s_waitcnt vmcnt(58) lgkmcnt(0)
	v_mul_f64 v[172:173], v[1:2], v[113:114]
	v_mul_f64 v[113:114], v[3:4], v[113:114]
	s_waitcnt vmcnt(56)
	v_fma_f64 v[109:110], v[5:6], v[115:116], -v[109:110]
	ds_read_b128 v[158:161], v157 offset:912
	v_fma_f64 v[115:116], v[7:8], v[115:116], v[188:189]
	v_add_f64 v[166:167], v[166:167], v[170:171]
	v_add_f64 v[105:106], v[105:106], v[121:122]
	s_clause 0x4
	buffer_load_dword v122, off, s[0:3], 0 offset:396
	buffer_load_dword v170, off, s[0:3], 0 offset:408
	;; [unrolled: 1-line block ×5, first 2 shown]
	ds_read_b128 v[5:8], v157 offset:928
	s_waitcnt vmcnt(57) lgkmcnt(1)
	v_mul_f64 v[189:190], v[158:159], v[117:118]
	v_mul_f64 v[117:118], v[160:161], v[117:118]
	s_waitcnt vmcnt(56)
	v_fma_f64 v[113:114], v[1:2], v[107:108], -v[113:114]
	v_fma_f64 v[107:108], v[3:4], v[107:108], v[172:173]
	v_add_f64 v[109:110], v[166:167], v[109:110]
	v_add_f64 v[105:106], v[105:106], v[115:116]
	s_clause 0x2
	buffer_load_dword v171, off, s[0:3], 0 offset:412
	buffer_load_dword v116, off, s[0:3], 0 offset:388
	;; [unrolled: 1-line block ×3, first 2 shown]
	s_waitcnt vmcnt(58) lgkmcnt(0)
	v_mul_f64 v[166:167], v[5:6], v[123:124]
	v_mul_f64 v[123:124], v[7:8], v[123:124]
	s_waitcnt vmcnt(56)
	v_fma_f64 v[117:118], v[158:159], v[125:126], -v[117:118]
	ds_read_b128 v[1:4], v157 offset:944
	v_add_f64 v[109:110], v[109:110], v[113:114]
	v_fma_f64 v[113:114], v[160:161], v[125:126], v[189:190]
	v_add_f64 v[125:126], v[105:106], v[107:108]
	s_clause 0x4
	buffer_load_dword v159, off, s[0:3], 0 offset:428
	buffer_load_dword v160, off, s[0:3], 0 offset:440
	;; [unrolled: 1-line block ×5, first 2 shown]
	ds_read_b128 v[105:108], v157 offset:960
	s_waitcnt vmcnt(57) lgkmcnt(1)
	v_mul_f64 v[189:190], v[1:2], v[127:128]
	v_mul_f64 v[127:128], v[3:4], v[127:128]
	s_waitcnt vmcnt(56)
	v_fma_f64 v[123:124], v[5:6], v[111:112], -v[123:124]
	v_fma_f64 v[111:112], v[7:8], v[111:112], v[166:167]
	v_add_f64 v[109:110], v[109:110], v[117:118]
	s_clause 0x2
	buffer_load_dword v161, off, s[0:3], 0 offset:444
	buffer_load_dword v118, off, s[0:3], 0 offset:420
	;; [unrolled: 1-line block ×3, first 2 shown]
	v_add_f64 v[113:114], v[125:126], v[113:114]
	s_waitcnt vmcnt(58) lgkmcnt(0)
	v_mul_f64 v[125:126], v[105:106], v[131:132]
	v_mul_f64 v[131:132], v[107:108], v[131:132]
	ds_read_b128 v[5:8], v157 offset:976
	s_waitcnt vmcnt(56)
	v_fma_f64 v[127:128], v[1:2], v[133:134], -v[127:128]
	v_add_f64 v[109:110], v[109:110], v[123:124]
	v_fma_f64 v[123:124], v[3:4], v[133:134], v[189:190]
	v_add_f64 v[111:112], v[113:114], v[111:112]
	s_clause 0x4
	buffer_load_dword v114, off, s[0:3], 0 offset:460
	buffer_load_dword v133, off, s[0:3], 0 offset:472
	;; [unrolled: 1-line block ×5, first 2 shown]
	s_waitcnt vmcnt(57) lgkmcnt(0)
	v_mul_f64 v[189:190], v[5:6], v[135:136]
	v_mul_f64 v[135:136], v[7:8], v[135:136]
	s_waitcnt vmcnt(56)
	v_fma_f64 v[131:132], v[105:106], v[119:120], -v[131:132]
	ds_read_b128 v[1:4], v157 offset:992
	v_fma_f64 v[119:120], v[107:108], v[119:120], v[125:126]
	v_add_f64 v[109:110], v[109:110], v[127:128]
	v_add_f64 v[111:112], v[111:112], v[123:124]
	s_clause 0x2
	buffer_load_dword v134, off, s[0:3], 0 offset:476
	buffer_load_dword v124, off, s[0:3], 0 offset:452
	;; [unrolled: 1-line block ×3, first 2 shown]
	ds_read_b128 v[105:108], v157 offset:1008
	s_waitcnt vmcnt(58) lgkmcnt(1)
	v_mul_f64 v[127:128], v[3:4], v[139:140]
	s_waitcnt vmcnt(56)
	v_fma_f64 v[135:136], v[5:6], v[141:142], -v[135:136]
	v_mul_f64 v[125:126], v[1:2], v[139:140]
	v_add_f64 v[109:110], v[109:110], v[131:132]
	v_fma_f64 v[131:132], v[7:8], v[141:142], v[189:190]
	v_add_f64 v[111:112], v[111:112], v[119:120]
	s_clause 0x4
	buffer_load_dword v120, off, s[0:3], 0 offset:492
	buffer_load_dword v139, off, s[0:3], 0 offset:504
	;; [unrolled: 1-line block ×5, first 2 shown]
	s_waitcnt vmcnt(57) lgkmcnt(0)
	v_mul_f64 v[189:190], v[105:106], v[143:144]
	v_mul_f64 v[142:143], v[107:108], v[143:144]
	s_waitcnt vmcnt(56)
	v_fma_f64 v[127:128], v[1:2], v[129:130], -v[127:128]
	ds_read_b128 v[5:8], v157 offset:1024
	v_fma_f64 v[125:126], v[3:4], v[129:130], v[125:126]
	s_clause 0x2
	buffer_load_dword v140, off, s[0:3], 0 offset:508
	buffer_load_dword v130, off, s[0:3], 0 offset:484
	;; [unrolled: 1-line block ×3, first 2 shown]
	ds_read_b128 v[1:4], v157 offset:1040
	v_add_f64 v[109:110], v[109:110], v[135:136]
	v_add_f64 v[111:112], v[111:112], v[131:132]
	s_waitcnt vmcnt(58) lgkmcnt(1)
	v_mul_f64 v[135:136], v[7:8], v[147:148]
	s_waitcnt vmcnt(56)
	v_fma_f64 v[143:144], v[105:106], v[149:150], -v[142:143]
	v_mul_f64 v[131:132], v[5:6], v[147:148]
	v_add_f64 v[109:110], v[109:110], v[127:128]
	v_fma_f64 v[127:128], v[107:108], v[149:150], v[189:190]
	v_add_f64 v[111:112], v[111:112], v[125:126]
	s_clause 0x4
	buffer_load_dword v126, off, s[0:3], 0 offset:524
	buffer_load_dword v147, off, s[0:3], 0 offset:536
	;; [unrolled: 1-line block ×5, first 2 shown]
	s_waitcnt vmcnt(57) lgkmcnt(0)
	v_mul_f64 v[189:190], v[1:2], v[151:152]
	v_mul_f64 v[150:151], v[3:4], v[151:152]
	s_waitcnt vmcnt(56)
	v_fma_f64 v[135:136], v[5:6], v[137:138], -v[135:136]
	ds_read_b128 v[105:108], v157 offset:1056
	v_fma_f64 v[131:132], v[7:8], v[137:138], v[131:132]
	v_add_f64 v[109:110], v[109:110], v[143:144]
	v_add_f64 v[111:112], v[111:112], v[127:128]
	s_clause 0x2
	buffer_load_dword v148, off, s[0:3], 0 offset:540
	buffer_load_dword v128, off, s[0:3], 0 offset:516
	;; [unrolled: 1-line block ×3, first 2 shown]
	ds_read_b128 v[5:8], v157 offset:1072
	s_waitcnt vmcnt(58) lgkmcnt(1)
	v_mul_f64 v[143:144], v[107:108], v[153:154]
	s_waitcnt vmcnt(56)
	v_fma_f64 v[151:152], v[1:2], v[155:156], -v[150:151]
	v_mul_f64 v[137:138], v[105:106], v[153:154]
	v_add_f64 v[109:110], v[109:110], v[135:136]
	v_fma_f64 v[135:136], v[3:4], v[155:156], v[189:190]
	v_add_f64 v[111:112], v[111:112], v[131:132]
	s_clause 0x4
	buffer_load_dword v132, off, s[0:3], 0 offset:556
	buffer_load_dword v153, off, s[0:3], 0 offset:568
	;; [unrolled: 1-line block ×5, first 2 shown]
	s_waitcnt vmcnt(57) lgkmcnt(0)
	v_mul_f64 v[189:190], v[5:6], v[174:175]
	v_mul_f64 v[174:175], v[7:8], v[174:175]
	s_waitcnt vmcnt(56)
	v_fma_f64 v[143:144], v[105:106], v[145:146], -v[143:144]
	ds_read_b128 v[1:4], v157 offset:1088
	v_fma_f64 v[137:138], v[107:108], v[145:146], v[137:138]
	v_add_f64 v[109:110], v[109:110], v[151:152]
	v_add_f64 v[111:112], v[111:112], v[135:136]
	s_clause 0x2
	buffer_load_dword v154, off, s[0:3], 0 offset:572
	buffer_load_dword v136, off, s[0:3], 0 offset:548
	;; [unrolled: 1-line block ×3, first 2 shown]
	ds_read_b128 v[105:108], v157 offset:1104
	s_waitcnt vmcnt(58) lgkmcnt(1)
	v_mul_f64 v[151:152], v[3:4], v[176:177]
	s_waitcnt vmcnt(56)
	v_fma_f64 v[174:175], v[5:6], v[181:182], -v[174:175]
	v_mul_f64 v[145:146], v[1:2], v[176:177]
	v_add_f64 v[109:110], v[109:110], v[143:144]
	v_fma_f64 v[143:144], v[7:8], v[181:182], v[189:190]
	v_add_f64 v[111:112], v[111:112], v[137:138]
	s_clause 0x4
	buffer_load_dword v138, off, s[0:3], 0 offset:588
	buffer_load_dword v176, off, s[0:3], 0 offset:600
	;; [unrolled: 1-line block ×5, first 2 shown]
	ds_read_b128 v[5:8], v157 offset:1120
	s_waitcnt vmcnt(57) lgkmcnt(1)
	v_mul_f64 v[181:182], v[105:106], v[168:169]
	v_mul_f64 v[168:169], v[107:108], v[168:169]
	s_waitcnt vmcnt(56)
	v_fma_f64 v[151:152], v[1:2], v[178:179], -v[151:152]
	v_fma_f64 v[145:146], v[3:4], v[178:179], v[145:146]
	v_add_f64 v[109:110], v[109:110], v[174:175]
	v_add_f64 v[111:112], v[111:112], v[143:144]
	s_clause 0x2
	buffer_load_dword v177, off, s[0:3], 0 offset:604
	buffer_load_dword v144, off, s[0:3], 0 offset:580
	;; [unrolled: 1-line block ×3, first 2 shown]
	ds_read_b128 v[1:4], v157 offset:1136
	s_waitcnt vmcnt(58) lgkmcnt(1)
	v_mul_f64 v[178:179], v[7:8], v[185:186]
	v_mul_f64 v[174:175], v[5:6], v[185:186]
	s_waitcnt vmcnt(56)
	v_fma_f64 v[168:169], v[105:106], v[162:163], -v[168:169]
	v_add_f64 v[109:110], v[109:110], v[151:152]
	v_fma_f64 v[151:152], v[107:108], v[162:163], v[181:182]
	v_add_f64 v[111:112], v[111:112], v[145:146]
	s_clause 0x4
	buffer_load_dword v146, off, s[0:3], 0 offset:620
	buffer_load_dword v162, off, s[0:3], 0 offset:632
	buffer_load_dword v185, off, s[0:3], 0 offset:624
	buffer_load_dword v145, off, s[0:3], 0 offset:616
	buffer_load_dword v181, off, s[0:3], 0 offset:596
	ds_read_b128 v[105:108], v157 offset:1152
	s_waitcnt vmcnt(57) lgkmcnt(1)
	v_mul_f64 v[189:190], v[1:2], v[121:122]
	v_mul_f64 v[121:122], v[3:4], v[121:122]
	s_waitcnt vmcnt(56)
	v_fma_f64 v[178:179], v[5:6], v[187:188], -v[178:179]
	v_add_f64 v[109:110], v[109:110], v[168:169]
	v_fma_f64 v[168:169], v[7:8], v[187:188], v[174:175]
	v_add_f64 v[111:112], v[111:112], v[151:152]
	s_clause 0x2
	buffer_load_dword v163, off, s[0:3], 0 offset:636
	buffer_load_dword v152, off, s[0:3], 0 offset:612
	buffer_load_dword v151, off, s[0:3], 0 offset:608
	ds_read_b128 v[5:8], v157 offset:1168
	s_waitcnt vmcnt(58) lgkmcnt(1)
	v_mul_f64 v[174:175], v[105:106], v[170:171]
	v_mul_f64 v[170:171], v[107:108], v[170:171]
	s_waitcnt vmcnt(56)
	v_fma_f64 v[121:122], v[1:2], v[115:116], -v[121:122]
	v_fma_f64 v[115:116], v[3:4], v[115:116], v[189:190]
	v_add_f64 v[109:110], v[109:110], v[178:179]
	v_add_f64 v[111:112], v[111:112], v[168:169]
	s_clause 0x4
	buffer_load_dword v169, off, s[0:3], 0 offset:652
	buffer_load_dword v178, off, s[0:3], 0 offset:664
	buffer_load_dword v182, off, s[0:3], 0 offset:656
	buffer_load_dword v168, off, s[0:3], 0 offset:648
	buffer_load_dword v186, off, s[0:3], 0 offset:628
	ds_read_b128 v[1:4], v157 offset:1184
	s_waitcnt vmcnt(57) lgkmcnt(1)
	v_mul_f64 v[187:188], v[5:6], v[158:159]
	v_mul_f64 v[158:159], v[7:8], v[158:159]
	s_waitcnt vmcnt(56)
	v_fma_f64 v[170:171], v[105:106], v[183:184], -v[170:171]
	v_add_f64 v[109:110], v[109:110], v[121:122]
	v_fma_f64 v[121:122], v[107:108], v[183:184], v[174:175]
	v_add_f64 v[111:112], v[111:112], v[115:116]
	s_clause 0x2
	buffer_load_dword v179, off, s[0:3], 0 offset:668
	buffer_load_dword v116, off, s[0:3], 0 offset:644
	buffer_load_dword v115, off, s[0:3], 0 offset:640
	ds_read_b128 v[105:108], v157 offset:1200
	s_waitcnt vmcnt(58) lgkmcnt(1)
	v_mul_f64 v[174:175], v[1:2], v[160:161]
	v_mul_f64 v[160:161], v[3:4], v[160:161]
	s_waitcnt vmcnt(56)
	v_fma_f64 v[158:159], v[5:6], v[117:118], -v[158:159]
	v_fma_f64 v[117:118], v[7:8], v[117:118], v[187:188]
	v_add_f64 v[109:110], v[109:110], v[170:171]
	;; [unrolled: 28-line block ×3, first 2 shown]
	v_add_f64 v[111:112], v[111:112], v[158:159]
	s_clause 0x4
	buffer_load_dword v159, off, s[0:3], 0 offset:716
	buffer_load_dword v160, off, s[0:3], 0 offset:728
	;; [unrolled: 1-line block ×5, first 2 shown]
	ds_read_b128 v[105:108], v157 offset:1248
	s_waitcnt vmcnt(57) lgkmcnt(1)
	v_mul_f64 v[189:190], v[1:2], v[119:120]
	v_mul_f64 v[119:120], v[3:4], v[119:120]
	s_waitcnt vmcnt(56)
	v_fma_f64 v[133:134], v[5:6], v[166:167], -v[133:134]
	v_add_f64 v[109:110], v[109:110], v[113:114]
	v_fma_f64 v[113:114], v[7:8], v[166:167], v[172:173]
	v_add_f64 v[111:112], v[111:112], v[123:124]
	s_clause 0x2
	buffer_load_dword v161, off, s[0:3], 0 offset:732
	buffer_load_dword v124, off, s[0:3], 0 offset:708
	;; [unrolled: 1-line block ×3, first 2 shown]
	s_waitcnt vmcnt(58) lgkmcnt(0)
	v_mul_f64 v[166:167], v[105:106], v[139:140]
	v_mul_f64 v[139:140], v[107:108], v[139:140]
	ds_read_b128 v[5:8], v157 offset:1264
	s_waitcnt vmcnt(56)
	v_fma_f64 v[119:120], v[1:2], v[129:130], -v[119:120]
	v_fma_f64 v[129:130], v[3:4], v[129:130], v[189:190]
	v_add_f64 v[109:110], v[109:110], v[133:134]
	v_add_f64 v[111:112], v[111:112], v[113:114]
	s_clause 0x4
	buffer_load_dword v114, off, s[0:3], 0 offset:748
	buffer_load_dword v133, off, s[0:3], 0 offset:760
	;; [unrolled: 1-line block ×5, first 2 shown]
	ds_read_b128 v[1:4], v157 offset:1280
	s_waitcnt vmcnt(57) lgkmcnt(1)
	v_mul_f64 v[189:190], v[5:6], v[125:126]
	v_mul_f64 v[125:126], v[7:8], v[125:126]
	s_waitcnt vmcnt(56)
	v_fma_f64 v[139:140], v[105:106], v[141:142], -v[139:140]
	v_add_f64 v[109:110], v[109:110], v[119:120]
	v_fma_f64 v[119:120], v[107:108], v[141:142], v[166:167]
	v_add_f64 v[111:112], v[111:112], v[129:130]
	s_clause 0x2
	buffer_load_dword v134, off, s[0:3], 0 offset:764
	buffer_load_dword v130, off, s[0:3], 0 offset:740
	;; [unrolled: 1-line block ×3, first 2 shown]
	ds_read_b128 v[105:108], v157 offset:1296
	s_waitcnt vmcnt(58) lgkmcnt(1)
	v_mul_f64 v[141:142], v[1:2], v[147:148]
	v_mul_f64 v[147:148], v[3:4], v[147:148]
	s_waitcnt vmcnt(56)
	v_fma_f64 v[125:126], v[5:6], v[127:128], -v[125:126]
	v_fma_f64 v[127:128], v[7:8], v[127:128], v[189:190]
	v_add_f64 v[109:110], v[109:110], v[139:140]
	v_add_f64 v[111:112], v[111:112], v[119:120]
	s_clause 0x2
	buffer_load_dword v120, off, s[0:3], 0 offset:780
	buffer_load_dword v119, off, s[0:3], 0 offset:776
	;; [unrolled: 1-line block ×3, first 2 shown]
	ds_read_b128 v[5:8], v157 offset:1312
	s_waitcnt vmcnt(55) lgkmcnt(1)
	v_mul_f64 v[139:140], v[105:106], v[131:132]
	v_mul_f64 v[131:132], v[107:108], v[131:132]
	s_waitcnt vmcnt(54)
	v_fma_f64 v[147:148], v[1:2], v[149:150], -v[147:148]
	v_add_f64 v[109:110], v[109:110], v[125:126]
	v_fma_f64 v[125:126], v[3:4], v[149:150], v[141:142]
	v_add_f64 v[111:112], v[111:112], v[127:128]
	s_clause 0x1
	buffer_load_dword v128, off, s[0:3], 0 offset:772
	buffer_load_dword v127, off, s[0:3], 0 offset:768
	ds_read_b128 v[1:4], v157 offset:1328
	s_waitcnt vmcnt(55) lgkmcnt(1)
	v_mul_f64 v[149:150], v[7:8], v[153:154]
	v_mul_f64 v[141:142], v[5:6], v[153:154]
	s_waitcnt vmcnt(53)
	v_fma_f64 v[131:132], v[105:106], v[135:136], -v[131:132]
	v_fma_f64 v[135:136], v[107:108], v[135:136], v[139:140]
	ds_read_b128 v[105:108], v157 offset:1344
	v_add_f64 v[109:110], v[109:110], v[147:148]
	v_add_f64 v[111:112], v[111:112], v[125:126]
	s_waitcnt vmcnt(49) lgkmcnt(1)
	v_mul_f64 v[125:126], v[1:2], v[137:138]
	v_mul_f64 v[137:138], v[3:4], v[137:138]
	s_waitcnt vmcnt(48)
	v_fma_f64 v[139:140], v[5:6], v[155:156], -v[149:150]
	v_add_f64 v[109:110], v[109:110], v[131:132]
	v_fma_f64 v[131:132], v[7:8], v[155:156], v[141:142]
	v_add_f64 v[111:112], v[111:112], v[135:136]
	s_clause 0x3
	buffer_load_dword v135, off, s[0:3], 0 offset:64
	buffer_load_dword v136, off, s[0:3], 0 offset:68
	;; [unrolled: 1-line block ×4, first 2 shown]
	ds_read_b128 v[5:8], v157 offset:1360
	s_waitcnt vmcnt(51) lgkmcnt(1)
	v_mul_f64 v[149:150], v[107:108], v[176:177]
	v_mul_f64 v[147:148], v[105:106], v[176:177]
	s_waitcnt vmcnt(49)
	v_fma_f64 v[137:138], v[1:2], v[143:144], -v[137:138]
	v_fma_f64 v[125:126], v[3:4], v[143:144], v[125:126]
	ds_read_b128 v[1:4], v157 offset:1376
	v_add_f64 v[109:110], v[109:110], v[139:140]
	v_add_f64 v[111:112], v[111:112], v[131:132]
	s_waitcnt vmcnt(45) lgkmcnt(1)
	v_mul_f64 v[139:140], v[7:8], v[145:146]
	s_waitcnt vmcnt(44)
	v_fma_f64 v[143:144], v[105:106], v[180:181], -v[149:150]
	v_mul_f64 v[131:132], v[5:6], v[145:146]
	v_add_f64 v[109:110], v[109:110], v[137:138]
	v_fma_f64 v[137:138], v[107:108], v[180:181], v[147:148]
	v_add_f64 v[111:112], v[111:112], v[125:126]
	ds_read_b128 v[105:108], v157 offset:1392
	s_waitcnt vmcnt(43) lgkmcnt(1)
	v_mul_f64 v[145:146], v[3:4], v[162:163]
	v_mul_f64 v[125:126], v[1:2], v[162:163]
	s_waitcnt vmcnt(41)
	v_fma_f64 v[139:140], v[5:6], v[151:152], -v[139:140]
	v_fma_f64 v[131:132], v[7:8], v[151:152], v[131:132]
	ds_read_b128 v[5:8], v157 offset:1408
	v_add_f64 v[109:110], v[109:110], v[143:144]
	v_add_f64 v[111:112], v[111:112], v[137:138]
	s_waitcnt vmcnt(37) lgkmcnt(1)
	v_mul_f64 v[143:144], v[107:108], v[168:169]
	s_waitcnt vmcnt(36)
	v_fma_f64 v[145:146], v[1:2], v[185:186], -v[145:146]
	v_mul_f64 v[137:138], v[105:106], v[168:169]
	v_fma_f64 v[125:126], v[3:4], v[185:186], v[125:126]
	ds_read_b128 v[1:4], v157 offset:1424
	v_add_f64 v[109:110], v[109:110], v[139:140]
	v_add_f64 v[111:112], v[111:112], v[131:132]
	s_waitcnt vmcnt(35) lgkmcnt(1)
	v_mul_f64 v[139:140], v[7:8], v[178:179]
	v_mul_f64 v[131:132], v[5:6], v[178:179]
	s_waitcnt vmcnt(33)
	v_fma_f64 v[143:144], v[105:106], v[115:116], -v[143:144]
	v_fma_f64 v[115:116], v[107:108], v[115:116], v[137:138]
	ds_read_b128 v[105:108], v157 offset:1440
	v_add_f64 v[109:110], v[109:110], v[145:146]
	v_add_f64 v[111:112], v[111:112], v[125:126]
	s_waitcnt vmcnt(29) lgkmcnt(1)
	v_mul_f64 v[125:126], v[1:2], v[121:122]
	v_mul_f64 v[121:122], v[3:4], v[121:122]
	s_waitcnt vmcnt(28)
	v_fma_f64 v[137:138], v[5:6], v[182:183], -v[139:140]
	;; [unrolled: 9-line block ×3, first 2 shown]
	v_fma_f64 v[117:118], v[3:4], v[117:118], v[125:126]
	ds_read_b128 v[1:4], v157 offset:1472
	v_add_f64 v[109:110], v[109:110], v[137:138]
	v_add_f64 v[111:112], v[111:112], v[131:132]
	s_waitcnt vmcnt(21) lgkmcnt(1)
	v_mul_f64 v[131:132], v[7:8], v[158:159]
	s_waitcnt vmcnt(20)
	v_fma_f64 v[137:138], v[105:106], v[187:188], -v[139:140]
	v_mul_f64 v[125:126], v[5:6], v[158:159]
	v_fma_f64 v[115:116], v[107:108], v[187:188], v[115:116]
	ds_read_b128 v[105:108], v157 offset:1488
	v_add_f64 v[109:110], v[109:110], v[121:122]
	v_add_f64 v[111:112], v[111:112], v[117:118]
	s_waitcnt vmcnt(19) lgkmcnt(1)
	v_mul_f64 v[121:122], v[3:4], v[160:161]
	v_mul_f64 v[117:118], v[1:2], v[160:161]
	s_waitcnt vmcnt(17)
	v_fma_f64 v[131:132], v[5:6], v[123:124], -v[131:132]
	v_fma_f64 v[123:124], v[7:8], v[123:124], v[125:126]
	ds_read_b128 v[5:8], v157 offset:1504
	v_add_f64 v[109:110], v[109:110], v[137:138]
	v_add_f64 v[111:112], v[111:112], v[115:116]
	s_waitcnt vmcnt(13) lgkmcnt(1)
	v_mul_f64 v[115:116], v[105:106], v[113:114]
	v_mul_f64 v[113:114], v[107:108], v[113:114]
	s_waitcnt vmcnt(12)
	v_fma_f64 v[121:122], v[1:2], v[174:175], -v[121:122]
	;; [unrolled: 9-line block ×3, first 2 shown]
	v_fma_f64 v[107:108], v[107:108], v[129:130], v[115:116]
	v_add_f64 v[109:110], v[109:110], v[121:122]
	v_add_f64 v[111:112], v[111:112], v[117:118]
	s_waitcnt vmcnt(7) lgkmcnt(0)
	v_mul_f64 v[115:116], v[3:4], v[119:120]
	s_waitcnt vmcnt(6)
	v_fma_f64 v[5:6], v[5:6], v[172:173], -v[125:126]
	v_mul_f64 v[113:114], v[1:2], v[119:120]
	v_fma_f64 v[7:8], v[7:8], v[172:173], v[123:124]
	v_add_f64 v[105:106], v[109:110], v[105:106]
	v_add_f64 v[107:108], v[111:112], v[107:108]
	s_waitcnt vmcnt(4)
	v_fma_f64 v[1:2], v[1:2], v[127:128], -v[115:116]
	v_fma_f64 v[3:4], v[3:4], v[127:128], v[113:114]
	v_add_f64 v[5:6], v[105:106], v[5:6]
	v_add_f64 v[7:8], v[107:108], v[7:8]
	;; [unrolled: 1-line block ×4, first 2 shown]
	s_waitcnt vmcnt(2)
	v_add_f64 v[1:2], v[135:136], -v[1:2]
	s_waitcnt vmcnt(0)
	v_add_f64 v[3:4], v[141:142], -v[3:4]
	buffer_store_dword v2, off, s[0:3], 0 offset:68
	buffer_store_dword v1, off, s[0:3], 0 offset:64
	;; [unrolled: 1-line block ×4, first 2 shown]
	v_cmpx_lt_u32_e32 2, v0
	s_cbranch_execz .LBB111_297
; %bb.296:
	v_mov_b32_e32 v4, s58
	v_mov_b32_e32 v5, 0
	s_clause 0x3
	buffer_load_dword v1, v4, s[0:3], 0 offen
	buffer_load_dword v2, v4, s[0:3], 0 offen offset:4
	buffer_load_dword v3, v4, s[0:3], 0 offen offset:8
	;; [unrolled: 1-line block ×3, first 2 shown]
	buffer_store_dword v5, off, s[0:3], 0 offset:48
	buffer_store_dword v5, off, s[0:3], 0 offset:52
	;; [unrolled: 1-line block ×4, first 2 shown]
	s_waitcnt vmcnt(0)
	ds_write_b128 v165, v[1:4]
.LBB111_297:
	s_or_b32 exec_lo, exec_lo, s4
	s_waitcnt lgkmcnt(0)
	s_waitcnt_vscnt null, 0x0
	s_barrier
	buffer_gl0_inv
	s_clause 0x37
	buffer_load_dword v109, off, s[0:3], 0 offset:72
	buffer_load_dword v110, off, s[0:3], 0 offset:76
	buffer_load_dword v105, off, s[0:3], 0 offset:88
	buffer_load_dword v106, off, s[0:3], 0 offset:92
	buffer_load_dword v107, off, s[0:3], 0 offset:64
	buffer_load_dword v108, off, s[0:3], 0 offset:68
	buffer_load_dword v7, off, s[0:3], 0 offset:104
	buffer_load_dword v8, off, s[0:3], 0 offset:108
	buffer_load_dword v5, off, s[0:3], 0 offset:80
	buffer_load_dword v6, off, s[0:3], 0 offset:84
	buffer_load_dword v114, off, s[0:3], 0 offset:124
	buffer_load_dword v117, off, s[0:3], 0 offset:136
	buffer_load_dword v111, off, s[0:3], 0 offset:128
	buffer_load_dword v113, off, s[0:3], 0 offset:120
	buffer_load_dword v125, off, s[0:3], 0 offset:96
	buffer_load_dword v126, off, s[0:3], 0 offset:100
	buffer_load_dword v118, off, s[0:3], 0 offset:140
	buffer_load_dword v120, off, s[0:3], 0 offset:116
	buffer_load_dword v119, off, s[0:3], 0 offset:112
	buffer_load_dword v122, off, s[0:3], 0 offset:156
	buffer_load_dword v127, off, s[0:3], 0 offset:168
	buffer_load_dword v115, off, s[0:3], 0 offset:160
	buffer_load_dword v121, off, s[0:3], 0 offset:152
	buffer_load_dword v112, off, s[0:3], 0 offset:132
	buffer_load_dword v128, off, s[0:3], 0 offset:172
	buffer_load_dword v130, off, s[0:3], 0 offset:148
	buffer_load_dword v129, off, s[0:3], 0 offset:144
	buffer_load_dword v132, off, s[0:3], 0 offset:188
	buffer_load_dword v135, off, s[0:3], 0 offset:200
	buffer_load_dword v123, off, s[0:3], 0 offset:192
	buffer_load_dword v131, off, s[0:3], 0 offset:184
	buffer_load_dword v116, off, s[0:3], 0 offset:164
	buffer_load_dword v136, off, s[0:3], 0 offset:204
	buffer_load_dword v138, off, s[0:3], 0 offset:180
	buffer_load_dword v137, off, s[0:3], 0 offset:176
	buffer_load_dword v140, off, s[0:3], 0 offset:220
	buffer_load_dword v143, off, s[0:3], 0 offset:232
	buffer_load_dword v133, off, s[0:3], 0 offset:224
	buffer_load_dword v139, off, s[0:3], 0 offset:216
	buffer_load_dword v124, off, s[0:3], 0 offset:196
	buffer_load_dword v144, off, s[0:3], 0 offset:236
	buffer_load_dword v146, off, s[0:3], 0 offset:212
	buffer_load_dword v145, off, s[0:3], 0 offset:208
	buffer_load_dword v148, off, s[0:3], 0 offset:252
	buffer_load_dword v151, off, s[0:3], 0 offset:264
	buffer_load_dword v141, off, s[0:3], 0 offset:256
	buffer_load_dword v147, off, s[0:3], 0 offset:248
	buffer_load_dword v134, off, s[0:3], 0 offset:228
	buffer_load_dword v152, off, s[0:3], 0 offset:268
	buffer_load_dword v154, off, s[0:3], 0 offset:244
	buffer_load_dword v153, off, s[0:3], 0 offset:240
	buffer_load_dword v156, off, s[0:3], 0 offset:284
	buffer_load_dword v157, off, s[0:3], 0 offset:296
	buffer_load_dword v149, off, s[0:3], 0 offset:288
	buffer_load_dword v155, off, s[0:3], 0 offset:280
	buffer_load_dword v142, off, s[0:3], 0 offset:260
	v_mov_b32_e32 v166, 0
	s_mov_b32 s4, exec_lo
	ds_read_b128 v[161:164], v166 offset:816
	s_clause 0x2
	buffer_load_dword v158, off, s[0:3], 0 offset:300
	buffer_load_dword v160, off, s[0:3], 0 offset:276
	;; [unrolled: 1-line block ×3, first 2 shown]
	ds_read_b128 v[1:4], v166 offset:832
	s_clause 0x4
	buffer_load_dword v174, off, s[0:3], 0 offset:316
	buffer_load_dword v175, off, s[0:3], 0 offset:328
	;; [unrolled: 1-line block ×5, first 2 shown]
	ds_read_b128 v[167:170], v166 offset:848
	s_waitcnt vmcnt(62) lgkmcnt(2)
	v_mul_f64 v[171:172], v[163:164], v[109:110]
	v_mul_f64 v[109:110], v[161:162], v[109:110]
	s_waitcnt vmcnt(60) lgkmcnt(1)
	v_mul_f64 v[178:179], v[3:4], v[105:106]
	s_waitcnt vmcnt(56) lgkmcnt(0)
	v_mul_f64 v[180:181], v[167:168], v[7:8]
	v_mul_f64 v[7:8], v[169:170], v[7:8]
	v_fma_f64 v[161:162], v[161:162], v[107:108], -v[171:172]
	v_mul_f64 v[171:172], v[1:2], v[105:106]
	v_fma_f64 v[109:110], v[163:164], v[107:108], v[109:110]
	s_clause 0x2
	buffer_load_dword v176, off, s[0:3], 0 offset:332
	buffer_load_dword v164, off, s[0:3], 0 offset:308
	;; [unrolled: 1-line block ×3, first 2 shown]
	s_waitcnt vmcnt(57)
	v_fma_f64 v[182:183], v[1:2], v[5:6], -v[178:179]
	ds_read_b128 v[105:108], v166 offset:864
	s_waitcnt vmcnt(51)
	v_fma_f64 v[167:168], v[167:168], v[125:126], -v[7:8]
	v_fma_f64 v[125:126], v[169:170], v[125:126], v[180:181]
	v_add_f64 v[161:162], v[161:162], 0
	v_fma_f64 v[5:6], v[3:4], v[5:6], v[171:172]
	v_add_f64 v[109:110], v[109:110], 0
	s_clause 0x4
	buffer_load_dword v172, off, s[0:3], 0 offset:348
	buffer_load_dword v179, off, s[0:3], 0 offset:360
	buffer_load_dword v184, off, s[0:3], 0 offset:352
	buffer_load_dword v171, off, s[0:3], 0 offset:344
	buffer_load_dword v178, off, s[0:3], 0 offset:324
	s_waitcnt lgkmcnt(0)
	v_mul_f64 v[185:186], v[105:106], v[113:114]
	v_mul_f64 v[113:114], v[107:108], v[113:114]
	ds_read_b128 v[1:4], v166 offset:880
	s_clause 0x2
	buffer_load_dword v180, off, s[0:3], 0 offset:364
	buffer_load_dword v170, off, s[0:3], 0 offset:340
	buffer_load_dword v169, off, s[0:3], 0 offset:336
	v_add_f64 v[161:162], v[161:162], v[182:183]
	v_add_f64 v[109:110], v[109:110], v[5:6]
	ds_read_b128 v[5:8], v166 offset:896
	s_waitcnt vmcnt(58) lgkmcnt(1)
	v_mul_f64 v[181:182], v[1:2], v[117:118]
	v_mul_f64 v[117:118], v[3:4], v[117:118]
	s_waitcnt vmcnt(56)
	v_fma_f64 v[113:114], v[105:106], v[119:120], -v[113:114]
	v_fma_f64 v[119:120], v[107:108], v[119:120], v[185:186]
	v_add_f64 v[161:162], v[161:162], v[167:168]
	s_waitcnt vmcnt(52) lgkmcnt(0)
	v_mul_f64 v[187:188], v[5:6], v[121:122]
	v_add_f64 v[109:110], v[109:110], v[125:126]
	s_clause 0x4
	buffer_load_dword v126, off, s[0:3], 0 offset:380
	buffer_load_dword v167, off, s[0:3], 0 offset:392
	;; [unrolled: 1-line block ×5, first 2 shown]
	v_mul_f64 v[121:122], v[7:8], v[121:122]
	s_waitcnt vmcnt(56)
	v_fma_f64 v[117:118], v[1:2], v[111:112], -v[117:118]
	ds_read_b128 v[105:108], v166 offset:912
	v_fma_f64 v[111:112], v[3:4], v[111:112], v[181:182]
	v_add_f64 v[113:114], v[161:162], v[113:114]
	v_add_f64 v[109:110], v[109:110], v[119:120]
	s_clause 0x2
	buffer_load_dword v168, off, s[0:3], 0 offset:396
	buffer_load_dword v120, off, s[0:3], 0 offset:372
	;; [unrolled: 1-line block ×3, first 2 shown]
	s_waitcnt vmcnt(58) lgkmcnt(0)
	v_mul_f64 v[161:162], v[105:106], v[127:128]
	v_mul_f64 v[127:128], v[107:108], v[127:128]
	s_waitcnt vmcnt(56)
	v_fma_f64 v[121:122], v[5:6], v[129:130], -v[121:122]
	ds_read_b128 v[1:4], v166 offset:928
	v_add_f64 v[113:114], v[113:114], v[117:118]
	v_fma_f64 v[117:118], v[7:8], v[129:130], v[187:188]
	v_add_f64 v[109:110], v[109:110], v[111:112]
	s_clause 0x4
	buffer_load_dword v112, off, s[0:3], 0 offset:412
	buffer_load_dword v129, off, s[0:3], 0 offset:424
	;; [unrolled: 1-line block ×5, first 2 shown]
	ds_read_b128 v[5:8], v166 offset:944
	s_waitcnt vmcnt(57) lgkmcnt(1)
	v_mul_f64 v[182:183], v[1:2], v[131:132]
	v_mul_f64 v[131:132], v[3:4], v[131:132]
	s_waitcnt vmcnt(56)
	v_fma_f64 v[127:128], v[105:106], v[115:116], -v[127:128]
	v_fma_f64 v[115:116], v[107:108], v[115:116], v[161:162]
	v_add_f64 v[113:114], v[113:114], v[121:122]
	v_add_f64 v[109:110], v[109:110], v[117:118]
	s_clause 0x2
	buffer_load_dword v130, off, s[0:3], 0 offset:428
	buffer_load_dword v118, off, s[0:3], 0 offset:404
	;; [unrolled: 1-line block ×3, first 2 shown]
	s_waitcnt vmcnt(58) lgkmcnt(0)
	v_mul_f64 v[121:122], v[5:6], v[135:136]
	v_mul_f64 v[135:136], v[7:8], v[135:136]
	s_waitcnt vmcnt(56)
	v_fma_f64 v[131:132], v[1:2], v[137:138], -v[131:132]
	ds_read_b128 v[105:108], v166 offset:960
	v_add_f64 v[113:114], v[113:114], v[127:128]
	v_fma_f64 v[127:128], v[3:4], v[137:138], v[182:183]
	v_add_f64 v[109:110], v[109:110], v[115:116]
	s_clause 0x4
	buffer_load_dword v116, off, s[0:3], 0 offset:444
	buffer_load_dword v137, off, s[0:3], 0 offset:456
	;; [unrolled: 1-line block ×5, first 2 shown]
	ds_read_b128 v[1:4], v166 offset:976
	s_waitcnt vmcnt(57) lgkmcnt(1)
	v_mul_f64 v[188:189], v[105:106], v[139:140]
	v_mul_f64 v[139:140], v[107:108], v[139:140]
	s_waitcnt vmcnt(56)
	v_fma_f64 v[135:136], v[5:6], v[123:124], -v[135:136]
	v_fma_f64 v[121:122], v[7:8], v[123:124], v[121:122]
	s_clause 0x2
	buffer_load_dword v138, off, s[0:3], 0 offset:460
	buffer_load_dword v124, off, s[0:3], 0 offset:436
	;; [unrolled: 1-line block ×3, first 2 shown]
	ds_read_b128 v[5:8], v166 offset:992
	v_add_f64 v[113:114], v[113:114], v[131:132]
	v_add_f64 v[109:110], v[109:110], v[127:128]
	s_waitcnt vmcnt(58) lgkmcnt(1)
	v_mul_f64 v[131:132], v[3:4], v[143:144]
	v_mul_f64 v[127:128], v[1:2], v[143:144]
	s_waitcnt vmcnt(56)
	v_fma_f64 v[139:140], v[105:106], v[145:146], -v[139:140]
	v_add_f64 v[113:114], v[113:114], v[135:136]
	v_fma_f64 v[135:136], v[107:108], v[145:146], v[188:189]
	v_add_f64 v[109:110], v[109:110], v[121:122]
	s_clause 0x4
	buffer_load_dword v122, off, s[0:3], 0 offset:476
	buffer_load_dword v143, off, s[0:3], 0 offset:488
	;; [unrolled: 1-line block ×5, first 2 shown]
	s_waitcnt vmcnt(57) lgkmcnt(0)
	v_mul_f64 v[188:189], v[5:6], v[147:148]
	v_mul_f64 v[146:147], v[7:8], v[147:148]
	s_waitcnt vmcnt(56)
	v_fma_f64 v[131:132], v[1:2], v[133:134], -v[131:132]
	ds_read_b128 v[105:108], v166 offset:1008
	v_fma_f64 v[127:128], v[3:4], v[133:134], v[127:128]
	s_clause 0x2
	buffer_load_dword v144, off, s[0:3], 0 offset:492
	buffer_load_dword v134, off, s[0:3], 0 offset:468
	;; [unrolled: 1-line block ×3, first 2 shown]
	ds_read_b128 v[1:4], v166 offset:1024
	v_add_f64 v[113:114], v[113:114], v[139:140]
	v_add_f64 v[109:110], v[109:110], v[135:136]
	s_waitcnt vmcnt(58) lgkmcnt(1)
	v_mul_f64 v[139:140], v[107:108], v[151:152]
	s_waitcnt vmcnt(56)
	v_fma_f64 v[147:148], v[5:6], v[153:154], -v[146:147]
	v_mul_f64 v[135:136], v[105:106], v[151:152]
	v_add_f64 v[113:114], v[113:114], v[131:132]
	v_fma_f64 v[131:132], v[7:8], v[153:154], v[188:189]
	v_add_f64 v[109:110], v[109:110], v[127:128]
	s_clause 0x4
	buffer_load_dword v128, off, s[0:3], 0 offset:508
	buffer_load_dword v151, off, s[0:3], 0 offset:520
	;; [unrolled: 1-line block ×5, first 2 shown]
	s_waitcnt vmcnt(57) lgkmcnt(0)
	v_mul_f64 v[188:189], v[1:2], v[155:156]
	v_mul_f64 v[154:155], v[3:4], v[155:156]
	s_waitcnt vmcnt(56)
	v_fma_f64 v[139:140], v[105:106], v[141:142], -v[139:140]
	ds_read_b128 v[5:8], v166 offset:1040
	v_fma_f64 v[135:136], v[107:108], v[141:142], v[135:136]
	v_add_f64 v[113:114], v[113:114], v[147:148]
	v_add_f64 v[109:110], v[109:110], v[131:132]
	s_clause 0x2
	buffer_load_dword v152, off, s[0:3], 0 offset:524
	buffer_load_dword v132, off, s[0:3], 0 offset:500
	;; [unrolled: 1-line block ×3, first 2 shown]
	ds_read_b128 v[105:108], v166 offset:1056
	s_waitcnt vmcnt(58) lgkmcnt(1)
	v_mul_f64 v[147:148], v[7:8], v[157:158]
	s_waitcnt vmcnt(56)
	v_fma_f64 v[155:156], v[1:2], v[159:160], -v[154:155]
	v_mul_f64 v[141:142], v[5:6], v[157:158]
	v_add_f64 v[113:114], v[113:114], v[139:140]
	v_fma_f64 v[139:140], v[3:4], v[159:160], v[188:189]
	v_add_f64 v[109:110], v[109:110], v[135:136]
	s_clause 0x4
	buffer_load_dword v136, off, s[0:3], 0 offset:540
	buffer_load_dword v157, off, s[0:3], 0 offset:552
	buffer_load_dword v159, off, s[0:3], 0 offset:544
	buffer_load_dword v135, off, s[0:3], 0 offset:536
	buffer_load_dword v154, off, s[0:3], 0 offset:516
	s_waitcnt vmcnt(57) lgkmcnt(0)
	v_mul_f64 v[188:189], v[105:106], v[173:174]
	v_mul_f64 v[173:174], v[107:108], v[173:174]
	s_waitcnt vmcnt(56)
	v_fma_f64 v[147:148], v[5:6], v[149:150], -v[147:148]
	ds_read_b128 v[1:4], v166 offset:1072
	v_fma_f64 v[141:142], v[7:8], v[149:150], v[141:142]
	v_add_f64 v[113:114], v[113:114], v[155:156]
	v_add_f64 v[109:110], v[109:110], v[139:140]
	s_clause 0x2
	buffer_load_dword v158, off, s[0:3], 0 offset:556
	buffer_load_dword v140, off, s[0:3], 0 offset:532
	;; [unrolled: 1-line block ×3, first 2 shown]
	ds_read_b128 v[5:8], v166 offset:1088
	s_waitcnt vmcnt(58) lgkmcnt(1)
	v_mul_f64 v[155:156], v[3:4], v[175:176]
	v_mul_f64 v[149:150], v[1:2], v[175:176]
	s_waitcnt vmcnt(56)
	v_fma_f64 v[173:174], v[105:106], v[163:164], -v[173:174]
	v_add_f64 v[113:114], v[113:114], v[147:148]
	v_fma_f64 v[147:148], v[107:108], v[163:164], v[188:189]
	v_add_f64 v[109:110], v[109:110], v[141:142]
	s_clause 0x4
	buffer_load_dword v142, off, s[0:3], 0 offset:572
	buffer_load_dword v163, off, s[0:3], 0 offset:584
	;; [unrolled: 1-line block ×5, first 2 shown]
	ds_read_b128 v[105:108], v166 offset:1104
	s_waitcnt vmcnt(57) lgkmcnt(1)
	v_mul_f64 v[188:189], v[5:6], v[171:172]
	v_mul_f64 v[171:172], v[7:8], v[171:172]
	s_waitcnt vmcnt(56)
	v_fma_f64 v[155:156], v[1:2], v[177:178], -v[155:156]
	v_fma_f64 v[149:150], v[3:4], v[177:178], v[149:150]
	v_add_f64 v[113:114], v[113:114], v[173:174]
	v_add_f64 v[109:110], v[109:110], v[147:148]
	s_clause 0x2
	buffer_load_dword v164, off, s[0:3], 0 offset:588
	buffer_load_dword v148, off, s[0:3], 0 offset:564
	;; [unrolled: 1-line block ×3, first 2 shown]
	s_waitcnt vmcnt(58) lgkmcnt(0)
	v_mul_f64 v[177:178], v[107:108], v[179:180]
	ds_read_b128 v[1:4], v166 offset:1120
	v_mul_f64 v[173:174], v[105:106], v[179:180]
	s_waitcnt vmcnt(56)
	v_fma_f64 v[171:172], v[5:6], v[169:170], -v[171:172]
	v_add_f64 v[113:114], v[113:114], v[155:156]
	v_fma_f64 v[155:156], v[7:8], v[169:170], v[188:189]
	v_add_f64 v[109:110], v[109:110], v[149:150]
	s_clause 0x4
	buffer_load_dword v150, off, s[0:3], 0 offset:604
	buffer_load_dword v169, off, s[0:3], 0 offset:616
	;; [unrolled: 1-line block ×5, first 2 shown]
	ds_read_b128 v[5:8], v166 offset:1136
	s_waitcnt vmcnt(57) lgkmcnt(1)
	v_mul_f64 v[188:189], v[1:2], v[125:126]
	v_mul_f64 v[125:126], v[3:4], v[125:126]
	s_waitcnt vmcnt(56)
	v_fma_f64 v[177:178], v[105:106], v[184:185], -v[177:178]
	v_add_f64 v[113:114], v[113:114], v[171:172]
	v_fma_f64 v[171:172], v[107:108], v[184:185], v[173:174]
	v_add_f64 v[109:110], v[109:110], v[155:156]
	s_clause 0x2
	buffer_load_dword v170, off, s[0:3], 0 offset:620
	buffer_load_dword v156, off, s[0:3], 0 offset:596
	buffer_load_dword v155, off, s[0:3], 0 offset:592
	ds_read_b128 v[105:108], v166 offset:1152
	s_waitcnt vmcnt(58) lgkmcnt(1)
	v_mul_f64 v[173:174], v[5:6], v[167:168]
	v_mul_f64 v[167:168], v[7:8], v[167:168]
	s_waitcnt vmcnt(56)
	v_fma_f64 v[125:126], v[1:2], v[119:120], -v[125:126]
	v_fma_f64 v[119:120], v[3:4], v[119:120], v[188:189]
	v_add_f64 v[113:114], v[113:114], v[177:178]
	v_add_f64 v[109:110], v[109:110], v[171:172]
	s_clause 0x4
	buffer_load_dword v172, off, s[0:3], 0 offset:636
	buffer_load_dword v177, off, s[0:3], 0 offset:648
	buffer_load_dword v183, off, s[0:3], 0 offset:640
	buffer_load_dword v171, off, s[0:3], 0 offset:632
	buffer_load_dword v180, off, s[0:3], 0 offset:612
	ds_read_b128 v[1:4], v166 offset:1168
	s_waitcnt vmcnt(57) lgkmcnt(1)
	v_mul_f64 v[184:185], v[105:106], v[111:112]
	v_mul_f64 v[111:112], v[107:108], v[111:112]
	s_waitcnt vmcnt(56)
	v_fma_f64 v[167:168], v[5:6], v[186:187], -v[167:168]
	v_add_f64 v[113:114], v[113:114], v[125:126]
	v_fma_f64 v[125:126], v[7:8], v[186:187], v[173:174]
	v_add_f64 v[109:110], v[109:110], v[119:120]
	s_clause 0x2
	buffer_load_dword v178, off, s[0:3], 0 offset:652
	buffer_load_dword v120, off, s[0:3], 0 offset:628
	;; [unrolled: 1-line block ×3, first 2 shown]
	ds_read_b128 v[5:8], v166 offset:1184
	s_waitcnt vmcnt(58) lgkmcnt(1)
	v_mul_f64 v[173:174], v[1:2], v[129:130]
	v_mul_f64 v[129:130], v[3:4], v[129:130]
	s_waitcnt vmcnt(56)
	v_fma_f64 v[111:112], v[105:106], v[117:118], -v[111:112]
	v_fma_f64 v[117:118], v[107:108], v[117:118], v[184:185]
	v_add_f64 v[113:114], v[113:114], v[167:168]
	v_add_f64 v[109:110], v[109:110], v[125:126]
	s_clause 0x4
	buffer_load_dword v126, off, s[0:3], 0 offset:668
	buffer_load_dword v167, off, s[0:3], 0 offset:680
	;; [unrolled: 1-line block ×5, first 2 shown]
	ds_read_b128 v[105:108], v166 offset:1200
	s_waitcnt vmcnt(57) lgkmcnt(1)
	v_mul_f64 v[186:187], v[5:6], v[115:116]
	v_mul_f64 v[115:116], v[7:8], v[115:116]
	s_waitcnt vmcnt(56)
	v_fma_f64 v[129:130], v[1:2], v[181:182], -v[129:130]
	v_add_f64 v[111:112], v[113:114], v[111:112]
	v_fma_f64 v[113:114], v[3:4], v[181:182], v[173:174]
	v_add_f64 v[109:110], v[109:110], v[117:118]
	s_clause 0x2
	buffer_load_dword v168, off, s[0:3], 0 offset:684
	buffer_load_dword v118, off, s[0:3], 0 offset:660
	;; [unrolled: 1-line block ×3, first 2 shown]
	s_waitcnt vmcnt(58) lgkmcnt(0)
	v_mul_f64 v[173:174], v[105:106], v[137:138]
	v_mul_f64 v[137:138], v[107:108], v[137:138]
	ds_read_b128 v[1:4], v166 offset:1216
	s_waitcnt vmcnt(56)
	v_fma_f64 v[115:116], v[5:6], v[123:124], -v[115:116]
	v_fma_f64 v[123:124], v[7:8], v[123:124], v[186:187]
	v_add_f64 v[111:112], v[111:112], v[129:130]
	v_add_f64 v[109:110], v[109:110], v[113:114]
	s_clause 0x4
	buffer_load_dword v114, off, s[0:3], 0 offset:700
	buffer_load_dword v129, off, s[0:3], 0 offset:712
	;; [unrolled: 1-line block ×5, first 2 shown]
	ds_read_b128 v[5:8], v166 offset:1232
	s_waitcnt vmcnt(57) lgkmcnt(1)
	v_mul_f64 v[187:188], v[1:2], v[121:122]
	v_mul_f64 v[121:122], v[3:4], v[121:122]
	s_waitcnt vmcnt(56)
	v_fma_f64 v[137:138], v[105:106], v[161:162], -v[137:138]
	v_add_f64 v[111:112], v[111:112], v[115:116]
	v_fma_f64 v[115:116], v[107:108], v[161:162], v[173:174]
	v_add_f64 v[109:110], v[109:110], v[123:124]
	s_clause 0x2
	buffer_load_dword v130, off, s[0:3], 0 offset:716
	buffer_load_dword v124, off, s[0:3], 0 offset:692
	;; [unrolled: 1-line block ×3, first 2 shown]
	s_waitcnt vmcnt(58) lgkmcnt(0)
	v_mul_f64 v[161:162], v[5:6], v[143:144]
	v_mul_f64 v[143:144], v[7:8], v[143:144]
	ds_read_b128 v[105:108], v166 offset:1248
	s_waitcnt vmcnt(56)
	v_fma_f64 v[121:122], v[1:2], v[133:134], -v[121:122]
	v_fma_f64 v[133:134], v[3:4], v[133:134], v[187:188]
	v_add_f64 v[111:112], v[111:112], v[137:138]
	v_add_f64 v[109:110], v[109:110], v[115:116]
	s_clause 0x4
	buffer_load_dword v116, off, s[0:3], 0 offset:732
	buffer_load_dword v137, off, s[0:3], 0 offset:744
	;; [unrolled: 1-line block ×5, first 2 shown]
	ds_read_b128 v[1:4], v166 offset:1264
	s_waitcnt vmcnt(57) lgkmcnt(1)
	v_mul_f64 v[187:188], v[105:106], v[127:128]
	v_mul_f64 v[127:128], v[107:108], v[127:128]
	s_waitcnt vmcnt(56)
	v_fma_f64 v[143:144], v[5:6], v[145:146], -v[143:144]
	v_add_f64 v[111:112], v[111:112], v[121:122]
	v_fma_f64 v[121:122], v[7:8], v[145:146], v[161:162]
	v_add_f64 v[109:110], v[109:110], v[133:134]
	s_clause 0x2
	buffer_load_dword v138, off, s[0:3], 0 offset:748
	buffer_load_dword v134, off, s[0:3], 0 offset:724
	;; [unrolled: 1-line block ×3, first 2 shown]
	ds_read_b128 v[5:8], v166 offset:1280
	s_waitcnt vmcnt(58) lgkmcnt(1)
	v_mul_f64 v[145:146], v[1:2], v[151:152]
	v_mul_f64 v[151:152], v[3:4], v[151:152]
	s_waitcnt vmcnt(56)
	v_fma_f64 v[127:128], v[105:106], v[131:132], -v[127:128]
	v_fma_f64 v[131:132], v[107:108], v[131:132], v[187:188]
	v_add_f64 v[111:112], v[111:112], v[143:144]
	v_add_f64 v[109:110], v[109:110], v[121:122]
	s_clause 0x4
	buffer_load_dword v122, off, s[0:3], 0 offset:764
	buffer_load_dword v143, off, s[0:3], 0 offset:776
	;; [unrolled: 1-line block ×5, first 2 shown]
	ds_read_b128 v[105:108], v166 offset:1296
	s_waitcnt vmcnt(57) lgkmcnt(1)
	v_mul_f64 v[187:188], v[5:6], v[135:136]
	v_mul_f64 v[135:136], v[7:8], v[135:136]
	s_waitcnt vmcnt(56)
	v_fma_f64 v[151:152], v[1:2], v[153:154], -v[151:152]
	v_add_f64 v[111:112], v[111:112], v[127:128]
	v_fma_f64 v[127:128], v[3:4], v[153:154], v[145:146]
	v_add_f64 v[109:110], v[109:110], v[131:132]
	s_clause 0x2
	buffer_load_dword v144, off, s[0:3], 0 offset:780
	buffer_load_dword v132, off, s[0:3], 0 offset:756
	;; [unrolled: 1-line block ×3, first 2 shown]
	ds_read_b128 v[1:4], v166 offset:1312
	buffer_load_dword v162, off, s[0:3], 0 offset:772
	s_waitcnt vmcnt(59) lgkmcnt(1)
	v_mul_f64 v[153:154], v[107:108], v[157:158]
	v_mul_f64 v[145:146], v[105:106], v[157:158]
	s_waitcnt vmcnt(57)
	v_fma_f64 v[135:136], v[5:6], v[139:140], -v[135:136]
	v_fma_f64 v[139:140], v[7:8], v[139:140], v[187:188]
	ds_read_b128 v[5:8], v166 offset:1328
	v_add_f64 v[111:112], v[111:112], v[151:152]
	v_add_f64 v[109:110], v[109:110], v[127:128]
	s_waitcnt vmcnt(53) lgkmcnt(1)
	v_mul_f64 v[127:128], v[1:2], v[141:142]
	v_mul_f64 v[141:142], v[3:4], v[141:142]
	s_waitcnt vmcnt(52)
	v_fma_f64 v[151:152], v[105:106], v[159:160], -v[153:154]
	v_add_f64 v[111:112], v[111:112], v[135:136]
	v_fma_f64 v[135:136], v[107:108], v[159:160], v[145:146]
	v_add_f64 v[109:110], v[109:110], v[139:140]
	ds_read_b128 v[105:108], v166 offset:1344
	s_waitcnt vmcnt(51) lgkmcnt(1)
	v_mul_f64 v[145:146], v[7:8], v[163:164]
	v_mul_f64 v[139:140], v[5:6], v[163:164]
	s_waitcnt vmcnt(49)
	v_fma_f64 v[141:142], v[1:2], v[147:148], -v[141:142]
	v_fma_f64 v[127:128], v[3:4], v[147:148], v[127:128]
	v_add_f64 v[111:112], v[111:112], v[151:152]
	v_add_f64 v[109:110], v[109:110], v[135:136]
	s_clause 0x3
	buffer_load_dword v135, off, s[0:3], 0 offset:48
	buffer_load_dword v136, off, s[0:3], 0 offset:52
	;; [unrolled: 1-line block ×4, first 2 shown]
	ds_read_b128 v[1:4], v166 offset:1360
	s_waitcnt vmcnt(49) lgkmcnt(1)
	v_mul_f64 v[151:152], v[105:106], v[149:150]
	v_mul_f64 v[149:150], v[107:108], v[149:150]
	s_waitcnt vmcnt(48)
	v_fma_f64 v[145:146], v[5:6], v[175:176], -v[145:146]
	v_fma_f64 v[139:140], v[7:8], v[175:176], v[139:140]
	ds_read_b128 v[5:8], v166 offset:1376
	v_add_f64 v[111:112], v[111:112], v[141:142]
	v_add_f64 v[109:110], v[109:110], v[127:128]
	s_waitcnt vmcnt(47) lgkmcnt(1)
	v_mul_f64 v[141:142], v[3:4], v[169:170]
	v_mul_f64 v[127:128], v[1:2], v[169:170]
	s_waitcnt vmcnt(45)
	v_fma_f64 v[149:150], v[105:106], v[155:156], -v[149:150]
	v_add_f64 v[111:112], v[111:112], v[145:146]
	v_fma_f64 v[145:146], v[107:108], v[155:156], v[151:152]
	v_add_f64 v[109:110], v[109:110], v[139:140]
	ds_read_b128 v[105:108], v166 offset:1392
	s_waitcnt vmcnt(41) lgkmcnt(1)
	v_mul_f64 v[151:152], v[7:8], v[171:172]
	s_waitcnt vmcnt(40)
	v_fma_f64 v[141:142], v[1:2], v[179:180], -v[141:142]
	v_mul_f64 v[139:140], v[5:6], v[171:172]
	v_fma_f64 v[127:128], v[3:4], v[179:180], v[127:128]
	ds_read_b128 v[1:4], v166 offset:1408
	v_add_f64 v[111:112], v[111:112], v[149:150]
	v_add_f64 v[109:110], v[109:110], v[145:146]
	s_waitcnt vmcnt(39) lgkmcnt(1)
	v_mul_f64 v[149:150], v[107:108], v[177:178]
	v_mul_f64 v[145:146], v[105:106], v[177:178]
	s_waitcnt vmcnt(37)
	v_fma_f64 v[151:152], v[5:6], v[119:120], -v[151:152]
	v_fma_f64 v[119:120], v[7:8], v[119:120], v[139:140]
	ds_read_b128 v[5:8], v166 offset:1424
	v_add_f64 v[111:112], v[111:112], v[141:142]
	v_add_f64 v[109:110], v[109:110], v[127:128]
	s_waitcnt vmcnt(33) lgkmcnt(1)
	v_mul_f64 v[127:128], v[1:2], v[125:126]
	v_mul_f64 v[125:126], v[3:4], v[125:126]
	s_waitcnt vmcnt(32)
	v_fma_f64 v[139:140], v[105:106], v[183:184], -v[149:150]
	;; [unrolled: 9-line block ×6, first 2 shown]
	v_add_f64 v[111:112], v[111:112], v[113:114]
	v_fma_f64 v[113:114], v[3:4], v[181:182], v[117:118]
	v_add_f64 v[109:110], v[109:110], v[123:124]
	ds_read_b128 v[1:4], v166 offset:1504
	s_waitcnt vmcnt(15) lgkmcnt(1)
	v_mul_f64 v[123:124], v[107:108], v[137:138]
	v_mul_f64 v[117:118], v[105:106], v[137:138]
	s_waitcnt vmcnt(13)
	v_fma_f64 v[115:116], v[5:6], v[133:134], -v[115:116]
	v_fma_f64 v[119:120], v[7:8], v[133:134], v[119:120]
	ds_read_b128 v[5:8], v166 offset:1520
	v_add_f64 v[111:112], v[111:112], v[125:126]
	v_add_f64 v[109:110], v[109:110], v[113:114]
	s_waitcnt vmcnt(9) lgkmcnt(1)
	v_mul_f64 v[113:114], v[1:2], v[121:122]
	v_mul_f64 v[121:122], v[3:4], v[121:122]
	s_waitcnt vmcnt(8)
	v_fma_f64 v[105:106], v[105:106], v[173:174], -v[123:124]
	v_fma_f64 v[107:108], v[107:108], v[173:174], v[117:118]
	v_add_f64 v[111:112], v[111:112], v[115:116]
	v_add_f64 v[109:110], v[109:110], v[119:120]
	s_waitcnt vmcnt(7) lgkmcnt(0)
	v_mul_f64 v[117:118], v[7:8], v[143:144]
	v_mul_f64 v[115:116], v[5:6], v[143:144]
	s_waitcnt vmcnt(5)
	v_fma_f64 v[1:2], v[1:2], v[131:132], -v[121:122]
	v_fma_f64 v[3:4], v[3:4], v[131:132], v[113:114]
	v_add_f64 v[105:106], v[111:112], v[105:106]
	v_add_f64 v[107:108], v[109:110], v[107:108]
	s_waitcnt vmcnt(4)
	v_fma_f64 v[5:6], v[5:6], v[161:162], -v[117:118]
	v_fma_f64 v[7:8], v[7:8], v[161:162], v[115:116]
	v_add_f64 v[1:2], v[105:106], v[1:2]
	v_add_f64 v[3:4], v[107:108], v[3:4]
	;; [unrolled: 1-line block ×4, first 2 shown]
	s_waitcnt vmcnt(2)
	v_add_f64 v[1:2], v[135:136], -v[1:2]
	s_waitcnt vmcnt(0)
	v_add_f64 v[3:4], v[147:148], -v[3:4]
	buffer_store_dword v2, off, s[0:3], 0 offset:52
	buffer_store_dword v1, off, s[0:3], 0 offset:48
	;; [unrolled: 1-line block ×4, first 2 shown]
	v_cmpx_lt_u32_e32 1, v0
	s_cbranch_execz .LBB111_299
; %bb.298:
	v_mov_b32_e32 v4, s59
	s_clause 0x3
	buffer_load_dword v1, v4, s[0:3], 0 offen
	buffer_load_dword v2, v4, s[0:3], 0 offen offset:4
	buffer_load_dword v3, v4, s[0:3], 0 offen offset:8
	;; [unrolled: 1-line block ×3, first 2 shown]
	buffer_store_dword v166, off, s[0:3], 0 offset:32
	buffer_store_dword v166, off, s[0:3], 0 offset:36
	;; [unrolled: 1-line block ×4, first 2 shown]
	s_waitcnt vmcnt(0)
	ds_write_b128 v165, v[1:4]
.LBB111_299:
	s_or_b32 exec_lo, exec_lo, s4
	s_waitcnt lgkmcnt(0)
	s_waitcnt_vscnt null, 0x0
	s_barrier
	buffer_gl0_inv
	s_clause 0x37
	buffer_load_dword v113, off, s[0:3], 0 offset:56
	buffer_load_dword v114, off, s[0:3], 0 offset:60
	buffer_load_dword v109, off, s[0:3], 0 offset:72
	buffer_load_dword v110, off, s[0:3], 0 offset:76
	buffer_load_dword v111, off, s[0:3], 0 offset:48
	buffer_load_dword v112, off, s[0:3], 0 offset:52
	buffer_load_dword v107, off, s[0:3], 0 offset:88
	buffer_load_dword v108, off, s[0:3], 0 offset:92
	buffer_load_dword v105, off, s[0:3], 0 offset:64
	buffer_load_dword v106, off, s[0:3], 0 offset:68
	buffer_load_dword v118, off, s[0:3], 0 offset:108
	buffer_load_dword v121, off, s[0:3], 0 offset:120
	buffer_load_dword v115, off, s[0:3], 0 offset:112
	buffer_load_dword v117, off, s[0:3], 0 offset:104
	buffer_load_dword v129, off, s[0:3], 0 offset:80
	buffer_load_dword v130, off, s[0:3], 0 offset:84
	buffer_load_dword v122, off, s[0:3], 0 offset:124
	buffer_load_dword v124, off, s[0:3], 0 offset:100
	buffer_load_dword v123, off, s[0:3], 0 offset:96
	buffer_load_dword v126, off, s[0:3], 0 offset:140
	buffer_load_dword v131, off, s[0:3], 0 offset:152
	buffer_load_dword v119, off, s[0:3], 0 offset:144
	buffer_load_dword v125, off, s[0:3], 0 offset:136
	buffer_load_dword v116, off, s[0:3], 0 offset:116
	buffer_load_dword v132, off, s[0:3], 0 offset:156
	buffer_load_dword v134, off, s[0:3], 0 offset:132
	buffer_load_dword v133, off, s[0:3], 0 offset:128
	buffer_load_dword v136, off, s[0:3], 0 offset:172
	buffer_load_dword v139, off, s[0:3], 0 offset:184
	buffer_load_dword v127, off, s[0:3], 0 offset:176
	buffer_load_dword v135, off, s[0:3], 0 offset:168
	buffer_load_dword v120, off, s[0:3], 0 offset:148
	buffer_load_dword v140, off, s[0:3], 0 offset:188
	buffer_load_dword v142, off, s[0:3], 0 offset:164
	buffer_load_dword v141, off, s[0:3], 0 offset:160
	buffer_load_dword v144, off, s[0:3], 0 offset:204
	buffer_load_dword v147, off, s[0:3], 0 offset:216
	buffer_load_dword v137, off, s[0:3], 0 offset:208
	buffer_load_dword v143, off, s[0:3], 0 offset:200
	buffer_load_dword v128, off, s[0:3], 0 offset:180
	buffer_load_dword v148, off, s[0:3], 0 offset:220
	buffer_load_dword v150, off, s[0:3], 0 offset:196
	buffer_load_dword v149, off, s[0:3], 0 offset:192
	buffer_load_dword v152, off, s[0:3], 0 offset:236
	buffer_load_dword v155, off, s[0:3], 0 offset:248
	buffer_load_dword v145, off, s[0:3], 0 offset:240
	buffer_load_dword v151, off, s[0:3], 0 offset:232
	buffer_load_dword v138, off, s[0:3], 0 offset:212
	buffer_load_dword v156, off, s[0:3], 0 offset:252
	buffer_load_dword v158, off, s[0:3], 0 offset:228
	buffer_load_dword v157, off, s[0:3], 0 offset:224
	buffer_load_dword v160, off, s[0:3], 0 offset:268
	buffer_load_dword v161, off, s[0:3], 0 offset:280
	buffer_load_dword v153, off, s[0:3], 0 offset:272
	buffer_load_dword v159, off, s[0:3], 0 offset:264
	buffer_load_dword v146, off, s[0:3], 0 offset:244
	ds_read_b128 v[5:8], v166 offset:800
	s_clause 0x2
	buffer_load_dword v162, off, s[0:3], 0 offset:284
	buffer_load_dword v164, off, s[0:3], 0 offset:260
	;; [unrolled: 1-line block ×3, first 2 shown]
	ds_read_b128 v[1:4], v166 offset:816
	s_clause 0x4
	buffer_load_dword v174, off, s[0:3], 0 offset:300
	buffer_load_dword v175, off, s[0:3], 0 offset:312
	;; [unrolled: 1-line block ×5, first 2 shown]
	ds_read_b128 v[167:170], v166 offset:832
	s_mov_b32 s4, exec_lo
	s_waitcnt vmcnt(62) lgkmcnt(2)
	v_mul_f64 v[171:172], v[7:8], v[113:114]
	v_mul_f64 v[113:114], v[5:6], v[113:114]
	s_waitcnt vmcnt(60) lgkmcnt(1)
	v_mul_f64 v[178:179], v[3:4], v[109:110]
	v_mul_f64 v[109:110], v[1:2], v[109:110]
	;; [unrolled: 3-line block ×3, first 2 shown]
	v_fma_f64 v[171:172], v[5:6], v[111:112], -v[171:172]
	v_fma_f64 v[111:112], v[7:8], v[111:112], v[113:114]
	s_clause 0x2
	buffer_load_dword v176, off, s[0:3], 0 offset:316
	buffer_load_dword v114, off, s[0:3], 0 offset:292
	;; [unrolled: 1-line block ×3, first 2 shown]
	s_waitcnt vmcnt(57)
	v_fma_f64 v[182:183], v[1:2], v[105:106], -v[178:179]
	ds_read_b128 v[5:8], v166 offset:848
	v_fma_f64 v[105:106], v[3:4], v[105:106], v[109:110]
	s_waitcnt vmcnt(51)
	v_fma_f64 v[167:168], v[167:168], v[129:130], -v[107:108]
	v_fma_f64 v[129:130], v[169:170], v[129:130], v[180:181]
	v_add_f64 v[171:172], v[171:172], 0
	v_add_f64 v[109:110], v[111:112], 0
	s_clause 0x4
	buffer_load_dword v112, off, s[0:3], 0 offset:332
	buffer_load_dword v179, off, s[0:3], 0 offset:344
	buffer_load_dword v184, off, s[0:3], 0 offset:336
	buffer_load_dword v111, off, s[0:3], 0 offset:328
	buffer_load_dword v178, off, s[0:3], 0 offset:308
	s_waitcnt lgkmcnt(0)
	v_mul_f64 v[185:186], v[5:6], v[117:118]
	v_mul_f64 v[117:118], v[7:8], v[117:118]
	ds_read_b128 v[1:4], v166 offset:864
	s_clause 0x2
	buffer_load_dword v180, off, s[0:3], 0 offset:348
	buffer_load_dword v170, off, s[0:3], 0 offset:324
	;; [unrolled: 1-line block ×3, first 2 shown]
	v_add_f64 v[171:172], v[171:172], v[182:183]
	v_add_f64 v[109:110], v[109:110], v[105:106]
	ds_read_b128 v[105:108], v166 offset:880
	s_waitcnt vmcnt(58) lgkmcnt(1)
	v_mul_f64 v[181:182], v[1:2], v[121:122]
	v_mul_f64 v[121:122], v[3:4], v[121:122]
	s_waitcnt vmcnt(56)
	v_fma_f64 v[117:118], v[5:6], v[123:124], -v[117:118]
	v_fma_f64 v[123:124], v[7:8], v[123:124], v[185:186]
	s_waitcnt vmcnt(52) lgkmcnt(0)
	v_mul_f64 v[187:188], v[105:106], v[125:126]
	v_add_f64 v[167:168], v[171:172], v[167:168]
	v_add_f64 v[109:110], v[109:110], v[129:130]
	s_clause 0x4
	buffer_load_dword v130, off, s[0:3], 0 offset:364
	buffer_load_dword v171, off, s[0:3], 0 offset:376
	;; [unrolled: 1-line block ×5, first 2 shown]
	v_mul_f64 v[125:126], v[107:108], v[125:126]
	s_waitcnt vmcnt(56)
	v_fma_f64 v[121:122], v[1:2], v[115:116], -v[121:122]
	ds_read_b128 v[5:8], v166 offset:896
	v_fma_f64 v[115:116], v[3:4], v[115:116], v[181:182]
	v_add_f64 v[117:118], v[167:168], v[117:118]
	v_add_f64 v[109:110], v[109:110], v[123:124]
	s_clause 0x2
	buffer_load_dword v172, off, s[0:3], 0 offset:380
	buffer_load_dword v124, off, s[0:3], 0 offset:356
	;; [unrolled: 1-line block ×3, first 2 shown]
	s_waitcnt vmcnt(58) lgkmcnt(0)
	v_mul_f64 v[167:168], v[5:6], v[131:132]
	v_mul_f64 v[131:132], v[7:8], v[131:132]
	s_waitcnt vmcnt(56)
	v_fma_f64 v[125:126], v[105:106], v[133:134], -v[125:126]
	ds_read_b128 v[1:4], v166 offset:912
	v_add_f64 v[117:118], v[117:118], v[121:122]
	v_fma_f64 v[121:122], v[107:108], v[133:134], v[187:188]
	v_add_f64 v[109:110], v[109:110], v[115:116]
	s_clause 0x4
	buffer_load_dword v116, off, s[0:3], 0 offset:396
	buffer_load_dword v133, off, s[0:3], 0 offset:408
	buffer_load_dword v181, off, s[0:3], 0 offset:400
	buffer_load_dword v115, off, s[0:3], 0 offset:392
	buffer_load_dword v187, off, s[0:3], 0 offset:372
	s_waitcnt vmcnt(57) lgkmcnt(0)
	v_mul_f64 v[182:183], v[1:2], v[135:136]
	v_mul_f64 v[135:136], v[3:4], v[135:136]
	s_waitcnt vmcnt(56)
	v_fma_f64 v[131:132], v[5:6], v[119:120], -v[131:132]
	ds_read_b128 v[105:108], v166 offset:928
	v_fma_f64 v[119:120], v[7:8], v[119:120], v[167:168]
	v_add_f64 v[117:118], v[117:118], v[125:126]
	v_add_f64 v[109:110], v[109:110], v[121:122]
	s_clause 0x2
	buffer_load_dword v134, off, s[0:3], 0 offset:412
	buffer_load_dword v122, off, s[0:3], 0 offset:388
	;; [unrolled: 1-line block ×3, first 2 shown]
	ds_read_b128 v[5:8], v166 offset:944
	s_waitcnt vmcnt(58) lgkmcnt(1)
	v_mul_f64 v[125:126], v[105:106], v[139:140]
	v_mul_f64 v[139:140], v[107:108], v[139:140]
	s_waitcnt vmcnt(56)
	v_fma_f64 v[135:136], v[1:2], v[141:142], -v[135:136]
	v_add_f64 v[117:118], v[117:118], v[131:132]
	v_fma_f64 v[131:132], v[3:4], v[141:142], v[182:183]
	v_add_f64 v[109:110], v[109:110], v[119:120]
	s_clause 0x4
	buffer_load_dword v120, off, s[0:3], 0 offset:428
	buffer_load_dword v141, off, s[0:3], 0 offset:440
	buffer_load_dword v167, off, s[0:3], 0 offset:432
	buffer_load_dword v119, off, s[0:3], 0 offset:424
	buffer_load_dword v182, off, s[0:3], 0 offset:404
	s_waitcnt vmcnt(57) lgkmcnt(0)
	v_mul_f64 v[188:189], v[5:6], v[143:144]
	v_mul_f64 v[143:144], v[7:8], v[143:144]
	s_waitcnt vmcnt(56)
	v_fma_f64 v[139:140], v[105:106], v[127:128], -v[139:140]
	ds_read_b128 v[1:4], v166 offset:960
	v_fma_f64 v[125:126], v[107:108], v[127:128], v[125:126]
	s_clause 0x2
	buffer_load_dword v142, off, s[0:3], 0 offset:444
	buffer_load_dword v128, off, s[0:3], 0 offset:420
	;; [unrolled: 1-line block ×3, first 2 shown]
	ds_read_b128 v[105:108], v166 offset:976
	v_add_f64 v[117:118], v[117:118], v[135:136]
	v_add_f64 v[109:110], v[109:110], v[131:132]
	s_waitcnt vmcnt(58) lgkmcnt(1)
	v_mul_f64 v[135:136], v[3:4], v[147:148]
	s_waitcnt vmcnt(56)
	v_fma_f64 v[143:144], v[5:6], v[149:150], -v[143:144]
	v_mul_f64 v[131:132], v[1:2], v[147:148]
	v_add_f64 v[117:118], v[117:118], v[139:140]
	v_fma_f64 v[139:140], v[7:8], v[149:150], v[188:189]
	v_add_f64 v[109:110], v[109:110], v[125:126]
	s_clause 0x4
	buffer_load_dword v126, off, s[0:3], 0 offset:460
	buffer_load_dword v147, off, s[0:3], 0 offset:472
	;; [unrolled: 1-line block ×5, first 2 shown]
	s_waitcnt vmcnt(57) lgkmcnt(0)
	v_mul_f64 v[188:189], v[105:106], v[151:152]
	v_mul_f64 v[150:151], v[107:108], v[151:152]
	s_waitcnt vmcnt(56)
	v_fma_f64 v[135:136], v[1:2], v[137:138], -v[135:136]
	ds_read_b128 v[5:8], v166 offset:992
	v_fma_f64 v[131:132], v[3:4], v[137:138], v[131:132]
	s_clause 0x2
	buffer_load_dword v148, off, s[0:3], 0 offset:476
	buffer_load_dword v138, off, s[0:3], 0 offset:452
	;; [unrolled: 1-line block ×3, first 2 shown]
	ds_read_b128 v[1:4], v166 offset:1008
	v_add_f64 v[117:118], v[117:118], v[143:144]
	v_add_f64 v[109:110], v[109:110], v[139:140]
	s_waitcnt vmcnt(58) lgkmcnt(1)
	v_mul_f64 v[143:144], v[7:8], v[155:156]
	s_waitcnt vmcnt(56)
	v_fma_f64 v[151:152], v[105:106], v[157:158], -v[150:151]
	v_mul_f64 v[139:140], v[5:6], v[155:156]
	v_add_f64 v[117:118], v[117:118], v[135:136]
	v_fma_f64 v[135:136], v[107:108], v[157:158], v[188:189]
	v_add_f64 v[109:110], v[109:110], v[131:132]
	s_clause 0x4
	buffer_load_dword v132, off, s[0:3], 0 offset:492
	buffer_load_dword v155, off, s[0:3], 0 offset:504
	;; [unrolled: 1-line block ×5, first 2 shown]
	s_waitcnt vmcnt(57) lgkmcnt(0)
	v_mul_f64 v[188:189], v[1:2], v[159:160]
	v_mul_f64 v[158:159], v[3:4], v[159:160]
	s_waitcnt vmcnt(56)
	v_fma_f64 v[143:144], v[5:6], v[145:146], -v[143:144]
	ds_read_b128 v[105:108], v166 offset:1024
	v_fma_f64 v[139:140], v[7:8], v[145:146], v[139:140]
	v_add_f64 v[117:118], v[117:118], v[151:152]
	v_add_f64 v[109:110], v[109:110], v[135:136]
	s_clause 0x2
	buffer_load_dword v156, off, s[0:3], 0 offset:508
	buffer_load_dword v136, off, s[0:3], 0 offset:484
	;; [unrolled: 1-line block ×3, first 2 shown]
	ds_read_b128 v[5:8], v166 offset:1040
	s_waitcnt vmcnt(58) lgkmcnt(1)
	v_mul_f64 v[151:152], v[107:108], v[161:162]
	s_waitcnt vmcnt(56)
	v_fma_f64 v[159:160], v[1:2], v[163:164], -v[158:159]
	v_mul_f64 v[145:146], v[105:106], v[161:162]
	v_add_f64 v[117:118], v[117:118], v[143:144]
	v_fma_f64 v[143:144], v[3:4], v[163:164], v[188:189]
	v_add_f64 v[109:110], v[109:110], v[139:140]
	s_clause 0x4
	buffer_load_dword v140, off, s[0:3], 0 offset:524
	buffer_load_dword v161, off, s[0:3], 0 offset:536
	;; [unrolled: 1-line block ×5, first 2 shown]
	s_waitcnt vmcnt(57) lgkmcnt(0)
	v_mul_f64 v[188:189], v[5:6], v[173:174]
	v_mul_f64 v[173:174], v[7:8], v[173:174]
	s_waitcnt vmcnt(56)
	v_fma_f64 v[151:152], v[105:106], v[153:154], -v[151:152]
	ds_read_b128 v[1:4], v166 offset:1056
	v_fma_f64 v[145:146], v[107:108], v[153:154], v[145:146]
	v_add_f64 v[117:118], v[117:118], v[159:160]
	v_add_f64 v[109:110], v[109:110], v[143:144]
	s_clause 0x2
	buffer_load_dword v162, off, s[0:3], 0 offset:540
	buffer_load_dword v144, off, s[0:3], 0 offset:516
	buffer_load_dword v143, off, s[0:3], 0 offset:512
	ds_read_b128 v[105:108], v166 offset:1072
	s_waitcnt vmcnt(58) lgkmcnt(1)
	v_mul_f64 v[159:160], v[3:4], v[175:176]
	v_mul_f64 v[153:154], v[1:2], v[175:176]
	s_waitcnt vmcnt(56)
	v_fma_f64 v[173:174], v[5:6], v[113:114], -v[173:174]
	v_fma_f64 v[113:114], v[7:8], v[113:114], v[188:189]
	v_add_f64 v[117:118], v[117:118], v[151:152]
	v_add_f64 v[109:110], v[109:110], v[145:146]
	s_clause 0x4
	buffer_load_dword v146, off, s[0:3], 0 offset:556
	buffer_load_dword v151, off, s[0:3], 0 offset:568
	;; [unrolled: 1-line block ×5, first 2 shown]
	ds_read_b128 v[5:8], v166 offset:1088
	s_waitcnt vmcnt(57) lgkmcnt(1)
	v_mul_f64 v[188:189], v[105:106], v[111:112]
	v_mul_f64 v[111:112], v[107:108], v[111:112]
	s_waitcnt vmcnt(56)
	v_fma_f64 v[159:160], v[1:2], v[177:178], -v[159:160]
	v_fma_f64 v[153:154], v[3:4], v[177:178], v[153:154]
	v_add_f64 v[117:118], v[117:118], v[173:174]
	v_add_f64 v[109:110], v[109:110], v[113:114]
	s_clause 0x2
	buffer_load_dword v152, off, s[0:3], 0 offset:572
	buffer_load_dword v114, off, s[0:3], 0 offset:548
	;; [unrolled: 1-line block ×3, first 2 shown]
	s_waitcnt vmcnt(58) lgkmcnt(0)
	v_mul_f64 v[177:178], v[7:8], v[179:180]
	ds_read_b128 v[1:4], v166 offset:1104
	v_mul_f64 v[173:174], v[5:6], v[179:180]
	s_waitcnt vmcnt(56)
	v_fma_f64 v[111:112], v[105:106], v[169:170], -v[111:112]
	v_add_f64 v[117:118], v[117:118], v[159:160]
	v_fma_f64 v[159:160], v[107:108], v[169:170], v[188:189]
	v_add_f64 v[109:110], v[109:110], v[153:154]
	s_clause 0x4
	buffer_load_dword v154, off, s[0:3], 0 offset:588
	buffer_load_dword v169, off, s[0:3], 0 offset:600
	;; [unrolled: 1-line block ×5, first 2 shown]
	ds_read_b128 v[105:108], v166 offset:1120
	s_waitcnt vmcnt(57) lgkmcnt(1)
	v_mul_f64 v[188:189], v[1:2], v[129:130]
	v_mul_f64 v[129:130], v[3:4], v[129:130]
	s_waitcnt vmcnt(56)
	v_fma_f64 v[177:178], v[5:6], v[184:185], -v[177:178]
	v_add_f64 v[111:112], v[117:118], v[111:112]
	v_fma_f64 v[117:118], v[7:8], v[184:185], v[173:174]
	v_add_f64 v[109:110], v[109:110], v[159:160]
	s_clause 0x2
	buffer_load_dword v170, off, s[0:3], 0 offset:604
	buffer_load_dword v160, off, s[0:3], 0 offset:580
	;; [unrolled: 1-line block ×3, first 2 shown]
	ds_read_b128 v[5:8], v166 offset:1136
	s_waitcnt vmcnt(58) lgkmcnt(1)
	v_mul_f64 v[173:174], v[105:106], v[171:172]
	v_mul_f64 v[171:172], v[107:108], v[171:172]
	s_waitcnt vmcnt(56)
	v_fma_f64 v[129:130], v[1:2], v[123:124], -v[129:130]
	v_fma_f64 v[123:124], v[3:4], v[123:124], v[188:189]
	v_add_f64 v[111:112], v[111:112], v[177:178]
	v_add_f64 v[109:110], v[109:110], v[117:118]
	s_clause 0x4
	buffer_load_dword v118, off, s[0:3], 0 offset:620
	buffer_load_dword v177, off, s[0:3], 0 offset:632
	;; [unrolled: 1-line block ×5, first 2 shown]
	ds_read_b128 v[1:4], v166 offset:1152
	s_waitcnt vmcnt(57) lgkmcnt(1)
	v_mul_f64 v[184:185], v[5:6], v[115:116]
	v_mul_f64 v[115:116], v[7:8], v[115:116]
	s_waitcnt vmcnt(56)
	v_fma_f64 v[171:172], v[105:106], v[186:187], -v[171:172]
	v_add_f64 v[111:112], v[111:112], v[129:130]
	v_fma_f64 v[129:130], v[107:108], v[186:187], v[173:174]
	v_add_f64 v[109:110], v[109:110], v[123:124]
	s_clause 0x2
	buffer_load_dword v178, off, s[0:3], 0 offset:636
	buffer_load_dword v124, off, s[0:3], 0 offset:612
	;; [unrolled: 1-line block ×3, first 2 shown]
	ds_read_b128 v[105:108], v166 offset:1168
	s_waitcnt vmcnt(58) lgkmcnt(1)
	v_mul_f64 v[173:174], v[1:2], v[133:134]
	v_mul_f64 v[133:134], v[3:4], v[133:134]
	s_waitcnt vmcnt(56)
	v_fma_f64 v[115:116], v[5:6], v[121:122], -v[115:116]
	v_fma_f64 v[121:122], v[7:8], v[121:122], v[184:185]
	v_add_f64 v[111:112], v[111:112], v[171:172]
	v_add_f64 v[109:110], v[109:110], v[129:130]
	s_clause 0x4
	buffer_load_dword v130, off, s[0:3], 0 offset:652
	buffer_load_dword v171, off, s[0:3], 0 offset:664
	;; [unrolled: 1-line block ×5, first 2 shown]
	ds_read_b128 v[5:8], v166 offset:1184
	s_waitcnt vmcnt(57) lgkmcnt(1)
	v_mul_f64 v[186:187], v[105:106], v[119:120]
	v_mul_f64 v[119:120], v[107:108], v[119:120]
	s_waitcnt vmcnt(56)
	v_fma_f64 v[133:134], v[1:2], v[181:182], -v[133:134]
	v_add_f64 v[111:112], v[111:112], v[115:116]
	v_fma_f64 v[115:116], v[3:4], v[181:182], v[173:174]
	v_add_f64 v[109:110], v[109:110], v[121:122]
	s_clause 0x2
	buffer_load_dword v172, off, s[0:3], 0 offset:668
	buffer_load_dword v122, off, s[0:3], 0 offset:644
	;; [unrolled: 1-line block ×3, first 2 shown]
	s_waitcnt vmcnt(58) lgkmcnt(0)
	v_mul_f64 v[173:174], v[5:6], v[141:142]
	v_mul_f64 v[141:142], v[7:8], v[141:142]
	ds_read_b128 v[1:4], v166 offset:1200
	s_waitcnt vmcnt(56)
	v_fma_f64 v[119:120], v[105:106], v[127:128], -v[119:120]
	v_fma_f64 v[127:128], v[107:108], v[127:128], v[186:187]
	v_add_f64 v[111:112], v[111:112], v[133:134]
	v_add_f64 v[109:110], v[109:110], v[115:116]
	s_clause 0x4
	buffer_load_dword v116, off, s[0:3], 0 offset:684
	buffer_load_dword v133, off, s[0:3], 0 offset:696
	;; [unrolled: 1-line block ×5, first 2 shown]
	ds_read_b128 v[105:108], v166 offset:1216
	s_waitcnt vmcnt(57) lgkmcnt(1)
	v_mul_f64 v[187:188], v[1:2], v[125:126]
	v_mul_f64 v[125:126], v[3:4], v[125:126]
	s_waitcnt vmcnt(56)
	v_fma_f64 v[141:142], v[5:6], v[167:168], -v[141:142]
	v_add_f64 v[111:112], v[111:112], v[119:120]
	v_fma_f64 v[119:120], v[7:8], v[167:168], v[173:174]
	v_add_f64 v[109:110], v[109:110], v[127:128]
	s_clause 0x2
	buffer_load_dword v134, off, s[0:3], 0 offset:700
	buffer_load_dword v128, off, s[0:3], 0 offset:676
	;; [unrolled: 1-line block ×3, first 2 shown]
	s_waitcnt vmcnt(58) lgkmcnt(0)
	v_mul_f64 v[167:168], v[105:106], v[147:148]
	v_mul_f64 v[147:148], v[107:108], v[147:148]
	ds_read_b128 v[5:8], v166 offset:1232
	s_waitcnt vmcnt(56)
	v_fma_f64 v[125:126], v[1:2], v[137:138], -v[125:126]
	v_fma_f64 v[137:138], v[3:4], v[137:138], v[187:188]
	v_add_f64 v[111:112], v[111:112], v[141:142]
	v_add_f64 v[109:110], v[109:110], v[119:120]
	s_clause 0x4
	buffer_load_dword v120, off, s[0:3], 0 offset:716
	buffer_load_dword v141, off, s[0:3], 0 offset:728
	;; [unrolled: 1-line block ×5, first 2 shown]
	ds_read_b128 v[1:4], v166 offset:1248
	s_waitcnt vmcnt(57) lgkmcnt(1)
	v_mul_f64 v[187:188], v[5:6], v[131:132]
	v_mul_f64 v[131:132], v[7:8], v[131:132]
	s_waitcnt vmcnt(56)
	v_fma_f64 v[147:148], v[105:106], v[149:150], -v[147:148]
	v_add_f64 v[111:112], v[111:112], v[125:126]
	v_fma_f64 v[125:126], v[107:108], v[149:150], v[167:168]
	v_add_f64 v[109:110], v[109:110], v[137:138]
	s_clause 0x2
	buffer_load_dword v142, off, s[0:3], 0 offset:732
	buffer_load_dword v138, off, s[0:3], 0 offset:708
	;; [unrolled: 1-line block ×3, first 2 shown]
	ds_read_b128 v[105:108], v166 offset:1264
	s_waitcnt vmcnt(58) lgkmcnt(1)
	v_mul_f64 v[149:150], v[1:2], v[155:156]
	v_mul_f64 v[155:156], v[3:4], v[155:156]
	s_waitcnt vmcnt(56)
	v_fma_f64 v[131:132], v[5:6], v[135:136], -v[131:132]
	v_fma_f64 v[135:136], v[7:8], v[135:136], v[187:188]
	v_add_f64 v[111:112], v[111:112], v[147:148]
	v_add_f64 v[109:110], v[109:110], v[125:126]
	s_clause 0x4
	buffer_load_dword v126, off, s[0:3], 0 offset:748
	buffer_load_dword v147, off, s[0:3], 0 offset:760
	;; [unrolled: 1-line block ×5, first 2 shown]
	ds_read_b128 v[5:8], v166 offset:1280
	s_waitcnt vmcnt(57) lgkmcnt(1)
	v_mul_f64 v[187:188], v[105:106], v[139:140]
	v_mul_f64 v[139:140], v[107:108], v[139:140]
	s_waitcnt vmcnt(56)
	v_fma_f64 v[155:156], v[1:2], v[157:158], -v[155:156]
	v_add_f64 v[111:112], v[111:112], v[131:132]
	v_fma_f64 v[131:132], v[3:4], v[157:158], v[149:150]
	v_add_f64 v[109:110], v[109:110], v[135:136]
	s_clause 0x2
	buffer_load_dword v148, off, s[0:3], 0 offset:764
	buffer_load_dword v136, off, s[0:3], 0 offset:740
	;; [unrolled: 1-line block ×3, first 2 shown]
	ds_read_b128 v[1:4], v166 offset:1296
	s_waitcnt vmcnt(58) lgkmcnt(1)
	v_mul_f64 v[157:158], v[7:8], v[161:162]
	v_mul_f64 v[149:150], v[5:6], v[161:162]
	s_waitcnt vmcnt(56)
	v_fma_f64 v[139:140], v[105:106], v[143:144], -v[139:140]
	v_fma_f64 v[143:144], v[107:108], v[143:144], v[187:188]
	v_add_f64 v[111:112], v[111:112], v[155:156]
	v_add_f64 v[109:110], v[109:110], v[131:132]
	s_clause 0x2
	buffer_load_dword v132, off, s[0:3], 0 offset:780
	buffer_load_dword v131, off, s[0:3], 0 offset:776
	;; [unrolled: 1-line block ×3, first 2 shown]
	ds_read_b128 v[105:108], v166 offset:1312
	s_waitcnt vmcnt(55) lgkmcnt(1)
	v_mul_f64 v[155:156], v[1:2], v[145:146]
	v_mul_f64 v[145:146], v[3:4], v[145:146]
	s_waitcnt vmcnt(54)
	v_fma_f64 v[157:158], v[5:6], v[163:164], -v[157:158]
	v_add_f64 v[111:112], v[111:112], v[139:140]
	v_fma_f64 v[139:140], v[7:8], v[163:164], v[149:150]
	v_add_f64 v[109:110], v[109:110], v[143:144]
	s_clause 0x1
	buffer_load_dword v144, off, s[0:3], 0 offset:772
	buffer_load_dword v143, off, s[0:3], 0 offset:768
	ds_read_b128 v[5:8], v166 offset:1328
	s_waitcnt vmcnt(55) lgkmcnt(1)
	v_mul_f64 v[149:150], v[105:106], v[151:152]
	v_mul_f64 v[151:152], v[107:108], v[151:152]
	s_waitcnt vmcnt(53)
	v_fma_f64 v[145:146], v[1:2], v[113:114], -v[145:146]
	v_fma_f64 v[113:114], v[3:4], v[113:114], v[155:156]
	ds_read_b128 v[1:4], v166 offset:1344
	v_add_f64 v[111:112], v[111:112], v[157:158]
	v_add_f64 v[109:110], v[109:110], v[139:140]
	s_waitcnt vmcnt(49) lgkmcnt(1)
	v_mul_f64 v[139:140], v[5:6], v[153:154]
	v_mul_f64 v[153:154], v[7:8], v[153:154]
	s_waitcnt vmcnt(48)
	v_fma_f64 v[151:152], v[105:106], v[175:176], -v[151:152]
	v_add_f64 v[111:112], v[111:112], v[145:146]
	v_fma_f64 v[145:146], v[107:108], v[175:176], v[149:150]
	v_add_f64 v[109:110], v[109:110], v[113:114]
	s_clause 0x3
	buffer_load_dword v113, off, s[0:3], 0 offset:32
	buffer_load_dword v114, off, s[0:3], 0 offset:36
	;; [unrolled: 1-line block ×4, first 2 shown]
	ds_read_b128 v[105:108], v166 offset:1360
	s_waitcnt vmcnt(51) lgkmcnt(1)
	v_mul_f64 v[157:158], v[3:4], v[169:170]
	v_mul_f64 v[155:156], v[1:2], v[169:170]
	s_waitcnt vmcnt(49)
	v_fma_f64 v[153:154], v[5:6], v[159:160], -v[153:154]
	v_fma_f64 v[139:140], v[7:8], v[159:160], v[139:140]
	ds_read_b128 v[5:8], v166 offset:1376
	v_add_f64 v[111:112], v[111:112], v[151:152]
	v_add_f64 v[109:110], v[109:110], v[145:146]
	s_waitcnt vmcnt(45) lgkmcnt(1)
	v_mul_f64 v[145:146], v[105:106], v[117:118]
	v_mul_f64 v[117:118], v[107:108], v[117:118]
	s_waitcnt vmcnt(44)
	v_fma_f64 v[151:152], v[1:2], v[179:180], -v[157:158]
	v_add_f64 v[111:112], v[111:112], v[153:154]
	v_fma_f64 v[153:154], v[3:4], v[179:180], v[155:156]
	v_add_f64 v[109:110], v[109:110], v[139:140]
	ds_read_b128 v[1:4], v166 offset:1392
	s_waitcnt vmcnt(43) lgkmcnt(1)
	v_mul_f64 v[155:156], v[7:8], v[177:178]
	v_mul_f64 v[139:140], v[5:6], v[177:178]
	s_waitcnt vmcnt(41)
	v_fma_f64 v[117:118], v[105:106], v[123:124], -v[117:118]
	v_fma_f64 v[123:124], v[107:108], v[123:124], v[145:146]
	ds_read_b128 v[105:108], v166 offset:1408
	v_add_f64 v[111:112], v[111:112], v[151:152]
	v_add_f64 v[109:110], v[109:110], v[153:154]
	s_waitcnt vmcnt(37) lgkmcnt(1)
	v_mul_f64 v[145:146], v[1:2], v[129:130]
	v_mul_f64 v[129:130], v[3:4], v[129:130]
	s_waitcnt vmcnt(36)
	v_fma_f64 v[151:152], v[5:6], v[183:184], -v[155:156]
	v_add_f64 v[111:112], v[111:112], v[117:118]
	v_fma_f64 v[117:118], v[7:8], v[183:184], v[139:140]
	v_add_f64 v[109:110], v[109:110], v[123:124]
	ds_read_b128 v[5:8], v166 offset:1424
	s_waitcnt vmcnt(35) lgkmcnt(1)
	v_mul_f64 v[139:140], v[107:108], v[171:172]
	v_mul_f64 v[123:124], v[105:106], v[171:172]
	s_waitcnt vmcnt(33)
	v_fma_f64 v[129:130], v[1:2], v[121:122], -v[129:130]
	v_fma_f64 v[121:122], v[3:4], v[121:122], v[145:146]
	ds_read_b128 v[1:4], v166 offset:1440
	v_add_f64 v[111:112], v[111:112], v[151:152]
	v_add_f64 v[109:110], v[109:110], v[117:118]
	s_waitcnt vmcnt(29) lgkmcnt(1)
	v_mul_f64 v[117:118], v[5:6], v[115:116]
	v_mul_f64 v[115:116], v[7:8], v[115:116]
	s_waitcnt vmcnt(28)
	v_fma_f64 v[139:140], v[105:106], v[185:186], -v[139:140]
	v_fma_f64 v[123:124], v[107:108], v[185:186], v[123:124]
	ds_read_b128 v[105:108], v166 offset:1456
	v_add_f64 v[111:112], v[111:112], v[129:130]
	v_add_f64 v[109:110], v[109:110], v[121:122]
	;; [unrolled: 9-line block ×3, first 2 shown]
	s_waitcnt vmcnt(21) lgkmcnt(1)
	v_mul_f64 v[123:124], v[105:106], v[119:120]
	v_mul_f64 v[119:120], v[107:108], v[119:120]
	s_waitcnt vmcnt(20)
	v_fma_f64 v[127:128], v[1:2], v[181:182], -v[129:130]
	v_add_f64 v[111:112], v[111:112], v[115:116]
	v_fma_f64 v[115:116], v[3:4], v[181:182], v[121:122]
	v_add_f64 v[109:110], v[109:110], v[117:118]
	ds_read_b128 v[1:4], v166 offset:1488
	s_waitcnt vmcnt(19) lgkmcnt(1)
	v_mul_f64 v[121:122], v[7:8], v[141:142]
	v_mul_f64 v[117:118], v[5:6], v[141:142]
	s_waitcnt vmcnt(17)
	v_fma_f64 v[119:120], v[105:106], v[137:138], -v[119:120]
	v_fma_f64 v[123:124], v[107:108], v[137:138], v[123:124]
	ds_read_b128 v[105:108], v166 offset:1504
	v_add_f64 v[111:112], v[111:112], v[127:128]
	v_add_f64 v[109:110], v[109:110], v[115:116]
	s_waitcnt vmcnt(13) lgkmcnt(1)
	v_mul_f64 v[115:116], v[1:2], v[125:126]
	v_mul_f64 v[125:126], v[3:4], v[125:126]
	s_waitcnt vmcnt(12)
	v_fma_f64 v[121:122], v[5:6], v[173:174], -v[121:122]
	v_fma_f64 v[117:118], v[7:8], v[173:174], v[117:118]
	ds_read_b128 v[5:8], v166 offset:1520
	v_add_f64 v[111:112], v[111:112], v[119:120]
	v_add_f64 v[109:110], v[109:110], v[123:124]
	s_waitcnt vmcnt(11) lgkmcnt(1)
	v_mul_f64 v[123:124], v[107:108], v[147:148]
	v_mul_f64 v[119:120], v[105:106], v[147:148]
	s_waitcnt vmcnt(9)
	v_fma_f64 v[1:2], v[1:2], v[135:136], -v[125:126]
	v_fma_f64 v[3:4], v[3:4], v[135:136], v[115:116]
	v_add_f64 v[111:112], v[111:112], v[121:122]
	v_add_f64 v[109:110], v[109:110], v[117:118]
	s_waitcnt vmcnt(7) lgkmcnt(0)
	v_mul_f64 v[117:118], v[7:8], v[131:132]
	s_waitcnt vmcnt(6)
	v_fma_f64 v[105:106], v[105:106], v[167:168], -v[123:124]
	v_mul_f64 v[115:116], v[5:6], v[131:132]
	v_fma_f64 v[107:108], v[107:108], v[167:168], v[119:120]
	v_add_f64 v[1:2], v[111:112], v[1:2]
	v_add_f64 v[3:4], v[109:110], v[3:4]
	s_waitcnt vmcnt(4)
	v_fma_f64 v[5:6], v[5:6], v[143:144], -v[117:118]
	v_fma_f64 v[7:8], v[7:8], v[143:144], v[115:116]
	v_add_f64 v[1:2], v[1:2], v[105:106]
	v_add_f64 v[3:4], v[3:4], v[107:108]
	;; [unrolled: 1-line block ×4, first 2 shown]
	s_waitcnt vmcnt(2)
	v_add_f64 v[1:2], v[113:114], -v[1:2]
	s_waitcnt vmcnt(0)
	v_add_f64 v[3:4], v[149:150], -v[3:4]
	buffer_store_dword v2, off, s[0:3], 0 offset:36
	buffer_store_dword v1, off, s[0:3], 0 offset:32
	;; [unrolled: 1-line block ×4, first 2 shown]
	v_cmpx_ne_u32_e32 0, v0
	s_cbranch_execz .LBB111_301
; %bb.300:
	s_clause 0x3
	buffer_load_dword v0, off, s[0:3], 0 offset:16
	buffer_load_dword v1, off, s[0:3], 0 offset:20
	buffer_load_dword v2, off, s[0:3], 0 offset:24
	buffer_load_dword v3, off, s[0:3], 0 offset:28
	v_mov_b32_e32 v4, 0
	buffer_store_dword v4, off, s[0:3], 0 offset:16
	buffer_store_dword v4, off, s[0:3], 0 offset:20
	;; [unrolled: 1-line block ×4, first 2 shown]
	s_waitcnt vmcnt(0)
	ds_write_b128 v165, v[0:3]
.LBB111_301:
	s_or_b32 exec_lo, exec_lo, s4
	s_waitcnt lgkmcnt(0)
	s_waitcnt_vscnt null, 0x0
	s_barrier
	buffer_gl0_inv
	s_clause 0x37
	buffer_load_dword v113, off, s[0:3], 0 offset:40
	buffer_load_dword v114, off, s[0:3], 0 offset:44
	;; [unrolled: 1-line block ×56, first 2 shown]
	v_mov_b32_e32 v8, 0
	s_and_b32 vcc_lo, exec_lo, s60
	ds_read_b128 v[4:7], v8 offset:784
	s_clause 0x2
	buffer_load_dword v162, off, s[0:3], 0 offset:268
	buffer_load_dword v164, off, s[0:3], 0 offset:244
	;; [unrolled: 1-line block ×3, first 2 shown]
	ds_read_b128 v[0:3], v8 offset:800
	s_clause 0x4
	buffer_load_dword v172, off, s[0:3], 0 offset:284
	buffer_load_dword v173, off, s[0:3], 0 offset:296
	;; [unrolled: 1-line block ×5, first 2 shown]
	ds_read_b128 v[165:168], v8 offset:816
	s_waitcnt vmcnt(62) lgkmcnt(2)
	v_mul_f64 v[169:170], v[6:7], v[113:114]
	v_mul_f64 v[113:114], v[4:5], v[113:114]
	s_waitcnt vmcnt(60) lgkmcnt(1)
	v_mul_f64 v[176:177], v[2:3], v[109:110]
	v_mul_f64 v[109:110], v[0:1], v[109:110]
	;; [unrolled: 3-line block ×3, first 2 shown]
	v_fma_f64 v[169:170], v[4:5], v[111:112], -v[169:170]
	v_fma_f64 v[111:112], v[6:7], v[111:112], v[113:114]
	s_clause 0x2
	buffer_load_dword v174, off, s[0:3], 0 offset:300
	buffer_load_dword v114, off, s[0:3], 0 offset:276
	;; [unrolled: 1-line block ×3, first 2 shown]
	s_waitcnt vmcnt(57)
	v_fma_f64 v[180:181], v[0:1], v[105:106], -v[176:177]
	ds_read_b128 v[4:7], v8 offset:832
	v_fma_f64 v[105:106], v[2:3], v[105:106], v[109:110]
	s_waitcnt vmcnt(51)
	v_fma_f64 v[165:166], v[165:166], v[129:130], -v[107:108]
	v_fma_f64 v[129:130], v[167:168], v[129:130], v[178:179]
	v_add_f64 v[169:170], v[169:170], 0
	v_add_f64 v[109:110], v[111:112], 0
	s_clause 0x4
	buffer_load_dword v112, off, s[0:3], 0 offset:316
	buffer_load_dword v177, off, s[0:3], 0 offset:328
	buffer_load_dword v182, off, s[0:3], 0 offset:320
	buffer_load_dword v111, off, s[0:3], 0 offset:312
	buffer_load_dword v176, off, s[0:3], 0 offset:292
	s_waitcnt lgkmcnt(0)
	v_mul_f64 v[183:184], v[4:5], v[117:118]
	v_mul_f64 v[117:118], v[6:7], v[117:118]
	ds_read_b128 v[0:3], v8 offset:848
	s_clause 0x2
	buffer_load_dword v178, off, s[0:3], 0 offset:332
	buffer_load_dword v168, off, s[0:3], 0 offset:308
	buffer_load_dword v167, off, s[0:3], 0 offset:304
	v_add_f64 v[169:170], v[169:170], v[180:181]
	v_add_f64 v[109:110], v[109:110], v[105:106]
	ds_read_b128 v[105:108], v8 offset:864
	s_waitcnt vmcnt(58) lgkmcnt(1)
	v_mul_f64 v[179:180], v[0:1], v[121:122]
	v_mul_f64 v[121:122], v[2:3], v[121:122]
	s_waitcnt vmcnt(56)
	v_fma_f64 v[117:118], v[4:5], v[123:124], -v[117:118]
	v_fma_f64 v[123:124], v[6:7], v[123:124], v[183:184]
	s_waitcnt vmcnt(52) lgkmcnt(0)
	v_mul_f64 v[185:186], v[105:106], v[125:126]
	v_add_f64 v[165:166], v[169:170], v[165:166]
	v_add_f64 v[109:110], v[109:110], v[129:130]
	s_clause 0x4
	buffer_load_dword v130, off, s[0:3], 0 offset:348
	buffer_load_dword v169, off, s[0:3], 0 offset:360
	;; [unrolled: 1-line block ×5, first 2 shown]
	v_mul_f64 v[125:126], v[107:108], v[125:126]
	s_waitcnt vmcnt(56)
	v_fma_f64 v[121:122], v[0:1], v[115:116], -v[121:122]
	ds_read_b128 v[4:7], v8 offset:880
	v_fma_f64 v[115:116], v[2:3], v[115:116], v[179:180]
	v_add_f64 v[117:118], v[165:166], v[117:118]
	v_add_f64 v[109:110], v[109:110], v[123:124]
	s_clause 0x2
	buffer_load_dword v170, off, s[0:3], 0 offset:364
	buffer_load_dword v124, off, s[0:3], 0 offset:340
	;; [unrolled: 1-line block ×3, first 2 shown]
	s_waitcnt vmcnt(58) lgkmcnt(0)
	v_mul_f64 v[165:166], v[4:5], v[131:132]
	v_mul_f64 v[131:132], v[6:7], v[131:132]
	s_waitcnt vmcnt(56)
	v_fma_f64 v[125:126], v[105:106], v[133:134], -v[125:126]
	ds_read_b128 v[0:3], v8 offset:896
	v_add_f64 v[117:118], v[117:118], v[121:122]
	v_fma_f64 v[121:122], v[107:108], v[133:134], v[185:186]
	v_add_f64 v[109:110], v[109:110], v[115:116]
	s_clause 0x4
	buffer_load_dword v116, off, s[0:3], 0 offset:380
	buffer_load_dword v133, off, s[0:3], 0 offset:392
	;; [unrolled: 1-line block ×5, first 2 shown]
	s_waitcnt vmcnt(57) lgkmcnt(0)
	v_mul_f64 v[180:181], v[0:1], v[135:136]
	v_mul_f64 v[135:136], v[2:3], v[135:136]
	s_waitcnt vmcnt(56)
	v_fma_f64 v[131:132], v[4:5], v[119:120], -v[131:132]
	ds_read_b128 v[105:108], v8 offset:912
	v_fma_f64 v[119:120], v[6:7], v[119:120], v[165:166]
	v_add_f64 v[117:118], v[117:118], v[125:126]
	v_add_f64 v[109:110], v[109:110], v[121:122]
	s_clause 0x2
	buffer_load_dword v134, off, s[0:3], 0 offset:396
	buffer_load_dword v122, off, s[0:3], 0 offset:372
	;; [unrolled: 1-line block ×3, first 2 shown]
	ds_read_b128 v[4:7], v8 offset:928
	s_waitcnt vmcnt(58) lgkmcnt(1)
	v_mul_f64 v[125:126], v[105:106], v[139:140]
	v_mul_f64 v[139:140], v[107:108], v[139:140]
	s_waitcnt vmcnt(56)
	v_fma_f64 v[135:136], v[0:1], v[141:142], -v[135:136]
	v_add_f64 v[117:118], v[117:118], v[131:132]
	v_fma_f64 v[131:132], v[2:3], v[141:142], v[180:181]
	v_add_f64 v[109:110], v[109:110], v[119:120]
	s_clause 0x4
	buffer_load_dword v120, off, s[0:3], 0 offset:412
	buffer_load_dword v141, off, s[0:3], 0 offset:424
	;; [unrolled: 1-line block ×5, first 2 shown]
	s_waitcnt vmcnt(57) lgkmcnt(0)
	v_mul_f64 v[186:187], v[4:5], v[143:144]
	v_mul_f64 v[143:144], v[6:7], v[143:144]
	s_waitcnt vmcnt(56)
	v_fma_f64 v[139:140], v[105:106], v[127:128], -v[139:140]
	ds_read_b128 v[0:3], v8 offset:944
	v_fma_f64 v[125:126], v[107:108], v[127:128], v[125:126]
	s_clause 0x2
	buffer_load_dword v142, off, s[0:3], 0 offset:428
	buffer_load_dword v128, off, s[0:3], 0 offset:404
	;; [unrolled: 1-line block ×3, first 2 shown]
	ds_read_b128 v[105:108], v8 offset:960
	v_add_f64 v[117:118], v[117:118], v[135:136]
	v_add_f64 v[109:110], v[109:110], v[131:132]
	s_waitcnt vmcnt(58) lgkmcnt(1)
	v_mul_f64 v[135:136], v[2:3], v[147:148]
	s_waitcnt vmcnt(56)
	v_fma_f64 v[143:144], v[4:5], v[149:150], -v[143:144]
	v_mul_f64 v[131:132], v[0:1], v[147:148]
	v_add_f64 v[117:118], v[117:118], v[139:140]
	v_fma_f64 v[139:140], v[6:7], v[149:150], v[186:187]
	v_add_f64 v[109:110], v[109:110], v[125:126]
	s_clause 0x4
	buffer_load_dword v126, off, s[0:3], 0 offset:444
	buffer_load_dword v147, off, s[0:3], 0 offset:456
	;; [unrolled: 1-line block ×5, first 2 shown]
	s_waitcnt vmcnt(57) lgkmcnt(0)
	v_mul_f64 v[186:187], v[105:106], v[151:152]
	v_mul_f64 v[150:151], v[107:108], v[151:152]
	s_waitcnt vmcnt(56)
	v_fma_f64 v[135:136], v[0:1], v[137:138], -v[135:136]
	ds_read_b128 v[4:7], v8 offset:976
	v_fma_f64 v[131:132], v[2:3], v[137:138], v[131:132]
	s_clause 0x2
	buffer_load_dword v148, off, s[0:3], 0 offset:460
	buffer_load_dword v138, off, s[0:3], 0 offset:436
	;; [unrolled: 1-line block ×3, first 2 shown]
	ds_read_b128 v[0:3], v8 offset:992
	v_add_f64 v[117:118], v[117:118], v[143:144]
	v_add_f64 v[109:110], v[109:110], v[139:140]
	s_waitcnt vmcnt(58) lgkmcnt(1)
	v_mul_f64 v[143:144], v[6:7], v[155:156]
	s_waitcnt vmcnt(56)
	v_fma_f64 v[151:152], v[105:106], v[157:158], -v[150:151]
	v_mul_f64 v[139:140], v[4:5], v[155:156]
	v_add_f64 v[117:118], v[117:118], v[135:136]
	v_fma_f64 v[135:136], v[107:108], v[157:158], v[186:187]
	v_add_f64 v[109:110], v[109:110], v[131:132]
	s_clause 0x4
	buffer_load_dword v132, off, s[0:3], 0 offset:476
	buffer_load_dword v155, off, s[0:3], 0 offset:488
	;; [unrolled: 1-line block ×5, first 2 shown]
	s_waitcnt vmcnt(57) lgkmcnt(0)
	v_mul_f64 v[186:187], v[0:1], v[159:160]
	v_mul_f64 v[158:159], v[2:3], v[159:160]
	s_waitcnt vmcnt(56)
	v_fma_f64 v[143:144], v[4:5], v[145:146], -v[143:144]
	ds_read_b128 v[105:108], v8 offset:1008
	v_fma_f64 v[139:140], v[6:7], v[145:146], v[139:140]
	v_add_f64 v[117:118], v[117:118], v[151:152]
	v_add_f64 v[109:110], v[109:110], v[135:136]
	s_clause 0x2
	buffer_load_dword v156, off, s[0:3], 0 offset:492
	buffer_load_dword v136, off, s[0:3], 0 offset:468
	;; [unrolled: 1-line block ×3, first 2 shown]
	ds_read_b128 v[4:7], v8 offset:1024
	s_waitcnt vmcnt(58) lgkmcnt(1)
	v_mul_f64 v[151:152], v[107:108], v[161:162]
	s_waitcnt vmcnt(56)
	v_fma_f64 v[159:160], v[0:1], v[163:164], -v[158:159]
	v_mul_f64 v[145:146], v[105:106], v[161:162]
	v_add_f64 v[117:118], v[117:118], v[143:144]
	v_fma_f64 v[143:144], v[2:3], v[163:164], v[186:187]
	v_add_f64 v[109:110], v[109:110], v[139:140]
	s_clause 0x4
	buffer_load_dword v140, off, s[0:3], 0 offset:508
	buffer_load_dword v161, off, s[0:3], 0 offset:520
	;; [unrolled: 1-line block ×5, first 2 shown]
	s_waitcnt vmcnt(57) lgkmcnt(0)
	v_mul_f64 v[186:187], v[4:5], v[171:172]
	v_mul_f64 v[171:172], v[6:7], v[171:172]
	s_waitcnt vmcnt(56)
	v_fma_f64 v[151:152], v[105:106], v[153:154], -v[151:152]
	ds_read_b128 v[0:3], v8 offset:1040
	v_fma_f64 v[145:146], v[107:108], v[153:154], v[145:146]
	v_add_f64 v[117:118], v[117:118], v[159:160]
	v_add_f64 v[109:110], v[109:110], v[143:144]
	s_clause 0x2
	buffer_load_dword v162, off, s[0:3], 0 offset:524
	buffer_load_dword v144, off, s[0:3], 0 offset:500
	;; [unrolled: 1-line block ×3, first 2 shown]
	ds_read_b128 v[105:108], v8 offset:1056
	s_waitcnt vmcnt(58) lgkmcnt(1)
	v_mul_f64 v[159:160], v[2:3], v[173:174]
	v_mul_f64 v[153:154], v[0:1], v[173:174]
	s_waitcnt vmcnt(56)
	v_fma_f64 v[171:172], v[4:5], v[113:114], -v[171:172]
	v_fma_f64 v[113:114], v[6:7], v[113:114], v[186:187]
	v_add_f64 v[117:118], v[117:118], v[151:152]
	v_add_f64 v[109:110], v[109:110], v[145:146]
	s_clause 0x4
	buffer_load_dword v146, off, s[0:3], 0 offset:540
	buffer_load_dword v151, off, s[0:3], 0 offset:552
	;; [unrolled: 1-line block ×5, first 2 shown]
	ds_read_b128 v[4:7], v8 offset:1072
	s_waitcnt vmcnt(57) lgkmcnt(1)
	v_mul_f64 v[186:187], v[105:106], v[111:112]
	v_mul_f64 v[111:112], v[107:108], v[111:112]
	s_waitcnt vmcnt(56)
	v_fma_f64 v[159:160], v[0:1], v[175:176], -v[159:160]
	v_fma_f64 v[153:154], v[2:3], v[175:176], v[153:154]
	v_add_f64 v[117:118], v[117:118], v[171:172]
	v_add_f64 v[109:110], v[109:110], v[113:114]
	s_clause 0x2
	buffer_load_dword v152, off, s[0:3], 0 offset:556
	buffer_load_dword v114, off, s[0:3], 0 offset:532
	;; [unrolled: 1-line block ×3, first 2 shown]
	s_waitcnt vmcnt(58) lgkmcnt(0)
	v_mul_f64 v[175:176], v[6:7], v[177:178]
	ds_read_b128 v[0:3], v8 offset:1088
	v_mul_f64 v[171:172], v[4:5], v[177:178]
	s_waitcnt vmcnt(56)
	v_fma_f64 v[111:112], v[105:106], v[167:168], -v[111:112]
	v_add_f64 v[117:118], v[117:118], v[159:160]
	v_fma_f64 v[159:160], v[107:108], v[167:168], v[186:187]
	v_add_f64 v[109:110], v[109:110], v[153:154]
	s_clause 0x4
	buffer_load_dword v154, off, s[0:3], 0 offset:572
	buffer_load_dword v167, off, s[0:3], 0 offset:584
	;; [unrolled: 1-line block ×5, first 2 shown]
	ds_read_b128 v[105:108], v8 offset:1104
	s_waitcnt vmcnt(57) lgkmcnt(1)
	v_mul_f64 v[186:187], v[0:1], v[129:130]
	v_mul_f64 v[129:130], v[2:3], v[129:130]
	s_waitcnt vmcnt(56)
	v_fma_f64 v[175:176], v[4:5], v[182:183], -v[175:176]
	v_add_f64 v[111:112], v[117:118], v[111:112]
	v_fma_f64 v[117:118], v[6:7], v[182:183], v[171:172]
	v_add_f64 v[109:110], v[109:110], v[159:160]
	s_clause 0x2
	buffer_load_dword v168, off, s[0:3], 0 offset:588
	buffer_load_dword v160, off, s[0:3], 0 offset:564
	;; [unrolled: 1-line block ×3, first 2 shown]
	ds_read_b128 v[4:7], v8 offset:1120
	s_waitcnt vmcnt(58) lgkmcnt(1)
	v_mul_f64 v[171:172], v[105:106], v[169:170]
	v_mul_f64 v[169:170], v[107:108], v[169:170]
	s_waitcnt vmcnt(56)
	v_fma_f64 v[129:130], v[0:1], v[123:124], -v[129:130]
	v_fma_f64 v[123:124], v[2:3], v[123:124], v[186:187]
	v_add_f64 v[111:112], v[111:112], v[175:176]
	v_add_f64 v[109:110], v[109:110], v[117:118]
	s_clause 0x4
	buffer_load_dword v118, off, s[0:3], 0 offset:604
	buffer_load_dword v175, off, s[0:3], 0 offset:616
	;; [unrolled: 1-line block ×5, first 2 shown]
	ds_read_b128 v[0:3], v8 offset:1136
	s_waitcnt vmcnt(57) lgkmcnt(1)
	v_mul_f64 v[182:183], v[4:5], v[115:116]
	v_mul_f64 v[115:116], v[6:7], v[115:116]
	s_waitcnt vmcnt(56)
	v_fma_f64 v[169:170], v[105:106], v[184:185], -v[169:170]
	v_add_f64 v[111:112], v[111:112], v[129:130]
	v_fma_f64 v[129:130], v[107:108], v[184:185], v[171:172]
	v_add_f64 v[109:110], v[109:110], v[123:124]
	s_clause 0x2
	buffer_load_dword v176, off, s[0:3], 0 offset:620
	buffer_load_dword v124, off, s[0:3], 0 offset:596
	;; [unrolled: 1-line block ×3, first 2 shown]
	ds_read_b128 v[105:108], v8 offset:1152
	s_waitcnt vmcnt(58) lgkmcnt(1)
	v_mul_f64 v[171:172], v[0:1], v[133:134]
	v_mul_f64 v[133:134], v[2:3], v[133:134]
	s_waitcnt vmcnt(56)
	v_fma_f64 v[115:116], v[4:5], v[121:122], -v[115:116]
	v_fma_f64 v[121:122], v[6:7], v[121:122], v[182:183]
	v_add_f64 v[111:112], v[111:112], v[169:170]
	v_add_f64 v[109:110], v[109:110], v[129:130]
	s_clause 0x4
	buffer_load_dword v130, off, s[0:3], 0 offset:636
	buffer_load_dword v169, off, s[0:3], 0 offset:648
	;; [unrolled: 1-line block ×5, first 2 shown]
	ds_read_b128 v[4:7], v8 offset:1168
	s_waitcnt vmcnt(57) lgkmcnt(1)
	v_mul_f64 v[184:185], v[105:106], v[119:120]
	v_mul_f64 v[119:120], v[107:108], v[119:120]
	s_waitcnt vmcnt(56)
	v_fma_f64 v[133:134], v[0:1], v[179:180], -v[133:134]
	v_add_f64 v[111:112], v[111:112], v[115:116]
	v_fma_f64 v[115:116], v[2:3], v[179:180], v[171:172]
	v_add_f64 v[109:110], v[109:110], v[121:122]
	s_clause 0x2
	buffer_load_dword v170, off, s[0:3], 0 offset:652
	buffer_load_dword v122, off, s[0:3], 0 offset:628
	;; [unrolled: 1-line block ×3, first 2 shown]
	s_waitcnt vmcnt(58) lgkmcnt(0)
	v_mul_f64 v[171:172], v[4:5], v[141:142]
	v_mul_f64 v[141:142], v[6:7], v[141:142]
	ds_read_b128 v[0:3], v8 offset:1184
	s_waitcnt vmcnt(56)
	v_fma_f64 v[119:120], v[105:106], v[127:128], -v[119:120]
	v_fma_f64 v[127:128], v[107:108], v[127:128], v[184:185]
	v_add_f64 v[111:112], v[111:112], v[133:134]
	v_add_f64 v[109:110], v[109:110], v[115:116]
	s_clause 0x4
	buffer_load_dword v116, off, s[0:3], 0 offset:668
	buffer_load_dword v133, off, s[0:3], 0 offset:680
	buffer_load_dword v179, off, s[0:3], 0 offset:672
	buffer_load_dword v115, off, s[0:3], 0 offset:664
	buffer_load_dword v184, off, s[0:3], 0 offset:644
	ds_read_b128 v[105:108], v8 offset:1200
	s_waitcnt vmcnt(57) lgkmcnt(1)
	v_mul_f64 v[185:186], v[0:1], v[125:126]
	v_mul_f64 v[125:126], v[2:3], v[125:126]
	s_waitcnt vmcnt(56)
	v_fma_f64 v[141:142], v[4:5], v[165:166], -v[141:142]
	v_add_f64 v[111:112], v[111:112], v[119:120]
	v_fma_f64 v[119:120], v[6:7], v[165:166], v[171:172]
	v_add_f64 v[109:110], v[109:110], v[127:128]
	s_clause 0x2
	buffer_load_dword v134, off, s[0:3], 0 offset:684
	buffer_load_dword v128, off, s[0:3], 0 offset:660
	;; [unrolled: 1-line block ×3, first 2 shown]
	s_waitcnt vmcnt(58) lgkmcnt(0)
	v_mul_f64 v[165:166], v[105:106], v[147:148]
	v_mul_f64 v[147:148], v[107:108], v[147:148]
	ds_read_b128 v[4:7], v8 offset:1216
	s_waitcnt vmcnt(56)
	v_fma_f64 v[125:126], v[0:1], v[137:138], -v[125:126]
	v_fma_f64 v[137:138], v[2:3], v[137:138], v[185:186]
	v_add_f64 v[111:112], v[111:112], v[141:142]
	v_add_f64 v[109:110], v[109:110], v[119:120]
	s_clause 0x4
	buffer_load_dword v120, off, s[0:3], 0 offset:700
	buffer_load_dword v141, off, s[0:3], 0 offset:712
	;; [unrolled: 1-line block ×5, first 2 shown]
	ds_read_b128 v[0:3], v8 offset:1232
	s_waitcnt vmcnt(57) lgkmcnt(1)
	v_mul_f64 v[185:186], v[4:5], v[131:132]
	v_mul_f64 v[131:132], v[6:7], v[131:132]
	s_waitcnt vmcnt(56)
	v_fma_f64 v[147:148], v[105:106], v[149:150], -v[147:148]
	v_add_f64 v[111:112], v[111:112], v[125:126]
	v_fma_f64 v[125:126], v[107:108], v[149:150], v[165:166]
	v_add_f64 v[109:110], v[109:110], v[137:138]
	s_clause 0x2
	buffer_load_dword v142, off, s[0:3], 0 offset:716
	buffer_load_dword v138, off, s[0:3], 0 offset:692
	;; [unrolled: 1-line block ×3, first 2 shown]
	ds_read_b128 v[105:108], v8 offset:1248
	s_waitcnt vmcnt(58) lgkmcnt(1)
	v_mul_f64 v[149:150], v[0:1], v[155:156]
	v_mul_f64 v[155:156], v[2:3], v[155:156]
	s_waitcnt vmcnt(56)
	v_fma_f64 v[131:132], v[4:5], v[135:136], -v[131:132]
	v_fma_f64 v[135:136], v[6:7], v[135:136], v[185:186]
	v_add_f64 v[111:112], v[111:112], v[147:148]
	v_add_f64 v[109:110], v[109:110], v[125:126]
	s_clause 0x4
	buffer_load_dword v126, off, s[0:3], 0 offset:732
	buffer_load_dword v147, off, s[0:3], 0 offset:744
	;; [unrolled: 1-line block ×5, first 2 shown]
	ds_read_b128 v[4:7], v8 offset:1264
	s_waitcnt vmcnt(57) lgkmcnt(1)
	v_mul_f64 v[185:186], v[105:106], v[139:140]
	v_mul_f64 v[139:140], v[107:108], v[139:140]
	s_waitcnt vmcnt(56)
	v_fma_f64 v[155:156], v[0:1], v[157:158], -v[155:156]
	v_add_f64 v[111:112], v[111:112], v[131:132]
	v_fma_f64 v[131:132], v[2:3], v[157:158], v[149:150]
	v_add_f64 v[109:110], v[109:110], v[135:136]
	s_clause 0x2
	buffer_load_dword v148, off, s[0:3], 0 offset:748
	buffer_load_dword v136, off, s[0:3], 0 offset:724
	;; [unrolled: 1-line block ×3, first 2 shown]
	ds_read_b128 v[0:3], v8 offset:1280
	s_waitcnt vmcnt(58) lgkmcnt(1)
	v_mul_f64 v[157:158], v[6:7], v[161:162]
	v_mul_f64 v[149:150], v[4:5], v[161:162]
	s_waitcnt vmcnt(56)
	v_fma_f64 v[139:140], v[105:106], v[143:144], -v[139:140]
	v_fma_f64 v[143:144], v[107:108], v[143:144], v[185:186]
	v_add_f64 v[111:112], v[111:112], v[155:156]
	v_add_f64 v[109:110], v[109:110], v[131:132]
	s_clause 0x4
	buffer_load_dword v132, off, s[0:3], 0 offset:764
	buffer_load_dword v155, off, s[0:3], 0 offset:776
	buffer_load_dword v161, off, s[0:3], 0 offset:768
	buffer_load_dword v131, off, s[0:3], 0 offset:760
	buffer_load_dword v166, off, s[0:3], 0 offset:740
	ds_read_b128 v[105:108], v8 offset:1296
	s_waitcnt vmcnt(57) lgkmcnt(1)
	v_mul_f64 v[185:186], v[0:1], v[145:146]
	v_mul_f64 v[145:146], v[2:3], v[145:146]
	s_waitcnt vmcnt(56)
	v_fma_f64 v[157:158], v[4:5], v[163:164], -v[157:158]
	v_add_f64 v[111:112], v[111:112], v[139:140]
	v_fma_f64 v[139:140], v[6:7], v[163:164], v[149:150]
	v_add_f64 v[109:110], v[109:110], v[143:144]
	s_clause 0x2
	buffer_load_dword v156, off, s[0:3], 0 offset:780
	buffer_load_dword v144, off, s[0:3], 0 offset:756
	buffer_load_dword v143, off, s[0:3], 0 offset:752
	ds_read_b128 v[4:7], v8 offset:1312
	buffer_load_dword v162, off, s[0:3], 0 offset:772
	s_waitcnt vmcnt(59) lgkmcnt(1)
	v_mul_f64 v[149:150], v[105:106], v[151:152]
	v_mul_f64 v[151:152], v[107:108], v[151:152]
	s_waitcnt vmcnt(57)
	v_fma_f64 v[145:146], v[0:1], v[113:114], -v[145:146]
	v_fma_f64 v[113:114], v[2:3], v[113:114], v[185:186]
	ds_read_b128 v[0:3], v8 offset:1328
	v_add_f64 v[111:112], v[111:112], v[157:158]
	v_add_f64 v[109:110], v[109:110], v[139:140]
	s_waitcnt vmcnt(53) lgkmcnt(1)
	v_mul_f64 v[139:140], v[4:5], v[153:154]
	v_mul_f64 v[153:154], v[6:7], v[153:154]
	s_waitcnt vmcnt(52)
	v_fma_f64 v[151:152], v[105:106], v[173:174], -v[151:152]
	v_add_f64 v[111:112], v[111:112], v[145:146]
	v_fma_f64 v[145:146], v[107:108], v[173:174], v[149:150]
	v_add_f64 v[109:110], v[109:110], v[113:114]
	ds_read_b128 v[105:108], v8 offset:1344
	s_waitcnt vmcnt(51) lgkmcnt(1)
	v_mul_f64 v[149:150], v[2:3], v[167:168]
	v_mul_f64 v[113:114], v[0:1], v[167:168]
	s_waitcnt vmcnt(49)
	v_fma_f64 v[153:154], v[4:5], v[159:160], -v[153:154]
	v_fma_f64 v[139:140], v[6:7], v[159:160], v[139:140]
	v_add_f64 v[111:112], v[111:112], v[151:152]
	v_add_f64 v[109:110], v[109:110], v[145:146]
	s_clause 0x3
	buffer_load_dword v145, off, s[0:3], 0 offset:16
	buffer_load_dword v146, off, s[0:3], 0 offset:20
	;; [unrolled: 1-line block ×4, first 2 shown]
	ds_read_b128 v[4:7], v8 offset:1360
	s_waitcnt vmcnt(49) lgkmcnt(1)
	v_mul_f64 v[157:158], v[105:106], v[117:118]
	v_mul_f64 v[117:118], v[107:108], v[117:118]
	s_waitcnt vmcnt(48)
	v_fma_f64 v[149:150], v[0:1], v[177:178], -v[149:150]
	v_fma_f64 v[113:114], v[2:3], v[177:178], v[113:114]
	ds_read_b128 v[0:3], v8 offset:1376
	v_add_f64 v[111:112], v[111:112], v[153:154]
	v_add_f64 v[109:110], v[109:110], v[139:140]
	s_waitcnt vmcnt(47) lgkmcnt(1)
	v_mul_f64 v[153:154], v[6:7], v[175:176]
	v_mul_f64 v[139:140], v[4:5], v[175:176]
	s_waitcnt vmcnt(45)
	v_fma_f64 v[117:118], v[105:106], v[123:124], -v[117:118]
	v_fma_f64 v[123:124], v[107:108], v[123:124], v[157:158]
	ds_read_b128 v[105:108], v8 offset:1392
	v_add_f64 v[111:112], v[111:112], v[149:150]
	v_add_f64 v[109:110], v[109:110], v[113:114]
	s_waitcnt vmcnt(41) lgkmcnt(1)
	v_mul_f64 v[113:114], v[0:1], v[129:130]
	v_mul_f64 v[129:130], v[2:3], v[129:130]
	s_waitcnt vmcnt(40)
	v_fma_f64 v[149:150], v[4:5], v[181:182], -v[153:154]
	v_add_f64 v[111:112], v[111:112], v[117:118]
	v_fma_f64 v[117:118], v[6:7], v[181:182], v[139:140]
	v_add_f64 v[109:110], v[109:110], v[123:124]
	ds_read_b128 v[4:7], v8 offset:1408
	s_waitcnt vmcnt(39) lgkmcnt(1)
	v_mul_f64 v[139:140], v[107:108], v[169:170]
	v_mul_f64 v[123:124], v[105:106], v[169:170]
	s_waitcnt vmcnt(37)
	v_fma_f64 v[129:130], v[0:1], v[121:122], -v[129:130]
	v_fma_f64 v[113:114], v[2:3], v[121:122], v[113:114]
	ds_read_b128 v[0:3], v8 offset:1424
	v_add_f64 v[111:112], v[111:112], v[149:150]
	v_add_f64 v[109:110], v[109:110], v[117:118]
	s_waitcnt vmcnt(33) lgkmcnt(1)
	v_mul_f64 v[117:118], v[4:5], v[115:116]
	v_mul_f64 v[115:116], v[6:7], v[115:116]
	s_waitcnt vmcnt(32)
	v_fma_f64 v[121:122], v[105:106], v[183:184], -v[139:140]
	v_fma_f64 v[123:124], v[107:108], v[183:184], v[123:124]
	ds_read_b128 v[105:108], v8 offset:1440
	v_add_f64 v[111:112], v[111:112], v[129:130]
	v_add_f64 v[109:110], v[109:110], v[113:114]
	;; [unrolled: 9-line block ×5, first 2 shown]
	s_waitcnt vmcnt(17) lgkmcnt(1)
	v_mul_f64 v[123:124], v[2:3], v[125:126]
	s_waitcnt vmcnt(16)
	v_fma_f64 v[117:118], v[4:5], v[171:172], -v[117:118]
	v_mul_f64 v[113:114], v[0:1], v[125:126]
	v_fma_f64 v[115:116], v[6:7], v[171:172], v[115:116]
	ds_read_b128 v[4:7], v8 offset:1504
	v_add_f64 v[111:112], v[111:112], v[119:120]
	v_add_f64 v[109:110], v[109:110], v[121:122]
	s_waitcnt vmcnt(15) lgkmcnt(1)
	v_mul_f64 v[121:122], v[107:108], v[147:148]
	v_mul_f64 v[119:120], v[105:106], v[147:148]
	s_waitcnt vmcnt(13)
	v_fma_f64 v[123:124], v[0:1], v[135:136], -v[123:124]
	v_fma_f64 v[113:114], v[2:3], v[135:136], v[113:114]
	ds_read_b128 v[0:3], v8 offset:1520
	v_add_f64 v[111:112], v[111:112], v[117:118]
	v_add_f64 v[109:110], v[109:110], v[115:116]
	s_waitcnt vmcnt(9) lgkmcnt(1)
	v_mul_f64 v[117:118], v[6:7], v[131:132]
	s_waitcnt vmcnt(8)
	v_fma_f64 v[105:106], v[105:106], v[165:166], -v[121:122]
	v_mul_f64 v[115:116], v[4:5], v[131:132]
	v_fma_f64 v[107:108], v[107:108], v[165:166], v[119:120]
	v_add_f64 v[111:112], v[111:112], v[123:124]
	v_add_f64 v[109:110], v[109:110], v[113:114]
	s_waitcnt vmcnt(7) lgkmcnt(0)
	v_mul_f64 v[119:120], v[2:3], v[155:156]
	v_mul_f64 v[113:114], v[0:1], v[155:156]
	s_waitcnt vmcnt(5)
	v_fma_f64 v[4:5], v[4:5], v[143:144], -v[117:118]
	v_fma_f64 v[6:7], v[6:7], v[143:144], v[115:116]
	v_add_f64 v[105:106], v[111:112], v[105:106]
	v_add_f64 v[107:108], v[109:110], v[107:108]
	s_waitcnt vmcnt(4)
	v_fma_f64 v[0:1], v[0:1], v[161:162], -v[119:120]
	v_fma_f64 v[2:3], v[2:3], v[161:162], v[113:114]
	v_add_f64 v[4:5], v[105:106], v[4:5]
	v_add_f64 v[6:7], v[107:108], v[6:7]
	v_add_f64 v[0:1], v[4:5], v[0:1]
	v_add_f64 v[2:3], v[6:7], v[2:3]
	s_waitcnt vmcnt(2)
	v_add_f64 v[0:1], v[145:146], -v[0:1]
	s_waitcnt vmcnt(0)
	v_add_f64 v[2:3], v[151:152], -v[2:3]
	buffer_store_dword v1, off, s[0:3], 0 offset:20
	buffer_store_dword v0, off, s[0:3], 0 offset:16
	;; [unrolled: 1-line block ×4, first 2 shown]
	s_cbranch_vccz .LBB111_396
; %bb.302:
	global_load_dword v0, v8, s[12:13] offset:184
	s_waitcnt vmcnt(0)
	v_add_nc_u32_e32 v0, -1, v0
	v_cmp_ne_u32_e32 vcc_lo, 46, v0
	s_cbranch_vccz .LBB111_304
; %bb.303:
	v_lshlrev_b32_e32 v0, 4, v0
	v_mov_b32_e32 v1, s9
	v_add_nc_u32_e32 v0, 16, v0
	s_clause 0x7
	buffer_load_dword v2, v0, s[0:3], 0 offen
	buffer_load_dword v3, v0, s[0:3], 0 offen offset:4
	buffer_load_dword v4, v0, s[0:3], 0 offen offset:8
	;; [unrolled: 1-line block ×6, first 2 shown]
	buffer_load_dword v105, v1, s[0:3], 0 offen
	s_waitcnt vmcnt(7)
	buffer_store_dword v2, v1, s[0:3], 0 offen
	s_waitcnt vmcnt(6)
	buffer_store_dword v3, v1, s[0:3], 0 offen offset:4
	s_waitcnt vmcnt(5)
	buffer_store_dword v4, v1, s[0:3], 0 offen offset:8
	;; [unrolled: 2-line block ×6, first 2 shown]
	s_waitcnt vmcnt(0)
	buffer_store_dword v105, v0, s[0:3], 0 offen
.LBB111_304:
	v_mov_b32_e32 v0, 0
	global_load_dword v1, v0, s[12:13] offset:180
	s_waitcnt vmcnt(0)
	v_add_nc_u32_e32 v1, -1, v1
	v_cmp_eq_u32_e32 vcc_lo, 45, v1
	s_cbranch_vccnz .LBB111_306
; %bb.305:
	v_lshlrev_b32_e32 v1, 4, v1
	v_mov_b32_e32 v2, s14
	v_add_nc_u32_e32 v1, 16, v1
	s_clause 0x7
	buffer_load_dword v3, v1, s[0:3], 0 offen
	buffer_load_dword v4, v1, s[0:3], 0 offen offset:4
	buffer_load_dword v5, v1, s[0:3], 0 offen offset:8
	;; [unrolled: 1-line block ×6, first 2 shown]
	buffer_load_dword v106, v2, s[0:3], 0 offen
	s_waitcnt vmcnt(7)
	buffer_store_dword v3, v2, s[0:3], 0 offen
	s_waitcnt vmcnt(6)
	buffer_store_dword v4, v2, s[0:3], 0 offen offset:4
	s_waitcnt vmcnt(5)
	buffer_store_dword v5, v2, s[0:3], 0 offen offset:8
	;; [unrolled: 2-line block ×6, first 2 shown]
	s_waitcnt vmcnt(0)
	buffer_store_dword v106, v1, s[0:3], 0 offen
.LBB111_306:
	global_load_dword v0, v0, s[12:13] offset:176
	s_waitcnt vmcnt(0)
	v_add_nc_u32_e32 v0, -1, v0
	v_cmp_eq_u32_e32 vcc_lo, 44, v0
	s_cbranch_vccnz .LBB111_308
; %bb.307:
	v_lshlrev_b32_e32 v0, 4, v0
	v_mov_b32_e32 v1, s15
	v_add_nc_u32_e32 v0, 16, v0
	s_clause 0x7
	buffer_load_dword v2, v0, s[0:3], 0 offen
	buffer_load_dword v3, v0, s[0:3], 0 offen offset:4
	buffer_load_dword v4, v0, s[0:3], 0 offen offset:8
	;; [unrolled: 1-line block ×6, first 2 shown]
	buffer_load_dword v105, v1, s[0:3], 0 offen
	s_waitcnt vmcnt(7)
	buffer_store_dword v2, v1, s[0:3], 0 offen
	s_waitcnt vmcnt(6)
	buffer_store_dword v3, v1, s[0:3], 0 offen offset:4
	s_waitcnt vmcnt(5)
	buffer_store_dword v4, v1, s[0:3], 0 offen offset:8
	s_waitcnt vmcnt(4)
	buffer_store_dword v5, v1, s[0:3], 0 offen offset:12
	s_waitcnt vmcnt(3)
	buffer_store_dword v6, v0, s[0:3], 0 offen offset:12
	s_waitcnt vmcnt(2)
	buffer_store_dword v7, v0, s[0:3], 0 offen offset:8
	s_waitcnt vmcnt(1)
	buffer_store_dword v8, v0, s[0:3], 0 offen offset:4
	s_waitcnt vmcnt(0)
	buffer_store_dword v105, v0, s[0:3], 0 offen
.LBB111_308:
	v_mov_b32_e32 v0, 0
	global_load_dword v1, v0, s[12:13] offset:172
	s_waitcnt vmcnt(0)
	v_add_nc_u32_e32 v1, -1, v1
	v_cmp_eq_u32_e32 vcc_lo, 43, v1
	s_cbranch_vccnz .LBB111_310
; %bb.309:
	v_lshlrev_b32_e32 v1, 4, v1
	v_mov_b32_e32 v2, s16
	v_add_nc_u32_e32 v1, 16, v1
	s_clause 0x7
	buffer_load_dword v3, v1, s[0:3], 0 offen
	buffer_load_dword v4, v1, s[0:3], 0 offen offset:4
	buffer_load_dword v5, v1, s[0:3], 0 offen offset:8
	;; [unrolled: 1-line block ×6, first 2 shown]
	buffer_load_dword v106, v2, s[0:3], 0 offen
	s_waitcnt vmcnt(7)
	buffer_store_dword v3, v2, s[0:3], 0 offen
	s_waitcnt vmcnt(6)
	buffer_store_dword v4, v2, s[0:3], 0 offen offset:4
	s_waitcnt vmcnt(5)
	buffer_store_dword v5, v2, s[0:3], 0 offen offset:8
	;; [unrolled: 2-line block ×6, first 2 shown]
	s_waitcnt vmcnt(0)
	buffer_store_dword v106, v1, s[0:3], 0 offen
.LBB111_310:
	global_load_dword v0, v0, s[12:13] offset:168
	s_waitcnt vmcnt(0)
	v_add_nc_u32_e32 v0, -1, v0
	v_cmp_eq_u32_e32 vcc_lo, 42, v0
	s_cbranch_vccnz .LBB111_312
; %bb.311:
	v_lshlrev_b32_e32 v0, 4, v0
	v_mov_b32_e32 v1, s17
	v_add_nc_u32_e32 v0, 16, v0
	s_clause 0x7
	buffer_load_dword v2, v0, s[0:3], 0 offen
	buffer_load_dword v3, v0, s[0:3], 0 offen offset:4
	buffer_load_dword v4, v0, s[0:3], 0 offen offset:8
	;; [unrolled: 1-line block ×6, first 2 shown]
	buffer_load_dword v105, v1, s[0:3], 0 offen
	s_waitcnt vmcnt(7)
	buffer_store_dword v2, v1, s[0:3], 0 offen
	s_waitcnt vmcnt(6)
	buffer_store_dword v3, v1, s[0:3], 0 offen offset:4
	s_waitcnt vmcnt(5)
	buffer_store_dword v4, v1, s[0:3], 0 offen offset:8
	;; [unrolled: 2-line block ×6, first 2 shown]
	s_waitcnt vmcnt(0)
	buffer_store_dword v105, v0, s[0:3], 0 offen
.LBB111_312:
	v_mov_b32_e32 v0, 0
	global_load_dword v1, v0, s[12:13] offset:164
	s_waitcnt vmcnt(0)
	v_add_nc_u32_e32 v1, -1, v1
	v_cmp_eq_u32_e32 vcc_lo, 41, v1
	s_cbranch_vccnz .LBB111_314
; %bb.313:
	v_lshlrev_b32_e32 v1, 4, v1
	v_mov_b32_e32 v2, s18
	v_add_nc_u32_e32 v1, 16, v1
	s_clause 0x7
	buffer_load_dword v3, v1, s[0:3], 0 offen
	buffer_load_dword v4, v1, s[0:3], 0 offen offset:4
	buffer_load_dword v5, v1, s[0:3], 0 offen offset:8
	;; [unrolled: 1-line block ×6, first 2 shown]
	buffer_load_dword v106, v2, s[0:3], 0 offen
	s_waitcnt vmcnt(7)
	buffer_store_dword v3, v2, s[0:3], 0 offen
	s_waitcnt vmcnt(6)
	buffer_store_dword v4, v2, s[0:3], 0 offen offset:4
	s_waitcnt vmcnt(5)
	buffer_store_dword v5, v2, s[0:3], 0 offen offset:8
	;; [unrolled: 2-line block ×6, first 2 shown]
	s_waitcnt vmcnt(0)
	buffer_store_dword v106, v1, s[0:3], 0 offen
.LBB111_314:
	global_load_dword v0, v0, s[12:13] offset:160
	s_waitcnt vmcnt(0)
	v_add_nc_u32_e32 v0, -1, v0
	v_cmp_eq_u32_e32 vcc_lo, 40, v0
	s_cbranch_vccnz .LBB111_316
; %bb.315:
	v_lshlrev_b32_e32 v0, 4, v0
	v_mov_b32_e32 v1, s19
	v_add_nc_u32_e32 v0, 16, v0
	s_clause 0x7
	buffer_load_dword v2, v0, s[0:3], 0 offen
	buffer_load_dword v3, v0, s[0:3], 0 offen offset:4
	buffer_load_dword v4, v0, s[0:3], 0 offen offset:8
	;; [unrolled: 1-line block ×6, first 2 shown]
	buffer_load_dword v105, v1, s[0:3], 0 offen
	s_waitcnt vmcnt(7)
	buffer_store_dword v2, v1, s[0:3], 0 offen
	s_waitcnt vmcnt(6)
	buffer_store_dword v3, v1, s[0:3], 0 offen offset:4
	s_waitcnt vmcnt(5)
	buffer_store_dword v4, v1, s[0:3], 0 offen offset:8
	;; [unrolled: 2-line block ×6, first 2 shown]
	s_waitcnt vmcnt(0)
	buffer_store_dword v105, v0, s[0:3], 0 offen
.LBB111_316:
	v_mov_b32_e32 v0, 0
	global_load_dword v1, v0, s[12:13] offset:156
	s_waitcnt vmcnt(0)
	v_add_nc_u32_e32 v1, -1, v1
	v_cmp_eq_u32_e32 vcc_lo, 39, v1
	s_cbranch_vccnz .LBB111_318
; %bb.317:
	v_lshlrev_b32_e32 v1, 4, v1
	v_mov_b32_e32 v2, s20
	v_add_nc_u32_e32 v1, 16, v1
	s_clause 0x7
	buffer_load_dword v3, v1, s[0:3], 0 offen
	buffer_load_dword v4, v1, s[0:3], 0 offen offset:4
	buffer_load_dword v5, v1, s[0:3], 0 offen offset:8
	;; [unrolled: 1-line block ×6, first 2 shown]
	buffer_load_dword v106, v2, s[0:3], 0 offen
	s_waitcnt vmcnt(7)
	buffer_store_dword v3, v2, s[0:3], 0 offen
	s_waitcnt vmcnt(6)
	buffer_store_dword v4, v2, s[0:3], 0 offen offset:4
	s_waitcnt vmcnt(5)
	buffer_store_dword v5, v2, s[0:3], 0 offen offset:8
	;; [unrolled: 2-line block ×6, first 2 shown]
	s_waitcnt vmcnt(0)
	buffer_store_dword v106, v1, s[0:3], 0 offen
.LBB111_318:
	global_load_dword v0, v0, s[12:13] offset:152
	s_waitcnt vmcnt(0)
	v_add_nc_u32_e32 v0, -1, v0
	v_cmp_eq_u32_e32 vcc_lo, 38, v0
	s_cbranch_vccnz .LBB111_320
; %bb.319:
	v_lshlrev_b32_e32 v0, 4, v0
	v_mov_b32_e32 v1, s21
	v_add_nc_u32_e32 v0, 16, v0
	s_clause 0x7
	buffer_load_dword v2, v0, s[0:3], 0 offen
	buffer_load_dword v3, v0, s[0:3], 0 offen offset:4
	buffer_load_dword v4, v0, s[0:3], 0 offen offset:8
	buffer_load_dword v5, v0, s[0:3], 0 offen offset:12
	buffer_load_dword v6, v1, s[0:3], 0 offen offset:12
	buffer_load_dword v7, v1, s[0:3], 0 offen offset:8
	buffer_load_dword v8, v1, s[0:3], 0 offen offset:4
	buffer_load_dword v105, v1, s[0:3], 0 offen
	s_waitcnt vmcnt(7)
	buffer_store_dword v2, v1, s[0:3], 0 offen
	s_waitcnt vmcnt(6)
	buffer_store_dword v3, v1, s[0:3], 0 offen offset:4
	s_waitcnt vmcnt(5)
	buffer_store_dword v4, v1, s[0:3], 0 offen offset:8
	;; [unrolled: 2-line block ×6, first 2 shown]
	s_waitcnt vmcnt(0)
	buffer_store_dword v105, v0, s[0:3], 0 offen
.LBB111_320:
	v_mov_b32_e32 v0, 0
	global_load_dword v1, v0, s[12:13] offset:148
	s_waitcnt vmcnt(0)
	v_add_nc_u32_e32 v1, -1, v1
	v_cmp_eq_u32_e32 vcc_lo, 37, v1
	s_cbranch_vccnz .LBB111_322
; %bb.321:
	v_lshlrev_b32_e32 v1, 4, v1
	v_mov_b32_e32 v2, s22
	v_add_nc_u32_e32 v1, 16, v1
	s_clause 0x7
	buffer_load_dword v3, v1, s[0:3], 0 offen
	buffer_load_dword v4, v1, s[0:3], 0 offen offset:4
	buffer_load_dword v5, v1, s[0:3], 0 offen offset:8
	;; [unrolled: 1-line block ×6, first 2 shown]
	buffer_load_dword v106, v2, s[0:3], 0 offen
	s_waitcnt vmcnt(7)
	buffer_store_dword v3, v2, s[0:3], 0 offen
	s_waitcnt vmcnt(6)
	buffer_store_dword v4, v2, s[0:3], 0 offen offset:4
	s_waitcnt vmcnt(5)
	buffer_store_dword v5, v2, s[0:3], 0 offen offset:8
	;; [unrolled: 2-line block ×6, first 2 shown]
	s_waitcnt vmcnt(0)
	buffer_store_dword v106, v1, s[0:3], 0 offen
.LBB111_322:
	global_load_dword v0, v0, s[12:13] offset:144
	s_waitcnt vmcnt(0)
	v_add_nc_u32_e32 v0, -1, v0
	v_cmp_eq_u32_e32 vcc_lo, 36, v0
	s_cbranch_vccnz .LBB111_324
; %bb.323:
	v_lshlrev_b32_e32 v0, 4, v0
	v_mov_b32_e32 v1, s23
	v_add_nc_u32_e32 v0, 16, v0
	s_clause 0x7
	buffer_load_dword v2, v0, s[0:3], 0 offen
	buffer_load_dword v3, v0, s[0:3], 0 offen offset:4
	buffer_load_dword v4, v0, s[0:3], 0 offen offset:8
	;; [unrolled: 1-line block ×6, first 2 shown]
	buffer_load_dword v105, v1, s[0:3], 0 offen
	s_waitcnt vmcnt(7)
	buffer_store_dword v2, v1, s[0:3], 0 offen
	s_waitcnt vmcnt(6)
	buffer_store_dword v3, v1, s[0:3], 0 offen offset:4
	s_waitcnt vmcnt(5)
	buffer_store_dword v4, v1, s[0:3], 0 offen offset:8
	;; [unrolled: 2-line block ×6, first 2 shown]
	s_waitcnt vmcnt(0)
	buffer_store_dword v105, v0, s[0:3], 0 offen
.LBB111_324:
	v_mov_b32_e32 v0, 0
	global_load_dword v1, v0, s[12:13] offset:140
	s_waitcnt vmcnt(0)
	v_add_nc_u32_e32 v1, -1, v1
	v_cmp_eq_u32_e32 vcc_lo, 35, v1
	s_cbranch_vccnz .LBB111_326
; %bb.325:
	v_lshlrev_b32_e32 v1, 4, v1
	v_mov_b32_e32 v2, s24
	v_add_nc_u32_e32 v1, 16, v1
	s_clause 0x7
	buffer_load_dword v3, v1, s[0:3], 0 offen
	buffer_load_dword v4, v1, s[0:3], 0 offen offset:4
	buffer_load_dword v5, v1, s[0:3], 0 offen offset:8
	;; [unrolled: 1-line block ×6, first 2 shown]
	buffer_load_dword v106, v2, s[0:3], 0 offen
	s_waitcnt vmcnt(7)
	buffer_store_dword v3, v2, s[0:3], 0 offen
	s_waitcnt vmcnt(6)
	buffer_store_dword v4, v2, s[0:3], 0 offen offset:4
	s_waitcnt vmcnt(5)
	buffer_store_dword v5, v2, s[0:3], 0 offen offset:8
	;; [unrolled: 2-line block ×6, first 2 shown]
	s_waitcnt vmcnt(0)
	buffer_store_dword v106, v1, s[0:3], 0 offen
.LBB111_326:
	global_load_dword v0, v0, s[12:13] offset:136
	s_waitcnt vmcnt(0)
	v_add_nc_u32_e32 v0, -1, v0
	v_cmp_eq_u32_e32 vcc_lo, 34, v0
	s_cbranch_vccnz .LBB111_328
; %bb.327:
	v_lshlrev_b32_e32 v0, 4, v0
	v_mov_b32_e32 v1, s25
	v_add_nc_u32_e32 v0, 16, v0
	s_clause 0x7
	buffer_load_dword v2, v0, s[0:3], 0 offen
	buffer_load_dword v3, v0, s[0:3], 0 offen offset:4
	buffer_load_dword v4, v0, s[0:3], 0 offen offset:8
	;; [unrolled: 1-line block ×6, first 2 shown]
	buffer_load_dword v105, v1, s[0:3], 0 offen
	s_waitcnt vmcnt(7)
	buffer_store_dword v2, v1, s[0:3], 0 offen
	s_waitcnt vmcnt(6)
	buffer_store_dword v3, v1, s[0:3], 0 offen offset:4
	s_waitcnt vmcnt(5)
	buffer_store_dword v4, v1, s[0:3], 0 offen offset:8
	;; [unrolled: 2-line block ×6, first 2 shown]
	s_waitcnt vmcnt(0)
	buffer_store_dword v105, v0, s[0:3], 0 offen
.LBB111_328:
	v_mov_b32_e32 v0, 0
	global_load_dword v1, v0, s[12:13] offset:132
	s_waitcnt vmcnt(0)
	v_add_nc_u32_e32 v1, -1, v1
	v_cmp_eq_u32_e32 vcc_lo, 33, v1
	s_cbranch_vccnz .LBB111_330
; %bb.329:
	v_lshlrev_b32_e32 v1, 4, v1
	v_mov_b32_e32 v2, s26
	v_add_nc_u32_e32 v1, 16, v1
	s_clause 0x7
	buffer_load_dword v3, v1, s[0:3], 0 offen
	buffer_load_dword v4, v1, s[0:3], 0 offen offset:4
	buffer_load_dword v5, v1, s[0:3], 0 offen offset:8
	;; [unrolled: 1-line block ×6, first 2 shown]
	buffer_load_dword v106, v2, s[0:3], 0 offen
	s_waitcnt vmcnt(7)
	buffer_store_dword v3, v2, s[0:3], 0 offen
	s_waitcnt vmcnt(6)
	buffer_store_dword v4, v2, s[0:3], 0 offen offset:4
	s_waitcnt vmcnt(5)
	buffer_store_dword v5, v2, s[0:3], 0 offen offset:8
	;; [unrolled: 2-line block ×6, first 2 shown]
	s_waitcnt vmcnt(0)
	buffer_store_dword v106, v1, s[0:3], 0 offen
.LBB111_330:
	global_load_dword v0, v0, s[12:13] offset:128
	s_waitcnt vmcnt(0)
	v_add_nc_u32_e32 v0, -1, v0
	v_cmp_eq_u32_e32 vcc_lo, 32, v0
	s_cbranch_vccnz .LBB111_332
; %bb.331:
	v_lshlrev_b32_e32 v0, 4, v0
	v_mov_b32_e32 v1, s27
	v_add_nc_u32_e32 v0, 16, v0
	s_clause 0x7
	buffer_load_dword v2, v0, s[0:3], 0 offen
	buffer_load_dword v3, v0, s[0:3], 0 offen offset:4
	buffer_load_dword v4, v0, s[0:3], 0 offen offset:8
	;; [unrolled: 1-line block ×6, first 2 shown]
	buffer_load_dword v105, v1, s[0:3], 0 offen
	s_waitcnt vmcnt(7)
	buffer_store_dword v2, v1, s[0:3], 0 offen
	s_waitcnt vmcnt(6)
	buffer_store_dword v3, v1, s[0:3], 0 offen offset:4
	s_waitcnt vmcnt(5)
	buffer_store_dword v4, v1, s[0:3], 0 offen offset:8
	;; [unrolled: 2-line block ×6, first 2 shown]
	s_waitcnt vmcnt(0)
	buffer_store_dword v105, v0, s[0:3], 0 offen
.LBB111_332:
	v_mov_b32_e32 v0, 0
	global_load_dword v1, v0, s[12:13] offset:124
	s_waitcnt vmcnt(0)
	v_add_nc_u32_e32 v1, -1, v1
	v_cmp_eq_u32_e32 vcc_lo, 31, v1
	s_cbranch_vccnz .LBB111_334
; %bb.333:
	v_lshlrev_b32_e32 v1, 4, v1
	v_mov_b32_e32 v2, s28
	v_add_nc_u32_e32 v1, 16, v1
	s_clause 0x7
	buffer_load_dword v3, v1, s[0:3], 0 offen
	buffer_load_dword v4, v1, s[0:3], 0 offen offset:4
	buffer_load_dword v5, v1, s[0:3], 0 offen offset:8
	;; [unrolled: 1-line block ×6, first 2 shown]
	buffer_load_dword v106, v2, s[0:3], 0 offen
	s_waitcnt vmcnt(7)
	buffer_store_dword v3, v2, s[0:3], 0 offen
	s_waitcnt vmcnt(6)
	buffer_store_dword v4, v2, s[0:3], 0 offen offset:4
	s_waitcnt vmcnt(5)
	buffer_store_dword v5, v2, s[0:3], 0 offen offset:8
	;; [unrolled: 2-line block ×6, first 2 shown]
	s_waitcnt vmcnt(0)
	buffer_store_dword v106, v1, s[0:3], 0 offen
.LBB111_334:
	global_load_dword v0, v0, s[12:13] offset:120
	s_waitcnt vmcnt(0)
	v_add_nc_u32_e32 v0, -1, v0
	v_cmp_eq_u32_e32 vcc_lo, 30, v0
	s_cbranch_vccnz .LBB111_336
; %bb.335:
	v_lshlrev_b32_e32 v0, 4, v0
	v_mov_b32_e32 v1, s29
	v_add_nc_u32_e32 v0, 16, v0
	s_clause 0x7
	buffer_load_dword v2, v0, s[0:3], 0 offen
	buffer_load_dword v3, v0, s[0:3], 0 offen offset:4
	buffer_load_dword v4, v0, s[0:3], 0 offen offset:8
	;; [unrolled: 1-line block ×6, first 2 shown]
	buffer_load_dword v105, v1, s[0:3], 0 offen
	s_waitcnt vmcnt(7)
	buffer_store_dword v2, v1, s[0:3], 0 offen
	s_waitcnt vmcnt(6)
	buffer_store_dword v3, v1, s[0:3], 0 offen offset:4
	s_waitcnt vmcnt(5)
	buffer_store_dword v4, v1, s[0:3], 0 offen offset:8
	;; [unrolled: 2-line block ×6, first 2 shown]
	s_waitcnt vmcnt(0)
	buffer_store_dword v105, v0, s[0:3], 0 offen
.LBB111_336:
	v_mov_b32_e32 v0, 0
	global_load_dword v1, v0, s[12:13] offset:116
	s_waitcnt vmcnt(0)
	v_add_nc_u32_e32 v1, -1, v1
	v_cmp_eq_u32_e32 vcc_lo, 29, v1
	s_cbranch_vccnz .LBB111_338
; %bb.337:
	v_lshlrev_b32_e32 v1, 4, v1
	v_mov_b32_e32 v2, s30
	v_add_nc_u32_e32 v1, 16, v1
	s_clause 0x7
	buffer_load_dword v3, v1, s[0:3], 0 offen
	buffer_load_dword v4, v1, s[0:3], 0 offen offset:4
	buffer_load_dword v5, v1, s[0:3], 0 offen offset:8
	;; [unrolled: 1-line block ×6, first 2 shown]
	buffer_load_dword v106, v2, s[0:3], 0 offen
	s_waitcnt vmcnt(7)
	buffer_store_dword v3, v2, s[0:3], 0 offen
	s_waitcnt vmcnt(6)
	buffer_store_dword v4, v2, s[0:3], 0 offen offset:4
	s_waitcnt vmcnt(5)
	buffer_store_dword v5, v2, s[0:3], 0 offen offset:8
	;; [unrolled: 2-line block ×6, first 2 shown]
	s_waitcnt vmcnt(0)
	buffer_store_dword v106, v1, s[0:3], 0 offen
.LBB111_338:
	global_load_dword v0, v0, s[12:13] offset:112
	s_waitcnt vmcnt(0)
	v_add_nc_u32_e32 v0, -1, v0
	v_cmp_eq_u32_e32 vcc_lo, 28, v0
	s_cbranch_vccnz .LBB111_340
; %bb.339:
	v_lshlrev_b32_e32 v0, 4, v0
	v_mov_b32_e32 v1, s31
	v_add_nc_u32_e32 v0, 16, v0
	s_clause 0x7
	buffer_load_dword v2, v0, s[0:3], 0 offen
	buffer_load_dword v3, v0, s[0:3], 0 offen offset:4
	buffer_load_dword v4, v0, s[0:3], 0 offen offset:8
	buffer_load_dword v5, v0, s[0:3], 0 offen offset:12
	buffer_load_dword v6, v1, s[0:3], 0 offen offset:12
	buffer_load_dword v7, v1, s[0:3], 0 offen offset:8
	buffer_load_dword v8, v1, s[0:3], 0 offen offset:4
	buffer_load_dword v105, v1, s[0:3], 0 offen
	s_waitcnt vmcnt(7)
	buffer_store_dword v2, v1, s[0:3], 0 offen
	s_waitcnt vmcnt(6)
	buffer_store_dword v3, v1, s[0:3], 0 offen offset:4
	s_waitcnt vmcnt(5)
	buffer_store_dword v4, v1, s[0:3], 0 offen offset:8
	;; [unrolled: 2-line block ×6, first 2 shown]
	s_waitcnt vmcnt(0)
	buffer_store_dword v105, v0, s[0:3], 0 offen
.LBB111_340:
	v_mov_b32_e32 v0, 0
	global_load_dword v1, v0, s[12:13] offset:108
	s_waitcnt vmcnt(0)
	v_add_nc_u32_e32 v1, -1, v1
	v_cmp_eq_u32_e32 vcc_lo, 27, v1
	s_cbranch_vccnz .LBB111_342
; %bb.341:
	v_lshlrev_b32_e32 v1, 4, v1
	v_mov_b32_e32 v2, s33
	v_add_nc_u32_e32 v1, 16, v1
	s_clause 0x7
	buffer_load_dword v3, v1, s[0:3], 0 offen
	buffer_load_dword v4, v1, s[0:3], 0 offen offset:4
	buffer_load_dword v5, v1, s[0:3], 0 offen offset:8
	;; [unrolled: 1-line block ×6, first 2 shown]
	buffer_load_dword v106, v2, s[0:3], 0 offen
	s_waitcnt vmcnt(7)
	buffer_store_dword v3, v2, s[0:3], 0 offen
	s_waitcnt vmcnt(6)
	buffer_store_dword v4, v2, s[0:3], 0 offen offset:4
	s_waitcnt vmcnt(5)
	buffer_store_dword v5, v2, s[0:3], 0 offen offset:8
	;; [unrolled: 2-line block ×6, first 2 shown]
	s_waitcnt vmcnt(0)
	buffer_store_dword v106, v1, s[0:3], 0 offen
.LBB111_342:
	global_load_dword v0, v0, s[12:13] offset:104
	s_waitcnt vmcnt(0)
	v_add_nc_u32_e32 v0, -1, v0
	v_cmp_eq_u32_e32 vcc_lo, 26, v0
	s_cbranch_vccnz .LBB111_344
; %bb.343:
	v_lshlrev_b32_e32 v0, 4, v0
	v_mov_b32_e32 v1, s34
	v_add_nc_u32_e32 v0, 16, v0
	s_clause 0x7
	buffer_load_dword v2, v0, s[0:3], 0 offen
	buffer_load_dword v3, v0, s[0:3], 0 offen offset:4
	buffer_load_dword v4, v0, s[0:3], 0 offen offset:8
	;; [unrolled: 1-line block ×6, first 2 shown]
	buffer_load_dword v105, v1, s[0:3], 0 offen
	s_waitcnt vmcnt(7)
	buffer_store_dword v2, v1, s[0:3], 0 offen
	s_waitcnt vmcnt(6)
	buffer_store_dword v3, v1, s[0:3], 0 offen offset:4
	s_waitcnt vmcnt(5)
	buffer_store_dword v4, v1, s[0:3], 0 offen offset:8
	;; [unrolled: 2-line block ×6, first 2 shown]
	s_waitcnt vmcnt(0)
	buffer_store_dword v105, v0, s[0:3], 0 offen
.LBB111_344:
	v_mov_b32_e32 v0, 0
	global_load_dword v1, v0, s[12:13] offset:100
	s_waitcnt vmcnt(0)
	v_add_nc_u32_e32 v1, -1, v1
	v_cmp_eq_u32_e32 vcc_lo, 25, v1
	s_cbranch_vccnz .LBB111_346
; %bb.345:
	v_lshlrev_b32_e32 v1, 4, v1
	v_mov_b32_e32 v2, s35
	v_add_nc_u32_e32 v1, 16, v1
	s_clause 0x7
	buffer_load_dword v3, v1, s[0:3], 0 offen
	buffer_load_dword v4, v1, s[0:3], 0 offen offset:4
	buffer_load_dword v5, v1, s[0:3], 0 offen offset:8
	;; [unrolled: 1-line block ×6, first 2 shown]
	buffer_load_dword v106, v2, s[0:3], 0 offen
	s_waitcnt vmcnt(7)
	buffer_store_dword v3, v2, s[0:3], 0 offen
	s_waitcnt vmcnt(6)
	buffer_store_dword v4, v2, s[0:3], 0 offen offset:4
	s_waitcnt vmcnt(5)
	buffer_store_dword v5, v2, s[0:3], 0 offen offset:8
	;; [unrolled: 2-line block ×6, first 2 shown]
	s_waitcnt vmcnt(0)
	buffer_store_dword v106, v1, s[0:3], 0 offen
.LBB111_346:
	global_load_dword v0, v0, s[12:13] offset:96
	s_waitcnt vmcnt(0)
	v_add_nc_u32_e32 v0, -1, v0
	v_cmp_eq_u32_e32 vcc_lo, 24, v0
	s_cbranch_vccnz .LBB111_348
; %bb.347:
	v_lshlrev_b32_e32 v0, 4, v0
	v_mov_b32_e32 v1, s36
	v_add_nc_u32_e32 v0, 16, v0
	s_clause 0x7
	buffer_load_dword v2, v0, s[0:3], 0 offen
	buffer_load_dword v3, v0, s[0:3], 0 offen offset:4
	buffer_load_dword v4, v0, s[0:3], 0 offen offset:8
	;; [unrolled: 1-line block ×6, first 2 shown]
	buffer_load_dword v105, v1, s[0:3], 0 offen
	s_waitcnt vmcnt(7)
	buffer_store_dword v2, v1, s[0:3], 0 offen
	s_waitcnt vmcnt(6)
	buffer_store_dword v3, v1, s[0:3], 0 offen offset:4
	s_waitcnt vmcnt(5)
	buffer_store_dword v4, v1, s[0:3], 0 offen offset:8
	;; [unrolled: 2-line block ×6, first 2 shown]
	s_waitcnt vmcnt(0)
	buffer_store_dword v105, v0, s[0:3], 0 offen
.LBB111_348:
	v_mov_b32_e32 v0, 0
	global_load_dword v1, v0, s[12:13] offset:92
	s_waitcnt vmcnt(0)
	v_add_nc_u32_e32 v1, -1, v1
	v_cmp_eq_u32_e32 vcc_lo, 23, v1
	s_cbranch_vccnz .LBB111_350
; %bb.349:
	v_lshlrev_b32_e32 v1, 4, v1
	v_mov_b32_e32 v2, s37
	v_add_nc_u32_e32 v1, 16, v1
	s_clause 0x7
	buffer_load_dword v3, v1, s[0:3], 0 offen
	buffer_load_dword v4, v1, s[0:3], 0 offen offset:4
	buffer_load_dword v5, v1, s[0:3], 0 offen offset:8
	;; [unrolled: 1-line block ×6, first 2 shown]
	buffer_load_dword v106, v2, s[0:3], 0 offen
	s_waitcnt vmcnt(7)
	buffer_store_dword v3, v2, s[0:3], 0 offen
	s_waitcnt vmcnt(6)
	buffer_store_dword v4, v2, s[0:3], 0 offen offset:4
	s_waitcnt vmcnt(5)
	buffer_store_dword v5, v2, s[0:3], 0 offen offset:8
	;; [unrolled: 2-line block ×6, first 2 shown]
	s_waitcnt vmcnt(0)
	buffer_store_dword v106, v1, s[0:3], 0 offen
.LBB111_350:
	global_load_dword v0, v0, s[12:13] offset:88
	s_waitcnt vmcnt(0)
	v_add_nc_u32_e32 v0, -1, v0
	v_cmp_eq_u32_e32 vcc_lo, 22, v0
	s_cbranch_vccnz .LBB111_352
; %bb.351:
	v_lshlrev_b32_e32 v0, 4, v0
	v_mov_b32_e32 v1, s38
	v_add_nc_u32_e32 v0, 16, v0
	s_clause 0x7
	buffer_load_dword v2, v0, s[0:3], 0 offen
	buffer_load_dword v3, v0, s[0:3], 0 offen offset:4
	buffer_load_dword v4, v0, s[0:3], 0 offen offset:8
	;; [unrolled: 1-line block ×6, first 2 shown]
	buffer_load_dword v105, v1, s[0:3], 0 offen
	s_waitcnt vmcnt(7)
	buffer_store_dword v2, v1, s[0:3], 0 offen
	s_waitcnt vmcnt(6)
	buffer_store_dword v3, v1, s[0:3], 0 offen offset:4
	s_waitcnt vmcnt(5)
	buffer_store_dword v4, v1, s[0:3], 0 offen offset:8
	;; [unrolled: 2-line block ×6, first 2 shown]
	s_waitcnt vmcnt(0)
	buffer_store_dword v105, v0, s[0:3], 0 offen
.LBB111_352:
	v_mov_b32_e32 v0, 0
	global_load_dword v1, v0, s[12:13] offset:84
	s_waitcnt vmcnt(0)
	v_add_nc_u32_e32 v1, -1, v1
	v_cmp_eq_u32_e32 vcc_lo, 21, v1
	s_cbranch_vccnz .LBB111_354
; %bb.353:
	v_lshlrev_b32_e32 v1, 4, v1
	v_mov_b32_e32 v2, s39
	v_add_nc_u32_e32 v1, 16, v1
	s_clause 0x7
	buffer_load_dword v3, v1, s[0:3], 0 offen
	buffer_load_dword v4, v1, s[0:3], 0 offen offset:4
	buffer_load_dword v5, v1, s[0:3], 0 offen offset:8
	;; [unrolled: 1-line block ×6, first 2 shown]
	buffer_load_dword v106, v2, s[0:3], 0 offen
	s_waitcnt vmcnt(7)
	buffer_store_dword v3, v2, s[0:3], 0 offen
	s_waitcnt vmcnt(6)
	buffer_store_dword v4, v2, s[0:3], 0 offen offset:4
	s_waitcnt vmcnt(5)
	buffer_store_dword v5, v2, s[0:3], 0 offen offset:8
	;; [unrolled: 2-line block ×6, first 2 shown]
	s_waitcnt vmcnt(0)
	buffer_store_dword v106, v1, s[0:3], 0 offen
.LBB111_354:
	global_load_dword v0, v0, s[12:13] offset:80
	s_waitcnt vmcnt(0)
	v_add_nc_u32_e32 v0, -1, v0
	v_cmp_eq_u32_e32 vcc_lo, 20, v0
	s_cbranch_vccnz .LBB111_356
; %bb.355:
	v_lshlrev_b32_e32 v0, 4, v0
	v_mov_b32_e32 v1, s40
	v_add_nc_u32_e32 v0, 16, v0
	s_clause 0x7
	buffer_load_dword v2, v0, s[0:3], 0 offen
	buffer_load_dword v3, v0, s[0:3], 0 offen offset:4
	buffer_load_dword v4, v0, s[0:3], 0 offen offset:8
	;; [unrolled: 1-line block ×6, first 2 shown]
	buffer_load_dword v105, v1, s[0:3], 0 offen
	s_waitcnt vmcnt(7)
	buffer_store_dword v2, v1, s[0:3], 0 offen
	s_waitcnt vmcnt(6)
	buffer_store_dword v3, v1, s[0:3], 0 offen offset:4
	s_waitcnt vmcnt(5)
	buffer_store_dword v4, v1, s[0:3], 0 offen offset:8
	;; [unrolled: 2-line block ×6, first 2 shown]
	s_waitcnt vmcnt(0)
	buffer_store_dword v105, v0, s[0:3], 0 offen
.LBB111_356:
	v_mov_b32_e32 v0, 0
	global_load_dword v1, v0, s[12:13] offset:76
	s_waitcnt vmcnt(0)
	v_add_nc_u32_e32 v1, -1, v1
	v_cmp_eq_u32_e32 vcc_lo, 19, v1
	s_cbranch_vccnz .LBB111_358
; %bb.357:
	v_lshlrev_b32_e32 v1, 4, v1
	v_mov_b32_e32 v2, s41
	v_add_nc_u32_e32 v1, 16, v1
	s_clause 0x7
	buffer_load_dword v3, v1, s[0:3], 0 offen
	buffer_load_dword v4, v1, s[0:3], 0 offen offset:4
	buffer_load_dword v5, v1, s[0:3], 0 offen offset:8
	;; [unrolled: 1-line block ×6, first 2 shown]
	buffer_load_dword v106, v2, s[0:3], 0 offen
	s_waitcnt vmcnt(7)
	buffer_store_dword v3, v2, s[0:3], 0 offen
	s_waitcnt vmcnt(6)
	buffer_store_dword v4, v2, s[0:3], 0 offen offset:4
	s_waitcnt vmcnt(5)
	buffer_store_dword v5, v2, s[0:3], 0 offen offset:8
	;; [unrolled: 2-line block ×6, first 2 shown]
	s_waitcnt vmcnt(0)
	buffer_store_dword v106, v1, s[0:3], 0 offen
.LBB111_358:
	global_load_dword v0, v0, s[12:13] offset:72
	s_waitcnt vmcnt(0)
	v_add_nc_u32_e32 v0, -1, v0
	v_cmp_eq_u32_e32 vcc_lo, 18, v0
	s_cbranch_vccnz .LBB111_360
; %bb.359:
	v_lshlrev_b32_e32 v0, 4, v0
	v_mov_b32_e32 v1, s42
	v_add_nc_u32_e32 v0, 16, v0
	s_clause 0x7
	buffer_load_dword v2, v0, s[0:3], 0 offen
	buffer_load_dword v3, v0, s[0:3], 0 offen offset:4
	buffer_load_dword v4, v0, s[0:3], 0 offen offset:8
	;; [unrolled: 1-line block ×6, first 2 shown]
	buffer_load_dword v105, v1, s[0:3], 0 offen
	s_waitcnt vmcnt(7)
	buffer_store_dword v2, v1, s[0:3], 0 offen
	s_waitcnt vmcnt(6)
	buffer_store_dword v3, v1, s[0:3], 0 offen offset:4
	s_waitcnt vmcnt(5)
	buffer_store_dword v4, v1, s[0:3], 0 offen offset:8
	;; [unrolled: 2-line block ×6, first 2 shown]
	s_waitcnt vmcnt(0)
	buffer_store_dword v105, v0, s[0:3], 0 offen
.LBB111_360:
	v_mov_b32_e32 v0, 0
	global_load_dword v1, v0, s[12:13] offset:68
	s_waitcnt vmcnt(0)
	v_add_nc_u32_e32 v1, -1, v1
	v_cmp_eq_u32_e32 vcc_lo, 17, v1
	s_cbranch_vccnz .LBB111_362
; %bb.361:
	v_lshlrev_b32_e32 v1, 4, v1
	v_mov_b32_e32 v2, s43
	v_add_nc_u32_e32 v1, 16, v1
	s_clause 0x7
	buffer_load_dword v3, v1, s[0:3], 0 offen
	buffer_load_dword v4, v1, s[0:3], 0 offen offset:4
	buffer_load_dword v5, v1, s[0:3], 0 offen offset:8
	;; [unrolled: 1-line block ×6, first 2 shown]
	buffer_load_dword v106, v2, s[0:3], 0 offen
	s_waitcnt vmcnt(7)
	buffer_store_dword v3, v2, s[0:3], 0 offen
	s_waitcnt vmcnt(6)
	buffer_store_dword v4, v2, s[0:3], 0 offen offset:4
	s_waitcnt vmcnt(5)
	buffer_store_dword v5, v2, s[0:3], 0 offen offset:8
	;; [unrolled: 2-line block ×6, first 2 shown]
	s_waitcnt vmcnt(0)
	buffer_store_dword v106, v1, s[0:3], 0 offen
.LBB111_362:
	global_load_dword v0, v0, s[12:13] offset:64
	s_waitcnt vmcnt(0)
	v_add_nc_u32_e32 v0, -1, v0
	v_cmp_eq_u32_e32 vcc_lo, 16, v0
	s_cbranch_vccnz .LBB111_364
; %bb.363:
	v_lshlrev_b32_e32 v0, 4, v0
	v_mov_b32_e32 v1, s44
	v_add_nc_u32_e32 v0, 16, v0
	s_clause 0x7
	buffer_load_dword v2, v0, s[0:3], 0 offen
	buffer_load_dword v3, v0, s[0:3], 0 offen offset:4
	buffer_load_dword v4, v0, s[0:3], 0 offen offset:8
	;; [unrolled: 1-line block ×6, first 2 shown]
	buffer_load_dword v105, v1, s[0:3], 0 offen
	s_waitcnt vmcnt(7)
	buffer_store_dword v2, v1, s[0:3], 0 offen
	s_waitcnt vmcnt(6)
	buffer_store_dword v3, v1, s[0:3], 0 offen offset:4
	s_waitcnt vmcnt(5)
	buffer_store_dword v4, v1, s[0:3], 0 offen offset:8
	;; [unrolled: 2-line block ×6, first 2 shown]
	s_waitcnt vmcnt(0)
	buffer_store_dword v105, v0, s[0:3], 0 offen
.LBB111_364:
	v_mov_b32_e32 v0, 0
	global_load_dword v1, v0, s[12:13] offset:60
	s_waitcnt vmcnt(0)
	v_add_nc_u32_e32 v1, -1, v1
	v_cmp_eq_u32_e32 vcc_lo, 15, v1
	s_cbranch_vccnz .LBB111_366
; %bb.365:
	v_lshlrev_b32_e32 v1, 4, v1
	v_mov_b32_e32 v2, s45
	v_add_nc_u32_e32 v1, 16, v1
	s_clause 0x7
	buffer_load_dword v3, v1, s[0:3], 0 offen
	buffer_load_dword v4, v1, s[0:3], 0 offen offset:4
	buffer_load_dword v5, v1, s[0:3], 0 offen offset:8
	;; [unrolled: 1-line block ×6, first 2 shown]
	buffer_load_dword v106, v2, s[0:3], 0 offen
	s_waitcnt vmcnt(7)
	buffer_store_dword v3, v2, s[0:3], 0 offen
	s_waitcnt vmcnt(6)
	buffer_store_dword v4, v2, s[0:3], 0 offen offset:4
	s_waitcnt vmcnt(5)
	buffer_store_dword v5, v2, s[0:3], 0 offen offset:8
	;; [unrolled: 2-line block ×6, first 2 shown]
	s_waitcnt vmcnt(0)
	buffer_store_dword v106, v1, s[0:3], 0 offen
.LBB111_366:
	global_load_dword v0, v0, s[12:13] offset:56
	s_waitcnt vmcnt(0)
	v_add_nc_u32_e32 v0, -1, v0
	v_cmp_eq_u32_e32 vcc_lo, 14, v0
	s_cbranch_vccnz .LBB111_368
; %bb.367:
	v_lshlrev_b32_e32 v0, 4, v0
	v_mov_b32_e32 v1, s46
	v_add_nc_u32_e32 v0, 16, v0
	s_clause 0x7
	buffer_load_dword v2, v0, s[0:3], 0 offen
	buffer_load_dword v3, v0, s[0:3], 0 offen offset:4
	buffer_load_dword v4, v0, s[0:3], 0 offen offset:8
	;; [unrolled: 1-line block ×6, first 2 shown]
	buffer_load_dword v105, v1, s[0:3], 0 offen
	s_waitcnt vmcnt(7)
	buffer_store_dword v2, v1, s[0:3], 0 offen
	s_waitcnt vmcnt(6)
	buffer_store_dword v3, v1, s[0:3], 0 offen offset:4
	s_waitcnt vmcnt(5)
	buffer_store_dword v4, v1, s[0:3], 0 offen offset:8
	;; [unrolled: 2-line block ×6, first 2 shown]
	s_waitcnt vmcnt(0)
	buffer_store_dword v105, v0, s[0:3], 0 offen
.LBB111_368:
	v_mov_b32_e32 v0, 0
	global_load_dword v1, v0, s[12:13] offset:52
	s_waitcnt vmcnt(0)
	v_add_nc_u32_e32 v1, -1, v1
	v_cmp_eq_u32_e32 vcc_lo, 13, v1
	s_cbranch_vccnz .LBB111_370
; %bb.369:
	v_lshlrev_b32_e32 v1, 4, v1
	v_mov_b32_e32 v2, s47
	v_add_nc_u32_e32 v1, 16, v1
	s_clause 0x7
	buffer_load_dword v3, v1, s[0:3], 0 offen
	buffer_load_dword v4, v1, s[0:3], 0 offen offset:4
	buffer_load_dword v5, v1, s[0:3], 0 offen offset:8
	;; [unrolled: 1-line block ×6, first 2 shown]
	buffer_load_dword v106, v2, s[0:3], 0 offen
	s_waitcnt vmcnt(7)
	buffer_store_dword v3, v2, s[0:3], 0 offen
	s_waitcnt vmcnt(6)
	buffer_store_dword v4, v2, s[0:3], 0 offen offset:4
	s_waitcnt vmcnt(5)
	buffer_store_dword v5, v2, s[0:3], 0 offen offset:8
	;; [unrolled: 2-line block ×6, first 2 shown]
	s_waitcnt vmcnt(0)
	buffer_store_dword v106, v1, s[0:3], 0 offen
.LBB111_370:
	global_load_dword v0, v0, s[12:13] offset:48
	s_waitcnt vmcnt(0)
	v_add_nc_u32_e32 v0, -1, v0
	v_cmp_eq_u32_e32 vcc_lo, 12, v0
	s_cbranch_vccnz .LBB111_372
; %bb.371:
	v_lshlrev_b32_e32 v0, 4, v0
	v_mov_b32_e32 v1, s48
	v_add_nc_u32_e32 v0, 16, v0
	s_clause 0x7
	buffer_load_dword v2, v0, s[0:3], 0 offen
	buffer_load_dword v3, v0, s[0:3], 0 offen offset:4
	buffer_load_dword v4, v0, s[0:3], 0 offen offset:8
	;; [unrolled: 1-line block ×6, first 2 shown]
	buffer_load_dword v105, v1, s[0:3], 0 offen
	s_waitcnt vmcnt(7)
	buffer_store_dword v2, v1, s[0:3], 0 offen
	s_waitcnt vmcnt(6)
	buffer_store_dword v3, v1, s[0:3], 0 offen offset:4
	s_waitcnt vmcnt(5)
	buffer_store_dword v4, v1, s[0:3], 0 offen offset:8
	;; [unrolled: 2-line block ×6, first 2 shown]
	s_waitcnt vmcnt(0)
	buffer_store_dword v105, v0, s[0:3], 0 offen
.LBB111_372:
	v_mov_b32_e32 v0, 0
	global_load_dword v1, v0, s[12:13] offset:44
	s_waitcnt vmcnt(0)
	v_add_nc_u32_e32 v1, -1, v1
	v_cmp_eq_u32_e32 vcc_lo, 11, v1
	s_cbranch_vccnz .LBB111_374
; %bb.373:
	v_lshlrev_b32_e32 v1, 4, v1
	v_mov_b32_e32 v2, s49
	v_add_nc_u32_e32 v1, 16, v1
	s_clause 0x7
	buffer_load_dword v3, v1, s[0:3], 0 offen
	buffer_load_dword v4, v1, s[0:3], 0 offen offset:4
	buffer_load_dword v5, v1, s[0:3], 0 offen offset:8
	;; [unrolled: 1-line block ×6, first 2 shown]
	buffer_load_dword v106, v2, s[0:3], 0 offen
	s_waitcnt vmcnt(7)
	buffer_store_dword v3, v2, s[0:3], 0 offen
	s_waitcnt vmcnt(6)
	buffer_store_dword v4, v2, s[0:3], 0 offen offset:4
	s_waitcnt vmcnt(5)
	buffer_store_dword v5, v2, s[0:3], 0 offen offset:8
	;; [unrolled: 2-line block ×6, first 2 shown]
	s_waitcnt vmcnt(0)
	buffer_store_dword v106, v1, s[0:3], 0 offen
.LBB111_374:
	global_load_dword v0, v0, s[12:13] offset:40
	s_waitcnt vmcnt(0)
	v_add_nc_u32_e32 v0, -1, v0
	v_cmp_eq_u32_e32 vcc_lo, 10, v0
	s_cbranch_vccnz .LBB111_376
; %bb.375:
	v_lshlrev_b32_e32 v0, 4, v0
	v_mov_b32_e32 v1, s50
	v_add_nc_u32_e32 v0, 16, v0
	s_clause 0x7
	buffer_load_dword v2, v0, s[0:3], 0 offen
	buffer_load_dword v3, v0, s[0:3], 0 offen offset:4
	buffer_load_dword v4, v0, s[0:3], 0 offen offset:8
	buffer_load_dword v5, v0, s[0:3], 0 offen offset:12
	buffer_load_dword v6, v1, s[0:3], 0 offen offset:12
	buffer_load_dword v7, v1, s[0:3], 0 offen offset:8
	buffer_load_dword v8, v1, s[0:3], 0 offen offset:4
	buffer_load_dword v105, v1, s[0:3], 0 offen
	s_waitcnt vmcnt(7)
	buffer_store_dword v2, v1, s[0:3], 0 offen
	s_waitcnt vmcnt(6)
	buffer_store_dword v3, v1, s[0:3], 0 offen offset:4
	s_waitcnt vmcnt(5)
	buffer_store_dword v4, v1, s[0:3], 0 offen offset:8
	;; [unrolled: 2-line block ×6, first 2 shown]
	s_waitcnt vmcnt(0)
	buffer_store_dword v105, v0, s[0:3], 0 offen
.LBB111_376:
	v_mov_b32_e32 v0, 0
	global_load_dword v1, v0, s[12:13] offset:36
	s_waitcnt vmcnt(0)
	v_add_nc_u32_e32 v1, -1, v1
	v_cmp_eq_u32_e32 vcc_lo, 9, v1
	s_cbranch_vccnz .LBB111_378
; %bb.377:
	v_lshlrev_b32_e32 v1, 4, v1
	v_mov_b32_e32 v2, s51
	v_add_nc_u32_e32 v1, 16, v1
	s_clause 0x7
	buffer_load_dword v3, v1, s[0:3], 0 offen
	buffer_load_dword v4, v1, s[0:3], 0 offen offset:4
	buffer_load_dword v5, v1, s[0:3], 0 offen offset:8
	;; [unrolled: 1-line block ×6, first 2 shown]
	buffer_load_dword v106, v2, s[0:3], 0 offen
	s_waitcnt vmcnt(7)
	buffer_store_dword v3, v2, s[0:3], 0 offen
	s_waitcnt vmcnt(6)
	buffer_store_dword v4, v2, s[0:3], 0 offen offset:4
	s_waitcnt vmcnt(5)
	buffer_store_dword v5, v2, s[0:3], 0 offen offset:8
	;; [unrolled: 2-line block ×6, first 2 shown]
	s_waitcnt vmcnt(0)
	buffer_store_dword v106, v1, s[0:3], 0 offen
.LBB111_378:
	global_load_dword v0, v0, s[12:13] offset:32
	s_waitcnt vmcnt(0)
	v_add_nc_u32_e32 v0, -1, v0
	v_cmp_eq_u32_e32 vcc_lo, 8, v0
	s_cbranch_vccnz .LBB111_380
; %bb.379:
	v_lshlrev_b32_e32 v0, 4, v0
	v_mov_b32_e32 v1, s52
	v_add_nc_u32_e32 v0, 16, v0
	s_clause 0x7
	buffer_load_dword v2, v0, s[0:3], 0 offen
	buffer_load_dword v3, v0, s[0:3], 0 offen offset:4
	buffer_load_dword v4, v0, s[0:3], 0 offen offset:8
	;; [unrolled: 1-line block ×6, first 2 shown]
	buffer_load_dword v105, v1, s[0:3], 0 offen
	s_waitcnt vmcnt(7)
	buffer_store_dword v2, v1, s[0:3], 0 offen
	s_waitcnt vmcnt(6)
	buffer_store_dword v3, v1, s[0:3], 0 offen offset:4
	s_waitcnt vmcnt(5)
	buffer_store_dword v4, v1, s[0:3], 0 offen offset:8
	;; [unrolled: 2-line block ×6, first 2 shown]
	s_waitcnt vmcnt(0)
	buffer_store_dword v105, v0, s[0:3], 0 offen
.LBB111_380:
	v_mov_b32_e32 v0, 0
	global_load_dword v1, v0, s[12:13] offset:28
	s_waitcnt vmcnt(0)
	v_add_nc_u32_e32 v1, -1, v1
	v_cmp_eq_u32_e32 vcc_lo, 7, v1
	s_cbranch_vccnz .LBB111_382
; %bb.381:
	v_lshlrev_b32_e32 v1, 4, v1
	v_mov_b32_e32 v2, s53
	v_add_nc_u32_e32 v1, 16, v1
	s_clause 0x7
	buffer_load_dword v3, v1, s[0:3], 0 offen
	buffer_load_dword v4, v1, s[0:3], 0 offen offset:4
	buffer_load_dword v5, v1, s[0:3], 0 offen offset:8
	;; [unrolled: 1-line block ×6, first 2 shown]
	buffer_load_dword v106, v2, s[0:3], 0 offen
	s_waitcnt vmcnt(7)
	buffer_store_dword v3, v2, s[0:3], 0 offen
	s_waitcnt vmcnt(6)
	buffer_store_dword v4, v2, s[0:3], 0 offen offset:4
	s_waitcnt vmcnt(5)
	buffer_store_dword v5, v2, s[0:3], 0 offen offset:8
	;; [unrolled: 2-line block ×6, first 2 shown]
	s_waitcnt vmcnt(0)
	buffer_store_dword v106, v1, s[0:3], 0 offen
.LBB111_382:
	global_load_dword v0, v0, s[12:13] offset:24
	s_waitcnt vmcnt(0)
	v_add_nc_u32_e32 v0, -1, v0
	v_cmp_eq_u32_e32 vcc_lo, 6, v0
	s_cbranch_vccnz .LBB111_384
; %bb.383:
	v_lshlrev_b32_e32 v0, 4, v0
	v_mov_b32_e32 v1, s54
	v_add_nc_u32_e32 v0, 16, v0
	s_clause 0x7
	buffer_load_dword v2, v0, s[0:3], 0 offen
	buffer_load_dword v3, v0, s[0:3], 0 offen offset:4
	buffer_load_dword v4, v0, s[0:3], 0 offen offset:8
	;; [unrolled: 1-line block ×6, first 2 shown]
	buffer_load_dword v105, v1, s[0:3], 0 offen
	s_waitcnt vmcnt(7)
	buffer_store_dword v2, v1, s[0:3], 0 offen
	s_waitcnt vmcnt(6)
	buffer_store_dword v3, v1, s[0:3], 0 offen offset:4
	s_waitcnt vmcnt(5)
	buffer_store_dword v4, v1, s[0:3], 0 offen offset:8
	;; [unrolled: 2-line block ×6, first 2 shown]
	s_waitcnt vmcnt(0)
	buffer_store_dword v105, v0, s[0:3], 0 offen
.LBB111_384:
	v_mov_b32_e32 v0, 0
	global_load_dword v1, v0, s[12:13] offset:20
	s_waitcnt vmcnt(0)
	v_add_nc_u32_e32 v1, -1, v1
	v_cmp_eq_u32_e32 vcc_lo, 5, v1
	s_cbranch_vccnz .LBB111_386
; %bb.385:
	v_lshlrev_b32_e32 v1, 4, v1
	v_mov_b32_e32 v2, s55
	v_add_nc_u32_e32 v1, 16, v1
	s_clause 0x7
	buffer_load_dword v3, v1, s[0:3], 0 offen
	buffer_load_dword v4, v1, s[0:3], 0 offen offset:4
	buffer_load_dword v5, v1, s[0:3], 0 offen offset:8
	;; [unrolled: 1-line block ×6, first 2 shown]
	buffer_load_dword v106, v2, s[0:3], 0 offen
	s_waitcnt vmcnt(7)
	buffer_store_dword v3, v2, s[0:3], 0 offen
	s_waitcnt vmcnt(6)
	buffer_store_dword v4, v2, s[0:3], 0 offen offset:4
	s_waitcnt vmcnt(5)
	buffer_store_dword v5, v2, s[0:3], 0 offen offset:8
	;; [unrolled: 2-line block ×6, first 2 shown]
	s_waitcnt vmcnt(0)
	buffer_store_dword v106, v1, s[0:3], 0 offen
.LBB111_386:
	global_load_dword v0, v0, s[12:13] offset:16
	s_waitcnt vmcnt(0)
	v_add_nc_u32_e32 v0, -1, v0
	v_cmp_eq_u32_e32 vcc_lo, 4, v0
	s_cbranch_vccnz .LBB111_388
; %bb.387:
	v_lshlrev_b32_e32 v0, 4, v0
	v_mov_b32_e32 v1, s56
	v_add_nc_u32_e32 v0, 16, v0
	s_clause 0x7
	buffer_load_dword v2, v0, s[0:3], 0 offen
	buffer_load_dword v3, v0, s[0:3], 0 offen offset:4
	buffer_load_dword v4, v0, s[0:3], 0 offen offset:8
	;; [unrolled: 1-line block ×6, first 2 shown]
	buffer_load_dword v105, v1, s[0:3], 0 offen
	s_waitcnt vmcnt(7)
	buffer_store_dword v2, v1, s[0:3], 0 offen
	s_waitcnt vmcnt(6)
	buffer_store_dword v3, v1, s[0:3], 0 offen offset:4
	s_waitcnt vmcnt(5)
	buffer_store_dword v4, v1, s[0:3], 0 offen offset:8
	;; [unrolled: 2-line block ×6, first 2 shown]
	s_waitcnt vmcnt(0)
	buffer_store_dword v105, v0, s[0:3], 0 offen
.LBB111_388:
	v_mov_b32_e32 v0, 0
	global_load_dword v1, v0, s[12:13] offset:12
	s_waitcnt vmcnt(0)
	v_add_nc_u32_e32 v1, -1, v1
	v_cmp_eq_u32_e32 vcc_lo, 3, v1
	s_cbranch_vccnz .LBB111_390
; %bb.389:
	v_lshlrev_b32_e32 v1, 4, v1
	v_mov_b32_e32 v2, s57
	v_add_nc_u32_e32 v1, 16, v1
	s_clause 0x7
	buffer_load_dword v3, v1, s[0:3], 0 offen
	buffer_load_dword v4, v1, s[0:3], 0 offen offset:4
	buffer_load_dword v5, v1, s[0:3], 0 offen offset:8
	;; [unrolled: 1-line block ×6, first 2 shown]
	buffer_load_dword v106, v2, s[0:3], 0 offen
	s_waitcnt vmcnt(7)
	buffer_store_dword v3, v2, s[0:3], 0 offen
	s_waitcnt vmcnt(6)
	buffer_store_dword v4, v2, s[0:3], 0 offen offset:4
	s_waitcnt vmcnt(5)
	buffer_store_dword v5, v2, s[0:3], 0 offen offset:8
	;; [unrolled: 2-line block ×6, first 2 shown]
	s_waitcnt vmcnt(0)
	buffer_store_dword v106, v1, s[0:3], 0 offen
.LBB111_390:
	global_load_dword v0, v0, s[12:13] offset:8
	s_waitcnt vmcnt(0)
	v_add_nc_u32_e32 v0, -1, v0
	v_cmp_eq_u32_e32 vcc_lo, 2, v0
	s_cbranch_vccnz .LBB111_392
; %bb.391:
	v_lshlrev_b32_e32 v0, 4, v0
	v_mov_b32_e32 v1, s58
	v_add_nc_u32_e32 v0, 16, v0
	s_clause 0x7
	buffer_load_dword v2, v0, s[0:3], 0 offen
	buffer_load_dword v3, v0, s[0:3], 0 offen offset:4
	buffer_load_dword v4, v0, s[0:3], 0 offen offset:8
	;; [unrolled: 1-line block ×6, first 2 shown]
	buffer_load_dword v105, v1, s[0:3], 0 offen
	s_waitcnt vmcnt(7)
	buffer_store_dword v2, v1, s[0:3], 0 offen
	s_waitcnt vmcnt(6)
	buffer_store_dword v3, v1, s[0:3], 0 offen offset:4
	s_waitcnt vmcnt(5)
	buffer_store_dword v4, v1, s[0:3], 0 offen offset:8
	;; [unrolled: 2-line block ×6, first 2 shown]
	s_waitcnt vmcnt(0)
	buffer_store_dword v105, v0, s[0:3], 0 offen
.LBB111_392:
	v_mov_b32_e32 v0, 0
	global_load_dword v1, v0, s[12:13] offset:4
	s_waitcnt vmcnt(0)
	v_add_nc_u32_e32 v1, -1, v1
	v_cmp_eq_u32_e32 vcc_lo, 1, v1
	s_cbranch_vccnz .LBB111_394
; %bb.393:
	v_lshlrev_b32_e32 v1, 4, v1
	v_mov_b32_e32 v2, s59
	v_add_nc_u32_e32 v1, 16, v1
	s_clause 0x7
	buffer_load_dword v3, v1, s[0:3], 0 offen
	buffer_load_dword v4, v1, s[0:3], 0 offen offset:4
	buffer_load_dword v5, v1, s[0:3], 0 offen offset:8
	;; [unrolled: 1-line block ×6, first 2 shown]
	buffer_load_dword v106, v2, s[0:3], 0 offen
	s_waitcnt vmcnt(7)
	buffer_store_dword v3, v2, s[0:3], 0 offen
	s_waitcnt vmcnt(6)
	buffer_store_dword v4, v2, s[0:3], 0 offen offset:4
	s_waitcnt vmcnt(5)
	buffer_store_dword v5, v2, s[0:3], 0 offen offset:8
	;; [unrolled: 2-line block ×6, first 2 shown]
	s_waitcnt vmcnt(0)
	buffer_store_dword v106, v1, s[0:3], 0 offen
.LBB111_394:
	global_load_dword v0, v0, s[12:13]
	s_waitcnt vmcnt(0)
	v_add_nc_u32_e32 v0, -1, v0
	v_cmp_eq_u32_e32 vcc_lo, 0, v0
	s_cbranch_vccnz .LBB111_396
; %bb.395:
	v_lshlrev_b32_e32 v0, 4, v0
	v_add_nc_u32_e32 v0, 16, v0
	s_clause 0x7
	buffer_load_dword v1, v0, s[0:3], 0 offen
	buffer_load_dword v2, v0, s[0:3], 0 offen offset:4
	buffer_load_dword v3, v0, s[0:3], 0 offen offset:8
	;; [unrolled: 1-line block ×3, first 2 shown]
	buffer_load_dword v5, off, s[0:3], 0 offset:28
	buffer_load_dword v6, off, s[0:3], 0 offset:24
	;; [unrolled: 1-line block ×4, first 2 shown]
	s_waitcnt vmcnt(7)
	buffer_store_dword v1, off, s[0:3], 0 offset:16
	s_waitcnt vmcnt(6)
	buffer_store_dword v2, off, s[0:3], 0 offset:20
	;; [unrolled: 2-line block ×4, first 2 shown]
	s_waitcnt vmcnt(3)
	buffer_store_dword v5, v0, s[0:3], 0 offen offset:12
	s_waitcnt vmcnt(2)
	buffer_store_dword v6, v0, s[0:3], 0 offen offset:8
	;; [unrolled: 2-line block ×3, first 2 shown]
	s_waitcnt vmcnt(0)
	buffer_store_dword v8, v0, s[0:3], 0 offen
.LBB111_396:
	s_clause 0x3
	buffer_load_dword v0, off, s[0:3], 0 offset:16
	buffer_load_dword v1, off, s[0:3], 0 offset:20
	;; [unrolled: 1-line block ×4, first 2 shown]
	v_mov_b32_e32 v4, s59
	s_waitcnt vmcnt(0)
	flat_store_dwordx4 v[9:10], v[0:3]
	s_clause 0x3
	buffer_load_dword v0, v4, s[0:3], 0 offen
	buffer_load_dword v1, v4, s[0:3], 0 offen offset:4
	buffer_load_dword v2, v4, s[0:3], 0 offen offset:8
	buffer_load_dword v3, v4, s[0:3], 0 offen offset:12
	v_mov_b32_e32 v4, s58
	s_waitcnt vmcnt(0)
	flat_store_dwordx4 v[63:64], v[0:3]
	s_clause 0x3
	buffer_load_dword v0, v4, s[0:3], 0 offen
	buffer_load_dword v1, v4, s[0:3], 0 offen offset:4
	buffer_load_dword v2, v4, s[0:3], 0 offen offset:8
	buffer_load_dword v3, v4, s[0:3], 0 offen offset:12
	;; [unrolled: 8-line block ×47, first 2 shown]
	s_waitcnt vmcnt(0)
	flat_store_dwordx4 v[103:104], v[0:3]
	s_endpgm
	.section	.rodata,"a",@progbits
	.p2align	6, 0x0
	.amdhsa_kernel _ZN9rocsolver6v33100L18getri_kernel_smallILi48E19rocblas_complex_numIdEPKPS3_EEvT1_iilPiilS8_bb
		.amdhsa_group_segment_fixed_size 1544
		.amdhsa_private_segment_fixed_size 800
		.amdhsa_kernarg_size 60
		.amdhsa_user_sgpr_count 6
		.amdhsa_user_sgpr_private_segment_buffer 1
		.amdhsa_user_sgpr_dispatch_ptr 0
		.amdhsa_user_sgpr_queue_ptr 0
		.amdhsa_user_sgpr_kernarg_segment_ptr 1
		.amdhsa_user_sgpr_dispatch_id 0
		.amdhsa_user_sgpr_flat_scratch_init 0
		.amdhsa_user_sgpr_private_segment_size 0
		.amdhsa_wavefront_size32 1
		.amdhsa_uses_dynamic_stack 0
		.amdhsa_system_sgpr_private_segment_wavefront_offset 1
		.amdhsa_system_sgpr_workgroup_id_x 1
		.amdhsa_system_sgpr_workgroup_id_y 0
		.amdhsa_system_sgpr_workgroup_id_z 0
		.amdhsa_system_sgpr_workgroup_info 0
		.amdhsa_system_vgpr_workitem_id 0
		.amdhsa_next_free_vgpr 191
		.amdhsa_next_free_sgpr 83
		.amdhsa_reserve_vcc 1
		.amdhsa_reserve_flat_scratch 0
		.amdhsa_float_round_mode_32 0
		.amdhsa_float_round_mode_16_64 0
		.amdhsa_float_denorm_mode_32 3
		.amdhsa_float_denorm_mode_16_64 3
		.amdhsa_dx10_clamp 1
		.amdhsa_ieee_mode 1
		.amdhsa_fp16_overflow 0
		.amdhsa_workgroup_processor_mode 1
		.amdhsa_memory_ordered 1
		.amdhsa_forward_progress 1
		.amdhsa_shared_vgpr_count 0
		.amdhsa_exception_fp_ieee_invalid_op 0
		.amdhsa_exception_fp_denorm_src 0
		.amdhsa_exception_fp_ieee_div_zero 0
		.amdhsa_exception_fp_ieee_overflow 0
		.amdhsa_exception_fp_ieee_underflow 0
		.amdhsa_exception_fp_ieee_inexact 0
		.amdhsa_exception_int_div_zero 0
	.end_amdhsa_kernel
	.section	.text._ZN9rocsolver6v33100L18getri_kernel_smallILi48E19rocblas_complex_numIdEPKPS3_EEvT1_iilPiilS8_bb,"axG",@progbits,_ZN9rocsolver6v33100L18getri_kernel_smallILi48E19rocblas_complex_numIdEPKPS3_EEvT1_iilPiilS8_bb,comdat
.Lfunc_end111:
	.size	_ZN9rocsolver6v33100L18getri_kernel_smallILi48E19rocblas_complex_numIdEPKPS3_EEvT1_iilPiilS8_bb, .Lfunc_end111-_ZN9rocsolver6v33100L18getri_kernel_smallILi48E19rocblas_complex_numIdEPKPS3_EEvT1_iilPiilS8_bb
                                        ; -- End function
	.set _ZN9rocsolver6v33100L18getri_kernel_smallILi48E19rocblas_complex_numIdEPKPS3_EEvT1_iilPiilS8_bb.num_vgpr, 191
	.set _ZN9rocsolver6v33100L18getri_kernel_smallILi48E19rocblas_complex_numIdEPKPS3_EEvT1_iilPiilS8_bb.num_agpr, 0
	.set _ZN9rocsolver6v33100L18getri_kernel_smallILi48E19rocblas_complex_numIdEPKPS3_EEvT1_iilPiilS8_bb.numbered_sgpr, 83
	.set _ZN9rocsolver6v33100L18getri_kernel_smallILi48E19rocblas_complex_numIdEPKPS3_EEvT1_iilPiilS8_bb.num_named_barrier, 0
	.set _ZN9rocsolver6v33100L18getri_kernel_smallILi48E19rocblas_complex_numIdEPKPS3_EEvT1_iilPiilS8_bb.private_seg_size, 800
	.set _ZN9rocsolver6v33100L18getri_kernel_smallILi48E19rocblas_complex_numIdEPKPS3_EEvT1_iilPiilS8_bb.uses_vcc, 1
	.set _ZN9rocsolver6v33100L18getri_kernel_smallILi48E19rocblas_complex_numIdEPKPS3_EEvT1_iilPiilS8_bb.uses_flat_scratch, 0
	.set _ZN9rocsolver6v33100L18getri_kernel_smallILi48E19rocblas_complex_numIdEPKPS3_EEvT1_iilPiilS8_bb.has_dyn_sized_stack, 0
	.set _ZN9rocsolver6v33100L18getri_kernel_smallILi48E19rocblas_complex_numIdEPKPS3_EEvT1_iilPiilS8_bb.has_recursion, 0
	.set _ZN9rocsolver6v33100L18getri_kernel_smallILi48E19rocblas_complex_numIdEPKPS3_EEvT1_iilPiilS8_bb.has_indirect_call, 0
	.section	.AMDGPU.csdata,"",@progbits
; Kernel info:
; codeLenInByte = 155836
; TotalNumSgprs: 85
; NumVgprs: 191
; ScratchSize: 800
; MemoryBound: 0
; FloatMode: 240
; IeeeMode: 1
; LDSByteSize: 1544 bytes/workgroup (compile time only)
; SGPRBlocks: 0
; VGPRBlocks: 23
; NumSGPRsForWavesPerEU: 85
; NumVGPRsForWavesPerEU: 191
; Occupancy: 5
; WaveLimiterHint : 1
; COMPUTE_PGM_RSRC2:SCRATCH_EN: 1
; COMPUTE_PGM_RSRC2:USER_SGPR: 6
; COMPUTE_PGM_RSRC2:TRAP_HANDLER: 0
; COMPUTE_PGM_RSRC2:TGID_X_EN: 1
; COMPUTE_PGM_RSRC2:TGID_Y_EN: 0
; COMPUTE_PGM_RSRC2:TGID_Z_EN: 0
; COMPUTE_PGM_RSRC2:TIDIG_COMP_CNT: 0
	.section	.text._ZN9rocsolver6v33100L18getri_kernel_smallILi49E19rocblas_complex_numIdEPKPS3_EEvT1_iilPiilS8_bb,"axG",@progbits,_ZN9rocsolver6v33100L18getri_kernel_smallILi49E19rocblas_complex_numIdEPKPS3_EEvT1_iilPiilS8_bb,comdat
	.globl	_ZN9rocsolver6v33100L18getri_kernel_smallILi49E19rocblas_complex_numIdEPKPS3_EEvT1_iilPiilS8_bb ; -- Begin function _ZN9rocsolver6v33100L18getri_kernel_smallILi49E19rocblas_complex_numIdEPKPS3_EEvT1_iilPiilS8_bb
	.p2align	8
	.type	_ZN9rocsolver6v33100L18getri_kernel_smallILi49E19rocblas_complex_numIdEPKPS3_EEvT1_iilPiilS8_bb,@function
_ZN9rocsolver6v33100L18getri_kernel_smallILi49E19rocblas_complex_numIdEPKPS3_EEvT1_iilPiilS8_bb: ; @_ZN9rocsolver6v33100L18getri_kernel_smallILi49E19rocblas_complex_numIdEPKPS3_EEvT1_iilPiilS8_bb
; %bb.0:
	s_add_u32 s0, s0, s7
	s_addc_u32 s1, s1, 0
	s_mov_b32 s7, exec_lo
	v_cmpx_gt_u32_e32 49, v0
	s_cbranch_execz .LBB112_210
; %bb.1:
	s_clause 0x2
	s_load_dword s16, s[4:5], 0x38
	s_load_dwordx2 s[12:13], s[4:5], 0x0
	s_load_dwordx4 s[8:11], s[4:5], 0x28
	s_waitcnt lgkmcnt(0)
	s_bitcmp1_b32 s16, 8
	s_cselect_b32 s61, -1, 0
	s_ashr_i32 s7, s6, 31
	s_lshl_b64 s[14:15], s[6:7], 3
	s_add_u32 s12, s12, s14
	s_addc_u32 s13, s13, s15
	s_load_dwordx2 s[14:15], s[12:13], 0x0
	s_bfe_u32 s12, s16, 0x10008
	s_cmp_eq_u32 s12, 0
                                        ; implicit-def: $sgpr12_sgpr13
	s_cbranch_scc1 .LBB112_3
; %bb.2:
	s_clause 0x1
	s_load_dword s12, s[4:5], 0x20
	s_load_dwordx2 s[16:17], s[4:5], 0x18
	s_mul_i32 s13, s8, s7
	s_mul_hi_u32 s18, s8, s6
	s_mul_i32 s9, s9, s6
	s_add_i32 s13, s18, s13
	s_mul_i32 s8, s8, s6
	s_add_i32 s9, s13, s9
	s_lshl_b64 s[8:9], s[8:9], 2
	s_waitcnt lgkmcnt(0)
	s_ashr_i32 s13, s12, 31
	s_add_u32 s16, s16, s8
	s_addc_u32 s17, s17, s9
	s_lshl_b64 s[8:9], s[12:13], 2
	s_add_u32 s12, s16, s8
	s_addc_u32 s13, s17, s9
.LBB112_3:
	s_clause 0x1
	s_load_dwordx2 s[8:9], s[4:5], 0x8
	s_load_dword s62, s[4:5], 0x38
	v_lshlrev_b32_e32 v109, 4, v0
	s_movk_i32 s16, 0xa0
	s_movk_i32 s17, 0xb0
	;; [unrolled: 1-line block ×17, first 2 shown]
	s_waitcnt lgkmcnt(0)
	s_ashr_i32 s5, s8, 31
	s_mov_b32 s4, s8
	v_add3_u32 v5, s9, s9, v0
	s_lshl_b64 s[4:5], s[4:5], 4
	s_movk_i32 s34, 0x1b0
	s_add_u32 s8, s14, s4
	s_addc_u32 s14, s15, s5
	v_add_co_u32 v9, s4, s8, v109
	v_add_co_ci_u32_e64 v10, null, s14, 0, s4
	s_mov_b32 s4, s9
	s_ashr_i32 s5, s9, 31
	v_ashrrev_i32_e32 v6, 31, v5
	flat_load_dwordx4 v[1:4], v[9:10]
	s_lshl_b64 s[4:5], s[4:5], 4
	s_movk_i32 s15, 0x90
	v_add_co_u32 v63, vcc_lo, v9, s4
	v_add_co_ci_u32_e64 v64, null, s5, v10, vcc_lo
	v_lshlrev_b64 v[6:7], 4, v[5:6]
	v_add_nc_u32_e32 v5, s9, v5
	s_movk_i32 s4, 0x50
	s_movk_i32 s63, 0x1c0
	;; [unrolled: 1-line block ×4, first 2 shown]
	v_add_co_u32 v61, vcc_lo, s8, v6
	v_add_co_ci_u32_e64 v62, null, s14, v7, vcc_lo
	v_ashrrev_i32_e32 v6, 31, v5
	s_movk_i32 s66, 0x1f0
	s_movk_i32 s67, 0x200
	;; [unrolled: 1-line block ×4, first 2 shown]
	v_lshlrev_b64 v[6:7], 4, v[5:6]
	v_add_nc_u32_e32 v5, s9, v5
	s_movk_i32 s70, 0x230
	s_movk_i32 s71, 0x240
	;; [unrolled: 1-line block ×4, first 2 shown]
	v_add_co_u32 v57, vcc_lo, s8, v6
	v_add_co_ci_u32_e64 v58, null, s14, v7, vcc_lo
	v_ashrrev_i32_e32 v6, 31, v5
	s_movk_i32 s74, 0x270
	s_movk_i32 s75, 0x280
	;; [unrolled: 1-line block ×4, first 2 shown]
	v_lshlrev_b64 v[6:7], 4, v[5:6]
	v_add_nc_u32_e32 v5, s9, v5
	s_movk_i32 s78, 0x2b0
	s_movk_i32 s79, 0x2c0
	;; [unrolled: 1-line block ×4, first 2 shown]
	v_add_co_u32 v55, vcc_lo, s8, v6
	v_add_co_ci_u32_e64 v56, null, s14, v7, vcc_lo
	v_ashrrev_i32_e32 v6, 31, v5
	s_movk_i32 s82, 0x2f0
	s_movk_i32 s83, 0x300
	s_add_i32 s56, s4, 16
	s_add_i32 s52, s15, 16
	v_lshlrev_b64 v[6:7], 4, v[5:6]
	v_add_nc_u32_e32 v5, s9, v5
	s_add_i32 s51, s16, 16
	s_add_i32 s50, s17, 16
	s_add_i32 s49, s18, 16
	s_add_i32 s48, s19, 16
	v_add_co_u32 v53, vcc_lo, s8, v6
	v_add_co_ci_u32_e64 v54, null, s14, v7, vcc_lo
	v_ashrrev_i32_e32 v6, 31, v5
	s_add_i32 s47, s20, 16
	s_add_i32 s46, s21, 16
	s_add_i32 s45, s22, 16
	s_add_i32 s44, s23, 16
	v_lshlrev_b64 v[6:7], 4, v[5:6]
	v_add_nc_u32_e32 v5, s9, v5
	s_add_i32 s43, s24, 16
	s_add_i32 s42, s25, 16
	s_add_i32 s41, s26, 16
	s_add_i32 s40, s27, 16
	v_add_co_u32 v51, vcc_lo, s8, v6
	v_add_co_ci_u32_e64 v52, null, s14, v7, vcc_lo
	v_ashrrev_i32_e32 v6, 31, v5
	s_add_i32 s39, s28, 16
	s_add_i32 s38, s29, 16
	;; [unrolled: 13-line block ×4, first 2 shown]
	s_add_i32 s20, s75, 16
	s_add_i32 s19, s76, 16
	v_lshlrev_b64 v[6:7], 4, v[5:6]
	v_add_nc_u32_e32 v5, s9, v5
	s_add_i32 s18, s77, 16
	s_add_i32 s17, s78, 16
	;; [unrolled: 1-line block ×4, first 2 shown]
	v_add_co_u32 v45, vcc_lo, s8, v6
	v_add_co_ci_u32_e64 v46, null, s14, v7, vcc_lo
	v_ashrrev_i32_e32 v6, 31, v5
	s_mov_b32 s5, -1
	s_mov_b32 s60, 32
	s_mov_b32 s59, 48
	s_mov_b32 s58, 64
	v_lshlrev_b64 v[6:7], 4, v[5:6]
	v_add_nc_u32_e32 v5, s9, v5
	s_movk_i32 s57, 0x50
	s_waitcnt vmcnt(0) lgkmcnt(0)
	buffer_store_dword v4, off, s[0:3], 0 offset:28
	buffer_store_dword v3, off, s[0:3], 0 offset:24
	buffer_store_dword v2, off, s[0:3], 0 offset:20
	buffer_store_dword v1, off, s[0:3], 0 offset:16
	flat_load_dwordx4 v[1:4], v[63:64]
	v_add_co_u32 v43, vcc_lo, s8, v6
	v_add_co_ci_u32_e64 v44, null, s14, v7, vcc_lo
	v_ashrrev_i32_e32 v6, 31, v5
	s_waitcnt vmcnt(0) lgkmcnt(0)
	buffer_store_dword v4, off, s[0:3], 0 offset:44
	buffer_store_dword v3, off, s[0:3], 0 offset:40
	buffer_store_dword v2, off, s[0:3], 0 offset:36
	buffer_store_dword v1, off, s[0:3], 0 offset:32
	flat_load_dwordx4 v[1:4], v[61:62]
	v_lshlrev_b64 v[6:7], 4, v[5:6]
	v_add_nc_u32_e32 v5, s9, v5
	s_waitcnt vmcnt(0) lgkmcnt(0)
	buffer_store_dword v4, off, s[0:3], 0 offset:60
	buffer_store_dword v3, off, s[0:3], 0 offset:56
	buffer_store_dword v2, off, s[0:3], 0 offset:52
	buffer_store_dword v1, off, s[0:3], 0 offset:48
	flat_load_dwordx4 v[1:4], v[57:58]
	v_add_co_u32 v41, vcc_lo, s8, v6
	v_add_co_ci_u32_e64 v42, null, s14, v7, vcc_lo
	v_ashrrev_i32_e32 v6, 31, v5
	s_waitcnt vmcnt(0) lgkmcnt(0)
	buffer_store_dword v4, off, s[0:3], 0 offset:76
	buffer_store_dword v3, off, s[0:3], 0 offset:72
	buffer_store_dword v2, off, s[0:3], 0 offset:68
	buffer_store_dword v1, off, s[0:3], 0 offset:64
	flat_load_dwordx4 v[1:4], v[55:56]
	v_lshlrev_b64 v[6:7], 4, v[5:6]
	v_add_nc_u32_e32 v5, s9, v5
	;; [unrolled: 17-line block ×9, first 2 shown]
	s_waitcnt vmcnt(0) lgkmcnt(0)
	buffer_store_dword v4, off, s[0:3], 0 offset:316
	buffer_store_dword v3, off, s[0:3], 0 offset:312
	;; [unrolled: 1-line block ×4, first 2 shown]
	v_add_co_u32 v23, vcc_lo, s8, v6
	v_add_co_ci_u32_e64 v24, null, s14, v7, vcc_lo
	v_ashrrev_i32_e32 v6, 31, v5
	flat_load_dwordx4 v[1:4], v[23:24]
	s_waitcnt vmcnt(0) lgkmcnt(0)
	buffer_store_dword v4, off, s[0:3], 0 offset:332
	buffer_store_dword v3, off, s[0:3], 0 offset:328
	buffer_store_dword v2, off, s[0:3], 0 offset:324
	buffer_store_dword v1, off, s[0:3], 0 offset:320
	v_lshlrev_b64 v[6:7], 4, v[5:6]
	v_add_nc_u32_e32 v5, s9, v5
	v_add_co_u32 v21, vcc_lo, s8, v6
	v_add_co_ci_u32_e64 v22, null, s14, v7, vcc_lo
	v_ashrrev_i32_e32 v6, 31, v5
	flat_load_dwordx4 v[1:4], v[21:22]
	s_waitcnt vmcnt(0) lgkmcnt(0)
	buffer_store_dword v4, off, s[0:3], 0 offset:348
	buffer_store_dword v3, off, s[0:3], 0 offset:344
	buffer_store_dword v2, off, s[0:3], 0 offset:340
	buffer_store_dword v1, off, s[0:3], 0 offset:336
	v_lshlrev_b64 v[6:7], 4, v[5:6]
	v_add_nc_u32_e32 v5, s9, v5
	;; [unrolled: 11-line block ×28, first 2 shown]
	s_movk_i32 s9, 0x70
	s_add_i32 s54, s9, 16
	s_add_i32 s9, s82, 16
	v_add_co_u32 v103, vcc_lo, s8, v6
	v_add_co_ci_u32_e64 v104, null, s14, v7, vcc_lo
	v_ashrrev_i32_e32 v6, 31, v5
	flat_load_dwordx4 v[1:4], v[103:104]
	s_waitcnt vmcnt(0) lgkmcnt(0)
	buffer_store_dword v4, off, s[0:3], 0 offset:780
	buffer_store_dword v3, off, s[0:3], 0 offset:776
	;; [unrolled: 1-line block ×4, first 2 shown]
	v_lshlrev_b64 v[5:6], 4, v[5:6]
	v_add_co_u32 v105, vcc_lo, s8, v5
	v_add_co_ci_u32_e64 v106, null, s14, v6, vcc_lo
	s_movk_i32 s8, 0x60
	s_movk_i32 s14, 0x80
	s_add_i32 s55, s8, 16
	flat_load_dwordx4 v[1:4], v[105:106]
	s_add_i32 s53, s14, 16
	s_add_i32 s14, s81, 16
	;; [unrolled: 1-line block ×3, first 2 shown]
	s_bitcmp0_b32 s62, 0
	s_waitcnt vmcnt(0) lgkmcnt(0)
	buffer_store_dword v4, off, s[0:3], 0 offset:796
	buffer_store_dword v3, off, s[0:3], 0 offset:792
	;; [unrolled: 1-line block ×4, first 2 shown]
	s_cbranch_scc1 .LBB112_208
; %bb.4:
	v_cmp_eq_u32_e64 s4, 0, v0
	s_and_saveexec_b32 s5, s4
; %bb.5:
	v_mov_b32_e32 v1, 0
	ds_write_b32 v1, v1 offset:1568
; %bb.6:
	s_or_b32 exec_lo, exec_lo, s5
	v_lshl_add_u32 v110, v0, 4, 16
	s_waitcnt lgkmcnt(0)
	s_waitcnt_vscnt null, 0x0
	s_barrier
	buffer_gl0_inv
	s_clause 0x3
	buffer_load_dword v1, v110, s[0:3], 0 offen
	buffer_load_dword v2, v110, s[0:3], 0 offen offset:4
	buffer_load_dword v3, v110, s[0:3], 0 offen offset:8
	;; [unrolled: 1-line block ×3, first 2 shown]
	s_waitcnt vmcnt(2)
	v_cmp_eq_f64_e32 vcc_lo, 0, v[1:2]
	s_waitcnt vmcnt(0)
	v_cmp_eq_f64_e64 s5, 0, v[3:4]
	s_and_b32 s5, vcc_lo, s5
	s_and_saveexec_b32 s62, s5
	s_cbranch_execz .LBB112_10
; %bb.7:
	v_mov_b32_e32 v1, 0
	s_mov_b32 s63, 0
	ds_read_b32 v2, v1 offset:1568
	s_waitcnt lgkmcnt(0)
	v_readfirstlane_b32 s5, v2
	v_add_nc_u32_e32 v2, 1, v0
	s_cmp_eq_u32 s5, 0
	v_cmp_gt_i32_e32 vcc_lo, s5, v2
	s_cselect_b32 s64, -1, 0
	s_or_b32 s64, s64, vcc_lo
	s_and_b32 exec_lo, exec_lo, s64
	s_cbranch_execz .LBB112_10
; %bb.8:
	v_mov_b32_e32 v3, s5
.LBB112_9:                              ; =>This Inner Loop Header: Depth=1
	ds_cmpst_rtn_b32 v3, v1, v3, v2 offset:1568
	s_waitcnt lgkmcnt(0)
	v_cmp_ne_u32_e32 vcc_lo, 0, v3
	v_cmp_le_i32_e64 s5, v3, v2
	s_and_b32 s5, vcc_lo, s5
	s_and_b32 s5, exec_lo, s5
	s_or_b32 s63, s5, s63
	s_andn2_b32 exec_lo, exec_lo, s63
	s_cbranch_execnz .LBB112_9
.LBB112_10:
	s_or_b32 exec_lo, exec_lo, s62
	v_mov_b32_e32 v1, 0
	s_barrier
	buffer_gl0_inv
	ds_read_b32 v2, v1 offset:1568
	s_and_saveexec_b32 s5, s4
	s_cbranch_execz .LBB112_12
; %bb.11:
	s_lshl_b64 s[62:63], s[6:7], 2
	s_add_u32 s62, s10, s62
	s_addc_u32 s63, s11, s63
	s_waitcnt lgkmcnt(0)
	global_store_dword v1, v2, s[62:63]
.LBB112_12:
	s_or_b32 exec_lo, exec_lo, s5
	s_waitcnt lgkmcnt(0)
	v_cmp_ne_u32_e32 vcc_lo, 0, v2
	s_mov_b32 s5, 0
	s_cbranch_vccnz .LBB112_208
; %bb.13:
	s_clause 0x3
	buffer_load_dword v7, v110, s[0:3], 0 offen
	buffer_load_dword v8, v110, s[0:3], 0 offen offset:4
	buffer_load_dword v107, v110, s[0:3], 0 offen offset:8
	;; [unrolled: 1-line block ×3, first 2 shown]
                                        ; implicit-def: $vgpr5_vgpr6
                                        ; implicit-def: $vgpr3_vgpr4
	s_waitcnt vmcnt(0)
	v_cmp_ngt_f64_e64 s5, |v[7:8]|, |v[107:108]|
	s_and_saveexec_b32 s62, s5
	s_xor_b32 s5, exec_lo, s62
	s_cbranch_execz .LBB112_15
; %bb.14:
	v_div_scale_f64 v[1:2], null, v[107:108], v[107:108], v[7:8]
	v_div_scale_f64 v[111:112], vcc_lo, v[7:8], v[107:108], v[7:8]
	v_rcp_f64_e32 v[3:4], v[1:2]
	v_fma_f64 v[5:6], -v[1:2], v[3:4], 1.0
	v_fma_f64 v[3:4], v[3:4], v[5:6], v[3:4]
	v_fma_f64 v[5:6], -v[1:2], v[3:4], 1.0
	v_fma_f64 v[3:4], v[3:4], v[5:6], v[3:4]
	v_mul_f64 v[5:6], v[111:112], v[3:4]
	v_fma_f64 v[1:2], -v[1:2], v[5:6], v[111:112]
	v_div_fmas_f64 v[1:2], v[1:2], v[3:4], v[5:6]
	v_div_fixup_f64 v[1:2], v[1:2], v[107:108], v[7:8]
	v_fma_f64 v[3:4], v[7:8], v[1:2], v[107:108]
	v_div_scale_f64 v[5:6], null, v[3:4], v[3:4], 1.0
	v_div_scale_f64 v[111:112], vcc_lo, 1.0, v[3:4], 1.0
	v_rcp_f64_e32 v[7:8], v[5:6]
	v_fma_f64 v[107:108], -v[5:6], v[7:8], 1.0
	v_fma_f64 v[7:8], v[7:8], v[107:108], v[7:8]
	v_fma_f64 v[107:108], -v[5:6], v[7:8], 1.0
	v_fma_f64 v[7:8], v[7:8], v[107:108], v[7:8]
	v_mul_f64 v[107:108], v[111:112], v[7:8]
	v_fma_f64 v[5:6], -v[5:6], v[107:108], v[111:112]
	v_div_fmas_f64 v[5:6], v[5:6], v[7:8], v[107:108]
                                        ; implicit-def: $vgpr7_vgpr8
                                        ; implicit-def: $vgpr107_vgpr108
	v_div_fixup_f64 v[3:4], v[5:6], v[3:4], 1.0
	v_mul_f64 v[5:6], v[1:2], v[3:4]
	v_xor_b32_e32 v4, 0x80000000, v4
	v_xor_b32_e32 v2, 0x80000000, v6
	v_mov_b32_e32 v1, v5
.LBB112_15:
	s_andn2_saveexec_b32 s5, s5
	s_cbranch_execz .LBB112_17
; %bb.16:
	v_div_scale_f64 v[1:2], null, v[7:8], v[7:8], v[107:108]
	v_div_scale_f64 v[111:112], vcc_lo, v[107:108], v[7:8], v[107:108]
	v_rcp_f64_e32 v[3:4], v[1:2]
	v_fma_f64 v[5:6], -v[1:2], v[3:4], 1.0
	v_fma_f64 v[3:4], v[3:4], v[5:6], v[3:4]
	v_fma_f64 v[5:6], -v[1:2], v[3:4], 1.0
	v_fma_f64 v[3:4], v[3:4], v[5:6], v[3:4]
	v_mul_f64 v[5:6], v[111:112], v[3:4]
	v_fma_f64 v[1:2], -v[1:2], v[5:6], v[111:112]
	v_div_fmas_f64 v[1:2], v[1:2], v[3:4], v[5:6]
	v_div_fixup_f64 v[1:2], v[1:2], v[7:8], v[107:108]
	v_fma_f64 v[3:4], v[107:108], v[1:2], v[7:8]
	v_div_scale_f64 v[5:6], null, v[3:4], v[3:4], 1.0
	v_rcp_f64_e32 v[7:8], v[5:6]
	v_fma_f64 v[107:108], -v[5:6], v[7:8], 1.0
	v_fma_f64 v[7:8], v[7:8], v[107:108], v[7:8]
	v_fma_f64 v[107:108], -v[5:6], v[7:8], 1.0
	v_fma_f64 v[7:8], v[7:8], v[107:108], v[7:8]
	v_div_scale_f64 v[107:108], vcc_lo, 1.0, v[3:4], 1.0
	v_mul_f64 v[111:112], v[107:108], v[7:8]
	v_fma_f64 v[5:6], -v[5:6], v[111:112], v[107:108]
	v_div_fmas_f64 v[5:6], v[5:6], v[7:8], v[111:112]
	v_div_fixup_f64 v[5:6], v[5:6], v[3:4], 1.0
	v_mul_f64 v[3:4], v[1:2], -v[5:6]
	v_xor_b32_e32 v2, 0x80000000, v6
	v_mov_b32_e32 v1, v5
.LBB112_17:
	s_or_b32 exec_lo, exec_lo, s5
	v_mov_b32_e32 v7, s60
	buffer_store_dword v6, v110, s[0:3], 0 offen offset:4
	buffer_store_dword v5, v110, s[0:3], 0 offen
	buffer_store_dword v4, v110, s[0:3], 0 offen offset:12
	buffer_store_dword v3, v110, s[0:3], 0 offen offset:8
	v_xor_b32_e32 v4, 0x80000000, v4
	v_add_nc_u32_e32 v5, 0x310, v109
	s_clause 0x3
	buffer_load_dword v114, v7, s[0:3], 0 offen offset:12
	buffer_load_dword v113, v7, s[0:3], 0 offen offset:8
	;; [unrolled: 1-line block ×3, first 2 shown]
	buffer_load_dword v111, v7, s[0:3], 0 offen
	ds_write_b128 v109, v[1:4]
	s_waitcnt vmcnt(0)
	ds_write_b128 v109, v[111:114] offset:784
	s_waitcnt lgkmcnt(0)
	s_waitcnt_vscnt null, 0x0
	s_barrier
	buffer_gl0_inv
	s_and_saveexec_b32 s5, s4
	s_cbranch_execz .LBB112_19
; %bb.18:
	s_clause 0x3
	buffer_load_dword v6, v110, s[0:3], 0 offen offset:8
	buffer_load_dword v7, v110, s[0:3], 0 offen offset:12
	buffer_load_dword v107, v110, s[0:3], 0 offen
	buffer_load_dword v108, v110, s[0:3], 0 offen offset:4
	ds_read_b128 v[1:4], v5
	v_mov_b32_e32 v8, 0
	ds_read_b128 v[111:114], v8 offset:16
	s_waitcnt vmcnt(2) lgkmcnt(1)
	v_mul_f64 v[115:116], v[1:2], v[6:7]
	v_mul_f64 v[6:7], v[3:4], v[6:7]
	s_waitcnt vmcnt(0)
	v_fma_f64 v[3:4], v[3:4], v[107:108], v[115:116]
	v_fma_f64 v[1:2], v[1:2], v[107:108], -v[6:7]
	v_add_f64 v[3:4], v[3:4], 0
	v_add_f64 v[1:2], v[1:2], 0
	s_waitcnt lgkmcnt(0)
	v_mul_f64 v[6:7], v[3:4], v[113:114]
	v_mul_f64 v[107:108], v[1:2], v[113:114]
	v_fma_f64 v[1:2], v[1:2], v[111:112], -v[6:7]
	v_fma_f64 v[3:4], v[3:4], v[111:112], v[107:108]
	buffer_store_dword v1, off, s[0:3], 0 offset:32
	buffer_store_dword v2, off, s[0:3], 0 offset:36
	;; [unrolled: 1-line block ×4, first 2 shown]
.LBB112_19:
	s_or_b32 exec_lo, exec_lo, s5
	v_mov_b32_e32 v4, s59
	s_waitcnt_vscnt null, 0x0
	s_barrier
	buffer_gl0_inv
	s_mov_b32 s5, exec_lo
	s_clause 0x3
	buffer_load_dword v1, v4, s[0:3], 0 offen
	buffer_load_dword v2, v4, s[0:3], 0 offen offset:4
	buffer_load_dword v3, v4, s[0:3], 0 offen offset:8
	;; [unrolled: 1-line block ×3, first 2 shown]
	s_waitcnt vmcnt(0)
	ds_write_b128 v5, v[1:4]
	s_waitcnt lgkmcnt(0)
	s_barrier
	buffer_gl0_inv
	v_cmpx_gt_u32_e32 2, v0
	s_cbranch_execz .LBB112_23
; %bb.20:
	s_clause 0x3
	buffer_load_dword v6, v110, s[0:3], 0 offen offset:8
	buffer_load_dword v7, v110, s[0:3], 0 offen offset:12
	buffer_load_dword v107, v110, s[0:3], 0 offen
	buffer_load_dword v108, v110, s[0:3], 0 offen offset:4
	ds_read_b128 v[1:4], v5
	s_waitcnt vmcnt(2) lgkmcnt(0)
	v_mul_f64 v[110:111], v[3:4], v[6:7]
	v_mul_f64 v[6:7], v[1:2], v[6:7]
	s_waitcnt vmcnt(0)
	v_fma_f64 v[1:2], v[1:2], v[107:108], -v[110:111]
	v_fma_f64 v[3:4], v[3:4], v[107:108], v[6:7]
	v_add_f64 v[1:2], v[1:2], 0
	v_add_f64 v[3:4], v[3:4], 0
	s_and_saveexec_b32 s62, s4
	s_cbranch_execz .LBB112_22
; %bb.21:
	s_clause 0x3
	buffer_load_dword v6, off, s[0:3], 0 offset:40
	buffer_load_dword v7, off, s[0:3], 0 offset:44
	;; [unrolled: 1-line block ×4, first 2 shown]
	v_mov_b32_e32 v8, 0
	ds_read_b128 v[110:113], v8 offset:800
	s_waitcnt vmcnt(2) lgkmcnt(0)
	v_mul_f64 v[114:115], v[110:111], v[6:7]
	v_mul_f64 v[6:7], v[112:113], v[6:7]
	s_waitcnt vmcnt(0)
	v_fma_f64 v[112:113], v[112:113], v[107:108], v[114:115]
	v_fma_f64 v[6:7], v[110:111], v[107:108], -v[6:7]
	v_add_f64 v[3:4], v[3:4], v[112:113]
	v_add_f64 v[1:2], v[1:2], v[6:7]
.LBB112_22:
	s_or_b32 exec_lo, exec_lo, s62
	v_mov_b32_e32 v6, 0
	ds_read_b128 v[110:113], v6 offset:32
	s_waitcnt lgkmcnt(0)
	v_mul_f64 v[6:7], v[3:4], v[112:113]
	v_mul_f64 v[107:108], v[1:2], v[112:113]
	v_fma_f64 v[1:2], v[1:2], v[110:111], -v[6:7]
	v_fma_f64 v[3:4], v[3:4], v[110:111], v[107:108]
	buffer_store_dword v2, off, s[0:3], 0 offset:52
	buffer_store_dword v1, off, s[0:3], 0 offset:48
	;; [unrolled: 1-line block ×4, first 2 shown]
.LBB112_23:
	s_or_b32 exec_lo, exec_lo, s5
	v_mov_b32_e32 v4, s58
	s_waitcnt_vscnt null, 0x0
	s_barrier
	buffer_gl0_inv
	v_add_nc_u32_e32 v6, -1, v0
	s_clause 0x3
	buffer_load_dword v1, v4, s[0:3], 0 offen
	buffer_load_dword v2, v4, s[0:3], 0 offen offset:4
	buffer_load_dword v3, v4, s[0:3], 0 offen offset:8
	;; [unrolled: 1-line block ×3, first 2 shown]
	s_mov_b32 s4, exec_lo
	s_waitcnt vmcnt(0)
	ds_write_b128 v5, v[1:4]
	s_waitcnt lgkmcnt(0)
	s_barrier
	buffer_gl0_inv
	v_cmpx_gt_u32_e32 3, v0
	s_cbranch_execz .LBB112_27
; %bb.24:
	v_mov_b32_e32 v1, 0
	v_mov_b32_e32 v3, 0
	v_add_nc_u32_e32 v7, -1, v0
	v_add_nc_u32_e32 v8, 0x310, v109
	v_mov_b32_e32 v2, 0
	v_mov_b32_e32 v4, 0
	v_add_nc_u32_e32 v107, 16, v109
	s_mov_b32 s5, 0
	.p2align	6
.LBB112_25:                             ; =>This Inner Loop Header: Depth=1
	s_clause 0x3
	buffer_load_dword v114, v107, s[0:3], 0 offen offset:8
	buffer_load_dword v115, v107, s[0:3], 0 offen offset:12
	buffer_load_dword v116, v107, s[0:3], 0 offen
	buffer_load_dword v117, v107, s[0:3], 0 offen offset:4
	ds_read_b128 v[110:113], v8
	v_add_nc_u32_e32 v7, 1, v7
	v_add_nc_u32_e32 v8, 16, v8
	;; [unrolled: 1-line block ×3, first 2 shown]
	v_cmp_lt_u32_e32 vcc_lo, 1, v7
	s_or_b32 s5, vcc_lo, s5
	s_waitcnt vmcnt(2) lgkmcnt(0)
	v_mul_f64 v[118:119], v[112:113], v[114:115]
	v_mul_f64 v[114:115], v[110:111], v[114:115]
	s_waitcnt vmcnt(0)
	v_fma_f64 v[110:111], v[110:111], v[116:117], -v[118:119]
	v_fma_f64 v[112:113], v[112:113], v[116:117], v[114:115]
	v_add_f64 v[3:4], v[3:4], v[110:111]
	v_add_f64 v[1:2], v[1:2], v[112:113]
	s_andn2_b32 exec_lo, exec_lo, s5
	s_cbranch_execnz .LBB112_25
; %bb.26:
	s_or_b32 exec_lo, exec_lo, s5
	v_mov_b32_e32 v7, 0
	ds_read_b128 v[110:113], v7 offset:48
	s_waitcnt lgkmcnt(0)
	v_mul_f64 v[7:8], v[1:2], v[112:113]
	v_mul_f64 v[107:108], v[3:4], v[112:113]
	v_fma_f64 v[3:4], v[3:4], v[110:111], -v[7:8]
	v_fma_f64 v[1:2], v[1:2], v[110:111], v[107:108]
	buffer_store_dword v4, off, s[0:3], 0 offset:68
	buffer_store_dword v3, off, s[0:3], 0 offset:64
	buffer_store_dword v2, off, s[0:3], 0 offset:76
	buffer_store_dword v1, off, s[0:3], 0 offset:72
.LBB112_27:
	s_or_b32 exec_lo, exec_lo, s4
	v_mov_b32_e32 v4, s57
	s_waitcnt_vscnt null, 0x0
	s_barrier
	buffer_gl0_inv
	s_mov_b32 s4, exec_lo
	s_clause 0x3
	buffer_load_dword v1, v4, s[0:3], 0 offen
	buffer_load_dword v2, v4, s[0:3], 0 offen offset:4
	buffer_load_dword v3, v4, s[0:3], 0 offen offset:8
	;; [unrolled: 1-line block ×3, first 2 shown]
	s_waitcnt vmcnt(0)
	ds_write_b128 v5, v[1:4]
	s_waitcnt lgkmcnt(0)
	s_barrier
	buffer_gl0_inv
	v_cmpx_gt_u32_e32 4, v0
	s_cbranch_execz .LBB112_31
; %bb.28:
	v_mov_b32_e32 v1, 0
	v_mov_b32_e32 v3, 0
	v_add_nc_u32_e32 v7, -1, v0
	v_add_nc_u32_e32 v8, 0x310, v109
	v_mov_b32_e32 v2, 0
	v_mov_b32_e32 v4, 0
	v_add_nc_u32_e32 v107, 16, v109
	s_mov_b32 s5, 0
	.p2align	6
.LBB112_29:                             ; =>This Inner Loop Header: Depth=1
	s_clause 0x3
	buffer_load_dword v114, v107, s[0:3], 0 offen offset:8
	buffer_load_dword v115, v107, s[0:3], 0 offen offset:12
	buffer_load_dword v116, v107, s[0:3], 0 offen
	buffer_load_dword v117, v107, s[0:3], 0 offen offset:4
	ds_read_b128 v[110:113], v8
	v_add_nc_u32_e32 v7, 1, v7
	v_add_nc_u32_e32 v8, 16, v8
	;; [unrolled: 1-line block ×3, first 2 shown]
	v_cmp_lt_u32_e32 vcc_lo, 2, v7
	s_or_b32 s5, vcc_lo, s5
	s_waitcnt vmcnt(2) lgkmcnt(0)
	v_mul_f64 v[118:119], v[112:113], v[114:115]
	v_mul_f64 v[114:115], v[110:111], v[114:115]
	s_waitcnt vmcnt(0)
	v_fma_f64 v[110:111], v[110:111], v[116:117], -v[118:119]
	v_fma_f64 v[112:113], v[112:113], v[116:117], v[114:115]
	v_add_f64 v[3:4], v[3:4], v[110:111]
	v_add_f64 v[1:2], v[1:2], v[112:113]
	s_andn2_b32 exec_lo, exec_lo, s5
	s_cbranch_execnz .LBB112_29
; %bb.30:
	s_or_b32 exec_lo, exec_lo, s5
	v_mov_b32_e32 v7, 0
	ds_read_b128 v[110:113], v7 offset:64
	s_waitcnt lgkmcnt(0)
	v_mul_f64 v[7:8], v[1:2], v[112:113]
	v_mul_f64 v[107:108], v[3:4], v[112:113]
	v_fma_f64 v[3:4], v[3:4], v[110:111], -v[7:8]
	v_fma_f64 v[1:2], v[1:2], v[110:111], v[107:108]
	buffer_store_dword v4, off, s[0:3], 0 offset:84
	buffer_store_dword v3, off, s[0:3], 0 offset:80
	;; [unrolled: 1-line block ×4, first 2 shown]
.LBB112_31:
	s_or_b32 exec_lo, exec_lo, s4
	v_mov_b32_e32 v4, s56
	s_waitcnt_vscnt null, 0x0
	s_barrier
	buffer_gl0_inv
	s_mov_b32 s4, exec_lo
	s_clause 0x3
	buffer_load_dword v1, v4, s[0:3], 0 offen
	buffer_load_dword v2, v4, s[0:3], 0 offen offset:4
	buffer_load_dword v3, v4, s[0:3], 0 offen offset:8
	;; [unrolled: 1-line block ×3, first 2 shown]
	s_waitcnt vmcnt(0)
	ds_write_b128 v5, v[1:4]
	s_waitcnt lgkmcnt(0)
	s_barrier
	buffer_gl0_inv
	v_cmpx_gt_u32_e32 5, v0
	s_cbranch_execz .LBB112_35
; %bb.32:
	v_mov_b32_e32 v1, 0
	v_mov_b32_e32 v3, 0
	v_add_nc_u32_e32 v7, -1, v0
	v_add_nc_u32_e32 v8, 0x310, v109
	v_mov_b32_e32 v2, 0
	v_mov_b32_e32 v4, 0
	v_add_nc_u32_e32 v107, 16, v109
	s_mov_b32 s5, 0
	.p2align	6
.LBB112_33:                             ; =>This Inner Loop Header: Depth=1
	s_clause 0x3
	buffer_load_dword v114, v107, s[0:3], 0 offen offset:8
	buffer_load_dword v115, v107, s[0:3], 0 offen offset:12
	buffer_load_dword v116, v107, s[0:3], 0 offen
	buffer_load_dword v117, v107, s[0:3], 0 offen offset:4
	ds_read_b128 v[110:113], v8
	v_add_nc_u32_e32 v7, 1, v7
	v_add_nc_u32_e32 v8, 16, v8
	;; [unrolled: 1-line block ×3, first 2 shown]
	v_cmp_lt_u32_e32 vcc_lo, 3, v7
	s_or_b32 s5, vcc_lo, s5
	s_waitcnt vmcnt(2) lgkmcnt(0)
	v_mul_f64 v[118:119], v[112:113], v[114:115]
	v_mul_f64 v[114:115], v[110:111], v[114:115]
	s_waitcnt vmcnt(0)
	v_fma_f64 v[110:111], v[110:111], v[116:117], -v[118:119]
	v_fma_f64 v[112:113], v[112:113], v[116:117], v[114:115]
	v_add_f64 v[3:4], v[3:4], v[110:111]
	v_add_f64 v[1:2], v[1:2], v[112:113]
	s_andn2_b32 exec_lo, exec_lo, s5
	s_cbranch_execnz .LBB112_33
; %bb.34:
	s_or_b32 exec_lo, exec_lo, s5
	v_mov_b32_e32 v7, 0
	ds_read_b128 v[110:113], v7 offset:80
	s_waitcnt lgkmcnt(0)
	v_mul_f64 v[7:8], v[1:2], v[112:113]
	v_mul_f64 v[107:108], v[3:4], v[112:113]
	v_fma_f64 v[3:4], v[3:4], v[110:111], -v[7:8]
	v_fma_f64 v[1:2], v[1:2], v[110:111], v[107:108]
	buffer_store_dword v4, off, s[0:3], 0 offset:100
	buffer_store_dword v3, off, s[0:3], 0 offset:96
	;; [unrolled: 1-line block ×4, first 2 shown]
.LBB112_35:
	s_or_b32 exec_lo, exec_lo, s4
	v_mov_b32_e32 v4, s55
	s_waitcnt_vscnt null, 0x0
	s_barrier
	buffer_gl0_inv
	s_mov_b32 s4, exec_lo
	s_clause 0x3
	buffer_load_dword v1, v4, s[0:3], 0 offen
	buffer_load_dword v2, v4, s[0:3], 0 offen offset:4
	buffer_load_dword v3, v4, s[0:3], 0 offen offset:8
	;; [unrolled: 1-line block ×3, first 2 shown]
	s_waitcnt vmcnt(0)
	ds_write_b128 v5, v[1:4]
	s_waitcnt lgkmcnt(0)
	s_barrier
	buffer_gl0_inv
	v_cmpx_gt_u32_e32 6, v0
	s_cbranch_execz .LBB112_39
; %bb.36:
	v_mov_b32_e32 v1, 0
	v_mov_b32_e32 v3, 0
	v_add_nc_u32_e32 v7, -1, v0
	v_add_nc_u32_e32 v8, 0x310, v109
	v_mov_b32_e32 v2, 0
	v_mov_b32_e32 v4, 0
	v_add_nc_u32_e32 v107, 16, v109
	s_mov_b32 s5, 0
	.p2align	6
.LBB112_37:                             ; =>This Inner Loop Header: Depth=1
	s_clause 0x3
	buffer_load_dword v114, v107, s[0:3], 0 offen offset:8
	buffer_load_dword v115, v107, s[0:3], 0 offen offset:12
	buffer_load_dword v116, v107, s[0:3], 0 offen
	buffer_load_dword v117, v107, s[0:3], 0 offen offset:4
	ds_read_b128 v[110:113], v8
	v_add_nc_u32_e32 v7, 1, v7
	v_add_nc_u32_e32 v8, 16, v8
	;; [unrolled: 1-line block ×3, first 2 shown]
	v_cmp_lt_u32_e32 vcc_lo, 4, v7
	s_or_b32 s5, vcc_lo, s5
	s_waitcnt vmcnt(2) lgkmcnt(0)
	v_mul_f64 v[118:119], v[112:113], v[114:115]
	v_mul_f64 v[114:115], v[110:111], v[114:115]
	s_waitcnt vmcnt(0)
	v_fma_f64 v[110:111], v[110:111], v[116:117], -v[118:119]
	v_fma_f64 v[112:113], v[112:113], v[116:117], v[114:115]
	v_add_f64 v[3:4], v[3:4], v[110:111]
	v_add_f64 v[1:2], v[1:2], v[112:113]
	s_andn2_b32 exec_lo, exec_lo, s5
	s_cbranch_execnz .LBB112_37
; %bb.38:
	s_or_b32 exec_lo, exec_lo, s5
	v_mov_b32_e32 v7, 0
	ds_read_b128 v[110:113], v7 offset:96
	s_waitcnt lgkmcnt(0)
	v_mul_f64 v[7:8], v[1:2], v[112:113]
	v_mul_f64 v[107:108], v[3:4], v[112:113]
	v_fma_f64 v[3:4], v[3:4], v[110:111], -v[7:8]
	v_fma_f64 v[1:2], v[1:2], v[110:111], v[107:108]
	buffer_store_dword v4, off, s[0:3], 0 offset:116
	buffer_store_dword v3, off, s[0:3], 0 offset:112
	;; [unrolled: 1-line block ×4, first 2 shown]
.LBB112_39:
	s_or_b32 exec_lo, exec_lo, s4
	v_mov_b32_e32 v4, s54
	s_waitcnt_vscnt null, 0x0
	s_barrier
	buffer_gl0_inv
	s_mov_b32 s4, exec_lo
	s_clause 0x3
	buffer_load_dword v1, v4, s[0:3], 0 offen
	buffer_load_dword v2, v4, s[0:3], 0 offen offset:4
	buffer_load_dword v3, v4, s[0:3], 0 offen offset:8
	;; [unrolled: 1-line block ×3, first 2 shown]
	s_waitcnt vmcnt(0)
	ds_write_b128 v5, v[1:4]
	s_waitcnt lgkmcnt(0)
	s_barrier
	buffer_gl0_inv
	v_cmpx_gt_u32_e32 7, v0
	s_cbranch_execz .LBB112_43
; %bb.40:
	v_mov_b32_e32 v1, 0
	v_mov_b32_e32 v3, 0
	v_add_nc_u32_e32 v7, -1, v0
	v_add_nc_u32_e32 v8, 0x310, v109
	v_mov_b32_e32 v2, 0
	v_mov_b32_e32 v4, 0
	v_add_nc_u32_e32 v107, 16, v109
	s_mov_b32 s5, 0
	.p2align	6
.LBB112_41:                             ; =>This Inner Loop Header: Depth=1
	s_clause 0x3
	buffer_load_dword v114, v107, s[0:3], 0 offen offset:8
	buffer_load_dword v115, v107, s[0:3], 0 offen offset:12
	buffer_load_dword v116, v107, s[0:3], 0 offen
	buffer_load_dword v117, v107, s[0:3], 0 offen offset:4
	ds_read_b128 v[110:113], v8
	v_add_nc_u32_e32 v7, 1, v7
	v_add_nc_u32_e32 v8, 16, v8
	;; [unrolled: 1-line block ×3, first 2 shown]
	v_cmp_lt_u32_e32 vcc_lo, 5, v7
	s_or_b32 s5, vcc_lo, s5
	s_waitcnt vmcnt(2) lgkmcnt(0)
	v_mul_f64 v[118:119], v[112:113], v[114:115]
	v_mul_f64 v[114:115], v[110:111], v[114:115]
	s_waitcnt vmcnt(0)
	v_fma_f64 v[110:111], v[110:111], v[116:117], -v[118:119]
	v_fma_f64 v[112:113], v[112:113], v[116:117], v[114:115]
	v_add_f64 v[3:4], v[3:4], v[110:111]
	v_add_f64 v[1:2], v[1:2], v[112:113]
	s_andn2_b32 exec_lo, exec_lo, s5
	s_cbranch_execnz .LBB112_41
; %bb.42:
	s_or_b32 exec_lo, exec_lo, s5
	v_mov_b32_e32 v7, 0
	ds_read_b128 v[110:113], v7 offset:112
	s_waitcnt lgkmcnt(0)
	v_mul_f64 v[7:8], v[1:2], v[112:113]
	v_mul_f64 v[107:108], v[3:4], v[112:113]
	v_fma_f64 v[3:4], v[3:4], v[110:111], -v[7:8]
	v_fma_f64 v[1:2], v[1:2], v[110:111], v[107:108]
	buffer_store_dword v4, off, s[0:3], 0 offset:132
	buffer_store_dword v3, off, s[0:3], 0 offset:128
	;; [unrolled: 1-line block ×4, first 2 shown]
.LBB112_43:
	s_or_b32 exec_lo, exec_lo, s4
	v_mov_b32_e32 v4, s53
	s_waitcnt_vscnt null, 0x0
	s_barrier
	buffer_gl0_inv
	s_mov_b32 s4, exec_lo
	s_clause 0x3
	buffer_load_dword v1, v4, s[0:3], 0 offen
	buffer_load_dword v2, v4, s[0:3], 0 offen offset:4
	buffer_load_dword v3, v4, s[0:3], 0 offen offset:8
	;; [unrolled: 1-line block ×3, first 2 shown]
	s_waitcnt vmcnt(0)
	ds_write_b128 v5, v[1:4]
	s_waitcnt lgkmcnt(0)
	s_barrier
	buffer_gl0_inv
	v_cmpx_gt_u32_e32 8, v0
	s_cbranch_execz .LBB112_47
; %bb.44:
	v_mov_b32_e32 v1, 0
	v_mov_b32_e32 v3, 0
	v_add_nc_u32_e32 v7, -1, v0
	v_add_nc_u32_e32 v8, 0x310, v109
	v_mov_b32_e32 v2, 0
	v_mov_b32_e32 v4, 0
	v_add_nc_u32_e32 v107, 16, v109
	s_mov_b32 s5, 0
	.p2align	6
.LBB112_45:                             ; =>This Inner Loop Header: Depth=1
	s_clause 0x3
	buffer_load_dword v114, v107, s[0:3], 0 offen offset:8
	buffer_load_dword v115, v107, s[0:3], 0 offen offset:12
	buffer_load_dword v116, v107, s[0:3], 0 offen
	buffer_load_dword v117, v107, s[0:3], 0 offen offset:4
	ds_read_b128 v[110:113], v8
	v_add_nc_u32_e32 v7, 1, v7
	v_add_nc_u32_e32 v8, 16, v8
	;; [unrolled: 1-line block ×3, first 2 shown]
	v_cmp_lt_u32_e32 vcc_lo, 6, v7
	s_or_b32 s5, vcc_lo, s5
	s_waitcnt vmcnt(2) lgkmcnt(0)
	v_mul_f64 v[118:119], v[112:113], v[114:115]
	v_mul_f64 v[114:115], v[110:111], v[114:115]
	s_waitcnt vmcnt(0)
	v_fma_f64 v[110:111], v[110:111], v[116:117], -v[118:119]
	v_fma_f64 v[112:113], v[112:113], v[116:117], v[114:115]
	v_add_f64 v[3:4], v[3:4], v[110:111]
	v_add_f64 v[1:2], v[1:2], v[112:113]
	s_andn2_b32 exec_lo, exec_lo, s5
	s_cbranch_execnz .LBB112_45
; %bb.46:
	s_or_b32 exec_lo, exec_lo, s5
	v_mov_b32_e32 v7, 0
	ds_read_b128 v[110:113], v7 offset:128
	s_waitcnt lgkmcnt(0)
	v_mul_f64 v[7:8], v[1:2], v[112:113]
	v_mul_f64 v[107:108], v[3:4], v[112:113]
	v_fma_f64 v[3:4], v[3:4], v[110:111], -v[7:8]
	v_fma_f64 v[1:2], v[1:2], v[110:111], v[107:108]
	buffer_store_dword v4, off, s[0:3], 0 offset:148
	buffer_store_dword v3, off, s[0:3], 0 offset:144
	;; [unrolled: 1-line block ×4, first 2 shown]
.LBB112_47:
	s_or_b32 exec_lo, exec_lo, s4
	v_mov_b32_e32 v4, s52
	s_waitcnt_vscnt null, 0x0
	s_barrier
	buffer_gl0_inv
	s_mov_b32 s4, exec_lo
	s_clause 0x3
	buffer_load_dword v1, v4, s[0:3], 0 offen
	buffer_load_dword v2, v4, s[0:3], 0 offen offset:4
	buffer_load_dword v3, v4, s[0:3], 0 offen offset:8
	;; [unrolled: 1-line block ×3, first 2 shown]
	s_waitcnt vmcnt(0)
	ds_write_b128 v5, v[1:4]
	s_waitcnt lgkmcnt(0)
	s_barrier
	buffer_gl0_inv
	v_cmpx_gt_u32_e32 9, v0
	s_cbranch_execz .LBB112_51
; %bb.48:
	v_mov_b32_e32 v1, 0
	v_mov_b32_e32 v3, 0
	v_add_nc_u32_e32 v7, -1, v0
	v_add_nc_u32_e32 v8, 0x310, v109
	v_mov_b32_e32 v2, 0
	v_mov_b32_e32 v4, 0
	v_add_nc_u32_e32 v107, 16, v109
	s_mov_b32 s5, 0
	.p2align	6
.LBB112_49:                             ; =>This Inner Loop Header: Depth=1
	s_clause 0x3
	buffer_load_dword v114, v107, s[0:3], 0 offen offset:8
	buffer_load_dword v115, v107, s[0:3], 0 offen offset:12
	buffer_load_dword v116, v107, s[0:3], 0 offen
	buffer_load_dword v117, v107, s[0:3], 0 offen offset:4
	ds_read_b128 v[110:113], v8
	v_add_nc_u32_e32 v7, 1, v7
	v_add_nc_u32_e32 v8, 16, v8
	;; [unrolled: 1-line block ×3, first 2 shown]
	v_cmp_lt_u32_e32 vcc_lo, 7, v7
	s_or_b32 s5, vcc_lo, s5
	s_waitcnt vmcnt(2) lgkmcnt(0)
	v_mul_f64 v[118:119], v[112:113], v[114:115]
	v_mul_f64 v[114:115], v[110:111], v[114:115]
	s_waitcnt vmcnt(0)
	v_fma_f64 v[110:111], v[110:111], v[116:117], -v[118:119]
	v_fma_f64 v[112:113], v[112:113], v[116:117], v[114:115]
	v_add_f64 v[3:4], v[3:4], v[110:111]
	v_add_f64 v[1:2], v[1:2], v[112:113]
	s_andn2_b32 exec_lo, exec_lo, s5
	s_cbranch_execnz .LBB112_49
; %bb.50:
	s_or_b32 exec_lo, exec_lo, s5
	v_mov_b32_e32 v7, 0
	ds_read_b128 v[110:113], v7 offset:144
	s_waitcnt lgkmcnt(0)
	v_mul_f64 v[7:8], v[1:2], v[112:113]
	v_mul_f64 v[107:108], v[3:4], v[112:113]
	v_fma_f64 v[3:4], v[3:4], v[110:111], -v[7:8]
	v_fma_f64 v[1:2], v[1:2], v[110:111], v[107:108]
	buffer_store_dword v4, off, s[0:3], 0 offset:164
	buffer_store_dword v3, off, s[0:3], 0 offset:160
	;; [unrolled: 1-line block ×4, first 2 shown]
.LBB112_51:
	s_or_b32 exec_lo, exec_lo, s4
	v_mov_b32_e32 v4, s51
	s_waitcnt_vscnt null, 0x0
	s_barrier
	buffer_gl0_inv
	s_mov_b32 s4, exec_lo
	s_clause 0x3
	buffer_load_dword v1, v4, s[0:3], 0 offen
	buffer_load_dword v2, v4, s[0:3], 0 offen offset:4
	buffer_load_dword v3, v4, s[0:3], 0 offen offset:8
	;; [unrolled: 1-line block ×3, first 2 shown]
	s_waitcnt vmcnt(0)
	ds_write_b128 v5, v[1:4]
	s_waitcnt lgkmcnt(0)
	s_barrier
	buffer_gl0_inv
	v_cmpx_gt_u32_e32 10, v0
	s_cbranch_execz .LBB112_55
; %bb.52:
	v_mov_b32_e32 v1, 0
	v_mov_b32_e32 v3, 0
	v_add_nc_u32_e32 v7, -1, v0
	v_add_nc_u32_e32 v8, 0x310, v109
	v_mov_b32_e32 v2, 0
	v_mov_b32_e32 v4, 0
	v_add_nc_u32_e32 v107, 16, v109
	s_mov_b32 s5, 0
	.p2align	6
.LBB112_53:                             ; =>This Inner Loop Header: Depth=1
	s_clause 0x3
	buffer_load_dword v114, v107, s[0:3], 0 offen offset:8
	buffer_load_dword v115, v107, s[0:3], 0 offen offset:12
	buffer_load_dword v116, v107, s[0:3], 0 offen
	buffer_load_dword v117, v107, s[0:3], 0 offen offset:4
	ds_read_b128 v[110:113], v8
	v_add_nc_u32_e32 v7, 1, v7
	v_add_nc_u32_e32 v8, 16, v8
	;; [unrolled: 1-line block ×3, first 2 shown]
	v_cmp_lt_u32_e32 vcc_lo, 8, v7
	s_or_b32 s5, vcc_lo, s5
	s_waitcnt vmcnt(2) lgkmcnt(0)
	v_mul_f64 v[118:119], v[112:113], v[114:115]
	v_mul_f64 v[114:115], v[110:111], v[114:115]
	s_waitcnt vmcnt(0)
	v_fma_f64 v[110:111], v[110:111], v[116:117], -v[118:119]
	v_fma_f64 v[112:113], v[112:113], v[116:117], v[114:115]
	v_add_f64 v[3:4], v[3:4], v[110:111]
	v_add_f64 v[1:2], v[1:2], v[112:113]
	s_andn2_b32 exec_lo, exec_lo, s5
	s_cbranch_execnz .LBB112_53
; %bb.54:
	s_or_b32 exec_lo, exec_lo, s5
	v_mov_b32_e32 v7, 0
	ds_read_b128 v[110:113], v7 offset:160
	s_waitcnt lgkmcnt(0)
	v_mul_f64 v[7:8], v[1:2], v[112:113]
	v_mul_f64 v[107:108], v[3:4], v[112:113]
	v_fma_f64 v[3:4], v[3:4], v[110:111], -v[7:8]
	v_fma_f64 v[1:2], v[1:2], v[110:111], v[107:108]
	buffer_store_dword v4, off, s[0:3], 0 offset:180
	buffer_store_dword v3, off, s[0:3], 0 offset:176
	buffer_store_dword v2, off, s[0:3], 0 offset:188
	buffer_store_dword v1, off, s[0:3], 0 offset:184
.LBB112_55:
	s_or_b32 exec_lo, exec_lo, s4
	v_mov_b32_e32 v4, s50
	s_waitcnt_vscnt null, 0x0
	s_barrier
	buffer_gl0_inv
	s_mov_b32 s4, exec_lo
	s_clause 0x3
	buffer_load_dword v1, v4, s[0:3], 0 offen
	buffer_load_dword v2, v4, s[0:3], 0 offen offset:4
	buffer_load_dword v3, v4, s[0:3], 0 offen offset:8
	;; [unrolled: 1-line block ×3, first 2 shown]
	s_waitcnt vmcnt(0)
	ds_write_b128 v5, v[1:4]
	s_waitcnt lgkmcnt(0)
	s_barrier
	buffer_gl0_inv
	v_cmpx_gt_u32_e32 11, v0
	s_cbranch_execz .LBB112_59
; %bb.56:
	v_mov_b32_e32 v1, 0
	v_mov_b32_e32 v3, 0
	v_add_nc_u32_e32 v7, -1, v0
	v_add_nc_u32_e32 v8, 0x310, v109
	v_mov_b32_e32 v2, 0
	v_mov_b32_e32 v4, 0
	v_add_nc_u32_e32 v107, 16, v109
	s_mov_b32 s5, 0
	.p2align	6
.LBB112_57:                             ; =>This Inner Loop Header: Depth=1
	s_clause 0x3
	buffer_load_dword v114, v107, s[0:3], 0 offen offset:8
	buffer_load_dword v115, v107, s[0:3], 0 offen offset:12
	buffer_load_dword v116, v107, s[0:3], 0 offen
	buffer_load_dword v117, v107, s[0:3], 0 offen offset:4
	ds_read_b128 v[110:113], v8
	v_add_nc_u32_e32 v7, 1, v7
	v_add_nc_u32_e32 v8, 16, v8
	;; [unrolled: 1-line block ×3, first 2 shown]
	v_cmp_lt_u32_e32 vcc_lo, 9, v7
	s_or_b32 s5, vcc_lo, s5
	s_waitcnt vmcnt(2) lgkmcnt(0)
	v_mul_f64 v[118:119], v[112:113], v[114:115]
	v_mul_f64 v[114:115], v[110:111], v[114:115]
	s_waitcnt vmcnt(0)
	v_fma_f64 v[110:111], v[110:111], v[116:117], -v[118:119]
	v_fma_f64 v[112:113], v[112:113], v[116:117], v[114:115]
	v_add_f64 v[3:4], v[3:4], v[110:111]
	v_add_f64 v[1:2], v[1:2], v[112:113]
	s_andn2_b32 exec_lo, exec_lo, s5
	s_cbranch_execnz .LBB112_57
; %bb.58:
	s_or_b32 exec_lo, exec_lo, s5
	v_mov_b32_e32 v7, 0
	ds_read_b128 v[110:113], v7 offset:176
	s_waitcnt lgkmcnt(0)
	v_mul_f64 v[7:8], v[1:2], v[112:113]
	v_mul_f64 v[107:108], v[3:4], v[112:113]
	v_fma_f64 v[3:4], v[3:4], v[110:111], -v[7:8]
	v_fma_f64 v[1:2], v[1:2], v[110:111], v[107:108]
	buffer_store_dword v4, off, s[0:3], 0 offset:196
	buffer_store_dword v3, off, s[0:3], 0 offset:192
	;; [unrolled: 1-line block ×4, first 2 shown]
.LBB112_59:
	s_or_b32 exec_lo, exec_lo, s4
	v_mov_b32_e32 v4, s49
	s_waitcnt_vscnt null, 0x0
	s_barrier
	buffer_gl0_inv
	s_mov_b32 s4, exec_lo
	s_clause 0x3
	buffer_load_dword v1, v4, s[0:3], 0 offen
	buffer_load_dword v2, v4, s[0:3], 0 offen offset:4
	buffer_load_dword v3, v4, s[0:3], 0 offen offset:8
	;; [unrolled: 1-line block ×3, first 2 shown]
	s_waitcnt vmcnt(0)
	ds_write_b128 v5, v[1:4]
	s_waitcnt lgkmcnt(0)
	s_barrier
	buffer_gl0_inv
	v_cmpx_gt_u32_e32 12, v0
	s_cbranch_execz .LBB112_63
; %bb.60:
	v_mov_b32_e32 v1, 0
	v_mov_b32_e32 v3, 0
	v_add_nc_u32_e32 v7, -1, v0
	v_add_nc_u32_e32 v8, 0x310, v109
	v_mov_b32_e32 v2, 0
	v_mov_b32_e32 v4, 0
	v_add_nc_u32_e32 v107, 16, v109
	s_mov_b32 s5, 0
	.p2align	6
.LBB112_61:                             ; =>This Inner Loop Header: Depth=1
	s_clause 0x3
	buffer_load_dword v114, v107, s[0:3], 0 offen offset:8
	buffer_load_dword v115, v107, s[0:3], 0 offen offset:12
	buffer_load_dword v116, v107, s[0:3], 0 offen
	buffer_load_dword v117, v107, s[0:3], 0 offen offset:4
	ds_read_b128 v[110:113], v8
	v_add_nc_u32_e32 v7, 1, v7
	v_add_nc_u32_e32 v8, 16, v8
	;; [unrolled: 1-line block ×3, first 2 shown]
	v_cmp_lt_u32_e32 vcc_lo, 10, v7
	s_or_b32 s5, vcc_lo, s5
	s_waitcnt vmcnt(2) lgkmcnt(0)
	v_mul_f64 v[118:119], v[112:113], v[114:115]
	v_mul_f64 v[114:115], v[110:111], v[114:115]
	s_waitcnt vmcnt(0)
	v_fma_f64 v[110:111], v[110:111], v[116:117], -v[118:119]
	v_fma_f64 v[112:113], v[112:113], v[116:117], v[114:115]
	v_add_f64 v[3:4], v[3:4], v[110:111]
	v_add_f64 v[1:2], v[1:2], v[112:113]
	s_andn2_b32 exec_lo, exec_lo, s5
	s_cbranch_execnz .LBB112_61
; %bb.62:
	s_or_b32 exec_lo, exec_lo, s5
	v_mov_b32_e32 v7, 0
	ds_read_b128 v[110:113], v7 offset:192
	s_waitcnt lgkmcnt(0)
	v_mul_f64 v[7:8], v[1:2], v[112:113]
	v_mul_f64 v[107:108], v[3:4], v[112:113]
	v_fma_f64 v[3:4], v[3:4], v[110:111], -v[7:8]
	v_fma_f64 v[1:2], v[1:2], v[110:111], v[107:108]
	buffer_store_dword v4, off, s[0:3], 0 offset:212
	buffer_store_dword v3, off, s[0:3], 0 offset:208
	;; [unrolled: 1-line block ×4, first 2 shown]
.LBB112_63:
	s_or_b32 exec_lo, exec_lo, s4
	v_mov_b32_e32 v4, s48
	s_waitcnt_vscnt null, 0x0
	s_barrier
	buffer_gl0_inv
	s_mov_b32 s4, exec_lo
	s_clause 0x3
	buffer_load_dword v1, v4, s[0:3], 0 offen
	buffer_load_dword v2, v4, s[0:3], 0 offen offset:4
	buffer_load_dword v3, v4, s[0:3], 0 offen offset:8
	;; [unrolled: 1-line block ×3, first 2 shown]
	s_waitcnt vmcnt(0)
	ds_write_b128 v5, v[1:4]
	s_waitcnt lgkmcnt(0)
	s_barrier
	buffer_gl0_inv
	v_cmpx_gt_u32_e32 13, v0
	s_cbranch_execz .LBB112_67
; %bb.64:
	v_mov_b32_e32 v1, 0
	v_mov_b32_e32 v3, 0
	v_add_nc_u32_e32 v7, -1, v0
	v_add_nc_u32_e32 v8, 0x310, v109
	v_mov_b32_e32 v2, 0
	v_mov_b32_e32 v4, 0
	v_add_nc_u32_e32 v107, 16, v109
	s_mov_b32 s5, 0
	.p2align	6
.LBB112_65:                             ; =>This Inner Loop Header: Depth=1
	s_clause 0x3
	buffer_load_dword v114, v107, s[0:3], 0 offen offset:8
	buffer_load_dword v115, v107, s[0:3], 0 offen offset:12
	buffer_load_dword v116, v107, s[0:3], 0 offen
	buffer_load_dword v117, v107, s[0:3], 0 offen offset:4
	ds_read_b128 v[110:113], v8
	v_add_nc_u32_e32 v7, 1, v7
	v_add_nc_u32_e32 v8, 16, v8
	;; [unrolled: 1-line block ×3, first 2 shown]
	v_cmp_lt_u32_e32 vcc_lo, 11, v7
	s_or_b32 s5, vcc_lo, s5
	s_waitcnt vmcnt(2) lgkmcnt(0)
	v_mul_f64 v[118:119], v[112:113], v[114:115]
	v_mul_f64 v[114:115], v[110:111], v[114:115]
	s_waitcnt vmcnt(0)
	v_fma_f64 v[110:111], v[110:111], v[116:117], -v[118:119]
	v_fma_f64 v[112:113], v[112:113], v[116:117], v[114:115]
	v_add_f64 v[3:4], v[3:4], v[110:111]
	v_add_f64 v[1:2], v[1:2], v[112:113]
	s_andn2_b32 exec_lo, exec_lo, s5
	s_cbranch_execnz .LBB112_65
; %bb.66:
	s_or_b32 exec_lo, exec_lo, s5
	v_mov_b32_e32 v7, 0
	ds_read_b128 v[110:113], v7 offset:208
	s_waitcnt lgkmcnt(0)
	v_mul_f64 v[7:8], v[1:2], v[112:113]
	v_mul_f64 v[107:108], v[3:4], v[112:113]
	v_fma_f64 v[3:4], v[3:4], v[110:111], -v[7:8]
	v_fma_f64 v[1:2], v[1:2], v[110:111], v[107:108]
	buffer_store_dword v4, off, s[0:3], 0 offset:228
	buffer_store_dword v3, off, s[0:3], 0 offset:224
	buffer_store_dword v2, off, s[0:3], 0 offset:236
	buffer_store_dword v1, off, s[0:3], 0 offset:232
.LBB112_67:
	s_or_b32 exec_lo, exec_lo, s4
	v_mov_b32_e32 v4, s47
	s_waitcnt_vscnt null, 0x0
	s_barrier
	buffer_gl0_inv
	s_mov_b32 s4, exec_lo
	s_clause 0x3
	buffer_load_dword v1, v4, s[0:3], 0 offen
	buffer_load_dword v2, v4, s[0:3], 0 offen offset:4
	buffer_load_dword v3, v4, s[0:3], 0 offen offset:8
	;; [unrolled: 1-line block ×3, first 2 shown]
	s_waitcnt vmcnt(0)
	ds_write_b128 v5, v[1:4]
	s_waitcnt lgkmcnt(0)
	s_barrier
	buffer_gl0_inv
	v_cmpx_gt_u32_e32 14, v0
	s_cbranch_execz .LBB112_71
; %bb.68:
	v_mov_b32_e32 v1, 0
	v_mov_b32_e32 v3, 0
	v_add_nc_u32_e32 v7, -1, v0
	v_add_nc_u32_e32 v8, 0x310, v109
	v_mov_b32_e32 v2, 0
	v_mov_b32_e32 v4, 0
	v_add_nc_u32_e32 v107, 16, v109
	s_mov_b32 s5, 0
	.p2align	6
.LBB112_69:                             ; =>This Inner Loop Header: Depth=1
	s_clause 0x3
	buffer_load_dword v114, v107, s[0:3], 0 offen offset:8
	buffer_load_dword v115, v107, s[0:3], 0 offen offset:12
	buffer_load_dword v116, v107, s[0:3], 0 offen
	buffer_load_dword v117, v107, s[0:3], 0 offen offset:4
	ds_read_b128 v[110:113], v8
	v_add_nc_u32_e32 v7, 1, v7
	v_add_nc_u32_e32 v8, 16, v8
	;; [unrolled: 1-line block ×3, first 2 shown]
	v_cmp_lt_u32_e32 vcc_lo, 12, v7
	s_or_b32 s5, vcc_lo, s5
	s_waitcnt vmcnt(2) lgkmcnt(0)
	v_mul_f64 v[118:119], v[112:113], v[114:115]
	v_mul_f64 v[114:115], v[110:111], v[114:115]
	s_waitcnt vmcnt(0)
	v_fma_f64 v[110:111], v[110:111], v[116:117], -v[118:119]
	v_fma_f64 v[112:113], v[112:113], v[116:117], v[114:115]
	v_add_f64 v[3:4], v[3:4], v[110:111]
	v_add_f64 v[1:2], v[1:2], v[112:113]
	s_andn2_b32 exec_lo, exec_lo, s5
	s_cbranch_execnz .LBB112_69
; %bb.70:
	s_or_b32 exec_lo, exec_lo, s5
	v_mov_b32_e32 v7, 0
	ds_read_b128 v[110:113], v7 offset:224
	s_waitcnt lgkmcnt(0)
	v_mul_f64 v[7:8], v[1:2], v[112:113]
	v_mul_f64 v[107:108], v[3:4], v[112:113]
	v_fma_f64 v[3:4], v[3:4], v[110:111], -v[7:8]
	v_fma_f64 v[1:2], v[1:2], v[110:111], v[107:108]
	buffer_store_dword v4, off, s[0:3], 0 offset:244
	buffer_store_dword v3, off, s[0:3], 0 offset:240
	;; [unrolled: 1-line block ×4, first 2 shown]
.LBB112_71:
	s_or_b32 exec_lo, exec_lo, s4
	v_mov_b32_e32 v4, s46
	s_waitcnt_vscnt null, 0x0
	s_barrier
	buffer_gl0_inv
	s_mov_b32 s4, exec_lo
	s_clause 0x3
	buffer_load_dword v1, v4, s[0:3], 0 offen
	buffer_load_dword v2, v4, s[0:3], 0 offen offset:4
	buffer_load_dword v3, v4, s[0:3], 0 offen offset:8
	;; [unrolled: 1-line block ×3, first 2 shown]
	s_waitcnt vmcnt(0)
	ds_write_b128 v5, v[1:4]
	s_waitcnt lgkmcnt(0)
	s_barrier
	buffer_gl0_inv
	v_cmpx_gt_u32_e32 15, v0
	s_cbranch_execz .LBB112_75
; %bb.72:
	v_mov_b32_e32 v1, 0
	v_mov_b32_e32 v3, 0
	v_add_nc_u32_e32 v7, -1, v0
	v_add_nc_u32_e32 v8, 0x310, v109
	v_mov_b32_e32 v2, 0
	v_mov_b32_e32 v4, 0
	v_add_nc_u32_e32 v107, 16, v109
	s_mov_b32 s5, 0
	.p2align	6
.LBB112_73:                             ; =>This Inner Loop Header: Depth=1
	s_clause 0x3
	buffer_load_dword v114, v107, s[0:3], 0 offen offset:8
	buffer_load_dword v115, v107, s[0:3], 0 offen offset:12
	buffer_load_dword v116, v107, s[0:3], 0 offen
	buffer_load_dword v117, v107, s[0:3], 0 offen offset:4
	ds_read_b128 v[110:113], v8
	v_add_nc_u32_e32 v7, 1, v7
	v_add_nc_u32_e32 v8, 16, v8
	;; [unrolled: 1-line block ×3, first 2 shown]
	v_cmp_lt_u32_e32 vcc_lo, 13, v7
	s_or_b32 s5, vcc_lo, s5
	s_waitcnt vmcnt(2) lgkmcnt(0)
	v_mul_f64 v[118:119], v[112:113], v[114:115]
	v_mul_f64 v[114:115], v[110:111], v[114:115]
	s_waitcnt vmcnt(0)
	v_fma_f64 v[110:111], v[110:111], v[116:117], -v[118:119]
	v_fma_f64 v[112:113], v[112:113], v[116:117], v[114:115]
	v_add_f64 v[3:4], v[3:4], v[110:111]
	v_add_f64 v[1:2], v[1:2], v[112:113]
	s_andn2_b32 exec_lo, exec_lo, s5
	s_cbranch_execnz .LBB112_73
; %bb.74:
	s_or_b32 exec_lo, exec_lo, s5
	v_mov_b32_e32 v7, 0
	ds_read_b128 v[110:113], v7 offset:240
	s_waitcnt lgkmcnt(0)
	v_mul_f64 v[7:8], v[1:2], v[112:113]
	v_mul_f64 v[107:108], v[3:4], v[112:113]
	v_fma_f64 v[3:4], v[3:4], v[110:111], -v[7:8]
	v_fma_f64 v[1:2], v[1:2], v[110:111], v[107:108]
	buffer_store_dword v4, off, s[0:3], 0 offset:260
	buffer_store_dword v3, off, s[0:3], 0 offset:256
	buffer_store_dword v2, off, s[0:3], 0 offset:268
	buffer_store_dword v1, off, s[0:3], 0 offset:264
.LBB112_75:
	s_or_b32 exec_lo, exec_lo, s4
	v_mov_b32_e32 v4, s45
	s_waitcnt_vscnt null, 0x0
	s_barrier
	buffer_gl0_inv
	s_mov_b32 s4, exec_lo
	s_clause 0x3
	buffer_load_dword v1, v4, s[0:3], 0 offen
	buffer_load_dword v2, v4, s[0:3], 0 offen offset:4
	buffer_load_dword v3, v4, s[0:3], 0 offen offset:8
	;; [unrolled: 1-line block ×3, first 2 shown]
	s_waitcnt vmcnt(0)
	ds_write_b128 v5, v[1:4]
	s_waitcnt lgkmcnt(0)
	s_barrier
	buffer_gl0_inv
	v_cmpx_gt_u32_e32 16, v0
	s_cbranch_execz .LBB112_79
; %bb.76:
	v_mov_b32_e32 v1, 0
	v_mov_b32_e32 v3, 0
	v_add_nc_u32_e32 v7, -1, v0
	v_add_nc_u32_e32 v8, 0x310, v109
	v_mov_b32_e32 v2, 0
	v_mov_b32_e32 v4, 0
	v_add_nc_u32_e32 v107, 16, v109
	s_mov_b32 s5, 0
	.p2align	6
.LBB112_77:                             ; =>This Inner Loop Header: Depth=1
	s_clause 0x3
	buffer_load_dword v114, v107, s[0:3], 0 offen offset:8
	buffer_load_dword v115, v107, s[0:3], 0 offen offset:12
	buffer_load_dword v116, v107, s[0:3], 0 offen
	buffer_load_dword v117, v107, s[0:3], 0 offen offset:4
	ds_read_b128 v[110:113], v8
	v_add_nc_u32_e32 v7, 1, v7
	v_add_nc_u32_e32 v8, 16, v8
	;; [unrolled: 1-line block ×3, first 2 shown]
	v_cmp_lt_u32_e32 vcc_lo, 14, v7
	s_or_b32 s5, vcc_lo, s5
	s_waitcnt vmcnt(2) lgkmcnt(0)
	v_mul_f64 v[118:119], v[112:113], v[114:115]
	v_mul_f64 v[114:115], v[110:111], v[114:115]
	s_waitcnt vmcnt(0)
	v_fma_f64 v[110:111], v[110:111], v[116:117], -v[118:119]
	v_fma_f64 v[112:113], v[112:113], v[116:117], v[114:115]
	v_add_f64 v[3:4], v[3:4], v[110:111]
	v_add_f64 v[1:2], v[1:2], v[112:113]
	s_andn2_b32 exec_lo, exec_lo, s5
	s_cbranch_execnz .LBB112_77
; %bb.78:
	s_or_b32 exec_lo, exec_lo, s5
	v_mov_b32_e32 v7, 0
	ds_read_b128 v[110:113], v7 offset:256
	s_waitcnt lgkmcnt(0)
	v_mul_f64 v[7:8], v[1:2], v[112:113]
	v_mul_f64 v[107:108], v[3:4], v[112:113]
	v_fma_f64 v[3:4], v[3:4], v[110:111], -v[7:8]
	v_fma_f64 v[1:2], v[1:2], v[110:111], v[107:108]
	buffer_store_dword v4, off, s[0:3], 0 offset:276
	buffer_store_dword v3, off, s[0:3], 0 offset:272
	;; [unrolled: 1-line block ×4, first 2 shown]
.LBB112_79:
	s_or_b32 exec_lo, exec_lo, s4
	v_mov_b32_e32 v4, s44
	s_waitcnt_vscnt null, 0x0
	s_barrier
	buffer_gl0_inv
	s_mov_b32 s4, exec_lo
	s_clause 0x3
	buffer_load_dword v1, v4, s[0:3], 0 offen
	buffer_load_dword v2, v4, s[0:3], 0 offen offset:4
	buffer_load_dword v3, v4, s[0:3], 0 offen offset:8
	;; [unrolled: 1-line block ×3, first 2 shown]
	s_waitcnt vmcnt(0)
	ds_write_b128 v5, v[1:4]
	s_waitcnt lgkmcnt(0)
	s_barrier
	buffer_gl0_inv
	v_cmpx_gt_u32_e32 17, v0
	s_cbranch_execz .LBB112_83
; %bb.80:
	v_mov_b32_e32 v1, 0
	v_mov_b32_e32 v3, 0
	v_add_nc_u32_e32 v7, -1, v0
	v_add_nc_u32_e32 v8, 0x310, v109
	v_mov_b32_e32 v2, 0
	v_mov_b32_e32 v4, 0
	v_add_nc_u32_e32 v107, 16, v109
	s_mov_b32 s5, 0
	.p2align	6
.LBB112_81:                             ; =>This Inner Loop Header: Depth=1
	s_clause 0x3
	buffer_load_dword v114, v107, s[0:3], 0 offen offset:8
	buffer_load_dword v115, v107, s[0:3], 0 offen offset:12
	buffer_load_dword v116, v107, s[0:3], 0 offen
	buffer_load_dword v117, v107, s[0:3], 0 offen offset:4
	ds_read_b128 v[110:113], v8
	v_add_nc_u32_e32 v7, 1, v7
	v_add_nc_u32_e32 v8, 16, v8
	;; [unrolled: 1-line block ×3, first 2 shown]
	v_cmp_lt_u32_e32 vcc_lo, 15, v7
	s_or_b32 s5, vcc_lo, s5
	s_waitcnt vmcnt(2) lgkmcnt(0)
	v_mul_f64 v[118:119], v[112:113], v[114:115]
	v_mul_f64 v[114:115], v[110:111], v[114:115]
	s_waitcnt vmcnt(0)
	v_fma_f64 v[110:111], v[110:111], v[116:117], -v[118:119]
	v_fma_f64 v[112:113], v[112:113], v[116:117], v[114:115]
	v_add_f64 v[3:4], v[3:4], v[110:111]
	v_add_f64 v[1:2], v[1:2], v[112:113]
	s_andn2_b32 exec_lo, exec_lo, s5
	s_cbranch_execnz .LBB112_81
; %bb.82:
	s_or_b32 exec_lo, exec_lo, s5
	v_mov_b32_e32 v7, 0
	ds_read_b128 v[110:113], v7 offset:272
	s_waitcnt lgkmcnt(0)
	v_mul_f64 v[7:8], v[1:2], v[112:113]
	v_mul_f64 v[107:108], v[3:4], v[112:113]
	v_fma_f64 v[3:4], v[3:4], v[110:111], -v[7:8]
	v_fma_f64 v[1:2], v[1:2], v[110:111], v[107:108]
	buffer_store_dword v4, off, s[0:3], 0 offset:292
	buffer_store_dword v3, off, s[0:3], 0 offset:288
	;; [unrolled: 1-line block ×4, first 2 shown]
.LBB112_83:
	s_or_b32 exec_lo, exec_lo, s4
	v_mov_b32_e32 v4, s43
	s_waitcnt_vscnt null, 0x0
	s_barrier
	buffer_gl0_inv
	s_mov_b32 s4, exec_lo
	s_clause 0x3
	buffer_load_dword v1, v4, s[0:3], 0 offen
	buffer_load_dword v2, v4, s[0:3], 0 offen offset:4
	buffer_load_dword v3, v4, s[0:3], 0 offen offset:8
	buffer_load_dword v4, v4, s[0:3], 0 offen offset:12
	s_waitcnt vmcnt(0)
	ds_write_b128 v5, v[1:4]
	s_waitcnt lgkmcnt(0)
	s_barrier
	buffer_gl0_inv
	v_cmpx_gt_u32_e32 18, v0
	s_cbranch_execz .LBB112_87
; %bb.84:
	v_mov_b32_e32 v1, 0
	v_mov_b32_e32 v3, 0
	v_add_nc_u32_e32 v7, -1, v0
	v_add_nc_u32_e32 v8, 0x310, v109
	v_mov_b32_e32 v2, 0
	v_mov_b32_e32 v4, 0
	v_add_nc_u32_e32 v107, 16, v109
	s_mov_b32 s5, 0
	.p2align	6
.LBB112_85:                             ; =>This Inner Loop Header: Depth=1
	s_clause 0x3
	buffer_load_dword v114, v107, s[0:3], 0 offen offset:8
	buffer_load_dword v115, v107, s[0:3], 0 offen offset:12
	buffer_load_dword v116, v107, s[0:3], 0 offen
	buffer_load_dword v117, v107, s[0:3], 0 offen offset:4
	ds_read_b128 v[110:113], v8
	v_add_nc_u32_e32 v7, 1, v7
	v_add_nc_u32_e32 v8, 16, v8
	;; [unrolled: 1-line block ×3, first 2 shown]
	v_cmp_lt_u32_e32 vcc_lo, 16, v7
	s_or_b32 s5, vcc_lo, s5
	s_waitcnt vmcnt(2) lgkmcnt(0)
	v_mul_f64 v[118:119], v[112:113], v[114:115]
	v_mul_f64 v[114:115], v[110:111], v[114:115]
	s_waitcnt vmcnt(0)
	v_fma_f64 v[110:111], v[110:111], v[116:117], -v[118:119]
	v_fma_f64 v[112:113], v[112:113], v[116:117], v[114:115]
	v_add_f64 v[3:4], v[3:4], v[110:111]
	v_add_f64 v[1:2], v[1:2], v[112:113]
	s_andn2_b32 exec_lo, exec_lo, s5
	s_cbranch_execnz .LBB112_85
; %bb.86:
	s_or_b32 exec_lo, exec_lo, s5
	v_mov_b32_e32 v7, 0
	ds_read_b128 v[110:113], v7 offset:288
	s_waitcnt lgkmcnt(0)
	v_mul_f64 v[7:8], v[1:2], v[112:113]
	v_mul_f64 v[107:108], v[3:4], v[112:113]
	v_fma_f64 v[3:4], v[3:4], v[110:111], -v[7:8]
	v_fma_f64 v[1:2], v[1:2], v[110:111], v[107:108]
	buffer_store_dword v4, off, s[0:3], 0 offset:308
	buffer_store_dword v3, off, s[0:3], 0 offset:304
	;; [unrolled: 1-line block ×4, first 2 shown]
.LBB112_87:
	s_or_b32 exec_lo, exec_lo, s4
	v_mov_b32_e32 v4, s42
	s_waitcnt_vscnt null, 0x0
	s_barrier
	buffer_gl0_inv
	s_mov_b32 s4, exec_lo
	s_clause 0x3
	buffer_load_dword v1, v4, s[0:3], 0 offen
	buffer_load_dword v2, v4, s[0:3], 0 offen offset:4
	buffer_load_dword v3, v4, s[0:3], 0 offen offset:8
	;; [unrolled: 1-line block ×3, first 2 shown]
	s_waitcnt vmcnt(0)
	ds_write_b128 v5, v[1:4]
	s_waitcnt lgkmcnt(0)
	s_barrier
	buffer_gl0_inv
	v_cmpx_gt_u32_e32 19, v0
	s_cbranch_execz .LBB112_91
; %bb.88:
	v_mov_b32_e32 v1, 0
	v_mov_b32_e32 v3, 0
	v_add_nc_u32_e32 v7, -1, v0
	v_add_nc_u32_e32 v8, 0x310, v109
	v_mov_b32_e32 v2, 0
	v_mov_b32_e32 v4, 0
	v_add_nc_u32_e32 v107, 16, v109
	s_mov_b32 s5, 0
	.p2align	6
.LBB112_89:                             ; =>This Inner Loop Header: Depth=1
	s_clause 0x3
	buffer_load_dword v114, v107, s[0:3], 0 offen offset:8
	buffer_load_dword v115, v107, s[0:3], 0 offen offset:12
	buffer_load_dword v116, v107, s[0:3], 0 offen
	buffer_load_dword v117, v107, s[0:3], 0 offen offset:4
	ds_read_b128 v[110:113], v8
	v_add_nc_u32_e32 v7, 1, v7
	v_add_nc_u32_e32 v8, 16, v8
	;; [unrolled: 1-line block ×3, first 2 shown]
	v_cmp_lt_u32_e32 vcc_lo, 17, v7
	s_or_b32 s5, vcc_lo, s5
	s_waitcnt vmcnt(2) lgkmcnt(0)
	v_mul_f64 v[118:119], v[112:113], v[114:115]
	v_mul_f64 v[114:115], v[110:111], v[114:115]
	s_waitcnt vmcnt(0)
	v_fma_f64 v[110:111], v[110:111], v[116:117], -v[118:119]
	v_fma_f64 v[112:113], v[112:113], v[116:117], v[114:115]
	v_add_f64 v[3:4], v[3:4], v[110:111]
	v_add_f64 v[1:2], v[1:2], v[112:113]
	s_andn2_b32 exec_lo, exec_lo, s5
	s_cbranch_execnz .LBB112_89
; %bb.90:
	s_or_b32 exec_lo, exec_lo, s5
	v_mov_b32_e32 v7, 0
	ds_read_b128 v[110:113], v7 offset:304
	s_waitcnt lgkmcnt(0)
	v_mul_f64 v[7:8], v[1:2], v[112:113]
	v_mul_f64 v[107:108], v[3:4], v[112:113]
	v_fma_f64 v[3:4], v[3:4], v[110:111], -v[7:8]
	v_fma_f64 v[1:2], v[1:2], v[110:111], v[107:108]
	buffer_store_dword v4, off, s[0:3], 0 offset:324
	buffer_store_dword v3, off, s[0:3], 0 offset:320
	;; [unrolled: 1-line block ×4, first 2 shown]
.LBB112_91:
	s_or_b32 exec_lo, exec_lo, s4
	v_mov_b32_e32 v4, s41
	s_waitcnt_vscnt null, 0x0
	s_barrier
	buffer_gl0_inv
	s_mov_b32 s4, exec_lo
	s_clause 0x3
	buffer_load_dword v1, v4, s[0:3], 0 offen
	buffer_load_dword v2, v4, s[0:3], 0 offen offset:4
	buffer_load_dword v3, v4, s[0:3], 0 offen offset:8
	;; [unrolled: 1-line block ×3, first 2 shown]
	s_waitcnt vmcnt(0)
	ds_write_b128 v5, v[1:4]
	s_waitcnt lgkmcnt(0)
	s_barrier
	buffer_gl0_inv
	v_cmpx_gt_u32_e32 20, v0
	s_cbranch_execz .LBB112_95
; %bb.92:
	v_mov_b32_e32 v1, 0
	v_mov_b32_e32 v3, 0
	v_add_nc_u32_e32 v7, -1, v0
	v_add_nc_u32_e32 v8, 0x310, v109
	v_mov_b32_e32 v2, 0
	v_mov_b32_e32 v4, 0
	v_add_nc_u32_e32 v107, 16, v109
	s_mov_b32 s5, 0
	.p2align	6
.LBB112_93:                             ; =>This Inner Loop Header: Depth=1
	s_clause 0x3
	buffer_load_dword v114, v107, s[0:3], 0 offen offset:8
	buffer_load_dword v115, v107, s[0:3], 0 offen offset:12
	buffer_load_dword v116, v107, s[0:3], 0 offen
	buffer_load_dword v117, v107, s[0:3], 0 offen offset:4
	ds_read_b128 v[110:113], v8
	v_add_nc_u32_e32 v7, 1, v7
	v_add_nc_u32_e32 v8, 16, v8
	v_add_nc_u32_e32 v107, 16, v107
	v_cmp_lt_u32_e32 vcc_lo, 18, v7
	s_or_b32 s5, vcc_lo, s5
	s_waitcnt vmcnt(2) lgkmcnt(0)
	v_mul_f64 v[118:119], v[112:113], v[114:115]
	v_mul_f64 v[114:115], v[110:111], v[114:115]
	s_waitcnt vmcnt(0)
	v_fma_f64 v[110:111], v[110:111], v[116:117], -v[118:119]
	v_fma_f64 v[112:113], v[112:113], v[116:117], v[114:115]
	v_add_f64 v[3:4], v[3:4], v[110:111]
	v_add_f64 v[1:2], v[1:2], v[112:113]
	s_andn2_b32 exec_lo, exec_lo, s5
	s_cbranch_execnz .LBB112_93
; %bb.94:
	s_or_b32 exec_lo, exec_lo, s5
	v_mov_b32_e32 v7, 0
	ds_read_b128 v[110:113], v7 offset:320
	s_waitcnt lgkmcnt(0)
	v_mul_f64 v[7:8], v[1:2], v[112:113]
	v_mul_f64 v[107:108], v[3:4], v[112:113]
	v_fma_f64 v[3:4], v[3:4], v[110:111], -v[7:8]
	v_fma_f64 v[1:2], v[1:2], v[110:111], v[107:108]
	buffer_store_dword v4, off, s[0:3], 0 offset:340
	buffer_store_dword v3, off, s[0:3], 0 offset:336
	;; [unrolled: 1-line block ×4, first 2 shown]
.LBB112_95:
	s_or_b32 exec_lo, exec_lo, s4
	v_mov_b32_e32 v4, s40
	s_waitcnt_vscnt null, 0x0
	s_barrier
	buffer_gl0_inv
	s_mov_b32 s4, exec_lo
	s_clause 0x3
	buffer_load_dword v1, v4, s[0:3], 0 offen
	buffer_load_dword v2, v4, s[0:3], 0 offen offset:4
	buffer_load_dword v3, v4, s[0:3], 0 offen offset:8
	buffer_load_dword v4, v4, s[0:3], 0 offen offset:12
	s_waitcnt vmcnt(0)
	ds_write_b128 v5, v[1:4]
	s_waitcnt lgkmcnt(0)
	s_barrier
	buffer_gl0_inv
	v_cmpx_gt_u32_e32 21, v0
	s_cbranch_execz .LBB112_99
; %bb.96:
	v_mov_b32_e32 v1, 0
	v_mov_b32_e32 v3, 0
	v_add_nc_u32_e32 v7, -1, v0
	v_add_nc_u32_e32 v8, 0x310, v109
	v_mov_b32_e32 v2, 0
	v_mov_b32_e32 v4, 0
	v_add_nc_u32_e32 v107, 16, v109
	s_mov_b32 s5, 0
	.p2align	6
.LBB112_97:                             ; =>This Inner Loop Header: Depth=1
	s_clause 0x3
	buffer_load_dword v114, v107, s[0:3], 0 offen offset:8
	buffer_load_dword v115, v107, s[0:3], 0 offen offset:12
	buffer_load_dword v116, v107, s[0:3], 0 offen
	buffer_load_dword v117, v107, s[0:3], 0 offen offset:4
	ds_read_b128 v[110:113], v8
	v_add_nc_u32_e32 v7, 1, v7
	v_add_nc_u32_e32 v8, 16, v8
	;; [unrolled: 1-line block ×3, first 2 shown]
	v_cmp_lt_u32_e32 vcc_lo, 19, v7
	s_or_b32 s5, vcc_lo, s5
	s_waitcnt vmcnt(2) lgkmcnt(0)
	v_mul_f64 v[118:119], v[112:113], v[114:115]
	v_mul_f64 v[114:115], v[110:111], v[114:115]
	s_waitcnt vmcnt(0)
	v_fma_f64 v[110:111], v[110:111], v[116:117], -v[118:119]
	v_fma_f64 v[112:113], v[112:113], v[116:117], v[114:115]
	v_add_f64 v[3:4], v[3:4], v[110:111]
	v_add_f64 v[1:2], v[1:2], v[112:113]
	s_andn2_b32 exec_lo, exec_lo, s5
	s_cbranch_execnz .LBB112_97
; %bb.98:
	s_or_b32 exec_lo, exec_lo, s5
	v_mov_b32_e32 v7, 0
	ds_read_b128 v[110:113], v7 offset:336
	s_waitcnt lgkmcnt(0)
	v_mul_f64 v[7:8], v[1:2], v[112:113]
	v_mul_f64 v[107:108], v[3:4], v[112:113]
	v_fma_f64 v[3:4], v[3:4], v[110:111], -v[7:8]
	v_fma_f64 v[1:2], v[1:2], v[110:111], v[107:108]
	buffer_store_dword v4, off, s[0:3], 0 offset:356
	buffer_store_dword v3, off, s[0:3], 0 offset:352
	;; [unrolled: 1-line block ×4, first 2 shown]
.LBB112_99:
	s_or_b32 exec_lo, exec_lo, s4
	v_mov_b32_e32 v4, s39
	s_waitcnt_vscnt null, 0x0
	s_barrier
	buffer_gl0_inv
	s_mov_b32 s4, exec_lo
	s_clause 0x3
	buffer_load_dword v1, v4, s[0:3], 0 offen
	buffer_load_dword v2, v4, s[0:3], 0 offen offset:4
	buffer_load_dword v3, v4, s[0:3], 0 offen offset:8
	;; [unrolled: 1-line block ×3, first 2 shown]
	s_waitcnt vmcnt(0)
	ds_write_b128 v5, v[1:4]
	s_waitcnt lgkmcnt(0)
	s_barrier
	buffer_gl0_inv
	v_cmpx_gt_u32_e32 22, v0
	s_cbranch_execz .LBB112_103
; %bb.100:
	v_mov_b32_e32 v1, 0
	v_mov_b32_e32 v3, 0
	v_add_nc_u32_e32 v7, -1, v0
	v_add_nc_u32_e32 v8, 0x310, v109
	v_mov_b32_e32 v2, 0
	v_mov_b32_e32 v4, 0
	v_add_nc_u32_e32 v107, 16, v109
	s_mov_b32 s5, 0
	.p2align	6
.LBB112_101:                            ; =>This Inner Loop Header: Depth=1
	s_clause 0x3
	buffer_load_dword v114, v107, s[0:3], 0 offen offset:8
	buffer_load_dword v115, v107, s[0:3], 0 offen offset:12
	buffer_load_dword v116, v107, s[0:3], 0 offen
	buffer_load_dword v117, v107, s[0:3], 0 offen offset:4
	ds_read_b128 v[110:113], v8
	v_add_nc_u32_e32 v7, 1, v7
	v_add_nc_u32_e32 v8, 16, v8
	;; [unrolled: 1-line block ×3, first 2 shown]
	v_cmp_lt_u32_e32 vcc_lo, 20, v7
	s_or_b32 s5, vcc_lo, s5
	s_waitcnt vmcnt(2) lgkmcnt(0)
	v_mul_f64 v[118:119], v[112:113], v[114:115]
	v_mul_f64 v[114:115], v[110:111], v[114:115]
	s_waitcnt vmcnt(0)
	v_fma_f64 v[110:111], v[110:111], v[116:117], -v[118:119]
	v_fma_f64 v[112:113], v[112:113], v[116:117], v[114:115]
	v_add_f64 v[3:4], v[3:4], v[110:111]
	v_add_f64 v[1:2], v[1:2], v[112:113]
	s_andn2_b32 exec_lo, exec_lo, s5
	s_cbranch_execnz .LBB112_101
; %bb.102:
	s_or_b32 exec_lo, exec_lo, s5
	v_mov_b32_e32 v7, 0
	ds_read_b128 v[110:113], v7 offset:352
	s_waitcnt lgkmcnt(0)
	v_mul_f64 v[7:8], v[1:2], v[112:113]
	v_mul_f64 v[107:108], v[3:4], v[112:113]
	v_fma_f64 v[3:4], v[3:4], v[110:111], -v[7:8]
	v_fma_f64 v[1:2], v[1:2], v[110:111], v[107:108]
	buffer_store_dword v4, off, s[0:3], 0 offset:372
	buffer_store_dword v3, off, s[0:3], 0 offset:368
	;; [unrolled: 1-line block ×4, first 2 shown]
.LBB112_103:
	s_or_b32 exec_lo, exec_lo, s4
	v_mov_b32_e32 v4, s38
	s_waitcnt_vscnt null, 0x0
	s_barrier
	buffer_gl0_inv
	s_mov_b32 s4, exec_lo
	s_clause 0x3
	buffer_load_dword v1, v4, s[0:3], 0 offen
	buffer_load_dword v2, v4, s[0:3], 0 offen offset:4
	buffer_load_dword v3, v4, s[0:3], 0 offen offset:8
	;; [unrolled: 1-line block ×3, first 2 shown]
	s_waitcnt vmcnt(0)
	ds_write_b128 v5, v[1:4]
	s_waitcnt lgkmcnt(0)
	s_barrier
	buffer_gl0_inv
	v_cmpx_gt_u32_e32 23, v0
	s_cbranch_execz .LBB112_107
; %bb.104:
	v_mov_b32_e32 v1, 0
	v_mov_b32_e32 v3, 0
	v_add_nc_u32_e32 v7, -1, v0
	v_add_nc_u32_e32 v8, 0x310, v109
	v_mov_b32_e32 v2, 0
	v_mov_b32_e32 v4, 0
	v_add_nc_u32_e32 v107, 16, v109
	s_mov_b32 s5, 0
	.p2align	6
.LBB112_105:                            ; =>This Inner Loop Header: Depth=1
	s_clause 0x3
	buffer_load_dword v114, v107, s[0:3], 0 offen offset:8
	buffer_load_dword v115, v107, s[0:3], 0 offen offset:12
	buffer_load_dword v116, v107, s[0:3], 0 offen
	buffer_load_dword v117, v107, s[0:3], 0 offen offset:4
	ds_read_b128 v[110:113], v8
	v_add_nc_u32_e32 v7, 1, v7
	v_add_nc_u32_e32 v8, 16, v8
	;; [unrolled: 1-line block ×3, first 2 shown]
	v_cmp_lt_u32_e32 vcc_lo, 21, v7
	s_or_b32 s5, vcc_lo, s5
	s_waitcnt vmcnt(2) lgkmcnt(0)
	v_mul_f64 v[118:119], v[112:113], v[114:115]
	v_mul_f64 v[114:115], v[110:111], v[114:115]
	s_waitcnt vmcnt(0)
	v_fma_f64 v[110:111], v[110:111], v[116:117], -v[118:119]
	v_fma_f64 v[112:113], v[112:113], v[116:117], v[114:115]
	v_add_f64 v[3:4], v[3:4], v[110:111]
	v_add_f64 v[1:2], v[1:2], v[112:113]
	s_andn2_b32 exec_lo, exec_lo, s5
	s_cbranch_execnz .LBB112_105
; %bb.106:
	s_or_b32 exec_lo, exec_lo, s5
	v_mov_b32_e32 v7, 0
	ds_read_b128 v[110:113], v7 offset:368
	s_waitcnt lgkmcnt(0)
	v_mul_f64 v[7:8], v[1:2], v[112:113]
	v_mul_f64 v[107:108], v[3:4], v[112:113]
	v_fma_f64 v[3:4], v[3:4], v[110:111], -v[7:8]
	v_fma_f64 v[1:2], v[1:2], v[110:111], v[107:108]
	buffer_store_dword v4, off, s[0:3], 0 offset:388
	buffer_store_dword v3, off, s[0:3], 0 offset:384
	;; [unrolled: 1-line block ×4, first 2 shown]
.LBB112_107:
	s_or_b32 exec_lo, exec_lo, s4
	v_mov_b32_e32 v4, s37
	s_waitcnt_vscnt null, 0x0
	s_barrier
	buffer_gl0_inv
	s_mov_b32 s4, exec_lo
	s_clause 0x3
	buffer_load_dword v1, v4, s[0:3], 0 offen
	buffer_load_dword v2, v4, s[0:3], 0 offen offset:4
	buffer_load_dword v3, v4, s[0:3], 0 offen offset:8
	;; [unrolled: 1-line block ×3, first 2 shown]
	s_waitcnt vmcnt(0)
	ds_write_b128 v5, v[1:4]
	s_waitcnt lgkmcnt(0)
	s_barrier
	buffer_gl0_inv
	v_cmpx_gt_u32_e32 24, v0
	s_cbranch_execz .LBB112_111
; %bb.108:
	v_mov_b32_e32 v1, 0
	v_mov_b32_e32 v3, 0
	v_add_nc_u32_e32 v7, -1, v0
	v_add_nc_u32_e32 v8, 0x310, v109
	v_mov_b32_e32 v2, 0
	v_mov_b32_e32 v4, 0
	v_add_nc_u32_e32 v107, 16, v109
	s_mov_b32 s5, 0
	.p2align	6
.LBB112_109:                            ; =>This Inner Loop Header: Depth=1
	s_clause 0x3
	buffer_load_dword v114, v107, s[0:3], 0 offen offset:8
	buffer_load_dword v115, v107, s[0:3], 0 offen offset:12
	buffer_load_dword v116, v107, s[0:3], 0 offen
	buffer_load_dword v117, v107, s[0:3], 0 offen offset:4
	ds_read_b128 v[110:113], v8
	v_add_nc_u32_e32 v7, 1, v7
	v_add_nc_u32_e32 v8, 16, v8
	;; [unrolled: 1-line block ×3, first 2 shown]
	v_cmp_lt_u32_e32 vcc_lo, 22, v7
	s_or_b32 s5, vcc_lo, s5
	s_waitcnt vmcnt(2) lgkmcnt(0)
	v_mul_f64 v[118:119], v[112:113], v[114:115]
	v_mul_f64 v[114:115], v[110:111], v[114:115]
	s_waitcnt vmcnt(0)
	v_fma_f64 v[110:111], v[110:111], v[116:117], -v[118:119]
	v_fma_f64 v[112:113], v[112:113], v[116:117], v[114:115]
	v_add_f64 v[3:4], v[3:4], v[110:111]
	v_add_f64 v[1:2], v[1:2], v[112:113]
	s_andn2_b32 exec_lo, exec_lo, s5
	s_cbranch_execnz .LBB112_109
; %bb.110:
	s_or_b32 exec_lo, exec_lo, s5
	v_mov_b32_e32 v7, 0
	ds_read_b128 v[110:113], v7 offset:384
	s_waitcnt lgkmcnt(0)
	v_mul_f64 v[7:8], v[1:2], v[112:113]
	v_mul_f64 v[107:108], v[3:4], v[112:113]
	v_fma_f64 v[3:4], v[3:4], v[110:111], -v[7:8]
	v_fma_f64 v[1:2], v[1:2], v[110:111], v[107:108]
	buffer_store_dword v4, off, s[0:3], 0 offset:404
	buffer_store_dword v3, off, s[0:3], 0 offset:400
	;; [unrolled: 1-line block ×4, first 2 shown]
.LBB112_111:
	s_or_b32 exec_lo, exec_lo, s4
	v_mov_b32_e32 v4, s36
	s_waitcnt_vscnt null, 0x0
	s_barrier
	buffer_gl0_inv
	s_mov_b32 s4, exec_lo
	s_clause 0x3
	buffer_load_dword v1, v4, s[0:3], 0 offen
	buffer_load_dword v2, v4, s[0:3], 0 offen offset:4
	buffer_load_dword v3, v4, s[0:3], 0 offen offset:8
	;; [unrolled: 1-line block ×3, first 2 shown]
	s_waitcnt vmcnt(0)
	ds_write_b128 v5, v[1:4]
	s_waitcnt lgkmcnt(0)
	s_barrier
	buffer_gl0_inv
	v_cmpx_gt_u32_e32 25, v0
	s_cbranch_execz .LBB112_115
; %bb.112:
	v_mov_b32_e32 v1, 0
	v_mov_b32_e32 v3, 0
	v_add_nc_u32_e32 v7, -1, v0
	v_add_nc_u32_e32 v8, 0x310, v109
	v_mov_b32_e32 v2, 0
	v_mov_b32_e32 v4, 0
	v_add_nc_u32_e32 v107, 16, v109
	s_mov_b32 s5, 0
	.p2align	6
.LBB112_113:                            ; =>This Inner Loop Header: Depth=1
	s_clause 0x3
	buffer_load_dword v114, v107, s[0:3], 0 offen offset:8
	buffer_load_dword v115, v107, s[0:3], 0 offen offset:12
	buffer_load_dword v116, v107, s[0:3], 0 offen
	buffer_load_dword v117, v107, s[0:3], 0 offen offset:4
	ds_read_b128 v[110:113], v8
	v_add_nc_u32_e32 v7, 1, v7
	v_add_nc_u32_e32 v8, 16, v8
	;; [unrolled: 1-line block ×3, first 2 shown]
	v_cmp_lt_u32_e32 vcc_lo, 23, v7
	s_or_b32 s5, vcc_lo, s5
	s_waitcnt vmcnt(2) lgkmcnt(0)
	v_mul_f64 v[118:119], v[112:113], v[114:115]
	v_mul_f64 v[114:115], v[110:111], v[114:115]
	s_waitcnt vmcnt(0)
	v_fma_f64 v[110:111], v[110:111], v[116:117], -v[118:119]
	v_fma_f64 v[112:113], v[112:113], v[116:117], v[114:115]
	v_add_f64 v[3:4], v[3:4], v[110:111]
	v_add_f64 v[1:2], v[1:2], v[112:113]
	s_andn2_b32 exec_lo, exec_lo, s5
	s_cbranch_execnz .LBB112_113
; %bb.114:
	s_or_b32 exec_lo, exec_lo, s5
	v_mov_b32_e32 v7, 0
	ds_read_b128 v[110:113], v7 offset:400
	s_waitcnt lgkmcnt(0)
	v_mul_f64 v[7:8], v[1:2], v[112:113]
	v_mul_f64 v[107:108], v[3:4], v[112:113]
	v_fma_f64 v[3:4], v[3:4], v[110:111], -v[7:8]
	v_fma_f64 v[1:2], v[1:2], v[110:111], v[107:108]
	buffer_store_dword v4, off, s[0:3], 0 offset:420
	buffer_store_dword v3, off, s[0:3], 0 offset:416
	;; [unrolled: 1-line block ×4, first 2 shown]
.LBB112_115:
	s_or_b32 exec_lo, exec_lo, s4
	v_mov_b32_e32 v4, s35
	s_waitcnt_vscnt null, 0x0
	s_barrier
	buffer_gl0_inv
	s_mov_b32 s4, exec_lo
	s_clause 0x3
	buffer_load_dword v1, v4, s[0:3], 0 offen
	buffer_load_dword v2, v4, s[0:3], 0 offen offset:4
	buffer_load_dword v3, v4, s[0:3], 0 offen offset:8
	buffer_load_dword v4, v4, s[0:3], 0 offen offset:12
	s_waitcnt vmcnt(0)
	ds_write_b128 v5, v[1:4]
	s_waitcnt lgkmcnt(0)
	s_barrier
	buffer_gl0_inv
	v_cmpx_gt_u32_e32 26, v0
	s_cbranch_execz .LBB112_119
; %bb.116:
	v_mov_b32_e32 v1, 0
	v_mov_b32_e32 v3, 0
	v_add_nc_u32_e32 v7, -1, v0
	v_add_nc_u32_e32 v8, 0x310, v109
	v_mov_b32_e32 v2, 0
	v_mov_b32_e32 v4, 0
	v_add_nc_u32_e32 v107, 16, v109
	s_mov_b32 s5, 0
	.p2align	6
.LBB112_117:                            ; =>This Inner Loop Header: Depth=1
	s_clause 0x3
	buffer_load_dword v114, v107, s[0:3], 0 offen offset:8
	buffer_load_dword v115, v107, s[0:3], 0 offen offset:12
	buffer_load_dword v116, v107, s[0:3], 0 offen
	buffer_load_dword v117, v107, s[0:3], 0 offen offset:4
	ds_read_b128 v[110:113], v8
	v_add_nc_u32_e32 v7, 1, v7
	v_add_nc_u32_e32 v8, 16, v8
	;; [unrolled: 1-line block ×3, first 2 shown]
	v_cmp_lt_u32_e32 vcc_lo, 24, v7
	s_or_b32 s5, vcc_lo, s5
	s_waitcnt vmcnt(2) lgkmcnt(0)
	v_mul_f64 v[118:119], v[112:113], v[114:115]
	v_mul_f64 v[114:115], v[110:111], v[114:115]
	s_waitcnt vmcnt(0)
	v_fma_f64 v[110:111], v[110:111], v[116:117], -v[118:119]
	v_fma_f64 v[112:113], v[112:113], v[116:117], v[114:115]
	v_add_f64 v[3:4], v[3:4], v[110:111]
	v_add_f64 v[1:2], v[1:2], v[112:113]
	s_andn2_b32 exec_lo, exec_lo, s5
	s_cbranch_execnz .LBB112_117
; %bb.118:
	s_or_b32 exec_lo, exec_lo, s5
	v_mov_b32_e32 v7, 0
	ds_read_b128 v[110:113], v7 offset:416
	s_waitcnt lgkmcnt(0)
	v_mul_f64 v[7:8], v[1:2], v[112:113]
	v_mul_f64 v[107:108], v[3:4], v[112:113]
	v_fma_f64 v[3:4], v[3:4], v[110:111], -v[7:8]
	v_fma_f64 v[1:2], v[1:2], v[110:111], v[107:108]
	buffer_store_dword v4, off, s[0:3], 0 offset:436
	buffer_store_dword v3, off, s[0:3], 0 offset:432
	;; [unrolled: 1-line block ×4, first 2 shown]
.LBB112_119:
	s_or_b32 exec_lo, exec_lo, s4
	v_mov_b32_e32 v4, s34
	s_waitcnt_vscnt null, 0x0
	s_barrier
	buffer_gl0_inv
	s_mov_b32 s4, exec_lo
	s_clause 0x3
	buffer_load_dword v1, v4, s[0:3], 0 offen
	buffer_load_dword v2, v4, s[0:3], 0 offen offset:4
	buffer_load_dword v3, v4, s[0:3], 0 offen offset:8
	;; [unrolled: 1-line block ×3, first 2 shown]
	s_waitcnt vmcnt(0)
	ds_write_b128 v5, v[1:4]
	s_waitcnt lgkmcnt(0)
	s_barrier
	buffer_gl0_inv
	v_cmpx_gt_u32_e32 27, v0
	s_cbranch_execz .LBB112_123
; %bb.120:
	v_mov_b32_e32 v1, 0
	v_mov_b32_e32 v3, 0
	v_add_nc_u32_e32 v7, -1, v0
	v_add_nc_u32_e32 v8, 0x310, v109
	v_mov_b32_e32 v2, 0
	v_mov_b32_e32 v4, 0
	v_add_nc_u32_e32 v107, 16, v109
	s_mov_b32 s5, 0
	.p2align	6
.LBB112_121:                            ; =>This Inner Loop Header: Depth=1
	s_clause 0x3
	buffer_load_dword v114, v107, s[0:3], 0 offen offset:8
	buffer_load_dword v115, v107, s[0:3], 0 offen offset:12
	buffer_load_dword v116, v107, s[0:3], 0 offen
	buffer_load_dword v117, v107, s[0:3], 0 offen offset:4
	ds_read_b128 v[110:113], v8
	v_add_nc_u32_e32 v7, 1, v7
	v_add_nc_u32_e32 v8, 16, v8
	v_add_nc_u32_e32 v107, 16, v107
	v_cmp_lt_u32_e32 vcc_lo, 25, v7
	s_or_b32 s5, vcc_lo, s5
	s_waitcnt vmcnt(2) lgkmcnt(0)
	v_mul_f64 v[118:119], v[112:113], v[114:115]
	v_mul_f64 v[114:115], v[110:111], v[114:115]
	s_waitcnt vmcnt(0)
	v_fma_f64 v[110:111], v[110:111], v[116:117], -v[118:119]
	v_fma_f64 v[112:113], v[112:113], v[116:117], v[114:115]
	v_add_f64 v[3:4], v[3:4], v[110:111]
	v_add_f64 v[1:2], v[1:2], v[112:113]
	s_andn2_b32 exec_lo, exec_lo, s5
	s_cbranch_execnz .LBB112_121
; %bb.122:
	s_or_b32 exec_lo, exec_lo, s5
	v_mov_b32_e32 v7, 0
	ds_read_b128 v[110:113], v7 offset:432
	s_waitcnt lgkmcnt(0)
	v_mul_f64 v[7:8], v[1:2], v[112:113]
	v_mul_f64 v[107:108], v[3:4], v[112:113]
	v_fma_f64 v[3:4], v[3:4], v[110:111], -v[7:8]
	v_fma_f64 v[1:2], v[1:2], v[110:111], v[107:108]
	buffer_store_dword v4, off, s[0:3], 0 offset:452
	buffer_store_dword v3, off, s[0:3], 0 offset:448
	;; [unrolled: 1-line block ×4, first 2 shown]
.LBB112_123:
	s_or_b32 exec_lo, exec_lo, s4
	v_mov_b32_e32 v4, s33
	s_waitcnt_vscnt null, 0x0
	s_barrier
	buffer_gl0_inv
	s_mov_b32 s4, exec_lo
	s_clause 0x3
	buffer_load_dword v1, v4, s[0:3], 0 offen
	buffer_load_dword v2, v4, s[0:3], 0 offen offset:4
	buffer_load_dword v3, v4, s[0:3], 0 offen offset:8
	;; [unrolled: 1-line block ×3, first 2 shown]
	s_waitcnt vmcnt(0)
	ds_write_b128 v5, v[1:4]
	s_waitcnt lgkmcnt(0)
	s_barrier
	buffer_gl0_inv
	v_cmpx_gt_u32_e32 28, v0
	s_cbranch_execz .LBB112_127
; %bb.124:
	v_mov_b32_e32 v1, 0
	v_mov_b32_e32 v3, 0
	v_add_nc_u32_e32 v7, -1, v0
	v_add_nc_u32_e32 v8, 0x310, v109
	v_mov_b32_e32 v2, 0
	v_mov_b32_e32 v4, 0
	v_add_nc_u32_e32 v107, 16, v109
	s_mov_b32 s5, 0
	.p2align	6
.LBB112_125:                            ; =>This Inner Loop Header: Depth=1
	s_clause 0x3
	buffer_load_dword v114, v107, s[0:3], 0 offen offset:8
	buffer_load_dword v115, v107, s[0:3], 0 offen offset:12
	buffer_load_dword v116, v107, s[0:3], 0 offen
	buffer_load_dword v117, v107, s[0:3], 0 offen offset:4
	ds_read_b128 v[110:113], v8
	v_add_nc_u32_e32 v7, 1, v7
	v_add_nc_u32_e32 v8, 16, v8
	;; [unrolled: 1-line block ×3, first 2 shown]
	v_cmp_lt_u32_e32 vcc_lo, 26, v7
	s_or_b32 s5, vcc_lo, s5
	s_waitcnt vmcnt(2) lgkmcnt(0)
	v_mul_f64 v[118:119], v[112:113], v[114:115]
	v_mul_f64 v[114:115], v[110:111], v[114:115]
	s_waitcnt vmcnt(0)
	v_fma_f64 v[110:111], v[110:111], v[116:117], -v[118:119]
	v_fma_f64 v[112:113], v[112:113], v[116:117], v[114:115]
	v_add_f64 v[3:4], v[3:4], v[110:111]
	v_add_f64 v[1:2], v[1:2], v[112:113]
	s_andn2_b32 exec_lo, exec_lo, s5
	s_cbranch_execnz .LBB112_125
; %bb.126:
	s_or_b32 exec_lo, exec_lo, s5
	v_mov_b32_e32 v7, 0
	ds_read_b128 v[110:113], v7 offset:448
	s_waitcnt lgkmcnt(0)
	v_mul_f64 v[7:8], v[1:2], v[112:113]
	v_mul_f64 v[107:108], v[3:4], v[112:113]
	v_fma_f64 v[3:4], v[3:4], v[110:111], -v[7:8]
	v_fma_f64 v[1:2], v[1:2], v[110:111], v[107:108]
	buffer_store_dword v4, off, s[0:3], 0 offset:468
	buffer_store_dword v3, off, s[0:3], 0 offset:464
	;; [unrolled: 1-line block ×4, first 2 shown]
.LBB112_127:
	s_or_b32 exec_lo, exec_lo, s4
	v_mov_b32_e32 v4, s31
	s_waitcnt_vscnt null, 0x0
	s_barrier
	buffer_gl0_inv
	s_mov_b32 s4, exec_lo
	s_clause 0x3
	buffer_load_dword v1, v4, s[0:3], 0 offen
	buffer_load_dword v2, v4, s[0:3], 0 offen offset:4
	buffer_load_dword v3, v4, s[0:3], 0 offen offset:8
	;; [unrolled: 1-line block ×3, first 2 shown]
	s_waitcnt vmcnt(0)
	ds_write_b128 v5, v[1:4]
	s_waitcnt lgkmcnt(0)
	s_barrier
	buffer_gl0_inv
	v_cmpx_gt_u32_e32 29, v0
	s_cbranch_execz .LBB112_131
; %bb.128:
	v_mov_b32_e32 v1, 0
	v_mov_b32_e32 v3, 0
	v_add_nc_u32_e32 v7, -1, v0
	v_add_nc_u32_e32 v8, 0x310, v109
	v_mov_b32_e32 v2, 0
	v_mov_b32_e32 v4, 0
	v_add_nc_u32_e32 v107, 16, v109
	s_mov_b32 s5, 0
	.p2align	6
.LBB112_129:                            ; =>This Inner Loop Header: Depth=1
	s_clause 0x3
	buffer_load_dword v114, v107, s[0:3], 0 offen offset:8
	buffer_load_dword v115, v107, s[0:3], 0 offen offset:12
	buffer_load_dword v116, v107, s[0:3], 0 offen
	buffer_load_dword v117, v107, s[0:3], 0 offen offset:4
	ds_read_b128 v[110:113], v8
	v_add_nc_u32_e32 v7, 1, v7
	v_add_nc_u32_e32 v8, 16, v8
	v_add_nc_u32_e32 v107, 16, v107
	v_cmp_lt_u32_e32 vcc_lo, 27, v7
	s_or_b32 s5, vcc_lo, s5
	s_waitcnt vmcnt(2) lgkmcnt(0)
	v_mul_f64 v[118:119], v[112:113], v[114:115]
	v_mul_f64 v[114:115], v[110:111], v[114:115]
	s_waitcnt vmcnt(0)
	v_fma_f64 v[110:111], v[110:111], v[116:117], -v[118:119]
	v_fma_f64 v[112:113], v[112:113], v[116:117], v[114:115]
	v_add_f64 v[3:4], v[3:4], v[110:111]
	v_add_f64 v[1:2], v[1:2], v[112:113]
	s_andn2_b32 exec_lo, exec_lo, s5
	s_cbranch_execnz .LBB112_129
; %bb.130:
	s_or_b32 exec_lo, exec_lo, s5
	v_mov_b32_e32 v7, 0
	ds_read_b128 v[110:113], v7 offset:464
	s_waitcnt lgkmcnt(0)
	v_mul_f64 v[7:8], v[1:2], v[112:113]
	v_mul_f64 v[107:108], v[3:4], v[112:113]
	v_fma_f64 v[3:4], v[3:4], v[110:111], -v[7:8]
	v_fma_f64 v[1:2], v[1:2], v[110:111], v[107:108]
	buffer_store_dword v4, off, s[0:3], 0 offset:484
	buffer_store_dword v3, off, s[0:3], 0 offset:480
	;; [unrolled: 1-line block ×4, first 2 shown]
.LBB112_131:
	s_or_b32 exec_lo, exec_lo, s4
	v_mov_b32_e32 v4, s30
	s_waitcnt_vscnt null, 0x0
	s_barrier
	buffer_gl0_inv
	s_mov_b32 s4, exec_lo
	s_clause 0x3
	buffer_load_dword v1, v4, s[0:3], 0 offen
	buffer_load_dword v2, v4, s[0:3], 0 offen offset:4
	buffer_load_dword v3, v4, s[0:3], 0 offen offset:8
	;; [unrolled: 1-line block ×3, first 2 shown]
	s_waitcnt vmcnt(0)
	ds_write_b128 v5, v[1:4]
	s_waitcnt lgkmcnt(0)
	s_barrier
	buffer_gl0_inv
	v_cmpx_gt_u32_e32 30, v0
	s_cbranch_execz .LBB112_135
; %bb.132:
	v_mov_b32_e32 v1, 0
	v_mov_b32_e32 v3, 0
	v_add_nc_u32_e32 v7, -1, v0
	v_add_nc_u32_e32 v8, 0x310, v109
	v_mov_b32_e32 v2, 0
	v_mov_b32_e32 v4, 0
	v_add_nc_u32_e32 v107, 16, v109
	s_mov_b32 s5, 0
	.p2align	6
.LBB112_133:                            ; =>This Inner Loop Header: Depth=1
	s_clause 0x3
	buffer_load_dword v114, v107, s[0:3], 0 offen offset:8
	buffer_load_dword v115, v107, s[0:3], 0 offen offset:12
	buffer_load_dword v116, v107, s[0:3], 0 offen
	buffer_load_dword v117, v107, s[0:3], 0 offen offset:4
	ds_read_b128 v[110:113], v8
	v_add_nc_u32_e32 v7, 1, v7
	v_add_nc_u32_e32 v8, 16, v8
	;; [unrolled: 1-line block ×3, first 2 shown]
	v_cmp_lt_u32_e32 vcc_lo, 28, v7
	s_or_b32 s5, vcc_lo, s5
	s_waitcnt vmcnt(2) lgkmcnt(0)
	v_mul_f64 v[118:119], v[112:113], v[114:115]
	v_mul_f64 v[114:115], v[110:111], v[114:115]
	s_waitcnt vmcnt(0)
	v_fma_f64 v[110:111], v[110:111], v[116:117], -v[118:119]
	v_fma_f64 v[112:113], v[112:113], v[116:117], v[114:115]
	v_add_f64 v[3:4], v[3:4], v[110:111]
	v_add_f64 v[1:2], v[1:2], v[112:113]
	s_andn2_b32 exec_lo, exec_lo, s5
	s_cbranch_execnz .LBB112_133
; %bb.134:
	s_or_b32 exec_lo, exec_lo, s5
	v_mov_b32_e32 v7, 0
	ds_read_b128 v[110:113], v7 offset:480
	s_waitcnt lgkmcnt(0)
	v_mul_f64 v[7:8], v[1:2], v[112:113]
	v_mul_f64 v[107:108], v[3:4], v[112:113]
	v_fma_f64 v[3:4], v[3:4], v[110:111], -v[7:8]
	v_fma_f64 v[1:2], v[1:2], v[110:111], v[107:108]
	buffer_store_dword v4, off, s[0:3], 0 offset:500
	buffer_store_dword v3, off, s[0:3], 0 offset:496
	;; [unrolled: 1-line block ×4, first 2 shown]
.LBB112_135:
	s_or_b32 exec_lo, exec_lo, s4
	v_mov_b32_e32 v4, s29
	s_waitcnt_vscnt null, 0x0
	s_barrier
	buffer_gl0_inv
	s_mov_b32 s4, exec_lo
	s_clause 0x3
	buffer_load_dword v1, v4, s[0:3], 0 offen
	buffer_load_dword v2, v4, s[0:3], 0 offen offset:4
	buffer_load_dword v3, v4, s[0:3], 0 offen offset:8
	;; [unrolled: 1-line block ×3, first 2 shown]
	s_waitcnt vmcnt(0)
	ds_write_b128 v5, v[1:4]
	s_waitcnt lgkmcnt(0)
	s_barrier
	buffer_gl0_inv
	v_cmpx_gt_u32_e32 31, v0
	s_cbranch_execz .LBB112_139
; %bb.136:
	v_mov_b32_e32 v1, 0
	v_mov_b32_e32 v3, 0
	v_add_nc_u32_e32 v7, -1, v0
	v_add_nc_u32_e32 v8, 0x310, v109
	v_mov_b32_e32 v2, 0
	v_mov_b32_e32 v4, 0
	v_add_nc_u32_e32 v107, 16, v109
	s_mov_b32 s5, 0
	.p2align	6
.LBB112_137:                            ; =>This Inner Loop Header: Depth=1
	s_clause 0x3
	buffer_load_dword v114, v107, s[0:3], 0 offen offset:8
	buffer_load_dword v115, v107, s[0:3], 0 offen offset:12
	buffer_load_dword v116, v107, s[0:3], 0 offen
	buffer_load_dword v117, v107, s[0:3], 0 offen offset:4
	ds_read_b128 v[110:113], v8
	v_add_nc_u32_e32 v7, 1, v7
	v_add_nc_u32_e32 v8, 16, v8
	;; [unrolled: 1-line block ×3, first 2 shown]
	v_cmp_lt_u32_e32 vcc_lo, 29, v7
	s_or_b32 s5, vcc_lo, s5
	s_waitcnt vmcnt(2) lgkmcnt(0)
	v_mul_f64 v[118:119], v[112:113], v[114:115]
	v_mul_f64 v[114:115], v[110:111], v[114:115]
	s_waitcnt vmcnt(0)
	v_fma_f64 v[110:111], v[110:111], v[116:117], -v[118:119]
	v_fma_f64 v[112:113], v[112:113], v[116:117], v[114:115]
	v_add_f64 v[3:4], v[3:4], v[110:111]
	v_add_f64 v[1:2], v[1:2], v[112:113]
	s_andn2_b32 exec_lo, exec_lo, s5
	s_cbranch_execnz .LBB112_137
; %bb.138:
	s_or_b32 exec_lo, exec_lo, s5
	v_mov_b32_e32 v7, 0
	ds_read_b128 v[110:113], v7 offset:496
	s_waitcnt lgkmcnt(0)
	v_mul_f64 v[7:8], v[1:2], v[112:113]
	v_mul_f64 v[107:108], v[3:4], v[112:113]
	v_fma_f64 v[3:4], v[3:4], v[110:111], -v[7:8]
	v_fma_f64 v[1:2], v[1:2], v[110:111], v[107:108]
	buffer_store_dword v4, off, s[0:3], 0 offset:516
	buffer_store_dword v3, off, s[0:3], 0 offset:512
	;; [unrolled: 1-line block ×4, first 2 shown]
.LBB112_139:
	s_or_b32 exec_lo, exec_lo, s4
	v_mov_b32_e32 v4, s28
	s_waitcnt_vscnt null, 0x0
	s_barrier
	buffer_gl0_inv
	s_mov_b32 s4, exec_lo
	s_clause 0x3
	buffer_load_dword v1, v4, s[0:3], 0 offen
	buffer_load_dword v2, v4, s[0:3], 0 offen offset:4
	buffer_load_dword v3, v4, s[0:3], 0 offen offset:8
	buffer_load_dword v4, v4, s[0:3], 0 offen offset:12
	s_waitcnt vmcnt(0)
	ds_write_b128 v5, v[1:4]
	s_waitcnt lgkmcnt(0)
	s_barrier
	buffer_gl0_inv
	v_cmpx_gt_u32_e32 32, v0
	s_cbranch_execz .LBB112_143
; %bb.140:
	v_mov_b32_e32 v1, 0
	v_mov_b32_e32 v3, 0
	v_add_nc_u32_e32 v7, -1, v0
	v_add_nc_u32_e32 v8, 0x310, v109
	v_mov_b32_e32 v2, 0
	v_mov_b32_e32 v4, 0
	v_add_nc_u32_e32 v107, 16, v109
	s_mov_b32 s5, 0
	.p2align	6
.LBB112_141:                            ; =>This Inner Loop Header: Depth=1
	s_clause 0x3
	buffer_load_dword v114, v107, s[0:3], 0 offen offset:8
	buffer_load_dword v115, v107, s[0:3], 0 offen offset:12
	buffer_load_dword v116, v107, s[0:3], 0 offen
	buffer_load_dword v117, v107, s[0:3], 0 offen offset:4
	ds_read_b128 v[110:113], v8
	v_add_nc_u32_e32 v7, 1, v7
	v_add_nc_u32_e32 v8, 16, v8
	;; [unrolled: 1-line block ×3, first 2 shown]
	v_cmp_lt_u32_e32 vcc_lo, 30, v7
	s_or_b32 s5, vcc_lo, s5
	s_waitcnt vmcnt(2) lgkmcnt(0)
	v_mul_f64 v[118:119], v[112:113], v[114:115]
	v_mul_f64 v[114:115], v[110:111], v[114:115]
	s_waitcnt vmcnt(0)
	v_fma_f64 v[110:111], v[110:111], v[116:117], -v[118:119]
	v_fma_f64 v[112:113], v[112:113], v[116:117], v[114:115]
	v_add_f64 v[3:4], v[3:4], v[110:111]
	v_add_f64 v[1:2], v[1:2], v[112:113]
	s_andn2_b32 exec_lo, exec_lo, s5
	s_cbranch_execnz .LBB112_141
; %bb.142:
	s_or_b32 exec_lo, exec_lo, s5
	v_mov_b32_e32 v7, 0
	ds_read_b128 v[110:113], v7 offset:512
	s_waitcnt lgkmcnt(0)
	v_mul_f64 v[7:8], v[1:2], v[112:113]
	v_mul_f64 v[107:108], v[3:4], v[112:113]
	v_fma_f64 v[3:4], v[3:4], v[110:111], -v[7:8]
	v_fma_f64 v[1:2], v[1:2], v[110:111], v[107:108]
	buffer_store_dword v4, off, s[0:3], 0 offset:532
	buffer_store_dword v3, off, s[0:3], 0 offset:528
	;; [unrolled: 1-line block ×4, first 2 shown]
.LBB112_143:
	s_or_b32 exec_lo, exec_lo, s4
	v_mov_b32_e32 v4, s27
	s_waitcnt_vscnt null, 0x0
	s_barrier
	buffer_gl0_inv
	s_mov_b32 s4, exec_lo
	s_clause 0x3
	buffer_load_dword v1, v4, s[0:3], 0 offen
	buffer_load_dword v2, v4, s[0:3], 0 offen offset:4
	buffer_load_dword v3, v4, s[0:3], 0 offen offset:8
	;; [unrolled: 1-line block ×3, first 2 shown]
	s_waitcnt vmcnt(0)
	ds_write_b128 v5, v[1:4]
	s_waitcnt lgkmcnt(0)
	s_barrier
	buffer_gl0_inv
	v_cmpx_gt_u32_e32 33, v0
	s_cbranch_execz .LBB112_147
; %bb.144:
	v_mov_b32_e32 v1, 0
	v_mov_b32_e32 v3, 0
	v_add_nc_u32_e32 v7, -1, v0
	v_add_nc_u32_e32 v8, 0x310, v109
	v_mov_b32_e32 v2, 0
	v_mov_b32_e32 v4, 0
	v_add_nc_u32_e32 v107, 16, v109
	s_mov_b32 s5, 0
	.p2align	6
.LBB112_145:                            ; =>This Inner Loop Header: Depth=1
	s_clause 0x3
	buffer_load_dword v114, v107, s[0:3], 0 offen offset:8
	buffer_load_dword v115, v107, s[0:3], 0 offen offset:12
	buffer_load_dword v116, v107, s[0:3], 0 offen
	buffer_load_dword v117, v107, s[0:3], 0 offen offset:4
	ds_read_b128 v[110:113], v8
	v_add_nc_u32_e32 v7, 1, v7
	v_add_nc_u32_e32 v8, 16, v8
	v_add_nc_u32_e32 v107, 16, v107
	v_cmp_lt_u32_e32 vcc_lo, 31, v7
	s_or_b32 s5, vcc_lo, s5
	s_waitcnt vmcnt(2) lgkmcnt(0)
	v_mul_f64 v[118:119], v[112:113], v[114:115]
	v_mul_f64 v[114:115], v[110:111], v[114:115]
	s_waitcnt vmcnt(0)
	v_fma_f64 v[110:111], v[110:111], v[116:117], -v[118:119]
	v_fma_f64 v[112:113], v[112:113], v[116:117], v[114:115]
	v_add_f64 v[3:4], v[3:4], v[110:111]
	v_add_f64 v[1:2], v[1:2], v[112:113]
	s_andn2_b32 exec_lo, exec_lo, s5
	s_cbranch_execnz .LBB112_145
; %bb.146:
	s_or_b32 exec_lo, exec_lo, s5
	v_mov_b32_e32 v7, 0
	ds_read_b128 v[110:113], v7 offset:528
	s_waitcnt lgkmcnt(0)
	v_mul_f64 v[7:8], v[1:2], v[112:113]
	v_mul_f64 v[107:108], v[3:4], v[112:113]
	v_fma_f64 v[3:4], v[3:4], v[110:111], -v[7:8]
	v_fma_f64 v[1:2], v[1:2], v[110:111], v[107:108]
	buffer_store_dword v4, off, s[0:3], 0 offset:548
	buffer_store_dword v3, off, s[0:3], 0 offset:544
	;; [unrolled: 1-line block ×4, first 2 shown]
.LBB112_147:
	s_or_b32 exec_lo, exec_lo, s4
	v_mov_b32_e32 v4, s26
	s_waitcnt_vscnt null, 0x0
	s_barrier
	buffer_gl0_inv
	s_mov_b32 s4, exec_lo
	s_clause 0x3
	buffer_load_dword v1, v4, s[0:3], 0 offen
	buffer_load_dword v2, v4, s[0:3], 0 offen offset:4
	buffer_load_dword v3, v4, s[0:3], 0 offen offset:8
	;; [unrolled: 1-line block ×3, first 2 shown]
	s_waitcnt vmcnt(0)
	ds_write_b128 v5, v[1:4]
	s_waitcnt lgkmcnt(0)
	s_barrier
	buffer_gl0_inv
	v_cmpx_gt_u32_e32 34, v0
	s_cbranch_execz .LBB112_151
; %bb.148:
	v_mov_b32_e32 v1, 0
	v_mov_b32_e32 v3, 0
	v_add_nc_u32_e32 v7, -1, v0
	v_add_nc_u32_e32 v8, 0x310, v109
	v_mov_b32_e32 v2, 0
	v_mov_b32_e32 v4, 0
	v_add_nc_u32_e32 v107, 16, v109
	s_mov_b32 s5, 0
	.p2align	6
.LBB112_149:                            ; =>This Inner Loop Header: Depth=1
	s_clause 0x3
	buffer_load_dword v114, v107, s[0:3], 0 offen offset:8
	buffer_load_dword v115, v107, s[0:3], 0 offen offset:12
	buffer_load_dword v116, v107, s[0:3], 0 offen
	buffer_load_dword v117, v107, s[0:3], 0 offen offset:4
	ds_read_b128 v[110:113], v8
	v_add_nc_u32_e32 v7, 1, v7
	v_add_nc_u32_e32 v8, 16, v8
	;; [unrolled: 1-line block ×3, first 2 shown]
	v_cmp_lt_u32_e32 vcc_lo, 32, v7
	s_or_b32 s5, vcc_lo, s5
	s_waitcnt vmcnt(2) lgkmcnt(0)
	v_mul_f64 v[118:119], v[112:113], v[114:115]
	v_mul_f64 v[114:115], v[110:111], v[114:115]
	s_waitcnt vmcnt(0)
	v_fma_f64 v[110:111], v[110:111], v[116:117], -v[118:119]
	v_fma_f64 v[112:113], v[112:113], v[116:117], v[114:115]
	v_add_f64 v[3:4], v[3:4], v[110:111]
	v_add_f64 v[1:2], v[1:2], v[112:113]
	s_andn2_b32 exec_lo, exec_lo, s5
	s_cbranch_execnz .LBB112_149
; %bb.150:
	s_or_b32 exec_lo, exec_lo, s5
	v_mov_b32_e32 v7, 0
	ds_read_b128 v[110:113], v7 offset:544
	s_waitcnt lgkmcnt(0)
	v_mul_f64 v[7:8], v[1:2], v[112:113]
	v_mul_f64 v[107:108], v[3:4], v[112:113]
	v_fma_f64 v[3:4], v[3:4], v[110:111], -v[7:8]
	v_fma_f64 v[1:2], v[1:2], v[110:111], v[107:108]
	buffer_store_dword v4, off, s[0:3], 0 offset:564
	buffer_store_dword v3, off, s[0:3], 0 offset:560
	;; [unrolled: 1-line block ×4, first 2 shown]
.LBB112_151:
	s_or_b32 exec_lo, exec_lo, s4
	v_mov_b32_e32 v4, s25
	s_waitcnt_vscnt null, 0x0
	s_barrier
	buffer_gl0_inv
	s_mov_b32 s4, exec_lo
	s_clause 0x3
	buffer_load_dword v1, v4, s[0:3], 0 offen
	buffer_load_dword v2, v4, s[0:3], 0 offen offset:4
	buffer_load_dword v3, v4, s[0:3], 0 offen offset:8
	;; [unrolled: 1-line block ×3, first 2 shown]
	s_waitcnt vmcnt(0)
	ds_write_b128 v5, v[1:4]
	s_waitcnt lgkmcnt(0)
	s_barrier
	buffer_gl0_inv
	v_cmpx_gt_u32_e32 35, v0
	s_cbranch_execz .LBB112_155
; %bb.152:
	v_mov_b32_e32 v1, 0
	v_mov_b32_e32 v3, 0
	v_add_nc_u32_e32 v7, -1, v0
	v_add_nc_u32_e32 v8, 0x310, v109
	v_mov_b32_e32 v2, 0
	v_mov_b32_e32 v4, 0
	v_add_nc_u32_e32 v107, 16, v109
	s_mov_b32 s5, 0
	.p2align	6
.LBB112_153:                            ; =>This Inner Loop Header: Depth=1
	s_clause 0x3
	buffer_load_dword v114, v107, s[0:3], 0 offen offset:8
	buffer_load_dword v115, v107, s[0:3], 0 offen offset:12
	buffer_load_dword v116, v107, s[0:3], 0 offen
	buffer_load_dword v117, v107, s[0:3], 0 offen offset:4
	ds_read_b128 v[110:113], v8
	v_add_nc_u32_e32 v7, 1, v7
	v_add_nc_u32_e32 v8, 16, v8
	v_add_nc_u32_e32 v107, 16, v107
	v_cmp_lt_u32_e32 vcc_lo, 33, v7
	s_or_b32 s5, vcc_lo, s5
	s_waitcnt vmcnt(2) lgkmcnt(0)
	v_mul_f64 v[118:119], v[112:113], v[114:115]
	v_mul_f64 v[114:115], v[110:111], v[114:115]
	s_waitcnt vmcnt(0)
	v_fma_f64 v[110:111], v[110:111], v[116:117], -v[118:119]
	v_fma_f64 v[112:113], v[112:113], v[116:117], v[114:115]
	v_add_f64 v[3:4], v[3:4], v[110:111]
	v_add_f64 v[1:2], v[1:2], v[112:113]
	s_andn2_b32 exec_lo, exec_lo, s5
	s_cbranch_execnz .LBB112_153
; %bb.154:
	s_or_b32 exec_lo, exec_lo, s5
	v_mov_b32_e32 v7, 0
	ds_read_b128 v[110:113], v7 offset:560
	s_waitcnt lgkmcnt(0)
	v_mul_f64 v[7:8], v[1:2], v[112:113]
	v_mul_f64 v[107:108], v[3:4], v[112:113]
	v_fma_f64 v[3:4], v[3:4], v[110:111], -v[7:8]
	v_fma_f64 v[1:2], v[1:2], v[110:111], v[107:108]
	buffer_store_dword v4, off, s[0:3], 0 offset:580
	buffer_store_dword v3, off, s[0:3], 0 offset:576
	;; [unrolled: 1-line block ×4, first 2 shown]
.LBB112_155:
	s_or_b32 exec_lo, exec_lo, s4
	v_mov_b32_e32 v4, s24
	s_waitcnt_vscnt null, 0x0
	s_barrier
	buffer_gl0_inv
	s_mov_b32 s4, exec_lo
	s_clause 0x3
	buffer_load_dword v1, v4, s[0:3], 0 offen
	buffer_load_dword v2, v4, s[0:3], 0 offen offset:4
	buffer_load_dword v3, v4, s[0:3], 0 offen offset:8
	;; [unrolled: 1-line block ×3, first 2 shown]
	s_waitcnt vmcnt(0)
	ds_write_b128 v5, v[1:4]
	s_waitcnt lgkmcnt(0)
	s_barrier
	buffer_gl0_inv
	v_cmpx_gt_u32_e32 36, v0
	s_cbranch_execz .LBB112_159
; %bb.156:
	v_mov_b32_e32 v1, 0
	v_mov_b32_e32 v3, 0
	v_add_nc_u32_e32 v7, -1, v0
	v_add_nc_u32_e32 v8, 0x310, v109
	v_mov_b32_e32 v2, 0
	v_mov_b32_e32 v4, 0
	v_add_nc_u32_e32 v107, 16, v109
	s_mov_b32 s5, 0
	.p2align	6
.LBB112_157:                            ; =>This Inner Loop Header: Depth=1
	s_clause 0x3
	buffer_load_dword v114, v107, s[0:3], 0 offen offset:8
	buffer_load_dword v115, v107, s[0:3], 0 offen offset:12
	buffer_load_dword v116, v107, s[0:3], 0 offen
	buffer_load_dword v117, v107, s[0:3], 0 offen offset:4
	ds_read_b128 v[110:113], v8
	v_add_nc_u32_e32 v7, 1, v7
	v_add_nc_u32_e32 v8, 16, v8
	;; [unrolled: 1-line block ×3, first 2 shown]
	v_cmp_lt_u32_e32 vcc_lo, 34, v7
	s_or_b32 s5, vcc_lo, s5
	s_waitcnt vmcnt(2) lgkmcnt(0)
	v_mul_f64 v[118:119], v[112:113], v[114:115]
	v_mul_f64 v[114:115], v[110:111], v[114:115]
	s_waitcnt vmcnt(0)
	v_fma_f64 v[110:111], v[110:111], v[116:117], -v[118:119]
	v_fma_f64 v[112:113], v[112:113], v[116:117], v[114:115]
	v_add_f64 v[3:4], v[3:4], v[110:111]
	v_add_f64 v[1:2], v[1:2], v[112:113]
	s_andn2_b32 exec_lo, exec_lo, s5
	s_cbranch_execnz .LBB112_157
; %bb.158:
	s_or_b32 exec_lo, exec_lo, s5
	v_mov_b32_e32 v7, 0
	ds_read_b128 v[110:113], v7 offset:576
	s_waitcnt lgkmcnt(0)
	v_mul_f64 v[7:8], v[1:2], v[112:113]
	v_mul_f64 v[107:108], v[3:4], v[112:113]
	v_fma_f64 v[3:4], v[3:4], v[110:111], -v[7:8]
	v_fma_f64 v[1:2], v[1:2], v[110:111], v[107:108]
	buffer_store_dword v4, off, s[0:3], 0 offset:596
	buffer_store_dword v3, off, s[0:3], 0 offset:592
	;; [unrolled: 1-line block ×4, first 2 shown]
.LBB112_159:
	s_or_b32 exec_lo, exec_lo, s4
	v_mov_b32_e32 v4, s23
	s_waitcnt_vscnt null, 0x0
	s_barrier
	buffer_gl0_inv
	s_mov_b32 s4, exec_lo
	s_clause 0x3
	buffer_load_dword v1, v4, s[0:3], 0 offen
	buffer_load_dword v2, v4, s[0:3], 0 offen offset:4
	buffer_load_dword v3, v4, s[0:3], 0 offen offset:8
	;; [unrolled: 1-line block ×3, first 2 shown]
	s_waitcnt vmcnt(0)
	ds_write_b128 v5, v[1:4]
	s_waitcnt lgkmcnt(0)
	s_barrier
	buffer_gl0_inv
	v_cmpx_gt_u32_e32 37, v0
	s_cbranch_execz .LBB112_163
; %bb.160:
	v_mov_b32_e32 v1, 0
	v_mov_b32_e32 v3, 0
	v_add_nc_u32_e32 v7, -1, v0
	v_add_nc_u32_e32 v8, 0x310, v109
	v_mov_b32_e32 v2, 0
	v_mov_b32_e32 v4, 0
	v_add_nc_u32_e32 v107, 16, v109
	s_mov_b32 s5, 0
	.p2align	6
.LBB112_161:                            ; =>This Inner Loop Header: Depth=1
	s_clause 0x3
	buffer_load_dword v114, v107, s[0:3], 0 offen offset:8
	buffer_load_dword v115, v107, s[0:3], 0 offen offset:12
	buffer_load_dword v116, v107, s[0:3], 0 offen
	buffer_load_dword v117, v107, s[0:3], 0 offen offset:4
	ds_read_b128 v[110:113], v8
	v_add_nc_u32_e32 v7, 1, v7
	v_add_nc_u32_e32 v8, 16, v8
	;; [unrolled: 1-line block ×3, first 2 shown]
	v_cmp_lt_u32_e32 vcc_lo, 35, v7
	s_or_b32 s5, vcc_lo, s5
	s_waitcnt vmcnt(2) lgkmcnt(0)
	v_mul_f64 v[118:119], v[112:113], v[114:115]
	v_mul_f64 v[114:115], v[110:111], v[114:115]
	s_waitcnt vmcnt(0)
	v_fma_f64 v[110:111], v[110:111], v[116:117], -v[118:119]
	v_fma_f64 v[112:113], v[112:113], v[116:117], v[114:115]
	v_add_f64 v[3:4], v[3:4], v[110:111]
	v_add_f64 v[1:2], v[1:2], v[112:113]
	s_andn2_b32 exec_lo, exec_lo, s5
	s_cbranch_execnz .LBB112_161
; %bb.162:
	s_or_b32 exec_lo, exec_lo, s5
	v_mov_b32_e32 v7, 0
	ds_read_b128 v[110:113], v7 offset:592
	s_waitcnt lgkmcnt(0)
	v_mul_f64 v[7:8], v[1:2], v[112:113]
	v_mul_f64 v[107:108], v[3:4], v[112:113]
	v_fma_f64 v[3:4], v[3:4], v[110:111], -v[7:8]
	v_fma_f64 v[1:2], v[1:2], v[110:111], v[107:108]
	buffer_store_dword v4, off, s[0:3], 0 offset:612
	buffer_store_dword v3, off, s[0:3], 0 offset:608
	;; [unrolled: 1-line block ×4, first 2 shown]
.LBB112_163:
	s_or_b32 exec_lo, exec_lo, s4
	v_mov_b32_e32 v4, s22
	s_waitcnt_vscnt null, 0x0
	s_barrier
	buffer_gl0_inv
	s_mov_b32 s4, exec_lo
	s_clause 0x3
	buffer_load_dword v1, v4, s[0:3], 0 offen
	buffer_load_dword v2, v4, s[0:3], 0 offen offset:4
	buffer_load_dword v3, v4, s[0:3], 0 offen offset:8
	;; [unrolled: 1-line block ×3, first 2 shown]
	s_waitcnt vmcnt(0)
	ds_write_b128 v5, v[1:4]
	s_waitcnt lgkmcnt(0)
	s_barrier
	buffer_gl0_inv
	v_cmpx_gt_u32_e32 38, v0
	s_cbranch_execz .LBB112_167
; %bb.164:
	v_mov_b32_e32 v1, 0
	v_mov_b32_e32 v3, 0
	v_add_nc_u32_e32 v7, -1, v0
	v_add_nc_u32_e32 v8, 0x310, v109
	v_mov_b32_e32 v2, 0
	v_mov_b32_e32 v4, 0
	v_add_nc_u32_e32 v107, 16, v109
	s_mov_b32 s5, 0
	.p2align	6
.LBB112_165:                            ; =>This Inner Loop Header: Depth=1
	s_clause 0x3
	buffer_load_dword v114, v107, s[0:3], 0 offen offset:8
	buffer_load_dword v115, v107, s[0:3], 0 offen offset:12
	buffer_load_dword v116, v107, s[0:3], 0 offen
	buffer_load_dword v117, v107, s[0:3], 0 offen offset:4
	ds_read_b128 v[110:113], v8
	v_add_nc_u32_e32 v7, 1, v7
	v_add_nc_u32_e32 v8, 16, v8
	;; [unrolled: 1-line block ×3, first 2 shown]
	v_cmp_lt_u32_e32 vcc_lo, 36, v7
	s_or_b32 s5, vcc_lo, s5
	s_waitcnt vmcnt(2) lgkmcnt(0)
	v_mul_f64 v[118:119], v[112:113], v[114:115]
	v_mul_f64 v[114:115], v[110:111], v[114:115]
	s_waitcnt vmcnt(0)
	v_fma_f64 v[110:111], v[110:111], v[116:117], -v[118:119]
	v_fma_f64 v[112:113], v[112:113], v[116:117], v[114:115]
	v_add_f64 v[3:4], v[3:4], v[110:111]
	v_add_f64 v[1:2], v[1:2], v[112:113]
	s_andn2_b32 exec_lo, exec_lo, s5
	s_cbranch_execnz .LBB112_165
; %bb.166:
	s_or_b32 exec_lo, exec_lo, s5
	v_mov_b32_e32 v7, 0
	ds_read_b128 v[110:113], v7 offset:608
	s_waitcnt lgkmcnt(0)
	v_mul_f64 v[7:8], v[1:2], v[112:113]
	v_mul_f64 v[107:108], v[3:4], v[112:113]
	v_fma_f64 v[3:4], v[3:4], v[110:111], -v[7:8]
	v_fma_f64 v[1:2], v[1:2], v[110:111], v[107:108]
	buffer_store_dword v4, off, s[0:3], 0 offset:628
	buffer_store_dword v3, off, s[0:3], 0 offset:624
	;; [unrolled: 1-line block ×4, first 2 shown]
.LBB112_167:
	s_or_b32 exec_lo, exec_lo, s4
	v_mov_b32_e32 v4, s21
	s_waitcnt_vscnt null, 0x0
	s_barrier
	buffer_gl0_inv
	s_mov_b32 s4, exec_lo
	s_clause 0x3
	buffer_load_dword v1, v4, s[0:3], 0 offen
	buffer_load_dword v2, v4, s[0:3], 0 offen offset:4
	buffer_load_dword v3, v4, s[0:3], 0 offen offset:8
	buffer_load_dword v4, v4, s[0:3], 0 offen offset:12
	s_waitcnt vmcnt(0)
	ds_write_b128 v5, v[1:4]
	s_waitcnt lgkmcnt(0)
	s_barrier
	buffer_gl0_inv
	v_cmpx_gt_u32_e32 39, v0
	s_cbranch_execz .LBB112_171
; %bb.168:
	v_mov_b32_e32 v1, 0
	v_mov_b32_e32 v3, 0
	v_add_nc_u32_e32 v7, -1, v0
	v_add_nc_u32_e32 v8, 0x310, v109
	v_mov_b32_e32 v2, 0
	v_mov_b32_e32 v4, 0
	v_add_nc_u32_e32 v107, 16, v109
	s_mov_b32 s5, 0
	.p2align	6
.LBB112_169:                            ; =>This Inner Loop Header: Depth=1
	s_clause 0x3
	buffer_load_dword v114, v107, s[0:3], 0 offen offset:8
	buffer_load_dword v115, v107, s[0:3], 0 offen offset:12
	buffer_load_dword v116, v107, s[0:3], 0 offen
	buffer_load_dword v117, v107, s[0:3], 0 offen offset:4
	ds_read_b128 v[110:113], v8
	v_add_nc_u32_e32 v7, 1, v7
	v_add_nc_u32_e32 v8, 16, v8
	;; [unrolled: 1-line block ×3, first 2 shown]
	v_cmp_lt_u32_e32 vcc_lo, 37, v7
	s_or_b32 s5, vcc_lo, s5
	s_waitcnt vmcnt(2) lgkmcnt(0)
	v_mul_f64 v[118:119], v[112:113], v[114:115]
	v_mul_f64 v[114:115], v[110:111], v[114:115]
	s_waitcnt vmcnt(0)
	v_fma_f64 v[110:111], v[110:111], v[116:117], -v[118:119]
	v_fma_f64 v[112:113], v[112:113], v[116:117], v[114:115]
	v_add_f64 v[3:4], v[3:4], v[110:111]
	v_add_f64 v[1:2], v[1:2], v[112:113]
	s_andn2_b32 exec_lo, exec_lo, s5
	s_cbranch_execnz .LBB112_169
; %bb.170:
	s_or_b32 exec_lo, exec_lo, s5
	v_mov_b32_e32 v7, 0
	ds_read_b128 v[110:113], v7 offset:624
	s_waitcnt lgkmcnt(0)
	v_mul_f64 v[7:8], v[1:2], v[112:113]
	v_mul_f64 v[107:108], v[3:4], v[112:113]
	v_fma_f64 v[3:4], v[3:4], v[110:111], -v[7:8]
	v_fma_f64 v[1:2], v[1:2], v[110:111], v[107:108]
	buffer_store_dword v4, off, s[0:3], 0 offset:644
	buffer_store_dword v3, off, s[0:3], 0 offset:640
	;; [unrolled: 1-line block ×4, first 2 shown]
.LBB112_171:
	s_or_b32 exec_lo, exec_lo, s4
	v_mov_b32_e32 v4, s20
	s_waitcnt_vscnt null, 0x0
	s_barrier
	buffer_gl0_inv
	s_mov_b32 s4, exec_lo
	s_clause 0x3
	buffer_load_dword v1, v4, s[0:3], 0 offen
	buffer_load_dword v2, v4, s[0:3], 0 offen offset:4
	buffer_load_dword v3, v4, s[0:3], 0 offen offset:8
	;; [unrolled: 1-line block ×3, first 2 shown]
	s_waitcnt vmcnt(0)
	ds_write_b128 v5, v[1:4]
	s_waitcnt lgkmcnt(0)
	s_barrier
	buffer_gl0_inv
	v_cmpx_gt_u32_e32 40, v0
	s_cbranch_execz .LBB112_175
; %bb.172:
	v_mov_b32_e32 v1, 0
	v_mov_b32_e32 v3, 0
	v_add_nc_u32_e32 v7, -1, v0
	v_add_nc_u32_e32 v8, 0x310, v109
	v_mov_b32_e32 v2, 0
	v_mov_b32_e32 v4, 0
	v_add_nc_u32_e32 v107, 16, v109
	s_mov_b32 s5, 0
	.p2align	6
.LBB112_173:                            ; =>This Inner Loop Header: Depth=1
	s_clause 0x3
	buffer_load_dword v114, v107, s[0:3], 0 offen offset:8
	buffer_load_dword v115, v107, s[0:3], 0 offen offset:12
	buffer_load_dword v116, v107, s[0:3], 0 offen
	buffer_load_dword v117, v107, s[0:3], 0 offen offset:4
	ds_read_b128 v[110:113], v8
	v_add_nc_u32_e32 v7, 1, v7
	v_add_nc_u32_e32 v8, 16, v8
	v_add_nc_u32_e32 v107, 16, v107
	v_cmp_lt_u32_e32 vcc_lo, 38, v7
	s_or_b32 s5, vcc_lo, s5
	s_waitcnt vmcnt(2) lgkmcnt(0)
	v_mul_f64 v[118:119], v[112:113], v[114:115]
	v_mul_f64 v[114:115], v[110:111], v[114:115]
	s_waitcnt vmcnt(0)
	v_fma_f64 v[110:111], v[110:111], v[116:117], -v[118:119]
	v_fma_f64 v[112:113], v[112:113], v[116:117], v[114:115]
	v_add_f64 v[3:4], v[3:4], v[110:111]
	v_add_f64 v[1:2], v[1:2], v[112:113]
	s_andn2_b32 exec_lo, exec_lo, s5
	s_cbranch_execnz .LBB112_173
; %bb.174:
	s_or_b32 exec_lo, exec_lo, s5
	v_mov_b32_e32 v7, 0
	ds_read_b128 v[110:113], v7 offset:640
	s_waitcnt lgkmcnt(0)
	v_mul_f64 v[7:8], v[1:2], v[112:113]
	v_mul_f64 v[107:108], v[3:4], v[112:113]
	v_fma_f64 v[3:4], v[3:4], v[110:111], -v[7:8]
	v_fma_f64 v[1:2], v[1:2], v[110:111], v[107:108]
	buffer_store_dword v4, off, s[0:3], 0 offset:660
	buffer_store_dword v3, off, s[0:3], 0 offset:656
	;; [unrolled: 1-line block ×4, first 2 shown]
.LBB112_175:
	s_or_b32 exec_lo, exec_lo, s4
	v_mov_b32_e32 v4, s19
	s_waitcnt_vscnt null, 0x0
	s_barrier
	buffer_gl0_inv
	s_mov_b32 s4, exec_lo
	s_clause 0x3
	buffer_load_dword v1, v4, s[0:3], 0 offen
	buffer_load_dword v2, v4, s[0:3], 0 offen offset:4
	buffer_load_dword v3, v4, s[0:3], 0 offen offset:8
	buffer_load_dword v4, v4, s[0:3], 0 offen offset:12
	s_waitcnt vmcnt(0)
	ds_write_b128 v5, v[1:4]
	s_waitcnt lgkmcnt(0)
	s_barrier
	buffer_gl0_inv
	v_cmpx_gt_u32_e32 41, v0
	s_cbranch_execz .LBB112_179
; %bb.176:
	v_mov_b32_e32 v1, 0
	v_mov_b32_e32 v3, 0
	v_add_nc_u32_e32 v7, -1, v0
	v_add_nc_u32_e32 v8, 0x310, v109
	v_mov_b32_e32 v2, 0
	v_mov_b32_e32 v4, 0
	v_add_nc_u32_e32 v107, 16, v109
	s_mov_b32 s5, 0
	.p2align	6
.LBB112_177:                            ; =>This Inner Loop Header: Depth=1
	s_clause 0x3
	buffer_load_dword v114, v107, s[0:3], 0 offen offset:8
	buffer_load_dword v115, v107, s[0:3], 0 offen offset:12
	buffer_load_dword v116, v107, s[0:3], 0 offen
	buffer_load_dword v117, v107, s[0:3], 0 offen offset:4
	ds_read_b128 v[110:113], v8
	v_add_nc_u32_e32 v7, 1, v7
	v_add_nc_u32_e32 v8, 16, v8
	;; [unrolled: 1-line block ×3, first 2 shown]
	v_cmp_lt_u32_e32 vcc_lo, 39, v7
	s_or_b32 s5, vcc_lo, s5
	s_waitcnt vmcnt(2) lgkmcnt(0)
	v_mul_f64 v[118:119], v[112:113], v[114:115]
	v_mul_f64 v[114:115], v[110:111], v[114:115]
	s_waitcnt vmcnt(0)
	v_fma_f64 v[110:111], v[110:111], v[116:117], -v[118:119]
	v_fma_f64 v[112:113], v[112:113], v[116:117], v[114:115]
	v_add_f64 v[3:4], v[3:4], v[110:111]
	v_add_f64 v[1:2], v[1:2], v[112:113]
	s_andn2_b32 exec_lo, exec_lo, s5
	s_cbranch_execnz .LBB112_177
; %bb.178:
	s_or_b32 exec_lo, exec_lo, s5
	v_mov_b32_e32 v7, 0
	ds_read_b128 v[110:113], v7 offset:656
	s_waitcnt lgkmcnt(0)
	v_mul_f64 v[7:8], v[1:2], v[112:113]
	v_mul_f64 v[107:108], v[3:4], v[112:113]
	v_fma_f64 v[3:4], v[3:4], v[110:111], -v[7:8]
	v_fma_f64 v[1:2], v[1:2], v[110:111], v[107:108]
	buffer_store_dword v4, off, s[0:3], 0 offset:676
	buffer_store_dword v3, off, s[0:3], 0 offset:672
	;; [unrolled: 1-line block ×4, first 2 shown]
.LBB112_179:
	s_or_b32 exec_lo, exec_lo, s4
	v_mov_b32_e32 v4, s18
	s_waitcnt_vscnt null, 0x0
	s_barrier
	buffer_gl0_inv
	s_mov_b32 s4, exec_lo
	s_clause 0x3
	buffer_load_dword v1, v4, s[0:3], 0 offen
	buffer_load_dword v2, v4, s[0:3], 0 offen offset:4
	buffer_load_dword v3, v4, s[0:3], 0 offen offset:8
	;; [unrolled: 1-line block ×3, first 2 shown]
	s_waitcnt vmcnt(0)
	ds_write_b128 v5, v[1:4]
	s_waitcnt lgkmcnt(0)
	s_barrier
	buffer_gl0_inv
	v_cmpx_gt_u32_e32 42, v0
	s_cbranch_execz .LBB112_183
; %bb.180:
	v_mov_b32_e32 v1, 0
	v_mov_b32_e32 v3, 0
	v_add_nc_u32_e32 v7, -1, v0
	v_add_nc_u32_e32 v8, 0x310, v109
	v_mov_b32_e32 v2, 0
	v_mov_b32_e32 v4, 0
	v_add_nc_u32_e32 v107, 16, v109
	s_mov_b32 s5, 0
	.p2align	6
.LBB112_181:                            ; =>This Inner Loop Header: Depth=1
	s_clause 0x3
	buffer_load_dword v114, v107, s[0:3], 0 offen offset:8
	buffer_load_dword v115, v107, s[0:3], 0 offen offset:12
	buffer_load_dword v116, v107, s[0:3], 0 offen
	buffer_load_dword v117, v107, s[0:3], 0 offen offset:4
	ds_read_b128 v[110:113], v8
	v_add_nc_u32_e32 v7, 1, v7
	v_add_nc_u32_e32 v8, 16, v8
	;; [unrolled: 1-line block ×3, first 2 shown]
	v_cmp_lt_u32_e32 vcc_lo, 40, v7
	s_or_b32 s5, vcc_lo, s5
	s_waitcnt vmcnt(2) lgkmcnt(0)
	v_mul_f64 v[118:119], v[112:113], v[114:115]
	v_mul_f64 v[114:115], v[110:111], v[114:115]
	s_waitcnt vmcnt(0)
	v_fma_f64 v[110:111], v[110:111], v[116:117], -v[118:119]
	v_fma_f64 v[112:113], v[112:113], v[116:117], v[114:115]
	v_add_f64 v[3:4], v[3:4], v[110:111]
	v_add_f64 v[1:2], v[1:2], v[112:113]
	s_andn2_b32 exec_lo, exec_lo, s5
	s_cbranch_execnz .LBB112_181
; %bb.182:
	s_or_b32 exec_lo, exec_lo, s5
	v_mov_b32_e32 v7, 0
	ds_read_b128 v[110:113], v7 offset:672
	s_waitcnt lgkmcnt(0)
	v_mul_f64 v[7:8], v[1:2], v[112:113]
	v_mul_f64 v[107:108], v[3:4], v[112:113]
	v_fma_f64 v[3:4], v[3:4], v[110:111], -v[7:8]
	v_fma_f64 v[1:2], v[1:2], v[110:111], v[107:108]
	buffer_store_dword v4, off, s[0:3], 0 offset:692
	buffer_store_dword v3, off, s[0:3], 0 offset:688
	;; [unrolled: 1-line block ×4, first 2 shown]
.LBB112_183:
	s_or_b32 exec_lo, exec_lo, s4
	v_mov_b32_e32 v4, s17
	s_waitcnt_vscnt null, 0x0
	s_barrier
	buffer_gl0_inv
	s_mov_b32 s4, exec_lo
	s_clause 0x3
	buffer_load_dword v1, v4, s[0:3], 0 offen
	buffer_load_dword v2, v4, s[0:3], 0 offen offset:4
	buffer_load_dword v3, v4, s[0:3], 0 offen offset:8
	buffer_load_dword v4, v4, s[0:3], 0 offen offset:12
	s_waitcnt vmcnt(0)
	ds_write_b128 v5, v[1:4]
	s_waitcnt lgkmcnt(0)
	s_barrier
	buffer_gl0_inv
	v_cmpx_gt_u32_e32 43, v0
	s_cbranch_execz .LBB112_187
; %bb.184:
	v_mov_b32_e32 v1, 0
	v_mov_b32_e32 v3, 0
	v_add_nc_u32_e32 v7, -1, v0
	v_add_nc_u32_e32 v8, 0x310, v109
	v_mov_b32_e32 v2, 0
	v_mov_b32_e32 v4, 0
	v_add_nc_u32_e32 v107, 16, v109
	s_mov_b32 s5, 0
	.p2align	6
.LBB112_185:                            ; =>This Inner Loop Header: Depth=1
	s_clause 0x3
	buffer_load_dword v114, v107, s[0:3], 0 offen offset:8
	buffer_load_dword v115, v107, s[0:3], 0 offen offset:12
	buffer_load_dword v116, v107, s[0:3], 0 offen
	buffer_load_dword v117, v107, s[0:3], 0 offen offset:4
	ds_read_b128 v[110:113], v8
	v_add_nc_u32_e32 v7, 1, v7
	v_add_nc_u32_e32 v8, 16, v8
	;; [unrolled: 1-line block ×3, first 2 shown]
	v_cmp_lt_u32_e32 vcc_lo, 41, v7
	s_or_b32 s5, vcc_lo, s5
	s_waitcnt vmcnt(2) lgkmcnt(0)
	v_mul_f64 v[118:119], v[112:113], v[114:115]
	v_mul_f64 v[114:115], v[110:111], v[114:115]
	s_waitcnt vmcnt(0)
	v_fma_f64 v[110:111], v[110:111], v[116:117], -v[118:119]
	v_fma_f64 v[112:113], v[112:113], v[116:117], v[114:115]
	v_add_f64 v[3:4], v[3:4], v[110:111]
	v_add_f64 v[1:2], v[1:2], v[112:113]
	s_andn2_b32 exec_lo, exec_lo, s5
	s_cbranch_execnz .LBB112_185
; %bb.186:
	s_or_b32 exec_lo, exec_lo, s5
	v_mov_b32_e32 v7, 0
	ds_read_b128 v[110:113], v7 offset:688
	s_waitcnt lgkmcnt(0)
	v_mul_f64 v[7:8], v[1:2], v[112:113]
	v_mul_f64 v[107:108], v[3:4], v[112:113]
	v_fma_f64 v[3:4], v[3:4], v[110:111], -v[7:8]
	v_fma_f64 v[1:2], v[1:2], v[110:111], v[107:108]
	buffer_store_dword v4, off, s[0:3], 0 offset:708
	buffer_store_dword v3, off, s[0:3], 0 offset:704
	;; [unrolled: 1-line block ×4, first 2 shown]
.LBB112_187:
	s_or_b32 exec_lo, exec_lo, s4
	v_mov_b32_e32 v4, s16
	s_waitcnt_vscnt null, 0x0
	s_barrier
	buffer_gl0_inv
	s_mov_b32 s4, exec_lo
	s_clause 0x3
	buffer_load_dword v1, v4, s[0:3], 0 offen
	buffer_load_dword v2, v4, s[0:3], 0 offen offset:4
	buffer_load_dword v3, v4, s[0:3], 0 offen offset:8
	;; [unrolled: 1-line block ×3, first 2 shown]
	s_waitcnt vmcnt(0)
	ds_write_b128 v5, v[1:4]
	s_waitcnt lgkmcnt(0)
	s_barrier
	buffer_gl0_inv
	v_cmpx_gt_u32_e32 44, v0
	s_cbranch_execz .LBB112_191
; %bb.188:
	v_mov_b32_e32 v1, 0
	v_mov_b32_e32 v3, 0
	v_add_nc_u32_e32 v7, -1, v0
	v_add_nc_u32_e32 v8, 0x310, v109
	v_mov_b32_e32 v2, 0
	v_mov_b32_e32 v4, 0
	v_add_nc_u32_e32 v107, 16, v109
	s_mov_b32 s5, 0
	.p2align	6
.LBB112_189:                            ; =>This Inner Loop Header: Depth=1
	s_clause 0x3
	buffer_load_dword v114, v107, s[0:3], 0 offen offset:8
	buffer_load_dword v115, v107, s[0:3], 0 offen offset:12
	buffer_load_dword v116, v107, s[0:3], 0 offen
	buffer_load_dword v117, v107, s[0:3], 0 offen offset:4
	ds_read_b128 v[110:113], v8
	v_add_nc_u32_e32 v7, 1, v7
	v_add_nc_u32_e32 v8, 16, v8
	;; [unrolled: 1-line block ×3, first 2 shown]
	v_cmp_lt_u32_e32 vcc_lo, 42, v7
	s_or_b32 s5, vcc_lo, s5
	s_waitcnt vmcnt(2) lgkmcnt(0)
	v_mul_f64 v[118:119], v[112:113], v[114:115]
	v_mul_f64 v[114:115], v[110:111], v[114:115]
	s_waitcnt vmcnt(0)
	v_fma_f64 v[110:111], v[110:111], v[116:117], -v[118:119]
	v_fma_f64 v[112:113], v[112:113], v[116:117], v[114:115]
	v_add_f64 v[3:4], v[3:4], v[110:111]
	v_add_f64 v[1:2], v[1:2], v[112:113]
	s_andn2_b32 exec_lo, exec_lo, s5
	s_cbranch_execnz .LBB112_189
; %bb.190:
	s_or_b32 exec_lo, exec_lo, s5
	v_mov_b32_e32 v7, 0
	ds_read_b128 v[110:113], v7 offset:704
	s_waitcnt lgkmcnt(0)
	v_mul_f64 v[7:8], v[1:2], v[112:113]
	v_mul_f64 v[107:108], v[3:4], v[112:113]
	v_fma_f64 v[3:4], v[3:4], v[110:111], -v[7:8]
	v_fma_f64 v[1:2], v[1:2], v[110:111], v[107:108]
	buffer_store_dword v4, off, s[0:3], 0 offset:724
	buffer_store_dword v3, off, s[0:3], 0 offset:720
	;; [unrolled: 1-line block ×4, first 2 shown]
.LBB112_191:
	s_or_b32 exec_lo, exec_lo, s4
	v_mov_b32_e32 v4, s15
	s_waitcnt_vscnt null, 0x0
	s_barrier
	buffer_gl0_inv
	s_mov_b32 s4, exec_lo
	s_clause 0x3
	buffer_load_dword v1, v4, s[0:3], 0 offen
	buffer_load_dword v2, v4, s[0:3], 0 offen offset:4
	buffer_load_dword v3, v4, s[0:3], 0 offen offset:8
	;; [unrolled: 1-line block ×3, first 2 shown]
	s_waitcnt vmcnt(0)
	ds_write_b128 v5, v[1:4]
	s_waitcnt lgkmcnt(0)
	s_barrier
	buffer_gl0_inv
	v_cmpx_gt_u32_e32 45, v0
	s_cbranch_execz .LBB112_195
; %bb.192:
	v_mov_b32_e32 v1, 0
	v_mov_b32_e32 v3, 0
	v_add_nc_u32_e32 v7, -1, v0
	v_add_nc_u32_e32 v8, 0x310, v109
	v_mov_b32_e32 v2, 0
	v_mov_b32_e32 v4, 0
	v_add_nc_u32_e32 v107, 16, v109
	s_mov_b32 s5, 0
	.p2align	6
.LBB112_193:                            ; =>This Inner Loop Header: Depth=1
	s_clause 0x3
	buffer_load_dword v114, v107, s[0:3], 0 offen offset:8
	buffer_load_dword v115, v107, s[0:3], 0 offen offset:12
	buffer_load_dword v116, v107, s[0:3], 0 offen
	buffer_load_dword v117, v107, s[0:3], 0 offen offset:4
	ds_read_b128 v[110:113], v8
	v_add_nc_u32_e32 v7, 1, v7
	v_add_nc_u32_e32 v8, 16, v8
	;; [unrolled: 1-line block ×3, first 2 shown]
	v_cmp_lt_u32_e32 vcc_lo, 43, v7
	s_or_b32 s5, vcc_lo, s5
	s_waitcnt vmcnt(2) lgkmcnt(0)
	v_mul_f64 v[118:119], v[112:113], v[114:115]
	v_mul_f64 v[114:115], v[110:111], v[114:115]
	s_waitcnt vmcnt(0)
	v_fma_f64 v[110:111], v[110:111], v[116:117], -v[118:119]
	v_fma_f64 v[112:113], v[112:113], v[116:117], v[114:115]
	v_add_f64 v[3:4], v[3:4], v[110:111]
	v_add_f64 v[1:2], v[1:2], v[112:113]
	s_andn2_b32 exec_lo, exec_lo, s5
	s_cbranch_execnz .LBB112_193
; %bb.194:
	s_or_b32 exec_lo, exec_lo, s5
	v_mov_b32_e32 v7, 0
	ds_read_b128 v[110:113], v7 offset:720
	s_waitcnt lgkmcnt(0)
	v_mul_f64 v[7:8], v[1:2], v[112:113]
	v_mul_f64 v[107:108], v[3:4], v[112:113]
	v_fma_f64 v[3:4], v[3:4], v[110:111], -v[7:8]
	v_fma_f64 v[1:2], v[1:2], v[110:111], v[107:108]
	buffer_store_dword v4, off, s[0:3], 0 offset:740
	buffer_store_dword v3, off, s[0:3], 0 offset:736
	;; [unrolled: 1-line block ×4, first 2 shown]
.LBB112_195:
	s_or_b32 exec_lo, exec_lo, s4
	v_mov_b32_e32 v4, s14
	s_waitcnt_vscnt null, 0x0
	s_barrier
	buffer_gl0_inv
	s_mov_b32 s4, exec_lo
	s_clause 0x3
	buffer_load_dword v1, v4, s[0:3], 0 offen
	buffer_load_dword v2, v4, s[0:3], 0 offen offset:4
	buffer_load_dword v3, v4, s[0:3], 0 offen offset:8
	;; [unrolled: 1-line block ×3, first 2 shown]
	s_waitcnt vmcnt(0)
	ds_write_b128 v5, v[1:4]
	s_waitcnt lgkmcnt(0)
	s_barrier
	buffer_gl0_inv
	v_cmpx_gt_u32_e32 46, v0
	s_cbranch_execz .LBB112_199
; %bb.196:
	v_mov_b32_e32 v1, 0
	v_mov_b32_e32 v3, 0
	v_add_nc_u32_e32 v7, -1, v0
	v_add_nc_u32_e32 v8, 0x310, v109
	v_mov_b32_e32 v2, 0
	v_mov_b32_e32 v4, 0
	v_add_nc_u32_e32 v107, 16, v109
	s_mov_b32 s5, 0
	.p2align	6
.LBB112_197:                            ; =>This Inner Loop Header: Depth=1
	s_clause 0x3
	buffer_load_dword v114, v107, s[0:3], 0 offen offset:8
	buffer_load_dword v115, v107, s[0:3], 0 offen offset:12
	buffer_load_dword v116, v107, s[0:3], 0 offen
	buffer_load_dword v117, v107, s[0:3], 0 offen offset:4
	ds_read_b128 v[110:113], v8
	v_add_nc_u32_e32 v7, 1, v7
	v_add_nc_u32_e32 v8, 16, v8
	;; [unrolled: 1-line block ×3, first 2 shown]
	v_cmp_lt_u32_e32 vcc_lo, 44, v7
	s_or_b32 s5, vcc_lo, s5
	s_waitcnt vmcnt(2) lgkmcnt(0)
	v_mul_f64 v[118:119], v[112:113], v[114:115]
	v_mul_f64 v[114:115], v[110:111], v[114:115]
	s_waitcnt vmcnt(0)
	v_fma_f64 v[110:111], v[110:111], v[116:117], -v[118:119]
	v_fma_f64 v[112:113], v[112:113], v[116:117], v[114:115]
	v_add_f64 v[3:4], v[3:4], v[110:111]
	v_add_f64 v[1:2], v[1:2], v[112:113]
	s_andn2_b32 exec_lo, exec_lo, s5
	s_cbranch_execnz .LBB112_197
; %bb.198:
	s_or_b32 exec_lo, exec_lo, s5
	v_mov_b32_e32 v7, 0
	ds_read_b128 v[110:113], v7 offset:736
	s_waitcnt lgkmcnt(0)
	v_mul_f64 v[7:8], v[1:2], v[112:113]
	v_mul_f64 v[107:108], v[3:4], v[112:113]
	v_fma_f64 v[3:4], v[3:4], v[110:111], -v[7:8]
	v_fma_f64 v[1:2], v[1:2], v[110:111], v[107:108]
	buffer_store_dword v4, off, s[0:3], 0 offset:756
	buffer_store_dword v3, off, s[0:3], 0 offset:752
	;; [unrolled: 1-line block ×4, first 2 shown]
.LBB112_199:
	s_or_b32 exec_lo, exec_lo, s4
	v_mov_b32_e32 v4, s9
	s_waitcnt_vscnt null, 0x0
	s_barrier
	buffer_gl0_inv
	s_mov_b32 s4, exec_lo
	s_clause 0x3
	buffer_load_dword v1, v4, s[0:3], 0 offen
	buffer_load_dword v2, v4, s[0:3], 0 offen offset:4
	buffer_load_dword v3, v4, s[0:3], 0 offen offset:8
	;; [unrolled: 1-line block ×3, first 2 shown]
	s_waitcnt vmcnt(0)
	ds_write_b128 v5, v[1:4]
	s_waitcnt lgkmcnt(0)
	s_barrier
	buffer_gl0_inv
	v_cmpx_gt_u32_e32 47, v0
	s_cbranch_execz .LBB112_203
; %bb.200:
	v_mov_b32_e32 v1, 0
	v_mov_b32_e32 v3, 0
	v_add_nc_u32_e32 v7, -1, v0
	v_add_nc_u32_e32 v8, 0x310, v109
	v_mov_b32_e32 v2, 0
	v_mov_b32_e32 v4, 0
	v_add_nc_u32_e32 v107, 16, v109
	s_mov_b32 s5, 0
	.p2align	6
.LBB112_201:                            ; =>This Inner Loop Header: Depth=1
	s_clause 0x3
	buffer_load_dword v114, v107, s[0:3], 0 offen offset:8
	buffer_load_dword v115, v107, s[0:3], 0 offen offset:12
	buffer_load_dword v116, v107, s[0:3], 0 offen
	buffer_load_dword v117, v107, s[0:3], 0 offen offset:4
	ds_read_b128 v[110:113], v8
	v_add_nc_u32_e32 v7, 1, v7
	v_add_nc_u32_e32 v8, 16, v8
	;; [unrolled: 1-line block ×3, first 2 shown]
	v_cmp_lt_u32_e32 vcc_lo, 45, v7
	s_or_b32 s5, vcc_lo, s5
	s_waitcnt vmcnt(2) lgkmcnt(0)
	v_mul_f64 v[118:119], v[112:113], v[114:115]
	v_mul_f64 v[114:115], v[110:111], v[114:115]
	s_waitcnt vmcnt(0)
	v_fma_f64 v[110:111], v[110:111], v[116:117], -v[118:119]
	v_fma_f64 v[112:113], v[112:113], v[116:117], v[114:115]
	v_add_f64 v[3:4], v[3:4], v[110:111]
	v_add_f64 v[1:2], v[1:2], v[112:113]
	s_andn2_b32 exec_lo, exec_lo, s5
	s_cbranch_execnz .LBB112_201
; %bb.202:
	s_or_b32 exec_lo, exec_lo, s5
	v_mov_b32_e32 v7, 0
	ds_read_b128 v[110:113], v7 offset:752
	s_waitcnt lgkmcnt(0)
	v_mul_f64 v[7:8], v[1:2], v[112:113]
	v_mul_f64 v[107:108], v[3:4], v[112:113]
	v_fma_f64 v[3:4], v[3:4], v[110:111], -v[7:8]
	v_fma_f64 v[1:2], v[1:2], v[110:111], v[107:108]
	buffer_store_dword v4, off, s[0:3], 0 offset:772
	buffer_store_dword v3, off, s[0:3], 0 offset:768
	;; [unrolled: 1-line block ×4, first 2 shown]
.LBB112_203:
	s_or_b32 exec_lo, exec_lo, s4
	v_mov_b32_e32 v4, s8
	s_waitcnt_vscnt null, 0x0
	s_barrier
	buffer_gl0_inv
	s_mov_b32 s4, exec_lo
	s_clause 0x3
	buffer_load_dword v1, v4, s[0:3], 0 offen
	buffer_load_dword v2, v4, s[0:3], 0 offen offset:4
	buffer_load_dword v3, v4, s[0:3], 0 offen offset:8
	buffer_load_dword v4, v4, s[0:3], 0 offen offset:12
	s_waitcnt vmcnt(0)
	ds_write_b128 v5, v[1:4]
	s_waitcnt lgkmcnt(0)
	s_barrier
	buffer_gl0_inv
	v_cmpx_ne_u32_e32 48, v0
	s_cbranch_execz .LBB112_207
; %bb.204:
	v_mov_b32_e32 v1, 0
	v_mov_b32_e32 v3, 0
	;; [unrolled: 1-line block ×4, first 2 shown]
	v_add_nc_u32_e32 v7, 16, v109
	s_mov_b32 s5, 0
	.p2align	6
.LBB112_205:                            ; =>This Inner Loop Header: Depth=1
	s_clause 0x3
	buffer_load_dword v111, v7, s[0:3], 0 offen offset:8
	buffer_load_dword v112, v7, s[0:3], 0 offen offset:12
	buffer_load_dword v113, v7, s[0:3], 0 offen
	buffer_load_dword v114, v7, s[0:3], 0 offen offset:4
	ds_read_b128 v[107:110], v5
	v_add_nc_u32_e32 v6, 1, v6
	v_add_nc_u32_e32 v5, 16, v5
	;; [unrolled: 1-line block ×3, first 2 shown]
	v_cmp_lt_u32_e32 vcc_lo, 46, v6
	s_or_b32 s5, vcc_lo, s5
	s_waitcnt vmcnt(2) lgkmcnt(0)
	v_mul_f64 v[115:116], v[109:110], v[111:112]
	v_mul_f64 v[111:112], v[107:108], v[111:112]
	s_waitcnt vmcnt(0)
	v_fma_f64 v[107:108], v[107:108], v[113:114], -v[115:116]
	v_fma_f64 v[109:110], v[109:110], v[113:114], v[111:112]
	v_add_f64 v[3:4], v[3:4], v[107:108]
	v_add_f64 v[1:2], v[1:2], v[109:110]
	s_andn2_b32 exec_lo, exec_lo, s5
	s_cbranch_execnz .LBB112_205
; %bb.206:
	s_or_b32 exec_lo, exec_lo, s5
	v_mov_b32_e32 v5, 0
	ds_read_b128 v[5:8], v5 offset:768
	s_waitcnt lgkmcnt(0)
	v_mul_f64 v[107:108], v[1:2], v[7:8]
	v_mul_f64 v[7:8], v[3:4], v[7:8]
	v_fma_f64 v[3:4], v[3:4], v[5:6], -v[107:108]
	v_fma_f64 v[1:2], v[1:2], v[5:6], v[7:8]
	buffer_store_dword v4, off, s[0:3], 0 offset:788
	buffer_store_dword v3, off, s[0:3], 0 offset:784
	;; [unrolled: 1-line block ×4, first 2 shown]
.LBB112_207:
	s_or_b32 exec_lo, exec_lo, s4
	s_mov_b32 s5, -1
	s_waitcnt_vscnt null, 0x0
	s_barrier
	buffer_gl0_inv
.LBB112_208:
	s_and_b32 vcc_lo, exec_lo, s5
	s_cbranch_vccz .LBB112_210
; %bb.209:
	s_lshl_b64 s[4:5], s[6:7], 2
	v_mov_b32_e32 v1, 0
	s_add_u32 s4, s10, s4
	s_addc_u32 s5, s11, s5
	global_load_dword v1, v1, s[4:5]
	s_waitcnt vmcnt(0)
	v_cmp_ne_u32_e32 vcc_lo, 0, v1
	s_cbranch_vccz .LBB112_211
.LBB112_210:
	s_endpgm
.LBB112_211:
	v_lshl_add_u32 v167, v0, 4, 0x310
	s_mov_b32 s4, exec_lo
	v_cmpx_eq_u32_e32 48, v0
	s_cbranch_execz .LBB112_213
; %bb.212:
	v_mov_b32_e32 v4, s9
	v_mov_b32_e32 v5, 0
	s_clause 0x3
	buffer_load_dword v1, v4, s[0:3], 0 offen
	buffer_load_dword v2, v4, s[0:3], 0 offen offset:4
	buffer_load_dword v3, v4, s[0:3], 0 offen offset:8
	;; [unrolled: 1-line block ×3, first 2 shown]
	buffer_store_dword v5, off, s[0:3], 0 offset:768
	buffer_store_dword v5, off, s[0:3], 0 offset:772
	;; [unrolled: 1-line block ×4, first 2 shown]
	s_waitcnt vmcnt(0)
	ds_write_b128 v167, v[1:4]
.LBB112_213:
	s_or_b32 exec_lo, exec_lo, s4
	s_waitcnt lgkmcnt(0)
	s_waitcnt_vscnt null, 0x0
	s_barrier
	buffer_gl0_inv
	s_clause 0x7
	buffer_load_dword v6, off, s[0:3], 0 offset:792
	buffer_load_dword v7, off, s[0:3], 0 offset:796
	;; [unrolled: 1-line block ×8, first 2 shown]
	v_mov_b32_e32 v1, 0
	s_mov_b32 s4, exec_lo
	ds_read_b128 v[2:5], v1 offset:1552
	s_waitcnt vmcnt(6) lgkmcnt(0)
	v_mul_f64 v[113:114], v[4:5], v[6:7]
	v_mul_f64 v[6:7], v[2:3], v[6:7]
	s_waitcnt vmcnt(4)
	v_fma_f64 v[2:3], v[2:3], v[107:108], -v[113:114]
	v_fma_f64 v[4:5], v[4:5], v[107:108], v[6:7]
	v_add_f64 v[2:3], v[2:3], 0
	v_add_f64 v[4:5], v[4:5], 0
	s_waitcnt vmcnt(2)
	v_add_f64 v[2:3], v[109:110], -v[2:3]
	s_waitcnt vmcnt(0)
	v_add_f64 v[4:5], v[111:112], -v[4:5]
	buffer_store_dword v2, off, s[0:3], 0 offset:768
	buffer_store_dword v3, off, s[0:3], 0 offset:772
	;; [unrolled: 1-line block ×4, first 2 shown]
	v_cmpx_lt_u32_e32 46, v0
	s_cbranch_execz .LBB112_215
; %bb.214:
	v_mov_b32_e32 v5, s14
	s_clause 0x3
	buffer_load_dword v2, v5, s[0:3], 0 offen
	buffer_load_dword v3, v5, s[0:3], 0 offen offset:4
	buffer_load_dword v4, v5, s[0:3], 0 offen offset:8
	;; [unrolled: 1-line block ×3, first 2 shown]
	buffer_store_dword v1, off, s[0:3], 0 offset:752
	buffer_store_dword v1, off, s[0:3], 0 offset:756
	;; [unrolled: 1-line block ×4, first 2 shown]
	s_waitcnt vmcnt(0)
	ds_write_b128 v167, v[2:5]
.LBB112_215:
	s_or_b32 exec_lo, exec_lo, s4
	s_waitcnt lgkmcnt(0)
	s_waitcnt_vscnt null, 0x0
	s_barrier
	buffer_gl0_inv
	s_clause 0xb
	buffer_load_dword v6, off, s[0:3], 0 offset:776
	buffer_load_dword v7, off, s[0:3], 0 offset:780
	;; [unrolled: 1-line block ×12, first 2 shown]
	ds_read_b128 v[2:5], v1 offset:1536
	ds_read_b128 v[107:110], v1 offset:1552
	s_mov_b32 s4, exec_lo
	s_waitcnt vmcnt(10) lgkmcnt(1)
	v_mul_f64 v[121:122], v[4:5], v[6:7]
	v_mul_f64 v[6:7], v[2:3], v[6:7]
	s_waitcnt vmcnt(8) lgkmcnt(0)
	v_mul_f64 v[123:124], v[109:110], v[111:112]
	v_mul_f64 v[111:112], v[107:108], v[111:112]
	s_waitcnt vmcnt(6)
	v_fma_f64 v[1:2], v[2:3], v[113:114], -v[121:122]
	v_fma_f64 v[3:4], v[4:5], v[113:114], v[6:7]
	s_waitcnt vmcnt(4)
	v_fma_f64 v[5:6], v[107:108], v[115:116], -v[123:124]
	v_fma_f64 v[7:8], v[109:110], v[115:116], v[111:112]
	v_add_f64 v[1:2], v[1:2], 0
	v_add_f64 v[3:4], v[3:4], 0
	;; [unrolled: 1-line block ×4, first 2 shown]
	s_waitcnt vmcnt(2)
	v_add_f64 v[1:2], v[117:118], -v[1:2]
	s_waitcnt vmcnt(0)
	v_add_f64 v[3:4], v[119:120], -v[3:4]
	buffer_store_dword v1, off, s[0:3], 0 offset:752
	buffer_store_dword v2, off, s[0:3], 0 offset:756
	;; [unrolled: 1-line block ×4, first 2 shown]
	v_cmpx_lt_u32_e32 45, v0
	s_cbranch_execz .LBB112_217
; %bb.216:
	v_mov_b32_e32 v4, s15
	v_mov_b32_e32 v5, 0
	s_clause 0x3
	buffer_load_dword v1, v4, s[0:3], 0 offen
	buffer_load_dword v2, v4, s[0:3], 0 offen offset:4
	buffer_load_dword v3, v4, s[0:3], 0 offen offset:8
	;; [unrolled: 1-line block ×3, first 2 shown]
	buffer_store_dword v5, off, s[0:3], 0 offset:736
	buffer_store_dword v5, off, s[0:3], 0 offset:740
	;; [unrolled: 1-line block ×4, first 2 shown]
	s_waitcnt vmcnt(0)
	ds_write_b128 v167, v[1:4]
.LBB112_217:
	s_or_b32 exec_lo, exec_lo, s4
	s_waitcnt lgkmcnt(0)
	s_waitcnt_vscnt null, 0x0
	s_barrier
	buffer_gl0_inv
	s_clause 0xf
	buffer_load_dword v6, off, s[0:3], 0 offset:760
	buffer_load_dword v7, off, s[0:3], 0 offset:764
	;; [unrolled: 1-line block ×16, first 2 shown]
	v_mov_b32_e32 v1, 0
	ds_read_b128 v[2:5], v1 offset:1520
	ds_read_b128 v[107:110], v1 offset:1536
	;; [unrolled: 1-line block ×3, first 2 shown]
	s_mov_b32 s4, exec_lo
	s_waitcnt vmcnt(14) lgkmcnt(2)
	v_mul_f64 v[129:130], v[4:5], v[6:7]
	v_mul_f64 v[6:7], v[2:3], v[6:7]
	s_waitcnt vmcnt(12) lgkmcnt(1)
	v_mul_f64 v[131:132], v[109:110], v[115:116]
	v_mul_f64 v[115:116], v[107:108], v[115:116]
	s_waitcnt vmcnt(10)
	v_fma_f64 v[2:3], v[2:3], v[117:118], -v[129:130]
	v_fma_f64 v[4:5], v[4:5], v[117:118], v[6:7]
	s_waitcnt vmcnt(8) lgkmcnt(0)
	v_mul_f64 v[117:118], v[113:114], v[119:120]
	s_waitcnt vmcnt(6)
	v_fma_f64 v[107:108], v[107:108], v[121:122], -v[131:132]
	v_mul_f64 v[6:7], v[111:112], v[119:120]
	v_fma_f64 v[109:110], v[109:110], v[121:122], v[115:116]
	v_add_f64 v[2:3], v[2:3], 0
	v_add_f64 v[4:5], v[4:5], 0
	s_waitcnt vmcnt(4)
	v_fma_f64 v[111:112], v[111:112], v[123:124], -v[117:118]
	v_fma_f64 v[6:7], v[113:114], v[123:124], v[6:7]
	v_add_f64 v[2:3], v[2:3], v[107:108]
	v_add_f64 v[4:5], v[4:5], v[109:110]
	;; [unrolled: 1-line block ×4, first 2 shown]
	s_waitcnt vmcnt(2)
	v_add_f64 v[2:3], v[125:126], -v[2:3]
	s_waitcnt vmcnt(0)
	v_add_f64 v[4:5], v[127:128], -v[4:5]
	buffer_store_dword v2, off, s[0:3], 0 offset:736
	buffer_store_dword v3, off, s[0:3], 0 offset:740
	buffer_store_dword v4, off, s[0:3], 0 offset:744
	buffer_store_dword v5, off, s[0:3], 0 offset:748
	v_cmpx_lt_u32_e32 44, v0
	s_cbranch_execz .LBB112_219
; %bb.218:
	v_mov_b32_e32 v5, s16
	s_clause 0x3
	buffer_load_dword v2, v5, s[0:3], 0 offen
	buffer_load_dword v3, v5, s[0:3], 0 offen offset:4
	buffer_load_dword v4, v5, s[0:3], 0 offen offset:8
	;; [unrolled: 1-line block ×3, first 2 shown]
	buffer_store_dword v1, off, s[0:3], 0 offset:720
	buffer_store_dword v1, off, s[0:3], 0 offset:724
	;; [unrolled: 1-line block ×4, first 2 shown]
	s_waitcnt vmcnt(0)
	ds_write_b128 v167, v[2:5]
.LBB112_219:
	s_or_b32 exec_lo, exec_lo, s4
	s_waitcnt lgkmcnt(0)
	s_waitcnt_vscnt null, 0x0
	s_barrier
	buffer_gl0_inv
	s_clause 0x13
	buffer_load_dword v6, off, s[0:3], 0 offset:744
	buffer_load_dword v7, off, s[0:3], 0 offset:748
	;; [unrolled: 1-line block ×20, first 2 shown]
	ds_read_b128 v[2:5], v1 offset:1504
	ds_read_b128 v[107:110], v1 offset:1520
	;; [unrolled: 1-line block ×3, first 2 shown]
	s_mov_b32 s4, exec_lo
	s_waitcnt vmcnt(18) lgkmcnt(2)
	v_mul_f64 v[133:134], v[4:5], v[6:7]
	v_mul_f64 v[6:7], v[2:3], v[6:7]
	s_waitcnt vmcnt(16) lgkmcnt(1)
	v_mul_f64 v[135:136], v[109:110], v[115:116]
	v_mul_f64 v[115:116], v[107:108], v[115:116]
	s_waitcnt vmcnt(14)
	v_fma_f64 v[133:134], v[2:3], v[117:118], -v[133:134]
	v_fma_f64 v[5:6], v[4:5], v[117:118], v[6:7]
	s_waitcnt vmcnt(12) lgkmcnt(0)
	v_mul_f64 v[7:8], v[111:112], v[119:120]
	v_mul_f64 v[117:118], v[113:114], v[119:120]
	s_waitcnt vmcnt(10)
	v_fma_f64 v[107:108], v[107:108], v[121:122], -v[135:136]
	ds_read_b128 v[1:4], v1 offset:1552
	v_fma_f64 v[109:110], v[109:110], v[121:122], v[115:116]
	v_add_f64 v[119:120], v[133:134], 0
	v_add_f64 v[5:6], v[5:6], 0
	s_waitcnt vmcnt(6)
	v_fma_f64 v[7:8], v[113:114], v[125:126], v[7:8]
	s_waitcnt lgkmcnt(0)
	v_mul_f64 v[121:122], v[3:4], v[123:124]
	v_fma_f64 v[111:112], v[111:112], v[125:126], -v[117:118]
	v_mul_f64 v[115:116], v[1:2], v[123:124]
	v_add_f64 v[107:108], v[119:120], v[107:108]
	v_add_f64 v[5:6], v[5:6], v[109:110]
	s_waitcnt vmcnt(4)
	v_fma_f64 v[1:2], v[1:2], v[127:128], -v[121:122]
	v_fma_f64 v[3:4], v[3:4], v[127:128], v[115:116]
	v_add_f64 v[107:108], v[107:108], v[111:112]
	v_add_f64 v[5:6], v[5:6], v[7:8]
	v_add_f64 v[1:2], v[107:108], v[1:2]
	v_add_f64 v[3:4], v[5:6], v[3:4]
	s_waitcnt vmcnt(2)
	v_add_f64 v[1:2], v[129:130], -v[1:2]
	s_waitcnt vmcnt(0)
	v_add_f64 v[3:4], v[131:132], -v[3:4]
	buffer_store_dword v1, off, s[0:3], 0 offset:720
	buffer_store_dword v2, off, s[0:3], 0 offset:724
	;; [unrolled: 1-line block ×4, first 2 shown]
	v_cmpx_lt_u32_e32 43, v0
	s_cbranch_execz .LBB112_221
; %bb.220:
	v_mov_b32_e32 v4, s17
	v_mov_b32_e32 v5, 0
	s_clause 0x3
	buffer_load_dword v1, v4, s[0:3], 0 offen
	buffer_load_dword v2, v4, s[0:3], 0 offen offset:4
	buffer_load_dword v3, v4, s[0:3], 0 offen offset:8
	;; [unrolled: 1-line block ×3, first 2 shown]
	buffer_store_dword v5, off, s[0:3], 0 offset:704
	buffer_store_dword v5, off, s[0:3], 0 offset:708
	;; [unrolled: 1-line block ×4, first 2 shown]
	s_waitcnt vmcnt(0)
	ds_write_b128 v167, v[1:4]
.LBB112_221:
	s_or_b32 exec_lo, exec_lo, s4
	s_waitcnt lgkmcnt(0)
	s_waitcnt_vscnt null, 0x0
	s_barrier
	buffer_gl0_inv
	s_clause 0x17
	buffer_load_dword v6, off, s[0:3], 0 offset:728
	buffer_load_dword v7, off, s[0:3], 0 offset:732
	;; [unrolled: 1-line block ×24, first 2 shown]
	v_mov_b32_e32 v1, 0
	ds_read_b128 v[2:5], v1 offset:1488
	ds_read_b128 v[107:110], v1 offset:1504
	ds_read_b128 v[111:114], v1 offset:1520
	s_mov_b32 s4, exec_lo
	s_waitcnt vmcnt(22) lgkmcnt(2)
	v_mul_f64 v[137:138], v[4:5], v[6:7]
	v_mul_f64 v[6:7], v[2:3], v[6:7]
	s_waitcnt vmcnt(20) lgkmcnt(1)
	v_mul_f64 v[139:140], v[109:110], v[115:116]
	v_mul_f64 v[115:116], v[107:108], v[115:116]
	s_waitcnt vmcnt(18)
	v_fma_f64 v[137:138], v[2:3], v[117:118], -v[137:138]
	v_fma_f64 v[6:7], v[4:5], v[117:118], v[6:7]
	ds_read_b128 v[2:5], v1 offset:1536
	s_waitcnt vmcnt(16) lgkmcnt(1)
	v_mul_f64 v[117:118], v[111:112], v[119:120]
	v_mul_f64 v[119:120], v[113:114], v[119:120]
	s_waitcnt vmcnt(14)
	v_fma_f64 v[139:140], v[107:108], v[121:122], -v[139:140]
	v_fma_f64 v[115:116], v[109:110], v[121:122], v[115:116]
	ds_read_b128 v[107:110], v1 offset:1552
	s_waitcnt vmcnt(10) lgkmcnt(1)
	v_mul_f64 v[121:122], v[2:3], v[123:124]
	v_add_f64 v[137:138], v[137:138], 0
	v_add_f64 v[6:7], v[6:7], 0
	v_mul_f64 v[123:124], v[4:5], v[123:124]
	s_waitcnt vmcnt(8)
	v_fma_f64 v[111:112], v[111:112], v[129:130], -v[119:120]
	v_fma_f64 v[113:114], v[113:114], v[129:130], v[117:118]
	s_waitcnt vmcnt(7) lgkmcnt(0)
	v_mul_f64 v[117:118], v[109:110], v[125:126]
	s_waitcnt vmcnt(5)
	v_fma_f64 v[4:5], v[4:5], v[131:132], v[121:122]
	v_add_f64 v[119:120], v[137:138], v[139:140]
	v_add_f64 v[6:7], v[6:7], v[115:116]
	v_fma_f64 v[2:3], v[2:3], v[131:132], -v[123:124]
	v_mul_f64 v[115:116], v[107:108], v[125:126]
	s_waitcnt vmcnt(4)
	v_fma_f64 v[107:108], v[107:108], v[127:128], -v[117:118]
	v_add_f64 v[111:112], v[119:120], v[111:112]
	v_add_f64 v[6:7], v[6:7], v[113:114]
	v_fma_f64 v[109:110], v[109:110], v[127:128], v[115:116]
	v_add_f64 v[2:3], v[111:112], v[2:3]
	v_add_f64 v[4:5], v[6:7], v[4:5]
	;; [unrolled: 1-line block ×4, first 2 shown]
	s_waitcnt vmcnt(2)
	v_add_f64 v[2:3], v[133:134], -v[2:3]
	s_waitcnt vmcnt(0)
	v_add_f64 v[4:5], v[135:136], -v[4:5]
	buffer_store_dword v3, off, s[0:3], 0 offset:708
	buffer_store_dword v2, off, s[0:3], 0 offset:704
	buffer_store_dword v5, off, s[0:3], 0 offset:716
	buffer_store_dword v4, off, s[0:3], 0 offset:712
	v_cmpx_lt_u32_e32 42, v0
	s_cbranch_execz .LBB112_223
; %bb.222:
	v_mov_b32_e32 v5, s18
	s_clause 0x3
	buffer_load_dword v2, v5, s[0:3], 0 offen
	buffer_load_dword v3, v5, s[0:3], 0 offen offset:4
	buffer_load_dword v4, v5, s[0:3], 0 offen offset:8
	;; [unrolled: 1-line block ×3, first 2 shown]
	buffer_store_dword v1, off, s[0:3], 0 offset:688
	buffer_store_dword v1, off, s[0:3], 0 offset:692
	;; [unrolled: 1-line block ×4, first 2 shown]
	s_waitcnt vmcnt(0)
	ds_write_b128 v167, v[2:5]
.LBB112_223:
	s_or_b32 exec_lo, exec_lo, s4
	s_waitcnt lgkmcnt(0)
	s_waitcnt_vscnt null, 0x0
	s_barrier
	buffer_gl0_inv
	s_clause 0x1b
	buffer_load_dword v6, off, s[0:3], 0 offset:712
	buffer_load_dword v7, off, s[0:3], 0 offset:716
	;; [unrolled: 1-line block ×28, first 2 shown]
	ds_read_b128 v[2:5], v1 offset:1472
	ds_read_b128 v[107:110], v1 offset:1488
	;; [unrolled: 1-line block ×3, first 2 shown]
	s_mov_b32 s4, exec_lo
	s_waitcnt vmcnt(26) lgkmcnt(2)
	v_mul_f64 v[141:142], v[4:5], v[6:7]
	v_mul_f64 v[6:7], v[2:3], v[6:7]
	s_waitcnt vmcnt(24) lgkmcnt(1)
	v_mul_f64 v[143:144], v[109:110], v[115:116]
	v_mul_f64 v[115:116], v[107:108], v[115:116]
	s_waitcnt vmcnt(22)
	v_fma_f64 v[141:142], v[2:3], v[117:118], -v[141:142]
	v_fma_f64 v[6:7], v[4:5], v[117:118], v[6:7]
	ds_read_b128 v[2:5], v1 offset:1520
	s_waitcnt vmcnt(20) lgkmcnt(1)
	v_mul_f64 v[117:118], v[111:112], v[119:120]
	v_mul_f64 v[119:120], v[113:114], v[119:120]
	s_waitcnt vmcnt(18)
	v_fma_f64 v[143:144], v[107:108], v[121:122], -v[143:144]
	v_fma_f64 v[115:116], v[109:110], v[121:122], v[115:116]
	ds_read_b128 v[107:110], v1 offset:1536
	s_waitcnt vmcnt(14) lgkmcnt(1)
	v_mul_f64 v[121:122], v[2:3], v[123:124]
	v_add_f64 v[141:142], v[141:142], 0
	v_add_f64 v[6:7], v[6:7], 0
	v_mul_f64 v[123:124], v[4:5], v[123:124]
	s_waitcnt vmcnt(12)
	v_fma_f64 v[119:120], v[111:112], v[129:130], -v[119:120]
	v_fma_f64 v[117:118], v[113:114], v[129:130], v[117:118]
	ds_read_b128 v[111:114], v1 offset:1552
	v_add_f64 v[141:142], v[141:142], v[143:144]
	v_add_f64 v[6:7], v[6:7], v[115:116]
	s_waitcnt vmcnt(11) lgkmcnt(1)
	v_mul_f64 v[115:116], v[107:108], v[125:126]
	v_mul_f64 v[125:126], v[109:110], v[125:126]
	s_waitcnt vmcnt(9)
	v_fma_f64 v[1:2], v[2:3], v[131:132], -v[123:124]
	v_fma_f64 v[3:4], v[4:5], v[131:132], v[121:122]
	v_add_f64 v[119:120], v[141:142], v[119:120]
	v_add_f64 v[5:6], v[6:7], v[117:118]
	s_waitcnt vmcnt(7) lgkmcnt(0)
	v_mul_f64 v[117:118], v[113:114], v[133:134]
	s_waitcnt vmcnt(6)
	v_fma_f64 v[107:108], v[107:108], v[127:128], -v[125:126]
	v_mul_f64 v[7:8], v[111:112], v[133:134]
	v_fma_f64 v[109:110], v[109:110], v[127:128], v[115:116]
	v_add_f64 v[1:2], v[119:120], v[1:2]
	v_add_f64 v[3:4], v[5:6], v[3:4]
	s_waitcnt vmcnt(4)
	v_fma_f64 v[5:6], v[111:112], v[135:136], -v[117:118]
	v_fma_f64 v[7:8], v[113:114], v[135:136], v[7:8]
	v_add_f64 v[1:2], v[1:2], v[107:108]
	v_add_f64 v[3:4], v[3:4], v[109:110]
	;; [unrolled: 1-line block ×4, first 2 shown]
	s_waitcnt vmcnt(2)
	v_add_f64 v[1:2], v[137:138], -v[1:2]
	s_waitcnt vmcnt(0)
	v_add_f64 v[3:4], v[139:140], -v[3:4]
	buffer_store_dword v2, off, s[0:3], 0 offset:692
	buffer_store_dword v1, off, s[0:3], 0 offset:688
	;; [unrolled: 1-line block ×4, first 2 shown]
	v_cmpx_lt_u32_e32 41, v0
	s_cbranch_execz .LBB112_225
; %bb.224:
	v_mov_b32_e32 v4, s19
	v_mov_b32_e32 v5, 0
	s_clause 0x3
	buffer_load_dword v1, v4, s[0:3], 0 offen
	buffer_load_dword v2, v4, s[0:3], 0 offen offset:4
	buffer_load_dword v3, v4, s[0:3], 0 offen offset:8
	;; [unrolled: 1-line block ×3, first 2 shown]
	buffer_store_dword v5, off, s[0:3], 0 offset:672
	buffer_store_dword v5, off, s[0:3], 0 offset:676
	;; [unrolled: 1-line block ×4, first 2 shown]
	s_waitcnt vmcnt(0)
	ds_write_b128 v167, v[1:4]
.LBB112_225:
	s_or_b32 exec_lo, exec_lo, s4
	s_waitcnt lgkmcnt(0)
	s_waitcnt_vscnt null, 0x0
	s_barrier
	buffer_gl0_inv
	s_clause 0x1f
	buffer_load_dword v6, off, s[0:3], 0 offset:696
	buffer_load_dword v7, off, s[0:3], 0 offset:700
	;; [unrolled: 1-line block ×32, first 2 shown]
	v_mov_b32_e32 v1, 0
	ds_read_b128 v[2:5], v1 offset:1456
	ds_read_b128 v[107:110], v1 offset:1472
	;; [unrolled: 1-line block ×3, first 2 shown]
	s_mov_b32 s4, exec_lo
	s_waitcnt vmcnt(30) lgkmcnt(2)
	v_mul_f64 v[145:146], v[4:5], v[6:7]
	v_mul_f64 v[6:7], v[2:3], v[6:7]
	s_waitcnt vmcnt(28) lgkmcnt(1)
	v_mul_f64 v[147:148], v[109:110], v[115:116]
	v_mul_f64 v[115:116], v[107:108], v[115:116]
	s_waitcnt vmcnt(26)
	v_fma_f64 v[145:146], v[2:3], v[117:118], -v[145:146]
	v_fma_f64 v[6:7], v[4:5], v[117:118], v[6:7]
	ds_read_b128 v[2:5], v1 offset:1504
	s_waitcnt vmcnt(24) lgkmcnt(1)
	v_mul_f64 v[117:118], v[111:112], v[119:120]
	v_mul_f64 v[119:120], v[113:114], v[119:120]
	s_waitcnt vmcnt(22)
	v_fma_f64 v[147:148], v[107:108], v[121:122], -v[147:148]
	v_fma_f64 v[115:116], v[109:110], v[121:122], v[115:116]
	ds_read_b128 v[107:110], v1 offset:1520
	s_waitcnt vmcnt(18) lgkmcnt(1)
	v_mul_f64 v[121:122], v[2:3], v[123:124]
	v_add_f64 v[145:146], v[145:146], 0
	v_add_f64 v[6:7], v[6:7], 0
	v_mul_f64 v[123:124], v[4:5], v[123:124]
	s_waitcnt vmcnt(16)
	v_fma_f64 v[119:120], v[111:112], v[129:130], -v[119:120]
	v_fma_f64 v[117:118], v[113:114], v[129:130], v[117:118]
	ds_read_b128 v[111:114], v1 offset:1536
	s_waitcnt vmcnt(13)
	v_fma_f64 v[121:122], v[4:5], v[131:132], v[121:122]
	v_add_f64 v[145:146], v[145:146], v[147:148]
	v_add_f64 v[6:7], v[6:7], v[115:116]
	s_waitcnt lgkmcnt(1)
	v_mul_f64 v[115:116], v[107:108], v[125:126]
	v_mul_f64 v[125:126], v[109:110], v[125:126]
	v_fma_f64 v[123:124], v[2:3], v[131:132], -v[123:124]
	s_waitcnt vmcnt(9) lgkmcnt(0)
	v_mul_f64 v[129:130], v[113:114], v[133:134]
	ds_read_b128 v[2:5], v1 offset:1552
	v_add_f64 v[119:120], v[145:146], v[119:120]
	v_add_f64 v[6:7], v[6:7], v[117:118]
	v_mul_f64 v[117:118], v[111:112], v[133:134]
	s_waitcnt vmcnt(8)
	v_fma_f64 v[107:108], v[107:108], v[127:128], -v[125:126]
	v_fma_f64 v[109:110], v[109:110], v[127:128], v[115:116]
	s_waitcnt vmcnt(5)
	v_fma_f64 v[111:112], v[111:112], v[139:140], -v[129:130]
	s_waitcnt lgkmcnt(0)
	v_mul_f64 v[115:116], v[2:3], v[135:136]
	v_add_f64 v[119:120], v[119:120], v[123:124]
	v_add_f64 v[6:7], v[6:7], v[121:122]
	v_mul_f64 v[121:122], v[4:5], v[135:136]
	v_fma_f64 v[113:114], v[113:114], v[139:140], v[117:118]
	s_waitcnt vmcnt(4)
	v_fma_f64 v[4:5], v[4:5], v[137:138], v[115:116]
	v_add_f64 v[107:108], v[119:120], v[107:108]
	v_add_f64 v[6:7], v[6:7], v[109:110]
	v_fma_f64 v[2:3], v[2:3], v[137:138], -v[121:122]
	v_add_f64 v[107:108], v[107:108], v[111:112]
	v_add_f64 v[6:7], v[6:7], v[113:114]
	;; [unrolled: 1-line block ×4, first 2 shown]
	s_waitcnt vmcnt(2)
	v_add_f64 v[2:3], v[141:142], -v[2:3]
	s_waitcnt vmcnt(0)
	v_add_f64 v[4:5], v[143:144], -v[4:5]
	buffer_store_dword v3, off, s[0:3], 0 offset:676
	buffer_store_dword v2, off, s[0:3], 0 offset:672
	;; [unrolled: 1-line block ×4, first 2 shown]
	v_cmpx_lt_u32_e32 40, v0
	s_cbranch_execz .LBB112_227
; %bb.226:
	v_mov_b32_e32 v5, s20
	s_clause 0x3
	buffer_load_dword v2, v5, s[0:3], 0 offen
	buffer_load_dword v3, v5, s[0:3], 0 offen offset:4
	buffer_load_dword v4, v5, s[0:3], 0 offen offset:8
	;; [unrolled: 1-line block ×3, first 2 shown]
	buffer_store_dword v1, off, s[0:3], 0 offset:656
	buffer_store_dword v1, off, s[0:3], 0 offset:660
	;; [unrolled: 1-line block ×4, first 2 shown]
	s_waitcnt vmcnt(0)
	ds_write_b128 v167, v[2:5]
.LBB112_227:
	s_or_b32 exec_lo, exec_lo, s4
	s_waitcnt lgkmcnt(0)
	s_waitcnt_vscnt null, 0x0
	s_barrier
	buffer_gl0_inv
	s_clause 0x23
	buffer_load_dword v6, off, s[0:3], 0 offset:680
	buffer_load_dword v7, off, s[0:3], 0 offset:684
	;; [unrolled: 1-line block ×36, first 2 shown]
	ds_read_b128 v[2:5], v1 offset:1440
	ds_read_b128 v[107:110], v1 offset:1456
	;; [unrolled: 1-line block ×3, first 2 shown]
	s_mov_b32 s4, exec_lo
	s_waitcnt vmcnt(34) lgkmcnt(2)
	v_mul_f64 v[149:150], v[4:5], v[6:7]
	v_mul_f64 v[6:7], v[2:3], v[6:7]
	s_waitcnt vmcnt(32) lgkmcnt(1)
	v_mul_f64 v[151:152], v[109:110], v[115:116]
	v_mul_f64 v[115:116], v[107:108], v[115:116]
	s_waitcnt vmcnt(30)
	v_fma_f64 v[149:150], v[2:3], v[117:118], -v[149:150]
	v_fma_f64 v[6:7], v[4:5], v[117:118], v[6:7]
	ds_read_b128 v[2:5], v1 offset:1488
	s_waitcnt vmcnt(28) lgkmcnt(1)
	v_mul_f64 v[117:118], v[111:112], v[119:120]
	v_mul_f64 v[119:120], v[113:114], v[119:120]
	s_waitcnt vmcnt(26)
	v_fma_f64 v[151:152], v[107:108], v[121:122], -v[151:152]
	v_fma_f64 v[115:116], v[109:110], v[121:122], v[115:116]
	ds_read_b128 v[107:110], v1 offset:1504
	s_waitcnt vmcnt(22) lgkmcnt(1)
	v_mul_f64 v[121:122], v[2:3], v[123:124]
	v_add_f64 v[149:150], v[149:150], 0
	v_add_f64 v[6:7], v[6:7], 0
	v_mul_f64 v[123:124], v[4:5], v[123:124]
	s_waitcnt vmcnt(20)
	v_fma_f64 v[119:120], v[111:112], v[129:130], -v[119:120]
	v_fma_f64 v[117:118], v[113:114], v[129:130], v[117:118]
	ds_read_b128 v[111:114], v1 offset:1520
	s_waitcnt vmcnt(17)
	v_fma_f64 v[121:122], v[4:5], v[131:132], v[121:122]
	v_add_f64 v[149:150], v[149:150], v[151:152]
	v_add_f64 v[6:7], v[6:7], v[115:116]
	s_waitcnt lgkmcnt(1)
	v_mul_f64 v[115:116], v[107:108], v[125:126]
	v_mul_f64 v[125:126], v[109:110], v[125:126]
	v_fma_f64 v[123:124], v[2:3], v[131:132], -v[123:124]
	s_waitcnt vmcnt(13) lgkmcnt(0)
	v_mul_f64 v[129:130], v[113:114], v[133:134]
	ds_read_b128 v[2:5], v1 offset:1536
	v_add_f64 v[119:120], v[149:150], v[119:120]
	v_add_f64 v[6:7], v[6:7], v[117:118]
	v_mul_f64 v[117:118], v[111:112], v[133:134]
	s_waitcnt vmcnt(12)
	v_fma_f64 v[125:126], v[107:108], v[127:128], -v[125:126]
	v_fma_f64 v[115:116], v[109:110], v[127:128], v[115:116]
	ds_read_b128 v[107:110], v1 offset:1552
	s_waitcnt vmcnt(9)
	v_fma_f64 v[111:112], v[111:112], v[139:140], -v[129:130]
	v_add_f64 v[119:120], v[119:120], v[123:124]
	v_add_f64 v[6:7], v[6:7], v[121:122]
	s_waitcnt lgkmcnt(1)
	v_mul_f64 v[123:124], v[4:5], v[135:136]
	v_mul_f64 v[121:122], v[2:3], v[135:136]
	v_fma_f64 v[113:114], v[113:114], v[139:140], v[117:118]
	s_waitcnt vmcnt(7) lgkmcnt(0)
	v_mul_f64 v[117:118], v[109:110], v[141:142]
	v_add_f64 v[119:120], v[119:120], v[125:126]
	v_add_f64 v[6:7], v[6:7], v[115:116]
	s_waitcnt vmcnt(6)
	v_fma_f64 v[1:2], v[2:3], v[137:138], -v[123:124]
	v_mul_f64 v[115:116], v[107:108], v[141:142]
	v_fma_f64 v[3:4], v[4:5], v[137:138], v[121:122]
	v_add_f64 v[111:112], v[119:120], v[111:112]
	v_add_f64 v[5:6], v[6:7], v[113:114]
	s_waitcnt vmcnt(4)
	v_fma_f64 v[7:8], v[107:108], v[143:144], -v[117:118]
	v_fma_f64 v[107:108], v[109:110], v[143:144], v[115:116]
	v_add_f64 v[1:2], v[111:112], v[1:2]
	v_add_f64 v[3:4], v[5:6], v[3:4]
	;; [unrolled: 1-line block ×4, first 2 shown]
	s_waitcnt vmcnt(2)
	v_add_f64 v[1:2], v[145:146], -v[1:2]
	s_waitcnt vmcnt(0)
	v_add_f64 v[3:4], v[147:148], -v[3:4]
	buffer_store_dword v2, off, s[0:3], 0 offset:660
	buffer_store_dword v1, off, s[0:3], 0 offset:656
	;; [unrolled: 1-line block ×4, first 2 shown]
	v_cmpx_lt_u32_e32 39, v0
	s_cbranch_execz .LBB112_229
; %bb.228:
	v_mov_b32_e32 v4, s21
	v_mov_b32_e32 v5, 0
	s_clause 0x3
	buffer_load_dword v1, v4, s[0:3], 0 offen
	buffer_load_dword v2, v4, s[0:3], 0 offen offset:4
	buffer_load_dword v3, v4, s[0:3], 0 offen offset:8
	;; [unrolled: 1-line block ×3, first 2 shown]
	buffer_store_dword v5, off, s[0:3], 0 offset:640
	buffer_store_dword v5, off, s[0:3], 0 offset:644
	;; [unrolled: 1-line block ×4, first 2 shown]
	s_waitcnt vmcnt(0)
	ds_write_b128 v167, v[1:4]
.LBB112_229:
	s_or_b32 exec_lo, exec_lo, s4
	s_waitcnt lgkmcnt(0)
	s_waitcnt_vscnt null, 0x0
	s_barrier
	buffer_gl0_inv
	s_clause 0x27
	buffer_load_dword v6, off, s[0:3], 0 offset:664
	buffer_load_dword v7, off, s[0:3], 0 offset:668
	;; [unrolled: 1-line block ×40, first 2 shown]
	v_mov_b32_e32 v1, 0
	ds_read_b128 v[2:5], v1 offset:1424
	ds_read_b128 v[107:110], v1 offset:1440
	;; [unrolled: 1-line block ×3, first 2 shown]
	s_mov_b32 s4, exec_lo
	s_waitcnt vmcnt(38) lgkmcnt(2)
	v_mul_f64 v[153:154], v[4:5], v[6:7]
	v_mul_f64 v[6:7], v[2:3], v[6:7]
	s_waitcnt vmcnt(36) lgkmcnt(1)
	v_mul_f64 v[155:156], v[109:110], v[115:116]
	v_mul_f64 v[115:116], v[107:108], v[115:116]
	s_waitcnt vmcnt(34)
	v_fma_f64 v[153:154], v[2:3], v[117:118], -v[153:154]
	v_fma_f64 v[6:7], v[4:5], v[117:118], v[6:7]
	ds_read_b128 v[2:5], v1 offset:1472
	s_waitcnt vmcnt(32) lgkmcnt(1)
	v_mul_f64 v[117:118], v[111:112], v[119:120]
	v_mul_f64 v[119:120], v[113:114], v[119:120]
	s_waitcnt vmcnt(30)
	v_fma_f64 v[155:156], v[107:108], v[121:122], -v[155:156]
	v_fma_f64 v[115:116], v[109:110], v[121:122], v[115:116]
	ds_read_b128 v[107:110], v1 offset:1488
	s_waitcnt vmcnt(26) lgkmcnt(1)
	v_mul_f64 v[121:122], v[2:3], v[123:124]
	v_add_f64 v[153:154], v[153:154], 0
	v_add_f64 v[6:7], v[6:7], 0
	v_mul_f64 v[123:124], v[4:5], v[123:124]
	s_waitcnt vmcnt(24)
	v_fma_f64 v[119:120], v[111:112], v[129:130], -v[119:120]
	v_fma_f64 v[117:118], v[113:114], v[129:130], v[117:118]
	ds_read_b128 v[111:114], v1 offset:1504
	s_waitcnt vmcnt(21)
	v_fma_f64 v[121:122], v[4:5], v[131:132], v[121:122]
	v_add_f64 v[153:154], v[153:154], v[155:156]
	v_add_f64 v[6:7], v[6:7], v[115:116]
	s_waitcnt lgkmcnt(1)
	v_mul_f64 v[115:116], v[107:108], v[125:126]
	v_mul_f64 v[125:126], v[109:110], v[125:126]
	v_fma_f64 v[123:124], v[2:3], v[131:132], -v[123:124]
	s_waitcnt vmcnt(17) lgkmcnt(0)
	v_mul_f64 v[129:130], v[113:114], v[133:134]
	ds_read_b128 v[2:5], v1 offset:1520
	v_add_f64 v[119:120], v[153:154], v[119:120]
	v_add_f64 v[6:7], v[6:7], v[117:118]
	v_mul_f64 v[117:118], v[111:112], v[133:134]
	s_waitcnt vmcnt(16)
	v_fma_f64 v[125:126], v[107:108], v[127:128], -v[125:126]
	v_fma_f64 v[115:116], v[109:110], v[127:128], v[115:116]
	ds_read_b128 v[107:110], v1 offset:1536
	s_waitcnt vmcnt(13)
	v_fma_f64 v[127:128], v[111:112], v[139:140], -v[129:130]
	v_add_f64 v[119:120], v[119:120], v[123:124]
	v_add_f64 v[6:7], v[6:7], v[121:122]
	s_waitcnt lgkmcnt(1)
	v_mul_f64 v[123:124], v[4:5], v[135:136]
	v_mul_f64 v[121:122], v[2:3], v[135:136]
	v_fma_f64 v[117:118], v[113:114], v[139:140], v[117:118]
	ds_read_b128 v[111:114], v1 offset:1552
	v_add_f64 v[119:120], v[119:120], v[125:126]
	v_add_f64 v[6:7], v[6:7], v[115:116]
	s_waitcnt vmcnt(9) lgkmcnt(1)
	v_mul_f64 v[125:126], v[109:110], v[141:142]
	s_waitcnt vmcnt(8)
	v_fma_f64 v[2:3], v[2:3], v[137:138], -v[123:124]
	v_mul_f64 v[115:116], v[107:108], v[141:142]
	v_fma_f64 v[4:5], v[4:5], v[137:138], v[121:122]
	s_waitcnt vmcnt(7) lgkmcnt(0)
	v_mul_f64 v[121:122], v[113:114], v[143:144]
	v_add_f64 v[119:120], v[119:120], v[127:128]
	v_add_f64 v[6:7], v[6:7], v[117:118]
	s_waitcnt vmcnt(5)
	v_fma_f64 v[107:108], v[107:108], v[147:148], -v[125:126]
	v_mul_f64 v[117:118], v[111:112], v[143:144]
	v_fma_f64 v[109:110], v[109:110], v[147:148], v[115:116]
	v_add_f64 v[2:3], v[119:120], v[2:3]
	v_add_f64 v[4:5], v[6:7], v[4:5]
	s_waitcnt vmcnt(4)
	v_fma_f64 v[6:7], v[111:112], v[145:146], -v[121:122]
	v_add_f64 v[2:3], v[2:3], v[107:108]
	v_fma_f64 v[107:108], v[113:114], v[145:146], v[117:118]
	v_add_f64 v[4:5], v[4:5], v[109:110]
	v_add_f64 v[2:3], v[2:3], v[6:7]
	;; [unrolled: 1-line block ×3, first 2 shown]
	s_waitcnt vmcnt(2)
	v_add_f64 v[2:3], v[149:150], -v[2:3]
	s_waitcnt vmcnt(0)
	v_add_f64 v[4:5], v[151:152], -v[4:5]
	buffer_store_dword v3, off, s[0:3], 0 offset:644
	buffer_store_dword v2, off, s[0:3], 0 offset:640
	;; [unrolled: 1-line block ×4, first 2 shown]
	v_cmpx_lt_u32_e32 38, v0
	s_cbranch_execz .LBB112_231
; %bb.230:
	v_mov_b32_e32 v5, s22
	s_clause 0x3
	buffer_load_dword v2, v5, s[0:3], 0 offen
	buffer_load_dword v3, v5, s[0:3], 0 offen offset:4
	buffer_load_dword v4, v5, s[0:3], 0 offen offset:8
	;; [unrolled: 1-line block ×3, first 2 shown]
	buffer_store_dword v1, off, s[0:3], 0 offset:624
	buffer_store_dword v1, off, s[0:3], 0 offset:628
	;; [unrolled: 1-line block ×4, first 2 shown]
	s_waitcnt vmcnt(0)
	ds_write_b128 v167, v[2:5]
.LBB112_231:
	s_or_b32 exec_lo, exec_lo, s4
	s_waitcnt lgkmcnt(0)
	s_waitcnt_vscnt null, 0x0
	s_barrier
	buffer_gl0_inv
	s_clause 0x2b
	buffer_load_dword v6, off, s[0:3], 0 offset:648
	buffer_load_dword v7, off, s[0:3], 0 offset:652
	;; [unrolled: 1-line block ×44, first 2 shown]
	ds_read_b128 v[2:5], v1 offset:1408
	ds_read_b128 v[107:110], v1 offset:1424
	;; [unrolled: 1-line block ×3, first 2 shown]
	s_mov_b32 s4, exec_lo
	s_waitcnt vmcnt(42) lgkmcnt(2)
	v_mul_f64 v[157:158], v[4:5], v[6:7]
	v_mul_f64 v[6:7], v[2:3], v[6:7]
	s_waitcnt vmcnt(40) lgkmcnt(1)
	v_mul_f64 v[159:160], v[109:110], v[115:116]
	v_mul_f64 v[115:116], v[107:108], v[115:116]
	s_waitcnt vmcnt(38)
	v_fma_f64 v[157:158], v[2:3], v[117:118], -v[157:158]
	v_fma_f64 v[6:7], v[4:5], v[117:118], v[6:7]
	ds_read_b128 v[2:5], v1 offset:1456
	s_waitcnt vmcnt(36) lgkmcnt(1)
	v_mul_f64 v[117:118], v[111:112], v[119:120]
	v_mul_f64 v[119:120], v[113:114], v[119:120]
	s_waitcnt vmcnt(34)
	v_fma_f64 v[159:160], v[107:108], v[121:122], -v[159:160]
	v_fma_f64 v[115:116], v[109:110], v[121:122], v[115:116]
	ds_read_b128 v[107:110], v1 offset:1472
	s_waitcnt vmcnt(32) lgkmcnt(1)
	v_mul_f64 v[121:122], v[2:3], v[123:124]
	v_add_f64 v[157:158], v[157:158], 0
	v_add_f64 v[6:7], v[6:7], 0
	v_mul_f64 v[123:124], v[4:5], v[123:124]
	s_waitcnt vmcnt(30)
	v_fma_f64 v[119:120], v[111:112], v[125:126], -v[119:120]
	v_fma_f64 v[117:118], v[113:114], v[125:126], v[117:118]
	ds_read_b128 v[111:114], v1 offset:1488
	s_waitcnt vmcnt(28) lgkmcnt(1)
	v_mul_f64 v[125:126], v[109:110], v[127:128]
	s_waitcnt vmcnt(26)
	v_fma_f64 v[121:122], v[4:5], v[129:130], v[121:122]
	v_add_f64 v[157:158], v[157:158], v[159:160]
	v_add_f64 v[6:7], v[6:7], v[115:116]
	v_fma_f64 v[123:124], v[2:3], v[129:130], -v[123:124]
	v_mul_f64 v[115:116], v[107:108], v[127:128]
	s_waitcnt vmcnt(24) lgkmcnt(0)
	v_mul_f64 v[127:128], v[113:114], v[131:132]
	ds_read_b128 v[2:5], v1 offset:1504
	s_waitcnt vmcnt(22)
	v_fma_f64 v[125:126], v[107:108], v[133:134], -v[125:126]
	v_add_f64 v[119:120], v[157:158], v[119:120]
	v_add_f64 v[6:7], v[6:7], v[117:118]
	v_mul_f64 v[117:118], v[111:112], v[131:132]
	v_fma_f64 v[115:116], v[109:110], v[133:134], v[115:116]
	ds_read_b128 v[107:110], v1 offset:1520
	s_waitcnt vmcnt(18)
	v_fma_f64 v[127:128], v[111:112], v[137:138], -v[127:128]
	v_add_f64 v[119:120], v[119:120], v[123:124]
	v_add_f64 v[6:7], v[6:7], v[121:122]
	s_waitcnt lgkmcnt(1)
	v_mul_f64 v[123:124], v[4:5], v[135:136]
	v_mul_f64 v[121:122], v[2:3], v[135:136]
	v_fma_f64 v[117:118], v[113:114], v[137:138], v[117:118]
	ds_read_b128 v[111:114], v1 offset:1536
	v_add_f64 v[119:120], v[119:120], v[125:126]
	v_add_f64 v[6:7], v[6:7], v[115:116]
	s_waitcnt vmcnt(16) lgkmcnt(1)
	v_mul_f64 v[125:126], v[109:110], v[139:140]
	s_waitcnt vmcnt(14)
	v_fma_f64 v[123:124], v[2:3], v[141:142], -v[123:124]
	v_mul_f64 v[115:116], v[107:108], v[139:140]
	v_fma_f64 v[121:122], v[4:5], v[141:142], v[121:122]
	ds_read_b128 v[1:4], v1 offset:1552
	v_add_f64 v[119:120], v[119:120], v[127:128]
	v_add_f64 v[5:6], v[6:7], v[117:118]
	s_waitcnt vmcnt(12) lgkmcnt(1)
	v_mul_f64 v[117:118], v[113:114], v[143:144]
	s_waitcnt vmcnt(10)
	v_fma_f64 v[107:108], v[107:108], v[145:146], -v[125:126]
	v_mul_f64 v[7:8], v[111:112], v[143:144]
	v_fma_f64 v[109:110], v[109:110], v[145:146], v[115:116]
	s_waitcnt vmcnt(8) lgkmcnt(0)
	v_mul_f64 v[115:116], v[1:2], v[147:148]
	v_add_f64 v[119:120], v[119:120], v[123:124]
	v_add_f64 v[5:6], v[5:6], v[121:122]
	v_mul_f64 v[121:122], v[3:4], v[147:148]
	s_waitcnt vmcnt(6)
	v_fma_f64 v[111:112], v[111:112], v[149:150], -v[117:118]
	v_fma_f64 v[7:8], v[113:114], v[149:150], v[7:8]
	s_waitcnt vmcnt(4)
	v_fma_f64 v[3:4], v[3:4], v[151:152], v[115:116]
	v_add_f64 v[107:108], v[119:120], v[107:108]
	v_add_f64 v[5:6], v[5:6], v[109:110]
	v_fma_f64 v[1:2], v[1:2], v[151:152], -v[121:122]
	v_add_f64 v[107:108], v[107:108], v[111:112]
	v_add_f64 v[5:6], v[5:6], v[7:8]
	v_add_f64 v[1:2], v[107:108], v[1:2]
	v_add_f64 v[3:4], v[5:6], v[3:4]
	s_waitcnt vmcnt(2)
	v_add_f64 v[1:2], v[153:154], -v[1:2]
	s_waitcnt vmcnt(0)
	v_add_f64 v[3:4], v[155:156], -v[3:4]
	buffer_store_dword v2, off, s[0:3], 0 offset:628
	buffer_store_dword v1, off, s[0:3], 0 offset:624
	;; [unrolled: 1-line block ×4, first 2 shown]
	v_cmpx_lt_u32_e32 37, v0
	s_cbranch_execz .LBB112_233
; %bb.232:
	v_mov_b32_e32 v4, s23
	v_mov_b32_e32 v5, 0
	s_clause 0x3
	buffer_load_dword v1, v4, s[0:3], 0 offen
	buffer_load_dword v2, v4, s[0:3], 0 offen offset:4
	buffer_load_dword v3, v4, s[0:3], 0 offen offset:8
	buffer_load_dword v4, v4, s[0:3], 0 offen offset:12
	buffer_store_dword v5, off, s[0:3], 0 offset:608
	buffer_store_dword v5, off, s[0:3], 0 offset:612
	;; [unrolled: 1-line block ×4, first 2 shown]
	s_waitcnt vmcnt(0)
	ds_write_b128 v167, v[1:4]
.LBB112_233:
	s_or_b32 exec_lo, exec_lo, s4
	s_waitcnt lgkmcnt(0)
	s_waitcnt_vscnt null, 0x0
	s_barrier
	buffer_gl0_inv
	s_clause 0x2f
	buffer_load_dword v6, off, s[0:3], 0 offset:632
	buffer_load_dword v7, off, s[0:3], 0 offset:636
	buffer_load_dword v115, off, s[0:3], 0 offset:648
	buffer_load_dword v116, off, s[0:3], 0 offset:652
	buffer_load_dword v117, off, s[0:3], 0 offset:624
	buffer_load_dword v118, off, s[0:3], 0 offset:628
	buffer_load_dword v119, off, s[0:3], 0 offset:664
	buffer_load_dword v120, off, s[0:3], 0 offset:668
	buffer_load_dword v121, off, s[0:3], 0 offset:640
	buffer_load_dword v122, off, s[0:3], 0 offset:644
	buffer_load_dword v124, off, s[0:3], 0 offset:684
	buffer_load_dword v125, off, s[0:3], 0 offset:696
	buffer_load_dword v127, off, s[0:3], 0 offset:688
	buffer_load_dword v123, off, s[0:3], 0 offset:680
	buffer_load_dword v129, off, s[0:3], 0 offset:656
	buffer_load_dword v130, off, s[0:3], 0 offset:660
	buffer_load_dword v126, off, s[0:3], 0 offset:700
	buffer_load_dword v132, off, s[0:3], 0 offset:676
	buffer_load_dword v131, off, s[0:3], 0 offset:672
	buffer_load_dword v134, off, s[0:3], 0 offset:716
	buffer_load_dword v135, off, s[0:3], 0 offset:728
	buffer_load_dword v137, off, s[0:3], 0 offset:720
	buffer_load_dword v133, off, s[0:3], 0 offset:712
	buffer_load_dword v128, off, s[0:3], 0 offset:692
	buffer_load_dword v136, off, s[0:3], 0 offset:732
	buffer_load_dword v140, off, s[0:3], 0 offset:708
	buffer_load_dword v139, off, s[0:3], 0 offset:704
	buffer_load_dword v142, off, s[0:3], 0 offset:748
	buffer_load_dword v143, off, s[0:3], 0 offset:760
	buffer_load_dword v145, off, s[0:3], 0 offset:752
	buffer_load_dword v141, off, s[0:3], 0 offset:744
	buffer_load_dword v138, off, s[0:3], 0 offset:724
	buffer_load_dword v144, off, s[0:3], 0 offset:764
	buffer_load_dword v148, off, s[0:3], 0 offset:740
	buffer_load_dword v147, off, s[0:3], 0 offset:736
	buffer_load_dword v150, off, s[0:3], 0 offset:780
	buffer_load_dword v151, off, s[0:3], 0 offset:792
	buffer_load_dword v153, off, s[0:3], 0 offset:784
	buffer_load_dword v149, off, s[0:3], 0 offset:776
	buffer_load_dword v146, off, s[0:3], 0 offset:756
	buffer_load_dword v152, off, s[0:3], 0 offset:796
	buffer_load_dword v156, off, s[0:3], 0 offset:772
	buffer_load_dword v155, off, s[0:3], 0 offset:768
	buffer_load_dword v154, off, s[0:3], 0 offset:788
	buffer_load_dword v157, off, s[0:3], 0 offset:608
	buffer_load_dword v158, off, s[0:3], 0 offset:612
	buffer_load_dword v159, off, s[0:3], 0 offset:616
	buffer_load_dword v160, off, s[0:3], 0 offset:620
	v_mov_b32_e32 v1, 0
	ds_read_b128 v[2:5], v1 offset:1392
	ds_read_b128 v[107:110], v1 offset:1408
	;; [unrolled: 1-line block ×3, first 2 shown]
	s_mov_b32 s4, exec_lo
	s_waitcnt vmcnt(46) lgkmcnt(2)
	v_mul_f64 v[161:162], v[4:5], v[6:7]
	v_mul_f64 v[6:7], v[2:3], v[6:7]
	s_waitcnt vmcnt(44) lgkmcnt(1)
	v_mul_f64 v[163:164], v[109:110], v[115:116]
	v_mul_f64 v[115:116], v[107:108], v[115:116]
	s_waitcnt vmcnt(42)
	v_fma_f64 v[161:162], v[2:3], v[117:118], -v[161:162]
	v_fma_f64 v[6:7], v[4:5], v[117:118], v[6:7]
	ds_read_b128 v[2:5], v1 offset:1440
	s_waitcnt vmcnt(40) lgkmcnt(1)
	v_mul_f64 v[117:118], v[111:112], v[119:120]
	v_mul_f64 v[119:120], v[113:114], v[119:120]
	s_waitcnt vmcnt(38)
	v_fma_f64 v[163:164], v[107:108], v[121:122], -v[163:164]
	v_fma_f64 v[115:116], v[109:110], v[121:122], v[115:116]
	ds_read_b128 v[107:110], v1 offset:1456
	s_waitcnt vmcnt(34) lgkmcnt(1)
	v_mul_f64 v[121:122], v[2:3], v[123:124]
	v_add_f64 v[161:162], v[161:162], 0
	v_add_f64 v[6:7], v[6:7], 0
	v_mul_f64 v[123:124], v[4:5], v[123:124]
	s_waitcnt vmcnt(32)
	v_fma_f64 v[119:120], v[111:112], v[129:130], -v[119:120]
	v_fma_f64 v[117:118], v[113:114], v[129:130], v[117:118]
	ds_read_b128 v[111:114], v1 offset:1472
	s_waitcnt vmcnt(29)
	v_fma_f64 v[121:122], v[4:5], v[131:132], v[121:122]
	v_add_f64 v[161:162], v[161:162], v[163:164]
	v_add_f64 v[6:7], v[6:7], v[115:116]
	s_waitcnt lgkmcnt(1)
	v_mul_f64 v[115:116], v[107:108], v[125:126]
	v_mul_f64 v[125:126], v[109:110], v[125:126]
	v_fma_f64 v[123:124], v[2:3], v[131:132], -v[123:124]
	s_waitcnt vmcnt(25) lgkmcnt(0)
	v_mul_f64 v[129:130], v[113:114], v[133:134]
	ds_read_b128 v[2:5], v1 offset:1488
	v_add_f64 v[119:120], v[161:162], v[119:120]
	v_add_f64 v[6:7], v[6:7], v[117:118]
	v_mul_f64 v[117:118], v[111:112], v[133:134]
	s_waitcnt vmcnt(24)
	v_fma_f64 v[125:126], v[107:108], v[127:128], -v[125:126]
	v_fma_f64 v[115:116], v[109:110], v[127:128], v[115:116]
	ds_read_b128 v[107:110], v1 offset:1504
	s_waitcnt vmcnt(21)
	v_fma_f64 v[127:128], v[111:112], v[139:140], -v[129:130]
	v_add_f64 v[119:120], v[119:120], v[123:124]
	v_add_f64 v[6:7], v[6:7], v[121:122]
	s_waitcnt lgkmcnt(1)
	v_mul_f64 v[123:124], v[4:5], v[135:136]
	v_mul_f64 v[121:122], v[2:3], v[135:136]
	v_fma_f64 v[117:118], v[113:114], v[139:140], v[117:118]
	ds_read_b128 v[111:114], v1 offset:1520
	v_add_f64 v[119:120], v[119:120], v[125:126]
	v_add_f64 v[6:7], v[6:7], v[115:116]
	s_waitcnt vmcnt(17) lgkmcnt(1)
	v_mul_f64 v[125:126], v[109:110], v[141:142]
	s_waitcnt vmcnt(16)
	v_fma_f64 v[123:124], v[2:3], v[137:138], -v[123:124]
	v_mul_f64 v[115:116], v[107:108], v[141:142]
	v_fma_f64 v[121:122], v[4:5], v[137:138], v[121:122]
	ds_read_b128 v[2:5], v1 offset:1536
	v_add_f64 v[119:120], v[119:120], v[127:128]
	v_add_f64 v[6:7], v[6:7], v[117:118]
	s_waitcnt vmcnt(15) lgkmcnt(1)
	v_mul_f64 v[127:128], v[113:114], v[143:144]
	s_waitcnt vmcnt(13)
	v_fma_f64 v[125:126], v[107:108], v[147:148], -v[125:126]
	;; [unrolled: 9-line block ×3, first 2 shown]
	v_mul_f64 v[121:122], v[2:3], v[149:150]
	v_fma_f64 v[113:114], v[113:114], v[145:146], v[117:118]
	s_waitcnt vmcnt(7) lgkmcnt(0)
	v_mul_f64 v[117:118], v[109:110], v[151:152]
	v_add_f64 v[119:120], v[119:120], v[125:126]
	v_add_f64 v[6:7], v[6:7], v[115:116]
	s_waitcnt vmcnt(5)
	v_fma_f64 v[2:3], v[2:3], v[155:156], -v[123:124]
	v_mul_f64 v[115:116], v[107:108], v[151:152]
	v_fma_f64 v[4:5], v[4:5], v[155:156], v[121:122]
	s_waitcnt vmcnt(4)
	v_fma_f64 v[107:108], v[107:108], v[153:154], -v[117:118]
	v_add_f64 v[111:112], v[119:120], v[111:112]
	v_add_f64 v[6:7], v[6:7], v[113:114]
	v_fma_f64 v[109:110], v[109:110], v[153:154], v[115:116]
	v_add_f64 v[2:3], v[111:112], v[2:3]
	v_add_f64 v[4:5], v[6:7], v[4:5]
	;; [unrolled: 1-line block ×4, first 2 shown]
	s_waitcnt vmcnt(2)
	v_add_f64 v[2:3], v[157:158], -v[2:3]
	s_waitcnt vmcnt(0)
	v_add_f64 v[4:5], v[159:160], -v[4:5]
	buffer_store_dword v3, off, s[0:3], 0 offset:612
	buffer_store_dword v2, off, s[0:3], 0 offset:608
	;; [unrolled: 1-line block ×4, first 2 shown]
	v_cmpx_lt_u32_e32 36, v0
	s_cbranch_execz .LBB112_235
; %bb.234:
	v_mov_b32_e32 v5, s24
	s_clause 0x3
	buffer_load_dword v2, v5, s[0:3], 0 offen
	buffer_load_dword v3, v5, s[0:3], 0 offen offset:4
	buffer_load_dword v4, v5, s[0:3], 0 offen offset:8
	;; [unrolled: 1-line block ×3, first 2 shown]
	buffer_store_dword v1, off, s[0:3], 0 offset:592
	buffer_store_dword v1, off, s[0:3], 0 offset:596
	;; [unrolled: 1-line block ×4, first 2 shown]
	s_waitcnt vmcnt(0)
	ds_write_b128 v167, v[2:5]
.LBB112_235:
	s_or_b32 exec_lo, exec_lo, s4
	s_waitcnt lgkmcnt(0)
	s_waitcnt_vscnt null, 0x0
	s_barrier
	buffer_gl0_inv
	s_clause 0x2f
	buffer_load_dword v6, off, s[0:3], 0 offset:616
	buffer_load_dword v7, off, s[0:3], 0 offset:620
	;; [unrolled: 1-line block ×48, first 2 shown]
	ds_read_b128 v[2:5], v1 offset:1376
	s_clause 0x3
	buffer_load_dword v161, off, s[0:3], 0 offset:592
	buffer_load_dword v162, off, s[0:3], 0 offset:596
	;; [unrolled: 1-line block ×4, first 2 shown]
	ds_read_b128 v[107:110], v1 offset:1392
	ds_read_b128 v[111:114], v1 offset:1408
	s_mov_b32 s4, exec_lo
	s_waitcnt vmcnt(50) lgkmcnt(2)
	v_mul_f64 v[165:166], v[4:5], v[6:7]
	v_mul_f64 v[6:7], v[2:3], v[6:7]
	s_waitcnt vmcnt(48) lgkmcnt(1)
	v_mul_f64 v[168:169], v[109:110], v[115:116]
	v_mul_f64 v[115:116], v[107:108], v[115:116]
	s_waitcnt vmcnt(46)
	v_fma_f64 v[165:166], v[2:3], v[117:118], -v[165:166]
	v_fma_f64 v[6:7], v[4:5], v[117:118], v[6:7]
	s_waitcnt vmcnt(44) lgkmcnt(0)
	v_mul_f64 v[117:118], v[111:112], v[119:120]
	v_mul_f64 v[119:120], v[113:114], v[119:120]
	s_waitcnt vmcnt(42)
	v_fma_f64 v[168:169], v[107:108], v[121:122], -v[168:169]
	ds_read_b128 v[2:5], v1 offset:1424
	v_fma_f64 v[115:116], v[109:110], v[121:122], v[115:116]
	ds_read_b128 v[107:110], v1 offset:1440
	v_add_f64 v[165:166], v[165:166], 0
	v_add_f64 v[6:7], v[6:7], 0
	s_waitcnt vmcnt(36)
	v_fma_f64 v[117:118], v[113:114], v[129:130], v[117:118]
	s_waitcnt lgkmcnt(1)
	v_mul_f64 v[121:122], v[2:3], v[123:124]
	v_mul_f64 v[123:124], v[4:5], v[123:124]
	v_fma_f64 v[119:120], v[111:112], v[129:130], -v[119:120]
	ds_read_b128 v[111:114], v1 offset:1456
	v_add_f64 v[165:166], v[165:166], v[168:169]
	v_add_f64 v[6:7], v[6:7], v[115:116]
	s_waitcnt vmcnt(35) lgkmcnt(1)
	v_mul_f64 v[115:116], v[107:108], v[125:126]
	v_mul_f64 v[125:126], v[109:110], v[125:126]
	s_waitcnt vmcnt(33)
	v_fma_f64 v[123:124], v[2:3], v[131:132], -v[123:124]
	v_fma_f64 v[121:122], v[4:5], v[131:132], v[121:122]
	ds_read_b128 v[2:5], v1 offset:1472
	s_waitcnt vmcnt(29) lgkmcnt(1)
	v_mul_f64 v[129:130], v[113:114], v[133:134]
	v_add_f64 v[119:120], v[165:166], v[119:120]
	v_add_f64 v[6:7], v[6:7], v[117:118]
	v_mul_f64 v[117:118], v[111:112], v[133:134]
	s_waitcnt vmcnt(28)
	v_fma_f64 v[125:126], v[107:108], v[127:128], -v[125:126]
	v_fma_f64 v[115:116], v[109:110], v[127:128], v[115:116]
	ds_read_b128 v[107:110], v1 offset:1488
	s_waitcnt vmcnt(25)
	v_fma_f64 v[127:128], v[111:112], v[139:140], -v[129:130]
	v_add_f64 v[119:120], v[119:120], v[123:124]
	v_add_f64 v[6:7], v[6:7], v[121:122]
	s_waitcnt lgkmcnt(1)
	v_mul_f64 v[123:124], v[4:5], v[135:136]
	v_mul_f64 v[121:122], v[2:3], v[135:136]
	v_fma_f64 v[117:118], v[113:114], v[139:140], v[117:118]
	ds_read_b128 v[111:114], v1 offset:1504
	v_add_f64 v[119:120], v[119:120], v[125:126]
	v_add_f64 v[6:7], v[6:7], v[115:116]
	s_waitcnt vmcnt(21) lgkmcnt(1)
	v_mul_f64 v[125:126], v[109:110], v[141:142]
	s_waitcnt vmcnt(20)
	v_fma_f64 v[123:124], v[2:3], v[137:138], -v[123:124]
	v_mul_f64 v[115:116], v[107:108], v[141:142]
	v_fma_f64 v[121:122], v[4:5], v[137:138], v[121:122]
	ds_read_b128 v[2:5], v1 offset:1520
	v_add_f64 v[119:120], v[119:120], v[127:128]
	v_add_f64 v[6:7], v[6:7], v[117:118]
	s_waitcnt vmcnt(19) lgkmcnt(1)
	v_mul_f64 v[127:128], v[113:114], v[143:144]
	s_waitcnt vmcnt(17)
	v_fma_f64 v[125:126], v[107:108], v[147:148], -v[125:126]
	;; [unrolled: 9-line block ×4, first 2 shown]
	v_mul_f64 v[115:116], v[107:108], v[151:152]
	v_fma_f64 v[3:4], v[4:5], v[155:156], v[121:122]
	v_add_f64 v[119:120], v[119:120], v[127:128]
	v_add_f64 v[5:6], v[6:7], v[117:118]
	s_waitcnt vmcnt(7) lgkmcnt(0)
	v_mul_f64 v[117:118], v[113:114], v[157:158]
	s_waitcnt vmcnt(6)
	v_fma_f64 v[107:108], v[107:108], v[153:154], -v[125:126]
	v_mul_f64 v[7:8], v[111:112], v[157:158]
	v_fma_f64 v[109:110], v[109:110], v[153:154], v[115:116]
	v_add_f64 v[1:2], v[119:120], v[1:2]
	v_add_f64 v[3:4], v[5:6], v[3:4]
	s_waitcnt vmcnt(4)
	v_fma_f64 v[5:6], v[111:112], v[159:160], -v[117:118]
	v_fma_f64 v[7:8], v[113:114], v[159:160], v[7:8]
	v_add_f64 v[1:2], v[1:2], v[107:108]
	v_add_f64 v[3:4], v[3:4], v[109:110]
	;; [unrolled: 1-line block ×4, first 2 shown]
	s_waitcnt vmcnt(2)
	v_add_f64 v[1:2], v[161:162], -v[1:2]
	s_waitcnt vmcnt(0)
	v_add_f64 v[3:4], v[163:164], -v[3:4]
	buffer_store_dword v2, off, s[0:3], 0 offset:596
	buffer_store_dword v1, off, s[0:3], 0 offset:592
	;; [unrolled: 1-line block ×4, first 2 shown]
	v_cmpx_lt_u32_e32 35, v0
	s_cbranch_execz .LBB112_237
; %bb.236:
	v_mov_b32_e32 v4, s25
	v_mov_b32_e32 v5, 0
	s_clause 0x3
	buffer_load_dword v1, v4, s[0:3], 0 offen
	buffer_load_dword v2, v4, s[0:3], 0 offen offset:4
	buffer_load_dword v3, v4, s[0:3], 0 offen offset:8
	;; [unrolled: 1-line block ×3, first 2 shown]
	buffer_store_dword v5, off, s[0:3], 0 offset:576
	buffer_store_dword v5, off, s[0:3], 0 offset:580
	;; [unrolled: 1-line block ×4, first 2 shown]
	s_waitcnt vmcnt(0)
	ds_write_b128 v167, v[1:4]
.LBB112_237:
	s_or_b32 exec_lo, exec_lo, s4
	s_waitcnt lgkmcnt(0)
	s_waitcnt_vscnt null, 0x0
	s_barrier
	buffer_gl0_inv
	s_clause 0x33
	buffer_load_dword v6, off, s[0:3], 0 offset:600
	buffer_load_dword v7, off, s[0:3], 0 offset:604
	;; [unrolled: 1-line block ×52, first 2 shown]
	v_mov_b32_e32 v1, 0
	ds_read_b128 v[2:5], v1 offset:1360
	ds_read_b128 v[107:110], v1 offset:1376
	s_clause 0x3
	buffer_load_dword v168, off, s[0:3], 0 offset:576
	buffer_load_dword v169, off, s[0:3], 0 offset:580
	;; [unrolled: 1-line block ×4, first 2 shown]
	ds_read_b128 v[111:114], v1 offset:1392
	s_mov_b32 s4, exec_lo
	s_waitcnt vmcnt(54) lgkmcnt(2)
	v_mul_f64 v[165:166], v[4:5], v[6:7]
	v_mul_f64 v[6:7], v[2:3], v[6:7]
	s_waitcnt vmcnt(52) lgkmcnt(1)
	v_mul_f64 v[172:173], v[109:110], v[115:116]
	v_mul_f64 v[115:116], v[107:108], v[115:116]
	s_waitcnt vmcnt(50)
	v_fma_f64 v[165:166], v[2:3], v[117:118], -v[165:166]
	v_fma_f64 v[6:7], v[4:5], v[117:118], v[6:7]
	ds_read_b128 v[2:5], v1 offset:1408
	s_waitcnt vmcnt(48) lgkmcnt(1)
	v_mul_f64 v[117:118], v[111:112], v[119:120]
	v_mul_f64 v[119:120], v[113:114], v[119:120]
	s_waitcnt vmcnt(46)
	v_fma_f64 v[172:173], v[107:108], v[121:122], -v[172:173]
	v_fma_f64 v[115:116], v[109:110], v[121:122], v[115:116]
	ds_read_b128 v[107:110], v1 offset:1424
	s_waitcnt vmcnt(42) lgkmcnt(1)
	v_mul_f64 v[121:122], v[2:3], v[123:124]
	v_add_f64 v[165:166], v[165:166], 0
	v_add_f64 v[6:7], v[6:7], 0
	v_mul_f64 v[123:124], v[4:5], v[123:124]
	s_waitcnt vmcnt(40)
	v_fma_f64 v[119:120], v[111:112], v[129:130], -v[119:120]
	v_fma_f64 v[117:118], v[113:114], v[129:130], v[117:118]
	ds_read_b128 v[111:114], v1 offset:1440
	s_waitcnt vmcnt(37)
	v_fma_f64 v[121:122], v[4:5], v[131:132], v[121:122]
	v_add_f64 v[165:166], v[165:166], v[172:173]
	v_add_f64 v[6:7], v[6:7], v[115:116]
	s_waitcnt lgkmcnt(1)
	v_mul_f64 v[115:116], v[107:108], v[125:126]
	v_mul_f64 v[125:126], v[109:110], v[125:126]
	v_fma_f64 v[123:124], v[2:3], v[131:132], -v[123:124]
	s_waitcnt vmcnt(33) lgkmcnt(0)
	v_mul_f64 v[129:130], v[113:114], v[133:134]
	ds_read_b128 v[2:5], v1 offset:1456
	v_add_f64 v[119:120], v[165:166], v[119:120]
	v_add_f64 v[6:7], v[6:7], v[117:118]
	v_mul_f64 v[117:118], v[111:112], v[133:134]
	s_waitcnt vmcnt(32)
	v_fma_f64 v[125:126], v[107:108], v[127:128], -v[125:126]
	v_fma_f64 v[115:116], v[109:110], v[127:128], v[115:116]
	ds_read_b128 v[107:110], v1 offset:1472
	s_waitcnt vmcnt(29)
	v_fma_f64 v[127:128], v[111:112], v[139:140], -v[129:130]
	v_add_f64 v[119:120], v[119:120], v[123:124]
	v_add_f64 v[6:7], v[6:7], v[121:122]
	s_waitcnt lgkmcnt(1)
	v_mul_f64 v[123:124], v[4:5], v[135:136]
	v_mul_f64 v[121:122], v[2:3], v[135:136]
	v_fma_f64 v[117:118], v[113:114], v[139:140], v[117:118]
	ds_read_b128 v[111:114], v1 offset:1488
	v_add_f64 v[119:120], v[119:120], v[125:126]
	v_add_f64 v[6:7], v[6:7], v[115:116]
	s_waitcnt vmcnt(25) lgkmcnt(1)
	v_mul_f64 v[125:126], v[109:110], v[141:142]
	s_waitcnt vmcnt(24)
	v_fma_f64 v[123:124], v[2:3], v[137:138], -v[123:124]
	v_mul_f64 v[115:116], v[107:108], v[141:142]
	v_fma_f64 v[121:122], v[4:5], v[137:138], v[121:122]
	ds_read_b128 v[2:5], v1 offset:1504
	v_add_f64 v[119:120], v[119:120], v[127:128]
	v_add_f64 v[6:7], v[6:7], v[117:118]
	s_waitcnt vmcnt(23) lgkmcnt(1)
	v_mul_f64 v[127:128], v[113:114], v[143:144]
	s_waitcnt vmcnt(21)
	v_fma_f64 v[125:126], v[107:108], v[147:148], -v[125:126]
	;; [unrolled: 9-line block ×5, first 2 shown]
	v_mul_f64 v[117:118], v[111:112], v[157:158]
	v_fma_f64 v[109:110], v[109:110], v[153:154], v[115:116]
	s_waitcnt vmcnt(7) lgkmcnt(0)
	v_mul_f64 v[115:116], v[2:3], v[159:160]
	v_add_f64 v[119:120], v[119:120], v[123:124]
	v_add_f64 v[6:7], v[6:7], v[121:122]
	v_mul_f64 v[121:122], v[4:5], v[159:160]
	s_waitcnt vmcnt(5)
	v_fma_f64 v[111:112], v[111:112], v[163:164], -v[127:128]
	v_fma_f64 v[113:114], v[113:114], v[163:164], v[117:118]
	s_waitcnt vmcnt(4)
	v_fma_f64 v[4:5], v[4:5], v[161:162], v[115:116]
	v_add_f64 v[107:108], v[119:120], v[107:108]
	v_add_f64 v[6:7], v[6:7], v[109:110]
	v_fma_f64 v[2:3], v[2:3], v[161:162], -v[121:122]
	v_add_f64 v[107:108], v[107:108], v[111:112]
	v_add_f64 v[6:7], v[6:7], v[113:114]
	;; [unrolled: 1-line block ×4, first 2 shown]
	s_waitcnt vmcnt(2)
	v_add_f64 v[2:3], v[168:169], -v[2:3]
	s_waitcnt vmcnt(0)
	v_add_f64 v[4:5], v[170:171], -v[4:5]
	buffer_store_dword v3, off, s[0:3], 0 offset:580
	buffer_store_dword v2, off, s[0:3], 0 offset:576
	;; [unrolled: 1-line block ×4, first 2 shown]
	v_cmpx_lt_u32_e32 34, v0
	s_cbranch_execz .LBB112_239
; %bb.238:
	v_mov_b32_e32 v5, s26
	s_clause 0x3
	buffer_load_dword v2, v5, s[0:3], 0 offen
	buffer_load_dword v3, v5, s[0:3], 0 offen offset:4
	buffer_load_dword v4, v5, s[0:3], 0 offen offset:8
	buffer_load_dword v5, v5, s[0:3], 0 offen offset:12
	buffer_store_dword v1, off, s[0:3], 0 offset:560
	buffer_store_dword v1, off, s[0:3], 0 offset:564
	;; [unrolled: 1-line block ×4, first 2 shown]
	s_waitcnt vmcnt(0)
	ds_write_b128 v167, v[2:5]
.LBB112_239:
	s_or_b32 exec_lo, exec_lo, s4
	s_waitcnt lgkmcnt(0)
	s_waitcnt_vscnt null, 0x0
	s_barrier
	buffer_gl0_inv
	s_clause 0x35
	buffer_load_dword v6, off, s[0:3], 0 offset:584
	buffer_load_dword v7, off, s[0:3], 0 offset:588
	;; [unrolled: 1-line block ×54, first 2 shown]
	ds_read_b128 v[2:5], v1 offset:1344
	s_clause 0x1
	buffer_load_dword v169, off, s[0:3], 0 offset:788
	buffer_load_dword v168, off, s[0:3], 0 offset:784
	ds_read_b128 v[107:110], v1 offset:1360
	ds_read_b128 v[111:114], v1 offset:1376
	s_mov_b32 s4, exec_lo
	s_waitcnt vmcnt(54) lgkmcnt(2)
	v_mul_f64 v[170:171], v[4:5], v[6:7]
	v_mul_f64 v[6:7], v[2:3], v[6:7]
	s_waitcnt vmcnt(52) lgkmcnt(1)
	v_mul_f64 v[172:173], v[109:110], v[115:116]
	v_mul_f64 v[115:116], v[107:108], v[115:116]
	;; [unrolled: 3-line block ×3, first 2 shown]
	v_fma_f64 v[170:171], v[2:3], v[117:118], -v[170:171]
	v_fma_f64 v[6:7], v[4:5], v[117:118], v[6:7]
	s_clause 0x3
	buffer_load_dword v117, off, s[0:3], 0 offset:560
	buffer_load_dword v118, off, s[0:3], 0 offset:564
	buffer_load_dword v174, off, s[0:3], 0 offset:568
	buffer_load_dword v175, off, s[0:3], 0 offset:572
	s_waitcnt vmcnt(50)
	v_fma_f64 v[172:173], v[107:108], v[121:122], -v[172:173]
	ds_read_b128 v[2:5], v1 offset:1392
	v_fma_f64 v[115:116], v[109:110], v[121:122], v[115:116]
	ds_read_b128 v[107:110], v1 offset:1408
	s_waitcnt vmcnt(44)
	v_fma_f64 v[119:120], v[111:112], v[129:130], -v[119:120]
	v_fma_f64 v[129:130], v[113:114], v[129:130], v[176:177]
	ds_read_b128 v[111:114], v1 offset:1424
	v_add_f64 v[170:171], v[170:171], 0
	v_add_f64 v[6:7], v[6:7], 0
	s_waitcnt lgkmcnt(2)
	v_mul_f64 v[121:122], v[2:3], v[123:124]
	v_mul_f64 v[123:124], v[4:5], v[123:124]
	v_add_f64 v[170:171], v[170:171], v[172:173]
	v_add_f64 v[6:7], v[6:7], v[115:116]
	s_waitcnt vmcnt(43) lgkmcnt(1)
	v_mul_f64 v[115:116], v[107:108], v[125:126]
	v_mul_f64 v[125:126], v[109:110], v[125:126]
	s_waitcnt vmcnt(41)
	v_fma_f64 v[123:124], v[2:3], v[131:132], -v[123:124]
	v_fma_f64 v[121:122], v[4:5], v[131:132], v[121:122]
	ds_read_b128 v[2:5], v1 offset:1440
	s_waitcnt vmcnt(37) lgkmcnt(1)
	v_mul_f64 v[131:132], v[113:114], v[133:134]
	v_add_f64 v[119:120], v[170:171], v[119:120]
	v_add_f64 v[6:7], v[6:7], v[129:130]
	v_mul_f64 v[129:130], v[111:112], v[133:134]
	s_waitcnt vmcnt(36)
	v_fma_f64 v[125:126], v[107:108], v[127:128], -v[125:126]
	v_fma_f64 v[115:116], v[109:110], v[127:128], v[115:116]
	ds_read_b128 v[107:110], v1 offset:1456
	s_waitcnt vmcnt(33)
	v_fma_f64 v[127:128], v[111:112], v[139:140], -v[131:132]
	v_add_f64 v[119:120], v[119:120], v[123:124]
	v_add_f64 v[6:7], v[6:7], v[121:122]
	s_waitcnt lgkmcnt(1)
	v_mul_f64 v[123:124], v[4:5], v[135:136]
	v_mul_f64 v[121:122], v[2:3], v[135:136]
	v_add_f64 v[119:120], v[119:120], v[125:126]
	v_fma_f64 v[125:126], v[113:114], v[139:140], v[129:130]
	v_add_f64 v[6:7], v[6:7], v[115:116]
	ds_read_b128 v[111:114], v1 offset:1472
	s_waitcnt vmcnt(29) lgkmcnt(1)
	v_mul_f64 v[129:130], v[109:110], v[141:142]
	s_waitcnt vmcnt(28)
	v_fma_f64 v[123:124], v[2:3], v[137:138], -v[123:124]
	v_mul_f64 v[115:116], v[107:108], v[141:142]
	v_fma_f64 v[121:122], v[4:5], v[137:138], v[121:122]
	ds_read_b128 v[2:5], v1 offset:1488
	v_add_f64 v[119:120], v[119:120], v[127:128]
	s_waitcnt vmcnt(27) lgkmcnt(1)
	v_mul_f64 v[127:128], v[113:114], v[143:144]
	v_add_f64 v[6:7], v[6:7], v[125:126]
	v_mul_f64 v[125:126], v[111:112], v[143:144]
	s_waitcnt vmcnt(25)
	v_fma_f64 v[129:130], v[107:108], v[147:148], -v[129:130]
	v_fma_f64 v[115:116], v[109:110], v[147:148], v[115:116]
	ds_read_b128 v[107:110], v1 offset:1504
	v_add_f64 v[119:120], v[119:120], v[123:124]
	s_waitcnt vmcnt(21) lgkmcnt(1)
	v_mul_f64 v[123:124], v[4:5], v[149:150]
	v_add_f64 v[6:7], v[6:7], v[121:122]
	s_waitcnt vmcnt(20)
	v_fma_f64 v[127:128], v[111:112], v[145:146], -v[127:128]
	v_mul_f64 v[121:122], v[2:3], v[149:150]
	v_fma_f64 v[125:126], v[113:114], v[145:146], v[125:126]
	ds_read_b128 v[111:114], v1 offset:1520
	v_add_f64 v[119:120], v[119:120], v[129:130]
	s_waitcnt vmcnt(19) lgkmcnt(1)
	v_mul_f64 v[129:130], v[109:110], v[151:152]
	v_add_f64 v[6:7], v[6:7], v[115:116]
	s_waitcnt vmcnt(17)
	v_fma_f64 v[123:124], v[2:3], v[155:156], -v[123:124]
	v_mul_f64 v[115:116], v[107:108], v[151:152]
	v_fma_f64 v[121:122], v[4:5], v[155:156], v[121:122]
	ds_read_b128 v[2:5], v1 offset:1536
	v_add_f64 v[119:120], v[119:120], v[127:128]
	s_waitcnt vmcnt(13) lgkmcnt(1)
	v_mul_f64 v[127:128], v[113:114], v[157:158]
	v_add_f64 v[6:7], v[6:7], v[125:126]
	s_waitcnt vmcnt(12)
	v_fma_f64 v[129:130], v[107:108], v[153:154], -v[129:130]
	v_mul_f64 v[125:126], v[111:112], v[157:158]
	v_fma_f64 v[115:116], v[109:110], v[153:154], v[115:116]
	ds_read_b128 v[107:110], v1 offset:1552
	v_add_f64 v[119:120], v[119:120], v[123:124]
	s_waitcnt vmcnt(11) lgkmcnt(1)
	v_mul_f64 v[123:124], v[4:5], v[159:160]
	v_add_f64 v[6:7], v[6:7], v[121:122]
	s_waitcnt vmcnt(9)
	v_fma_f64 v[111:112], v[111:112], v[163:164], -v[127:128]
	v_mul_f64 v[121:122], v[2:3], v[159:160]
	v_fma_f64 v[113:114], v[113:114], v[163:164], v[125:126]
	s_waitcnt vmcnt(7) lgkmcnt(0)
	v_mul_f64 v[125:126], v[109:110], v[165:166]
	v_add_f64 v[119:120], v[119:120], v[129:130]
	s_waitcnt vmcnt(6)
	v_fma_f64 v[1:2], v[2:3], v[161:162], -v[123:124]
	v_add_f64 v[6:7], v[6:7], v[115:116]
	v_mul_f64 v[115:116], v[107:108], v[165:166]
	v_fma_f64 v[3:4], v[4:5], v[161:162], v[121:122]
	v_add_f64 v[111:112], v[119:120], v[111:112]
	v_add_f64 v[5:6], v[6:7], v[113:114]
	s_waitcnt vmcnt(4)
	v_fma_f64 v[7:8], v[107:108], v[168:169], -v[125:126]
	v_fma_f64 v[107:108], v[109:110], v[168:169], v[115:116]
	v_add_f64 v[1:2], v[111:112], v[1:2]
	v_add_f64 v[3:4], v[5:6], v[3:4]
	;; [unrolled: 1-line block ×4, first 2 shown]
	s_waitcnt vmcnt(2)
	v_add_f64 v[1:2], v[117:118], -v[1:2]
	s_waitcnt vmcnt(0)
	v_add_f64 v[3:4], v[174:175], -v[3:4]
	buffer_store_dword v2, off, s[0:3], 0 offset:564
	buffer_store_dword v1, off, s[0:3], 0 offset:560
	;; [unrolled: 1-line block ×4, first 2 shown]
	v_cmpx_lt_u32_e32 33, v0
	s_cbranch_execz .LBB112_241
; %bb.240:
	v_mov_b32_e32 v4, s27
	v_mov_b32_e32 v5, 0
	s_clause 0x3
	buffer_load_dword v1, v4, s[0:3], 0 offen
	buffer_load_dword v2, v4, s[0:3], 0 offen offset:4
	buffer_load_dword v3, v4, s[0:3], 0 offen offset:8
	;; [unrolled: 1-line block ×3, first 2 shown]
	buffer_store_dword v5, off, s[0:3], 0 offset:544
	buffer_store_dword v5, off, s[0:3], 0 offset:548
	;; [unrolled: 1-line block ×4, first 2 shown]
	s_waitcnt vmcnt(0)
	ds_write_b128 v167, v[1:4]
.LBB112_241:
	s_or_b32 exec_lo, exec_lo, s4
	s_waitcnt lgkmcnt(0)
	s_waitcnt_vscnt null, 0x0
	s_barrier
	buffer_gl0_inv
	s_clause 0x37
	buffer_load_dword v6, off, s[0:3], 0 offset:568
	buffer_load_dword v7, off, s[0:3], 0 offset:572
	;; [unrolled: 1-line block ×56, first 2 shown]
	v_mov_b32_e32 v1, 0
	s_mov_b32 s4, exec_lo
	ds_read_b128 v[2:5], v1 offset:1328
	s_clause 0x2
	buffer_load_dword v169, off, s[0:3], 0 offset:796
	buffer_load_dword v173, off, s[0:3], 0 offset:772
	;; [unrolled: 1-line block ×3, first 2 shown]
	ds_read_b128 v[107:110], v1 offset:1344
	ds_read_b128 v[111:114], v1 offset:1360
	buffer_load_dword v171, off, s[0:3], 0 offset:788
	s_waitcnt vmcnt(58) lgkmcnt(2)
	v_mul_f64 v[174:175], v[4:5], v[6:7]
	v_mul_f64 v[6:7], v[2:3], v[6:7]
	s_waitcnt vmcnt(56) lgkmcnt(1)
	v_mul_f64 v[176:177], v[109:110], v[115:116]
	v_mul_f64 v[115:116], v[107:108], v[115:116]
	s_waitcnt vmcnt(54)
	v_fma_f64 v[174:175], v[2:3], v[117:118], -v[174:175]
	v_fma_f64 v[6:7], v[4:5], v[117:118], v[6:7]
	s_waitcnt vmcnt(52) lgkmcnt(0)
	v_mul_f64 v[117:118], v[111:112], v[119:120]
	v_mul_f64 v[119:120], v[113:114], v[119:120]
	s_waitcnt vmcnt(50)
	v_fma_f64 v[176:177], v[107:108], v[121:122], -v[176:177]
	ds_read_b128 v[2:5], v1 offset:1376
	v_fma_f64 v[115:116], v[109:110], v[121:122], v[115:116]
	s_clause 0x3
	buffer_load_dword v121, off, s[0:3], 0 offset:544
	buffer_load_dword v122, off, s[0:3], 0 offset:548
	;; [unrolled: 1-line block ×4, first 2 shown]
	ds_read_b128 v[107:110], v1 offset:1392
	v_add_f64 v[174:175], v[174:175], 0
	v_add_f64 v[6:7], v[6:7], 0
	s_waitcnt vmcnt(48)
	v_fma_f64 v[117:118], v[113:114], v[129:130], v[117:118]
	s_waitcnt lgkmcnt(1)
	v_mul_f64 v[180:181], v[2:3], v[123:124]
	v_mul_f64 v[123:124], v[4:5], v[123:124]
	v_fma_f64 v[119:120], v[111:112], v[129:130], -v[119:120]
	ds_read_b128 v[111:114], v1 offset:1408
	v_add_f64 v[174:175], v[174:175], v[176:177]
	v_add_f64 v[6:7], v[6:7], v[115:116]
	s_waitcnt vmcnt(47) lgkmcnt(1)
	v_mul_f64 v[115:116], v[107:108], v[125:126]
	v_mul_f64 v[125:126], v[109:110], v[125:126]
	s_waitcnt vmcnt(45)
	v_fma_f64 v[123:124], v[2:3], v[131:132], -v[123:124]
	v_fma_f64 v[129:130], v[4:5], v[131:132], v[180:181]
	s_waitcnt vmcnt(41) lgkmcnt(0)
	v_mul_f64 v[131:132], v[113:114], v[133:134]
	ds_read_b128 v[2:5], v1 offset:1424
	v_add_f64 v[119:120], v[174:175], v[119:120]
	v_add_f64 v[6:7], v[6:7], v[117:118]
	v_mul_f64 v[117:118], v[111:112], v[133:134]
	s_waitcnt vmcnt(40)
	v_fma_f64 v[125:126], v[107:108], v[127:128], -v[125:126]
	v_fma_f64 v[115:116], v[109:110], v[127:128], v[115:116]
	ds_read_b128 v[107:110], v1 offset:1440
	s_waitcnt vmcnt(39) lgkmcnt(1)
	v_mul_f64 v[127:128], v[4:5], v[135:136]
	v_add_f64 v[119:120], v[119:120], v[123:124]
	v_add_f64 v[6:7], v[6:7], v[129:130]
	s_waitcnt vmcnt(37)
	v_fma_f64 v[129:130], v[111:112], v[139:140], -v[131:132]
	v_mul_f64 v[123:124], v[2:3], v[135:136]
	v_fma_f64 v[117:118], v[113:114], v[139:140], v[117:118]
	ds_read_b128 v[111:114], v1 offset:1456
	s_waitcnt vmcnt(32)
	v_fma_f64 v[127:128], v[2:3], v[137:138], -v[127:128]
	v_add_f64 v[119:120], v[119:120], v[125:126]
	v_add_f64 v[6:7], v[6:7], v[115:116]
	s_waitcnt lgkmcnt(1)
	v_mul_f64 v[125:126], v[109:110], v[141:142]
	v_mul_f64 v[115:116], v[107:108], v[141:142]
	v_fma_f64 v[123:124], v[4:5], v[137:138], v[123:124]
	ds_read_b128 v[2:5], v1 offset:1472
	v_add_f64 v[119:120], v[119:120], v[129:130]
	v_add_f64 v[6:7], v[6:7], v[117:118]
	s_waitcnt vmcnt(31) lgkmcnt(1)
	v_mul_f64 v[129:130], v[113:114], v[143:144]
	s_waitcnt vmcnt(29)
	v_fma_f64 v[125:126], v[107:108], v[147:148], -v[125:126]
	v_mul_f64 v[117:118], v[111:112], v[143:144]
	v_fma_f64 v[115:116], v[109:110], v[147:148], v[115:116]
	ds_read_b128 v[107:110], v1 offset:1488
	v_add_f64 v[119:120], v[119:120], v[127:128]
	v_add_f64 v[6:7], v[6:7], v[123:124]
	s_waitcnt vmcnt(25) lgkmcnt(1)
	v_mul_f64 v[127:128], v[4:5], v[149:150]
	s_waitcnt vmcnt(24)
	v_fma_f64 v[129:130], v[111:112], v[145:146], -v[129:130]
	;; [unrolled: 9-line block ×6, first 2 shown]
	v_mul_f64 v[115:116], v[107:108], v[165:166]
	v_fma_f64 v[4:5], v[4:5], v[161:162], v[123:124]
	s_waitcnt vmcnt(7) lgkmcnt(0)
	v_mul_f64 v[123:124], v[113:114], v[168:169]
	v_add_f64 v[119:120], v[119:120], v[129:130]
	v_add_f64 v[6:7], v[6:7], v[117:118]
	s_waitcnt vmcnt(5)
	v_fma_f64 v[107:108], v[107:108], v[172:173], -v[125:126]
	v_mul_f64 v[117:118], v[111:112], v[168:169]
	v_fma_f64 v[109:110], v[109:110], v[172:173], v[115:116]
	v_add_f64 v[2:3], v[119:120], v[2:3]
	v_add_f64 v[4:5], v[6:7], v[4:5]
	s_waitcnt vmcnt(4)
	v_fma_f64 v[6:7], v[111:112], v[170:171], -v[123:124]
	v_add_f64 v[2:3], v[2:3], v[107:108]
	v_fma_f64 v[107:108], v[113:114], v[170:171], v[117:118]
	v_add_f64 v[4:5], v[4:5], v[109:110]
	v_add_f64 v[2:3], v[2:3], v[6:7]
	;; [unrolled: 1-line block ×3, first 2 shown]
	s_waitcnt vmcnt(2)
	v_add_f64 v[2:3], v[121:122], -v[2:3]
	s_waitcnt vmcnt(0)
	v_add_f64 v[4:5], v[178:179], -v[4:5]
	buffer_store_dword v3, off, s[0:3], 0 offset:548
	buffer_store_dword v2, off, s[0:3], 0 offset:544
	;; [unrolled: 1-line block ×4, first 2 shown]
	v_cmpx_lt_u32_e32 32, v0
	s_cbranch_execz .LBB112_243
; %bb.242:
	v_mov_b32_e32 v5, s28
	s_clause 0x3
	buffer_load_dword v2, v5, s[0:3], 0 offen
	buffer_load_dword v3, v5, s[0:3], 0 offen offset:4
	buffer_load_dword v4, v5, s[0:3], 0 offen offset:8
	buffer_load_dword v5, v5, s[0:3], 0 offen offset:12
	buffer_store_dword v1, off, s[0:3], 0 offset:528
	buffer_store_dword v1, off, s[0:3], 0 offset:532
	buffer_store_dword v1, off, s[0:3], 0 offset:536
	buffer_store_dword v1, off, s[0:3], 0 offset:540
	s_waitcnt vmcnt(0)
	ds_write_b128 v167, v[2:5]
.LBB112_243:
	s_or_b32 exec_lo, exec_lo, s4
	s_waitcnt lgkmcnt(0)
	s_waitcnt_vscnt null, 0x0
	s_barrier
	buffer_gl0_inv
	s_clause 0x37
	buffer_load_dword v6, off, s[0:3], 0 offset:552
	buffer_load_dword v7, off, s[0:3], 0 offset:556
	;; [unrolled: 1-line block ×56, first 2 shown]
	ds_read_b128 v[2:5], v1 offset:1312
	s_clause 0x2
	buffer_load_dword v169, off, s[0:3], 0 offset:780
	buffer_load_dword v173, off, s[0:3], 0 offset:756
	;; [unrolled: 1-line block ×3, first 2 shown]
	ds_read_b128 v[107:110], v1 offset:1328
	s_clause 0x2
	buffer_load_dword v177, off, s[0:3], 0 offset:796
	buffer_load_dword v176, off, s[0:3], 0 offset:792
	;; [unrolled: 1-line block ×3, first 2 shown]
	ds_read_b128 v[111:114], v1 offset:1344
	s_mov_b32 s4, exec_lo
	s_waitcnt vmcnt(60) lgkmcnt(2)
	v_mul_f64 v[174:175], v[4:5], v[6:7]
	v_mul_f64 v[6:7], v[2:3], v[6:7]
	s_waitcnt vmcnt(58) lgkmcnt(1)
	v_mul_f64 v[178:179], v[109:110], v[115:116]
	v_mul_f64 v[115:116], v[107:108], v[115:116]
	;; [unrolled: 3-line block ×3, first 2 shown]
	v_fma_f64 v[174:175], v[2:3], v[117:118], -v[174:175]
	v_fma_f64 v[6:7], v[4:5], v[117:118], v[6:7]
	s_clause 0x1
	buffer_load_dword v118, off, s[0:3], 0 offset:788
	buffer_load_dword v117, off, s[0:3], 0 offset:784
	s_waitcnt vmcnt(54)
	v_fma_f64 v[178:179], v[107:108], v[121:122], -v[178:179]
	ds_read_b128 v[2:5], v1 offset:1360
	v_fma_f64 v[115:116], v[109:110], v[121:122], v[115:116]
	ds_read_b128 v[107:110], v1 offset:1376
	s_waitcnt vmcnt(48)
	v_fma_f64 v[119:120], v[111:112], v[129:130], -v[119:120]
	v_fma_f64 v[129:130], v[113:114], v[129:130], v[180:181]
	v_add_f64 v[174:175], v[174:175], 0
	v_add_f64 v[6:7], v[6:7], 0
	s_waitcnt lgkmcnt(1)
	v_mul_f64 v[121:122], v[2:3], v[123:124]
	v_mul_f64 v[123:124], v[4:5], v[123:124]
	s_waitcnt vmcnt(47) lgkmcnt(0)
	v_mul_f64 v[180:181], v[107:108], v[125:126]
	v_mul_f64 v[125:126], v[109:110], v[125:126]
	v_add_f64 v[174:175], v[174:175], v[178:179]
	v_add_f64 v[6:7], v[6:7], v[115:116]
	s_clause 0x3
	buffer_load_dword v115, off, s[0:3], 0 offset:528
	buffer_load_dword v116, off, s[0:3], 0 offset:532
	buffer_load_dword v178, off, s[0:3], 0 offset:536
	buffer_load_dword v179, off, s[0:3], 0 offset:540
	s_waitcnt vmcnt(49)
	v_fma_f64 v[123:124], v[2:3], v[131:132], -v[123:124]
	ds_read_b128 v[111:114], v1 offset:1392
	v_fma_f64 v[121:122], v[4:5], v[131:132], v[121:122]
	ds_read_b128 v[2:5], v1 offset:1408
	s_waitcnt vmcnt(44)
	v_fma_f64 v[125:126], v[107:108], v[127:128], -v[125:126]
	v_add_f64 v[119:120], v[174:175], v[119:120]
	v_add_f64 v[6:7], v[6:7], v[129:130]
	s_waitcnt lgkmcnt(1)
	v_mul_f64 v[131:132], v[113:114], v[133:134]
	v_mul_f64 v[129:130], v[111:112], v[133:134]
	v_add_f64 v[119:120], v[119:120], v[123:124]
	v_fma_f64 v[123:124], v[109:110], v[127:128], v[180:181]
	v_add_f64 v[6:7], v[6:7], v[121:122]
	s_waitcnt vmcnt(43) lgkmcnt(0)
	v_mul_f64 v[127:128], v[4:5], v[135:136]
	s_waitcnt vmcnt(41)
	v_fma_f64 v[131:132], v[111:112], v[139:140], -v[131:132]
	ds_read_b128 v[107:110], v1 offset:1424
	v_mul_f64 v[121:122], v[2:3], v[135:136]
	v_add_f64 v[119:120], v[119:120], v[125:126]
	v_fma_f64 v[125:126], v[113:114], v[139:140], v[129:130]
	v_add_f64 v[6:7], v[6:7], v[123:124]
	ds_read_b128 v[111:114], v1 offset:1440
	s_waitcnt vmcnt(37) lgkmcnt(1)
	v_mul_f64 v[129:130], v[109:110], v[141:142]
	s_waitcnt vmcnt(36)
	v_fma_f64 v[127:128], v[2:3], v[137:138], -v[127:128]
	v_mul_f64 v[123:124], v[107:108], v[141:142]
	v_fma_f64 v[121:122], v[4:5], v[137:138], v[121:122]
	ds_read_b128 v[2:5], v1 offset:1456
	v_add_f64 v[119:120], v[119:120], v[131:132]
	s_waitcnt vmcnt(35) lgkmcnt(1)
	v_mul_f64 v[131:132], v[113:114], v[143:144]
	v_add_f64 v[6:7], v[6:7], v[125:126]
	v_mul_f64 v[125:126], v[111:112], v[143:144]
	s_waitcnt vmcnt(33)
	v_fma_f64 v[129:130], v[107:108], v[147:148], -v[129:130]
	v_fma_f64 v[123:124], v[109:110], v[147:148], v[123:124]
	ds_read_b128 v[107:110], v1 offset:1472
	v_add_f64 v[119:120], v[119:120], v[127:128]
	s_waitcnt vmcnt(29) lgkmcnt(1)
	v_mul_f64 v[127:128], v[4:5], v[149:150]
	v_add_f64 v[6:7], v[6:7], v[121:122]
	s_waitcnt vmcnt(28)
	v_fma_f64 v[131:132], v[111:112], v[145:146], -v[131:132]
	v_mul_f64 v[121:122], v[2:3], v[149:150]
	v_fma_f64 v[125:126], v[113:114], v[145:146], v[125:126]
	ds_read_b128 v[111:114], v1 offset:1488
	v_add_f64 v[119:120], v[119:120], v[129:130]
	s_waitcnt vmcnt(27) lgkmcnt(1)
	v_mul_f64 v[129:130], v[109:110], v[151:152]
	v_add_f64 v[6:7], v[6:7], v[123:124]
	s_waitcnt vmcnt(25)
	v_fma_f64 v[127:128], v[2:3], v[155:156], -v[127:128]
	v_mul_f64 v[123:124], v[107:108], v[151:152]
	;; [unrolled: 9-line block ×5, first 2 shown]
	v_fma_f64 v[121:122], v[4:5], v[161:162], v[121:122]
	ds_read_b128 v[1:4], v1 offset:1552
	v_add_f64 v[119:120], v[119:120], v[131:132]
	s_waitcnt vmcnt(9)
	v_fma_f64 v[107:108], v[107:108], v[172:173], -v[129:130]
	v_add_f64 v[5:6], v[6:7], v[125:126]
	s_waitcnt lgkmcnt(1)
	v_mul_f64 v[125:126], v[113:114], v[168:169]
	v_mul_f64 v[7:8], v[111:112], v[168:169]
	v_fma_f64 v[109:110], v[109:110], v[172:173], v[123:124]
	s_waitcnt vmcnt(7) lgkmcnt(0)
	v_mul_f64 v[123:124], v[3:4], v[176:177]
	v_add_f64 v[119:120], v[119:120], v[127:128]
	v_add_f64 v[5:6], v[5:6], v[121:122]
	s_waitcnt vmcnt(6)
	v_fma_f64 v[111:112], v[111:112], v[170:171], -v[125:126]
	v_mul_f64 v[121:122], v[1:2], v[176:177]
	v_fma_f64 v[7:8], v[113:114], v[170:171], v[7:8]
	v_add_f64 v[107:108], v[119:120], v[107:108]
	v_add_f64 v[5:6], v[5:6], v[109:110]
	s_waitcnt vmcnt(4)
	v_fma_f64 v[1:2], v[1:2], v[117:118], -v[123:124]
	v_fma_f64 v[3:4], v[3:4], v[117:118], v[121:122]
	v_add_f64 v[107:108], v[107:108], v[111:112]
	v_add_f64 v[5:6], v[5:6], v[7:8]
	v_add_f64 v[1:2], v[107:108], v[1:2]
	v_add_f64 v[3:4], v[5:6], v[3:4]
	s_waitcnt vmcnt(2)
	v_add_f64 v[1:2], v[115:116], -v[1:2]
	s_waitcnt vmcnt(0)
	v_add_f64 v[3:4], v[178:179], -v[3:4]
	buffer_store_dword v2, off, s[0:3], 0 offset:532
	buffer_store_dword v1, off, s[0:3], 0 offset:528
	;; [unrolled: 1-line block ×4, first 2 shown]
	v_cmpx_lt_u32_e32 31, v0
	s_cbranch_execz .LBB112_245
; %bb.244:
	v_mov_b32_e32 v4, s29
	v_mov_b32_e32 v5, 0
	s_clause 0x3
	buffer_load_dword v1, v4, s[0:3], 0 offen
	buffer_load_dword v2, v4, s[0:3], 0 offen offset:4
	buffer_load_dword v3, v4, s[0:3], 0 offen offset:8
	;; [unrolled: 1-line block ×3, first 2 shown]
	buffer_store_dword v5, off, s[0:3], 0 offset:512
	buffer_store_dword v5, off, s[0:3], 0 offset:516
	;; [unrolled: 1-line block ×4, first 2 shown]
	s_waitcnt vmcnt(0)
	ds_write_b128 v167, v[1:4]
.LBB112_245:
	s_or_b32 exec_lo, exec_lo, s4
	s_waitcnt lgkmcnt(0)
	s_waitcnt_vscnt null, 0x0
	s_barrier
	buffer_gl0_inv
	s_clause 0x37
	buffer_load_dword v6, off, s[0:3], 0 offset:536
	buffer_load_dword v7, off, s[0:3], 0 offset:540
	;; [unrolled: 1-line block ×56, first 2 shown]
	v_mov_b32_e32 v1, 0
	s_mov_b32 s4, exec_lo
	ds_read_b128 v[2:5], v1 offset:1296
	s_clause 0x2
	buffer_load_dword v169, off, s[0:3], 0 offset:764
	buffer_load_dword v173, off, s[0:3], 0 offset:740
	;; [unrolled: 1-line block ×3, first 2 shown]
	ds_read_b128 v[107:110], v1 offset:1312
	s_clause 0x4
	buffer_load_dword v177, off, s[0:3], 0 offset:780
	buffer_load_dword v178, off, s[0:3], 0 offset:792
	;; [unrolled: 1-line block ×5, first 2 shown]
	ds_read_b128 v[111:114], v1 offset:1328
	s_waitcnt vmcnt(62) lgkmcnt(2)
	v_mul_f64 v[174:175], v[4:5], v[6:7]
	v_mul_f64 v[6:7], v[2:3], v[6:7]
	s_waitcnt vmcnt(60) lgkmcnt(1)
	v_mul_f64 v[181:182], v[109:110], v[115:116]
	v_mul_f64 v[115:116], v[107:108], v[115:116]
	;; [unrolled: 3-line block ×3, first 2 shown]
	v_fma_f64 v[174:175], v[2:3], v[117:118], -v[174:175]
	v_fma_f64 v[6:7], v[4:5], v[117:118], v[6:7]
	s_clause 0x2
	buffer_load_dword v179, off, s[0:3], 0 offset:796
	buffer_load_dword v118, off, s[0:3], 0 offset:772
	;; [unrolled: 1-line block ×3, first 2 shown]
	s_waitcnt vmcnt(57)
	v_fma_f64 v[185:186], v[107:108], v[121:122], -v[181:182]
	ds_read_b128 v[2:5], v1 offset:1344
	v_fma_f64 v[115:116], v[109:110], v[121:122], v[115:116]
	buffer_load_dword v181, off, s[0:3], 0 offset:788
	ds_read_b128 v[107:110], v1 offset:1360
	s_waitcnt vmcnt(52)
	v_fma_f64 v[119:120], v[111:112], v[129:130], -v[119:120]
	v_fma_f64 v[129:130], v[113:114], v[129:130], v[183:184]
	ds_read_b128 v[111:114], v1 offset:1376
	v_add_f64 v[174:175], v[174:175], 0
	v_add_f64 v[6:7], v[6:7], 0
	s_waitcnt lgkmcnt(2)
	v_mul_f64 v[121:122], v[2:3], v[123:124]
	v_mul_f64 v[123:124], v[4:5], v[123:124]
	v_add_f64 v[174:175], v[174:175], v[185:186]
	v_add_f64 v[6:7], v[6:7], v[115:116]
	s_waitcnt vmcnt(51) lgkmcnt(1)
	v_mul_f64 v[115:116], v[107:108], v[125:126]
	v_mul_f64 v[125:126], v[109:110], v[125:126]
	s_waitcnt vmcnt(49)
	v_fma_f64 v[123:124], v[2:3], v[131:132], -v[123:124]
	v_fma_f64 v[121:122], v[4:5], v[131:132], v[121:122]
	v_add_f64 v[119:120], v[174:175], v[119:120]
	v_add_f64 v[6:7], v[6:7], v[129:130]
	s_clause 0x3
	buffer_load_dword v129, off, s[0:3], 0 offset:512
	buffer_load_dword v130, off, s[0:3], 0 offset:516
	;; [unrolled: 1-line block ×4, first 2 shown]
	s_waitcnt vmcnt(49) lgkmcnt(0)
	v_mul_f64 v[174:175], v[111:112], v[133:134]
	v_mul_f64 v[133:134], v[113:114], v[133:134]
	s_waitcnt vmcnt(48)
	v_fma_f64 v[125:126], v[107:108], v[127:128], -v[125:126]
	ds_read_b128 v[2:5], v1 offset:1392
	v_fma_f64 v[115:116], v[109:110], v[127:128], v[115:116]
	ds_read_b128 v[107:110], v1 offset:1408
	v_add_f64 v[119:120], v[119:120], v[123:124]
	v_add_f64 v[6:7], v[6:7], v[121:122]
	s_waitcnt vmcnt(47) lgkmcnt(1)
	v_mul_f64 v[123:124], v[4:5], v[135:136]
	s_waitcnt vmcnt(45)
	v_fma_f64 v[127:128], v[111:112], v[139:140], -v[133:134]
	v_mul_f64 v[121:122], v[2:3], v[135:136]
	s_waitcnt vmcnt(41) lgkmcnt(0)
	v_mul_f64 v[133:134], v[109:110], v[141:142]
	v_add_f64 v[119:120], v[119:120], v[125:126]
	v_fma_f64 v[125:126], v[113:114], v[139:140], v[174:175]
	v_add_f64 v[6:7], v[6:7], v[115:116]
	ds_read_b128 v[111:114], v1 offset:1424
	s_waitcnt vmcnt(40)
	v_fma_f64 v[123:124], v[2:3], v[137:138], -v[123:124]
	v_mul_f64 v[115:116], v[107:108], v[141:142]
	v_fma_f64 v[121:122], v[4:5], v[137:138], v[121:122]
	ds_read_b128 v[2:5], v1 offset:1440
	s_waitcnt vmcnt(37)
	v_fma_f64 v[133:134], v[107:108], v[147:148], -v[133:134]
	v_add_f64 v[119:120], v[119:120], v[127:128]
	s_waitcnt lgkmcnt(1)
	v_mul_f64 v[127:128], v[113:114], v[143:144]
	v_add_f64 v[6:7], v[6:7], v[125:126]
	v_mul_f64 v[125:126], v[111:112], v[143:144]
	v_fma_f64 v[115:116], v[109:110], v[147:148], v[115:116]
	ds_read_b128 v[107:110], v1 offset:1456
	v_add_f64 v[119:120], v[119:120], v[123:124]
	s_waitcnt vmcnt(33) lgkmcnt(1)
	v_mul_f64 v[123:124], v[4:5], v[149:150]
	v_add_f64 v[6:7], v[6:7], v[121:122]
	s_waitcnt vmcnt(32)
	v_fma_f64 v[127:128], v[111:112], v[145:146], -v[127:128]
	v_mul_f64 v[121:122], v[2:3], v[149:150]
	v_fma_f64 v[125:126], v[113:114], v[145:146], v[125:126]
	ds_read_b128 v[111:114], v1 offset:1472
	v_add_f64 v[119:120], v[119:120], v[133:134]
	s_waitcnt vmcnt(31) lgkmcnt(1)
	v_mul_f64 v[133:134], v[109:110], v[151:152]
	v_add_f64 v[6:7], v[6:7], v[115:116]
	s_waitcnt vmcnt(29)
	v_fma_f64 v[123:124], v[2:3], v[155:156], -v[123:124]
	;; [unrolled: 9-line block ×7, first 2 shown]
	v_mul_f64 v[121:122], v[2:3], v[176:177]
	v_fma_f64 v[113:114], v[113:114], v[170:171], v[125:126]
	v_add_f64 v[119:120], v[119:120], v[133:134]
	v_add_f64 v[6:7], v[6:7], v[115:116]
	s_waitcnt vmcnt(7) lgkmcnt(0)
	v_mul_f64 v[125:126], v[109:110], v[178:179]
	v_mul_f64 v[115:116], v[107:108], v[178:179]
	s_waitcnt vmcnt(5)
	v_fma_f64 v[2:3], v[2:3], v[117:118], -v[123:124]
	v_fma_f64 v[4:5], v[4:5], v[117:118], v[121:122]
	v_add_f64 v[111:112], v[119:120], v[111:112]
	v_add_f64 v[6:7], v[6:7], v[113:114]
	s_waitcnt vmcnt(4)
	v_fma_f64 v[107:108], v[107:108], v[180:181], -v[125:126]
	v_fma_f64 v[109:110], v[109:110], v[180:181], v[115:116]
	v_add_f64 v[2:3], v[111:112], v[2:3]
	v_add_f64 v[4:5], v[6:7], v[4:5]
	v_add_f64 v[2:3], v[2:3], v[107:108]
	v_add_f64 v[4:5], v[4:5], v[109:110]
	s_waitcnt vmcnt(2)
	v_add_f64 v[2:3], v[129:130], -v[2:3]
	s_waitcnt vmcnt(0)
	v_add_f64 v[4:5], v[131:132], -v[4:5]
	buffer_store_dword v3, off, s[0:3], 0 offset:516
	buffer_store_dword v2, off, s[0:3], 0 offset:512
	;; [unrolled: 1-line block ×4, first 2 shown]
	v_cmpx_lt_u32_e32 30, v0
	s_cbranch_execz .LBB112_247
; %bb.246:
	v_mov_b32_e32 v5, s30
	s_clause 0x3
	buffer_load_dword v2, v5, s[0:3], 0 offen
	buffer_load_dword v3, v5, s[0:3], 0 offen offset:4
	buffer_load_dword v4, v5, s[0:3], 0 offen offset:8
	;; [unrolled: 1-line block ×3, first 2 shown]
	buffer_store_dword v1, off, s[0:3], 0 offset:496
	buffer_store_dword v1, off, s[0:3], 0 offset:500
	;; [unrolled: 1-line block ×4, first 2 shown]
	s_waitcnt vmcnt(0)
	ds_write_b128 v167, v[2:5]
.LBB112_247:
	s_or_b32 exec_lo, exec_lo, s4
	s_waitcnt lgkmcnt(0)
	s_waitcnt_vscnt null, 0x0
	s_barrier
	buffer_gl0_inv
	s_clause 0x37
	buffer_load_dword v6, off, s[0:3], 0 offset:520
	buffer_load_dword v7, off, s[0:3], 0 offset:524
	;; [unrolled: 1-line block ×56, first 2 shown]
	ds_read_b128 v[2:5], v1 offset:1280
	s_clause 0x2
	buffer_load_dword v169, off, s[0:3], 0 offset:748
	buffer_load_dword v173, off, s[0:3], 0 offset:724
	;; [unrolled: 1-line block ×3, first 2 shown]
	ds_read_b128 v[107:110], v1 offset:1296
	s_clause 0x4
	buffer_load_dword v177, off, s[0:3], 0 offset:764
	buffer_load_dword v178, off, s[0:3], 0 offset:776
	;; [unrolled: 1-line block ×5, first 2 shown]
	ds_read_b128 v[111:114], v1 offset:1312
	s_mov_b32 s4, exec_lo
	s_waitcnt vmcnt(62) lgkmcnt(2)
	v_mul_f64 v[174:175], v[4:5], v[6:7]
	v_mul_f64 v[6:7], v[2:3], v[6:7]
	s_waitcnt vmcnt(60) lgkmcnt(1)
	v_mul_f64 v[181:182], v[109:110], v[115:116]
	v_mul_f64 v[115:116], v[107:108], v[115:116]
	s_waitcnt vmcnt(56) lgkmcnt(0)
	v_mul_f64 v[183:184], v[111:112], v[119:120]
	v_mul_f64 v[119:120], v[113:114], v[119:120]
	v_fma_f64 v[174:175], v[2:3], v[117:118], -v[174:175]
	v_fma_f64 v[6:7], v[4:5], v[117:118], v[6:7]
	s_clause 0x2
	buffer_load_dword v179, off, s[0:3], 0 offset:780
	buffer_load_dword v118, off, s[0:3], 0 offset:756
	;; [unrolled: 1-line block ×3, first 2 shown]
	s_waitcnt vmcnt(57)
	v_fma_f64 v[185:186], v[107:108], v[121:122], -v[181:182]
	ds_read_b128 v[2:5], v1 offset:1328
	v_fma_f64 v[115:116], v[109:110], v[121:122], v[115:116]
	s_clause 0x2
	buffer_load_dword v122, off, s[0:3], 0 offset:796
	buffer_load_dword v121, off, s[0:3], 0 offset:792
	;; [unrolled: 1-line block ×3, first 2 shown]
	s_waitcnt vmcnt(54)
	v_fma_f64 v[119:120], v[111:112], v[129:130], -v[119:120]
	ds_read_b128 v[107:110], v1 offset:1344
	v_fma_f64 v[129:130], v[113:114], v[129:130], v[183:184]
	v_add_f64 v[174:175], v[174:175], 0
	v_add_f64 v[6:7], v[6:7], 0
	s_waitcnt lgkmcnt(1)
	v_mul_f64 v[187:188], v[2:3], v[123:124]
	v_mul_f64 v[123:124], v[4:5], v[123:124]
	s_waitcnt vmcnt(53) lgkmcnt(0)
	v_mul_f64 v[182:183], v[107:108], v[125:126]
	v_mul_f64 v[125:126], v[109:110], v[125:126]
	v_add_f64 v[174:175], v[174:175], v[185:186]
	v_add_f64 v[6:7], v[6:7], v[115:116]
	s_clause 0x1
	buffer_load_dword v116, off, s[0:3], 0 offset:788
	buffer_load_dword v115, off, s[0:3], 0 offset:784
	s_waitcnt vmcnt(53)
	v_fma_f64 v[123:124], v[2:3], v[131:132], -v[123:124]
	ds_read_b128 v[111:114], v1 offset:1360
	v_fma_f64 v[131:132], v[4:5], v[131:132], v[187:188]
	ds_read_b128 v[2:5], v1 offset:1376
	s_waitcnt vmcnt(48)
	v_fma_f64 v[125:126], v[107:108], v[127:128], -v[125:126]
	v_add_f64 v[119:120], v[174:175], v[119:120]
	v_add_f64 v[6:7], v[6:7], v[129:130]
	s_waitcnt lgkmcnt(1)
	v_mul_f64 v[129:130], v[111:112], v[133:134]
	v_mul_f64 v[133:134], v[113:114], v[133:134]
	s_waitcnt vmcnt(47) lgkmcnt(0)
	v_mul_f64 v[174:175], v[2:3], v[135:136]
	v_mul_f64 v[135:136], v[4:5], v[135:136]
	v_add_f64 v[119:120], v[119:120], v[123:124]
	v_fma_f64 v[123:124], v[109:110], v[127:128], v[182:183]
	v_add_f64 v[6:7], v[6:7], v[131:132]
	s_clause 0x3
	buffer_load_dword v127, off, s[0:3], 0 offset:496
	buffer_load_dword v128, off, s[0:3], 0 offset:500
	;; [unrolled: 1-line block ×4, first 2 shown]
	s_waitcnt vmcnt(49)
	v_fma_f64 v[133:134], v[111:112], v[139:140], -v[133:134]
	ds_read_b128 v[107:110], v1 offset:1392
	s_waitcnt vmcnt(44)
	v_fma_f64 v[135:136], v[2:3], v[137:138], -v[135:136]
	v_add_f64 v[119:120], v[119:120], v[125:126]
	v_fma_f64 v[125:126], v[113:114], v[139:140], v[129:130]
	v_add_f64 v[6:7], v[6:7], v[123:124]
	ds_read_b128 v[111:114], v1 offset:1408
	s_waitcnt lgkmcnt(1)
	v_mul_f64 v[129:130], v[109:110], v[141:142]
	v_mul_f64 v[123:124], v[107:108], v[141:142]
	v_add_f64 v[119:120], v[119:120], v[133:134]
	v_fma_f64 v[133:134], v[4:5], v[137:138], v[174:175]
	v_add_f64 v[6:7], v[6:7], v[125:126]
	s_waitcnt vmcnt(43) lgkmcnt(0)
	v_mul_f64 v[137:138], v[113:114], v[143:144]
	s_waitcnt vmcnt(41)
	v_fma_f64 v[129:130], v[107:108], v[147:148], -v[129:130]
	ds_read_b128 v[2:5], v1 offset:1424
	v_mul_f64 v[125:126], v[111:112], v[143:144]
	v_fma_f64 v[123:124], v[109:110], v[147:148], v[123:124]
	ds_read_b128 v[107:110], v1 offset:1440
	v_add_f64 v[119:120], v[119:120], v[135:136]
	v_add_f64 v[6:7], v[6:7], v[133:134]
	s_waitcnt vmcnt(37) lgkmcnt(1)
	v_mul_f64 v[135:136], v[4:5], v[149:150]
	s_waitcnt vmcnt(36)
	v_fma_f64 v[137:138], v[111:112], v[145:146], -v[137:138]
	v_mul_f64 v[133:134], v[2:3], v[149:150]
	v_fma_f64 v[125:126], v[113:114], v[145:146], v[125:126]
	ds_read_b128 v[111:114], v1 offset:1456
	v_add_f64 v[119:120], v[119:120], v[129:130]
	s_waitcnt vmcnt(35) lgkmcnt(1)
	v_mul_f64 v[129:130], v[109:110], v[151:152]
	v_add_f64 v[6:7], v[6:7], v[123:124]
	s_waitcnt vmcnt(33)
	v_fma_f64 v[135:136], v[2:3], v[155:156], -v[135:136]
	v_mul_f64 v[123:124], v[107:108], v[151:152]
	v_fma_f64 v[133:134], v[4:5], v[155:156], v[133:134]
	ds_read_b128 v[2:5], v1 offset:1472
	v_add_f64 v[119:120], v[119:120], v[137:138]
	s_waitcnt vmcnt(29) lgkmcnt(1)
	v_mul_f64 v[137:138], v[113:114], v[157:158]
	v_add_f64 v[6:7], v[6:7], v[125:126]
	;; [unrolled: 9-line block ×6, first 2 shown]
	s_waitcnt vmcnt(12)
	v_fma_f64 v[137:138], v[111:112], v[170:171], -v[137:138]
	v_mul_f64 v[133:134], v[2:3], v[176:177]
	v_fma_f64 v[125:126], v[113:114], v[170:171], v[125:126]
	ds_read_b128 v[111:114], v1 offset:1552
	v_add_f64 v[119:120], v[119:120], v[129:130]
	v_add_f64 v[6:7], v[6:7], v[123:124]
	s_waitcnt vmcnt(11) lgkmcnt(1)
	v_mul_f64 v[129:130], v[109:110], v[178:179]
	v_mul_f64 v[123:124], v[107:108], v[178:179]
	s_waitcnt vmcnt(9)
	v_fma_f64 v[1:2], v[2:3], v[117:118], -v[135:136]
	v_fma_f64 v[3:4], v[4:5], v[117:118], v[133:134]
	s_waitcnt vmcnt(7) lgkmcnt(0)
	v_mul_f64 v[117:118], v[113:114], v[121:122]
	v_add_f64 v[119:120], v[119:120], v[137:138]
	v_add_f64 v[5:6], v[6:7], v[125:126]
	v_mul_f64 v[7:8], v[111:112], v[121:122]
	s_waitcnt vmcnt(6)
	v_fma_f64 v[107:108], v[107:108], v[180:181], -v[129:130]
	v_fma_f64 v[109:110], v[109:110], v[180:181], v[123:124]
	v_add_f64 v[1:2], v[119:120], v[1:2]
	v_add_f64 v[3:4], v[5:6], v[3:4]
	s_waitcnt vmcnt(4)
	v_fma_f64 v[5:6], v[111:112], v[115:116], -v[117:118]
	v_fma_f64 v[7:8], v[113:114], v[115:116], v[7:8]
	v_add_f64 v[1:2], v[1:2], v[107:108]
	v_add_f64 v[3:4], v[3:4], v[109:110]
	;; [unrolled: 1-line block ×4, first 2 shown]
	s_waitcnt vmcnt(2)
	v_add_f64 v[1:2], v[127:128], -v[1:2]
	s_waitcnt vmcnt(0)
	v_add_f64 v[3:4], v[131:132], -v[3:4]
	buffer_store_dword v2, off, s[0:3], 0 offset:500
	buffer_store_dword v1, off, s[0:3], 0 offset:496
	;; [unrolled: 1-line block ×4, first 2 shown]
	v_cmpx_lt_u32_e32 29, v0
	s_cbranch_execz .LBB112_249
; %bb.248:
	v_mov_b32_e32 v4, s31
	v_mov_b32_e32 v5, 0
	s_clause 0x3
	buffer_load_dword v1, v4, s[0:3], 0 offen
	buffer_load_dword v2, v4, s[0:3], 0 offen offset:4
	buffer_load_dword v3, v4, s[0:3], 0 offen offset:8
	;; [unrolled: 1-line block ×3, first 2 shown]
	buffer_store_dword v5, off, s[0:3], 0 offset:480
	buffer_store_dword v5, off, s[0:3], 0 offset:484
	;; [unrolled: 1-line block ×4, first 2 shown]
	s_waitcnt vmcnt(0)
	ds_write_b128 v167, v[1:4]
.LBB112_249:
	s_or_b32 exec_lo, exec_lo, s4
	s_waitcnt lgkmcnt(0)
	s_waitcnt_vscnt null, 0x0
	s_barrier
	buffer_gl0_inv
	s_clause 0x37
	buffer_load_dword v6, off, s[0:3], 0 offset:504
	buffer_load_dword v7, off, s[0:3], 0 offset:508
	;; [unrolled: 1-line block ×56, first 2 shown]
	v_mov_b32_e32 v1, 0
	s_mov_b32 s4, exec_lo
	ds_read_b128 v[2:5], v1 offset:1264
	s_clause 0x2
	buffer_load_dword v169, off, s[0:3], 0 offset:732
	buffer_load_dword v173, off, s[0:3], 0 offset:708
	;; [unrolled: 1-line block ×3, first 2 shown]
	ds_read_b128 v[107:110], v1 offset:1280
	s_clause 0x4
	buffer_load_dword v177, off, s[0:3], 0 offset:748
	buffer_load_dword v178, off, s[0:3], 0 offset:760
	;; [unrolled: 1-line block ×5, first 2 shown]
	ds_read_b128 v[111:114], v1 offset:1296
	s_waitcnt vmcnt(62) lgkmcnt(2)
	v_mul_f64 v[174:175], v[4:5], v[6:7]
	v_mul_f64 v[6:7], v[2:3], v[6:7]
	s_waitcnt vmcnt(60) lgkmcnt(1)
	v_mul_f64 v[181:182], v[109:110], v[115:116]
	v_mul_f64 v[115:116], v[107:108], v[115:116]
	;; [unrolled: 3-line block ×3, first 2 shown]
	v_fma_f64 v[174:175], v[2:3], v[117:118], -v[174:175]
	v_fma_f64 v[6:7], v[4:5], v[117:118], v[6:7]
	s_clause 0x2
	buffer_load_dword v179, off, s[0:3], 0 offset:764
	buffer_load_dword v118, off, s[0:3], 0 offset:740
	;; [unrolled: 1-line block ×3, first 2 shown]
	s_waitcnt vmcnt(57)
	v_fma_f64 v[185:186], v[107:108], v[121:122], -v[181:182]
	ds_read_b128 v[2:5], v1 offset:1312
	v_fma_f64 v[115:116], v[109:110], v[121:122], v[115:116]
	s_clause 0x4
	buffer_load_dword v122, off, s[0:3], 0 offset:780
	buffer_load_dword v182, off, s[0:3], 0 offset:792
	buffer_load_dword v187, off, s[0:3], 0 offset:784
	buffer_load_dword v121, off, s[0:3], 0 offset:776
	buffer_load_dword v181, off, s[0:3], 0 offset:756
	s_waitcnt vmcnt(56)
	v_fma_f64 v[119:120], v[111:112], v[129:130], -v[119:120]
	ds_read_b128 v[107:110], v1 offset:1328
	v_fma_f64 v[129:130], v[113:114], v[129:130], v[183:184]
	v_add_f64 v[174:175], v[174:175], 0
	v_add_f64 v[6:7], v[6:7], 0
	s_waitcnt lgkmcnt(1)
	v_mul_f64 v[188:189], v[2:3], v[123:124]
	v_mul_f64 v[123:124], v[4:5], v[123:124]
	v_add_f64 v[174:175], v[174:175], v[185:186]
	v_add_f64 v[6:7], v[6:7], v[115:116]
	s_clause 0x2
	buffer_load_dword v183, off, s[0:3], 0 offset:796
	buffer_load_dword v116, off, s[0:3], 0 offset:772
	;; [unrolled: 1-line block ×3, first 2 shown]
	s_waitcnt vmcnt(58) lgkmcnt(0)
	v_mul_f64 v[184:185], v[107:108], v[125:126]
	v_mul_f64 v[125:126], v[109:110], v[125:126]
	s_waitcnt vmcnt(56)
	v_fma_f64 v[123:124], v[2:3], v[131:132], -v[123:124]
	ds_read_b128 v[111:114], v1 offset:1344
	v_fma_f64 v[131:132], v[4:5], v[131:132], v[188:189]
	buffer_load_dword v188, off, s[0:3], 0 offset:788
	ds_read_b128 v[2:5], v1 offset:1360
	v_add_f64 v[119:120], v[174:175], v[119:120]
	v_add_f64 v[6:7], v[6:7], v[129:130]
	s_waitcnt vmcnt(53) lgkmcnt(1)
	v_mul_f64 v[129:130], v[111:112], v[133:134]
	v_mul_f64 v[133:134], v[113:114], v[133:134]
	s_waitcnt vmcnt(52)
	v_fma_f64 v[125:126], v[107:108], v[127:128], -v[125:126]
	v_add_f64 v[119:120], v[119:120], v[123:124]
	v_fma_f64 v[123:124], v[109:110], v[127:128], v[184:185]
	v_add_f64 v[6:7], v[6:7], v[131:132]
	s_waitcnt vmcnt(51) lgkmcnt(0)
	v_mul_f64 v[131:132], v[4:5], v[135:136]
	ds_read_b128 v[107:110], v1 offset:1376
	s_waitcnt vmcnt(49)
	v_fma_f64 v[133:134], v[111:112], v[139:140], -v[133:134]
	v_mul_f64 v[127:128], v[2:3], v[135:136]
	v_add_f64 v[119:120], v[119:120], v[125:126]
	v_fma_f64 v[125:126], v[113:114], v[139:140], v[129:130]
	v_add_f64 v[6:7], v[6:7], v[123:124]
	s_clause 0x3
	buffer_load_dword v123, off, s[0:3], 0 offset:480
	buffer_load_dword v124, off, s[0:3], 0 offset:484
	;; [unrolled: 1-line block ×4, first 2 shown]
	s_waitcnt vmcnt(49) lgkmcnt(0)
	v_mul_f64 v[139:140], v[109:110], v[141:142]
	s_waitcnt vmcnt(48)
	v_fma_f64 v[131:132], v[2:3], v[137:138], -v[131:132]
	ds_read_b128 v[111:114], v1 offset:1392
	v_mul_f64 v[135:136], v[107:108], v[141:142]
	v_fma_f64 v[127:128], v[4:5], v[137:138], v[127:128]
	ds_read_b128 v[2:5], v1 offset:1408
	v_add_f64 v[119:120], v[119:120], v[133:134]
	v_add_f64 v[6:7], v[6:7], v[125:126]
	s_waitcnt vmcnt(47) lgkmcnt(1)
	v_mul_f64 v[133:134], v[113:114], v[143:144]
	s_waitcnt vmcnt(45)
	v_fma_f64 v[137:138], v[107:108], v[147:148], -v[139:140]
	v_mul_f64 v[125:126], v[111:112], v[143:144]
	v_add_f64 v[119:120], v[119:120], v[131:132]
	v_fma_f64 v[131:132], v[109:110], v[147:148], v[135:136]
	v_add_f64 v[6:7], v[6:7], v[127:128]
	s_waitcnt vmcnt(41) lgkmcnt(0)
	v_mul_f64 v[135:136], v[4:5], v[149:150]
	s_waitcnt vmcnt(40)
	v_fma_f64 v[133:134], v[111:112], v[145:146], -v[133:134]
	ds_read_b128 v[107:110], v1 offset:1424
	v_mul_f64 v[127:128], v[2:3], v[149:150]
	v_fma_f64 v[125:126], v[113:114], v[145:146], v[125:126]
	ds_read_b128 v[111:114], v1 offset:1440
	v_add_f64 v[119:120], v[119:120], v[137:138]
	v_add_f64 v[6:7], v[6:7], v[131:132]
	s_waitcnt vmcnt(39) lgkmcnt(1)
	v_mul_f64 v[137:138], v[109:110], v[151:152]
	s_waitcnt vmcnt(37)
	v_fma_f64 v[135:136], v[2:3], v[155:156], -v[135:136]
	v_mul_f64 v[131:132], v[107:108], v[151:152]
	v_fma_f64 v[127:128], v[4:5], v[155:156], v[127:128]
	ds_read_b128 v[2:5], v1 offset:1456
	v_add_f64 v[119:120], v[119:120], v[133:134]
	s_waitcnt vmcnt(33) lgkmcnt(1)
	v_mul_f64 v[133:134], v[113:114], v[157:158]
	v_add_f64 v[6:7], v[6:7], v[125:126]
	s_waitcnt vmcnt(32)
	v_fma_f64 v[137:138], v[107:108], v[153:154], -v[137:138]
	v_mul_f64 v[125:126], v[111:112], v[157:158]
	v_fma_f64 v[131:132], v[109:110], v[153:154], v[131:132]
	ds_read_b128 v[107:110], v1 offset:1472
	v_add_f64 v[119:120], v[119:120], v[135:136]
	s_waitcnt vmcnt(31) lgkmcnt(1)
	v_mul_f64 v[135:136], v[4:5], v[159:160]
	v_add_f64 v[6:7], v[6:7], v[127:128]
	;; [unrolled: 9-line block ×5, first 2 shown]
	s_waitcnt vmcnt(16)
	v_fma_f64 v[133:134], v[111:112], v[170:171], -v[133:134]
	v_mul_f64 v[127:128], v[2:3], v[176:177]
	v_fma_f64 v[125:126], v[113:114], v[170:171], v[125:126]
	ds_read_b128 v[111:114], v1 offset:1536
	v_add_f64 v[119:120], v[119:120], v[137:138]
	v_add_f64 v[6:7], v[6:7], v[131:132]
	s_waitcnt vmcnt(15) lgkmcnt(1)
	v_mul_f64 v[137:138], v[109:110], v[178:179]
	v_mul_f64 v[131:132], v[107:108], v[178:179]
	s_waitcnt vmcnt(13)
	v_fma_f64 v[135:136], v[2:3], v[117:118], -v[135:136]
	v_fma_f64 v[117:118], v[4:5], v[117:118], v[127:128]
	ds_read_b128 v[2:5], v1 offset:1552
	v_add_f64 v[119:120], v[119:120], v[133:134]
	v_add_f64 v[6:7], v[6:7], v[125:126]
	s_waitcnt vmcnt(9) lgkmcnt(1)
	v_mul_f64 v[125:126], v[111:112], v[121:122]
	v_mul_f64 v[121:122], v[113:114], v[121:122]
	s_waitcnt vmcnt(8)
	v_fma_f64 v[107:108], v[107:108], v[180:181], -v[137:138]
	v_fma_f64 v[109:110], v[109:110], v[180:181], v[131:132]
	v_add_f64 v[119:120], v[119:120], v[135:136]
	v_add_f64 v[6:7], v[6:7], v[117:118]
	s_waitcnt vmcnt(7) lgkmcnt(0)
	v_mul_f64 v[127:128], v[4:5], v[182:183]
	v_mul_f64 v[117:118], v[2:3], v[182:183]
	s_waitcnt vmcnt(5)
	v_fma_f64 v[111:112], v[111:112], v[115:116], -v[121:122]
	v_fma_f64 v[113:114], v[113:114], v[115:116], v[125:126]
	v_add_f64 v[107:108], v[119:120], v[107:108]
	v_add_f64 v[6:7], v[6:7], v[109:110]
	s_waitcnt vmcnt(4)
	v_fma_f64 v[2:3], v[2:3], v[187:188], -v[127:128]
	v_fma_f64 v[4:5], v[4:5], v[187:188], v[117:118]
	v_add_f64 v[107:108], v[107:108], v[111:112]
	v_add_f64 v[6:7], v[6:7], v[113:114]
	;; [unrolled: 1-line block ×4, first 2 shown]
	s_waitcnt vmcnt(2)
	v_add_f64 v[2:3], v[123:124], -v[2:3]
	s_waitcnt vmcnt(0)
	v_add_f64 v[4:5], v[129:130], -v[4:5]
	buffer_store_dword v3, off, s[0:3], 0 offset:484
	buffer_store_dword v2, off, s[0:3], 0 offset:480
	;; [unrolled: 1-line block ×4, first 2 shown]
	v_cmpx_lt_u32_e32 28, v0
	s_cbranch_execz .LBB112_251
; %bb.250:
	v_mov_b32_e32 v5, s33
	s_clause 0x3
	buffer_load_dword v2, v5, s[0:3], 0 offen
	buffer_load_dword v3, v5, s[0:3], 0 offen offset:4
	buffer_load_dword v4, v5, s[0:3], 0 offen offset:8
	;; [unrolled: 1-line block ×3, first 2 shown]
	buffer_store_dword v1, off, s[0:3], 0 offset:464
	buffer_store_dword v1, off, s[0:3], 0 offset:468
	;; [unrolled: 1-line block ×4, first 2 shown]
	s_waitcnt vmcnt(0)
	ds_write_b128 v167, v[2:5]
.LBB112_251:
	s_or_b32 exec_lo, exec_lo, s4
	s_waitcnt lgkmcnt(0)
	s_waitcnt_vscnt null, 0x0
	s_barrier
	buffer_gl0_inv
	s_clause 0x37
	buffer_load_dword v6, off, s[0:3], 0 offset:488
	buffer_load_dword v7, off, s[0:3], 0 offset:492
	;; [unrolled: 1-line block ×56, first 2 shown]
	ds_read_b128 v[2:5], v1 offset:1248
	s_clause 0x2
	buffer_load_dword v169, off, s[0:3], 0 offset:716
	buffer_load_dword v173, off, s[0:3], 0 offset:692
	;; [unrolled: 1-line block ×3, first 2 shown]
	ds_read_b128 v[107:110], v1 offset:1264
	s_clause 0x4
	buffer_load_dword v177, off, s[0:3], 0 offset:732
	buffer_load_dword v178, off, s[0:3], 0 offset:744
	;; [unrolled: 1-line block ×5, first 2 shown]
	ds_read_b128 v[111:114], v1 offset:1280
	s_mov_b32 s4, exec_lo
	s_waitcnt vmcnt(62) lgkmcnt(2)
	v_mul_f64 v[174:175], v[4:5], v[6:7]
	v_mul_f64 v[6:7], v[2:3], v[6:7]
	s_waitcnt vmcnt(60) lgkmcnt(1)
	v_mul_f64 v[181:182], v[109:110], v[115:116]
	v_mul_f64 v[115:116], v[107:108], v[115:116]
	;; [unrolled: 3-line block ×3, first 2 shown]
	v_fma_f64 v[174:175], v[2:3], v[117:118], -v[174:175]
	v_fma_f64 v[6:7], v[4:5], v[117:118], v[6:7]
	s_clause 0x2
	buffer_load_dword v179, off, s[0:3], 0 offset:748
	buffer_load_dword v118, off, s[0:3], 0 offset:724
	;; [unrolled: 1-line block ×3, first 2 shown]
	s_waitcnt vmcnt(57)
	v_fma_f64 v[185:186], v[107:108], v[121:122], -v[181:182]
	ds_read_b128 v[2:5], v1 offset:1296
	v_fma_f64 v[115:116], v[109:110], v[121:122], v[115:116]
	s_clause 0x4
	buffer_load_dword v122, off, s[0:3], 0 offset:764
	buffer_load_dword v182, off, s[0:3], 0 offset:776
	;; [unrolled: 1-line block ×5, first 2 shown]
	s_waitcnt vmcnt(56)
	v_fma_f64 v[119:120], v[111:112], v[129:130], -v[119:120]
	ds_read_b128 v[107:110], v1 offset:1312
	v_fma_f64 v[129:130], v[113:114], v[129:130], v[183:184]
	v_add_f64 v[174:175], v[174:175], 0
	v_add_f64 v[6:7], v[6:7], 0
	s_waitcnt lgkmcnt(1)
	v_mul_f64 v[188:189], v[2:3], v[123:124]
	v_mul_f64 v[123:124], v[4:5], v[123:124]
	v_add_f64 v[174:175], v[174:175], v[185:186]
	v_add_f64 v[6:7], v[6:7], v[115:116]
	s_clause 0x2
	buffer_load_dword v183, off, s[0:3], 0 offset:780
	buffer_load_dword v116, off, s[0:3], 0 offset:756
	;; [unrolled: 1-line block ×3, first 2 shown]
	s_waitcnt vmcnt(58) lgkmcnt(0)
	v_mul_f64 v[184:185], v[107:108], v[125:126]
	v_mul_f64 v[125:126], v[109:110], v[125:126]
	s_waitcnt vmcnt(56)
	v_fma_f64 v[123:124], v[2:3], v[131:132], -v[123:124]
	ds_read_b128 v[111:114], v1 offset:1328
	v_fma_f64 v[131:132], v[4:5], v[131:132], v[188:189]
	v_add_f64 v[119:120], v[174:175], v[119:120]
	v_add_f64 v[6:7], v[6:7], v[129:130]
	s_clause 0x2
	buffer_load_dword v130, off, s[0:3], 0 offset:796
	buffer_load_dword v129, off, s[0:3], 0 offset:792
	buffer_load_dword v188, off, s[0:3], 0 offset:772
	ds_read_b128 v[2:5], v1 offset:1344
	s_waitcnt vmcnt(55) lgkmcnt(1)
	v_mul_f64 v[174:175], v[111:112], v[133:134]
	v_mul_f64 v[133:134], v[113:114], v[133:134]
	s_waitcnt vmcnt(54)
	v_fma_f64 v[125:126], v[107:108], v[127:128], -v[125:126]
	v_add_f64 v[119:120], v[119:120], v[123:124]
	v_fma_f64 v[123:124], v[109:110], v[127:128], v[184:185]
	v_add_f64 v[6:7], v[6:7], v[131:132]
	s_clause 0x1
	buffer_load_dword v128, off, s[0:3], 0 offset:788
	buffer_load_dword v127, off, s[0:3], 0 offset:784
	s_waitcnt vmcnt(55) lgkmcnt(0)
	v_mul_f64 v[131:132], v[2:3], v[135:136]
	v_mul_f64 v[135:136], v[4:5], v[135:136]
	s_waitcnt vmcnt(53)
	v_fma_f64 v[133:134], v[111:112], v[139:140], -v[133:134]
	ds_read_b128 v[107:110], v1 offset:1360
	v_add_f64 v[119:120], v[119:120], v[125:126]
	v_fma_f64 v[125:126], v[113:114], v[139:140], v[174:175]
	v_add_f64 v[6:7], v[6:7], v[123:124]
	ds_read_b128 v[111:114], v1 offset:1376
	s_waitcnt vmcnt(48)
	v_fma_f64 v[131:132], v[4:5], v[137:138], v[131:132]
	s_waitcnt lgkmcnt(1)
	v_mul_f64 v[139:140], v[109:110], v[141:142]
	v_fma_f64 v[135:136], v[2:3], v[137:138], -v[135:136]
	v_mul_f64 v[123:124], v[107:108], v[141:142]
	v_add_f64 v[119:120], v[119:120], v[133:134]
	s_waitcnt vmcnt(47) lgkmcnt(0)
	v_mul_f64 v[141:142], v[113:114], v[143:144]
	v_add_f64 v[6:7], v[6:7], v[125:126]
	s_clause 0x3
	buffer_load_dword v125, off, s[0:3], 0 offset:464
	buffer_load_dword v126, off, s[0:3], 0 offset:468
	;; [unrolled: 1-line block ×4, first 2 shown]
	ds_read_b128 v[2:5], v1 offset:1392
	s_waitcnt vmcnt(49)
	v_fma_f64 v[139:140], v[107:108], v[147:148], -v[139:140]
	v_mul_f64 v[137:138], v[111:112], v[143:144]
	v_fma_f64 v[123:124], v[109:110], v[147:148], v[123:124]
	ds_read_b128 v[107:110], v1 offset:1408
	v_add_f64 v[119:120], v[119:120], v[135:136]
	s_waitcnt vmcnt(44)
	v_fma_f64 v[141:142], v[111:112], v[145:146], -v[141:142]
	v_add_f64 v[6:7], v[6:7], v[131:132]
	s_waitcnt lgkmcnt(1)
	v_mul_f64 v[135:136], v[4:5], v[149:150]
	v_mul_f64 v[131:132], v[2:3], v[149:150]
	v_fma_f64 v[137:138], v[113:114], v[145:146], v[137:138]
	ds_read_b128 v[111:114], v1 offset:1424
	v_add_f64 v[119:120], v[119:120], v[139:140]
	s_waitcnt vmcnt(43) lgkmcnt(1)
	v_mul_f64 v[139:140], v[109:110], v[151:152]
	v_add_f64 v[6:7], v[6:7], v[123:124]
	s_waitcnt vmcnt(41)
	v_fma_f64 v[135:136], v[2:3], v[155:156], -v[135:136]
	v_mul_f64 v[123:124], v[107:108], v[151:152]
	v_fma_f64 v[131:132], v[4:5], v[155:156], v[131:132]
	ds_read_b128 v[2:5], v1 offset:1440
	v_add_f64 v[119:120], v[119:120], v[141:142]
	s_waitcnt vmcnt(37) lgkmcnt(1)
	v_mul_f64 v[141:142], v[113:114], v[157:158]
	v_add_f64 v[6:7], v[6:7], v[137:138]
	s_waitcnt vmcnt(36)
	v_fma_f64 v[139:140], v[107:108], v[153:154], -v[139:140]
	;; [unrolled: 9-line block ×6, first 2 shown]
	v_mul_f64 v[131:132], v[2:3], v[176:177]
	v_fma_f64 v[137:138], v[113:114], v[170:171], v[137:138]
	ds_read_b128 v[111:114], v1 offset:1520
	v_add_f64 v[119:120], v[119:120], v[139:140]
	v_add_f64 v[6:7], v[6:7], v[123:124]
	s_waitcnt vmcnt(19) lgkmcnt(1)
	v_mul_f64 v[139:140], v[109:110], v[178:179]
	v_mul_f64 v[123:124], v[107:108], v[178:179]
	s_waitcnt vmcnt(17)
	v_fma_f64 v[135:136], v[2:3], v[117:118], -v[135:136]
	v_fma_f64 v[117:118], v[4:5], v[117:118], v[131:132]
	ds_read_b128 v[2:5], v1 offset:1536
	s_waitcnt vmcnt(13) lgkmcnt(1)
	v_mul_f64 v[131:132], v[111:112], v[121:122]
	v_mul_f64 v[121:122], v[113:114], v[121:122]
	v_add_f64 v[119:120], v[119:120], v[141:142]
	v_add_f64 v[6:7], v[6:7], v[137:138]
	s_waitcnt vmcnt(12)
	v_fma_f64 v[137:138], v[107:108], v[180:181], -v[139:140]
	v_fma_f64 v[123:124], v[109:110], v[180:181], v[123:124]
	ds_read_b128 v[107:110], v1 offset:1552
	v_add_f64 v[119:120], v[119:120], v[135:136]
	v_add_f64 v[6:7], v[6:7], v[117:118]
	s_waitcnt vmcnt(11) lgkmcnt(1)
	v_mul_f64 v[135:136], v[4:5], v[182:183]
	v_mul_f64 v[117:118], v[2:3], v[182:183]
	s_waitcnt vmcnt(9)
	v_fma_f64 v[111:112], v[111:112], v[115:116], -v[121:122]
	v_fma_f64 v[113:114], v[113:114], v[115:116], v[131:132]
	v_add_f64 v[119:120], v[119:120], v[137:138]
	v_add_f64 v[6:7], v[6:7], v[123:124]
	s_waitcnt vmcnt(7) lgkmcnt(0)
	v_mul_f64 v[121:122], v[109:110], v[129:130]
	s_waitcnt vmcnt(6)
	v_fma_f64 v[1:2], v[2:3], v[187:188], -v[135:136]
	v_mul_f64 v[115:116], v[107:108], v[129:130]
	v_fma_f64 v[3:4], v[4:5], v[187:188], v[117:118]
	v_add_f64 v[111:112], v[119:120], v[111:112]
	v_add_f64 v[5:6], v[6:7], v[113:114]
	s_waitcnt vmcnt(4)
	v_fma_f64 v[7:8], v[107:108], v[127:128], -v[121:122]
	v_fma_f64 v[107:108], v[109:110], v[127:128], v[115:116]
	v_add_f64 v[1:2], v[111:112], v[1:2]
	v_add_f64 v[3:4], v[5:6], v[3:4]
	;; [unrolled: 1-line block ×4, first 2 shown]
	s_waitcnt vmcnt(2)
	v_add_f64 v[1:2], v[125:126], -v[1:2]
	s_waitcnt vmcnt(0)
	v_add_f64 v[3:4], v[133:134], -v[3:4]
	buffer_store_dword v2, off, s[0:3], 0 offset:468
	buffer_store_dword v1, off, s[0:3], 0 offset:464
	;; [unrolled: 1-line block ×4, first 2 shown]
	v_cmpx_lt_u32_e32 27, v0
	s_cbranch_execz .LBB112_253
; %bb.252:
	v_mov_b32_e32 v4, s34
	v_mov_b32_e32 v5, 0
	s_clause 0x3
	buffer_load_dword v1, v4, s[0:3], 0 offen
	buffer_load_dword v2, v4, s[0:3], 0 offen offset:4
	buffer_load_dword v3, v4, s[0:3], 0 offen offset:8
	;; [unrolled: 1-line block ×3, first 2 shown]
	buffer_store_dword v5, off, s[0:3], 0 offset:448
	buffer_store_dword v5, off, s[0:3], 0 offset:452
	;; [unrolled: 1-line block ×4, first 2 shown]
	s_waitcnt vmcnt(0)
	ds_write_b128 v167, v[1:4]
.LBB112_253:
	s_or_b32 exec_lo, exec_lo, s4
	s_waitcnt lgkmcnt(0)
	s_waitcnt_vscnt null, 0x0
	s_barrier
	buffer_gl0_inv
	s_clause 0x37
	buffer_load_dword v6, off, s[0:3], 0 offset:472
	buffer_load_dword v7, off, s[0:3], 0 offset:476
	;; [unrolled: 1-line block ×56, first 2 shown]
	v_mov_b32_e32 v1, 0
	s_mov_b32 s4, exec_lo
	ds_read_b128 v[2:5], v1 offset:1232
	s_clause 0x2
	buffer_load_dword v169, off, s[0:3], 0 offset:700
	buffer_load_dword v173, off, s[0:3], 0 offset:676
	;; [unrolled: 1-line block ×3, first 2 shown]
	ds_read_b128 v[107:110], v1 offset:1248
	s_clause 0x4
	buffer_load_dword v177, off, s[0:3], 0 offset:716
	buffer_load_dword v178, off, s[0:3], 0 offset:728
	;; [unrolled: 1-line block ×5, first 2 shown]
	ds_read_b128 v[111:114], v1 offset:1264
	s_waitcnt vmcnt(62) lgkmcnt(2)
	v_mul_f64 v[174:175], v[4:5], v[6:7]
	v_mul_f64 v[6:7], v[2:3], v[6:7]
	s_waitcnt vmcnt(60) lgkmcnt(1)
	v_mul_f64 v[181:182], v[109:110], v[115:116]
	v_mul_f64 v[115:116], v[107:108], v[115:116]
	s_waitcnt vmcnt(56) lgkmcnt(0)
	v_mul_f64 v[183:184], v[111:112], v[119:120]
	v_mul_f64 v[119:120], v[113:114], v[119:120]
	v_fma_f64 v[174:175], v[2:3], v[117:118], -v[174:175]
	v_fma_f64 v[6:7], v[4:5], v[117:118], v[6:7]
	s_clause 0x2
	buffer_load_dword v179, off, s[0:3], 0 offset:732
	buffer_load_dword v118, off, s[0:3], 0 offset:708
	;; [unrolled: 1-line block ×3, first 2 shown]
	s_waitcnt vmcnt(57)
	v_fma_f64 v[185:186], v[107:108], v[121:122], -v[181:182]
	ds_read_b128 v[2:5], v1 offset:1280
	v_fma_f64 v[115:116], v[109:110], v[121:122], v[115:116]
	s_clause 0x4
	buffer_load_dword v122, off, s[0:3], 0 offset:748
	buffer_load_dword v182, off, s[0:3], 0 offset:760
	;; [unrolled: 1-line block ×5, first 2 shown]
	s_waitcnt vmcnt(56)
	v_fma_f64 v[119:120], v[111:112], v[129:130], -v[119:120]
	ds_read_b128 v[107:110], v1 offset:1296
	v_fma_f64 v[129:130], v[113:114], v[129:130], v[183:184]
	v_add_f64 v[174:175], v[174:175], 0
	v_add_f64 v[6:7], v[6:7], 0
	s_waitcnt lgkmcnt(1)
	v_mul_f64 v[188:189], v[2:3], v[123:124]
	v_mul_f64 v[123:124], v[4:5], v[123:124]
	v_add_f64 v[174:175], v[174:175], v[185:186]
	v_add_f64 v[6:7], v[6:7], v[115:116]
	s_clause 0x2
	buffer_load_dword v183, off, s[0:3], 0 offset:764
	buffer_load_dword v116, off, s[0:3], 0 offset:740
	;; [unrolled: 1-line block ×3, first 2 shown]
	s_waitcnt vmcnt(58) lgkmcnt(0)
	v_mul_f64 v[184:185], v[107:108], v[125:126]
	v_mul_f64 v[125:126], v[109:110], v[125:126]
	s_waitcnt vmcnt(56)
	v_fma_f64 v[123:124], v[2:3], v[131:132], -v[123:124]
	ds_read_b128 v[111:114], v1 offset:1312
	v_fma_f64 v[131:132], v[4:5], v[131:132], v[188:189]
	v_add_f64 v[119:120], v[174:175], v[119:120]
	v_add_f64 v[6:7], v[6:7], v[129:130]
	s_clause 0x4
	buffer_load_dword v130, off, s[0:3], 0 offset:780
	buffer_load_dword v174, off, s[0:3], 0 offset:792
	;; [unrolled: 1-line block ×5, first 2 shown]
	ds_read_b128 v[2:5], v1 offset:1328
	s_waitcnt vmcnt(57) lgkmcnt(1)
	v_mul_f64 v[190:191], v[111:112], v[133:134]
	v_mul_f64 v[133:134], v[113:114], v[133:134]
	s_waitcnt vmcnt(56)
	v_fma_f64 v[125:126], v[107:108], v[127:128], -v[125:126]
	v_add_f64 v[119:120], v[119:120], v[123:124]
	v_fma_f64 v[123:124], v[109:110], v[127:128], v[184:185]
	v_add_f64 v[6:7], v[6:7], v[131:132]
	s_clause 0x2
	buffer_load_dword v175, off, s[0:3], 0 offset:796
	buffer_load_dword v128, off, s[0:3], 0 offset:772
	;; [unrolled: 1-line block ×3, first 2 shown]
	s_waitcnt vmcnt(58) lgkmcnt(0)
	v_mul_f64 v[131:132], v[2:3], v[135:136]
	v_mul_f64 v[135:136], v[4:5], v[135:136]
	s_waitcnt vmcnt(56)
	v_fma_f64 v[133:134], v[111:112], v[139:140], -v[133:134]
	ds_read_b128 v[107:110], v1 offset:1344
	v_add_f64 v[119:120], v[119:120], v[125:126]
	v_fma_f64 v[125:126], v[113:114], v[139:140], v[190:191]
	v_add_f64 v[6:7], v[6:7], v[123:124]
	buffer_load_dword v190, off, s[0:3], 0 offset:788
	ds_read_b128 v[111:114], v1 offset:1360
	s_waitcnt vmcnt(53) lgkmcnt(1)
	v_mul_f64 v[139:140], v[109:110], v[141:142]
	s_waitcnt vmcnt(52)
	v_fma_f64 v[135:136], v[2:3], v[137:138], -v[135:136]
	v_mul_f64 v[123:124], v[107:108], v[141:142]
	v_fma_f64 v[131:132], v[4:5], v[137:138], v[131:132]
	ds_read_b128 v[2:5], v1 offset:1376
	v_add_f64 v[119:120], v[119:120], v[133:134]
	v_add_f64 v[6:7], v[6:7], v[125:126]
	s_waitcnt vmcnt(51) lgkmcnt(1)
	v_mul_f64 v[133:134], v[113:114], v[143:144]
	v_mul_f64 v[125:126], v[111:112], v[143:144]
	s_waitcnt vmcnt(49)
	v_fma_f64 v[137:138], v[107:108], v[147:148], -v[139:140]
	v_fma_f64 v[123:124], v[109:110], v[147:148], v[123:124]
	s_waitcnt vmcnt(45) lgkmcnt(0)
	v_mul_f64 v[141:142], v[4:5], v[149:150]
	v_mul_f64 v[139:140], v[2:3], v[149:150]
	v_add_f64 v[119:120], v[119:120], v[135:136]
	v_add_f64 v[6:7], v[6:7], v[131:132]
	s_clause 0x3
	buffer_load_dword v131, off, s[0:3], 0 offset:448
	buffer_load_dword v132, off, s[0:3], 0 offset:452
	;; [unrolled: 1-line block ×4, first 2 shown]
	s_waitcnt vmcnt(48)
	v_fma_f64 v[133:134], v[111:112], v[145:146], -v[133:134]
	ds_read_b128 v[107:110], v1 offset:1392
	v_fma_f64 v[125:126], v[113:114], v[145:146], v[125:126]
	ds_read_b128 v[111:114], v1 offset:1408
	s_waitcnt vmcnt(45)
	v_fma_f64 v[141:142], v[2:3], v[155:156], -v[141:142]
	v_add_f64 v[119:120], v[119:120], v[137:138]
	v_add_f64 v[6:7], v[6:7], v[123:124]
	s_waitcnt lgkmcnt(1)
	v_mul_f64 v[137:138], v[109:110], v[151:152]
	v_mul_f64 v[123:124], v[107:108], v[151:152]
	v_add_f64 v[119:120], v[119:120], v[133:134]
	v_fma_f64 v[133:134], v[4:5], v[155:156], v[139:140]
	v_add_f64 v[6:7], v[6:7], v[125:126]
	s_waitcnt vmcnt(41) lgkmcnt(0)
	v_mul_f64 v[139:140], v[113:114], v[157:158]
	s_waitcnt vmcnt(40)
	v_fma_f64 v[137:138], v[107:108], v[153:154], -v[137:138]
	ds_read_b128 v[2:5], v1 offset:1424
	v_mul_f64 v[125:126], v[111:112], v[157:158]
	v_fma_f64 v[123:124], v[109:110], v[153:154], v[123:124]
	ds_read_b128 v[107:110], v1 offset:1440
	v_add_f64 v[119:120], v[119:120], v[141:142]
	v_add_f64 v[6:7], v[6:7], v[133:134]
	s_waitcnt vmcnt(39) lgkmcnt(1)
	v_mul_f64 v[141:142], v[4:5], v[159:160]
	s_waitcnt vmcnt(37)
	v_fma_f64 v[139:140], v[111:112], v[163:164], -v[139:140]
	v_mul_f64 v[133:134], v[2:3], v[159:160]
	v_fma_f64 v[125:126], v[113:114], v[163:164], v[125:126]
	ds_read_b128 v[111:114], v1 offset:1456
	v_add_f64 v[119:120], v[119:120], v[137:138]
	s_waitcnt vmcnt(33) lgkmcnt(1)
	v_mul_f64 v[137:138], v[109:110], v[165:166]
	v_add_f64 v[6:7], v[6:7], v[123:124]
	s_waitcnt vmcnt(32)
	v_fma_f64 v[141:142], v[2:3], v[161:162], -v[141:142]
	v_mul_f64 v[123:124], v[107:108], v[165:166]
	v_fma_f64 v[133:134], v[4:5], v[161:162], v[133:134]
	ds_read_b128 v[2:5], v1 offset:1472
	v_add_f64 v[119:120], v[119:120], v[139:140]
	s_waitcnt vmcnt(31) lgkmcnt(1)
	v_mul_f64 v[139:140], v[113:114], v[168:169]
	v_add_f64 v[6:7], v[6:7], v[125:126]
	;; [unrolled: 9-line block ×3, first 2 shown]
	s_waitcnt vmcnt(24)
	v_fma_f64 v[139:140], v[111:112], v[170:171], -v[139:140]
	v_mul_f64 v[133:134], v[2:3], v[176:177]
	v_fma_f64 v[125:126], v[113:114], v[170:171], v[125:126]
	ds_read_b128 v[111:114], v1 offset:1504
	v_add_f64 v[119:120], v[119:120], v[137:138]
	v_add_f64 v[6:7], v[6:7], v[123:124]
	s_waitcnt vmcnt(23) lgkmcnt(1)
	v_mul_f64 v[137:138], v[109:110], v[178:179]
	v_mul_f64 v[123:124], v[107:108], v[178:179]
	s_waitcnt vmcnt(21)
	v_fma_f64 v[141:142], v[2:3], v[117:118], -v[141:142]
	v_fma_f64 v[117:118], v[4:5], v[117:118], v[133:134]
	ds_read_b128 v[2:5], v1 offset:1520
	v_add_f64 v[119:120], v[119:120], v[139:140]
	v_add_f64 v[6:7], v[6:7], v[125:126]
	s_waitcnt vmcnt(17) lgkmcnt(1)
	v_mul_f64 v[125:126], v[111:112], v[121:122]
	v_mul_f64 v[121:122], v[113:114], v[121:122]
	s_waitcnt vmcnt(16)
	v_fma_f64 v[133:134], v[107:108], v[180:181], -v[137:138]
	;; [unrolled: 9-line block ×3, first 2 shown]
	v_fma_f64 v[115:116], v[113:114], v[115:116], v[125:126]
	ds_read_b128 v[111:114], v1 offset:1552
	v_add_f64 v[119:120], v[119:120], v[133:134]
	v_add_f64 v[6:7], v[6:7], v[123:124]
	s_waitcnt vmcnt(9) lgkmcnt(1)
	v_mul_f64 v[125:126], v[109:110], v[129:130]
	s_waitcnt vmcnt(8)
	v_fma_f64 v[2:3], v[2:3], v[187:188], -v[137:138]
	v_mul_f64 v[123:124], v[107:108], v[129:130]
	v_fma_f64 v[4:5], v[4:5], v[187:188], v[117:118]
	v_add_f64 v[119:120], v[119:120], v[121:122]
	v_add_f64 v[6:7], v[6:7], v[115:116]
	s_waitcnt vmcnt(7) lgkmcnt(0)
	v_mul_f64 v[117:118], v[113:114], v[174:175]
	v_mul_f64 v[115:116], v[111:112], v[174:175]
	s_waitcnt vmcnt(5)
	v_fma_f64 v[107:108], v[107:108], v[127:128], -v[125:126]
	v_fma_f64 v[109:110], v[109:110], v[127:128], v[123:124]
	v_add_f64 v[2:3], v[119:120], v[2:3]
	v_add_f64 v[4:5], v[6:7], v[4:5]
	s_waitcnt vmcnt(4)
	v_fma_f64 v[6:7], v[111:112], v[189:190], -v[117:118]
	v_add_f64 v[2:3], v[2:3], v[107:108]
	v_fma_f64 v[107:108], v[113:114], v[189:190], v[115:116]
	v_add_f64 v[4:5], v[4:5], v[109:110]
	v_add_f64 v[2:3], v[2:3], v[6:7]
	;; [unrolled: 1-line block ×3, first 2 shown]
	s_waitcnt vmcnt(2)
	v_add_f64 v[2:3], v[131:132], -v[2:3]
	s_waitcnt vmcnt(0)
	v_add_f64 v[4:5], v[135:136], -v[4:5]
	buffer_store_dword v3, off, s[0:3], 0 offset:452
	buffer_store_dword v2, off, s[0:3], 0 offset:448
	;; [unrolled: 1-line block ×4, first 2 shown]
	v_cmpx_lt_u32_e32 26, v0
	s_cbranch_execz .LBB112_255
; %bb.254:
	v_mov_b32_e32 v5, s35
	s_clause 0x3
	buffer_load_dword v2, v5, s[0:3], 0 offen
	buffer_load_dword v3, v5, s[0:3], 0 offen offset:4
	buffer_load_dword v4, v5, s[0:3], 0 offen offset:8
	;; [unrolled: 1-line block ×3, first 2 shown]
	buffer_store_dword v1, off, s[0:3], 0 offset:432
	buffer_store_dword v1, off, s[0:3], 0 offset:436
	;; [unrolled: 1-line block ×4, first 2 shown]
	s_waitcnt vmcnt(0)
	ds_write_b128 v167, v[2:5]
.LBB112_255:
	s_or_b32 exec_lo, exec_lo, s4
	s_waitcnt lgkmcnt(0)
	s_waitcnt_vscnt null, 0x0
	s_barrier
	buffer_gl0_inv
	s_clause 0x37
	buffer_load_dword v6, off, s[0:3], 0 offset:456
	buffer_load_dword v7, off, s[0:3], 0 offset:460
	;; [unrolled: 1-line block ×56, first 2 shown]
	ds_read_b128 v[2:5], v1 offset:1216
	s_clause 0x2
	buffer_load_dword v169, off, s[0:3], 0 offset:684
	buffer_load_dword v173, off, s[0:3], 0 offset:660
	;; [unrolled: 1-line block ×3, first 2 shown]
	ds_read_b128 v[107:110], v1 offset:1232
	s_clause 0x4
	buffer_load_dword v177, off, s[0:3], 0 offset:700
	buffer_load_dword v178, off, s[0:3], 0 offset:712
	;; [unrolled: 1-line block ×5, first 2 shown]
	ds_read_b128 v[111:114], v1 offset:1248
	s_mov_b32 s4, exec_lo
	s_waitcnt vmcnt(62) lgkmcnt(2)
	v_mul_f64 v[174:175], v[4:5], v[6:7]
	v_mul_f64 v[6:7], v[2:3], v[6:7]
	s_waitcnt vmcnt(60) lgkmcnt(1)
	v_mul_f64 v[181:182], v[109:110], v[115:116]
	v_mul_f64 v[115:116], v[107:108], v[115:116]
	;; [unrolled: 3-line block ×3, first 2 shown]
	v_fma_f64 v[174:175], v[2:3], v[117:118], -v[174:175]
	v_fma_f64 v[6:7], v[4:5], v[117:118], v[6:7]
	s_clause 0x2
	buffer_load_dword v179, off, s[0:3], 0 offset:716
	buffer_load_dword v118, off, s[0:3], 0 offset:692
	;; [unrolled: 1-line block ×3, first 2 shown]
	s_waitcnt vmcnt(57)
	v_fma_f64 v[185:186], v[107:108], v[121:122], -v[181:182]
	ds_read_b128 v[2:5], v1 offset:1264
	v_fma_f64 v[115:116], v[109:110], v[121:122], v[115:116]
	s_clause 0x4
	buffer_load_dword v122, off, s[0:3], 0 offset:732
	buffer_load_dword v182, off, s[0:3], 0 offset:744
	;; [unrolled: 1-line block ×5, first 2 shown]
	s_waitcnt vmcnt(56)
	v_fma_f64 v[119:120], v[111:112], v[129:130], -v[119:120]
	ds_read_b128 v[107:110], v1 offset:1280
	v_fma_f64 v[129:130], v[113:114], v[129:130], v[183:184]
	v_add_f64 v[174:175], v[174:175], 0
	v_add_f64 v[6:7], v[6:7], 0
	s_waitcnt lgkmcnt(1)
	v_mul_f64 v[188:189], v[2:3], v[123:124]
	v_mul_f64 v[123:124], v[4:5], v[123:124]
	v_add_f64 v[174:175], v[174:175], v[185:186]
	v_add_f64 v[6:7], v[6:7], v[115:116]
	s_clause 0x2
	buffer_load_dword v183, off, s[0:3], 0 offset:748
	buffer_load_dword v116, off, s[0:3], 0 offset:724
	;; [unrolled: 1-line block ×3, first 2 shown]
	s_waitcnt vmcnt(58) lgkmcnt(0)
	v_mul_f64 v[184:185], v[107:108], v[125:126]
	v_mul_f64 v[125:126], v[109:110], v[125:126]
	s_waitcnt vmcnt(56)
	v_fma_f64 v[123:124], v[2:3], v[131:132], -v[123:124]
	ds_read_b128 v[111:114], v1 offset:1296
	v_fma_f64 v[131:132], v[4:5], v[131:132], v[188:189]
	v_add_f64 v[119:120], v[174:175], v[119:120]
	v_add_f64 v[6:7], v[6:7], v[129:130]
	s_clause 0x4
	buffer_load_dword v130, off, s[0:3], 0 offset:764
	buffer_load_dword v174, off, s[0:3], 0 offset:776
	;; [unrolled: 1-line block ×5, first 2 shown]
	ds_read_b128 v[2:5], v1 offset:1312
	s_waitcnt vmcnt(57) lgkmcnt(1)
	v_mul_f64 v[190:191], v[111:112], v[133:134]
	v_mul_f64 v[133:134], v[113:114], v[133:134]
	s_waitcnt vmcnt(56)
	v_fma_f64 v[125:126], v[107:108], v[127:128], -v[125:126]
	v_add_f64 v[119:120], v[119:120], v[123:124]
	v_fma_f64 v[123:124], v[109:110], v[127:128], v[184:185]
	v_add_f64 v[6:7], v[6:7], v[131:132]
	s_clause 0x2
	buffer_load_dword v175, off, s[0:3], 0 offset:780
	buffer_load_dword v128, off, s[0:3], 0 offset:756
	buffer_load_dword v127, off, s[0:3], 0 offset:752
	s_waitcnt vmcnt(58) lgkmcnt(0)
	v_mul_f64 v[131:132], v[2:3], v[135:136]
	v_mul_f64 v[135:136], v[4:5], v[135:136]
	s_waitcnt vmcnt(56)
	v_fma_f64 v[133:134], v[111:112], v[139:140], -v[133:134]
	ds_read_b128 v[107:110], v1 offset:1328
	v_add_f64 v[119:120], v[119:120], v[125:126]
	v_fma_f64 v[125:126], v[113:114], v[139:140], v[190:191]
	v_add_f64 v[6:7], v[6:7], v[123:124]
	s_clause 0x2
	buffer_load_dword v124, off, s[0:3], 0 offset:796
	buffer_load_dword v123, off, s[0:3], 0 offset:792
	;; [unrolled: 1-line block ×3, first 2 shown]
	ds_read_b128 v[111:114], v1 offset:1344
	s_waitcnt vmcnt(55) lgkmcnt(1)
	v_mul_f64 v[139:140], v[107:108], v[141:142]
	v_mul_f64 v[141:142], v[109:110], v[141:142]
	s_waitcnt vmcnt(54)
	v_fma_f64 v[135:136], v[2:3], v[137:138], -v[135:136]
	v_fma_f64 v[131:132], v[4:5], v[137:138], v[131:132]
	v_add_f64 v[119:120], v[119:120], v[133:134]
	v_add_f64 v[6:7], v[6:7], v[125:126]
	s_clause 0x1
	buffer_load_dword v126, off, s[0:3], 0 offset:788
	buffer_load_dword v125, off, s[0:3], 0 offset:784
	s_waitcnt vmcnt(55) lgkmcnt(0)
	v_mul_f64 v[137:138], v[113:114], v[143:144]
	ds_read_b128 v[2:5], v1 offset:1360
	s_waitcnt vmcnt(53)
	v_fma_f64 v[141:142], v[107:108], v[147:148], -v[141:142]
	v_mul_f64 v[133:134], v[111:112], v[143:144]
	v_add_f64 v[119:120], v[119:120], v[135:136]
	v_fma_f64 v[135:136], v[109:110], v[147:148], v[139:140]
	v_add_f64 v[6:7], v[6:7], v[131:132]
	ds_read_b128 v[107:110], v1 offset:1376
	s_waitcnt vmcnt(49) lgkmcnt(1)
	v_mul_f64 v[139:140], v[4:5], v[149:150]
	s_waitcnt vmcnt(48)
	v_fma_f64 v[137:138], v[111:112], v[145:146], -v[137:138]
	v_mul_f64 v[131:132], v[2:3], v[149:150]
	v_fma_f64 v[133:134], v[113:114], v[145:146], v[133:134]
	v_add_f64 v[119:120], v[119:120], v[141:142]
	s_waitcnt vmcnt(47) lgkmcnt(0)
	v_mul_f64 v[145:146], v[109:110], v[151:152]
	v_add_f64 v[6:7], v[6:7], v[135:136]
	s_clause 0x3
	buffer_load_dword v135, off, s[0:3], 0 offset:432
	buffer_load_dword v136, off, s[0:3], 0 offset:436
	;; [unrolled: 1-line block ×4, first 2 shown]
	s_waitcnt vmcnt(49)
	v_fma_f64 v[139:140], v[2:3], v[155:156], -v[139:140]
	ds_read_b128 v[111:114], v1 offset:1392
	v_mul_f64 v[143:144], v[107:108], v[151:152]
	v_fma_f64 v[131:132], v[4:5], v[155:156], v[131:132]
	ds_read_b128 v[2:5], v1 offset:1408
	v_add_f64 v[119:120], v[119:120], v[137:138]
	s_waitcnt vmcnt(44)
	v_fma_f64 v[145:146], v[107:108], v[153:154], -v[145:146]
	v_add_f64 v[6:7], v[6:7], v[133:134]
	s_waitcnt lgkmcnt(1)
	v_mul_f64 v[137:138], v[113:114], v[157:158]
	v_mul_f64 v[133:134], v[111:112], v[157:158]
	v_add_f64 v[119:120], v[119:120], v[139:140]
	v_fma_f64 v[139:140], v[109:110], v[153:154], v[143:144]
	v_add_f64 v[6:7], v[6:7], v[131:132]
	s_waitcnt vmcnt(43) lgkmcnt(0)
	v_mul_f64 v[143:144], v[4:5], v[159:160]
	s_waitcnt vmcnt(41)
	v_fma_f64 v[137:138], v[111:112], v[163:164], -v[137:138]
	ds_read_b128 v[107:110], v1 offset:1424
	v_mul_f64 v[131:132], v[2:3], v[159:160]
	v_fma_f64 v[133:134], v[113:114], v[163:164], v[133:134]
	ds_read_b128 v[111:114], v1 offset:1440
	v_add_f64 v[119:120], v[119:120], v[145:146]
	v_add_f64 v[6:7], v[6:7], v[139:140]
	s_waitcnt vmcnt(37) lgkmcnt(1)
	v_mul_f64 v[145:146], v[109:110], v[165:166]
	s_waitcnt vmcnt(36)
	v_fma_f64 v[143:144], v[2:3], v[161:162], -v[143:144]
	v_mul_f64 v[139:140], v[107:108], v[165:166]
	v_fma_f64 v[131:132], v[4:5], v[161:162], v[131:132]
	ds_read_b128 v[2:5], v1 offset:1456
	v_add_f64 v[119:120], v[119:120], v[137:138]
	s_waitcnt vmcnt(35) lgkmcnt(1)
	v_mul_f64 v[137:138], v[113:114], v[168:169]
	v_add_f64 v[6:7], v[6:7], v[133:134]
	s_waitcnt vmcnt(33)
	v_fma_f64 v[145:146], v[107:108], v[172:173], -v[145:146]
	v_mul_f64 v[133:134], v[111:112], v[168:169]
	v_fma_f64 v[139:140], v[109:110], v[172:173], v[139:140]
	ds_read_b128 v[107:110], v1 offset:1472
	v_add_f64 v[119:120], v[119:120], v[143:144]
	s_waitcnt vmcnt(29) lgkmcnt(1)
	v_mul_f64 v[143:144], v[4:5], v[176:177]
	v_add_f64 v[6:7], v[6:7], v[131:132]
	s_waitcnt vmcnt(28)
	v_fma_f64 v[137:138], v[111:112], v[170:171], -v[137:138]
	v_mul_f64 v[131:132], v[2:3], v[176:177]
	v_fma_f64 v[133:134], v[113:114], v[170:171], v[133:134]
	ds_read_b128 v[111:114], v1 offset:1488
	v_add_f64 v[119:120], v[119:120], v[145:146]
	v_add_f64 v[6:7], v[6:7], v[139:140]
	s_waitcnt vmcnt(27) lgkmcnt(1)
	v_mul_f64 v[145:146], v[109:110], v[178:179]
	v_mul_f64 v[139:140], v[107:108], v[178:179]
	s_waitcnt vmcnt(25)
	v_fma_f64 v[143:144], v[2:3], v[117:118], -v[143:144]
	v_fma_f64 v[117:118], v[4:5], v[117:118], v[131:132]
	ds_read_b128 v[2:5], v1 offset:1504
	s_waitcnt vmcnt(21) lgkmcnt(1)
	v_mul_f64 v[131:132], v[111:112], v[121:122]
	v_mul_f64 v[121:122], v[113:114], v[121:122]
	v_add_f64 v[119:120], v[119:120], v[137:138]
	v_add_f64 v[6:7], v[6:7], v[133:134]
	s_waitcnt vmcnt(20)
	v_fma_f64 v[133:134], v[107:108], v[180:181], -v[145:146]
	v_fma_f64 v[137:138], v[109:110], v[180:181], v[139:140]
	ds_read_b128 v[107:110], v1 offset:1520
	v_add_f64 v[119:120], v[119:120], v[143:144]
	v_add_f64 v[6:7], v[6:7], v[117:118]
	s_waitcnt vmcnt(19) lgkmcnt(1)
	v_mul_f64 v[139:140], v[4:5], v[182:183]
	v_mul_f64 v[117:118], v[2:3], v[182:183]
	s_waitcnt vmcnt(17)
	v_fma_f64 v[121:122], v[111:112], v[115:116], -v[121:122]
	v_fma_f64 v[115:116], v[113:114], v[115:116], v[131:132]
	ds_read_b128 v[111:114], v1 offset:1536
	v_add_f64 v[119:120], v[119:120], v[133:134]
	v_add_f64 v[6:7], v[6:7], v[137:138]
	s_waitcnt vmcnt(13) lgkmcnt(1)
	v_mul_f64 v[131:132], v[107:108], v[129:130]
	v_mul_f64 v[129:130], v[109:110], v[129:130]
	;; [unrolled: 9-line block ×3, first 2 shown]
	s_waitcnt vmcnt(9)
	v_fma_f64 v[107:108], v[107:108], v[127:128], -v[129:130]
	v_fma_f64 v[109:110], v[109:110], v[127:128], v[131:132]
	v_add_f64 v[119:120], v[119:120], v[133:134]
	v_add_f64 v[5:6], v[5:6], v[117:118]
	s_waitcnt vmcnt(7) lgkmcnt(0)
	v_mul_f64 v[121:122], v[3:4], v[123:124]
	s_waitcnt vmcnt(6)
	v_fma_f64 v[111:112], v[111:112], v[189:190], -v[115:116]
	v_mul_f64 v[117:118], v[1:2], v[123:124]
	v_fma_f64 v[7:8], v[113:114], v[189:190], v[7:8]
	v_add_f64 v[107:108], v[119:120], v[107:108]
	v_add_f64 v[5:6], v[5:6], v[109:110]
	s_waitcnt vmcnt(4)
	v_fma_f64 v[1:2], v[1:2], v[125:126], -v[121:122]
	v_fma_f64 v[3:4], v[3:4], v[125:126], v[117:118]
	v_add_f64 v[107:108], v[107:108], v[111:112]
	v_add_f64 v[5:6], v[5:6], v[7:8]
	;; [unrolled: 1-line block ×4, first 2 shown]
	s_waitcnt vmcnt(2)
	v_add_f64 v[1:2], v[135:136], -v[1:2]
	s_waitcnt vmcnt(0)
	v_add_f64 v[3:4], v[141:142], -v[3:4]
	buffer_store_dword v2, off, s[0:3], 0 offset:436
	buffer_store_dword v1, off, s[0:3], 0 offset:432
	;; [unrolled: 1-line block ×4, first 2 shown]
	v_cmpx_lt_u32_e32 25, v0
	s_cbranch_execz .LBB112_257
; %bb.256:
	v_mov_b32_e32 v4, s36
	v_mov_b32_e32 v5, 0
	s_clause 0x3
	buffer_load_dword v1, v4, s[0:3], 0 offen
	buffer_load_dword v2, v4, s[0:3], 0 offen offset:4
	buffer_load_dword v3, v4, s[0:3], 0 offen offset:8
	;; [unrolled: 1-line block ×3, first 2 shown]
	buffer_store_dword v5, off, s[0:3], 0 offset:416
	buffer_store_dword v5, off, s[0:3], 0 offset:420
	;; [unrolled: 1-line block ×4, first 2 shown]
	s_waitcnt vmcnt(0)
	ds_write_b128 v167, v[1:4]
.LBB112_257:
	s_or_b32 exec_lo, exec_lo, s4
	s_waitcnt lgkmcnt(0)
	s_waitcnt_vscnt null, 0x0
	s_barrier
	buffer_gl0_inv
	s_clause 0x37
	buffer_load_dword v6, off, s[0:3], 0 offset:440
	buffer_load_dword v7, off, s[0:3], 0 offset:444
	;; [unrolled: 1-line block ×56, first 2 shown]
	v_mov_b32_e32 v1, 0
	s_mov_b32 s4, exec_lo
	ds_read_b128 v[2:5], v1 offset:1200
	s_clause 0x2
	buffer_load_dword v169, off, s[0:3], 0 offset:668
	buffer_load_dword v173, off, s[0:3], 0 offset:644
	;; [unrolled: 1-line block ×3, first 2 shown]
	ds_read_b128 v[107:110], v1 offset:1216
	s_clause 0x4
	buffer_load_dword v177, off, s[0:3], 0 offset:684
	buffer_load_dword v178, off, s[0:3], 0 offset:696
	;; [unrolled: 1-line block ×5, first 2 shown]
	ds_read_b128 v[111:114], v1 offset:1232
	s_waitcnt vmcnt(62) lgkmcnt(2)
	v_mul_f64 v[174:175], v[4:5], v[6:7]
	v_mul_f64 v[6:7], v[2:3], v[6:7]
	s_waitcnt vmcnt(60) lgkmcnt(1)
	v_mul_f64 v[181:182], v[109:110], v[115:116]
	v_mul_f64 v[115:116], v[107:108], v[115:116]
	;; [unrolled: 3-line block ×3, first 2 shown]
	v_fma_f64 v[174:175], v[2:3], v[117:118], -v[174:175]
	v_fma_f64 v[6:7], v[4:5], v[117:118], v[6:7]
	s_clause 0x2
	buffer_load_dword v179, off, s[0:3], 0 offset:700
	buffer_load_dword v118, off, s[0:3], 0 offset:676
	;; [unrolled: 1-line block ×3, first 2 shown]
	s_waitcnt vmcnt(57)
	v_fma_f64 v[185:186], v[107:108], v[121:122], -v[181:182]
	ds_read_b128 v[2:5], v1 offset:1248
	v_fma_f64 v[115:116], v[109:110], v[121:122], v[115:116]
	s_clause 0x4
	buffer_load_dword v122, off, s[0:3], 0 offset:716
	buffer_load_dword v182, off, s[0:3], 0 offset:728
	;; [unrolled: 1-line block ×5, first 2 shown]
	s_waitcnt vmcnt(56)
	v_fma_f64 v[119:120], v[111:112], v[129:130], -v[119:120]
	ds_read_b128 v[107:110], v1 offset:1264
	v_fma_f64 v[129:130], v[113:114], v[129:130], v[183:184]
	v_add_f64 v[174:175], v[174:175], 0
	v_add_f64 v[6:7], v[6:7], 0
	s_waitcnt lgkmcnt(1)
	v_mul_f64 v[188:189], v[2:3], v[123:124]
	v_mul_f64 v[123:124], v[4:5], v[123:124]
	v_add_f64 v[174:175], v[174:175], v[185:186]
	v_add_f64 v[6:7], v[6:7], v[115:116]
	s_clause 0x2
	buffer_load_dword v183, off, s[0:3], 0 offset:732
	buffer_load_dword v116, off, s[0:3], 0 offset:708
	buffer_load_dword v115, off, s[0:3], 0 offset:704
	s_waitcnt vmcnt(58) lgkmcnt(0)
	v_mul_f64 v[184:185], v[107:108], v[125:126]
	v_mul_f64 v[125:126], v[109:110], v[125:126]
	s_waitcnt vmcnt(56)
	v_fma_f64 v[123:124], v[2:3], v[131:132], -v[123:124]
	ds_read_b128 v[111:114], v1 offset:1280
	v_fma_f64 v[131:132], v[4:5], v[131:132], v[188:189]
	v_add_f64 v[119:120], v[174:175], v[119:120]
	v_add_f64 v[6:7], v[6:7], v[129:130]
	s_clause 0x4
	buffer_load_dword v130, off, s[0:3], 0 offset:748
	buffer_load_dword v174, off, s[0:3], 0 offset:760
	;; [unrolled: 1-line block ×5, first 2 shown]
	ds_read_b128 v[2:5], v1 offset:1296
	s_waitcnt vmcnt(57) lgkmcnt(1)
	v_mul_f64 v[190:191], v[111:112], v[133:134]
	v_mul_f64 v[133:134], v[113:114], v[133:134]
	s_waitcnt vmcnt(56)
	v_fma_f64 v[125:126], v[107:108], v[127:128], -v[125:126]
	v_add_f64 v[119:120], v[119:120], v[123:124]
	v_fma_f64 v[123:124], v[109:110], v[127:128], v[184:185]
	v_add_f64 v[6:7], v[6:7], v[131:132]
	s_clause 0x2
	buffer_load_dword v175, off, s[0:3], 0 offset:764
	buffer_load_dword v128, off, s[0:3], 0 offset:740
	;; [unrolled: 1-line block ×3, first 2 shown]
	s_waitcnt vmcnt(58) lgkmcnt(0)
	v_mul_f64 v[131:132], v[2:3], v[135:136]
	v_mul_f64 v[135:136], v[4:5], v[135:136]
	s_waitcnt vmcnt(56)
	v_fma_f64 v[133:134], v[111:112], v[139:140], -v[133:134]
	ds_read_b128 v[107:110], v1 offset:1312
	v_add_f64 v[119:120], v[119:120], v[125:126]
	v_fma_f64 v[125:126], v[113:114], v[139:140], v[190:191]
	v_add_f64 v[6:7], v[6:7], v[123:124]
	s_clause 0x4
	buffer_load_dword v124, off, s[0:3], 0 offset:780
	buffer_load_dword v139, off, s[0:3], 0 offset:792
	;; [unrolled: 1-line block ×5, first 2 shown]
	ds_read_b128 v[111:114], v1 offset:1328
	s_waitcnt vmcnt(57) lgkmcnt(1)
	v_mul_f64 v[185:186], v[107:108], v[141:142]
	v_mul_f64 v[141:142], v[109:110], v[141:142]
	s_waitcnt vmcnt(56)
	v_fma_f64 v[135:136], v[2:3], v[137:138], -v[135:136]
	v_fma_f64 v[131:132], v[4:5], v[137:138], v[131:132]
	v_add_f64 v[119:120], v[119:120], v[133:134]
	v_add_f64 v[6:7], v[6:7], v[125:126]
	s_clause 0x2
	buffer_load_dword v140, off, s[0:3], 0 offset:796
	buffer_load_dword v126, off, s[0:3], 0 offset:772
	;; [unrolled: 1-line block ×3, first 2 shown]
	s_waitcnt vmcnt(58) lgkmcnt(0)
	v_mul_f64 v[137:138], v[113:114], v[143:144]
	ds_read_b128 v[2:5], v1 offset:1344
	s_waitcnt vmcnt(56)
	v_fma_f64 v[141:142], v[107:108], v[147:148], -v[141:142]
	v_mul_f64 v[133:134], v[111:112], v[143:144]
	v_add_f64 v[119:120], v[119:120], v[135:136]
	v_fma_f64 v[135:136], v[109:110], v[147:148], v[185:186]
	v_add_f64 v[6:7], v[6:7], v[131:132]
	buffer_load_dword v185, off, s[0:3], 0 offset:788
	ds_read_b128 v[107:110], v1 offset:1360
	s_waitcnt vmcnt(53) lgkmcnt(1)
	v_mul_f64 v[143:144], v[4:5], v[149:150]
	s_waitcnt vmcnt(52)
	v_fma_f64 v[137:138], v[111:112], v[145:146], -v[137:138]
	v_mul_f64 v[131:132], v[2:3], v[149:150]
	v_fma_f64 v[133:134], v[113:114], v[145:146], v[133:134]
	ds_read_b128 v[111:114], v1 offset:1376
	v_add_f64 v[119:120], v[119:120], v[141:142]
	v_add_f64 v[6:7], v[6:7], v[135:136]
	s_waitcnt vmcnt(51) lgkmcnt(1)
	v_mul_f64 v[141:142], v[109:110], v[151:152]
	v_mul_f64 v[135:136], v[107:108], v[151:152]
	s_waitcnt vmcnt(49)
	v_fma_f64 v[143:144], v[2:3], v[155:156], -v[143:144]
	v_fma_f64 v[131:132], v[4:5], v[155:156], v[131:132]
	s_waitcnt vmcnt(45) lgkmcnt(0)
	v_mul_f64 v[147:148], v[113:114], v[157:158]
	v_mul_f64 v[145:146], v[111:112], v[157:158]
	v_add_f64 v[119:120], v[119:120], v[137:138]
	v_add_f64 v[6:7], v[6:7], v[133:134]
	s_clause 0x3
	buffer_load_dword v133, off, s[0:3], 0 offset:416
	buffer_load_dword v134, off, s[0:3], 0 offset:420
	;; [unrolled: 1-line block ×4, first 2 shown]
	s_waitcnt vmcnt(48)
	v_fma_f64 v[141:142], v[107:108], v[153:154], -v[141:142]
	ds_read_b128 v[2:5], v1 offset:1392
	v_fma_f64 v[135:136], v[109:110], v[153:154], v[135:136]
	ds_read_b128 v[107:110], v1 offset:1408
	s_waitcnt vmcnt(45)
	v_fma_f64 v[147:148], v[111:112], v[163:164], -v[147:148]
	v_add_f64 v[119:120], v[119:120], v[143:144]
	v_add_f64 v[6:7], v[6:7], v[131:132]
	s_waitcnt lgkmcnt(1)
	v_mul_f64 v[143:144], v[4:5], v[159:160]
	v_mul_f64 v[131:132], v[2:3], v[159:160]
	v_add_f64 v[119:120], v[119:120], v[141:142]
	v_fma_f64 v[141:142], v[113:114], v[163:164], v[145:146]
	v_add_f64 v[6:7], v[6:7], v[135:136]
	s_waitcnt vmcnt(41) lgkmcnt(0)
	v_mul_f64 v[145:146], v[109:110], v[165:166]
	s_waitcnt vmcnt(40)
	v_fma_f64 v[143:144], v[2:3], v[161:162], -v[143:144]
	ds_read_b128 v[111:114], v1 offset:1424
	v_mul_f64 v[135:136], v[107:108], v[165:166]
	v_fma_f64 v[131:132], v[4:5], v[161:162], v[131:132]
	ds_read_b128 v[2:5], v1 offset:1440
	v_add_f64 v[119:120], v[119:120], v[147:148]
	v_add_f64 v[6:7], v[6:7], v[141:142]
	s_waitcnt vmcnt(39) lgkmcnt(1)
	v_mul_f64 v[147:148], v[113:114], v[168:169]
	s_waitcnt vmcnt(37)
	v_fma_f64 v[145:146], v[107:108], v[172:173], -v[145:146]
	v_mul_f64 v[141:142], v[111:112], v[168:169]
	v_fma_f64 v[135:136], v[109:110], v[172:173], v[135:136]
	ds_read_b128 v[107:110], v1 offset:1456
	v_add_f64 v[119:120], v[119:120], v[143:144]
	s_waitcnt vmcnt(33) lgkmcnt(1)
	v_mul_f64 v[143:144], v[4:5], v[176:177]
	v_add_f64 v[6:7], v[6:7], v[131:132]
	s_waitcnt vmcnt(32)
	v_fma_f64 v[147:148], v[111:112], v[170:171], -v[147:148]
	v_mul_f64 v[131:132], v[2:3], v[176:177]
	v_fma_f64 v[141:142], v[113:114], v[170:171], v[141:142]
	ds_read_b128 v[111:114], v1 offset:1472
	v_add_f64 v[119:120], v[119:120], v[145:146]
	v_add_f64 v[6:7], v[6:7], v[135:136]
	s_waitcnt vmcnt(31) lgkmcnt(1)
	v_mul_f64 v[145:146], v[109:110], v[178:179]
	v_mul_f64 v[135:136], v[107:108], v[178:179]
	s_waitcnt vmcnt(29)
	v_fma_f64 v[143:144], v[2:3], v[117:118], -v[143:144]
	v_fma_f64 v[117:118], v[4:5], v[117:118], v[131:132]
	ds_read_b128 v[2:5], v1 offset:1488
	s_waitcnt vmcnt(25) lgkmcnt(1)
	v_mul_f64 v[131:132], v[111:112], v[121:122]
	v_mul_f64 v[121:122], v[113:114], v[121:122]
	v_add_f64 v[119:120], v[119:120], v[147:148]
	v_add_f64 v[6:7], v[6:7], v[141:142]
	s_waitcnt vmcnt(24)
	v_fma_f64 v[141:142], v[107:108], v[180:181], -v[145:146]
	v_fma_f64 v[135:136], v[109:110], v[180:181], v[135:136]
	ds_read_b128 v[107:110], v1 offset:1504
	v_add_f64 v[119:120], v[119:120], v[143:144]
	v_add_f64 v[6:7], v[6:7], v[117:118]
	s_waitcnt vmcnt(23) lgkmcnt(1)
	v_mul_f64 v[143:144], v[4:5], v[182:183]
	v_mul_f64 v[117:118], v[2:3], v[182:183]
	s_waitcnt vmcnt(21)
	v_fma_f64 v[121:122], v[111:112], v[115:116], -v[121:122]
	v_fma_f64 v[115:116], v[113:114], v[115:116], v[131:132]
	ds_read_b128 v[111:114], v1 offset:1520
	v_add_f64 v[119:120], v[119:120], v[141:142]
	v_add_f64 v[6:7], v[6:7], v[135:136]
	s_waitcnt vmcnt(17) lgkmcnt(1)
	v_mul_f64 v[131:132], v[107:108], v[129:130]
	v_mul_f64 v[129:130], v[109:110], v[129:130]
	;; [unrolled: 9-line block ×4, first 2 shown]
	s_waitcnt vmcnt(8)
	v_fma_f64 v[111:112], v[111:112], v[189:190], -v[121:122]
	v_fma_f64 v[113:114], v[113:114], v[189:190], v[115:116]
	v_add_f64 v[119:120], v[119:120], v[129:130]
	v_add_f64 v[6:7], v[6:7], v[127:128]
	s_waitcnt vmcnt(7) lgkmcnt(0)
	v_mul_f64 v[121:122], v[109:110], v[139:140]
	v_mul_f64 v[115:116], v[107:108], v[139:140]
	s_waitcnt vmcnt(5)
	v_fma_f64 v[2:3], v[2:3], v[125:126], -v[123:124]
	v_fma_f64 v[4:5], v[4:5], v[125:126], v[117:118]
	v_add_f64 v[111:112], v[119:120], v[111:112]
	v_add_f64 v[6:7], v[6:7], v[113:114]
	s_waitcnt vmcnt(4)
	v_fma_f64 v[107:108], v[107:108], v[184:185], -v[121:122]
	v_fma_f64 v[109:110], v[109:110], v[184:185], v[115:116]
	v_add_f64 v[2:3], v[111:112], v[2:3]
	v_add_f64 v[4:5], v[6:7], v[4:5]
	;; [unrolled: 1-line block ×4, first 2 shown]
	s_waitcnt vmcnt(2)
	v_add_f64 v[2:3], v[133:134], -v[2:3]
	s_waitcnt vmcnt(0)
	v_add_f64 v[4:5], v[137:138], -v[4:5]
	buffer_store_dword v3, off, s[0:3], 0 offset:420
	buffer_store_dword v2, off, s[0:3], 0 offset:416
	;; [unrolled: 1-line block ×4, first 2 shown]
	v_cmpx_lt_u32_e32 24, v0
	s_cbranch_execz .LBB112_259
; %bb.258:
	v_mov_b32_e32 v5, s37
	s_clause 0x3
	buffer_load_dword v2, v5, s[0:3], 0 offen
	buffer_load_dword v3, v5, s[0:3], 0 offen offset:4
	buffer_load_dword v4, v5, s[0:3], 0 offen offset:8
	buffer_load_dword v5, v5, s[0:3], 0 offen offset:12
	buffer_store_dword v1, off, s[0:3], 0 offset:400
	buffer_store_dword v1, off, s[0:3], 0 offset:404
	;; [unrolled: 1-line block ×4, first 2 shown]
	s_waitcnt vmcnt(0)
	ds_write_b128 v167, v[2:5]
.LBB112_259:
	s_or_b32 exec_lo, exec_lo, s4
	s_waitcnt lgkmcnt(0)
	s_waitcnt_vscnt null, 0x0
	s_barrier
	buffer_gl0_inv
	s_clause 0x37
	buffer_load_dword v6, off, s[0:3], 0 offset:424
	buffer_load_dword v7, off, s[0:3], 0 offset:428
	;; [unrolled: 1-line block ×56, first 2 shown]
	ds_read_b128 v[2:5], v1 offset:1184
	s_clause 0x2
	buffer_load_dword v169, off, s[0:3], 0 offset:652
	buffer_load_dword v173, off, s[0:3], 0 offset:628
	;; [unrolled: 1-line block ×3, first 2 shown]
	ds_read_b128 v[107:110], v1 offset:1200
	s_clause 0x4
	buffer_load_dword v177, off, s[0:3], 0 offset:668
	buffer_load_dword v178, off, s[0:3], 0 offset:680
	;; [unrolled: 1-line block ×5, first 2 shown]
	ds_read_b128 v[111:114], v1 offset:1216
	s_mov_b32 s4, exec_lo
	s_waitcnt vmcnt(62) lgkmcnt(2)
	v_mul_f64 v[174:175], v[4:5], v[6:7]
	v_mul_f64 v[6:7], v[2:3], v[6:7]
	s_waitcnt vmcnt(60) lgkmcnt(1)
	v_mul_f64 v[181:182], v[109:110], v[115:116]
	v_mul_f64 v[115:116], v[107:108], v[115:116]
	s_waitcnt vmcnt(56) lgkmcnt(0)
	v_mul_f64 v[183:184], v[111:112], v[119:120]
	v_mul_f64 v[119:120], v[113:114], v[119:120]
	v_fma_f64 v[174:175], v[2:3], v[117:118], -v[174:175]
	v_fma_f64 v[6:7], v[4:5], v[117:118], v[6:7]
	s_clause 0x2
	buffer_load_dword v179, off, s[0:3], 0 offset:684
	buffer_load_dword v118, off, s[0:3], 0 offset:660
	;; [unrolled: 1-line block ×3, first 2 shown]
	s_waitcnt vmcnt(57)
	v_fma_f64 v[185:186], v[107:108], v[121:122], -v[181:182]
	ds_read_b128 v[2:5], v1 offset:1232
	v_fma_f64 v[115:116], v[109:110], v[121:122], v[115:116]
	s_clause 0x4
	buffer_load_dword v122, off, s[0:3], 0 offset:700
	buffer_load_dword v182, off, s[0:3], 0 offset:712
	;; [unrolled: 1-line block ×5, first 2 shown]
	s_waitcnt vmcnt(56)
	v_fma_f64 v[119:120], v[111:112], v[129:130], -v[119:120]
	ds_read_b128 v[107:110], v1 offset:1248
	v_fma_f64 v[129:130], v[113:114], v[129:130], v[183:184]
	v_add_f64 v[174:175], v[174:175], 0
	v_add_f64 v[6:7], v[6:7], 0
	s_waitcnt lgkmcnt(1)
	v_mul_f64 v[188:189], v[2:3], v[123:124]
	v_mul_f64 v[123:124], v[4:5], v[123:124]
	v_add_f64 v[174:175], v[174:175], v[185:186]
	v_add_f64 v[6:7], v[6:7], v[115:116]
	s_clause 0x2
	buffer_load_dword v183, off, s[0:3], 0 offset:716
	buffer_load_dword v116, off, s[0:3], 0 offset:692
	;; [unrolled: 1-line block ×3, first 2 shown]
	s_waitcnt vmcnt(58) lgkmcnt(0)
	v_mul_f64 v[184:185], v[107:108], v[125:126]
	v_mul_f64 v[125:126], v[109:110], v[125:126]
	s_waitcnt vmcnt(56)
	v_fma_f64 v[123:124], v[2:3], v[131:132], -v[123:124]
	ds_read_b128 v[111:114], v1 offset:1264
	v_fma_f64 v[131:132], v[4:5], v[131:132], v[188:189]
	v_add_f64 v[119:120], v[174:175], v[119:120]
	v_add_f64 v[6:7], v[6:7], v[129:130]
	s_clause 0x4
	buffer_load_dword v130, off, s[0:3], 0 offset:732
	buffer_load_dword v174, off, s[0:3], 0 offset:744
	;; [unrolled: 1-line block ×5, first 2 shown]
	ds_read_b128 v[2:5], v1 offset:1280
	s_waitcnt vmcnt(57) lgkmcnt(1)
	v_mul_f64 v[190:191], v[111:112], v[133:134]
	v_mul_f64 v[133:134], v[113:114], v[133:134]
	s_waitcnt vmcnt(56)
	v_fma_f64 v[125:126], v[107:108], v[127:128], -v[125:126]
	v_add_f64 v[119:120], v[119:120], v[123:124]
	v_fma_f64 v[123:124], v[109:110], v[127:128], v[184:185]
	v_add_f64 v[6:7], v[6:7], v[131:132]
	s_clause 0x2
	buffer_load_dword v175, off, s[0:3], 0 offset:748
	buffer_load_dword v128, off, s[0:3], 0 offset:724
	;; [unrolled: 1-line block ×3, first 2 shown]
	s_waitcnt vmcnt(58) lgkmcnt(0)
	v_mul_f64 v[131:132], v[2:3], v[135:136]
	v_mul_f64 v[135:136], v[4:5], v[135:136]
	s_waitcnt vmcnt(56)
	v_fma_f64 v[133:134], v[111:112], v[139:140], -v[133:134]
	ds_read_b128 v[107:110], v1 offset:1296
	v_add_f64 v[119:120], v[119:120], v[125:126]
	v_fma_f64 v[125:126], v[113:114], v[139:140], v[190:191]
	v_add_f64 v[6:7], v[6:7], v[123:124]
	s_clause 0x4
	buffer_load_dword v124, off, s[0:3], 0 offset:764
	buffer_load_dword v139, off, s[0:3], 0 offset:776
	;; [unrolled: 1-line block ×5, first 2 shown]
	ds_read_b128 v[111:114], v1 offset:1312
	s_waitcnt vmcnt(57) lgkmcnt(1)
	v_mul_f64 v[185:186], v[107:108], v[141:142]
	v_mul_f64 v[141:142], v[109:110], v[141:142]
	s_waitcnt vmcnt(56)
	v_fma_f64 v[135:136], v[2:3], v[137:138], -v[135:136]
	v_fma_f64 v[131:132], v[4:5], v[137:138], v[131:132]
	v_add_f64 v[119:120], v[119:120], v[133:134]
	v_add_f64 v[6:7], v[6:7], v[125:126]
	s_clause 0x2
	buffer_load_dword v140, off, s[0:3], 0 offset:780
	buffer_load_dword v126, off, s[0:3], 0 offset:756
	;; [unrolled: 1-line block ×3, first 2 shown]
	s_waitcnt vmcnt(58) lgkmcnt(0)
	v_mul_f64 v[137:138], v[113:114], v[143:144]
	ds_read_b128 v[2:5], v1 offset:1328
	s_waitcnt vmcnt(56)
	v_fma_f64 v[141:142], v[107:108], v[147:148], -v[141:142]
	v_mul_f64 v[133:134], v[111:112], v[143:144]
	v_add_f64 v[119:120], v[119:120], v[135:136]
	v_fma_f64 v[135:136], v[109:110], v[147:148], v[185:186]
	v_add_f64 v[6:7], v[6:7], v[131:132]
	s_clause 0x2
	buffer_load_dword v132, off, s[0:3], 0 offset:796
	buffer_load_dword v131, off, s[0:3], 0 offset:792
	;; [unrolled: 1-line block ×3, first 2 shown]
	s_waitcnt vmcnt(55) lgkmcnt(0)
	v_mul_f64 v[147:148], v[4:5], v[149:150]
	s_waitcnt vmcnt(54)
	v_fma_f64 v[137:138], v[111:112], v[145:146], -v[137:138]
	ds_read_b128 v[107:110], v1 offset:1344
	v_mul_f64 v[143:144], v[2:3], v[149:150]
	v_fma_f64 v[133:134], v[113:114], v[145:146], v[133:134]
	v_add_f64 v[119:120], v[119:120], v[141:142]
	v_add_f64 v[6:7], v[6:7], v[135:136]
	s_clause 0x1
	buffer_load_dword v136, off, s[0:3], 0 offset:788
	buffer_load_dword v135, off, s[0:3], 0 offset:784
	s_waitcnt vmcnt(55) lgkmcnt(0)
	v_mul_f64 v[145:146], v[109:110], v[151:152]
	s_waitcnt vmcnt(53)
	v_fma_f64 v[147:148], v[2:3], v[155:156], -v[147:148]
	ds_read_b128 v[111:114], v1 offset:1360
	v_mul_f64 v[141:142], v[107:108], v[151:152]
	v_add_f64 v[119:120], v[119:120], v[137:138]
	v_fma_f64 v[137:138], v[4:5], v[155:156], v[143:144]
	v_add_f64 v[6:7], v[6:7], v[133:134]
	ds_read_b128 v[2:5], v1 offset:1376
	s_waitcnt vmcnt(49) lgkmcnt(1)
	v_mul_f64 v[143:144], v[113:114], v[157:158]
	s_waitcnt vmcnt(48)
	v_fma_f64 v[145:146], v[107:108], v[153:154], -v[145:146]
	v_mul_f64 v[133:134], v[111:112], v[157:158]
	v_fma_f64 v[141:142], v[109:110], v[153:154], v[141:142]
	v_add_f64 v[119:120], v[119:120], v[147:148]
	s_waitcnt vmcnt(47) lgkmcnt(0)
	v_mul_f64 v[151:152], v[4:5], v[159:160]
	v_add_f64 v[6:7], v[6:7], v[137:138]
	s_clause 0x3
	buffer_load_dword v137, off, s[0:3], 0 offset:400
	buffer_load_dword v138, off, s[0:3], 0 offset:404
	buffer_load_dword v147, off, s[0:3], 0 offset:408
	buffer_load_dword v148, off, s[0:3], 0 offset:412
	s_waitcnt vmcnt(49)
	v_fma_f64 v[143:144], v[111:112], v[163:164], -v[143:144]
	ds_read_b128 v[107:110], v1 offset:1392
	v_mul_f64 v[149:150], v[2:3], v[159:160]
	v_fma_f64 v[133:134], v[113:114], v[163:164], v[133:134]
	ds_read_b128 v[111:114], v1 offset:1408
	v_add_f64 v[119:120], v[119:120], v[145:146]
	s_waitcnt vmcnt(44)
	v_fma_f64 v[151:152], v[2:3], v[161:162], -v[151:152]
	v_add_f64 v[6:7], v[6:7], v[141:142]
	s_waitcnt lgkmcnt(1)
	v_mul_f64 v[145:146], v[109:110], v[165:166]
	v_mul_f64 v[141:142], v[107:108], v[165:166]
	v_add_f64 v[119:120], v[119:120], v[143:144]
	v_fma_f64 v[143:144], v[4:5], v[161:162], v[149:150]
	v_add_f64 v[6:7], v[6:7], v[133:134]
	s_waitcnt vmcnt(43) lgkmcnt(0)
	v_mul_f64 v[149:150], v[113:114], v[168:169]
	s_waitcnt vmcnt(41)
	v_fma_f64 v[145:146], v[107:108], v[172:173], -v[145:146]
	ds_read_b128 v[2:5], v1 offset:1424
	v_mul_f64 v[133:134], v[111:112], v[168:169]
	v_fma_f64 v[141:142], v[109:110], v[172:173], v[141:142]
	ds_read_b128 v[107:110], v1 offset:1440
	v_add_f64 v[119:120], v[119:120], v[151:152]
	v_add_f64 v[6:7], v[6:7], v[143:144]
	s_waitcnt vmcnt(37) lgkmcnt(1)
	v_mul_f64 v[151:152], v[4:5], v[176:177]
	s_waitcnt vmcnt(36)
	v_fma_f64 v[149:150], v[111:112], v[170:171], -v[149:150]
	v_mul_f64 v[143:144], v[2:3], v[176:177]
	v_fma_f64 v[133:134], v[113:114], v[170:171], v[133:134]
	ds_read_b128 v[111:114], v1 offset:1456
	v_add_f64 v[119:120], v[119:120], v[145:146]
	v_add_f64 v[6:7], v[6:7], v[141:142]
	s_waitcnt vmcnt(35) lgkmcnt(1)
	v_mul_f64 v[145:146], v[109:110], v[178:179]
	v_mul_f64 v[141:142], v[107:108], v[178:179]
	s_waitcnt vmcnt(33)
	v_fma_f64 v[151:152], v[2:3], v[117:118], -v[151:152]
	v_fma_f64 v[117:118], v[4:5], v[117:118], v[143:144]
	ds_read_b128 v[2:5], v1 offset:1472
	v_add_f64 v[119:120], v[119:120], v[149:150]
	v_add_f64 v[6:7], v[6:7], v[133:134]
	s_waitcnt vmcnt(29) lgkmcnt(1)
	v_mul_f64 v[133:134], v[111:112], v[121:122]
	v_mul_f64 v[121:122], v[113:114], v[121:122]
	s_waitcnt vmcnt(28)
	v_fma_f64 v[143:144], v[107:108], v[180:181], -v[145:146]
	;; [unrolled: 9-line block ×7, first 2 shown]
	v_fma_f64 v[3:4], v[4:5], v[125:126], v[117:118]
	v_add_f64 v[119:120], v[119:120], v[121:122]
	v_add_f64 v[5:6], v[6:7], v[115:116]
	s_waitcnt vmcnt(7) lgkmcnt(0)
	v_mul_f64 v[115:116], v[113:114], v[131:132]
	s_waitcnt vmcnt(6)
	v_fma_f64 v[107:108], v[107:108], v[184:185], -v[129:130]
	v_mul_f64 v[7:8], v[111:112], v[131:132]
	v_fma_f64 v[109:110], v[109:110], v[184:185], v[127:128]
	v_add_f64 v[1:2], v[119:120], v[1:2]
	v_add_f64 v[3:4], v[5:6], v[3:4]
	s_waitcnt vmcnt(4)
	v_fma_f64 v[5:6], v[111:112], v[135:136], -v[115:116]
	v_fma_f64 v[7:8], v[113:114], v[135:136], v[7:8]
	v_add_f64 v[1:2], v[1:2], v[107:108]
	v_add_f64 v[3:4], v[3:4], v[109:110]
	;; [unrolled: 1-line block ×4, first 2 shown]
	s_waitcnt vmcnt(2)
	v_add_f64 v[1:2], v[137:138], -v[1:2]
	s_waitcnt vmcnt(0)
	v_add_f64 v[3:4], v[147:148], -v[3:4]
	buffer_store_dword v2, off, s[0:3], 0 offset:404
	buffer_store_dword v1, off, s[0:3], 0 offset:400
	;; [unrolled: 1-line block ×4, first 2 shown]
	v_cmpx_lt_u32_e32 23, v0
	s_cbranch_execz .LBB112_261
; %bb.260:
	v_mov_b32_e32 v4, s38
	v_mov_b32_e32 v5, 0
	s_clause 0x3
	buffer_load_dword v1, v4, s[0:3], 0 offen
	buffer_load_dword v2, v4, s[0:3], 0 offen offset:4
	buffer_load_dword v3, v4, s[0:3], 0 offen offset:8
	;; [unrolled: 1-line block ×3, first 2 shown]
	buffer_store_dword v5, off, s[0:3], 0 offset:384
	buffer_store_dword v5, off, s[0:3], 0 offset:388
	;; [unrolled: 1-line block ×4, first 2 shown]
	s_waitcnt vmcnt(0)
	ds_write_b128 v167, v[1:4]
.LBB112_261:
	s_or_b32 exec_lo, exec_lo, s4
	s_waitcnt lgkmcnt(0)
	s_waitcnt_vscnt null, 0x0
	s_barrier
	buffer_gl0_inv
	s_clause 0x37
	buffer_load_dword v6, off, s[0:3], 0 offset:408
	buffer_load_dword v7, off, s[0:3], 0 offset:412
	;; [unrolled: 1-line block ×56, first 2 shown]
	v_mov_b32_e32 v1, 0
	s_mov_b32 s4, exec_lo
	ds_read_b128 v[2:5], v1 offset:1168
	s_clause 0x2
	buffer_load_dword v169, off, s[0:3], 0 offset:636
	buffer_load_dword v173, off, s[0:3], 0 offset:612
	;; [unrolled: 1-line block ×3, first 2 shown]
	ds_read_b128 v[107:110], v1 offset:1184
	s_clause 0x4
	buffer_load_dword v177, off, s[0:3], 0 offset:652
	buffer_load_dword v178, off, s[0:3], 0 offset:664
	;; [unrolled: 1-line block ×5, first 2 shown]
	ds_read_b128 v[111:114], v1 offset:1200
	s_waitcnt vmcnt(62) lgkmcnt(2)
	v_mul_f64 v[174:175], v[4:5], v[6:7]
	v_mul_f64 v[6:7], v[2:3], v[6:7]
	s_waitcnt vmcnt(60) lgkmcnt(1)
	v_mul_f64 v[181:182], v[109:110], v[115:116]
	v_mul_f64 v[115:116], v[107:108], v[115:116]
	;; [unrolled: 3-line block ×3, first 2 shown]
	v_fma_f64 v[174:175], v[2:3], v[117:118], -v[174:175]
	v_fma_f64 v[6:7], v[4:5], v[117:118], v[6:7]
	s_clause 0x2
	buffer_load_dword v179, off, s[0:3], 0 offset:668
	buffer_load_dword v118, off, s[0:3], 0 offset:644
	;; [unrolled: 1-line block ×3, first 2 shown]
	s_waitcnt vmcnt(57)
	v_fma_f64 v[185:186], v[107:108], v[121:122], -v[181:182]
	ds_read_b128 v[2:5], v1 offset:1216
	v_fma_f64 v[115:116], v[109:110], v[121:122], v[115:116]
	s_clause 0x4
	buffer_load_dword v122, off, s[0:3], 0 offset:684
	buffer_load_dword v182, off, s[0:3], 0 offset:696
	;; [unrolled: 1-line block ×5, first 2 shown]
	s_waitcnt vmcnt(56)
	v_fma_f64 v[119:120], v[111:112], v[129:130], -v[119:120]
	ds_read_b128 v[107:110], v1 offset:1232
	v_fma_f64 v[129:130], v[113:114], v[129:130], v[183:184]
	v_add_f64 v[174:175], v[174:175], 0
	v_add_f64 v[6:7], v[6:7], 0
	s_waitcnt lgkmcnt(1)
	v_mul_f64 v[188:189], v[2:3], v[123:124]
	v_mul_f64 v[123:124], v[4:5], v[123:124]
	v_add_f64 v[174:175], v[174:175], v[185:186]
	v_add_f64 v[6:7], v[6:7], v[115:116]
	s_clause 0x2
	buffer_load_dword v183, off, s[0:3], 0 offset:700
	buffer_load_dword v116, off, s[0:3], 0 offset:676
	buffer_load_dword v115, off, s[0:3], 0 offset:672
	s_waitcnt vmcnt(58) lgkmcnt(0)
	v_mul_f64 v[184:185], v[107:108], v[125:126]
	v_mul_f64 v[125:126], v[109:110], v[125:126]
	s_waitcnt vmcnt(56)
	v_fma_f64 v[123:124], v[2:3], v[131:132], -v[123:124]
	ds_read_b128 v[111:114], v1 offset:1248
	v_fma_f64 v[131:132], v[4:5], v[131:132], v[188:189]
	v_add_f64 v[119:120], v[174:175], v[119:120]
	v_add_f64 v[6:7], v[6:7], v[129:130]
	s_clause 0x4
	buffer_load_dword v130, off, s[0:3], 0 offset:716
	buffer_load_dword v174, off, s[0:3], 0 offset:728
	;; [unrolled: 1-line block ×5, first 2 shown]
	ds_read_b128 v[2:5], v1 offset:1264
	s_waitcnt vmcnt(57) lgkmcnt(1)
	v_mul_f64 v[190:191], v[111:112], v[133:134]
	v_mul_f64 v[133:134], v[113:114], v[133:134]
	s_waitcnt vmcnt(56)
	v_fma_f64 v[125:126], v[107:108], v[127:128], -v[125:126]
	v_add_f64 v[119:120], v[119:120], v[123:124]
	v_fma_f64 v[123:124], v[109:110], v[127:128], v[184:185]
	v_add_f64 v[6:7], v[6:7], v[131:132]
	s_clause 0x2
	buffer_load_dword v175, off, s[0:3], 0 offset:732
	buffer_load_dword v128, off, s[0:3], 0 offset:708
	;; [unrolled: 1-line block ×3, first 2 shown]
	s_waitcnt vmcnt(58) lgkmcnt(0)
	v_mul_f64 v[131:132], v[2:3], v[135:136]
	v_mul_f64 v[135:136], v[4:5], v[135:136]
	s_waitcnt vmcnt(56)
	v_fma_f64 v[133:134], v[111:112], v[139:140], -v[133:134]
	ds_read_b128 v[107:110], v1 offset:1280
	v_add_f64 v[119:120], v[119:120], v[125:126]
	v_fma_f64 v[125:126], v[113:114], v[139:140], v[190:191]
	v_add_f64 v[6:7], v[6:7], v[123:124]
	s_clause 0x4
	buffer_load_dword v124, off, s[0:3], 0 offset:748
	buffer_load_dword v139, off, s[0:3], 0 offset:760
	;; [unrolled: 1-line block ×5, first 2 shown]
	ds_read_b128 v[111:114], v1 offset:1296
	s_waitcnt vmcnt(57) lgkmcnt(1)
	v_mul_f64 v[185:186], v[107:108], v[141:142]
	v_mul_f64 v[141:142], v[109:110], v[141:142]
	s_waitcnt vmcnt(56)
	v_fma_f64 v[135:136], v[2:3], v[137:138], -v[135:136]
	v_fma_f64 v[131:132], v[4:5], v[137:138], v[131:132]
	v_add_f64 v[119:120], v[119:120], v[133:134]
	v_add_f64 v[6:7], v[6:7], v[125:126]
	s_clause 0x2
	buffer_load_dword v140, off, s[0:3], 0 offset:764
	buffer_load_dword v126, off, s[0:3], 0 offset:740
	;; [unrolled: 1-line block ×3, first 2 shown]
	s_waitcnt vmcnt(58) lgkmcnt(0)
	v_mul_f64 v[137:138], v[113:114], v[143:144]
	ds_read_b128 v[2:5], v1 offset:1312
	s_waitcnt vmcnt(56)
	v_fma_f64 v[141:142], v[107:108], v[147:148], -v[141:142]
	v_mul_f64 v[133:134], v[111:112], v[143:144]
	v_add_f64 v[119:120], v[119:120], v[135:136]
	v_fma_f64 v[135:136], v[109:110], v[147:148], v[185:186]
	v_add_f64 v[6:7], v[6:7], v[131:132]
	s_clause 0x4
	buffer_load_dword v132, off, s[0:3], 0 offset:780
	buffer_load_dword v143, off, s[0:3], 0 offset:792
	;; [unrolled: 1-line block ×5, first 2 shown]
	s_waitcnt vmcnt(57) lgkmcnt(0)
	v_mul_f64 v[191:192], v[2:3], v[149:150]
	v_mul_f64 v[148:149], v[4:5], v[149:150]
	s_waitcnt vmcnt(56)
	v_fma_f64 v[137:138], v[111:112], v[145:146], -v[137:138]
	ds_read_b128 v[107:110], v1 offset:1328
	v_fma_f64 v[133:134], v[113:114], v[145:146], v[133:134]
	v_add_f64 v[119:120], v[119:120], v[141:142]
	v_add_f64 v[6:7], v[6:7], v[135:136]
	s_clause 0x2
	buffer_load_dword v144, off, s[0:3], 0 offset:796
	buffer_load_dword v136, off, s[0:3], 0 offset:772
	;; [unrolled: 1-line block ×3, first 2 shown]
	ds_read_b128 v[111:114], v1 offset:1344
	s_waitcnt vmcnt(58) lgkmcnt(1)
	v_mul_f64 v[145:146], v[109:110], v[151:152]
	s_waitcnt vmcnt(56)
	v_fma_f64 v[149:150], v[2:3], v[155:156], -v[148:149]
	v_mul_f64 v[141:142], v[107:108], v[151:152]
	buffer_load_dword v148, off, s[0:3], 0 offset:788
	v_add_f64 v[119:120], v[119:120], v[137:138]
	v_fma_f64 v[137:138], v[4:5], v[155:156], v[191:192]
	v_add_f64 v[6:7], v[6:7], v[133:134]
	ds_read_b128 v[2:5], v1 offset:1360
	s_waitcnt vmcnt(53) lgkmcnt(1)
	v_mul_f64 v[151:152], v[113:114], v[157:158]
	s_waitcnt vmcnt(52)
	v_fma_f64 v[145:146], v[107:108], v[153:154], -v[145:146]
	v_mul_f64 v[133:134], v[111:112], v[157:158]
	v_fma_f64 v[141:142], v[109:110], v[153:154], v[141:142]
	ds_read_b128 v[107:110], v1 offset:1376
	v_add_f64 v[119:120], v[119:120], v[149:150]
	s_waitcnt vmcnt(51) lgkmcnt(1)
	v_mul_f64 v[149:150], v[4:5], v[159:160]
	v_add_f64 v[6:7], v[6:7], v[137:138]
	v_mul_f64 v[137:138], v[2:3], v[159:160]
	s_waitcnt vmcnt(49)
	v_fma_f64 v[151:152], v[111:112], v[163:164], -v[151:152]
	v_fma_f64 v[133:134], v[113:114], v[163:164], v[133:134]
	s_waitcnt vmcnt(45) lgkmcnt(0)
	v_mul_f64 v[155:156], v[109:110], v[165:166]
	v_mul_f64 v[153:154], v[107:108], v[165:166]
	v_add_f64 v[119:120], v[119:120], v[145:146]
	s_waitcnt vmcnt(44)
	v_fma_f64 v[149:150], v[2:3], v[161:162], -v[149:150]
	v_add_f64 v[6:7], v[6:7], v[141:142]
	s_clause 0x3
	buffer_load_dword v141, off, s[0:3], 0 offset:384
	buffer_load_dword v142, off, s[0:3], 0 offset:388
	;; [unrolled: 1-line block ×4, first 2 shown]
	ds_read_b128 v[111:114], v1 offset:1392
	v_fma_f64 v[137:138], v[4:5], v[161:162], v[137:138]
	ds_read_b128 v[2:5], v1 offset:1408
	s_waitcnt vmcnt(45)
	v_fma_f64 v[155:156], v[107:108], v[172:173], -v[155:156]
	v_add_f64 v[119:120], v[119:120], v[151:152]
	v_add_f64 v[6:7], v[6:7], v[133:134]
	s_waitcnt lgkmcnt(1)
	v_mul_f64 v[151:152], v[113:114], v[168:169]
	v_mul_f64 v[133:134], v[111:112], v[168:169]
	v_add_f64 v[119:120], v[119:120], v[149:150]
	v_fma_f64 v[149:150], v[109:110], v[172:173], v[153:154]
	v_add_f64 v[6:7], v[6:7], v[137:138]
	s_waitcnt vmcnt(41) lgkmcnt(0)
	v_mul_f64 v[153:154], v[4:5], v[176:177]
	s_waitcnt vmcnt(40)
	v_fma_f64 v[151:152], v[111:112], v[170:171], -v[151:152]
	ds_read_b128 v[107:110], v1 offset:1424
	v_mul_f64 v[137:138], v[2:3], v[176:177]
	v_fma_f64 v[133:134], v[113:114], v[170:171], v[133:134]
	ds_read_b128 v[111:114], v1 offset:1440
	v_add_f64 v[119:120], v[119:120], v[155:156]
	v_add_f64 v[6:7], v[6:7], v[149:150]
	s_waitcnt vmcnt(39) lgkmcnt(1)
	v_mul_f64 v[155:156], v[109:110], v[178:179]
	v_mul_f64 v[149:150], v[107:108], v[178:179]
	s_waitcnt vmcnt(37)
	v_fma_f64 v[153:154], v[2:3], v[117:118], -v[153:154]
	v_fma_f64 v[117:118], v[4:5], v[117:118], v[137:138]
	ds_read_b128 v[2:5], v1 offset:1456
	v_add_f64 v[119:120], v[119:120], v[151:152]
	v_add_f64 v[6:7], v[6:7], v[133:134]
	s_waitcnt vmcnt(33) lgkmcnt(1)
	v_mul_f64 v[133:134], v[111:112], v[121:122]
	v_mul_f64 v[121:122], v[113:114], v[121:122]
	s_waitcnt vmcnt(32)
	v_fma_f64 v[137:138], v[107:108], v[180:181], -v[155:156]
	;; [unrolled: 9-line block ×7, first 2 shown]
	v_fma_f64 v[117:118], v[4:5], v[125:126], v[117:118]
	ds_read_b128 v[2:5], v1 offset:1552
	v_add_f64 v[119:120], v[119:120], v[121:122]
	v_add_f64 v[6:7], v[6:7], v[115:116]
	s_waitcnt vmcnt(9) lgkmcnt(1)
	v_mul_f64 v[121:122], v[113:114], v[131:132]
	s_waitcnt vmcnt(8)
	v_fma_f64 v[107:108], v[107:108], v[184:185], -v[129:130]
	v_mul_f64 v[115:116], v[111:112], v[131:132]
	v_fma_f64 v[109:110], v[109:110], v[184:185], v[127:128]
	v_add_f64 v[119:120], v[119:120], v[123:124]
	v_add_f64 v[6:7], v[6:7], v[117:118]
	s_waitcnt vmcnt(7) lgkmcnt(0)
	v_mul_f64 v[123:124], v[4:5], v[143:144]
	v_mul_f64 v[117:118], v[2:3], v[143:144]
	s_waitcnt vmcnt(5)
	v_fma_f64 v[111:112], v[111:112], v[135:136], -v[121:122]
	v_fma_f64 v[113:114], v[113:114], v[135:136], v[115:116]
	v_add_f64 v[107:108], v[119:120], v[107:108]
	v_add_f64 v[6:7], v[6:7], v[109:110]
	s_waitcnt vmcnt(4)
	v_fma_f64 v[2:3], v[2:3], v[147:148], -v[123:124]
	v_fma_f64 v[4:5], v[4:5], v[147:148], v[117:118]
	v_add_f64 v[107:108], v[107:108], v[111:112]
	v_add_f64 v[6:7], v[6:7], v[113:114]
	;; [unrolled: 1-line block ×4, first 2 shown]
	s_waitcnt vmcnt(2)
	v_add_f64 v[2:3], v[141:142], -v[2:3]
	s_waitcnt vmcnt(0)
	v_add_f64 v[4:5], v[145:146], -v[4:5]
	buffer_store_dword v3, off, s[0:3], 0 offset:388
	buffer_store_dword v2, off, s[0:3], 0 offset:384
	;; [unrolled: 1-line block ×4, first 2 shown]
	v_cmpx_lt_u32_e32 22, v0
	s_cbranch_execz .LBB112_263
; %bb.262:
	v_mov_b32_e32 v5, s39
	s_clause 0x3
	buffer_load_dword v2, v5, s[0:3], 0 offen
	buffer_load_dword v3, v5, s[0:3], 0 offen offset:4
	buffer_load_dword v4, v5, s[0:3], 0 offen offset:8
	;; [unrolled: 1-line block ×3, first 2 shown]
	buffer_store_dword v1, off, s[0:3], 0 offset:368
	buffer_store_dword v1, off, s[0:3], 0 offset:372
	;; [unrolled: 1-line block ×4, first 2 shown]
	s_waitcnt vmcnt(0)
	ds_write_b128 v167, v[2:5]
.LBB112_263:
	s_or_b32 exec_lo, exec_lo, s4
	s_waitcnt lgkmcnt(0)
	s_waitcnt_vscnt null, 0x0
	s_barrier
	buffer_gl0_inv
	s_clause 0x37
	buffer_load_dword v6, off, s[0:3], 0 offset:392
	buffer_load_dword v7, off, s[0:3], 0 offset:396
	;; [unrolled: 1-line block ×56, first 2 shown]
	ds_read_b128 v[2:5], v1 offset:1152
	s_clause 0x2
	buffer_load_dword v169, off, s[0:3], 0 offset:620
	buffer_load_dword v173, off, s[0:3], 0 offset:596
	;; [unrolled: 1-line block ×3, first 2 shown]
	ds_read_b128 v[107:110], v1 offset:1168
	s_clause 0x4
	buffer_load_dword v177, off, s[0:3], 0 offset:636
	buffer_load_dword v178, off, s[0:3], 0 offset:648
	buffer_load_dword v180, off, s[0:3], 0 offset:640
	buffer_load_dword v176, off, s[0:3], 0 offset:632
	buffer_load_dword v171, off, s[0:3], 0 offset:612
	ds_read_b128 v[111:114], v1 offset:1184
	s_mov_b32 s4, exec_lo
	s_waitcnt vmcnt(62) lgkmcnt(2)
	v_mul_f64 v[174:175], v[4:5], v[6:7]
	v_mul_f64 v[6:7], v[2:3], v[6:7]
	s_waitcnt vmcnt(60) lgkmcnt(1)
	v_mul_f64 v[181:182], v[109:110], v[115:116]
	v_mul_f64 v[115:116], v[107:108], v[115:116]
	;; [unrolled: 3-line block ×3, first 2 shown]
	v_fma_f64 v[174:175], v[2:3], v[117:118], -v[174:175]
	v_fma_f64 v[6:7], v[4:5], v[117:118], v[6:7]
	s_clause 0x2
	buffer_load_dword v179, off, s[0:3], 0 offset:652
	buffer_load_dword v118, off, s[0:3], 0 offset:628
	;; [unrolled: 1-line block ×3, first 2 shown]
	s_waitcnt vmcnt(57)
	v_fma_f64 v[185:186], v[107:108], v[121:122], -v[181:182]
	ds_read_b128 v[2:5], v1 offset:1200
	v_fma_f64 v[115:116], v[109:110], v[121:122], v[115:116]
	s_clause 0x4
	buffer_load_dword v122, off, s[0:3], 0 offset:668
	buffer_load_dword v182, off, s[0:3], 0 offset:680
	buffer_load_dword v187, off, s[0:3], 0 offset:672
	buffer_load_dword v121, off, s[0:3], 0 offset:664
	buffer_load_dword v181, off, s[0:3], 0 offset:644
	s_waitcnt vmcnt(56)
	v_fma_f64 v[119:120], v[111:112], v[129:130], -v[119:120]
	ds_read_b128 v[107:110], v1 offset:1216
	v_fma_f64 v[129:130], v[113:114], v[129:130], v[183:184]
	v_add_f64 v[174:175], v[174:175], 0
	v_add_f64 v[6:7], v[6:7], 0
	s_waitcnt lgkmcnt(1)
	v_mul_f64 v[188:189], v[2:3], v[123:124]
	v_mul_f64 v[123:124], v[4:5], v[123:124]
	v_add_f64 v[174:175], v[174:175], v[185:186]
	v_add_f64 v[6:7], v[6:7], v[115:116]
	s_clause 0x2
	buffer_load_dword v183, off, s[0:3], 0 offset:684
	buffer_load_dword v116, off, s[0:3], 0 offset:660
	;; [unrolled: 1-line block ×3, first 2 shown]
	s_waitcnt vmcnt(58) lgkmcnt(0)
	v_mul_f64 v[184:185], v[107:108], v[125:126]
	v_mul_f64 v[125:126], v[109:110], v[125:126]
	s_waitcnt vmcnt(56)
	v_fma_f64 v[123:124], v[2:3], v[131:132], -v[123:124]
	ds_read_b128 v[111:114], v1 offset:1232
	v_fma_f64 v[131:132], v[4:5], v[131:132], v[188:189]
	v_add_f64 v[119:120], v[174:175], v[119:120]
	v_add_f64 v[6:7], v[6:7], v[129:130]
	s_clause 0x4
	buffer_load_dword v130, off, s[0:3], 0 offset:700
	buffer_load_dword v174, off, s[0:3], 0 offset:712
	;; [unrolled: 1-line block ×5, first 2 shown]
	ds_read_b128 v[2:5], v1 offset:1248
	s_waitcnt vmcnt(57) lgkmcnt(1)
	v_mul_f64 v[190:191], v[111:112], v[133:134]
	v_mul_f64 v[133:134], v[113:114], v[133:134]
	s_waitcnt vmcnt(56)
	v_fma_f64 v[125:126], v[107:108], v[127:128], -v[125:126]
	v_add_f64 v[119:120], v[119:120], v[123:124]
	v_fma_f64 v[123:124], v[109:110], v[127:128], v[184:185]
	v_add_f64 v[6:7], v[6:7], v[131:132]
	s_clause 0x2
	buffer_load_dword v175, off, s[0:3], 0 offset:716
	buffer_load_dword v128, off, s[0:3], 0 offset:692
	buffer_load_dword v127, off, s[0:3], 0 offset:688
	s_waitcnt vmcnt(58) lgkmcnt(0)
	v_mul_f64 v[131:132], v[2:3], v[135:136]
	v_mul_f64 v[135:136], v[4:5], v[135:136]
	s_waitcnt vmcnt(56)
	v_fma_f64 v[133:134], v[111:112], v[139:140], -v[133:134]
	ds_read_b128 v[107:110], v1 offset:1264
	v_add_f64 v[119:120], v[119:120], v[125:126]
	v_fma_f64 v[125:126], v[113:114], v[139:140], v[190:191]
	v_add_f64 v[6:7], v[6:7], v[123:124]
	s_clause 0x4
	buffer_load_dword v124, off, s[0:3], 0 offset:732
	buffer_load_dword v139, off, s[0:3], 0 offset:744
	;; [unrolled: 1-line block ×5, first 2 shown]
	ds_read_b128 v[111:114], v1 offset:1280
	s_waitcnt vmcnt(57) lgkmcnt(1)
	v_mul_f64 v[185:186], v[107:108], v[141:142]
	v_mul_f64 v[141:142], v[109:110], v[141:142]
	s_waitcnt vmcnt(56)
	v_fma_f64 v[135:136], v[2:3], v[137:138], -v[135:136]
	v_fma_f64 v[131:132], v[4:5], v[137:138], v[131:132]
	v_add_f64 v[119:120], v[119:120], v[133:134]
	v_add_f64 v[6:7], v[6:7], v[125:126]
	s_clause 0x2
	buffer_load_dword v140, off, s[0:3], 0 offset:748
	buffer_load_dword v126, off, s[0:3], 0 offset:724
	;; [unrolled: 1-line block ×3, first 2 shown]
	s_waitcnt vmcnt(58) lgkmcnt(0)
	v_mul_f64 v[137:138], v[113:114], v[143:144]
	ds_read_b128 v[2:5], v1 offset:1296
	s_waitcnt vmcnt(56)
	v_fma_f64 v[141:142], v[107:108], v[147:148], -v[141:142]
	v_mul_f64 v[133:134], v[111:112], v[143:144]
	v_add_f64 v[119:120], v[119:120], v[135:136]
	v_fma_f64 v[135:136], v[109:110], v[147:148], v[185:186]
	v_add_f64 v[6:7], v[6:7], v[131:132]
	s_clause 0x4
	buffer_load_dword v132, off, s[0:3], 0 offset:764
	buffer_load_dword v143, off, s[0:3], 0 offset:776
	buffer_load_dword v147, off, s[0:3], 0 offset:768
	buffer_load_dword v131, off, s[0:3], 0 offset:760
	buffer_load_dword v185, off, s[0:3], 0 offset:740
	s_waitcnt vmcnt(57) lgkmcnt(0)
	v_mul_f64 v[191:192], v[2:3], v[149:150]
	v_mul_f64 v[148:149], v[4:5], v[149:150]
	s_waitcnt vmcnt(56)
	v_fma_f64 v[137:138], v[111:112], v[145:146], -v[137:138]
	ds_read_b128 v[107:110], v1 offset:1312
	v_fma_f64 v[133:134], v[113:114], v[145:146], v[133:134]
	v_add_f64 v[119:120], v[119:120], v[141:142]
	v_add_f64 v[6:7], v[6:7], v[135:136]
	s_clause 0x2
	buffer_load_dword v144, off, s[0:3], 0 offset:780
	buffer_load_dword v136, off, s[0:3], 0 offset:756
	;; [unrolled: 1-line block ×3, first 2 shown]
	ds_read_b128 v[111:114], v1 offset:1328
	s_waitcnt vmcnt(58) lgkmcnt(1)
	v_mul_f64 v[145:146], v[109:110], v[151:152]
	s_waitcnt vmcnt(56)
	v_fma_f64 v[149:150], v[2:3], v[155:156], -v[148:149]
	v_mul_f64 v[141:142], v[107:108], v[151:152]
	v_add_f64 v[119:120], v[119:120], v[137:138]
	v_fma_f64 v[137:138], v[4:5], v[155:156], v[191:192]
	v_add_f64 v[6:7], v[6:7], v[133:134]
	s_clause 0x2
	buffer_load_dword v134, off, s[0:3], 0 offset:796
	buffer_load_dword v133, off, s[0:3], 0 offset:792
	;; [unrolled: 1-line block ×3, first 2 shown]
	s_waitcnt vmcnt(55) lgkmcnt(0)
	v_mul_f64 v[155:156], v[113:114], v[157:158]
	s_waitcnt vmcnt(54)
	v_fma_f64 v[145:146], v[107:108], v[153:154], -v[145:146]
	ds_read_b128 v[2:5], v1 offset:1344
	v_mul_f64 v[151:152], v[111:112], v[157:158]
	v_fma_f64 v[141:142], v[109:110], v[153:154], v[141:142]
	v_add_f64 v[119:120], v[119:120], v[149:150]
	v_add_f64 v[6:7], v[6:7], v[137:138]
	s_clause 0x1
	buffer_load_dword v138, off, s[0:3], 0 offset:788
	buffer_load_dword v137, off, s[0:3], 0 offset:784
	s_waitcnt vmcnt(55) lgkmcnt(0)
	v_mul_f64 v[153:154], v[4:5], v[159:160]
	s_waitcnt vmcnt(53)
	v_fma_f64 v[155:156], v[111:112], v[163:164], -v[155:156]
	ds_read_b128 v[107:110], v1 offset:1360
	v_mul_f64 v[149:150], v[2:3], v[159:160]
	v_add_f64 v[119:120], v[119:120], v[145:146]
	v_fma_f64 v[145:146], v[113:114], v[163:164], v[151:152]
	v_add_f64 v[6:7], v[6:7], v[141:142]
	ds_read_b128 v[111:114], v1 offset:1376
	s_waitcnt vmcnt(49) lgkmcnt(1)
	v_mul_f64 v[151:152], v[109:110], v[165:166]
	s_waitcnt vmcnt(48)
	v_fma_f64 v[153:154], v[2:3], v[161:162], -v[153:154]
	v_mul_f64 v[141:142], v[107:108], v[165:166]
	v_fma_f64 v[149:150], v[4:5], v[161:162], v[149:150]
	v_add_f64 v[119:120], v[119:120], v[155:156]
	s_waitcnt vmcnt(47) lgkmcnt(0)
	v_mul_f64 v[159:160], v[113:114], v[168:169]
	v_add_f64 v[6:7], v[6:7], v[145:146]
	s_clause 0x3
	buffer_load_dword v145, off, s[0:3], 0 offset:368
	buffer_load_dword v146, off, s[0:3], 0 offset:372
	;; [unrolled: 1-line block ×4, first 2 shown]
	s_waitcnt vmcnt(49)
	v_fma_f64 v[151:152], v[107:108], v[172:173], -v[151:152]
	ds_read_b128 v[2:5], v1 offset:1392
	v_mul_f64 v[157:158], v[111:112], v[168:169]
	v_fma_f64 v[141:142], v[109:110], v[172:173], v[141:142]
	ds_read_b128 v[107:110], v1 offset:1408
	v_add_f64 v[119:120], v[119:120], v[153:154]
	s_waitcnt vmcnt(44)
	v_fma_f64 v[159:160], v[111:112], v[170:171], -v[159:160]
	v_add_f64 v[6:7], v[6:7], v[149:150]
	s_waitcnt lgkmcnt(1)
	v_mul_f64 v[153:154], v[4:5], v[176:177]
	v_mul_f64 v[149:150], v[2:3], v[176:177]
	v_add_f64 v[119:120], v[119:120], v[151:152]
	v_fma_f64 v[151:152], v[113:114], v[170:171], v[157:158]
	v_add_f64 v[6:7], v[6:7], v[141:142]
	ds_read_b128 v[111:114], v1 offset:1424
	s_waitcnt vmcnt(43) lgkmcnt(1)
	v_mul_f64 v[157:158], v[109:110], v[178:179]
	v_mul_f64 v[141:142], v[107:108], v[178:179]
	s_waitcnt vmcnt(41)
	v_fma_f64 v[153:154], v[2:3], v[117:118], -v[153:154]
	v_fma_f64 v[117:118], v[4:5], v[117:118], v[149:150]
	ds_read_b128 v[2:5], v1 offset:1440
	v_add_f64 v[119:120], v[119:120], v[159:160]
	s_waitcnt vmcnt(37) lgkmcnt(1)
	v_mul_f64 v[149:150], v[111:112], v[121:122]
	v_add_f64 v[6:7], v[6:7], v[151:152]
	v_mul_f64 v[121:122], v[113:114], v[121:122]
	s_waitcnt vmcnt(36)
	v_fma_f64 v[151:152], v[107:108], v[180:181], -v[157:158]
	v_fma_f64 v[141:142], v[109:110], v[180:181], v[141:142]
	ds_read_b128 v[107:110], v1 offset:1456
	v_add_f64 v[119:120], v[119:120], v[153:154]
	v_add_f64 v[6:7], v[6:7], v[117:118]
	s_waitcnt vmcnt(35) lgkmcnt(1)
	v_mul_f64 v[153:154], v[4:5], v[182:183]
	v_mul_f64 v[117:118], v[2:3], v[182:183]
	s_waitcnt vmcnt(33)
	v_fma_f64 v[121:122], v[111:112], v[115:116], -v[121:122]
	v_fma_f64 v[115:116], v[113:114], v[115:116], v[149:150]
	ds_read_b128 v[111:114], v1 offset:1472
	v_add_f64 v[119:120], v[119:120], v[151:152]
	v_add_f64 v[6:7], v[6:7], v[141:142]
	s_waitcnt vmcnt(29) lgkmcnt(1)
	v_mul_f64 v[141:142], v[107:108], v[129:130]
	v_mul_f64 v[129:130], v[109:110], v[129:130]
	s_waitcnt vmcnt(28)
	v_fma_f64 v[149:150], v[2:3], v[187:188], -v[153:154]
	v_fma_f64 v[117:118], v[4:5], v[187:188], v[117:118]
	ds_read_b128 v[2:5], v1 offset:1488
	v_add_f64 v[119:120], v[119:120], v[121:122]
	v_add_f64 v[6:7], v[6:7], v[115:116]
	s_waitcnt vmcnt(27) lgkmcnt(1)
	v_mul_f64 v[121:122], v[113:114], v[174:175]
	v_mul_f64 v[115:116], v[111:112], v[174:175]
	s_waitcnt vmcnt(25)
	v_fma_f64 v[129:130], v[107:108], v[127:128], -v[129:130]
	v_fma_f64 v[127:128], v[109:110], v[127:128], v[141:142]
	ds_read_b128 v[107:110], v1 offset:1504
	v_add_f64 v[119:120], v[119:120], v[149:150]
	v_add_f64 v[6:7], v[6:7], v[117:118]
	s_waitcnt vmcnt(21) lgkmcnt(1)
	v_mul_f64 v[117:118], v[2:3], v[123:124]
	v_mul_f64 v[123:124], v[4:5], v[123:124]
	s_waitcnt vmcnt(20)
	v_fma_f64 v[121:122], v[111:112], v[189:190], -v[121:122]
	v_fma_f64 v[115:116], v[113:114], v[189:190], v[115:116]
	ds_read_b128 v[111:114], v1 offset:1520
	v_add_f64 v[119:120], v[119:120], v[129:130]
	v_add_f64 v[6:7], v[6:7], v[127:128]
	s_waitcnt vmcnt(19) lgkmcnt(1)
	v_mul_f64 v[129:130], v[109:110], v[139:140]
	v_mul_f64 v[127:128], v[107:108], v[139:140]
	s_waitcnt vmcnt(17)
	v_fma_f64 v[123:124], v[2:3], v[125:126], -v[123:124]
	v_fma_f64 v[117:118], v[4:5], v[125:126], v[117:118]
	ds_read_b128 v[2:5], v1 offset:1536
	v_add_f64 v[119:120], v[119:120], v[121:122]
	v_add_f64 v[6:7], v[6:7], v[115:116]
	s_waitcnt vmcnt(13) lgkmcnt(1)
	v_mul_f64 v[121:122], v[113:114], v[131:132]
	s_waitcnt vmcnt(12)
	v_fma_f64 v[125:126], v[107:108], v[184:185], -v[129:130]
	v_mul_f64 v[115:116], v[111:112], v[131:132]
	v_add_f64 v[119:120], v[119:120], v[123:124]
	v_fma_f64 v[123:124], v[109:110], v[184:185], v[127:128]
	v_add_f64 v[6:7], v[6:7], v[117:118]
	ds_read_b128 v[107:110], v1 offset:1552
	s_waitcnt vmcnt(11) lgkmcnt(1)
	v_mul_f64 v[127:128], v[4:5], v[143:144]
	v_mul_f64 v[117:118], v[2:3], v[143:144]
	s_waitcnt vmcnt(9)
	v_fma_f64 v[111:112], v[111:112], v[135:136], -v[121:122]
	v_fma_f64 v[113:114], v[113:114], v[135:136], v[115:116]
	v_add_f64 v[119:120], v[119:120], v[125:126]
	v_add_f64 v[6:7], v[6:7], v[123:124]
	s_waitcnt vmcnt(7) lgkmcnt(0)
	v_mul_f64 v[121:122], v[109:110], v[133:134]
	s_waitcnt vmcnt(6)
	v_fma_f64 v[1:2], v[2:3], v[147:148], -v[127:128]
	v_mul_f64 v[115:116], v[107:108], v[133:134]
	v_fma_f64 v[3:4], v[4:5], v[147:148], v[117:118]
	v_add_f64 v[111:112], v[119:120], v[111:112]
	v_add_f64 v[5:6], v[6:7], v[113:114]
	s_waitcnt vmcnt(4)
	v_fma_f64 v[7:8], v[107:108], v[137:138], -v[121:122]
	v_fma_f64 v[107:108], v[109:110], v[137:138], v[115:116]
	v_add_f64 v[1:2], v[111:112], v[1:2]
	v_add_f64 v[3:4], v[5:6], v[3:4]
	v_add_f64 v[1:2], v[1:2], v[7:8]
	v_add_f64 v[3:4], v[3:4], v[107:108]
	s_waitcnt vmcnt(2)
	v_add_f64 v[1:2], v[145:146], -v[1:2]
	s_waitcnt vmcnt(0)
	v_add_f64 v[3:4], v[155:156], -v[3:4]
	buffer_store_dword v2, off, s[0:3], 0 offset:372
	buffer_store_dword v1, off, s[0:3], 0 offset:368
	;; [unrolled: 1-line block ×4, first 2 shown]
	v_cmpx_lt_u32_e32 21, v0
	s_cbranch_execz .LBB112_265
; %bb.264:
	v_mov_b32_e32 v4, s40
	v_mov_b32_e32 v5, 0
	s_clause 0x3
	buffer_load_dword v1, v4, s[0:3], 0 offen
	buffer_load_dword v2, v4, s[0:3], 0 offen offset:4
	buffer_load_dword v3, v4, s[0:3], 0 offen offset:8
	;; [unrolled: 1-line block ×3, first 2 shown]
	buffer_store_dword v5, off, s[0:3], 0 offset:352
	buffer_store_dword v5, off, s[0:3], 0 offset:356
	buffer_store_dword v5, off, s[0:3], 0 offset:360
	buffer_store_dword v5, off, s[0:3], 0 offset:364
	s_waitcnt vmcnt(0)
	ds_write_b128 v167, v[1:4]
.LBB112_265:
	s_or_b32 exec_lo, exec_lo, s4
	s_waitcnt lgkmcnt(0)
	s_waitcnt_vscnt null, 0x0
	s_barrier
	buffer_gl0_inv
	s_clause 0x37
	buffer_load_dword v6, off, s[0:3], 0 offset:376
	buffer_load_dword v7, off, s[0:3], 0 offset:380
	;; [unrolled: 1-line block ×56, first 2 shown]
	v_mov_b32_e32 v1, 0
	s_mov_b32 s4, exec_lo
	ds_read_b128 v[2:5], v1 offset:1136
	s_clause 0x2
	buffer_load_dword v169, off, s[0:3], 0 offset:604
	buffer_load_dword v173, off, s[0:3], 0 offset:580
	;; [unrolled: 1-line block ×3, first 2 shown]
	ds_read_b128 v[107:110], v1 offset:1152
	s_clause 0x4
	buffer_load_dword v177, off, s[0:3], 0 offset:620
	buffer_load_dword v178, off, s[0:3], 0 offset:632
	;; [unrolled: 1-line block ×5, first 2 shown]
	ds_read_b128 v[111:114], v1 offset:1168
	s_waitcnt vmcnt(62) lgkmcnt(2)
	v_mul_f64 v[174:175], v[4:5], v[6:7]
	v_mul_f64 v[6:7], v[2:3], v[6:7]
	s_waitcnt vmcnt(60) lgkmcnt(1)
	v_mul_f64 v[181:182], v[109:110], v[115:116]
	v_mul_f64 v[115:116], v[107:108], v[115:116]
	;; [unrolled: 3-line block ×3, first 2 shown]
	v_fma_f64 v[174:175], v[2:3], v[117:118], -v[174:175]
	v_fma_f64 v[6:7], v[4:5], v[117:118], v[6:7]
	s_clause 0x2
	buffer_load_dword v179, off, s[0:3], 0 offset:636
	buffer_load_dword v118, off, s[0:3], 0 offset:612
	;; [unrolled: 1-line block ×3, first 2 shown]
	s_waitcnt vmcnt(57)
	v_fma_f64 v[185:186], v[107:108], v[121:122], -v[181:182]
	ds_read_b128 v[2:5], v1 offset:1184
	v_fma_f64 v[115:116], v[109:110], v[121:122], v[115:116]
	s_clause 0x4
	buffer_load_dword v122, off, s[0:3], 0 offset:652
	buffer_load_dword v182, off, s[0:3], 0 offset:664
	;; [unrolled: 1-line block ×5, first 2 shown]
	s_waitcnt vmcnt(56)
	v_fma_f64 v[119:120], v[111:112], v[129:130], -v[119:120]
	ds_read_b128 v[107:110], v1 offset:1200
	v_fma_f64 v[129:130], v[113:114], v[129:130], v[183:184]
	v_add_f64 v[174:175], v[174:175], 0
	v_add_f64 v[6:7], v[6:7], 0
	s_waitcnt lgkmcnt(1)
	v_mul_f64 v[188:189], v[2:3], v[123:124]
	v_mul_f64 v[123:124], v[4:5], v[123:124]
	v_add_f64 v[174:175], v[174:175], v[185:186]
	v_add_f64 v[6:7], v[6:7], v[115:116]
	s_clause 0x2
	buffer_load_dword v183, off, s[0:3], 0 offset:668
	buffer_load_dword v116, off, s[0:3], 0 offset:644
	;; [unrolled: 1-line block ×3, first 2 shown]
	s_waitcnt vmcnt(58) lgkmcnt(0)
	v_mul_f64 v[184:185], v[107:108], v[125:126]
	v_mul_f64 v[125:126], v[109:110], v[125:126]
	s_waitcnt vmcnt(56)
	v_fma_f64 v[123:124], v[2:3], v[131:132], -v[123:124]
	ds_read_b128 v[111:114], v1 offset:1216
	v_fma_f64 v[131:132], v[4:5], v[131:132], v[188:189]
	v_add_f64 v[119:120], v[174:175], v[119:120]
	v_add_f64 v[6:7], v[6:7], v[129:130]
	s_clause 0x4
	buffer_load_dword v130, off, s[0:3], 0 offset:684
	buffer_load_dword v174, off, s[0:3], 0 offset:696
	buffer_load_dword v189, off, s[0:3], 0 offset:688
	buffer_load_dword v129, off, s[0:3], 0 offset:680
	buffer_load_dword v188, off, s[0:3], 0 offset:660
	ds_read_b128 v[2:5], v1 offset:1232
	s_waitcnt vmcnt(57) lgkmcnt(1)
	v_mul_f64 v[190:191], v[111:112], v[133:134]
	v_mul_f64 v[133:134], v[113:114], v[133:134]
	s_waitcnt vmcnt(56)
	v_fma_f64 v[125:126], v[107:108], v[127:128], -v[125:126]
	v_add_f64 v[119:120], v[119:120], v[123:124]
	v_fma_f64 v[123:124], v[109:110], v[127:128], v[184:185]
	v_add_f64 v[6:7], v[6:7], v[131:132]
	s_clause 0x2
	buffer_load_dword v175, off, s[0:3], 0 offset:700
	buffer_load_dword v128, off, s[0:3], 0 offset:676
	;; [unrolled: 1-line block ×3, first 2 shown]
	s_waitcnt vmcnt(58) lgkmcnt(0)
	v_mul_f64 v[131:132], v[2:3], v[135:136]
	v_mul_f64 v[135:136], v[4:5], v[135:136]
	s_waitcnt vmcnt(56)
	v_fma_f64 v[133:134], v[111:112], v[139:140], -v[133:134]
	ds_read_b128 v[107:110], v1 offset:1248
	v_add_f64 v[119:120], v[119:120], v[125:126]
	v_fma_f64 v[125:126], v[113:114], v[139:140], v[190:191]
	v_add_f64 v[6:7], v[6:7], v[123:124]
	s_clause 0x4
	buffer_load_dword v124, off, s[0:3], 0 offset:716
	buffer_load_dword v139, off, s[0:3], 0 offset:728
	;; [unrolled: 1-line block ×5, first 2 shown]
	ds_read_b128 v[111:114], v1 offset:1264
	s_waitcnt vmcnt(57) lgkmcnt(1)
	v_mul_f64 v[185:186], v[107:108], v[141:142]
	v_mul_f64 v[141:142], v[109:110], v[141:142]
	s_waitcnt vmcnt(56)
	v_fma_f64 v[135:136], v[2:3], v[137:138], -v[135:136]
	v_fma_f64 v[131:132], v[4:5], v[137:138], v[131:132]
	v_add_f64 v[119:120], v[119:120], v[133:134]
	v_add_f64 v[6:7], v[6:7], v[125:126]
	s_clause 0x2
	buffer_load_dword v140, off, s[0:3], 0 offset:732
	buffer_load_dword v126, off, s[0:3], 0 offset:708
	;; [unrolled: 1-line block ×3, first 2 shown]
	s_waitcnt vmcnt(58) lgkmcnt(0)
	v_mul_f64 v[137:138], v[113:114], v[143:144]
	ds_read_b128 v[2:5], v1 offset:1280
	s_waitcnt vmcnt(56)
	v_fma_f64 v[141:142], v[107:108], v[147:148], -v[141:142]
	v_mul_f64 v[133:134], v[111:112], v[143:144]
	v_add_f64 v[119:120], v[119:120], v[135:136]
	v_fma_f64 v[135:136], v[109:110], v[147:148], v[185:186]
	v_add_f64 v[6:7], v[6:7], v[131:132]
	s_clause 0x4
	buffer_load_dword v132, off, s[0:3], 0 offset:748
	buffer_load_dword v143, off, s[0:3], 0 offset:760
	;; [unrolled: 1-line block ×5, first 2 shown]
	s_waitcnt vmcnt(57) lgkmcnt(0)
	v_mul_f64 v[191:192], v[2:3], v[149:150]
	v_mul_f64 v[148:149], v[4:5], v[149:150]
	s_waitcnt vmcnt(56)
	v_fma_f64 v[137:138], v[111:112], v[145:146], -v[137:138]
	ds_read_b128 v[107:110], v1 offset:1296
	v_fma_f64 v[133:134], v[113:114], v[145:146], v[133:134]
	v_add_f64 v[119:120], v[119:120], v[141:142]
	v_add_f64 v[6:7], v[6:7], v[135:136]
	s_clause 0x2
	buffer_load_dword v144, off, s[0:3], 0 offset:764
	buffer_load_dword v136, off, s[0:3], 0 offset:740
	;; [unrolled: 1-line block ×3, first 2 shown]
	ds_read_b128 v[111:114], v1 offset:1312
	s_waitcnt vmcnt(58) lgkmcnt(1)
	v_mul_f64 v[145:146], v[109:110], v[151:152]
	s_waitcnt vmcnt(56)
	v_fma_f64 v[149:150], v[2:3], v[155:156], -v[148:149]
	v_mul_f64 v[141:142], v[107:108], v[151:152]
	v_add_f64 v[119:120], v[119:120], v[137:138]
	v_fma_f64 v[137:138], v[4:5], v[155:156], v[191:192]
	v_add_f64 v[6:7], v[6:7], v[133:134]
	s_clause 0x4
	buffer_load_dword v134, off, s[0:3], 0 offset:780
	buffer_load_dword v151, off, s[0:3], 0 offset:792
	;; [unrolled: 1-line block ×5, first 2 shown]
	s_waitcnt vmcnt(57) lgkmcnt(0)
	v_mul_f64 v[191:192], v[111:112], v[157:158]
	v_mul_f64 v[156:157], v[113:114], v[157:158]
	s_waitcnt vmcnt(56)
	v_fma_f64 v[145:146], v[107:108], v[153:154], -v[145:146]
	ds_read_b128 v[2:5], v1 offset:1328
	v_fma_f64 v[141:142], v[109:110], v[153:154], v[141:142]
	v_add_f64 v[119:120], v[119:120], v[149:150]
	v_add_f64 v[6:7], v[6:7], v[137:138]
	s_clause 0x2
	buffer_load_dword v152, off, s[0:3], 0 offset:796
	buffer_load_dword v138, off, s[0:3], 0 offset:772
	;; [unrolled: 1-line block ×3, first 2 shown]
	ds_read_b128 v[107:110], v1 offset:1344
	s_waitcnt vmcnt(58) lgkmcnt(1)
	v_mul_f64 v[153:154], v[4:5], v[159:160]
	s_waitcnt vmcnt(56)
	v_fma_f64 v[157:158], v[111:112], v[163:164], -v[156:157]
	v_mul_f64 v[149:150], v[2:3], v[159:160]
	buffer_load_dword v156, off, s[0:3], 0 offset:788
	v_add_f64 v[119:120], v[119:120], v[145:146]
	v_fma_f64 v[145:146], v[113:114], v[163:164], v[191:192]
	v_add_f64 v[6:7], v[6:7], v[141:142]
	ds_read_b128 v[111:114], v1 offset:1360
	s_waitcnt vmcnt(53) lgkmcnt(1)
	v_mul_f64 v[159:160], v[109:110], v[165:166]
	s_waitcnt vmcnt(52)
	v_fma_f64 v[153:154], v[2:3], v[161:162], -v[153:154]
	v_mul_f64 v[141:142], v[107:108], v[165:166]
	v_fma_f64 v[149:150], v[4:5], v[161:162], v[149:150]
	ds_read_b128 v[2:5], v1 offset:1376
	v_add_f64 v[119:120], v[119:120], v[157:158]
	s_waitcnt vmcnt(51) lgkmcnt(1)
	v_mul_f64 v[157:158], v[113:114], v[168:169]
	v_add_f64 v[6:7], v[6:7], v[145:146]
	v_mul_f64 v[145:146], v[111:112], v[168:169]
	s_waitcnt vmcnt(49)
	v_fma_f64 v[159:160], v[107:108], v[172:173], -v[159:160]
	v_fma_f64 v[141:142], v[109:110], v[172:173], v[141:142]
	s_waitcnt vmcnt(45) lgkmcnt(0)
	v_mul_f64 v[163:164], v[4:5], v[176:177]
	v_mul_f64 v[161:162], v[2:3], v[176:177]
	v_add_f64 v[119:120], v[119:120], v[153:154]
	s_waitcnt vmcnt(44)
	v_fma_f64 v[157:158], v[111:112], v[170:171], -v[157:158]
	v_add_f64 v[6:7], v[6:7], v[149:150]
	s_clause 0x3
	buffer_load_dword v149, off, s[0:3], 0 offset:352
	buffer_load_dword v150, off, s[0:3], 0 offset:356
	;; [unrolled: 1-line block ×4, first 2 shown]
	ds_read_b128 v[107:110], v1 offset:1392
	v_fma_f64 v[145:146], v[113:114], v[170:171], v[145:146]
	ds_read_b128 v[111:114], v1 offset:1408
	v_add_f64 v[119:120], v[119:120], v[159:160]
	v_add_f64 v[6:7], v[6:7], v[141:142]
	s_waitcnt vmcnt(47) lgkmcnt(1)
	v_mul_f64 v[159:160], v[109:110], v[178:179]
	v_mul_f64 v[141:142], v[107:108], v[178:179]
	s_waitcnt vmcnt(45)
	v_fma_f64 v[163:164], v[2:3], v[117:118], -v[163:164]
	v_fma_f64 v[117:118], v[4:5], v[117:118], v[161:162]
	ds_read_b128 v[2:5], v1 offset:1424
	v_add_f64 v[119:120], v[119:120], v[157:158]
	v_add_f64 v[6:7], v[6:7], v[145:146]
	s_waitcnt vmcnt(41) lgkmcnt(1)
	v_mul_f64 v[145:146], v[111:112], v[121:122]
	v_mul_f64 v[121:122], v[113:114], v[121:122]
	s_waitcnt vmcnt(40)
	v_fma_f64 v[157:158], v[107:108], v[180:181], -v[159:160]
	;; [unrolled: 9-line block ×7, first 2 shown]
	v_fma_f64 v[117:118], v[4:5], v[125:126], v[117:118]
	ds_read_b128 v[2:5], v1 offset:1520
	v_add_f64 v[119:120], v[119:120], v[121:122]
	v_add_f64 v[6:7], v[6:7], v[115:116]
	s_waitcnt vmcnt(17) lgkmcnt(1)
	v_mul_f64 v[121:122], v[113:114], v[131:132]
	s_waitcnt vmcnt(16)
	v_fma_f64 v[125:126], v[107:108], v[184:185], -v[129:130]
	v_mul_f64 v[115:116], v[111:112], v[131:132]
	v_add_f64 v[119:120], v[119:120], v[123:124]
	v_fma_f64 v[123:124], v[109:110], v[184:185], v[127:128]
	v_add_f64 v[6:7], v[6:7], v[117:118]
	ds_read_b128 v[107:110], v1 offset:1536
	s_waitcnt vmcnt(15) lgkmcnt(1)
	v_mul_f64 v[127:128], v[4:5], v[143:144]
	v_mul_f64 v[117:118], v[2:3], v[143:144]
	s_waitcnt vmcnt(13)
	v_fma_f64 v[121:122], v[111:112], v[135:136], -v[121:122]
	v_fma_f64 v[115:116], v[113:114], v[135:136], v[115:116]
	ds_read_b128 v[111:114], v1 offset:1552
	v_add_f64 v[119:120], v[119:120], v[125:126]
	v_add_f64 v[6:7], v[6:7], v[123:124]
	s_waitcnt vmcnt(9) lgkmcnt(1)
	v_mul_f64 v[125:126], v[109:110], v[133:134]
	s_waitcnt vmcnt(8)
	v_fma_f64 v[2:3], v[2:3], v[147:148], -v[127:128]
	v_mul_f64 v[123:124], v[107:108], v[133:134]
	v_fma_f64 v[4:5], v[4:5], v[147:148], v[117:118]
	v_add_f64 v[119:120], v[119:120], v[121:122]
	v_add_f64 v[6:7], v[6:7], v[115:116]
	s_waitcnt vmcnt(7) lgkmcnt(0)
	v_mul_f64 v[117:118], v[113:114], v[151:152]
	v_mul_f64 v[115:116], v[111:112], v[151:152]
	s_waitcnt vmcnt(5)
	v_fma_f64 v[107:108], v[107:108], v[137:138], -v[125:126]
	v_fma_f64 v[109:110], v[109:110], v[137:138], v[123:124]
	v_add_f64 v[2:3], v[119:120], v[2:3]
	v_add_f64 v[4:5], v[6:7], v[4:5]
	s_waitcnt vmcnt(4)
	v_fma_f64 v[6:7], v[111:112], v[155:156], -v[117:118]
	v_add_f64 v[2:3], v[2:3], v[107:108]
	v_fma_f64 v[107:108], v[113:114], v[155:156], v[115:116]
	v_add_f64 v[4:5], v[4:5], v[109:110]
	v_add_f64 v[2:3], v[2:3], v[6:7]
	;; [unrolled: 1-line block ×3, first 2 shown]
	s_waitcnt vmcnt(2)
	v_add_f64 v[2:3], v[149:150], -v[2:3]
	s_waitcnt vmcnt(0)
	v_add_f64 v[4:5], v[153:154], -v[4:5]
	buffer_store_dword v3, off, s[0:3], 0 offset:356
	buffer_store_dword v2, off, s[0:3], 0 offset:352
	;; [unrolled: 1-line block ×4, first 2 shown]
	v_cmpx_lt_u32_e32 20, v0
	s_cbranch_execz .LBB112_267
; %bb.266:
	v_mov_b32_e32 v5, s41
	s_clause 0x3
	buffer_load_dword v2, v5, s[0:3], 0 offen
	buffer_load_dword v3, v5, s[0:3], 0 offen offset:4
	buffer_load_dword v4, v5, s[0:3], 0 offen offset:8
	;; [unrolled: 1-line block ×3, first 2 shown]
	buffer_store_dword v1, off, s[0:3], 0 offset:336
	buffer_store_dword v1, off, s[0:3], 0 offset:340
	;; [unrolled: 1-line block ×4, first 2 shown]
	s_waitcnt vmcnt(0)
	ds_write_b128 v167, v[2:5]
.LBB112_267:
	s_or_b32 exec_lo, exec_lo, s4
	s_waitcnt lgkmcnt(0)
	s_waitcnt_vscnt null, 0x0
	s_barrier
	buffer_gl0_inv
	s_clause 0x37
	buffer_load_dword v6, off, s[0:3], 0 offset:360
	buffer_load_dword v7, off, s[0:3], 0 offset:364
	;; [unrolled: 1-line block ×56, first 2 shown]
	ds_read_b128 v[2:5], v1 offset:1120
	s_clause 0x2
	buffer_load_dword v169, off, s[0:3], 0 offset:588
	buffer_load_dword v173, off, s[0:3], 0 offset:564
	;; [unrolled: 1-line block ×3, first 2 shown]
	ds_read_b128 v[107:110], v1 offset:1136
	s_clause 0x4
	buffer_load_dword v177, off, s[0:3], 0 offset:604
	buffer_load_dword v178, off, s[0:3], 0 offset:616
	;; [unrolled: 1-line block ×5, first 2 shown]
	ds_read_b128 v[111:114], v1 offset:1152
	s_mov_b32 s4, exec_lo
	s_waitcnt vmcnt(62) lgkmcnt(2)
	v_mul_f64 v[174:175], v[4:5], v[6:7]
	v_mul_f64 v[6:7], v[2:3], v[6:7]
	s_waitcnt vmcnt(60) lgkmcnt(1)
	v_mul_f64 v[181:182], v[109:110], v[115:116]
	v_mul_f64 v[115:116], v[107:108], v[115:116]
	;; [unrolled: 3-line block ×3, first 2 shown]
	v_fma_f64 v[174:175], v[2:3], v[117:118], -v[174:175]
	v_fma_f64 v[6:7], v[4:5], v[117:118], v[6:7]
	s_clause 0x2
	buffer_load_dword v179, off, s[0:3], 0 offset:620
	buffer_load_dword v118, off, s[0:3], 0 offset:596
	;; [unrolled: 1-line block ×3, first 2 shown]
	s_waitcnt vmcnt(57)
	v_fma_f64 v[185:186], v[107:108], v[121:122], -v[181:182]
	ds_read_b128 v[2:5], v1 offset:1168
	v_fma_f64 v[115:116], v[109:110], v[121:122], v[115:116]
	s_clause 0x4
	buffer_load_dword v122, off, s[0:3], 0 offset:636
	buffer_load_dword v182, off, s[0:3], 0 offset:648
	;; [unrolled: 1-line block ×5, first 2 shown]
	s_waitcnt vmcnt(56)
	v_fma_f64 v[119:120], v[111:112], v[129:130], -v[119:120]
	ds_read_b128 v[107:110], v1 offset:1184
	v_fma_f64 v[129:130], v[113:114], v[129:130], v[183:184]
	v_add_f64 v[174:175], v[174:175], 0
	v_add_f64 v[6:7], v[6:7], 0
	s_waitcnt lgkmcnt(1)
	v_mul_f64 v[188:189], v[2:3], v[123:124]
	v_mul_f64 v[123:124], v[4:5], v[123:124]
	v_add_f64 v[174:175], v[174:175], v[185:186]
	v_add_f64 v[6:7], v[6:7], v[115:116]
	s_clause 0x2
	buffer_load_dword v183, off, s[0:3], 0 offset:652
	buffer_load_dword v116, off, s[0:3], 0 offset:628
	;; [unrolled: 1-line block ×3, first 2 shown]
	s_waitcnt vmcnt(58) lgkmcnt(0)
	v_mul_f64 v[184:185], v[107:108], v[125:126]
	v_mul_f64 v[125:126], v[109:110], v[125:126]
	s_waitcnt vmcnt(56)
	v_fma_f64 v[123:124], v[2:3], v[131:132], -v[123:124]
	ds_read_b128 v[111:114], v1 offset:1200
	v_fma_f64 v[131:132], v[4:5], v[131:132], v[188:189]
	v_add_f64 v[119:120], v[174:175], v[119:120]
	v_add_f64 v[6:7], v[6:7], v[129:130]
	s_clause 0x4
	buffer_load_dword v130, off, s[0:3], 0 offset:668
	buffer_load_dword v174, off, s[0:3], 0 offset:680
	;; [unrolled: 1-line block ×5, first 2 shown]
	ds_read_b128 v[2:5], v1 offset:1216
	s_waitcnt vmcnt(57) lgkmcnt(1)
	v_mul_f64 v[190:191], v[111:112], v[133:134]
	v_mul_f64 v[133:134], v[113:114], v[133:134]
	s_waitcnt vmcnt(56)
	v_fma_f64 v[125:126], v[107:108], v[127:128], -v[125:126]
	v_add_f64 v[119:120], v[119:120], v[123:124]
	v_fma_f64 v[123:124], v[109:110], v[127:128], v[184:185]
	v_add_f64 v[6:7], v[6:7], v[131:132]
	s_clause 0x2
	buffer_load_dword v175, off, s[0:3], 0 offset:684
	buffer_load_dword v128, off, s[0:3], 0 offset:660
	;; [unrolled: 1-line block ×3, first 2 shown]
	s_waitcnt vmcnt(58) lgkmcnt(0)
	v_mul_f64 v[131:132], v[2:3], v[135:136]
	v_mul_f64 v[135:136], v[4:5], v[135:136]
	s_waitcnt vmcnt(56)
	v_fma_f64 v[133:134], v[111:112], v[139:140], -v[133:134]
	ds_read_b128 v[107:110], v1 offset:1232
	v_add_f64 v[119:120], v[119:120], v[125:126]
	v_fma_f64 v[125:126], v[113:114], v[139:140], v[190:191]
	v_add_f64 v[6:7], v[6:7], v[123:124]
	s_clause 0x4
	buffer_load_dword v124, off, s[0:3], 0 offset:700
	buffer_load_dword v139, off, s[0:3], 0 offset:712
	buffer_load_dword v184, off, s[0:3], 0 offset:704
	buffer_load_dword v123, off, s[0:3], 0 offset:696
	buffer_load_dword v190, off, s[0:3], 0 offset:676
	ds_read_b128 v[111:114], v1 offset:1248
	s_waitcnt vmcnt(57) lgkmcnt(1)
	v_mul_f64 v[185:186], v[107:108], v[141:142]
	v_mul_f64 v[141:142], v[109:110], v[141:142]
	s_waitcnt vmcnt(56)
	v_fma_f64 v[135:136], v[2:3], v[137:138], -v[135:136]
	v_fma_f64 v[131:132], v[4:5], v[137:138], v[131:132]
	v_add_f64 v[119:120], v[119:120], v[133:134]
	v_add_f64 v[6:7], v[6:7], v[125:126]
	s_clause 0x2
	buffer_load_dword v140, off, s[0:3], 0 offset:716
	buffer_load_dword v126, off, s[0:3], 0 offset:692
	buffer_load_dword v125, off, s[0:3], 0 offset:688
	s_waitcnt vmcnt(58) lgkmcnt(0)
	v_mul_f64 v[137:138], v[113:114], v[143:144]
	ds_read_b128 v[2:5], v1 offset:1264
	s_waitcnt vmcnt(56)
	v_fma_f64 v[141:142], v[107:108], v[147:148], -v[141:142]
	v_mul_f64 v[133:134], v[111:112], v[143:144]
	v_add_f64 v[119:120], v[119:120], v[135:136]
	v_fma_f64 v[135:136], v[109:110], v[147:148], v[185:186]
	v_add_f64 v[6:7], v[6:7], v[131:132]
	s_clause 0x4
	buffer_load_dword v132, off, s[0:3], 0 offset:732
	buffer_load_dword v143, off, s[0:3], 0 offset:744
	;; [unrolled: 1-line block ×5, first 2 shown]
	s_waitcnt vmcnt(57) lgkmcnt(0)
	v_mul_f64 v[191:192], v[2:3], v[149:150]
	v_mul_f64 v[148:149], v[4:5], v[149:150]
	s_waitcnt vmcnt(56)
	v_fma_f64 v[137:138], v[111:112], v[145:146], -v[137:138]
	ds_read_b128 v[107:110], v1 offset:1280
	v_fma_f64 v[133:134], v[113:114], v[145:146], v[133:134]
	v_add_f64 v[119:120], v[119:120], v[141:142]
	v_add_f64 v[6:7], v[6:7], v[135:136]
	s_clause 0x2
	buffer_load_dword v144, off, s[0:3], 0 offset:748
	buffer_load_dword v136, off, s[0:3], 0 offset:724
	;; [unrolled: 1-line block ×3, first 2 shown]
	ds_read_b128 v[111:114], v1 offset:1296
	s_waitcnt vmcnt(58) lgkmcnt(1)
	v_mul_f64 v[145:146], v[109:110], v[151:152]
	s_waitcnt vmcnt(56)
	v_fma_f64 v[149:150], v[2:3], v[155:156], -v[148:149]
	v_mul_f64 v[141:142], v[107:108], v[151:152]
	v_add_f64 v[119:120], v[119:120], v[137:138]
	v_fma_f64 v[137:138], v[4:5], v[155:156], v[191:192]
	v_add_f64 v[6:7], v[6:7], v[133:134]
	s_clause 0x4
	buffer_load_dword v134, off, s[0:3], 0 offset:764
	buffer_load_dword v151, off, s[0:3], 0 offset:776
	;; [unrolled: 1-line block ×5, first 2 shown]
	s_waitcnt vmcnt(57) lgkmcnt(0)
	v_mul_f64 v[191:192], v[111:112], v[157:158]
	v_mul_f64 v[156:157], v[113:114], v[157:158]
	s_waitcnt vmcnt(56)
	v_fma_f64 v[145:146], v[107:108], v[153:154], -v[145:146]
	ds_read_b128 v[2:5], v1 offset:1312
	v_fma_f64 v[141:142], v[109:110], v[153:154], v[141:142]
	v_add_f64 v[119:120], v[119:120], v[149:150]
	v_add_f64 v[6:7], v[6:7], v[137:138]
	s_clause 0x2
	buffer_load_dword v152, off, s[0:3], 0 offset:780
	buffer_load_dword v138, off, s[0:3], 0 offset:756
	;; [unrolled: 1-line block ×3, first 2 shown]
	ds_read_b128 v[107:110], v1 offset:1328
	s_waitcnt vmcnt(58) lgkmcnt(1)
	v_mul_f64 v[153:154], v[4:5], v[159:160]
	s_waitcnt vmcnt(56)
	v_fma_f64 v[157:158], v[111:112], v[163:164], -v[156:157]
	v_mul_f64 v[149:150], v[2:3], v[159:160]
	v_add_f64 v[119:120], v[119:120], v[145:146]
	v_fma_f64 v[145:146], v[113:114], v[163:164], v[191:192]
	v_add_f64 v[6:7], v[6:7], v[141:142]
	s_clause 0x2
	buffer_load_dword v142, off, s[0:3], 0 offset:796
	buffer_load_dword v141, off, s[0:3], 0 offset:792
	;; [unrolled: 1-line block ×3, first 2 shown]
	s_waitcnt vmcnt(55) lgkmcnt(0)
	v_mul_f64 v[163:164], v[109:110], v[165:166]
	s_waitcnt vmcnt(54)
	v_fma_f64 v[153:154], v[2:3], v[161:162], -v[153:154]
	ds_read_b128 v[111:114], v1 offset:1344
	v_mul_f64 v[159:160], v[107:108], v[165:166]
	v_fma_f64 v[149:150], v[4:5], v[161:162], v[149:150]
	v_add_f64 v[119:120], v[119:120], v[157:158]
	v_add_f64 v[6:7], v[6:7], v[145:146]
	s_clause 0x1
	buffer_load_dword v146, off, s[0:3], 0 offset:788
	buffer_load_dword v145, off, s[0:3], 0 offset:784
	s_waitcnt vmcnt(55) lgkmcnt(0)
	v_mul_f64 v[161:162], v[113:114], v[168:169]
	s_waitcnt vmcnt(53)
	v_fma_f64 v[163:164], v[107:108], v[172:173], -v[163:164]
	ds_read_b128 v[2:5], v1 offset:1360
	v_mul_f64 v[157:158], v[111:112], v[168:169]
	v_add_f64 v[119:120], v[119:120], v[153:154]
	v_fma_f64 v[153:154], v[109:110], v[172:173], v[159:160]
	v_add_f64 v[6:7], v[6:7], v[149:150]
	ds_read_b128 v[107:110], v1 offset:1376
	s_waitcnt vmcnt(49) lgkmcnt(1)
	v_mul_f64 v[159:160], v[4:5], v[176:177]
	s_waitcnt vmcnt(48)
	v_fma_f64 v[161:162], v[111:112], v[170:171], -v[161:162]
	v_mul_f64 v[149:150], v[2:3], v[176:177]
	v_fma_f64 v[157:158], v[113:114], v[170:171], v[157:158]
	v_add_f64 v[119:120], v[119:120], v[163:164]
	v_add_f64 v[6:7], v[6:7], v[153:154]
	s_clause 0x3
	buffer_load_dword v153, off, s[0:3], 0 offset:336
	buffer_load_dword v154, off, s[0:3], 0 offset:340
	;; [unrolled: 1-line block ×4, first 2 shown]
	ds_read_b128 v[111:114], v1 offset:1392
	s_waitcnt vmcnt(51) lgkmcnt(1)
	v_mul_f64 v[168:169], v[109:110], v[178:179]
	v_mul_f64 v[165:166], v[107:108], v[178:179]
	s_waitcnt vmcnt(49)
	v_fma_f64 v[159:160], v[2:3], v[117:118], -v[159:160]
	v_fma_f64 v[117:118], v[4:5], v[117:118], v[149:150]
	ds_read_b128 v[2:5], v1 offset:1408
	v_add_f64 v[119:120], v[119:120], v[161:162]
	v_add_f64 v[6:7], v[6:7], v[157:158]
	s_waitcnt vmcnt(45) lgkmcnt(1)
	v_mul_f64 v[149:150], v[111:112], v[121:122]
	v_mul_f64 v[121:122], v[113:114], v[121:122]
	s_waitcnt vmcnt(44)
	v_fma_f64 v[157:158], v[107:108], v[180:181], -v[168:169]
	v_add_f64 v[119:120], v[119:120], v[159:160]
	v_fma_f64 v[159:160], v[109:110], v[180:181], v[165:166]
	v_add_f64 v[6:7], v[6:7], v[117:118]
	ds_read_b128 v[107:110], v1 offset:1424
	s_waitcnt vmcnt(43) lgkmcnt(1)
	v_mul_f64 v[161:162], v[4:5], v[182:183]
	v_mul_f64 v[117:118], v[2:3], v[182:183]
	s_waitcnt vmcnt(41)
	v_fma_f64 v[121:122], v[111:112], v[115:116], -v[121:122]
	v_fma_f64 v[115:116], v[113:114], v[115:116], v[149:150]
	ds_read_b128 v[111:114], v1 offset:1440
	v_add_f64 v[119:120], v[119:120], v[157:158]
	v_add_f64 v[6:7], v[6:7], v[159:160]
	s_waitcnt vmcnt(37) lgkmcnt(1)
	v_mul_f64 v[149:150], v[107:108], v[129:130]
	v_mul_f64 v[129:130], v[109:110], v[129:130]
	s_waitcnt vmcnt(36)
	v_fma_f64 v[157:158], v[2:3], v[187:188], -v[161:162]
	v_fma_f64 v[117:118], v[4:5], v[187:188], v[117:118]
	ds_read_b128 v[2:5], v1 offset:1456
	v_add_f64 v[119:120], v[119:120], v[121:122]
	v_add_f64 v[6:7], v[6:7], v[115:116]
	;; [unrolled: 9-line block ×5, first 2 shown]
	s_waitcnt vmcnt(21) lgkmcnt(1)
	v_mul_f64 v[121:122], v[113:114], v[131:132]
	s_waitcnt vmcnt(20)
	v_fma_f64 v[125:126], v[107:108], v[184:185], -v[129:130]
	v_mul_f64 v[115:116], v[111:112], v[131:132]
	v_add_f64 v[119:120], v[119:120], v[123:124]
	v_fma_f64 v[123:124], v[109:110], v[184:185], v[127:128]
	v_add_f64 v[6:7], v[6:7], v[117:118]
	ds_read_b128 v[107:110], v1 offset:1520
	s_waitcnt vmcnt(19) lgkmcnt(1)
	v_mul_f64 v[127:128], v[4:5], v[143:144]
	v_mul_f64 v[117:118], v[2:3], v[143:144]
	s_waitcnt vmcnt(17)
	v_fma_f64 v[121:122], v[111:112], v[135:136], -v[121:122]
	v_fma_f64 v[115:116], v[113:114], v[135:136], v[115:116]
	ds_read_b128 v[111:114], v1 offset:1536
	v_add_f64 v[119:120], v[119:120], v[125:126]
	v_add_f64 v[6:7], v[6:7], v[123:124]
	s_waitcnt vmcnt(13) lgkmcnt(1)
	v_mul_f64 v[125:126], v[109:110], v[133:134]
	s_waitcnt vmcnt(12)
	v_fma_f64 v[127:128], v[2:3], v[147:148], -v[127:128]
	v_mul_f64 v[123:124], v[107:108], v[133:134]
	v_fma_f64 v[117:118], v[4:5], v[147:148], v[117:118]
	ds_read_b128 v[1:4], v1 offset:1552
	v_add_f64 v[119:120], v[119:120], v[121:122]
	v_add_f64 v[5:6], v[6:7], v[115:116]
	s_waitcnt vmcnt(11) lgkmcnt(1)
	v_mul_f64 v[115:116], v[113:114], v[151:152]
	v_mul_f64 v[7:8], v[111:112], v[151:152]
	s_waitcnt vmcnt(9)
	v_fma_f64 v[107:108], v[107:108], v[137:138], -v[125:126]
	v_fma_f64 v[109:110], v[109:110], v[137:138], v[123:124]
	v_add_f64 v[119:120], v[119:120], v[127:128]
	v_add_f64 v[5:6], v[5:6], v[117:118]
	s_waitcnt vmcnt(7) lgkmcnt(0)
	v_mul_f64 v[121:122], v[3:4], v[141:142]
	s_waitcnt vmcnt(6)
	v_fma_f64 v[111:112], v[111:112], v[155:156], -v[115:116]
	v_mul_f64 v[117:118], v[1:2], v[141:142]
	v_fma_f64 v[7:8], v[113:114], v[155:156], v[7:8]
	v_add_f64 v[107:108], v[119:120], v[107:108]
	v_add_f64 v[5:6], v[5:6], v[109:110]
	s_waitcnt vmcnt(4)
	v_fma_f64 v[1:2], v[1:2], v[145:146], -v[121:122]
	v_fma_f64 v[3:4], v[3:4], v[145:146], v[117:118]
	v_add_f64 v[107:108], v[107:108], v[111:112]
	v_add_f64 v[5:6], v[5:6], v[7:8]
	;; [unrolled: 1-line block ×4, first 2 shown]
	s_waitcnt vmcnt(2)
	v_add_f64 v[1:2], v[153:154], -v[1:2]
	s_waitcnt vmcnt(0)
	v_add_f64 v[3:4], v[163:164], -v[3:4]
	buffer_store_dword v2, off, s[0:3], 0 offset:340
	buffer_store_dword v1, off, s[0:3], 0 offset:336
	;; [unrolled: 1-line block ×4, first 2 shown]
	v_cmpx_lt_u32_e32 19, v0
	s_cbranch_execz .LBB112_269
; %bb.268:
	v_mov_b32_e32 v4, s42
	v_mov_b32_e32 v5, 0
	s_clause 0x3
	buffer_load_dword v1, v4, s[0:3], 0 offen
	buffer_load_dword v2, v4, s[0:3], 0 offen offset:4
	buffer_load_dword v3, v4, s[0:3], 0 offen offset:8
	;; [unrolled: 1-line block ×3, first 2 shown]
	buffer_store_dword v5, off, s[0:3], 0 offset:320
	buffer_store_dword v5, off, s[0:3], 0 offset:324
	;; [unrolled: 1-line block ×4, first 2 shown]
	s_waitcnt vmcnt(0)
	ds_write_b128 v167, v[1:4]
.LBB112_269:
	s_or_b32 exec_lo, exec_lo, s4
	s_waitcnt lgkmcnt(0)
	s_waitcnt_vscnt null, 0x0
	s_barrier
	buffer_gl0_inv
	s_clause 0x37
	buffer_load_dword v107, off, s[0:3], 0 offset:344
	buffer_load_dword v108, off, s[0:3], 0 offset:348
	;; [unrolled: 1-line block ×56, first 2 shown]
	v_mov_b32_e32 v109, 0
	s_mov_b32 s4, exec_lo
	ds_read_b128 v[5:8], v109 offset:1104
	s_clause 0x2
	buffer_load_dword v169, off, s[0:3], 0 offset:572
	buffer_load_dword v173, off, s[0:3], 0 offset:548
	;; [unrolled: 1-line block ×3, first 2 shown]
	ds_read_b128 v[110:113], v109 offset:1120
	s_clause 0x4
	buffer_load_dword v177, off, s[0:3], 0 offset:588
	buffer_load_dword v178, off, s[0:3], 0 offset:600
	;; [unrolled: 1-line block ×5, first 2 shown]
	ds_read_b128 v[114:117], v109 offset:1136
	s_waitcnt vmcnt(62) lgkmcnt(2)
	v_mul_f64 v[174:175], v[7:8], v[107:108]
	v_mul_f64 v[107:108], v[5:6], v[107:108]
	s_waitcnt vmcnt(60) lgkmcnt(1)
	v_mul_f64 v[181:182], v[112:113], v[118:119]
	v_mul_f64 v[118:119], v[110:111], v[118:119]
	;; [unrolled: 3-line block ×3, first 2 shown]
	v_fma_f64 v[174:175], v[5:6], v[120:121], -v[174:175]
	v_fma_f64 v[107:108], v[7:8], v[120:121], v[107:108]
	s_clause 0x2
	buffer_load_dword v179, off, s[0:3], 0 offset:604
	buffer_load_dword v121, off, s[0:3], 0 offset:580
	;; [unrolled: 1-line block ×3, first 2 shown]
	s_waitcnt vmcnt(57)
	v_fma_f64 v[110:111], v[110:111], v[1:2], -v[181:182]
	ds_read_b128 v[5:8], v109 offset:1152
	v_fma_f64 v[112:113], v[112:113], v[1:2], v[118:119]
	s_clause 0x4
	buffer_load_dword v119, off, s[0:3], 0 offset:620
	buffer_load_dword v182, off, s[0:3], 0 offset:632
	;; [unrolled: 1-line block ×5, first 2 shown]
	s_waitcnt vmcnt(56)
	v_fma_f64 v[114:115], v[114:115], v[128:129], -v[185:186]
	ds_read_b128 v[1:4], v109 offset:1168
	v_fma_f64 v[116:117], v[116:117], v[128:129], v[183:184]
	s_clause 0x2
	buffer_load_dword v183, off, s[0:3], 0 offset:636
	buffer_load_dword v129, off, s[0:3], 0 offset:612
	;; [unrolled: 1-line block ×3, first 2 shown]
	v_add_f64 v[174:175], v[174:175], 0
	v_add_f64 v[107:108], v[107:108], 0
	s_waitcnt lgkmcnt(1)
	v_mul_f64 v[188:189], v[5:6], v[122:123]
	v_mul_f64 v[122:123], v[7:8], v[122:123]
	s_waitcnt vmcnt(58) lgkmcnt(0)
	v_mul_f64 v[184:185], v[1:2], v[124:125]
	v_mul_f64 v[124:125], v[3:4], v[124:125]
	v_add_f64 v[174:175], v[174:175], v[110:111]
	v_add_f64 v[107:108], v[107:108], v[112:113]
	ds_read_b128 v[110:113], v109 offset:1184
	s_waitcnt vmcnt(56)
	v_fma_f64 v[122:123], v[5:6], v[130:131], -v[122:123]
	v_fma_f64 v[130:131], v[7:8], v[130:131], v[188:189]
	s_waitcnt vmcnt(51)
	v_fma_f64 v[124:125], v[1:2], v[126:127], -v[124:125]
	s_waitcnt lgkmcnt(0)
	v_mul_f64 v[190:191], v[110:111], v[132:133]
	v_add_f64 v[114:115], v[174:175], v[114:115]
	v_add_f64 v[107:108], v[107:108], v[116:117]
	s_clause 0x4
	buffer_load_dword v117, off, s[0:3], 0 offset:652
	buffer_load_dword v174, off, s[0:3], 0 offset:664
	;; [unrolled: 1-line block ×5, first 2 shown]
	v_mul_f64 v[132:133], v[112:113], v[132:133]
	ds_read_b128 v[5:8], v109 offset:1200
	v_add_f64 v[114:115], v[114:115], v[122:123]
	v_fma_f64 v[122:123], v[3:4], v[126:127], v[184:185]
	v_add_f64 v[107:108], v[107:108], v[130:131]
	s_clause 0x2
	buffer_load_dword v175, off, s[0:3], 0 offset:668
	buffer_load_dword v127, off, s[0:3], 0 offset:644
	;; [unrolled: 1-line block ×3, first 2 shown]
	s_waitcnt vmcnt(58) lgkmcnt(0)
	v_mul_f64 v[130:131], v[5:6], v[134:135]
	v_mul_f64 v[134:135], v[7:8], v[134:135]
	s_waitcnt vmcnt(56)
	v_fma_f64 v[132:133], v[110:111], v[138:139], -v[132:133]
	ds_read_b128 v[1:4], v109 offset:1216
	v_add_f64 v[114:115], v[114:115], v[124:125]
	v_fma_f64 v[124:125], v[112:113], v[138:139], v[190:191]
	v_add_f64 v[107:108], v[107:108], v[122:123]
	s_clause 0x4
	buffer_load_dword v123, off, s[0:3], 0 offset:684
	buffer_load_dword v138, off, s[0:3], 0 offset:696
	buffer_load_dword v184, off, s[0:3], 0 offset:688
	buffer_load_dword v122, off, s[0:3], 0 offset:680
	buffer_load_dword v190, off, s[0:3], 0 offset:660
	ds_read_b128 v[110:113], v109 offset:1232
	s_waitcnt vmcnt(57) lgkmcnt(1)
	v_mul_f64 v[185:186], v[1:2], v[140:141]
	v_mul_f64 v[140:141], v[3:4], v[140:141]
	s_waitcnt vmcnt(56)
	v_fma_f64 v[134:135], v[5:6], v[136:137], -v[134:135]
	v_fma_f64 v[130:131], v[7:8], v[136:137], v[130:131]
	v_add_f64 v[114:115], v[114:115], v[132:133]
	v_add_f64 v[107:108], v[107:108], v[124:125]
	s_clause 0x2
	buffer_load_dword v139, off, s[0:3], 0 offset:700
	buffer_load_dword v125, off, s[0:3], 0 offset:676
	buffer_load_dword v124, off, s[0:3], 0 offset:672
	s_waitcnt vmcnt(58) lgkmcnt(0)
	v_mul_f64 v[136:137], v[112:113], v[142:143]
	ds_read_b128 v[5:8], v109 offset:1248
	s_waitcnt vmcnt(56)
	v_fma_f64 v[140:141], v[1:2], v[146:147], -v[140:141]
	v_mul_f64 v[132:133], v[110:111], v[142:143]
	v_add_f64 v[114:115], v[114:115], v[134:135]
	v_fma_f64 v[134:135], v[3:4], v[146:147], v[185:186]
	v_add_f64 v[107:108], v[107:108], v[130:131]
	s_clause 0x4
	buffer_load_dword v131, off, s[0:3], 0 offset:716
	buffer_load_dword v142, off, s[0:3], 0 offset:728
	buffer_load_dword v146, off, s[0:3], 0 offset:720
	buffer_load_dword v130, off, s[0:3], 0 offset:712
	buffer_load_dword v185, off, s[0:3], 0 offset:692
	s_waitcnt vmcnt(57) lgkmcnt(0)
	v_mul_f64 v[191:192], v[5:6], v[148:149]
	v_mul_f64 v[147:148], v[7:8], v[148:149]
	s_waitcnt vmcnt(56)
	v_fma_f64 v[136:137], v[110:111], v[144:145], -v[136:137]
	ds_read_b128 v[1:4], v109 offset:1264
	v_fma_f64 v[132:133], v[112:113], v[144:145], v[132:133]
	v_add_f64 v[114:115], v[114:115], v[140:141]
	v_add_f64 v[107:108], v[107:108], v[134:135]
	s_clause 0x2
	buffer_load_dword v143, off, s[0:3], 0 offset:732
	buffer_load_dword v135, off, s[0:3], 0 offset:708
	buffer_load_dword v134, off, s[0:3], 0 offset:704
	ds_read_b128 v[110:113], v109 offset:1280
	s_waitcnt vmcnt(58) lgkmcnt(1)
	v_mul_f64 v[144:145], v[3:4], v[150:151]
	s_waitcnt vmcnt(56)
	v_fma_f64 v[148:149], v[5:6], v[154:155], -v[147:148]
	v_mul_f64 v[140:141], v[1:2], v[150:151]
	v_add_f64 v[114:115], v[114:115], v[136:137]
	v_fma_f64 v[136:137], v[7:8], v[154:155], v[191:192]
	v_add_f64 v[107:108], v[107:108], v[132:133]
	s_clause 0x4
	buffer_load_dword v133, off, s[0:3], 0 offset:748
	buffer_load_dword v150, off, s[0:3], 0 offset:760
	buffer_load_dword v154, off, s[0:3], 0 offset:752
	buffer_load_dword v132, off, s[0:3], 0 offset:744
	buffer_load_dword v147, off, s[0:3], 0 offset:724
	s_waitcnt vmcnt(57) lgkmcnt(0)
	v_mul_f64 v[191:192], v[110:111], v[156:157]
	v_mul_f64 v[155:156], v[112:113], v[156:157]
	s_waitcnt vmcnt(56)
	v_fma_f64 v[144:145], v[1:2], v[152:153], -v[144:145]
	ds_read_b128 v[5:8], v109 offset:1296
	v_fma_f64 v[140:141], v[3:4], v[152:153], v[140:141]
	v_add_f64 v[114:115], v[114:115], v[148:149]
	v_add_f64 v[107:108], v[107:108], v[136:137]
	s_clause 0x2
	buffer_load_dword v151, off, s[0:3], 0 offset:764
	buffer_load_dword v137, off, s[0:3], 0 offset:740
	buffer_load_dword v136, off, s[0:3], 0 offset:736
	ds_read_b128 v[1:4], v109 offset:1312
	s_waitcnt vmcnt(58) lgkmcnt(1)
	v_mul_f64 v[152:153], v[7:8], v[158:159]
	;; [unrolled: 28-line block ×3, first 2 shown]
	s_waitcnt vmcnt(56)
	v_fma_f64 v[164:165], v[1:2], v[172:173], -v[163:164]
	v_mul_f64 v[156:157], v[110:111], v[168:169]
	buffer_load_dword v163, off, s[0:3], 0 offset:788
	v_add_f64 v[114:115], v[114:115], v[152:153]
	v_fma_f64 v[152:153], v[3:4], v[172:173], v[191:192]
	v_add_f64 v[107:108], v[107:108], v[148:149]
	ds_read_b128 v[1:4], v109 offset:1360
	s_waitcnt vmcnt(53) lgkmcnt(1)
	v_mul_f64 v[168:169], v[7:8], v[176:177]
	s_waitcnt vmcnt(52)
	v_fma_f64 v[160:161], v[110:111], v[170:171], -v[160:161]
	v_mul_f64 v[148:149], v[5:6], v[176:177]
	v_fma_f64 v[156:157], v[112:113], v[170:171], v[156:157]
	ds_read_b128 v[110:113], v109 offset:1376
	v_add_f64 v[114:115], v[114:115], v[164:165]
	v_add_f64 v[107:108], v[107:108], v[152:153]
	s_waitcnt vmcnt(51) lgkmcnt(1)
	v_mul_f64 v[164:165], v[3:4], v[178:179]
	v_mul_f64 v[152:153], v[1:2], v[178:179]
	s_waitcnt vmcnt(49)
	v_fma_f64 v[168:169], v[5:6], v[120:121], -v[168:169]
	v_fma_f64 v[120:121], v[7:8], v[120:121], v[148:149]
	v_add_f64 v[114:115], v[114:115], v[160:161]
	s_waitcnt vmcnt(45) lgkmcnt(0)
	v_mul_f64 v[160:161], v[110:111], v[118:119]
	v_add_f64 v[107:108], v[107:108], v[156:157]
	s_clause 0x3
	buffer_load_dword v148, off, s[0:3], 0 offset:320
	buffer_load_dword v149, off, s[0:3], 0 offset:324
	;; [unrolled: 1-line block ×4, first 2 shown]
	v_mul_f64 v[118:119], v[112:113], v[118:119]
	ds_read_b128 v[5:8], v109 offset:1392
	s_waitcnt vmcnt(48)
	v_fma_f64 v[164:165], v[1:2], v[180:181], -v[164:165]
	v_fma_f64 v[152:153], v[3:4], v[180:181], v[152:153]
	ds_read_b128 v[1:4], v109 offset:1408
	v_add_f64 v[114:115], v[114:115], v[168:169]
	v_add_f64 v[107:108], v[107:108], v[120:121]
	s_waitcnt vmcnt(47) lgkmcnt(1)
	v_mul_f64 v[168:169], v[7:8], v[182:183]
	s_waitcnt vmcnt(45)
	v_fma_f64 v[118:119], v[110:111], v[128:129], -v[118:119]
	v_mul_f64 v[120:121], v[5:6], v[182:183]
	v_fma_f64 v[128:129], v[112:113], v[128:129], v[160:161]
	ds_read_b128 v[110:113], v109 offset:1424
	v_add_f64 v[114:115], v[114:115], v[164:165]
	v_add_f64 v[107:108], v[107:108], v[152:153]
	s_waitcnt vmcnt(41) lgkmcnt(1)
	v_mul_f64 v[152:153], v[1:2], v[116:117]
	v_mul_f64 v[116:117], v[3:4], v[116:117]
	s_waitcnt vmcnt(40)
	v_fma_f64 v[160:161], v[5:6], v[187:188], -v[168:169]
	v_add_f64 v[114:115], v[114:115], v[118:119]
	v_fma_f64 v[118:119], v[7:8], v[187:188], v[120:121]
	v_add_f64 v[107:108], v[107:108], v[128:129]
	ds_read_b128 v[5:8], v109 offset:1440
	s_waitcnt vmcnt(39) lgkmcnt(1)
	v_mul_f64 v[128:129], v[112:113], v[174:175]
	v_mul_f64 v[120:121], v[110:111], v[174:175]
	s_waitcnt vmcnt(37)
	v_fma_f64 v[116:117], v[1:2], v[126:127], -v[116:117]
	v_fma_f64 v[126:127], v[3:4], v[126:127], v[152:153]
	ds_read_b128 v[1:4], v109 offset:1456
	v_add_f64 v[114:115], v[114:115], v[160:161]
	v_add_f64 v[107:108], v[107:108], v[118:119]
	s_waitcnt vmcnt(33) lgkmcnt(1)
	v_mul_f64 v[118:119], v[5:6], v[122:123]
	v_mul_f64 v[122:123], v[7:8], v[122:123]
	s_waitcnt vmcnt(32)
	v_fma_f64 v[128:129], v[110:111], v[189:190], -v[128:129]
	v_add_f64 v[114:115], v[114:115], v[116:117]
	v_fma_f64 v[116:117], v[112:113], v[189:190], v[120:121]
	v_add_f64 v[107:108], v[107:108], v[126:127]
	ds_read_b128 v[110:113], v109 offset:1472
	s_waitcnt vmcnt(31) lgkmcnt(1)
	v_mul_f64 v[126:127], v[3:4], v[138:139]
	v_mul_f64 v[120:121], v[1:2], v[138:139]
	s_waitcnt vmcnt(29)
	v_fma_f64 v[122:123], v[5:6], v[124:125], -v[122:123]
	v_fma_f64 v[118:119], v[7:8], v[124:125], v[118:119]
	ds_read_b128 v[5:8], v109 offset:1488
	v_add_f64 v[114:115], v[114:115], v[128:129]
	v_add_f64 v[107:108], v[107:108], v[116:117]
	s_waitcnt vmcnt(25) lgkmcnt(1)
	v_mul_f64 v[124:125], v[112:113], v[130:131]
	s_waitcnt vmcnt(24)
	v_fma_f64 v[126:127], v[1:2], v[184:185], -v[126:127]
	v_mul_f64 v[116:117], v[110:111], v[130:131]
	v_fma_f64 v[120:121], v[3:4], v[184:185], v[120:121]
	ds_read_b128 v[1:4], v109 offset:1504
	v_add_f64 v[114:115], v[114:115], v[122:123]
	v_add_f64 v[107:108], v[107:108], v[118:119]
	s_waitcnt vmcnt(23) lgkmcnt(1)
	v_mul_f64 v[122:123], v[7:8], v[142:143]
	v_mul_f64 v[118:119], v[5:6], v[142:143]
	s_waitcnt vmcnt(21)
	v_fma_f64 v[124:125], v[110:111], v[134:135], -v[124:125]
	v_fma_f64 v[116:117], v[112:113], v[134:135], v[116:117]
	ds_read_b128 v[110:113], v109 offset:1520
	v_add_f64 v[114:115], v[114:115], v[126:127]
	v_add_f64 v[107:108], v[107:108], v[120:121]
	s_waitcnt vmcnt(17) lgkmcnt(1)
	v_mul_f64 v[126:127], v[3:4], v[132:133]
	s_waitcnt vmcnt(16)
	v_fma_f64 v[122:123], v[5:6], v[146:147], -v[122:123]
	v_mul_f64 v[120:121], v[1:2], v[132:133]
	v_fma_f64 v[118:119], v[7:8], v[146:147], v[118:119]
	ds_read_b128 v[5:8], v109 offset:1536
	v_add_f64 v[114:115], v[114:115], v[124:125]
	v_add_f64 v[107:108], v[107:108], v[116:117]
	s_waitcnt vmcnt(15) lgkmcnt(1)
	v_mul_f64 v[124:125], v[112:113], v[150:151]
	v_mul_f64 v[116:117], v[110:111], v[150:151]
	s_waitcnt vmcnt(13)
	v_fma_f64 v[126:127], v[1:2], v[136:137], -v[126:127]
	v_fma_f64 v[120:121], v[3:4], v[136:137], v[120:121]
	ds_read_b128 v[1:4], v109 offset:1552
	v_add_f64 v[114:115], v[114:115], v[122:123]
	v_add_f64 v[107:108], v[107:108], v[118:119]
	s_waitcnt vmcnt(9) lgkmcnt(1)
	v_mul_f64 v[122:123], v[7:8], v[140:141]
	s_waitcnt vmcnt(8)
	v_fma_f64 v[110:111], v[110:111], v[154:155], -v[124:125]
	v_mul_f64 v[118:119], v[5:6], v[140:141]
	v_fma_f64 v[112:113], v[112:113], v[154:155], v[116:117]
	v_add_f64 v[114:115], v[114:115], v[126:127]
	v_add_f64 v[107:108], v[107:108], v[120:121]
	s_waitcnt vmcnt(7) lgkmcnt(0)
	v_mul_f64 v[120:121], v[3:4], v[158:159]
	v_mul_f64 v[116:117], v[1:2], v[158:159]
	s_waitcnt vmcnt(5)
	v_fma_f64 v[5:6], v[5:6], v[144:145], -v[122:123]
	v_fma_f64 v[7:8], v[7:8], v[144:145], v[118:119]
	v_add_f64 v[110:111], v[114:115], v[110:111]
	v_add_f64 v[107:108], v[107:108], v[112:113]
	s_waitcnt vmcnt(4)
	v_fma_f64 v[1:2], v[1:2], v[162:163], -v[120:121]
	v_fma_f64 v[3:4], v[3:4], v[162:163], v[116:117]
	v_add_f64 v[5:6], v[110:111], v[5:6]
	v_add_f64 v[7:8], v[107:108], v[7:8]
	;; [unrolled: 1-line block ×4, first 2 shown]
	s_waitcnt vmcnt(2)
	v_add_f64 v[1:2], v[148:149], -v[1:2]
	s_waitcnt vmcnt(0)
	v_add_f64 v[3:4], v[156:157], -v[3:4]
	buffer_store_dword v2, off, s[0:3], 0 offset:324
	buffer_store_dword v1, off, s[0:3], 0 offset:320
	buffer_store_dword v4, off, s[0:3], 0 offset:332
	buffer_store_dword v3, off, s[0:3], 0 offset:328
	v_cmpx_lt_u32_e32 18, v0
	s_cbranch_execz .LBB112_271
; %bb.270:
	v_mov_b32_e32 v4, s43
	s_clause 0x3
	buffer_load_dword v1, v4, s[0:3], 0 offen
	buffer_load_dword v2, v4, s[0:3], 0 offen offset:4
	buffer_load_dword v3, v4, s[0:3], 0 offen offset:8
	;; [unrolled: 1-line block ×3, first 2 shown]
	buffer_store_dword v109, off, s[0:3], 0 offset:304
	buffer_store_dword v109, off, s[0:3], 0 offset:308
	;; [unrolled: 1-line block ×4, first 2 shown]
	s_waitcnt vmcnt(0)
	ds_write_b128 v167, v[1:4]
.LBB112_271:
	s_or_b32 exec_lo, exec_lo, s4
	s_waitcnt lgkmcnt(0)
	s_waitcnt_vscnt null, 0x0
	s_barrier
	buffer_gl0_inv
	s_clause 0x37
	buffer_load_dword v107, off, s[0:3], 0 offset:328
	buffer_load_dword v108, off, s[0:3], 0 offset:332
	;; [unrolled: 1-line block ×56, first 2 shown]
	ds_read_b128 v[110:113], v109 offset:1088
	s_clause 0x2
	buffer_load_dword v169, off, s[0:3], 0 offset:556
	buffer_load_dword v173, off, s[0:3], 0 offset:532
	buffer_load_dword v172, off, s[0:3], 0 offset:528
	ds_read_b128 v[114:117], v109 offset:1104
	s_clause 0x4
	buffer_load_dword v177, off, s[0:3], 0 offset:572
	buffer_load_dword v178, off, s[0:3], 0 offset:584
	;; [unrolled: 1-line block ×5, first 2 shown]
	ds_read_b128 v[118:121], v109 offset:1120
	s_clause 0x2
	buffer_load_dword v179, off, s[0:3], 0 offset:588
	buffer_load_dword v184, off, s[0:3], 0 offset:564
	;; [unrolled: 1-line block ×3, first 2 shown]
	s_mov_b32 s4, exec_lo
	s_waitcnt vmcnt(62) lgkmcnt(2)
	v_mul_f64 v[174:175], v[112:113], v[107:108]
	v_mul_f64 v[107:108], v[110:111], v[107:108]
	s_waitcnt lgkmcnt(1)
	v_mul_f64 v[181:182], v[116:117], v[5:6]
	s_waitcnt vmcnt(59) lgkmcnt(0)
	v_mul_f64 v[185:186], v[120:121], v[3:4]
	v_fma_f64 v[110:111], v[110:111], v[7:8], -v[174:175]
	v_mul_f64 v[174:175], v[114:115], v[5:6]
	v_fma_f64 v[107:108], v[112:113], v[7:8], v[107:108]
	s_waitcnt vmcnt(57)
	v_fma_f64 v[114:115], v[114:115], v[1:2], -v[181:182]
	ds_read_b128 v[5:8], v109 offset:1136
	v_mul_f64 v[112:113], v[118:119], v[3:4]
	s_waitcnt vmcnt(51)
	v_fma_f64 v[118:119], v[118:119], v[128:129], -v[185:186]
	v_add_f64 v[110:111], v[110:111], 0
	v_fma_f64 v[116:117], v[116:117], v[1:2], v[174:175]
	v_add_f64 v[107:108], v[107:108], 0
	s_clause 0x4
	buffer_load_dword v175, off, s[0:3], 0 offset:604
	buffer_load_dword v187, off, s[0:3], 0 offset:616
	;; [unrolled: 1-line block ×5, first 2 shown]
	s_waitcnt lgkmcnt(0)
	v_mul_f64 v[190:191], v[5:6], v[122:123]
	v_mul_f64 v[122:123], v[7:8], v[122:123]
	ds_read_b128 v[1:4], v109 offset:1152
	v_fma_f64 v[120:121], v[120:121], v[128:129], v[112:113]
	v_add_f64 v[114:115], v[110:111], v[114:115]
	v_add_f64 v[107:108], v[107:108], v[116:117]
	s_clause 0x2
	buffer_load_dword v188, off, s[0:3], 0 offset:620
	buffer_load_dword v117, off, s[0:3], 0 offset:596
	;; [unrolled: 1-line block ×3, first 2 shown]
	s_waitcnt vmcnt(58) lgkmcnt(0)
	v_mul_f64 v[128:129], v[1:2], v[124:125]
	v_mul_f64 v[124:125], v[3:4], v[124:125]
	s_waitcnt vmcnt(56)
	v_fma_f64 v[122:123], v[5:6], v[130:131], -v[122:123]
	ds_read_b128 v[110:113], v109 offset:1168
	v_add_f64 v[114:115], v[114:115], v[118:119]
	v_fma_f64 v[118:119], v[7:8], v[130:131], v[190:191]
	v_add_f64 v[107:108], v[107:108], v[120:121]
	s_clause 0x4
	buffer_load_dword v121, off, s[0:3], 0 offset:636
	buffer_load_dword v130, off, s[0:3], 0 offset:648
	;; [unrolled: 1-line block ×5, first 2 shown]
	ds_read_b128 v[5:8], v109 offset:1184
	s_waitcnt vmcnt(57) lgkmcnt(1)
	v_mul_f64 v[191:192], v[110:111], v[132:133]
	v_mul_f64 v[132:133], v[112:113], v[132:133]
	s_waitcnt vmcnt(56)
	v_fma_f64 v[124:125], v[1:2], v[126:127], -v[124:125]
	v_add_f64 v[114:115], v[114:115], v[122:123]
	v_fma_f64 v[122:123], v[3:4], v[126:127], v[128:129]
	v_add_f64 v[107:108], v[107:108], v[118:119]
	s_clause 0x2
	buffer_load_dword v131, off, s[0:3], 0 offset:652
	buffer_load_dword v119, off, s[0:3], 0 offset:628
	;; [unrolled: 1-line block ×3, first 2 shown]
	s_waitcnt vmcnt(58) lgkmcnt(0)
	v_mul_f64 v[128:129], v[7:8], v[134:135]
	ds_read_b128 v[1:4], v109 offset:1200
	s_waitcnt vmcnt(56)
	v_fma_f64 v[132:133], v[110:111], v[138:139], -v[132:133]
	v_mul_f64 v[126:127], v[5:6], v[134:135]
	v_add_f64 v[114:115], v[114:115], v[124:125]
	v_fma_f64 v[124:125], v[112:113], v[138:139], v[191:192]
	v_add_f64 v[107:108], v[107:108], v[122:123]
	s_clause 0x4
	buffer_load_dword v123, off, s[0:3], 0 offset:668
	buffer_load_dword v134, off, s[0:3], 0 offset:680
	buffer_load_dword v138, off, s[0:3], 0 offset:672
	buffer_load_dword v122, off, s[0:3], 0 offset:664
	buffer_load_dword v186, off, s[0:3], 0 offset:644
	s_waitcnt vmcnt(57) lgkmcnt(0)
	v_mul_f64 v[191:192], v[1:2], v[140:141]
	v_mul_f64 v[139:140], v[3:4], v[140:141]
	s_waitcnt vmcnt(56)
	v_fma_f64 v[128:129], v[5:6], v[136:137], -v[128:129]
	ds_read_b128 v[110:113], v109 offset:1216
	v_fma_f64 v[126:127], v[7:8], v[136:137], v[126:127]
	v_add_f64 v[114:115], v[114:115], v[132:133]
	v_add_f64 v[107:108], v[107:108], v[124:125]
	s_clause 0x2
	buffer_load_dword v135, off, s[0:3], 0 offset:684
	buffer_load_dword v125, off, s[0:3], 0 offset:660
	buffer_load_dword v124, off, s[0:3], 0 offset:656
	ds_read_b128 v[5:8], v109 offset:1232
	s_waitcnt vmcnt(58) lgkmcnt(1)
	v_mul_f64 v[136:137], v[112:113], v[142:143]
	s_waitcnt vmcnt(56)
	v_fma_f64 v[140:141], v[1:2], v[146:147], -v[139:140]
	v_mul_f64 v[132:133], v[110:111], v[142:143]
	v_add_f64 v[114:115], v[114:115], v[128:129]
	v_fma_f64 v[128:129], v[3:4], v[146:147], v[191:192]
	v_add_f64 v[107:108], v[107:108], v[126:127]
	s_clause 0x4
	buffer_load_dword v127, off, s[0:3], 0 offset:700
	buffer_load_dword v142, off, s[0:3], 0 offset:712
	buffer_load_dword v146, off, s[0:3], 0 offset:704
	buffer_load_dword v126, off, s[0:3], 0 offset:696
	buffer_load_dword v139, off, s[0:3], 0 offset:676
	s_waitcnt vmcnt(57) lgkmcnt(0)
	v_mul_f64 v[191:192], v[5:6], v[148:149]
	v_mul_f64 v[147:148], v[7:8], v[148:149]
	s_waitcnt vmcnt(56)
	v_fma_f64 v[136:137], v[110:111], v[144:145], -v[136:137]
	ds_read_b128 v[1:4], v109 offset:1248
	v_fma_f64 v[132:133], v[112:113], v[144:145], v[132:133]
	v_add_f64 v[114:115], v[114:115], v[140:141]
	v_add_f64 v[107:108], v[107:108], v[128:129]
	s_clause 0x2
	buffer_load_dword v143, off, s[0:3], 0 offset:716
	buffer_load_dword v129, off, s[0:3], 0 offset:692
	buffer_load_dword v128, off, s[0:3], 0 offset:688
	ds_read_b128 v[110:113], v109 offset:1264
	s_waitcnt vmcnt(58) lgkmcnt(1)
	v_mul_f64 v[144:145], v[3:4], v[150:151]
	s_waitcnt vmcnt(56)
	v_fma_f64 v[148:149], v[5:6], v[154:155], -v[147:148]
	v_mul_f64 v[140:141], v[1:2], v[150:151]
	v_add_f64 v[114:115], v[114:115], v[136:137]
	v_fma_f64 v[136:137], v[7:8], v[154:155], v[191:192]
	v_add_f64 v[107:108], v[107:108], v[132:133]
	s_clause 0x4
	buffer_load_dword v133, off, s[0:3], 0 offset:732
	buffer_load_dword v150, off, s[0:3], 0 offset:744
	buffer_load_dword v154, off, s[0:3], 0 offset:736
	buffer_load_dword v132, off, s[0:3], 0 offset:728
	buffer_load_dword v147, off, s[0:3], 0 offset:708
	s_waitcnt vmcnt(57) lgkmcnt(0)
	v_mul_f64 v[191:192], v[110:111], v[156:157]
	v_mul_f64 v[155:156], v[112:113], v[156:157]
	s_waitcnt vmcnt(56)
	v_fma_f64 v[144:145], v[1:2], v[152:153], -v[144:145]
	ds_read_b128 v[5:8], v109 offset:1280
	v_fma_f64 v[140:141], v[3:4], v[152:153], v[140:141]
	v_add_f64 v[114:115], v[114:115], v[148:149]
	v_add_f64 v[107:108], v[107:108], v[136:137]
	s_clause 0x2
	buffer_load_dword v151, off, s[0:3], 0 offset:748
	buffer_load_dword v137, off, s[0:3], 0 offset:724
	buffer_load_dword v136, off, s[0:3], 0 offset:720
	ds_read_b128 v[1:4], v109 offset:1296
	s_waitcnt vmcnt(58) lgkmcnt(1)
	v_mul_f64 v[152:153], v[7:8], v[158:159]
	s_waitcnt vmcnt(56)
	v_fma_f64 v[156:157], v[110:111], v[162:163], -v[155:156]
	v_mul_f64 v[148:149], v[5:6], v[158:159]
	v_add_f64 v[114:115], v[114:115], v[144:145]
	v_fma_f64 v[144:145], v[112:113], v[162:163], v[191:192]
	v_add_f64 v[107:108], v[107:108], v[140:141]
	s_clause 0x4
	buffer_load_dword v141, off, s[0:3], 0 offset:764
	buffer_load_dword v158, off, s[0:3], 0 offset:776
	buffer_load_dword v162, off, s[0:3], 0 offset:768
	buffer_load_dword v140, off, s[0:3], 0 offset:760
	buffer_load_dword v155, off, s[0:3], 0 offset:740
	s_waitcnt vmcnt(57) lgkmcnt(0)
	v_mul_f64 v[191:192], v[1:2], v[164:165]
	v_mul_f64 v[163:164], v[3:4], v[164:165]
	s_waitcnt vmcnt(56)
	v_fma_f64 v[152:153], v[5:6], v[160:161], -v[152:153]
	ds_read_b128 v[110:113], v109 offset:1312
	v_fma_f64 v[148:149], v[7:8], v[160:161], v[148:149]
	v_add_f64 v[114:115], v[114:115], v[156:157]
	v_add_f64 v[107:108], v[107:108], v[144:145]
	s_clause 0x2
	buffer_load_dword v159, off, s[0:3], 0 offset:780
	buffer_load_dword v145, off, s[0:3], 0 offset:756
	buffer_load_dword v144, off, s[0:3], 0 offset:752
	ds_read_b128 v[5:8], v109 offset:1328
	s_waitcnt vmcnt(58) lgkmcnt(1)
	v_mul_f64 v[160:161], v[112:113], v[168:169]
	s_waitcnt vmcnt(56)
	v_fma_f64 v[164:165], v[1:2], v[172:173], -v[163:164]
	v_mul_f64 v[156:157], v[110:111], v[168:169]
	v_add_f64 v[114:115], v[114:115], v[152:153]
	v_fma_f64 v[152:153], v[3:4], v[172:173], v[191:192]
	v_add_f64 v[107:108], v[107:108], v[148:149]
	s_clause 0x2
	buffer_load_dword v149, off, s[0:3], 0 offset:796
	buffer_load_dword v148, off, s[0:3], 0 offset:792
	;; [unrolled: 1-line block ×3, first 2 shown]
	s_waitcnt vmcnt(55) lgkmcnt(0)
	v_mul_f64 v[172:173], v[7:8], v[176:177]
	s_waitcnt vmcnt(54)
	v_fma_f64 v[160:161], v[110:111], v[170:171], -v[160:161]
	ds_read_b128 v[1:4], v109 offset:1344
	v_mul_f64 v[168:169], v[5:6], v[176:177]
	v_fma_f64 v[156:157], v[112:113], v[170:171], v[156:157]
	v_add_f64 v[114:115], v[114:115], v[164:165]
	v_add_f64 v[107:108], v[107:108], v[152:153]
	s_clause 0x1
	buffer_load_dword v153, off, s[0:3], 0 offset:788
	buffer_load_dword v152, off, s[0:3], 0 offset:784
	s_waitcnt vmcnt(55) lgkmcnt(0)
	v_mul_f64 v[170:171], v[3:4], v[178:179]
	s_waitcnt vmcnt(53)
	v_fma_f64 v[172:173], v[5:6], v[183:184], -v[172:173]
	ds_read_b128 v[110:113], v109 offset:1360
	v_mul_f64 v[164:165], v[1:2], v[178:179]
	v_add_f64 v[114:115], v[114:115], v[160:161]
	v_fma_f64 v[160:161], v[7:8], v[183:184], v[168:169]
	v_add_f64 v[107:108], v[107:108], v[156:157]
	ds_read_b128 v[5:8], v109 offset:1376
	s_waitcnt vmcnt(49) lgkmcnt(1)
	v_mul_f64 v[168:169], v[112:113], v[174:175]
	s_waitcnt vmcnt(48)
	v_fma_f64 v[170:171], v[1:2], v[180:181], -v[170:171]
	v_mul_f64 v[156:157], v[110:111], v[174:175]
	v_fma_f64 v[164:165], v[3:4], v[180:181], v[164:165]
	v_add_f64 v[114:115], v[114:115], v[172:173]
	v_add_f64 v[107:108], v[107:108], v[160:161]
	s_clause 0x3
	buffer_load_dword v160, off, s[0:3], 0 offset:304
	buffer_load_dword v161, off, s[0:3], 0 offset:308
	;; [unrolled: 1-line block ×4, first 2 shown]
	ds_read_b128 v[1:4], v109 offset:1392
	s_waitcnt vmcnt(51) lgkmcnt(1)
	v_mul_f64 v[176:177], v[7:8], v[187:188]
	v_mul_f64 v[174:175], v[5:6], v[187:188]
	s_waitcnt vmcnt(49)
	v_fma_f64 v[168:169], v[110:111], v[116:117], -v[168:169]
	v_fma_f64 v[116:117], v[112:113], v[116:117], v[156:157]
	ds_read_b128 v[110:113], v109 offset:1408
	v_add_f64 v[114:115], v[114:115], v[170:171]
	v_add_f64 v[107:108], v[107:108], v[164:165]
	s_waitcnt vmcnt(45) lgkmcnt(1)
	v_mul_f64 v[156:157], v[1:2], v[120:121]
	v_mul_f64 v[120:121], v[3:4], v[120:121]
	s_waitcnt vmcnt(44)
	v_fma_f64 v[164:165], v[5:6], v[189:190], -v[176:177]
	v_add_f64 v[114:115], v[114:115], v[168:169]
	v_fma_f64 v[168:169], v[7:8], v[189:190], v[174:175]
	v_add_f64 v[107:108], v[107:108], v[116:117]
	ds_read_b128 v[5:8], v109 offset:1424
	s_waitcnt vmcnt(43) lgkmcnt(1)
	v_mul_f64 v[116:117], v[110:111], v[130:131]
	v_mul_f64 v[130:131], v[112:113], v[130:131]
	s_waitcnt vmcnt(41)
	v_fma_f64 v[120:121], v[1:2], v[118:119], -v[120:121]
	v_fma_f64 v[118:119], v[3:4], v[118:119], v[156:157]
	ds_read_b128 v[1:4], v109 offset:1440
	v_add_f64 v[114:115], v[114:115], v[164:165]
	v_add_f64 v[107:108], v[107:108], v[168:169]
	s_waitcnt vmcnt(37) lgkmcnt(1)
	v_mul_f64 v[156:157], v[5:6], v[122:123]
	v_mul_f64 v[122:123], v[7:8], v[122:123]
	s_waitcnt vmcnt(36)
	v_fma_f64 v[130:131], v[110:111], v[185:186], -v[130:131]
	v_fma_f64 v[116:117], v[112:113], v[185:186], v[116:117]
	ds_read_b128 v[110:113], v109 offset:1456
	v_add_f64 v[114:115], v[114:115], v[120:121]
	v_add_f64 v[107:108], v[107:108], v[118:119]
	;; [unrolled: 9-line block ×5, first 2 shown]
	s_waitcnt vmcnt(21) lgkmcnt(1)
	v_mul_f64 v[120:121], v[3:4], v[132:133]
	s_waitcnt vmcnt(20)
	v_fma_f64 v[124:125], v[5:6], v[146:147], -v[124:125]
	v_mul_f64 v[118:119], v[1:2], v[132:133]
	v_fma_f64 v[122:123], v[7:8], v[146:147], v[122:123]
	ds_read_b128 v[5:8], v109 offset:1520
	v_add_f64 v[114:115], v[114:115], v[126:127]
	v_add_f64 v[107:108], v[107:108], v[116:117]
	s_waitcnt vmcnt(19) lgkmcnt(1)
	v_mul_f64 v[126:127], v[112:113], v[150:151]
	v_mul_f64 v[116:117], v[110:111], v[150:151]
	s_waitcnt vmcnt(17)
	v_fma_f64 v[120:121], v[1:2], v[136:137], -v[120:121]
	v_fma_f64 v[118:119], v[3:4], v[136:137], v[118:119]
	ds_read_b128 v[1:4], v109 offset:1536
	v_add_f64 v[114:115], v[114:115], v[124:125]
	v_add_f64 v[107:108], v[107:108], v[122:123]
	s_waitcnt vmcnt(13) lgkmcnt(1)
	v_mul_f64 v[124:125], v[7:8], v[140:141]
	s_waitcnt vmcnt(12)
	v_fma_f64 v[126:127], v[110:111], v[154:155], -v[126:127]
	v_mul_f64 v[122:123], v[5:6], v[140:141]
	v_fma_f64 v[111:112], v[112:113], v[154:155], v[116:117]
	v_add_f64 v[114:115], v[114:115], v[120:121]
	v_add_f64 v[116:117], v[107:108], v[118:119]
	ds_read_b128 v[107:110], v109 offset:1552
	s_waitcnt vmcnt(11) lgkmcnt(1)
	v_mul_f64 v[120:121], v[3:4], v[158:159]
	v_mul_f64 v[118:119], v[1:2], v[158:159]
	s_waitcnt vmcnt(9)
	v_fma_f64 v[5:6], v[5:6], v[144:145], -v[124:125]
	v_fma_f64 v[7:8], v[7:8], v[144:145], v[122:123]
	v_add_f64 v[113:114], v[114:115], v[126:127]
	v_add_f64 v[111:112], v[116:117], v[111:112]
	s_waitcnt vmcnt(7) lgkmcnt(0)
	v_mul_f64 v[122:123], v[109:110], v[148:149]
	s_waitcnt vmcnt(6)
	v_fma_f64 v[1:2], v[1:2], v[162:163], -v[120:121]
	v_mul_f64 v[115:116], v[107:108], v[148:149]
	v_fma_f64 v[3:4], v[3:4], v[162:163], v[118:119]
	v_add_f64 v[5:6], v[113:114], v[5:6]
	v_add_f64 v[7:8], v[111:112], v[7:8]
	s_waitcnt vmcnt(4)
	v_fma_f64 v[107:108], v[107:108], v[152:153], -v[122:123]
	v_add_f64 v[1:2], v[5:6], v[1:2]
	v_fma_f64 v[5:6], v[109:110], v[152:153], v[115:116]
	v_add_f64 v[3:4], v[7:8], v[3:4]
	v_add_f64 v[1:2], v[1:2], v[107:108]
	;; [unrolled: 1-line block ×3, first 2 shown]
	s_waitcnt vmcnt(2)
	v_add_f64 v[1:2], v[160:161], -v[1:2]
	s_waitcnt vmcnt(0)
	v_add_f64 v[3:4], v[172:173], -v[3:4]
	buffer_store_dword v2, off, s[0:3], 0 offset:308
	buffer_store_dword v1, off, s[0:3], 0 offset:304
	;; [unrolled: 1-line block ×4, first 2 shown]
	v_cmpx_lt_u32_e32 17, v0
	s_cbranch_execz .LBB112_273
; %bb.272:
	v_mov_b32_e32 v4, s44
	v_mov_b32_e32 v5, 0
	s_clause 0x3
	buffer_load_dword v1, v4, s[0:3], 0 offen
	buffer_load_dword v2, v4, s[0:3], 0 offen offset:4
	buffer_load_dword v3, v4, s[0:3], 0 offen offset:8
	;; [unrolled: 1-line block ×3, first 2 shown]
	buffer_store_dword v5, off, s[0:3], 0 offset:288
	buffer_store_dword v5, off, s[0:3], 0 offset:292
	;; [unrolled: 1-line block ×4, first 2 shown]
	s_waitcnt vmcnt(0)
	ds_write_b128 v167, v[1:4]
.LBB112_273:
	s_or_b32 exec_lo, exec_lo, s4
	s_waitcnt lgkmcnt(0)
	s_waitcnt_vscnt null, 0x0
	s_barrier
	buffer_gl0_inv
	s_clause 0x37
	buffer_load_dword v107, off, s[0:3], 0 offset:312
	buffer_load_dword v108, off, s[0:3], 0 offset:316
	;; [unrolled: 1-line block ×56, first 2 shown]
	v_mov_b32_e32 v127, 0
	s_mov_b32 s4, exec_lo
	ds_read_b128 v[115:118], v127 offset:1072
	s_clause 0x2
	buffer_load_dword v169, off, s[0:3], 0 offset:540
	buffer_load_dword v173, off, s[0:3], 0 offset:516
	;; [unrolled: 1-line block ×3, first 2 shown]
	ds_read_b128 v[119:122], v127 offset:1088
	s_clause 0x4
	buffer_load_dword v177, off, s[0:3], 0 offset:556
	buffer_load_dword v178, off, s[0:3], 0 offset:568
	buffer_load_dword v180, off, s[0:3], 0 offset:560
	buffer_load_dword v176, off, s[0:3], 0 offset:552
	buffer_load_dword v171, off, s[0:3], 0 offset:532
	ds_read_b128 v[123:126], v127 offset:1104
	s_clause 0x2
	buffer_load_dword v179, off, s[0:3], 0 offset:572
	buffer_load_dword v184, off, s[0:3], 0 offset:548
	;; [unrolled: 1-line block ×3, first 2 shown]
	s_waitcnt vmcnt(62) lgkmcnt(2)
	v_mul_f64 v[174:175], v[117:118], v[107:108]
	v_mul_f64 v[107:108], v[115:116], v[107:108]
	s_waitcnt lgkmcnt(1)
	v_mul_f64 v[181:182], v[121:122], v[5:6]
	s_waitcnt vmcnt(59) lgkmcnt(0)
	v_mul_f64 v[185:186], v[125:126], v[3:4]
	v_fma_f64 v[115:116], v[115:116], v[7:8], -v[174:175]
	v_mul_f64 v[174:175], v[119:120], v[5:6]
	v_fma_f64 v[107:108], v[117:118], v[7:8], v[107:108]
	s_waitcnt vmcnt(57)
	v_fma_f64 v[119:120], v[119:120], v[1:2], -v[181:182]
	ds_read_b128 v[5:8], v127 offset:1120
	v_mul_f64 v[117:118], v[123:124], v[3:4]
	s_waitcnt vmcnt(51)
	v_fma_f64 v[123:124], v[123:124], v[130:131], -v[185:186]
	v_add_f64 v[115:116], v[115:116], 0
	v_fma_f64 v[121:122], v[121:122], v[1:2], v[174:175]
	v_add_f64 v[107:108], v[107:108], 0
	s_clause 0x4
	buffer_load_dword v175, off, s[0:3], 0 offset:588
	buffer_load_dword v187, off, s[0:3], 0 offset:600
	;; [unrolled: 1-line block ×5, first 2 shown]
	s_waitcnt lgkmcnt(0)
	v_mul_f64 v[190:191], v[5:6], v[111:112]
	v_mul_f64 v[111:112], v[7:8], v[111:112]
	ds_read_b128 v[1:4], v127 offset:1136
	v_fma_f64 v[125:126], v[125:126], v[130:131], v[117:118]
	v_add_f64 v[119:120], v[115:116], v[119:120]
	v_add_f64 v[107:108], v[107:108], v[121:122]
	s_clause 0x2
	buffer_load_dword v188, off, s[0:3], 0 offset:604
	buffer_load_dword v122, off, s[0:3], 0 offset:580
	;; [unrolled: 1-line block ×3, first 2 shown]
	s_waitcnt vmcnt(58) lgkmcnt(0)
	v_mul_f64 v[130:131], v[1:2], v[128:129]
	v_mul_f64 v[128:129], v[3:4], v[128:129]
	s_waitcnt vmcnt(56)
	v_fma_f64 v[111:112], v[5:6], v[132:133], -v[111:112]
	ds_read_b128 v[115:118], v127 offset:1152
	v_add_f64 v[119:120], v[119:120], v[123:124]
	v_fma_f64 v[123:124], v[7:8], v[132:133], v[190:191]
	v_add_f64 v[107:108], v[107:108], v[125:126]
	s_clause 0x4
	buffer_load_dword v126, off, s[0:3], 0 offset:620
	buffer_load_dword v132, off, s[0:3], 0 offset:632
	;; [unrolled: 1-line block ×5, first 2 shown]
	ds_read_b128 v[5:8], v127 offset:1168
	s_waitcnt vmcnt(57) lgkmcnt(1)
	v_mul_f64 v[191:192], v[115:116], v[134:135]
	v_mul_f64 v[134:135], v[117:118], v[134:135]
	s_waitcnt vmcnt(56)
	v_fma_f64 v[128:129], v[1:2], v[109:110], -v[128:129]
	v_fma_f64 v[109:110], v[3:4], v[109:110], v[130:131]
	v_add_f64 v[111:112], v[119:120], v[111:112]
	s_clause 0x2
	buffer_load_dword v133, off, s[0:3], 0 offset:636
	buffer_load_dword v120, off, s[0:3], 0 offset:612
	;; [unrolled: 1-line block ×3, first 2 shown]
	v_add_f64 v[107:108], v[107:108], v[123:124]
	s_waitcnt vmcnt(58) lgkmcnt(0)
	v_mul_f64 v[130:131], v[7:8], v[136:137]
	ds_read_b128 v[1:4], v127 offset:1184
	v_mul_f64 v[123:124], v[5:6], v[136:137]
	s_waitcnt vmcnt(56)
	v_fma_f64 v[115:116], v[115:116], v[138:139], -v[134:135]
	v_fma_f64 v[117:118], v[117:118], v[138:139], v[191:192]
	s_clause 0x4
	buffer_load_dword v135, off, s[0:3], 0 offset:652
	buffer_load_dword v136, off, s[0:3], 0 offset:664
	;; [unrolled: 1-line block ×5, first 2 shown]
	v_add_f64 v[111:112], v[111:112], v[128:129]
	v_add_f64 v[128:129], v[107:108], v[109:110]
	s_waitcnt vmcnt(57) lgkmcnt(0)
	v_mul_f64 v[191:192], v[1:2], v[140:141]
	v_mul_f64 v[139:140], v[3:4], v[140:141]
	s_waitcnt vmcnt(56)
	v_fma_f64 v[130:131], v[5:6], v[113:114], -v[130:131]
	ds_read_b128 v[107:110], v127 offset:1200
	v_fma_f64 v[113:114], v[7:8], v[113:114], v[123:124]
	v_add_f64 v[111:112], v[111:112], v[115:116]
	v_add_f64 v[115:116], v[128:129], v[117:118]
	s_clause 0x2
	buffer_load_dword v137, off, s[0:3], 0 offset:668
	buffer_load_dword v118, off, s[0:3], 0 offset:644
	;; [unrolled: 1-line block ×3, first 2 shown]
	s_waitcnt vmcnt(58) lgkmcnt(0)
	v_mul_f64 v[128:129], v[109:110], v[142:143]
	s_waitcnt vmcnt(56)
	v_fma_f64 v[140:141], v[1:2], v[146:147], -v[139:140]
	ds_read_b128 v[5:8], v127 offset:1216
	v_mul_f64 v[123:124], v[107:108], v[142:143]
	v_add_f64 v[111:112], v[111:112], v[130:131]
	v_fma_f64 v[130:131], v[3:4], v[146:147], v[191:192]
	v_add_f64 v[113:114], v[115:116], v[113:114]
	s_clause 0x4
	buffer_load_dword v116, off, s[0:3], 0 offset:684
	buffer_load_dword v142, off, s[0:3], 0 offset:696
	buffer_load_dword v146, off, s[0:3], 0 offset:688
	buffer_load_dword v115, off, s[0:3], 0 offset:680
	buffer_load_dword v139, off, s[0:3], 0 offset:660
	s_waitcnt vmcnt(57) lgkmcnt(0)
	v_mul_f64 v[191:192], v[5:6], v[148:149]
	v_mul_f64 v[147:148], v[7:8], v[148:149]
	s_waitcnt vmcnt(56)
	v_fma_f64 v[128:129], v[107:108], v[144:145], -v[128:129]
	ds_read_b128 v[1:4], v127 offset:1232
	v_fma_f64 v[123:124], v[109:110], v[144:145], v[123:124]
	v_add_f64 v[111:112], v[111:112], v[140:141]
	v_add_f64 v[113:114], v[113:114], v[130:131]
	s_clause 0x2
	buffer_load_dword v143, off, s[0:3], 0 offset:700
	buffer_load_dword v131, off, s[0:3], 0 offset:676
	buffer_load_dword v130, off, s[0:3], 0 offset:672
	ds_read_b128 v[107:110], v127 offset:1248
	s_waitcnt vmcnt(58) lgkmcnt(1)
	v_mul_f64 v[144:145], v[3:4], v[150:151]
	s_waitcnt vmcnt(56)
	v_fma_f64 v[148:149], v[5:6], v[154:155], -v[147:148]
	v_mul_f64 v[140:141], v[1:2], v[150:151]
	v_add_f64 v[111:112], v[111:112], v[128:129]
	v_fma_f64 v[128:129], v[7:8], v[154:155], v[191:192]
	v_add_f64 v[113:114], v[113:114], v[123:124]
	s_clause 0x4
	buffer_load_dword v124, off, s[0:3], 0 offset:716
	buffer_load_dword v150, off, s[0:3], 0 offset:728
	buffer_load_dword v154, off, s[0:3], 0 offset:720
	buffer_load_dword v123, off, s[0:3], 0 offset:712
	buffer_load_dword v147, off, s[0:3], 0 offset:692
	s_waitcnt vmcnt(57) lgkmcnt(0)
	v_mul_f64 v[191:192], v[107:108], v[156:157]
	v_mul_f64 v[155:156], v[109:110], v[156:157]
	s_waitcnt vmcnt(56)
	v_fma_f64 v[144:145], v[1:2], v[152:153], -v[144:145]
	ds_read_b128 v[5:8], v127 offset:1264
	v_fma_f64 v[140:141], v[3:4], v[152:153], v[140:141]
	v_add_f64 v[111:112], v[111:112], v[148:149]
	v_add_f64 v[113:114], v[113:114], v[128:129]
	s_clause 0x2
	buffer_load_dword v151, off, s[0:3], 0 offset:732
	buffer_load_dword v129, off, s[0:3], 0 offset:708
	buffer_load_dword v128, off, s[0:3], 0 offset:704
	ds_read_b128 v[1:4], v127 offset:1280
	s_waitcnt vmcnt(58) lgkmcnt(1)
	v_mul_f64 v[152:153], v[7:8], v[158:159]
	s_waitcnt vmcnt(56)
	v_fma_f64 v[156:157], v[107:108], v[162:163], -v[155:156]
	;; [unrolled: 28-line block ×4, first 2 shown]
	v_mul_f64 v[164:165], v[1:2], v[178:179]
	buffer_load_dword v173, off, s[0:3], 0 offset:788
	v_add_f64 v[111:112], v[111:112], v[160:161]
	v_fma_f64 v[160:161], v[7:8], v[183:184], v[191:192]
	v_add_f64 v[113:114], v[113:114], v[156:157]
	ds_read_b128 v[5:8], v127 offset:1360
	s_waitcnt vmcnt(53) lgkmcnt(1)
	v_mul_f64 v[156:157], v[107:108], v[174:175]
	v_mul_f64 v[174:175], v[109:110], v[174:175]
	s_waitcnt vmcnt(52)
	v_fma_f64 v[170:171], v[1:2], v[180:181], -v[170:171]
	v_fma_f64 v[164:165], v[3:4], v[180:181], v[164:165]
	ds_read_b128 v[1:4], v127 offset:1376
	v_add_f64 v[111:112], v[111:112], v[176:177]
	v_add_f64 v[113:114], v[113:114], v[160:161]
	s_waitcnt vmcnt(51) lgkmcnt(1)
	v_mul_f64 v[176:177], v[7:8], v[187:188]
	v_mul_f64 v[160:161], v[5:6], v[187:188]
	s_waitcnt vmcnt(49)
	v_fma_f64 v[174:175], v[107:108], v[121:122], -v[174:175]
	v_fma_f64 v[121:122], v[109:110], v[121:122], v[156:157]
	v_add_f64 v[111:112], v[111:112], v[170:171]
	v_add_f64 v[113:114], v[113:114], v[164:165]
	s_clause 0x3
	buffer_load_dword v156, off, s[0:3], 0 offset:288
	buffer_load_dword v157, off, s[0:3], 0 offset:292
	;; [unrolled: 1-line block ×4, first 2 shown]
	ds_read_b128 v[107:110], v127 offset:1392
	s_waitcnt vmcnt(49) lgkmcnt(1)
	v_mul_f64 v[170:171], v[1:2], v[125:126]
	v_mul_f64 v[125:126], v[3:4], v[125:126]
	s_waitcnt vmcnt(48)
	v_fma_f64 v[176:177], v[5:6], v[189:190], -v[176:177]
	v_fma_f64 v[160:161], v[7:8], v[189:190], v[160:161]
	ds_read_b128 v[5:8], v127 offset:1408
	v_add_f64 v[111:112], v[111:112], v[174:175]
	v_add_f64 v[113:114], v[113:114], v[121:122]
	s_waitcnt vmcnt(47) lgkmcnt(1)
	v_mul_f64 v[121:122], v[107:108], v[132:133]
	v_mul_f64 v[132:133], v[109:110], v[132:133]
	s_waitcnt vmcnt(45)
	v_fma_f64 v[125:126], v[1:2], v[119:120], -v[125:126]
	v_fma_f64 v[119:120], v[3:4], v[119:120], v[170:171]
	ds_read_b128 v[1:4], v127 offset:1424
	v_add_f64 v[111:112], v[111:112], v[176:177]
	v_add_f64 v[113:114], v[113:114], v[160:161]
	s_waitcnt vmcnt(41) lgkmcnt(1)
	v_mul_f64 v[160:161], v[5:6], v[134:135]
	v_mul_f64 v[134:135], v[7:8], v[134:135]
	s_waitcnt vmcnt(40)
	v_fma_f64 v[121:122], v[109:110], v[185:186], v[121:122]
	v_fma_f64 v[132:133], v[107:108], v[185:186], -v[132:133]
	ds_read_b128 v[107:110], v127 offset:1440
	v_add_f64 v[111:112], v[111:112], v[125:126]
	v_add_f64 v[113:114], v[113:114], v[119:120]
	s_waitcnt vmcnt(39) lgkmcnt(1)
	v_mul_f64 v[125:126], v[3:4], v[136:137]
	v_mul_f64 v[119:120], v[1:2], v[136:137]
	s_waitcnt vmcnt(37)
	v_fma_f64 v[134:135], v[5:6], v[117:118], -v[134:135]
	v_fma_f64 v[117:118], v[7:8], v[117:118], v[160:161]
	ds_read_b128 v[5:8], v127 offset:1456
	v_add_f64 v[111:112], v[111:112], v[132:133]
	v_add_f64 v[113:114], v[113:114], v[121:122]
	s_waitcnt vmcnt(33) lgkmcnt(1)
	v_mul_f64 v[121:122], v[107:108], v[115:116]
	v_mul_f64 v[115:116], v[109:110], v[115:116]
	s_waitcnt vmcnt(32)
	v_fma_f64 v[125:126], v[1:2], v[138:139], -v[125:126]
	v_fma_f64 v[119:120], v[3:4], v[138:139], v[119:120]
	;; [unrolled: 9-line block ×3, first 2 shown]
	ds_read_b128 v[107:110], v127 offset:1488
	v_add_f64 v[111:112], v[111:112], v[125:126]
	v_add_f64 v[113:114], v[113:114], v[119:120]
	s_waitcnt vmcnt(25) lgkmcnt(1)
	v_mul_f64 v[119:120], v[1:2], v[123:124]
	v_mul_f64 v[123:124], v[3:4], v[123:124]
	s_waitcnt vmcnt(24)
	v_fma_f64 v[125:126], v[5:6], v[146:147], -v[132:133]
	v_add_f64 v[111:112], v[111:112], v[115:116]
	v_fma_f64 v[115:116], v[7:8], v[146:147], v[117:118]
	v_add_f64 v[113:114], v[113:114], v[121:122]
	ds_read_b128 v[5:8], v127 offset:1504
	s_waitcnt vmcnt(23) lgkmcnt(1)
	v_mul_f64 v[121:122], v[109:110], v[150:151]
	v_mul_f64 v[117:118], v[107:108], v[150:151]
	s_waitcnt vmcnt(21)
	v_fma_f64 v[123:124], v[1:2], v[128:129], -v[123:124]
	v_fma_f64 v[119:120], v[3:4], v[128:129], v[119:120]
	ds_read_b128 v[1:4], v127 offset:1520
	v_add_f64 v[111:112], v[111:112], v[125:126]
	v_add_f64 v[113:114], v[113:114], v[115:116]
	s_waitcnt vmcnt(17) lgkmcnt(1)
	v_mul_f64 v[125:126], v[7:8], v[140:141]
	s_waitcnt vmcnt(16)
	v_fma_f64 v[121:122], v[107:108], v[154:155], -v[121:122]
	v_mul_f64 v[115:116], v[5:6], v[140:141]
	v_fma_f64 v[117:118], v[109:110], v[154:155], v[117:118]
	ds_read_b128 v[107:110], v127 offset:1536
	v_add_f64 v[111:112], v[111:112], v[123:124]
	v_add_f64 v[113:114], v[113:114], v[119:120]
	s_waitcnt vmcnt(15) lgkmcnt(1)
	v_mul_f64 v[123:124], v[3:4], v[158:159]
	v_mul_f64 v[119:120], v[1:2], v[158:159]
	s_waitcnt vmcnt(13)
	v_fma_f64 v[125:126], v[5:6], v[144:145], -v[125:126]
	v_fma_f64 v[115:116], v[7:8], v[144:145], v[115:116]
	ds_read_b128 v[5:8], v127 offset:1552
	v_add_f64 v[111:112], v[111:112], v[121:122]
	v_add_f64 v[113:114], v[113:114], v[117:118]
	s_waitcnt vmcnt(9) lgkmcnt(1)
	v_mul_f64 v[121:122], v[109:110], v[148:149]
	s_waitcnt vmcnt(8)
	v_fma_f64 v[1:2], v[1:2], v[162:163], -v[123:124]
	v_mul_f64 v[117:118], v[107:108], v[148:149]
	v_fma_f64 v[3:4], v[3:4], v[162:163], v[119:120]
	v_add_f64 v[111:112], v[111:112], v[125:126]
	v_add_f64 v[113:114], v[113:114], v[115:116]
	s_waitcnt vmcnt(7) lgkmcnt(0)
	v_mul_f64 v[119:120], v[7:8], v[168:169]
	v_mul_f64 v[115:116], v[5:6], v[168:169]
	s_waitcnt vmcnt(5)
	v_fma_f64 v[107:108], v[107:108], v[152:153], -v[121:122]
	v_fma_f64 v[109:110], v[109:110], v[152:153], v[117:118]
	v_add_f64 v[1:2], v[111:112], v[1:2]
	v_add_f64 v[3:4], v[113:114], v[3:4]
	s_waitcnt vmcnt(4)
	v_fma_f64 v[5:6], v[5:6], v[172:173], -v[119:120]
	v_fma_f64 v[7:8], v[7:8], v[172:173], v[115:116]
	v_add_f64 v[1:2], v[1:2], v[107:108]
	v_add_f64 v[3:4], v[3:4], v[109:110]
	;; [unrolled: 1-line block ×4, first 2 shown]
	s_waitcnt vmcnt(2)
	v_add_f64 v[1:2], v[156:157], -v[1:2]
	s_waitcnt vmcnt(0)
	v_add_f64 v[3:4], v[164:165], -v[3:4]
	buffer_store_dword v2, off, s[0:3], 0 offset:292
	buffer_store_dword v1, off, s[0:3], 0 offset:288
	;; [unrolled: 1-line block ×4, first 2 shown]
	v_cmpx_lt_u32_e32 16, v0
	s_cbranch_execz .LBB112_275
; %bb.274:
	v_mov_b32_e32 v4, s45
	s_clause 0x3
	buffer_load_dword v1, v4, s[0:3], 0 offen
	buffer_load_dword v2, v4, s[0:3], 0 offen offset:4
	buffer_load_dword v3, v4, s[0:3], 0 offen offset:8
	;; [unrolled: 1-line block ×3, first 2 shown]
	buffer_store_dword v127, off, s[0:3], 0 offset:272
	buffer_store_dword v127, off, s[0:3], 0 offset:276
	;; [unrolled: 1-line block ×4, first 2 shown]
	s_waitcnt vmcnt(0)
	ds_write_b128 v167, v[1:4]
.LBB112_275:
	s_or_b32 exec_lo, exec_lo, s4
	s_waitcnt lgkmcnt(0)
	s_waitcnt_vscnt null, 0x0
	s_barrier
	buffer_gl0_inv
	s_clause 0x37
	buffer_load_dword v107, off, s[0:3], 0 offset:296
	buffer_load_dword v108, off, s[0:3], 0 offset:300
	;; [unrolled: 1-line block ×56, first 2 shown]
	ds_read_b128 v[128:131], v127 offset:1056
	s_clause 0x2
	buffer_load_dword v169, off, s[0:3], 0 offset:524
	buffer_load_dword v173, off, s[0:3], 0 offset:500
	;; [unrolled: 1-line block ×3, first 2 shown]
	ds_read_b128 v[132:135], v127 offset:1072
	s_clause 0x4
	buffer_load_dword v177, off, s[0:3], 0 offset:540
	buffer_load_dword v178, off, s[0:3], 0 offset:552
	buffer_load_dword v180, off, s[0:3], 0 offset:544
	buffer_load_dword v176, off, s[0:3], 0 offset:536
	buffer_load_dword v171, off, s[0:3], 0 offset:516
	ds_read_b128 v[136:139], v127 offset:1088
	s_clause 0x2
	buffer_load_dword v179, off, s[0:3], 0 offset:556
	buffer_load_dword v184, off, s[0:3], 0 offset:532
	;; [unrolled: 1-line block ×3, first 2 shown]
	s_mov_b32 s4, exec_lo
	s_waitcnt vmcnt(62) lgkmcnt(2)
	v_mul_f64 v[174:175], v[130:131], v[107:108]
	v_mul_f64 v[107:108], v[128:129], v[107:108]
	s_waitcnt lgkmcnt(1)
	v_mul_f64 v[181:182], v[134:135], v[5:6]
	s_waitcnt vmcnt(59) lgkmcnt(0)
	v_mul_f64 v[185:186], v[138:139], v[3:4]
	v_fma_f64 v[128:129], v[128:129], v[7:8], -v[174:175]
	v_mul_f64 v[174:175], v[132:133], v[5:6]
	v_fma_f64 v[107:108], v[130:131], v[7:8], v[107:108]
	s_waitcnt vmcnt(57)
	v_fma_f64 v[132:133], v[132:133], v[1:2], -v[181:182]
	ds_read_b128 v[5:8], v127 offset:1104
	v_mul_f64 v[130:131], v[136:137], v[3:4]
	s_waitcnt vmcnt(51)
	v_fma_f64 v[136:137], v[136:137], v[123:124], -v[185:186]
	v_add_f64 v[128:129], v[128:129], 0
	v_fma_f64 v[134:135], v[134:135], v[1:2], v[174:175]
	v_add_f64 v[107:108], v[107:108], 0
	s_clause 0x4
	buffer_load_dword v175, off, s[0:3], 0 offset:572
	buffer_load_dword v187, off, s[0:3], 0 offset:584
	;; [unrolled: 1-line block ×5, first 2 shown]
	s_waitcnt lgkmcnt(0)
	v_mul_f64 v[190:191], v[5:6], v[111:112]
	v_mul_f64 v[111:112], v[7:8], v[111:112]
	ds_read_b128 v[1:4], v127 offset:1120
	v_fma_f64 v[123:124], v[138:139], v[123:124], v[130:131]
	v_add_f64 v[132:133], v[128:129], v[132:133]
	v_add_f64 v[107:108], v[107:108], v[134:135]
	s_clause 0x2
	buffer_load_dword v188, off, s[0:3], 0 offset:588
	buffer_load_dword v135, off, s[0:3], 0 offset:564
	;; [unrolled: 1-line block ×3, first 2 shown]
	s_waitcnt vmcnt(58) lgkmcnt(0)
	v_mul_f64 v[138:139], v[1:2], v[115:116]
	v_mul_f64 v[115:116], v[3:4], v[115:116]
	s_waitcnt vmcnt(56)
	v_fma_f64 v[111:112], v[5:6], v[117:118], -v[111:112]
	ds_read_b128 v[128:131], v127 offset:1136
	v_fma_f64 v[117:118], v[7:8], v[117:118], v[190:191]
	v_add_f64 v[132:133], v[132:133], v[136:137]
	v_add_f64 v[107:108], v[107:108], v[123:124]
	s_clause 0x4
	buffer_load_dword v124, off, s[0:3], 0 offset:604
	buffer_load_dword v136, off, s[0:3], 0 offset:616
	;; [unrolled: 1-line block ×5, first 2 shown]
	ds_read_b128 v[5:8], v127 offset:1152
	s_waitcnt vmcnt(57) lgkmcnt(1)
	v_mul_f64 v[191:192], v[128:129], v[119:120]
	v_mul_f64 v[119:120], v[130:131], v[119:120]
	s_waitcnt vmcnt(56)
	v_fma_f64 v[115:116], v[1:2], v[109:110], -v[115:116]
	v_fma_f64 v[109:110], v[3:4], v[109:110], v[138:139]
	v_add_f64 v[111:112], v[132:133], v[111:112]
	v_add_f64 v[107:108], v[107:108], v[117:118]
	s_clause 0x2
	buffer_load_dword v137, off, s[0:3], 0 offset:620
	buffer_load_dword v118, off, s[0:3], 0 offset:596
	;; [unrolled: 1-line block ×3, first 2 shown]
	s_waitcnt vmcnt(58) lgkmcnt(0)
	v_mul_f64 v[132:133], v[5:6], v[125:126]
	v_mul_f64 v[125:126], v[7:8], v[125:126]
	s_waitcnt vmcnt(56)
	v_fma_f64 v[119:120], v[128:129], v[140:141], -v[119:120]
	ds_read_b128 v[1:4], v127 offset:1168
	v_add_f64 v[111:112], v[111:112], v[115:116]
	v_fma_f64 v[115:116], v[130:131], v[140:141], v[191:192]
	v_add_f64 v[128:129], v[107:108], v[109:110]
	s_clause 0x4
	buffer_load_dword v131, off, s[0:3], 0 offset:636
	buffer_load_dword v138, off, s[0:3], 0 offset:648
	;; [unrolled: 1-line block ×5, first 2 shown]
	ds_read_b128 v[107:110], v127 offset:1184
	s_waitcnt vmcnt(57) lgkmcnt(1)
	v_mul_f64 v[191:192], v[1:2], v[142:143]
	v_mul_f64 v[141:142], v[3:4], v[142:143]
	s_waitcnt vmcnt(56)
	v_fma_f64 v[125:126], v[5:6], v[113:114], -v[125:126]
	v_fma_f64 v[113:114], v[7:8], v[113:114], v[132:133]
	v_add_f64 v[111:112], v[111:112], v[119:120]
	s_clause 0x2
	buffer_load_dword v139, off, s[0:3], 0 offset:652
	buffer_load_dword v120, off, s[0:3], 0 offset:628
	;; [unrolled: 1-line block ×3, first 2 shown]
	v_add_f64 v[115:116], v[128:129], v[115:116]
	s_waitcnt vmcnt(58) lgkmcnt(0)
	v_mul_f64 v[132:133], v[109:110], v[144:145]
	ds_read_b128 v[5:8], v127 offset:1200
	v_mul_f64 v[128:129], v[107:108], v[144:145]
	s_waitcnt vmcnt(56)
	v_fma_f64 v[142:143], v[1:2], v[146:147], -v[141:142]
	v_add_f64 v[111:112], v[111:112], v[125:126]
	v_fma_f64 v[125:126], v[3:4], v[146:147], v[191:192]
	v_add_f64 v[113:114], v[115:116], v[113:114]
	s_clause 0x4
	buffer_load_dword v116, off, s[0:3], 0 offset:668
	buffer_load_dword v144, off, s[0:3], 0 offset:680
	buffer_load_dword v146, off, s[0:3], 0 offset:672
	buffer_load_dword v115, off, s[0:3], 0 offset:664
	buffer_load_dword v141, off, s[0:3], 0 offset:644
	s_waitcnt vmcnt(57) lgkmcnt(0)
	v_mul_f64 v[191:192], v[5:6], v[148:149]
	v_mul_f64 v[147:148], v[7:8], v[148:149]
	s_waitcnt vmcnt(56)
	v_fma_f64 v[132:133], v[107:108], v[121:122], -v[132:133]
	ds_read_b128 v[1:4], v127 offset:1216
	v_fma_f64 v[121:122], v[109:110], v[121:122], v[128:129]
	v_add_f64 v[111:112], v[111:112], v[142:143]
	v_add_f64 v[113:114], v[113:114], v[125:126]
	s_clause 0x2
	buffer_load_dword v145, off, s[0:3], 0 offset:684
	buffer_load_dword v126, off, s[0:3], 0 offset:660
	buffer_load_dword v125, off, s[0:3], 0 offset:656
	ds_read_b128 v[107:110], v127 offset:1232
	s_waitcnt vmcnt(58) lgkmcnt(1)
	v_mul_f64 v[142:143], v[3:4], v[150:151]
	s_waitcnt vmcnt(56)
	v_fma_f64 v[148:149], v[5:6], v[154:155], -v[147:148]
	v_mul_f64 v[128:129], v[1:2], v[150:151]
	v_add_f64 v[111:112], v[111:112], v[132:133]
	v_fma_f64 v[132:133], v[7:8], v[154:155], v[191:192]
	v_add_f64 v[113:114], v[113:114], v[121:122]
	s_clause 0x4
	buffer_load_dword v122, off, s[0:3], 0 offset:700
	buffer_load_dword v150, off, s[0:3], 0 offset:712
	buffer_load_dword v154, off, s[0:3], 0 offset:704
	buffer_load_dword v121, off, s[0:3], 0 offset:696
	buffer_load_dword v147, off, s[0:3], 0 offset:676
	s_waitcnt vmcnt(57) lgkmcnt(0)
	v_mul_f64 v[191:192], v[107:108], v[156:157]
	v_mul_f64 v[155:156], v[109:110], v[156:157]
	s_waitcnt vmcnt(56)
	v_fma_f64 v[142:143], v[1:2], v[152:153], -v[142:143]
	ds_read_b128 v[5:8], v127 offset:1248
	v_fma_f64 v[128:129], v[3:4], v[152:153], v[128:129]
	v_add_f64 v[111:112], v[111:112], v[148:149]
	v_add_f64 v[113:114], v[113:114], v[132:133]
	s_clause 0x2
	buffer_load_dword v151, off, s[0:3], 0 offset:716
	buffer_load_dword v133, off, s[0:3], 0 offset:692
	buffer_load_dword v132, off, s[0:3], 0 offset:688
	ds_read_b128 v[1:4], v127 offset:1264
	s_waitcnt vmcnt(58) lgkmcnt(1)
	v_mul_f64 v[152:153], v[7:8], v[158:159]
	s_waitcnt vmcnt(56)
	v_fma_f64 v[156:157], v[107:108], v[162:163], -v[155:156]
	v_mul_f64 v[148:149], v[5:6], v[158:159]
	v_add_f64 v[111:112], v[111:112], v[142:143]
	v_fma_f64 v[142:143], v[109:110], v[162:163], v[191:192]
	v_add_f64 v[113:114], v[113:114], v[128:129]
	s_clause 0x4
	buffer_load_dword v129, off, s[0:3], 0 offset:732
	buffer_load_dword v158, off, s[0:3], 0 offset:744
	buffer_load_dword v162, off, s[0:3], 0 offset:736
	buffer_load_dword v128, off, s[0:3], 0 offset:728
	buffer_load_dword v155, off, s[0:3], 0 offset:708
	s_waitcnt vmcnt(57) lgkmcnt(0)
	v_mul_f64 v[191:192], v[1:2], v[164:165]
	v_mul_f64 v[163:164], v[3:4], v[164:165]
	s_waitcnt vmcnt(56)
	v_fma_f64 v[152:153], v[5:6], v[160:161], -v[152:153]
	ds_read_b128 v[107:110], v127 offset:1280
	v_fma_f64 v[148:149], v[7:8], v[160:161], v[148:149]
	v_add_f64 v[111:112], v[111:112], v[156:157]
	v_add_f64 v[113:114], v[113:114], v[142:143]
	s_clause 0x2
	buffer_load_dword v159, off, s[0:3], 0 offset:748
	buffer_load_dword v143, off, s[0:3], 0 offset:724
	buffer_load_dword v142, off, s[0:3], 0 offset:720
	ds_read_b128 v[5:8], v127 offset:1296
	s_waitcnt vmcnt(58) lgkmcnt(1)
	v_mul_f64 v[160:161], v[109:110], v[168:169]
	s_waitcnt vmcnt(56)
	v_fma_f64 v[164:165], v[1:2], v[172:173], -v[163:164]
	v_mul_f64 v[156:157], v[107:108], v[168:169]
	v_add_f64 v[111:112], v[111:112], v[152:153]
	v_fma_f64 v[152:153], v[3:4], v[172:173], v[191:192]
	v_add_f64 v[113:114], v[113:114], v[148:149]
	s_clause 0x4
	buffer_load_dword v149, off, s[0:3], 0 offset:764
	buffer_load_dword v168, off, s[0:3], 0 offset:776
	buffer_load_dword v172, off, s[0:3], 0 offset:768
	buffer_load_dword v148, off, s[0:3], 0 offset:760
	buffer_load_dword v163, off, s[0:3], 0 offset:740
	s_waitcnt vmcnt(57) lgkmcnt(0)
	v_mul_f64 v[191:192], v[5:6], v[176:177]
	v_mul_f64 v[176:177], v[7:8], v[176:177]
	s_waitcnt vmcnt(56)
	v_fma_f64 v[160:161], v[107:108], v[170:171], -v[160:161]
	ds_read_b128 v[1:4], v127 offset:1312
	v_fma_f64 v[156:157], v[109:110], v[170:171], v[156:157]
	v_add_f64 v[111:112], v[111:112], v[164:165]
	v_add_f64 v[113:114], v[113:114], v[152:153]
	s_clause 0x2
	buffer_load_dword v169, off, s[0:3], 0 offset:780
	buffer_load_dword v153, off, s[0:3], 0 offset:756
	buffer_load_dword v152, off, s[0:3], 0 offset:752
	ds_read_b128 v[107:110], v127 offset:1328
	s_waitcnt vmcnt(58) lgkmcnt(1)
	v_mul_f64 v[170:171], v[3:4], v[178:179]
	s_waitcnt vmcnt(56)
	v_fma_f64 v[176:177], v[5:6], v[183:184], -v[176:177]
	v_mul_f64 v[164:165], v[1:2], v[178:179]
	v_add_f64 v[111:112], v[111:112], v[160:161]
	v_fma_f64 v[160:161], v[7:8], v[183:184], v[191:192]
	v_add_f64 v[113:114], v[113:114], v[156:157]
	s_clause 0x2
	buffer_load_dword v157, off, s[0:3], 0 offset:796
	buffer_load_dword v156, off, s[0:3], 0 offset:792
	;; [unrolled: 1-line block ×3, first 2 shown]
	ds_read_b128 v[5:8], v127 offset:1344
	s_waitcnt vmcnt(55) lgkmcnt(1)
	v_mul_f64 v[178:179], v[107:108], v[174:175]
	v_mul_f64 v[174:175], v[109:110], v[174:175]
	s_waitcnt vmcnt(54)
	v_fma_f64 v[170:171], v[1:2], v[180:181], -v[170:171]
	v_fma_f64 v[164:165], v[3:4], v[180:181], v[164:165]
	v_add_f64 v[111:112], v[111:112], v[176:177]
	v_add_f64 v[113:114], v[113:114], v[160:161]
	s_clause 0x1
	buffer_load_dword v161, off, s[0:3], 0 offset:788
	buffer_load_dword v160, off, s[0:3], 0 offset:784
	ds_read_b128 v[1:4], v127 offset:1360
	s_waitcnt vmcnt(55) lgkmcnt(1)
	v_mul_f64 v[180:181], v[7:8], v[187:188]
	v_mul_f64 v[176:177], v[5:6], v[187:188]
	s_waitcnt vmcnt(53)
	v_fma_f64 v[174:175], v[107:108], v[134:135], -v[174:175]
	v_fma_f64 v[134:135], v[109:110], v[134:135], v[178:179]
	ds_read_b128 v[107:110], v127 offset:1376
	v_add_f64 v[111:112], v[111:112], v[170:171]
	v_add_f64 v[113:114], v[113:114], v[164:165]
	s_waitcnt vmcnt(49) lgkmcnt(1)
	v_mul_f64 v[164:165], v[1:2], v[123:124]
	v_mul_f64 v[123:124], v[3:4], v[123:124]
	s_waitcnt vmcnt(48)
	v_fma_f64 v[170:171], v[5:6], v[189:190], -v[180:181]
	v_add_f64 v[111:112], v[111:112], v[174:175]
	v_fma_f64 v[174:175], v[7:8], v[189:190], v[176:177]
	v_add_f64 v[113:114], v[113:114], v[134:135]
	s_clause 0x3
	buffer_load_dword v134, off, s[0:3], 0 offset:272
	buffer_load_dword v135, off, s[0:3], 0 offset:276
	;; [unrolled: 1-line block ×4, first 2 shown]
	ds_read_b128 v[5:8], v127 offset:1392
	s_waitcnt vmcnt(51) lgkmcnt(1)
	v_mul_f64 v[178:179], v[107:108], v[136:137]
	v_mul_f64 v[136:137], v[109:110], v[136:137]
	s_waitcnt vmcnt(49)
	v_fma_f64 v[123:124], v[1:2], v[117:118], -v[123:124]
	v_fma_f64 v[117:118], v[3:4], v[117:118], v[164:165]
	ds_read_b128 v[1:4], v127 offset:1408
	v_add_f64 v[111:112], v[111:112], v[170:171]
	v_add_f64 v[113:114], v[113:114], v[174:175]
	s_waitcnt vmcnt(45) lgkmcnt(1)
	v_mul_f64 v[164:165], v[5:6], v[130:131]
	v_mul_f64 v[130:131], v[7:8], v[130:131]
	s_waitcnt vmcnt(44)
	v_fma_f64 v[136:137], v[107:108], v[185:186], -v[136:137]
	v_add_f64 v[111:112], v[111:112], v[123:124]
	v_fma_f64 v[123:124], v[109:110], v[185:186], v[178:179]
	v_add_f64 v[113:114], v[113:114], v[117:118]
	ds_read_b128 v[107:110], v127 offset:1424
	s_waitcnt vmcnt(43) lgkmcnt(1)
	v_mul_f64 v[117:118], v[1:2], v[138:139]
	v_mul_f64 v[138:139], v[3:4], v[138:139]
	s_waitcnt vmcnt(41)
	v_fma_f64 v[130:131], v[5:6], v[119:120], -v[130:131]
	v_fma_f64 v[119:120], v[7:8], v[119:120], v[164:165]
	ds_read_b128 v[5:8], v127 offset:1440
	v_add_f64 v[111:112], v[111:112], v[136:137]
	v_add_f64 v[113:114], v[113:114], v[123:124]
	s_waitcnt vmcnt(37) lgkmcnt(1)
	v_mul_f64 v[123:124], v[107:108], v[115:116]
	v_mul_f64 v[115:116], v[109:110], v[115:116]
	s_waitcnt vmcnt(36)
	v_fma_f64 v[136:137], v[1:2], v[140:141], -v[138:139]
	v_fma_f64 v[117:118], v[3:4], v[140:141], v[117:118]
	ds_read_b128 v[1:4], v127 offset:1456
	v_add_f64 v[111:112], v[111:112], v[130:131]
	v_add_f64 v[113:114], v[113:114], v[119:120]
	;; [unrolled: 9-line block ×3, first 2 shown]
	s_waitcnt vmcnt(29) lgkmcnt(1)
	v_mul_f64 v[117:118], v[1:2], v[121:122]
	v_mul_f64 v[121:122], v[3:4], v[121:122]
	s_waitcnt vmcnt(28)
	v_fma_f64 v[125:126], v[5:6], v[146:147], -v[130:131]
	v_add_f64 v[111:112], v[111:112], v[115:116]
	v_fma_f64 v[115:116], v[7:8], v[146:147], v[119:120]
	v_add_f64 v[113:114], v[113:114], v[123:124]
	ds_read_b128 v[5:8], v127 offset:1488
	s_waitcnt vmcnt(27) lgkmcnt(1)
	v_mul_f64 v[123:124], v[109:110], v[150:151]
	v_mul_f64 v[119:120], v[107:108], v[150:151]
	s_waitcnt vmcnt(25)
	v_fma_f64 v[121:122], v[1:2], v[132:133], -v[121:122]
	v_fma_f64 v[117:118], v[3:4], v[132:133], v[117:118]
	ds_read_b128 v[1:4], v127 offset:1504
	v_add_f64 v[111:112], v[111:112], v[125:126]
	v_add_f64 v[113:114], v[113:114], v[115:116]
	s_waitcnt vmcnt(21) lgkmcnt(1)
	v_mul_f64 v[125:126], v[7:8], v[128:129]
	s_waitcnt vmcnt(20)
	v_fma_f64 v[123:124], v[107:108], v[154:155], -v[123:124]
	v_mul_f64 v[115:116], v[5:6], v[128:129]
	v_fma_f64 v[119:120], v[109:110], v[154:155], v[119:120]
	ds_read_b128 v[107:110], v127 offset:1520
	v_add_f64 v[111:112], v[111:112], v[121:122]
	v_add_f64 v[113:114], v[113:114], v[117:118]
	s_waitcnt vmcnt(19) lgkmcnt(1)
	v_mul_f64 v[121:122], v[3:4], v[158:159]
	v_mul_f64 v[117:118], v[1:2], v[158:159]
	s_waitcnt vmcnt(17)
	v_fma_f64 v[125:126], v[5:6], v[142:143], -v[125:126]
	v_fma_f64 v[115:116], v[7:8], v[142:143], v[115:116]
	ds_read_b128 v[5:8], v127 offset:1536
	v_add_f64 v[111:112], v[111:112], v[123:124]
	v_add_f64 v[113:114], v[113:114], v[119:120]
	s_waitcnt vmcnt(13) lgkmcnt(1)
	v_mul_f64 v[123:124], v[109:110], v[148:149]
	s_waitcnt vmcnt(12)
	v_fma_f64 v[121:122], v[1:2], v[162:163], -v[121:122]
	v_mul_f64 v[119:120], v[107:108], v[148:149]
	v_fma_f64 v[117:118], v[3:4], v[162:163], v[117:118]
	ds_read_b128 v[1:4], v127 offset:1552
	v_add_f64 v[111:112], v[111:112], v[125:126]
	v_add_f64 v[113:114], v[113:114], v[115:116]
	s_waitcnt vmcnt(11) lgkmcnt(1)
	v_mul_f64 v[125:126], v[7:8], v[168:169]
	v_mul_f64 v[115:116], v[5:6], v[168:169]
	s_waitcnt vmcnt(9)
	v_fma_f64 v[107:108], v[107:108], v[152:153], -v[123:124]
	v_fma_f64 v[109:110], v[109:110], v[152:153], v[119:120]
	v_add_f64 v[111:112], v[111:112], v[121:122]
	v_add_f64 v[113:114], v[113:114], v[117:118]
	s_waitcnt vmcnt(7) lgkmcnt(0)
	v_mul_f64 v[119:120], v[3:4], v[156:157]
	s_waitcnt vmcnt(6)
	v_fma_f64 v[5:6], v[5:6], v[172:173], -v[125:126]
	v_mul_f64 v[117:118], v[1:2], v[156:157]
	v_fma_f64 v[7:8], v[7:8], v[172:173], v[115:116]
	v_add_f64 v[107:108], v[111:112], v[107:108]
	v_add_f64 v[109:110], v[113:114], v[109:110]
	s_waitcnt vmcnt(4)
	v_fma_f64 v[1:2], v[1:2], v[160:161], -v[119:120]
	v_fma_f64 v[3:4], v[3:4], v[160:161], v[117:118]
	v_add_f64 v[5:6], v[107:108], v[5:6]
	v_add_f64 v[7:8], v[109:110], v[7:8]
	;; [unrolled: 1-line block ×4, first 2 shown]
	s_waitcnt vmcnt(2)
	v_add_f64 v[1:2], v[134:135], -v[1:2]
	s_waitcnt vmcnt(0)
	v_add_f64 v[3:4], v[176:177], -v[3:4]
	buffer_store_dword v2, off, s[0:3], 0 offset:276
	buffer_store_dword v1, off, s[0:3], 0 offset:272
	;; [unrolled: 1-line block ×4, first 2 shown]
	v_cmpx_lt_u32_e32 15, v0
	s_cbranch_execz .LBB112_277
; %bb.276:
	v_mov_b32_e32 v4, s46
	v_mov_b32_e32 v5, 0
	s_clause 0x3
	buffer_load_dword v1, v4, s[0:3], 0 offen
	buffer_load_dword v2, v4, s[0:3], 0 offen offset:4
	buffer_load_dword v3, v4, s[0:3], 0 offen offset:8
	;; [unrolled: 1-line block ×3, first 2 shown]
	buffer_store_dword v5, off, s[0:3], 0 offset:256
	buffer_store_dword v5, off, s[0:3], 0 offset:260
	;; [unrolled: 1-line block ×4, first 2 shown]
	s_waitcnt vmcnt(0)
	ds_write_b128 v167, v[1:4]
.LBB112_277:
	s_or_b32 exec_lo, exec_lo, s4
	s_waitcnt lgkmcnt(0)
	s_waitcnt_vscnt null, 0x0
	s_barrier
	buffer_gl0_inv
	s_clause 0x37
	buffer_load_dword v107, off, s[0:3], 0 offset:280
	buffer_load_dword v108, off, s[0:3], 0 offset:284
	;; [unrolled: 1-line block ×56, first 2 shown]
	v_mov_b32_e32 v149, 0
	s_mov_b32 s4, exec_lo
	ds_read_b128 v[137:140], v149 offset:1040
	s_clause 0x2
	buffer_load_dword v169, off, s[0:3], 0 offset:508
	buffer_load_dword v173, off, s[0:3], 0 offset:484
	;; [unrolled: 1-line block ×3, first 2 shown]
	ds_read_b128 v[141:144], v149 offset:1056
	s_clause 0x4
	buffer_load_dword v177, off, s[0:3], 0 offset:524
	buffer_load_dword v178, off, s[0:3], 0 offset:536
	;; [unrolled: 1-line block ×5, first 2 shown]
	ds_read_b128 v[145:148], v149 offset:1072
	s_clause 0x2
	buffer_load_dword v179, off, s[0:3], 0 offset:540
	buffer_load_dword v184, off, s[0:3], 0 offset:516
	;; [unrolled: 1-line block ×3, first 2 shown]
	s_waitcnt vmcnt(62) lgkmcnt(2)
	v_mul_f64 v[174:175], v[139:140], v[107:108]
	v_mul_f64 v[107:108], v[137:138], v[107:108]
	s_waitcnt lgkmcnt(1)
	v_mul_f64 v[181:182], v[143:144], v[5:6]
	s_waitcnt vmcnt(59) lgkmcnt(0)
	v_mul_f64 v[185:186], v[147:148], v[3:4]
	v_fma_f64 v[137:138], v[137:138], v[7:8], -v[174:175]
	v_mul_f64 v[174:175], v[141:142], v[5:6]
	v_fma_f64 v[107:108], v[139:140], v[7:8], v[107:108]
	s_waitcnt vmcnt(57)
	v_fma_f64 v[141:142], v[141:142], v[1:2], -v[181:182]
	ds_read_b128 v[5:8], v149 offset:1088
	v_mul_f64 v[139:140], v[145:146], v[3:4]
	s_waitcnt vmcnt(51)
	v_fma_f64 v[145:146], v[145:146], v[123:124], -v[185:186]
	v_add_f64 v[137:138], v[137:138], 0
	v_fma_f64 v[143:144], v[143:144], v[1:2], v[174:175]
	v_add_f64 v[107:108], v[107:108], 0
	s_clause 0x4
	buffer_load_dword v175, off, s[0:3], 0 offset:556
	buffer_load_dword v187, off, s[0:3], 0 offset:568
	;; [unrolled: 1-line block ×5, first 2 shown]
	s_waitcnt lgkmcnt(0)
	v_mul_f64 v[190:191], v[5:6], v[111:112]
	v_mul_f64 v[111:112], v[7:8], v[111:112]
	ds_read_b128 v[1:4], v149 offset:1104
	v_fma_f64 v[123:124], v[147:148], v[123:124], v[139:140]
	v_add_f64 v[141:142], v[137:138], v[141:142]
	v_add_f64 v[107:108], v[107:108], v[143:144]
	s_clause 0x2
	buffer_load_dword v188, off, s[0:3], 0 offset:572
	buffer_load_dword v144, off, s[0:3], 0 offset:548
	;; [unrolled: 1-line block ×3, first 2 shown]
	s_waitcnt vmcnt(58) lgkmcnt(0)
	v_mul_f64 v[147:148], v[1:2], v[115:116]
	v_mul_f64 v[115:116], v[3:4], v[115:116]
	s_waitcnt vmcnt(56)
	v_fma_f64 v[111:112], v[5:6], v[117:118], -v[111:112]
	ds_read_b128 v[137:140], v149 offset:1120
	v_fma_f64 v[117:118], v[7:8], v[117:118], v[190:191]
	v_add_f64 v[141:142], v[141:142], v[145:146]
	v_add_f64 v[107:108], v[107:108], v[123:124]
	s_clause 0x4
	buffer_load_dword v124, off, s[0:3], 0 offset:588
	buffer_load_dword v145, off, s[0:3], 0 offset:600
	;; [unrolled: 1-line block ×5, first 2 shown]
	ds_read_b128 v[5:8], v149 offset:1136
	s_waitcnt vmcnt(57) lgkmcnt(1)
	v_mul_f64 v[191:192], v[137:138], v[119:120]
	v_mul_f64 v[119:120], v[139:140], v[119:120]
	s_waitcnt vmcnt(56)
	v_fma_f64 v[115:116], v[1:2], v[109:110], -v[115:116]
	v_fma_f64 v[109:110], v[3:4], v[109:110], v[147:148]
	v_add_f64 v[111:112], v[141:142], v[111:112]
	v_add_f64 v[107:108], v[107:108], v[117:118]
	s_clause 0x2
	buffer_load_dword v146, off, s[0:3], 0 offset:604
	buffer_load_dword v118, off, s[0:3], 0 offset:580
	;; [unrolled: 1-line block ×3, first 2 shown]
	s_waitcnt vmcnt(58) lgkmcnt(0)
	v_mul_f64 v[141:142], v[5:6], v[125:126]
	v_mul_f64 v[125:126], v[7:8], v[125:126]
	s_waitcnt vmcnt(56)
	v_fma_f64 v[119:120], v[137:138], v[127:128], -v[119:120]
	ds_read_b128 v[1:4], v149 offset:1152
	v_add_f64 v[111:112], v[111:112], v[115:116]
	v_fma_f64 v[115:116], v[139:140], v[127:128], v[191:192]
	v_add_f64 v[127:128], v[107:108], v[109:110]
	s_clause 0x4
	buffer_load_dword v138, off, s[0:3], 0 offset:620
	buffer_load_dword v139, off, s[0:3], 0 offset:632
	;; [unrolled: 1-line block ×5, first 2 shown]
	ds_read_b128 v[107:110], v149 offset:1168
	s_waitcnt vmcnt(57) lgkmcnt(1)
	v_mul_f64 v[191:192], v[1:2], v[129:130]
	v_mul_f64 v[129:130], v[3:4], v[129:130]
	s_waitcnt vmcnt(56)
	v_fma_f64 v[125:126], v[5:6], v[113:114], -v[125:126]
	v_fma_f64 v[113:114], v[7:8], v[113:114], v[141:142]
	v_add_f64 v[111:112], v[111:112], v[119:120]
	s_clause 0x2
	buffer_load_dword v140, off, s[0:3], 0 offset:636
	buffer_load_dword v120, off, s[0:3], 0 offset:612
	;; [unrolled: 1-line block ×3, first 2 shown]
	v_add_f64 v[115:116], v[127:128], v[115:116]
	s_waitcnt vmcnt(58) lgkmcnt(0)
	v_mul_f64 v[127:128], v[107:108], v[133:134]
	v_mul_f64 v[133:134], v[109:110], v[133:134]
	ds_read_b128 v[5:8], v149 offset:1184
	s_waitcnt vmcnt(56)
	v_fma_f64 v[129:130], v[1:2], v[135:136], -v[129:130]
	v_add_f64 v[111:112], v[111:112], v[125:126]
	v_fma_f64 v[125:126], v[3:4], v[135:136], v[191:192]
	v_add_f64 v[113:114], v[115:116], v[113:114]
	s_clause 0x4
	buffer_load_dword v116, off, s[0:3], 0 offset:652
	buffer_load_dword v135, off, s[0:3], 0 offset:664
	buffer_load_dword v141, off, s[0:3], 0 offset:656
	buffer_load_dword v115, off, s[0:3], 0 offset:648
	buffer_load_dword v148, off, s[0:3], 0 offset:628
	s_waitcnt vmcnt(57) lgkmcnt(0)
	v_mul_f64 v[191:192], v[5:6], v[150:151]
	v_mul_f64 v[150:151], v[7:8], v[150:151]
	s_waitcnt vmcnt(56)
	v_fma_f64 v[133:134], v[107:108], v[121:122], -v[133:134]
	ds_read_b128 v[1:4], v149 offset:1200
	v_fma_f64 v[121:122], v[109:110], v[121:122], v[127:128]
	v_add_f64 v[111:112], v[111:112], v[129:130]
	v_add_f64 v[113:114], v[113:114], v[125:126]
	s_clause 0x2
	buffer_load_dword v136, off, s[0:3], 0 offset:668
	buffer_load_dword v126, off, s[0:3], 0 offset:644
	;; [unrolled: 1-line block ×3, first 2 shown]
	ds_read_b128 v[107:110], v149 offset:1216
	s_waitcnt vmcnt(58) lgkmcnt(1)
	v_mul_f64 v[129:130], v[3:4], v[152:153]
	s_waitcnt vmcnt(56)
	v_fma_f64 v[150:151], v[5:6], v[154:155], -v[150:151]
	v_mul_f64 v[127:128], v[1:2], v[152:153]
	v_add_f64 v[111:112], v[111:112], v[133:134]
	v_fma_f64 v[133:134], v[7:8], v[154:155], v[191:192]
	v_add_f64 v[113:114], v[113:114], v[121:122]
	s_clause 0x4
	buffer_load_dword v122, off, s[0:3], 0 offset:684
	buffer_load_dword v152, off, s[0:3], 0 offset:696
	;; [unrolled: 1-line block ×5, first 2 shown]
	s_waitcnt vmcnt(57) lgkmcnt(0)
	v_mul_f64 v[191:192], v[107:108], v[156:157]
	v_mul_f64 v[155:156], v[109:110], v[156:157]
	s_waitcnt vmcnt(56)
	v_fma_f64 v[129:130], v[1:2], v[131:132], -v[129:130]
	ds_read_b128 v[5:8], v149 offset:1232
	v_fma_f64 v[127:128], v[3:4], v[131:132], v[127:128]
	s_clause 0x2
	buffer_load_dword v153, off, s[0:3], 0 offset:700
	buffer_load_dword v132, off, s[0:3], 0 offset:676
	buffer_load_dword v131, off, s[0:3], 0 offset:672
	ds_read_b128 v[1:4], v149 offset:1248
	v_add_f64 v[111:112], v[111:112], v[150:151]
	v_add_f64 v[113:114], v[113:114], v[133:134]
	s_waitcnt vmcnt(58) lgkmcnt(1)
	v_mul_f64 v[150:151], v[7:8], v[158:159]
	s_waitcnt vmcnt(56)
	v_fma_f64 v[156:157], v[107:108], v[162:163], -v[155:156]
	v_mul_f64 v[133:134], v[5:6], v[158:159]
	v_add_f64 v[111:112], v[111:112], v[129:130]
	v_fma_f64 v[129:130], v[109:110], v[162:163], v[191:192]
	v_add_f64 v[113:114], v[113:114], v[127:128]
	s_clause 0x4
	buffer_load_dword v128, off, s[0:3], 0 offset:716
	buffer_load_dword v158, off, s[0:3], 0 offset:728
	;; [unrolled: 1-line block ×5, first 2 shown]
	s_waitcnt vmcnt(57) lgkmcnt(0)
	v_mul_f64 v[191:192], v[1:2], v[164:165]
	v_mul_f64 v[163:164], v[3:4], v[164:165]
	s_waitcnt vmcnt(56)
	v_fma_f64 v[150:151], v[5:6], v[160:161], -v[150:151]
	ds_read_b128 v[107:110], v149 offset:1264
	v_fma_f64 v[133:134], v[7:8], v[160:161], v[133:134]
	v_add_f64 v[111:112], v[111:112], v[156:157]
	v_add_f64 v[113:114], v[113:114], v[129:130]
	s_clause 0x2
	buffer_load_dword v159, off, s[0:3], 0 offset:732
	buffer_load_dword v130, off, s[0:3], 0 offset:708
	;; [unrolled: 1-line block ×3, first 2 shown]
	ds_read_b128 v[5:8], v149 offset:1280
	s_waitcnt vmcnt(58) lgkmcnt(1)
	v_mul_f64 v[160:161], v[109:110], v[168:169]
	s_waitcnt vmcnt(56)
	v_fma_f64 v[164:165], v[1:2], v[172:173], -v[163:164]
	v_mul_f64 v[156:157], v[107:108], v[168:169]
	v_add_f64 v[111:112], v[111:112], v[150:151]
	v_fma_f64 v[150:151], v[3:4], v[172:173], v[191:192]
	v_add_f64 v[113:114], v[113:114], v[133:134]
	s_clause 0x4
	buffer_load_dword v134, off, s[0:3], 0 offset:748
	buffer_load_dword v168, off, s[0:3], 0 offset:760
	buffer_load_dword v172, off, s[0:3], 0 offset:752
	buffer_load_dword v133, off, s[0:3], 0 offset:744
	buffer_load_dword v163, off, s[0:3], 0 offset:724
	s_waitcnt vmcnt(57) lgkmcnt(0)
	v_mul_f64 v[191:192], v[5:6], v[176:177]
	v_mul_f64 v[176:177], v[7:8], v[176:177]
	s_waitcnt vmcnt(56)
	v_fma_f64 v[160:161], v[107:108], v[170:171], -v[160:161]
	ds_read_b128 v[1:4], v149 offset:1296
	v_fma_f64 v[156:157], v[109:110], v[170:171], v[156:157]
	v_add_f64 v[111:112], v[111:112], v[164:165]
	v_add_f64 v[113:114], v[113:114], v[150:151]
	s_clause 0x2
	buffer_load_dword v169, off, s[0:3], 0 offset:764
	buffer_load_dword v151, off, s[0:3], 0 offset:740
	;; [unrolled: 1-line block ×3, first 2 shown]
	ds_read_b128 v[107:110], v149 offset:1312
	s_waitcnt vmcnt(58) lgkmcnt(1)
	v_mul_f64 v[170:171], v[3:4], v[178:179]
	s_waitcnt vmcnt(56)
	v_fma_f64 v[176:177], v[5:6], v[183:184], -v[176:177]
	v_mul_f64 v[164:165], v[1:2], v[178:179]
	v_add_f64 v[111:112], v[111:112], v[160:161]
	v_fma_f64 v[160:161], v[7:8], v[183:184], v[191:192]
	v_add_f64 v[113:114], v[113:114], v[156:157]
	s_clause 0x4
	buffer_load_dword v157, off, s[0:3], 0 offset:780
	buffer_load_dword v178, off, s[0:3], 0 offset:792
	;; [unrolled: 1-line block ×5, first 2 shown]
	ds_read_b128 v[5:8], v149 offset:1328
	s_waitcnt vmcnt(57) lgkmcnt(1)
	v_mul_f64 v[183:184], v[107:108], v[174:175]
	v_mul_f64 v[174:175], v[109:110], v[174:175]
	s_waitcnt vmcnt(56)
	v_fma_f64 v[170:171], v[1:2], v[180:181], -v[170:171]
	v_fma_f64 v[164:165], v[3:4], v[180:181], v[164:165]
	v_add_f64 v[111:112], v[111:112], v[176:177]
	v_add_f64 v[113:114], v[113:114], v[160:161]
	s_clause 0x2
	buffer_load_dword v179, off, s[0:3], 0 offset:796
	buffer_load_dword v161, off, s[0:3], 0 offset:772
	;; [unrolled: 1-line block ×3, first 2 shown]
	ds_read_b128 v[1:4], v149 offset:1344
	s_waitcnt vmcnt(58) lgkmcnt(1)
	v_mul_f64 v[180:181], v[7:8], v[187:188]
	v_mul_f64 v[176:177], v[5:6], v[187:188]
	s_waitcnt vmcnt(56)
	v_fma_f64 v[174:175], v[107:108], v[143:144], -v[174:175]
	v_fma_f64 v[143:144], v[109:110], v[143:144], v[183:184]
	buffer_load_dword v183, off, s[0:3], 0 offset:788
	ds_read_b128 v[107:110], v149 offset:1360
	v_add_f64 v[111:112], v[111:112], v[170:171]
	v_add_f64 v[113:114], v[113:114], v[164:165]
	s_waitcnt vmcnt(53) lgkmcnt(1)
	v_mul_f64 v[164:165], v[1:2], v[123:124]
	v_mul_f64 v[123:124], v[3:4], v[123:124]
	s_waitcnt vmcnt(52)
	v_fma_f64 v[170:171], v[5:6], v[189:190], -v[180:181]
	v_add_f64 v[111:112], v[111:112], v[174:175]
	v_fma_f64 v[174:175], v[7:8], v[189:190], v[176:177]
	v_add_f64 v[113:114], v[113:114], v[143:144]
	ds_read_b128 v[5:8], v149 offset:1376
	s_waitcnt vmcnt(51) lgkmcnt(1)
	v_mul_f64 v[143:144], v[107:108], v[145:146]
	v_mul_f64 v[145:146], v[109:110], v[145:146]
	s_waitcnt vmcnt(49)
	v_fma_f64 v[123:124], v[1:2], v[117:118], -v[123:124]
	v_fma_f64 v[117:118], v[3:4], v[117:118], v[164:165]
	v_add_f64 v[111:112], v[111:112], v[170:171]
	s_clause 0x3
	buffer_load_dword v164, off, s[0:3], 0 offset:256
	buffer_load_dword v165, off, s[0:3], 0 offset:260
	buffer_load_dword v170, off, s[0:3], 0 offset:264
	buffer_load_dword v171, off, s[0:3], 0 offset:268
	v_add_f64 v[113:114], v[113:114], v[174:175]
	ds_read_b128 v[1:4], v149 offset:1392
	s_waitcnt vmcnt(49) lgkmcnt(1)
	v_mul_f64 v[174:175], v[5:6], v[137:138]
	v_mul_f64 v[137:138], v[7:8], v[137:138]
	s_waitcnt vmcnt(48)
	v_fma_f64 v[145:146], v[107:108], v[185:186], -v[145:146]
	v_add_f64 v[111:112], v[111:112], v[123:124]
	v_fma_f64 v[123:124], v[109:110], v[185:186], v[143:144]
	v_add_f64 v[113:114], v[113:114], v[117:118]
	ds_read_b128 v[107:110], v149 offset:1408
	s_waitcnt vmcnt(47) lgkmcnt(1)
	v_mul_f64 v[117:118], v[1:2], v[139:140]
	v_mul_f64 v[139:140], v[3:4], v[139:140]
	s_waitcnt vmcnt(45)
	v_fma_f64 v[137:138], v[5:6], v[119:120], -v[137:138]
	v_fma_f64 v[119:120], v[7:8], v[119:120], v[174:175]
	ds_read_b128 v[5:8], v149 offset:1424
	v_add_f64 v[111:112], v[111:112], v[145:146]
	v_add_f64 v[113:114], v[113:114], v[123:124]
	s_waitcnt vmcnt(41) lgkmcnt(1)
	v_mul_f64 v[123:124], v[107:108], v[115:116]
	v_mul_f64 v[115:116], v[109:110], v[115:116]
	s_waitcnt vmcnt(40)
	v_fma_f64 v[139:140], v[1:2], v[147:148], -v[139:140]
	v_fma_f64 v[117:118], v[3:4], v[147:148], v[117:118]
	ds_read_b128 v[1:4], v149 offset:1440
	v_add_f64 v[111:112], v[111:112], v[137:138]
	v_add_f64 v[113:114], v[113:114], v[119:120]
	;; [unrolled: 9-line block ×3, first 2 shown]
	s_waitcnt vmcnt(33) lgkmcnt(1)
	v_mul_f64 v[117:118], v[1:2], v[121:122]
	v_mul_f64 v[121:122], v[3:4], v[121:122]
	s_waitcnt vmcnt(32)
	v_fma_f64 v[125:126], v[5:6], v[141:142], -v[135:136]
	v_add_f64 v[111:112], v[111:112], v[115:116]
	v_fma_f64 v[115:116], v[7:8], v[141:142], v[119:120]
	v_add_f64 v[113:114], v[113:114], v[123:124]
	ds_read_b128 v[5:8], v149 offset:1472
	s_waitcnt vmcnt(31) lgkmcnt(1)
	v_mul_f64 v[123:124], v[109:110], v[152:153]
	v_mul_f64 v[119:120], v[107:108], v[152:153]
	s_waitcnt vmcnt(29)
	v_fma_f64 v[117:118], v[3:4], v[131:132], v[117:118]
	v_fma_f64 v[121:122], v[1:2], v[131:132], -v[121:122]
	ds_read_b128 v[1:4], v149 offset:1488
	v_add_f64 v[111:112], v[111:112], v[125:126]
	v_add_f64 v[113:114], v[113:114], v[115:116]
	s_waitcnt vmcnt(25) lgkmcnt(1)
	v_mul_f64 v[125:126], v[7:8], v[127:128]
	s_waitcnt vmcnt(24)
	v_fma_f64 v[123:124], v[107:108], v[154:155], -v[123:124]
	v_mul_f64 v[115:116], v[5:6], v[127:128]
	v_fma_f64 v[119:120], v[109:110], v[154:155], v[119:120]
	ds_read_b128 v[107:110], v149 offset:1504
	v_add_f64 v[111:112], v[111:112], v[121:122]
	v_add_f64 v[113:114], v[113:114], v[117:118]
	s_waitcnt vmcnt(23) lgkmcnt(1)
	v_mul_f64 v[121:122], v[3:4], v[158:159]
	v_mul_f64 v[117:118], v[1:2], v[158:159]
	s_waitcnt vmcnt(21)
	v_fma_f64 v[125:126], v[5:6], v[129:130], -v[125:126]
	v_fma_f64 v[115:116], v[7:8], v[129:130], v[115:116]
	ds_read_b128 v[5:8], v149 offset:1520
	v_add_f64 v[111:112], v[111:112], v[123:124]
	v_add_f64 v[113:114], v[113:114], v[119:120]
	s_waitcnt vmcnt(17) lgkmcnt(1)
	v_mul_f64 v[123:124], v[109:110], v[133:134]
	s_waitcnt vmcnt(16)
	v_fma_f64 v[121:122], v[1:2], v[162:163], -v[121:122]
	v_mul_f64 v[119:120], v[107:108], v[133:134]
	v_fma_f64 v[117:118], v[3:4], v[162:163], v[117:118]
	ds_read_b128 v[1:4], v149 offset:1536
	v_add_f64 v[111:112], v[111:112], v[125:126]
	v_add_f64 v[113:114], v[113:114], v[115:116]
	s_waitcnt vmcnt(15) lgkmcnt(1)
	v_mul_f64 v[125:126], v[7:8], v[168:169]
	v_mul_f64 v[115:116], v[5:6], v[168:169]
	s_waitcnt vmcnt(13)
	v_fma_f64 v[123:124], v[107:108], v[150:151], -v[123:124]
	v_fma_f64 v[119:120], v[109:110], v[150:151], v[119:120]
	ds_read_b128 v[107:110], v149 offset:1552
	v_add_f64 v[111:112], v[111:112], v[121:122]
	v_add_f64 v[113:114], v[113:114], v[117:118]
	s_waitcnt vmcnt(9) lgkmcnt(1)
	v_mul_f64 v[121:122], v[3:4], v[156:157]
	s_waitcnt vmcnt(8)
	v_fma_f64 v[5:6], v[5:6], v[172:173], -v[125:126]
	v_mul_f64 v[117:118], v[1:2], v[156:157]
	v_fma_f64 v[7:8], v[7:8], v[172:173], v[115:116]
	v_add_f64 v[111:112], v[111:112], v[123:124]
	v_add_f64 v[113:114], v[113:114], v[119:120]
	s_waitcnt vmcnt(7) lgkmcnt(0)
	v_mul_f64 v[119:120], v[109:110], v[178:179]
	v_mul_f64 v[115:116], v[107:108], v[178:179]
	s_waitcnt vmcnt(5)
	v_fma_f64 v[1:2], v[1:2], v[160:161], -v[121:122]
	v_fma_f64 v[3:4], v[3:4], v[160:161], v[117:118]
	v_add_f64 v[5:6], v[111:112], v[5:6]
	v_add_f64 v[7:8], v[113:114], v[7:8]
	s_waitcnt vmcnt(4)
	v_fma_f64 v[107:108], v[107:108], v[182:183], -v[119:120]
	v_add_f64 v[1:2], v[5:6], v[1:2]
	v_fma_f64 v[5:6], v[109:110], v[182:183], v[115:116]
	v_add_f64 v[3:4], v[7:8], v[3:4]
	v_add_f64 v[1:2], v[1:2], v[107:108]
	;; [unrolled: 1-line block ×3, first 2 shown]
	s_waitcnt vmcnt(2)
	v_add_f64 v[1:2], v[164:165], -v[1:2]
	s_waitcnt vmcnt(0)
	v_add_f64 v[3:4], v[170:171], -v[3:4]
	buffer_store_dword v2, off, s[0:3], 0 offset:260
	buffer_store_dword v1, off, s[0:3], 0 offset:256
	;; [unrolled: 1-line block ×4, first 2 shown]
	v_cmpx_lt_u32_e32 14, v0
	s_cbranch_execz .LBB112_279
; %bb.278:
	v_mov_b32_e32 v4, s47
	s_clause 0x3
	buffer_load_dword v1, v4, s[0:3], 0 offen
	buffer_load_dword v2, v4, s[0:3], 0 offen offset:4
	buffer_load_dword v3, v4, s[0:3], 0 offen offset:8
	;; [unrolled: 1-line block ×3, first 2 shown]
	buffer_store_dword v149, off, s[0:3], 0 offset:240
	buffer_store_dword v149, off, s[0:3], 0 offset:244
	;; [unrolled: 1-line block ×4, first 2 shown]
	s_waitcnt vmcnt(0)
	ds_write_b128 v167, v[1:4]
.LBB112_279:
	s_or_b32 exec_lo, exec_lo, s4
	s_waitcnt lgkmcnt(0)
	s_waitcnt_vscnt null, 0x0
	s_barrier
	buffer_gl0_inv
	s_clause 0x37
	buffer_load_dword v107, off, s[0:3], 0 offset:264
	buffer_load_dword v108, off, s[0:3], 0 offset:268
	;; [unrolled: 1-line block ×56, first 2 shown]
	ds_read_b128 v[150:153], v149 offset:1024
	s_clause 0x2
	buffer_load_dword v171, off, s[0:3], 0 offset:492
	buffer_load_dword v173, off, s[0:3], 0 offset:468
	;; [unrolled: 1-line block ×3, first 2 shown]
	ds_read_b128 v[154:157], v149 offset:1040
	s_clause 0x4
	buffer_load_dword v177, off, s[0:3], 0 offset:508
	buffer_load_dword v178, off, s[0:3], 0 offset:520
	;; [unrolled: 1-line block ×5, first 2 shown]
	ds_read_b128 v[158:161], v149 offset:1056
	s_clause 0x2
	buffer_load_dword v179, off, s[0:3], 0 offset:524
	buffer_load_dword v184, off, s[0:3], 0 offset:500
	;; [unrolled: 1-line block ×3, first 2 shown]
	s_mov_b32 s4, exec_lo
	s_waitcnt vmcnt(62) lgkmcnt(2)
	v_mul_f64 v[174:175], v[152:153], v[107:108]
	v_mul_f64 v[107:108], v[150:151], v[107:108]
	s_waitcnt lgkmcnt(1)
	v_mul_f64 v[181:182], v[156:157], v[5:6]
	s_waitcnt vmcnt(59) lgkmcnt(0)
	v_mul_f64 v[185:186], v[160:161], v[3:4]
	v_fma_f64 v[150:151], v[150:151], v[7:8], -v[174:175]
	v_mul_f64 v[174:175], v[154:155], v[5:6]
	v_fma_f64 v[107:108], v[152:153], v[7:8], v[107:108]
	s_waitcnt vmcnt(57)
	v_fma_f64 v[154:155], v[154:155], v[1:2], -v[181:182]
	ds_read_b128 v[5:8], v149 offset:1072
	v_mul_f64 v[152:153], v[158:159], v[3:4]
	s_waitcnt vmcnt(51)
	v_fma_f64 v[158:159], v[158:159], v[123:124], -v[185:186]
	v_add_f64 v[150:151], v[150:151], 0
	v_fma_f64 v[156:157], v[156:157], v[1:2], v[174:175]
	v_add_f64 v[107:108], v[107:108], 0
	s_clause 0x4
	buffer_load_dword v175, off, s[0:3], 0 offset:540
	buffer_load_dword v187, off, s[0:3], 0 offset:552
	buffer_load_dword v189, off, s[0:3], 0 offset:544
	buffer_load_dword v174, off, s[0:3], 0 offset:536
	buffer_load_dword v181, off, s[0:3], 0 offset:516
	s_waitcnt lgkmcnt(0)
	v_mul_f64 v[190:191], v[5:6], v[111:112]
	v_mul_f64 v[111:112], v[7:8], v[111:112]
	ds_read_b128 v[1:4], v149 offset:1088
	v_fma_f64 v[123:124], v[160:161], v[123:124], v[152:153]
	v_add_f64 v[154:155], v[150:151], v[154:155]
	v_add_f64 v[107:108], v[107:108], v[156:157]
	s_clause 0x2
	buffer_load_dword v188, off, s[0:3], 0 offset:556
	buffer_load_dword v157, off, s[0:3], 0 offset:532
	;; [unrolled: 1-line block ×3, first 2 shown]
	s_waitcnt vmcnt(58) lgkmcnt(0)
	v_mul_f64 v[160:161], v[1:2], v[115:116]
	v_mul_f64 v[115:116], v[3:4], v[115:116]
	s_waitcnt vmcnt(56)
	v_fma_f64 v[111:112], v[5:6], v[117:118], -v[111:112]
	ds_read_b128 v[150:153], v149 offset:1104
	v_fma_f64 v[117:118], v[7:8], v[117:118], v[190:191]
	v_add_f64 v[154:155], v[154:155], v[158:159]
	v_add_f64 v[107:108], v[107:108], v[123:124]
	s_clause 0x4
	buffer_load_dword v124, off, s[0:3], 0 offset:572
	buffer_load_dword v158, off, s[0:3], 0 offset:584
	;; [unrolled: 1-line block ×5, first 2 shown]
	ds_read_b128 v[5:8], v149 offset:1120
	s_waitcnt vmcnt(57) lgkmcnt(1)
	v_mul_f64 v[191:192], v[150:151], v[119:120]
	v_mul_f64 v[119:120], v[152:153], v[119:120]
	s_waitcnt vmcnt(56)
	v_fma_f64 v[115:116], v[1:2], v[109:110], -v[115:116]
	v_fma_f64 v[109:110], v[3:4], v[109:110], v[160:161]
	v_add_f64 v[111:112], v[154:155], v[111:112]
	v_add_f64 v[107:108], v[107:108], v[117:118]
	s_clause 0x2
	buffer_load_dword v159, off, s[0:3], 0 offset:588
	buffer_load_dword v118, off, s[0:3], 0 offset:564
	;; [unrolled: 1-line block ×3, first 2 shown]
	s_waitcnt vmcnt(58) lgkmcnt(0)
	v_mul_f64 v[154:155], v[5:6], v[125:126]
	v_mul_f64 v[125:126], v[7:8], v[125:126]
	s_waitcnt vmcnt(56)
	v_fma_f64 v[119:120], v[150:151], v[127:128], -v[119:120]
	ds_read_b128 v[1:4], v149 offset:1136
	v_add_f64 v[111:112], v[111:112], v[115:116]
	v_fma_f64 v[115:116], v[152:153], v[127:128], v[191:192]
	v_add_f64 v[127:128], v[107:108], v[109:110]
	s_clause 0x4
	buffer_load_dword v151, off, s[0:3], 0 offset:604
	buffer_load_dword v152, off, s[0:3], 0 offset:616
	;; [unrolled: 1-line block ×5, first 2 shown]
	ds_read_b128 v[107:110], v149 offset:1152
	s_waitcnt vmcnt(57) lgkmcnt(1)
	v_mul_f64 v[191:192], v[1:2], v[129:130]
	v_mul_f64 v[129:130], v[3:4], v[129:130]
	s_waitcnt vmcnt(56)
	v_fma_f64 v[125:126], v[5:6], v[113:114], -v[125:126]
	v_fma_f64 v[113:114], v[7:8], v[113:114], v[154:155]
	v_add_f64 v[111:112], v[111:112], v[119:120]
	s_clause 0x2
	buffer_load_dword v153, off, s[0:3], 0 offset:620
	buffer_load_dword v120, off, s[0:3], 0 offset:596
	;; [unrolled: 1-line block ×3, first 2 shown]
	v_add_f64 v[115:116], v[127:128], v[115:116]
	s_waitcnt vmcnt(58) lgkmcnt(0)
	v_mul_f64 v[127:128], v[107:108], v[133:134]
	v_mul_f64 v[133:134], v[109:110], v[133:134]
	ds_read_b128 v[5:8], v149 offset:1168
	s_waitcnt vmcnt(56)
	v_fma_f64 v[129:130], v[1:2], v[135:136], -v[129:130]
	v_add_f64 v[111:112], v[111:112], v[125:126]
	v_fma_f64 v[125:126], v[3:4], v[135:136], v[191:192]
	v_add_f64 v[113:114], v[115:116], v[113:114]
	s_clause 0x4
	buffer_load_dword v116, off, s[0:3], 0 offset:636
	buffer_load_dword v135, off, s[0:3], 0 offset:648
	;; [unrolled: 1-line block ×5, first 2 shown]
	s_waitcnt vmcnt(57) lgkmcnt(0)
	v_mul_f64 v[191:192], v[5:6], v[137:138]
	v_mul_f64 v[137:138], v[7:8], v[137:138]
	s_waitcnt vmcnt(56)
	v_fma_f64 v[133:134], v[107:108], v[121:122], -v[133:134]
	ds_read_b128 v[1:4], v149 offset:1184
	v_fma_f64 v[121:122], v[109:110], v[121:122], v[127:128]
	v_add_f64 v[111:112], v[111:112], v[129:130]
	v_add_f64 v[113:114], v[113:114], v[125:126]
	s_clause 0x2
	buffer_load_dword v136, off, s[0:3], 0 offset:652
	buffer_load_dword v126, off, s[0:3], 0 offset:628
	;; [unrolled: 1-line block ×3, first 2 shown]
	ds_read_b128 v[107:110], v149 offset:1200
	s_waitcnt vmcnt(58) lgkmcnt(1)
	v_mul_f64 v[129:130], v[3:4], v[141:142]
	s_waitcnt vmcnt(56)
	v_fma_f64 v[137:138], v[5:6], v[143:144], -v[137:138]
	v_mul_f64 v[127:128], v[1:2], v[141:142]
	v_add_f64 v[111:112], v[111:112], v[133:134]
	v_fma_f64 v[133:134], v[7:8], v[143:144], v[191:192]
	v_add_f64 v[113:114], v[113:114], v[121:122]
	s_clause 0x4
	buffer_load_dword v122, off, s[0:3], 0 offset:668
	buffer_load_dword v141, off, s[0:3], 0 offset:680
	buffer_load_dword v143, off, s[0:3], 0 offset:672
	buffer_load_dword v121, off, s[0:3], 0 offset:664
	buffer_load_dword v155, off, s[0:3], 0 offset:644
	s_waitcnt vmcnt(57) lgkmcnt(0)
	v_mul_f64 v[191:192], v[107:108], v[145:146]
	v_mul_f64 v[144:145], v[109:110], v[145:146]
	s_waitcnt vmcnt(56)
	v_fma_f64 v[129:130], v[1:2], v[131:132], -v[129:130]
	ds_read_b128 v[5:8], v149 offset:1216
	v_fma_f64 v[127:128], v[3:4], v[131:132], v[127:128]
	s_clause 0x2
	buffer_load_dword v142, off, s[0:3], 0 offset:684
	buffer_load_dword v132, off, s[0:3], 0 offset:660
	;; [unrolled: 1-line block ×3, first 2 shown]
	ds_read_b128 v[1:4], v149 offset:1232
	v_add_f64 v[111:112], v[111:112], v[137:138]
	v_add_f64 v[113:114], v[113:114], v[133:134]
	s_waitcnt vmcnt(58) lgkmcnt(1)
	v_mul_f64 v[137:138], v[7:8], v[162:163]
	s_waitcnt vmcnt(56)
	v_fma_f64 v[145:146], v[107:108], v[164:165], -v[144:145]
	v_mul_f64 v[133:134], v[5:6], v[162:163]
	v_add_f64 v[111:112], v[111:112], v[129:130]
	v_fma_f64 v[129:130], v[109:110], v[164:165], v[191:192]
	v_add_f64 v[113:114], v[113:114], v[127:128]
	s_clause 0x4
	buffer_load_dword v128, off, s[0:3], 0 offset:700
	buffer_load_dword v162, off, s[0:3], 0 offset:712
	;; [unrolled: 1-line block ×5, first 2 shown]
	s_waitcnt vmcnt(57) lgkmcnt(0)
	v_mul_f64 v[165:166], v[1:2], v[168:169]
	v_mul_f64 v[168:169], v[3:4], v[168:169]
	s_waitcnt vmcnt(56)
	v_fma_f64 v[137:138], v[5:6], v[139:140], -v[137:138]
	ds_read_b128 v[107:110], v149 offset:1248
	v_fma_f64 v[133:134], v[7:8], v[139:140], v[133:134]
	v_add_f64 v[111:112], v[111:112], v[145:146]
	v_add_f64 v[113:114], v[113:114], v[129:130]
	s_clause 0x2
	buffer_load_dword v163, off, s[0:3], 0 offset:716
	buffer_load_dword v130, off, s[0:3], 0 offset:692
	;; [unrolled: 1-line block ×3, first 2 shown]
	ds_read_b128 v[5:8], v149 offset:1264
	s_waitcnt vmcnt(58) lgkmcnt(1)
	v_mul_f64 v[145:146], v[109:110], v[170:171]
	s_waitcnt vmcnt(56)
	v_fma_f64 v[168:169], v[1:2], v[172:173], -v[168:169]
	v_mul_f64 v[139:140], v[107:108], v[170:171]
	v_add_f64 v[111:112], v[111:112], v[137:138]
	v_fma_f64 v[137:138], v[3:4], v[172:173], v[165:166]
	v_add_f64 v[113:114], v[113:114], v[133:134]
	s_clause 0x4
	buffer_load_dword v134, off, s[0:3], 0 offset:732
	buffer_load_dword v170, off, s[0:3], 0 offset:744
	;; [unrolled: 1-line block ×5, first 2 shown]
	s_waitcnt vmcnt(57) lgkmcnt(0)
	v_mul_f64 v[191:192], v[5:6], v[176:177]
	v_mul_f64 v[176:177], v[7:8], v[176:177]
	s_waitcnt vmcnt(56)
	v_fma_f64 v[145:146], v[107:108], v[147:148], -v[145:146]
	ds_read_b128 v[1:4], v149 offset:1280
	v_fma_f64 v[139:140], v[109:110], v[147:148], v[139:140]
	v_add_f64 v[111:112], v[111:112], v[168:169]
	v_add_f64 v[113:114], v[113:114], v[137:138]
	s_clause 0x2
	buffer_load_dword v171, off, s[0:3], 0 offset:748
	buffer_load_dword v138, off, s[0:3], 0 offset:724
	;; [unrolled: 1-line block ×3, first 2 shown]
	ds_read_b128 v[107:110], v149 offset:1296
	s_waitcnt vmcnt(58) lgkmcnt(1)
	v_mul_f64 v[168:169], v[3:4], v[178:179]
	s_waitcnt vmcnt(56)
	v_fma_f64 v[176:177], v[5:6], v[183:184], -v[176:177]
	v_mul_f64 v[147:148], v[1:2], v[178:179]
	v_add_f64 v[111:112], v[111:112], v[145:146]
	v_fma_f64 v[145:146], v[7:8], v[183:184], v[191:192]
	v_add_f64 v[113:114], v[113:114], v[139:140]
	s_clause 0x4
	buffer_load_dword v140, off, s[0:3], 0 offset:764
	buffer_load_dword v178, off, s[0:3], 0 offset:776
	;; [unrolled: 1-line block ×5, first 2 shown]
	ds_read_b128 v[5:8], v149 offset:1312
	s_waitcnt vmcnt(57) lgkmcnt(1)
	v_mul_f64 v[183:184], v[107:108], v[174:175]
	v_mul_f64 v[174:175], v[109:110], v[174:175]
	s_waitcnt vmcnt(56)
	v_fma_f64 v[168:169], v[1:2], v[180:181], -v[168:169]
	v_fma_f64 v[147:148], v[3:4], v[180:181], v[147:148]
	v_add_f64 v[111:112], v[111:112], v[176:177]
	v_add_f64 v[113:114], v[113:114], v[145:146]
	s_clause 0x2
	buffer_load_dword v179, off, s[0:3], 0 offset:780
	buffer_load_dword v146, off, s[0:3], 0 offset:756
	;; [unrolled: 1-line block ×3, first 2 shown]
	ds_read_b128 v[1:4], v149 offset:1328
	s_waitcnt vmcnt(58) lgkmcnt(1)
	v_mul_f64 v[180:181], v[7:8], v[187:188]
	v_mul_f64 v[176:177], v[5:6], v[187:188]
	s_waitcnt vmcnt(56)
	v_fma_f64 v[174:175], v[107:108], v[156:157], -v[174:175]
	v_fma_f64 v[156:157], v[109:110], v[156:157], v[183:184]
	v_add_f64 v[111:112], v[111:112], v[168:169]
	v_add_f64 v[113:114], v[113:114], v[147:148]
	s_clause 0x2
	buffer_load_dword v148, off, s[0:3], 0 offset:796
	buffer_load_dword v147, off, s[0:3], 0 offset:792
	;; [unrolled: 1-line block ×3, first 2 shown]
	ds_read_b128 v[107:110], v149 offset:1344
	s_waitcnt vmcnt(55) lgkmcnt(1)
	v_mul_f64 v[168:169], v[1:2], v[123:124]
	v_mul_f64 v[123:124], v[3:4], v[123:124]
	s_waitcnt vmcnt(54)
	v_fma_f64 v[180:181], v[5:6], v[189:190], -v[180:181]
	v_add_f64 v[111:112], v[111:112], v[174:175]
	v_fma_f64 v[174:175], v[7:8], v[189:190], v[176:177]
	v_add_f64 v[113:114], v[113:114], v[156:157]
	s_clause 0x1
	buffer_load_dword v157, off, s[0:3], 0 offset:788
	buffer_load_dword v156, off, s[0:3], 0 offset:784
	ds_read_b128 v[5:8], v149 offset:1360
	s_waitcnt vmcnt(55) lgkmcnt(1)
	v_mul_f64 v[176:177], v[107:108], v[158:159]
	v_mul_f64 v[158:159], v[109:110], v[158:159]
	s_waitcnt vmcnt(53)
	v_fma_f64 v[123:124], v[1:2], v[117:118], -v[123:124]
	v_fma_f64 v[117:118], v[3:4], v[117:118], v[168:169]
	ds_read_b128 v[1:4], v149 offset:1376
	v_add_f64 v[111:112], v[111:112], v[180:181]
	v_add_f64 v[113:114], v[113:114], v[174:175]
	s_waitcnt vmcnt(49) lgkmcnt(1)
	v_mul_f64 v[168:169], v[5:6], v[150:151]
	v_mul_f64 v[150:151], v[7:8], v[150:151]
	s_waitcnt vmcnt(48)
	v_fma_f64 v[158:159], v[107:108], v[185:186], -v[158:159]
	v_add_f64 v[111:112], v[111:112], v[123:124]
	v_fma_f64 v[123:124], v[109:110], v[185:186], v[176:177]
	v_add_f64 v[113:114], v[113:114], v[117:118]
	s_clause 0x3
	buffer_load_dword v117, off, s[0:3], 0 offset:240
	buffer_load_dword v118, off, s[0:3], 0 offset:244
	;; [unrolled: 1-line block ×4, first 2 shown]
	ds_read_b128 v[107:110], v149 offset:1392
	s_waitcnt vmcnt(51) lgkmcnt(1)
	v_mul_f64 v[176:177], v[1:2], v[152:153]
	v_mul_f64 v[152:153], v[3:4], v[152:153]
	s_waitcnt vmcnt(49)
	v_fma_f64 v[150:151], v[5:6], v[119:120], -v[150:151]
	v_fma_f64 v[119:120], v[7:8], v[119:120], v[168:169]
	ds_read_b128 v[5:8], v149 offset:1408
	v_add_f64 v[111:112], v[111:112], v[158:159]
	v_add_f64 v[113:114], v[113:114], v[123:124]
	s_waitcnt vmcnt(45) lgkmcnt(1)
	v_mul_f64 v[123:124], v[107:108], v[115:116]
	v_mul_f64 v[115:116], v[109:110], v[115:116]
	s_waitcnt vmcnt(44)
	v_fma_f64 v[152:153], v[1:2], v[160:161], -v[152:153]
	v_add_f64 v[111:112], v[111:112], v[150:151]
	v_fma_f64 v[150:151], v[3:4], v[160:161], v[176:177]
	v_add_f64 v[113:114], v[113:114], v[119:120]
	ds_read_b128 v[1:4], v149 offset:1424
	s_waitcnt vmcnt(43) lgkmcnt(1)
	v_mul_f64 v[119:120], v[5:6], v[135:136]
	v_mul_f64 v[135:136], v[7:8], v[135:136]
	s_waitcnt vmcnt(41)
	v_fma_f64 v[115:116], v[107:108], v[125:126], -v[115:116]
	v_fma_f64 v[123:124], v[109:110], v[125:126], v[123:124]
	ds_read_b128 v[107:110], v149 offset:1440
	v_add_f64 v[111:112], v[111:112], v[152:153]
	v_add_f64 v[113:114], v[113:114], v[150:151]
	s_waitcnt vmcnt(37) lgkmcnt(1)
	v_mul_f64 v[125:126], v[1:2], v[121:122]
	v_mul_f64 v[121:122], v[3:4], v[121:122]
	s_waitcnt vmcnt(36)
	v_fma_f64 v[135:136], v[5:6], v[154:155], -v[135:136]
	v_add_f64 v[111:112], v[111:112], v[115:116]
	v_fma_f64 v[115:116], v[7:8], v[154:155], v[119:120]
	v_add_f64 v[113:114], v[113:114], v[123:124]
	s_waitcnt vmcnt(35) lgkmcnt(0)
	v_mul_f64 v[123:124], v[109:110], v[141:142]
	ds_read_b128 v[5:8], v149 offset:1456
	v_mul_f64 v[119:120], v[107:108], v[141:142]
	s_waitcnt vmcnt(33)
	v_fma_f64 v[125:126], v[3:4], v[131:132], v[125:126]
	v_fma_f64 v[121:122], v[1:2], v[131:132], -v[121:122]
	ds_read_b128 v[1:4], v149 offset:1472
	v_add_f64 v[111:112], v[111:112], v[135:136]
	v_add_f64 v[113:114], v[113:114], v[115:116]
	s_waitcnt vmcnt(29) lgkmcnt(1)
	v_mul_f64 v[115:116], v[5:6], v[127:128]
	v_mul_f64 v[127:128], v[7:8], v[127:128]
	s_waitcnt vmcnt(28)
	v_fma_f64 v[123:124], v[107:108], v[143:144], -v[123:124]
	v_fma_f64 v[119:120], v[109:110], v[143:144], v[119:120]
	ds_read_b128 v[107:110], v149 offset:1488
	v_add_f64 v[111:112], v[111:112], v[121:122]
	v_add_f64 v[113:114], v[113:114], v[125:126]
	s_waitcnt vmcnt(27) lgkmcnt(1)
	v_mul_f64 v[125:126], v[3:4], v[162:163]
	v_mul_f64 v[121:122], v[1:2], v[162:163]
	s_waitcnt vmcnt(25)
	v_fma_f64 v[127:128], v[5:6], v[129:130], -v[127:128]
	v_fma_f64 v[115:116], v[7:8], v[129:130], v[115:116]
	ds_read_b128 v[5:8], v149 offset:1504
	v_add_f64 v[111:112], v[111:112], v[123:124]
	v_add_f64 v[113:114], v[113:114], v[119:120]
	s_waitcnt vmcnt(21) lgkmcnt(1)
	v_mul_f64 v[123:124], v[109:110], v[133:134]
	s_waitcnt vmcnt(20)
	v_fma_f64 v[125:126], v[1:2], v[164:165], -v[125:126]
	v_mul_f64 v[119:120], v[107:108], v[133:134]
	v_fma_f64 v[121:122], v[3:4], v[164:165], v[121:122]
	ds_read_b128 v[1:4], v149 offset:1520
	v_add_f64 v[111:112], v[111:112], v[127:128]
	v_add_f64 v[113:114], v[113:114], v[115:116]
	s_waitcnt vmcnt(19) lgkmcnt(1)
	v_mul_f64 v[127:128], v[7:8], v[170:171]
	v_mul_f64 v[115:116], v[5:6], v[170:171]
	s_waitcnt vmcnt(17)
	v_fma_f64 v[123:124], v[107:108], v[137:138], -v[123:124]
	v_fma_f64 v[119:120], v[109:110], v[137:138], v[119:120]
	ds_read_b128 v[107:110], v149 offset:1536
	v_add_f64 v[111:112], v[111:112], v[125:126]
	v_add_f64 v[113:114], v[113:114], v[121:122]
	s_waitcnt vmcnt(13) lgkmcnt(1)
	v_mul_f64 v[125:126], v[3:4], v[139:140]
	s_waitcnt vmcnt(12)
	v_fma_f64 v[127:128], v[5:6], v[172:173], -v[127:128]
	v_mul_f64 v[121:122], v[1:2], v[139:140]
	v_fma_f64 v[115:116], v[7:8], v[172:173], v[115:116]
	ds_read_b128 v[5:8], v149 offset:1552
	v_add_f64 v[111:112], v[111:112], v[123:124]
	v_add_f64 v[113:114], v[113:114], v[119:120]
	s_waitcnt vmcnt(11) lgkmcnt(1)
	v_mul_f64 v[123:124], v[109:110], v[178:179]
	v_mul_f64 v[119:120], v[107:108], v[178:179]
	s_waitcnt vmcnt(9)
	v_fma_f64 v[1:2], v[1:2], v[145:146], -v[125:126]
	v_fma_f64 v[3:4], v[3:4], v[145:146], v[121:122]
	v_add_f64 v[111:112], v[111:112], v[127:128]
	v_add_f64 v[113:114], v[113:114], v[115:116]
	s_waitcnt vmcnt(7) lgkmcnt(0)
	v_mul_f64 v[121:122], v[7:8], v[147:148]
	s_waitcnt vmcnt(6)
	v_fma_f64 v[107:108], v[107:108], v[182:183], -v[123:124]
	v_mul_f64 v[115:116], v[5:6], v[147:148]
	v_fma_f64 v[109:110], v[109:110], v[182:183], v[119:120]
	v_add_f64 v[1:2], v[111:112], v[1:2]
	v_add_f64 v[3:4], v[113:114], v[3:4]
	s_waitcnt vmcnt(4)
	v_fma_f64 v[5:6], v[5:6], v[156:157], -v[121:122]
	v_fma_f64 v[7:8], v[7:8], v[156:157], v[115:116]
	v_add_f64 v[1:2], v[1:2], v[107:108]
	v_add_f64 v[3:4], v[3:4], v[109:110]
	;; [unrolled: 1-line block ×4, first 2 shown]
	s_waitcnt vmcnt(2)
	v_add_f64 v[1:2], v[117:118], -v[1:2]
	s_waitcnt vmcnt(0)
	v_add_f64 v[3:4], v[174:175], -v[3:4]
	buffer_store_dword v2, off, s[0:3], 0 offset:244
	buffer_store_dword v1, off, s[0:3], 0 offset:240
	;; [unrolled: 1-line block ×4, first 2 shown]
	v_cmpx_lt_u32_e32 13, v0
	s_cbranch_execz .LBB112_281
; %bb.280:
	v_mov_b32_e32 v4, s48
	v_mov_b32_e32 v5, 0
	s_clause 0x3
	buffer_load_dword v1, v4, s[0:3], 0 offen
	buffer_load_dword v2, v4, s[0:3], 0 offen offset:4
	buffer_load_dword v3, v4, s[0:3], 0 offen offset:8
	;; [unrolled: 1-line block ×3, first 2 shown]
	buffer_store_dword v5, off, s[0:3], 0 offset:224
	buffer_store_dword v5, off, s[0:3], 0 offset:228
	;; [unrolled: 1-line block ×4, first 2 shown]
	s_waitcnt vmcnt(0)
	ds_write_b128 v167, v[1:4]
.LBB112_281:
	s_or_b32 exec_lo, exec_lo, s4
	s_waitcnt lgkmcnt(0)
	s_waitcnt_vscnt null, 0x0
	s_barrier
	buffer_gl0_inv
	s_clause 0x37
	buffer_load_dword v107, off, s[0:3], 0 offset:248
	buffer_load_dword v108, off, s[0:3], 0 offset:252
	;; [unrolled: 1-line block ×56, first 2 shown]
	v_mov_b32_e32 v159, 0
	s_mov_b32 s4, exec_lo
	ds_read_b128 v[160:163], v159 offset:1008
	s_clause 0x2
	buffer_load_dword v156, off, s[0:3], 0 offset:476
	buffer_load_dword v158, off, s[0:3], 0 offset:452
	;; [unrolled: 1-line block ×3, first 2 shown]
	ds_read_b128 v[168:171], v159 offset:1024
	s_clause 0x4
	buffer_load_dword v177, off, s[0:3], 0 offset:492
	buffer_load_dword v178, off, s[0:3], 0 offset:504
	buffer_load_dword v180, off, s[0:3], 0 offset:496
	buffer_load_dword v176, off, s[0:3], 0 offset:488
	buffer_load_dword v148, off, s[0:3], 0 offset:468
	ds_read_b128 v[172:175], v159 offset:1040
	s_clause 0x2
	buffer_load_dword v179, off, s[0:3], 0 offset:508
	buffer_load_dword v184, off, s[0:3], 0 offset:484
	;; [unrolled: 1-line block ×3, first 2 shown]
	s_waitcnt vmcnt(62) lgkmcnt(2)
	v_mul_f64 v[164:165], v[162:163], v[107:108]
	v_mul_f64 v[107:108], v[160:161], v[107:108]
	s_waitcnt lgkmcnt(1)
	v_mul_f64 v[181:182], v[170:171], v[5:6]
	s_waitcnt vmcnt(59) lgkmcnt(0)
	v_mul_f64 v[185:186], v[174:175], v[3:4]
	v_fma_f64 v[160:161], v[160:161], v[7:8], -v[164:165]
	v_mul_f64 v[164:165], v[168:169], v[5:6]
	v_fma_f64 v[107:108], v[162:163], v[7:8], v[107:108]
	s_waitcnt vmcnt(57)
	v_fma_f64 v[168:169], v[168:169], v[1:2], -v[181:182]
	ds_read_b128 v[5:8], v159 offset:1056
	v_mul_f64 v[162:163], v[172:173], v[3:4]
	s_waitcnt vmcnt(51)
	v_fma_f64 v[172:173], v[172:173], v[123:124], -v[185:186]
	v_add_f64 v[160:161], v[160:161], 0
	v_fma_f64 v[164:165], v[170:171], v[1:2], v[164:165]
	v_add_f64 v[107:108], v[107:108], 0
	s_clause 0x4
	buffer_load_dword v171, off, s[0:3], 0 offset:524
	buffer_load_dword v187, off, s[0:3], 0 offset:536
	;; [unrolled: 1-line block ×5, first 2 shown]
	s_waitcnt lgkmcnt(0)
	v_mul_f64 v[190:191], v[5:6], v[111:112]
	v_mul_f64 v[111:112], v[7:8], v[111:112]
	ds_read_b128 v[1:4], v159 offset:1072
	v_fma_f64 v[123:124], v[174:175], v[123:124], v[162:163]
	v_add_f64 v[168:169], v[160:161], v[168:169]
	v_add_f64 v[107:108], v[107:108], v[164:165]
	s_clause 0x2
	buffer_load_dword v188, off, s[0:3], 0 offset:540
	buffer_load_dword v165, off, s[0:3], 0 offset:516
	;; [unrolled: 1-line block ×3, first 2 shown]
	s_waitcnt vmcnt(58) lgkmcnt(0)
	v_mul_f64 v[174:175], v[1:2], v[115:116]
	v_mul_f64 v[115:116], v[3:4], v[115:116]
	s_waitcnt vmcnt(56)
	v_fma_f64 v[111:112], v[5:6], v[117:118], -v[111:112]
	ds_read_b128 v[160:163], v159 offset:1088
	v_fma_f64 v[117:118], v[7:8], v[117:118], v[190:191]
	v_add_f64 v[168:169], v[168:169], v[172:173]
	v_add_f64 v[107:108], v[107:108], v[123:124]
	s_clause 0x4
	buffer_load_dword v124, off, s[0:3], 0 offset:556
	buffer_load_dword v172, off, s[0:3], 0 offset:568
	;; [unrolled: 1-line block ×5, first 2 shown]
	ds_read_b128 v[5:8], v159 offset:1104
	s_waitcnt vmcnt(57) lgkmcnt(1)
	v_mul_f64 v[191:192], v[160:161], v[119:120]
	v_mul_f64 v[119:120], v[162:163], v[119:120]
	s_waitcnt vmcnt(56)
	v_fma_f64 v[115:116], v[1:2], v[109:110], -v[115:116]
	v_fma_f64 v[109:110], v[3:4], v[109:110], v[174:175]
	v_add_f64 v[111:112], v[168:169], v[111:112]
	v_add_f64 v[107:108], v[107:108], v[117:118]
	s_clause 0x2
	buffer_load_dword v173, off, s[0:3], 0 offset:572
	buffer_load_dword v118, off, s[0:3], 0 offset:548
	;; [unrolled: 1-line block ×3, first 2 shown]
	s_waitcnt vmcnt(58) lgkmcnt(0)
	v_mul_f64 v[168:169], v[5:6], v[125:126]
	v_mul_f64 v[125:126], v[7:8], v[125:126]
	s_waitcnt vmcnt(56)
	v_fma_f64 v[119:120], v[160:161], v[127:128], -v[119:120]
	ds_read_b128 v[1:4], v159 offset:1120
	v_add_f64 v[111:112], v[111:112], v[115:116]
	v_fma_f64 v[115:116], v[162:163], v[127:128], v[191:192]
	v_add_f64 v[127:128], v[107:108], v[109:110]
	s_clause 0x4
	buffer_load_dword v161, off, s[0:3], 0 offset:588
	buffer_load_dword v162, off, s[0:3], 0 offset:600
	;; [unrolled: 1-line block ×5, first 2 shown]
	ds_read_b128 v[107:110], v159 offset:1136
	s_waitcnt vmcnt(57) lgkmcnt(1)
	v_mul_f64 v[191:192], v[1:2], v[129:130]
	v_mul_f64 v[129:130], v[3:4], v[129:130]
	s_waitcnt vmcnt(56)
	v_fma_f64 v[125:126], v[5:6], v[113:114], -v[125:126]
	v_fma_f64 v[113:114], v[7:8], v[113:114], v[168:169]
	v_add_f64 v[111:112], v[111:112], v[119:120]
	s_clause 0x2
	buffer_load_dword v163, off, s[0:3], 0 offset:604
	buffer_load_dword v120, off, s[0:3], 0 offset:580
	;; [unrolled: 1-line block ×3, first 2 shown]
	v_add_f64 v[115:116], v[127:128], v[115:116]
	s_waitcnt vmcnt(58) lgkmcnt(0)
	v_mul_f64 v[127:128], v[107:108], v[133:134]
	v_mul_f64 v[133:134], v[109:110], v[133:134]
	ds_read_b128 v[5:8], v159 offset:1152
	s_waitcnt vmcnt(56)
	v_fma_f64 v[129:130], v[1:2], v[135:136], -v[129:130]
	v_add_f64 v[111:112], v[111:112], v[125:126]
	v_fma_f64 v[125:126], v[3:4], v[135:136], v[191:192]
	v_add_f64 v[113:114], v[115:116], v[113:114]
	s_clause 0x4
	buffer_load_dword v116, off, s[0:3], 0 offset:620
	buffer_load_dword v135, off, s[0:3], 0 offset:632
	;; [unrolled: 1-line block ×5, first 2 shown]
	s_waitcnt vmcnt(57) lgkmcnt(0)
	v_mul_f64 v[191:192], v[5:6], v[137:138]
	v_mul_f64 v[137:138], v[7:8], v[137:138]
	s_waitcnt vmcnt(56)
	v_fma_f64 v[133:134], v[107:108], v[121:122], -v[133:134]
	ds_read_b128 v[1:4], v159 offset:1168
	v_fma_f64 v[121:122], v[109:110], v[121:122], v[127:128]
	v_add_f64 v[111:112], v[111:112], v[129:130]
	v_add_f64 v[113:114], v[113:114], v[125:126]
	s_clause 0x2
	buffer_load_dword v136, off, s[0:3], 0 offset:636
	buffer_load_dword v126, off, s[0:3], 0 offset:612
	;; [unrolled: 1-line block ×3, first 2 shown]
	ds_read_b128 v[107:110], v159 offset:1184
	s_waitcnt vmcnt(58) lgkmcnt(1)
	v_mul_f64 v[129:130], v[3:4], v[141:142]
	s_waitcnt vmcnt(56)
	v_fma_f64 v[137:138], v[5:6], v[143:144], -v[137:138]
	v_mul_f64 v[127:128], v[1:2], v[141:142]
	v_add_f64 v[111:112], v[111:112], v[133:134]
	v_fma_f64 v[133:134], v[7:8], v[143:144], v[191:192]
	v_add_f64 v[113:114], v[113:114], v[121:122]
	s_clause 0x4
	buffer_load_dword v122, off, s[0:3], 0 offset:652
	buffer_load_dword v141, off, s[0:3], 0 offset:664
	;; [unrolled: 1-line block ×5, first 2 shown]
	s_waitcnt vmcnt(57) lgkmcnt(0)
	v_mul_f64 v[191:192], v[107:108], v[145:146]
	v_mul_f64 v[144:145], v[109:110], v[145:146]
	s_waitcnt vmcnt(56)
	v_fma_f64 v[129:130], v[1:2], v[131:132], -v[129:130]
	ds_read_b128 v[5:8], v159 offset:1200
	v_fma_f64 v[127:128], v[3:4], v[131:132], v[127:128]
	s_clause 0x2
	buffer_load_dword v142, off, s[0:3], 0 offset:668
	buffer_load_dword v132, off, s[0:3], 0 offset:644
	;; [unrolled: 1-line block ×3, first 2 shown]
	ds_read_b128 v[1:4], v159 offset:1216
	v_add_f64 v[111:112], v[111:112], v[137:138]
	v_add_f64 v[113:114], v[113:114], v[133:134]
	s_waitcnt vmcnt(58) lgkmcnt(1)
	v_mul_f64 v[137:138], v[7:8], v[149:150]
	s_waitcnt vmcnt(56)
	v_fma_f64 v[145:146], v[107:108], v[151:152], -v[144:145]
	v_mul_f64 v[133:134], v[5:6], v[149:150]
	v_add_f64 v[111:112], v[111:112], v[129:130]
	v_fma_f64 v[129:130], v[109:110], v[151:152], v[191:192]
	v_add_f64 v[113:114], v[113:114], v[127:128]
	s_clause 0x4
	buffer_load_dword v128, off, s[0:3], 0 offset:684
	buffer_load_dword v149, off, s[0:3], 0 offset:696
	buffer_load_dword v151, off, s[0:3], 0 offset:688
	buffer_load_dword v127, off, s[0:3], 0 offset:680
	buffer_load_dword v144, off, s[0:3], 0 offset:660
	s_waitcnt vmcnt(57) lgkmcnt(0)
	v_mul_f64 v[191:192], v[1:2], v[153:154]
	v_mul_f64 v[152:153], v[3:4], v[153:154]
	s_waitcnt vmcnt(56)
	v_fma_f64 v[137:138], v[5:6], v[139:140], -v[137:138]
	ds_read_b128 v[107:110], v159 offset:1232
	v_fma_f64 v[133:134], v[7:8], v[139:140], v[133:134]
	v_add_f64 v[111:112], v[111:112], v[145:146]
	v_add_f64 v[113:114], v[113:114], v[129:130]
	s_clause 0x2
	buffer_load_dword v150, off, s[0:3], 0 offset:700
	buffer_load_dword v130, off, s[0:3], 0 offset:676
	;; [unrolled: 1-line block ×3, first 2 shown]
	ds_read_b128 v[5:8], v159 offset:1248
	s_waitcnt vmcnt(58) lgkmcnt(1)
	v_mul_f64 v[145:146], v[109:110], v[155:156]
	s_waitcnt vmcnt(56)
	v_fma_f64 v[153:154], v[1:2], v[157:158], -v[152:153]
	v_mul_f64 v[139:140], v[107:108], v[155:156]
	v_add_f64 v[111:112], v[111:112], v[137:138]
	v_fma_f64 v[137:138], v[3:4], v[157:158], v[191:192]
	v_add_f64 v[113:114], v[113:114], v[133:134]
	s_clause 0x4
	buffer_load_dword v134, off, s[0:3], 0 offset:716
	buffer_load_dword v155, off, s[0:3], 0 offset:728
	;; [unrolled: 1-line block ×5, first 2 shown]
	s_waitcnt vmcnt(57) lgkmcnt(0)
	v_mul_f64 v[191:192], v[5:6], v[176:177]
	v_mul_f64 v[176:177], v[7:8], v[176:177]
	s_waitcnt vmcnt(56)
	v_fma_f64 v[145:146], v[107:108], v[147:148], -v[145:146]
	ds_read_b128 v[1:4], v159 offset:1264
	v_fma_f64 v[139:140], v[109:110], v[147:148], v[139:140]
	v_add_f64 v[111:112], v[111:112], v[153:154]
	v_add_f64 v[113:114], v[113:114], v[137:138]
	s_clause 0x2
	buffer_load_dword v156, off, s[0:3], 0 offset:732
	buffer_load_dword v138, off, s[0:3], 0 offset:708
	;; [unrolled: 1-line block ×3, first 2 shown]
	ds_read_b128 v[107:110], v159 offset:1280
	s_waitcnt vmcnt(58) lgkmcnt(1)
	v_mul_f64 v[153:154], v[3:4], v[178:179]
	s_waitcnt vmcnt(56)
	v_fma_f64 v[176:177], v[5:6], v[183:184], -v[176:177]
	v_mul_f64 v[147:148], v[1:2], v[178:179]
	v_add_f64 v[111:112], v[111:112], v[145:146]
	v_fma_f64 v[145:146], v[7:8], v[183:184], v[191:192]
	v_add_f64 v[113:114], v[113:114], v[139:140]
	s_clause 0x4
	buffer_load_dword v140, off, s[0:3], 0 offset:748
	buffer_load_dword v178, off, s[0:3], 0 offset:760
	;; [unrolled: 1-line block ×5, first 2 shown]
	ds_read_b128 v[5:8], v159 offset:1296
	s_waitcnt vmcnt(57) lgkmcnt(1)
	v_mul_f64 v[183:184], v[107:108], v[170:171]
	v_mul_f64 v[170:171], v[109:110], v[170:171]
	s_waitcnt vmcnt(56)
	v_fma_f64 v[153:154], v[1:2], v[180:181], -v[153:154]
	v_fma_f64 v[147:148], v[3:4], v[180:181], v[147:148]
	v_add_f64 v[111:112], v[111:112], v[176:177]
	v_add_f64 v[113:114], v[113:114], v[145:146]
	s_clause 0x2
	buffer_load_dword v179, off, s[0:3], 0 offset:764
	buffer_load_dword v146, off, s[0:3], 0 offset:740
	;; [unrolled: 1-line block ×3, first 2 shown]
	ds_read_b128 v[1:4], v159 offset:1312
	s_waitcnt vmcnt(58) lgkmcnt(1)
	v_mul_f64 v[180:181], v[7:8], v[187:188]
	v_mul_f64 v[176:177], v[5:6], v[187:188]
	s_waitcnt vmcnt(56)
	v_fma_f64 v[170:171], v[107:108], v[164:165], -v[170:171]
	v_add_f64 v[111:112], v[111:112], v[153:154]
	v_fma_f64 v[153:154], v[109:110], v[164:165], v[183:184]
	v_add_f64 v[113:114], v[113:114], v[147:148]
	s_clause 0x4
	buffer_load_dword v148, off, s[0:3], 0 offset:780
	buffer_load_dword v164, off, s[0:3], 0 offset:792
	;; [unrolled: 1-line block ×5, first 2 shown]
	ds_read_b128 v[107:110], v159 offset:1328
	s_waitcnt vmcnt(57) lgkmcnt(1)
	v_mul_f64 v[191:192], v[1:2], v[123:124]
	v_mul_f64 v[123:124], v[3:4], v[123:124]
	s_waitcnt vmcnt(56)
	v_fma_f64 v[180:181], v[5:6], v[189:190], -v[180:181]
	v_add_f64 v[111:112], v[111:112], v[170:171]
	v_fma_f64 v[170:171], v[7:8], v[189:190], v[176:177]
	v_add_f64 v[113:114], v[113:114], v[153:154]
	s_clause 0x2
	buffer_load_dword v165, off, s[0:3], 0 offset:796
	buffer_load_dword v154, off, s[0:3], 0 offset:772
	;; [unrolled: 1-line block ×3, first 2 shown]
	ds_read_b128 v[5:8], v159 offset:1344
	buffer_load_dword v188, off, s[0:3], 0 offset:788
	s_waitcnt vmcnt(59) lgkmcnt(1)
	v_mul_f64 v[176:177], v[107:108], v[172:173]
	v_mul_f64 v[172:173], v[109:110], v[172:173]
	s_waitcnt vmcnt(57)
	v_fma_f64 v[123:124], v[1:2], v[117:118], -v[123:124]
	v_fma_f64 v[117:118], v[3:4], v[117:118], v[191:192]
	ds_read_b128 v[1:4], v159 offset:1360
	v_add_f64 v[111:112], v[111:112], v[180:181]
	v_add_f64 v[113:114], v[113:114], v[170:171]
	s_waitcnt vmcnt(53) lgkmcnt(1)
	v_mul_f64 v[170:171], v[5:6], v[160:161]
	v_mul_f64 v[160:161], v[7:8], v[160:161]
	s_waitcnt vmcnt(52)
	v_fma_f64 v[172:173], v[107:108], v[185:186], -v[172:173]
	v_add_f64 v[111:112], v[111:112], v[123:124]
	v_fma_f64 v[123:124], v[109:110], v[185:186], v[176:177]
	v_add_f64 v[113:114], v[113:114], v[117:118]
	ds_read_b128 v[107:110], v159 offset:1376
	s_waitcnt vmcnt(51) lgkmcnt(1)
	v_mul_f64 v[117:118], v[1:2], v[162:163]
	v_mul_f64 v[162:163], v[3:4], v[162:163]
	s_waitcnt vmcnt(49)
	v_fma_f64 v[160:161], v[5:6], v[119:120], -v[160:161]
	v_fma_f64 v[119:120], v[7:8], v[119:120], v[170:171]
	v_add_f64 v[111:112], v[111:112], v[172:173]
	v_add_f64 v[113:114], v[113:114], v[123:124]
	s_clause 0x3
	buffer_load_dword v123, off, s[0:3], 0 offset:224
	buffer_load_dword v124, off, s[0:3], 0 offset:228
	;; [unrolled: 1-line block ×4, first 2 shown]
	ds_read_b128 v[5:8], v159 offset:1392
	s_waitcnt vmcnt(49) lgkmcnt(1)
	v_mul_f64 v[172:173], v[107:108], v[115:116]
	v_mul_f64 v[115:116], v[109:110], v[115:116]
	s_waitcnt vmcnt(48)
	v_fma_f64 v[162:163], v[1:2], v[174:175], -v[162:163]
	v_fma_f64 v[117:118], v[3:4], v[174:175], v[117:118]
	ds_read_b128 v[1:4], v159 offset:1408
	v_add_f64 v[111:112], v[111:112], v[160:161]
	v_add_f64 v[113:114], v[113:114], v[119:120]
	s_waitcnt vmcnt(47) lgkmcnt(1)
	v_mul_f64 v[119:120], v[5:6], v[135:136]
	v_mul_f64 v[135:136], v[7:8], v[135:136]
	s_waitcnt vmcnt(45)
	v_fma_f64 v[115:116], v[107:108], v[125:126], -v[115:116]
	v_fma_f64 v[125:126], v[109:110], v[125:126], v[172:173]
	ds_read_b128 v[107:110], v159 offset:1424
	v_add_f64 v[111:112], v[111:112], v[162:163]
	v_add_f64 v[113:114], v[113:114], v[117:118]
	s_waitcnt vmcnt(41) lgkmcnt(1)
	v_mul_f64 v[117:118], v[1:2], v[121:122]
	v_mul_f64 v[121:122], v[3:4], v[121:122]
	s_waitcnt vmcnt(40)
	v_fma_f64 v[135:136], v[5:6], v[168:169], -v[135:136]
	v_add_f64 v[111:112], v[111:112], v[115:116]
	v_fma_f64 v[115:116], v[7:8], v[168:169], v[119:120]
	v_add_f64 v[113:114], v[113:114], v[125:126]
	ds_read_b128 v[5:8], v159 offset:1440
	s_waitcnt vmcnt(39) lgkmcnt(1)
	v_mul_f64 v[125:126], v[109:110], v[141:142]
	v_mul_f64 v[119:120], v[107:108], v[141:142]
	s_waitcnt vmcnt(37)
	v_fma_f64 v[117:118], v[3:4], v[131:132], v[117:118]
	v_fma_f64 v[121:122], v[1:2], v[131:132], -v[121:122]
	ds_read_b128 v[1:4], v159 offset:1456
	v_add_f64 v[111:112], v[111:112], v[135:136]
	v_add_f64 v[113:114], v[113:114], v[115:116]
	s_waitcnt vmcnt(33) lgkmcnt(1)
	v_mul_f64 v[115:116], v[5:6], v[127:128]
	v_mul_f64 v[127:128], v[7:8], v[127:128]
	s_waitcnt vmcnt(32)
	v_fma_f64 v[125:126], v[107:108], v[143:144], -v[125:126]
	v_fma_f64 v[119:120], v[109:110], v[143:144], v[119:120]
	ds_read_b128 v[107:110], v159 offset:1472
	v_add_f64 v[111:112], v[111:112], v[121:122]
	v_add_f64 v[113:114], v[113:114], v[117:118]
	s_waitcnt vmcnt(31) lgkmcnt(1)
	v_mul_f64 v[121:122], v[3:4], v[149:150]
	v_mul_f64 v[117:118], v[1:2], v[149:150]
	s_waitcnt vmcnt(29)
	v_fma_f64 v[127:128], v[5:6], v[129:130], -v[127:128]
	v_fma_f64 v[115:116], v[7:8], v[129:130], v[115:116]
	ds_read_b128 v[5:8], v159 offset:1488
	v_add_f64 v[111:112], v[111:112], v[125:126]
	v_add_f64 v[113:114], v[113:114], v[119:120]
	s_waitcnt vmcnt(25) lgkmcnt(1)
	v_mul_f64 v[125:126], v[109:110], v[133:134]
	s_waitcnt vmcnt(24)
	v_fma_f64 v[121:122], v[1:2], v[151:152], -v[121:122]
	v_mul_f64 v[119:120], v[107:108], v[133:134]
	v_fma_f64 v[117:118], v[3:4], v[151:152], v[117:118]
	ds_read_b128 v[1:4], v159 offset:1504
	v_add_f64 v[111:112], v[111:112], v[127:128]
	v_add_f64 v[113:114], v[113:114], v[115:116]
	s_waitcnt vmcnt(23) lgkmcnt(1)
	v_mul_f64 v[127:128], v[7:8], v[155:156]
	v_mul_f64 v[115:116], v[5:6], v[155:156]
	s_waitcnt vmcnt(21)
	v_fma_f64 v[125:126], v[107:108], v[137:138], -v[125:126]
	v_fma_f64 v[119:120], v[109:110], v[137:138], v[119:120]
	ds_read_b128 v[107:110], v159 offset:1520
	v_add_f64 v[111:112], v[111:112], v[121:122]
	v_add_f64 v[113:114], v[113:114], v[117:118]
	s_waitcnt vmcnt(17) lgkmcnt(1)
	v_mul_f64 v[121:122], v[3:4], v[139:140]
	s_waitcnt vmcnt(16)
	v_fma_f64 v[127:128], v[5:6], v[157:158], -v[127:128]
	v_mul_f64 v[117:118], v[1:2], v[139:140]
	;; [unrolled: 18-line block ×3, first 2 shown]
	v_fma_f64 v[109:110], v[109:110], v[182:183], v[119:120]
	v_add_f64 v[111:112], v[111:112], v[121:122]
	v_add_f64 v[113:114], v[113:114], v[117:118]
	s_waitcnt vmcnt(7) lgkmcnt(0)
	v_mul_f64 v[119:120], v[3:4], v[164:165]
	v_mul_f64 v[117:118], v[1:2], v[164:165]
	s_waitcnt vmcnt(5)
	v_fma_f64 v[5:6], v[5:6], v[153:154], -v[127:128]
	v_fma_f64 v[7:8], v[7:8], v[153:154], v[115:116]
	v_add_f64 v[107:108], v[111:112], v[107:108]
	v_add_f64 v[109:110], v[113:114], v[109:110]
	s_waitcnt vmcnt(4)
	v_fma_f64 v[1:2], v[1:2], v[187:188], -v[119:120]
	v_fma_f64 v[3:4], v[3:4], v[187:188], v[117:118]
	v_add_f64 v[5:6], v[107:108], v[5:6]
	v_add_f64 v[7:8], v[109:110], v[7:8]
	;; [unrolled: 1-line block ×4, first 2 shown]
	s_waitcnt vmcnt(2)
	v_add_f64 v[1:2], v[123:124], -v[1:2]
	s_waitcnt vmcnt(0)
	v_add_f64 v[3:4], v[170:171], -v[3:4]
	buffer_store_dword v2, off, s[0:3], 0 offset:228
	buffer_store_dword v1, off, s[0:3], 0 offset:224
	;; [unrolled: 1-line block ×4, first 2 shown]
	v_cmpx_lt_u32_e32 12, v0
	s_cbranch_execz .LBB112_283
; %bb.282:
	v_mov_b32_e32 v4, s49
	s_clause 0x3
	buffer_load_dword v1, v4, s[0:3], 0 offen
	buffer_load_dword v2, v4, s[0:3], 0 offen offset:4
	buffer_load_dword v3, v4, s[0:3], 0 offen offset:8
	;; [unrolled: 1-line block ×3, first 2 shown]
	buffer_store_dword v159, off, s[0:3], 0 offset:208
	buffer_store_dword v159, off, s[0:3], 0 offset:212
	;; [unrolled: 1-line block ×4, first 2 shown]
	s_waitcnt vmcnt(0)
	ds_write_b128 v167, v[1:4]
.LBB112_283:
	s_or_b32 exec_lo, exec_lo, s4
	s_waitcnt lgkmcnt(0)
	s_waitcnt_vscnt null, 0x0
	s_barrier
	buffer_gl0_inv
	s_clause 0x37
	buffer_load_dword v107, off, s[0:3], 0 offset:232
	buffer_load_dword v108, off, s[0:3], 0 offset:236
	;; [unrolled: 1-line block ×56, first 2 shown]
	ds_read_b128 v[160:163], v159 offset:992
	s_clause 0x2
	buffer_load_dword v156, off, s[0:3], 0 offset:460
	buffer_load_dword v158, off, s[0:3], 0 offset:436
	;; [unrolled: 1-line block ×3, first 2 shown]
	ds_read_b128 v[168:171], v159 offset:1008
	s_clause 0x4
	buffer_load_dword v177, off, s[0:3], 0 offset:476
	buffer_load_dword v178, off, s[0:3], 0 offset:488
	;; [unrolled: 1-line block ×5, first 2 shown]
	ds_read_b128 v[172:175], v159 offset:1024
	s_clause 0x2
	buffer_load_dword v179, off, s[0:3], 0 offset:492
	buffer_load_dword v184, off, s[0:3], 0 offset:468
	buffer_load_dword v183, off, s[0:3], 0 offset:464
	s_mov_b32 s4, exec_lo
	s_waitcnt vmcnt(62) lgkmcnt(2)
	v_mul_f64 v[164:165], v[162:163], v[107:108]
	v_mul_f64 v[107:108], v[160:161], v[107:108]
	s_waitcnt lgkmcnt(1)
	v_mul_f64 v[181:182], v[170:171], v[5:6]
	s_waitcnt vmcnt(59) lgkmcnt(0)
	v_mul_f64 v[185:186], v[174:175], v[3:4]
	v_fma_f64 v[160:161], v[160:161], v[7:8], -v[164:165]
	v_mul_f64 v[164:165], v[168:169], v[5:6]
	v_fma_f64 v[107:108], v[162:163], v[7:8], v[107:108]
	s_waitcnt vmcnt(57)
	v_fma_f64 v[168:169], v[168:169], v[1:2], -v[181:182]
	ds_read_b128 v[5:8], v159 offset:1040
	v_mul_f64 v[162:163], v[172:173], v[3:4]
	s_waitcnt vmcnt(51)
	v_fma_f64 v[172:173], v[172:173], v[123:124], -v[185:186]
	v_add_f64 v[160:161], v[160:161], 0
	v_fma_f64 v[164:165], v[170:171], v[1:2], v[164:165]
	v_add_f64 v[107:108], v[107:108], 0
	s_clause 0x4
	buffer_load_dword v171, off, s[0:3], 0 offset:508
	buffer_load_dword v187, off, s[0:3], 0 offset:520
	;; [unrolled: 1-line block ×5, first 2 shown]
	s_waitcnt lgkmcnt(0)
	v_mul_f64 v[190:191], v[5:6], v[111:112]
	v_mul_f64 v[111:112], v[7:8], v[111:112]
	ds_read_b128 v[1:4], v159 offset:1056
	v_fma_f64 v[123:124], v[174:175], v[123:124], v[162:163]
	v_add_f64 v[168:169], v[160:161], v[168:169]
	v_add_f64 v[107:108], v[107:108], v[164:165]
	s_clause 0x2
	buffer_load_dword v188, off, s[0:3], 0 offset:524
	buffer_load_dword v165, off, s[0:3], 0 offset:500
	;; [unrolled: 1-line block ×3, first 2 shown]
	s_waitcnt vmcnt(58) lgkmcnt(0)
	v_mul_f64 v[174:175], v[1:2], v[115:116]
	v_mul_f64 v[115:116], v[3:4], v[115:116]
	s_waitcnt vmcnt(56)
	v_fma_f64 v[111:112], v[5:6], v[117:118], -v[111:112]
	ds_read_b128 v[160:163], v159 offset:1072
	v_fma_f64 v[117:118], v[7:8], v[117:118], v[190:191]
	v_add_f64 v[168:169], v[168:169], v[172:173]
	v_add_f64 v[107:108], v[107:108], v[123:124]
	s_clause 0x4
	buffer_load_dword v124, off, s[0:3], 0 offset:540
	buffer_load_dword v172, off, s[0:3], 0 offset:552
	;; [unrolled: 1-line block ×5, first 2 shown]
	ds_read_b128 v[5:8], v159 offset:1088
	s_waitcnt vmcnt(57) lgkmcnt(1)
	v_mul_f64 v[191:192], v[160:161], v[119:120]
	v_mul_f64 v[119:120], v[162:163], v[119:120]
	s_waitcnt vmcnt(56)
	v_fma_f64 v[115:116], v[1:2], v[109:110], -v[115:116]
	v_fma_f64 v[109:110], v[3:4], v[109:110], v[174:175]
	v_add_f64 v[111:112], v[168:169], v[111:112]
	v_add_f64 v[107:108], v[107:108], v[117:118]
	s_clause 0x2
	buffer_load_dword v173, off, s[0:3], 0 offset:556
	buffer_load_dword v118, off, s[0:3], 0 offset:532
	;; [unrolled: 1-line block ×3, first 2 shown]
	s_waitcnt vmcnt(58) lgkmcnt(0)
	v_mul_f64 v[168:169], v[5:6], v[125:126]
	v_mul_f64 v[125:126], v[7:8], v[125:126]
	s_waitcnt vmcnt(56)
	v_fma_f64 v[119:120], v[160:161], v[127:128], -v[119:120]
	ds_read_b128 v[1:4], v159 offset:1104
	v_add_f64 v[111:112], v[111:112], v[115:116]
	v_fma_f64 v[115:116], v[162:163], v[127:128], v[191:192]
	v_add_f64 v[127:128], v[107:108], v[109:110]
	s_clause 0x4
	buffer_load_dword v161, off, s[0:3], 0 offset:572
	buffer_load_dword v162, off, s[0:3], 0 offset:584
	;; [unrolled: 1-line block ×5, first 2 shown]
	ds_read_b128 v[107:110], v159 offset:1120
	s_waitcnt vmcnt(57) lgkmcnt(1)
	v_mul_f64 v[191:192], v[1:2], v[129:130]
	v_mul_f64 v[129:130], v[3:4], v[129:130]
	s_waitcnt vmcnt(56)
	v_fma_f64 v[125:126], v[5:6], v[113:114], -v[125:126]
	v_fma_f64 v[113:114], v[7:8], v[113:114], v[168:169]
	v_add_f64 v[111:112], v[111:112], v[119:120]
	s_clause 0x2
	buffer_load_dword v163, off, s[0:3], 0 offset:588
	buffer_load_dword v120, off, s[0:3], 0 offset:564
	;; [unrolled: 1-line block ×3, first 2 shown]
	v_add_f64 v[115:116], v[127:128], v[115:116]
	s_waitcnt vmcnt(58) lgkmcnt(0)
	v_mul_f64 v[127:128], v[107:108], v[133:134]
	v_mul_f64 v[133:134], v[109:110], v[133:134]
	ds_read_b128 v[5:8], v159 offset:1136
	s_waitcnt vmcnt(56)
	v_fma_f64 v[129:130], v[1:2], v[135:136], -v[129:130]
	v_add_f64 v[111:112], v[111:112], v[125:126]
	v_fma_f64 v[125:126], v[3:4], v[135:136], v[191:192]
	v_add_f64 v[113:114], v[115:116], v[113:114]
	s_clause 0x4
	buffer_load_dword v116, off, s[0:3], 0 offset:604
	buffer_load_dword v135, off, s[0:3], 0 offset:616
	;; [unrolled: 1-line block ×5, first 2 shown]
	s_waitcnt vmcnt(57) lgkmcnt(0)
	v_mul_f64 v[191:192], v[5:6], v[137:138]
	v_mul_f64 v[137:138], v[7:8], v[137:138]
	s_waitcnt vmcnt(56)
	v_fma_f64 v[133:134], v[107:108], v[121:122], -v[133:134]
	ds_read_b128 v[1:4], v159 offset:1152
	v_fma_f64 v[121:122], v[109:110], v[121:122], v[127:128]
	v_add_f64 v[111:112], v[111:112], v[129:130]
	v_add_f64 v[113:114], v[113:114], v[125:126]
	s_clause 0x2
	buffer_load_dword v136, off, s[0:3], 0 offset:620
	buffer_load_dword v126, off, s[0:3], 0 offset:596
	buffer_load_dword v125, off, s[0:3], 0 offset:592
	ds_read_b128 v[107:110], v159 offset:1168
	s_waitcnt vmcnt(58) lgkmcnt(1)
	v_mul_f64 v[129:130], v[3:4], v[141:142]
	s_waitcnt vmcnt(56)
	v_fma_f64 v[137:138], v[5:6], v[143:144], -v[137:138]
	v_mul_f64 v[127:128], v[1:2], v[141:142]
	v_add_f64 v[111:112], v[111:112], v[133:134]
	v_fma_f64 v[133:134], v[7:8], v[143:144], v[191:192]
	v_add_f64 v[113:114], v[113:114], v[121:122]
	s_clause 0x4
	buffer_load_dword v122, off, s[0:3], 0 offset:636
	buffer_load_dword v141, off, s[0:3], 0 offset:648
	buffer_load_dword v143, off, s[0:3], 0 offset:640
	buffer_load_dword v121, off, s[0:3], 0 offset:632
	buffer_load_dword v169, off, s[0:3], 0 offset:612
	s_waitcnt vmcnt(57) lgkmcnt(0)
	v_mul_f64 v[191:192], v[107:108], v[145:146]
	v_mul_f64 v[144:145], v[109:110], v[145:146]
	s_waitcnt vmcnt(56)
	v_fma_f64 v[129:130], v[1:2], v[131:132], -v[129:130]
	ds_read_b128 v[5:8], v159 offset:1184
	v_fma_f64 v[127:128], v[3:4], v[131:132], v[127:128]
	s_clause 0x2
	buffer_load_dword v142, off, s[0:3], 0 offset:652
	buffer_load_dword v132, off, s[0:3], 0 offset:628
	;; [unrolled: 1-line block ×3, first 2 shown]
	ds_read_b128 v[1:4], v159 offset:1200
	v_add_f64 v[111:112], v[111:112], v[137:138]
	v_add_f64 v[113:114], v[113:114], v[133:134]
	s_waitcnt vmcnt(58) lgkmcnt(1)
	v_mul_f64 v[137:138], v[7:8], v[149:150]
	s_waitcnt vmcnt(56)
	v_fma_f64 v[145:146], v[107:108], v[151:152], -v[144:145]
	v_mul_f64 v[133:134], v[5:6], v[149:150]
	v_add_f64 v[111:112], v[111:112], v[129:130]
	v_fma_f64 v[129:130], v[109:110], v[151:152], v[191:192]
	v_add_f64 v[113:114], v[113:114], v[127:128]
	s_clause 0x4
	buffer_load_dword v128, off, s[0:3], 0 offset:668
	buffer_load_dword v149, off, s[0:3], 0 offset:680
	;; [unrolled: 1-line block ×5, first 2 shown]
	s_waitcnt vmcnt(57) lgkmcnt(0)
	v_mul_f64 v[191:192], v[1:2], v[153:154]
	v_mul_f64 v[152:153], v[3:4], v[153:154]
	s_waitcnt vmcnt(56)
	v_fma_f64 v[137:138], v[5:6], v[139:140], -v[137:138]
	ds_read_b128 v[107:110], v159 offset:1216
	v_fma_f64 v[133:134], v[7:8], v[139:140], v[133:134]
	v_add_f64 v[111:112], v[111:112], v[145:146]
	v_add_f64 v[113:114], v[113:114], v[129:130]
	s_clause 0x2
	buffer_load_dword v150, off, s[0:3], 0 offset:684
	buffer_load_dword v130, off, s[0:3], 0 offset:660
	buffer_load_dword v129, off, s[0:3], 0 offset:656
	ds_read_b128 v[5:8], v159 offset:1232
	s_waitcnt vmcnt(58) lgkmcnt(1)
	v_mul_f64 v[145:146], v[109:110], v[155:156]
	s_waitcnt vmcnt(56)
	v_fma_f64 v[153:154], v[1:2], v[157:158], -v[152:153]
	v_mul_f64 v[139:140], v[107:108], v[155:156]
	v_add_f64 v[111:112], v[111:112], v[137:138]
	v_fma_f64 v[137:138], v[3:4], v[157:158], v[191:192]
	v_add_f64 v[113:114], v[113:114], v[133:134]
	s_clause 0x4
	buffer_load_dword v134, off, s[0:3], 0 offset:700
	buffer_load_dword v155, off, s[0:3], 0 offset:712
	;; [unrolled: 1-line block ×5, first 2 shown]
	s_waitcnt vmcnt(57) lgkmcnt(0)
	v_mul_f64 v[191:192], v[5:6], v[176:177]
	v_mul_f64 v[176:177], v[7:8], v[176:177]
	s_waitcnt vmcnt(56)
	v_fma_f64 v[145:146], v[107:108], v[147:148], -v[145:146]
	ds_read_b128 v[1:4], v159 offset:1248
	v_fma_f64 v[139:140], v[109:110], v[147:148], v[139:140]
	v_add_f64 v[111:112], v[111:112], v[153:154]
	v_add_f64 v[113:114], v[113:114], v[137:138]
	s_clause 0x2
	buffer_load_dword v156, off, s[0:3], 0 offset:716
	buffer_load_dword v138, off, s[0:3], 0 offset:692
	;; [unrolled: 1-line block ×3, first 2 shown]
	ds_read_b128 v[107:110], v159 offset:1264
	s_waitcnt vmcnt(58) lgkmcnt(1)
	v_mul_f64 v[153:154], v[3:4], v[178:179]
	s_waitcnt vmcnt(56)
	v_fma_f64 v[176:177], v[5:6], v[183:184], -v[176:177]
	v_mul_f64 v[147:148], v[1:2], v[178:179]
	v_add_f64 v[111:112], v[111:112], v[145:146]
	v_fma_f64 v[145:146], v[7:8], v[183:184], v[191:192]
	v_add_f64 v[113:114], v[113:114], v[139:140]
	s_clause 0x4
	buffer_load_dword v140, off, s[0:3], 0 offset:732
	buffer_load_dword v178, off, s[0:3], 0 offset:744
	;; [unrolled: 1-line block ×5, first 2 shown]
	ds_read_b128 v[5:8], v159 offset:1280
	s_waitcnt vmcnt(57) lgkmcnt(1)
	v_mul_f64 v[183:184], v[107:108], v[170:171]
	v_mul_f64 v[170:171], v[109:110], v[170:171]
	s_waitcnt vmcnt(56)
	v_fma_f64 v[153:154], v[1:2], v[180:181], -v[153:154]
	v_fma_f64 v[147:148], v[3:4], v[180:181], v[147:148]
	v_add_f64 v[111:112], v[111:112], v[176:177]
	v_add_f64 v[113:114], v[113:114], v[145:146]
	s_clause 0x2
	buffer_load_dword v179, off, s[0:3], 0 offset:748
	buffer_load_dword v146, off, s[0:3], 0 offset:724
	;; [unrolled: 1-line block ×3, first 2 shown]
	ds_read_b128 v[1:4], v159 offset:1296
	s_waitcnt vmcnt(58) lgkmcnt(1)
	v_mul_f64 v[180:181], v[7:8], v[187:188]
	v_mul_f64 v[176:177], v[5:6], v[187:188]
	s_waitcnt vmcnt(56)
	v_fma_f64 v[170:171], v[107:108], v[164:165], -v[170:171]
	v_add_f64 v[111:112], v[111:112], v[153:154]
	v_fma_f64 v[153:154], v[109:110], v[164:165], v[183:184]
	v_add_f64 v[113:114], v[113:114], v[147:148]
	s_clause 0x4
	buffer_load_dword v148, off, s[0:3], 0 offset:764
	buffer_load_dword v164, off, s[0:3], 0 offset:776
	;; [unrolled: 1-line block ×5, first 2 shown]
	ds_read_b128 v[107:110], v159 offset:1312
	s_waitcnt vmcnt(57) lgkmcnt(1)
	v_mul_f64 v[191:192], v[1:2], v[123:124]
	v_mul_f64 v[123:124], v[3:4], v[123:124]
	s_waitcnt vmcnt(56)
	v_fma_f64 v[180:181], v[5:6], v[189:190], -v[180:181]
	v_add_f64 v[111:112], v[111:112], v[170:171]
	v_fma_f64 v[170:171], v[7:8], v[189:190], v[176:177]
	v_add_f64 v[113:114], v[113:114], v[153:154]
	s_clause 0x2
	buffer_load_dword v165, off, s[0:3], 0 offset:780
	buffer_load_dword v154, off, s[0:3], 0 offset:756
	;; [unrolled: 1-line block ×3, first 2 shown]
	ds_read_b128 v[5:8], v159 offset:1328
	s_waitcnt vmcnt(58) lgkmcnt(1)
	v_mul_f64 v[176:177], v[107:108], v[172:173]
	v_mul_f64 v[172:173], v[109:110], v[172:173]
	s_waitcnt vmcnt(56)
	v_fma_f64 v[123:124], v[1:2], v[117:118], -v[123:124]
	v_fma_f64 v[117:118], v[3:4], v[117:118], v[191:192]
	v_add_f64 v[111:112], v[111:112], v[180:181]
	v_add_f64 v[113:114], v[113:114], v[170:171]
	s_clause 0x2
	buffer_load_dword v171, off, s[0:3], 0 offset:796
	buffer_load_dword v170, off, s[0:3], 0 offset:792
	;; [unrolled: 1-line block ×3, first 2 shown]
	ds_read_b128 v[1:4], v159 offset:1344
	s_waitcnt vmcnt(55) lgkmcnt(1)
	v_mul_f64 v[180:181], v[5:6], v[160:161]
	v_mul_f64 v[160:161], v[7:8], v[160:161]
	s_waitcnt vmcnt(54)
	v_fma_f64 v[172:173], v[107:108], v[185:186], -v[172:173]
	v_add_f64 v[111:112], v[111:112], v[123:124]
	v_fma_f64 v[123:124], v[109:110], v[185:186], v[176:177]
	v_add_f64 v[113:114], v[113:114], v[117:118]
	s_clause 0x1
	buffer_load_dword v118, off, s[0:3], 0 offset:788
	buffer_load_dword v117, off, s[0:3], 0 offset:784
	ds_read_b128 v[107:110], v159 offset:1360
	s_waitcnt vmcnt(55) lgkmcnt(1)
	v_mul_f64 v[176:177], v[1:2], v[162:163]
	v_mul_f64 v[162:163], v[3:4], v[162:163]
	s_waitcnt vmcnt(53)
	v_fma_f64 v[160:161], v[5:6], v[119:120], -v[160:161]
	v_fma_f64 v[119:120], v[7:8], v[119:120], v[180:181]
	ds_read_b128 v[5:8], v159 offset:1376
	v_add_f64 v[111:112], v[111:112], v[172:173]
	v_add_f64 v[113:114], v[113:114], v[123:124]
	s_waitcnt vmcnt(49) lgkmcnt(1)
	v_mul_f64 v[123:124], v[107:108], v[115:116]
	v_mul_f64 v[115:116], v[109:110], v[115:116]
	s_waitcnt vmcnt(48)
	v_fma_f64 v[162:163], v[1:2], v[174:175], -v[162:163]
	v_add_f64 v[111:112], v[111:112], v[160:161]
	v_fma_f64 v[160:161], v[3:4], v[174:175], v[176:177]
	v_add_f64 v[113:114], v[113:114], v[119:120]
	s_clause 0x3
	buffer_load_dword v119, off, s[0:3], 0 offset:208
	buffer_load_dword v120, off, s[0:3], 0 offset:212
	;; [unrolled: 1-line block ×4, first 2 shown]
	ds_read_b128 v[1:4], v159 offset:1392
	s_waitcnt vmcnt(51) lgkmcnt(1)
	v_mul_f64 v[174:175], v[5:6], v[135:136]
	v_mul_f64 v[135:136], v[7:8], v[135:136]
	s_waitcnt vmcnt(49)
	v_fma_f64 v[115:116], v[107:108], v[125:126], -v[115:116]
	v_fma_f64 v[123:124], v[109:110], v[125:126], v[123:124]
	ds_read_b128 v[107:110], v159 offset:1408
	v_add_f64 v[111:112], v[111:112], v[162:163]
	v_add_f64 v[113:114], v[113:114], v[160:161]
	s_waitcnt vmcnt(45) lgkmcnt(1)
	v_mul_f64 v[125:126], v[1:2], v[121:122]
	v_mul_f64 v[121:122], v[3:4], v[121:122]
	s_waitcnt vmcnt(44)
	v_fma_f64 v[135:136], v[5:6], v[168:169], -v[135:136]
	v_add_f64 v[111:112], v[111:112], v[115:116]
	v_fma_f64 v[115:116], v[7:8], v[168:169], v[174:175]
	v_add_f64 v[113:114], v[113:114], v[123:124]
	s_waitcnt vmcnt(43) lgkmcnt(0)
	v_mul_f64 v[123:124], v[107:108], v[141:142]
	v_mul_f64 v[141:142], v[109:110], v[141:142]
	ds_read_b128 v[5:8], v159 offset:1424
	s_waitcnt vmcnt(41)
	v_fma_f64 v[125:126], v[3:4], v[131:132], v[125:126]
	v_fma_f64 v[121:122], v[1:2], v[131:132], -v[121:122]
	ds_read_b128 v[1:4], v159 offset:1440
	v_add_f64 v[111:112], v[111:112], v[135:136]
	v_add_f64 v[113:114], v[113:114], v[115:116]
	s_waitcnt vmcnt(37) lgkmcnt(1)
	v_mul_f64 v[115:116], v[5:6], v[127:128]
	v_mul_f64 v[127:128], v[7:8], v[127:128]
	s_waitcnt vmcnt(36)
	v_fma_f64 v[131:132], v[107:108], v[143:144], -v[141:142]
	v_add_f64 v[111:112], v[111:112], v[121:122]
	v_fma_f64 v[121:122], v[109:110], v[143:144], v[123:124]
	v_add_f64 v[113:114], v[113:114], v[125:126]
	ds_read_b128 v[107:110], v159 offset:1456
	s_waitcnt vmcnt(35) lgkmcnt(1)
	v_mul_f64 v[125:126], v[3:4], v[149:150]
	v_mul_f64 v[123:124], v[1:2], v[149:150]
	s_waitcnt vmcnt(33)
	v_fma_f64 v[127:128], v[5:6], v[129:130], -v[127:128]
	v_fma_f64 v[115:116], v[7:8], v[129:130], v[115:116]
	ds_read_b128 v[5:8], v159 offset:1472
	v_add_f64 v[111:112], v[111:112], v[131:132]
	v_add_f64 v[113:114], v[113:114], v[121:122]
	s_waitcnt vmcnt(29) lgkmcnt(1)
	v_mul_f64 v[129:130], v[109:110], v[133:134]
	s_waitcnt vmcnt(28)
	v_fma_f64 v[125:126], v[1:2], v[151:152], -v[125:126]
	v_mul_f64 v[121:122], v[107:108], v[133:134]
	v_fma_f64 v[123:124], v[3:4], v[151:152], v[123:124]
	ds_read_b128 v[1:4], v159 offset:1488
	v_add_f64 v[111:112], v[111:112], v[127:128]
	v_add_f64 v[113:114], v[113:114], v[115:116]
	s_waitcnt vmcnt(27) lgkmcnt(1)
	v_mul_f64 v[127:128], v[7:8], v[155:156]
	v_mul_f64 v[115:116], v[5:6], v[155:156]
	s_waitcnt vmcnt(25)
	v_fma_f64 v[129:130], v[107:108], v[137:138], -v[129:130]
	v_fma_f64 v[121:122], v[109:110], v[137:138], v[121:122]
	ds_read_b128 v[107:110], v159 offset:1504
	v_add_f64 v[111:112], v[111:112], v[125:126]
	v_add_f64 v[113:114], v[113:114], v[123:124]
	s_waitcnt vmcnt(21) lgkmcnt(1)
	v_mul_f64 v[125:126], v[3:4], v[139:140]
	s_waitcnt vmcnt(20)
	v_fma_f64 v[127:128], v[5:6], v[157:158], -v[127:128]
	v_mul_f64 v[123:124], v[1:2], v[139:140]
	v_fma_f64 v[115:116], v[7:8], v[157:158], v[115:116]
	ds_read_b128 v[5:8], v159 offset:1520
	v_add_f64 v[111:112], v[111:112], v[129:130]
	v_add_f64 v[113:114], v[113:114], v[121:122]
	;; [unrolled: 18-line block ×3, first 2 shown]
	s_waitcnt vmcnt(11) lgkmcnt(1)
	v_mul_f64 v[125:126], v[3:4], v[164:165]
	v_mul_f64 v[123:124], v[1:2], v[164:165]
	s_waitcnt vmcnt(9)
	v_fma_f64 v[5:6], v[5:6], v[153:154], -v[127:128]
	v_fma_f64 v[7:8], v[7:8], v[153:154], v[115:116]
	v_add_f64 v[111:112], v[111:112], v[129:130]
	v_add_f64 v[113:114], v[113:114], v[121:122]
	s_waitcnt vmcnt(7) lgkmcnt(0)
	v_mul_f64 v[121:122], v[109:110], v[170:171]
	s_waitcnt vmcnt(6)
	v_fma_f64 v[1:2], v[1:2], v[187:188], -v[125:126]
	v_mul_f64 v[115:116], v[107:108], v[170:171]
	v_fma_f64 v[3:4], v[3:4], v[187:188], v[123:124]
	v_add_f64 v[5:6], v[111:112], v[5:6]
	v_add_f64 v[7:8], v[113:114], v[7:8]
	s_waitcnt vmcnt(4)
	v_fma_f64 v[107:108], v[107:108], v[117:118], -v[121:122]
	v_add_f64 v[1:2], v[5:6], v[1:2]
	v_fma_f64 v[5:6], v[109:110], v[117:118], v[115:116]
	v_add_f64 v[3:4], v[7:8], v[3:4]
	v_add_f64 v[1:2], v[1:2], v[107:108]
	;; [unrolled: 1-line block ×3, first 2 shown]
	s_waitcnt vmcnt(2)
	v_add_f64 v[1:2], v[119:120], -v[1:2]
	s_waitcnt vmcnt(0)
	v_add_f64 v[3:4], v[172:173], -v[3:4]
	buffer_store_dword v2, off, s[0:3], 0 offset:212
	buffer_store_dword v1, off, s[0:3], 0 offset:208
	;; [unrolled: 1-line block ×4, first 2 shown]
	v_cmpx_lt_u32_e32 11, v0
	s_cbranch_execz .LBB112_285
; %bb.284:
	v_mov_b32_e32 v4, s50
	v_mov_b32_e32 v5, 0
	s_clause 0x3
	buffer_load_dword v1, v4, s[0:3], 0 offen
	buffer_load_dword v2, v4, s[0:3], 0 offen offset:4
	buffer_load_dword v3, v4, s[0:3], 0 offen offset:8
	buffer_load_dword v4, v4, s[0:3], 0 offen offset:12
	buffer_store_dword v5, off, s[0:3], 0 offset:192
	buffer_store_dword v5, off, s[0:3], 0 offset:196
	;; [unrolled: 1-line block ×4, first 2 shown]
	s_waitcnt vmcnt(0)
	ds_write_b128 v167, v[1:4]
.LBB112_285:
	s_or_b32 exec_lo, exec_lo, s4
	s_waitcnt lgkmcnt(0)
	s_waitcnt_vscnt null, 0x0
	s_barrier
	buffer_gl0_inv
	s_clause 0x37
	buffer_load_dword v107, off, s[0:3], 0 offset:216
	buffer_load_dword v108, off, s[0:3], 0 offset:220
	;; [unrolled: 1-line block ×56, first 2 shown]
	v_mov_b32_e32 v159, 0
	s_mov_b32 s4, exec_lo
	ds_read_b128 v[160:163], v159 offset:976
	s_clause 0x2
	buffer_load_dword v156, off, s[0:3], 0 offset:444
	buffer_load_dword v158, off, s[0:3], 0 offset:420
	;; [unrolled: 1-line block ×3, first 2 shown]
	ds_read_b128 v[168:171], v159 offset:992
	s_clause 0x4
	buffer_load_dword v177, off, s[0:3], 0 offset:460
	buffer_load_dword v178, off, s[0:3], 0 offset:472
	;; [unrolled: 1-line block ×5, first 2 shown]
	ds_read_b128 v[172:175], v159 offset:1008
	s_clause 0x2
	buffer_load_dword v179, off, s[0:3], 0 offset:476
	buffer_load_dword v184, off, s[0:3], 0 offset:452
	;; [unrolled: 1-line block ×3, first 2 shown]
	s_waitcnt vmcnt(62) lgkmcnt(2)
	v_mul_f64 v[164:165], v[162:163], v[107:108]
	v_mul_f64 v[107:108], v[160:161], v[107:108]
	s_waitcnt lgkmcnt(1)
	v_mul_f64 v[181:182], v[170:171], v[5:6]
	s_waitcnt vmcnt(59) lgkmcnt(0)
	v_mul_f64 v[185:186], v[174:175], v[3:4]
	v_fma_f64 v[160:161], v[160:161], v[7:8], -v[164:165]
	v_mul_f64 v[164:165], v[168:169], v[5:6]
	v_fma_f64 v[107:108], v[162:163], v[7:8], v[107:108]
	s_waitcnt vmcnt(57)
	v_fma_f64 v[168:169], v[168:169], v[1:2], -v[181:182]
	ds_read_b128 v[5:8], v159 offset:1024
	v_mul_f64 v[162:163], v[172:173], v[3:4]
	s_waitcnt vmcnt(51)
	v_fma_f64 v[172:173], v[172:173], v[123:124], -v[185:186]
	v_add_f64 v[160:161], v[160:161], 0
	v_fma_f64 v[164:165], v[170:171], v[1:2], v[164:165]
	v_add_f64 v[107:108], v[107:108], 0
	s_clause 0x4
	buffer_load_dword v171, off, s[0:3], 0 offset:492
	buffer_load_dword v187, off, s[0:3], 0 offset:504
	buffer_load_dword v189, off, s[0:3], 0 offset:496
	buffer_load_dword v170, off, s[0:3], 0 offset:488
	buffer_load_dword v181, off, s[0:3], 0 offset:468
	s_waitcnt lgkmcnt(0)
	v_mul_f64 v[190:191], v[5:6], v[111:112]
	v_mul_f64 v[111:112], v[7:8], v[111:112]
	ds_read_b128 v[1:4], v159 offset:1040
	v_fma_f64 v[123:124], v[174:175], v[123:124], v[162:163]
	v_add_f64 v[168:169], v[160:161], v[168:169]
	v_add_f64 v[107:108], v[107:108], v[164:165]
	s_clause 0x2
	buffer_load_dword v188, off, s[0:3], 0 offset:508
	buffer_load_dword v165, off, s[0:3], 0 offset:484
	;; [unrolled: 1-line block ×3, first 2 shown]
	s_waitcnt vmcnt(58) lgkmcnt(0)
	v_mul_f64 v[174:175], v[1:2], v[115:116]
	v_mul_f64 v[115:116], v[3:4], v[115:116]
	s_waitcnt vmcnt(56)
	v_fma_f64 v[111:112], v[5:6], v[117:118], -v[111:112]
	ds_read_b128 v[160:163], v159 offset:1056
	v_fma_f64 v[117:118], v[7:8], v[117:118], v[190:191]
	v_add_f64 v[168:169], v[168:169], v[172:173]
	v_add_f64 v[107:108], v[107:108], v[123:124]
	s_clause 0x4
	buffer_load_dword v124, off, s[0:3], 0 offset:524
	buffer_load_dword v172, off, s[0:3], 0 offset:536
	;; [unrolled: 1-line block ×5, first 2 shown]
	ds_read_b128 v[5:8], v159 offset:1072
	s_waitcnt vmcnt(57) lgkmcnt(1)
	v_mul_f64 v[191:192], v[160:161], v[119:120]
	v_mul_f64 v[119:120], v[162:163], v[119:120]
	s_waitcnt vmcnt(56)
	v_fma_f64 v[115:116], v[1:2], v[109:110], -v[115:116]
	v_fma_f64 v[109:110], v[3:4], v[109:110], v[174:175]
	v_add_f64 v[111:112], v[168:169], v[111:112]
	v_add_f64 v[107:108], v[107:108], v[117:118]
	s_clause 0x2
	buffer_load_dword v173, off, s[0:3], 0 offset:540
	buffer_load_dword v118, off, s[0:3], 0 offset:516
	;; [unrolled: 1-line block ×3, first 2 shown]
	s_waitcnt vmcnt(58) lgkmcnt(0)
	v_mul_f64 v[168:169], v[5:6], v[125:126]
	v_mul_f64 v[125:126], v[7:8], v[125:126]
	s_waitcnt vmcnt(56)
	v_fma_f64 v[119:120], v[160:161], v[127:128], -v[119:120]
	ds_read_b128 v[1:4], v159 offset:1088
	v_add_f64 v[111:112], v[111:112], v[115:116]
	v_fma_f64 v[115:116], v[162:163], v[127:128], v[191:192]
	v_add_f64 v[127:128], v[107:108], v[109:110]
	s_clause 0x4
	buffer_load_dword v161, off, s[0:3], 0 offset:556
	buffer_load_dword v162, off, s[0:3], 0 offset:568
	;; [unrolled: 1-line block ×5, first 2 shown]
	ds_read_b128 v[107:110], v159 offset:1104
	s_waitcnt vmcnt(57) lgkmcnt(1)
	v_mul_f64 v[191:192], v[1:2], v[129:130]
	v_mul_f64 v[129:130], v[3:4], v[129:130]
	s_waitcnt vmcnt(56)
	v_fma_f64 v[125:126], v[5:6], v[113:114], -v[125:126]
	v_fma_f64 v[113:114], v[7:8], v[113:114], v[168:169]
	v_add_f64 v[111:112], v[111:112], v[119:120]
	s_clause 0x2
	buffer_load_dword v163, off, s[0:3], 0 offset:572
	buffer_load_dword v120, off, s[0:3], 0 offset:548
	;; [unrolled: 1-line block ×3, first 2 shown]
	v_add_f64 v[115:116], v[127:128], v[115:116]
	s_waitcnt vmcnt(58) lgkmcnt(0)
	v_mul_f64 v[127:128], v[107:108], v[133:134]
	v_mul_f64 v[133:134], v[109:110], v[133:134]
	ds_read_b128 v[5:8], v159 offset:1120
	s_waitcnt vmcnt(56)
	v_fma_f64 v[129:130], v[1:2], v[135:136], -v[129:130]
	v_add_f64 v[111:112], v[111:112], v[125:126]
	v_fma_f64 v[125:126], v[3:4], v[135:136], v[191:192]
	v_add_f64 v[113:114], v[115:116], v[113:114]
	s_clause 0x4
	buffer_load_dword v116, off, s[0:3], 0 offset:588
	buffer_load_dword v135, off, s[0:3], 0 offset:600
	;; [unrolled: 1-line block ×5, first 2 shown]
	s_waitcnt vmcnt(57) lgkmcnt(0)
	v_mul_f64 v[191:192], v[5:6], v[137:138]
	v_mul_f64 v[137:138], v[7:8], v[137:138]
	s_waitcnt vmcnt(56)
	v_fma_f64 v[133:134], v[107:108], v[121:122], -v[133:134]
	ds_read_b128 v[1:4], v159 offset:1136
	v_fma_f64 v[121:122], v[109:110], v[121:122], v[127:128]
	v_add_f64 v[111:112], v[111:112], v[129:130]
	v_add_f64 v[113:114], v[113:114], v[125:126]
	s_clause 0x2
	buffer_load_dword v136, off, s[0:3], 0 offset:604
	buffer_load_dword v126, off, s[0:3], 0 offset:580
	;; [unrolled: 1-line block ×3, first 2 shown]
	ds_read_b128 v[107:110], v159 offset:1152
	s_waitcnt vmcnt(58) lgkmcnt(1)
	v_mul_f64 v[129:130], v[3:4], v[141:142]
	s_waitcnt vmcnt(56)
	v_fma_f64 v[137:138], v[5:6], v[143:144], -v[137:138]
	v_mul_f64 v[127:128], v[1:2], v[141:142]
	v_add_f64 v[111:112], v[111:112], v[133:134]
	v_fma_f64 v[133:134], v[7:8], v[143:144], v[191:192]
	v_add_f64 v[113:114], v[113:114], v[121:122]
	s_clause 0x4
	buffer_load_dword v122, off, s[0:3], 0 offset:620
	buffer_load_dword v141, off, s[0:3], 0 offset:632
	;; [unrolled: 1-line block ×5, first 2 shown]
	s_waitcnt vmcnt(57) lgkmcnt(0)
	v_mul_f64 v[191:192], v[107:108], v[145:146]
	v_mul_f64 v[144:145], v[109:110], v[145:146]
	s_waitcnt vmcnt(56)
	v_fma_f64 v[129:130], v[1:2], v[131:132], -v[129:130]
	ds_read_b128 v[5:8], v159 offset:1168
	v_fma_f64 v[127:128], v[3:4], v[131:132], v[127:128]
	s_clause 0x2
	buffer_load_dword v142, off, s[0:3], 0 offset:636
	buffer_load_dword v132, off, s[0:3], 0 offset:612
	;; [unrolled: 1-line block ×3, first 2 shown]
	ds_read_b128 v[1:4], v159 offset:1184
	v_add_f64 v[111:112], v[111:112], v[137:138]
	v_add_f64 v[113:114], v[113:114], v[133:134]
	s_waitcnt vmcnt(58) lgkmcnt(1)
	v_mul_f64 v[137:138], v[7:8], v[149:150]
	s_waitcnt vmcnt(56)
	v_fma_f64 v[145:146], v[107:108], v[151:152], -v[144:145]
	v_mul_f64 v[133:134], v[5:6], v[149:150]
	v_add_f64 v[111:112], v[111:112], v[129:130]
	v_fma_f64 v[129:130], v[109:110], v[151:152], v[191:192]
	v_add_f64 v[113:114], v[113:114], v[127:128]
	s_clause 0x4
	buffer_load_dword v128, off, s[0:3], 0 offset:652
	buffer_load_dword v149, off, s[0:3], 0 offset:664
	;; [unrolled: 1-line block ×5, first 2 shown]
	s_waitcnt vmcnt(57) lgkmcnt(0)
	v_mul_f64 v[191:192], v[1:2], v[153:154]
	v_mul_f64 v[152:153], v[3:4], v[153:154]
	s_waitcnt vmcnt(56)
	v_fma_f64 v[137:138], v[5:6], v[139:140], -v[137:138]
	ds_read_b128 v[107:110], v159 offset:1200
	v_fma_f64 v[133:134], v[7:8], v[139:140], v[133:134]
	v_add_f64 v[111:112], v[111:112], v[145:146]
	v_add_f64 v[113:114], v[113:114], v[129:130]
	s_clause 0x2
	buffer_load_dword v150, off, s[0:3], 0 offset:668
	buffer_load_dword v130, off, s[0:3], 0 offset:644
	buffer_load_dword v129, off, s[0:3], 0 offset:640
	ds_read_b128 v[5:8], v159 offset:1216
	s_waitcnt vmcnt(58) lgkmcnt(1)
	v_mul_f64 v[145:146], v[109:110], v[155:156]
	s_waitcnt vmcnt(56)
	v_fma_f64 v[153:154], v[1:2], v[157:158], -v[152:153]
	v_mul_f64 v[139:140], v[107:108], v[155:156]
	v_add_f64 v[111:112], v[111:112], v[137:138]
	v_fma_f64 v[137:138], v[3:4], v[157:158], v[191:192]
	v_add_f64 v[113:114], v[113:114], v[133:134]
	s_clause 0x4
	buffer_load_dword v134, off, s[0:3], 0 offset:684
	buffer_load_dword v155, off, s[0:3], 0 offset:696
	;; [unrolled: 1-line block ×5, first 2 shown]
	s_waitcnt vmcnt(57) lgkmcnt(0)
	v_mul_f64 v[191:192], v[5:6], v[176:177]
	v_mul_f64 v[176:177], v[7:8], v[176:177]
	s_waitcnt vmcnt(56)
	v_fma_f64 v[145:146], v[107:108], v[147:148], -v[145:146]
	ds_read_b128 v[1:4], v159 offset:1232
	v_fma_f64 v[139:140], v[109:110], v[147:148], v[139:140]
	v_add_f64 v[111:112], v[111:112], v[153:154]
	v_add_f64 v[113:114], v[113:114], v[137:138]
	s_clause 0x2
	buffer_load_dword v156, off, s[0:3], 0 offset:700
	buffer_load_dword v138, off, s[0:3], 0 offset:676
	;; [unrolled: 1-line block ×3, first 2 shown]
	ds_read_b128 v[107:110], v159 offset:1248
	s_waitcnt vmcnt(58) lgkmcnt(1)
	v_mul_f64 v[153:154], v[3:4], v[178:179]
	s_waitcnt vmcnt(56)
	v_fma_f64 v[176:177], v[5:6], v[183:184], -v[176:177]
	v_mul_f64 v[147:148], v[1:2], v[178:179]
	v_add_f64 v[111:112], v[111:112], v[145:146]
	v_fma_f64 v[145:146], v[7:8], v[183:184], v[191:192]
	v_add_f64 v[113:114], v[113:114], v[139:140]
	s_clause 0x4
	buffer_load_dword v140, off, s[0:3], 0 offset:716
	buffer_load_dword v178, off, s[0:3], 0 offset:728
	;; [unrolled: 1-line block ×5, first 2 shown]
	ds_read_b128 v[5:8], v159 offset:1264
	s_waitcnt vmcnt(57) lgkmcnt(1)
	v_mul_f64 v[183:184], v[107:108], v[170:171]
	v_mul_f64 v[170:171], v[109:110], v[170:171]
	s_waitcnt vmcnt(56)
	v_fma_f64 v[153:154], v[1:2], v[180:181], -v[153:154]
	v_fma_f64 v[147:148], v[3:4], v[180:181], v[147:148]
	v_add_f64 v[111:112], v[111:112], v[176:177]
	v_add_f64 v[113:114], v[113:114], v[145:146]
	s_clause 0x2
	buffer_load_dword v179, off, s[0:3], 0 offset:732
	buffer_load_dword v146, off, s[0:3], 0 offset:708
	;; [unrolled: 1-line block ×3, first 2 shown]
	ds_read_b128 v[1:4], v159 offset:1280
	s_waitcnt vmcnt(58) lgkmcnt(1)
	v_mul_f64 v[180:181], v[7:8], v[187:188]
	v_mul_f64 v[176:177], v[5:6], v[187:188]
	s_waitcnt vmcnt(56)
	v_fma_f64 v[170:171], v[107:108], v[164:165], -v[170:171]
	v_add_f64 v[111:112], v[111:112], v[153:154]
	v_fma_f64 v[153:154], v[109:110], v[164:165], v[183:184]
	v_add_f64 v[113:114], v[113:114], v[147:148]
	s_clause 0x4
	buffer_load_dword v148, off, s[0:3], 0 offset:748
	buffer_load_dword v164, off, s[0:3], 0 offset:760
	;; [unrolled: 1-line block ×5, first 2 shown]
	ds_read_b128 v[107:110], v159 offset:1296
	s_waitcnt vmcnt(57) lgkmcnt(1)
	v_mul_f64 v[191:192], v[1:2], v[123:124]
	v_mul_f64 v[123:124], v[3:4], v[123:124]
	s_waitcnt vmcnt(56)
	v_fma_f64 v[180:181], v[5:6], v[189:190], -v[180:181]
	v_add_f64 v[111:112], v[111:112], v[170:171]
	v_fma_f64 v[170:171], v[7:8], v[189:190], v[176:177]
	v_add_f64 v[113:114], v[113:114], v[153:154]
	s_clause 0x2
	buffer_load_dword v165, off, s[0:3], 0 offset:764
	buffer_load_dword v154, off, s[0:3], 0 offset:740
	;; [unrolled: 1-line block ×3, first 2 shown]
	ds_read_b128 v[5:8], v159 offset:1312
	s_waitcnt vmcnt(58) lgkmcnt(1)
	v_mul_f64 v[176:177], v[107:108], v[172:173]
	v_mul_f64 v[172:173], v[109:110], v[172:173]
	s_waitcnt vmcnt(56)
	v_fma_f64 v[123:124], v[1:2], v[117:118], -v[123:124]
	v_fma_f64 v[117:118], v[3:4], v[117:118], v[191:192]
	v_add_f64 v[111:112], v[111:112], v[180:181]
	v_add_f64 v[113:114], v[113:114], v[170:171]
	s_clause 0x4
	buffer_load_dword v171, off, s[0:3], 0 offset:780
	buffer_load_dword v180, off, s[0:3], 0 offset:792
	;; [unrolled: 1-line block ×5, first 2 shown]
	ds_read_b128 v[1:4], v159 offset:1328
	s_waitcnt vmcnt(57) lgkmcnt(1)
	v_mul_f64 v[189:190], v[5:6], v[160:161]
	v_mul_f64 v[160:161], v[7:8], v[160:161]
	s_waitcnt vmcnt(56)
	v_fma_f64 v[172:173], v[107:108], v[185:186], -v[172:173]
	v_add_f64 v[111:112], v[111:112], v[123:124]
	v_fma_f64 v[123:124], v[109:110], v[185:186], v[176:177]
	v_add_f64 v[113:114], v[113:114], v[117:118]
	s_clause 0x2
	buffer_load_dword v181, off, s[0:3], 0 offset:796
	buffer_load_dword v118, off, s[0:3], 0 offset:772
	;; [unrolled: 1-line block ×3, first 2 shown]
	ds_read_b128 v[107:110], v159 offset:1344
	buffer_load_dword v185, off, s[0:3], 0 offset:788
	s_waitcnt vmcnt(59) lgkmcnt(1)
	v_mul_f64 v[176:177], v[1:2], v[162:163]
	v_mul_f64 v[162:163], v[3:4], v[162:163]
	s_waitcnt vmcnt(57)
	v_fma_f64 v[160:161], v[5:6], v[119:120], -v[160:161]
	v_fma_f64 v[119:120], v[7:8], v[119:120], v[189:190]
	ds_read_b128 v[5:8], v159 offset:1360
	v_add_f64 v[111:112], v[111:112], v[172:173]
	v_add_f64 v[113:114], v[113:114], v[123:124]
	s_waitcnt vmcnt(53) lgkmcnt(1)
	v_mul_f64 v[123:124], v[107:108], v[115:116]
	v_mul_f64 v[115:116], v[109:110], v[115:116]
	s_waitcnt vmcnt(52)
	v_fma_f64 v[162:163], v[1:2], v[174:175], -v[162:163]
	v_add_f64 v[111:112], v[111:112], v[160:161]
	v_fma_f64 v[160:161], v[3:4], v[174:175], v[176:177]
	v_add_f64 v[113:114], v[113:114], v[119:120]
	ds_read_b128 v[1:4], v159 offset:1376
	s_waitcnt vmcnt(51) lgkmcnt(1)
	v_mul_f64 v[119:120], v[5:6], v[135:136]
	v_mul_f64 v[135:136], v[7:8], v[135:136]
	s_waitcnt vmcnt(49)
	v_fma_f64 v[115:116], v[107:108], v[125:126], -v[115:116]
	v_fma_f64 v[123:124], v[109:110], v[125:126], v[123:124]
	v_add_f64 v[111:112], v[111:112], v[162:163]
	v_add_f64 v[113:114], v[113:114], v[160:161]
	s_clause 0x3
	buffer_load_dword v125, off, s[0:3], 0 offset:192
	buffer_load_dword v126, off, s[0:3], 0 offset:196
	;; [unrolled: 1-line block ×4, first 2 shown]
	ds_read_b128 v[107:110], v159 offset:1392
	s_waitcnt vmcnt(49) lgkmcnt(1)
	v_mul_f64 v[162:163], v[1:2], v[121:122]
	v_mul_f64 v[121:122], v[3:4], v[121:122]
	s_waitcnt vmcnt(48)
	v_fma_f64 v[135:136], v[5:6], v[168:169], -v[135:136]
	v_add_f64 v[111:112], v[111:112], v[115:116]
	v_fma_f64 v[115:116], v[7:8], v[168:169], v[119:120]
	v_add_f64 v[113:114], v[113:114], v[123:124]
	ds_read_b128 v[5:8], v159 offset:1408
	s_waitcnt vmcnt(47) lgkmcnt(1)
	v_mul_f64 v[123:124], v[109:110], v[141:142]
	v_mul_f64 v[119:120], v[107:108], v[141:142]
	s_waitcnt vmcnt(45)
	v_fma_f64 v[121:122], v[1:2], v[131:132], -v[121:122]
	v_fma_f64 v[131:132], v[3:4], v[131:132], v[162:163]
	ds_read_b128 v[1:4], v159 offset:1424
	v_add_f64 v[111:112], v[111:112], v[135:136]
	v_add_f64 v[113:114], v[113:114], v[115:116]
	s_waitcnt vmcnt(41) lgkmcnt(1)
	v_mul_f64 v[115:116], v[5:6], v[127:128]
	v_mul_f64 v[127:128], v[7:8], v[127:128]
	s_waitcnt vmcnt(40)
	v_fma_f64 v[123:124], v[107:108], v[143:144], -v[123:124]
	v_fma_f64 v[119:120], v[109:110], v[143:144], v[119:120]
	ds_read_b128 v[107:110], v159 offset:1440
	v_add_f64 v[111:112], v[111:112], v[121:122]
	v_add_f64 v[113:114], v[113:114], v[131:132]
	;; [unrolled: 9-line block ×3, first 2 shown]
	s_waitcnt vmcnt(33) lgkmcnt(1)
	v_mul_f64 v[123:124], v[109:110], v[133:134]
	s_waitcnt vmcnt(32)
	v_fma_f64 v[129:130], v[1:2], v[151:152], -v[131:132]
	v_mul_f64 v[119:120], v[107:108], v[133:134]
	v_fma_f64 v[121:122], v[3:4], v[151:152], v[121:122]
	ds_read_b128 v[1:4], v159 offset:1472
	v_add_f64 v[111:112], v[111:112], v[127:128]
	v_add_f64 v[113:114], v[113:114], v[115:116]
	s_waitcnt vmcnt(31) lgkmcnt(1)
	v_mul_f64 v[127:128], v[7:8], v[155:156]
	v_mul_f64 v[115:116], v[5:6], v[155:156]
	s_waitcnt vmcnt(29)
	v_fma_f64 v[123:124], v[107:108], v[137:138], -v[123:124]
	v_fma_f64 v[119:120], v[109:110], v[137:138], v[119:120]
	ds_read_b128 v[107:110], v159 offset:1488
	v_add_f64 v[111:112], v[111:112], v[129:130]
	v_add_f64 v[113:114], v[113:114], v[121:122]
	s_waitcnt vmcnt(25) lgkmcnt(1)
	v_mul_f64 v[129:130], v[3:4], v[139:140]
	s_waitcnt vmcnt(24)
	v_fma_f64 v[127:128], v[5:6], v[157:158], -v[127:128]
	v_mul_f64 v[121:122], v[1:2], v[139:140]
	v_fma_f64 v[115:116], v[7:8], v[157:158], v[115:116]
	ds_read_b128 v[5:8], v159 offset:1504
	v_add_f64 v[111:112], v[111:112], v[123:124]
	v_add_f64 v[113:114], v[113:114], v[119:120]
	s_waitcnt vmcnt(23) lgkmcnt(1)
	v_mul_f64 v[123:124], v[109:110], v[178:179]
	v_mul_f64 v[119:120], v[107:108], v[178:179]
	s_waitcnt vmcnt(21)
	v_fma_f64 v[129:130], v[1:2], v[145:146], -v[129:130]
	v_fma_f64 v[121:122], v[3:4], v[145:146], v[121:122]
	ds_read_b128 v[1:4], v159 offset:1520
	v_add_f64 v[111:112], v[111:112], v[127:128]
	v_add_f64 v[113:114], v[113:114], v[115:116]
	;; [unrolled: 18-line block ×3, first 2 shown]
	s_waitcnt vmcnt(9) lgkmcnt(1)
	v_mul_f64 v[123:124], v[109:110], v[170:171]
	s_waitcnt vmcnt(8)
	v_fma_f64 v[1:2], v[1:2], v[187:188], -v[129:130]
	v_mul_f64 v[119:120], v[107:108], v[170:171]
	v_fma_f64 v[3:4], v[3:4], v[187:188], v[121:122]
	v_add_f64 v[111:112], v[111:112], v[127:128]
	v_add_f64 v[113:114], v[113:114], v[115:116]
	s_waitcnt vmcnt(7) lgkmcnt(0)
	v_mul_f64 v[121:122], v[7:8], v[180:181]
	v_mul_f64 v[115:116], v[5:6], v[180:181]
	s_waitcnt vmcnt(5)
	v_fma_f64 v[107:108], v[107:108], v[117:118], -v[123:124]
	v_fma_f64 v[109:110], v[109:110], v[117:118], v[119:120]
	v_add_f64 v[1:2], v[111:112], v[1:2]
	v_add_f64 v[3:4], v[113:114], v[3:4]
	s_waitcnt vmcnt(4)
	v_fma_f64 v[5:6], v[5:6], v[184:185], -v[121:122]
	v_fma_f64 v[7:8], v[7:8], v[184:185], v[115:116]
	v_add_f64 v[1:2], v[1:2], v[107:108]
	v_add_f64 v[3:4], v[3:4], v[109:110]
	;; [unrolled: 1-line block ×4, first 2 shown]
	s_waitcnt vmcnt(2)
	v_add_f64 v[1:2], v[125:126], -v[1:2]
	s_waitcnt vmcnt(0)
	v_add_f64 v[3:4], v[160:161], -v[3:4]
	buffer_store_dword v2, off, s[0:3], 0 offset:196
	buffer_store_dword v1, off, s[0:3], 0 offset:192
	;; [unrolled: 1-line block ×4, first 2 shown]
	v_cmpx_lt_u32_e32 10, v0
	s_cbranch_execz .LBB112_287
; %bb.286:
	v_mov_b32_e32 v4, s51
	s_clause 0x3
	buffer_load_dword v1, v4, s[0:3], 0 offen
	buffer_load_dword v2, v4, s[0:3], 0 offen offset:4
	buffer_load_dword v3, v4, s[0:3], 0 offen offset:8
	;; [unrolled: 1-line block ×3, first 2 shown]
	buffer_store_dword v159, off, s[0:3], 0 offset:176
	buffer_store_dword v159, off, s[0:3], 0 offset:180
	;; [unrolled: 1-line block ×4, first 2 shown]
	s_waitcnt vmcnt(0)
	ds_write_b128 v167, v[1:4]
.LBB112_287:
	s_or_b32 exec_lo, exec_lo, s4
	s_waitcnt lgkmcnt(0)
	s_waitcnt_vscnt null, 0x0
	s_barrier
	buffer_gl0_inv
	s_clause 0x37
	buffer_load_dword v107, off, s[0:3], 0 offset:200
	buffer_load_dword v108, off, s[0:3], 0 offset:204
	;; [unrolled: 1-line block ×56, first 2 shown]
	ds_read_b128 v[160:163], v159 offset:960
	s_clause 0x2
	buffer_load_dword v156, off, s[0:3], 0 offset:428
	buffer_load_dword v158, off, s[0:3], 0 offset:404
	;; [unrolled: 1-line block ×3, first 2 shown]
	ds_read_b128 v[168:171], v159 offset:976
	s_clause 0x4
	buffer_load_dword v177, off, s[0:3], 0 offset:444
	buffer_load_dword v178, off, s[0:3], 0 offset:456
	;; [unrolled: 1-line block ×5, first 2 shown]
	ds_read_b128 v[172:175], v159 offset:992
	s_clause 0x2
	buffer_load_dword v179, off, s[0:3], 0 offset:460
	buffer_load_dword v184, off, s[0:3], 0 offset:436
	;; [unrolled: 1-line block ×3, first 2 shown]
	s_mov_b32 s4, exec_lo
	s_waitcnt vmcnt(62) lgkmcnt(2)
	v_mul_f64 v[164:165], v[162:163], v[107:108]
	v_mul_f64 v[107:108], v[160:161], v[107:108]
	s_waitcnt lgkmcnt(1)
	v_mul_f64 v[181:182], v[170:171], v[5:6]
	s_waitcnt vmcnt(59) lgkmcnt(0)
	v_mul_f64 v[185:186], v[174:175], v[3:4]
	v_fma_f64 v[160:161], v[160:161], v[7:8], -v[164:165]
	v_mul_f64 v[164:165], v[168:169], v[5:6]
	v_fma_f64 v[107:108], v[162:163], v[7:8], v[107:108]
	s_waitcnt vmcnt(57)
	v_fma_f64 v[168:169], v[168:169], v[1:2], -v[181:182]
	ds_read_b128 v[5:8], v159 offset:1008
	v_mul_f64 v[162:163], v[172:173], v[3:4]
	s_waitcnt vmcnt(51)
	v_fma_f64 v[172:173], v[172:173], v[123:124], -v[185:186]
	v_add_f64 v[160:161], v[160:161], 0
	v_fma_f64 v[164:165], v[170:171], v[1:2], v[164:165]
	v_add_f64 v[107:108], v[107:108], 0
	s_clause 0x4
	buffer_load_dword v171, off, s[0:3], 0 offset:476
	buffer_load_dword v187, off, s[0:3], 0 offset:488
	;; [unrolled: 1-line block ×5, first 2 shown]
	s_waitcnt lgkmcnt(0)
	v_mul_f64 v[190:191], v[5:6], v[111:112]
	v_mul_f64 v[111:112], v[7:8], v[111:112]
	ds_read_b128 v[1:4], v159 offset:1024
	v_fma_f64 v[123:124], v[174:175], v[123:124], v[162:163]
	v_add_f64 v[168:169], v[160:161], v[168:169]
	v_add_f64 v[107:108], v[107:108], v[164:165]
	s_clause 0x2
	buffer_load_dword v188, off, s[0:3], 0 offset:492
	buffer_load_dword v165, off, s[0:3], 0 offset:468
	;; [unrolled: 1-line block ×3, first 2 shown]
	s_waitcnt vmcnt(58) lgkmcnt(0)
	v_mul_f64 v[174:175], v[1:2], v[115:116]
	v_mul_f64 v[115:116], v[3:4], v[115:116]
	s_waitcnt vmcnt(56)
	v_fma_f64 v[111:112], v[5:6], v[117:118], -v[111:112]
	ds_read_b128 v[160:163], v159 offset:1040
	v_fma_f64 v[117:118], v[7:8], v[117:118], v[190:191]
	v_add_f64 v[168:169], v[168:169], v[172:173]
	v_add_f64 v[107:108], v[107:108], v[123:124]
	s_clause 0x4
	buffer_load_dword v124, off, s[0:3], 0 offset:508
	buffer_load_dword v172, off, s[0:3], 0 offset:520
	;; [unrolled: 1-line block ×5, first 2 shown]
	ds_read_b128 v[5:8], v159 offset:1056
	s_waitcnt vmcnt(57) lgkmcnt(1)
	v_mul_f64 v[191:192], v[160:161], v[119:120]
	v_mul_f64 v[119:120], v[162:163], v[119:120]
	s_waitcnt vmcnt(56)
	v_fma_f64 v[115:116], v[1:2], v[109:110], -v[115:116]
	v_fma_f64 v[109:110], v[3:4], v[109:110], v[174:175]
	v_add_f64 v[111:112], v[168:169], v[111:112]
	v_add_f64 v[107:108], v[107:108], v[117:118]
	s_clause 0x2
	buffer_load_dword v173, off, s[0:3], 0 offset:524
	buffer_load_dword v118, off, s[0:3], 0 offset:500
	;; [unrolled: 1-line block ×3, first 2 shown]
	s_waitcnt vmcnt(58) lgkmcnt(0)
	v_mul_f64 v[168:169], v[5:6], v[125:126]
	v_mul_f64 v[125:126], v[7:8], v[125:126]
	s_waitcnt vmcnt(56)
	v_fma_f64 v[119:120], v[160:161], v[127:128], -v[119:120]
	ds_read_b128 v[1:4], v159 offset:1072
	v_add_f64 v[111:112], v[111:112], v[115:116]
	v_fma_f64 v[115:116], v[162:163], v[127:128], v[191:192]
	v_add_f64 v[127:128], v[107:108], v[109:110]
	s_clause 0x4
	buffer_load_dword v161, off, s[0:3], 0 offset:540
	buffer_load_dword v162, off, s[0:3], 0 offset:552
	;; [unrolled: 1-line block ×5, first 2 shown]
	ds_read_b128 v[107:110], v159 offset:1088
	s_waitcnt vmcnt(57) lgkmcnt(1)
	v_mul_f64 v[191:192], v[1:2], v[129:130]
	v_mul_f64 v[129:130], v[3:4], v[129:130]
	s_waitcnt vmcnt(56)
	v_fma_f64 v[125:126], v[5:6], v[113:114], -v[125:126]
	v_fma_f64 v[113:114], v[7:8], v[113:114], v[168:169]
	v_add_f64 v[111:112], v[111:112], v[119:120]
	s_clause 0x2
	buffer_load_dword v163, off, s[0:3], 0 offset:556
	buffer_load_dword v120, off, s[0:3], 0 offset:532
	;; [unrolled: 1-line block ×3, first 2 shown]
	v_add_f64 v[115:116], v[127:128], v[115:116]
	s_waitcnt vmcnt(58) lgkmcnt(0)
	v_mul_f64 v[127:128], v[107:108], v[133:134]
	v_mul_f64 v[133:134], v[109:110], v[133:134]
	ds_read_b128 v[5:8], v159 offset:1104
	s_waitcnt vmcnt(56)
	v_fma_f64 v[129:130], v[1:2], v[135:136], -v[129:130]
	v_add_f64 v[111:112], v[111:112], v[125:126]
	v_fma_f64 v[125:126], v[3:4], v[135:136], v[191:192]
	v_add_f64 v[113:114], v[115:116], v[113:114]
	s_clause 0x4
	buffer_load_dword v116, off, s[0:3], 0 offset:572
	buffer_load_dword v135, off, s[0:3], 0 offset:584
	;; [unrolled: 1-line block ×5, first 2 shown]
	s_waitcnt vmcnt(57) lgkmcnt(0)
	v_mul_f64 v[191:192], v[5:6], v[137:138]
	v_mul_f64 v[137:138], v[7:8], v[137:138]
	s_waitcnt vmcnt(56)
	v_fma_f64 v[133:134], v[107:108], v[121:122], -v[133:134]
	ds_read_b128 v[1:4], v159 offset:1120
	v_fma_f64 v[121:122], v[109:110], v[121:122], v[127:128]
	v_add_f64 v[111:112], v[111:112], v[129:130]
	v_add_f64 v[113:114], v[113:114], v[125:126]
	s_clause 0x2
	buffer_load_dword v136, off, s[0:3], 0 offset:588
	buffer_load_dword v126, off, s[0:3], 0 offset:564
	buffer_load_dword v125, off, s[0:3], 0 offset:560
	ds_read_b128 v[107:110], v159 offset:1136
	s_waitcnt vmcnt(58) lgkmcnt(1)
	v_mul_f64 v[129:130], v[3:4], v[141:142]
	s_waitcnt vmcnt(56)
	v_fma_f64 v[137:138], v[5:6], v[143:144], -v[137:138]
	v_mul_f64 v[127:128], v[1:2], v[141:142]
	v_add_f64 v[111:112], v[111:112], v[133:134]
	v_fma_f64 v[133:134], v[7:8], v[143:144], v[191:192]
	v_add_f64 v[113:114], v[113:114], v[121:122]
	s_clause 0x4
	buffer_load_dword v122, off, s[0:3], 0 offset:604
	buffer_load_dword v141, off, s[0:3], 0 offset:616
	;; [unrolled: 1-line block ×5, first 2 shown]
	s_waitcnt vmcnt(57) lgkmcnt(0)
	v_mul_f64 v[191:192], v[107:108], v[145:146]
	v_mul_f64 v[144:145], v[109:110], v[145:146]
	s_waitcnt vmcnt(56)
	v_fma_f64 v[129:130], v[1:2], v[131:132], -v[129:130]
	ds_read_b128 v[5:8], v159 offset:1152
	v_fma_f64 v[127:128], v[3:4], v[131:132], v[127:128]
	s_clause 0x2
	buffer_load_dword v142, off, s[0:3], 0 offset:620
	buffer_load_dword v132, off, s[0:3], 0 offset:596
	;; [unrolled: 1-line block ×3, first 2 shown]
	ds_read_b128 v[1:4], v159 offset:1168
	v_add_f64 v[111:112], v[111:112], v[137:138]
	v_add_f64 v[113:114], v[113:114], v[133:134]
	s_waitcnt vmcnt(58) lgkmcnt(1)
	v_mul_f64 v[137:138], v[7:8], v[149:150]
	s_waitcnt vmcnt(56)
	v_fma_f64 v[145:146], v[107:108], v[151:152], -v[144:145]
	v_mul_f64 v[133:134], v[5:6], v[149:150]
	v_add_f64 v[111:112], v[111:112], v[129:130]
	v_fma_f64 v[129:130], v[109:110], v[151:152], v[191:192]
	v_add_f64 v[113:114], v[113:114], v[127:128]
	s_clause 0x4
	buffer_load_dword v128, off, s[0:3], 0 offset:636
	buffer_load_dword v149, off, s[0:3], 0 offset:648
	;; [unrolled: 1-line block ×5, first 2 shown]
	s_waitcnt vmcnt(57) lgkmcnt(0)
	v_mul_f64 v[191:192], v[1:2], v[153:154]
	v_mul_f64 v[152:153], v[3:4], v[153:154]
	s_waitcnt vmcnt(56)
	v_fma_f64 v[137:138], v[5:6], v[139:140], -v[137:138]
	ds_read_b128 v[107:110], v159 offset:1184
	v_fma_f64 v[133:134], v[7:8], v[139:140], v[133:134]
	v_add_f64 v[111:112], v[111:112], v[145:146]
	v_add_f64 v[113:114], v[113:114], v[129:130]
	s_clause 0x2
	buffer_load_dword v150, off, s[0:3], 0 offset:652
	buffer_load_dword v130, off, s[0:3], 0 offset:628
	;; [unrolled: 1-line block ×3, first 2 shown]
	ds_read_b128 v[5:8], v159 offset:1200
	s_waitcnt vmcnt(58) lgkmcnt(1)
	v_mul_f64 v[145:146], v[109:110], v[155:156]
	s_waitcnt vmcnt(56)
	v_fma_f64 v[153:154], v[1:2], v[157:158], -v[152:153]
	v_mul_f64 v[139:140], v[107:108], v[155:156]
	v_add_f64 v[111:112], v[111:112], v[137:138]
	v_fma_f64 v[137:138], v[3:4], v[157:158], v[191:192]
	v_add_f64 v[113:114], v[113:114], v[133:134]
	s_clause 0x4
	buffer_load_dword v134, off, s[0:3], 0 offset:668
	buffer_load_dword v155, off, s[0:3], 0 offset:680
	;; [unrolled: 1-line block ×5, first 2 shown]
	s_waitcnt vmcnt(57) lgkmcnt(0)
	v_mul_f64 v[191:192], v[5:6], v[176:177]
	v_mul_f64 v[176:177], v[7:8], v[176:177]
	s_waitcnt vmcnt(56)
	v_fma_f64 v[145:146], v[107:108], v[147:148], -v[145:146]
	ds_read_b128 v[1:4], v159 offset:1216
	v_fma_f64 v[139:140], v[109:110], v[147:148], v[139:140]
	v_add_f64 v[111:112], v[111:112], v[153:154]
	v_add_f64 v[113:114], v[113:114], v[137:138]
	s_clause 0x2
	buffer_load_dword v156, off, s[0:3], 0 offset:684
	buffer_load_dword v138, off, s[0:3], 0 offset:660
	;; [unrolled: 1-line block ×3, first 2 shown]
	ds_read_b128 v[107:110], v159 offset:1232
	s_waitcnt vmcnt(58) lgkmcnt(1)
	v_mul_f64 v[153:154], v[3:4], v[178:179]
	s_waitcnt vmcnt(56)
	v_fma_f64 v[176:177], v[5:6], v[183:184], -v[176:177]
	v_mul_f64 v[147:148], v[1:2], v[178:179]
	v_add_f64 v[111:112], v[111:112], v[145:146]
	v_fma_f64 v[145:146], v[7:8], v[183:184], v[191:192]
	v_add_f64 v[113:114], v[113:114], v[139:140]
	s_clause 0x4
	buffer_load_dword v140, off, s[0:3], 0 offset:700
	buffer_load_dword v178, off, s[0:3], 0 offset:712
	;; [unrolled: 1-line block ×5, first 2 shown]
	ds_read_b128 v[5:8], v159 offset:1248
	s_waitcnt vmcnt(57) lgkmcnt(1)
	v_mul_f64 v[183:184], v[107:108], v[170:171]
	v_mul_f64 v[170:171], v[109:110], v[170:171]
	s_waitcnt vmcnt(56)
	v_fma_f64 v[153:154], v[1:2], v[180:181], -v[153:154]
	v_fma_f64 v[147:148], v[3:4], v[180:181], v[147:148]
	v_add_f64 v[111:112], v[111:112], v[176:177]
	v_add_f64 v[113:114], v[113:114], v[145:146]
	s_clause 0x2
	buffer_load_dword v179, off, s[0:3], 0 offset:716
	buffer_load_dword v146, off, s[0:3], 0 offset:692
	buffer_load_dword v145, off, s[0:3], 0 offset:688
	ds_read_b128 v[1:4], v159 offset:1264
	s_waitcnt vmcnt(58) lgkmcnt(1)
	v_mul_f64 v[180:181], v[7:8], v[187:188]
	v_mul_f64 v[176:177], v[5:6], v[187:188]
	s_waitcnt vmcnt(56)
	v_fma_f64 v[170:171], v[107:108], v[164:165], -v[170:171]
	v_add_f64 v[111:112], v[111:112], v[153:154]
	v_fma_f64 v[153:154], v[109:110], v[164:165], v[183:184]
	v_add_f64 v[113:114], v[113:114], v[147:148]
	s_clause 0x4
	buffer_load_dword v148, off, s[0:3], 0 offset:732
	buffer_load_dword v164, off, s[0:3], 0 offset:744
	;; [unrolled: 1-line block ×5, first 2 shown]
	ds_read_b128 v[107:110], v159 offset:1280
	s_waitcnt vmcnt(57) lgkmcnt(1)
	v_mul_f64 v[191:192], v[1:2], v[123:124]
	v_mul_f64 v[123:124], v[3:4], v[123:124]
	s_waitcnt vmcnt(56)
	v_fma_f64 v[180:181], v[5:6], v[189:190], -v[180:181]
	v_add_f64 v[111:112], v[111:112], v[170:171]
	v_fma_f64 v[170:171], v[7:8], v[189:190], v[176:177]
	v_add_f64 v[113:114], v[113:114], v[153:154]
	s_clause 0x2
	buffer_load_dword v165, off, s[0:3], 0 offset:748
	buffer_load_dword v154, off, s[0:3], 0 offset:724
	buffer_load_dword v153, off, s[0:3], 0 offset:720
	ds_read_b128 v[5:8], v159 offset:1296
	s_waitcnt vmcnt(58) lgkmcnt(1)
	v_mul_f64 v[176:177], v[107:108], v[172:173]
	v_mul_f64 v[172:173], v[109:110], v[172:173]
	s_waitcnt vmcnt(56)
	v_fma_f64 v[123:124], v[1:2], v[117:118], -v[123:124]
	v_fma_f64 v[117:118], v[3:4], v[117:118], v[191:192]
	v_add_f64 v[111:112], v[111:112], v[180:181]
	v_add_f64 v[113:114], v[113:114], v[170:171]
	s_clause 0x4
	buffer_load_dword v171, off, s[0:3], 0 offset:764
	buffer_load_dword v180, off, s[0:3], 0 offset:776
	;; [unrolled: 1-line block ×5, first 2 shown]
	ds_read_b128 v[1:4], v159 offset:1312
	s_waitcnt vmcnt(57) lgkmcnt(1)
	v_mul_f64 v[189:190], v[5:6], v[160:161]
	v_mul_f64 v[160:161], v[7:8], v[160:161]
	s_waitcnt vmcnt(56)
	v_fma_f64 v[172:173], v[107:108], v[185:186], -v[172:173]
	v_add_f64 v[111:112], v[111:112], v[123:124]
	v_fma_f64 v[123:124], v[109:110], v[185:186], v[176:177]
	v_add_f64 v[113:114], v[113:114], v[117:118]
	s_clause 0x2
	buffer_load_dword v181, off, s[0:3], 0 offset:780
	buffer_load_dword v118, off, s[0:3], 0 offset:756
	;; [unrolled: 1-line block ×3, first 2 shown]
	ds_read_b128 v[107:110], v159 offset:1328
	s_waitcnt vmcnt(58) lgkmcnt(1)
	v_mul_f64 v[176:177], v[1:2], v[162:163]
	v_mul_f64 v[162:163], v[3:4], v[162:163]
	s_waitcnt vmcnt(56)
	v_fma_f64 v[160:161], v[5:6], v[119:120], -v[160:161]
	v_fma_f64 v[119:120], v[7:8], v[119:120], v[189:190]
	v_add_f64 v[111:112], v[111:112], v[172:173]
	v_add_f64 v[113:114], v[113:114], v[123:124]
	s_clause 0x2
	buffer_load_dword v124, off, s[0:3], 0 offset:796
	buffer_load_dword v123, off, s[0:3], 0 offset:792
	;; [unrolled: 1-line block ×3, first 2 shown]
	ds_read_b128 v[5:8], v159 offset:1344
	s_waitcnt vmcnt(55) lgkmcnt(1)
	v_mul_f64 v[172:173], v[107:108], v[115:116]
	v_mul_f64 v[115:116], v[109:110], v[115:116]
	s_waitcnt vmcnt(54)
	v_fma_f64 v[162:163], v[1:2], v[174:175], -v[162:163]
	v_add_f64 v[111:112], v[111:112], v[160:161]
	v_fma_f64 v[160:161], v[3:4], v[174:175], v[176:177]
	v_add_f64 v[113:114], v[113:114], v[119:120]
	s_clause 0x1
	buffer_load_dword v120, off, s[0:3], 0 offset:788
	buffer_load_dword v119, off, s[0:3], 0 offset:784
	ds_read_b128 v[1:4], v159 offset:1360
	s_waitcnt vmcnt(55) lgkmcnt(1)
	v_mul_f64 v[174:175], v[5:6], v[135:136]
	v_mul_f64 v[135:136], v[7:8], v[135:136]
	s_waitcnt vmcnt(53)
	v_fma_f64 v[115:116], v[107:108], v[125:126], -v[115:116]
	v_fma_f64 v[125:126], v[109:110], v[125:126], v[172:173]
	ds_read_b128 v[107:110], v159 offset:1376
	v_add_f64 v[111:112], v[111:112], v[162:163]
	v_add_f64 v[113:114], v[113:114], v[160:161]
	s_waitcnt vmcnt(49) lgkmcnt(1)
	v_mul_f64 v[160:161], v[1:2], v[121:122]
	v_mul_f64 v[121:122], v[3:4], v[121:122]
	s_waitcnt vmcnt(48)
	v_fma_f64 v[135:136], v[5:6], v[168:169], -v[135:136]
	v_add_f64 v[111:112], v[111:112], v[115:116]
	v_fma_f64 v[115:116], v[7:8], v[168:169], v[174:175]
	v_add_f64 v[113:114], v[113:114], v[125:126]
	s_clause 0x3
	buffer_load_dword v125, off, s[0:3], 0 offset:176
	buffer_load_dword v126, off, s[0:3], 0 offset:180
	;; [unrolled: 1-line block ×4, first 2 shown]
	s_waitcnt vmcnt(51) lgkmcnt(0)
	v_mul_f64 v[168:169], v[107:108], v[141:142]
	v_mul_f64 v[141:142], v[109:110], v[141:142]
	ds_read_b128 v[5:8], v159 offset:1392
	s_waitcnt vmcnt(49)
	v_fma_f64 v[121:122], v[1:2], v[131:132], -v[121:122]
	v_fma_f64 v[131:132], v[3:4], v[131:132], v[160:161]
	ds_read_b128 v[1:4], v159 offset:1408
	v_add_f64 v[111:112], v[111:112], v[135:136]
	v_add_f64 v[113:114], v[113:114], v[115:116]
	s_waitcnt vmcnt(45) lgkmcnt(1)
	v_mul_f64 v[115:116], v[5:6], v[127:128]
	v_mul_f64 v[127:128], v[7:8], v[127:128]
	s_waitcnt vmcnt(44)
	v_fma_f64 v[135:136], v[107:108], v[143:144], -v[141:142]
	v_add_f64 v[111:112], v[111:112], v[121:122]
	v_fma_f64 v[121:122], v[109:110], v[143:144], v[168:169]
	v_add_f64 v[113:114], v[113:114], v[131:132]
	ds_read_b128 v[107:110], v159 offset:1424
	s_waitcnt vmcnt(43) lgkmcnt(1)
	v_mul_f64 v[141:142], v[3:4], v[149:150]
	v_mul_f64 v[131:132], v[1:2], v[149:150]
	s_waitcnt vmcnt(41)
	v_fma_f64 v[127:128], v[5:6], v[129:130], -v[127:128]
	v_fma_f64 v[115:116], v[7:8], v[129:130], v[115:116]
	ds_read_b128 v[5:8], v159 offset:1440
	v_add_f64 v[111:112], v[111:112], v[135:136]
	v_add_f64 v[113:114], v[113:114], v[121:122]
	s_waitcnt vmcnt(37) lgkmcnt(1)
	v_mul_f64 v[121:122], v[107:108], v[133:134]
	v_mul_f64 v[129:130], v[109:110], v[133:134]
	s_waitcnt vmcnt(36)
	v_fma_f64 v[133:134], v[1:2], v[151:152], -v[141:142]
	v_add_f64 v[111:112], v[111:112], v[127:128]
	v_fma_f64 v[127:128], v[3:4], v[151:152], v[131:132]
	v_add_f64 v[113:114], v[113:114], v[115:116]
	ds_read_b128 v[1:4], v159 offset:1456
	s_waitcnt vmcnt(35) lgkmcnt(1)
	v_mul_f64 v[131:132], v[7:8], v[155:156]
	v_mul_f64 v[115:116], v[5:6], v[155:156]
	s_waitcnt vmcnt(33)
	v_fma_f64 v[129:130], v[107:108], v[137:138], -v[129:130]
	v_fma_f64 v[121:122], v[109:110], v[137:138], v[121:122]
	ds_read_b128 v[107:110], v159 offset:1472
	v_add_f64 v[111:112], v[111:112], v[133:134]
	v_add_f64 v[113:114], v[113:114], v[127:128]
	s_waitcnt vmcnt(29) lgkmcnt(1)
	v_mul_f64 v[133:134], v[3:4], v[139:140]
	s_waitcnt vmcnt(28)
	v_fma_f64 v[131:132], v[5:6], v[157:158], -v[131:132]
	v_mul_f64 v[127:128], v[1:2], v[139:140]
	v_fma_f64 v[115:116], v[7:8], v[157:158], v[115:116]
	ds_read_b128 v[5:8], v159 offset:1488
	v_add_f64 v[111:112], v[111:112], v[129:130]
	v_add_f64 v[113:114], v[113:114], v[121:122]
	s_waitcnt vmcnt(27) lgkmcnt(1)
	v_mul_f64 v[129:130], v[109:110], v[178:179]
	v_mul_f64 v[121:122], v[107:108], v[178:179]
	s_waitcnt vmcnt(25)
	v_fma_f64 v[133:134], v[1:2], v[145:146], -v[133:134]
	v_fma_f64 v[127:128], v[3:4], v[145:146], v[127:128]
	ds_read_b128 v[1:4], v159 offset:1504
	v_add_f64 v[111:112], v[111:112], v[131:132]
	v_add_f64 v[113:114], v[113:114], v[115:116]
	s_waitcnt vmcnt(21) lgkmcnt(1)
	v_mul_f64 v[131:132], v[7:8], v[147:148]
	s_waitcnt vmcnt(20)
	v_fma_f64 v[129:130], v[107:108], v[182:183], -v[129:130]
	v_mul_f64 v[115:116], v[5:6], v[147:148]
	v_fma_f64 v[121:122], v[109:110], v[182:183], v[121:122]
	ds_read_b128 v[107:110], v159 offset:1520
	v_add_f64 v[111:112], v[111:112], v[133:134]
	v_add_f64 v[113:114], v[113:114], v[127:128]
	;; [unrolled: 18-line block ×3, first 2 shown]
	s_waitcnt vmcnt(11) lgkmcnt(1)
	v_mul_f64 v[131:132], v[7:8], v[180:181]
	v_mul_f64 v[115:116], v[5:6], v[180:181]
	s_waitcnt vmcnt(9)
	v_fma_f64 v[107:108], v[107:108], v[117:118], -v[129:130]
	v_fma_f64 v[109:110], v[109:110], v[117:118], v[121:122]
	v_add_f64 v[111:112], v[111:112], v[133:134]
	v_add_f64 v[113:114], v[113:114], v[127:128]
	s_waitcnt vmcnt(7) lgkmcnt(0)
	v_mul_f64 v[121:122], v[3:4], v[123:124]
	s_waitcnt vmcnt(6)
	v_fma_f64 v[5:6], v[5:6], v[184:185], -v[131:132]
	v_mul_f64 v[117:118], v[1:2], v[123:124]
	v_fma_f64 v[7:8], v[7:8], v[184:185], v[115:116]
	v_add_f64 v[107:108], v[111:112], v[107:108]
	v_add_f64 v[109:110], v[113:114], v[109:110]
	s_waitcnt vmcnt(4)
	v_fma_f64 v[1:2], v[1:2], v[119:120], -v[121:122]
	v_fma_f64 v[3:4], v[3:4], v[119:120], v[117:118]
	v_add_f64 v[5:6], v[107:108], v[5:6]
	v_add_f64 v[7:8], v[109:110], v[7:8]
	;; [unrolled: 1-line block ×4, first 2 shown]
	s_waitcnt vmcnt(2)
	v_add_f64 v[1:2], v[125:126], -v[1:2]
	s_waitcnt vmcnt(0)
	v_add_f64 v[3:4], v[162:163], -v[3:4]
	buffer_store_dword v2, off, s[0:3], 0 offset:180
	buffer_store_dword v1, off, s[0:3], 0 offset:176
	;; [unrolled: 1-line block ×4, first 2 shown]
	v_cmpx_lt_u32_e32 9, v0
	s_cbranch_execz .LBB112_289
; %bb.288:
	v_mov_b32_e32 v4, s52
	v_mov_b32_e32 v5, 0
	s_clause 0x3
	buffer_load_dword v1, v4, s[0:3], 0 offen
	buffer_load_dword v2, v4, s[0:3], 0 offen offset:4
	buffer_load_dword v3, v4, s[0:3], 0 offen offset:8
	;; [unrolled: 1-line block ×3, first 2 shown]
	buffer_store_dword v5, off, s[0:3], 0 offset:160
	buffer_store_dword v5, off, s[0:3], 0 offset:164
	;; [unrolled: 1-line block ×4, first 2 shown]
	s_waitcnt vmcnt(0)
	ds_write_b128 v167, v[1:4]
.LBB112_289:
	s_or_b32 exec_lo, exec_lo, s4
	s_waitcnt lgkmcnt(0)
	s_waitcnt_vscnt null, 0x0
	s_barrier
	buffer_gl0_inv
	s_clause 0x37
	buffer_load_dword v107, off, s[0:3], 0 offset:184
	buffer_load_dword v108, off, s[0:3], 0 offset:188
	;; [unrolled: 1-line block ×56, first 2 shown]
	v_mov_b32_e32 v159, 0
	s_mov_b32 s4, exec_lo
	ds_read_b128 v[160:163], v159 offset:944
	s_clause 0x2
	buffer_load_dword v156, off, s[0:3], 0 offset:412
	buffer_load_dword v158, off, s[0:3], 0 offset:388
	;; [unrolled: 1-line block ×3, first 2 shown]
	ds_read_b128 v[168:171], v159 offset:960
	s_clause 0x4
	buffer_load_dword v177, off, s[0:3], 0 offset:428
	buffer_load_dword v178, off, s[0:3], 0 offset:440
	;; [unrolled: 1-line block ×5, first 2 shown]
	ds_read_b128 v[172:175], v159 offset:976
	s_clause 0x2
	buffer_load_dword v179, off, s[0:3], 0 offset:444
	buffer_load_dword v184, off, s[0:3], 0 offset:420
	;; [unrolled: 1-line block ×3, first 2 shown]
	s_waitcnt vmcnt(62) lgkmcnt(2)
	v_mul_f64 v[164:165], v[162:163], v[107:108]
	v_mul_f64 v[107:108], v[160:161], v[107:108]
	s_waitcnt lgkmcnt(1)
	v_mul_f64 v[181:182], v[170:171], v[5:6]
	s_waitcnt vmcnt(59) lgkmcnt(0)
	v_mul_f64 v[185:186], v[174:175], v[3:4]
	v_fma_f64 v[160:161], v[160:161], v[7:8], -v[164:165]
	v_mul_f64 v[164:165], v[168:169], v[5:6]
	v_fma_f64 v[107:108], v[162:163], v[7:8], v[107:108]
	s_waitcnt vmcnt(57)
	v_fma_f64 v[168:169], v[168:169], v[1:2], -v[181:182]
	ds_read_b128 v[5:8], v159 offset:992
	v_mul_f64 v[162:163], v[172:173], v[3:4]
	s_waitcnt vmcnt(51)
	v_fma_f64 v[172:173], v[172:173], v[123:124], -v[185:186]
	v_add_f64 v[160:161], v[160:161], 0
	v_fma_f64 v[164:165], v[170:171], v[1:2], v[164:165]
	v_add_f64 v[107:108], v[107:108], 0
	s_clause 0x4
	buffer_load_dword v171, off, s[0:3], 0 offset:460
	buffer_load_dword v187, off, s[0:3], 0 offset:472
	;; [unrolled: 1-line block ×5, first 2 shown]
	s_waitcnt lgkmcnt(0)
	v_mul_f64 v[190:191], v[5:6], v[111:112]
	v_mul_f64 v[111:112], v[7:8], v[111:112]
	ds_read_b128 v[1:4], v159 offset:1008
	v_fma_f64 v[123:124], v[174:175], v[123:124], v[162:163]
	v_add_f64 v[168:169], v[160:161], v[168:169]
	v_add_f64 v[107:108], v[107:108], v[164:165]
	s_clause 0x2
	buffer_load_dword v188, off, s[0:3], 0 offset:476
	buffer_load_dword v165, off, s[0:3], 0 offset:452
	;; [unrolled: 1-line block ×3, first 2 shown]
	s_waitcnt vmcnt(58) lgkmcnt(0)
	v_mul_f64 v[174:175], v[1:2], v[115:116]
	v_mul_f64 v[115:116], v[3:4], v[115:116]
	s_waitcnt vmcnt(56)
	v_fma_f64 v[111:112], v[5:6], v[117:118], -v[111:112]
	ds_read_b128 v[160:163], v159 offset:1024
	v_fma_f64 v[117:118], v[7:8], v[117:118], v[190:191]
	v_add_f64 v[168:169], v[168:169], v[172:173]
	v_add_f64 v[107:108], v[107:108], v[123:124]
	s_clause 0x4
	buffer_load_dword v124, off, s[0:3], 0 offset:492
	buffer_load_dword v172, off, s[0:3], 0 offset:504
	;; [unrolled: 1-line block ×5, first 2 shown]
	ds_read_b128 v[5:8], v159 offset:1040
	s_waitcnt vmcnt(57) lgkmcnt(1)
	v_mul_f64 v[191:192], v[160:161], v[119:120]
	v_mul_f64 v[119:120], v[162:163], v[119:120]
	s_waitcnt vmcnt(56)
	v_fma_f64 v[115:116], v[1:2], v[109:110], -v[115:116]
	v_fma_f64 v[109:110], v[3:4], v[109:110], v[174:175]
	v_add_f64 v[111:112], v[168:169], v[111:112]
	v_add_f64 v[107:108], v[107:108], v[117:118]
	s_clause 0x2
	buffer_load_dword v173, off, s[0:3], 0 offset:508
	buffer_load_dword v118, off, s[0:3], 0 offset:484
	;; [unrolled: 1-line block ×3, first 2 shown]
	s_waitcnt vmcnt(58) lgkmcnt(0)
	v_mul_f64 v[168:169], v[5:6], v[125:126]
	v_mul_f64 v[125:126], v[7:8], v[125:126]
	s_waitcnt vmcnt(56)
	v_fma_f64 v[119:120], v[160:161], v[127:128], -v[119:120]
	ds_read_b128 v[1:4], v159 offset:1056
	v_add_f64 v[111:112], v[111:112], v[115:116]
	v_fma_f64 v[115:116], v[162:163], v[127:128], v[191:192]
	v_add_f64 v[127:128], v[107:108], v[109:110]
	s_clause 0x4
	buffer_load_dword v161, off, s[0:3], 0 offset:524
	buffer_load_dword v162, off, s[0:3], 0 offset:536
	;; [unrolled: 1-line block ×5, first 2 shown]
	ds_read_b128 v[107:110], v159 offset:1072
	s_waitcnt vmcnt(57) lgkmcnt(1)
	v_mul_f64 v[191:192], v[1:2], v[129:130]
	v_mul_f64 v[129:130], v[3:4], v[129:130]
	s_waitcnt vmcnt(56)
	v_fma_f64 v[125:126], v[5:6], v[113:114], -v[125:126]
	v_fma_f64 v[113:114], v[7:8], v[113:114], v[168:169]
	v_add_f64 v[111:112], v[111:112], v[119:120]
	s_clause 0x2
	buffer_load_dword v163, off, s[0:3], 0 offset:540
	buffer_load_dword v120, off, s[0:3], 0 offset:516
	buffer_load_dword v119, off, s[0:3], 0 offset:512
	v_add_f64 v[115:116], v[127:128], v[115:116]
	s_waitcnt vmcnt(58) lgkmcnt(0)
	v_mul_f64 v[127:128], v[107:108], v[133:134]
	v_mul_f64 v[133:134], v[109:110], v[133:134]
	ds_read_b128 v[5:8], v159 offset:1088
	s_waitcnt vmcnt(56)
	v_fma_f64 v[129:130], v[1:2], v[135:136], -v[129:130]
	v_add_f64 v[111:112], v[111:112], v[125:126]
	v_fma_f64 v[125:126], v[3:4], v[135:136], v[191:192]
	v_add_f64 v[113:114], v[115:116], v[113:114]
	s_clause 0x4
	buffer_load_dword v116, off, s[0:3], 0 offset:556
	buffer_load_dword v135, off, s[0:3], 0 offset:568
	;; [unrolled: 1-line block ×5, first 2 shown]
	s_waitcnt vmcnt(57) lgkmcnt(0)
	v_mul_f64 v[191:192], v[5:6], v[137:138]
	v_mul_f64 v[137:138], v[7:8], v[137:138]
	s_waitcnt vmcnt(56)
	v_fma_f64 v[133:134], v[107:108], v[121:122], -v[133:134]
	ds_read_b128 v[1:4], v159 offset:1104
	v_fma_f64 v[121:122], v[109:110], v[121:122], v[127:128]
	v_add_f64 v[111:112], v[111:112], v[129:130]
	v_add_f64 v[113:114], v[113:114], v[125:126]
	s_clause 0x2
	buffer_load_dword v136, off, s[0:3], 0 offset:572
	buffer_load_dword v126, off, s[0:3], 0 offset:548
	;; [unrolled: 1-line block ×3, first 2 shown]
	ds_read_b128 v[107:110], v159 offset:1120
	s_waitcnt vmcnt(58) lgkmcnt(1)
	v_mul_f64 v[129:130], v[3:4], v[141:142]
	s_waitcnt vmcnt(56)
	v_fma_f64 v[137:138], v[5:6], v[143:144], -v[137:138]
	v_mul_f64 v[127:128], v[1:2], v[141:142]
	v_add_f64 v[111:112], v[111:112], v[133:134]
	v_fma_f64 v[133:134], v[7:8], v[143:144], v[191:192]
	v_add_f64 v[113:114], v[113:114], v[121:122]
	s_clause 0x4
	buffer_load_dword v122, off, s[0:3], 0 offset:588
	buffer_load_dword v141, off, s[0:3], 0 offset:600
	;; [unrolled: 1-line block ×5, first 2 shown]
	s_waitcnt vmcnt(57) lgkmcnt(0)
	v_mul_f64 v[191:192], v[107:108], v[145:146]
	v_mul_f64 v[144:145], v[109:110], v[145:146]
	s_waitcnt vmcnt(56)
	v_fma_f64 v[129:130], v[1:2], v[131:132], -v[129:130]
	ds_read_b128 v[5:8], v159 offset:1136
	v_fma_f64 v[127:128], v[3:4], v[131:132], v[127:128]
	s_clause 0x2
	buffer_load_dword v142, off, s[0:3], 0 offset:604
	buffer_load_dword v132, off, s[0:3], 0 offset:580
	;; [unrolled: 1-line block ×3, first 2 shown]
	ds_read_b128 v[1:4], v159 offset:1152
	v_add_f64 v[111:112], v[111:112], v[137:138]
	v_add_f64 v[113:114], v[113:114], v[133:134]
	s_waitcnt vmcnt(58) lgkmcnt(1)
	v_mul_f64 v[137:138], v[7:8], v[149:150]
	s_waitcnt vmcnt(56)
	v_fma_f64 v[145:146], v[107:108], v[151:152], -v[144:145]
	v_mul_f64 v[133:134], v[5:6], v[149:150]
	v_add_f64 v[111:112], v[111:112], v[129:130]
	v_fma_f64 v[129:130], v[109:110], v[151:152], v[191:192]
	v_add_f64 v[113:114], v[113:114], v[127:128]
	s_clause 0x4
	buffer_load_dword v128, off, s[0:3], 0 offset:620
	buffer_load_dword v149, off, s[0:3], 0 offset:632
	;; [unrolled: 1-line block ×5, first 2 shown]
	s_waitcnt vmcnt(57) lgkmcnt(0)
	v_mul_f64 v[191:192], v[1:2], v[153:154]
	v_mul_f64 v[152:153], v[3:4], v[153:154]
	s_waitcnt vmcnt(56)
	v_fma_f64 v[137:138], v[5:6], v[139:140], -v[137:138]
	ds_read_b128 v[107:110], v159 offset:1168
	v_fma_f64 v[133:134], v[7:8], v[139:140], v[133:134]
	v_add_f64 v[111:112], v[111:112], v[145:146]
	v_add_f64 v[113:114], v[113:114], v[129:130]
	s_clause 0x2
	buffer_load_dword v150, off, s[0:3], 0 offset:636
	buffer_load_dword v130, off, s[0:3], 0 offset:612
	;; [unrolled: 1-line block ×3, first 2 shown]
	ds_read_b128 v[5:8], v159 offset:1184
	s_waitcnt vmcnt(58) lgkmcnt(1)
	v_mul_f64 v[145:146], v[109:110], v[155:156]
	s_waitcnt vmcnt(56)
	v_fma_f64 v[153:154], v[1:2], v[157:158], -v[152:153]
	v_mul_f64 v[139:140], v[107:108], v[155:156]
	v_add_f64 v[111:112], v[111:112], v[137:138]
	v_fma_f64 v[137:138], v[3:4], v[157:158], v[191:192]
	v_add_f64 v[113:114], v[113:114], v[133:134]
	s_clause 0x4
	buffer_load_dword v134, off, s[0:3], 0 offset:652
	buffer_load_dword v155, off, s[0:3], 0 offset:664
	;; [unrolled: 1-line block ×5, first 2 shown]
	s_waitcnt vmcnt(57) lgkmcnt(0)
	v_mul_f64 v[191:192], v[5:6], v[176:177]
	v_mul_f64 v[176:177], v[7:8], v[176:177]
	s_waitcnt vmcnt(56)
	v_fma_f64 v[145:146], v[107:108], v[147:148], -v[145:146]
	ds_read_b128 v[1:4], v159 offset:1200
	v_fma_f64 v[139:140], v[109:110], v[147:148], v[139:140]
	v_add_f64 v[111:112], v[111:112], v[153:154]
	v_add_f64 v[113:114], v[113:114], v[137:138]
	s_clause 0x2
	buffer_load_dword v156, off, s[0:3], 0 offset:668
	buffer_load_dword v138, off, s[0:3], 0 offset:644
	;; [unrolled: 1-line block ×3, first 2 shown]
	ds_read_b128 v[107:110], v159 offset:1216
	s_waitcnt vmcnt(58) lgkmcnt(1)
	v_mul_f64 v[153:154], v[3:4], v[178:179]
	s_waitcnt vmcnt(56)
	v_fma_f64 v[176:177], v[5:6], v[183:184], -v[176:177]
	v_mul_f64 v[147:148], v[1:2], v[178:179]
	v_add_f64 v[111:112], v[111:112], v[145:146]
	v_fma_f64 v[145:146], v[7:8], v[183:184], v[191:192]
	v_add_f64 v[113:114], v[113:114], v[139:140]
	s_clause 0x4
	buffer_load_dword v140, off, s[0:3], 0 offset:684
	buffer_load_dword v178, off, s[0:3], 0 offset:696
	;; [unrolled: 1-line block ×5, first 2 shown]
	ds_read_b128 v[5:8], v159 offset:1232
	s_waitcnt vmcnt(57) lgkmcnt(1)
	v_mul_f64 v[183:184], v[107:108], v[170:171]
	v_mul_f64 v[170:171], v[109:110], v[170:171]
	s_waitcnt vmcnt(56)
	v_fma_f64 v[153:154], v[1:2], v[180:181], -v[153:154]
	v_fma_f64 v[147:148], v[3:4], v[180:181], v[147:148]
	v_add_f64 v[111:112], v[111:112], v[176:177]
	v_add_f64 v[113:114], v[113:114], v[145:146]
	s_clause 0x2
	buffer_load_dword v179, off, s[0:3], 0 offset:700
	buffer_load_dword v146, off, s[0:3], 0 offset:676
	;; [unrolled: 1-line block ×3, first 2 shown]
	ds_read_b128 v[1:4], v159 offset:1248
	s_waitcnt vmcnt(58) lgkmcnt(1)
	v_mul_f64 v[180:181], v[7:8], v[187:188]
	v_mul_f64 v[176:177], v[5:6], v[187:188]
	s_waitcnt vmcnt(56)
	v_fma_f64 v[170:171], v[107:108], v[164:165], -v[170:171]
	v_add_f64 v[111:112], v[111:112], v[153:154]
	v_fma_f64 v[153:154], v[109:110], v[164:165], v[183:184]
	v_add_f64 v[113:114], v[113:114], v[147:148]
	s_clause 0x4
	buffer_load_dword v148, off, s[0:3], 0 offset:716
	buffer_load_dword v164, off, s[0:3], 0 offset:728
	;; [unrolled: 1-line block ×5, first 2 shown]
	ds_read_b128 v[107:110], v159 offset:1264
	s_waitcnt vmcnt(57) lgkmcnt(1)
	v_mul_f64 v[191:192], v[1:2], v[123:124]
	v_mul_f64 v[123:124], v[3:4], v[123:124]
	s_waitcnt vmcnt(56)
	v_fma_f64 v[180:181], v[5:6], v[189:190], -v[180:181]
	v_add_f64 v[111:112], v[111:112], v[170:171]
	v_fma_f64 v[170:171], v[7:8], v[189:190], v[176:177]
	v_add_f64 v[113:114], v[113:114], v[153:154]
	s_clause 0x2
	buffer_load_dword v165, off, s[0:3], 0 offset:732
	buffer_load_dword v154, off, s[0:3], 0 offset:708
	;; [unrolled: 1-line block ×3, first 2 shown]
	ds_read_b128 v[5:8], v159 offset:1280
	s_waitcnt vmcnt(58) lgkmcnt(1)
	v_mul_f64 v[176:177], v[107:108], v[172:173]
	v_mul_f64 v[172:173], v[109:110], v[172:173]
	s_waitcnt vmcnt(56)
	v_fma_f64 v[123:124], v[1:2], v[117:118], -v[123:124]
	v_fma_f64 v[117:118], v[3:4], v[117:118], v[191:192]
	v_add_f64 v[111:112], v[111:112], v[180:181]
	v_add_f64 v[113:114], v[113:114], v[170:171]
	s_clause 0x4
	buffer_load_dword v171, off, s[0:3], 0 offset:748
	buffer_load_dword v180, off, s[0:3], 0 offset:760
	;; [unrolled: 1-line block ×5, first 2 shown]
	ds_read_b128 v[1:4], v159 offset:1296
	s_waitcnt vmcnt(57) lgkmcnt(1)
	v_mul_f64 v[189:190], v[5:6], v[160:161]
	v_mul_f64 v[160:161], v[7:8], v[160:161]
	s_waitcnt vmcnt(56)
	v_fma_f64 v[172:173], v[107:108], v[185:186], -v[172:173]
	v_add_f64 v[111:112], v[111:112], v[123:124]
	v_fma_f64 v[123:124], v[109:110], v[185:186], v[176:177]
	v_add_f64 v[113:114], v[113:114], v[117:118]
	s_clause 0x2
	buffer_load_dword v181, off, s[0:3], 0 offset:764
	buffer_load_dword v118, off, s[0:3], 0 offset:740
	;; [unrolled: 1-line block ×3, first 2 shown]
	ds_read_b128 v[107:110], v159 offset:1312
	s_waitcnt vmcnt(58) lgkmcnt(1)
	v_mul_f64 v[176:177], v[1:2], v[162:163]
	v_mul_f64 v[162:163], v[3:4], v[162:163]
	s_waitcnt vmcnt(56)
	v_fma_f64 v[160:161], v[5:6], v[119:120], -v[160:161]
	v_fma_f64 v[119:120], v[7:8], v[119:120], v[189:190]
	v_add_f64 v[111:112], v[111:112], v[172:173]
	v_add_f64 v[113:114], v[113:114], v[123:124]
	s_clause 0x4
	buffer_load_dword v124, off, s[0:3], 0 offset:780
	buffer_load_dword v172, off, s[0:3], 0 offset:792
	;; [unrolled: 1-line block ×5, first 2 shown]
	ds_read_b128 v[5:8], v159 offset:1328
	s_waitcnt vmcnt(57) lgkmcnt(1)
	v_mul_f64 v[190:191], v[107:108], v[115:116]
	v_mul_f64 v[115:116], v[109:110], v[115:116]
	s_waitcnt vmcnt(56)
	v_fma_f64 v[162:163], v[1:2], v[174:175], -v[162:163]
	v_add_f64 v[111:112], v[111:112], v[160:161]
	v_fma_f64 v[160:161], v[3:4], v[174:175], v[176:177]
	v_add_f64 v[113:114], v[113:114], v[119:120]
	s_clause 0x2
	buffer_load_dword v173, off, s[0:3], 0 offset:796
	buffer_load_dword v120, off, s[0:3], 0 offset:772
	;; [unrolled: 1-line block ×3, first 2 shown]
	ds_read_b128 v[1:4], v159 offset:1344
	s_waitcnt vmcnt(58) lgkmcnt(1)
	v_mul_f64 v[174:175], v[5:6], v[135:136]
	v_mul_f64 v[135:136], v[7:8], v[135:136]
	s_waitcnt vmcnt(56)
	v_fma_f64 v[115:116], v[107:108], v[125:126], -v[115:116]
	v_fma_f64 v[125:126], v[109:110], v[125:126], v[190:191]
	buffer_load_dword v190, off, s[0:3], 0 offset:788
	ds_read_b128 v[107:110], v159 offset:1360
	v_add_f64 v[111:112], v[111:112], v[162:163]
	v_add_f64 v[113:114], v[113:114], v[160:161]
	s_waitcnt vmcnt(53) lgkmcnt(1)
	v_mul_f64 v[160:161], v[1:2], v[121:122]
	v_mul_f64 v[121:122], v[3:4], v[121:122]
	s_waitcnt vmcnt(52)
	v_fma_f64 v[135:136], v[5:6], v[168:169], -v[135:136]
	v_add_f64 v[111:112], v[111:112], v[115:116]
	v_fma_f64 v[115:116], v[7:8], v[168:169], v[174:175]
	v_add_f64 v[113:114], v[113:114], v[125:126]
	s_waitcnt vmcnt(51) lgkmcnt(0)
	v_mul_f64 v[125:126], v[107:108], v[141:142]
	v_mul_f64 v[141:142], v[109:110], v[141:142]
	ds_read_b128 v[5:8], v159 offset:1376
	s_waitcnt vmcnt(49)
	v_fma_f64 v[121:122], v[1:2], v[131:132], -v[121:122]
	v_fma_f64 v[131:132], v[3:4], v[131:132], v[160:161]
	v_add_f64 v[111:112], v[111:112], v[135:136]
	v_add_f64 v[113:114], v[113:114], v[115:116]
	s_clause 0x3
	buffer_load_dword v115, off, s[0:3], 0 offset:160
	buffer_load_dword v116, off, s[0:3], 0 offset:164
	;; [unrolled: 1-line block ×4, first 2 shown]
	ds_read_b128 v[1:4], v159 offset:1392
	s_waitcnt vmcnt(49) lgkmcnt(1)
	v_mul_f64 v[160:161], v[5:6], v[127:128]
	v_mul_f64 v[127:128], v[7:8], v[127:128]
	s_waitcnt vmcnt(48)
	v_fma_f64 v[141:142], v[107:108], v[143:144], -v[141:142]
	v_add_f64 v[111:112], v[111:112], v[121:122]
	v_fma_f64 v[121:122], v[109:110], v[143:144], v[125:126]
	v_add_f64 v[113:114], v[113:114], v[131:132]
	ds_read_b128 v[107:110], v159 offset:1408
	s_waitcnt vmcnt(47) lgkmcnt(1)
	v_mul_f64 v[131:132], v[3:4], v[149:150]
	v_mul_f64 v[125:126], v[1:2], v[149:150]
	s_waitcnt vmcnt(45)
	v_fma_f64 v[127:128], v[5:6], v[129:130], -v[127:128]
	v_fma_f64 v[129:130], v[7:8], v[129:130], v[160:161]
	ds_read_b128 v[5:8], v159 offset:1424
	v_add_f64 v[111:112], v[111:112], v[141:142]
	v_add_f64 v[113:114], v[113:114], v[121:122]
	s_waitcnt vmcnt(41) lgkmcnt(1)
	v_mul_f64 v[121:122], v[107:108], v[133:134]
	v_mul_f64 v[133:134], v[109:110], v[133:134]
	s_waitcnt vmcnt(40)
	v_fma_f64 v[131:132], v[1:2], v[151:152], -v[131:132]
	v_fma_f64 v[125:126], v[3:4], v[151:152], v[125:126]
	ds_read_b128 v[1:4], v159 offset:1440
	v_add_f64 v[111:112], v[111:112], v[127:128]
	v_add_f64 v[113:114], v[113:114], v[129:130]
	;; [unrolled: 9-line block ×3, first 2 shown]
	s_waitcnt vmcnt(33) lgkmcnt(1)
	v_mul_f64 v[131:132], v[3:4], v[139:140]
	s_waitcnt vmcnt(32)
	v_fma_f64 v[129:130], v[5:6], v[157:158], -v[129:130]
	v_mul_f64 v[125:126], v[1:2], v[139:140]
	v_fma_f64 v[127:128], v[7:8], v[157:158], v[127:128]
	ds_read_b128 v[5:8], v159 offset:1472
	v_add_f64 v[111:112], v[111:112], v[133:134]
	v_add_f64 v[113:114], v[113:114], v[121:122]
	s_waitcnt vmcnt(31) lgkmcnt(1)
	v_mul_f64 v[133:134], v[109:110], v[178:179]
	v_mul_f64 v[121:122], v[107:108], v[178:179]
	s_waitcnt vmcnt(29)
	v_fma_f64 v[131:132], v[1:2], v[145:146], -v[131:132]
	v_fma_f64 v[125:126], v[3:4], v[145:146], v[125:126]
	ds_read_b128 v[1:4], v159 offset:1488
	v_add_f64 v[111:112], v[111:112], v[129:130]
	v_add_f64 v[113:114], v[113:114], v[127:128]
	s_waitcnt vmcnt(25) lgkmcnt(1)
	v_mul_f64 v[129:130], v[7:8], v[147:148]
	s_waitcnt vmcnt(24)
	v_fma_f64 v[133:134], v[107:108], v[182:183], -v[133:134]
	v_mul_f64 v[127:128], v[5:6], v[147:148]
	v_fma_f64 v[121:122], v[109:110], v[182:183], v[121:122]
	ds_read_b128 v[107:110], v159 offset:1504
	v_add_f64 v[111:112], v[111:112], v[131:132]
	v_add_f64 v[113:114], v[113:114], v[125:126]
	s_waitcnt vmcnt(23) lgkmcnt(1)
	v_mul_f64 v[131:132], v[3:4], v[164:165]
	v_mul_f64 v[125:126], v[1:2], v[164:165]
	s_waitcnt vmcnt(21)
	v_fma_f64 v[129:130], v[5:6], v[153:154], -v[129:130]
	v_fma_f64 v[127:128], v[7:8], v[153:154], v[127:128]
	ds_read_b128 v[5:8], v159 offset:1520
	v_add_f64 v[111:112], v[111:112], v[133:134]
	v_add_f64 v[113:114], v[113:114], v[121:122]
	s_waitcnt vmcnt(17) lgkmcnt(1)
	v_mul_f64 v[133:134], v[109:110], v[170:171]
	s_waitcnt vmcnt(16)
	v_fma_f64 v[131:132], v[1:2], v[187:188], -v[131:132]
	v_mul_f64 v[121:122], v[107:108], v[170:171]
	v_fma_f64 v[125:126], v[3:4], v[187:188], v[125:126]
	ds_read_b128 v[1:4], v159 offset:1536
	v_add_f64 v[111:112], v[111:112], v[129:130]
	v_add_f64 v[113:114], v[113:114], v[127:128]
	s_waitcnt vmcnt(15) lgkmcnt(1)
	v_mul_f64 v[129:130], v[7:8], v[180:181]
	v_mul_f64 v[127:128], v[5:6], v[180:181]
	s_waitcnt vmcnt(13)
	v_fma_f64 v[133:134], v[107:108], v[117:118], -v[133:134]
	v_fma_f64 v[117:118], v[109:110], v[117:118], v[121:122]
	ds_read_b128 v[107:110], v159 offset:1552
	v_add_f64 v[111:112], v[111:112], v[131:132]
	v_add_f64 v[113:114], v[113:114], v[125:126]
	s_waitcnt vmcnt(9) lgkmcnt(1)
	v_mul_f64 v[121:122], v[1:2], v[123:124]
	v_mul_f64 v[123:124], v[3:4], v[123:124]
	s_waitcnt vmcnt(8)
	v_fma_f64 v[5:6], v[5:6], v[184:185], -v[129:130]
	v_fma_f64 v[7:8], v[7:8], v[184:185], v[127:128]
	v_add_f64 v[111:112], v[111:112], v[133:134]
	v_add_f64 v[113:114], v[113:114], v[117:118]
	s_waitcnt vmcnt(7) lgkmcnt(0)
	v_mul_f64 v[125:126], v[109:110], v[172:173]
	v_mul_f64 v[117:118], v[107:108], v[172:173]
	s_waitcnt vmcnt(5)
	v_fma_f64 v[1:2], v[1:2], v[119:120], -v[123:124]
	v_fma_f64 v[3:4], v[3:4], v[119:120], v[121:122]
	v_add_f64 v[5:6], v[111:112], v[5:6]
	v_add_f64 v[7:8], v[113:114], v[7:8]
	s_waitcnt vmcnt(4)
	v_fma_f64 v[107:108], v[107:108], v[189:190], -v[125:126]
	v_add_f64 v[1:2], v[5:6], v[1:2]
	v_fma_f64 v[5:6], v[109:110], v[189:190], v[117:118]
	v_add_f64 v[3:4], v[7:8], v[3:4]
	v_add_f64 v[1:2], v[1:2], v[107:108]
	;; [unrolled: 1-line block ×3, first 2 shown]
	s_waitcnt vmcnt(2)
	v_add_f64 v[1:2], v[115:116], -v[1:2]
	s_waitcnt vmcnt(0)
	v_add_f64 v[3:4], v[135:136], -v[3:4]
	buffer_store_dword v2, off, s[0:3], 0 offset:164
	buffer_store_dword v1, off, s[0:3], 0 offset:160
	;; [unrolled: 1-line block ×4, first 2 shown]
	v_cmpx_lt_u32_e32 8, v0
	s_cbranch_execz .LBB112_291
; %bb.290:
	v_mov_b32_e32 v4, s53
	s_clause 0x3
	buffer_load_dword v1, v4, s[0:3], 0 offen
	buffer_load_dword v2, v4, s[0:3], 0 offen offset:4
	buffer_load_dword v3, v4, s[0:3], 0 offen offset:8
	;; [unrolled: 1-line block ×3, first 2 shown]
	buffer_store_dword v159, off, s[0:3], 0 offset:144
	buffer_store_dword v159, off, s[0:3], 0 offset:148
	;; [unrolled: 1-line block ×4, first 2 shown]
	s_waitcnt vmcnt(0)
	ds_write_b128 v167, v[1:4]
.LBB112_291:
	s_or_b32 exec_lo, exec_lo, s4
	s_waitcnt lgkmcnt(0)
	s_waitcnt_vscnt null, 0x0
	s_barrier
	buffer_gl0_inv
	s_clause 0x37
	buffer_load_dword v107, off, s[0:3], 0 offset:168
	buffer_load_dword v108, off, s[0:3], 0 offset:172
	;; [unrolled: 1-line block ×56, first 2 shown]
	ds_read_b128 v[160:163], v159 offset:928
	s_clause 0x2
	buffer_load_dword v156, off, s[0:3], 0 offset:396
	buffer_load_dword v158, off, s[0:3], 0 offset:372
	;; [unrolled: 1-line block ×3, first 2 shown]
	ds_read_b128 v[168:171], v159 offset:944
	s_clause 0x4
	buffer_load_dword v177, off, s[0:3], 0 offset:412
	buffer_load_dword v178, off, s[0:3], 0 offset:424
	;; [unrolled: 1-line block ×5, first 2 shown]
	ds_read_b128 v[172:175], v159 offset:960
	s_clause 0x2
	buffer_load_dword v179, off, s[0:3], 0 offset:428
	buffer_load_dword v184, off, s[0:3], 0 offset:404
	;; [unrolled: 1-line block ×3, first 2 shown]
	s_mov_b32 s4, exec_lo
	s_waitcnt vmcnt(62) lgkmcnt(2)
	v_mul_f64 v[164:165], v[162:163], v[107:108]
	v_mul_f64 v[107:108], v[160:161], v[107:108]
	s_waitcnt lgkmcnt(1)
	v_mul_f64 v[181:182], v[170:171], v[5:6]
	s_waitcnt vmcnt(59) lgkmcnt(0)
	v_mul_f64 v[185:186], v[174:175], v[3:4]
	v_fma_f64 v[160:161], v[160:161], v[7:8], -v[164:165]
	v_mul_f64 v[164:165], v[168:169], v[5:6]
	v_fma_f64 v[107:108], v[162:163], v[7:8], v[107:108]
	s_waitcnt vmcnt(57)
	v_fma_f64 v[168:169], v[168:169], v[1:2], -v[181:182]
	ds_read_b128 v[5:8], v159 offset:976
	v_mul_f64 v[162:163], v[172:173], v[3:4]
	s_waitcnt vmcnt(51)
	v_fma_f64 v[172:173], v[172:173], v[123:124], -v[185:186]
	v_add_f64 v[160:161], v[160:161], 0
	v_fma_f64 v[164:165], v[170:171], v[1:2], v[164:165]
	v_add_f64 v[107:108], v[107:108], 0
	s_clause 0x4
	buffer_load_dword v171, off, s[0:3], 0 offset:444
	buffer_load_dword v187, off, s[0:3], 0 offset:456
	;; [unrolled: 1-line block ×5, first 2 shown]
	s_waitcnt lgkmcnt(0)
	v_mul_f64 v[190:191], v[5:6], v[111:112]
	v_mul_f64 v[111:112], v[7:8], v[111:112]
	ds_read_b128 v[1:4], v159 offset:992
	v_fma_f64 v[123:124], v[174:175], v[123:124], v[162:163]
	v_add_f64 v[168:169], v[160:161], v[168:169]
	v_add_f64 v[107:108], v[107:108], v[164:165]
	s_clause 0x2
	buffer_load_dword v188, off, s[0:3], 0 offset:460
	buffer_load_dword v165, off, s[0:3], 0 offset:436
	;; [unrolled: 1-line block ×3, first 2 shown]
	s_waitcnt vmcnt(58) lgkmcnt(0)
	v_mul_f64 v[174:175], v[1:2], v[115:116]
	v_mul_f64 v[115:116], v[3:4], v[115:116]
	s_waitcnt vmcnt(56)
	v_fma_f64 v[111:112], v[5:6], v[117:118], -v[111:112]
	ds_read_b128 v[160:163], v159 offset:1008
	v_fma_f64 v[117:118], v[7:8], v[117:118], v[190:191]
	v_add_f64 v[168:169], v[168:169], v[172:173]
	v_add_f64 v[107:108], v[107:108], v[123:124]
	s_clause 0x4
	buffer_load_dword v124, off, s[0:3], 0 offset:476
	buffer_load_dword v172, off, s[0:3], 0 offset:488
	buffer_load_dword v185, off, s[0:3], 0 offset:480
	buffer_load_dword v123, off, s[0:3], 0 offset:472
	buffer_load_dword v190, off, s[0:3], 0 offset:452
	ds_read_b128 v[5:8], v159 offset:1024
	s_waitcnt vmcnt(57) lgkmcnt(1)
	v_mul_f64 v[191:192], v[160:161], v[119:120]
	v_mul_f64 v[119:120], v[162:163], v[119:120]
	s_waitcnt vmcnt(56)
	v_fma_f64 v[115:116], v[1:2], v[109:110], -v[115:116]
	v_fma_f64 v[109:110], v[3:4], v[109:110], v[174:175]
	v_add_f64 v[111:112], v[168:169], v[111:112]
	v_add_f64 v[107:108], v[107:108], v[117:118]
	s_clause 0x2
	buffer_load_dword v173, off, s[0:3], 0 offset:492
	buffer_load_dword v118, off, s[0:3], 0 offset:468
	;; [unrolled: 1-line block ×3, first 2 shown]
	s_waitcnt vmcnt(58) lgkmcnt(0)
	v_mul_f64 v[168:169], v[5:6], v[125:126]
	v_mul_f64 v[125:126], v[7:8], v[125:126]
	s_waitcnt vmcnt(56)
	v_fma_f64 v[119:120], v[160:161], v[127:128], -v[119:120]
	ds_read_b128 v[1:4], v159 offset:1040
	v_add_f64 v[111:112], v[111:112], v[115:116]
	v_fma_f64 v[115:116], v[162:163], v[127:128], v[191:192]
	v_add_f64 v[127:128], v[107:108], v[109:110]
	s_clause 0x4
	buffer_load_dword v161, off, s[0:3], 0 offset:508
	buffer_load_dword v162, off, s[0:3], 0 offset:520
	;; [unrolled: 1-line block ×5, first 2 shown]
	ds_read_b128 v[107:110], v159 offset:1056
	s_waitcnt vmcnt(57) lgkmcnt(1)
	v_mul_f64 v[191:192], v[1:2], v[129:130]
	v_mul_f64 v[129:130], v[3:4], v[129:130]
	s_waitcnt vmcnt(56)
	v_fma_f64 v[125:126], v[5:6], v[113:114], -v[125:126]
	v_fma_f64 v[113:114], v[7:8], v[113:114], v[168:169]
	v_add_f64 v[111:112], v[111:112], v[119:120]
	s_clause 0x2
	buffer_load_dword v163, off, s[0:3], 0 offset:524
	buffer_load_dword v120, off, s[0:3], 0 offset:500
	;; [unrolled: 1-line block ×3, first 2 shown]
	v_add_f64 v[115:116], v[127:128], v[115:116]
	s_waitcnt vmcnt(58) lgkmcnt(0)
	v_mul_f64 v[127:128], v[107:108], v[133:134]
	v_mul_f64 v[133:134], v[109:110], v[133:134]
	ds_read_b128 v[5:8], v159 offset:1072
	s_waitcnt vmcnt(56)
	v_fma_f64 v[129:130], v[1:2], v[135:136], -v[129:130]
	v_add_f64 v[111:112], v[111:112], v[125:126]
	v_fma_f64 v[125:126], v[3:4], v[135:136], v[191:192]
	v_add_f64 v[113:114], v[115:116], v[113:114]
	s_clause 0x4
	buffer_load_dword v116, off, s[0:3], 0 offset:540
	buffer_load_dword v135, off, s[0:3], 0 offset:552
	;; [unrolled: 1-line block ×5, first 2 shown]
	s_waitcnt vmcnt(57) lgkmcnt(0)
	v_mul_f64 v[191:192], v[5:6], v[137:138]
	v_mul_f64 v[137:138], v[7:8], v[137:138]
	s_waitcnt vmcnt(56)
	v_fma_f64 v[133:134], v[107:108], v[121:122], -v[133:134]
	ds_read_b128 v[1:4], v159 offset:1088
	v_fma_f64 v[121:122], v[109:110], v[121:122], v[127:128]
	v_add_f64 v[111:112], v[111:112], v[129:130]
	v_add_f64 v[113:114], v[113:114], v[125:126]
	s_clause 0x2
	buffer_load_dword v136, off, s[0:3], 0 offset:556
	buffer_load_dword v126, off, s[0:3], 0 offset:532
	;; [unrolled: 1-line block ×3, first 2 shown]
	ds_read_b128 v[107:110], v159 offset:1104
	s_waitcnt vmcnt(58) lgkmcnt(1)
	v_mul_f64 v[129:130], v[3:4], v[141:142]
	s_waitcnt vmcnt(56)
	v_fma_f64 v[137:138], v[5:6], v[143:144], -v[137:138]
	v_mul_f64 v[127:128], v[1:2], v[141:142]
	v_add_f64 v[111:112], v[111:112], v[133:134]
	v_fma_f64 v[133:134], v[7:8], v[143:144], v[191:192]
	v_add_f64 v[113:114], v[113:114], v[121:122]
	s_clause 0x4
	buffer_load_dword v122, off, s[0:3], 0 offset:572
	buffer_load_dword v141, off, s[0:3], 0 offset:584
	;; [unrolled: 1-line block ×5, first 2 shown]
	s_waitcnt vmcnt(57) lgkmcnt(0)
	v_mul_f64 v[191:192], v[107:108], v[145:146]
	v_mul_f64 v[144:145], v[109:110], v[145:146]
	s_waitcnt vmcnt(56)
	v_fma_f64 v[129:130], v[1:2], v[131:132], -v[129:130]
	ds_read_b128 v[5:8], v159 offset:1120
	v_fma_f64 v[127:128], v[3:4], v[131:132], v[127:128]
	s_clause 0x2
	buffer_load_dword v142, off, s[0:3], 0 offset:588
	buffer_load_dword v132, off, s[0:3], 0 offset:564
	;; [unrolled: 1-line block ×3, first 2 shown]
	ds_read_b128 v[1:4], v159 offset:1136
	v_add_f64 v[111:112], v[111:112], v[137:138]
	v_add_f64 v[113:114], v[113:114], v[133:134]
	s_waitcnt vmcnt(58) lgkmcnt(1)
	v_mul_f64 v[137:138], v[7:8], v[149:150]
	s_waitcnt vmcnt(56)
	v_fma_f64 v[145:146], v[107:108], v[151:152], -v[144:145]
	v_mul_f64 v[133:134], v[5:6], v[149:150]
	v_add_f64 v[111:112], v[111:112], v[129:130]
	v_fma_f64 v[129:130], v[109:110], v[151:152], v[191:192]
	v_add_f64 v[113:114], v[113:114], v[127:128]
	s_clause 0x4
	buffer_load_dword v128, off, s[0:3], 0 offset:604
	buffer_load_dword v149, off, s[0:3], 0 offset:616
	;; [unrolled: 1-line block ×5, first 2 shown]
	s_waitcnt vmcnt(57) lgkmcnt(0)
	v_mul_f64 v[191:192], v[1:2], v[153:154]
	v_mul_f64 v[152:153], v[3:4], v[153:154]
	s_waitcnt vmcnt(56)
	v_fma_f64 v[137:138], v[5:6], v[139:140], -v[137:138]
	ds_read_b128 v[107:110], v159 offset:1152
	v_fma_f64 v[133:134], v[7:8], v[139:140], v[133:134]
	v_add_f64 v[111:112], v[111:112], v[145:146]
	v_add_f64 v[113:114], v[113:114], v[129:130]
	s_clause 0x2
	buffer_load_dword v150, off, s[0:3], 0 offset:620
	buffer_load_dword v130, off, s[0:3], 0 offset:596
	;; [unrolled: 1-line block ×3, first 2 shown]
	ds_read_b128 v[5:8], v159 offset:1168
	s_waitcnt vmcnt(58) lgkmcnt(1)
	v_mul_f64 v[145:146], v[109:110], v[155:156]
	s_waitcnt vmcnt(56)
	v_fma_f64 v[153:154], v[1:2], v[157:158], -v[152:153]
	v_mul_f64 v[139:140], v[107:108], v[155:156]
	v_add_f64 v[111:112], v[111:112], v[137:138]
	v_fma_f64 v[137:138], v[3:4], v[157:158], v[191:192]
	v_add_f64 v[113:114], v[113:114], v[133:134]
	s_clause 0x4
	buffer_load_dword v134, off, s[0:3], 0 offset:636
	buffer_load_dword v155, off, s[0:3], 0 offset:648
	;; [unrolled: 1-line block ×5, first 2 shown]
	s_waitcnt vmcnt(57) lgkmcnt(0)
	v_mul_f64 v[191:192], v[5:6], v[176:177]
	v_mul_f64 v[176:177], v[7:8], v[176:177]
	s_waitcnt vmcnt(56)
	v_fma_f64 v[145:146], v[107:108], v[147:148], -v[145:146]
	ds_read_b128 v[1:4], v159 offset:1184
	v_fma_f64 v[139:140], v[109:110], v[147:148], v[139:140]
	v_add_f64 v[111:112], v[111:112], v[153:154]
	v_add_f64 v[113:114], v[113:114], v[137:138]
	s_clause 0x2
	buffer_load_dword v156, off, s[0:3], 0 offset:652
	buffer_load_dword v138, off, s[0:3], 0 offset:628
	;; [unrolled: 1-line block ×3, first 2 shown]
	ds_read_b128 v[107:110], v159 offset:1200
	s_waitcnt vmcnt(58) lgkmcnt(1)
	v_mul_f64 v[153:154], v[3:4], v[178:179]
	s_waitcnt vmcnt(56)
	v_fma_f64 v[176:177], v[5:6], v[183:184], -v[176:177]
	v_mul_f64 v[147:148], v[1:2], v[178:179]
	v_add_f64 v[111:112], v[111:112], v[145:146]
	v_fma_f64 v[145:146], v[7:8], v[183:184], v[191:192]
	v_add_f64 v[113:114], v[113:114], v[139:140]
	s_clause 0x4
	buffer_load_dword v140, off, s[0:3], 0 offset:668
	buffer_load_dword v178, off, s[0:3], 0 offset:680
	;; [unrolled: 1-line block ×5, first 2 shown]
	ds_read_b128 v[5:8], v159 offset:1216
	s_waitcnt vmcnt(57) lgkmcnt(1)
	v_mul_f64 v[183:184], v[107:108], v[170:171]
	v_mul_f64 v[170:171], v[109:110], v[170:171]
	s_waitcnt vmcnt(56)
	v_fma_f64 v[153:154], v[1:2], v[180:181], -v[153:154]
	v_fma_f64 v[147:148], v[3:4], v[180:181], v[147:148]
	v_add_f64 v[111:112], v[111:112], v[176:177]
	v_add_f64 v[113:114], v[113:114], v[145:146]
	s_clause 0x2
	buffer_load_dword v179, off, s[0:3], 0 offset:684
	buffer_load_dword v146, off, s[0:3], 0 offset:660
	;; [unrolled: 1-line block ×3, first 2 shown]
	ds_read_b128 v[1:4], v159 offset:1232
	s_waitcnt vmcnt(58) lgkmcnt(1)
	v_mul_f64 v[180:181], v[7:8], v[187:188]
	v_mul_f64 v[176:177], v[5:6], v[187:188]
	s_waitcnt vmcnt(56)
	v_fma_f64 v[170:171], v[107:108], v[164:165], -v[170:171]
	v_add_f64 v[111:112], v[111:112], v[153:154]
	v_fma_f64 v[153:154], v[109:110], v[164:165], v[183:184]
	v_add_f64 v[113:114], v[113:114], v[147:148]
	s_clause 0x4
	buffer_load_dword v148, off, s[0:3], 0 offset:700
	buffer_load_dword v164, off, s[0:3], 0 offset:712
	buffer_load_dword v187, off, s[0:3], 0 offset:704
	buffer_load_dword v147, off, s[0:3], 0 offset:696
	buffer_load_dword v183, off, s[0:3], 0 offset:676
	ds_read_b128 v[107:110], v159 offset:1248
	s_waitcnt vmcnt(57) lgkmcnt(1)
	v_mul_f64 v[191:192], v[1:2], v[123:124]
	v_mul_f64 v[123:124], v[3:4], v[123:124]
	s_waitcnt vmcnt(56)
	v_fma_f64 v[180:181], v[5:6], v[189:190], -v[180:181]
	v_add_f64 v[111:112], v[111:112], v[170:171]
	v_fma_f64 v[170:171], v[7:8], v[189:190], v[176:177]
	v_add_f64 v[113:114], v[113:114], v[153:154]
	s_clause 0x2
	buffer_load_dword v165, off, s[0:3], 0 offset:716
	buffer_load_dword v154, off, s[0:3], 0 offset:692
	buffer_load_dword v153, off, s[0:3], 0 offset:688
	ds_read_b128 v[5:8], v159 offset:1264
	s_waitcnt vmcnt(58) lgkmcnt(1)
	v_mul_f64 v[176:177], v[107:108], v[172:173]
	v_mul_f64 v[172:173], v[109:110], v[172:173]
	s_waitcnt vmcnt(56)
	v_fma_f64 v[123:124], v[1:2], v[117:118], -v[123:124]
	v_fma_f64 v[117:118], v[3:4], v[117:118], v[191:192]
	v_add_f64 v[111:112], v[111:112], v[180:181]
	v_add_f64 v[113:114], v[113:114], v[170:171]
	s_clause 0x4
	buffer_load_dword v171, off, s[0:3], 0 offset:732
	buffer_load_dword v180, off, s[0:3], 0 offset:744
	buffer_load_dword v184, off, s[0:3], 0 offset:736
	buffer_load_dword v170, off, s[0:3], 0 offset:728
	buffer_load_dword v188, off, s[0:3], 0 offset:708
	ds_read_b128 v[1:4], v159 offset:1280
	s_waitcnt vmcnt(57) lgkmcnt(1)
	v_mul_f64 v[189:190], v[5:6], v[160:161]
	v_mul_f64 v[160:161], v[7:8], v[160:161]
	s_waitcnt vmcnt(56)
	v_fma_f64 v[172:173], v[107:108], v[185:186], -v[172:173]
	v_add_f64 v[111:112], v[111:112], v[123:124]
	v_fma_f64 v[123:124], v[109:110], v[185:186], v[176:177]
	v_add_f64 v[113:114], v[113:114], v[117:118]
	s_clause 0x2
	buffer_load_dword v181, off, s[0:3], 0 offset:748
	buffer_load_dword v118, off, s[0:3], 0 offset:724
	buffer_load_dword v117, off, s[0:3], 0 offset:720
	ds_read_b128 v[107:110], v159 offset:1296
	s_waitcnt vmcnt(58) lgkmcnt(1)
	v_mul_f64 v[176:177], v[1:2], v[162:163]
	v_mul_f64 v[162:163], v[3:4], v[162:163]
	s_waitcnt vmcnt(56)
	v_fma_f64 v[160:161], v[5:6], v[119:120], -v[160:161]
	v_fma_f64 v[119:120], v[7:8], v[119:120], v[189:190]
	v_add_f64 v[111:112], v[111:112], v[172:173]
	;; [unrolled: 28-line block ×3, first 2 shown]
	v_add_f64 v[113:114], v[113:114], v[160:161]
	s_clause 0x2
	buffer_load_dword v161, off, s[0:3], 0 offset:796
	buffer_load_dword v160, off, s[0:3], 0 offset:792
	;; [unrolled: 1-line block ×3, first 2 shown]
	ds_read_b128 v[107:110], v159 offset:1344
	s_waitcnt vmcnt(55) lgkmcnt(1)
	v_mul_f64 v[162:163], v[1:2], v[121:122]
	v_mul_f64 v[121:122], v[3:4], v[121:122]
	s_waitcnt vmcnt(54)
	v_fma_f64 v[135:136], v[5:6], v[168:169], -v[135:136]
	v_add_f64 v[111:112], v[111:112], v[115:116]
	v_fma_f64 v[115:116], v[7:8], v[168:169], v[174:175]
	v_add_f64 v[113:114], v[113:114], v[125:126]
	s_clause 0x1
	buffer_load_dword v126, off, s[0:3], 0 offset:788
	buffer_load_dword v125, off, s[0:3], 0 offset:784
	s_waitcnt vmcnt(55) lgkmcnt(0)
	v_mul_f64 v[168:169], v[107:108], v[141:142]
	v_mul_f64 v[141:142], v[109:110], v[141:142]
	ds_read_b128 v[5:8], v159 offset:1360
	s_waitcnt vmcnt(53)
	v_fma_f64 v[121:122], v[1:2], v[131:132], -v[121:122]
	v_fma_f64 v[131:132], v[3:4], v[131:132], v[162:163]
	ds_read_b128 v[1:4], v159 offset:1376
	v_add_f64 v[111:112], v[111:112], v[135:136]
	v_add_f64 v[113:114], v[113:114], v[115:116]
	s_waitcnt vmcnt(49) lgkmcnt(1)
	v_mul_f64 v[115:116], v[5:6], v[127:128]
	v_mul_f64 v[127:128], v[7:8], v[127:128]
	s_waitcnt vmcnt(48)
	v_fma_f64 v[135:136], v[107:108], v[143:144], -v[141:142]
	v_add_f64 v[111:112], v[111:112], v[121:122]
	v_fma_f64 v[121:122], v[109:110], v[143:144], v[168:169]
	v_add_f64 v[113:114], v[113:114], v[131:132]
	s_clause 0x3
	buffer_load_dword v131, off, s[0:3], 0 offset:144
	buffer_load_dword v132, off, s[0:3], 0 offset:148
	buffer_load_dword v141, off, s[0:3], 0 offset:152
	buffer_load_dword v142, off, s[0:3], 0 offset:156
	ds_read_b128 v[107:110], v159 offset:1392
	s_waitcnt vmcnt(51) lgkmcnt(1)
	v_mul_f64 v[143:144], v[1:2], v[149:150]
	v_mul_f64 v[149:150], v[3:4], v[149:150]
	s_waitcnt vmcnt(49)
	v_fma_f64 v[127:128], v[5:6], v[129:130], -v[127:128]
	v_fma_f64 v[115:116], v[7:8], v[129:130], v[115:116]
	ds_read_b128 v[5:8], v159 offset:1408
	v_add_f64 v[111:112], v[111:112], v[135:136]
	v_add_f64 v[113:114], v[113:114], v[121:122]
	s_waitcnt vmcnt(45) lgkmcnt(1)
	v_mul_f64 v[121:122], v[107:108], v[133:134]
	v_mul_f64 v[129:130], v[109:110], v[133:134]
	s_waitcnt vmcnt(44)
	v_fma_f64 v[133:134], v[1:2], v[151:152], -v[149:150]
	v_add_f64 v[111:112], v[111:112], v[127:128]
	v_fma_f64 v[127:128], v[3:4], v[151:152], v[143:144]
	v_add_f64 v[113:114], v[113:114], v[115:116]
	ds_read_b128 v[1:4], v159 offset:1424
	s_waitcnt vmcnt(43) lgkmcnt(1)
	v_mul_f64 v[135:136], v[7:8], v[155:156]
	v_mul_f64 v[115:116], v[5:6], v[155:156]
	s_waitcnt vmcnt(41)
	v_fma_f64 v[129:130], v[107:108], v[137:138], -v[129:130]
	v_fma_f64 v[121:122], v[109:110], v[137:138], v[121:122]
	ds_read_b128 v[107:110], v159 offset:1440
	v_add_f64 v[111:112], v[111:112], v[133:134]
	v_add_f64 v[113:114], v[113:114], v[127:128]
	s_waitcnt vmcnt(37) lgkmcnt(1)
	v_mul_f64 v[133:134], v[3:4], v[139:140]
	s_waitcnt vmcnt(36)
	v_fma_f64 v[135:136], v[5:6], v[157:158], -v[135:136]
	v_mul_f64 v[127:128], v[1:2], v[139:140]
	v_fma_f64 v[115:116], v[7:8], v[157:158], v[115:116]
	ds_read_b128 v[5:8], v159 offset:1456
	v_add_f64 v[111:112], v[111:112], v[129:130]
	v_add_f64 v[113:114], v[113:114], v[121:122]
	s_waitcnt vmcnt(35) lgkmcnt(1)
	v_mul_f64 v[129:130], v[109:110], v[178:179]
	v_mul_f64 v[121:122], v[107:108], v[178:179]
	s_waitcnt vmcnt(33)
	v_fma_f64 v[133:134], v[1:2], v[145:146], -v[133:134]
	v_fma_f64 v[127:128], v[3:4], v[145:146], v[127:128]
	ds_read_b128 v[1:4], v159 offset:1472
	v_add_f64 v[111:112], v[111:112], v[135:136]
	v_add_f64 v[113:114], v[113:114], v[115:116]
	s_waitcnt vmcnt(29) lgkmcnt(1)
	v_mul_f64 v[135:136], v[7:8], v[147:148]
	s_waitcnt vmcnt(28)
	v_fma_f64 v[129:130], v[107:108], v[182:183], -v[129:130]
	v_mul_f64 v[115:116], v[5:6], v[147:148]
	v_fma_f64 v[121:122], v[109:110], v[182:183], v[121:122]
	ds_read_b128 v[107:110], v159 offset:1488
	v_add_f64 v[111:112], v[111:112], v[133:134]
	v_add_f64 v[113:114], v[113:114], v[127:128]
	;; [unrolled: 18-line block ×3, first 2 shown]
	s_waitcnt vmcnt(19) lgkmcnt(1)
	v_mul_f64 v[135:136], v[7:8], v[180:181]
	v_mul_f64 v[115:116], v[5:6], v[180:181]
	s_waitcnt vmcnt(17)
	v_fma_f64 v[129:130], v[107:108], v[117:118], -v[129:130]
	v_fma_f64 v[117:118], v[109:110], v[117:118], v[121:122]
	ds_read_b128 v[107:110], v159 offset:1536
	v_add_f64 v[111:112], v[111:112], v[133:134]
	v_add_f64 v[113:114], v[113:114], v[127:128]
	s_waitcnt vmcnt(13) lgkmcnt(1)
	v_mul_f64 v[121:122], v[1:2], v[123:124]
	v_mul_f64 v[123:124], v[3:4], v[123:124]
	s_waitcnt vmcnt(12)
	v_fma_f64 v[127:128], v[5:6], v[184:185], -v[135:136]
	v_fma_f64 v[115:116], v[7:8], v[184:185], v[115:116]
	ds_read_b128 v[5:8], v159 offset:1552
	v_add_f64 v[111:112], v[111:112], v[129:130]
	v_add_f64 v[113:114], v[113:114], v[117:118]
	s_waitcnt vmcnt(11) lgkmcnt(1)
	v_mul_f64 v[129:130], v[109:110], v[172:173]
	v_mul_f64 v[117:118], v[107:108], v[172:173]
	s_waitcnt vmcnt(9)
	v_fma_f64 v[1:2], v[1:2], v[119:120], -v[123:124]
	v_fma_f64 v[3:4], v[3:4], v[119:120], v[121:122]
	v_add_f64 v[111:112], v[111:112], v[127:128]
	v_add_f64 v[113:114], v[113:114], v[115:116]
	s_waitcnt vmcnt(7) lgkmcnt(0)
	v_mul_f64 v[119:120], v[7:8], v[160:161]
	s_waitcnt vmcnt(6)
	v_fma_f64 v[107:108], v[107:108], v[189:190], -v[129:130]
	v_mul_f64 v[115:116], v[5:6], v[160:161]
	v_fma_f64 v[109:110], v[109:110], v[189:190], v[117:118]
	v_add_f64 v[1:2], v[111:112], v[1:2]
	v_add_f64 v[3:4], v[113:114], v[3:4]
	s_waitcnt vmcnt(4)
	v_fma_f64 v[5:6], v[5:6], v[125:126], -v[119:120]
	v_fma_f64 v[7:8], v[7:8], v[125:126], v[115:116]
	v_add_f64 v[1:2], v[1:2], v[107:108]
	v_add_f64 v[3:4], v[3:4], v[109:110]
	;; [unrolled: 1-line block ×4, first 2 shown]
	s_waitcnt vmcnt(2)
	v_add_f64 v[1:2], v[131:132], -v[1:2]
	s_waitcnt vmcnt(0)
	v_add_f64 v[3:4], v[141:142], -v[3:4]
	buffer_store_dword v2, off, s[0:3], 0 offset:148
	buffer_store_dword v1, off, s[0:3], 0 offset:144
	;; [unrolled: 1-line block ×4, first 2 shown]
	v_cmpx_lt_u32_e32 7, v0
	s_cbranch_execz .LBB112_293
; %bb.292:
	v_mov_b32_e32 v4, s54
	v_mov_b32_e32 v5, 0
	s_clause 0x3
	buffer_load_dword v1, v4, s[0:3], 0 offen
	buffer_load_dword v2, v4, s[0:3], 0 offen offset:4
	buffer_load_dword v3, v4, s[0:3], 0 offen offset:8
	;; [unrolled: 1-line block ×3, first 2 shown]
	buffer_store_dword v5, off, s[0:3], 0 offset:128
	buffer_store_dword v5, off, s[0:3], 0 offset:132
	;; [unrolled: 1-line block ×4, first 2 shown]
	s_waitcnt vmcnt(0)
	ds_write_b128 v167, v[1:4]
.LBB112_293:
	s_or_b32 exec_lo, exec_lo, s4
	s_waitcnt lgkmcnt(0)
	s_waitcnt_vscnt null, 0x0
	s_barrier
	buffer_gl0_inv
	s_clause 0x37
	buffer_load_dword v107, off, s[0:3], 0 offset:152
	buffer_load_dword v108, off, s[0:3], 0 offset:156
	;; [unrolled: 1-line block ×56, first 2 shown]
	v_mov_b32_e32 v159, 0
	s_mov_b32 s4, exec_lo
	ds_read_b128 v[160:163], v159 offset:912
	s_clause 0x2
	buffer_load_dword v156, off, s[0:3], 0 offset:380
	buffer_load_dword v158, off, s[0:3], 0 offset:356
	;; [unrolled: 1-line block ×3, first 2 shown]
	ds_read_b128 v[168:171], v159 offset:928
	s_clause 0x4
	buffer_load_dword v177, off, s[0:3], 0 offset:396
	buffer_load_dword v178, off, s[0:3], 0 offset:408
	;; [unrolled: 1-line block ×5, first 2 shown]
	ds_read_b128 v[172:175], v159 offset:944
	s_clause 0x2
	buffer_load_dword v179, off, s[0:3], 0 offset:412
	buffer_load_dword v184, off, s[0:3], 0 offset:388
	;; [unrolled: 1-line block ×3, first 2 shown]
	s_waitcnt vmcnt(62) lgkmcnt(2)
	v_mul_f64 v[164:165], v[162:163], v[107:108]
	v_mul_f64 v[107:108], v[160:161], v[107:108]
	s_waitcnt lgkmcnt(1)
	v_mul_f64 v[181:182], v[170:171], v[5:6]
	s_waitcnt vmcnt(59) lgkmcnt(0)
	v_mul_f64 v[185:186], v[174:175], v[3:4]
	v_fma_f64 v[160:161], v[160:161], v[7:8], -v[164:165]
	v_mul_f64 v[164:165], v[168:169], v[5:6]
	v_fma_f64 v[107:108], v[162:163], v[7:8], v[107:108]
	s_waitcnt vmcnt(57)
	v_fma_f64 v[168:169], v[168:169], v[1:2], -v[181:182]
	ds_read_b128 v[5:8], v159 offset:960
	v_mul_f64 v[162:163], v[172:173], v[3:4]
	s_waitcnt vmcnt(51)
	v_fma_f64 v[172:173], v[172:173], v[123:124], -v[185:186]
	v_add_f64 v[160:161], v[160:161], 0
	v_fma_f64 v[164:165], v[170:171], v[1:2], v[164:165]
	v_add_f64 v[107:108], v[107:108], 0
	s_clause 0x4
	buffer_load_dword v171, off, s[0:3], 0 offset:428
	buffer_load_dword v187, off, s[0:3], 0 offset:440
	;; [unrolled: 1-line block ×5, first 2 shown]
	s_waitcnt lgkmcnt(0)
	v_mul_f64 v[190:191], v[5:6], v[111:112]
	v_mul_f64 v[111:112], v[7:8], v[111:112]
	ds_read_b128 v[1:4], v159 offset:976
	v_fma_f64 v[123:124], v[174:175], v[123:124], v[162:163]
	v_add_f64 v[168:169], v[160:161], v[168:169]
	v_add_f64 v[107:108], v[107:108], v[164:165]
	s_clause 0x2
	buffer_load_dword v188, off, s[0:3], 0 offset:444
	buffer_load_dword v165, off, s[0:3], 0 offset:420
	;; [unrolled: 1-line block ×3, first 2 shown]
	s_waitcnt vmcnt(58) lgkmcnt(0)
	v_mul_f64 v[174:175], v[1:2], v[115:116]
	v_mul_f64 v[115:116], v[3:4], v[115:116]
	s_waitcnt vmcnt(56)
	v_fma_f64 v[111:112], v[5:6], v[117:118], -v[111:112]
	ds_read_b128 v[160:163], v159 offset:992
	v_fma_f64 v[117:118], v[7:8], v[117:118], v[190:191]
	v_add_f64 v[168:169], v[168:169], v[172:173]
	v_add_f64 v[107:108], v[107:108], v[123:124]
	s_clause 0x4
	buffer_load_dword v124, off, s[0:3], 0 offset:460
	buffer_load_dword v172, off, s[0:3], 0 offset:472
	;; [unrolled: 1-line block ×5, first 2 shown]
	ds_read_b128 v[5:8], v159 offset:1008
	s_waitcnt vmcnt(57) lgkmcnt(1)
	v_mul_f64 v[191:192], v[160:161], v[119:120]
	v_mul_f64 v[119:120], v[162:163], v[119:120]
	s_waitcnt vmcnt(56)
	v_fma_f64 v[115:116], v[1:2], v[109:110], -v[115:116]
	v_fma_f64 v[109:110], v[3:4], v[109:110], v[174:175]
	v_add_f64 v[111:112], v[168:169], v[111:112]
	v_add_f64 v[107:108], v[107:108], v[117:118]
	s_clause 0x2
	buffer_load_dword v173, off, s[0:3], 0 offset:476
	buffer_load_dword v118, off, s[0:3], 0 offset:452
	;; [unrolled: 1-line block ×3, first 2 shown]
	s_waitcnt vmcnt(58) lgkmcnt(0)
	v_mul_f64 v[168:169], v[5:6], v[125:126]
	v_mul_f64 v[125:126], v[7:8], v[125:126]
	s_waitcnt vmcnt(56)
	v_fma_f64 v[119:120], v[160:161], v[127:128], -v[119:120]
	ds_read_b128 v[1:4], v159 offset:1024
	v_add_f64 v[111:112], v[111:112], v[115:116]
	v_fma_f64 v[115:116], v[162:163], v[127:128], v[191:192]
	v_add_f64 v[127:128], v[107:108], v[109:110]
	s_clause 0x4
	buffer_load_dword v161, off, s[0:3], 0 offset:492
	buffer_load_dword v162, off, s[0:3], 0 offset:504
	;; [unrolled: 1-line block ×5, first 2 shown]
	ds_read_b128 v[107:110], v159 offset:1040
	s_waitcnt vmcnt(57) lgkmcnt(1)
	v_mul_f64 v[191:192], v[1:2], v[129:130]
	v_mul_f64 v[129:130], v[3:4], v[129:130]
	s_waitcnt vmcnt(56)
	v_fma_f64 v[125:126], v[5:6], v[113:114], -v[125:126]
	v_fma_f64 v[113:114], v[7:8], v[113:114], v[168:169]
	v_add_f64 v[111:112], v[111:112], v[119:120]
	s_clause 0x2
	buffer_load_dword v163, off, s[0:3], 0 offset:508
	buffer_load_dword v120, off, s[0:3], 0 offset:484
	;; [unrolled: 1-line block ×3, first 2 shown]
	v_add_f64 v[115:116], v[127:128], v[115:116]
	s_waitcnt vmcnt(58) lgkmcnt(0)
	v_mul_f64 v[127:128], v[107:108], v[133:134]
	v_mul_f64 v[133:134], v[109:110], v[133:134]
	ds_read_b128 v[5:8], v159 offset:1056
	s_waitcnt vmcnt(56)
	v_fma_f64 v[129:130], v[1:2], v[135:136], -v[129:130]
	v_add_f64 v[111:112], v[111:112], v[125:126]
	v_fma_f64 v[125:126], v[3:4], v[135:136], v[191:192]
	v_add_f64 v[113:114], v[115:116], v[113:114]
	s_clause 0x4
	buffer_load_dword v116, off, s[0:3], 0 offset:524
	buffer_load_dword v135, off, s[0:3], 0 offset:536
	;; [unrolled: 1-line block ×5, first 2 shown]
	s_waitcnt vmcnt(57) lgkmcnt(0)
	v_mul_f64 v[191:192], v[5:6], v[137:138]
	v_mul_f64 v[137:138], v[7:8], v[137:138]
	s_waitcnt vmcnt(56)
	v_fma_f64 v[133:134], v[107:108], v[121:122], -v[133:134]
	ds_read_b128 v[1:4], v159 offset:1072
	v_fma_f64 v[121:122], v[109:110], v[121:122], v[127:128]
	v_add_f64 v[111:112], v[111:112], v[129:130]
	v_add_f64 v[113:114], v[113:114], v[125:126]
	s_clause 0x2
	buffer_load_dword v136, off, s[0:3], 0 offset:540
	buffer_load_dword v126, off, s[0:3], 0 offset:516
	;; [unrolled: 1-line block ×3, first 2 shown]
	ds_read_b128 v[107:110], v159 offset:1088
	s_waitcnt vmcnt(58) lgkmcnt(1)
	v_mul_f64 v[129:130], v[3:4], v[141:142]
	s_waitcnt vmcnt(56)
	v_fma_f64 v[137:138], v[5:6], v[143:144], -v[137:138]
	v_mul_f64 v[127:128], v[1:2], v[141:142]
	v_add_f64 v[111:112], v[111:112], v[133:134]
	v_fma_f64 v[133:134], v[7:8], v[143:144], v[191:192]
	v_add_f64 v[113:114], v[113:114], v[121:122]
	s_clause 0x4
	buffer_load_dword v122, off, s[0:3], 0 offset:556
	buffer_load_dword v141, off, s[0:3], 0 offset:568
	;; [unrolled: 1-line block ×5, first 2 shown]
	s_waitcnt vmcnt(57) lgkmcnt(0)
	v_mul_f64 v[191:192], v[107:108], v[145:146]
	v_mul_f64 v[144:145], v[109:110], v[145:146]
	s_waitcnt vmcnt(56)
	v_fma_f64 v[129:130], v[1:2], v[131:132], -v[129:130]
	ds_read_b128 v[5:8], v159 offset:1104
	v_fma_f64 v[127:128], v[3:4], v[131:132], v[127:128]
	s_clause 0x2
	buffer_load_dword v142, off, s[0:3], 0 offset:572
	buffer_load_dword v132, off, s[0:3], 0 offset:548
	;; [unrolled: 1-line block ×3, first 2 shown]
	ds_read_b128 v[1:4], v159 offset:1120
	v_add_f64 v[111:112], v[111:112], v[137:138]
	v_add_f64 v[113:114], v[113:114], v[133:134]
	s_waitcnt vmcnt(58) lgkmcnt(1)
	v_mul_f64 v[137:138], v[7:8], v[149:150]
	s_waitcnt vmcnt(56)
	v_fma_f64 v[145:146], v[107:108], v[151:152], -v[144:145]
	v_mul_f64 v[133:134], v[5:6], v[149:150]
	v_add_f64 v[111:112], v[111:112], v[129:130]
	v_fma_f64 v[129:130], v[109:110], v[151:152], v[191:192]
	v_add_f64 v[113:114], v[113:114], v[127:128]
	s_clause 0x4
	buffer_load_dword v128, off, s[0:3], 0 offset:588
	buffer_load_dword v149, off, s[0:3], 0 offset:600
	;; [unrolled: 1-line block ×5, first 2 shown]
	s_waitcnt vmcnt(57) lgkmcnt(0)
	v_mul_f64 v[191:192], v[1:2], v[153:154]
	v_mul_f64 v[152:153], v[3:4], v[153:154]
	s_waitcnt vmcnt(56)
	v_fma_f64 v[137:138], v[5:6], v[139:140], -v[137:138]
	ds_read_b128 v[107:110], v159 offset:1136
	v_fma_f64 v[133:134], v[7:8], v[139:140], v[133:134]
	v_add_f64 v[111:112], v[111:112], v[145:146]
	v_add_f64 v[113:114], v[113:114], v[129:130]
	s_clause 0x2
	buffer_load_dword v150, off, s[0:3], 0 offset:604
	buffer_load_dword v130, off, s[0:3], 0 offset:580
	;; [unrolled: 1-line block ×3, first 2 shown]
	ds_read_b128 v[5:8], v159 offset:1152
	s_waitcnt vmcnt(58) lgkmcnt(1)
	v_mul_f64 v[145:146], v[109:110], v[155:156]
	s_waitcnt vmcnt(56)
	v_fma_f64 v[153:154], v[1:2], v[157:158], -v[152:153]
	v_mul_f64 v[139:140], v[107:108], v[155:156]
	v_add_f64 v[111:112], v[111:112], v[137:138]
	v_fma_f64 v[137:138], v[3:4], v[157:158], v[191:192]
	v_add_f64 v[113:114], v[113:114], v[133:134]
	s_clause 0x4
	buffer_load_dword v134, off, s[0:3], 0 offset:620
	buffer_load_dword v155, off, s[0:3], 0 offset:632
	;; [unrolled: 1-line block ×5, first 2 shown]
	s_waitcnt vmcnt(57) lgkmcnt(0)
	v_mul_f64 v[191:192], v[5:6], v[176:177]
	v_mul_f64 v[176:177], v[7:8], v[176:177]
	s_waitcnt vmcnt(56)
	v_fma_f64 v[145:146], v[107:108], v[147:148], -v[145:146]
	ds_read_b128 v[1:4], v159 offset:1168
	v_fma_f64 v[139:140], v[109:110], v[147:148], v[139:140]
	v_add_f64 v[111:112], v[111:112], v[153:154]
	v_add_f64 v[113:114], v[113:114], v[137:138]
	s_clause 0x2
	buffer_load_dword v156, off, s[0:3], 0 offset:636
	buffer_load_dword v138, off, s[0:3], 0 offset:612
	;; [unrolled: 1-line block ×3, first 2 shown]
	ds_read_b128 v[107:110], v159 offset:1184
	s_waitcnt vmcnt(58) lgkmcnt(1)
	v_mul_f64 v[153:154], v[3:4], v[178:179]
	s_waitcnt vmcnt(56)
	v_fma_f64 v[176:177], v[5:6], v[183:184], -v[176:177]
	v_mul_f64 v[147:148], v[1:2], v[178:179]
	v_add_f64 v[111:112], v[111:112], v[145:146]
	v_fma_f64 v[145:146], v[7:8], v[183:184], v[191:192]
	v_add_f64 v[113:114], v[113:114], v[139:140]
	s_clause 0x4
	buffer_load_dword v140, off, s[0:3], 0 offset:652
	buffer_load_dword v178, off, s[0:3], 0 offset:664
	;; [unrolled: 1-line block ×5, first 2 shown]
	ds_read_b128 v[5:8], v159 offset:1200
	s_waitcnt vmcnt(57) lgkmcnt(1)
	v_mul_f64 v[183:184], v[107:108], v[170:171]
	v_mul_f64 v[170:171], v[109:110], v[170:171]
	s_waitcnt vmcnt(56)
	v_fma_f64 v[153:154], v[1:2], v[180:181], -v[153:154]
	v_fma_f64 v[147:148], v[3:4], v[180:181], v[147:148]
	v_add_f64 v[111:112], v[111:112], v[176:177]
	v_add_f64 v[113:114], v[113:114], v[145:146]
	s_clause 0x2
	buffer_load_dword v179, off, s[0:3], 0 offset:668
	buffer_load_dword v146, off, s[0:3], 0 offset:644
	;; [unrolled: 1-line block ×3, first 2 shown]
	ds_read_b128 v[1:4], v159 offset:1216
	s_waitcnt vmcnt(58) lgkmcnt(1)
	v_mul_f64 v[180:181], v[7:8], v[187:188]
	v_mul_f64 v[176:177], v[5:6], v[187:188]
	s_waitcnt vmcnt(56)
	v_fma_f64 v[170:171], v[107:108], v[164:165], -v[170:171]
	v_add_f64 v[111:112], v[111:112], v[153:154]
	v_fma_f64 v[153:154], v[109:110], v[164:165], v[183:184]
	v_add_f64 v[113:114], v[113:114], v[147:148]
	s_clause 0x4
	buffer_load_dword v148, off, s[0:3], 0 offset:684
	buffer_load_dword v164, off, s[0:3], 0 offset:696
	buffer_load_dword v187, off, s[0:3], 0 offset:688
	buffer_load_dword v147, off, s[0:3], 0 offset:680
	buffer_load_dword v183, off, s[0:3], 0 offset:660
	ds_read_b128 v[107:110], v159 offset:1232
	s_waitcnt vmcnt(57) lgkmcnt(1)
	v_mul_f64 v[191:192], v[1:2], v[123:124]
	v_mul_f64 v[123:124], v[3:4], v[123:124]
	s_waitcnt vmcnt(56)
	v_fma_f64 v[180:181], v[5:6], v[189:190], -v[180:181]
	v_add_f64 v[111:112], v[111:112], v[170:171]
	v_fma_f64 v[170:171], v[7:8], v[189:190], v[176:177]
	v_add_f64 v[113:114], v[113:114], v[153:154]
	s_clause 0x2
	buffer_load_dword v165, off, s[0:3], 0 offset:700
	buffer_load_dword v154, off, s[0:3], 0 offset:676
	buffer_load_dword v153, off, s[0:3], 0 offset:672
	ds_read_b128 v[5:8], v159 offset:1248
	s_waitcnt vmcnt(58) lgkmcnt(1)
	v_mul_f64 v[176:177], v[107:108], v[172:173]
	v_mul_f64 v[172:173], v[109:110], v[172:173]
	s_waitcnt vmcnt(56)
	v_fma_f64 v[123:124], v[1:2], v[117:118], -v[123:124]
	v_fma_f64 v[117:118], v[3:4], v[117:118], v[191:192]
	v_add_f64 v[111:112], v[111:112], v[180:181]
	v_add_f64 v[113:114], v[113:114], v[170:171]
	s_clause 0x4
	buffer_load_dword v171, off, s[0:3], 0 offset:716
	buffer_load_dword v180, off, s[0:3], 0 offset:728
	buffer_load_dword v184, off, s[0:3], 0 offset:720
	buffer_load_dword v170, off, s[0:3], 0 offset:712
	buffer_load_dword v188, off, s[0:3], 0 offset:692
	ds_read_b128 v[1:4], v159 offset:1264
	s_waitcnt vmcnt(57) lgkmcnt(1)
	v_mul_f64 v[189:190], v[5:6], v[160:161]
	v_mul_f64 v[160:161], v[7:8], v[160:161]
	s_waitcnt vmcnt(56)
	v_fma_f64 v[172:173], v[107:108], v[185:186], -v[172:173]
	v_add_f64 v[111:112], v[111:112], v[123:124]
	v_fma_f64 v[123:124], v[109:110], v[185:186], v[176:177]
	v_add_f64 v[113:114], v[113:114], v[117:118]
	s_clause 0x2
	buffer_load_dword v181, off, s[0:3], 0 offset:732
	buffer_load_dword v118, off, s[0:3], 0 offset:708
	buffer_load_dword v117, off, s[0:3], 0 offset:704
	ds_read_b128 v[107:110], v159 offset:1280
	s_waitcnt vmcnt(58) lgkmcnt(1)
	v_mul_f64 v[176:177], v[1:2], v[162:163]
	v_mul_f64 v[162:163], v[3:4], v[162:163]
	s_waitcnt vmcnt(56)
	v_fma_f64 v[160:161], v[5:6], v[119:120], -v[160:161]
	v_fma_f64 v[119:120], v[7:8], v[119:120], v[189:190]
	v_add_f64 v[111:112], v[111:112], v[172:173]
	;; [unrolled: 28-line block ×3, first 2 shown]
	v_add_f64 v[113:114], v[113:114], v[160:161]
	s_clause 0x4
	buffer_load_dword v161, off, s[0:3], 0 offset:780
	buffer_load_dword v162, off, s[0:3], 0 offset:792
	;; [unrolled: 1-line block ×5, first 2 shown]
	ds_read_b128 v[107:110], v159 offset:1328
	s_waitcnt vmcnt(57) lgkmcnt(1)
	v_mul_f64 v[191:192], v[1:2], v[121:122]
	v_mul_f64 v[121:122], v[3:4], v[121:122]
	s_waitcnt vmcnt(56)
	v_fma_f64 v[135:136], v[5:6], v[168:169], -v[135:136]
	v_add_f64 v[111:112], v[111:112], v[115:116]
	v_fma_f64 v[115:116], v[7:8], v[168:169], v[174:175]
	v_add_f64 v[113:114], v[113:114], v[125:126]
	s_clause 0x2
	buffer_load_dword v163, off, s[0:3], 0 offset:796
	buffer_load_dword v126, off, s[0:3], 0 offset:772
	;; [unrolled: 1-line block ×3, first 2 shown]
	s_waitcnt vmcnt(58) lgkmcnt(0)
	v_mul_f64 v[168:169], v[107:108], v[141:142]
	v_mul_f64 v[141:142], v[109:110], v[141:142]
	ds_read_b128 v[5:8], v159 offset:1344
	buffer_load_dword v177, off, s[0:3], 0 offset:788
	s_waitcnt vmcnt(57)
	v_fma_f64 v[121:122], v[1:2], v[131:132], -v[121:122]
	v_fma_f64 v[131:132], v[3:4], v[131:132], v[191:192]
	ds_read_b128 v[1:4], v159 offset:1360
	v_add_f64 v[111:112], v[111:112], v[135:136]
	v_add_f64 v[113:114], v[113:114], v[115:116]
	s_waitcnt vmcnt(53) lgkmcnt(1)
	v_mul_f64 v[115:116], v[5:6], v[127:128]
	v_mul_f64 v[127:128], v[7:8], v[127:128]
	s_waitcnt vmcnt(52)
	v_fma_f64 v[135:136], v[107:108], v[143:144], -v[141:142]
	v_add_f64 v[111:112], v[111:112], v[121:122]
	v_fma_f64 v[121:122], v[109:110], v[143:144], v[168:169]
	v_add_f64 v[113:114], v[113:114], v[131:132]
	ds_read_b128 v[107:110], v159 offset:1376
	s_waitcnt vmcnt(51) lgkmcnt(1)
	v_mul_f64 v[141:142], v[3:4], v[149:150]
	v_mul_f64 v[131:132], v[1:2], v[149:150]
	s_waitcnt vmcnt(49)
	v_fma_f64 v[127:128], v[5:6], v[129:130], -v[127:128]
	v_fma_f64 v[115:116], v[7:8], v[129:130], v[115:116]
	v_add_f64 v[111:112], v[111:112], v[135:136]
	v_add_f64 v[113:114], v[113:114], v[121:122]
	s_clause 0x3
	buffer_load_dword v121, off, s[0:3], 0 offset:128
	buffer_load_dword v122, off, s[0:3], 0 offset:132
	;; [unrolled: 1-line block ×4, first 2 shown]
	ds_read_b128 v[5:8], v159 offset:1392
	s_waitcnt vmcnt(49) lgkmcnt(1)
	v_mul_f64 v[135:136], v[107:108], v[133:134]
	v_mul_f64 v[133:134], v[109:110], v[133:134]
	s_waitcnt vmcnt(48)
	v_fma_f64 v[141:142], v[1:2], v[151:152], -v[141:142]
	v_add_f64 v[111:112], v[111:112], v[127:128]
	v_fma_f64 v[127:128], v[3:4], v[151:152], v[131:132]
	v_add_f64 v[113:114], v[113:114], v[115:116]
	ds_read_b128 v[1:4], v159 offset:1408
	s_waitcnt vmcnt(47) lgkmcnt(1)
	v_mul_f64 v[131:132], v[7:8], v[155:156]
	v_mul_f64 v[115:116], v[5:6], v[155:156]
	s_waitcnt vmcnt(45)
	v_fma_f64 v[133:134], v[107:108], v[137:138], -v[133:134]
	v_fma_f64 v[135:136], v[109:110], v[137:138], v[135:136]
	ds_read_b128 v[107:110], v159 offset:1424
	v_add_f64 v[111:112], v[111:112], v[141:142]
	v_add_f64 v[113:114], v[113:114], v[127:128]
	s_waitcnt vmcnt(41) lgkmcnt(1)
	v_mul_f64 v[137:138], v[3:4], v[139:140]
	s_waitcnt vmcnt(40)
	v_fma_f64 v[131:132], v[5:6], v[157:158], -v[131:132]
	v_mul_f64 v[127:128], v[1:2], v[139:140]
	v_fma_f64 v[115:116], v[7:8], v[157:158], v[115:116]
	ds_read_b128 v[5:8], v159 offset:1440
	v_add_f64 v[111:112], v[111:112], v[133:134]
	v_add_f64 v[113:114], v[113:114], v[135:136]
	s_waitcnt vmcnt(39) lgkmcnt(1)
	v_mul_f64 v[135:136], v[109:110], v[178:179]
	v_mul_f64 v[133:134], v[107:108], v[178:179]
	s_waitcnt vmcnt(37)
	v_fma_f64 v[137:138], v[1:2], v[145:146], -v[137:138]
	v_fma_f64 v[127:128], v[3:4], v[145:146], v[127:128]
	ds_read_b128 v[1:4], v159 offset:1456
	v_add_f64 v[111:112], v[111:112], v[131:132]
	v_add_f64 v[113:114], v[113:114], v[115:116]
	s_waitcnt vmcnt(33) lgkmcnt(1)
	v_mul_f64 v[131:132], v[7:8], v[147:148]
	s_waitcnt vmcnt(32)
	v_fma_f64 v[135:136], v[107:108], v[182:183], -v[135:136]
	v_mul_f64 v[115:116], v[5:6], v[147:148]
	v_fma_f64 v[133:134], v[109:110], v[182:183], v[133:134]
	ds_read_b128 v[107:110], v159 offset:1472
	v_add_f64 v[111:112], v[111:112], v[137:138]
	v_add_f64 v[113:114], v[113:114], v[127:128]
	s_waitcnt vmcnt(31) lgkmcnt(1)
	v_mul_f64 v[137:138], v[3:4], v[164:165]
	v_mul_f64 v[127:128], v[1:2], v[164:165]
	s_waitcnt vmcnt(29)
	v_fma_f64 v[131:132], v[5:6], v[153:154], -v[131:132]
	v_fma_f64 v[115:116], v[7:8], v[153:154], v[115:116]
	ds_read_b128 v[5:8], v159 offset:1488
	v_add_f64 v[111:112], v[111:112], v[135:136]
	v_add_f64 v[113:114], v[113:114], v[133:134]
	s_waitcnt vmcnt(25) lgkmcnt(1)
	v_mul_f64 v[135:136], v[109:110], v[170:171]
	s_waitcnt vmcnt(24)
	v_fma_f64 v[137:138], v[1:2], v[187:188], -v[137:138]
	v_mul_f64 v[133:134], v[107:108], v[170:171]
	v_fma_f64 v[127:128], v[3:4], v[187:188], v[127:128]
	ds_read_b128 v[1:4], v159 offset:1504
	v_add_f64 v[111:112], v[111:112], v[131:132]
	v_add_f64 v[113:114], v[113:114], v[115:116]
	s_waitcnt vmcnt(23) lgkmcnt(1)
	v_mul_f64 v[131:132], v[7:8], v[180:181]
	v_mul_f64 v[115:116], v[5:6], v[180:181]
	s_waitcnt vmcnt(21)
	v_fma_f64 v[135:136], v[107:108], v[117:118], -v[135:136]
	v_fma_f64 v[117:118], v[109:110], v[117:118], v[133:134]
	ds_read_b128 v[107:110], v159 offset:1520
	v_add_f64 v[111:112], v[111:112], v[137:138]
	v_add_f64 v[113:114], v[113:114], v[127:128]
	s_waitcnt vmcnt(17) lgkmcnt(1)
	v_mul_f64 v[127:128], v[1:2], v[123:124]
	v_mul_f64 v[123:124], v[3:4], v[123:124]
	s_waitcnt vmcnt(16)
	v_fma_f64 v[131:132], v[5:6], v[184:185], -v[131:132]
	v_fma_f64 v[115:116], v[7:8], v[184:185], v[115:116]
	ds_read_b128 v[5:8], v159 offset:1536
	v_add_f64 v[111:112], v[111:112], v[135:136]
	v_add_f64 v[113:114], v[113:114], v[117:118]
	;; [unrolled: 9-line block ×3, first 2 shown]
	s_waitcnt vmcnt(9) lgkmcnt(1)
	v_mul_f64 v[127:128], v[7:8], v[160:161]
	s_waitcnt vmcnt(8)
	v_fma_f64 v[107:108], v[107:108], v[189:190], -v[133:134]
	v_mul_f64 v[115:116], v[5:6], v[160:161]
	v_fma_f64 v[109:110], v[109:110], v[189:190], v[117:118]
	v_add_f64 v[111:112], v[111:112], v[123:124]
	v_add_f64 v[113:114], v[113:114], v[119:120]
	s_waitcnt vmcnt(7) lgkmcnt(0)
	v_mul_f64 v[119:120], v[3:4], v[162:163]
	v_mul_f64 v[117:118], v[1:2], v[162:163]
	s_waitcnt vmcnt(5)
	v_fma_f64 v[5:6], v[5:6], v[125:126], -v[127:128]
	v_fma_f64 v[7:8], v[7:8], v[125:126], v[115:116]
	v_add_f64 v[107:108], v[111:112], v[107:108]
	v_add_f64 v[109:110], v[113:114], v[109:110]
	s_waitcnt vmcnt(4)
	v_fma_f64 v[1:2], v[1:2], v[176:177], -v[119:120]
	v_fma_f64 v[3:4], v[3:4], v[176:177], v[117:118]
	v_add_f64 v[5:6], v[107:108], v[5:6]
	v_add_f64 v[7:8], v[109:110], v[7:8]
	;; [unrolled: 1-line block ×4, first 2 shown]
	s_waitcnt vmcnt(2)
	v_add_f64 v[1:2], v[121:122], -v[1:2]
	s_waitcnt vmcnt(0)
	v_add_f64 v[3:4], v[129:130], -v[3:4]
	buffer_store_dword v2, off, s[0:3], 0 offset:132
	buffer_store_dword v1, off, s[0:3], 0 offset:128
	;; [unrolled: 1-line block ×4, first 2 shown]
	v_cmpx_lt_u32_e32 6, v0
	s_cbranch_execz .LBB112_295
; %bb.294:
	v_mov_b32_e32 v4, s55
	s_clause 0x3
	buffer_load_dword v1, v4, s[0:3], 0 offen
	buffer_load_dword v2, v4, s[0:3], 0 offen offset:4
	buffer_load_dword v3, v4, s[0:3], 0 offen offset:8
	;; [unrolled: 1-line block ×3, first 2 shown]
	buffer_store_dword v159, off, s[0:3], 0 offset:112
	buffer_store_dword v159, off, s[0:3], 0 offset:116
	;; [unrolled: 1-line block ×4, first 2 shown]
	s_waitcnt vmcnt(0)
	ds_write_b128 v167, v[1:4]
.LBB112_295:
	s_or_b32 exec_lo, exec_lo, s4
	s_waitcnt lgkmcnt(0)
	s_waitcnt_vscnt null, 0x0
	s_barrier
	buffer_gl0_inv
	s_clause 0x37
	buffer_load_dword v107, off, s[0:3], 0 offset:136
	buffer_load_dword v108, off, s[0:3], 0 offset:140
	;; [unrolled: 1-line block ×56, first 2 shown]
	ds_read_b128 v[160:163], v159 offset:896
	s_clause 0x2
	buffer_load_dword v156, off, s[0:3], 0 offset:364
	buffer_load_dword v158, off, s[0:3], 0 offset:340
	;; [unrolled: 1-line block ×3, first 2 shown]
	ds_read_b128 v[168:171], v159 offset:912
	s_clause 0x4
	buffer_load_dword v177, off, s[0:3], 0 offset:380
	buffer_load_dword v178, off, s[0:3], 0 offset:392
	;; [unrolled: 1-line block ×5, first 2 shown]
	ds_read_b128 v[172:175], v159 offset:928
	s_clause 0x2
	buffer_load_dword v179, off, s[0:3], 0 offset:396
	buffer_load_dword v184, off, s[0:3], 0 offset:372
	;; [unrolled: 1-line block ×3, first 2 shown]
	s_mov_b32 s4, exec_lo
	s_waitcnt vmcnt(62) lgkmcnt(2)
	v_mul_f64 v[164:165], v[162:163], v[107:108]
	v_mul_f64 v[107:108], v[160:161], v[107:108]
	s_waitcnt lgkmcnt(1)
	v_mul_f64 v[181:182], v[170:171], v[5:6]
	s_waitcnt vmcnt(59) lgkmcnt(0)
	v_mul_f64 v[185:186], v[174:175], v[3:4]
	v_fma_f64 v[160:161], v[160:161], v[7:8], -v[164:165]
	v_mul_f64 v[164:165], v[168:169], v[5:6]
	v_fma_f64 v[107:108], v[162:163], v[7:8], v[107:108]
	s_waitcnt vmcnt(57)
	v_fma_f64 v[168:169], v[168:169], v[1:2], -v[181:182]
	ds_read_b128 v[5:8], v159 offset:944
	v_mul_f64 v[162:163], v[172:173], v[3:4]
	s_waitcnt vmcnt(51)
	v_fma_f64 v[172:173], v[172:173], v[123:124], -v[185:186]
	v_add_f64 v[160:161], v[160:161], 0
	v_fma_f64 v[164:165], v[170:171], v[1:2], v[164:165]
	v_add_f64 v[107:108], v[107:108], 0
	s_clause 0x4
	buffer_load_dword v171, off, s[0:3], 0 offset:412
	buffer_load_dword v187, off, s[0:3], 0 offset:424
	;; [unrolled: 1-line block ×5, first 2 shown]
	s_waitcnt lgkmcnt(0)
	v_mul_f64 v[190:191], v[5:6], v[111:112]
	v_mul_f64 v[111:112], v[7:8], v[111:112]
	ds_read_b128 v[1:4], v159 offset:960
	v_fma_f64 v[123:124], v[174:175], v[123:124], v[162:163]
	v_add_f64 v[168:169], v[160:161], v[168:169]
	v_add_f64 v[107:108], v[107:108], v[164:165]
	s_clause 0x2
	buffer_load_dword v188, off, s[0:3], 0 offset:428
	buffer_load_dword v165, off, s[0:3], 0 offset:404
	;; [unrolled: 1-line block ×3, first 2 shown]
	s_waitcnt vmcnt(58) lgkmcnt(0)
	v_mul_f64 v[174:175], v[1:2], v[115:116]
	v_mul_f64 v[115:116], v[3:4], v[115:116]
	s_waitcnt vmcnt(56)
	v_fma_f64 v[111:112], v[5:6], v[117:118], -v[111:112]
	ds_read_b128 v[160:163], v159 offset:976
	v_fma_f64 v[117:118], v[7:8], v[117:118], v[190:191]
	v_add_f64 v[168:169], v[168:169], v[172:173]
	v_add_f64 v[107:108], v[107:108], v[123:124]
	s_clause 0x4
	buffer_load_dword v124, off, s[0:3], 0 offset:444
	buffer_load_dword v172, off, s[0:3], 0 offset:456
	;; [unrolled: 1-line block ×5, first 2 shown]
	ds_read_b128 v[5:8], v159 offset:992
	s_waitcnt vmcnt(57) lgkmcnt(1)
	v_mul_f64 v[191:192], v[160:161], v[119:120]
	v_mul_f64 v[119:120], v[162:163], v[119:120]
	s_waitcnt vmcnt(56)
	v_fma_f64 v[115:116], v[1:2], v[109:110], -v[115:116]
	v_fma_f64 v[109:110], v[3:4], v[109:110], v[174:175]
	v_add_f64 v[111:112], v[168:169], v[111:112]
	v_add_f64 v[107:108], v[107:108], v[117:118]
	s_clause 0x2
	buffer_load_dword v173, off, s[0:3], 0 offset:460
	buffer_load_dword v118, off, s[0:3], 0 offset:436
	;; [unrolled: 1-line block ×3, first 2 shown]
	s_waitcnt vmcnt(58) lgkmcnt(0)
	v_mul_f64 v[168:169], v[5:6], v[125:126]
	v_mul_f64 v[125:126], v[7:8], v[125:126]
	s_waitcnt vmcnt(56)
	v_fma_f64 v[119:120], v[160:161], v[127:128], -v[119:120]
	ds_read_b128 v[1:4], v159 offset:1008
	v_add_f64 v[111:112], v[111:112], v[115:116]
	v_fma_f64 v[115:116], v[162:163], v[127:128], v[191:192]
	v_add_f64 v[127:128], v[107:108], v[109:110]
	s_clause 0x4
	buffer_load_dword v161, off, s[0:3], 0 offset:476
	buffer_load_dword v162, off, s[0:3], 0 offset:488
	;; [unrolled: 1-line block ×5, first 2 shown]
	ds_read_b128 v[107:110], v159 offset:1024
	s_waitcnt vmcnt(57) lgkmcnt(1)
	v_mul_f64 v[191:192], v[1:2], v[129:130]
	v_mul_f64 v[129:130], v[3:4], v[129:130]
	s_waitcnt vmcnt(56)
	v_fma_f64 v[125:126], v[5:6], v[113:114], -v[125:126]
	v_fma_f64 v[113:114], v[7:8], v[113:114], v[168:169]
	v_add_f64 v[111:112], v[111:112], v[119:120]
	s_clause 0x2
	buffer_load_dword v163, off, s[0:3], 0 offset:492
	buffer_load_dword v120, off, s[0:3], 0 offset:468
	;; [unrolled: 1-line block ×3, first 2 shown]
	v_add_f64 v[115:116], v[127:128], v[115:116]
	s_waitcnt vmcnt(58) lgkmcnt(0)
	v_mul_f64 v[127:128], v[107:108], v[133:134]
	v_mul_f64 v[133:134], v[109:110], v[133:134]
	ds_read_b128 v[5:8], v159 offset:1040
	s_waitcnt vmcnt(56)
	v_fma_f64 v[129:130], v[1:2], v[135:136], -v[129:130]
	v_add_f64 v[111:112], v[111:112], v[125:126]
	v_fma_f64 v[125:126], v[3:4], v[135:136], v[191:192]
	v_add_f64 v[113:114], v[115:116], v[113:114]
	s_clause 0x4
	buffer_load_dword v116, off, s[0:3], 0 offset:508
	buffer_load_dword v135, off, s[0:3], 0 offset:520
	buffer_load_dword v168, off, s[0:3], 0 offset:512
	buffer_load_dword v115, off, s[0:3], 0 offset:504
	buffer_load_dword v175, off, s[0:3], 0 offset:484
	s_waitcnt vmcnt(57) lgkmcnt(0)
	v_mul_f64 v[191:192], v[5:6], v[137:138]
	v_mul_f64 v[137:138], v[7:8], v[137:138]
	s_waitcnt vmcnt(56)
	v_fma_f64 v[133:134], v[107:108], v[121:122], -v[133:134]
	ds_read_b128 v[1:4], v159 offset:1056
	v_fma_f64 v[121:122], v[109:110], v[121:122], v[127:128]
	v_add_f64 v[111:112], v[111:112], v[129:130]
	v_add_f64 v[113:114], v[113:114], v[125:126]
	s_clause 0x2
	buffer_load_dword v136, off, s[0:3], 0 offset:524
	buffer_load_dword v126, off, s[0:3], 0 offset:500
	;; [unrolled: 1-line block ×3, first 2 shown]
	ds_read_b128 v[107:110], v159 offset:1072
	s_waitcnt vmcnt(58) lgkmcnt(1)
	v_mul_f64 v[129:130], v[3:4], v[141:142]
	s_waitcnt vmcnt(56)
	v_fma_f64 v[137:138], v[5:6], v[143:144], -v[137:138]
	v_mul_f64 v[127:128], v[1:2], v[141:142]
	v_add_f64 v[111:112], v[111:112], v[133:134]
	v_fma_f64 v[133:134], v[7:8], v[143:144], v[191:192]
	v_add_f64 v[113:114], v[113:114], v[121:122]
	s_clause 0x4
	buffer_load_dword v122, off, s[0:3], 0 offset:540
	buffer_load_dword v141, off, s[0:3], 0 offset:552
	;; [unrolled: 1-line block ×5, first 2 shown]
	s_waitcnt vmcnt(57) lgkmcnt(0)
	v_mul_f64 v[191:192], v[107:108], v[145:146]
	v_mul_f64 v[144:145], v[109:110], v[145:146]
	s_waitcnt vmcnt(56)
	v_fma_f64 v[129:130], v[1:2], v[131:132], -v[129:130]
	ds_read_b128 v[5:8], v159 offset:1088
	v_fma_f64 v[127:128], v[3:4], v[131:132], v[127:128]
	s_clause 0x2
	buffer_load_dword v142, off, s[0:3], 0 offset:556
	buffer_load_dword v132, off, s[0:3], 0 offset:532
	;; [unrolled: 1-line block ×3, first 2 shown]
	ds_read_b128 v[1:4], v159 offset:1104
	v_add_f64 v[111:112], v[111:112], v[137:138]
	v_add_f64 v[113:114], v[113:114], v[133:134]
	s_waitcnt vmcnt(58) lgkmcnt(1)
	v_mul_f64 v[137:138], v[7:8], v[149:150]
	s_waitcnt vmcnt(56)
	v_fma_f64 v[145:146], v[107:108], v[151:152], -v[144:145]
	v_mul_f64 v[133:134], v[5:6], v[149:150]
	v_add_f64 v[111:112], v[111:112], v[129:130]
	v_fma_f64 v[129:130], v[109:110], v[151:152], v[191:192]
	v_add_f64 v[113:114], v[113:114], v[127:128]
	s_clause 0x4
	buffer_load_dword v128, off, s[0:3], 0 offset:572
	buffer_load_dword v149, off, s[0:3], 0 offset:584
	;; [unrolled: 1-line block ×5, first 2 shown]
	s_waitcnt vmcnt(57) lgkmcnt(0)
	v_mul_f64 v[191:192], v[1:2], v[153:154]
	v_mul_f64 v[152:153], v[3:4], v[153:154]
	s_waitcnt vmcnt(56)
	v_fma_f64 v[137:138], v[5:6], v[139:140], -v[137:138]
	ds_read_b128 v[107:110], v159 offset:1120
	v_fma_f64 v[133:134], v[7:8], v[139:140], v[133:134]
	v_add_f64 v[111:112], v[111:112], v[145:146]
	v_add_f64 v[113:114], v[113:114], v[129:130]
	s_clause 0x2
	buffer_load_dword v150, off, s[0:3], 0 offset:588
	buffer_load_dword v130, off, s[0:3], 0 offset:564
	;; [unrolled: 1-line block ×3, first 2 shown]
	ds_read_b128 v[5:8], v159 offset:1136
	s_waitcnt vmcnt(58) lgkmcnt(1)
	v_mul_f64 v[145:146], v[109:110], v[155:156]
	s_waitcnt vmcnt(56)
	v_fma_f64 v[153:154], v[1:2], v[157:158], -v[152:153]
	v_mul_f64 v[139:140], v[107:108], v[155:156]
	v_add_f64 v[111:112], v[111:112], v[137:138]
	v_fma_f64 v[137:138], v[3:4], v[157:158], v[191:192]
	v_add_f64 v[113:114], v[113:114], v[133:134]
	s_clause 0x4
	buffer_load_dword v134, off, s[0:3], 0 offset:604
	buffer_load_dword v155, off, s[0:3], 0 offset:616
	;; [unrolled: 1-line block ×5, first 2 shown]
	s_waitcnt vmcnt(57) lgkmcnt(0)
	v_mul_f64 v[191:192], v[5:6], v[176:177]
	v_mul_f64 v[176:177], v[7:8], v[176:177]
	s_waitcnt vmcnt(56)
	v_fma_f64 v[145:146], v[107:108], v[147:148], -v[145:146]
	ds_read_b128 v[1:4], v159 offset:1152
	v_fma_f64 v[139:140], v[109:110], v[147:148], v[139:140]
	v_add_f64 v[111:112], v[111:112], v[153:154]
	v_add_f64 v[113:114], v[113:114], v[137:138]
	s_clause 0x2
	buffer_load_dword v156, off, s[0:3], 0 offset:620
	buffer_load_dword v138, off, s[0:3], 0 offset:596
	;; [unrolled: 1-line block ×3, first 2 shown]
	ds_read_b128 v[107:110], v159 offset:1168
	s_waitcnt vmcnt(58) lgkmcnt(1)
	v_mul_f64 v[153:154], v[3:4], v[178:179]
	s_waitcnt vmcnt(56)
	v_fma_f64 v[176:177], v[5:6], v[183:184], -v[176:177]
	v_mul_f64 v[147:148], v[1:2], v[178:179]
	v_add_f64 v[111:112], v[111:112], v[145:146]
	v_fma_f64 v[145:146], v[7:8], v[183:184], v[191:192]
	v_add_f64 v[113:114], v[113:114], v[139:140]
	s_clause 0x4
	buffer_load_dword v140, off, s[0:3], 0 offset:636
	buffer_load_dword v178, off, s[0:3], 0 offset:648
	;; [unrolled: 1-line block ×5, first 2 shown]
	ds_read_b128 v[5:8], v159 offset:1184
	s_waitcnt vmcnt(57) lgkmcnt(1)
	v_mul_f64 v[183:184], v[107:108], v[170:171]
	v_mul_f64 v[170:171], v[109:110], v[170:171]
	s_waitcnt vmcnt(56)
	v_fma_f64 v[153:154], v[1:2], v[180:181], -v[153:154]
	v_fma_f64 v[147:148], v[3:4], v[180:181], v[147:148]
	v_add_f64 v[111:112], v[111:112], v[176:177]
	v_add_f64 v[113:114], v[113:114], v[145:146]
	s_clause 0x2
	buffer_load_dword v179, off, s[0:3], 0 offset:652
	buffer_load_dword v146, off, s[0:3], 0 offset:628
	;; [unrolled: 1-line block ×3, first 2 shown]
	ds_read_b128 v[1:4], v159 offset:1200
	s_waitcnt vmcnt(58) lgkmcnt(1)
	v_mul_f64 v[180:181], v[7:8], v[187:188]
	v_mul_f64 v[176:177], v[5:6], v[187:188]
	s_waitcnt vmcnt(56)
	v_fma_f64 v[170:171], v[107:108], v[164:165], -v[170:171]
	v_add_f64 v[111:112], v[111:112], v[153:154]
	v_fma_f64 v[153:154], v[109:110], v[164:165], v[183:184]
	v_add_f64 v[113:114], v[113:114], v[147:148]
	s_clause 0x4
	buffer_load_dword v148, off, s[0:3], 0 offset:668
	buffer_load_dword v164, off, s[0:3], 0 offset:680
	buffer_load_dword v187, off, s[0:3], 0 offset:672
	buffer_load_dword v147, off, s[0:3], 0 offset:664
	buffer_load_dword v183, off, s[0:3], 0 offset:644
	ds_read_b128 v[107:110], v159 offset:1216
	s_waitcnt vmcnt(57) lgkmcnt(1)
	v_mul_f64 v[191:192], v[1:2], v[123:124]
	v_mul_f64 v[123:124], v[3:4], v[123:124]
	s_waitcnt vmcnt(56)
	v_fma_f64 v[180:181], v[5:6], v[189:190], -v[180:181]
	v_add_f64 v[111:112], v[111:112], v[170:171]
	v_fma_f64 v[170:171], v[7:8], v[189:190], v[176:177]
	v_add_f64 v[113:114], v[113:114], v[153:154]
	s_clause 0x2
	buffer_load_dword v165, off, s[0:3], 0 offset:684
	buffer_load_dword v154, off, s[0:3], 0 offset:660
	buffer_load_dword v153, off, s[0:3], 0 offset:656
	ds_read_b128 v[5:8], v159 offset:1232
	s_waitcnt vmcnt(58) lgkmcnt(1)
	v_mul_f64 v[176:177], v[107:108], v[172:173]
	v_mul_f64 v[172:173], v[109:110], v[172:173]
	s_waitcnt vmcnt(56)
	v_fma_f64 v[123:124], v[1:2], v[117:118], -v[123:124]
	v_fma_f64 v[117:118], v[3:4], v[117:118], v[191:192]
	v_add_f64 v[111:112], v[111:112], v[180:181]
	v_add_f64 v[113:114], v[113:114], v[170:171]
	s_clause 0x4
	buffer_load_dword v171, off, s[0:3], 0 offset:700
	buffer_load_dword v180, off, s[0:3], 0 offset:712
	buffer_load_dword v184, off, s[0:3], 0 offset:704
	buffer_load_dword v170, off, s[0:3], 0 offset:696
	buffer_load_dword v188, off, s[0:3], 0 offset:676
	ds_read_b128 v[1:4], v159 offset:1248
	s_waitcnt vmcnt(57) lgkmcnt(1)
	v_mul_f64 v[189:190], v[5:6], v[160:161]
	v_mul_f64 v[160:161], v[7:8], v[160:161]
	s_waitcnt vmcnt(56)
	v_fma_f64 v[172:173], v[107:108], v[185:186], -v[172:173]
	v_add_f64 v[111:112], v[111:112], v[123:124]
	v_fma_f64 v[123:124], v[109:110], v[185:186], v[176:177]
	v_add_f64 v[113:114], v[113:114], v[117:118]
	s_clause 0x2
	buffer_load_dword v181, off, s[0:3], 0 offset:716
	buffer_load_dword v118, off, s[0:3], 0 offset:692
	buffer_load_dword v117, off, s[0:3], 0 offset:688
	ds_read_b128 v[107:110], v159 offset:1264
	s_waitcnt vmcnt(58) lgkmcnt(1)
	v_mul_f64 v[176:177], v[1:2], v[162:163]
	v_mul_f64 v[162:163], v[3:4], v[162:163]
	s_waitcnt vmcnt(56)
	v_fma_f64 v[160:161], v[5:6], v[119:120], -v[160:161]
	v_fma_f64 v[119:120], v[7:8], v[119:120], v[189:190]
	v_add_f64 v[111:112], v[111:112], v[172:173]
	;; [unrolled: 28-line block ×3, first 2 shown]
	v_add_f64 v[113:114], v[113:114], v[160:161]
	s_clause 0x4
	buffer_load_dword v161, off, s[0:3], 0 offset:764
	buffer_load_dword v162, off, s[0:3], 0 offset:776
	buffer_load_dword v176, off, s[0:3], 0 offset:768
	buffer_load_dword v160, off, s[0:3], 0 offset:760
	buffer_load_dword v190, off, s[0:3], 0 offset:740
	ds_read_b128 v[107:110], v159 offset:1312
	s_waitcnt vmcnt(57) lgkmcnt(1)
	v_mul_f64 v[191:192], v[1:2], v[121:122]
	v_mul_f64 v[121:122], v[3:4], v[121:122]
	s_waitcnt vmcnt(56)
	v_fma_f64 v[135:136], v[5:6], v[168:169], -v[135:136]
	v_add_f64 v[111:112], v[111:112], v[115:116]
	v_fma_f64 v[115:116], v[7:8], v[168:169], v[174:175]
	v_add_f64 v[113:114], v[113:114], v[125:126]
	s_clause 0x2
	buffer_load_dword v163, off, s[0:3], 0 offset:780
	buffer_load_dword v126, off, s[0:3], 0 offset:756
	;; [unrolled: 1-line block ×3, first 2 shown]
	s_waitcnt vmcnt(58) lgkmcnt(0)
	v_mul_f64 v[168:169], v[107:108], v[141:142]
	v_mul_f64 v[141:142], v[109:110], v[141:142]
	ds_read_b128 v[5:8], v159 offset:1328
	s_waitcnt vmcnt(56)
	v_fma_f64 v[121:122], v[1:2], v[131:132], -v[121:122]
	v_fma_f64 v[131:132], v[3:4], v[131:132], v[191:192]
	v_add_f64 v[111:112], v[111:112], v[135:136]
	v_add_f64 v[113:114], v[113:114], v[115:116]
	s_clause 0x2
	buffer_load_dword v116, off, s[0:3], 0 offset:796
	buffer_load_dword v115, off, s[0:3], 0 offset:792
	;; [unrolled: 1-line block ×3, first 2 shown]
	ds_read_b128 v[1:4], v159 offset:1344
	s_waitcnt vmcnt(55) lgkmcnt(1)
	v_mul_f64 v[135:136], v[5:6], v[127:128]
	v_mul_f64 v[127:128], v[7:8], v[127:128]
	s_waitcnt vmcnt(54)
	v_fma_f64 v[141:142], v[107:108], v[143:144], -v[141:142]
	v_add_f64 v[111:112], v[111:112], v[121:122]
	v_fma_f64 v[121:122], v[109:110], v[143:144], v[168:169]
	v_add_f64 v[113:114], v[113:114], v[131:132]
	s_clause 0x1
	buffer_load_dword v132, off, s[0:3], 0 offset:788
	buffer_load_dword v131, off, s[0:3], 0 offset:784
	ds_read_b128 v[107:110], v159 offset:1360
	s_waitcnt vmcnt(55) lgkmcnt(1)
	v_mul_f64 v[143:144], v[1:2], v[149:150]
	v_mul_f64 v[149:150], v[3:4], v[149:150]
	s_waitcnt vmcnt(53)
	v_fma_f64 v[127:128], v[5:6], v[129:130], -v[127:128]
	v_fma_f64 v[129:130], v[7:8], v[129:130], v[135:136]
	ds_read_b128 v[5:8], v159 offset:1376
	v_add_f64 v[111:112], v[111:112], v[141:142]
	v_add_f64 v[113:114], v[113:114], v[121:122]
	s_waitcnt vmcnt(49) lgkmcnt(1)
	v_mul_f64 v[121:122], v[107:108], v[133:134]
	v_mul_f64 v[133:134], v[109:110], v[133:134]
	s_waitcnt vmcnt(48)
	v_fma_f64 v[135:136], v[1:2], v[151:152], -v[149:150]
	v_add_f64 v[111:112], v[111:112], v[127:128]
	v_fma_f64 v[127:128], v[3:4], v[151:152], v[143:144]
	v_add_f64 v[113:114], v[113:114], v[129:130]
	s_clause 0x3
	buffer_load_dword v129, off, s[0:3], 0 offset:112
	buffer_load_dword v130, off, s[0:3], 0 offset:116
	buffer_load_dword v141, off, s[0:3], 0 offset:120
	buffer_load_dword v142, off, s[0:3], 0 offset:124
	ds_read_b128 v[1:4], v159 offset:1392
	s_waitcnt vmcnt(51) lgkmcnt(1)
	v_mul_f64 v[149:150], v[7:8], v[155:156]
	v_mul_f64 v[143:144], v[5:6], v[155:156]
	s_waitcnt vmcnt(49)
	v_fma_f64 v[133:134], v[107:108], v[137:138], -v[133:134]
	v_fma_f64 v[121:122], v[109:110], v[137:138], v[121:122]
	ds_read_b128 v[107:110], v159 offset:1408
	v_add_f64 v[111:112], v[111:112], v[135:136]
	v_add_f64 v[113:114], v[113:114], v[127:128]
	s_waitcnt vmcnt(45) lgkmcnt(1)
	v_mul_f64 v[135:136], v[3:4], v[139:140]
	s_waitcnt vmcnt(44)
	v_fma_f64 v[137:138], v[5:6], v[157:158], -v[149:150]
	v_mul_f64 v[127:128], v[1:2], v[139:140]
	v_add_f64 v[111:112], v[111:112], v[133:134]
	v_fma_f64 v[133:134], v[7:8], v[157:158], v[143:144]
	v_add_f64 v[113:114], v[113:114], v[121:122]
	ds_read_b128 v[5:8], v159 offset:1424
	s_waitcnt vmcnt(43) lgkmcnt(1)
	v_mul_f64 v[139:140], v[109:110], v[178:179]
	v_mul_f64 v[121:122], v[107:108], v[178:179]
	s_waitcnt vmcnt(41)
	v_fma_f64 v[135:136], v[1:2], v[145:146], -v[135:136]
	v_fma_f64 v[127:128], v[3:4], v[145:146], v[127:128]
	ds_read_b128 v[1:4], v159 offset:1440
	v_add_f64 v[111:112], v[111:112], v[137:138]
	v_add_f64 v[113:114], v[113:114], v[133:134]
	s_waitcnt vmcnt(37) lgkmcnt(1)
	v_mul_f64 v[137:138], v[7:8], v[147:148]
	s_waitcnt vmcnt(36)
	v_fma_f64 v[139:140], v[107:108], v[182:183], -v[139:140]
	v_mul_f64 v[133:134], v[5:6], v[147:148]
	v_fma_f64 v[121:122], v[109:110], v[182:183], v[121:122]
	ds_read_b128 v[107:110], v159 offset:1456
	v_add_f64 v[111:112], v[111:112], v[135:136]
	v_add_f64 v[113:114], v[113:114], v[127:128]
	s_waitcnt vmcnt(35) lgkmcnt(1)
	v_mul_f64 v[135:136], v[3:4], v[164:165]
	v_mul_f64 v[127:128], v[1:2], v[164:165]
	s_waitcnt vmcnt(33)
	v_fma_f64 v[137:138], v[5:6], v[153:154], -v[137:138]
	v_fma_f64 v[133:134], v[7:8], v[153:154], v[133:134]
	ds_read_b128 v[5:8], v159 offset:1472
	v_add_f64 v[111:112], v[111:112], v[139:140]
	v_add_f64 v[113:114], v[113:114], v[121:122]
	s_waitcnt vmcnt(29) lgkmcnt(1)
	v_mul_f64 v[139:140], v[109:110], v[170:171]
	s_waitcnt vmcnt(28)
	v_fma_f64 v[135:136], v[1:2], v[187:188], -v[135:136]
	v_mul_f64 v[121:122], v[107:108], v[170:171]
	v_fma_f64 v[127:128], v[3:4], v[187:188], v[127:128]
	ds_read_b128 v[1:4], v159 offset:1488
	v_add_f64 v[111:112], v[111:112], v[137:138]
	v_add_f64 v[113:114], v[113:114], v[133:134]
	s_waitcnt vmcnt(27) lgkmcnt(1)
	v_mul_f64 v[137:138], v[7:8], v[180:181]
	v_mul_f64 v[133:134], v[5:6], v[180:181]
	s_waitcnt vmcnt(25)
	v_fma_f64 v[139:140], v[107:108], v[117:118], -v[139:140]
	v_fma_f64 v[117:118], v[109:110], v[117:118], v[121:122]
	ds_read_b128 v[107:110], v159 offset:1504
	v_add_f64 v[111:112], v[111:112], v[135:136]
	v_add_f64 v[113:114], v[113:114], v[127:128]
	s_waitcnt vmcnt(21) lgkmcnt(1)
	v_mul_f64 v[121:122], v[1:2], v[123:124]
	v_mul_f64 v[123:124], v[3:4], v[123:124]
	s_waitcnt vmcnt(20)
	v_fma_f64 v[127:128], v[5:6], v[184:185], -v[137:138]
	;; [unrolled: 9-line block ×3, first 2 shown]
	v_fma_f64 v[119:120], v[3:4], v[119:120], v[121:122]
	ds_read_b128 v[1:4], v159 offset:1536
	v_add_f64 v[111:112], v[111:112], v[127:128]
	v_add_f64 v[113:114], v[113:114], v[133:134]
	s_waitcnt vmcnt(13) lgkmcnt(1)
	v_mul_f64 v[127:128], v[7:8], v[160:161]
	s_waitcnt vmcnt(12)
	v_fma_f64 v[133:134], v[107:108], v[189:190], -v[135:136]
	v_mul_f64 v[121:122], v[5:6], v[160:161]
	v_fma_f64 v[117:118], v[109:110], v[189:190], v[117:118]
	ds_read_b128 v[107:110], v159 offset:1552
	v_add_f64 v[111:112], v[111:112], v[123:124]
	v_add_f64 v[113:114], v[113:114], v[119:120]
	s_waitcnt vmcnt(11) lgkmcnt(1)
	v_mul_f64 v[123:124], v[3:4], v[162:163]
	v_mul_f64 v[119:120], v[1:2], v[162:163]
	s_waitcnt vmcnt(9)
	v_fma_f64 v[5:6], v[5:6], v[125:126], -v[127:128]
	v_fma_f64 v[7:8], v[7:8], v[125:126], v[121:122]
	v_add_f64 v[111:112], v[111:112], v[133:134]
	v_add_f64 v[113:114], v[113:114], v[117:118]
	s_waitcnt vmcnt(7) lgkmcnt(0)
	v_mul_f64 v[117:118], v[107:108], v[115:116]
	v_mul_f64 v[115:116], v[109:110], v[115:116]
	s_waitcnt vmcnt(6)
	v_fma_f64 v[1:2], v[1:2], v[176:177], -v[123:124]
	v_fma_f64 v[3:4], v[3:4], v[176:177], v[119:120]
	v_add_f64 v[5:6], v[111:112], v[5:6]
	v_add_f64 v[7:8], v[113:114], v[7:8]
	s_waitcnt vmcnt(4)
	v_fma_f64 v[107:108], v[107:108], v[131:132], -v[115:116]
	v_add_f64 v[1:2], v[5:6], v[1:2]
	v_fma_f64 v[5:6], v[109:110], v[131:132], v[117:118]
	v_add_f64 v[3:4], v[7:8], v[3:4]
	v_add_f64 v[1:2], v[1:2], v[107:108]
	v_add_f64 v[3:4], v[3:4], v[5:6]
	s_waitcnt vmcnt(2)
	v_add_f64 v[1:2], v[129:130], -v[1:2]
	s_waitcnt vmcnt(0)
	v_add_f64 v[3:4], v[141:142], -v[3:4]
	buffer_store_dword v2, off, s[0:3], 0 offset:116
	buffer_store_dword v1, off, s[0:3], 0 offset:112
	;; [unrolled: 1-line block ×4, first 2 shown]
	v_cmpx_lt_u32_e32 5, v0
	s_cbranch_execz .LBB112_297
; %bb.296:
	v_mov_b32_e32 v4, s56
	v_mov_b32_e32 v5, 0
	s_clause 0x3
	buffer_load_dword v1, v4, s[0:3], 0 offen
	buffer_load_dword v2, v4, s[0:3], 0 offen offset:4
	buffer_load_dword v3, v4, s[0:3], 0 offen offset:8
	;; [unrolled: 1-line block ×3, first 2 shown]
	buffer_store_dword v5, off, s[0:3], 0 offset:96
	buffer_store_dword v5, off, s[0:3], 0 offset:100
	;; [unrolled: 1-line block ×4, first 2 shown]
	s_waitcnt vmcnt(0)
	ds_write_b128 v167, v[1:4]
.LBB112_297:
	s_or_b32 exec_lo, exec_lo, s4
	s_waitcnt lgkmcnt(0)
	s_waitcnt_vscnt null, 0x0
	s_barrier
	buffer_gl0_inv
	s_clause 0x37
	buffer_load_dword v107, off, s[0:3], 0 offset:120
	buffer_load_dword v108, off, s[0:3], 0 offset:124
	;; [unrolled: 1-line block ×56, first 2 shown]
	v_mov_b32_e32 v159, 0
	s_mov_b32 s4, exec_lo
	ds_read_b128 v[160:163], v159 offset:880
	s_clause 0x2
	buffer_load_dword v156, off, s[0:3], 0 offset:348
	buffer_load_dword v158, off, s[0:3], 0 offset:324
	;; [unrolled: 1-line block ×3, first 2 shown]
	ds_read_b128 v[168:171], v159 offset:896
	s_clause 0x4
	buffer_load_dword v177, off, s[0:3], 0 offset:364
	buffer_load_dword v178, off, s[0:3], 0 offset:376
	;; [unrolled: 1-line block ×5, first 2 shown]
	ds_read_b128 v[172:175], v159 offset:912
	s_clause 0x2
	buffer_load_dword v179, off, s[0:3], 0 offset:380
	buffer_load_dword v184, off, s[0:3], 0 offset:356
	;; [unrolled: 1-line block ×3, first 2 shown]
	s_waitcnt vmcnt(62) lgkmcnt(2)
	v_mul_f64 v[164:165], v[162:163], v[107:108]
	v_mul_f64 v[107:108], v[160:161], v[107:108]
	s_waitcnt lgkmcnt(1)
	v_mul_f64 v[181:182], v[170:171], v[5:6]
	s_waitcnt vmcnt(59) lgkmcnt(0)
	v_mul_f64 v[185:186], v[174:175], v[3:4]
	v_fma_f64 v[160:161], v[160:161], v[7:8], -v[164:165]
	v_mul_f64 v[164:165], v[168:169], v[5:6]
	v_fma_f64 v[107:108], v[162:163], v[7:8], v[107:108]
	s_waitcnt vmcnt(57)
	v_fma_f64 v[168:169], v[168:169], v[1:2], -v[181:182]
	ds_read_b128 v[5:8], v159 offset:928
	v_mul_f64 v[162:163], v[172:173], v[3:4]
	s_waitcnt vmcnt(51)
	v_fma_f64 v[172:173], v[172:173], v[123:124], -v[185:186]
	v_add_f64 v[160:161], v[160:161], 0
	v_fma_f64 v[164:165], v[170:171], v[1:2], v[164:165]
	v_add_f64 v[107:108], v[107:108], 0
	s_clause 0x4
	buffer_load_dword v171, off, s[0:3], 0 offset:396
	buffer_load_dword v187, off, s[0:3], 0 offset:408
	;; [unrolled: 1-line block ×5, first 2 shown]
	s_waitcnt lgkmcnt(0)
	v_mul_f64 v[190:191], v[5:6], v[111:112]
	v_mul_f64 v[111:112], v[7:8], v[111:112]
	ds_read_b128 v[1:4], v159 offset:944
	v_fma_f64 v[123:124], v[174:175], v[123:124], v[162:163]
	v_add_f64 v[168:169], v[160:161], v[168:169]
	v_add_f64 v[107:108], v[107:108], v[164:165]
	s_clause 0x2
	buffer_load_dword v188, off, s[0:3], 0 offset:412
	buffer_load_dword v165, off, s[0:3], 0 offset:388
	;; [unrolled: 1-line block ×3, first 2 shown]
	s_waitcnt vmcnt(58) lgkmcnt(0)
	v_mul_f64 v[174:175], v[1:2], v[115:116]
	v_mul_f64 v[115:116], v[3:4], v[115:116]
	s_waitcnt vmcnt(56)
	v_fma_f64 v[111:112], v[5:6], v[117:118], -v[111:112]
	ds_read_b128 v[160:163], v159 offset:960
	v_fma_f64 v[117:118], v[7:8], v[117:118], v[190:191]
	v_add_f64 v[168:169], v[168:169], v[172:173]
	v_add_f64 v[107:108], v[107:108], v[123:124]
	s_clause 0x4
	buffer_load_dword v124, off, s[0:3], 0 offset:428
	buffer_load_dword v172, off, s[0:3], 0 offset:440
	;; [unrolled: 1-line block ×5, first 2 shown]
	ds_read_b128 v[5:8], v159 offset:976
	s_waitcnt vmcnt(57) lgkmcnt(1)
	v_mul_f64 v[191:192], v[160:161], v[119:120]
	v_mul_f64 v[119:120], v[162:163], v[119:120]
	s_waitcnt vmcnt(56)
	v_fma_f64 v[115:116], v[1:2], v[109:110], -v[115:116]
	v_fma_f64 v[109:110], v[3:4], v[109:110], v[174:175]
	v_add_f64 v[111:112], v[168:169], v[111:112]
	v_add_f64 v[107:108], v[107:108], v[117:118]
	s_clause 0x2
	buffer_load_dword v173, off, s[0:3], 0 offset:444
	buffer_load_dword v118, off, s[0:3], 0 offset:420
	;; [unrolled: 1-line block ×3, first 2 shown]
	s_waitcnt vmcnt(58) lgkmcnt(0)
	v_mul_f64 v[168:169], v[5:6], v[125:126]
	v_mul_f64 v[125:126], v[7:8], v[125:126]
	s_waitcnt vmcnt(56)
	v_fma_f64 v[119:120], v[160:161], v[127:128], -v[119:120]
	ds_read_b128 v[1:4], v159 offset:992
	v_add_f64 v[111:112], v[111:112], v[115:116]
	v_fma_f64 v[115:116], v[162:163], v[127:128], v[191:192]
	v_add_f64 v[127:128], v[107:108], v[109:110]
	s_clause 0x4
	buffer_load_dword v161, off, s[0:3], 0 offset:460
	buffer_load_dword v162, off, s[0:3], 0 offset:472
	;; [unrolled: 1-line block ×5, first 2 shown]
	ds_read_b128 v[107:110], v159 offset:1008
	s_waitcnt vmcnt(57) lgkmcnt(1)
	v_mul_f64 v[191:192], v[1:2], v[129:130]
	v_mul_f64 v[129:130], v[3:4], v[129:130]
	s_waitcnt vmcnt(56)
	v_fma_f64 v[125:126], v[5:6], v[113:114], -v[125:126]
	v_fma_f64 v[113:114], v[7:8], v[113:114], v[168:169]
	v_add_f64 v[111:112], v[111:112], v[119:120]
	s_clause 0x2
	buffer_load_dword v163, off, s[0:3], 0 offset:476
	buffer_load_dword v120, off, s[0:3], 0 offset:452
	;; [unrolled: 1-line block ×3, first 2 shown]
	v_add_f64 v[115:116], v[127:128], v[115:116]
	s_waitcnt vmcnt(58) lgkmcnt(0)
	v_mul_f64 v[127:128], v[107:108], v[133:134]
	v_mul_f64 v[133:134], v[109:110], v[133:134]
	ds_read_b128 v[5:8], v159 offset:1024
	s_waitcnt vmcnt(56)
	v_fma_f64 v[129:130], v[1:2], v[135:136], -v[129:130]
	v_add_f64 v[111:112], v[111:112], v[125:126]
	v_fma_f64 v[125:126], v[3:4], v[135:136], v[191:192]
	v_add_f64 v[113:114], v[115:116], v[113:114]
	s_clause 0x4
	buffer_load_dword v116, off, s[0:3], 0 offset:492
	buffer_load_dword v135, off, s[0:3], 0 offset:504
	;; [unrolled: 1-line block ×5, first 2 shown]
	s_waitcnt vmcnt(57) lgkmcnt(0)
	v_mul_f64 v[191:192], v[5:6], v[137:138]
	v_mul_f64 v[137:138], v[7:8], v[137:138]
	s_waitcnt vmcnt(56)
	v_fma_f64 v[133:134], v[107:108], v[121:122], -v[133:134]
	ds_read_b128 v[1:4], v159 offset:1040
	v_fma_f64 v[121:122], v[109:110], v[121:122], v[127:128]
	v_add_f64 v[111:112], v[111:112], v[129:130]
	v_add_f64 v[113:114], v[113:114], v[125:126]
	s_clause 0x2
	buffer_load_dword v136, off, s[0:3], 0 offset:508
	buffer_load_dword v126, off, s[0:3], 0 offset:484
	buffer_load_dword v125, off, s[0:3], 0 offset:480
	ds_read_b128 v[107:110], v159 offset:1056
	s_waitcnt vmcnt(58) lgkmcnt(1)
	v_mul_f64 v[129:130], v[3:4], v[141:142]
	s_waitcnt vmcnt(56)
	v_fma_f64 v[137:138], v[5:6], v[143:144], -v[137:138]
	v_mul_f64 v[127:128], v[1:2], v[141:142]
	v_add_f64 v[111:112], v[111:112], v[133:134]
	v_fma_f64 v[133:134], v[7:8], v[143:144], v[191:192]
	v_add_f64 v[113:114], v[113:114], v[121:122]
	s_clause 0x4
	buffer_load_dword v122, off, s[0:3], 0 offset:524
	buffer_load_dword v141, off, s[0:3], 0 offset:536
	;; [unrolled: 1-line block ×5, first 2 shown]
	s_waitcnt vmcnt(57) lgkmcnt(0)
	v_mul_f64 v[191:192], v[107:108], v[145:146]
	v_mul_f64 v[144:145], v[109:110], v[145:146]
	s_waitcnt vmcnt(56)
	v_fma_f64 v[129:130], v[1:2], v[131:132], -v[129:130]
	ds_read_b128 v[5:8], v159 offset:1072
	v_fma_f64 v[127:128], v[3:4], v[131:132], v[127:128]
	s_clause 0x2
	buffer_load_dword v142, off, s[0:3], 0 offset:540
	buffer_load_dword v132, off, s[0:3], 0 offset:516
	buffer_load_dword v131, off, s[0:3], 0 offset:512
	ds_read_b128 v[1:4], v159 offset:1088
	v_add_f64 v[111:112], v[111:112], v[137:138]
	v_add_f64 v[113:114], v[113:114], v[133:134]
	s_waitcnt vmcnt(58) lgkmcnt(1)
	v_mul_f64 v[137:138], v[7:8], v[149:150]
	s_waitcnt vmcnt(56)
	v_fma_f64 v[145:146], v[107:108], v[151:152], -v[144:145]
	v_mul_f64 v[133:134], v[5:6], v[149:150]
	v_add_f64 v[111:112], v[111:112], v[129:130]
	v_fma_f64 v[129:130], v[109:110], v[151:152], v[191:192]
	v_add_f64 v[113:114], v[113:114], v[127:128]
	s_clause 0x4
	buffer_load_dword v128, off, s[0:3], 0 offset:556
	buffer_load_dword v149, off, s[0:3], 0 offset:568
	;; [unrolled: 1-line block ×5, first 2 shown]
	s_waitcnt vmcnt(57) lgkmcnt(0)
	v_mul_f64 v[191:192], v[1:2], v[153:154]
	v_mul_f64 v[152:153], v[3:4], v[153:154]
	s_waitcnt vmcnt(56)
	v_fma_f64 v[137:138], v[5:6], v[139:140], -v[137:138]
	ds_read_b128 v[107:110], v159 offset:1104
	v_fma_f64 v[133:134], v[7:8], v[139:140], v[133:134]
	v_add_f64 v[111:112], v[111:112], v[145:146]
	v_add_f64 v[113:114], v[113:114], v[129:130]
	s_clause 0x2
	buffer_load_dword v150, off, s[0:3], 0 offset:572
	buffer_load_dword v130, off, s[0:3], 0 offset:548
	;; [unrolled: 1-line block ×3, first 2 shown]
	ds_read_b128 v[5:8], v159 offset:1120
	s_waitcnt vmcnt(58) lgkmcnt(1)
	v_mul_f64 v[145:146], v[109:110], v[155:156]
	s_waitcnt vmcnt(56)
	v_fma_f64 v[153:154], v[1:2], v[157:158], -v[152:153]
	v_mul_f64 v[139:140], v[107:108], v[155:156]
	v_add_f64 v[111:112], v[111:112], v[137:138]
	v_fma_f64 v[137:138], v[3:4], v[157:158], v[191:192]
	v_add_f64 v[113:114], v[113:114], v[133:134]
	s_clause 0x4
	buffer_load_dword v134, off, s[0:3], 0 offset:588
	buffer_load_dword v155, off, s[0:3], 0 offset:600
	buffer_load_dword v157, off, s[0:3], 0 offset:592
	buffer_load_dword v133, off, s[0:3], 0 offset:584
	buffer_load_dword v152, off, s[0:3], 0 offset:564
	s_waitcnt vmcnt(57) lgkmcnt(0)
	v_mul_f64 v[191:192], v[5:6], v[176:177]
	v_mul_f64 v[176:177], v[7:8], v[176:177]
	s_waitcnt vmcnt(56)
	v_fma_f64 v[145:146], v[107:108], v[147:148], -v[145:146]
	ds_read_b128 v[1:4], v159 offset:1136
	v_fma_f64 v[139:140], v[109:110], v[147:148], v[139:140]
	v_add_f64 v[111:112], v[111:112], v[153:154]
	v_add_f64 v[113:114], v[113:114], v[137:138]
	s_clause 0x2
	buffer_load_dword v156, off, s[0:3], 0 offset:604
	buffer_load_dword v138, off, s[0:3], 0 offset:580
	;; [unrolled: 1-line block ×3, first 2 shown]
	ds_read_b128 v[107:110], v159 offset:1152
	s_waitcnt vmcnt(58) lgkmcnt(1)
	v_mul_f64 v[153:154], v[3:4], v[178:179]
	s_waitcnt vmcnt(56)
	v_fma_f64 v[176:177], v[5:6], v[183:184], -v[176:177]
	v_mul_f64 v[147:148], v[1:2], v[178:179]
	v_add_f64 v[111:112], v[111:112], v[145:146]
	v_fma_f64 v[145:146], v[7:8], v[183:184], v[191:192]
	v_add_f64 v[113:114], v[113:114], v[139:140]
	s_clause 0x4
	buffer_load_dword v140, off, s[0:3], 0 offset:620
	buffer_load_dword v178, off, s[0:3], 0 offset:632
	;; [unrolled: 1-line block ×5, first 2 shown]
	ds_read_b128 v[5:8], v159 offset:1168
	s_waitcnt vmcnt(57) lgkmcnt(1)
	v_mul_f64 v[183:184], v[107:108], v[170:171]
	v_mul_f64 v[170:171], v[109:110], v[170:171]
	s_waitcnt vmcnt(56)
	v_fma_f64 v[153:154], v[1:2], v[180:181], -v[153:154]
	v_fma_f64 v[147:148], v[3:4], v[180:181], v[147:148]
	v_add_f64 v[111:112], v[111:112], v[176:177]
	v_add_f64 v[113:114], v[113:114], v[145:146]
	s_clause 0x2
	buffer_load_dword v179, off, s[0:3], 0 offset:636
	buffer_load_dword v146, off, s[0:3], 0 offset:612
	;; [unrolled: 1-line block ×3, first 2 shown]
	ds_read_b128 v[1:4], v159 offset:1184
	s_waitcnt vmcnt(58) lgkmcnt(1)
	v_mul_f64 v[180:181], v[7:8], v[187:188]
	v_mul_f64 v[176:177], v[5:6], v[187:188]
	s_waitcnt vmcnt(56)
	v_fma_f64 v[170:171], v[107:108], v[164:165], -v[170:171]
	v_add_f64 v[111:112], v[111:112], v[153:154]
	v_fma_f64 v[153:154], v[109:110], v[164:165], v[183:184]
	v_add_f64 v[113:114], v[113:114], v[147:148]
	s_clause 0x4
	buffer_load_dword v148, off, s[0:3], 0 offset:652
	buffer_load_dword v164, off, s[0:3], 0 offset:664
	buffer_load_dword v187, off, s[0:3], 0 offset:656
	buffer_load_dword v147, off, s[0:3], 0 offset:648
	buffer_load_dword v183, off, s[0:3], 0 offset:628
	ds_read_b128 v[107:110], v159 offset:1200
	s_waitcnt vmcnt(57) lgkmcnt(1)
	v_mul_f64 v[191:192], v[1:2], v[123:124]
	v_mul_f64 v[123:124], v[3:4], v[123:124]
	s_waitcnt vmcnt(56)
	v_fma_f64 v[180:181], v[5:6], v[189:190], -v[180:181]
	v_add_f64 v[111:112], v[111:112], v[170:171]
	v_fma_f64 v[170:171], v[7:8], v[189:190], v[176:177]
	v_add_f64 v[113:114], v[113:114], v[153:154]
	s_clause 0x2
	buffer_load_dword v165, off, s[0:3], 0 offset:668
	buffer_load_dword v154, off, s[0:3], 0 offset:644
	buffer_load_dword v153, off, s[0:3], 0 offset:640
	ds_read_b128 v[5:8], v159 offset:1216
	s_waitcnt vmcnt(58) lgkmcnt(1)
	v_mul_f64 v[176:177], v[107:108], v[172:173]
	v_mul_f64 v[172:173], v[109:110], v[172:173]
	s_waitcnt vmcnt(56)
	v_fma_f64 v[123:124], v[1:2], v[117:118], -v[123:124]
	v_fma_f64 v[117:118], v[3:4], v[117:118], v[191:192]
	v_add_f64 v[111:112], v[111:112], v[180:181]
	v_add_f64 v[113:114], v[113:114], v[170:171]
	s_clause 0x4
	buffer_load_dword v171, off, s[0:3], 0 offset:684
	buffer_load_dword v180, off, s[0:3], 0 offset:696
	buffer_load_dword v184, off, s[0:3], 0 offset:688
	buffer_load_dword v170, off, s[0:3], 0 offset:680
	buffer_load_dword v188, off, s[0:3], 0 offset:660
	ds_read_b128 v[1:4], v159 offset:1232
	s_waitcnt vmcnt(57) lgkmcnt(1)
	v_mul_f64 v[189:190], v[5:6], v[160:161]
	v_mul_f64 v[160:161], v[7:8], v[160:161]
	s_waitcnt vmcnt(56)
	v_fma_f64 v[172:173], v[107:108], v[185:186], -v[172:173]
	v_add_f64 v[111:112], v[111:112], v[123:124]
	v_fma_f64 v[123:124], v[109:110], v[185:186], v[176:177]
	v_add_f64 v[113:114], v[113:114], v[117:118]
	s_clause 0x2
	buffer_load_dword v181, off, s[0:3], 0 offset:700
	buffer_load_dword v118, off, s[0:3], 0 offset:676
	buffer_load_dword v117, off, s[0:3], 0 offset:672
	ds_read_b128 v[107:110], v159 offset:1248
	s_waitcnt vmcnt(58) lgkmcnt(1)
	v_mul_f64 v[176:177], v[1:2], v[162:163]
	v_mul_f64 v[162:163], v[3:4], v[162:163]
	s_waitcnt vmcnt(56)
	v_fma_f64 v[160:161], v[5:6], v[119:120], -v[160:161]
	v_fma_f64 v[119:120], v[7:8], v[119:120], v[189:190]
	v_add_f64 v[111:112], v[111:112], v[172:173]
	;; [unrolled: 28-line block ×3, first 2 shown]
	v_add_f64 v[113:114], v[113:114], v[160:161]
	s_clause 0x4
	buffer_load_dword v161, off, s[0:3], 0 offset:748
	buffer_load_dword v162, off, s[0:3], 0 offset:760
	;; [unrolled: 1-line block ×5, first 2 shown]
	ds_read_b128 v[107:110], v159 offset:1296
	s_waitcnt vmcnt(57) lgkmcnt(1)
	v_mul_f64 v[191:192], v[1:2], v[121:122]
	v_mul_f64 v[121:122], v[3:4], v[121:122]
	s_waitcnt vmcnt(56)
	v_fma_f64 v[135:136], v[5:6], v[168:169], -v[135:136]
	v_add_f64 v[111:112], v[111:112], v[115:116]
	v_fma_f64 v[115:116], v[7:8], v[168:169], v[174:175]
	v_add_f64 v[113:114], v[113:114], v[125:126]
	s_clause 0x2
	buffer_load_dword v163, off, s[0:3], 0 offset:764
	buffer_load_dword v126, off, s[0:3], 0 offset:740
	;; [unrolled: 1-line block ×3, first 2 shown]
	s_waitcnt vmcnt(58) lgkmcnt(0)
	v_mul_f64 v[168:169], v[107:108], v[141:142]
	v_mul_f64 v[141:142], v[109:110], v[141:142]
	ds_read_b128 v[5:8], v159 offset:1312
	s_waitcnt vmcnt(56)
	v_fma_f64 v[121:122], v[1:2], v[131:132], -v[121:122]
	v_fma_f64 v[131:132], v[3:4], v[131:132], v[191:192]
	v_add_f64 v[111:112], v[111:112], v[135:136]
	v_add_f64 v[113:114], v[113:114], v[115:116]
	s_clause 0x4
	buffer_load_dword v116, off, s[0:3], 0 offset:780
	buffer_load_dword v135, off, s[0:3], 0 offset:792
	;; [unrolled: 1-line block ×5, first 2 shown]
	ds_read_b128 v[1:4], v159 offset:1328
	s_waitcnt vmcnt(57) lgkmcnt(1)
	v_mul_f64 v[191:192], v[5:6], v[127:128]
	v_mul_f64 v[127:128], v[7:8], v[127:128]
	s_waitcnt vmcnt(56)
	v_fma_f64 v[141:142], v[107:108], v[143:144], -v[141:142]
	v_add_f64 v[111:112], v[111:112], v[121:122]
	v_fma_f64 v[121:122], v[109:110], v[143:144], v[168:169]
	v_add_f64 v[113:114], v[113:114], v[131:132]
	s_clause 0x2
	buffer_load_dword v136, off, s[0:3], 0 offset:796
	buffer_load_dword v132, off, s[0:3], 0 offset:772
	;; [unrolled: 1-line block ×3, first 2 shown]
	ds_read_b128 v[107:110], v159 offset:1344
	buffer_load_dword v175, off, s[0:3], 0 offset:788
	s_waitcnt vmcnt(59) lgkmcnt(1)
	v_mul_f64 v[143:144], v[1:2], v[149:150]
	v_mul_f64 v[149:150], v[3:4], v[149:150]
	s_waitcnt vmcnt(57)
	v_fma_f64 v[127:128], v[5:6], v[129:130], -v[127:128]
	v_fma_f64 v[129:130], v[7:8], v[129:130], v[191:192]
	ds_read_b128 v[5:8], v159 offset:1360
	v_add_f64 v[111:112], v[111:112], v[141:142]
	v_add_f64 v[113:114], v[113:114], v[121:122]
	s_waitcnt vmcnt(53) lgkmcnt(1)
	v_mul_f64 v[121:122], v[107:108], v[133:134]
	v_mul_f64 v[133:134], v[109:110], v[133:134]
	s_waitcnt vmcnt(52)
	v_fma_f64 v[141:142], v[1:2], v[151:152], -v[149:150]
	v_add_f64 v[111:112], v[111:112], v[127:128]
	v_fma_f64 v[127:128], v[3:4], v[151:152], v[143:144]
	v_add_f64 v[113:114], v[113:114], v[129:130]
	ds_read_b128 v[1:4], v159 offset:1376
	s_waitcnt vmcnt(51) lgkmcnt(1)
	v_mul_f64 v[143:144], v[7:8], v[155:156]
	v_mul_f64 v[129:130], v[5:6], v[155:156]
	s_waitcnt vmcnt(49)
	v_fma_f64 v[133:134], v[107:108], v[137:138], -v[133:134]
	v_fma_f64 v[121:122], v[109:110], v[137:138], v[121:122]
	v_add_f64 v[111:112], v[111:112], v[141:142]
	v_add_f64 v[113:114], v[113:114], v[127:128]
	s_clause 0x3
	buffer_load_dword v127, off, s[0:3], 0 offset:96
	buffer_load_dword v128, off, s[0:3], 0 offset:100
	;; [unrolled: 1-line block ×4, first 2 shown]
	ds_read_b128 v[107:110], v159 offset:1392
	s_waitcnt vmcnt(49) lgkmcnt(1)
	v_mul_f64 v[141:142], v[1:2], v[139:140]
	v_mul_f64 v[139:140], v[3:4], v[139:140]
	s_waitcnt vmcnt(48)
	v_fma_f64 v[143:144], v[5:6], v[157:158], -v[143:144]
	v_fma_f64 v[129:130], v[7:8], v[157:158], v[129:130]
	ds_read_b128 v[5:8], v159 offset:1408
	v_add_f64 v[111:112], v[111:112], v[133:134]
	v_add_f64 v[113:114], v[113:114], v[121:122]
	s_waitcnt vmcnt(47) lgkmcnt(1)
	v_mul_f64 v[133:134], v[109:110], v[178:179]
	v_mul_f64 v[121:122], v[107:108], v[178:179]
	s_waitcnt vmcnt(45)
	v_fma_f64 v[139:140], v[1:2], v[145:146], -v[139:140]
	v_fma_f64 v[141:142], v[3:4], v[145:146], v[141:142]
	ds_read_b128 v[1:4], v159 offset:1424
	v_add_f64 v[111:112], v[111:112], v[143:144]
	v_add_f64 v[113:114], v[113:114], v[129:130]
	s_waitcnt vmcnt(41) lgkmcnt(1)
	v_mul_f64 v[143:144], v[7:8], v[147:148]
	s_waitcnt vmcnt(40)
	v_fma_f64 v[133:134], v[107:108], v[182:183], -v[133:134]
	v_mul_f64 v[129:130], v[5:6], v[147:148]
	v_fma_f64 v[121:122], v[109:110], v[182:183], v[121:122]
	ds_read_b128 v[107:110], v159 offset:1440
	v_add_f64 v[111:112], v[111:112], v[139:140]
	v_add_f64 v[113:114], v[113:114], v[141:142]
	s_waitcnt vmcnt(39) lgkmcnt(1)
	v_mul_f64 v[141:142], v[3:4], v[164:165]
	v_mul_f64 v[139:140], v[1:2], v[164:165]
	s_waitcnt vmcnt(37)
	v_fma_f64 v[143:144], v[5:6], v[153:154], -v[143:144]
	v_fma_f64 v[129:130], v[7:8], v[153:154], v[129:130]
	ds_read_b128 v[5:8], v159 offset:1456
	v_add_f64 v[111:112], v[111:112], v[133:134]
	v_add_f64 v[113:114], v[113:114], v[121:122]
	s_waitcnt vmcnt(33) lgkmcnt(1)
	v_mul_f64 v[133:134], v[109:110], v[170:171]
	s_waitcnt vmcnt(32)
	v_fma_f64 v[141:142], v[1:2], v[187:188], -v[141:142]
	v_mul_f64 v[121:122], v[107:108], v[170:171]
	v_fma_f64 v[139:140], v[3:4], v[187:188], v[139:140]
	ds_read_b128 v[1:4], v159 offset:1472
	v_add_f64 v[111:112], v[111:112], v[143:144]
	v_add_f64 v[113:114], v[113:114], v[129:130]
	s_waitcnt vmcnt(31) lgkmcnt(1)
	v_mul_f64 v[143:144], v[7:8], v[180:181]
	v_mul_f64 v[129:130], v[5:6], v[180:181]
	s_waitcnt vmcnt(29)
	v_fma_f64 v[133:134], v[107:108], v[117:118], -v[133:134]
	v_fma_f64 v[117:118], v[109:110], v[117:118], v[121:122]
	ds_read_b128 v[107:110], v159 offset:1488
	v_add_f64 v[111:112], v[111:112], v[141:142]
	v_add_f64 v[113:114], v[113:114], v[139:140]
	s_waitcnt vmcnt(25) lgkmcnt(1)
	v_mul_f64 v[121:122], v[1:2], v[123:124]
	v_mul_f64 v[123:124], v[3:4], v[123:124]
	s_waitcnt vmcnt(24)
	v_fma_f64 v[139:140], v[5:6], v[184:185], -v[143:144]
	;; [unrolled: 9-line block ×3, first 2 shown]
	v_fma_f64 v[119:120], v[3:4], v[119:120], v[121:122]
	ds_read_b128 v[1:4], v159 offset:1520
	v_add_f64 v[111:112], v[111:112], v[139:140]
	v_add_f64 v[113:114], v[113:114], v[129:130]
	s_waitcnt vmcnt(17) lgkmcnt(1)
	v_mul_f64 v[129:130], v[7:8], v[160:161]
	s_waitcnt vmcnt(16)
	v_fma_f64 v[133:134], v[107:108], v[189:190], -v[133:134]
	v_mul_f64 v[121:122], v[5:6], v[160:161]
	v_fma_f64 v[117:118], v[109:110], v[189:190], v[117:118]
	ds_read_b128 v[107:110], v159 offset:1536
	v_add_f64 v[111:112], v[111:112], v[123:124]
	v_add_f64 v[113:114], v[113:114], v[119:120]
	s_waitcnt vmcnt(15) lgkmcnt(1)
	v_mul_f64 v[123:124], v[3:4], v[162:163]
	v_mul_f64 v[119:120], v[1:2], v[162:163]
	s_waitcnt vmcnt(13)
	v_fma_f64 v[129:130], v[5:6], v[125:126], -v[129:130]
	v_fma_f64 v[121:122], v[7:8], v[125:126], v[121:122]
	ds_read_b128 v[5:8], v159 offset:1552
	v_add_f64 v[111:112], v[111:112], v[133:134]
	v_add_f64 v[113:114], v[113:114], v[117:118]
	s_waitcnt vmcnt(9) lgkmcnt(1)
	v_mul_f64 v[117:118], v[107:108], v[115:116]
	v_mul_f64 v[115:116], v[109:110], v[115:116]
	s_waitcnt vmcnt(8)
	v_fma_f64 v[1:2], v[1:2], v[176:177], -v[123:124]
	v_fma_f64 v[3:4], v[3:4], v[176:177], v[119:120]
	v_add_f64 v[111:112], v[111:112], v[129:130]
	v_add_f64 v[113:114], v[113:114], v[121:122]
	s_waitcnt vmcnt(7) lgkmcnt(0)
	v_mul_f64 v[121:122], v[7:8], v[135:136]
	v_mul_f64 v[119:120], v[5:6], v[135:136]
	s_waitcnt vmcnt(5)
	v_fma_f64 v[107:108], v[107:108], v[131:132], -v[115:116]
	v_fma_f64 v[109:110], v[109:110], v[131:132], v[117:118]
	v_add_f64 v[1:2], v[111:112], v[1:2]
	v_add_f64 v[3:4], v[113:114], v[3:4]
	s_waitcnt vmcnt(4)
	v_fma_f64 v[5:6], v[5:6], v[174:175], -v[121:122]
	v_fma_f64 v[7:8], v[7:8], v[174:175], v[119:120]
	v_add_f64 v[1:2], v[1:2], v[107:108]
	v_add_f64 v[3:4], v[3:4], v[109:110]
	;; [unrolled: 1-line block ×4, first 2 shown]
	s_waitcnt vmcnt(2)
	v_add_f64 v[1:2], v[127:128], -v[1:2]
	s_waitcnt vmcnt(0)
	v_add_f64 v[3:4], v[137:138], -v[3:4]
	buffer_store_dword v2, off, s[0:3], 0 offset:100
	buffer_store_dword v1, off, s[0:3], 0 offset:96
	;; [unrolled: 1-line block ×4, first 2 shown]
	v_cmpx_lt_u32_e32 4, v0
	s_cbranch_execz .LBB112_299
; %bb.298:
	v_mov_b32_e32 v4, s57
	s_clause 0x3
	buffer_load_dword v1, v4, s[0:3], 0 offen
	buffer_load_dword v2, v4, s[0:3], 0 offen offset:4
	buffer_load_dword v3, v4, s[0:3], 0 offen offset:8
	;; [unrolled: 1-line block ×3, first 2 shown]
	buffer_store_dword v159, off, s[0:3], 0 offset:80
	buffer_store_dword v159, off, s[0:3], 0 offset:84
	;; [unrolled: 1-line block ×4, first 2 shown]
	s_waitcnt vmcnt(0)
	ds_write_b128 v167, v[1:4]
.LBB112_299:
	s_or_b32 exec_lo, exec_lo, s4
	s_waitcnt lgkmcnt(0)
	s_waitcnt_vscnt null, 0x0
	s_barrier
	buffer_gl0_inv
	s_clause 0x37
	buffer_load_dword v107, off, s[0:3], 0 offset:104
	buffer_load_dword v108, off, s[0:3], 0 offset:108
	;; [unrolled: 1-line block ×56, first 2 shown]
	ds_read_b128 v[160:163], v159 offset:864
	s_clause 0x2
	buffer_load_dword v156, off, s[0:3], 0 offset:332
	buffer_load_dword v158, off, s[0:3], 0 offset:308
	;; [unrolled: 1-line block ×3, first 2 shown]
	ds_read_b128 v[168:171], v159 offset:880
	s_clause 0x4
	buffer_load_dword v177, off, s[0:3], 0 offset:348
	buffer_load_dword v178, off, s[0:3], 0 offset:360
	;; [unrolled: 1-line block ×5, first 2 shown]
	ds_read_b128 v[172:175], v159 offset:896
	s_clause 0x2
	buffer_load_dword v179, off, s[0:3], 0 offset:364
	buffer_load_dword v184, off, s[0:3], 0 offset:340
	;; [unrolled: 1-line block ×3, first 2 shown]
	s_mov_b32 s4, exec_lo
	s_waitcnt vmcnt(62) lgkmcnt(2)
	v_mul_f64 v[164:165], v[162:163], v[107:108]
	v_mul_f64 v[107:108], v[160:161], v[107:108]
	s_waitcnt lgkmcnt(1)
	v_mul_f64 v[181:182], v[170:171], v[5:6]
	s_waitcnt vmcnt(59) lgkmcnt(0)
	v_mul_f64 v[185:186], v[174:175], v[3:4]
	v_fma_f64 v[160:161], v[160:161], v[7:8], -v[164:165]
	v_mul_f64 v[164:165], v[168:169], v[5:6]
	v_fma_f64 v[107:108], v[162:163], v[7:8], v[107:108]
	s_waitcnt vmcnt(57)
	v_fma_f64 v[168:169], v[168:169], v[1:2], -v[181:182]
	ds_read_b128 v[5:8], v159 offset:912
	v_mul_f64 v[162:163], v[172:173], v[3:4]
	s_waitcnt vmcnt(51)
	v_fma_f64 v[172:173], v[172:173], v[123:124], -v[185:186]
	v_add_f64 v[160:161], v[160:161], 0
	v_fma_f64 v[164:165], v[170:171], v[1:2], v[164:165]
	v_add_f64 v[107:108], v[107:108], 0
	s_clause 0x4
	buffer_load_dword v171, off, s[0:3], 0 offset:380
	buffer_load_dword v187, off, s[0:3], 0 offset:392
	;; [unrolled: 1-line block ×5, first 2 shown]
	s_waitcnt lgkmcnt(0)
	v_mul_f64 v[190:191], v[5:6], v[111:112]
	v_mul_f64 v[111:112], v[7:8], v[111:112]
	ds_read_b128 v[1:4], v159 offset:928
	v_fma_f64 v[123:124], v[174:175], v[123:124], v[162:163]
	v_add_f64 v[168:169], v[160:161], v[168:169]
	v_add_f64 v[107:108], v[107:108], v[164:165]
	s_clause 0x2
	buffer_load_dword v188, off, s[0:3], 0 offset:396
	buffer_load_dword v165, off, s[0:3], 0 offset:372
	;; [unrolled: 1-line block ×3, first 2 shown]
	s_waitcnt vmcnt(58) lgkmcnt(0)
	v_mul_f64 v[174:175], v[1:2], v[115:116]
	v_mul_f64 v[115:116], v[3:4], v[115:116]
	s_waitcnt vmcnt(56)
	v_fma_f64 v[111:112], v[5:6], v[117:118], -v[111:112]
	ds_read_b128 v[160:163], v159 offset:944
	v_fma_f64 v[117:118], v[7:8], v[117:118], v[190:191]
	v_add_f64 v[168:169], v[168:169], v[172:173]
	v_add_f64 v[107:108], v[107:108], v[123:124]
	s_clause 0x4
	buffer_load_dword v124, off, s[0:3], 0 offset:412
	buffer_load_dword v172, off, s[0:3], 0 offset:424
	;; [unrolled: 1-line block ×5, first 2 shown]
	ds_read_b128 v[5:8], v159 offset:960
	s_waitcnt vmcnt(57) lgkmcnt(1)
	v_mul_f64 v[191:192], v[160:161], v[119:120]
	v_mul_f64 v[119:120], v[162:163], v[119:120]
	s_waitcnt vmcnt(56)
	v_fma_f64 v[115:116], v[1:2], v[109:110], -v[115:116]
	v_fma_f64 v[109:110], v[3:4], v[109:110], v[174:175]
	v_add_f64 v[111:112], v[168:169], v[111:112]
	v_add_f64 v[107:108], v[107:108], v[117:118]
	s_clause 0x2
	buffer_load_dword v173, off, s[0:3], 0 offset:428
	buffer_load_dword v118, off, s[0:3], 0 offset:404
	;; [unrolled: 1-line block ×3, first 2 shown]
	s_waitcnt vmcnt(58) lgkmcnt(0)
	v_mul_f64 v[168:169], v[5:6], v[125:126]
	v_mul_f64 v[125:126], v[7:8], v[125:126]
	s_waitcnt vmcnt(56)
	v_fma_f64 v[119:120], v[160:161], v[127:128], -v[119:120]
	ds_read_b128 v[1:4], v159 offset:976
	v_add_f64 v[111:112], v[111:112], v[115:116]
	v_fma_f64 v[115:116], v[162:163], v[127:128], v[191:192]
	v_add_f64 v[127:128], v[107:108], v[109:110]
	s_clause 0x4
	buffer_load_dword v161, off, s[0:3], 0 offset:444
	buffer_load_dword v162, off, s[0:3], 0 offset:456
	;; [unrolled: 1-line block ×5, first 2 shown]
	ds_read_b128 v[107:110], v159 offset:992
	s_waitcnt vmcnt(57) lgkmcnt(1)
	v_mul_f64 v[191:192], v[1:2], v[129:130]
	v_mul_f64 v[129:130], v[3:4], v[129:130]
	s_waitcnt vmcnt(56)
	v_fma_f64 v[125:126], v[5:6], v[113:114], -v[125:126]
	v_fma_f64 v[113:114], v[7:8], v[113:114], v[168:169]
	v_add_f64 v[111:112], v[111:112], v[119:120]
	s_clause 0x2
	buffer_load_dword v163, off, s[0:3], 0 offset:460
	buffer_load_dword v120, off, s[0:3], 0 offset:436
	;; [unrolled: 1-line block ×3, first 2 shown]
	v_add_f64 v[115:116], v[127:128], v[115:116]
	s_waitcnt vmcnt(58) lgkmcnt(0)
	v_mul_f64 v[127:128], v[107:108], v[133:134]
	v_mul_f64 v[133:134], v[109:110], v[133:134]
	ds_read_b128 v[5:8], v159 offset:1008
	s_waitcnt vmcnt(56)
	v_fma_f64 v[129:130], v[1:2], v[135:136], -v[129:130]
	v_add_f64 v[111:112], v[111:112], v[125:126]
	v_fma_f64 v[125:126], v[3:4], v[135:136], v[191:192]
	v_add_f64 v[113:114], v[115:116], v[113:114]
	s_clause 0x4
	buffer_load_dword v116, off, s[0:3], 0 offset:476
	buffer_load_dword v135, off, s[0:3], 0 offset:488
	;; [unrolled: 1-line block ×5, first 2 shown]
	s_waitcnt vmcnt(57) lgkmcnt(0)
	v_mul_f64 v[191:192], v[5:6], v[137:138]
	v_mul_f64 v[137:138], v[7:8], v[137:138]
	s_waitcnt vmcnt(56)
	v_fma_f64 v[133:134], v[107:108], v[121:122], -v[133:134]
	ds_read_b128 v[1:4], v159 offset:1024
	v_fma_f64 v[121:122], v[109:110], v[121:122], v[127:128]
	v_add_f64 v[111:112], v[111:112], v[129:130]
	v_add_f64 v[113:114], v[113:114], v[125:126]
	s_clause 0x2
	buffer_load_dword v136, off, s[0:3], 0 offset:492
	buffer_load_dword v126, off, s[0:3], 0 offset:468
	buffer_load_dword v125, off, s[0:3], 0 offset:464
	ds_read_b128 v[107:110], v159 offset:1040
	s_waitcnt vmcnt(58) lgkmcnt(1)
	v_mul_f64 v[129:130], v[3:4], v[141:142]
	s_waitcnt vmcnt(56)
	v_fma_f64 v[137:138], v[5:6], v[143:144], -v[137:138]
	v_mul_f64 v[127:128], v[1:2], v[141:142]
	v_add_f64 v[111:112], v[111:112], v[133:134]
	v_fma_f64 v[133:134], v[7:8], v[143:144], v[191:192]
	v_add_f64 v[113:114], v[113:114], v[121:122]
	s_clause 0x4
	buffer_load_dword v122, off, s[0:3], 0 offset:508
	buffer_load_dword v141, off, s[0:3], 0 offset:520
	;; [unrolled: 1-line block ×5, first 2 shown]
	s_waitcnt vmcnt(57) lgkmcnt(0)
	v_mul_f64 v[191:192], v[107:108], v[145:146]
	v_mul_f64 v[144:145], v[109:110], v[145:146]
	s_waitcnt vmcnt(56)
	v_fma_f64 v[129:130], v[1:2], v[131:132], -v[129:130]
	ds_read_b128 v[5:8], v159 offset:1056
	v_fma_f64 v[127:128], v[3:4], v[131:132], v[127:128]
	s_clause 0x2
	buffer_load_dword v142, off, s[0:3], 0 offset:524
	buffer_load_dword v132, off, s[0:3], 0 offset:500
	;; [unrolled: 1-line block ×3, first 2 shown]
	ds_read_b128 v[1:4], v159 offset:1072
	v_add_f64 v[111:112], v[111:112], v[137:138]
	v_add_f64 v[113:114], v[113:114], v[133:134]
	s_waitcnt vmcnt(58) lgkmcnt(1)
	v_mul_f64 v[137:138], v[7:8], v[149:150]
	s_waitcnt vmcnt(56)
	v_fma_f64 v[145:146], v[107:108], v[151:152], -v[144:145]
	v_mul_f64 v[133:134], v[5:6], v[149:150]
	v_add_f64 v[111:112], v[111:112], v[129:130]
	v_fma_f64 v[129:130], v[109:110], v[151:152], v[191:192]
	v_add_f64 v[113:114], v[113:114], v[127:128]
	s_clause 0x4
	buffer_load_dword v128, off, s[0:3], 0 offset:540
	buffer_load_dword v149, off, s[0:3], 0 offset:552
	;; [unrolled: 1-line block ×5, first 2 shown]
	s_waitcnt vmcnt(57) lgkmcnt(0)
	v_mul_f64 v[191:192], v[1:2], v[153:154]
	v_mul_f64 v[152:153], v[3:4], v[153:154]
	s_waitcnt vmcnt(56)
	v_fma_f64 v[137:138], v[5:6], v[139:140], -v[137:138]
	ds_read_b128 v[107:110], v159 offset:1088
	v_fma_f64 v[133:134], v[7:8], v[139:140], v[133:134]
	v_add_f64 v[111:112], v[111:112], v[145:146]
	v_add_f64 v[113:114], v[113:114], v[129:130]
	s_clause 0x2
	buffer_load_dword v150, off, s[0:3], 0 offset:556
	buffer_load_dword v130, off, s[0:3], 0 offset:532
	;; [unrolled: 1-line block ×3, first 2 shown]
	ds_read_b128 v[5:8], v159 offset:1104
	s_waitcnt vmcnt(58) lgkmcnt(1)
	v_mul_f64 v[145:146], v[109:110], v[155:156]
	s_waitcnt vmcnt(56)
	v_fma_f64 v[153:154], v[1:2], v[157:158], -v[152:153]
	v_mul_f64 v[139:140], v[107:108], v[155:156]
	v_add_f64 v[111:112], v[111:112], v[137:138]
	v_fma_f64 v[137:138], v[3:4], v[157:158], v[191:192]
	v_add_f64 v[113:114], v[113:114], v[133:134]
	s_clause 0x4
	buffer_load_dword v134, off, s[0:3], 0 offset:572
	buffer_load_dword v155, off, s[0:3], 0 offset:584
	;; [unrolled: 1-line block ×5, first 2 shown]
	s_waitcnt vmcnt(57) lgkmcnt(0)
	v_mul_f64 v[191:192], v[5:6], v[176:177]
	v_mul_f64 v[176:177], v[7:8], v[176:177]
	s_waitcnt vmcnt(56)
	v_fma_f64 v[145:146], v[107:108], v[147:148], -v[145:146]
	ds_read_b128 v[1:4], v159 offset:1120
	v_fma_f64 v[139:140], v[109:110], v[147:148], v[139:140]
	v_add_f64 v[111:112], v[111:112], v[153:154]
	v_add_f64 v[113:114], v[113:114], v[137:138]
	s_clause 0x2
	buffer_load_dword v156, off, s[0:3], 0 offset:588
	buffer_load_dword v138, off, s[0:3], 0 offset:564
	;; [unrolled: 1-line block ×3, first 2 shown]
	ds_read_b128 v[107:110], v159 offset:1136
	s_waitcnt vmcnt(58) lgkmcnt(1)
	v_mul_f64 v[153:154], v[3:4], v[178:179]
	s_waitcnt vmcnt(56)
	v_fma_f64 v[176:177], v[5:6], v[183:184], -v[176:177]
	v_mul_f64 v[147:148], v[1:2], v[178:179]
	v_add_f64 v[111:112], v[111:112], v[145:146]
	v_fma_f64 v[145:146], v[7:8], v[183:184], v[191:192]
	v_add_f64 v[113:114], v[113:114], v[139:140]
	s_clause 0x4
	buffer_load_dword v140, off, s[0:3], 0 offset:604
	buffer_load_dword v178, off, s[0:3], 0 offset:616
	;; [unrolled: 1-line block ×5, first 2 shown]
	ds_read_b128 v[5:8], v159 offset:1152
	s_waitcnt vmcnt(57) lgkmcnt(1)
	v_mul_f64 v[183:184], v[107:108], v[170:171]
	v_mul_f64 v[170:171], v[109:110], v[170:171]
	s_waitcnt vmcnt(56)
	v_fma_f64 v[153:154], v[1:2], v[180:181], -v[153:154]
	v_fma_f64 v[147:148], v[3:4], v[180:181], v[147:148]
	v_add_f64 v[111:112], v[111:112], v[176:177]
	v_add_f64 v[113:114], v[113:114], v[145:146]
	s_clause 0x2
	buffer_load_dword v179, off, s[0:3], 0 offset:620
	buffer_load_dword v146, off, s[0:3], 0 offset:596
	;; [unrolled: 1-line block ×3, first 2 shown]
	ds_read_b128 v[1:4], v159 offset:1168
	s_waitcnt vmcnt(58) lgkmcnt(1)
	v_mul_f64 v[180:181], v[7:8], v[187:188]
	v_mul_f64 v[176:177], v[5:6], v[187:188]
	s_waitcnt vmcnt(56)
	v_fma_f64 v[170:171], v[107:108], v[164:165], -v[170:171]
	v_add_f64 v[111:112], v[111:112], v[153:154]
	v_fma_f64 v[153:154], v[109:110], v[164:165], v[183:184]
	v_add_f64 v[113:114], v[113:114], v[147:148]
	s_clause 0x4
	buffer_load_dword v148, off, s[0:3], 0 offset:636
	buffer_load_dword v164, off, s[0:3], 0 offset:648
	buffer_load_dword v187, off, s[0:3], 0 offset:640
	buffer_load_dword v147, off, s[0:3], 0 offset:632
	buffer_load_dword v183, off, s[0:3], 0 offset:612
	ds_read_b128 v[107:110], v159 offset:1184
	s_waitcnt vmcnt(57) lgkmcnt(1)
	v_mul_f64 v[191:192], v[1:2], v[123:124]
	v_mul_f64 v[123:124], v[3:4], v[123:124]
	s_waitcnt vmcnt(56)
	v_fma_f64 v[180:181], v[5:6], v[189:190], -v[180:181]
	v_add_f64 v[111:112], v[111:112], v[170:171]
	v_fma_f64 v[170:171], v[7:8], v[189:190], v[176:177]
	v_add_f64 v[113:114], v[113:114], v[153:154]
	s_clause 0x2
	buffer_load_dword v165, off, s[0:3], 0 offset:652
	buffer_load_dword v154, off, s[0:3], 0 offset:628
	buffer_load_dword v153, off, s[0:3], 0 offset:624
	ds_read_b128 v[5:8], v159 offset:1200
	s_waitcnt vmcnt(58) lgkmcnt(1)
	v_mul_f64 v[176:177], v[107:108], v[172:173]
	v_mul_f64 v[172:173], v[109:110], v[172:173]
	s_waitcnt vmcnt(56)
	v_fma_f64 v[123:124], v[1:2], v[117:118], -v[123:124]
	v_fma_f64 v[117:118], v[3:4], v[117:118], v[191:192]
	v_add_f64 v[111:112], v[111:112], v[180:181]
	v_add_f64 v[113:114], v[113:114], v[170:171]
	s_clause 0x4
	buffer_load_dword v171, off, s[0:3], 0 offset:668
	buffer_load_dword v180, off, s[0:3], 0 offset:680
	buffer_load_dword v184, off, s[0:3], 0 offset:672
	buffer_load_dword v170, off, s[0:3], 0 offset:664
	buffer_load_dword v188, off, s[0:3], 0 offset:644
	ds_read_b128 v[1:4], v159 offset:1216
	s_waitcnt vmcnt(57) lgkmcnt(1)
	v_mul_f64 v[189:190], v[5:6], v[160:161]
	v_mul_f64 v[160:161], v[7:8], v[160:161]
	s_waitcnt vmcnt(56)
	v_fma_f64 v[172:173], v[107:108], v[185:186], -v[172:173]
	v_add_f64 v[111:112], v[111:112], v[123:124]
	v_fma_f64 v[123:124], v[109:110], v[185:186], v[176:177]
	v_add_f64 v[113:114], v[113:114], v[117:118]
	s_clause 0x2
	buffer_load_dword v181, off, s[0:3], 0 offset:684
	buffer_load_dword v118, off, s[0:3], 0 offset:660
	buffer_load_dword v117, off, s[0:3], 0 offset:656
	ds_read_b128 v[107:110], v159 offset:1232
	s_waitcnt vmcnt(58) lgkmcnt(1)
	v_mul_f64 v[176:177], v[1:2], v[162:163]
	v_mul_f64 v[162:163], v[3:4], v[162:163]
	s_waitcnt vmcnt(56)
	v_fma_f64 v[160:161], v[5:6], v[119:120], -v[160:161]
	v_fma_f64 v[119:120], v[7:8], v[119:120], v[189:190]
	v_add_f64 v[111:112], v[111:112], v[172:173]
	;; [unrolled: 28-line block ×3, first 2 shown]
	v_add_f64 v[113:114], v[113:114], v[160:161]
	s_clause 0x4
	buffer_load_dword v161, off, s[0:3], 0 offset:732
	buffer_load_dword v162, off, s[0:3], 0 offset:744
	;; [unrolled: 1-line block ×5, first 2 shown]
	ds_read_b128 v[107:110], v159 offset:1280
	s_waitcnt vmcnt(57) lgkmcnt(1)
	v_mul_f64 v[191:192], v[1:2], v[121:122]
	v_mul_f64 v[121:122], v[3:4], v[121:122]
	s_waitcnt vmcnt(56)
	v_fma_f64 v[135:136], v[5:6], v[168:169], -v[135:136]
	v_add_f64 v[111:112], v[111:112], v[115:116]
	v_fma_f64 v[115:116], v[7:8], v[168:169], v[174:175]
	v_add_f64 v[113:114], v[113:114], v[125:126]
	s_clause 0x2
	buffer_load_dword v163, off, s[0:3], 0 offset:748
	buffer_load_dword v126, off, s[0:3], 0 offset:724
	;; [unrolled: 1-line block ×3, first 2 shown]
	s_waitcnt vmcnt(58) lgkmcnt(0)
	v_mul_f64 v[168:169], v[107:108], v[141:142]
	v_mul_f64 v[141:142], v[109:110], v[141:142]
	ds_read_b128 v[5:8], v159 offset:1296
	s_waitcnt vmcnt(56)
	v_fma_f64 v[121:122], v[1:2], v[131:132], -v[121:122]
	v_fma_f64 v[131:132], v[3:4], v[131:132], v[191:192]
	v_add_f64 v[111:112], v[111:112], v[135:136]
	v_add_f64 v[113:114], v[113:114], v[115:116]
	s_clause 0x4
	buffer_load_dword v116, off, s[0:3], 0 offset:764
	buffer_load_dword v135, off, s[0:3], 0 offset:776
	;; [unrolled: 1-line block ×5, first 2 shown]
	ds_read_b128 v[1:4], v159 offset:1312
	s_waitcnt vmcnt(57) lgkmcnt(1)
	v_mul_f64 v[191:192], v[5:6], v[127:128]
	v_mul_f64 v[127:128], v[7:8], v[127:128]
	s_waitcnt vmcnt(56)
	v_fma_f64 v[141:142], v[107:108], v[143:144], -v[141:142]
	v_add_f64 v[111:112], v[111:112], v[121:122]
	v_fma_f64 v[121:122], v[109:110], v[143:144], v[168:169]
	v_add_f64 v[113:114], v[113:114], v[131:132]
	s_clause 0x2
	buffer_load_dword v136, off, s[0:3], 0 offset:780
	buffer_load_dword v132, off, s[0:3], 0 offset:756
	;; [unrolled: 1-line block ×3, first 2 shown]
	ds_read_b128 v[107:110], v159 offset:1328
	s_waitcnt vmcnt(58) lgkmcnt(1)
	v_mul_f64 v[143:144], v[1:2], v[149:150]
	v_mul_f64 v[149:150], v[3:4], v[149:150]
	s_waitcnt vmcnt(56)
	v_fma_f64 v[127:128], v[5:6], v[129:130], -v[127:128]
	v_fma_f64 v[129:130], v[7:8], v[129:130], v[191:192]
	v_add_f64 v[111:112], v[111:112], v[141:142]
	v_add_f64 v[113:114], v[113:114], v[121:122]
	s_clause 0x2
	buffer_load_dword v122, off, s[0:3], 0 offset:796
	buffer_load_dword v121, off, s[0:3], 0 offset:792
	;; [unrolled: 1-line block ×3, first 2 shown]
	ds_read_b128 v[5:8], v159 offset:1344
	s_waitcnt vmcnt(55) lgkmcnt(1)
	v_mul_f64 v[141:142], v[107:108], v[133:134]
	v_mul_f64 v[133:134], v[109:110], v[133:134]
	s_waitcnt vmcnt(54)
	v_fma_f64 v[149:150], v[1:2], v[151:152], -v[149:150]
	v_add_f64 v[111:112], v[111:112], v[127:128]
	v_fma_f64 v[127:128], v[3:4], v[151:152], v[143:144]
	v_add_f64 v[113:114], v[113:114], v[129:130]
	s_clause 0x1
	buffer_load_dword v130, off, s[0:3], 0 offset:788
	buffer_load_dword v129, off, s[0:3], 0 offset:784
	ds_read_b128 v[1:4], v159 offset:1360
	s_waitcnt vmcnt(55) lgkmcnt(1)
	v_mul_f64 v[151:152], v[7:8], v[155:156]
	v_mul_f64 v[143:144], v[5:6], v[155:156]
	s_waitcnt vmcnt(53)
	v_fma_f64 v[133:134], v[107:108], v[137:138], -v[133:134]
	v_fma_f64 v[137:138], v[109:110], v[137:138], v[141:142]
	ds_read_b128 v[107:110], v159 offset:1376
	v_add_f64 v[111:112], v[111:112], v[149:150]
	v_add_f64 v[113:114], v[113:114], v[127:128]
	s_waitcnt vmcnt(49) lgkmcnt(1)
	v_mul_f64 v[127:128], v[1:2], v[139:140]
	v_mul_f64 v[139:140], v[3:4], v[139:140]
	s_waitcnt vmcnt(48)
	v_fma_f64 v[141:142], v[5:6], v[157:158], -v[151:152]
	v_add_f64 v[111:112], v[111:112], v[133:134]
	v_fma_f64 v[133:134], v[7:8], v[157:158], v[143:144]
	v_add_f64 v[113:114], v[113:114], v[137:138]
	s_clause 0x3
	buffer_load_dword v137, off, s[0:3], 0 offset:80
	buffer_load_dword v138, off, s[0:3], 0 offset:84
	;; [unrolled: 1-line block ×4, first 2 shown]
	ds_read_b128 v[5:8], v159 offset:1392
	s_waitcnt vmcnt(51) lgkmcnt(1)
	v_mul_f64 v[151:152], v[109:110], v[178:179]
	v_mul_f64 v[149:150], v[107:108], v[178:179]
	s_waitcnt vmcnt(49)
	v_fma_f64 v[139:140], v[1:2], v[145:146], -v[139:140]
	v_fma_f64 v[127:128], v[3:4], v[145:146], v[127:128]
	ds_read_b128 v[1:4], v159 offset:1408
	v_add_f64 v[111:112], v[111:112], v[141:142]
	v_add_f64 v[113:114], v[113:114], v[133:134]
	s_waitcnt vmcnt(45) lgkmcnt(1)
	v_mul_f64 v[141:142], v[7:8], v[147:148]
	s_waitcnt vmcnt(44)
	v_fma_f64 v[145:146], v[107:108], v[182:183], -v[151:152]
	v_mul_f64 v[133:134], v[5:6], v[147:148]
	v_add_f64 v[111:112], v[111:112], v[139:140]
	v_fma_f64 v[139:140], v[109:110], v[182:183], v[149:150]
	v_add_f64 v[113:114], v[113:114], v[127:128]
	ds_read_b128 v[107:110], v159 offset:1424
	s_waitcnt vmcnt(43) lgkmcnt(1)
	v_mul_f64 v[147:148], v[3:4], v[164:165]
	v_mul_f64 v[127:128], v[1:2], v[164:165]
	s_waitcnt vmcnt(41)
	v_fma_f64 v[141:142], v[5:6], v[153:154], -v[141:142]
	v_fma_f64 v[133:134], v[7:8], v[153:154], v[133:134]
	ds_read_b128 v[5:8], v159 offset:1440
	v_add_f64 v[111:112], v[111:112], v[145:146]
	v_add_f64 v[113:114], v[113:114], v[139:140]
	s_waitcnt vmcnt(37) lgkmcnt(1)
	v_mul_f64 v[145:146], v[109:110], v[170:171]
	s_waitcnt vmcnt(36)
	v_fma_f64 v[147:148], v[1:2], v[187:188], -v[147:148]
	v_mul_f64 v[139:140], v[107:108], v[170:171]
	v_fma_f64 v[127:128], v[3:4], v[187:188], v[127:128]
	ds_read_b128 v[1:4], v159 offset:1456
	v_add_f64 v[111:112], v[111:112], v[141:142]
	v_add_f64 v[113:114], v[113:114], v[133:134]
	s_waitcnt vmcnt(35) lgkmcnt(1)
	v_mul_f64 v[141:142], v[7:8], v[180:181]
	v_mul_f64 v[133:134], v[5:6], v[180:181]
	s_waitcnt vmcnt(33)
	v_fma_f64 v[145:146], v[107:108], v[117:118], -v[145:146]
	v_fma_f64 v[117:118], v[109:110], v[117:118], v[139:140]
	ds_read_b128 v[107:110], v159 offset:1472
	v_add_f64 v[111:112], v[111:112], v[147:148]
	v_add_f64 v[113:114], v[113:114], v[127:128]
	s_waitcnt vmcnt(29) lgkmcnt(1)
	v_mul_f64 v[127:128], v[1:2], v[123:124]
	v_mul_f64 v[123:124], v[3:4], v[123:124]
	s_waitcnt vmcnt(28)
	v_fma_f64 v[139:140], v[5:6], v[184:185], -v[141:142]
	;; [unrolled: 9-line block ×3, first 2 shown]
	v_fma_f64 v[119:120], v[3:4], v[119:120], v[127:128]
	ds_read_b128 v[1:4], v159 offset:1504
	v_add_f64 v[111:112], v[111:112], v[139:140]
	v_add_f64 v[113:114], v[113:114], v[133:134]
	s_waitcnt vmcnt(21) lgkmcnt(1)
	v_mul_f64 v[133:134], v[7:8], v[160:161]
	s_waitcnt vmcnt(20)
	v_fma_f64 v[139:140], v[107:108], v[189:190], -v[141:142]
	v_mul_f64 v[127:128], v[5:6], v[160:161]
	v_fma_f64 v[117:118], v[109:110], v[189:190], v[117:118]
	ds_read_b128 v[107:110], v159 offset:1520
	v_add_f64 v[111:112], v[111:112], v[123:124]
	v_add_f64 v[113:114], v[113:114], v[119:120]
	s_waitcnt vmcnt(19) lgkmcnt(1)
	v_mul_f64 v[123:124], v[3:4], v[162:163]
	v_mul_f64 v[119:120], v[1:2], v[162:163]
	s_waitcnt vmcnt(17)
	v_fma_f64 v[133:134], v[5:6], v[125:126], -v[133:134]
	v_fma_f64 v[125:126], v[7:8], v[125:126], v[127:128]
	ds_read_b128 v[5:8], v159 offset:1536
	v_add_f64 v[111:112], v[111:112], v[139:140]
	v_add_f64 v[113:114], v[113:114], v[117:118]
	s_waitcnt vmcnt(13) lgkmcnt(1)
	v_mul_f64 v[117:118], v[107:108], v[115:116]
	v_mul_f64 v[115:116], v[109:110], v[115:116]
	s_waitcnt vmcnt(12)
	v_fma_f64 v[123:124], v[1:2], v[176:177], -v[123:124]
	;; [unrolled: 9-line block ×3, first 2 shown]
	v_fma_f64 v[109:110], v[109:110], v[131:132], v[117:118]
	v_add_f64 v[111:112], v[111:112], v[123:124]
	v_add_f64 v[113:114], v[113:114], v[119:120]
	s_waitcnt vmcnt(7) lgkmcnt(0)
	v_mul_f64 v[117:118], v[3:4], v[121:122]
	s_waitcnt vmcnt(6)
	v_fma_f64 v[5:6], v[5:6], v[174:175], -v[127:128]
	v_mul_f64 v[115:116], v[1:2], v[121:122]
	v_fma_f64 v[7:8], v[7:8], v[174:175], v[125:126]
	v_add_f64 v[107:108], v[111:112], v[107:108]
	v_add_f64 v[109:110], v[113:114], v[109:110]
	s_waitcnt vmcnt(4)
	v_fma_f64 v[1:2], v[1:2], v[129:130], -v[117:118]
	v_fma_f64 v[3:4], v[3:4], v[129:130], v[115:116]
	v_add_f64 v[5:6], v[107:108], v[5:6]
	v_add_f64 v[7:8], v[109:110], v[7:8]
	;; [unrolled: 1-line block ×4, first 2 shown]
	s_waitcnt vmcnt(2)
	v_add_f64 v[1:2], v[137:138], -v[1:2]
	s_waitcnt vmcnt(0)
	v_add_f64 v[3:4], v[143:144], -v[3:4]
	buffer_store_dword v2, off, s[0:3], 0 offset:84
	buffer_store_dword v1, off, s[0:3], 0 offset:80
	;; [unrolled: 1-line block ×4, first 2 shown]
	v_cmpx_lt_u32_e32 3, v0
	s_cbranch_execz .LBB112_301
; %bb.300:
	v_mov_b32_e32 v4, s58
	v_mov_b32_e32 v5, 0
	s_clause 0x3
	buffer_load_dword v1, v4, s[0:3], 0 offen
	buffer_load_dword v2, v4, s[0:3], 0 offen offset:4
	buffer_load_dword v3, v4, s[0:3], 0 offen offset:8
	;; [unrolled: 1-line block ×3, first 2 shown]
	buffer_store_dword v5, off, s[0:3], 0 offset:64
	buffer_store_dword v5, off, s[0:3], 0 offset:68
	buffer_store_dword v5, off, s[0:3], 0 offset:72
	buffer_store_dword v5, off, s[0:3], 0 offset:76
	s_waitcnt vmcnt(0)
	ds_write_b128 v167, v[1:4]
.LBB112_301:
	s_or_b32 exec_lo, exec_lo, s4
	s_waitcnt lgkmcnt(0)
	s_waitcnt_vscnt null, 0x0
	s_barrier
	buffer_gl0_inv
	s_clause 0x37
	buffer_load_dword v111, off, s[0:3], 0 offset:88
	buffer_load_dword v112, off, s[0:3], 0 offset:92
	;; [unrolled: 1-line block ×56, first 2 shown]
	v_mov_b32_e32 v168, 0
	s_mov_b32 s4, exec_lo
	ds_read_b128 v[163:166], v168 offset:848
	s_clause 0x2
	buffer_load_dword v160, off, s[0:3], 0 offset:316
	buffer_load_dword v162, off, s[0:3], 0 offset:292
	buffer_load_dword v161, off, s[0:3], 0 offset:288
	ds_read_b128 v[1:4], v168 offset:864
	s_clause 0x4
	buffer_load_dword v176, off, s[0:3], 0 offset:332
	buffer_load_dword v177, off, s[0:3], 0 offset:344
	;; [unrolled: 1-line block ×5, first 2 shown]
	ds_read_b128 v[169:172], v168 offset:880
	s_waitcnt vmcnt(62) lgkmcnt(2)
	v_mul_f64 v[173:174], v[165:166], v[111:112]
	v_mul_f64 v[111:112], v[163:164], v[111:112]
	s_waitcnt vmcnt(60) lgkmcnt(1)
	v_mul_f64 v[180:181], v[3:4], v[107:108]
	s_waitcnt vmcnt(56) lgkmcnt(0)
	v_mul_f64 v[182:183], v[169:170], v[7:8]
	v_mul_f64 v[7:8], v[171:172], v[7:8]
	v_fma_f64 v[163:164], v[163:164], v[109:110], -v[173:174]
	v_mul_f64 v[173:174], v[1:2], v[107:108]
	v_fma_f64 v[111:112], v[165:166], v[109:110], v[111:112]
	s_clause 0x2
	buffer_load_dword v178, off, s[0:3], 0 offset:348
	buffer_load_dword v166, off, s[0:3], 0 offset:324
	;; [unrolled: 1-line block ×3, first 2 shown]
	s_waitcnt vmcnt(57)
	v_fma_f64 v[184:185], v[1:2], v[5:6], -v[180:181]
	ds_read_b128 v[107:110], v168 offset:896
	s_waitcnt vmcnt(51)
	v_fma_f64 v[169:170], v[169:170], v[127:128], -v[7:8]
	v_fma_f64 v[127:128], v[171:172], v[127:128], v[182:183]
	v_add_f64 v[163:164], v[163:164], 0
	v_fma_f64 v[5:6], v[3:4], v[5:6], v[173:174]
	v_add_f64 v[111:112], v[111:112], 0
	s_clause 0x4
	buffer_load_dword v174, off, s[0:3], 0 offset:364
	buffer_load_dword v181, off, s[0:3], 0 offset:376
	;; [unrolled: 1-line block ×5, first 2 shown]
	s_waitcnt lgkmcnt(0)
	v_mul_f64 v[187:188], v[107:108], v[115:116]
	v_mul_f64 v[115:116], v[109:110], v[115:116]
	ds_read_b128 v[1:4], v168 offset:912
	s_clause 0x2
	buffer_load_dword v182, off, s[0:3], 0 offset:380
	buffer_load_dword v172, off, s[0:3], 0 offset:356
	;; [unrolled: 1-line block ×3, first 2 shown]
	v_add_f64 v[163:164], v[163:164], v[184:185]
	v_add_f64 v[111:112], v[111:112], v[5:6]
	ds_read_b128 v[5:8], v168 offset:928
	s_waitcnt vmcnt(58) lgkmcnt(1)
	v_mul_f64 v[183:184], v[1:2], v[119:120]
	v_mul_f64 v[119:120], v[3:4], v[119:120]
	s_waitcnt vmcnt(56)
	v_fma_f64 v[115:116], v[107:108], v[121:122], -v[115:116]
	v_fma_f64 v[121:122], v[109:110], v[121:122], v[187:188]
	v_add_f64 v[163:164], v[163:164], v[169:170]
	s_waitcnt vmcnt(52) lgkmcnt(0)
	v_mul_f64 v[189:190], v[5:6], v[123:124]
	v_add_f64 v[111:112], v[111:112], v[127:128]
	s_clause 0x4
	buffer_load_dword v128, off, s[0:3], 0 offset:396
	buffer_load_dword v169, off, s[0:3], 0 offset:408
	;; [unrolled: 1-line block ×5, first 2 shown]
	v_mul_f64 v[123:124], v[7:8], v[123:124]
	s_waitcnt vmcnt(56)
	v_fma_f64 v[119:120], v[1:2], v[113:114], -v[119:120]
	ds_read_b128 v[107:110], v168 offset:944
	v_fma_f64 v[113:114], v[3:4], v[113:114], v[183:184]
	v_add_f64 v[115:116], v[163:164], v[115:116]
	v_add_f64 v[111:112], v[111:112], v[121:122]
	s_clause 0x2
	buffer_load_dword v170, off, s[0:3], 0 offset:412
	buffer_load_dword v122, off, s[0:3], 0 offset:388
	;; [unrolled: 1-line block ×3, first 2 shown]
	s_waitcnt vmcnt(58) lgkmcnt(0)
	v_mul_f64 v[163:164], v[107:108], v[129:130]
	v_mul_f64 v[129:130], v[109:110], v[129:130]
	s_waitcnt vmcnt(56)
	v_fma_f64 v[123:124], v[5:6], v[131:132], -v[123:124]
	ds_read_b128 v[1:4], v168 offset:960
	v_add_f64 v[115:116], v[115:116], v[119:120]
	v_fma_f64 v[119:120], v[7:8], v[131:132], v[189:190]
	v_add_f64 v[111:112], v[111:112], v[113:114]
	s_clause 0x4
	buffer_load_dword v114, off, s[0:3], 0 offset:428
	buffer_load_dword v131, off, s[0:3], 0 offset:440
	;; [unrolled: 1-line block ×5, first 2 shown]
	ds_read_b128 v[5:8], v168 offset:976
	s_waitcnt vmcnt(57) lgkmcnt(1)
	v_mul_f64 v[184:185], v[1:2], v[133:134]
	v_mul_f64 v[133:134], v[3:4], v[133:134]
	s_waitcnt vmcnt(56)
	v_fma_f64 v[129:130], v[107:108], v[117:118], -v[129:130]
	v_fma_f64 v[117:118], v[109:110], v[117:118], v[163:164]
	v_add_f64 v[115:116], v[115:116], v[123:124]
	v_add_f64 v[111:112], v[111:112], v[119:120]
	s_clause 0x2
	buffer_load_dword v132, off, s[0:3], 0 offset:444
	buffer_load_dword v120, off, s[0:3], 0 offset:420
	;; [unrolled: 1-line block ×3, first 2 shown]
	s_waitcnt vmcnt(58) lgkmcnt(0)
	v_mul_f64 v[123:124], v[5:6], v[137:138]
	v_mul_f64 v[137:138], v[7:8], v[137:138]
	s_waitcnt vmcnt(56)
	v_fma_f64 v[133:134], v[1:2], v[139:140], -v[133:134]
	ds_read_b128 v[107:110], v168 offset:992
	v_add_f64 v[115:116], v[115:116], v[129:130]
	v_fma_f64 v[129:130], v[3:4], v[139:140], v[184:185]
	v_add_f64 v[111:112], v[111:112], v[117:118]
	s_clause 0x4
	buffer_load_dword v118, off, s[0:3], 0 offset:460
	buffer_load_dword v139, off, s[0:3], 0 offset:472
	buffer_load_dword v163, off, s[0:3], 0 offset:464
	buffer_load_dword v117, off, s[0:3], 0 offset:456
	buffer_load_dword v184, off, s[0:3], 0 offset:436
	ds_read_b128 v[1:4], v168 offset:1008
	s_waitcnt vmcnt(57) lgkmcnt(1)
	v_mul_f64 v[190:191], v[107:108], v[141:142]
	v_mul_f64 v[141:142], v[109:110], v[141:142]
	s_waitcnt vmcnt(56)
	v_fma_f64 v[137:138], v[5:6], v[125:126], -v[137:138]
	v_fma_f64 v[123:124], v[7:8], v[125:126], v[123:124]
	s_clause 0x2
	buffer_load_dword v140, off, s[0:3], 0 offset:476
	buffer_load_dword v126, off, s[0:3], 0 offset:452
	;; [unrolled: 1-line block ×3, first 2 shown]
	ds_read_b128 v[5:8], v168 offset:1024
	v_add_f64 v[115:116], v[115:116], v[133:134]
	v_add_f64 v[111:112], v[111:112], v[129:130]
	s_waitcnt vmcnt(58) lgkmcnt(1)
	v_mul_f64 v[133:134], v[3:4], v[145:146]
	v_mul_f64 v[129:130], v[1:2], v[145:146]
	s_waitcnt vmcnt(56)
	v_fma_f64 v[141:142], v[107:108], v[147:148], -v[141:142]
	v_add_f64 v[115:116], v[115:116], v[137:138]
	v_fma_f64 v[137:138], v[109:110], v[147:148], v[190:191]
	v_add_f64 v[111:112], v[111:112], v[123:124]
	s_clause 0x4
	buffer_load_dword v124, off, s[0:3], 0 offset:492
	buffer_load_dword v145, off, s[0:3], 0 offset:504
	;; [unrolled: 1-line block ×5, first 2 shown]
	s_waitcnt vmcnt(57) lgkmcnt(0)
	v_mul_f64 v[190:191], v[5:6], v[149:150]
	v_mul_f64 v[148:149], v[7:8], v[149:150]
	s_waitcnt vmcnt(56)
	v_fma_f64 v[133:134], v[1:2], v[135:136], -v[133:134]
	ds_read_b128 v[107:110], v168 offset:1040
	v_fma_f64 v[129:130], v[3:4], v[135:136], v[129:130]
	s_clause 0x2
	buffer_load_dword v146, off, s[0:3], 0 offset:508
	buffer_load_dword v136, off, s[0:3], 0 offset:484
	;; [unrolled: 1-line block ×3, first 2 shown]
	ds_read_b128 v[1:4], v168 offset:1056
	v_add_f64 v[115:116], v[115:116], v[141:142]
	v_add_f64 v[111:112], v[111:112], v[137:138]
	s_waitcnt vmcnt(58) lgkmcnt(1)
	v_mul_f64 v[141:142], v[109:110], v[153:154]
	s_waitcnt vmcnt(56)
	v_fma_f64 v[149:150], v[5:6], v[155:156], -v[148:149]
	v_mul_f64 v[137:138], v[107:108], v[153:154]
	v_add_f64 v[115:116], v[115:116], v[133:134]
	v_fma_f64 v[133:134], v[7:8], v[155:156], v[190:191]
	v_add_f64 v[111:112], v[111:112], v[129:130]
	s_clause 0x4
	buffer_load_dword v130, off, s[0:3], 0 offset:524
	buffer_load_dword v153, off, s[0:3], 0 offset:536
	;; [unrolled: 1-line block ×5, first 2 shown]
	s_waitcnt vmcnt(57) lgkmcnt(0)
	v_mul_f64 v[190:191], v[1:2], v[157:158]
	v_mul_f64 v[156:157], v[3:4], v[157:158]
	s_waitcnt vmcnt(56)
	v_fma_f64 v[141:142], v[107:108], v[143:144], -v[141:142]
	ds_read_b128 v[5:8], v168 offset:1072
	v_fma_f64 v[137:138], v[109:110], v[143:144], v[137:138]
	v_add_f64 v[115:116], v[115:116], v[149:150]
	v_add_f64 v[111:112], v[111:112], v[133:134]
	s_clause 0x2
	buffer_load_dword v154, off, s[0:3], 0 offset:540
	buffer_load_dword v134, off, s[0:3], 0 offset:516
	;; [unrolled: 1-line block ×3, first 2 shown]
	ds_read_b128 v[107:110], v168 offset:1088
	s_waitcnt vmcnt(58) lgkmcnt(1)
	v_mul_f64 v[149:150], v[7:8], v[159:160]
	s_waitcnt vmcnt(56)
	v_fma_f64 v[157:158], v[1:2], v[161:162], -v[156:157]
	v_mul_f64 v[143:144], v[5:6], v[159:160]
	v_add_f64 v[115:116], v[115:116], v[141:142]
	v_fma_f64 v[141:142], v[3:4], v[161:162], v[190:191]
	v_add_f64 v[111:112], v[111:112], v[137:138]
	s_clause 0x4
	buffer_load_dword v138, off, s[0:3], 0 offset:556
	buffer_load_dword v159, off, s[0:3], 0 offset:568
	buffer_load_dword v161, off, s[0:3], 0 offset:560
	buffer_load_dword v137, off, s[0:3], 0 offset:552
	buffer_load_dword v156, off, s[0:3], 0 offset:532
	s_waitcnt vmcnt(57) lgkmcnt(0)
	v_mul_f64 v[190:191], v[107:108], v[175:176]
	v_mul_f64 v[175:176], v[109:110], v[175:176]
	s_waitcnt vmcnt(56)
	v_fma_f64 v[149:150], v[5:6], v[151:152], -v[149:150]
	ds_read_b128 v[1:4], v168 offset:1104
	v_fma_f64 v[143:144], v[7:8], v[151:152], v[143:144]
	v_add_f64 v[115:116], v[115:116], v[157:158]
	v_add_f64 v[111:112], v[111:112], v[141:142]
	s_clause 0x2
	buffer_load_dword v160, off, s[0:3], 0 offset:572
	buffer_load_dword v142, off, s[0:3], 0 offset:548
	;; [unrolled: 1-line block ×3, first 2 shown]
	ds_read_b128 v[5:8], v168 offset:1120
	s_waitcnt vmcnt(58) lgkmcnt(1)
	v_mul_f64 v[157:158], v[3:4], v[177:178]
	v_mul_f64 v[151:152], v[1:2], v[177:178]
	s_waitcnt vmcnt(56)
	v_fma_f64 v[175:176], v[107:108], v[165:166], -v[175:176]
	v_add_f64 v[115:116], v[115:116], v[149:150]
	v_fma_f64 v[149:150], v[109:110], v[165:166], v[190:191]
	v_add_f64 v[111:112], v[111:112], v[143:144]
	s_clause 0x4
	buffer_load_dword v144, off, s[0:3], 0 offset:588
	buffer_load_dword v165, off, s[0:3], 0 offset:600
	;; [unrolled: 1-line block ×5, first 2 shown]
	ds_read_b128 v[107:110], v168 offset:1136
	s_waitcnt vmcnt(57) lgkmcnt(1)
	v_mul_f64 v[190:191], v[5:6], v[173:174]
	v_mul_f64 v[173:174], v[7:8], v[173:174]
	s_waitcnt vmcnt(56)
	v_fma_f64 v[157:158], v[1:2], v[179:180], -v[157:158]
	v_fma_f64 v[151:152], v[3:4], v[179:180], v[151:152]
	v_add_f64 v[115:116], v[115:116], v[175:176]
	v_add_f64 v[111:112], v[111:112], v[149:150]
	s_clause 0x2
	buffer_load_dword v166, off, s[0:3], 0 offset:604
	buffer_load_dword v150, off, s[0:3], 0 offset:580
	;; [unrolled: 1-line block ×3, first 2 shown]
	s_waitcnt vmcnt(58) lgkmcnt(0)
	v_mul_f64 v[179:180], v[109:110], v[181:182]
	ds_read_b128 v[1:4], v168 offset:1152
	v_mul_f64 v[175:176], v[107:108], v[181:182]
	s_waitcnt vmcnt(56)
	v_fma_f64 v[173:174], v[5:6], v[171:172], -v[173:174]
	v_add_f64 v[115:116], v[115:116], v[157:158]
	v_fma_f64 v[157:158], v[7:8], v[171:172], v[190:191]
	v_add_f64 v[111:112], v[111:112], v[151:152]
	s_clause 0x4
	buffer_load_dword v152, off, s[0:3], 0 offset:620
	buffer_load_dword v171, off, s[0:3], 0 offset:632
	;; [unrolled: 1-line block ×5, first 2 shown]
	ds_read_b128 v[5:8], v168 offset:1168
	s_waitcnt vmcnt(57) lgkmcnt(1)
	v_mul_f64 v[190:191], v[1:2], v[127:128]
	v_mul_f64 v[127:128], v[3:4], v[127:128]
	s_waitcnt vmcnt(56)
	v_fma_f64 v[179:180], v[107:108], v[186:187], -v[179:180]
	v_add_f64 v[115:116], v[115:116], v[173:174]
	v_fma_f64 v[173:174], v[109:110], v[186:187], v[175:176]
	v_add_f64 v[111:112], v[111:112], v[157:158]
	s_clause 0x2
	buffer_load_dword v172, off, s[0:3], 0 offset:636
	buffer_load_dword v158, off, s[0:3], 0 offset:612
	;; [unrolled: 1-line block ×3, first 2 shown]
	ds_read_b128 v[107:110], v168 offset:1184
	s_waitcnt vmcnt(58) lgkmcnt(1)
	v_mul_f64 v[175:176], v[5:6], v[169:170]
	v_mul_f64 v[169:170], v[7:8], v[169:170]
	s_waitcnt vmcnt(56)
	v_fma_f64 v[127:128], v[1:2], v[121:122], -v[127:128]
	v_fma_f64 v[121:122], v[3:4], v[121:122], v[190:191]
	v_add_f64 v[115:116], v[115:116], v[179:180]
	v_add_f64 v[111:112], v[111:112], v[173:174]
	s_clause 0x4
	buffer_load_dword v174, off, s[0:3], 0 offset:652
	buffer_load_dword v179, off, s[0:3], 0 offset:664
	;; [unrolled: 1-line block ×5, first 2 shown]
	ds_read_b128 v[1:4], v168 offset:1200
	s_waitcnt vmcnt(57) lgkmcnt(1)
	v_mul_f64 v[186:187], v[107:108], v[113:114]
	v_mul_f64 v[113:114], v[109:110], v[113:114]
	s_waitcnt vmcnt(56)
	v_fma_f64 v[169:170], v[5:6], v[188:189], -v[169:170]
	v_add_f64 v[115:116], v[115:116], v[127:128]
	v_fma_f64 v[127:128], v[7:8], v[188:189], v[175:176]
	v_add_f64 v[111:112], v[111:112], v[121:122]
	s_clause 0x2
	buffer_load_dword v180, off, s[0:3], 0 offset:668
	buffer_load_dword v122, off, s[0:3], 0 offset:644
	;; [unrolled: 1-line block ×3, first 2 shown]
	ds_read_b128 v[5:8], v168 offset:1216
	s_waitcnt vmcnt(58) lgkmcnt(1)
	v_mul_f64 v[175:176], v[1:2], v[131:132]
	v_mul_f64 v[131:132], v[3:4], v[131:132]
	s_waitcnt vmcnt(56)
	v_fma_f64 v[113:114], v[107:108], v[119:120], -v[113:114]
	v_fma_f64 v[119:120], v[109:110], v[119:120], v[186:187]
	v_add_f64 v[115:116], v[115:116], v[169:170]
	v_add_f64 v[111:112], v[111:112], v[127:128]
	s_clause 0x4
	buffer_load_dword v128, off, s[0:3], 0 offset:684
	buffer_load_dword v169, off, s[0:3], 0 offset:696
	;; [unrolled: 1-line block ×5, first 2 shown]
	ds_read_b128 v[107:110], v168 offset:1232
	s_waitcnt vmcnt(57) lgkmcnt(1)
	v_mul_f64 v[188:189], v[5:6], v[117:118]
	v_mul_f64 v[117:118], v[7:8], v[117:118]
	s_waitcnt vmcnt(56)
	v_fma_f64 v[131:132], v[1:2], v[183:184], -v[131:132]
	v_add_f64 v[113:114], v[115:116], v[113:114]
	v_fma_f64 v[115:116], v[3:4], v[183:184], v[175:176]
	v_add_f64 v[111:112], v[111:112], v[119:120]
	s_clause 0x2
	buffer_load_dword v170, off, s[0:3], 0 offset:700
	buffer_load_dword v120, off, s[0:3], 0 offset:676
	;; [unrolled: 1-line block ×3, first 2 shown]
	s_waitcnt vmcnt(58) lgkmcnt(0)
	v_mul_f64 v[175:176], v[107:108], v[139:140]
	v_mul_f64 v[139:140], v[109:110], v[139:140]
	ds_read_b128 v[1:4], v168 offset:1248
	s_waitcnt vmcnt(56)
	v_fma_f64 v[117:118], v[5:6], v[125:126], -v[117:118]
	v_fma_f64 v[125:126], v[7:8], v[125:126], v[188:189]
	v_add_f64 v[113:114], v[113:114], v[131:132]
	v_add_f64 v[111:112], v[111:112], v[115:116]
	s_clause 0x4
	buffer_load_dword v116, off, s[0:3], 0 offset:716
	buffer_load_dword v131, off, s[0:3], 0 offset:728
	;; [unrolled: 1-line block ×5, first 2 shown]
	ds_read_b128 v[5:8], v168 offset:1264
	s_waitcnt vmcnt(57) lgkmcnt(1)
	v_mul_f64 v[189:190], v[1:2], v[123:124]
	v_mul_f64 v[123:124], v[3:4], v[123:124]
	s_waitcnt vmcnt(56)
	v_fma_f64 v[139:140], v[107:108], v[163:164], -v[139:140]
	v_add_f64 v[113:114], v[113:114], v[117:118]
	v_fma_f64 v[117:118], v[109:110], v[163:164], v[175:176]
	v_add_f64 v[111:112], v[111:112], v[125:126]
	s_clause 0x2
	buffer_load_dword v132, off, s[0:3], 0 offset:732
	buffer_load_dword v126, off, s[0:3], 0 offset:708
	buffer_load_dword v125, off, s[0:3], 0 offset:704
	s_waitcnt vmcnt(58) lgkmcnt(0)
	v_mul_f64 v[163:164], v[5:6], v[145:146]
	v_mul_f64 v[145:146], v[7:8], v[145:146]
	ds_read_b128 v[107:110], v168 offset:1280
	s_waitcnt vmcnt(56)
	v_fma_f64 v[123:124], v[1:2], v[135:136], -v[123:124]
	v_fma_f64 v[135:136], v[3:4], v[135:136], v[189:190]
	v_add_f64 v[113:114], v[113:114], v[139:140]
	v_add_f64 v[111:112], v[111:112], v[117:118]
	s_clause 0x4
	buffer_load_dword v118, off, s[0:3], 0 offset:748
	buffer_load_dword v139, off, s[0:3], 0 offset:760
	;; [unrolled: 1-line block ×5, first 2 shown]
	ds_read_b128 v[1:4], v168 offset:1296
	s_waitcnt vmcnt(57) lgkmcnt(1)
	v_mul_f64 v[189:190], v[107:108], v[129:130]
	v_mul_f64 v[129:130], v[109:110], v[129:130]
	s_waitcnt vmcnt(56)
	v_fma_f64 v[145:146], v[5:6], v[147:148], -v[145:146]
	v_add_f64 v[113:114], v[113:114], v[123:124]
	v_fma_f64 v[123:124], v[7:8], v[147:148], v[163:164]
	v_add_f64 v[111:112], v[111:112], v[135:136]
	s_clause 0x2
	buffer_load_dword v140, off, s[0:3], 0 offset:764
	buffer_load_dword v136, off, s[0:3], 0 offset:740
	buffer_load_dword v135, off, s[0:3], 0 offset:736
	ds_read_b128 v[5:8], v168 offset:1312
	s_waitcnt vmcnt(58) lgkmcnt(1)
	v_mul_f64 v[147:148], v[1:2], v[153:154]
	v_mul_f64 v[153:154], v[3:4], v[153:154]
	s_waitcnt vmcnt(56)
	v_fma_f64 v[129:130], v[107:108], v[133:134], -v[129:130]
	v_fma_f64 v[133:134], v[109:110], v[133:134], v[189:190]
	v_add_f64 v[113:114], v[113:114], v[145:146]
	v_add_f64 v[111:112], v[111:112], v[123:124]
	s_clause 0x4
	buffer_load_dword v124, off, s[0:3], 0 offset:780
	buffer_load_dword v145, off, s[0:3], 0 offset:792
	;; [unrolled: 1-line block ×5, first 2 shown]
	ds_read_b128 v[107:110], v168 offset:1328
	s_waitcnt vmcnt(57) lgkmcnt(1)
	v_mul_f64 v[189:190], v[5:6], v[137:138]
	v_mul_f64 v[137:138], v[7:8], v[137:138]
	s_waitcnt vmcnt(56)
	v_fma_f64 v[153:154], v[1:2], v[155:156], -v[153:154]
	v_add_f64 v[113:114], v[113:114], v[129:130]
	v_fma_f64 v[129:130], v[3:4], v[155:156], v[147:148]
	v_add_f64 v[111:112], v[111:112], v[133:134]
	s_clause 0x2
	buffer_load_dword v146, off, s[0:3], 0 offset:796
	buffer_load_dword v134, off, s[0:3], 0 offset:772
	;; [unrolled: 1-line block ×3, first 2 shown]
	ds_read_b128 v[1:4], v168 offset:1344
	buffer_load_dword v164, off, s[0:3], 0 offset:788
	s_waitcnt vmcnt(59) lgkmcnt(1)
	v_mul_f64 v[155:156], v[109:110], v[159:160]
	v_mul_f64 v[147:148], v[107:108], v[159:160]
	s_waitcnt vmcnt(57)
	v_fma_f64 v[137:138], v[5:6], v[141:142], -v[137:138]
	v_fma_f64 v[141:142], v[7:8], v[141:142], v[189:190]
	ds_read_b128 v[5:8], v168 offset:1360
	v_add_f64 v[113:114], v[113:114], v[153:154]
	v_add_f64 v[111:112], v[111:112], v[129:130]
	s_waitcnt vmcnt(53) lgkmcnt(1)
	v_mul_f64 v[129:130], v[1:2], v[143:144]
	v_mul_f64 v[143:144], v[3:4], v[143:144]
	s_waitcnt vmcnt(52)
	v_fma_f64 v[153:154], v[107:108], v[161:162], -v[155:156]
	v_add_f64 v[113:114], v[113:114], v[137:138]
	v_fma_f64 v[137:138], v[109:110], v[161:162], v[147:148]
	v_add_f64 v[111:112], v[111:112], v[141:142]
	ds_read_b128 v[107:110], v168 offset:1376
	s_waitcnt vmcnt(51) lgkmcnt(1)
	v_mul_f64 v[147:148], v[7:8], v[165:166]
	v_mul_f64 v[141:142], v[5:6], v[165:166]
	s_waitcnt vmcnt(49)
	v_fma_f64 v[143:144], v[1:2], v[149:150], -v[143:144]
	v_fma_f64 v[129:130], v[3:4], v[149:150], v[129:130]
	v_add_f64 v[113:114], v[113:114], v[153:154]
	v_add_f64 v[111:112], v[111:112], v[137:138]
	s_clause 0x3
	buffer_load_dword v137, off, s[0:3], 0 offset:64
	buffer_load_dword v138, off, s[0:3], 0 offset:68
	;; [unrolled: 1-line block ×4, first 2 shown]
	ds_read_b128 v[1:4], v168 offset:1392
	s_waitcnt vmcnt(49) lgkmcnt(1)
	v_mul_f64 v[153:154], v[107:108], v[151:152]
	v_mul_f64 v[151:152], v[109:110], v[151:152]
	s_waitcnt vmcnt(48)
	v_fma_f64 v[147:148], v[5:6], v[177:178], -v[147:148]
	v_fma_f64 v[141:142], v[7:8], v[177:178], v[141:142]
	ds_read_b128 v[5:8], v168 offset:1408
	v_add_f64 v[113:114], v[113:114], v[143:144]
	v_add_f64 v[111:112], v[111:112], v[129:130]
	s_waitcnt vmcnt(47) lgkmcnt(1)
	v_mul_f64 v[143:144], v[3:4], v[171:172]
	v_mul_f64 v[129:130], v[1:2], v[171:172]
	s_waitcnt vmcnt(45)
	v_fma_f64 v[151:152], v[107:108], v[157:158], -v[151:152]
	v_add_f64 v[113:114], v[113:114], v[147:148]
	v_fma_f64 v[147:148], v[109:110], v[157:158], v[153:154]
	v_add_f64 v[111:112], v[111:112], v[141:142]
	ds_read_b128 v[107:110], v168 offset:1424
	s_waitcnt vmcnt(41) lgkmcnt(1)
	v_mul_f64 v[153:154], v[7:8], v[173:174]
	s_waitcnt vmcnt(40)
	v_fma_f64 v[143:144], v[1:2], v[181:182], -v[143:144]
	v_mul_f64 v[141:142], v[5:6], v[173:174]
	v_fma_f64 v[129:130], v[3:4], v[181:182], v[129:130]
	ds_read_b128 v[1:4], v168 offset:1440
	v_add_f64 v[113:114], v[113:114], v[151:152]
	v_add_f64 v[111:112], v[111:112], v[147:148]
	s_waitcnt vmcnt(39) lgkmcnt(1)
	v_mul_f64 v[151:152], v[109:110], v[179:180]
	v_mul_f64 v[147:148], v[107:108], v[179:180]
	s_waitcnt vmcnt(37)
	v_fma_f64 v[153:154], v[5:6], v[121:122], -v[153:154]
	v_fma_f64 v[121:122], v[7:8], v[121:122], v[141:142]
	ds_read_b128 v[5:8], v168 offset:1456
	v_add_f64 v[113:114], v[113:114], v[143:144]
	v_add_f64 v[111:112], v[111:112], v[129:130]
	s_waitcnt vmcnt(33) lgkmcnt(1)
	v_mul_f64 v[129:130], v[1:2], v[127:128]
	v_mul_f64 v[127:128], v[3:4], v[127:128]
	s_waitcnt vmcnt(32)
	v_fma_f64 v[141:142], v[107:108], v[185:186], -v[151:152]
	;; [unrolled: 9-line block ×6, first 2 shown]
	v_add_f64 v[113:114], v[113:114], v[115:116]
	v_fma_f64 v[115:116], v[3:4], v[183:184], v[119:120]
	v_add_f64 v[111:112], v[111:112], v[125:126]
	ds_read_b128 v[1:4], v168 offset:1536
	s_waitcnt vmcnt(15) lgkmcnt(1)
	v_mul_f64 v[125:126], v[109:110], v[139:140]
	v_mul_f64 v[119:120], v[107:108], v[139:140]
	s_waitcnt vmcnt(13)
	v_fma_f64 v[117:118], v[5:6], v[135:136], -v[117:118]
	v_fma_f64 v[121:122], v[7:8], v[135:136], v[121:122]
	ds_read_b128 v[5:8], v168 offset:1552
	v_add_f64 v[113:114], v[113:114], v[127:128]
	v_add_f64 v[111:112], v[111:112], v[115:116]
	s_waitcnt vmcnt(9) lgkmcnt(1)
	v_mul_f64 v[115:116], v[1:2], v[123:124]
	v_mul_f64 v[123:124], v[3:4], v[123:124]
	s_waitcnt vmcnt(8)
	v_fma_f64 v[107:108], v[107:108], v[175:176], -v[125:126]
	v_fma_f64 v[109:110], v[109:110], v[175:176], v[119:120]
	v_add_f64 v[113:114], v[113:114], v[117:118]
	v_add_f64 v[111:112], v[111:112], v[121:122]
	s_waitcnt vmcnt(7) lgkmcnt(0)
	v_mul_f64 v[119:120], v[7:8], v[145:146]
	v_mul_f64 v[117:118], v[5:6], v[145:146]
	s_waitcnt vmcnt(5)
	v_fma_f64 v[1:2], v[1:2], v[133:134], -v[123:124]
	v_fma_f64 v[3:4], v[3:4], v[133:134], v[115:116]
	v_add_f64 v[107:108], v[113:114], v[107:108]
	v_add_f64 v[109:110], v[111:112], v[109:110]
	s_waitcnt vmcnt(4)
	v_fma_f64 v[5:6], v[5:6], v[163:164], -v[119:120]
	v_fma_f64 v[7:8], v[7:8], v[163:164], v[117:118]
	v_add_f64 v[1:2], v[107:108], v[1:2]
	v_add_f64 v[3:4], v[109:110], v[3:4]
	;; [unrolled: 1-line block ×4, first 2 shown]
	s_waitcnt vmcnt(2)
	v_add_f64 v[1:2], v[137:138], -v[1:2]
	s_waitcnt vmcnt(0)
	v_add_f64 v[3:4], v[149:150], -v[3:4]
	buffer_store_dword v2, off, s[0:3], 0 offset:68
	buffer_store_dword v1, off, s[0:3], 0 offset:64
	;; [unrolled: 1-line block ×4, first 2 shown]
	v_cmpx_lt_u32_e32 2, v0
	s_cbranch_execz .LBB112_303
; %bb.302:
	v_mov_b32_e32 v4, s59
	s_clause 0x3
	buffer_load_dword v1, v4, s[0:3], 0 offen
	buffer_load_dword v2, v4, s[0:3], 0 offen offset:4
	buffer_load_dword v3, v4, s[0:3], 0 offen offset:8
	buffer_load_dword v4, v4, s[0:3], 0 offen offset:12
	buffer_store_dword v168, off, s[0:3], 0 offset:48
	buffer_store_dword v168, off, s[0:3], 0 offset:52
	;; [unrolled: 1-line block ×4, first 2 shown]
	s_waitcnt vmcnt(0)
	ds_write_b128 v167, v[1:4]
.LBB112_303:
	s_or_b32 exec_lo, exec_lo, s4
	s_waitcnt lgkmcnt(0)
	s_waitcnt_vscnt null, 0x0
	s_barrier
	buffer_gl0_inv
	s_clause 0x37
	buffer_load_dword v115, off, s[0:3], 0 offset:72
	buffer_load_dword v116, off, s[0:3], 0 offset:76
	;; [unrolled: 1-line block ×56, first 2 shown]
	ds_read_b128 v[5:8], v168 offset:832
	s_clause 0x2
	buffer_load_dword v164, off, s[0:3], 0 offset:300
	buffer_load_dword v166, off, s[0:3], 0 offset:276
	;; [unrolled: 1-line block ×3, first 2 shown]
	ds_read_b128 v[1:4], v168 offset:848
	s_clause 0x4
	buffer_load_dword v176, off, s[0:3], 0 offset:316
	buffer_load_dword v177, off, s[0:3], 0 offset:328
	;; [unrolled: 1-line block ×5, first 2 shown]
	ds_read_b128 v[169:172], v168 offset:864
	s_mov_b32 s4, exec_lo
	s_waitcnt vmcnt(62) lgkmcnt(2)
	v_mul_f64 v[173:174], v[7:8], v[115:116]
	v_mul_f64 v[115:116], v[5:6], v[115:116]
	s_waitcnt vmcnt(60) lgkmcnt(1)
	v_mul_f64 v[180:181], v[3:4], v[111:112]
	v_mul_f64 v[111:112], v[1:2], v[111:112]
	;; [unrolled: 3-line block ×3, first 2 shown]
	v_fma_f64 v[173:174], v[5:6], v[113:114], -v[173:174]
	v_fma_f64 v[113:114], v[7:8], v[113:114], v[115:116]
	s_clause 0x2
	buffer_load_dword v178, off, s[0:3], 0 offset:332
	buffer_load_dword v116, off, s[0:3], 0 offset:308
	;; [unrolled: 1-line block ×3, first 2 shown]
	s_waitcnt vmcnt(57)
	v_fma_f64 v[184:185], v[1:2], v[107:108], -v[180:181]
	ds_read_b128 v[5:8], v168 offset:880
	v_fma_f64 v[107:108], v[3:4], v[107:108], v[111:112]
	s_waitcnt vmcnt(51)
	v_fma_f64 v[169:170], v[169:170], v[131:132], -v[109:110]
	v_fma_f64 v[131:132], v[171:172], v[131:132], v[182:183]
	v_add_f64 v[173:174], v[173:174], 0
	v_add_f64 v[111:112], v[113:114], 0
	s_clause 0x4
	buffer_load_dword v114, off, s[0:3], 0 offset:348
	buffer_load_dword v181, off, s[0:3], 0 offset:360
	;; [unrolled: 1-line block ×5, first 2 shown]
	s_waitcnt lgkmcnt(0)
	v_mul_f64 v[187:188], v[5:6], v[119:120]
	v_mul_f64 v[119:120], v[7:8], v[119:120]
	ds_read_b128 v[1:4], v168 offset:896
	s_clause 0x2
	buffer_load_dword v182, off, s[0:3], 0 offset:364
	buffer_load_dword v172, off, s[0:3], 0 offset:340
	;; [unrolled: 1-line block ×3, first 2 shown]
	v_add_f64 v[173:174], v[173:174], v[184:185]
	v_add_f64 v[111:112], v[111:112], v[107:108]
	ds_read_b128 v[107:110], v168 offset:912
	s_waitcnt vmcnt(58) lgkmcnt(1)
	v_mul_f64 v[183:184], v[1:2], v[123:124]
	v_mul_f64 v[123:124], v[3:4], v[123:124]
	s_waitcnt vmcnt(56)
	v_fma_f64 v[119:120], v[5:6], v[125:126], -v[119:120]
	v_fma_f64 v[125:126], v[7:8], v[125:126], v[187:188]
	s_waitcnt vmcnt(52) lgkmcnt(0)
	v_mul_f64 v[189:190], v[107:108], v[127:128]
	v_add_f64 v[169:170], v[173:174], v[169:170]
	v_add_f64 v[111:112], v[111:112], v[131:132]
	s_clause 0x4
	buffer_load_dword v132, off, s[0:3], 0 offset:380
	buffer_load_dword v173, off, s[0:3], 0 offset:392
	;; [unrolled: 1-line block ×5, first 2 shown]
	v_mul_f64 v[127:128], v[109:110], v[127:128]
	s_waitcnt vmcnt(56)
	v_fma_f64 v[123:124], v[1:2], v[117:118], -v[123:124]
	ds_read_b128 v[5:8], v168 offset:928
	v_fma_f64 v[117:118], v[3:4], v[117:118], v[183:184]
	v_add_f64 v[119:120], v[169:170], v[119:120]
	v_add_f64 v[111:112], v[111:112], v[125:126]
	s_clause 0x2
	buffer_load_dword v174, off, s[0:3], 0 offset:396
	buffer_load_dword v126, off, s[0:3], 0 offset:372
	;; [unrolled: 1-line block ×3, first 2 shown]
	s_waitcnt vmcnt(58) lgkmcnt(0)
	v_mul_f64 v[169:170], v[5:6], v[133:134]
	v_mul_f64 v[133:134], v[7:8], v[133:134]
	s_waitcnt vmcnt(56)
	v_fma_f64 v[127:128], v[107:108], v[135:136], -v[127:128]
	ds_read_b128 v[1:4], v168 offset:944
	v_add_f64 v[119:120], v[119:120], v[123:124]
	v_fma_f64 v[123:124], v[109:110], v[135:136], v[189:190]
	v_add_f64 v[111:112], v[111:112], v[117:118]
	s_clause 0x4
	buffer_load_dword v118, off, s[0:3], 0 offset:412
	buffer_load_dword v135, off, s[0:3], 0 offset:424
	;; [unrolled: 1-line block ×5, first 2 shown]
	s_waitcnt vmcnt(57) lgkmcnt(0)
	v_mul_f64 v[184:185], v[1:2], v[137:138]
	v_mul_f64 v[137:138], v[3:4], v[137:138]
	s_waitcnt vmcnt(56)
	v_fma_f64 v[133:134], v[5:6], v[121:122], -v[133:134]
	ds_read_b128 v[107:110], v168 offset:960
	v_fma_f64 v[121:122], v[7:8], v[121:122], v[169:170]
	v_add_f64 v[119:120], v[119:120], v[127:128]
	v_add_f64 v[111:112], v[111:112], v[123:124]
	s_clause 0x2
	buffer_load_dword v136, off, s[0:3], 0 offset:428
	buffer_load_dword v124, off, s[0:3], 0 offset:404
	buffer_load_dword v123, off, s[0:3], 0 offset:400
	ds_read_b128 v[5:8], v168 offset:976
	s_waitcnt vmcnt(58) lgkmcnt(1)
	v_mul_f64 v[127:128], v[107:108], v[141:142]
	v_mul_f64 v[141:142], v[109:110], v[141:142]
	s_waitcnt vmcnt(56)
	v_fma_f64 v[137:138], v[1:2], v[143:144], -v[137:138]
	v_add_f64 v[119:120], v[119:120], v[133:134]
	v_fma_f64 v[133:134], v[3:4], v[143:144], v[184:185]
	v_add_f64 v[111:112], v[111:112], v[121:122]
	s_clause 0x4
	buffer_load_dword v122, off, s[0:3], 0 offset:444
	buffer_load_dword v143, off, s[0:3], 0 offset:456
	;; [unrolled: 1-line block ×5, first 2 shown]
	s_waitcnt vmcnt(57) lgkmcnt(0)
	v_mul_f64 v[190:191], v[5:6], v[145:146]
	v_mul_f64 v[145:146], v[7:8], v[145:146]
	s_waitcnt vmcnt(56)
	v_fma_f64 v[141:142], v[107:108], v[129:130], -v[141:142]
	ds_read_b128 v[1:4], v168 offset:992
	v_fma_f64 v[127:128], v[109:110], v[129:130], v[127:128]
	s_clause 0x2
	buffer_load_dword v144, off, s[0:3], 0 offset:460
	buffer_load_dword v130, off, s[0:3], 0 offset:436
	buffer_load_dword v129, off, s[0:3], 0 offset:432
	ds_read_b128 v[107:110], v168 offset:1008
	v_add_f64 v[119:120], v[119:120], v[137:138]
	v_add_f64 v[111:112], v[111:112], v[133:134]
	s_waitcnt vmcnt(58) lgkmcnt(1)
	v_mul_f64 v[137:138], v[3:4], v[149:150]
	s_waitcnt vmcnt(56)
	v_fma_f64 v[145:146], v[5:6], v[151:152], -v[145:146]
	v_mul_f64 v[133:134], v[1:2], v[149:150]
	v_add_f64 v[119:120], v[119:120], v[141:142]
	v_fma_f64 v[141:142], v[7:8], v[151:152], v[190:191]
	v_add_f64 v[111:112], v[111:112], v[127:128]
	s_clause 0x4
	buffer_load_dword v128, off, s[0:3], 0 offset:476
	buffer_load_dword v149, off, s[0:3], 0 offset:488
	;; [unrolled: 1-line block ×5, first 2 shown]
	s_waitcnt vmcnt(57) lgkmcnt(0)
	v_mul_f64 v[190:191], v[107:108], v[153:154]
	v_mul_f64 v[152:153], v[109:110], v[153:154]
	s_waitcnt vmcnt(56)
	v_fma_f64 v[137:138], v[1:2], v[139:140], -v[137:138]
	ds_read_b128 v[5:8], v168 offset:1024
	v_fma_f64 v[133:134], v[3:4], v[139:140], v[133:134]
	s_clause 0x2
	buffer_load_dword v150, off, s[0:3], 0 offset:492
	buffer_load_dword v140, off, s[0:3], 0 offset:468
	;; [unrolled: 1-line block ×3, first 2 shown]
	ds_read_b128 v[1:4], v168 offset:1040
	v_add_f64 v[119:120], v[119:120], v[145:146]
	v_add_f64 v[111:112], v[111:112], v[141:142]
	s_waitcnt vmcnt(58) lgkmcnt(1)
	v_mul_f64 v[145:146], v[7:8], v[157:158]
	s_waitcnt vmcnt(56)
	v_fma_f64 v[153:154], v[107:108], v[159:160], -v[152:153]
	v_mul_f64 v[141:142], v[5:6], v[157:158]
	v_add_f64 v[119:120], v[119:120], v[137:138]
	v_fma_f64 v[137:138], v[109:110], v[159:160], v[190:191]
	v_add_f64 v[111:112], v[111:112], v[133:134]
	s_clause 0x4
	buffer_load_dword v134, off, s[0:3], 0 offset:508
	buffer_load_dword v157, off, s[0:3], 0 offset:520
	;; [unrolled: 1-line block ×5, first 2 shown]
	s_waitcnt vmcnt(57) lgkmcnt(0)
	v_mul_f64 v[190:191], v[1:2], v[161:162]
	v_mul_f64 v[160:161], v[3:4], v[161:162]
	s_waitcnt vmcnt(56)
	v_fma_f64 v[145:146], v[5:6], v[147:148], -v[145:146]
	ds_read_b128 v[107:110], v168 offset:1056
	v_fma_f64 v[141:142], v[7:8], v[147:148], v[141:142]
	v_add_f64 v[119:120], v[119:120], v[153:154]
	v_add_f64 v[111:112], v[111:112], v[137:138]
	s_clause 0x2
	buffer_load_dword v158, off, s[0:3], 0 offset:524
	buffer_load_dword v138, off, s[0:3], 0 offset:500
	;; [unrolled: 1-line block ×3, first 2 shown]
	ds_read_b128 v[5:8], v168 offset:1072
	s_waitcnt vmcnt(58) lgkmcnt(1)
	v_mul_f64 v[153:154], v[109:110], v[163:164]
	s_waitcnt vmcnt(56)
	v_fma_f64 v[161:162], v[1:2], v[165:166], -v[160:161]
	v_mul_f64 v[147:148], v[107:108], v[163:164]
	v_add_f64 v[119:120], v[119:120], v[145:146]
	v_fma_f64 v[145:146], v[3:4], v[165:166], v[190:191]
	v_add_f64 v[111:112], v[111:112], v[141:142]
	s_clause 0x4
	buffer_load_dword v142, off, s[0:3], 0 offset:540
	buffer_load_dword v163, off, s[0:3], 0 offset:552
	;; [unrolled: 1-line block ×5, first 2 shown]
	s_waitcnt vmcnt(57) lgkmcnt(0)
	v_mul_f64 v[190:191], v[5:6], v[175:176]
	v_mul_f64 v[175:176], v[7:8], v[175:176]
	s_waitcnt vmcnt(56)
	v_fma_f64 v[153:154], v[107:108], v[155:156], -v[153:154]
	ds_read_b128 v[1:4], v168 offset:1088
	v_fma_f64 v[147:148], v[109:110], v[155:156], v[147:148]
	v_add_f64 v[119:120], v[119:120], v[161:162]
	v_add_f64 v[111:112], v[111:112], v[145:146]
	s_clause 0x2
	buffer_load_dword v164, off, s[0:3], 0 offset:556
	buffer_load_dword v146, off, s[0:3], 0 offset:532
	;; [unrolled: 1-line block ×3, first 2 shown]
	ds_read_b128 v[107:110], v168 offset:1104
	s_waitcnt vmcnt(58) lgkmcnt(1)
	v_mul_f64 v[161:162], v[3:4], v[177:178]
	v_mul_f64 v[155:156], v[1:2], v[177:178]
	s_waitcnt vmcnt(56)
	v_fma_f64 v[175:176], v[5:6], v[115:116], -v[175:176]
	v_fma_f64 v[115:116], v[7:8], v[115:116], v[190:191]
	v_add_f64 v[119:120], v[119:120], v[153:154]
	v_add_f64 v[111:112], v[111:112], v[147:148]
	s_clause 0x4
	buffer_load_dword v148, off, s[0:3], 0 offset:572
	buffer_load_dword v153, off, s[0:3], 0 offset:584
	;; [unrolled: 1-line block ×5, first 2 shown]
	ds_read_b128 v[5:8], v168 offset:1120
	s_waitcnt vmcnt(57) lgkmcnt(1)
	v_mul_f64 v[190:191], v[107:108], v[113:114]
	v_mul_f64 v[113:114], v[109:110], v[113:114]
	s_waitcnt vmcnt(56)
	v_fma_f64 v[161:162], v[1:2], v[179:180], -v[161:162]
	v_fma_f64 v[155:156], v[3:4], v[179:180], v[155:156]
	v_add_f64 v[119:120], v[119:120], v[175:176]
	v_add_f64 v[111:112], v[111:112], v[115:116]
	s_clause 0x2
	buffer_load_dword v154, off, s[0:3], 0 offset:588
	buffer_load_dword v116, off, s[0:3], 0 offset:564
	;; [unrolled: 1-line block ×3, first 2 shown]
	s_waitcnt vmcnt(58) lgkmcnt(0)
	v_mul_f64 v[179:180], v[7:8], v[181:182]
	ds_read_b128 v[1:4], v168 offset:1136
	v_mul_f64 v[175:176], v[5:6], v[181:182]
	s_waitcnt vmcnt(56)
	v_fma_f64 v[113:114], v[107:108], v[171:172], -v[113:114]
	v_add_f64 v[119:120], v[119:120], v[161:162]
	v_fma_f64 v[161:162], v[109:110], v[171:172], v[190:191]
	v_add_f64 v[111:112], v[111:112], v[155:156]
	s_clause 0x4
	buffer_load_dword v156, off, s[0:3], 0 offset:604
	buffer_load_dword v171, off, s[0:3], 0 offset:616
	;; [unrolled: 1-line block ×5, first 2 shown]
	ds_read_b128 v[107:110], v168 offset:1152
	s_waitcnt vmcnt(57) lgkmcnt(1)
	v_mul_f64 v[190:191], v[1:2], v[131:132]
	v_mul_f64 v[131:132], v[3:4], v[131:132]
	s_waitcnt vmcnt(56)
	v_fma_f64 v[179:180], v[5:6], v[186:187], -v[179:180]
	v_add_f64 v[113:114], v[119:120], v[113:114]
	v_fma_f64 v[119:120], v[7:8], v[186:187], v[175:176]
	v_add_f64 v[111:112], v[111:112], v[161:162]
	s_clause 0x2
	buffer_load_dword v172, off, s[0:3], 0 offset:620
	buffer_load_dword v162, off, s[0:3], 0 offset:596
	;; [unrolled: 1-line block ×3, first 2 shown]
	ds_read_b128 v[5:8], v168 offset:1168
	s_waitcnt vmcnt(58) lgkmcnt(1)
	v_mul_f64 v[175:176], v[107:108], v[173:174]
	v_mul_f64 v[173:174], v[109:110], v[173:174]
	s_waitcnt vmcnt(56)
	v_fma_f64 v[131:132], v[1:2], v[125:126], -v[131:132]
	v_fma_f64 v[125:126], v[3:4], v[125:126], v[190:191]
	v_add_f64 v[113:114], v[113:114], v[179:180]
	v_add_f64 v[111:112], v[111:112], v[119:120]
	s_clause 0x4
	buffer_load_dword v120, off, s[0:3], 0 offset:636
	buffer_load_dword v179, off, s[0:3], 0 offset:648
	;; [unrolled: 1-line block ×5, first 2 shown]
	ds_read_b128 v[1:4], v168 offset:1184
	s_waitcnt vmcnt(57) lgkmcnt(1)
	v_mul_f64 v[186:187], v[5:6], v[117:118]
	v_mul_f64 v[117:118], v[7:8], v[117:118]
	s_waitcnt vmcnt(56)
	v_fma_f64 v[173:174], v[107:108], v[188:189], -v[173:174]
	v_add_f64 v[113:114], v[113:114], v[131:132]
	v_fma_f64 v[131:132], v[109:110], v[188:189], v[175:176]
	v_add_f64 v[111:112], v[111:112], v[125:126]
	s_clause 0x2
	buffer_load_dword v180, off, s[0:3], 0 offset:652
	buffer_load_dword v126, off, s[0:3], 0 offset:628
	;; [unrolled: 1-line block ×3, first 2 shown]
	ds_read_b128 v[107:110], v168 offset:1200
	s_waitcnt vmcnt(58) lgkmcnt(1)
	v_mul_f64 v[175:176], v[1:2], v[135:136]
	v_mul_f64 v[135:136], v[3:4], v[135:136]
	s_waitcnt vmcnt(56)
	v_fma_f64 v[117:118], v[5:6], v[123:124], -v[117:118]
	v_fma_f64 v[123:124], v[7:8], v[123:124], v[186:187]
	v_add_f64 v[113:114], v[113:114], v[173:174]
	v_add_f64 v[111:112], v[111:112], v[131:132]
	s_clause 0x4
	buffer_load_dword v132, off, s[0:3], 0 offset:668
	buffer_load_dword v173, off, s[0:3], 0 offset:680
	;; [unrolled: 1-line block ×5, first 2 shown]
	ds_read_b128 v[5:8], v168 offset:1216
	s_waitcnt vmcnt(57) lgkmcnt(1)
	v_mul_f64 v[188:189], v[107:108], v[121:122]
	v_mul_f64 v[121:122], v[109:110], v[121:122]
	s_waitcnt vmcnt(56)
	v_fma_f64 v[135:136], v[1:2], v[183:184], -v[135:136]
	v_add_f64 v[113:114], v[113:114], v[117:118]
	v_fma_f64 v[117:118], v[3:4], v[183:184], v[175:176]
	v_add_f64 v[111:112], v[111:112], v[123:124]
	s_clause 0x2
	buffer_load_dword v174, off, s[0:3], 0 offset:684
	buffer_load_dword v124, off, s[0:3], 0 offset:660
	buffer_load_dword v123, off, s[0:3], 0 offset:656
	s_waitcnt vmcnt(58) lgkmcnt(0)
	v_mul_f64 v[175:176], v[5:6], v[143:144]
	v_mul_f64 v[143:144], v[7:8], v[143:144]
	ds_read_b128 v[1:4], v168 offset:1232
	s_waitcnt vmcnt(56)
	v_fma_f64 v[121:122], v[107:108], v[129:130], -v[121:122]
	v_fma_f64 v[129:130], v[109:110], v[129:130], v[188:189]
	v_add_f64 v[113:114], v[113:114], v[135:136]
	v_add_f64 v[111:112], v[111:112], v[117:118]
	s_clause 0x4
	buffer_load_dword v118, off, s[0:3], 0 offset:700
	buffer_load_dword v135, off, s[0:3], 0 offset:712
	;; [unrolled: 1-line block ×5, first 2 shown]
	ds_read_b128 v[107:110], v168 offset:1248
	s_waitcnt vmcnt(57) lgkmcnt(1)
	v_mul_f64 v[189:190], v[1:2], v[127:128]
	v_mul_f64 v[127:128], v[3:4], v[127:128]
	s_waitcnt vmcnt(56)
	v_fma_f64 v[143:144], v[5:6], v[169:170], -v[143:144]
	v_add_f64 v[113:114], v[113:114], v[121:122]
	v_fma_f64 v[121:122], v[7:8], v[169:170], v[175:176]
	v_add_f64 v[111:112], v[111:112], v[129:130]
	s_clause 0x2
	buffer_load_dword v136, off, s[0:3], 0 offset:716
	buffer_load_dword v130, off, s[0:3], 0 offset:692
	buffer_load_dword v129, off, s[0:3], 0 offset:688
	s_waitcnt vmcnt(58) lgkmcnt(0)
	v_mul_f64 v[169:170], v[107:108], v[149:150]
	v_mul_f64 v[149:150], v[109:110], v[149:150]
	ds_read_b128 v[5:8], v168 offset:1264
	s_waitcnt vmcnt(56)
	v_fma_f64 v[127:128], v[1:2], v[139:140], -v[127:128]
	v_fma_f64 v[139:140], v[3:4], v[139:140], v[189:190]
	v_add_f64 v[113:114], v[113:114], v[143:144]
	v_add_f64 v[111:112], v[111:112], v[121:122]
	s_clause 0x4
	buffer_load_dword v122, off, s[0:3], 0 offset:732
	buffer_load_dword v143, off, s[0:3], 0 offset:744
	;; [unrolled: 1-line block ×5, first 2 shown]
	ds_read_b128 v[1:4], v168 offset:1280
	s_waitcnt vmcnt(57) lgkmcnt(1)
	v_mul_f64 v[189:190], v[5:6], v[133:134]
	v_mul_f64 v[133:134], v[7:8], v[133:134]
	s_waitcnt vmcnt(56)
	v_fma_f64 v[149:150], v[107:108], v[151:152], -v[149:150]
	v_add_f64 v[113:114], v[113:114], v[127:128]
	v_fma_f64 v[127:128], v[109:110], v[151:152], v[169:170]
	v_add_f64 v[111:112], v[111:112], v[139:140]
	s_clause 0x2
	buffer_load_dword v144, off, s[0:3], 0 offset:748
	buffer_load_dword v140, off, s[0:3], 0 offset:724
	buffer_load_dword v139, off, s[0:3], 0 offset:720
	ds_read_b128 v[107:110], v168 offset:1296
	s_waitcnt vmcnt(58) lgkmcnt(1)
	v_mul_f64 v[151:152], v[1:2], v[157:158]
	v_mul_f64 v[157:158], v[3:4], v[157:158]
	s_waitcnt vmcnt(56)
	v_fma_f64 v[133:134], v[5:6], v[137:138], -v[133:134]
	v_fma_f64 v[137:138], v[7:8], v[137:138], v[189:190]
	v_add_f64 v[113:114], v[113:114], v[149:150]
	v_add_f64 v[111:112], v[111:112], v[127:128]
	s_clause 0x4
	buffer_load_dword v128, off, s[0:3], 0 offset:764
	buffer_load_dword v149, off, s[0:3], 0 offset:776
	;; [unrolled: 1-line block ×5, first 2 shown]
	ds_read_b128 v[5:8], v168 offset:1312
	s_waitcnt vmcnt(57) lgkmcnt(1)
	v_mul_f64 v[189:190], v[107:108], v[141:142]
	v_mul_f64 v[141:142], v[109:110], v[141:142]
	s_waitcnt vmcnt(56)
	v_fma_f64 v[157:158], v[1:2], v[159:160], -v[157:158]
	v_add_f64 v[113:114], v[113:114], v[133:134]
	v_fma_f64 v[133:134], v[3:4], v[159:160], v[151:152]
	v_add_f64 v[111:112], v[111:112], v[137:138]
	s_clause 0x2
	buffer_load_dword v150, off, s[0:3], 0 offset:780
	buffer_load_dword v138, off, s[0:3], 0 offset:756
	;; [unrolled: 1-line block ×3, first 2 shown]
	ds_read_b128 v[1:4], v168 offset:1328
	s_waitcnt vmcnt(58) lgkmcnt(1)
	v_mul_f64 v[159:160], v[7:8], v[163:164]
	v_mul_f64 v[151:152], v[5:6], v[163:164]
	s_waitcnt vmcnt(56)
	v_fma_f64 v[141:142], v[107:108], v[145:146], -v[141:142]
	v_fma_f64 v[145:146], v[109:110], v[145:146], v[189:190]
	v_add_f64 v[113:114], v[113:114], v[157:158]
	v_add_f64 v[111:112], v[111:112], v[133:134]
	s_clause 0x2
	buffer_load_dword v134, off, s[0:3], 0 offset:796
	buffer_load_dword v133, off, s[0:3], 0 offset:792
	buffer_load_dword v170, off, s[0:3], 0 offset:772
	ds_read_b128 v[107:110], v168 offset:1344
	s_waitcnt vmcnt(55) lgkmcnt(1)
	v_mul_f64 v[157:158], v[1:2], v[147:148]
	v_mul_f64 v[147:148], v[3:4], v[147:148]
	s_waitcnt vmcnt(54)
	v_fma_f64 v[159:160], v[5:6], v[165:166], -v[159:160]
	v_add_f64 v[113:114], v[113:114], v[141:142]
	v_fma_f64 v[141:142], v[7:8], v[165:166], v[151:152]
	v_add_f64 v[111:112], v[111:112], v[145:146]
	s_clause 0x1
	buffer_load_dword v146, off, s[0:3], 0 offset:788
	buffer_load_dword v145, off, s[0:3], 0 offset:784
	ds_read_b128 v[5:8], v168 offset:1360
	s_waitcnt vmcnt(55) lgkmcnt(1)
	v_mul_f64 v[151:152], v[107:108], v[153:154]
	v_mul_f64 v[153:154], v[109:110], v[153:154]
	s_waitcnt vmcnt(53)
	v_fma_f64 v[147:148], v[1:2], v[115:116], -v[147:148]
	v_fma_f64 v[115:116], v[3:4], v[115:116], v[157:158]
	ds_read_b128 v[1:4], v168 offset:1376
	v_add_f64 v[113:114], v[113:114], v[159:160]
	v_add_f64 v[111:112], v[111:112], v[141:142]
	s_waitcnt vmcnt(49) lgkmcnt(1)
	v_mul_f64 v[141:142], v[5:6], v[155:156]
	v_mul_f64 v[155:156], v[7:8], v[155:156]
	s_waitcnt vmcnt(48)
	v_fma_f64 v[153:154], v[107:108], v[177:178], -v[153:154]
	v_add_f64 v[113:114], v[113:114], v[147:148]
	v_fma_f64 v[147:148], v[109:110], v[177:178], v[151:152]
	v_add_f64 v[111:112], v[111:112], v[115:116]
	s_clause 0x3
	buffer_load_dword v115, off, s[0:3], 0 offset:48
	buffer_load_dword v116, off, s[0:3], 0 offset:52
	buffer_load_dword v151, off, s[0:3], 0 offset:56
	buffer_load_dword v152, off, s[0:3], 0 offset:60
	ds_read_b128 v[107:110], v168 offset:1392
	s_waitcnt vmcnt(51) lgkmcnt(1)
	v_mul_f64 v[159:160], v[3:4], v[171:172]
	v_mul_f64 v[157:158], v[1:2], v[171:172]
	s_waitcnt vmcnt(49)
	v_fma_f64 v[155:156], v[5:6], v[161:162], -v[155:156]
	v_fma_f64 v[141:142], v[7:8], v[161:162], v[141:142]
	ds_read_b128 v[5:8], v168 offset:1408
	v_add_f64 v[113:114], v[113:114], v[153:154]
	v_add_f64 v[111:112], v[111:112], v[147:148]
	s_waitcnt vmcnt(45) lgkmcnt(1)
	v_mul_f64 v[147:148], v[107:108], v[119:120]
	v_mul_f64 v[119:120], v[109:110], v[119:120]
	s_waitcnt vmcnt(44)
	v_fma_f64 v[153:154], v[1:2], v[181:182], -v[159:160]
	v_add_f64 v[113:114], v[113:114], v[155:156]
	v_fma_f64 v[155:156], v[3:4], v[181:182], v[157:158]
	v_add_f64 v[111:112], v[111:112], v[141:142]
	ds_read_b128 v[1:4], v168 offset:1424
	s_waitcnt vmcnt(43) lgkmcnt(1)
	v_mul_f64 v[157:158], v[7:8], v[179:180]
	v_mul_f64 v[141:142], v[5:6], v[179:180]
	s_waitcnt vmcnt(41)
	v_fma_f64 v[119:120], v[107:108], v[125:126], -v[119:120]
	v_fma_f64 v[125:126], v[109:110], v[125:126], v[147:148]
	ds_read_b128 v[107:110], v168 offset:1440
	v_add_f64 v[113:114], v[113:114], v[153:154]
	v_add_f64 v[111:112], v[111:112], v[155:156]
	s_waitcnt vmcnt(37) lgkmcnt(1)
	v_mul_f64 v[147:148], v[1:2], v[131:132]
	v_mul_f64 v[131:132], v[3:4], v[131:132]
	s_waitcnt vmcnt(36)
	v_fma_f64 v[153:154], v[5:6], v[185:186], -v[157:158]
	v_add_f64 v[113:114], v[113:114], v[119:120]
	v_fma_f64 v[119:120], v[7:8], v[185:186], v[141:142]
	v_add_f64 v[111:112], v[111:112], v[125:126]
	ds_read_b128 v[5:8], v168 offset:1456
	s_waitcnt vmcnt(35) lgkmcnt(1)
	v_mul_f64 v[141:142], v[109:110], v[173:174]
	v_mul_f64 v[125:126], v[107:108], v[173:174]
	s_waitcnt vmcnt(33)
	v_fma_f64 v[131:132], v[1:2], v[123:124], -v[131:132]
	v_fma_f64 v[123:124], v[3:4], v[123:124], v[147:148]
	ds_read_b128 v[1:4], v168 offset:1472
	v_add_f64 v[113:114], v[113:114], v[153:154]
	v_add_f64 v[111:112], v[111:112], v[119:120]
	s_waitcnt vmcnt(29) lgkmcnt(1)
	v_mul_f64 v[119:120], v[5:6], v[117:118]
	v_mul_f64 v[117:118], v[7:8], v[117:118]
	s_waitcnt vmcnt(28)
	v_fma_f64 v[141:142], v[107:108], v[187:188], -v[141:142]
	v_fma_f64 v[125:126], v[109:110], v[187:188], v[125:126]
	ds_read_b128 v[107:110], v168 offset:1488
	v_add_f64 v[113:114], v[113:114], v[131:132]
	v_add_f64 v[111:112], v[111:112], v[123:124]
	;; [unrolled: 9-line block ×3, first 2 shown]
	s_waitcnt vmcnt(21) lgkmcnt(1)
	v_mul_f64 v[125:126], v[107:108], v[121:122]
	v_mul_f64 v[121:122], v[109:110], v[121:122]
	s_waitcnt vmcnt(20)
	v_fma_f64 v[129:130], v[1:2], v[183:184], -v[131:132]
	v_add_f64 v[113:114], v[113:114], v[117:118]
	v_fma_f64 v[117:118], v[3:4], v[183:184], v[123:124]
	v_add_f64 v[111:112], v[111:112], v[119:120]
	ds_read_b128 v[1:4], v168 offset:1520
	s_waitcnt vmcnt(19) lgkmcnt(1)
	v_mul_f64 v[123:124], v[7:8], v[143:144]
	v_mul_f64 v[119:120], v[5:6], v[143:144]
	s_waitcnt vmcnt(17)
	v_fma_f64 v[121:122], v[107:108], v[139:140], -v[121:122]
	v_fma_f64 v[125:126], v[109:110], v[139:140], v[125:126]
	ds_read_b128 v[107:110], v168 offset:1536
	v_add_f64 v[113:114], v[113:114], v[129:130]
	v_add_f64 v[111:112], v[111:112], v[117:118]
	s_waitcnt vmcnt(13) lgkmcnt(1)
	v_mul_f64 v[117:118], v[1:2], v[127:128]
	v_mul_f64 v[127:128], v[3:4], v[127:128]
	s_waitcnt vmcnt(12)
	v_fma_f64 v[123:124], v[5:6], v[175:176], -v[123:124]
	v_fma_f64 v[119:120], v[7:8], v[175:176], v[119:120]
	ds_read_b128 v[5:8], v168 offset:1552
	v_add_f64 v[113:114], v[113:114], v[121:122]
	v_add_f64 v[111:112], v[111:112], v[125:126]
	s_waitcnt vmcnt(11) lgkmcnt(1)
	v_mul_f64 v[125:126], v[109:110], v[149:150]
	v_mul_f64 v[121:122], v[107:108], v[149:150]
	s_waitcnt vmcnt(9)
	v_fma_f64 v[1:2], v[1:2], v[137:138], -v[127:128]
	v_fma_f64 v[3:4], v[3:4], v[137:138], v[117:118]
	v_add_f64 v[113:114], v[113:114], v[123:124]
	v_add_f64 v[111:112], v[111:112], v[119:120]
	s_waitcnt vmcnt(7) lgkmcnt(0)
	v_mul_f64 v[119:120], v[7:8], v[133:134]
	s_waitcnt vmcnt(6)
	v_fma_f64 v[107:108], v[107:108], v[169:170], -v[125:126]
	v_mul_f64 v[117:118], v[5:6], v[133:134]
	v_fma_f64 v[109:110], v[109:110], v[169:170], v[121:122]
	v_add_f64 v[1:2], v[113:114], v[1:2]
	v_add_f64 v[3:4], v[111:112], v[3:4]
	s_waitcnt vmcnt(4)
	v_fma_f64 v[5:6], v[5:6], v[145:146], -v[119:120]
	v_fma_f64 v[7:8], v[7:8], v[145:146], v[117:118]
	v_add_f64 v[1:2], v[1:2], v[107:108]
	v_add_f64 v[3:4], v[3:4], v[109:110]
	;; [unrolled: 1-line block ×4, first 2 shown]
	s_waitcnt vmcnt(2)
	v_add_f64 v[1:2], v[115:116], -v[1:2]
	s_waitcnt vmcnt(0)
	v_add_f64 v[3:4], v[151:152], -v[3:4]
	buffer_store_dword v2, off, s[0:3], 0 offset:52
	buffer_store_dword v1, off, s[0:3], 0 offset:48
	;; [unrolled: 1-line block ×4, first 2 shown]
	v_cmpx_lt_u32_e32 1, v0
	s_cbranch_execz .LBB112_305
; %bb.304:
	v_mov_b32_e32 v4, s60
	v_mov_b32_e32 v5, 0
	s_clause 0x3
	buffer_load_dword v1, v4, s[0:3], 0 offen
	buffer_load_dword v2, v4, s[0:3], 0 offen offset:4
	buffer_load_dword v3, v4, s[0:3], 0 offen offset:8
	;; [unrolled: 1-line block ×3, first 2 shown]
	buffer_store_dword v5, off, s[0:3], 0 offset:32
	buffer_store_dword v5, off, s[0:3], 0 offset:36
	;; [unrolled: 1-line block ×4, first 2 shown]
	s_waitcnt vmcnt(0)
	ds_write_b128 v167, v[1:4]
.LBB112_305:
	s_or_b32 exec_lo, exec_lo, s4
	s_waitcnt lgkmcnt(0)
	s_waitcnt_vscnt null, 0x0
	s_barrier
	buffer_gl0_inv
	s_clause 0x37
	buffer_load_dword v115, off, s[0:3], 0 offset:56
	buffer_load_dword v116, off, s[0:3], 0 offset:60
	;; [unrolled: 1-line block ×56, first 2 shown]
	v_mov_b32_e32 v168, 0
	s_mov_b32 s4, exec_lo
	ds_read_b128 v[5:8], v168 offset:816
	s_clause 0x2
	buffer_load_dword v164, off, s[0:3], 0 offset:284
	buffer_load_dword v166, off, s[0:3], 0 offset:260
	;; [unrolled: 1-line block ×3, first 2 shown]
	ds_read_b128 v[1:4], v168 offset:832
	s_clause 0x4
	buffer_load_dword v176, off, s[0:3], 0 offset:300
	buffer_load_dword v177, off, s[0:3], 0 offset:312
	;; [unrolled: 1-line block ×5, first 2 shown]
	ds_read_b128 v[169:172], v168 offset:848
	s_waitcnt vmcnt(62) lgkmcnt(2)
	v_mul_f64 v[173:174], v[7:8], v[115:116]
	v_mul_f64 v[115:116], v[5:6], v[115:116]
	s_waitcnt vmcnt(60) lgkmcnt(1)
	v_mul_f64 v[180:181], v[3:4], v[111:112]
	v_mul_f64 v[111:112], v[1:2], v[111:112]
	;; [unrolled: 3-line block ×3, first 2 shown]
	v_fma_f64 v[173:174], v[5:6], v[113:114], -v[173:174]
	v_fma_f64 v[113:114], v[7:8], v[113:114], v[115:116]
	s_clause 0x2
	buffer_load_dword v178, off, s[0:3], 0 offset:316
	buffer_load_dword v116, off, s[0:3], 0 offset:292
	;; [unrolled: 1-line block ×3, first 2 shown]
	s_waitcnt vmcnt(57)
	v_fma_f64 v[184:185], v[1:2], v[107:108], -v[180:181]
	ds_read_b128 v[5:8], v168 offset:864
	v_fma_f64 v[107:108], v[3:4], v[107:108], v[111:112]
	s_waitcnt vmcnt(51)
	v_fma_f64 v[169:170], v[169:170], v[131:132], -v[109:110]
	v_fma_f64 v[131:132], v[171:172], v[131:132], v[182:183]
	v_add_f64 v[173:174], v[173:174], 0
	v_add_f64 v[111:112], v[113:114], 0
	s_clause 0x4
	buffer_load_dword v114, off, s[0:3], 0 offset:332
	buffer_load_dword v181, off, s[0:3], 0 offset:344
	;; [unrolled: 1-line block ×5, first 2 shown]
	s_waitcnt lgkmcnt(0)
	v_mul_f64 v[187:188], v[5:6], v[119:120]
	v_mul_f64 v[119:120], v[7:8], v[119:120]
	ds_read_b128 v[1:4], v168 offset:880
	s_clause 0x2
	buffer_load_dword v182, off, s[0:3], 0 offset:348
	buffer_load_dword v172, off, s[0:3], 0 offset:324
	;; [unrolled: 1-line block ×3, first 2 shown]
	v_add_f64 v[173:174], v[173:174], v[184:185]
	v_add_f64 v[111:112], v[111:112], v[107:108]
	ds_read_b128 v[107:110], v168 offset:896
	s_waitcnt vmcnt(58) lgkmcnt(1)
	v_mul_f64 v[183:184], v[1:2], v[123:124]
	v_mul_f64 v[123:124], v[3:4], v[123:124]
	s_waitcnt vmcnt(56)
	v_fma_f64 v[119:120], v[5:6], v[125:126], -v[119:120]
	v_fma_f64 v[125:126], v[7:8], v[125:126], v[187:188]
	s_waitcnt vmcnt(52) lgkmcnt(0)
	v_mul_f64 v[189:190], v[107:108], v[127:128]
	v_add_f64 v[169:170], v[173:174], v[169:170]
	v_add_f64 v[111:112], v[111:112], v[131:132]
	s_clause 0x4
	buffer_load_dword v132, off, s[0:3], 0 offset:364
	buffer_load_dword v173, off, s[0:3], 0 offset:376
	;; [unrolled: 1-line block ×5, first 2 shown]
	v_mul_f64 v[127:128], v[109:110], v[127:128]
	s_waitcnt vmcnt(56)
	v_fma_f64 v[123:124], v[1:2], v[117:118], -v[123:124]
	ds_read_b128 v[5:8], v168 offset:912
	v_fma_f64 v[117:118], v[3:4], v[117:118], v[183:184]
	v_add_f64 v[119:120], v[169:170], v[119:120]
	v_add_f64 v[111:112], v[111:112], v[125:126]
	s_clause 0x2
	buffer_load_dword v174, off, s[0:3], 0 offset:380
	buffer_load_dword v126, off, s[0:3], 0 offset:356
	;; [unrolled: 1-line block ×3, first 2 shown]
	s_waitcnt vmcnt(58) lgkmcnt(0)
	v_mul_f64 v[169:170], v[5:6], v[133:134]
	v_mul_f64 v[133:134], v[7:8], v[133:134]
	s_waitcnt vmcnt(56)
	v_fma_f64 v[127:128], v[107:108], v[135:136], -v[127:128]
	ds_read_b128 v[1:4], v168 offset:928
	v_add_f64 v[119:120], v[119:120], v[123:124]
	v_fma_f64 v[123:124], v[109:110], v[135:136], v[189:190]
	v_add_f64 v[111:112], v[111:112], v[117:118]
	s_clause 0x4
	buffer_load_dword v118, off, s[0:3], 0 offset:396
	buffer_load_dword v135, off, s[0:3], 0 offset:408
	;; [unrolled: 1-line block ×5, first 2 shown]
	s_waitcnt vmcnt(57) lgkmcnt(0)
	v_mul_f64 v[184:185], v[1:2], v[137:138]
	v_mul_f64 v[137:138], v[3:4], v[137:138]
	s_waitcnt vmcnt(56)
	v_fma_f64 v[133:134], v[5:6], v[121:122], -v[133:134]
	ds_read_b128 v[107:110], v168 offset:944
	v_fma_f64 v[121:122], v[7:8], v[121:122], v[169:170]
	v_add_f64 v[119:120], v[119:120], v[127:128]
	v_add_f64 v[111:112], v[111:112], v[123:124]
	s_clause 0x2
	buffer_load_dword v136, off, s[0:3], 0 offset:412
	buffer_load_dword v124, off, s[0:3], 0 offset:388
	buffer_load_dword v123, off, s[0:3], 0 offset:384
	ds_read_b128 v[5:8], v168 offset:960
	s_waitcnt vmcnt(58) lgkmcnt(1)
	v_mul_f64 v[127:128], v[107:108], v[141:142]
	v_mul_f64 v[141:142], v[109:110], v[141:142]
	s_waitcnt vmcnt(56)
	v_fma_f64 v[137:138], v[1:2], v[143:144], -v[137:138]
	v_add_f64 v[119:120], v[119:120], v[133:134]
	v_fma_f64 v[133:134], v[3:4], v[143:144], v[184:185]
	v_add_f64 v[111:112], v[111:112], v[121:122]
	s_clause 0x4
	buffer_load_dword v122, off, s[0:3], 0 offset:428
	buffer_load_dword v143, off, s[0:3], 0 offset:440
	;; [unrolled: 1-line block ×5, first 2 shown]
	s_waitcnt vmcnt(57) lgkmcnt(0)
	v_mul_f64 v[190:191], v[5:6], v[145:146]
	v_mul_f64 v[145:146], v[7:8], v[145:146]
	s_waitcnt vmcnt(56)
	v_fma_f64 v[141:142], v[107:108], v[129:130], -v[141:142]
	ds_read_b128 v[1:4], v168 offset:976
	v_fma_f64 v[127:128], v[109:110], v[129:130], v[127:128]
	s_clause 0x2
	buffer_load_dword v144, off, s[0:3], 0 offset:444
	buffer_load_dword v130, off, s[0:3], 0 offset:420
	;; [unrolled: 1-line block ×3, first 2 shown]
	ds_read_b128 v[107:110], v168 offset:992
	v_add_f64 v[119:120], v[119:120], v[137:138]
	v_add_f64 v[111:112], v[111:112], v[133:134]
	s_waitcnt vmcnt(58) lgkmcnt(1)
	v_mul_f64 v[137:138], v[3:4], v[149:150]
	s_waitcnt vmcnt(56)
	v_fma_f64 v[145:146], v[5:6], v[151:152], -v[145:146]
	v_mul_f64 v[133:134], v[1:2], v[149:150]
	v_add_f64 v[119:120], v[119:120], v[141:142]
	v_fma_f64 v[141:142], v[7:8], v[151:152], v[190:191]
	v_add_f64 v[111:112], v[111:112], v[127:128]
	s_clause 0x4
	buffer_load_dword v128, off, s[0:3], 0 offset:460
	buffer_load_dword v149, off, s[0:3], 0 offset:472
	;; [unrolled: 1-line block ×5, first 2 shown]
	s_waitcnt vmcnt(57) lgkmcnt(0)
	v_mul_f64 v[190:191], v[107:108], v[153:154]
	v_mul_f64 v[152:153], v[109:110], v[153:154]
	s_waitcnt vmcnt(56)
	v_fma_f64 v[137:138], v[1:2], v[139:140], -v[137:138]
	ds_read_b128 v[5:8], v168 offset:1008
	v_fma_f64 v[133:134], v[3:4], v[139:140], v[133:134]
	s_clause 0x2
	buffer_load_dword v150, off, s[0:3], 0 offset:476
	buffer_load_dword v140, off, s[0:3], 0 offset:452
	;; [unrolled: 1-line block ×3, first 2 shown]
	ds_read_b128 v[1:4], v168 offset:1024
	v_add_f64 v[119:120], v[119:120], v[145:146]
	v_add_f64 v[111:112], v[111:112], v[141:142]
	s_waitcnt vmcnt(58) lgkmcnt(1)
	v_mul_f64 v[145:146], v[7:8], v[157:158]
	s_waitcnt vmcnt(56)
	v_fma_f64 v[153:154], v[107:108], v[159:160], -v[152:153]
	v_mul_f64 v[141:142], v[5:6], v[157:158]
	v_add_f64 v[119:120], v[119:120], v[137:138]
	v_fma_f64 v[137:138], v[109:110], v[159:160], v[190:191]
	v_add_f64 v[111:112], v[111:112], v[133:134]
	s_clause 0x4
	buffer_load_dword v134, off, s[0:3], 0 offset:492
	buffer_load_dword v157, off, s[0:3], 0 offset:504
	;; [unrolled: 1-line block ×5, first 2 shown]
	s_waitcnt vmcnt(57) lgkmcnt(0)
	v_mul_f64 v[190:191], v[1:2], v[161:162]
	v_mul_f64 v[160:161], v[3:4], v[161:162]
	s_waitcnt vmcnt(56)
	v_fma_f64 v[145:146], v[5:6], v[147:148], -v[145:146]
	ds_read_b128 v[107:110], v168 offset:1040
	v_fma_f64 v[141:142], v[7:8], v[147:148], v[141:142]
	v_add_f64 v[119:120], v[119:120], v[153:154]
	v_add_f64 v[111:112], v[111:112], v[137:138]
	s_clause 0x2
	buffer_load_dword v158, off, s[0:3], 0 offset:508
	buffer_load_dword v138, off, s[0:3], 0 offset:484
	;; [unrolled: 1-line block ×3, first 2 shown]
	ds_read_b128 v[5:8], v168 offset:1056
	s_waitcnt vmcnt(58) lgkmcnt(1)
	v_mul_f64 v[153:154], v[109:110], v[163:164]
	s_waitcnt vmcnt(56)
	v_fma_f64 v[161:162], v[1:2], v[165:166], -v[160:161]
	v_mul_f64 v[147:148], v[107:108], v[163:164]
	v_add_f64 v[119:120], v[119:120], v[145:146]
	v_fma_f64 v[145:146], v[3:4], v[165:166], v[190:191]
	v_add_f64 v[111:112], v[111:112], v[141:142]
	s_clause 0x4
	buffer_load_dword v142, off, s[0:3], 0 offset:524
	buffer_load_dword v163, off, s[0:3], 0 offset:536
	;; [unrolled: 1-line block ×5, first 2 shown]
	s_waitcnt vmcnt(57) lgkmcnt(0)
	v_mul_f64 v[190:191], v[5:6], v[175:176]
	v_mul_f64 v[175:176], v[7:8], v[175:176]
	s_waitcnt vmcnt(56)
	v_fma_f64 v[153:154], v[107:108], v[155:156], -v[153:154]
	ds_read_b128 v[1:4], v168 offset:1072
	v_fma_f64 v[147:148], v[109:110], v[155:156], v[147:148]
	v_add_f64 v[119:120], v[119:120], v[161:162]
	v_add_f64 v[111:112], v[111:112], v[145:146]
	s_clause 0x2
	buffer_load_dword v164, off, s[0:3], 0 offset:540
	buffer_load_dword v146, off, s[0:3], 0 offset:516
	;; [unrolled: 1-line block ×3, first 2 shown]
	ds_read_b128 v[107:110], v168 offset:1088
	s_waitcnt vmcnt(58) lgkmcnt(1)
	v_mul_f64 v[161:162], v[3:4], v[177:178]
	v_mul_f64 v[155:156], v[1:2], v[177:178]
	s_waitcnt vmcnt(56)
	v_fma_f64 v[175:176], v[5:6], v[115:116], -v[175:176]
	v_fma_f64 v[115:116], v[7:8], v[115:116], v[190:191]
	v_add_f64 v[119:120], v[119:120], v[153:154]
	v_add_f64 v[111:112], v[111:112], v[147:148]
	s_clause 0x4
	buffer_load_dword v148, off, s[0:3], 0 offset:556
	buffer_load_dword v153, off, s[0:3], 0 offset:568
	;; [unrolled: 1-line block ×5, first 2 shown]
	ds_read_b128 v[5:8], v168 offset:1104
	s_waitcnt vmcnt(57) lgkmcnt(1)
	v_mul_f64 v[190:191], v[107:108], v[113:114]
	v_mul_f64 v[113:114], v[109:110], v[113:114]
	s_waitcnt vmcnt(56)
	v_fma_f64 v[161:162], v[1:2], v[179:180], -v[161:162]
	v_fma_f64 v[155:156], v[3:4], v[179:180], v[155:156]
	v_add_f64 v[119:120], v[119:120], v[175:176]
	v_add_f64 v[111:112], v[111:112], v[115:116]
	s_clause 0x2
	buffer_load_dword v154, off, s[0:3], 0 offset:572
	buffer_load_dword v116, off, s[0:3], 0 offset:548
	;; [unrolled: 1-line block ×3, first 2 shown]
	s_waitcnt vmcnt(58) lgkmcnt(0)
	v_mul_f64 v[179:180], v[7:8], v[181:182]
	ds_read_b128 v[1:4], v168 offset:1120
	v_mul_f64 v[175:176], v[5:6], v[181:182]
	s_waitcnt vmcnt(56)
	v_fma_f64 v[113:114], v[107:108], v[171:172], -v[113:114]
	v_add_f64 v[119:120], v[119:120], v[161:162]
	v_fma_f64 v[161:162], v[109:110], v[171:172], v[190:191]
	v_add_f64 v[111:112], v[111:112], v[155:156]
	s_clause 0x4
	buffer_load_dword v156, off, s[0:3], 0 offset:588
	buffer_load_dword v171, off, s[0:3], 0 offset:600
	;; [unrolled: 1-line block ×5, first 2 shown]
	ds_read_b128 v[107:110], v168 offset:1136
	s_waitcnt vmcnt(57) lgkmcnt(1)
	v_mul_f64 v[190:191], v[1:2], v[131:132]
	v_mul_f64 v[131:132], v[3:4], v[131:132]
	s_waitcnt vmcnt(56)
	v_fma_f64 v[179:180], v[5:6], v[186:187], -v[179:180]
	v_add_f64 v[113:114], v[119:120], v[113:114]
	v_fma_f64 v[119:120], v[7:8], v[186:187], v[175:176]
	v_add_f64 v[111:112], v[111:112], v[161:162]
	s_clause 0x2
	buffer_load_dword v172, off, s[0:3], 0 offset:604
	buffer_load_dword v162, off, s[0:3], 0 offset:580
	;; [unrolled: 1-line block ×3, first 2 shown]
	ds_read_b128 v[5:8], v168 offset:1152
	s_waitcnt vmcnt(58) lgkmcnt(1)
	v_mul_f64 v[175:176], v[107:108], v[173:174]
	v_mul_f64 v[173:174], v[109:110], v[173:174]
	s_waitcnt vmcnt(56)
	v_fma_f64 v[131:132], v[1:2], v[125:126], -v[131:132]
	v_fma_f64 v[125:126], v[3:4], v[125:126], v[190:191]
	v_add_f64 v[113:114], v[113:114], v[179:180]
	v_add_f64 v[111:112], v[111:112], v[119:120]
	s_clause 0x4
	buffer_load_dword v120, off, s[0:3], 0 offset:620
	buffer_load_dword v179, off, s[0:3], 0 offset:632
	;; [unrolled: 1-line block ×5, first 2 shown]
	ds_read_b128 v[1:4], v168 offset:1168
	s_waitcnt vmcnt(57) lgkmcnt(1)
	v_mul_f64 v[186:187], v[5:6], v[117:118]
	v_mul_f64 v[117:118], v[7:8], v[117:118]
	s_waitcnt vmcnt(56)
	v_fma_f64 v[173:174], v[107:108], v[188:189], -v[173:174]
	v_add_f64 v[113:114], v[113:114], v[131:132]
	v_fma_f64 v[131:132], v[109:110], v[188:189], v[175:176]
	v_add_f64 v[111:112], v[111:112], v[125:126]
	s_clause 0x2
	buffer_load_dword v180, off, s[0:3], 0 offset:636
	buffer_load_dword v126, off, s[0:3], 0 offset:612
	;; [unrolled: 1-line block ×3, first 2 shown]
	ds_read_b128 v[107:110], v168 offset:1184
	s_waitcnt vmcnt(58) lgkmcnt(1)
	v_mul_f64 v[175:176], v[1:2], v[135:136]
	v_mul_f64 v[135:136], v[3:4], v[135:136]
	s_waitcnt vmcnt(56)
	v_fma_f64 v[117:118], v[5:6], v[123:124], -v[117:118]
	v_fma_f64 v[123:124], v[7:8], v[123:124], v[186:187]
	v_add_f64 v[113:114], v[113:114], v[173:174]
	v_add_f64 v[111:112], v[111:112], v[131:132]
	s_clause 0x4
	buffer_load_dword v132, off, s[0:3], 0 offset:652
	buffer_load_dword v173, off, s[0:3], 0 offset:664
	;; [unrolled: 1-line block ×5, first 2 shown]
	ds_read_b128 v[5:8], v168 offset:1200
	s_waitcnt vmcnt(57) lgkmcnt(1)
	v_mul_f64 v[188:189], v[107:108], v[121:122]
	v_mul_f64 v[121:122], v[109:110], v[121:122]
	s_waitcnt vmcnt(56)
	v_fma_f64 v[135:136], v[1:2], v[183:184], -v[135:136]
	v_add_f64 v[113:114], v[113:114], v[117:118]
	v_fma_f64 v[117:118], v[3:4], v[183:184], v[175:176]
	v_add_f64 v[111:112], v[111:112], v[123:124]
	s_clause 0x2
	buffer_load_dword v174, off, s[0:3], 0 offset:668
	buffer_load_dword v124, off, s[0:3], 0 offset:644
	;; [unrolled: 1-line block ×3, first 2 shown]
	s_waitcnt vmcnt(58) lgkmcnt(0)
	v_mul_f64 v[175:176], v[5:6], v[143:144]
	v_mul_f64 v[143:144], v[7:8], v[143:144]
	ds_read_b128 v[1:4], v168 offset:1216
	s_waitcnt vmcnt(56)
	v_fma_f64 v[121:122], v[107:108], v[129:130], -v[121:122]
	v_fma_f64 v[129:130], v[109:110], v[129:130], v[188:189]
	v_add_f64 v[113:114], v[113:114], v[135:136]
	v_add_f64 v[111:112], v[111:112], v[117:118]
	s_clause 0x4
	buffer_load_dword v118, off, s[0:3], 0 offset:684
	buffer_load_dword v135, off, s[0:3], 0 offset:696
	;; [unrolled: 1-line block ×5, first 2 shown]
	ds_read_b128 v[107:110], v168 offset:1232
	s_waitcnt vmcnt(57) lgkmcnt(1)
	v_mul_f64 v[189:190], v[1:2], v[127:128]
	v_mul_f64 v[127:128], v[3:4], v[127:128]
	s_waitcnt vmcnt(56)
	v_fma_f64 v[143:144], v[5:6], v[169:170], -v[143:144]
	v_add_f64 v[113:114], v[113:114], v[121:122]
	v_fma_f64 v[121:122], v[7:8], v[169:170], v[175:176]
	v_add_f64 v[111:112], v[111:112], v[129:130]
	s_clause 0x2
	buffer_load_dword v136, off, s[0:3], 0 offset:700
	buffer_load_dword v130, off, s[0:3], 0 offset:676
	;; [unrolled: 1-line block ×3, first 2 shown]
	s_waitcnt vmcnt(58) lgkmcnt(0)
	v_mul_f64 v[169:170], v[107:108], v[149:150]
	v_mul_f64 v[149:150], v[109:110], v[149:150]
	ds_read_b128 v[5:8], v168 offset:1248
	s_waitcnt vmcnt(56)
	v_fma_f64 v[127:128], v[1:2], v[139:140], -v[127:128]
	v_fma_f64 v[139:140], v[3:4], v[139:140], v[189:190]
	v_add_f64 v[113:114], v[113:114], v[143:144]
	v_add_f64 v[111:112], v[111:112], v[121:122]
	s_clause 0x4
	buffer_load_dword v122, off, s[0:3], 0 offset:716
	buffer_load_dword v143, off, s[0:3], 0 offset:728
	;; [unrolled: 1-line block ×5, first 2 shown]
	ds_read_b128 v[1:4], v168 offset:1264
	s_waitcnt vmcnt(57) lgkmcnt(1)
	v_mul_f64 v[189:190], v[5:6], v[133:134]
	v_mul_f64 v[133:134], v[7:8], v[133:134]
	s_waitcnt vmcnt(56)
	v_fma_f64 v[149:150], v[107:108], v[151:152], -v[149:150]
	v_add_f64 v[113:114], v[113:114], v[127:128]
	v_fma_f64 v[127:128], v[109:110], v[151:152], v[169:170]
	v_add_f64 v[111:112], v[111:112], v[139:140]
	s_clause 0x2
	buffer_load_dword v144, off, s[0:3], 0 offset:732
	buffer_load_dword v140, off, s[0:3], 0 offset:708
	;; [unrolled: 1-line block ×3, first 2 shown]
	ds_read_b128 v[107:110], v168 offset:1280
	s_waitcnt vmcnt(58) lgkmcnt(1)
	v_mul_f64 v[151:152], v[1:2], v[157:158]
	v_mul_f64 v[157:158], v[3:4], v[157:158]
	s_waitcnt vmcnt(56)
	v_fma_f64 v[133:134], v[5:6], v[137:138], -v[133:134]
	v_fma_f64 v[137:138], v[7:8], v[137:138], v[189:190]
	v_add_f64 v[113:114], v[113:114], v[149:150]
	v_add_f64 v[111:112], v[111:112], v[127:128]
	s_clause 0x4
	buffer_load_dword v128, off, s[0:3], 0 offset:748
	buffer_load_dword v149, off, s[0:3], 0 offset:760
	;; [unrolled: 1-line block ×5, first 2 shown]
	ds_read_b128 v[5:8], v168 offset:1296
	s_waitcnt vmcnt(57) lgkmcnt(1)
	v_mul_f64 v[189:190], v[107:108], v[141:142]
	v_mul_f64 v[141:142], v[109:110], v[141:142]
	s_waitcnt vmcnt(56)
	v_fma_f64 v[157:158], v[1:2], v[159:160], -v[157:158]
	v_add_f64 v[113:114], v[113:114], v[133:134]
	v_fma_f64 v[133:134], v[3:4], v[159:160], v[151:152]
	v_add_f64 v[111:112], v[111:112], v[137:138]
	s_clause 0x2
	buffer_load_dword v150, off, s[0:3], 0 offset:764
	buffer_load_dword v138, off, s[0:3], 0 offset:740
	;; [unrolled: 1-line block ×3, first 2 shown]
	ds_read_b128 v[1:4], v168 offset:1312
	s_waitcnt vmcnt(58) lgkmcnt(1)
	v_mul_f64 v[159:160], v[7:8], v[163:164]
	v_mul_f64 v[151:152], v[5:6], v[163:164]
	s_waitcnt vmcnt(56)
	v_fma_f64 v[141:142], v[107:108], v[145:146], -v[141:142]
	v_fma_f64 v[145:146], v[109:110], v[145:146], v[189:190]
	v_add_f64 v[113:114], v[113:114], v[157:158]
	v_add_f64 v[111:112], v[111:112], v[133:134]
	s_clause 0x4
	buffer_load_dword v134, off, s[0:3], 0 offset:780
	buffer_load_dword v157, off, s[0:3], 0 offset:792
	;; [unrolled: 1-line block ×5, first 2 shown]
	ds_read_b128 v[107:110], v168 offset:1328
	s_waitcnt vmcnt(57) lgkmcnt(1)
	v_mul_f64 v[189:190], v[1:2], v[147:148]
	v_mul_f64 v[147:148], v[3:4], v[147:148]
	s_waitcnt vmcnt(56)
	v_fma_f64 v[159:160], v[5:6], v[165:166], -v[159:160]
	v_add_f64 v[113:114], v[113:114], v[141:142]
	v_fma_f64 v[141:142], v[7:8], v[165:166], v[151:152]
	v_add_f64 v[111:112], v[111:112], v[145:146]
	s_clause 0x2
	buffer_load_dword v158, off, s[0:3], 0 offset:796
	buffer_load_dword v146, off, s[0:3], 0 offset:772
	;; [unrolled: 1-line block ×3, first 2 shown]
	ds_read_b128 v[5:8], v168 offset:1344
	buffer_load_dword v164, off, s[0:3], 0 offset:788
	s_waitcnt vmcnt(59) lgkmcnt(1)
	v_mul_f64 v[151:152], v[107:108], v[153:154]
	v_mul_f64 v[153:154], v[109:110], v[153:154]
	s_waitcnt vmcnt(57)
	v_fma_f64 v[147:148], v[1:2], v[115:116], -v[147:148]
	v_fma_f64 v[115:116], v[3:4], v[115:116], v[189:190]
	ds_read_b128 v[1:4], v168 offset:1360
	v_add_f64 v[113:114], v[113:114], v[159:160]
	v_add_f64 v[111:112], v[111:112], v[141:142]
	s_waitcnt vmcnt(53) lgkmcnt(1)
	v_mul_f64 v[141:142], v[5:6], v[155:156]
	v_mul_f64 v[155:156], v[7:8], v[155:156]
	s_waitcnt vmcnt(52)
	v_fma_f64 v[153:154], v[107:108], v[177:178], -v[153:154]
	v_add_f64 v[113:114], v[113:114], v[147:148]
	v_fma_f64 v[147:148], v[109:110], v[177:178], v[151:152]
	v_add_f64 v[111:112], v[111:112], v[115:116]
	ds_read_b128 v[107:110], v168 offset:1376
	s_waitcnt vmcnt(51) lgkmcnt(1)
	v_mul_f64 v[151:152], v[3:4], v[171:172]
	v_mul_f64 v[115:116], v[1:2], v[171:172]
	s_waitcnt vmcnt(49)
	v_fma_f64 v[155:156], v[5:6], v[161:162], -v[155:156]
	v_fma_f64 v[141:142], v[7:8], v[161:162], v[141:142]
	v_add_f64 v[113:114], v[113:114], v[153:154]
	v_add_f64 v[111:112], v[111:112], v[147:148]
	s_clause 0x3
	buffer_load_dword v147, off, s[0:3], 0 offset:32
	buffer_load_dword v148, off, s[0:3], 0 offset:36
	;; [unrolled: 1-line block ×4, first 2 shown]
	ds_read_b128 v[5:8], v168 offset:1392
	s_waitcnt vmcnt(49) lgkmcnt(1)
	v_mul_f64 v[159:160], v[107:108], v[119:120]
	v_mul_f64 v[119:120], v[109:110], v[119:120]
	s_waitcnt vmcnt(48)
	v_fma_f64 v[151:152], v[1:2], v[181:182], -v[151:152]
	v_fma_f64 v[115:116], v[3:4], v[181:182], v[115:116]
	ds_read_b128 v[1:4], v168 offset:1408
	v_add_f64 v[113:114], v[113:114], v[155:156]
	v_add_f64 v[111:112], v[111:112], v[141:142]
	s_waitcnt vmcnt(47) lgkmcnt(1)
	v_mul_f64 v[155:156], v[7:8], v[179:180]
	v_mul_f64 v[141:142], v[5:6], v[179:180]
	s_waitcnt vmcnt(45)
	v_fma_f64 v[119:120], v[107:108], v[125:126], -v[119:120]
	v_fma_f64 v[125:126], v[109:110], v[125:126], v[159:160]
	ds_read_b128 v[107:110], v168 offset:1424
	v_add_f64 v[113:114], v[113:114], v[151:152]
	v_add_f64 v[111:112], v[111:112], v[115:116]
	s_waitcnt vmcnt(41) lgkmcnt(1)
	v_mul_f64 v[115:116], v[1:2], v[131:132]
	v_mul_f64 v[131:132], v[3:4], v[131:132]
	s_waitcnt vmcnt(40)
	v_fma_f64 v[151:152], v[5:6], v[185:186], -v[155:156]
	v_add_f64 v[113:114], v[113:114], v[119:120]
	v_fma_f64 v[119:120], v[7:8], v[185:186], v[141:142]
	v_add_f64 v[111:112], v[111:112], v[125:126]
	ds_read_b128 v[5:8], v168 offset:1440
	s_waitcnt vmcnt(39) lgkmcnt(1)
	v_mul_f64 v[141:142], v[109:110], v[173:174]
	v_mul_f64 v[125:126], v[107:108], v[173:174]
	s_waitcnt vmcnt(37)
	v_fma_f64 v[131:132], v[1:2], v[123:124], -v[131:132]
	v_fma_f64 v[115:116], v[3:4], v[123:124], v[115:116]
	ds_read_b128 v[1:4], v168 offset:1456
	v_add_f64 v[113:114], v[113:114], v[151:152]
	v_add_f64 v[111:112], v[111:112], v[119:120]
	s_waitcnt vmcnt(33) lgkmcnt(1)
	v_mul_f64 v[119:120], v[5:6], v[117:118]
	v_mul_f64 v[117:118], v[7:8], v[117:118]
	s_waitcnt vmcnt(32)
	v_fma_f64 v[123:124], v[107:108], v[187:188], -v[141:142]
	v_fma_f64 v[125:126], v[109:110], v[187:188], v[125:126]
	ds_read_b128 v[107:110], v168 offset:1472
	v_add_f64 v[113:114], v[113:114], v[131:132]
	v_add_f64 v[111:112], v[111:112], v[115:116]
	;; [unrolled: 9-line block ×5, first 2 shown]
	s_waitcnt vmcnt(17) lgkmcnt(1)
	v_mul_f64 v[125:126], v[3:4], v[127:128]
	s_waitcnt vmcnt(16)
	v_fma_f64 v[119:120], v[5:6], v[175:176], -v[119:120]
	v_mul_f64 v[115:116], v[1:2], v[127:128]
	v_fma_f64 v[117:118], v[7:8], v[175:176], v[117:118]
	ds_read_b128 v[5:8], v168 offset:1536
	v_add_f64 v[113:114], v[113:114], v[121:122]
	v_add_f64 v[111:112], v[111:112], v[123:124]
	s_waitcnt vmcnt(15) lgkmcnt(1)
	v_mul_f64 v[123:124], v[109:110], v[149:150]
	v_mul_f64 v[121:122], v[107:108], v[149:150]
	s_waitcnt vmcnt(13)
	v_fma_f64 v[125:126], v[1:2], v[137:138], -v[125:126]
	v_fma_f64 v[115:116], v[3:4], v[137:138], v[115:116]
	ds_read_b128 v[1:4], v168 offset:1552
	v_add_f64 v[113:114], v[113:114], v[119:120]
	v_add_f64 v[111:112], v[111:112], v[117:118]
	s_waitcnt vmcnt(9) lgkmcnt(1)
	v_mul_f64 v[119:120], v[7:8], v[133:134]
	s_waitcnt vmcnt(8)
	v_fma_f64 v[107:108], v[107:108], v[169:170], -v[123:124]
	v_mul_f64 v[117:118], v[5:6], v[133:134]
	v_fma_f64 v[109:110], v[109:110], v[169:170], v[121:122]
	v_add_f64 v[113:114], v[113:114], v[125:126]
	v_add_f64 v[111:112], v[111:112], v[115:116]
	s_waitcnt vmcnt(7) lgkmcnt(0)
	v_mul_f64 v[121:122], v[3:4], v[157:158]
	v_mul_f64 v[115:116], v[1:2], v[157:158]
	s_waitcnt vmcnt(5)
	v_fma_f64 v[5:6], v[5:6], v[145:146], -v[119:120]
	v_fma_f64 v[7:8], v[7:8], v[145:146], v[117:118]
	v_add_f64 v[107:108], v[113:114], v[107:108]
	v_add_f64 v[109:110], v[111:112], v[109:110]
	s_waitcnt vmcnt(4)
	v_fma_f64 v[1:2], v[1:2], v[163:164], -v[121:122]
	v_fma_f64 v[3:4], v[3:4], v[163:164], v[115:116]
	v_add_f64 v[5:6], v[107:108], v[5:6]
	v_add_f64 v[7:8], v[109:110], v[7:8]
	;; [unrolled: 1-line block ×4, first 2 shown]
	s_waitcnt vmcnt(2)
	v_add_f64 v[1:2], v[147:148], -v[1:2]
	s_waitcnt vmcnt(0)
	v_add_f64 v[3:4], v[153:154], -v[3:4]
	buffer_store_dword v2, off, s[0:3], 0 offset:36
	buffer_store_dword v1, off, s[0:3], 0 offset:32
	;; [unrolled: 1-line block ×4, first 2 shown]
	v_cmpx_ne_u32_e32 0, v0
	s_cbranch_execz .LBB112_307
; %bb.306:
	s_clause 0x3
	buffer_load_dword v0, off, s[0:3], 0 offset:16
	buffer_load_dword v1, off, s[0:3], 0 offset:20
	;; [unrolled: 1-line block ×4, first 2 shown]
	buffer_store_dword v168, off, s[0:3], 0 offset:16
	buffer_store_dword v168, off, s[0:3], 0 offset:20
	;; [unrolled: 1-line block ×4, first 2 shown]
	s_waitcnt vmcnt(0)
	ds_write_b128 v167, v[0:3]
.LBB112_307:
	s_or_b32 exec_lo, exec_lo, s4
	s_waitcnt lgkmcnt(0)
	s_waitcnt_vscnt null, 0x0
	s_barrier
	buffer_gl0_inv
	s_clause 0x37
	buffer_load_dword v115, off, s[0:3], 0 offset:40
	buffer_load_dword v116, off, s[0:3], 0 offset:44
	;; [unrolled: 1-line block ×56, first 2 shown]
	ds_read_b128 v[4:7], v168 offset:800
	s_clause 0x2
	buffer_load_dword v164, off, s[0:3], 0 offset:268
	buffer_load_dword v166, off, s[0:3], 0 offset:244
	;; [unrolled: 1-line block ×3, first 2 shown]
	ds_read_b128 v[0:3], v168 offset:816
	s_clause 0x4
	buffer_load_dword v176, off, s[0:3], 0 offset:284
	buffer_load_dword v177, off, s[0:3], 0 offset:296
	;; [unrolled: 1-line block ×5, first 2 shown]
	ds_read_b128 v[169:172], v168 offset:832
	s_and_b32 vcc_lo, exec_lo, s61
	s_waitcnt vmcnt(62) lgkmcnt(2)
	v_mul_f64 v[173:174], v[6:7], v[115:116]
	v_mul_f64 v[115:116], v[4:5], v[115:116]
	s_waitcnt vmcnt(60) lgkmcnt(1)
	v_mul_f64 v[180:181], v[2:3], v[111:112]
	v_mul_f64 v[111:112], v[0:1], v[111:112]
	;; [unrolled: 3-line block ×3, first 2 shown]
	v_fma_f64 v[173:174], v[4:5], v[113:114], -v[173:174]
	v_fma_f64 v[113:114], v[6:7], v[113:114], v[115:116]
	s_clause 0x2
	buffer_load_dword v178, off, s[0:3], 0 offset:300
	buffer_load_dword v116, off, s[0:3], 0 offset:276
	;; [unrolled: 1-line block ×3, first 2 shown]
	s_waitcnt vmcnt(57)
	v_fma_f64 v[184:185], v[0:1], v[107:108], -v[180:181]
	ds_read_b128 v[4:7], v168 offset:848
	v_fma_f64 v[107:108], v[2:3], v[107:108], v[111:112]
	s_waitcnt vmcnt(51)
	v_fma_f64 v[169:170], v[169:170], v[131:132], -v[109:110]
	v_fma_f64 v[131:132], v[171:172], v[131:132], v[182:183]
	v_add_f64 v[173:174], v[173:174], 0
	v_add_f64 v[111:112], v[113:114], 0
	s_clause 0x4
	buffer_load_dword v114, off, s[0:3], 0 offset:316
	buffer_load_dword v181, off, s[0:3], 0 offset:328
	;; [unrolled: 1-line block ×5, first 2 shown]
	s_waitcnt lgkmcnt(0)
	v_mul_f64 v[187:188], v[4:5], v[119:120]
	v_mul_f64 v[119:120], v[6:7], v[119:120]
	ds_read_b128 v[0:3], v168 offset:864
	s_clause 0x2
	buffer_load_dword v182, off, s[0:3], 0 offset:332
	buffer_load_dword v172, off, s[0:3], 0 offset:308
	;; [unrolled: 1-line block ×3, first 2 shown]
	v_add_f64 v[173:174], v[173:174], v[184:185]
	v_add_f64 v[111:112], v[111:112], v[107:108]
	ds_read_b128 v[107:110], v168 offset:880
	s_waitcnt vmcnt(58) lgkmcnt(1)
	v_mul_f64 v[183:184], v[0:1], v[123:124]
	v_mul_f64 v[123:124], v[2:3], v[123:124]
	s_waitcnt vmcnt(56)
	v_fma_f64 v[119:120], v[4:5], v[125:126], -v[119:120]
	v_fma_f64 v[125:126], v[6:7], v[125:126], v[187:188]
	s_waitcnt vmcnt(52) lgkmcnt(0)
	v_mul_f64 v[189:190], v[107:108], v[127:128]
	v_add_f64 v[169:170], v[173:174], v[169:170]
	v_add_f64 v[111:112], v[111:112], v[131:132]
	s_clause 0x4
	buffer_load_dword v132, off, s[0:3], 0 offset:348
	buffer_load_dword v173, off, s[0:3], 0 offset:360
	;; [unrolled: 1-line block ×5, first 2 shown]
	v_mul_f64 v[127:128], v[109:110], v[127:128]
	s_waitcnt vmcnt(56)
	v_fma_f64 v[123:124], v[0:1], v[117:118], -v[123:124]
	ds_read_b128 v[4:7], v168 offset:896
	v_fma_f64 v[117:118], v[2:3], v[117:118], v[183:184]
	v_add_f64 v[119:120], v[169:170], v[119:120]
	v_add_f64 v[111:112], v[111:112], v[125:126]
	s_clause 0x2
	buffer_load_dword v174, off, s[0:3], 0 offset:364
	buffer_load_dword v126, off, s[0:3], 0 offset:340
	;; [unrolled: 1-line block ×3, first 2 shown]
	s_waitcnt vmcnt(58) lgkmcnt(0)
	v_mul_f64 v[169:170], v[4:5], v[133:134]
	v_mul_f64 v[133:134], v[6:7], v[133:134]
	s_waitcnt vmcnt(56)
	v_fma_f64 v[127:128], v[107:108], v[135:136], -v[127:128]
	ds_read_b128 v[0:3], v168 offset:912
	v_add_f64 v[119:120], v[119:120], v[123:124]
	v_fma_f64 v[123:124], v[109:110], v[135:136], v[189:190]
	v_add_f64 v[111:112], v[111:112], v[117:118]
	s_clause 0x4
	buffer_load_dword v118, off, s[0:3], 0 offset:380
	buffer_load_dword v135, off, s[0:3], 0 offset:392
	;; [unrolled: 1-line block ×5, first 2 shown]
	s_waitcnt vmcnt(57) lgkmcnt(0)
	v_mul_f64 v[184:185], v[0:1], v[137:138]
	v_mul_f64 v[137:138], v[2:3], v[137:138]
	s_waitcnt vmcnt(56)
	v_fma_f64 v[133:134], v[4:5], v[121:122], -v[133:134]
	ds_read_b128 v[107:110], v168 offset:928
	v_fma_f64 v[121:122], v[6:7], v[121:122], v[169:170]
	v_add_f64 v[119:120], v[119:120], v[127:128]
	v_add_f64 v[111:112], v[111:112], v[123:124]
	s_clause 0x2
	buffer_load_dword v136, off, s[0:3], 0 offset:396
	buffer_load_dword v124, off, s[0:3], 0 offset:372
	;; [unrolled: 1-line block ×3, first 2 shown]
	ds_read_b128 v[4:7], v168 offset:944
	s_waitcnt vmcnt(58) lgkmcnt(1)
	v_mul_f64 v[127:128], v[107:108], v[141:142]
	v_mul_f64 v[141:142], v[109:110], v[141:142]
	s_waitcnt vmcnt(56)
	v_fma_f64 v[137:138], v[0:1], v[143:144], -v[137:138]
	v_add_f64 v[119:120], v[119:120], v[133:134]
	v_fma_f64 v[133:134], v[2:3], v[143:144], v[184:185]
	v_add_f64 v[111:112], v[111:112], v[121:122]
	s_clause 0x4
	buffer_load_dword v122, off, s[0:3], 0 offset:412
	buffer_load_dword v143, off, s[0:3], 0 offset:424
	buffer_load_dword v169, off, s[0:3], 0 offset:416
	buffer_load_dword v121, off, s[0:3], 0 offset:408
	buffer_load_dword v184, off, s[0:3], 0 offset:388
	s_waitcnt vmcnt(57) lgkmcnt(0)
	v_mul_f64 v[190:191], v[4:5], v[145:146]
	v_mul_f64 v[145:146], v[6:7], v[145:146]
	s_waitcnt vmcnt(56)
	v_fma_f64 v[141:142], v[107:108], v[129:130], -v[141:142]
	ds_read_b128 v[0:3], v168 offset:960
	v_fma_f64 v[127:128], v[109:110], v[129:130], v[127:128]
	s_clause 0x2
	buffer_load_dword v144, off, s[0:3], 0 offset:428
	buffer_load_dword v130, off, s[0:3], 0 offset:404
	;; [unrolled: 1-line block ×3, first 2 shown]
	ds_read_b128 v[107:110], v168 offset:976
	v_add_f64 v[119:120], v[119:120], v[137:138]
	v_add_f64 v[111:112], v[111:112], v[133:134]
	s_waitcnt vmcnt(58) lgkmcnt(1)
	v_mul_f64 v[137:138], v[2:3], v[149:150]
	s_waitcnt vmcnt(56)
	v_fma_f64 v[145:146], v[4:5], v[151:152], -v[145:146]
	v_mul_f64 v[133:134], v[0:1], v[149:150]
	v_add_f64 v[119:120], v[119:120], v[141:142]
	v_fma_f64 v[141:142], v[6:7], v[151:152], v[190:191]
	v_add_f64 v[111:112], v[111:112], v[127:128]
	s_clause 0x4
	buffer_load_dword v128, off, s[0:3], 0 offset:444
	buffer_load_dword v149, off, s[0:3], 0 offset:456
	;; [unrolled: 1-line block ×5, first 2 shown]
	s_waitcnt vmcnt(57) lgkmcnt(0)
	v_mul_f64 v[190:191], v[107:108], v[153:154]
	v_mul_f64 v[152:153], v[109:110], v[153:154]
	s_waitcnt vmcnt(56)
	v_fma_f64 v[137:138], v[0:1], v[139:140], -v[137:138]
	ds_read_b128 v[4:7], v168 offset:992
	v_fma_f64 v[133:134], v[2:3], v[139:140], v[133:134]
	s_clause 0x2
	buffer_load_dword v150, off, s[0:3], 0 offset:460
	buffer_load_dword v140, off, s[0:3], 0 offset:436
	;; [unrolled: 1-line block ×3, first 2 shown]
	ds_read_b128 v[0:3], v168 offset:1008
	v_add_f64 v[119:120], v[119:120], v[145:146]
	v_add_f64 v[111:112], v[111:112], v[141:142]
	s_waitcnt vmcnt(58) lgkmcnt(1)
	v_mul_f64 v[145:146], v[6:7], v[157:158]
	s_waitcnt vmcnt(56)
	v_fma_f64 v[153:154], v[107:108], v[159:160], -v[152:153]
	v_mul_f64 v[141:142], v[4:5], v[157:158]
	v_add_f64 v[119:120], v[119:120], v[137:138]
	v_fma_f64 v[137:138], v[109:110], v[159:160], v[190:191]
	v_add_f64 v[111:112], v[111:112], v[133:134]
	s_clause 0x4
	buffer_load_dword v134, off, s[0:3], 0 offset:476
	buffer_load_dword v157, off, s[0:3], 0 offset:488
	;; [unrolled: 1-line block ×5, first 2 shown]
	s_waitcnt vmcnt(57) lgkmcnt(0)
	v_mul_f64 v[190:191], v[0:1], v[161:162]
	v_mul_f64 v[160:161], v[2:3], v[161:162]
	s_waitcnt vmcnt(56)
	v_fma_f64 v[145:146], v[4:5], v[147:148], -v[145:146]
	ds_read_b128 v[107:110], v168 offset:1024
	v_fma_f64 v[141:142], v[6:7], v[147:148], v[141:142]
	v_add_f64 v[119:120], v[119:120], v[153:154]
	v_add_f64 v[111:112], v[111:112], v[137:138]
	s_clause 0x2
	buffer_load_dword v158, off, s[0:3], 0 offset:492
	buffer_load_dword v138, off, s[0:3], 0 offset:468
	;; [unrolled: 1-line block ×3, first 2 shown]
	ds_read_b128 v[4:7], v168 offset:1040
	s_waitcnt vmcnt(58) lgkmcnt(1)
	v_mul_f64 v[153:154], v[109:110], v[163:164]
	s_waitcnt vmcnt(56)
	v_fma_f64 v[161:162], v[0:1], v[165:166], -v[160:161]
	v_mul_f64 v[147:148], v[107:108], v[163:164]
	v_add_f64 v[119:120], v[119:120], v[145:146]
	v_fma_f64 v[145:146], v[2:3], v[165:166], v[190:191]
	v_add_f64 v[111:112], v[111:112], v[141:142]
	s_clause 0x4
	buffer_load_dword v142, off, s[0:3], 0 offset:508
	buffer_load_dword v163, off, s[0:3], 0 offset:520
	;; [unrolled: 1-line block ×5, first 2 shown]
	s_waitcnt vmcnt(57) lgkmcnt(0)
	v_mul_f64 v[166:167], v[4:5], v[175:176]
	v_mul_f64 v[175:176], v[6:7], v[175:176]
	s_waitcnt vmcnt(56)
	v_fma_f64 v[153:154], v[107:108], v[155:156], -v[153:154]
	ds_read_b128 v[0:3], v168 offset:1056
	v_fma_f64 v[147:148], v[109:110], v[155:156], v[147:148]
	v_add_f64 v[119:120], v[119:120], v[161:162]
	v_add_f64 v[111:112], v[111:112], v[145:146]
	s_clause 0x2
	buffer_load_dword v164, off, s[0:3], 0 offset:524
	buffer_load_dword v146, off, s[0:3], 0 offset:500
	;; [unrolled: 1-line block ×3, first 2 shown]
	ds_read_b128 v[107:110], v168 offset:1072
	s_waitcnt vmcnt(58) lgkmcnt(1)
	v_mul_f64 v[161:162], v[2:3], v[177:178]
	v_mul_f64 v[155:156], v[0:1], v[177:178]
	s_waitcnt vmcnt(56)
	v_fma_f64 v[175:176], v[4:5], v[115:116], -v[175:176]
	v_fma_f64 v[115:116], v[6:7], v[115:116], v[166:167]
	v_add_f64 v[119:120], v[119:120], v[153:154]
	v_add_f64 v[111:112], v[111:112], v[147:148]
	s_clause 0x4
	buffer_load_dword v148, off, s[0:3], 0 offset:540
	buffer_load_dword v153, off, s[0:3], 0 offset:552
	;; [unrolled: 1-line block ×5, first 2 shown]
	ds_read_b128 v[4:7], v168 offset:1088
	s_waitcnt vmcnt(57) lgkmcnt(1)
	v_mul_f64 v[190:191], v[107:108], v[113:114]
	v_mul_f64 v[113:114], v[109:110], v[113:114]
	s_waitcnt vmcnt(56)
	v_fma_f64 v[161:162], v[0:1], v[179:180], -v[161:162]
	v_fma_f64 v[155:156], v[2:3], v[179:180], v[155:156]
	v_add_f64 v[119:120], v[119:120], v[175:176]
	v_add_f64 v[111:112], v[111:112], v[115:116]
	s_clause 0x2
	buffer_load_dword v154, off, s[0:3], 0 offset:556
	buffer_load_dword v116, off, s[0:3], 0 offset:532
	buffer_load_dword v115, off, s[0:3], 0 offset:528
	s_waitcnt vmcnt(58) lgkmcnt(0)
	v_mul_f64 v[179:180], v[6:7], v[181:182]
	ds_read_b128 v[0:3], v168 offset:1104
	v_mul_f64 v[175:176], v[4:5], v[181:182]
	s_waitcnt vmcnt(56)
	v_fma_f64 v[113:114], v[107:108], v[171:172], -v[113:114]
	v_add_f64 v[119:120], v[119:120], v[161:162]
	v_fma_f64 v[161:162], v[109:110], v[171:172], v[190:191]
	v_add_f64 v[111:112], v[111:112], v[155:156]
	s_clause 0x4
	buffer_load_dword v156, off, s[0:3], 0 offset:572
	buffer_load_dword v171, off, s[0:3], 0 offset:584
	;; [unrolled: 1-line block ×5, first 2 shown]
	ds_read_b128 v[107:110], v168 offset:1120
	s_waitcnt vmcnt(57) lgkmcnt(1)
	v_mul_f64 v[190:191], v[0:1], v[131:132]
	v_mul_f64 v[131:132], v[2:3], v[131:132]
	s_waitcnt vmcnt(56)
	v_fma_f64 v[179:180], v[4:5], v[186:187], -v[179:180]
	v_add_f64 v[113:114], v[119:120], v[113:114]
	v_fma_f64 v[119:120], v[6:7], v[186:187], v[175:176]
	v_add_f64 v[111:112], v[111:112], v[161:162]
	s_clause 0x2
	buffer_load_dword v172, off, s[0:3], 0 offset:588
	buffer_load_dword v162, off, s[0:3], 0 offset:564
	;; [unrolled: 1-line block ×3, first 2 shown]
	ds_read_b128 v[4:7], v168 offset:1136
	s_waitcnt vmcnt(58) lgkmcnt(1)
	v_mul_f64 v[175:176], v[107:108], v[173:174]
	v_mul_f64 v[173:174], v[109:110], v[173:174]
	s_waitcnt vmcnt(56)
	v_fma_f64 v[131:132], v[0:1], v[125:126], -v[131:132]
	v_fma_f64 v[125:126], v[2:3], v[125:126], v[190:191]
	v_add_f64 v[113:114], v[113:114], v[179:180]
	v_add_f64 v[111:112], v[111:112], v[119:120]
	s_clause 0x4
	buffer_load_dword v120, off, s[0:3], 0 offset:604
	buffer_load_dword v179, off, s[0:3], 0 offset:616
	;; [unrolled: 1-line block ×5, first 2 shown]
	ds_read_b128 v[0:3], v168 offset:1152
	s_waitcnt vmcnt(57) lgkmcnt(1)
	v_mul_f64 v[186:187], v[4:5], v[117:118]
	v_mul_f64 v[117:118], v[6:7], v[117:118]
	s_waitcnt vmcnt(56)
	v_fma_f64 v[173:174], v[107:108], v[188:189], -v[173:174]
	v_add_f64 v[113:114], v[113:114], v[131:132]
	v_fma_f64 v[131:132], v[109:110], v[188:189], v[175:176]
	v_add_f64 v[111:112], v[111:112], v[125:126]
	s_clause 0x2
	buffer_load_dword v180, off, s[0:3], 0 offset:620
	buffer_load_dword v126, off, s[0:3], 0 offset:596
	;; [unrolled: 1-line block ×3, first 2 shown]
	ds_read_b128 v[107:110], v168 offset:1168
	s_waitcnt vmcnt(58) lgkmcnt(1)
	v_mul_f64 v[175:176], v[0:1], v[135:136]
	v_mul_f64 v[135:136], v[2:3], v[135:136]
	s_waitcnt vmcnt(56)
	v_fma_f64 v[117:118], v[4:5], v[123:124], -v[117:118]
	v_fma_f64 v[123:124], v[6:7], v[123:124], v[186:187]
	v_add_f64 v[113:114], v[113:114], v[173:174]
	v_add_f64 v[111:112], v[111:112], v[131:132]
	s_clause 0x4
	buffer_load_dword v132, off, s[0:3], 0 offset:636
	buffer_load_dword v173, off, s[0:3], 0 offset:648
	;; [unrolled: 1-line block ×5, first 2 shown]
	ds_read_b128 v[4:7], v168 offset:1184
	s_waitcnt vmcnt(57) lgkmcnt(1)
	v_mul_f64 v[188:189], v[107:108], v[121:122]
	v_mul_f64 v[121:122], v[109:110], v[121:122]
	s_waitcnt vmcnt(56)
	v_fma_f64 v[135:136], v[0:1], v[183:184], -v[135:136]
	v_add_f64 v[113:114], v[113:114], v[117:118]
	v_fma_f64 v[117:118], v[2:3], v[183:184], v[175:176]
	v_add_f64 v[111:112], v[111:112], v[123:124]
	s_clause 0x2
	buffer_load_dword v174, off, s[0:3], 0 offset:652
	buffer_load_dword v124, off, s[0:3], 0 offset:628
	;; [unrolled: 1-line block ×3, first 2 shown]
	s_waitcnt vmcnt(58) lgkmcnt(0)
	v_mul_f64 v[175:176], v[4:5], v[143:144]
	v_mul_f64 v[143:144], v[6:7], v[143:144]
	ds_read_b128 v[0:3], v168 offset:1200
	s_waitcnt vmcnt(56)
	v_fma_f64 v[121:122], v[107:108], v[129:130], -v[121:122]
	v_fma_f64 v[129:130], v[109:110], v[129:130], v[188:189]
	v_add_f64 v[113:114], v[113:114], v[135:136]
	v_add_f64 v[111:112], v[111:112], v[117:118]
	s_clause 0x4
	buffer_load_dword v118, off, s[0:3], 0 offset:668
	buffer_load_dword v135, off, s[0:3], 0 offset:680
	;; [unrolled: 1-line block ×5, first 2 shown]
	ds_read_b128 v[107:110], v168 offset:1216
	s_waitcnt vmcnt(57) lgkmcnt(1)
	v_mul_f64 v[189:190], v[0:1], v[127:128]
	v_mul_f64 v[127:128], v[2:3], v[127:128]
	s_waitcnt vmcnt(56)
	v_fma_f64 v[143:144], v[4:5], v[169:170], -v[143:144]
	v_add_f64 v[113:114], v[113:114], v[121:122]
	v_fma_f64 v[121:122], v[6:7], v[169:170], v[175:176]
	v_add_f64 v[111:112], v[111:112], v[129:130]
	s_clause 0x2
	buffer_load_dword v136, off, s[0:3], 0 offset:684
	buffer_load_dword v130, off, s[0:3], 0 offset:660
	;; [unrolled: 1-line block ×3, first 2 shown]
	s_waitcnt vmcnt(58) lgkmcnt(0)
	v_mul_f64 v[169:170], v[107:108], v[149:150]
	v_mul_f64 v[149:150], v[109:110], v[149:150]
	ds_read_b128 v[4:7], v168 offset:1232
	s_waitcnt vmcnt(56)
	v_fma_f64 v[127:128], v[0:1], v[139:140], -v[127:128]
	v_fma_f64 v[139:140], v[2:3], v[139:140], v[189:190]
	v_add_f64 v[113:114], v[113:114], v[143:144]
	v_add_f64 v[111:112], v[111:112], v[121:122]
	s_clause 0x4
	buffer_load_dword v122, off, s[0:3], 0 offset:700
	buffer_load_dword v143, off, s[0:3], 0 offset:712
	buffer_load_dword v175, off, s[0:3], 0 offset:704
	buffer_load_dword v121, off, s[0:3], 0 offset:696
	buffer_load_dword v184, off, s[0:3], 0 offset:676
	ds_read_b128 v[0:3], v168 offset:1248
	s_waitcnt vmcnt(57) lgkmcnt(1)
	v_mul_f64 v[189:190], v[4:5], v[133:134]
	v_mul_f64 v[133:134], v[6:7], v[133:134]
	s_waitcnt vmcnt(56)
	v_fma_f64 v[149:150], v[107:108], v[151:152], -v[149:150]
	v_add_f64 v[113:114], v[113:114], v[127:128]
	v_fma_f64 v[127:128], v[109:110], v[151:152], v[169:170]
	v_add_f64 v[111:112], v[111:112], v[139:140]
	s_clause 0x2
	buffer_load_dword v144, off, s[0:3], 0 offset:716
	buffer_load_dword v140, off, s[0:3], 0 offset:692
	buffer_load_dword v139, off, s[0:3], 0 offset:688
	ds_read_b128 v[107:110], v168 offset:1264
	s_waitcnt vmcnt(58) lgkmcnt(1)
	v_mul_f64 v[151:152], v[0:1], v[157:158]
	v_mul_f64 v[157:158], v[2:3], v[157:158]
	s_waitcnt vmcnt(56)
	v_fma_f64 v[133:134], v[4:5], v[137:138], -v[133:134]
	v_fma_f64 v[137:138], v[6:7], v[137:138], v[189:190]
	v_add_f64 v[113:114], v[113:114], v[149:150]
	v_add_f64 v[111:112], v[111:112], v[127:128]
	s_clause 0x4
	buffer_load_dword v128, off, s[0:3], 0 offset:732
	buffer_load_dword v149, off, s[0:3], 0 offset:744
	buffer_load_dword v169, off, s[0:3], 0 offset:736
	buffer_load_dword v127, off, s[0:3], 0 offset:728
	buffer_load_dword v176, off, s[0:3], 0 offset:708
	ds_read_b128 v[4:7], v168 offset:1280
	s_waitcnt vmcnt(57) lgkmcnt(1)
	v_mul_f64 v[189:190], v[107:108], v[141:142]
	v_mul_f64 v[141:142], v[109:110], v[141:142]
	s_waitcnt vmcnt(56)
	v_fma_f64 v[157:158], v[0:1], v[159:160], -v[157:158]
	v_add_f64 v[113:114], v[113:114], v[133:134]
	v_fma_f64 v[133:134], v[2:3], v[159:160], v[151:152]
	v_add_f64 v[111:112], v[111:112], v[137:138]
	s_clause 0x2
	buffer_load_dword v150, off, s[0:3], 0 offset:748
	buffer_load_dword v138, off, s[0:3], 0 offset:724
	buffer_load_dword v137, off, s[0:3], 0 offset:720
	ds_read_b128 v[0:3], v168 offset:1296
	s_waitcnt vmcnt(58) lgkmcnt(1)
	v_mul_f64 v[159:160], v[6:7], v[163:164]
	v_mul_f64 v[151:152], v[4:5], v[163:164]
	;; [unrolled: 28-line block ×3, first 2 shown]
	s_waitcnt vmcnt(56)
	v_fma_f64 v[147:148], v[0:1], v[115:116], -v[147:148]
	v_fma_f64 v[115:116], v[2:3], v[115:116], v[189:190]
	v_add_f64 v[113:114], v[113:114], v[159:160]
	v_add_f64 v[111:112], v[111:112], v[141:142]
	s_clause 0x2
	buffer_load_dword v142, off, s[0:3], 0 offset:796
	buffer_load_dword v141, off, s[0:3], 0 offset:792
	;; [unrolled: 1-line block ×3, first 2 shown]
	ds_read_b128 v[0:3], v168 offset:1344
	s_waitcnt vmcnt(55) lgkmcnt(1)
	v_mul_f64 v[159:160], v[4:5], v[155:156]
	v_mul_f64 v[155:156], v[6:7], v[155:156]
	s_waitcnt vmcnt(54)
	v_fma_f64 v[153:154], v[107:108], v[177:178], -v[153:154]
	v_add_f64 v[113:114], v[113:114], v[147:148]
	v_fma_f64 v[147:148], v[109:110], v[177:178], v[151:152]
	v_add_f64 v[111:112], v[111:112], v[115:116]
	s_clause 0x1
	buffer_load_dword v116, off, s[0:3], 0 offset:788
	buffer_load_dword v115, off, s[0:3], 0 offset:784
	ds_read_b128 v[107:110], v168 offset:1360
	s_waitcnt vmcnt(55) lgkmcnt(1)
	v_mul_f64 v[165:166], v[2:3], v[171:172]
	v_mul_f64 v[151:152], v[0:1], v[171:172]
	s_waitcnt vmcnt(53)
	v_fma_f64 v[155:156], v[4:5], v[161:162], -v[155:156]
	v_add_f64 v[113:114], v[113:114], v[153:154]
	v_fma_f64 v[153:154], v[6:7], v[161:162], v[159:160]
	v_add_f64 v[111:112], v[111:112], v[147:148]
	ds_read_b128 v[4:7], v168 offset:1376
	s_waitcnt vmcnt(49) lgkmcnt(1)
	v_mul_f64 v[147:148], v[107:108], v[119:120]
	v_mul_f64 v[119:120], v[109:110], v[119:120]
	s_waitcnt vmcnt(48)
	v_fma_f64 v[159:160], v[0:1], v[181:182], -v[165:166]
	v_fma_f64 v[151:152], v[2:3], v[181:182], v[151:152]
	v_add_f64 v[113:114], v[113:114], v[155:156]
	v_add_f64 v[111:112], v[111:112], v[153:154]
	s_clause 0x3
	buffer_load_dword v153, off, s[0:3], 0 offset:16
	buffer_load_dword v154, off, s[0:3], 0 offset:20
	;; [unrolled: 1-line block ×4, first 2 shown]
	ds_read_b128 v[0:3], v168 offset:1392
	s_waitcnt vmcnt(51) lgkmcnt(1)
	v_mul_f64 v[165:166], v[6:7], v[179:180]
	v_mul_f64 v[161:162], v[4:5], v[179:180]
	s_waitcnt vmcnt(49)
	v_fma_f64 v[119:120], v[107:108], v[125:126], -v[119:120]
	v_fma_f64 v[125:126], v[109:110], v[125:126], v[147:148]
	ds_read_b128 v[107:110], v168 offset:1408
	v_add_f64 v[113:114], v[113:114], v[159:160]
	v_add_f64 v[111:112], v[111:112], v[151:152]
	s_waitcnt vmcnt(45) lgkmcnt(1)
	v_mul_f64 v[147:148], v[0:1], v[131:132]
	v_mul_f64 v[131:132], v[2:3], v[131:132]
	s_waitcnt vmcnt(44)
	v_fma_f64 v[151:152], v[4:5], v[185:186], -v[165:166]
	v_add_f64 v[113:114], v[113:114], v[119:120]
	v_fma_f64 v[119:120], v[6:7], v[185:186], v[161:162]
	v_add_f64 v[111:112], v[111:112], v[125:126]
	ds_read_b128 v[4:7], v168 offset:1424
	s_waitcnt vmcnt(43) lgkmcnt(1)
	v_mul_f64 v[159:160], v[109:110], v[173:174]
	v_mul_f64 v[125:126], v[107:108], v[173:174]
	s_waitcnt vmcnt(41)
	v_fma_f64 v[131:132], v[0:1], v[123:124], -v[131:132]
	v_fma_f64 v[123:124], v[2:3], v[123:124], v[147:148]
	ds_read_b128 v[0:3], v168 offset:1440
	v_add_f64 v[113:114], v[113:114], v[151:152]
	v_add_f64 v[111:112], v[111:112], v[119:120]
	s_waitcnt vmcnt(37) lgkmcnt(1)
	v_mul_f64 v[119:120], v[4:5], v[117:118]
	v_mul_f64 v[117:118], v[6:7], v[117:118]
	s_waitcnt vmcnt(36)
	v_fma_f64 v[147:148], v[107:108], v[187:188], -v[159:160]
	v_fma_f64 v[125:126], v[109:110], v[187:188], v[125:126]
	ds_read_b128 v[107:110], v168 offset:1456
	v_add_f64 v[113:114], v[113:114], v[131:132]
	v_add_f64 v[111:112], v[111:112], v[123:124]
	;; [unrolled: 9-line block ×3, first 2 shown]
	s_waitcnt vmcnt(29) lgkmcnt(1)
	v_mul_f64 v[125:126], v[107:108], v[121:122]
	v_mul_f64 v[121:122], v[109:110], v[121:122]
	s_waitcnt vmcnt(28)
	v_fma_f64 v[129:130], v[0:1], v[183:184], -v[131:132]
	v_add_f64 v[113:114], v[113:114], v[117:118]
	v_fma_f64 v[117:118], v[2:3], v[183:184], v[123:124]
	v_add_f64 v[111:112], v[111:112], v[119:120]
	ds_read_b128 v[0:3], v168 offset:1488
	s_waitcnt vmcnt(27) lgkmcnt(1)
	v_mul_f64 v[123:124], v[6:7], v[143:144]
	v_mul_f64 v[119:120], v[4:5], v[143:144]
	s_waitcnt vmcnt(25)
	v_fma_f64 v[121:122], v[107:108], v[139:140], -v[121:122]
	v_fma_f64 v[125:126], v[109:110], v[139:140], v[125:126]
	ds_read_b128 v[107:110], v168 offset:1504
	v_add_f64 v[113:114], v[113:114], v[129:130]
	v_add_f64 v[111:112], v[111:112], v[117:118]
	s_waitcnt vmcnt(21) lgkmcnt(1)
	v_mul_f64 v[117:118], v[0:1], v[127:128]
	v_mul_f64 v[127:128], v[2:3], v[127:128]
	s_waitcnt vmcnt(20)
	v_fma_f64 v[123:124], v[4:5], v[175:176], -v[123:124]
	v_fma_f64 v[119:120], v[6:7], v[175:176], v[119:120]
	ds_read_b128 v[4:7], v168 offset:1520
	v_add_f64 v[113:114], v[113:114], v[121:122]
	v_add_f64 v[111:112], v[111:112], v[125:126]
	;; [unrolled: 9-line block ×3, first 2 shown]
	s_waitcnt vmcnt(13) lgkmcnt(1)
	v_mul_f64 v[123:124], v[6:7], v[133:134]
	s_waitcnt vmcnt(12)
	v_fma_f64 v[125:126], v[107:108], v[169:170], -v[125:126]
	v_mul_f64 v[119:120], v[4:5], v[133:134]
	v_fma_f64 v[121:122], v[109:110], v[169:170], v[121:122]
	ds_read_b128 v[107:110], v168 offset:1552
	v_add_f64 v[113:114], v[113:114], v[127:128]
	v_add_f64 v[111:112], v[111:112], v[117:118]
	s_waitcnt vmcnt(11) lgkmcnt(1)
	v_mul_f64 v[127:128], v[2:3], v[157:158]
	v_mul_f64 v[117:118], v[0:1], v[157:158]
	s_waitcnt vmcnt(9)
	v_fma_f64 v[4:5], v[4:5], v[145:146], -v[123:124]
	v_fma_f64 v[6:7], v[6:7], v[145:146], v[119:120]
	v_add_f64 v[113:114], v[113:114], v[125:126]
	v_add_f64 v[111:112], v[111:112], v[121:122]
	s_waitcnt vmcnt(7) lgkmcnt(0)
	v_mul_f64 v[121:122], v[109:110], v[141:142]
	s_waitcnt vmcnt(6)
	v_fma_f64 v[0:1], v[0:1], v[163:164], -v[127:128]
	v_mul_f64 v[119:120], v[107:108], v[141:142]
	v_fma_f64 v[2:3], v[2:3], v[163:164], v[117:118]
	v_add_f64 v[4:5], v[113:114], v[4:5]
	v_add_f64 v[6:7], v[111:112], v[6:7]
	s_waitcnt vmcnt(4)
	v_fma_f64 v[107:108], v[107:108], v[115:116], -v[121:122]
	v_add_f64 v[0:1], v[4:5], v[0:1]
	v_fma_f64 v[4:5], v[109:110], v[115:116], v[119:120]
	v_add_f64 v[2:3], v[6:7], v[2:3]
	v_add_f64 v[0:1], v[0:1], v[107:108]
	;; [unrolled: 1-line block ×3, first 2 shown]
	s_waitcnt vmcnt(2)
	v_add_f64 v[0:1], v[153:154], -v[0:1]
	s_waitcnt vmcnt(0)
	v_add_f64 v[2:3], v[155:156], -v[2:3]
	buffer_store_dword v1, off, s[0:3], 0 offset:20
	buffer_store_dword v0, off, s[0:3], 0 offset:16
	;; [unrolled: 1-line block ×4, first 2 shown]
	s_cbranch_vccz .LBB112_404
; %bb.308:
	v_mov_b32_e32 v0, 0
	global_load_dword v1, v0, s[12:13] offset:188
	s_waitcnt vmcnt(0)
	v_add_nc_u32_e32 v1, -1, v1
	v_cmp_ne_u32_e32 vcc_lo, 47, v1
	s_cbranch_vccz .LBB112_310
; %bb.309:
	v_lshlrev_b32_e32 v1, 4, v1
	v_mov_b32_e32 v2, s9
	v_add_nc_u32_e32 v1, 16, v1
	s_clause 0x7
	buffer_load_dword v3, v1, s[0:3], 0 offen
	buffer_load_dword v4, v1, s[0:3], 0 offen offset:4
	buffer_load_dword v5, v1, s[0:3], 0 offen offset:8
	;; [unrolled: 1-line block ×6, first 2 shown]
	buffer_load_dword v108, v2, s[0:3], 0 offen
	s_waitcnt vmcnt(7)
	buffer_store_dword v3, v2, s[0:3], 0 offen
	s_waitcnt vmcnt(6)
	buffer_store_dword v4, v2, s[0:3], 0 offen offset:4
	s_waitcnt vmcnt(5)
	buffer_store_dword v5, v2, s[0:3], 0 offen offset:8
	;; [unrolled: 2-line block ×6, first 2 shown]
	s_waitcnt vmcnt(0)
	buffer_store_dword v108, v1, s[0:3], 0 offen
.LBB112_310:
	global_load_dword v0, v0, s[12:13] offset:184
	s_waitcnt vmcnt(0)
	v_add_nc_u32_e32 v0, -1, v0
	v_cmp_eq_u32_e32 vcc_lo, 46, v0
	s_cbranch_vccnz .LBB112_312
; %bb.311:
	v_lshlrev_b32_e32 v0, 4, v0
	v_mov_b32_e32 v1, s14
	v_add_nc_u32_e32 v0, 16, v0
	s_clause 0x7
	buffer_load_dword v2, v0, s[0:3], 0 offen
	buffer_load_dword v3, v0, s[0:3], 0 offen offset:4
	buffer_load_dword v4, v0, s[0:3], 0 offen offset:8
	buffer_load_dword v5, v0, s[0:3], 0 offen offset:12
	buffer_load_dword v6, v1, s[0:3], 0 offen offset:12
	buffer_load_dword v7, v1, s[0:3], 0 offen offset:8
	buffer_load_dword v8, v1, s[0:3], 0 offen offset:4
	buffer_load_dword v107, v1, s[0:3], 0 offen
	s_waitcnt vmcnt(7)
	buffer_store_dword v2, v1, s[0:3], 0 offen
	s_waitcnt vmcnt(6)
	buffer_store_dword v3, v1, s[0:3], 0 offen offset:4
	s_waitcnt vmcnt(5)
	buffer_store_dword v4, v1, s[0:3], 0 offen offset:8
	;; [unrolled: 2-line block ×6, first 2 shown]
	s_waitcnt vmcnt(0)
	buffer_store_dword v107, v0, s[0:3], 0 offen
.LBB112_312:
	v_mov_b32_e32 v0, 0
	global_load_dword v1, v0, s[12:13] offset:180
	s_waitcnt vmcnt(0)
	v_add_nc_u32_e32 v1, -1, v1
	v_cmp_eq_u32_e32 vcc_lo, 45, v1
	s_cbranch_vccnz .LBB112_314
; %bb.313:
	v_lshlrev_b32_e32 v1, 4, v1
	v_mov_b32_e32 v2, s15
	v_add_nc_u32_e32 v1, 16, v1
	s_clause 0x7
	buffer_load_dword v3, v1, s[0:3], 0 offen
	buffer_load_dword v4, v1, s[0:3], 0 offen offset:4
	buffer_load_dword v5, v1, s[0:3], 0 offen offset:8
	;; [unrolled: 1-line block ×6, first 2 shown]
	buffer_load_dword v108, v2, s[0:3], 0 offen
	s_waitcnt vmcnt(7)
	buffer_store_dword v3, v2, s[0:3], 0 offen
	s_waitcnt vmcnt(6)
	buffer_store_dword v4, v2, s[0:3], 0 offen offset:4
	s_waitcnt vmcnt(5)
	buffer_store_dword v5, v2, s[0:3], 0 offen offset:8
	;; [unrolled: 2-line block ×6, first 2 shown]
	s_waitcnt vmcnt(0)
	buffer_store_dword v108, v1, s[0:3], 0 offen
.LBB112_314:
	global_load_dword v0, v0, s[12:13] offset:176
	s_waitcnt vmcnt(0)
	v_add_nc_u32_e32 v0, -1, v0
	v_cmp_eq_u32_e32 vcc_lo, 44, v0
	s_cbranch_vccnz .LBB112_316
; %bb.315:
	v_lshlrev_b32_e32 v0, 4, v0
	v_mov_b32_e32 v1, s16
	v_add_nc_u32_e32 v0, 16, v0
	s_clause 0x7
	buffer_load_dword v2, v0, s[0:3], 0 offen
	buffer_load_dword v3, v0, s[0:3], 0 offen offset:4
	buffer_load_dword v4, v0, s[0:3], 0 offen offset:8
	;; [unrolled: 1-line block ×6, first 2 shown]
	buffer_load_dword v107, v1, s[0:3], 0 offen
	s_waitcnt vmcnt(7)
	buffer_store_dword v2, v1, s[0:3], 0 offen
	s_waitcnt vmcnt(6)
	buffer_store_dword v3, v1, s[0:3], 0 offen offset:4
	s_waitcnt vmcnt(5)
	buffer_store_dword v4, v1, s[0:3], 0 offen offset:8
	;; [unrolled: 2-line block ×6, first 2 shown]
	s_waitcnt vmcnt(0)
	buffer_store_dword v107, v0, s[0:3], 0 offen
.LBB112_316:
	v_mov_b32_e32 v0, 0
	global_load_dword v1, v0, s[12:13] offset:172
	s_waitcnt vmcnt(0)
	v_add_nc_u32_e32 v1, -1, v1
	v_cmp_eq_u32_e32 vcc_lo, 43, v1
	s_cbranch_vccnz .LBB112_318
; %bb.317:
	v_lshlrev_b32_e32 v1, 4, v1
	v_mov_b32_e32 v2, s17
	v_add_nc_u32_e32 v1, 16, v1
	s_clause 0x7
	buffer_load_dword v3, v1, s[0:3], 0 offen
	buffer_load_dword v4, v1, s[0:3], 0 offen offset:4
	buffer_load_dword v5, v1, s[0:3], 0 offen offset:8
	buffer_load_dword v6, v1, s[0:3], 0 offen offset:12
	buffer_load_dword v7, v2, s[0:3], 0 offen offset:12
	buffer_load_dword v8, v2, s[0:3], 0 offen offset:8
	buffer_load_dword v107, v2, s[0:3], 0 offen offset:4
	buffer_load_dword v108, v2, s[0:3], 0 offen
	s_waitcnt vmcnt(7)
	buffer_store_dword v3, v2, s[0:3], 0 offen
	s_waitcnt vmcnt(6)
	buffer_store_dword v4, v2, s[0:3], 0 offen offset:4
	s_waitcnt vmcnt(5)
	buffer_store_dword v5, v2, s[0:3], 0 offen offset:8
	;; [unrolled: 2-line block ×6, first 2 shown]
	s_waitcnt vmcnt(0)
	buffer_store_dword v108, v1, s[0:3], 0 offen
.LBB112_318:
	global_load_dword v0, v0, s[12:13] offset:168
	s_waitcnt vmcnt(0)
	v_add_nc_u32_e32 v0, -1, v0
	v_cmp_eq_u32_e32 vcc_lo, 42, v0
	s_cbranch_vccnz .LBB112_320
; %bb.319:
	v_lshlrev_b32_e32 v0, 4, v0
	v_mov_b32_e32 v1, s18
	v_add_nc_u32_e32 v0, 16, v0
	s_clause 0x7
	buffer_load_dword v2, v0, s[0:3], 0 offen
	buffer_load_dword v3, v0, s[0:3], 0 offen offset:4
	buffer_load_dword v4, v0, s[0:3], 0 offen offset:8
	;; [unrolled: 1-line block ×6, first 2 shown]
	buffer_load_dword v107, v1, s[0:3], 0 offen
	s_waitcnt vmcnt(7)
	buffer_store_dword v2, v1, s[0:3], 0 offen
	s_waitcnt vmcnt(6)
	buffer_store_dword v3, v1, s[0:3], 0 offen offset:4
	s_waitcnt vmcnt(5)
	buffer_store_dword v4, v1, s[0:3], 0 offen offset:8
	;; [unrolled: 2-line block ×6, first 2 shown]
	s_waitcnt vmcnt(0)
	buffer_store_dword v107, v0, s[0:3], 0 offen
.LBB112_320:
	v_mov_b32_e32 v0, 0
	global_load_dword v1, v0, s[12:13] offset:164
	s_waitcnt vmcnt(0)
	v_add_nc_u32_e32 v1, -1, v1
	v_cmp_eq_u32_e32 vcc_lo, 41, v1
	s_cbranch_vccnz .LBB112_322
; %bb.321:
	v_lshlrev_b32_e32 v1, 4, v1
	v_mov_b32_e32 v2, s19
	v_add_nc_u32_e32 v1, 16, v1
	s_clause 0x7
	buffer_load_dword v3, v1, s[0:3], 0 offen
	buffer_load_dword v4, v1, s[0:3], 0 offen offset:4
	buffer_load_dword v5, v1, s[0:3], 0 offen offset:8
	;; [unrolled: 1-line block ×6, first 2 shown]
	buffer_load_dword v108, v2, s[0:3], 0 offen
	s_waitcnt vmcnt(7)
	buffer_store_dword v3, v2, s[0:3], 0 offen
	s_waitcnt vmcnt(6)
	buffer_store_dword v4, v2, s[0:3], 0 offen offset:4
	s_waitcnt vmcnt(5)
	buffer_store_dword v5, v2, s[0:3], 0 offen offset:8
	s_waitcnt vmcnt(4)
	buffer_store_dword v6, v2, s[0:3], 0 offen offset:12
	s_waitcnt vmcnt(3)
	buffer_store_dword v7, v1, s[0:3], 0 offen offset:12
	s_waitcnt vmcnt(2)
	buffer_store_dword v8, v1, s[0:3], 0 offen offset:8
	s_waitcnt vmcnt(1)
	buffer_store_dword v107, v1, s[0:3], 0 offen offset:4
	s_waitcnt vmcnt(0)
	buffer_store_dword v108, v1, s[0:3], 0 offen
.LBB112_322:
	global_load_dword v0, v0, s[12:13] offset:160
	s_waitcnt vmcnt(0)
	v_add_nc_u32_e32 v0, -1, v0
	v_cmp_eq_u32_e32 vcc_lo, 40, v0
	s_cbranch_vccnz .LBB112_324
; %bb.323:
	v_lshlrev_b32_e32 v0, 4, v0
	v_mov_b32_e32 v1, s20
	v_add_nc_u32_e32 v0, 16, v0
	s_clause 0x7
	buffer_load_dword v2, v0, s[0:3], 0 offen
	buffer_load_dword v3, v0, s[0:3], 0 offen offset:4
	buffer_load_dword v4, v0, s[0:3], 0 offen offset:8
	;; [unrolled: 1-line block ×6, first 2 shown]
	buffer_load_dword v107, v1, s[0:3], 0 offen
	s_waitcnt vmcnt(7)
	buffer_store_dword v2, v1, s[0:3], 0 offen
	s_waitcnt vmcnt(6)
	buffer_store_dword v3, v1, s[0:3], 0 offen offset:4
	s_waitcnt vmcnt(5)
	buffer_store_dword v4, v1, s[0:3], 0 offen offset:8
	;; [unrolled: 2-line block ×6, first 2 shown]
	s_waitcnt vmcnt(0)
	buffer_store_dword v107, v0, s[0:3], 0 offen
.LBB112_324:
	v_mov_b32_e32 v0, 0
	global_load_dword v1, v0, s[12:13] offset:156
	s_waitcnt vmcnt(0)
	v_add_nc_u32_e32 v1, -1, v1
	v_cmp_eq_u32_e32 vcc_lo, 39, v1
	s_cbranch_vccnz .LBB112_326
; %bb.325:
	v_lshlrev_b32_e32 v1, 4, v1
	v_mov_b32_e32 v2, s21
	v_add_nc_u32_e32 v1, 16, v1
	s_clause 0x7
	buffer_load_dword v3, v1, s[0:3], 0 offen
	buffer_load_dword v4, v1, s[0:3], 0 offen offset:4
	buffer_load_dword v5, v1, s[0:3], 0 offen offset:8
	;; [unrolled: 1-line block ×6, first 2 shown]
	buffer_load_dword v108, v2, s[0:3], 0 offen
	s_waitcnt vmcnt(7)
	buffer_store_dword v3, v2, s[0:3], 0 offen
	s_waitcnt vmcnt(6)
	buffer_store_dword v4, v2, s[0:3], 0 offen offset:4
	s_waitcnt vmcnt(5)
	buffer_store_dword v5, v2, s[0:3], 0 offen offset:8
	;; [unrolled: 2-line block ×6, first 2 shown]
	s_waitcnt vmcnt(0)
	buffer_store_dword v108, v1, s[0:3], 0 offen
.LBB112_326:
	global_load_dword v0, v0, s[12:13] offset:152
	s_waitcnt vmcnt(0)
	v_add_nc_u32_e32 v0, -1, v0
	v_cmp_eq_u32_e32 vcc_lo, 38, v0
	s_cbranch_vccnz .LBB112_328
; %bb.327:
	v_lshlrev_b32_e32 v0, 4, v0
	v_mov_b32_e32 v1, s22
	v_add_nc_u32_e32 v0, 16, v0
	s_clause 0x7
	buffer_load_dword v2, v0, s[0:3], 0 offen
	buffer_load_dword v3, v0, s[0:3], 0 offen offset:4
	buffer_load_dword v4, v0, s[0:3], 0 offen offset:8
	;; [unrolled: 1-line block ×6, first 2 shown]
	buffer_load_dword v107, v1, s[0:3], 0 offen
	s_waitcnt vmcnt(7)
	buffer_store_dword v2, v1, s[0:3], 0 offen
	s_waitcnt vmcnt(6)
	buffer_store_dword v3, v1, s[0:3], 0 offen offset:4
	s_waitcnt vmcnt(5)
	buffer_store_dword v4, v1, s[0:3], 0 offen offset:8
	;; [unrolled: 2-line block ×6, first 2 shown]
	s_waitcnt vmcnt(0)
	buffer_store_dword v107, v0, s[0:3], 0 offen
.LBB112_328:
	v_mov_b32_e32 v0, 0
	global_load_dword v1, v0, s[12:13] offset:148
	s_waitcnt vmcnt(0)
	v_add_nc_u32_e32 v1, -1, v1
	v_cmp_eq_u32_e32 vcc_lo, 37, v1
	s_cbranch_vccnz .LBB112_330
; %bb.329:
	v_lshlrev_b32_e32 v1, 4, v1
	v_mov_b32_e32 v2, s23
	v_add_nc_u32_e32 v1, 16, v1
	s_clause 0x7
	buffer_load_dword v3, v1, s[0:3], 0 offen
	buffer_load_dword v4, v1, s[0:3], 0 offen offset:4
	buffer_load_dword v5, v1, s[0:3], 0 offen offset:8
	;; [unrolled: 1-line block ×6, first 2 shown]
	buffer_load_dword v108, v2, s[0:3], 0 offen
	s_waitcnt vmcnt(7)
	buffer_store_dword v3, v2, s[0:3], 0 offen
	s_waitcnt vmcnt(6)
	buffer_store_dword v4, v2, s[0:3], 0 offen offset:4
	s_waitcnt vmcnt(5)
	buffer_store_dword v5, v2, s[0:3], 0 offen offset:8
	;; [unrolled: 2-line block ×6, first 2 shown]
	s_waitcnt vmcnt(0)
	buffer_store_dword v108, v1, s[0:3], 0 offen
.LBB112_330:
	global_load_dword v0, v0, s[12:13] offset:144
	s_waitcnt vmcnt(0)
	v_add_nc_u32_e32 v0, -1, v0
	v_cmp_eq_u32_e32 vcc_lo, 36, v0
	s_cbranch_vccnz .LBB112_332
; %bb.331:
	v_lshlrev_b32_e32 v0, 4, v0
	v_mov_b32_e32 v1, s24
	v_add_nc_u32_e32 v0, 16, v0
	s_clause 0x7
	buffer_load_dword v2, v0, s[0:3], 0 offen
	buffer_load_dword v3, v0, s[0:3], 0 offen offset:4
	buffer_load_dword v4, v0, s[0:3], 0 offen offset:8
	;; [unrolled: 1-line block ×6, first 2 shown]
	buffer_load_dword v107, v1, s[0:3], 0 offen
	s_waitcnt vmcnt(7)
	buffer_store_dword v2, v1, s[0:3], 0 offen
	s_waitcnt vmcnt(6)
	buffer_store_dword v3, v1, s[0:3], 0 offen offset:4
	s_waitcnt vmcnt(5)
	buffer_store_dword v4, v1, s[0:3], 0 offen offset:8
	;; [unrolled: 2-line block ×6, first 2 shown]
	s_waitcnt vmcnt(0)
	buffer_store_dword v107, v0, s[0:3], 0 offen
.LBB112_332:
	v_mov_b32_e32 v0, 0
	global_load_dword v1, v0, s[12:13] offset:140
	s_waitcnt vmcnt(0)
	v_add_nc_u32_e32 v1, -1, v1
	v_cmp_eq_u32_e32 vcc_lo, 35, v1
	s_cbranch_vccnz .LBB112_334
; %bb.333:
	v_lshlrev_b32_e32 v1, 4, v1
	v_mov_b32_e32 v2, s25
	v_add_nc_u32_e32 v1, 16, v1
	s_clause 0x7
	buffer_load_dword v3, v1, s[0:3], 0 offen
	buffer_load_dword v4, v1, s[0:3], 0 offen offset:4
	buffer_load_dword v5, v1, s[0:3], 0 offen offset:8
	;; [unrolled: 1-line block ×6, first 2 shown]
	buffer_load_dword v108, v2, s[0:3], 0 offen
	s_waitcnt vmcnt(7)
	buffer_store_dword v3, v2, s[0:3], 0 offen
	s_waitcnt vmcnt(6)
	buffer_store_dword v4, v2, s[0:3], 0 offen offset:4
	s_waitcnt vmcnt(5)
	buffer_store_dword v5, v2, s[0:3], 0 offen offset:8
	;; [unrolled: 2-line block ×6, first 2 shown]
	s_waitcnt vmcnt(0)
	buffer_store_dword v108, v1, s[0:3], 0 offen
.LBB112_334:
	global_load_dword v0, v0, s[12:13] offset:136
	s_waitcnt vmcnt(0)
	v_add_nc_u32_e32 v0, -1, v0
	v_cmp_eq_u32_e32 vcc_lo, 34, v0
	s_cbranch_vccnz .LBB112_336
; %bb.335:
	v_lshlrev_b32_e32 v0, 4, v0
	v_mov_b32_e32 v1, s26
	v_add_nc_u32_e32 v0, 16, v0
	s_clause 0x7
	buffer_load_dword v2, v0, s[0:3], 0 offen
	buffer_load_dword v3, v0, s[0:3], 0 offen offset:4
	buffer_load_dword v4, v0, s[0:3], 0 offen offset:8
	;; [unrolled: 1-line block ×6, first 2 shown]
	buffer_load_dword v107, v1, s[0:3], 0 offen
	s_waitcnt vmcnt(7)
	buffer_store_dword v2, v1, s[0:3], 0 offen
	s_waitcnt vmcnt(6)
	buffer_store_dword v3, v1, s[0:3], 0 offen offset:4
	s_waitcnt vmcnt(5)
	buffer_store_dword v4, v1, s[0:3], 0 offen offset:8
	;; [unrolled: 2-line block ×6, first 2 shown]
	s_waitcnt vmcnt(0)
	buffer_store_dword v107, v0, s[0:3], 0 offen
.LBB112_336:
	v_mov_b32_e32 v0, 0
	global_load_dword v1, v0, s[12:13] offset:132
	s_waitcnt vmcnt(0)
	v_add_nc_u32_e32 v1, -1, v1
	v_cmp_eq_u32_e32 vcc_lo, 33, v1
	s_cbranch_vccnz .LBB112_338
; %bb.337:
	v_lshlrev_b32_e32 v1, 4, v1
	v_mov_b32_e32 v2, s27
	v_add_nc_u32_e32 v1, 16, v1
	s_clause 0x7
	buffer_load_dword v3, v1, s[0:3], 0 offen
	buffer_load_dword v4, v1, s[0:3], 0 offen offset:4
	buffer_load_dword v5, v1, s[0:3], 0 offen offset:8
	;; [unrolled: 1-line block ×6, first 2 shown]
	buffer_load_dword v108, v2, s[0:3], 0 offen
	s_waitcnt vmcnt(7)
	buffer_store_dword v3, v2, s[0:3], 0 offen
	s_waitcnt vmcnt(6)
	buffer_store_dword v4, v2, s[0:3], 0 offen offset:4
	s_waitcnt vmcnt(5)
	buffer_store_dword v5, v2, s[0:3], 0 offen offset:8
	s_waitcnt vmcnt(4)
	buffer_store_dword v6, v2, s[0:3], 0 offen offset:12
	s_waitcnt vmcnt(3)
	buffer_store_dword v7, v1, s[0:3], 0 offen offset:12
	s_waitcnt vmcnt(2)
	buffer_store_dword v8, v1, s[0:3], 0 offen offset:8
	s_waitcnt vmcnt(1)
	buffer_store_dword v107, v1, s[0:3], 0 offen offset:4
	s_waitcnt vmcnt(0)
	buffer_store_dword v108, v1, s[0:3], 0 offen
.LBB112_338:
	global_load_dword v0, v0, s[12:13] offset:128
	s_waitcnt vmcnt(0)
	v_add_nc_u32_e32 v0, -1, v0
	v_cmp_eq_u32_e32 vcc_lo, 32, v0
	s_cbranch_vccnz .LBB112_340
; %bb.339:
	v_lshlrev_b32_e32 v0, 4, v0
	v_mov_b32_e32 v1, s28
	v_add_nc_u32_e32 v0, 16, v0
	s_clause 0x7
	buffer_load_dword v2, v0, s[0:3], 0 offen
	buffer_load_dword v3, v0, s[0:3], 0 offen offset:4
	buffer_load_dword v4, v0, s[0:3], 0 offen offset:8
	;; [unrolled: 1-line block ×6, first 2 shown]
	buffer_load_dword v107, v1, s[0:3], 0 offen
	s_waitcnt vmcnt(7)
	buffer_store_dword v2, v1, s[0:3], 0 offen
	s_waitcnt vmcnt(6)
	buffer_store_dword v3, v1, s[0:3], 0 offen offset:4
	s_waitcnt vmcnt(5)
	buffer_store_dword v4, v1, s[0:3], 0 offen offset:8
	;; [unrolled: 2-line block ×6, first 2 shown]
	s_waitcnt vmcnt(0)
	buffer_store_dword v107, v0, s[0:3], 0 offen
.LBB112_340:
	v_mov_b32_e32 v0, 0
	global_load_dword v1, v0, s[12:13] offset:124
	s_waitcnt vmcnt(0)
	v_add_nc_u32_e32 v1, -1, v1
	v_cmp_eq_u32_e32 vcc_lo, 31, v1
	s_cbranch_vccnz .LBB112_342
; %bb.341:
	v_lshlrev_b32_e32 v1, 4, v1
	v_mov_b32_e32 v2, s29
	v_add_nc_u32_e32 v1, 16, v1
	s_clause 0x7
	buffer_load_dword v3, v1, s[0:3], 0 offen
	buffer_load_dword v4, v1, s[0:3], 0 offen offset:4
	buffer_load_dword v5, v1, s[0:3], 0 offen offset:8
	;; [unrolled: 1-line block ×6, first 2 shown]
	buffer_load_dword v108, v2, s[0:3], 0 offen
	s_waitcnt vmcnt(7)
	buffer_store_dword v3, v2, s[0:3], 0 offen
	s_waitcnt vmcnt(6)
	buffer_store_dword v4, v2, s[0:3], 0 offen offset:4
	s_waitcnt vmcnt(5)
	buffer_store_dword v5, v2, s[0:3], 0 offen offset:8
	;; [unrolled: 2-line block ×6, first 2 shown]
	s_waitcnt vmcnt(0)
	buffer_store_dword v108, v1, s[0:3], 0 offen
.LBB112_342:
	global_load_dword v0, v0, s[12:13] offset:120
	s_waitcnt vmcnt(0)
	v_add_nc_u32_e32 v0, -1, v0
	v_cmp_eq_u32_e32 vcc_lo, 30, v0
	s_cbranch_vccnz .LBB112_344
; %bb.343:
	v_lshlrev_b32_e32 v0, 4, v0
	v_mov_b32_e32 v1, s30
	v_add_nc_u32_e32 v0, 16, v0
	s_clause 0x7
	buffer_load_dword v2, v0, s[0:3], 0 offen
	buffer_load_dword v3, v0, s[0:3], 0 offen offset:4
	buffer_load_dword v4, v0, s[0:3], 0 offen offset:8
	;; [unrolled: 1-line block ×6, first 2 shown]
	buffer_load_dword v107, v1, s[0:3], 0 offen
	s_waitcnt vmcnt(7)
	buffer_store_dword v2, v1, s[0:3], 0 offen
	s_waitcnt vmcnt(6)
	buffer_store_dword v3, v1, s[0:3], 0 offen offset:4
	s_waitcnt vmcnt(5)
	buffer_store_dword v4, v1, s[0:3], 0 offen offset:8
	;; [unrolled: 2-line block ×6, first 2 shown]
	s_waitcnt vmcnt(0)
	buffer_store_dword v107, v0, s[0:3], 0 offen
.LBB112_344:
	v_mov_b32_e32 v0, 0
	global_load_dword v1, v0, s[12:13] offset:116
	s_waitcnt vmcnt(0)
	v_add_nc_u32_e32 v1, -1, v1
	v_cmp_eq_u32_e32 vcc_lo, 29, v1
	s_cbranch_vccnz .LBB112_346
; %bb.345:
	v_lshlrev_b32_e32 v1, 4, v1
	v_mov_b32_e32 v2, s31
	v_add_nc_u32_e32 v1, 16, v1
	s_clause 0x7
	buffer_load_dword v3, v1, s[0:3], 0 offen
	buffer_load_dword v4, v1, s[0:3], 0 offen offset:4
	buffer_load_dword v5, v1, s[0:3], 0 offen offset:8
	;; [unrolled: 1-line block ×6, first 2 shown]
	buffer_load_dword v108, v2, s[0:3], 0 offen
	s_waitcnt vmcnt(7)
	buffer_store_dword v3, v2, s[0:3], 0 offen
	s_waitcnt vmcnt(6)
	buffer_store_dword v4, v2, s[0:3], 0 offen offset:4
	s_waitcnt vmcnt(5)
	buffer_store_dword v5, v2, s[0:3], 0 offen offset:8
	;; [unrolled: 2-line block ×6, first 2 shown]
	s_waitcnt vmcnt(0)
	buffer_store_dword v108, v1, s[0:3], 0 offen
.LBB112_346:
	global_load_dword v0, v0, s[12:13] offset:112
	s_waitcnt vmcnt(0)
	v_add_nc_u32_e32 v0, -1, v0
	v_cmp_eq_u32_e32 vcc_lo, 28, v0
	s_cbranch_vccnz .LBB112_348
; %bb.347:
	v_lshlrev_b32_e32 v0, 4, v0
	v_mov_b32_e32 v1, s33
	v_add_nc_u32_e32 v0, 16, v0
	s_clause 0x7
	buffer_load_dword v2, v0, s[0:3], 0 offen
	buffer_load_dword v3, v0, s[0:3], 0 offen offset:4
	buffer_load_dword v4, v0, s[0:3], 0 offen offset:8
	;; [unrolled: 1-line block ×6, first 2 shown]
	buffer_load_dword v107, v1, s[0:3], 0 offen
	s_waitcnt vmcnt(7)
	buffer_store_dword v2, v1, s[0:3], 0 offen
	s_waitcnt vmcnt(6)
	buffer_store_dword v3, v1, s[0:3], 0 offen offset:4
	s_waitcnt vmcnt(5)
	buffer_store_dword v4, v1, s[0:3], 0 offen offset:8
	;; [unrolled: 2-line block ×6, first 2 shown]
	s_waitcnt vmcnt(0)
	buffer_store_dword v107, v0, s[0:3], 0 offen
.LBB112_348:
	v_mov_b32_e32 v0, 0
	global_load_dword v1, v0, s[12:13] offset:108
	s_waitcnt vmcnt(0)
	v_add_nc_u32_e32 v1, -1, v1
	v_cmp_eq_u32_e32 vcc_lo, 27, v1
	s_cbranch_vccnz .LBB112_350
; %bb.349:
	v_lshlrev_b32_e32 v1, 4, v1
	v_mov_b32_e32 v2, s34
	v_add_nc_u32_e32 v1, 16, v1
	s_clause 0x7
	buffer_load_dword v3, v1, s[0:3], 0 offen
	buffer_load_dword v4, v1, s[0:3], 0 offen offset:4
	buffer_load_dword v5, v1, s[0:3], 0 offen offset:8
	;; [unrolled: 1-line block ×6, first 2 shown]
	buffer_load_dword v108, v2, s[0:3], 0 offen
	s_waitcnt vmcnt(7)
	buffer_store_dword v3, v2, s[0:3], 0 offen
	s_waitcnt vmcnt(6)
	buffer_store_dword v4, v2, s[0:3], 0 offen offset:4
	s_waitcnt vmcnt(5)
	buffer_store_dword v5, v2, s[0:3], 0 offen offset:8
	;; [unrolled: 2-line block ×6, first 2 shown]
	s_waitcnt vmcnt(0)
	buffer_store_dword v108, v1, s[0:3], 0 offen
.LBB112_350:
	global_load_dword v0, v0, s[12:13] offset:104
	s_waitcnt vmcnt(0)
	v_add_nc_u32_e32 v0, -1, v0
	v_cmp_eq_u32_e32 vcc_lo, 26, v0
	s_cbranch_vccnz .LBB112_352
; %bb.351:
	v_lshlrev_b32_e32 v0, 4, v0
	v_mov_b32_e32 v1, s35
	v_add_nc_u32_e32 v0, 16, v0
	s_clause 0x7
	buffer_load_dword v2, v0, s[0:3], 0 offen
	buffer_load_dword v3, v0, s[0:3], 0 offen offset:4
	buffer_load_dword v4, v0, s[0:3], 0 offen offset:8
	;; [unrolled: 1-line block ×6, first 2 shown]
	buffer_load_dword v107, v1, s[0:3], 0 offen
	s_waitcnt vmcnt(7)
	buffer_store_dword v2, v1, s[0:3], 0 offen
	s_waitcnt vmcnt(6)
	buffer_store_dword v3, v1, s[0:3], 0 offen offset:4
	s_waitcnt vmcnt(5)
	buffer_store_dword v4, v1, s[0:3], 0 offen offset:8
	;; [unrolled: 2-line block ×6, first 2 shown]
	s_waitcnt vmcnt(0)
	buffer_store_dword v107, v0, s[0:3], 0 offen
.LBB112_352:
	v_mov_b32_e32 v0, 0
	global_load_dword v1, v0, s[12:13] offset:100
	s_waitcnt vmcnt(0)
	v_add_nc_u32_e32 v1, -1, v1
	v_cmp_eq_u32_e32 vcc_lo, 25, v1
	s_cbranch_vccnz .LBB112_354
; %bb.353:
	v_lshlrev_b32_e32 v1, 4, v1
	v_mov_b32_e32 v2, s36
	v_add_nc_u32_e32 v1, 16, v1
	s_clause 0x7
	buffer_load_dword v3, v1, s[0:3], 0 offen
	buffer_load_dword v4, v1, s[0:3], 0 offen offset:4
	buffer_load_dword v5, v1, s[0:3], 0 offen offset:8
	;; [unrolled: 1-line block ×6, first 2 shown]
	buffer_load_dword v108, v2, s[0:3], 0 offen
	s_waitcnt vmcnt(7)
	buffer_store_dword v3, v2, s[0:3], 0 offen
	s_waitcnt vmcnt(6)
	buffer_store_dword v4, v2, s[0:3], 0 offen offset:4
	s_waitcnt vmcnt(5)
	buffer_store_dword v5, v2, s[0:3], 0 offen offset:8
	;; [unrolled: 2-line block ×6, first 2 shown]
	s_waitcnt vmcnt(0)
	buffer_store_dword v108, v1, s[0:3], 0 offen
.LBB112_354:
	global_load_dword v0, v0, s[12:13] offset:96
	s_waitcnt vmcnt(0)
	v_add_nc_u32_e32 v0, -1, v0
	v_cmp_eq_u32_e32 vcc_lo, 24, v0
	s_cbranch_vccnz .LBB112_356
; %bb.355:
	v_lshlrev_b32_e32 v0, 4, v0
	v_mov_b32_e32 v1, s37
	v_add_nc_u32_e32 v0, 16, v0
	s_clause 0x7
	buffer_load_dword v2, v0, s[0:3], 0 offen
	buffer_load_dword v3, v0, s[0:3], 0 offen offset:4
	buffer_load_dword v4, v0, s[0:3], 0 offen offset:8
	;; [unrolled: 1-line block ×6, first 2 shown]
	buffer_load_dword v107, v1, s[0:3], 0 offen
	s_waitcnt vmcnt(7)
	buffer_store_dword v2, v1, s[0:3], 0 offen
	s_waitcnt vmcnt(6)
	buffer_store_dword v3, v1, s[0:3], 0 offen offset:4
	s_waitcnt vmcnt(5)
	buffer_store_dword v4, v1, s[0:3], 0 offen offset:8
	;; [unrolled: 2-line block ×6, first 2 shown]
	s_waitcnt vmcnt(0)
	buffer_store_dword v107, v0, s[0:3], 0 offen
.LBB112_356:
	v_mov_b32_e32 v0, 0
	global_load_dword v1, v0, s[12:13] offset:92
	s_waitcnt vmcnt(0)
	v_add_nc_u32_e32 v1, -1, v1
	v_cmp_eq_u32_e32 vcc_lo, 23, v1
	s_cbranch_vccnz .LBB112_358
; %bb.357:
	v_lshlrev_b32_e32 v1, 4, v1
	v_mov_b32_e32 v2, s38
	v_add_nc_u32_e32 v1, 16, v1
	s_clause 0x7
	buffer_load_dword v3, v1, s[0:3], 0 offen
	buffer_load_dword v4, v1, s[0:3], 0 offen offset:4
	buffer_load_dword v5, v1, s[0:3], 0 offen offset:8
	buffer_load_dword v6, v1, s[0:3], 0 offen offset:12
	buffer_load_dword v7, v2, s[0:3], 0 offen offset:12
	buffer_load_dword v8, v2, s[0:3], 0 offen offset:8
	buffer_load_dword v107, v2, s[0:3], 0 offen offset:4
	buffer_load_dword v108, v2, s[0:3], 0 offen
	s_waitcnt vmcnt(7)
	buffer_store_dword v3, v2, s[0:3], 0 offen
	s_waitcnt vmcnt(6)
	buffer_store_dword v4, v2, s[0:3], 0 offen offset:4
	s_waitcnt vmcnt(5)
	buffer_store_dword v5, v2, s[0:3], 0 offen offset:8
	;; [unrolled: 2-line block ×6, first 2 shown]
	s_waitcnt vmcnt(0)
	buffer_store_dword v108, v1, s[0:3], 0 offen
.LBB112_358:
	global_load_dword v0, v0, s[12:13] offset:88
	s_waitcnt vmcnt(0)
	v_add_nc_u32_e32 v0, -1, v0
	v_cmp_eq_u32_e32 vcc_lo, 22, v0
	s_cbranch_vccnz .LBB112_360
; %bb.359:
	v_lshlrev_b32_e32 v0, 4, v0
	v_mov_b32_e32 v1, s39
	v_add_nc_u32_e32 v0, 16, v0
	s_clause 0x7
	buffer_load_dword v2, v0, s[0:3], 0 offen
	buffer_load_dword v3, v0, s[0:3], 0 offen offset:4
	buffer_load_dword v4, v0, s[0:3], 0 offen offset:8
	;; [unrolled: 1-line block ×6, first 2 shown]
	buffer_load_dword v107, v1, s[0:3], 0 offen
	s_waitcnt vmcnt(7)
	buffer_store_dword v2, v1, s[0:3], 0 offen
	s_waitcnt vmcnt(6)
	buffer_store_dword v3, v1, s[0:3], 0 offen offset:4
	s_waitcnt vmcnt(5)
	buffer_store_dword v4, v1, s[0:3], 0 offen offset:8
	;; [unrolled: 2-line block ×6, first 2 shown]
	s_waitcnt vmcnt(0)
	buffer_store_dword v107, v0, s[0:3], 0 offen
.LBB112_360:
	v_mov_b32_e32 v0, 0
	global_load_dword v1, v0, s[12:13] offset:84
	s_waitcnt vmcnt(0)
	v_add_nc_u32_e32 v1, -1, v1
	v_cmp_eq_u32_e32 vcc_lo, 21, v1
	s_cbranch_vccnz .LBB112_362
; %bb.361:
	v_lshlrev_b32_e32 v1, 4, v1
	v_mov_b32_e32 v2, s40
	v_add_nc_u32_e32 v1, 16, v1
	s_clause 0x7
	buffer_load_dword v3, v1, s[0:3], 0 offen
	buffer_load_dword v4, v1, s[0:3], 0 offen offset:4
	buffer_load_dword v5, v1, s[0:3], 0 offen offset:8
	;; [unrolled: 1-line block ×6, first 2 shown]
	buffer_load_dword v108, v2, s[0:3], 0 offen
	s_waitcnt vmcnt(7)
	buffer_store_dword v3, v2, s[0:3], 0 offen
	s_waitcnt vmcnt(6)
	buffer_store_dword v4, v2, s[0:3], 0 offen offset:4
	s_waitcnt vmcnt(5)
	buffer_store_dword v5, v2, s[0:3], 0 offen offset:8
	;; [unrolled: 2-line block ×6, first 2 shown]
	s_waitcnt vmcnt(0)
	buffer_store_dword v108, v1, s[0:3], 0 offen
.LBB112_362:
	global_load_dword v0, v0, s[12:13] offset:80
	s_waitcnt vmcnt(0)
	v_add_nc_u32_e32 v0, -1, v0
	v_cmp_eq_u32_e32 vcc_lo, 20, v0
	s_cbranch_vccnz .LBB112_364
; %bb.363:
	v_lshlrev_b32_e32 v0, 4, v0
	v_mov_b32_e32 v1, s41
	v_add_nc_u32_e32 v0, 16, v0
	s_clause 0x7
	buffer_load_dword v2, v0, s[0:3], 0 offen
	buffer_load_dword v3, v0, s[0:3], 0 offen offset:4
	buffer_load_dword v4, v0, s[0:3], 0 offen offset:8
	;; [unrolled: 1-line block ×6, first 2 shown]
	buffer_load_dword v107, v1, s[0:3], 0 offen
	s_waitcnt vmcnt(7)
	buffer_store_dword v2, v1, s[0:3], 0 offen
	s_waitcnt vmcnt(6)
	buffer_store_dword v3, v1, s[0:3], 0 offen offset:4
	s_waitcnt vmcnt(5)
	buffer_store_dword v4, v1, s[0:3], 0 offen offset:8
	;; [unrolled: 2-line block ×6, first 2 shown]
	s_waitcnt vmcnt(0)
	buffer_store_dword v107, v0, s[0:3], 0 offen
.LBB112_364:
	v_mov_b32_e32 v0, 0
	global_load_dword v1, v0, s[12:13] offset:76
	s_waitcnt vmcnt(0)
	v_add_nc_u32_e32 v1, -1, v1
	v_cmp_eq_u32_e32 vcc_lo, 19, v1
	s_cbranch_vccnz .LBB112_366
; %bb.365:
	v_lshlrev_b32_e32 v1, 4, v1
	v_mov_b32_e32 v2, s42
	v_add_nc_u32_e32 v1, 16, v1
	s_clause 0x7
	buffer_load_dword v3, v1, s[0:3], 0 offen
	buffer_load_dword v4, v1, s[0:3], 0 offen offset:4
	buffer_load_dword v5, v1, s[0:3], 0 offen offset:8
	;; [unrolled: 1-line block ×6, first 2 shown]
	buffer_load_dword v108, v2, s[0:3], 0 offen
	s_waitcnt vmcnt(7)
	buffer_store_dword v3, v2, s[0:3], 0 offen
	s_waitcnt vmcnt(6)
	buffer_store_dword v4, v2, s[0:3], 0 offen offset:4
	s_waitcnt vmcnt(5)
	buffer_store_dword v5, v2, s[0:3], 0 offen offset:8
	;; [unrolled: 2-line block ×6, first 2 shown]
	s_waitcnt vmcnt(0)
	buffer_store_dword v108, v1, s[0:3], 0 offen
.LBB112_366:
	global_load_dword v0, v0, s[12:13] offset:72
	s_waitcnt vmcnt(0)
	v_add_nc_u32_e32 v0, -1, v0
	v_cmp_eq_u32_e32 vcc_lo, 18, v0
	s_cbranch_vccnz .LBB112_368
; %bb.367:
	v_lshlrev_b32_e32 v0, 4, v0
	v_mov_b32_e32 v1, s43
	v_add_nc_u32_e32 v0, 16, v0
	s_clause 0x7
	buffer_load_dword v2, v0, s[0:3], 0 offen
	buffer_load_dword v3, v0, s[0:3], 0 offen offset:4
	buffer_load_dword v4, v0, s[0:3], 0 offen offset:8
	;; [unrolled: 1-line block ×6, first 2 shown]
	buffer_load_dword v107, v1, s[0:3], 0 offen
	s_waitcnt vmcnt(7)
	buffer_store_dword v2, v1, s[0:3], 0 offen
	s_waitcnt vmcnt(6)
	buffer_store_dword v3, v1, s[0:3], 0 offen offset:4
	s_waitcnt vmcnt(5)
	buffer_store_dword v4, v1, s[0:3], 0 offen offset:8
	;; [unrolled: 2-line block ×6, first 2 shown]
	s_waitcnt vmcnt(0)
	buffer_store_dword v107, v0, s[0:3], 0 offen
.LBB112_368:
	v_mov_b32_e32 v0, 0
	global_load_dword v1, v0, s[12:13] offset:68
	s_waitcnt vmcnt(0)
	v_add_nc_u32_e32 v1, -1, v1
	v_cmp_eq_u32_e32 vcc_lo, 17, v1
	s_cbranch_vccnz .LBB112_370
; %bb.369:
	v_lshlrev_b32_e32 v1, 4, v1
	v_mov_b32_e32 v2, s44
	v_add_nc_u32_e32 v1, 16, v1
	s_clause 0x7
	buffer_load_dword v3, v1, s[0:3], 0 offen
	buffer_load_dword v4, v1, s[0:3], 0 offen offset:4
	buffer_load_dword v5, v1, s[0:3], 0 offen offset:8
	;; [unrolled: 1-line block ×6, first 2 shown]
	buffer_load_dword v108, v2, s[0:3], 0 offen
	s_waitcnt vmcnt(7)
	buffer_store_dword v3, v2, s[0:3], 0 offen
	s_waitcnt vmcnt(6)
	buffer_store_dword v4, v2, s[0:3], 0 offen offset:4
	s_waitcnt vmcnt(5)
	buffer_store_dword v5, v2, s[0:3], 0 offen offset:8
	;; [unrolled: 2-line block ×6, first 2 shown]
	s_waitcnt vmcnt(0)
	buffer_store_dword v108, v1, s[0:3], 0 offen
.LBB112_370:
	global_load_dword v0, v0, s[12:13] offset:64
	s_waitcnt vmcnt(0)
	v_add_nc_u32_e32 v0, -1, v0
	v_cmp_eq_u32_e32 vcc_lo, 16, v0
	s_cbranch_vccnz .LBB112_372
; %bb.371:
	v_lshlrev_b32_e32 v0, 4, v0
	v_mov_b32_e32 v1, s45
	v_add_nc_u32_e32 v0, 16, v0
	s_clause 0x7
	buffer_load_dword v2, v0, s[0:3], 0 offen
	buffer_load_dword v3, v0, s[0:3], 0 offen offset:4
	buffer_load_dword v4, v0, s[0:3], 0 offen offset:8
	;; [unrolled: 1-line block ×6, first 2 shown]
	buffer_load_dword v107, v1, s[0:3], 0 offen
	s_waitcnt vmcnt(7)
	buffer_store_dword v2, v1, s[0:3], 0 offen
	s_waitcnt vmcnt(6)
	buffer_store_dword v3, v1, s[0:3], 0 offen offset:4
	s_waitcnt vmcnt(5)
	buffer_store_dword v4, v1, s[0:3], 0 offen offset:8
	;; [unrolled: 2-line block ×6, first 2 shown]
	s_waitcnt vmcnt(0)
	buffer_store_dword v107, v0, s[0:3], 0 offen
.LBB112_372:
	v_mov_b32_e32 v0, 0
	global_load_dword v1, v0, s[12:13] offset:60
	s_waitcnt vmcnt(0)
	v_add_nc_u32_e32 v1, -1, v1
	v_cmp_eq_u32_e32 vcc_lo, 15, v1
	s_cbranch_vccnz .LBB112_374
; %bb.373:
	v_lshlrev_b32_e32 v1, 4, v1
	v_mov_b32_e32 v2, s46
	v_add_nc_u32_e32 v1, 16, v1
	s_clause 0x7
	buffer_load_dword v3, v1, s[0:3], 0 offen
	buffer_load_dword v4, v1, s[0:3], 0 offen offset:4
	buffer_load_dword v5, v1, s[0:3], 0 offen offset:8
	;; [unrolled: 1-line block ×6, first 2 shown]
	buffer_load_dword v108, v2, s[0:3], 0 offen
	s_waitcnt vmcnt(7)
	buffer_store_dword v3, v2, s[0:3], 0 offen
	s_waitcnt vmcnt(6)
	buffer_store_dword v4, v2, s[0:3], 0 offen offset:4
	s_waitcnt vmcnt(5)
	buffer_store_dword v5, v2, s[0:3], 0 offen offset:8
	;; [unrolled: 2-line block ×6, first 2 shown]
	s_waitcnt vmcnt(0)
	buffer_store_dword v108, v1, s[0:3], 0 offen
.LBB112_374:
	global_load_dword v0, v0, s[12:13] offset:56
	s_waitcnt vmcnt(0)
	v_add_nc_u32_e32 v0, -1, v0
	v_cmp_eq_u32_e32 vcc_lo, 14, v0
	s_cbranch_vccnz .LBB112_376
; %bb.375:
	v_lshlrev_b32_e32 v0, 4, v0
	v_mov_b32_e32 v1, s47
	v_add_nc_u32_e32 v0, 16, v0
	s_clause 0x7
	buffer_load_dword v2, v0, s[0:3], 0 offen
	buffer_load_dword v3, v0, s[0:3], 0 offen offset:4
	buffer_load_dword v4, v0, s[0:3], 0 offen offset:8
	;; [unrolled: 1-line block ×6, first 2 shown]
	buffer_load_dword v107, v1, s[0:3], 0 offen
	s_waitcnt vmcnt(7)
	buffer_store_dword v2, v1, s[0:3], 0 offen
	s_waitcnt vmcnt(6)
	buffer_store_dword v3, v1, s[0:3], 0 offen offset:4
	s_waitcnt vmcnt(5)
	buffer_store_dword v4, v1, s[0:3], 0 offen offset:8
	;; [unrolled: 2-line block ×6, first 2 shown]
	s_waitcnt vmcnt(0)
	buffer_store_dword v107, v0, s[0:3], 0 offen
.LBB112_376:
	v_mov_b32_e32 v0, 0
	global_load_dword v1, v0, s[12:13] offset:52
	s_waitcnt vmcnt(0)
	v_add_nc_u32_e32 v1, -1, v1
	v_cmp_eq_u32_e32 vcc_lo, 13, v1
	s_cbranch_vccnz .LBB112_378
; %bb.377:
	v_lshlrev_b32_e32 v1, 4, v1
	v_mov_b32_e32 v2, s48
	v_add_nc_u32_e32 v1, 16, v1
	s_clause 0x7
	buffer_load_dword v3, v1, s[0:3], 0 offen
	buffer_load_dword v4, v1, s[0:3], 0 offen offset:4
	buffer_load_dword v5, v1, s[0:3], 0 offen offset:8
	;; [unrolled: 1-line block ×6, first 2 shown]
	buffer_load_dword v108, v2, s[0:3], 0 offen
	s_waitcnt vmcnt(7)
	buffer_store_dword v3, v2, s[0:3], 0 offen
	s_waitcnt vmcnt(6)
	buffer_store_dword v4, v2, s[0:3], 0 offen offset:4
	s_waitcnt vmcnt(5)
	buffer_store_dword v5, v2, s[0:3], 0 offen offset:8
	;; [unrolled: 2-line block ×6, first 2 shown]
	s_waitcnt vmcnt(0)
	buffer_store_dword v108, v1, s[0:3], 0 offen
.LBB112_378:
	global_load_dword v0, v0, s[12:13] offset:48
	s_waitcnt vmcnt(0)
	v_add_nc_u32_e32 v0, -1, v0
	v_cmp_eq_u32_e32 vcc_lo, 12, v0
	s_cbranch_vccnz .LBB112_380
; %bb.379:
	v_lshlrev_b32_e32 v0, 4, v0
	v_mov_b32_e32 v1, s49
	v_add_nc_u32_e32 v0, 16, v0
	s_clause 0x7
	buffer_load_dword v2, v0, s[0:3], 0 offen
	buffer_load_dword v3, v0, s[0:3], 0 offen offset:4
	buffer_load_dword v4, v0, s[0:3], 0 offen offset:8
	;; [unrolled: 1-line block ×6, first 2 shown]
	buffer_load_dword v107, v1, s[0:3], 0 offen
	s_waitcnt vmcnt(7)
	buffer_store_dword v2, v1, s[0:3], 0 offen
	s_waitcnt vmcnt(6)
	buffer_store_dword v3, v1, s[0:3], 0 offen offset:4
	s_waitcnt vmcnt(5)
	buffer_store_dword v4, v1, s[0:3], 0 offen offset:8
	;; [unrolled: 2-line block ×6, first 2 shown]
	s_waitcnt vmcnt(0)
	buffer_store_dword v107, v0, s[0:3], 0 offen
.LBB112_380:
	v_mov_b32_e32 v0, 0
	global_load_dword v1, v0, s[12:13] offset:44
	s_waitcnt vmcnt(0)
	v_add_nc_u32_e32 v1, -1, v1
	v_cmp_eq_u32_e32 vcc_lo, 11, v1
	s_cbranch_vccnz .LBB112_382
; %bb.381:
	v_lshlrev_b32_e32 v1, 4, v1
	v_mov_b32_e32 v2, s50
	v_add_nc_u32_e32 v1, 16, v1
	s_clause 0x7
	buffer_load_dword v3, v1, s[0:3], 0 offen
	buffer_load_dword v4, v1, s[0:3], 0 offen offset:4
	buffer_load_dword v5, v1, s[0:3], 0 offen offset:8
	;; [unrolled: 1-line block ×6, first 2 shown]
	buffer_load_dword v108, v2, s[0:3], 0 offen
	s_waitcnt vmcnt(7)
	buffer_store_dword v3, v2, s[0:3], 0 offen
	s_waitcnt vmcnt(6)
	buffer_store_dword v4, v2, s[0:3], 0 offen offset:4
	s_waitcnt vmcnt(5)
	buffer_store_dword v5, v2, s[0:3], 0 offen offset:8
	;; [unrolled: 2-line block ×6, first 2 shown]
	s_waitcnt vmcnt(0)
	buffer_store_dword v108, v1, s[0:3], 0 offen
.LBB112_382:
	global_load_dword v0, v0, s[12:13] offset:40
	s_waitcnt vmcnt(0)
	v_add_nc_u32_e32 v0, -1, v0
	v_cmp_eq_u32_e32 vcc_lo, 10, v0
	s_cbranch_vccnz .LBB112_384
; %bb.383:
	v_lshlrev_b32_e32 v0, 4, v0
	v_mov_b32_e32 v1, s51
	v_add_nc_u32_e32 v0, 16, v0
	s_clause 0x7
	buffer_load_dword v2, v0, s[0:3], 0 offen
	buffer_load_dword v3, v0, s[0:3], 0 offen offset:4
	buffer_load_dword v4, v0, s[0:3], 0 offen offset:8
	;; [unrolled: 1-line block ×6, first 2 shown]
	buffer_load_dword v107, v1, s[0:3], 0 offen
	s_waitcnt vmcnt(7)
	buffer_store_dword v2, v1, s[0:3], 0 offen
	s_waitcnt vmcnt(6)
	buffer_store_dword v3, v1, s[0:3], 0 offen offset:4
	s_waitcnt vmcnt(5)
	buffer_store_dword v4, v1, s[0:3], 0 offen offset:8
	;; [unrolled: 2-line block ×6, first 2 shown]
	s_waitcnt vmcnt(0)
	buffer_store_dword v107, v0, s[0:3], 0 offen
.LBB112_384:
	v_mov_b32_e32 v0, 0
	global_load_dword v1, v0, s[12:13] offset:36
	s_waitcnt vmcnt(0)
	v_add_nc_u32_e32 v1, -1, v1
	v_cmp_eq_u32_e32 vcc_lo, 9, v1
	s_cbranch_vccnz .LBB112_386
; %bb.385:
	v_lshlrev_b32_e32 v1, 4, v1
	v_mov_b32_e32 v2, s52
	v_add_nc_u32_e32 v1, 16, v1
	s_clause 0x7
	buffer_load_dword v3, v1, s[0:3], 0 offen
	buffer_load_dword v4, v1, s[0:3], 0 offen offset:4
	buffer_load_dword v5, v1, s[0:3], 0 offen offset:8
	buffer_load_dword v6, v1, s[0:3], 0 offen offset:12
	buffer_load_dword v7, v2, s[0:3], 0 offen offset:12
	buffer_load_dword v8, v2, s[0:3], 0 offen offset:8
	buffer_load_dword v107, v2, s[0:3], 0 offen offset:4
	buffer_load_dword v108, v2, s[0:3], 0 offen
	s_waitcnt vmcnt(7)
	buffer_store_dword v3, v2, s[0:3], 0 offen
	s_waitcnt vmcnt(6)
	buffer_store_dword v4, v2, s[0:3], 0 offen offset:4
	s_waitcnt vmcnt(5)
	buffer_store_dword v5, v2, s[0:3], 0 offen offset:8
	;; [unrolled: 2-line block ×6, first 2 shown]
	s_waitcnt vmcnt(0)
	buffer_store_dword v108, v1, s[0:3], 0 offen
.LBB112_386:
	global_load_dword v0, v0, s[12:13] offset:32
	s_waitcnt vmcnt(0)
	v_add_nc_u32_e32 v0, -1, v0
	v_cmp_eq_u32_e32 vcc_lo, 8, v0
	s_cbranch_vccnz .LBB112_388
; %bb.387:
	v_lshlrev_b32_e32 v0, 4, v0
	v_mov_b32_e32 v1, s53
	v_add_nc_u32_e32 v0, 16, v0
	s_clause 0x7
	buffer_load_dword v2, v0, s[0:3], 0 offen
	buffer_load_dword v3, v0, s[0:3], 0 offen offset:4
	buffer_load_dword v4, v0, s[0:3], 0 offen offset:8
	;; [unrolled: 1-line block ×6, first 2 shown]
	buffer_load_dword v107, v1, s[0:3], 0 offen
	s_waitcnt vmcnt(7)
	buffer_store_dword v2, v1, s[0:3], 0 offen
	s_waitcnt vmcnt(6)
	buffer_store_dword v3, v1, s[0:3], 0 offen offset:4
	s_waitcnt vmcnt(5)
	buffer_store_dword v4, v1, s[0:3], 0 offen offset:8
	;; [unrolled: 2-line block ×6, first 2 shown]
	s_waitcnt vmcnt(0)
	buffer_store_dword v107, v0, s[0:3], 0 offen
.LBB112_388:
	v_mov_b32_e32 v0, 0
	global_load_dword v1, v0, s[12:13] offset:28
	s_waitcnt vmcnt(0)
	v_add_nc_u32_e32 v1, -1, v1
	v_cmp_eq_u32_e32 vcc_lo, 7, v1
	s_cbranch_vccnz .LBB112_390
; %bb.389:
	v_lshlrev_b32_e32 v1, 4, v1
	v_mov_b32_e32 v2, s54
	v_add_nc_u32_e32 v1, 16, v1
	s_clause 0x7
	buffer_load_dword v3, v1, s[0:3], 0 offen
	buffer_load_dword v4, v1, s[0:3], 0 offen offset:4
	buffer_load_dword v5, v1, s[0:3], 0 offen offset:8
	;; [unrolled: 1-line block ×6, first 2 shown]
	buffer_load_dword v108, v2, s[0:3], 0 offen
	s_waitcnt vmcnt(7)
	buffer_store_dword v3, v2, s[0:3], 0 offen
	s_waitcnt vmcnt(6)
	buffer_store_dword v4, v2, s[0:3], 0 offen offset:4
	s_waitcnt vmcnt(5)
	buffer_store_dword v5, v2, s[0:3], 0 offen offset:8
	;; [unrolled: 2-line block ×6, first 2 shown]
	s_waitcnt vmcnt(0)
	buffer_store_dword v108, v1, s[0:3], 0 offen
.LBB112_390:
	global_load_dword v0, v0, s[12:13] offset:24
	s_waitcnt vmcnt(0)
	v_add_nc_u32_e32 v0, -1, v0
	v_cmp_eq_u32_e32 vcc_lo, 6, v0
	s_cbranch_vccnz .LBB112_392
; %bb.391:
	v_lshlrev_b32_e32 v0, 4, v0
	v_mov_b32_e32 v1, s55
	v_add_nc_u32_e32 v0, 16, v0
	s_clause 0x7
	buffer_load_dword v2, v0, s[0:3], 0 offen
	buffer_load_dword v3, v0, s[0:3], 0 offen offset:4
	buffer_load_dword v4, v0, s[0:3], 0 offen offset:8
	buffer_load_dword v5, v0, s[0:3], 0 offen offset:12
	buffer_load_dword v6, v1, s[0:3], 0 offen offset:12
	buffer_load_dword v7, v1, s[0:3], 0 offen offset:8
	buffer_load_dword v8, v1, s[0:3], 0 offen offset:4
	buffer_load_dword v107, v1, s[0:3], 0 offen
	s_waitcnt vmcnt(7)
	buffer_store_dword v2, v1, s[0:3], 0 offen
	s_waitcnt vmcnt(6)
	buffer_store_dword v3, v1, s[0:3], 0 offen offset:4
	s_waitcnt vmcnt(5)
	buffer_store_dword v4, v1, s[0:3], 0 offen offset:8
	;; [unrolled: 2-line block ×6, first 2 shown]
	s_waitcnt vmcnt(0)
	buffer_store_dword v107, v0, s[0:3], 0 offen
.LBB112_392:
	v_mov_b32_e32 v0, 0
	global_load_dword v1, v0, s[12:13] offset:20
	s_waitcnt vmcnt(0)
	v_add_nc_u32_e32 v1, -1, v1
	v_cmp_eq_u32_e32 vcc_lo, 5, v1
	s_cbranch_vccnz .LBB112_394
; %bb.393:
	v_lshlrev_b32_e32 v1, 4, v1
	v_mov_b32_e32 v2, s56
	v_add_nc_u32_e32 v1, 16, v1
	s_clause 0x7
	buffer_load_dword v3, v1, s[0:3], 0 offen
	buffer_load_dword v4, v1, s[0:3], 0 offen offset:4
	buffer_load_dword v5, v1, s[0:3], 0 offen offset:8
	;; [unrolled: 1-line block ×6, first 2 shown]
	buffer_load_dword v108, v2, s[0:3], 0 offen
	s_waitcnt vmcnt(7)
	buffer_store_dword v3, v2, s[0:3], 0 offen
	s_waitcnt vmcnt(6)
	buffer_store_dword v4, v2, s[0:3], 0 offen offset:4
	s_waitcnt vmcnt(5)
	buffer_store_dword v5, v2, s[0:3], 0 offen offset:8
	;; [unrolled: 2-line block ×6, first 2 shown]
	s_waitcnt vmcnt(0)
	buffer_store_dword v108, v1, s[0:3], 0 offen
.LBB112_394:
	global_load_dword v0, v0, s[12:13] offset:16
	s_waitcnt vmcnt(0)
	v_add_nc_u32_e32 v0, -1, v0
	v_cmp_eq_u32_e32 vcc_lo, 4, v0
	s_cbranch_vccnz .LBB112_396
; %bb.395:
	v_lshlrev_b32_e32 v0, 4, v0
	v_mov_b32_e32 v1, s57
	v_add_nc_u32_e32 v0, 16, v0
	s_clause 0x7
	buffer_load_dword v2, v0, s[0:3], 0 offen
	buffer_load_dword v3, v0, s[0:3], 0 offen offset:4
	buffer_load_dword v4, v0, s[0:3], 0 offen offset:8
	;; [unrolled: 1-line block ×6, first 2 shown]
	buffer_load_dword v107, v1, s[0:3], 0 offen
	s_waitcnt vmcnt(7)
	buffer_store_dword v2, v1, s[0:3], 0 offen
	s_waitcnt vmcnt(6)
	buffer_store_dword v3, v1, s[0:3], 0 offen offset:4
	s_waitcnt vmcnt(5)
	buffer_store_dword v4, v1, s[0:3], 0 offen offset:8
	;; [unrolled: 2-line block ×6, first 2 shown]
	s_waitcnt vmcnt(0)
	buffer_store_dword v107, v0, s[0:3], 0 offen
.LBB112_396:
	v_mov_b32_e32 v0, 0
	global_load_dword v1, v0, s[12:13] offset:12
	s_waitcnt vmcnt(0)
	v_add_nc_u32_e32 v1, -1, v1
	v_cmp_eq_u32_e32 vcc_lo, 3, v1
	s_cbranch_vccnz .LBB112_398
; %bb.397:
	v_lshlrev_b32_e32 v1, 4, v1
	v_mov_b32_e32 v2, s58
	v_add_nc_u32_e32 v1, 16, v1
	s_clause 0x7
	buffer_load_dword v3, v1, s[0:3], 0 offen
	buffer_load_dword v4, v1, s[0:3], 0 offen offset:4
	buffer_load_dword v5, v1, s[0:3], 0 offen offset:8
	;; [unrolled: 1-line block ×6, first 2 shown]
	buffer_load_dword v108, v2, s[0:3], 0 offen
	s_waitcnt vmcnt(7)
	buffer_store_dword v3, v2, s[0:3], 0 offen
	s_waitcnt vmcnt(6)
	buffer_store_dword v4, v2, s[0:3], 0 offen offset:4
	s_waitcnt vmcnt(5)
	buffer_store_dword v5, v2, s[0:3], 0 offen offset:8
	;; [unrolled: 2-line block ×6, first 2 shown]
	s_waitcnt vmcnt(0)
	buffer_store_dword v108, v1, s[0:3], 0 offen
.LBB112_398:
	global_load_dword v0, v0, s[12:13] offset:8
	s_waitcnt vmcnt(0)
	v_add_nc_u32_e32 v0, -1, v0
	v_cmp_eq_u32_e32 vcc_lo, 2, v0
	s_cbranch_vccnz .LBB112_400
; %bb.399:
	v_lshlrev_b32_e32 v0, 4, v0
	v_mov_b32_e32 v1, s59
	v_add_nc_u32_e32 v0, 16, v0
	s_clause 0x7
	buffer_load_dword v2, v0, s[0:3], 0 offen
	buffer_load_dword v3, v0, s[0:3], 0 offen offset:4
	buffer_load_dword v4, v0, s[0:3], 0 offen offset:8
	;; [unrolled: 1-line block ×6, first 2 shown]
	buffer_load_dword v107, v1, s[0:3], 0 offen
	s_waitcnt vmcnt(7)
	buffer_store_dword v2, v1, s[0:3], 0 offen
	s_waitcnt vmcnt(6)
	buffer_store_dword v3, v1, s[0:3], 0 offen offset:4
	s_waitcnt vmcnt(5)
	buffer_store_dword v4, v1, s[0:3], 0 offen offset:8
	;; [unrolled: 2-line block ×6, first 2 shown]
	s_waitcnt vmcnt(0)
	buffer_store_dword v107, v0, s[0:3], 0 offen
.LBB112_400:
	v_mov_b32_e32 v0, 0
	global_load_dword v1, v0, s[12:13] offset:4
	s_waitcnt vmcnt(0)
	v_add_nc_u32_e32 v1, -1, v1
	v_cmp_eq_u32_e32 vcc_lo, 1, v1
	s_cbranch_vccnz .LBB112_402
; %bb.401:
	v_lshlrev_b32_e32 v1, 4, v1
	v_mov_b32_e32 v2, s60
	v_add_nc_u32_e32 v1, 16, v1
	s_clause 0x7
	buffer_load_dword v3, v1, s[0:3], 0 offen
	buffer_load_dword v4, v1, s[0:3], 0 offen offset:4
	buffer_load_dword v5, v1, s[0:3], 0 offen offset:8
	;; [unrolled: 1-line block ×6, first 2 shown]
	buffer_load_dword v108, v2, s[0:3], 0 offen
	s_waitcnt vmcnt(7)
	buffer_store_dword v3, v2, s[0:3], 0 offen
	s_waitcnt vmcnt(6)
	buffer_store_dword v4, v2, s[0:3], 0 offen offset:4
	s_waitcnt vmcnt(5)
	buffer_store_dword v5, v2, s[0:3], 0 offen offset:8
	s_waitcnt vmcnt(4)
	buffer_store_dword v6, v2, s[0:3], 0 offen offset:12
	s_waitcnt vmcnt(3)
	buffer_store_dword v7, v1, s[0:3], 0 offen offset:12
	s_waitcnt vmcnt(2)
	buffer_store_dword v8, v1, s[0:3], 0 offen offset:8
	s_waitcnt vmcnt(1)
	buffer_store_dword v107, v1, s[0:3], 0 offen offset:4
	s_waitcnt vmcnt(0)
	buffer_store_dword v108, v1, s[0:3], 0 offen
.LBB112_402:
	global_load_dword v0, v0, s[12:13]
	s_waitcnt vmcnt(0)
	v_add_nc_u32_e32 v0, -1, v0
	v_cmp_eq_u32_e32 vcc_lo, 0, v0
	s_cbranch_vccnz .LBB112_404
; %bb.403:
	v_lshlrev_b32_e32 v0, 4, v0
	v_add_nc_u32_e32 v0, 16, v0
	s_clause 0x7
	buffer_load_dword v1, v0, s[0:3], 0 offen
	buffer_load_dword v2, v0, s[0:3], 0 offen offset:4
	buffer_load_dword v3, v0, s[0:3], 0 offen offset:8
	;; [unrolled: 1-line block ×3, first 2 shown]
	buffer_load_dword v5, off, s[0:3], 0 offset:28
	buffer_load_dword v6, off, s[0:3], 0 offset:24
	;; [unrolled: 1-line block ×4, first 2 shown]
	s_waitcnt vmcnt(7)
	buffer_store_dword v1, off, s[0:3], 0 offset:16
	s_waitcnt vmcnt(6)
	buffer_store_dword v2, off, s[0:3], 0 offset:20
	;; [unrolled: 2-line block ×4, first 2 shown]
	s_waitcnt vmcnt(3)
	buffer_store_dword v5, v0, s[0:3], 0 offen offset:12
	s_waitcnt vmcnt(2)
	buffer_store_dword v6, v0, s[0:3], 0 offen offset:8
	;; [unrolled: 2-line block ×3, first 2 shown]
	s_waitcnt vmcnt(0)
	buffer_store_dword v8, v0, s[0:3], 0 offen
.LBB112_404:
	s_clause 0x3
	buffer_load_dword v0, off, s[0:3], 0 offset:16
	buffer_load_dword v1, off, s[0:3], 0 offset:20
	;; [unrolled: 1-line block ×4, first 2 shown]
	v_mov_b32_e32 v4, s60
	s_waitcnt vmcnt(0)
	flat_store_dwordx4 v[9:10], v[0:3]
	s_clause 0x3
	buffer_load_dword v0, v4, s[0:3], 0 offen
	buffer_load_dword v1, v4, s[0:3], 0 offen offset:4
	buffer_load_dword v2, v4, s[0:3], 0 offen offset:8
	buffer_load_dword v3, v4, s[0:3], 0 offen offset:12
	v_mov_b32_e32 v4, s59
	s_waitcnt vmcnt(0)
	flat_store_dwordx4 v[63:64], v[0:3]
	s_clause 0x3
	buffer_load_dword v0, v4, s[0:3], 0 offen
	buffer_load_dword v1, v4, s[0:3], 0 offen offset:4
	buffer_load_dword v2, v4, s[0:3], 0 offen offset:8
	buffer_load_dword v3, v4, s[0:3], 0 offen offset:12
	;; [unrolled: 8-line block ×48, first 2 shown]
	s_waitcnt vmcnt(0)
	flat_store_dwordx4 v[105:106], v[0:3]
	s_endpgm
	.section	.rodata,"a",@progbits
	.p2align	6, 0x0
	.amdhsa_kernel _ZN9rocsolver6v33100L18getri_kernel_smallILi49E19rocblas_complex_numIdEPKPS3_EEvT1_iilPiilS8_bb
		.amdhsa_group_segment_fixed_size 1576
		.amdhsa_private_segment_fixed_size 816
		.amdhsa_kernarg_size 60
		.amdhsa_user_sgpr_count 6
		.amdhsa_user_sgpr_private_segment_buffer 1
		.amdhsa_user_sgpr_dispatch_ptr 0
		.amdhsa_user_sgpr_queue_ptr 0
		.amdhsa_user_sgpr_kernarg_segment_ptr 1
		.amdhsa_user_sgpr_dispatch_id 0
		.amdhsa_user_sgpr_flat_scratch_init 0
		.amdhsa_user_sgpr_private_segment_size 0
		.amdhsa_wavefront_size32 1
		.amdhsa_uses_dynamic_stack 0
		.amdhsa_system_sgpr_private_segment_wavefront_offset 1
		.amdhsa_system_sgpr_workgroup_id_x 1
		.amdhsa_system_sgpr_workgroup_id_y 0
		.amdhsa_system_sgpr_workgroup_id_z 0
		.amdhsa_system_sgpr_workgroup_info 0
		.amdhsa_system_vgpr_workitem_id 0
		.amdhsa_next_free_vgpr 193
		.amdhsa_next_free_sgpr 84
		.amdhsa_reserve_vcc 1
		.amdhsa_reserve_flat_scratch 0
		.amdhsa_float_round_mode_32 0
		.amdhsa_float_round_mode_16_64 0
		.amdhsa_float_denorm_mode_32 3
		.amdhsa_float_denorm_mode_16_64 3
		.amdhsa_dx10_clamp 1
		.amdhsa_ieee_mode 1
		.amdhsa_fp16_overflow 0
		.amdhsa_workgroup_processor_mode 1
		.amdhsa_memory_ordered 1
		.amdhsa_forward_progress 1
		.amdhsa_shared_vgpr_count 0
		.amdhsa_exception_fp_ieee_invalid_op 0
		.amdhsa_exception_fp_denorm_src 0
		.amdhsa_exception_fp_ieee_div_zero 0
		.amdhsa_exception_fp_ieee_overflow 0
		.amdhsa_exception_fp_ieee_underflow 0
		.amdhsa_exception_fp_ieee_inexact 0
		.amdhsa_exception_int_div_zero 0
	.end_amdhsa_kernel
	.section	.text._ZN9rocsolver6v33100L18getri_kernel_smallILi49E19rocblas_complex_numIdEPKPS3_EEvT1_iilPiilS8_bb,"axG",@progbits,_ZN9rocsolver6v33100L18getri_kernel_smallILi49E19rocblas_complex_numIdEPKPS3_EEvT1_iilPiilS8_bb,comdat
.Lfunc_end112:
	.size	_ZN9rocsolver6v33100L18getri_kernel_smallILi49E19rocblas_complex_numIdEPKPS3_EEvT1_iilPiilS8_bb, .Lfunc_end112-_ZN9rocsolver6v33100L18getri_kernel_smallILi49E19rocblas_complex_numIdEPKPS3_EEvT1_iilPiilS8_bb
                                        ; -- End function
	.set _ZN9rocsolver6v33100L18getri_kernel_smallILi49E19rocblas_complex_numIdEPKPS3_EEvT1_iilPiilS8_bb.num_vgpr, 193
	.set _ZN9rocsolver6v33100L18getri_kernel_smallILi49E19rocblas_complex_numIdEPKPS3_EEvT1_iilPiilS8_bb.num_agpr, 0
	.set _ZN9rocsolver6v33100L18getri_kernel_smallILi49E19rocblas_complex_numIdEPKPS3_EEvT1_iilPiilS8_bb.numbered_sgpr, 84
	.set _ZN9rocsolver6v33100L18getri_kernel_smallILi49E19rocblas_complex_numIdEPKPS3_EEvT1_iilPiilS8_bb.num_named_barrier, 0
	.set _ZN9rocsolver6v33100L18getri_kernel_smallILi49E19rocblas_complex_numIdEPKPS3_EEvT1_iilPiilS8_bb.private_seg_size, 816
	.set _ZN9rocsolver6v33100L18getri_kernel_smallILi49E19rocblas_complex_numIdEPKPS3_EEvT1_iilPiilS8_bb.uses_vcc, 1
	.set _ZN9rocsolver6v33100L18getri_kernel_smallILi49E19rocblas_complex_numIdEPKPS3_EEvT1_iilPiilS8_bb.uses_flat_scratch, 0
	.set _ZN9rocsolver6v33100L18getri_kernel_smallILi49E19rocblas_complex_numIdEPKPS3_EEvT1_iilPiilS8_bb.has_dyn_sized_stack, 0
	.set _ZN9rocsolver6v33100L18getri_kernel_smallILi49E19rocblas_complex_numIdEPKPS3_EEvT1_iilPiilS8_bb.has_recursion, 0
	.set _ZN9rocsolver6v33100L18getri_kernel_smallILi49E19rocblas_complex_numIdEPKPS3_EEvT1_iilPiilS8_bb.has_indirect_call, 0
	.section	.AMDGPU.csdata,"",@progbits
; Kernel info:
; codeLenInByte = 161500
; TotalNumSgprs: 86
; NumVgprs: 193
; ScratchSize: 816
; MemoryBound: 0
; FloatMode: 240
; IeeeMode: 1
; LDSByteSize: 1576 bytes/workgroup (compile time only)
; SGPRBlocks: 0
; VGPRBlocks: 24
; NumSGPRsForWavesPerEU: 86
; NumVGPRsForWavesPerEU: 193
; Occupancy: 4
; WaveLimiterHint : 1
; COMPUTE_PGM_RSRC2:SCRATCH_EN: 1
; COMPUTE_PGM_RSRC2:USER_SGPR: 6
; COMPUTE_PGM_RSRC2:TRAP_HANDLER: 0
; COMPUTE_PGM_RSRC2:TGID_X_EN: 1
; COMPUTE_PGM_RSRC2:TGID_Y_EN: 0
; COMPUTE_PGM_RSRC2:TGID_Z_EN: 0
; COMPUTE_PGM_RSRC2:TIDIG_COMP_CNT: 0
	.section	.text._ZN9rocsolver6v33100L18getri_kernel_smallILi50E19rocblas_complex_numIdEPKPS3_EEvT1_iilPiilS8_bb,"axG",@progbits,_ZN9rocsolver6v33100L18getri_kernel_smallILi50E19rocblas_complex_numIdEPKPS3_EEvT1_iilPiilS8_bb,comdat
	.globl	_ZN9rocsolver6v33100L18getri_kernel_smallILi50E19rocblas_complex_numIdEPKPS3_EEvT1_iilPiilS8_bb ; -- Begin function _ZN9rocsolver6v33100L18getri_kernel_smallILi50E19rocblas_complex_numIdEPKPS3_EEvT1_iilPiilS8_bb
	.p2align	8
	.type	_ZN9rocsolver6v33100L18getri_kernel_smallILi50E19rocblas_complex_numIdEPKPS3_EEvT1_iilPiilS8_bb,@function
_ZN9rocsolver6v33100L18getri_kernel_smallILi50E19rocblas_complex_numIdEPKPS3_EEvT1_iilPiilS8_bb: ; @_ZN9rocsolver6v33100L18getri_kernel_smallILi50E19rocblas_complex_numIdEPKPS3_EEvT1_iilPiilS8_bb
; %bb.0:
	s_add_u32 s0, s0, s7
	s_addc_u32 s1, s1, 0
	s_mov_b32 s7, exec_lo
	v_cmpx_gt_u32_e32 50, v0
	s_cbranch_execz .LBB113_214
; %bb.1:
	s_clause 0x2
	s_load_dword s16, s[4:5], 0x38
	s_load_dwordx2 s[12:13], s[4:5], 0x0
	s_load_dwordx4 s[8:11], s[4:5], 0x28
	s_waitcnt lgkmcnt(0)
	s_bitcmp1_b32 s16, 8
	s_cselect_b32 s62, -1, 0
	s_ashr_i32 s7, s6, 31
	s_lshl_b64 s[14:15], s[6:7], 3
	s_add_u32 s12, s12, s14
	s_addc_u32 s13, s13, s15
	s_load_dwordx2 s[14:15], s[12:13], 0x0
	s_bfe_u32 s12, s16, 0x10008
	s_cmp_eq_u32 s12, 0
                                        ; implicit-def: $sgpr12_sgpr13
	s_cbranch_scc1 .LBB113_3
; %bb.2:
	s_clause 0x1
	s_load_dword s12, s[4:5], 0x20
	s_load_dwordx2 s[16:17], s[4:5], 0x18
	s_mul_i32 s13, s8, s7
	s_mul_hi_u32 s18, s8, s6
	s_mul_i32 s9, s9, s6
	s_add_i32 s13, s18, s13
	s_mul_i32 s8, s8, s6
	s_add_i32 s9, s13, s9
	s_lshl_b64 s[8:9], s[8:9], 2
	s_waitcnt lgkmcnt(0)
	s_ashr_i32 s13, s12, 31
	s_add_u32 s16, s16, s8
	s_addc_u32 s17, s17, s9
	s_lshl_b64 s[8:9], s[12:13], 2
	s_add_u32 s12, s16, s8
	s_addc_u32 s13, s17, s9
.LBB113_3:
	s_clause 0x1
	s_load_dwordx2 s[8:9], s[4:5], 0x8
	s_load_dword s63, s[4:5], 0x38
	v_lshlrev_b32_e32 v7, 4, v0
	s_movk_i32 s16, 0xa0
	s_movk_i32 s17, 0xb0
	;; [unrolled: 1-line block ×17, first 2 shown]
	s_waitcnt lgkmcnt(0)
	s_ashr_i32 s5, s8, 31
	s_mov_b32 s4, s8
	v_add3_u32 v5, s9, s9, v0
	s_lshl_b64 s[4:5], s[4:5], 4
	s_movk_i32 s34, 0x1b0
	s_add_u32 s8, s14, s4
	s_addc_u32 s14, s15, s5
	v_add_co_u32 v8, s4, s8, v7
	v_add_co_ci_u32_e64 v9, null, s14, 0, s4
	s_mov_b32 s4, s9
	s_ashr_i32 s5, s9, 31
	v_ashrrev_i32_e32 v6, 31, v5
	flat_load_dwordx4 v[1:4], v[8:9]
	s_lshl_b64 s[4:5], s[4:5], 4
	s_movk_i32 s15, 0x90
	v_add_co_u32 v62, vcc_lo, v8, s4
	v_add_co_ci_u32_e64 v63, null, s5, v9, vcc_lo
	v_lshlrev_b64 v[10:11], 4, v[5:6]
	v_add_nc_u32_e32 v5, s9, v5
	s_movk_i32 s4, 0x50
	s_movk_i32 s64, 0x1c0
	;; [unrolled: 1-line block ×4, first 2 shown]
	v_add_co_u32 v60, vcc_lo, s8, v10
	v_add_co_ci_u32_e64 v61, null, s14, v11, vcc_lo
	v_ashrrev_i32_e32 v6, 31, v5
	s_movk_i32 s67, 0x1f0
	s_movk_i32 s68, 0x200
	;; [unrolled: 1-line block ×4, first 2 shown]
	v_lshlrev_b64 v[10:11], 4, v[5:6]
	v_add_nc_u32_e32 v5, s9, v5
	s_movk_i32 s71, 0x230
	s_movk_i32 s72, 0x240
	;; [unrolled: 1-line block ×4, first 2 shown]
	v_add_co_u32 v56, vcc_lo, s8, v10
	v_add_co_ci_u32_e64 v57, null, s14, v11, vcc_lo
	v_ashrrev_i32_e32 v6, 31, v5
	s_movk_i32 s75, 0x270
	s_movk_i32 s76, 0x280
	;; [unrolled: 1-line block ×4, first 2 shown]
	v_lshlrev_b64 v[10:11], 4, v[5:6]
	v_add_nc_u32_e32 v5, s9, v5
	s_movk_i32 s79, 0x2b0
	s_movk_i32 s80, 0x2c0
	;; [unrolled: 1-line block ×4, first 2 shown]
	v_add_co_u32 v54, vcc_lo, s8, v10
	v_add_co_ci_u32_e64 v55, null, s14, v11, vcc_lo
	v_ashrrev_i32_e32 v6, 31, v5
	s_movk_i32 s83, 0x2f0
	s_movk_i32 s84, 0x300
	;; [unrolled: 1-line block ×3, first 2 shown]
	s_add_i32 s57, s4, 16
	v_lshlrev_b64 v[10:11], 4, v[5:6]
	v_add_nc_u32_e32 v5, s9, v5
	s_add_i32 s53, s15, 16
	s_add_i32 s52, s16, 16
	s_add_i32 s51, s17, 16
	s_add_i32 s50, s18, 16
	v_add_co_u32 v52, vcc_lo, s8, v10
	v_add_co_ci_u32_e64 v53, null, s14, v11, vcc_lo
	v_ashrrev_i32_e32 v6, 31, v5
	s_add_i32 s49, s19, 16
	s_add_i32 s48, s20, 16
	s_add_i32 s47, s21, 16
	s_add_i32 s46, s22, 16
	v_lshlrev_b64 v[10:11], 4, v[5:6]
	v_add_nc_u32_e32 v5, s9, v5
	s_add_i32 s45, s23, 16
	s_add_i32 s44, s24, 16
	s_add_i32 s43, s25, 16
	s_add_i32 s42, s26, 16
	v_add_co_u32 v50, vcc_lo, s8, v10
	v_add_co_ci_u32_e64 v51, null, s14, v11, vcc_lo
	v_ashrrev_i32_e32 v6, 31, v5
	s_add_i32 s41, s27, 16
	s_add_i32 s40, s28, 16
	s_add_i32 s39, s29, 16
	;; [unrolled: 13-line block ×4, first 2 shown]
	s_add_i32 s21, s76, 16
	v_lshlrev_b64 v[10:11], 4, v[5:6]
	v_add_nc_u32_e32 v5, s9, v5
	s_add_i32 s20, s77, 16
	s_add_i32 s19, s78, 16
	s_add_i32 s18, s79, 16
	s_add_i32 s17, s80, 16
	v_add_co_u32 v44, vcc_lo, s8, v10
	v_add_co_ci_u32_e64 v45, null, s14, v11, vcc_lo
	v_ashrrev_i32_e32 v6, 31, v5
	s_add_i32 s16, s81, 16
	s_add_i32 s15, s82, 16
	s_mov_b32 s5, -1
	s_mov_b32 s61, 32
	v_lshlrev_b64 v[10:11], 4, v[5:6]
	v_add_nc_u32_e32 v5, s9, v5
	s_mov_b32 s60, 48
	s_mov_b32 s59, 64
	s_movk_i32 s58, 0x50
	s_waitcnt vmcnt(0) lgkmcnt(0)
	buffer_store_dword v4, off, s[0:3], 0 offset:28
	buffer_store_dword v3, off, s[0:3], 0 offset:24
	buffer_store_dword v2, off, s[0:3], 0 offset:20
	buffer_store_dword v1, off, s[0:3], 0 offset:16
	flat_load_dwordx4 v[1:4], v[62:63]
	v_add_co_u32 v42, vcc_lo, s8, v10
	v_add_co_ci_u32_e64 v43, null, s14, v11, vcc_lo
	v_ashrrev_i32_e32 v6, 31, v5
	s_waitcnt vmcnt(0) lgkmcnt(0)
	buffer_store_dword v4, off, s[0:3], 0 offset:44
	buffer_store_dword v3, off, s[0:3], 0 offset:40
	buffer_store_dword v2, off, s[0:3], 0 offset:36
	buffer_store_dword v1, off, s[0:3], 0 offset:32
	flat_load_dwordx4 v[1:4], v[60:61]
	v_lshlrev_b64 v[10:11], 4, v[5:6]
	v_add_nc_u32_e32 v5, s9, v5
	s_waitcnt vmcnt(0) lgkmcnt(0)
	buffer_store_dword v4, off, s[0:3], 0 offset:60
	buffer_store_dword v3, off, s[0:3], 0 offset:56
	buffer_store_dword v2, off, s[0:3], 0 offset:52
	buffer_store_dword v1, off, s[0:3], 0 offset:48
	flat_load_dwordx4 v[1:4], v[56:57]
	v_add_co_u32 v40, vcc_lo, s8, v10
	v_add_co_ci_u32_e64 v41, null, s14, v11, vcc_lo
	v_ashrrev_i32_e32 v6, 31, v5
	s_waitcnt vmcnt(0) lgkmcnt(0)
	buffer_store_dword v4, off, s[0:3], 0 offset:76
	buffer_store_dword v3, off, s[0:3], 0 offset:72
	buffer_store_dword v2, off, s[0:3], 0 offset:68
	buffer_store_dword v1, off, s[0:3], 0 offset:64
	flat_load_dwordx4 v[1:4], v[54:55]
	v_lshlrev_b64 v[10:11], 4, v[5:6]
	v_add_nc_u32_e32 v5, s9, v5
	;; [unrolled: 17-line block ×9, first 2 shown]
	s_waitcnt vmcnt(0) lgkmcnt(0)
	buffer_store_dword v4, off, s[0:3], 0 offset:316
	buffer_store_dword v3, off, s[0:3], 0 offset:312
	;; [unrolled: 1-line block ×4, first 2 shown]
	v_add_co_u32 v22, vcc_lo, s8, v10
	v_add_co_ci_u32_e64 v23, null, s14, v11, vcc_lo
	v_ashrrev_i32_e32 v6, 31, v5
	flat_load_dwordx4 v[1:4], v[22:23]
	s_waitcnt vmcnt(0) lgkmcnt(0)
	buffer_store_dword v4, off, s[0:3], 0 offset:332
	buffer_store_dword v3, off, s[0:3], 0 offset:328
	buffer_store_dword v2, off, s[0:3], 0 offset:324
	buffer_store_dword v1, off, s[0:3], 0 offset:320
	v_lshlrev_b64 v[10:11], 4, v[5:6]
	v_add_nc_u32_e32 v5, s9, v5
	v_add_co_u32 v20, vcc_lo, s8, v10
	v_add_co_ci_u32_e64 v21, null, s14, v11, vcc_lo
	v_ashrrev_i32_e32 v6, 31, v5
	flat_load_dwordx4 v[1:4], v[20:21]
	s_waitcnt vmcnt(0) lgkmcnt(0)
	buffer_store_dword v4, off, s[0:3], 0 offset:348
	buffer_store_dword v3, off, s[0:3], 0 offset:344
	buffer_store_dword v2, off, s[0:3], 0 offset:340
	buffer_store_dword v1, off, s[0:3], 0 offset:336
	v_lshlrev_b64 v[10:11], 4, v[5:6]
	v_add_nc_u32_e32 v5, s9, v5
	;; [unrolled: 11-line block ×29, first 2 shown]
	s_movk_i32 s9, 0x70
	s_add_i32 s55, s9, 16
	s_add_i32 s9, s84, 16
	v_add_co_u32 v104, vcc_lo, s8, v104
	v_add_co_ci_u32_e64 v105, null, s14, v105, vcc_lo
	v_ashrrev_i32_e32 v6, 31, v5
	flat_load_dwordx4 v[1:4], v[104:105]
	s_waitcnt vmcnt(0) lgkmcnt(0)
	buffer_store_dword v4, off, s[0:3], 0 offset:796
	buffer_store_dword v3, off, s[0:3], 0 offset:792
	;; [unrolled: 1-line block ×4, first 2 shown]
	v_lshlrev_b64 v[5:6], 4, v[5:6]
	v_add_co_u32 v106, vcc_lo, s8, v5
	v_add_co_ci_u32_e64 v107, null, s14, v6, vcc_lo
	s_movk_i32 s8, 0x60
	s_movk_i32 s14, 0x80
	s_add_i32 s56, s8, 16
	flat_load_dwordx4 v[1:4], v[106:107]
	s_add_i32 s54, s14, 16
	s_add_i32 s14, s83, 16
	s_add_i32 s8, s85, 16
	s_bitcmp0_b32 s63, 0
	s_waitcnt vmcnt(0) lgkmcnt(0)
	buffer_store_dword v4, off, s[0:3], 0 offset:812
	buffer_store_dword v3, off, s[0:3], 0 offset:808
	;; [unrolled: 1-line block ×4, first 2 shown]
	s_cbranch_scc1 .LBB113_212
; %bb.4:
	v_cmp_eq_u32_e64 s4, 0, v0
	s_and_saveexec_b32 s5, s4
; %bb.5:
	v_mov_b32_e32 v1, 0
	ds_write_b32 v1, v1 offset:1600
; %bb.6:
	s_or_b32 exec_lo, exec_lo, s5
	v_lshl_add_u32 v112, v0, 4, 16
	s_waitcnt lgkmcnt(0)
	s_waitcnt_vscnt null, 0x0
	s_barrier
	buffer_gl0_inv
	s_clause 0x3
	buffer_load_dword v1, v112, s[0:3], 0 offen
	buffer_load_dword v2, v112, s[0:3], 0 offen offset:4
	buffer_load_dword v3, v112, s[0:3], 0 offen offset:8
	;; [unrolled: 1-line block ×3, first 2 shown]
	s_waitcnt vmcnt(2)
	v_cmp_eq_f64_e32 vcc_lo, 0, v[1:2]
	s_waitcnt vmcnt(0)
	v_cmp_eq_f64_e64 s5, 0, v[3:4]
	s_and_b32 s5, vcc_lo, s5
	s_and_saveexec_b32 s63, s5
	s_cbranch_execz .LBB113_10
; %bb.7:
	v_mov_b32_e32 v1, 0
	s_mov_b32 s64, 0
	ds_read_b32 v2, v1 offset:1600
	s_waitcnt lgkmcnt(0)
	v_readfirstlane_b32 s5, v2
	v_add_nc_u32_e32 v2, 1, v0
	s_cmp_eq_u32 s5, 0
	v_cmp_gt_i32_e32 vcc_lo, s5, v2
	s_cselect_b32 s65, -1, 0
	s_or_b32 s65, s65, vcc_lo
	s_and_b32 exec_lo, exec_lo, s65
	s_cbranch_execz .LBB113_10
; %bb.8:
	v_mov_b32_e32 v3, s5
.LBB113_9:                              ; =>This Inner Loop Header: Depth=1
	ds_cmpst_rtn_b32 v3, v1, v3, v2 offset:1600
	s_waitcnt lgkmcnt(0)
	v_cmp_ne_u32_e32 vcc_lo, 0, v3
	v_cmp_le_i32_e64 s5, v3, v2
	s_and_b32 s5, vcc_lo, s5
	s_and_b32 s5, exec_lo, s5
	s_or_b32 s64, s5, s64
	s_andn2_b32 exec_lo, exec_lo, s64
	s_cbranch_execnz .LBB113_9
.LBB113_10:
	s_or_b32 exec_lo, exec_lo, s63
	v_mov_b32_e32 v1, 0
	s_barrier
	buffer_gl0_inv
	ds_read_b32 v2, v1 offset:1600
	s_and_saveexec_b32 s5, s4
	s_cbranch_execz .LBB113_12
; %bb.11:
	s_lshl_b64 s[64:65], s[6:7], 2
	s_add_u32 s64, s10, s64
	s_addc_u32 s65, s11, s65
	s_waitcnt lgkmcnt(0)
	global_store_dword v1, v2, s[64:65]
.LBB113_12:
	s_or_b32 exec_lo, exec_lo, s5
	s_waitcnt lgkmcnt(0)
	v_cmp_ne_u32_e32 vcc_lo, 0, v2
	s_mov_b32 s5, 0
	s_cbranch_vccnz .LBB113_212
; %bb.13:
	s_clause 0x3
	buffer_load_dword v108, v112, s[0:3], 0 offen
	buffer_load_dword v109, v112, s[0:3], 0 offen offset:4
	buffer_load_dword v110, v112, s[0:3], 0 offen offset:8
	;; [unrolled: 1-line block ×3, first 2 shown]
                                        ; implicit-def: $vgpr5_vgpr6
                                        ; implicit-def: $vgpr3_vgpr4
	s_waitcnt vmcnt(0)
	v_cmp_ngt_f64_e64 s5, |v[108:109]|, |v[110:111]|
	s_and_saveexec_b32 s63, s5
	s_xor_b32 s5, exec_lo, s63
	s_cbranch_execz .LBB113_15
; %bb.14:
	v_div_scale_f64 v[1:2], null, v[110:111], v[110:111], v[108:109]
	v_div_scale_f64 v[113:114], vcc_lo, v[108:109], v[110:111], v[108:109]
	v_rcp_f64_e32 v[3:4], v[1:2]
	v_fma_f64 v[5:6], -v[1:2], v[3:4], 1.0
	v_fma_f64 v[3:4], v[3:4], v[5:6], v[3:4]
	v_fma_f64 v[5:6], -v[1:2], v[3:4], 1.0
	v_fma_f64 v[3:4], v[3:4], v[5:6], v[3:4]
	v_mul_f64 v[5:6], v[113:114], v[3:4]
	v_fma_f64 v[1:2], -v[1:2], v[5:6], v[113:114]
	v_div_fmas_f64 v[1:2], v[1:2], v[3:4], v[5:6]
	v_div_fixup_f64 v[1:2], v[1:2], v[110:111], v[108:109]
	v_fma_f64 v[3:4], v[108:109], v[1:2], v[110:111]
	v_div_scale_f64 v[5:6], null, v[3:4], v[3:4], 1.0
	v_div_scale_f64 v[113:114], vcc_lo, 1.0, v[3:4], 1.0
	v_rcp_f64_e32 v[108:109], v[5:6]
	v_fma_f64 v[110:111], -v[5:6], v[108:109], 1.0
	v_fma_f64 v[108:109], v[108:109], v[110:111], v[108:109]
	v_fma_f64 v[110:111], -v[5:6], v[108:109], 1.0
	v_fma_f64 v[108:109], v[108:109], v[110:111], v[108:109]
	v_mul_f64 v[110:111], v[113:114], v[108:109]
	v_fma_f64 v[5:6], -v[5:6], v[110:111], v[113:114]
	v_div_fmas_f64 v[5:6], v[5:6], v[108:109], v[110:111]
                                        ; implicit-def: $vgpr108_vgpr109
                                        ; implicit-def: $vgpr110_vgpr111
	v_div_fixup_f64 v[3:4], v[5:6], v[3:4], 1.0
	v_mul_f64 v[5:6], v[1:2], v[3:4]
	v_xor_b32_e32 v4, 0x80000000, v4
	v_xor_b32_e32 v2, 0x80000000, v6
	v_mov_b32_e32 v1, v5
.LBB113_15:
	s_andn2_saveexec_b32 s5, s5
	s_cbranch_execz .LBB113_17
; %bb.16:
	v_div_scale_f64 v[1:2], null, v[108:109], v[108:109], v[110:111]
	v_div_scale_f64 v[113:114], vcc_lo, v[110:111], v[108:109], v[110:111]
	v_rcp_f64_e32 v[3:4], v[1:2]
	v_fma_f64 v[5:6], -v[1:2], v[3:4], 1.0
	v_fma_f64 v[3:4], v[3:4], v[5:6], v[3:4]
	v_fma_f64 v[5:6], -v[1:2], v[3:4], 1.0
	v_fma_f64 v[3:4], v[3:4], v[5:6], v[3:4]
	v_mul_f64 v[5:6], v[113:114], v[3:4]
	v_fma_f64 v[1:2], -v[1:2], v[5:6], v[113:114]
	v_div_fmas_f64 v[1:2], v[1:2], v[3:4], v[5:6]
	v_div_fixup_f64 v[1:2], v[1:2], v[108:109], v[110:111]
	v_fma_f64 v[3:4], v[110:111], v[1:2], v[108:109]
	v_div_scale_f64 v[5:6], null, v[3:4], v[3:4], 1.0
	v_rcp_f64_e32 v[108:109], v[5:6]
	v_fma_f64 v[110:111], -v[5:6], v[108:109], 1.0
	v_fma_f64 v[108:109], v[108:109], v[110:111], v[108:109]
	v_fma_f64 v[110:111], -v[5:6], v[108:109], 1.0
	v_fma_f64 v[108:109], v[108:109], v[110:111], v[108:109]
	v_div_scale_f64 v[110:111], vcc_lo, 1.0, v[3:4], 1.0
	v_mul_f64 v[113:114], v[110:111], v[108:109]
	v_fma_f64 v[5:6], -v[5:6], v[113:114], v[110:111]
	v_div_fmas_f64 v[5:6], v[5:6], v[108:109], v[113:114]
	v_div_fixup_f64 v[5:6], v[5:6], v[3:4], 1.0
	v_mul_f64 v[3:4], v[1:2], -v[5:6]
	v_xor_b32_e32 v2, 0x80000000, v6
	v_mov_b32_e32 v1, v5
.LBB113_17:
	s_or_b32 exec_lo, exec_lo, s5
	v_mov_b32_e32 v108, s61
	buffer_store_dword v6, v112, s[0:3], 0 offen offset:4
	buffer_store_dword v5, v112, s[0:3], 0 offen
	buffer_store_dword v4, v112, s[0:3], 0 offen offset:12
	buffer_store_dword v3, v112, s[0:3], 0 offen offset:8
	v_xor_b32_e32 v4, 0x80000000, v4
	v_add_nc_u32_e32 v5, 0x320, v7
	s_clause 0x3
	buffer_load_dword v111, v108, s[0:3], 0 offen offset:12
	buffer_load_dword v110, v108, s[0:3], 0 offen offset:8
	;; [unrolled: 1-line block ×3, first 2 shown]
	buffer_load_dword v108, v108, s[0:3], 0 offen
	ds_write_b128 v7, v[1:4]
	s_waitcnt vmcnt(0)
	ds_write_b128 v7, v[108:111] offset:800
	s_waitcnt lgkmcnt(0)
	s_waitcnt_vscnt null, 0x0
	s_barrier
	buffer_gl0_inv
	s_and_saveexec_b32 s5, s4
	s_cbranch_execz .LBB113_19
; %bb.18:
	s_clause 0x3
	buffer_load_dword v113, v112, s[0:3], 0 offen offset:8
	buffer_load_dword v114, v112, s[0:3], 0 offen offset:12
	buffer_load_dword v115, v112, s[0:3], 0 offen
	buffer_load_dword v116, v112, s[0:3], 0 offen offset:4
	ds_read_b128 v[1:4], v5
	v_mov_b32_e32 v6, 0
	ds_read_b128 v[108:111], v6 offset:16
	s_waitcnt vmcnt(2) lgkmcnt(1)
	v_mul_f64 v[117:118], v[1:2], v[113:114]
	v_mul_f64 v[113:114], v[3:4], v[113:114]
	s_waitcnt vmcnt(0)
	v_fma_f64 v[3:4], v[3:4], v[115:116], v[117:118]
	v_fma_f64 v[1:2], v[1:2], v[115:116], -v[113:114]
	v_add_f64 v[3:4], v[3:4], 0
	v_add_f64 v[1:2], v[1:2], 0
	s_waitcnt lgkmcnt(0)
	v_mul_f64 v[113:114], v[3:4], v[110:111]
	v_mul_f64 v[110:111], v[1:2], v[110:111]
	v_fma_f64 v[1:2], v[1:2], v[108:109], -v[113:114]
	v_fma_f64 v[3:4], v[3:4], v[108:109], v[110:111]
	buffer_store_dword v1, off, s[0:3], 0 offset:32
	buffer_store_dword v2, off, s[0:3], 0 offset:36
	buffer_store_dword v3, off, s[0:3], 0 offset:40
	buffer_store_dword v4, off, s[0:3], 0 offset:44
.LBB113_19:
	s_or_b32 exec_lo, exec_lo, s5
	v_mov_b32_e32 v4, s60
	s_waitcnt_vscnt null, 0x0
	s_barrier
	buffer_gl0_inv
	s_mov_b32 s5, exec_lo
	s_clause 0x3
	buffer_load_dword v1, v4, s[0:3], 0 offen
	buffer_load_dword v2, v4, s[0:3], 0 offen offset:4
	buffer_load_dword v3, v4, s[0:3], 0 offen offset:8
	buffer_load_dword v4, v4, s[0:3], 0 offen offset:12
	s_waitcnt vmcnt(0)
	ds_write_b128 v5, v[1:4]
	s_waitcnt lgkmcnt(0)
	s_barrier
	buffer_gl0_inv
	v_cmpx_gt_u32_e32 2, v0
	s_cbranch_execz .LBB113_23
; %bb.20:
	s_clause 0x3
	buffer_load_dword v108, v112, s[0:3], 0 offen offset:8
	buffer_load_dword v109, v112, s[0:3], 0 offen offset:12
	buffer_load_dword v110, v112, s[0:3], 0 offen
	buffer_load_dword v111, v112, s[0:3], 0 offen offset:4
	ds_read_b128 v[1:4], v5
	s_waitcnt vmcnt(2) lgkmcnt(0)
	v_mul_f64 v[112:113], v[3:4], v[108:109]
	v_mul_f64 v[108:109], v[1:2], v[108:109]
	s_waitcnt vmcnt(0)
	v_fma_f64 v[1:2], v[1:2], v[110:111], -v[112:113]
	v_fma_f64 v[3:4], v[3:4], v[110:111], v[108:109]
	v_add_f64 v[1:2], v[1:2], 0
	v_add_f64 v[3:4], v[3:4], 0
	s_and_saveexec_b32 s63, s4
	s_cbranch_execz .LBB113_22
; %bb.21:
	s_clause 0x3
	buffer_load_dword v112, off, s[0:3], 0 offset:40
	buffer_load_dword v113, off, s[0:3], 0 offset:44
	;; [unrolled: 1-line block ×4, first 2 shown]
	v_mov_b32_e32 v6, 0
	ds_read_b128 v[108:111], v6 offset:816
	s_waitcnt vmcnt(2) lgkmcnt(0)
	v_mul_f64 v[116:117], v[108:109], v[112:113]
	v_mul_f64 v[112:113], v[110:111], v[112:113]
	s_waitcnt vmcnt(0)
	v_fma_f64 v[110:111], v[110:111], v[114:115], v[116:117]
	v_fma_f64 v[108:109], v[108:109], v[114:115], -v[112:113]
	v_add_f64 v[3:4], v[3:4], v[110:111]
	v_add_f64 v[1:2], v[1:2], v[108:109]
.LBB113_22:
	s_or_b32 exec_lo, exec_lo, s63
	v_mov_b32_e32 v6, 0
	ds_read_b128 v[108:111], v6 offset:32
	s_waitcnt lgkmcnt(0)
	v_mul_f64 v[112:113], v[3:4], v[110:111]
	v_mul_f64 v[110:111], v[1:2], v[110:111]
	v_fma_f64 v[1:2], v[1:2], v[108:109], -v[112:113]
	v_fma_f64 v[3:4], v[3:4], v[108:109], v[110:111]
	buffer_store_dword v2, off, s[0:3], 0 offset:52
	buffer_store_dword v1, off, s[0:3], 0 offset:48
	;; [unrolled: 1-line block ×4, first 2 shown]
.LBB113_23:
	s_or_b32 exec_lo, exec_lo, s5
	v_mov_b32_e32 v4, s59
	s_waitcnt_vscnt null, 0x0
	s_barrier
	buffer_gl0_inv
	v_add_nc_u32_e32 v6, -1, v0
	s_clause 0x3
	buffer_load_dword v1, v4, s[0:3], 0 offen
	buffer_load_dword v2, v4, s[0:3], 0 offen offset:4
	buffer_load_dword v3, v4, s[0:3], 0 offen offset:8
	;; [unrolled: 1-line block ×3, first 2 shown]
	s_mov_b32 s4, exec_lo
	s_waitcnt vmcnt(0)
	ds_write_b128 v5, v[1:4]
	s_waitcnt lgkmcnt(0)
	s_barrier
	buffer_gl0_inv
	v_cmpx_gt_u32_e32 3, v0
	s_cbranch_execz .LBB113_27
; %bb.24:
	v_mov_b32_e32 v1, 0
	v_mov_b32_e32 v3, 0
	v_add_nc_u32_e32 v108, -1, v0
	v_add_nc_u32_e32 v109, 0x320, v7
	v_mov_b32_e32 v2, 0
	v_mov_b32_e32 v4, 0
	v_add_nc_u32_e32 v110, 16, v7
	s_mov_b32 s5, 0
	.p2align	6
.LBB113_25:                             ; =>This Inner Loop Header: Depth=1
	s_clause 0x3
	buffer_load_dword v115, v110, s[0:3], 0 offen offset:8
	buffer_load_dword v116, v110, s[0:3], 0 offen offset:12
	buffer_load_dword v117, v110, s[0:3], 0 offen
	buffer_load_dword v118, v110, s[0:3], 0 offen offset:4
	ds_read_b128 v[111:114], v109
	v_add_nc_u32_e32 v108, 1, v108
	v_add_nc_u32_e32 v109, 16, v109
	;; [unrolled: 1-line block ×3, first 2 shown]
	v_cmp_lt_u32_e32 vcc_lo, 1, v108
	s_or_b32 s5, vcc_lo, s5
	s_waitcnt vmcnt(2) lgkmcnt(0)
	v_mul_f64 v[119:120], v[113:114], v[115:116]
	v_mul_f64 v[115:116], v[111:112], v[115:116]
	s_waitcnt vmcnt(0)
	v_fma_f64 v[111:112], v[111:112], v[117:118], -v[119:120]
	v_fma_f64 v[113:114], v[113:114], v[117:118], v[115:116]
	v_add_f64 v[3:4], v[3:4], v[111:112]
	v_add_f64 v[1:2], v[1:2], v[113:114]
	s_andn2_b32 exec_lo, exec_lo, s5
	s_cbranch_execnz .LBB113_25
; %bb.26:
	s_or_b32 exec_lo, exec_lo, s5
	v_mov_b32_e32 v108, 0
	ds_read_b128 v[108:111], v108 offset:48
	s_waitcnt lgkmcnt(0)
	v_mul_f64 v[112:113], v[1:2], v[110:111]
	v_mul_f64 v[110:111], v[3:4], v[110:111]
	v_fma_f64 v[3:4], v[3:4], v[108:109], -v[112:113]
	v_fma_f64 v[1:2], v[1:2], v[108:109], v[110:111]
	buffer_store_dword v4, off, s[0:3], 0 offset:68
	buffer_store_dword v3, off, s[0:3], 0 offset:64
	;; [unrolled: 1-line block ×4, first 2 shown]
.LBB113_27:
	s_or_b32 exec_lo, exec_lo, s4
	v_mov_b32_e32 v4, s58
	s_waitcnt_vscnt null, 0x0
	s_barrier
	buffer_gl0_inv
	s_mov_b32 s4, exec_lo
	s_clause 0x3
	buffer_load_dword v1, v4, s[0:3], 0 offen
	buffer_load_dword v2, v4, s[0:3], 0 offen offset:4
	buffer_load_dword v3, v4, s[0:3], 0 offen offset:8
	;; [unrolled: 1-line block ×3, first 2 shown]
	s_waitcnt vmcnt(0)
	ds_write_b128 v5, v[1:4]
	s_waitcnt lgkmcnt(0)
	s_barrier
	buffer_gl0_inv
	v_cmpx_gt_u32_e32 4, v0
	s_cbranch_execz .LBB113_31
; %bb.28:
	v_mov_b32_e32 v1, 0
	v_mov_b32_e32 v3, 0
	v_add_nc_u32_e32 v108, -1, v0
	v_add_nc_u32_e32 v109, 0x320, v7
	v_mov_b32_e32 v2, 0
	v_mov_b32_e32 v4, 0
	v_add_nc_u32_e32 v110, 16, v7
	s_mov_b32 s5, 0
	.p2align	6
.LBB113_29:                             ; =>This Inner Loop Header: Depth=1
	s_clause 0x3
	buffer_load_dword v115, v110, s[0:3], 0 offen offset:8
	buffer_load_dword v116, v110, s[0:3], 0 offen offset:12
	buffer_load_dword v117, v110, s[0:3], 0 offen
	buffer_load_dword v118, v110, s[0:3], 0 offen offset:4
	ds_read_b128 v[111:114], v109
	v_add_nc_u32_e32 v108, 1, v108
	v_add_nc_u32_e32 v109, 16, v109
	;; [unrolled: 1-line block ×3, first 2 shown]
	v_cmp_lt_u32_e32 vcc_lo, 2, v108
	s_or_b32 s5, vcc_lo, s5
	s_waitcnt vmcnt(2) lgkmcnt(0)
	v_mul_f64 v[119:120], v[113:114], v[115:116]
	v_mul_f64 v[115:116], v[111:112], v[115:116]
	s_waitcnt vmcnt(0)
	v_fma_f64 v[111:112], v[111:112], v[117:118], -v[119:120]
	v_fma_f64 v[113:114], v[113:114], v[117:118], v[115:116]
	v_add_f64 v[3:4], v[3:4], v[111:112]
	v_add_f64 v[1:2], v[1:2], v[113:114]
	s_andn2_b32 exec_lo, exec_lo, s5
	s_cbranch_execnz .LBB113_29
; %bb.30:
	s_or_b32 exec_lo, exec_lo, s5
	v_mov_b32_e32 v108, 0
	ds_read_b128 v[108:111], v108 offset:64
	s_waitcnt lgkmcnt(0)
	v_mul_f64 v[112:113], v[1:2], v[110:111]
	v_mul_f64 v[110:111], v[3:4], v[110:111]
	v_fma_f64 v[3:4], v[3:4], v[108:109], -v[112:113]
	v_fma_f64 v[1:2], v[1:2], v[108:109], v[110:111]
	buffer_store_dword v4, off, s[0:3], 0 offset:84
	buffer_store_dword v3, off, s[0:3], 0 offset:80
	;; [unrolled: 1-line block ×4, first 2 shown]
.LBB113_31:
	s_or_b32 exec_lo, exec_lo, s4
	v_mov_b32_e32 v4, s57
	s_waitcnt_vscnt null, 0x0
	s_barrier
	buffer_gl0_inv
	s_mov_b32 s4, exec_lo
	s_clause 0x3
	buffer_load_dword v1, v4, s[0:3], 0 offen
	buffer_load_dword v2, v4, s[0:3], 0 offen offset:4
	buffer_load_dword v3, v4, s[0:3], 0 offen offset:8
	;; [unrolled: 1-line block ×3, first 2 shown]
	s_waitcnt vmcnt(0)
	ds_write_b128 v5, v[1:4]
	s_waitcnt lgkmcnt(0)
	s_barrier
	buffer_gl0_inv
	v_cmpx_gt_u32_e32 5, v0
	s_cbranch_execz .LBB113_35
; %bb.32:
	v_mov_b32_e32 v1, 0
	v_mov_b32_e32 v3, 0
	v_add_nc_u32_e32 v108, -1, v0
	v_add_nc_u32_e32 v109, 0x320, v7
	v_mov_b32_e32 v2, 0
	v_mov_b32_e32 v4, 0
	v_add_nc_u32_e32 v110, 16, v7
	s_mov_b32 s5, 0
	.p2align	6
.LBB113_33:                             ; =>This Inner Loop Header: Depth=1
	s_clause 0x3
	buffer_load_dword v115, v110, s[0:3], 0 offen offset:8
	buffer_load_dword v116, v110, s[0:3], 0 offen offset:12
	buffer_load_dword v117, v110, s[0:3], 0 offen
	buffer_load_dword v118, v110, s[0:3], 0 offen offset:4
	ds_read_b128 v[111:114], v109
	v_add_nc_u32_e32 v108, 1, v108
	v_add_nc_u32_e32 v109, 16, v109
	;; [unrolled: 1-line block ×3, first 2 shown]
	v_cmp_lt_u32_e32 vcc_lo, 3, v108
	s_or_b32 s5, vcc_lo, s5
	s_waitcnt vmcnt(2) lgkmcnt(0)
	v_mul_f64 v[119:120], v[113:114], v[115:116]
	v_mul_f64 v[115:116], v[111:112], v[115:116]
	s_waitcnt vmcnt(0)
	v_fma_f64 v[111:112], v[111:112], v[117:118], -v[119:120]
	v_fma_f64 v[113:114], v[113:114], v[117:118], v[115:116]
	v_add_f64 v[3:4], v[3:4], v[111:112]
	v_add_f64 v[1:2], v[1:2], v[113:114]
	s_andn2_b32 exec_lo, exec_lo, s5
	s_cbranch_execnz .LBB113_33
; %bb.34:
	s_or_b32 exec_lo, exec_lo, s5
	v_mov_b32_e32 v108, 0
	ds_read_b128 v[108:111], v108 offset:80
	s_waitcnt lgkmcnt(0)
	v_mul_f64 v[112:113], v[1:2], v[110:111]
	v_mul_f64 v[110:111], v[3:4], v[110:111]
	v_fma_f64 v[3:4], v[3:4], v[108:109], -v[112:113]
	v_fma_f64 v[1:2], v[1:2], v[108:109], v[110:111]
	buffer_store_dword v4, off, s[0:3], 0 offset:100
	buffer_store_dword v3, off, s[0:3], 0 offset:96
	;; [unrolled: 1-line block ×4, first 2 shown]
.LBB113_35:
	s_or_b32 exec_lo, exec_lo, s4
	v_mov_b32_e32 v4, s56
	s_waitcnt_vscnt null, 0x0
	s_barrier
	buffer_gl0_inv
	s_mov_b32 s4, exec_lo
	s_clause 0x3
	buffer_load_dword v1, v4, s[0:3], 0 offen
	buffer_load_dword v2, v4, s[0:3], 0 offen offset:4
	buffer_load_dword v3, v4, s[0:3], 0 offen offset:8
	;; [unrolled: 1-line block ×3, first 2 shown]
	s_waitcnt vmcnt(0)
	ds_write_b128 v5, v[1:4]
	s_waitcnt lgkmcnt(0)
	s_barrier
	buffer_gl0_inv
	v_cmpx_gt_u32_e32 6, v0
	s_cbranch_execz .LBB113_39
; %bb.36:
	v_mov_b32_e32 v1, 0
	v_mov_b32_e32 v3, 0
	v_add_nc_u32_e32 v108, -1, v0
	v_add_nc_u32_e32 v109, 0x320, v7
	v_mov_b32_e32 v2, 0
	v_mov_b32_e32 v4, 0
	v_add_nc_u32_e32 v110, 16, v7
	s_mov_b32 s5, 0
	.p2align	6
.LBB113_37:                             ; =>This Inner Loop Header: Depth=1
	s_clause 0x3
	buffer_load_dword v115, v110, s[0:3], 0 offen offset:8
	buffer_load_dword v116, v110, s[0:3], 0 offen offset:12
	buffer_load_dword v117, v110, s[0:3], 0 offen
	buffer_load_dword v118, v110, s[0:3], 0 offen offset:4
	ds_read_b128 v[111:114], v109
	v_add_nc_u32_e32 v108, 1, v108
	v_add_nc_u32_e32 v109, 16, v109
	;; [unrolled: 1-line block ×3, first 2 shown]
	v_cmp_lt_u32_e32 vcc_lo, 4, v108
	s_or_b32 s5, vcc_lo, s5
	s_waitcnt vmcnt(2) lgkmcnt(0)
	v_mul_f64 v[119:120], v[113:114], v[115:116]
	v_mul_f64 v[115:116], v[111:112], v[115:116]
	s_waitcnt vmcnt(0)
	v_fma_f64 v[111:112], v[111:112], v[117:118], -v[119:120]
	v_fma_f64 v[113:114], v[113:114], v[117:118], v[115:116]
	v_add_f64 v[3:4], v[3:4], v[111:112]
	v_add_f64 v[1:2], v[1:2], v[113:114]
	s_andn2_b32 exec_lo, exec_lo, s5
	s_cbranch_execnz .LBB113_37
; %bb.38:
	s_or_b32 exec_lo, exec_lo, s5
	v_mov_b32_e32 v108, 0
	ds_read_b128 v[108:111], v108 offset:96
	s_waitcnt lgkmcnt(0)
	v_mul_f64 v[112:113], v[1:2], v[110:111]
	v_mul_f64 v[110:111], v[3:4], v[110:111]
	v_fma_f64 v[3:4], v[3:4], v[108:109], -v[112:113]
	v_fma_f64 v[1:2], v[1:2], v[108:109], v[110:111]
	buffer_store_dword v4, off, s[0:3], 0 offset:116
	buffer_store_dword v3, off, s[0:3], 0 offset:112
	;; [unrolled: 1-line block ×4, first 2 shown]
.LBB113_39:
	s_or_b32 exec_lo, exec_lo, s4
	v_mov_b32_e32 v4, s55
	s_waitcnt_vscnt null, 0x0
	s_barrier
	buffer_gl0_inv
	s_mov_b32 s4, exec_lo
	s_clause 0x3
	buffer_load_dword v1, v4, s[0:3], 0 offen
	buffer_load_dword v2, v4, s[0:3], 0 offen offset:4
	buffer_load_dword v3, v4, s[0:3], 0 offen offset:8
	;; [unrolled: 1-line block ×3, first 2 shown]
	s_waitcnt vmcnt(0)
	ds_write_b128 v5, v[1:4]
	s_waitcnt lgkmcnt(0)
	s_barrier
	buffer_gl0_inv
	v_cmpx_gt_u32_e32 7, v0
	s_cbranch_execz .LBB113_43
; %bb.40:
	v_mov_b32_e32 v1, 0
	v_mov_b32_e32 v3, 0
	v_add_nc_u32_e32 v108, -1, v0
	v_add_nc_u32_e32 v109, 0x320, v7
	v_mov_b32_e32 v2, 0
	v_mov_b32_e32 v4, 0
	v_add_nc_u32_e32 v110, 16, v7
	s_mov_b32 s5, 0
	.p2align	6
.LBB113_41:                             ; =>This Inner Loop Header: Depth=1
	s_clause 0x3
	buffer_load_dword v115, v110, s[0:3], 0 offen offset:8
	buffer_load_dword v116, v110, s[0:3], 0 offen offset:12
	buffer_load_dword v117, v110, s[0:3], 0 offen
	buffer_load_dword v118, v110, s[0:3], 0 offen offset:4
	ds_read_b128 v[111:114], v109
	v_add_nc_u32_e32 v108, 1, v108
	v_add_nc_u32_e32 v109, 16, v109
	;; [unrolled: 1-line block ×3, first 2 shown]
	v_cmp_lt_u32_e32 vcc_lo, 5, v108
	s_or_b32 s5, vcc_lo, s5
	s_waitcnt vmcnt(2) lgkmcnt(0)
	v_mul_f64 v[119:120], v[113:114], v[115:116]
	v_mul_f64 v[115:116], v[111:112], v[115:116]
	s_waitcnt vmcnt(0)
	v_fma_f64 v[111:112], v[111:112], v[117:118], -v[119:120]
	v_fma_f64 v[113:114], v[113:114], v[117:118], v[115:116]
	v_add_f64 v[3:4], v[3:4], v[111:112]
	v_add_f64 v[1:2], v[1:2], v[113:114]
	s_andn2_b32 exec_lo, exec_lo, s5
	s_cbranch_execnz .LBB113_41
; %bb.42:
	s_or_b32 exec_lo, exec_lo, s5
	v_mov_b32_e32 v108, 0
	ds_read_b128 v[108:111], v108 offset:112
	s_waitcnt lgkmcnt(0)
	v_mul_f64 v[112:113], v[1:2], v[110:111]
	v_mul_f64 v[110:111], v[3:4], v[110:111]
	v_fma_f64 v[3:4], v[3:4], v[108:109], -v[112:113]
	v_fma_f64 v[1:2], v[1:2], v[108:109], v[110:111]
	buffer_store_dword v4, off, s[0:3], 0 offset:132
	buffer_store_dword v3, off, s[0:3], 0 offset:128
	;; [unrolled: 1-line block ×4, first 2 shown]
.LBB113_43:
	s_or_b32 exec_lo, exec_lo, s4
	v_mov_b32_e32 v4, s54
	s_waitcnt_vscnt null, 0x0
	s_barrier
	buffer_gl0_inv
	s_mov_b32 s4, exec_lo
	s_clause 0x3
	buffer_load_dword v1, v4, s[0:3], 0 offen
	buffer_load_dword v2, v4, s[0:3], 0 offen offset:4
	buffer_load_dword v3, v4, s[0:3], 0 offen offset:8
	;; [unrolled: 1-line block ×3, first 2 shown]
	s_waitcnt vmcnt(0)
	ds_write_b128 v5, v[1:4]
	s_waitcnt lgkmcnt(0)
	s_barrier
	buffer_gl0_inv
	v_cmpx_gt_u32_e32 8, v0
	s_cbranch_execz .LBB113_47
; %bb.44:
	v_mov_b32_e32 v1, 0
	v_mov_b32_e32 v3, 0
	v_add_nc_u32_e32 v108, -1, v0
	v_add_nc_u32_e32 v109, 0x320, v7
	v_mov_b32_e32 v2, 0
	v_mov_b32_e32 v4, 0
	v_add_nc_u32_e32 v110, 16, v7
	s_mov_b32 s5, 0
	.p2align	6
.LBB113_45:                             ; =>This Inner Loop Header: Depth=1
	s_clause 0x3
	buffer_load_dword v115, v110, s[0:3], 0 offen offset:8
	buffer_load_dword v116, v110, s[0:3], 0 offen offset:12
	buffer_load_dword v117, v110, s[0:3], 0 offen
	buffer_load_dword v118, v110, s[0:3], 0 offen offset:4
	ds_read_b128 v[111:114], v109
	v_add_nc_u32_e32 v108, 1, v108
	v_add_nc_u32_e32 v109, 16, v109
	v_add_nc_u32_e32 v110, 16, v110
	v_cmp_lt_u32_e32 vcc_lo, 6, v108
	s_or_b32 s5, vcc_lo, s5
	s_waitcnt vmcnt(2) lgkmcnt(0)
	v_mul_f64 v[119:120], v[113:114], v[115:116]
	v_mul_f64 v[115:116], v[111:112], v[115:116]
	s_waitcnt vmcnt(0)
	v_fma_f64 v[111:112], v[111:112], v[117:118], -v[119:120]
	v_fma_f64 v[113:114], v[113:114], v[117:118], v[115:116]
	v_add_f64 v[3:4], v[3:4], v[111:112]
	v_add_f64 v[1:2], v[1:2], v[113:114]
	s_andn2_b32 exec_lo, exec_lo, s5
	s_cbranch_execnz .LBB113_45
; %bb.46:
	s_or_b32 exec_lo, exec_lo, s5
	v_mov_b32_e32 v108, 0
	ds_read_b128 v[108:111], v108 offset:128
	s_waitcnt lgkmcnt(0)
	v_mul_f64 v[112:113], v[1:2], v[110:111]
	v_mul_f64 v[110:111], v[3:4], v[110:111]
	v_fma_f64 v[3:4], v[3:4], v[108:109], -v[112:113]
	v_fma_f64 v[1:2], v[1:2], v[108:109], v[110:111]
	buffer_store_dword v4, off, s[0:3], 0 offset:148
	buffer_store_dword v3, off, s[0:3], 0 offset:144
	;; [unrolled: 1-line block ×4, first 2 shown]
.LBB113_47:
	s_or_b32 exec_lo, exec_lo, s4
	v_mov_b32_e32 v4, s53
	s_waitcnt_vscnt null, 0x0
	s_barrier
	buffer_gl0_inv
	s_mov_b32 s4, exec_lo
	s_clause 0x3
	buffer_load_dword v1, v4, s[0:3], 0 offen
	buffer_load_dword v2, v4, s[0:3], 0 offen offset:4
	buffer_load_dword v3, v4, s[0:3], 0 offen offset:8
	buffer_load_dword v4, v4, s[0:3], 0 offen offset:12
	s_waitcnt vmcnt(0)
	ds_write_b128 v5, v[1:4]
	s_waitcnt lgkmcnt(0)
	s_barrier
	buffer_gl0_inv
	v_cmpx_gt_u32_e32 9, v0
	s_cbranch_execz .LBB113_51
; %bb.48:
	v_mov_b32_e32 v1, 0
	v_mov_b32_e32 v3, 0
	v_add_nc_u32_e32 v108, -1, v0
	v_add_nc_u32_e32 v109, 0x320, v7
	v_mov_b32_e32 v2, 0
	v_mov_b32_e32 v4, 0
	v_add_nc_u32_e32 v110, 16, v7
	s_mov_b32 s5, 0
	.p2align	6
.LBB113_49:                             ; =>This Inner Loop Header: Depth=1
	s_clause 0x3
	buffer_load_dword v115, v110, s[0:3], 0 offen offset:8
	buffer_load_dword v116, v110, s[0:3], 0 offen offset:12
	buffer_load_dword v117, v110, s[0:3], 0 offen
	buffer_load_dword v118, v110, s[0:3], 0 offen offset:4
	ds_read_b128 v[111:114], v109
	v_add_nc_u32_e32 v108, 1, v108
	v_add_nc_u32_e32 v109, 16, v109
	;; [unrolled: 1-line block ×3, first 2 shown]
	v_cmp_lt_u32_e32 vcc_lo, 7, v108
	s_or_b32 s5, vcc_lo, s5
	s_waitcnt vmcnt(2) lgkmcnt(0)
	v_mul_f64 v[119:120], v[113:114], v[115:116]
	v_mul_f64 v[115:116], v[111:112], v[115:116]
	s_waitcnt vmcnt(0)
	v_fma_f64 v[111:112], v[111:112], v[117:118], -v[119:120]
	v_fma_f64 v[113:114], v[113:114], v[117:118], v[115:116]
	v_add_f64 v[3:4], v[3:4], v[111:112]
	v_add_f64 v[1:2], v[1:2], v[113:114]
	s_andn2_b32 exec_lo, exec_lo, s5
	s_cbranch_execnz .LBB113_49
; %bb.50:
	s_or_b32 exec_lo, exec_lo, s5
	v_mov_b32_e32 v108, 0
	ds_read_b128 v[108:111], v108 offset:144
	s_waitcnt lgkmcnt(0)
	v_mul_f64 v[112:113], v[1:2], v[110:111]
	v_mul_f64 v[110:111], v[3:4], v[110:111]
	v_fma_f64 v[3:4], v[3:4], v[108:109], -v[112:113]
	v_fma_f64 v[1:2], v[1:2], v[108:109], v[110:111]
	buffer_store_dword v4, off, s[0:3], 0 offset:164
	buffer_store_dword v3, off, s[0:3], 0 offset:160
	;; [unrolled: 1-line block ×4, first 2 shown]
.LBB113_51:
	s_or_b32 exec_lo, exec_lo, s4
	v_mov_b32_e32 v4, s52
	s_waitcnt_vscnt null, 0x0
	s_barrier
	buffer_gl0_inv
	s_mov_b32 s4, exec_lo
	s_clause 0x3
	buffer_load_dword v1, v4, s[0:3], 0 offen
	buffer_load_dword v2, v4, s[0:3], 0 offen offset:4
	buffer_load_dword v3, v4, s[0:3], 0 offen offset:8
	;; [unrolled: 1-line block ×3, first 2 shown]
	s_waitcnt vmcnt(0)
	ds_write_b128 v5, v[1:4]
	s_waitcnt lgkmcnt(0)
	s_barrier
	buffer_gl0_inv
	v_cmpx_gt_u32_e32 10, v0
	s_cbranch_execz .LBB113_55
; %bb.52:
	v_mov_b32_e32 v1, 0
	v_mov_b32_e32 v3, 0
	v_add_nc_u32_e32 v108, -1, v0
	v_add_nc_u32_e32 v109, 0x320, v7
	v_mov_b32_e32 v2, 0
	v_mov_b32_e32 v4, 0
	v_add_nc_u32_e32 v110, 16, v7
	s_mov_b32 s5, 0
	.p2align	6
.LBB113_53:                             ; =>This Inner Loop Header: Depth=1
	s_clause 0x3
	buffer_load_dword v115, v110, s[0:3], 0 offen offset:8
	buffer_load_dword v116, v110, s[0:3], 0 offen offset:12
	buffer_load_dword v117, v110, s[0:3], 0 offen
	buffer_load_dword v118, v110, s[0:3], 0 offen offset:4
	ds_read_b128 v[111:114], v109
	v_add_nc_u32_e32 v108, 1, v108
	v_add_nc_u32_e32 v109, 16, v109
	;; [unrolled: 1-line block ×3, first 2 shown]
	v_cmp_lt_u32_e32 vcc_lo, 8, v108
	s_or_b32 s5, vcc_lo, s5
	s_waitcnt vmcnt(2) lgkmcnt(0)
	v_mul_f64 v[119:120], v[113:114], v[115:116]
	v_mul_f64 v[115:116], v[111:112], v[115:116]
	s_waitcnt vmcnt(0)
	v_fma_f64 v[111:112], v[111:112], v[117:118], -v[119:120]
	v_fma_f64 v[113:114], v[113:114], v[117:118], v[115:116]
	v_add_f64 v[3:4], v[3:4], v[111:112]
	v_add_f64 v[1:2], v[1:2], v[113:114]
	s_andn2_b32 exec_lo, exec_lo, s5
	s_cbranch_execnz .LBB113_53
; %bb.54:
	s_or_b32 exec_lo, exec_lo, s5
	v_mov_b32_e32 v108, 0
	ds_read_b128 v[108:111], v108 offset:160
	s_waitcnt lgkmcnt(0)
	v_mul_f64 v[112:113], v[1:2], v[110:111]
	v_mul_f64 v[110:111], v[3:4], v[110:111]
	v_fma_f64 v[3:4], v[3:4], v[108:109], -v[112:113]
	v_fma_f64 v[1:2], v[1:2], v[108:109], v[110:111]
	buffer_store_dword v4, off, s[0:3], 0 offset:180
	buffer_store_dword v3, off, s[0:3], 0 offset:176
	buffer_store_dword v2, off, s[0:3], 0 offset:188
	buffer_store_dword v1, off, s[0:3], 0 offset:184
.LBB113_55:
	s_or_b32 exec_lo, exec_lo, s4
	v_mov_b32_e32 v4, s51
	s_waitcnt_vscnt null, 0x0
	s_barrier
	buffer_gl0_inv
	s_mov_b32 s4, exec_lo
	s_clause 0x3
	buffer_load_dword v1, v4, s[0:3], 0 offen
	buffer_load_dword v2, v4, s[0:3], 0 offen offset:4
	buffer_load_dword v3, v4, s[0:3], 0 offen offset:8
	;; [unrolled: 1-line block ×3, first 2 shown]
	s_waitcnt vmcnt(0)
	ds_write_b128 v5, v[1:4]
	s_waitcnt lgkmcnt(0)
	s_barrier
	buffer_gl0_inv
	v_cmpx_gt_u32_e32 11, v0
	s_cbranch_execz .LBB113_59
; %bb.56:
	v_mov_b32_e32 v1, 0
	v_mov_b32_e32 v3, 0
	v_add_nc_u32_e32 v108, -1, v0
	v_add_nc_u32_e32 v109, 0x320, v7
	v_mov_b32_e32 v2, 0
	v_mov_b32_e32 v4, 0
	v_add_nc_u32_e32 v110, 16, v7
	s_mov_b32 s5, 0
	.p2align	6
.LBB113_57:                             ; =>This Inner Loop Header: Depth=1
	s_clause 0x3
	buffer_load_dword v115, v110, s[0:3], 0 offen offset:8
	buffer_load_dword v116, v110, s[0:3], 0 offen offset:12
	buffer_load_dword v117, v110, s[0:3], 0 offen
	buffer_load_dword v118, v110, s[0:3], 0 offen offset:4
	ds_read_b128 v[111:114], v109
	v_add_nc_u32_e32 v108, 1, v108
	v_add_nc_u32_e32 v109, 16, v109
	;; [unrolled: 1-line block ×3, first 2 shown]
	v_cmp_lt_u32_e32 vcc_lo, 9, v108
	s_or_b32 s5, vcc_lo, s5
	s_waitcnt vmcnt(2) lgkmcnt(0)
	v_mul_f64 v[119:120], v[113:114], v[115:116]
	v_mul_f64 v[115:116], v[111:112], v[115:116]
	s_waitcnt vmcnt(0)
	v_fma_f64 v[111:112], v[111:112], v[117:118], -v[119:120]
	v_fma_f64 v[113:114], v[113:114], v[117:118], v[115:116]
	v_add_f64 v[3:4], v[3:4], v[111:112]
	v_add_f64 v[1:2], v[1:2], v[113:114]
	s_andn2_b32 exec_lo, exec_lo, s5
	s_cbranch_execnz .LBB113_57
; %bb.58:
	s_or_b32 exec_lo, exec_lo, s5
	v_mov_b32_e32 v108, 0
	ds_read_b128 v[108:111], v108 offset:176
	s_waitcnt lgkmcnt(0)
	v_mul_f64 v[112:113], v[1:2], v[110:111]
	v_mul_f64 v[110:111], v[3:4], v[110:111]
	v_fma_f64 v[3:4], v[3:4], v[108:109], -v[112:113]
	v_fma_f64 v[1:2], v[1:2], v[108:109], v[110:111]
	buffer_store_dword v4, off, s[0:3], 0 offset:196
	buffer_store_dword v3, off, s[0:3], 0 offset:192
	buffer_store_dword v2, off, s[0:3], 0 offset:204
	buffer_store_dword v1, off, s[0:3], 0 offset:200
.LBB113_59:
	s_or_b32 exec_lo, exec_lo, s4
	v_mov_b32_e32 v4, s50
	s_waitcnt_vscnt null, 0x0
	s_barrier
	buffer_gl0_inv
	s_mov_b32 s4, exec_lo
	s_clause 0x3
	buffer_load_dword v1, v4, s[0:3], 0 offen
	buffer_load_dword v2, v4, s[0:3], 0 offen offset:4
	buffer_load_dword v3, v4, s[0:3], 0 offen offset:8
	;; [unrolled: 1-line block ×3, first 2 shown]
	s_waitcnt vmcnt(0)
	ds_write_b128 v5, v[1:4]
	s_waitcnt lgkmcnt(0)
	s_barrier
	buffer_gl0_inv
	v_cmpx_gt_u32_e32 12, v0
	s_cbranch_execz .LBB113_63
; %bb.60:
	v_mov_b32_e32 v1, 0
	v_mov_b32_e32 v3, 0
	v_add_nc_u32_e32 v108, -1, v0
	v_add_nc_u32_e32 v109, 0x320, v7
	v_mov_b32_e32 v2, 0
	v_mov_b32_e32 v4, 0
	v_add_nc_u32_e32 v110, 16, v7
	s_mov_b32 s5, 0
	.p2align	6
.LBB113_61:                             ; =>This Inner Loop Header: Depth=1
	s_clause 0x3
	buffer_load_dword v115, v110, s[0:3], 0 offen offset:8
	buffer_load_dword v116, v110, s[0:3], 0 offen offset:12
	buffer_load_dword v117, v110, s[0:3], 0 offen
	buffer_load_dword v118, v110, s[0:3], 0 offen offset:4
	ds_read_b128 v[111:114], v109
	v_add_nc_u32_e32 v108, 1, v108
	v_add_nc_u32_e32 v109, 16, v109
	;; [unrolled: 1-line block ×3, first 2 shown]
	v_cmp_lt_u32_e32 vcc_lo, 10, v108
	s_or_b32 s5, vcc_lo, s5
	s_waitcnt vmcnt(2) lgkmcnt(0)
	v_mul_f64 v[119:120], v[113:114], v[115:116]
	v_mul_f64 v[115:116], v[111:112], v[115:116]
	s_waitcnt vmcnt(0)
	v_fma_f64 v[111:112], v[111:112], v[117:118], -v[119:120]
	v_fma_f64 v[113:114], v[113:114], v[117:118], v[115:116]
	v_add_f64 v[3:4], v[3:4], v[111:112]
	v_add_f64 v[1:2], v[1:2], v[113:114]
	s_andn2_b32 exec_lo, exec_lo, s5
	s_cbranch_execnz .LBB113_61
; %bb.62:
	s_or_b32 exec_lo, exec_lo, s5
	v_mov_b32_e32 v108, 0
	ds_read_b128 v[108:111], v108 offset:192
	s_waitcnt lgkmcnt(0)
	v_mul_f64 v[112:113], v[1:2], v[110:111]
	v_mul_f64 v[110:111], v[3:4], v[110:111]
	v_fma_f64 v[3:4], v[3:4], v[108:109], -v[112:113]
	v_fma_f64 v[1:2], v[1:2], v[108:109], v[110:111]
	buffer_store_dword v4, off, s[0:3], 0 offset:212
	buffer_store_dword v3, off, s[0:3], 0 offset:208
	;; [unrolled: 1-line block ×4, first 2 shown]
.LBB113_63:
	s_or_b32 exec_lo, exec_lo, s4
	v_mov_b32_e32 v4, s49
	s_waitcnt_vscnt null, 0x0
	s_barrier
	buffer_gl0_inv
	s_mov_b32 s4, exec_lo
	s_clause 0x3
	buffer_load_dword v1, v4, s[0:3], 0 offen
	buffer_load_dword v2, v4, s[0:3], 0 offen offset:4
	buffer_load_dword v3, v4, s[0:3], 0 offen offset:8
	;; [unrolled: 1-line block ×3, first 2 shown]
	s_waitcnt vmcnt(0)
	ds_write_b128 v5, v[1:4]
	s_waitcnt lgkmcnt(0)
	s_barrier
	buffer_gl0_inv
	v_cmpx_gt_u32_e32 13, v0
	s_cbranch_execz .LBB113_67
; %bb.64:
	v_mov_b32_e32 v1, 0
	v_mov_b32_e32 v3, 0
	v_add_nc_u32_e32 v108, -1, v0
	v_add_nc_u32_e32 v109, 0x320, v7
	v_mov_b32_e32 v2, 0
	v_mov_b32_e32 v4, 0
	v_add_nc_u32_e32 v110, 16, v7
	s_mov_b32 s5, 0
	.p2align	6
.LBB113_65:                             ; =>This Inner Loop Header: Depth=1
	s_clause 0x3
	buffer_load_dword v115, v110, s[0:3], 0 offen offset:8
	buffer_load_dword v116, v110, s[0:3], 0 offen offset:12
	buffer_load_dword v117, v110, s[0:3], 0 offen
	buffer_load_dword v118, v110, s[0:3], 0 offen offset:4
	ds_read_b128 v[111:114], v109
	v_add_nc_u32_e32 v108, 1, v108
	v_add_nc_u32_e32 v109, 16, v109
	;; [unrolled: 1-line block ×3, first 2 shown]
	v_cmp_lt_u32_e32 vcc_lo, 11, v108
	s_or_b32 s5, vcc_lo, s5
	s_waitcnt vmcnt(2) lgkmcnt(0)
	v_mul_f64 v[119:120], v[113:114], v[115:116]
	v_mul_f64 v[115:116], v[111:112], v[115:116]
	s_waitcnt vmcnt(0)
	v_fma_f64 v[111:112], v[111:112], v[117:118], -v[119:120]
	v_fma_f64 v[113:114], v[113:114], v[117:118], v[115:116]
	v_add_f64 v[3:4], v[3:4], v[111:112]
	v_add_f64 v[1:2], v[1:2], v[113:114]
	s_andn2_b32 exec_lo, exec_lo, s5
	s_cbranch_execnz .LBB113_65
; %bb.66:
	s_or_b32 exec_lo, exec_lo, s5
	v_mov_b32_e32 v108, 0
	ds_read_b128 v[108:111], v108 offset:208
	s_waitcnt lgkmcnt(0)
	v_mul_f64 v[112:113], v[1:2], v[110:111]
	v_mul_f64 v[110:111], v[3:4], v[110:111]
	v_fma_f64 v[3:4], v[3:4], v[108:109], -v[112:113]
	v_fma_f64 v[1:2], v[1:2], v[108:109], v[110:111]
	buffer_store_dword v4, off, s[0:3], 0 offset:228
	buffer_store_dword v3, off, s[0:3], 0 offset:224
	;; [unrolled: 1-line block ×4, first 2 shown]
.LBB113_67:
	s_or_b32 exec_lo, exec_lo, s4
	v_mov_b32_e32 v4, s48
	s_waitcnt_vscnt null, 0x0
	s_barrier
	buffer_gl0_inv
	s_mov_b32 s4, exec_lo
	s_clause 0x3
	buffer_load_dword v1, v4, s[0:3], 0 offen
	buffer_load_dword v2, v4, s[0:3], 0 offen offset:4
	buffer_load_dword v3, v4, s[0:3], 0 offen offset:8
	buffer_load_dword v4, v4, s[0:3], 0 offen offset:12
	s_waitcnt vmcnt(0)
	ds_write_b128 v5, v[1:4]
	s_waitcnt lgkmcnt(0)
	s_barrier
	buffer_gl0_inv
	v_cmpx_gt_u32_e32 14, v0
	s_cbranch_execz .LBB113_71
; %bb.68:
	v_mov_b32_e32 v1, 0
	v_mov_b32_e32 v3, 0
	v_add_nc_u32_e32 v108, -1, v0
	v_add_nc_u32_e32 v109, 0x320, v7
	v_mov_b32_e32 v2, 0
	v_mov_b32_e32 v4, 0
	v_add_nc_u32_e32 v110, 16, v7
	s_mov_b32 s5, 0
	.p2align	6
.LBB113_69:                             ; =>This Inner Loop Header: Depth=1
	s_clause 0x3
	buffer_load_dword v115, v110, s[0:3], 0 offen offset:8
	buffer_load_dword v116, v110, s[0:3], 0 offen offset:12
	buffer_load_dword v117, v110, s[0:3], 0 offen
	buffer_load_dword v118, v110, s[0:3], 0 offen offset:4
	ds_read_b128 v[111:114], v109
	v_add_nc_u32_e32 v108, 1, v108
	v_add_nc_u32_e32 v109, 16, v109
	;; [unrolled: 1-line block ×3, first 2 shown]
	v_cmp_lt_u32_e32 vcc_lo, 12, v108
	s_or_b32 s5, vcc_lo, s5
	s_waitcnt vmcnt(2) lgkmcnt(0)
	v_mul_f64 v[119:120], v[113:114], v[115:116]
	v_mul_f64 v[115:116], v[111:112], v[115:116]
	s_waitcnt vmcnt(0)
	v_fma_f64 v[111:112], v[111:112], v[117:118], -v[119:120]
	v_fma_f64 v[113:114], v[113:114], v[117:118], v[115:116]
	v_add_f64 v[3:4], v[3:4], v[111:112]
	v_add_f64 v[1:2], v[1:2], v[113:114]
	s_andn2_b32 exec_lo, exec_lo, s5
	s_cbranch_execnz .LBB113_69
; %bb.70:
	s_or_b32 exec_lo, exec_lo, s5
	v_mov_b32_e32 v108, 0
	ds_read_b128 v[108:111], v108 offset:224
	s_waitcnt lgkmcnt(0)
	v_mul_f64 v[112:113], v[1:2], v[110:111]
	v_mul_f64 v[110:111], v[3:4], v[110:111]
	v_fma_f64 v[3:4], v[3:4], v[108:109], -v[112:113]
	v_fma_f64 v[1:2], v[1:2], v[108:109], v[110:111]
	buffer_store_dword v4, off, s[0:3], 0 offset:244
	buffer_store_dword v3, off, s[0:3], 0 offset:240
	;; [unrolled: 1-line block ×4, first 2 shown]
.LBB113_71:
	s_or_b32 exec_lo, exec_lo, s4
	v_mov_b32_e32 v4, s47
	s_waitcnt_vscnt null, 0x0
	s_barrier
	buffer_gl0_inv
	s_mov_b32 s4, exec_lo
	s_clause 0x3
	buffer_load_dword v1, v4, s[0:3], 0 offen
	buffer_load_dword v2, v4, s[0:3], 0 offen offset:4
	buffer_load_dword v3, v4, s[0:3], 0 offen offset:8
	;; [unrolled: 1-line block ×3, first 2 shown]
	s_waitcnt vmcnt(0)
	ds_write_b128 v5, v[1:4]
	s_waitcnt lgkmcnt(0)
	s_barrier
	buffer_gl0_inv
	v_cmpx_gt_u32_e32 15, v0
	s_cbranch_execz .LBB113_75
; %bb.72:
	v_mov_b32_e32 v1, 0
	v_mov_b32_e32 v3, 0
	v_add_nc_u32_e32 v108, -1, v0
	v_add_nc_u32_e32 v109, 0x320, v7
	v_mov_b32_e32 v2, 0
	v_mov_b32_e32 v4, 0
	v_add_nc_u32_e32 v110, 16, v7
	s_mov_b32 s5, 0
	.p2align	6
.LBB113_73:                             ; =>This Inner Loop Header: Depth=1
	s_clause 0x3
	buffer_load_dword v115, v110, s[0:3], 0 offen offset:8
	buffer_load_dword v116, v110, s[0:3], 0 offen offset:12
	buffer_load_dword v117, v110, s[0:3], 0 offen
	buffer_load_dword v118, v110, s[0:3], 0 offen offset:4
	ds_read_b128 v[111:114], v109
	v_add_nc_u32_e32 v108, 1, v108
	v_add_nc_u32_e32 v109, 16, v109
	v_add_nc_u32_e32 v110, 16, v110
	v_cmp_lt_u32_e32 vcc_lo, 13, v108
	s_or_b32 s5, vcc_lo, s5
	s_waitcnt vmcnt(2) lgkmcnt(0)
	v_mul_f64 v[119:120], v[113:114], v[115:116]
	v_mul_f64 v[115:116], v[111:112], v[115:116]
	s_waitcnt vmcnt(0)
	v_fma_f64 v[111:112], v[111:112], v[117:118], -v[119:120]
	v_fma_f64 v[113:114], v[113:114], v[117:118], v[115:116]
	v_add_f64 v[3:4], v[3:4], v[111:112]
	v_add_f64 v[1:2], v[1:2], v[113:114]
	s_andn2_b32 exec_lo, exec_lo, s5
	s_cbranch_execnz .LBB113_73
; %bb.74:
	s_or_b32 exec_lo, exec_lo, s5
	v_mov_b32_e32 v108, 0
	ds_read_b128 v[108:111], v108 offset:240
	s_waitcnt lgkmcnt(0)
	v_mul_f64 v[112:113], v[1:2], v[110:111]
	v_mul_f64 v[110:111], v[3:4], v[110:111]
	v_fma_f64 v[3:4], v[3:4], v[108:109], -v[112:113]
	v_fma_f64 v[1:2], v[1:2], v[108:109], v[110:111]
	buffer_store_dword v4, off, s[0:3], 0 offset:260
	buffer_store_dword v3, off, s[0:3], 0 offset:256
	;; [unrolled: 1-line block ×4, first 2 shown]
.LBB113_75:
	s_or_b32 exec_lo, exec_lo, s4
	v_mov_b32_e32 v4, s46
	s_waitcnt_vscnt null, 0x0
	s_barrier
	buffer_gl0_inv
	s_mov_b32 s4, exec_lo
	s_clause 0x3
	buffer_load_dword v1, v4, s[0:3], 0 offen
	buffer_load_dword v2, v4, s[0:3], 0 offen offset:4
	buffer_load_dword v3, v4, s[0:3], 0 offen offset:8
	;; [unrolled: 1-line block ×3, first 2 shown]
	s_waitcnt vmcnt(0)
	ds_write_b128 v5, v[1:4]
	s_waitcnt lgkmcnt(0)
	s_barrier
	buffer_gl0_inv
	v_cmpx_gt_u32_e32 16, v0
	s_cbranch_execz .LBB113_79
; %bb.76:
	v_mov_b32_e32 v1, 0
	v_mov_b32_e32 v3, 0
	v_add_nc_u32_e32 v108, -1, v0
	v_add_nc_u32_e32 v109, 0x320, v7
	v_mov_b32_e32 v2, 0
	v_mov_b32_e32 v4, 0
	v_add_nc_u32_e32 v110, 16, v7
	s_mov_b32 s5, 0
	.p2align	6
.LBB113_77:                             ; =>This Inner Loop Header: Depth=1
	s_clause 0x3
	buffer_load_dword v115, v110, s[0:3], 0 offen offset:8
	buffer_load_dword v116, v110, s[0:3], 0 offen offset:12
	buffer_load_dword v117, v110, s[0:3], 0 offen
	buffer_load_dword v118, v110, s[0:3], 0 offen offset:4
	ds_read_b128 v[111:114], v109
	v_add_nc_u32_e32 v108, 1, v108
	v_add_nc_u32_e32 v109, 16, v109
	;; [unrolled: 1-line block ×3, first 2 shown]
	v_cmp_lt_u32_e32 vcc_lo, 14, v108
	s_or_b32 s5, vcc_lo, s5
	s_waitcnt vmcnt(2) lgkmcnt(0)
	v_mul_f64 v[119:120], v[113:114], v[115:116]
	v_mul_f64 v[115:116], v[111:112], v[115:116]
	s_waitcnt vmcnt(0)
	v_fma_f64 v[111:112], v[111:112], v[117:118], -v[119:120]
	v_fma_f64 v[113:114], v[113:114], v[117:118], v[115:116]
	v_add_f64 v[3:4], v[3:4], v[111:112]
	v_add_f64 v[1:2], v[1:2], v[113:114]
	s_andn2_b32 exec_lo, exec_lo, s5
	s_cbranch_execnz .LBB113_77
; %bb.78:
	s_or_b32 exec_lo, exec_lo, s5
	v_mov_b32_e32 v108, 0
	ds_read_b128 v[108:111], v108 offset:256
	s_waitcnt lgkmcnt(0)
	v_mul_f64 v[112:113], v[1:2], v[110:111]
	v_mul_f64 v[110:111], v[3:4], v[110:111]
	v_fma_f64 v[3:4], v[3:4], v[108:109], -v[112:113]
	v_fma_f64 v[1:2], v[1:2], v[108:109], v[110:111]
	buffer_store_dword v4, off, s[0:3], 0 offset:276
	buffer_store_dword v3, off, s[0:3], 0 offset:272
	buffer_store_dword v2, off, s[0:3], 0 offset:284
	buffer_store_dword v1, off, s[0:3], 0 offset:280
.LBB113_79:
	s_or_b32 exec_lo, exec_lo, s4
	v_mov_b32_e32 v4, s45
	s_waitcnt_vscnt null, 0x0
	s_barrier
	buffer_gl0_inv
	s_mov_b32 s4, exec_lo
	s_clause 0x3
	buffer_load_dword v1, v4, s[0:3], 0 offen
	buffer_load_dword v2, v4, s[0:3], 0 offen offset:4
	buffer_load_dword v3, v4, s[0:3], 0 offen offset:8
	;; [unrolled: 1-line block ×3, first 2 shown]
	s_waitcnt vmcnt(0)
	ds_write_b128 v5, v[1:4]
	s_waitcnt lgkmcnt(0)
	s_barrier
	buffer_gl0_inv
	v_cmpx_gt_u32_e32 17, v0
	s_cbranch_execz .LBB113_83
; %bb.80:
	v_mov_b32_e32 v1, 0
	v_mov_b32_e32 v3, 0
	v_add_nc_u32_e32 v108, -1, v0
	v_add_nc_u32_e32 v109, 0x320, v7
	v_mov_b32_e32 v2, 0
	v_mov_b32_e32 v4, 0
	v_add_nc_u32_e32 v110, 16, v7
	s_mov_b32 s5, 0
	.p2align	6
.LBB113_81:                             ; =>This Inner Loop Header: Depth=1
	s_clause 0x3
	buffer_load_dword v115, v110, s[0:3], 0 offen offset:8
	buffer_load_dword v116, v110, s[0:3], 0 offen offset:12
	buffer_load_dword v117, v110, s[0:3], 0 offen
	buffer_load_dword v118, v110, s[0:3], 0 offen offset:4
	ds_read_b128 v[111:114], v109
	v_add_nc_u32_e32 v108, 1, v108
	v_add_nc_u32_e32 v109, 16, v109
	;; [unrolled: 1-line block ×3, first 2 shown]
	v_cmp_lt_u32_e32 vcc_lo, 15, v108
	s_or_b32 s5, vcc_lo, s5
	s_waitcnt vmcnt(2) lgkmcnt(0)
	v_mul_f64 v[119:120], v[113:114], v[115:116]
	v_mul_f64 v[115:116], v[111:112], v[115:116]
	s_waitcnt vmcnt(0)
	v_fma_f64 v[111:112], v[111:112], v[117:118], -v[119:120]
	v_fma_f64 v[113:114], v[113:114], v[117:118], v[115:116]
	v_add_f64 v[3:4], v[3:4], v[111:112]
	v_add_f64 v[1:2], v[1:2], v[113:114]
	s_andn2_b32 exec_lo, exec_lo, s5
	s_cbranch_execnz .LBB113_81
; %bb.82:
	s_or_b32 exec_lo, exec_lo, s5
	v_mov_b32_e32 v108, 0
	ds_read_b128 v[108:111], v108 offset:272
	s_waitcnt lgkmcnt(0)
	v_mul_f64 v[112:113], v[1:2], v[110:111]
	v_mul_f64 v[110:111], v[3:4], v[110:111]
	v_fma_f64 v[3:4], v[3:4], v[108:109], -v[112:113]
	v_fma_f64 v[1:2], v[1:2], v[108:109], v[110:111]
	buffer_store_dword v4, off, s[0:3], 0 offset:292
	buffer_store_dword v3, off, s[0:3], 0 offset:288
	;; [unrolled: 1-line block ×4, first 2 shown]
.LBB113_83:
	s_or_b32 exec_lo, exec_lo, s4
	v_mov_b32_e32 v4, s44
	s_waitcnt_vscnt null, 0x0
	s_barrier
	buffer_gl0_inv
	s_mov_b32 s4, exec_lo
	s_clause 0x3
	buffer_load_dword v1, v4, s[0:3], 0 offen
	buffer_load_dword v2, v4, s[0:3], 0 offen offset:4
	buffer_load_dword v3, v4, s[0:3], 0 offen offset:8
	;; [unrolled: 1-line block ×3, first 2 shown]
	s_waitcnt vmcnt(0)
	ds_write_b128 v5, v[1:4]
	s_waitcnt lgkmcnt(0)
	s_barrier
	buffer_gl0_inv
	v_cmpx_gt_u32_e32 18, v0
	s_cbranch_execz .LBB113_87
; %bb.84:
	v_mov_b32_e32 v1, 0
	v_mov_b32_e32 v3, 0
	v_add_nc_u32_e32 v108, -1, v0
	v_add_nc_u32_e32 v109, 0x320, v7
	v_mov_b32_e32 v2, 0
	v_mov_b32_e32 v4, 0
	v_add_nc_u32_e32 v110, 16, v7
	s_mov_b32 s5, 0
	.p2align	6
.LBB113_85:                             ; =>This Inner Loop Header: Depth=1
	s_clause 0x3
	buffer_load_dword v115, v110, s[0:3], 0 offen offset:8
	buffer_load_dword v116, v110, s[0:3], 0 offen offset:12
	buffer_load_dword v117, v110, s[0:3], 0 offen
	buffer_load_dword v118, v110, s[0:3], 0 offen offset:4
	ds_read_b128 v[111:114], v109
	v_add_nc_u32_e32 v108, 1, v108
	v_add_nc_u32_e32 v109, 16, v109
	v_add_nc_u32_e32 v110, 16, v110
	v_cmp_lt_u32_e32 vcc_lo, 16, v108
	s_or_b32 s5, vcc_lo, s5
	s_waitcnt vmcnt(2) lgkmcnt(0)
	v_mul_f64 v[119:120], v[113:114], v[115:116]
	v_mul_f64 v[115:116], v[111:112], v[115:116]
	s_waitcnt vmcnt(0)
	v_fma_f64 v[111:112], v[111:112], v[117:118], -v[119:120]
	v_fma_f64 v[113:114], v[113:114], v[117:118], v[115:116]
	v_add_f64 v[3:4], v[3:4], v[111:112]
	v_add_f64 v[1:2], v[1:2], v[113:114]
	s_andn2_b32 exec_lo, exec_lo, s5
	s_cbranch_execnz .LBB113_85
; %bb.86:
	s_or_b32 exec_lo, exec_lo, s5
	v_mov_b32_e32 v108, 0
	ds_read_b128 v[108:111], v108 offset:288
	s_waitcnt lgkmcnt(0)
	v_mul_f64 v[112:113], v[1:2], v[110:111]
	v_mul_f64 v[110:111], v[3:4], v[110:111]
	v_fma_f64 v[3:4], v[3:4], v[108:109], -v[112:113]
	v_fma_f64 v[1:2], v[1:2], v[108:109], v[110:111]
	buffer_store_dword v4, off, s[0:3], 0 offset:308
	buffer_store_dword v3, off, s[0:3], 0 offset:304
	;; [unrolled: 1-line block ×4, first 2 shown]
.LBB113_87:
	s_or_b32 exec_lo, exec_lo, s4
	v_mov_b32_e32 v4, s43
	s_waitcnt_vscnt null, 0x0
	s_barrier
	buffer_gl0_inv
	s_mov_b32 s4, exec_lo
	s_clause 0x3
	buffer_load_dword v1, v4, s[0:3], 0 offen
	buffer_load_dword v2, v4, s[0:3], 0 offen offset:4
	buffer_load_dword v3, v4, s[0:3], 0 offen offset:8
	;; [unrolled: 1-line block ×3, first 2 shown]
	s_waitcnt vmcnt(0)
	ds_write_b128 v5, v[1:4]
	s_waitcnt lgkmcnt(0)
	s_barrier
	buffer_gl0_inv
	v_cmpx_gt_u32_e32 19, v0
	s_cbranch_execz .LBB113_91
; %bb.88:
	v_mov_b32_e32 v1, 0
	v_mov_b32_e32 v3, 0
	v_add_nc_u32_e32 v108, -1, v0
	v_add_nc_u32_e32 v109, 0x320, v7
	v_mov_b32_e32 v2, 0
	v_mov_b32_e32 v4, 0
	v_add_nc_u32_e32 v110, 16, v7
	s_mov_b32 s5, 0
	.p2align	6
.LBB113_89:                             ; =>This Inner Loop Header: Depth=1
	s_clause 0x3
	buffer_load_dword v115, v110, s[0:3], 0 offen offset:8
	buffer_load_dword v116, v110, s[0:3], 0 offen offset:12
	buffer_load_dword v117, v110, s[0:3], 0 offen
	buffer_load_dword v118, v110, s[0:3], 0 offen offset:4
	ds_read_b128 v[111:114], v109
	v_add_nc_u32_e32 v108, 1, v108
	v_add_nc_u32_e32 v109, 16, v109
	;; [unrolled: 1-line block ×3, first 2 shown]
	v_cmp_lt_u32_e32 vcc_lo, 17, v108
	s_or_b32 s5, vcc_lo, s5
	s_waitcnt vmcnt(2) lgkmcnt(0)
	v_mul_f64 v[119:120], v[113:114], v[115:116]
	v_mul_f64 v[115:116], v[111:112], v[115:116]
	s_waitcnt vmcnt(0)
	v_fma_f64 v[111:112], v[111:112], v[117:118], -v[119:120]
	v_fma_f64 v[113:114], v[113:114], v[117:118], v[115:116]
	v_add_f64 v[3:4], v[3:4], v[111:112]
	v_add_f64 v[1:2], v[1:2], v[113:114]
	s_andn2_b32 exec_lo, exec_lo, s5
	s_cbranch_execnz .LBB113_89
; %bb.90:
	s_or_b32 exec_lo, exec_lo, s5
	v_mov_b32_e32 v108, 0
	ds_read_b128 v[108:111], v108 offset:304
	s_waitcnt lgkmcnt(0)
	v_mul_f64 v[112:113], v[1:2], v[110:111]
	v_mul_f64 v[110:111], v[3:4], v[110:111]
	v_fma_f64 v[3:4], v[3:4], v[108:109], -v[112:113]
	v_fma_f64 v[1:2], v[1:2], v[108:109], v[110:111]
	buffer_store_dword v4, off, s[0:3], 0 offset:324
	buffer_store_dword v3, off, s[0:3], 0 offset:320
	;; [unrolled: 1-line block ×4, first 2 shown]
.LBB113_91:
	s_or_b32 exec_lo, exec_lo, s4
	v_mov_b32_e32 v4, s42
	s_waitcnt_vscnt null, 0x0
	s_barrier
	buffer_gl0_inv
	s_mov_b32 s4, exec_lo
	s_clause 0x3
	buffer_load_dword v1, v4, s[0:3], 0 offen
	buffer_load_dword v2, v4, s[0:3], 0 offen offset:4
	buffer_load_dword v3, v4, s[0:3], 0 offen offset:8
	;; [unrolled: 1-line block ×3, first 2 shown]
	s_waitcnt vmcnt(0)
	ds_write_b128 v5, v[1:4]
	s_waitcnt lgkmcnt(0)
	s_barrier
	buffer_gl0_inv
	v_cmpx_gt_u32_e32 20, v0
	s_cbranch_execz .LBB113_95
; %bb.92:
	v_mov_b32_e32 v1, 0
	v_mov_b32_e32 v3, 0
	v_add_nc_u32_e32 v108, -1, v0
	v_add_nc_u32_e32 v109, 0x320, v7
	v_mov_b32_e32 v2, 0
	v_mov_b32_e32 v4, 0
	v_add_nc_u32_e32 v110, 16, v7
	s_mov_b32 s5, 0
	.p2align	6
.LBB113_93:                             ; =>This Inner Loop Header: Depth=1
	s_clause 0x3
	buffer_load_dword v115, v110, s[0:3], 0 offen offset:8
	buffer_load_dword v116, v110, s[0:3], 0 offen offset:12
	buffer_load_dword v117, v110, s[0:3], 0 offen
	buffer_load_dword v118, v110, s[0:3], 0 offen offset:4
	ds_read_b128 v[111:114], v109
	v_add_nc_u32_e32 v108, 1, v108
	v_add_nc_u32_e32 v109, 16, v109
	;; [unrolled: 1-line block ×3, first 2 shown]
	v_cmp_lt_u32_e32 vcc_lo, 18, v108
	s_or_b32 s5, vcc_lo, s5
	s_waitcnt vmcnt(2) lgkmcnt(0)
	v_mul_f64 v[119:120], v[113:114], v[115:116]
	v_mul_f64 v[115:116], v[111:112], v[115:116]
	s_waitcnt vmcnt(0)
	v_fma_f64 v[111:112], v[111:112], v[117:118], -v[119:120]
	v_fma_f64 v[113:114], v[113:114], v[117:118], v[115:116]
	v_add_f64 v[3:4], v[3:4], v[111:112]
	v_add_f64 v[1:2], v[1:2], v[113:114]
	s_andn2_b32 exec_lo, exec_lo, s5
	s_cbranch_execnz .LBB113_93
; %bb.94:
	s_or_b32 exec_lo, exec_lo, s5
	v_mov_b32_e32 v108, 0
	ds_read_b128 v[108:111], v108 offset:320
	s_waitcnt lgkmcnt(0)
	v_mul_f64 v[112:113], v[1:2], v[110:111]
	v_mul_f64 v[110:111], v[3:4], v[110:111]
	v_fma_f64 v[3:4], v[3:4], v[108:109], -v[112:113]
	v_fma_f64 v[1:2], v[1:2], v[108:109], v[110:111]
	buffer_store_dword v4, off, s[0:3], 0 offset:340
	buffer_store_dword v3, off, s[0:3], 0 offset:336
	buffer_store_dword v2, off, s[0:3], 0 offset:348
	buffer_store_dword v1, off, s[0:3], 0 offset:344
.LBB113_95:
	s_or_b32 exec_lo, exec_lo, s4
	v_mov_b32_e32 v4, s41
	s_waitcnt_vscnt null, 0x0
	s_barrier
	buffer_gl0_inv
	s_mov_b32 s4, exec_lo
	s_clause 0x3
	buffer_load_dword v1, v4, s[0:3], 0 offen
	buffer_load_dword v2, v4, s[0:3], 0 offen offset:4
	buffer_load_dword v3, v4, s[0:3], 0 offen offset:8
	;; [unrolled: 1-line block ×3, first 2 shown]
	s_waitcnt vmcnt(0)
	ds_write_b128 v5, v[1:4]
	s_waitcnt lgkmcnt(0)
	s_barrier
	buffer_gl0_inv
	v_cmpx_gt_u32_e32 21, v0
	s_cbranch_execz .LBB113_99
; %bb.96:
	v_mov_b32_e32 v1, 0
	v_mov_b32_e32 v3, 0
	v_add_nc_u32_e32 v108, -1, v0
	v_add_nc_u32_e32 v109, 0x320, v7
	v_mov_b32_e32 v2, 0
	v_mov_b32_e32 v4, 0
	v_add_nc_u32_e32 v110, 16, v7
	s_mov_b32 s5, 0
	.p2align	6
.LBB113_97:                             ; =>This Inner Loop Header: Depth=1
	s_clause 0x3
	buffer_load_dword v115, v110, s[0:3], 0 offen offset:8
	buffer_load_dword v116, v110, s[0:3], 0 offen offset:12
	buffer_load_dword v117, v110, s[0:3], 0 offen
	buffer_load_dword v118, v110, s[0:3], 0 offen offset:4
	ds_read_b128 v[111:114], v109
	v_add_nc_u32_e32 v108, 1, v108
	v_add_nc_u32_e32 v109, 16, v109
	;; [unrolled: 1-line block ×3, first 2 shown]
	v_cmp_lt_u32_e32 vcc_lo, 19, v108
	s_or_b32 s5, vcc_lo, s5
	s_waitcnt vmcnt(2) lgkmcnt(0)
	v_mul_f64 v[119:120], v[113:114], v[115:116]
	v_mul_f64 v[115:116], v[111:112], v[115:116]
	s_waitcnt vmcnt(0)
	v_fma_f64 v[111:112], v[111:112], v[117:118], -v[119:120]
	v_fma_f64 v[113:114], v[113:114], v[117:118], v[115:116]
	v_add_f64 v[3:4], v[3:4], v[111:112]
	v_add_f64 v[1:2], v[1:2], v[113:114]
	s_andn2_b32 exec_lo, exec_lo, s5
	s_cbranch_execnz .LBB113_97
; %bb.98:
	s_or_b32 exec_lo, exec_lo, s5
	v_mov_b32_e32 v108, 0
	ds_read_b128 v[108:111], v108 offset:336
	s_waitcnt lgkmcnt(0)
	v_mul_f64 v[112:113], v[1:2], v[110:111]
	v_mul_f64 v[110:111], v[3:4], v[110:111]
	v_fma_f64 v[3:4], v[3:4], v[108:109], -v[112:113]
	v_fma_f64 v[1:2], v[1:2], v[108:109], v[110:111]
	buffer_store_dword v4, off, s[0:3], 0 offset:356
	buffer_store_dword v3, off, s[0:3], 0 offset:352
	;; [unrolled: 1-line block ×4, first 2 shown]
.LBB113_99:
	s_or_b32 exec_lo, exec_lo, s4
	v_mov_b32_e32 v4, s40
	s_waitcnt_vscnt null, 0x0
	s_barrier
	buffer_gl0_inv
	s_mov_b32 s4, exec_lo
	s_clause 0x3
	buffer_load_dword v1, v4, s[0:3], 0 offen
	buffer_load_dword v2, v4, s[0:3], 0 offen offset:4
	buffer_load_dword v3, v4, s[0:3], 0 offen offset:8
	;; [unrolled: 1-line block ×3, first 2 shown]
	s_waitcnt vmcnt(0)
	ds_write_b128 v5, v[1:4]
	s_waitcnt lgkmcnt(0)
	s_barrier
	buffer_gl0_inv
	v_cmpx_gt_u32_e32 22, v0
	s_cbranch_execz .LBB113_103
; %bb.100:
	v_mov_b32_e32 v1, 0
	v_mov_b32_e32 v3, 0
	v_add_nc_u32_e32 v108, -1, v0
	v_add_nc_u32_e32 v109, 0x320, v7
	v_mov_b32_e32 v2, 0
	v_mov_b32_e32 v4, 0
	v_add_nc_u32_e32 v110, 16, v7
	s_mov_b32 s5, 0
	.p2align	6
.LBB113_101:                            ; =>This Inner Loop Header: Depth=1
	s_clause 0x3
	buffer_load_dword v115, v110, s[0:3], 0 offen offset:8
	buffer_load_dword v116, v110, s[0:3], 0 offen offset:12
	buffer_load_dword v117, v110, s[0:3], 0 offen
	buffer_load_dword v118, v110, s[0:3], 0 offen offset:4
	ds_read_b128 v[111:114], v109
	v_add_nc_u32_e32 v108, 1, v108
	v_add_nc_u32_e32 v109, 16, v109
	;; [unrolled: 1-line block ×3, first 2 shown]
	v_cmp_lt_u32_e32 vcc_lo, 20, v108
	s_or_b32 s5, vcc_lo, s5
	s_waitcnt vmcnt(2) lgkmcnt(0)
	v_mul_f64 v[119:120], v[113:114], v[115:116]
	v_mul_f64 v[115:116], v[111:112], v[115:116]
	s_waitcnt vmcnt(0)
	v_fma_f64 v[111:112], v[111:112], v[117:118], -v[119:120]
	v_fma_f64 v[113:114], v[113:114], v[117:118], v[115:116]
	v_add_f64 v[3:4], v[3:4], v[111:112]
	v_add_f64 v[1:2], v[1:2], v[113:114]
	s_andn2_b32 exec_lo, exec_lo, s5
	s_cbranch_execnz .LBB113_101
; %bb.102:
	s_or_b32 exec_lo, exec_lo, s5
	v_mov_b32_e32 v108, 0
	ds_read_b128 v[108:111], v108 offset:352
	s_waitcnt lgkmcnt(0)
	v_mul_f64 v[112:113], v[1:2], v[110:111]
	v_mul_f64 v[110:111], v[3:4], v[110:111]
	v_fma_f64 v[3:4], v[3:4], v[108:109], -v[112:113]
	v_fma_f64 v[1:2], v[1:2], v[108:109], v[110:111]
	buffer_store_dword v4, off, s[0:3], 0 offset:372
	buffer_store_dword v3, off, s[0:3], 0 offset:368
	;; [unrolled: 1-line block ×4, first 2 shown]
.LBB113_103:
	s_or_b32 exec_lo, exec_lo, s4
	v_mov_b32_e32 v4, s39
	s_waitcnt_vscnt null, 0x0
	s_barrier
	buffer_gl0_inv
	s_mov_b32 s4, exec_lo
	s_clause 0x3
	buffer_load_dword v1, v4, s[0:3], 0 offen
	buffer_load_dword v2, v4, s[0:3], 0 offen offset:4
	buffer_load_dword v3, v4, s[0:3], 0 offen offset:8
	;; [unrolled: 1-line block ×3, first 2 shown]
	s_waitcnt vmcnt(0)
	ds_write_b128 v5, v[1:4]
	s_waitcnt lgkmcnt(0)
	s_barrier
	buffer_gl0_inv
	v_cmpx_gt_u32_e32 23, v0
	s_cbranch_execz .LBB113_107
; %bb.104:
	v_mov_b32_e32 v1, 0
	v_mov_b32_e32 v3, 0
	v_add_nc_u32_e32 v108, -1, v0
	v_add_nc_u32_e32 v109, 0x320, v7
	v_mov_b32_e32 v2, 0
	v_mov_b32_e32 v4, 0
	v_add_nc_u32_e32 v110, 16, v7
	s_mov_b32 s5, 0
	.p2align	6
.LBB113_105:                            ; =>This Inner Loop Header: Depth=1
	s_clause 0x3
	buffer_load_dword v115, v110, s[0:3], 0 offen offset:8
	buffer_load_dword v116, v110, s[0:3], 0 offen offset:12
	buffer_load_dword v117, v110, s[0:3], 0 offen
	buffer_load_dword v118, v110, s[0:3], 0 offen offset:4
	ds_read_b128 v[111:114], v109
	v_add_nc_u32_e32 v108, 1, v108
	v_add_nc_u32_e32 v109, 16, v109
	;; [unrolled: 1-line block ×3, first 2 shown]
	v_cmp_lt_u32_e32 vcc_lo, 21, v108
	s_or_b32 s5, vcc_lo, s5
	s_waitcnt vmcnt(2) lgkmcnt(0)
	v_mul_f64 v[119:120], v[113:114], v[115:116]
	v_mul_f64 v[115:116], v[111:112], v[115:116]
	s_waitcnt vmcnt(0)
	v_fma_f64 v[111:112], v[111:112], v[117:118], -v[119:120]
	v_fma_f64 v[113:114], v[113:114], v[117:118], v[115:116]
	v_add_f64 v[3:4], v[3:4], v[111:112]
	v_add_f64 v[1:2], v[1:2], v[113:114]
	s_andn2_b32 exec_lo, exec_lo, s5
	s_cbranch_execnz .LBB113_105
; %bb.106:
	s_or_b32 exec_lo, exec_lo, s5
	v_mov_b32_e32 v108, 0
	ds_read_b128 v[108:111], v108 offset:368
	s_waitcnt lgkmcnt(0)
	v_mul_f64 v[112:113], v[1:2], v[110:111]
	v_mul_f64 v[110:111], v[3:4], v[110:111]
	v_fma_f64 v[3:4], v[3:4], v[108:109], -v[112:113]
	v_fma_f64 v[1:2], v[1:2], v[108:109], v[110:111]
	buffer_store_dword v4, off, s[0:3], 0 offset:388
	buffer_store_dword v3, off, s[0:3], 0 offset:384
	;; [unrolled: 1-line block ×4, first 2 shown]
.LBB113_107:
	s_or_b32 exec_lo, exec_lo, s4
	v_mov_b32_e32 v4, s38
	s_waitcnt_vscnt null, 0x0
	s_barrier
	buffer_gl0_inv
	s_mov_b32 s4, exec_lo
	s_clause 0x3
	buffer_load_dword v1, v4, s[0:3], 0 offen
	buffer_load_dword v2, v4, s[0:3], 0 offen offset:4
	buffer_load_dword v3, v4, s[0:3], 0 offen offset:8
	;; [unrolled: 1-line block ×3, first 2 shown]
	s_waitcnt vmcnt(0)
	ds_write_b128 v5, v[1:4]
	s_waitcnt lgkmcnt(0)
	s_barrier
	buffer_gl0_inv
	v_cmpx_gt_u32_e32 24, v0
	s_cbranch_execz .LBB113_111
; %bb.108:
	v_mov_b32_e32 v1, 0
	v_mov_b32_e32 v3, 0
	v_add_nc_u32_e32 v108, -1, v0
	v_add_nc_u32_e32 v109, 0x320, v7
	v_mov_b32_e32 v2, 0
	v_mov_b32_e32 v4, 0
	v_add_nc_u32_e32 v110, 16, v7
	s_mov_b32 s5, 0
	.p2align	6
.LBB113_109:                            ; =>This Inner Loop Header: Depth=1
	s_clause 0x3
	buffer_load_dword v115, v110, s[0:3], 0 offen offset:8
	buffer_load_dword v116, v110, s[0:3], 0 offen offset:12
	buffer_load_dword v117, v110, s[0:3], 0 offen
	buffer_load_dword v118, v110, s[0:3], 0 offen offset:4
	ds_read_b128 v[111:114], v109
	v_add_nc_u32_e32 v108, 1, v108
	v_add_nc_u32_e32 v109, 16, v109
	;; [unrolled: 1-line block ×3, first 2 shown]
	v_cmp_lt_u32_e32 vcc_lo, 22, v108
	s_or_b32 s5, vcc_lo, s5
	s_waitcnt vmcnt(2) lgkmcnt(0)
	v_mul_f64 v[119:120], v[113:114], v[115:116]
	v_mul_f64 v[115:116], v[111:112], v[115:116]
	s_waitcnt vmcnt(0)
	v_fma_f64 v[111:112], v[111:112], v[117:118], -v[119:120]
	v_fma_f64 v[113:114], v[113:114], v[117:118], v[115:116]
	v_add_f64 v[3:4], v[3:4], v[111:112]
	v_add_f64 v[1:2], v[1:2], v[113:114]
	s_andn2_b32 exec_lo, exec_lo, s5
	s_cbranch_execnz .LBB113_109
; %bb.110:
	s_or_b32 exec_lo, exec_lo, s5
	v_mov_b32_e32 v108, 0
	ds_read_b128 v[108:111], v108 offset:384
	s_waitcnt lgkmcnt(0)
	v_mul_f64 v[112:113], v[1:2], v[110:111]
	v_mul_f64 v[110:111], v[3:4], v[110:111]
	v_fma_f64 v[3:4], v[3:4], v[108:109], -v[112:113]
	v_fma_f64 v[1:2], v[1:2], v[108:109], v[110:111]
	buffer_store_dword v4, off, s[0:3], 0 offset:404
	buffer_store_dword v3, off, s[0:3], 0 offset:400
	buffer_store_dword v2, off, s[0:3], 0 offset:412
	buffer_store_dword v1, off, s[0:3], 0 offset:408
.LBB113_111:
	s_or_b32 exec_lo, exec_lo, s4
	v_mov_b32_e32 v4, s37
	s_waitcnt_vscnt null, 0x0
	s_barrier
	buffer_gl0_inv
	s_mov_b32 s4, exec_lo
	s_clause 0x3
	buffer_load_dword v1, v4, s[0:3], 0 offen
	buffer_load_dword v2, v4, s[0:3], 0 offen offset:4
	buffer_load_dword v3, v4, s[0:3], 0 offen offset:8
	;; [unrolled: 1-line block ×3, first 2 shown]
	s_waitcnt vmcnt(0)
	ds_write_b128 v5, v[1:4]
	s_waitcnt lgkmcnt(0)
	s_barrier
	buffer_gl0_inv
	v_cmpx_gt_u32_e32 25, v0
	s_cbranch_execz .LBB113_115
; %bb.112:
	v_mov_b32_e32 v1, 0
	v_mov_b32_e32 v3, 0
	v_add_nc_u32_e32 v108, -1, v0
	v_add_nc_u32_e32 v109, 0x320, v7
	v_mov_b32_e32 v2, 0
	v_mov_b32_e32 v4, 0
	v_add_nc_u32_e32 v110, 16, v7
	s_mov_b32 s5, 0
	.p2align	6
.LBB113_113:                            ; =>This Inner Loop Header: Depth=1
	s_clause 0x3
	buffer_load_dword v115, v110, s[0:3], 0 offen offset:8
	buffer_load_dword v116, v110, s[0:3], 0 offen offset:12
	buffer_load_dword v117, v110, s[0:3], 0 offen
	buffer_load_dword v118, v110, s[0:3], 0 offen offset:4
	ds_read_b128 v[111:114], v109
	v_add_nc_u32_e32 v108, 1, v108
	v_add_nc_u32_e32 v109, 16, v109
	;; [unrolled: 1-line block ×3, first 2 shown]
	v_cmp_lt_u32_e32 vcc_lo, 23, v108
	s_or_b32 s5, vcc_lo, s5
	s_waitcnt vmcnt(2) lgkmcnt(0)
	v_mul_f64 v[119:120], v[113:114], v[115:116]
	v_mul_f64 v[115:116], v[111:112], v[115:116]
	s_waitcnt vmcnt(0)
	v_fma_f64 v[111:112], v[111:112], v[117:118], -v[119:120]
	v_fma_f64 v[113:114], v[113:114], v[117:118], v[115:116]
	v_add_f64 v[3:4], v[3:4], v[111:112]
	v_add_f64 v[1:2], v[1:2], v[113:114]
	s_andn2_b32 exec_lo, exec_lo, s5
	s_cbranch_execnz .LBB113_113
; %bb.114:
	s_or_b32 exec_lo, exec_lo, s5
	v_mov_b32_e32 v108, 0
	ds_read_b128 v[108:111], v108 offset:400
	s_waitcnt lgkmcnt(0)
	v_mul_f64 v[112:113], v[1:2], v[110:111]
	v_mul_f64 v[110:111], v[3:4], v[110:111]
	v_fma_f64 v[3:4], v[3:4], v[108:109], -v[112:113]
	v_fma_f64 v[1:2], v[1:2], v[108:109], v[110:111]
	buffer_store_dword v4, off, s[0:3], 0 offset:420
	buffer_store_dword v3, off, s[0:3], 0 offset:416
	;; [unrolled: 1-line block ×4, first 2 shown]
.LBB113_115:
	s_or_b32 exec_lo, exec_lo, s4
	v_mov_b32_e32 v4, s36
	s_waitcnt_vscnt null, 0x0
	s_barrier
	buffer_gl0_inv
	s_mov_b32 s4, exec_lo
	s_clause 0x3
	buffer_load_dword v1, v4, s[0:3], 0 offen
	buffer_load_dword v2, v4, s[0:3], 0 offen offset:4
	buffer_load_dword v3, v4, s[0:3], 0 offen offset:8
	buffer_load_dword v4, v4, s[0:3], 0 offen offset:12
	s_waitcnt vmcnt(0)
	ds_write_b128 v5, v[1:4]
	s_waitcnt lgkmcnt(0)
	s_barrier
	buffer_gl0_inv
	v_cmpx_gt_u32_e32 26, v0
	s_cbranch_execz .LBB113_119
; %bb.116:
	v_mov_b32_e32 v1, 0
	v_mov_b32_e32 v3, 0
	v_add_nc_u32_e32 v108, -1, v0
	v_add_nc_u32_e32 v109, 0x320, v7
	v_mov_b32_e32 v2, 0
	v_mov_b32_e32 v4, 0
	v_add_nc_u32_e32 v110, 16, v7
	s_mov_b32 s5, 0
	.p2align	6
.LBB113_117:                            ; =>This Inner Loop Header: Depth=1
	s_clause 0x3
	buffer_load_dword v115, v110, s[0:3], 0 offen offset:8
	buffer_load_dword v116, v110, s[0:3], 0 offen offset:12
	buffer_load_dword v117, v110, s[0:3], 0 offen
	buffer_load_dword v118, v110, s[0:3], 0 offen offset:4
	ds_read_b128 v[111:114], v109
	v_add_nc_u32_e32 v108, 1, v108
	v_add_nc_u32_e32 v109, 16, v109
	;; [unrolled: 1-line block ×3, first 2 shown]
	v_cmp_lt_u32_e32 vcc_lo, 24, v108
	s_or_b32 s5, vcc_lo, s5
	s_waitcnt vmcnt(2) lgkmcnt(0)
	v_mul_f64 v[119:120], v[113:114], v[115:116]
	v_mul_f64 v[115:116], v[111:112], v[115:116]
	s_waitcnt vmcnt(0)
	v_fma_f64 v[111:112], v[111:112], v[117:118], -v[119:120]
	v_fma_f64 v[113:114], v[113:114], v[117:118], v[115:116]
	v_add_f64 v[3:4], v[3:4], v[111:112]
	v_add_f64 v[1:2], v[1:2], v[113:114]
	s_andn2_b32 exec_lo, exec_lo, s5
	s_cbranch_execnz .LBB113_117
; %bb.118:
	s_or_b32 exec_lo, exec_lo, s5
	v_mov_b32_e32 v108, 0
	ds_read_b128 v[108:111], v108 offset:416
	s_waitcnt lgkmcnt(0)
	v_mul_f64 v[112:113], v[1:2], v[110:111]
	v_mul_f64 v[110:111], v[3:4], v[110:111]
	v_fma_f64 v[3:4], v[3:4], v[108:109], -v[112:113]
	v_fma_f64 v[1:2], v[1:2], v[108:109], v[110:111]
	buffer_store_dword v4, off, s[0:3], 0 offset:436
	buffer_store_dword v3, off, s[0:3], 0 offset:432
	;; [unrolled: 1-line block ×4, first 2 shown]
.LBB113_119:
	s_or_b32 exec_lo, exec_lo, s4
	v_mov_b32_e32 v4, s35
	s_waitcnt_vscnt null, 0x0
	s_barrier
	buffer_gl0_inv
	s_mov_b32 s4, exec_lo
	s_clause 0x3
	buffer_load_dword v1, v4, s[0:3], 0 offen
	buffer_load_dword v2, v4, s[0:3], 0 offen offset:4
	buffer_load_dword v3, v4, s[0:3], 0 offen offset:8
	;; [unrolled: 1-line block ×3, first 2 shown]
	s_waitcnt vmcnt(0)
	ds_write_b128 v5, v[1:4]
	s_waitcnt lgkmcnt(0)
	s_barrier
	buffer_gl0_inv
	v_cmpx_gt_u32_e32 27, v0
	s_cbranch_execz .LBB113_123
; %bb.120:
	v_mov_b32_e32 v1, 0
	v_mov_b32_e32 v3, 0
	v_add_nc_u32_e32 v108, -1, v0
	v_add_nc_u32_e32 v109, 0x320, v7
	v_mov_b32_e32 v2, 0
	v_mov_b32_e32 v4, 0
	v_add_nc_u32_e32 v110, 16, v7
	s_mov_b32 s5, 0
	.p2align	6
.LBB113_121:                            ; =>This Inner Loop Header: Depth=1
	s_clause 0x3
	buffer_load_dword v115, v110, s[0:3], 0 offen offset:8
	buffer_load_dword v116, v110, s[0:3], 0 offen offset:12
	buffer_load_dword v117, v110, s[0:3], 0 offen
	buffer_load_dword v118, v110, s[0:3], 0 offen offset:4
	ds_read_b128 v[111:114], v109
	v_add_nc_u32_e32 v108, 1, v108
	v_add_nc_u32_e32 v109, 16, v109
	;; [unrolled: 1-line block ×3, first 2 shown]
	v_cmp_lt_u32_e32 vcc_lo, 25, v108
	s_or_b32 s5, vcc_lo, s5
	s_waitcnt vmcnt(2) lgkmcnt(0)
	v_mul_f64 v[119:120], v[113:114], v[115:116]
	v_mul_f64 v[115:116], v[111:112], v[115:116]
	s_waitcnt vmcnt(0)
	v_fma_f64 v[111:112], v[111:112], v[117:118], -v[119:120]
	v_fma_f64 v[113:114], v[113:114], v[117:118], v[115:116]
	v_add_f64 v[3:4], v[3:4], v[111:112]
	v_add_f64 v[1:2], v[1:2], v[113:114]
	s_andn2_b32 exec_lo, exec_lo, s5
	s_cbranch_execnz .LBB113_121
; %bb.122:
	s_or_b32 exec_lo, exec_lo, s5
	v_mov_b32_e32 v108, 0
	ds_read_b128 v[108:111], v108 offset:432
	s_waitcnt lgkmcnt(0)
	v_mul_f64 v[112:113], v[1:2], v[110:111]
	v_mul_f64 v[110:111], v[3:4], v[110:111]
	v_fma_f64 v[3:4], v[3:4], v[108:109], -v[112:113]
	v_fma_f64 v[1:2], v[1:2], v[108:109], v[110:111]
	buffer_store_dword v4, off, s[0:3], 0 offset:452
	buffer_store_dword v3, off, s[0:3], 0 offset:448
	;; [unrolled: 1-line block ×4, first 2 shown]
.LBB113_123:
	s_or_b32 exec_lo, exec_lo, s4
	v_mov_b32_e32 v4, s34
	s_waitcnt_vscnt null, 0x0
	s_barrier
	buffer_gl0_inv
	s_mov_b32 s4, exec_lo
	s_clause 0x3
	buffer_load_dword v1, v4, s[0:3], 0 offen
	buffer_load_dword v2, v4, s[0:3], 0 offen offset:4
	buffer_load_dword v3, v4, s[0:3], 0 offen offset:8
	;; [unrolled: 1-line block ×3, first 2 shown]
	s_waitcnt vmcnt(0)
	ds_write_b128 v5, v[1:4]
	s_waitcnt lgkmcnt(0)
	s_barrier
	buffer_gl0_inv
	v_cmpx_gt_u32_e32 28, v0
	s_cbranch_execz .LBB113_127
; %bb.124:
	v_mov_b32_e32 v1, 0
	v_mov_b32_e32 v3, 0
	v_add_nc_u32_e32 v108, -1, v0
	v_add_nc_u32_e32 v109, 0x320, v7
	v_mov_b32_e32 v2, 0
	v_mov_b32_e32 v4, 0
	v_add_nc_u32_e32 v110, 16, v7
	s_mov_b32 s5, 0
	.p2align	6
.LBB113_125:                            ; =>This Inner Loop Header: Depth=1
	s_clause 0x3
	buffer_load_dword v115, v110, s[0:3], 0 offen offset:8
	buffer_load_dword v116, v110, s[0:3], 0 offen offset:12
	buffer_load_dword v117, v110, s[0:3], 0 offen
	buffer_load_dword v118, v110, s[0:3], 0 offen offset:4
	ds_read_b128 v[111:114], v109
	v_add_nc_u32_e32 v108, 1, v108
	v_add_nc_u32_e32 v109, 16, v109
	;; [unrolled: 1-line block ×3, first 2 shown]
	v_cmp_lt_u32_e32 vcc_lo, 26, v108
	s_or_b32 s5, vcc_lo, s5
	s_waitcnt vmcnt(2) lgkmcnt(0)
	v_mul_f64 v[119:120], v[113:114], v[115:116]
	v_mul_f64 v[115:116], v[111:112], v[115:116]
	s_waitcnt vmcnt(0)
	v_fma_f64 v[111:112], v[111:112], v[117:118], -v[119:120]
	v_fma_f64 v[113:114], v[113:114], v[117:118], v[115:116]
	v_add_f64 v[3:4], v[3:4], v[111:112]
	v_add_f64 v[1:2], v[1:2], v[113:114]
	s_andn2_b32 exec_lo, exec_lo, s5
	s_cbranch_execnz .LBB113_125
; %bb.126:
	s_or_b32 exec_lo, exec_lo, s5
	v_mov_b32_e32 v108, 0
	ds_read_b128 v[108:111], v108 offset:448
	s_waitcnt lgkmcnt(0)
	v_mul_f64 v[112:113], v[1:2], v[110:111]
	v_mul_f64 v[110:111], v[3:4], v[110:111]
	v_fma_f64 v[3:4], v[3:4], v[108:109], -v[112:113]
	v_fma_f64 v[1:2], v[1:2], v[108:109], v[110:111]
	buffer_store_dword v4, off, s[0:3], 0 offset:468
	buffer_store_dword v3, off, s[0:3], 0 offset:464
	;; [unrolled: 1-line block ×4, first 2 shown]
.LBB113_127:
	s_or_b32 exec_lo, exec_lo, s4
	v_mov_b32_e32 v4, s33
	s_waitcnt_vscnt null, 0x0
	s_barrier
	buffer_gl0_inv
	s_mov_b32 s4, exec_lo
	s_clause 0x3
	buffer_load_dword v1, v4, s[0:3], 0 offen
	buffer_load_dword v2, v4, s[0:3], 0 offen offset:4
	buffer_load_dword v3, v4, s[0:3], 0 offen offset:8
	;; [unrolled: 1-line block ×3, first 2 shown]
	s_waitcnt vmcnt(0)
	ds_write_b128 v5, v[1:4]
	s_waitcnt lgkmcnt(0)
	s_barrier
	buffer_gl0_inv
	v_cmpx_gt_u32_e32 29, v0
	s_cbranch_execz .LBB113_131
; %bb.128:
	v_mov_b32_e32 v1, 0
	v_mov_b32_e32 v3, 0
	v_add_nc_u32_e32 v108, -1, v0
	v_add_nc_u32_e32 v109, 0x320, v7
	v_mov_b32_e32 v2, 0
	v_mov_b32_e32 v4, 0
	v_add_nc_u32_e32 v110, 16, v7
	s_mov_b32 s5, 0
	.p2align	6
.LBB113_129:                            ; =>This Inner Loop Header: Depth=1
	s_clause 0x3
	buffer_load_dword v115, v110, s[0:3], 0 offen offset:8
	buffer_load_dword v116, v110, s[0:3], 0 offen offset:12
	buffer_load_dword v117, v110, s[0:3], 0 offen
	buffer_load_dword v118, v110, s[0:3], 0 offen offset:4
	ds_read_b128 v[111:114], v109
	v_add_nc_u32_e32 v108, 1, v108
	v_add_nc_u32_e32 v109, 16, v109
	;; [unrolled: 1-line block ×3, first 2 shown]
	v_cmp_lt_u32_e32 vcc_lo, 27, v108
	s_or_b32 s5, vcc_lo, s5
	s_waitcnt vmcnt(2) lgkmcnt(0)
	v_mul_f64 v[119:120], v[113:114], v[115:116]
	v_mul_f64 v[115:116], v[111:112], v[115:116]
	s_waitcnt vmcnt(0)
	v_fma_f64 v[111:112], v[111:112], v[117:118], -v[119:120]
	v_fma_f64 v[113:114], v[113:114], v[117:118], v[115:116]
	v_add_f64 v[3:4], v[3:4], v[111:112]
	v_add_f64 v[1:2], v[1:2], v[113:114]
	s_andn2_b32 exec_lo, exec_lo, s5
	s_cbranch_execnz .LBB113_129
; %bb.130:
	s_or_b32 exec_lo, exec_lo, s5
	v_mov_b32_e32 v108, 0
	ds_read_b128 v[108:111], v108 offset:464
	s_waitcnt lgkmcnt(0)
	v_mul_f64 v[112:113], v[1:2], v[110:111]
	v_mul_f64 v[110:111], v[3:4], v[110:111]
	v_fma_f64 v[3:4], v[3:4], v[108:109], -v[112:113]
	v_fma_f64 v[1:2], v[1:2], v[108:109], v[110:111]
	buffer_store_dword v4, off, s[0:3], 0 offset:484
	buffer_store_dword v3, off, s[0:3], 0 offset:480
	;; [unrolled: 1-line block ×4, first 2 shown]
.LBB113_131:
	s_or_b32 exec_lo, exec_lo, s4
	v_mov_b32_e32 v4, s31
	s_waitcnt_vscnt null, 0x0
	s_barrier
	buffer_gl0_inv
	s_mov_b32 s4, exec_lo
	s_clause 0x3
	buffer_load_dword v1, v4, s[0:3], 0 offen
	buffer_load_dword v2, v4, s[0:3], 0 offen offset:4
	buffer_load_dword v3, v4, s[0:3], 0 offen offset:8
	;; [unrolled: 1-line block ×3, first 2 shown]
	s_waitcnt vmcnt(0)
	ds_write_b128 v5, v[1:4]
	s_waitcnt lgkmcnt(0)
	s_barrier
	buffer_gl0_inv
	v_cmpx_gt_u32_e32 30, v0
	s_cbranch_execz .LBB113_135
; %bb.132:
	v_mov_b32_e32 v1, 0
	v_mov_b32_e32 v3, 0
	v_add_nc_u32_e32 v108, -1, v0
	v_add_nc_u32_e32 v109, 0x320, v7
	v_mov_b32_e32 v2, 0
	v_mov_b32_e32 v4, 0
	v_add_nc_u32_e32 v110, 16, v7
	s_mov_b32 s5, 0
	.p2align	6
.LBB113_133:                            ; =>This Inner Loop Header: Depth=1
	s_clause 0x3
	buffer_load_dword v115, v110, s[0:3], 0 offen offset:8
	buffer_load_dword v116, v110, s[0:3], 0 offen offset:12
	buffer_load_dword v117, v110, s[0:3], 0 offen
	buffer_load_dword v118, v110, s[0:3], 0 offen offset:4
	ds_read_b128 v[111:114], v109
	v_add_nc_u32_e32 v108, 1, v108
	v_add_nc_u32_e32 v109, 16, v109
	;; [unrolled: 1-line block ×3, first 2 shown]
	v_cmp_lt_u32_e32 vcc_lo, 28, v108
	s_or_b32 s5, vcc_lo, s5
	s_waitcnt vmcnt(2) lgkmcnt(0)
	v_mul_f64 v[119:120], v[113:114], v[115:116]
	v_mul_f64 v[115:116], v[111:112], v[115:116]
	s_waitcnt vmcnt(0)
	v_fma_f64 v[111:112], v[111:112], v[117:118], -v[119:120]
	v_fma_f64 v[113:114], v[113:114], v[117:118], v[115:116]
	v_add_f64 v[3:4], v[3:4], v[111:112]
	v_add_f64 v[1:2], v[1:2], v[113:114]
	s_andn2_b32 exec_lo, exec_lo, s5
	s_cbranch_execnz .LBB113_133
; %bb.134:
	s_or_b32 exec_lo, exec_lo, s5
	v_mov_b32_e32 v108, 0
	ds_read_b128 v[108:111], v108 offset:480
	s_waitcnt lgkmcnt(0)
	v_mul_f64 v[112:113], v[1:2], v[110:111]
	v_mul_f64 v[110:111], v[3:4], v[110:111]
	v_fma_f64 v[3:4], v[3:4], v[108:109], -v[112:113]
	v_fma_f64 v[1:2], v[1:2], v[108:109], v[110:111]
	buffer_store_dword v4, off, s[0:3], 0 offset:500
	buffer_store_dword v3, off, s[0:3], 0 offset:496
	;; [unrolled: 1-line block ×4, first 2 shown]
.LBB113_135:
	s_or_b32 exec_lo, exec_lo, s4
	v_mov_b32_e32 v4, s30
	s_waitcnt_vscnt null, 0x0
	s_barrier
	buffer_gl0_inv
	s_mov_b32 s4, exec_lo
	s_clause 0x3
	buffer_load_dword v1, v4, s[0:3], 0 offen
	buffer_load_dword v2, v4, s[0:3], 0 offen offset:4
	buffer_load_dword v3, v4, s[0:3], 0 offen offset:8
	;; [unrolled: 1-line block ×3, first 2 shown]
	s_waitcnt vmcnt(0)
	ds_write_b128 v5, v[1:4]
	s_waitcnt lgkmcnt(0)
	s_barrier
	buffer_gl0_inv
	v_cmpx_gt_u32_e32 31, v0
	s_cbranch_execz .LBB113_139
; %bb.136:
	v_mov_b32_e32 v1, 0
	v_mov_b32_e32 v3, 0
	v_add_nc_u32_e32 v108, -1, v0
	v_add_nc_u32_e32 v109, 0x320, v7
	v_mov_b32_e32 v2, 0
	v_mov_b32_e32 v4, 0
	v_add_nc_u32_e32 v110, 16, v7
	s_mov_b32 s5, 0
	.p2align	6
.LBB113_137:                            ; =>This Inner Loop Header: Depth=1
	s_clause 0x3
	buffer_load_dword v115, v110, s[0:3], 0 offen offset:8
	buffer_load_dword v116, v110, s[0:3], 0 offen offset:12
	buffer_load_dword v117, v110, s[0:3], 0 offen
	buffer_load_dword v118, v110, s[0:3], 0 offen offset:4
	ds_read_b128 v[111:114], v109
	v_add_nc_u32_e32 v108, 1, v108
	v_add_nc_u32_e32 v109, 16, v109
	;; [unrolled: 1-line block ×3, first 2 shown]
	v_cmp_lt_u32_e32 vcc_lo, 29, v108
	s_or_b32 s5, vcc_lo, s5
	s_waitcnt vmcnt(2) lgkmcnt(0)
	v_mul_f64 v[119:120], v[113:114], v[115:116]
	v_mul_f64 v[115:116], v[111:112], v[115:116]
	s_waitcnt vmcnt(0)
	v_fma_f64 v[111:112], v[111:112], v[117:118], -v[119:120]
	v_fma_f64 v[113:114], v[113:114], v[117:118], v[115:116]
	v_add_f64 v[3:4], v[3:4], v[111:112]
	v_add_f64 v[1:2], v[1:2], v[113:114]
	s_andn2_b32 exec_lo, exec_lo, s5
	s_cbranch_execnz .LBB113_137
; %bb.138:
	s_or_b32 exec_lo, exec_lo, s5
	v_mov_b32_e32 v108, 0
	ds_read_b128 v[108:111], v108 offset:496
	s_waitcnt lgkmcnt(0)
	v_mul_f64 v[112:113], v[1:2], v[110:111]
	v_mul_f64 v[110:111], v[3:4], v[110:111]
	v_fma_f64 v[3:4], v[3:4], v[108:109], -v[112:113]
	v_fma_f64 v[1:2], v[1:2], v[108:109], v[110:111]
	buffer_store_dword v4, off, s[0:3], 0 offset:516
	buffer_store_dword v3, off, s[0:3], 0 offset:512
	;; [unrolled: 1-line block ×4, first 2 shown]
.LBB113_139:
	s_or_b32 exec_lo, exec_lo, s4
	v_mov_b32_e32 v4, s29
	s_waitcnt_vscnt null, 0x0
	s_barrier
	buffer_gl0_inv
	s_mov_b32 s4, exec_lo
	s_clause 0x3
	buffer_load_dword v1, v4, s[0:3], 0 offen
	buffer_load_dword v2, v4, s[0:3], 0 offen offset:4
	buffer_load_dword v3, v4, s[0:3], 0 offen offset:8
	;; [unrolled: 1-line block ×3, first 2 shown]
	s_waitcnt vmcnt(0)
	ds_write_b128 v5, v[1:4]
	s_waitcnt lgkmcnt(0)
	s_barrier
	buffer_gl0_inv
	v_cmpx_gt_u32_e32 32, v0
	s_cbranch_execz .LBB113_143
; %bb.140:
	v_mov_b32_e32 v1, 0
	v_mov_b32_e32 v3, 0
	v_add_nc_u32_e32 v108, -1, v0
	v_add_nc_u32_e32 v109, 0x320, v7
	v_mov_b32_e32 v2, 0
	v_mov_b32_e32 v4, 0
	v_add_nc_u32_e32 v110, 16, v7
	s_mov_b32 s5, 0
	.p2align	6
.LBB113_141:                            ; =>This Inner Loop Header: Depth=1
	s_clause 0x3
	buffer_load_dword v115, v110, s[0:3], 0 offen offset:8
	buffer_load_dword v116, v110, s[0:3], 0 offen offset:12
	buffer_load_dword v117, v110, s[0:3], 0 offen
	buffer_load_dword v118, v110, s[0:3], 0 offen offset:4
	ds_read_b128 v[111:114], v109
	v_add_nc_u32_e32 v108, 1, v108
	v_add_nc_u32_e32 v109, 16, v109
	;; [unrolled: 1-line block ×3, first 2 shown]
	v_cmp_lt_u32_e32 vcc_lo, 30, v108
	s_or_b32 s5, vcc_lo, s5
	s_waitcnt vmcnt(2) lgkmcnt(0)
	v_mul_f64 v[119:120], v[113:114], v[115:116]
	v_mul_f64 v[115:116], v[111:112], v[115:116]
	s_waitcnt vmcnt(0)
	v_fma_f64 v[111:112], v[111:112], v[117:118], -v[119:120]
	v_fma_f64 v[113:114], v[113:114], v[117:118], v[115:116]
	v_add_f64 v[3:4], v[3:4], v[111:112]
	v_add_f64 v[1:2], v[1:2], v[113:114]
	s_andn2_b32 exec_lo, exec_lo, s5
	s_cbranch_execnz .LBB113_141
; %bb.142:
	s_or_b32 exec_lo, exec_lo, s5
	v_mov_b32_e32 v108, 0
	ds_read_b128 v[108:111], v108 offset:512
	s_waitcnt lgkmcnt(0)
	v_mul_f64 v[112:113], v[1:2], v[110:111]
	v_mul_f64 v[110:111], v[3:4], v[110:111]
	v_fma_f64 v[3:4], v[3:4], v[108:109], -v[112:113]
	v_fma_f64 v[1:2], v[1:2], v[108:109], v[110:111]
	buffer_store_dword v4, off, s[0:3], 0 offset:532
	buffer_store_dword v3, off, s[0:3], 0 offset:528
	;; [unrolled: 1-line block ×4, first 2 shown]
.LBB113_143:
	s_or_b32 exec_lo, exec_lo, s4
	v_mov_b32_e32 v4, s28
	s_waitcnt_vscnt null, 0x0
	s_barrier
	buffer_gl0_inv
	s_mov_b32 s4, exec_lo
	s_clause 0x3
	buffer_load_dword v1, v4, s[0:3], 0 offen
	buffer_load_dword v2, v4, s[0:3], 0 offen offset:4
	buffer_load_dword v3, v4, s[0:3], 0 offen offset:8
	;; [unrolled: 1-line block ×3, first 2 shown]
	s_waitcnt vmcnt(0)
	ds_write_b128 v5, v[1:4]
	s_waitcnt lgkmcnt(0)
	s_barrier
	buffer_gl0_inv
	v_cmpx_gt_u32_e32 33, v0
	s_cbranch_execz .LBB113_147
; %bb.144:
	v_mov_b32_e32 v1, 0
	v_mov_b32_e32 v3, 0
	v_add_nc_u32_e32 v108, -1, v0
	v_add_nc_u32_e32 v109, 0x320, v7
	v_mov_b32_e32 v2, 0
	v_mov_b32_e32 v4, 0
	v_add_nc_u32_e32 v110, 16, v7
	s_mov_b32 s5, 0
	.p2align	6
.LBB113_145:                            ; =>This Inner Loop Header: Depth=1
	s_clause 0x3
	buffer_load_dword v115, v110, s[0:3], 0 offen offset:8
	buffer_load_dword v116, v110, s[0:3], 0 offen offset:12
	buffer_load_dword v117, v110, s[0:3], 0 offen
	buffer_load_dword v118, v110, s[0:3], 0 offen offset:4
	ds_read_b128 v[111:114], v109
	v_add_nc_u32_e32 v108, 1, v108
	v_add_nc_u32_e32 v109, 16, v109
	;; [unrolled: 1-line block ×3, first 2 shown]
	v_cmp_lt_u32_e32 vcc_lo, 31, v108
	s_or_b32 s5, vcc_lo, s5
	s_waitcnt vmcnt(2) lgkmcnt(0)
	v_mul_f64 v[119:120], v[113:114], v[115:116]
	v_mul_f64 v[115:116], v[111:112], v[115:116]
	s_waitcnt vmcnt(0)
	v_fma_f64 v[111:112], v[111:112], v[117:118], -v[119:120]
	v_fma_f64 v[113:114], v[113:114], v[117:118], v[115:116]
	v_add_f64 v[3:4], v[3:4], v[111:112]
	v_add_f64 v[1:2], v[1:2], v[113:114]
	s_andn2_b32 exec_lo, exec_lo, s5
	s_cbranch_execnz .LBB113_145
; %bb.146:
	s_or_b32 exec_lo, exec_lo, s5
	v_mov_b32_e32 v108, 0
	ds_read_b128 v[108:111], v108 offset:528
	s_waitcnt lgkmcnt(0)
	v_mul_f64 v[112:113], v[1:2], v[110:111]
	v_mul_f64 v[110:111], v[3:4], v[110:111]
	v_fma_f64 v[3:4], v[3:4], v[108:109], -v[112:113]
	v_fma_f64 v[1:2], v[1:2], v[108:109], v[110:111]
	buffer_store_dword v4, off, s[0:3], 0 offset:548
	buffer_store_dword v3, off, s[0:3], 0 offset:544
	;; [unrolled: 1-line block ×4, first 2 shown]
.LBB113_147:
	s_or_b32 exec_lo, exec_lo, s4
	v_mov_b32_e32 v4, s27
	s_waitcnt_vscnt null, 0x0
	s_barrier
	buffer_gl0_inv
	s_mov_b32 s4, exec_lo
	s_clause 0x3
	buffer_load_dword v1, v4, s[0:3], 0 offen
	buffer_load_dword v2, v4, s[0:3], 0 offen offset:4
	buffer_load_dword v3, v4, s[0:3], 0 offen offset:8
	;; [unrolled: 1-line block ×3, first 2 shown]
	s_waitcnt vmcnt(0)
	ds_write_b128 v5, v[1:4]
	s_waitcnt lgkmcnt(0)
	s_barrier
	buffer_gl0_inv
	v_cmpx_gt_u32_e32 34, v0
	s_cbranch_execz .LBB113_151
; %bb.148:
	v_mov_b32_e32 v1, 0
	v_mov_b32_e32 v3, 0
	v_add_nc_u32_e32 v108, -1, v0
	v_add_nc_u32_e32 v109, 0x320, v7
	v_mov_b32_e32 v2, 0
	v_mov_b32_e32 v4, 0
	v_add_nc_u32_e32 v110, 16, v7
	s_mov_b32 s5, 0
	.p2align	6
.LBB113_149:                            ; =>This Inner Loop Header: Depth=1
	s_clause 0x3
	buffer_load_dword v115, v110, s[0:3], 0 offen offset:8
	buffer_load_dword v116, v110, s[0:3], 0 offen offset:12
	buffer_load_dword v117, v110, s[0:3], 0 offen
	buffer_load_dword v118, v110, s[0:3], 0 offen offset:4
	ds_read_b128 v[111:114], v109
	v_add_nc_u32_e32 v108, 1, v108
	v_add_nc_u32_e32 v109, 16, v109
	;; [unrolled: 1-line block ×3, first 2 shown]
	v_cmp_lt_u32_e32 vcc_lo, 32, v108
	s_or_b32 s5, vcc_lo, s5
	s_waitcnt vmcnt(2) lgkmcnt(0)
	v_mul_f64 v[119:120], v[113:114], v[115:116]
	v_mul_f64 v[115:116], v[111:112], v[115:116]
	s_waitcnt vmcnt(0)
	v_fma_f64 v[111:112], v[111:112], v[117:118], -v[119:120]
	v_fma_f64 v[113:114], v[113:114], v[117:118], v[115:116]
	v_add_f64 v[3:4], v[3:4], v[111:112]
	v_add_f64 v[1:2], v[1:2], v[113:114]
	s_andn2_b32 exec_lo, exec_lo, s5
	s_cbranch_execnz .LBB113_149
; %bb.150:
	s_or_b32 exec_lo, exec_lo, s5
	v_mov_b32_e32 v108, 0
	ds_read_b128 v[108:111], v108 offset:544
	s_waitcnt lgkmcnt(0)
	v_mul_f64 v[112:113], v[1:2], v[110:111]
	v_mul_f64 v[110:111], v[3:4], v[110:111]
	v_fma_f64 v[3:4], v[3:4], v[108:109], -v[112:113]
	v_fma_f64 v[1:2], v[1:2], v[108:109], v[110:111]
	buffer_store_dword v4, off, s[0:3], 0 offset:564
	buffer_store_dword v3, off, s[0:3], 0 offset:560
	;; [unrolled: 1-line block ×4, first 2 shown]
.LBB113_151:
	s_or_b32 exec_lo, exec_lo, s4
	v_mov_b32_e32 v4, s26
	s_waitcnt_vscnt null, 0x0
	s_barrier
	buffer_gl0_inv
	s_mov_b32 s4, exec_lo
	s_clause 0x3
	buffer_load_dword v1, v4, s[0:3], 0 offen
	buffer_load_dword v2, v4, s[0:3], 0 offen offset:4
	buffer_load_dword v3, v4, s[0:3], 0 offen offset:8
	;; [unrolled: 1-line block ×3, first 2 shown]
	s_waitcnt vmcnt(0)
	ds_write_b128 v5, v[1:4]
	s_waitcnt lgkmcnt(0)
	s_barrier
	buffer_gl0_inv
	v_cmpx_gt_u32_e32 35, v0
	s_cbranch_execz .LBB113_155
; %bb.152:
	v_mov_b32_e32 v1, 0
	v_mov_b32_e32 v3, 0
	v_add_nc_u32_e32 v108, -1, v0
	v_add_nc_u32_e32 v109, 0x320, v7
	v_mov_b32_e32 v2, 0
	v_mov_b32_e32 v4, 0
	v_add_nc_u32_e32 v110, 16, v7
	s_mov_b32 s5, 0
	.p2align	6
.LBB113_153:                            ; =>This Inner Loop Header: Depth=1
	s_clause 0x3
	buffer_load_dword v115, v110, s[0:3], 0 offen offset:8
	buffer_load_dword v116, v110, s[0:3], 0 offen offset:12
	buffer_load_dword v117, v110, s[0:3], 0 offen
	buffer_load_dword v118, v110, s[0:3], 0 offen offset:4
	ds_read_b128 v[111:114], v109
	v_add_nc_u32_e32 v108, 1, v108
	v_add_nc_u32_e32 v109, 16, v109
	;; [unrolled: 1-line block ×3, first 2 shown]
	v_cmp_lt_u32_e32 vcc_lo, 33, v108
	s_or_b32 s5, vcc_lo, s5
	s_waitcnt vmcnt(2) lgkmcnt(0)
	v_mul_f64 v[119:120], v[113:114], v[115:116]
	v_mul_f64 v[115:116], v[111:112], v[115:116]
	s_waitcnt vmcnt(0)
	v_fma_f64 v[111:112], v[111:112], v[117:118], -v[119:120]
	v_fma_f64 v[113:114], v[113:114], v[117:118], v[115:116]
	v_add_f64 v[3:4], v[3:4], v[111:112]
	v_add_f64 v[1:2], v[1:2], v[113:114]
	s_andn2_b32 exec_lo, exec_lo, s5
	s_cbranch_execnz .LBB113_153
; %bb.154:
	s_or_b32 exec_lo, exec_lo, s5
	v_mov_b32_e32 v108, 0
	ds_read_b128 v[108:111], v108 offset:560
	s_waitcnt lgkmcnt(0)
	v_mul_f64 v[112:113], v[1:2], v[110:111]
	v_mul_f64 v[110:111], v[3:4], v[110:111]
	v_fma_f64 v[3:4], v[3:4], v[108:109], -v[112:113]
	v_fma_f64 v[1:2], v[1:2], v[108:109], v[110:111]
	buffer_store_dword v4, off, s[0:3], 0 offset:580
	buffer_store_dword v3, off, s[0:3], 0 offset:576
	;; [unrolled: 1-line block ×4, first 2 shown]
.LBB113_155:
	s_or_b32 exec_lo, exec_lo, s4
	v_mov_b32_e32 v4, s25
	s_waitcnt_vscnt null, 0x0
	s_barrier
	buffer_gl0_inv
	s_mov_b32 s4, exec_lo
	s_clause 0x3
	buffer_load_dword v1, v4, s[0:3], 0 offen
	buffer_load_dword v2, v4, s[0:3], 0 offen offset:4
	buffer_load_dword v3, v4, s[0:3], 0 offen offset:8
	;; [unrolled: 1-line block ×3, first 2 shown]
	s_waitcnt vmcnt(0)
	ds_write_b128 v5, v[1:4]
	s_waitcnt lgkmcnt(0)
	s_barrier
	buffer_gl0_inv
	v_cmpx_gt_u32_e32 36, v0
	s_cbranch_execz .LBB113_159
; %bb.156:
	v_mov_b32_e32 v1, 0
	v_mov_b32_e32 v3, 0
	v_add_nc_u32_e32 v108, -1, v0
	v_add_nc_u32_e32 v109, 0x320, v7
	v_mov_b32_e32 v2, 0
	v_mov_b32_e32 v4, 0
	v_add_nc_u32_e32 v110, 16, v7
	s_mov_b32 s5, 0
	.p2align	6
.LBB113_157:                            ; =>This Inner Loop Header: Depth=1
	s_clause 0x3
	buffer_load_dword v115, v110, s[0:3], 0 offen offset:8
	buffer_load_dword v116, v110, s[0:3], 0 offen offset:12
	buffer_load_dword v117, v110, s[0:3], 0 offen
	buffer_load_dword v118, v110, s[0:3], 0 offen offset:4
	ds_read_b128 v[111:114], v109
	v_add_nc_u32_e32 v108, 1, v108
	v_add_nc_u32_e32 v109, 16, v109
	;; [unrolled: 1-line block ×3, first 2 shown]
	v_cmp_lt_u32_e32 vcc_lo, 34, v108
	s_or_b32 s5, vcc_lo, s5
	s_waitcnt vmcnt(2) lgkmcnt(0)
	v_mul_f64 v[119:120], v[113:114], v[115:116]
	v_mul_f64 v[115:116], v[111:112], v[115:116]
	s_waitcnt vmcnt(0)
	v_fma_f64 v[111:112], v[111:112], v[117:118], -v[119:120]
	v_fma_f64 v[113:114], v[113:114], v[117:118], v[115:116]
	v_add_f64 v[3:4], v[3:4], v[111:112]
	v_add_f64 v[1:2], v[1:2], v[113:114]
	s_andn2_b32 exec_lo, exec_lo, s5
	s_cbranch_execnz .LBB113_157
; %bb.158:
	s_or_b32 exec_lo, exec_lo, s5
	v_mov_b32_e32 v108, 0
	ds_read_b128 v[108:111], v108 offset:576
	s_waitcnt lgkmcnt(0)
	v_mul_f64 v[112:113], v[1:2], v[110:111]
	v_mul_f64 v[110:111], v[3:4], v[110:111]
	v_fma_f64 v[3:4], v[3:4], v[108:109], -v[112:113]
	v_fma_f64 v[1:2], v[1:2], v[108:109], v[110:111]
	buffer_store_dword v4, off, s[0:3], 0 offset:596
	buffer_store_dword v3, off, s[0:3], 0 offset:592
	;; [unrolled: 1-line block ×4, first 2 shown]
.LBB113_159:
	s_or_b32 exec_lo, exec_lo, s4
	v_mov_b32_e32 v4, s24
	s_waitcnt_vscnt null, 0x0
	s_barrier
	buffer_gl0_inv
	s_mov_b32 s4, exec_lo
	s_clause 0x3
	buffer_load_dword v1, v4, s[0:3], 0 offen
	buffer_load_dword v2, v4, s[0:3], 0 offen offset:4
	buffer_load_dword v3, v4, s[0:3], 0 offen offset:8
	;; [unrolled: 1-line block ×3, first 2 shown]
	s_waitcnt vmcnt(0)
	ds_write_b128 v5, v[1:4]
	s_waitcnt lgkmcnt(0)
	s_barrier
	buffer_gl0_inv
	v_cmpx_gt_u32_e32 37, v0
	s_cbranch_execz .LBB113_163
; %bb.160:
	v_mov_b32_e32 v1, 0
	v_mov_b32_e32 v3, 0
	v_add_nc_u32_e32 v108, -1, v0
	v_add_nc_u32_e32 v109, 0x320, v7
	v_mov_b32_e32 v2, 0
	v_mov_b32_e32 v4, 0
	v_add_nc_u32_e32 v110, 16, v7
	s_mov_b32 s5, 0
	.p2align	6
.LBB113_161:                            ; =>This Inner Loop Header: Depth=1
	s_clause 0x3
	buffer_load_dword v115, v110, s[0:3], 0 offen offset:8
	buffer_load_dword v116, v110, s[0:3], 0 offen offset:12
	buffer_load_dword v117, v110, s[0:3], 0 offen
	buffer_load_dword v118, v110, s[0:3], 0 offen offset:4
	ds_read_b128 v[111:114], v109
	v_add_nc_u32_e32 v108, 1, v108
	v_add_nc_u32_e32 v109, 16, v109
	;; [unrolled: 1-line block ×3, first 2 shown]
	v_cmp_lt_u32_e32 vcc_lo, 35, v108
	s_or_b32 s5, vcc_lo, s5
	s_waitcnt vmcnt(2) lgkmcnt(0)
	v_mul_f64 v[119:120], v[113:114], v[115:116]
	v_mul_f64 v[115:116], v[111:112], v[115:116]
	s_waitcnt vmcnt(0)
	v_fma_f64 v[111:112], v[111:112], v[117:118], -v[119:120]
	v_fma_f64 v[113:114], v[113:114], v[117:118], v[115:116]
	v_add_f64 v[3:4], v[3:4], v[111:112]
	v_add_f64 v[1:2], v[1:2], v[113:114]
	s_andn2_b32 exec_lo, exec_lo, s5
	s_cbranch_execnz .LBB113_161
; %bb.162:
	s_or_b32 exec_lo, exec_lo, s5
	v_mov_b32_e32 v108, 0
	ds_read_b128 v[108:111], v108 offset:592
	s_waitcnt lgkmcnt(0)
	v_mul_f64 v[112:113], v[1:2], v[110:111]
	v_mul_f64 v[110:111], v[3:4], v[110:111]
	v_fma_f64 v[3:4], v[3:4], v[108:109], -v[112:113]
	v_fma_f64 v[1:2], v[1:2], v[108:109], v[110:111]
	buffer_store_dword v4, off, s[0:3], 0 offset:612
	buffer_store_dword v3, off, s[0:3], 0 offset:608
	;; [unrolled: 1-line block ×4, first 2 shown]
.LBB113_163:
	s_or_b32 exec_lo, exec_lo, s4
	v_mov_b32_e32 v4, s23
	s_waitcnt_vscnt null, 0x0
	s_barrier
	buffer_gl0_inv
	s_mov_b32 s4, exec_lo
	s_clause 0x3
	buffer_load_dword v1, v4, s[0:3], 0 offen
	buffer_load_dword v2, v4, s[0:3], 0 offen offset:4
	buffer_load_dword v3, v4, s[0:3], 0 offen offset:8
	;; [unrolled: 1-line block ×3, first 2 shown]
	s_waitcnt vmcnt(0)
	ds_write_b128 v5, v[1:4]
	s_waitcnt lgkmcnt(0)
	s_barrier
	buffer_gl0_inv
	v_cmpx_gt_u32_e32 38, v0
	s_cbranch_execz .LBB113_167
; %bb.164:
	v_mov_b32_e32 v1, 0
	v_mov_b32_e32 v3, 0
	v_add_nc_u32_e32 v108, -1, v0
	v_add_nc_u32_e32 v109, 0x320, v7
	v_mov_b32_e32 v2, 0
	v_mov_b32_e32 v4, 0
	v_add_nc_u32_e32 v110, 16, v7
	s_mov_b32 s5, 0
	.p2align	6
.LBB113_165:                            ; =>This Inner Loop Header: Depth=1
	s_clause 0x3
	buffer_load_dword v115, v110, s[0:3], 0 offen offset:8
	buffer_load_dword v116, v110, s[0:3], 0 offen offset:12
	buffer_load_dword v117, v110, s[0:3], 0 offen
	buffer_load_dword v118, v110, s[0:3], 0 offen offset:4
	ds_read_b128 v[111:114], v109
	v_add_nc_u32_e32 v108, 1, v108
	v_add_nc_u32_e32 v109, 16, v109
	v_add_nc_u32_e32 v110, 16, v110
	v_cmp_lt_u32_e32 vcc_lo, 36, v108
	s_or_b32 s5, vcc_lo, s5
	s_waitcnt vmcnt(2) lgkmcnt(0)
	v_mul_f64 v[119:120], v[113:114], v[115:116]
	v_mul_f64 v[115:116], v[111:112], v[115:116]
	s_waitcnt vmcnt(0)
	v_fma_f64 v[111:112], v[111:112], v[117:118], -v[119:120]
	v_fma_f64 v[113:114], v[113:114], v[117:118], v[115:116]
	v_add_f64 v[3:4], v[3:4], v[111:112]
	v_add_f64 v[1:2], v[1:2], v[113:114]
	s_andn2_b32 exec_lo, exec_lo, s5
	s_cbranch_execnz .LBB113_165
; %bb.166:
	s_or_b32 exec_lo, exec_lo, s5
	v_mov_b32_e32 v108, 0
	ds_read_b128 v[108:111], v108 offset:608
	s_waitcnt lgkmcnt(0)
	v_mul_f64 v[112:113], v[1:2], v[110:111]
	v_mul_f64 v[110:111], v[3:4], v[110:111]
	v_fma_f64 v[3:4], v[3:4], v[108:109], -v[112:113]
	v_fma_f64 v[1:2], v[1:2], v[108:109], v[110:111]
	buffer_store_dword v4, off, s[0:3], 0 offset:628
	buffer_store_dword v3, off, s[0:3], 0 offset:624
	;; [unrolled: 1-line block ×4, first 2 shown]
.LBB113_167:
	s_or_b32 exec_lo, exec_lo, s4
	v_mov_b32_e32 v4, s22
	s_waitcnt_vscnt null, 0x0
	s_barrier
	buffer_gl0_inv
	s_mov_b32 s4, exec_lo
	s_clause 0x3
	buffer_load_dword v1, v4, s[0:3], 0 offen
	buffer_load_dword v2, v4, s[0:3], 0 offen offset:4
	buffer_load_dword v3, v4, s[0:3], 0 offen offset:8
	buffer_load_dword v4, v4, s[0:3], 0 offen offset:12
	s_waitcnt vmcnt(0)
	ds_write_b128 v5, v[1:4]
	s_waitcnt lgkmcnt(0)
	s_barrier
	buffer_gl0_inv
	v_cmpx_gt_u32_e32 39, v0
	s_cbranch_execz .LBB113_171
; %bb.168:
	v_mov_b32_e32 v1, 0
	v_mov_b32_e32 v3, 0
	v_add_nc_u32_e32 v108, -1, v0
	v_add_nc_u32_e32 v109, 0x320, v7
	v_mov_b32_e32 v2, 0
	v_mov_b32_e32 v4, 0
	v_add_nc_u32_e32 v110, 16, v7
	s_mov_b32 s5, 0
	.p2align	6
.LBB113_169:                            ; =>This Inner Loop Header: Depth=1
	s_clause 0x3
	buffer_load_dword v115, v110, s[0:3], 0 offen offset:8
	buffer_load_dword v116, v110, s[0:3], 0 offen offset:12
	buffer_load_dword v117, v110, s[0:3], 0 offen
	buffer_load_dword v118, v110, s[0:3], 0 offen offset:4
	ds_read_b128 v[111:114], v109
	v_add_nc_u32_e32 v108, 1, v108
	v_add_nc_u32_e32 v109, 16, v109
	v_add_nc_u32_e32 v110, 16, v110
	v_cmp_lt_u32_e32 vcc_lo, 37, v108
	s_or_b32 s5, vcc_lo, s5
	s_waitcnt vmcnt(2) lgkmcnt(0)
	v_mul_f64 v[119:120], v[113:114], v[115:116]
	v_mul_f64 v[115:116], v[111:112], v[115:116]
	s_waitcnt vmcnt(0)
	v_fma_f64 v[111:112], v[111:112], v[117:118], -v[119:120]
	v_fma_f64 v[113:114], v[113:114], v[117:118], v[115:116]
	v_add_f64 v[3:4], v[3:4], v[111:112]
	v_add_f64 v[1:2], v[1:2], v[113:114]
	s_andn2_b32 exec_lo, exec_lo, s5
	s_cbranch_execnz .LBB113_169
; %bb.170:
	s_or_b32 exec_lo, exec_lo, s5
	v_mov_b32_e32 v108, 0
	ds_read_b128 v[108:111], v108 offset:624
	s_waitcnt lgkmcnt(0)
	v_mul_f64 v[112:113], v[1:2], v[110:111]
	v_mul_f64 v[110:111], v[3:4], v[110:111]
	v_fma_f64 v[3:4], v[3:4], v[108:109], -v[112:113]
	v_fma_f64 v[1:2], v[1:2], v[108:109], v[110:111]
	buffer_store_dword v4, off, s[0:3], 0 offset:644
	buffer_store_dword v3, off, s[0:3], 0 offset:640
	;; [unrolled: 1-line block ×4, first 2 shown]
.LBB113_171:
	s_or_b32 exec_lo, exec_lo, s4
	v_mov_b32_e32 v4, s21
	s_waitcnt_vscnt null, 0x0
	s_barrier
	buffer_gl0_inv
	s_mov_b32 s4, exec_lo
	s_clause 0x3
	buffer_load_dword v1, v4, s[0:3], 0 offen
	buffer_load_dword v2, v4, s[0:3], 0 offen offset:4
	buffer_load_dword v3, v4, s[0:3], 0 offen offset:8
	;; [unrolled: 1-line block ×3, first 2 shown]
	s_waitcnt vmcnt(0)
	ds_write_b128 v5, v[1:4]
	s_waitcnt lgkmcnt(0)
	s_barrier
	buffer_gl0_inv
	v_cmpx_gt_u32_e32 40, v0
	s_cbranch_execz .LBB113_175
; %bb.172:
	v_mov_b32_e32 v1, 0
	v_mov_b32_e32 v3, 0
	v_add_nc_u32_e32 v108, -1, v0
	v_add_nc_u32_e32 v109, 0x320, v7
	v_mov_b32_e32 v2, 0
	v_mov_b32_e32 v4, 0
	v_add_nc_u32_e32 v110, 16, v7
	s_mov_b32 s5, 0
	.p2align	6
.LBB113_173:                            ; =>This Inner Loop Header: Depth=1
	s_clause 0x3
	buffer_load_dword v115, v110, s[0:3], 0 offen offset:8
	buffer_load_dword v116, v110, s[0:3], 0 offen offset:12
	buffer_load_dword v117, v110, s[0:3], 0 offen
	buffer_load_dword v118, v110, s[0:3], 0 offen offset:4
	ds_read_b128 v[111:114], v109
	v_add_nc_u32_e32 v108, 1, v108
	v_add_nc_u32_e32 v109, 16, v109
	;; [unrolled: 1-line block ×3, first 2 shown]
	v_cmp_lt_u32_e32 vcc_lo, 38, v108
	s_or_b32 s5, vcc_lo, s5
	s_waitcnt vmcnt(2) lgkmcnt(0)
	v_mul_f64 v[119:120], v[113:114], v[115:116]
	v_mul_f64 v[115:116], v[111:112], v[115:116]
	s_waitcnt vmcnt(0)
	v_fma_f64 v[111:112], v[111:112], v[117:118], -v[119:120]
	v_fma_f64 v[113:114], v[113:114], v[117:118], v[115:116]
	v_add_f64 v[3:4], v[3:4], v[111:112]
	v_add_f64 v[1:2], v[1:2], v[113:114]
	s_andn2_b32 exec_lo, exec_lo, s5
	s_cbranch_execnz .LBB113_173
; %bb.174:
	s_or_b32 exec_lo, exec_lo, s5
	v_mov_b32_e32 v108, 0
	ds_read_b128 v[108:111], v108 offset:640
	s_waitcnt lgkmcnt(0)
	v_mul_f64 v[112:113], v[1:2], v[110:111]
	v_mul_f64 v[110:111], v[3:4], v[110:111]
	v_fma_f64 v[3:4], v[3:4], v[108:109], -v[112:113]
	v_fma_f64 v[1:2], v[1:2], v[108:109], v[110:111]
	buffer_store_dword v4, off, s[0:3], 0 offset:660
	buffer_store_dword v3, off, s[0:3], 0 offset:656
	;; [unrolled: 1-line block ×4, first 2 shown]
.LBB113_175:
	s_or_b32 exec_lo, exec_lo, s4
	v_mov_b32_e32 v4, s20
	s_waitcnt_vscnt null, 0x0
	s_barrier
	buffer_gl0_inv
	s_mov_b32 s4, exec_lo
	s_clause 0x3
	buffer_load_dword v1, v4, s[0:3], 0 offen
	buffer_load_dword v2, v4, s[0:3], 0 offen offset:4
	buffer_load_dword v3, v4, s[0:3], 0 offen offset:8
	;; [unrolled: 1-line block ×3, first 2 shown]
	s_waitcnt vmcnt(0)
	ds_write_b128 v5, v[1:4]
	s_waitcnt lgkmcnt(0)
	s_barrier
	buffer_gl0_inv
	v_cmpx_gt_u32_e32 41, v0
	s_cbranch_execz .LBB113_179
; %bb.176:
	v_mov_b32_e32 v1, 0
	v_mov_b32_e32 v3, 0
	v_add_nc_u32_e32 v108, -1, v0
	v_add_nc_u32_e32 v109, 0x320, v7
	v_mov_b32_e32 v2, 0
	v_mov_b32_e32 v4, 0
	v_add_nc_u32_e32 v110, 16, v7
	s_mov_b32 s5, 0
	.p2align	6
.LBB113_177:                            ; =>This Inner Loop Header: Depth=1
	s_clause 0x3
	buffer_load_dword v115, v110, s[0:3], 0 offen offset:8
	buffer_load_dword v116, v110, s[0:3], 0 offen offset:12
	buffer_load_dword v117, v110, s[0:3], 0 offen
	buffer_load_dword v118, v110, s[0:3], 0 offen offset:4
	ds_read_b128 v[111:114], v109
	v_add_nc_u32_e32 v108, 1, v108
	v_add_nc_u32_e32 v109, 16, v109
	;; [unrolled: 1-line block ×3, first 2 shown]
	v_cmp_lt_u32_e32 vcc_lo, 39, v108
	s_or_b32 s5, vcc_lo, s5
	s_waitcnt vmcnt(2) lgkmcnt(0)
	v_mul_f64 v[119:120], v[113:114], v[115:116]
	v_mul_f64 v[115:116], v[111:112], v[115:116]
	s_waitcnt vmcnt(0)
	v_fma_f64 v[111:112], v[111:112], v[117:118], -v[119:120]
	v_fma_f64 v[113:114], v[113:114], v[117:118], v[115:116]
	v_add_f64 v[3:4], v[3:4], v[111:112]
	v_add_f64 v[1:2], v[1:2], v[113:114]
	s_andn2_b32 exec_lo, exec_lo, s5
	s_cbranch_execnz .LBB113_177
; %bb.178:
	s_or_b32 exec_lo, exec_lo, s5
	v_mov_b32_e32 v108, 0
	ds_read_b128 v[108:111], v108 offset:656
	s_waitcnt lgkmcnt(0)
	v_mul_f64 v[112:113], v[1:2], v[110:111]
	v_mul_f64 v[110:111], v[3:4], v[110:111]
	v_fma_f64 v[3:4], v[3:4], v[108:109], -v[112:113]
	v_fma_f64 v[1:2], v[1:2], v[108:109], v[110:111]
	buffer_store_dword v4, off, s[0:3], 0 offset:676
	buffer_store_dword v3, off, s[0:3], 0 offset:672
	;; [unrolled: 1-line block ×4, first 2 shown]
.LBB113_179:
	s_or_b32 exec_lo, exec_lo, s4
	v_mov_b32_e32 v4, s19
	s_waitcnt_vscnt null, 0x0
	s_barrier
	buffer_gl0_inv
	s_mov_b32 s4, exec_lo
	s_clause 0x3
	buffer_load_dword v1, v4, s[0:3], 0 offen
	buffer_load_dword v2, v4, s[0:3], 0 offen offset:4
	buffer_load_dword v3, v4, s[0:3], 0 offen offset:8
	;; [unrolled: 1-line block ×3, first 2 shown]
	s_waitcnt vmcnt(0)
	ds_write_b128 v5, v[1:4]
	s_waitcnt lgkmcnt(0)
	s_barrier
	buffer_gl0_inv
	v_cmpx_gt_u32_e32 42, v0
	s_cbranch_execz .LBB113_183
; %bb.180:
	v_mov_b32_e32 v1, 0
	v_mov_b32_e32 v3, 0
	v_add_nc_u32_e32 v108, -1, v0
	v_add_nc_u32_e32 v109, 0x320, v7
	v_mov_b32_e32 v2, 0
	v_mov_b32_e32 v4, 0
	v_add_nc_u32_e32 v110, 16, v7
	s_mov_b32 s5, 0
	.p2align	6
.LBB113_181:                            ; =>This Inner Loop Header: Depth=1
	s_clause 0x3
	buffer_load_dword v115, v110, s[0:3], 0 offen offset:8
	buffer_load_dword v116, v110, s[0:3], 0 offen offset:12
	buffer_load_dword v117, v110, s[0:3], 0 offen
	buffer_load_dword v118, v110, s[0:3], 0 offen offset:4
	ds_read_b128 v[111:114], v109
	v_add_nc_u32_e32 v108, 1, v108
	v_add_nc_u32_e32 v109, 16, v109
	;; [unrolled: 1-line block ×3, first 2 shown]
	v_cmp_lt_u32_e32 vcc_lo, 40, v108
	s_or_b32 s5, vcc_lo, s5
	s_waitcnt vmcnt(2) lgkmcnt(0)
	v_mul_f64 v[119:120], v[113:114], v[115:116]
	v_mul_f64 v[115:116], v[111:112], v[115:116]
	s_waitcnt vmcnt(0)
	v_fma_f64 v[111:112], v[111:112], v[117:118], -v[119:120]
	v_fma_f64 v[113:114], v[113:114], v[117:118], v[115:116]
	v_add_f64 v[3:4], v[3:4], v[111:112]
	v_add_f64 v[1:2], v[1:2], v[113:114]
	s_andn2_b32 exec_lo, exec_lo, s5
	s_cbranch_execnz .LBB113_181
; %bb.182:
	s_or_b32 exec_lo, exec_lo, s5
	v_mov_b32_e32 v108, 0
	ds_read_b128 v[108:111], v108 offset:672
	s_waitcnt lgkmcnt(0)
	v_mul_f64 v[112:113], v[1:2], v[110:111]
	v_mul_f64 v[110:111], v[3:4], v[110:111]
	v_fma_f64 v[3:4], v[3:4], v[108:109], -v[112:113]
	v_fma_f64 v[1:2], v[1:2], v[108:109], v[110:111]
	buffer_store_dword v4, off, s[0:3], 0 offset:692
	buffer_store_dword v3, off, s[0:3], 0 offset:688
	;; [unrolled: 1-line block ×4, first 2 shown]
.LBB113_183:
	s_or_b32 exec_lo, exec_lo, s4
	v_mov_b32_e32 v4, s18
	s_waitcnt_vscnt null, 0x0
	s_barrier
	buffer_gl0_inv
	s_mov_b32 s4, exec_lo
	s_clause 0x3
	buffer_load_dword v1, v4, s[0:3], 0 offen
	buffer_load_dword v2, v4, s[0:3], 0 offen offset:4
	buffer_load_dword v3, v4, s[0:3], 0 offen offset:8
	;; [unrolled: 1-line block ×3, first 2 shown]
	s_waitcnt vmcnt(0)
	ds_write_b128 v5, v[1:4]
	s_waitcnt lgkmcnt(0)
	s_barrier
	buffer_gl0_inv
	v_cmpx_gt_u32_e32 43, v0
	s_cbranch_execz .LBB113_187
; %bb.184:
	v_mov_b32_e32 v1, 0
	v_mov_b32_e32 v3, 0
	v_add_nc_u32_e32 v108, -1, v0
	v_add_nc_u32_e32 v109, 0x320, v7
	v_mov_b32_e32 v2, 0
	v_mov_b32_e32 v4, 0
	v_add_nc_u32_e32 v110, 16, v7
	s_mov_b32 s5, 0
	.p2align	6
.LBB113_185:                            ; =>This Inner Loop Header: Depth=1
	s_clause 0x3
	buffer_load_dword v115, v110, s[0:3], 0 offen offset:8
	buffer_load_dword v116, v110, s[0:3], 0 offen offset:12
	buffer_load_dword v117, v110, s[0:3], 0 offen
	buffer_load_dword v118, v110, s[0:3], 0 offen offset:4
	ds_read_b128 v[111:114], v109
	v_add_nc_u32_e32 v108, 1, v108
	v_add_nc_u32_e32 v109, 16, v109
	;; [unrolled: 1-line block ×3, first 2 shown]
	v_cmp_lt_u32_e32 vcc_lo, 41, v108
	s_or_b32 s5, vcc_lo, s5
	s_waitcnt vmcnt(2) lgkmcnt(0)
	v_mul_f64 v[119:120], v[113:114], v[115:116]
	v_mul_f64 v[115:116], v[111:112], v[115:116]
	s_waitcnt vmcnt(0)
	v_fma_f64 v[111:112], v[111:112], v[117:118], -v[119:120]
	v_fma_f64 v[113:114], v[113:114], v[117:118], v[115:116]
	v_add_f64 v[3:4], v[3:4], v[111:112]
	v_add_f64 v[1:2], v[1:2], v[113:114]
	s_andn2_b32 exec_lo, exec_lo, s5
	s_cbranch_execnz .LBB113_185
; %bb.186:
	s_or_b32 exec_lo, exec_lo, s5
	v_mov_b32_e32 v108, 0
	ds_read_b128 v[108:111], v108 offset:688
	s_waitcnt lgkmcnt(0)
	v_mul_f64 v[112:113], v[1:2], v[110:111]
	v_mul_f64 v[110:111], v[3:4], v[110:111]
	v_fma_f64 v[3:4], v[3:4], v[108:109], -v[112:113]
	v_fma_f64 v[1:2], v[1:2], v[108:109], v[110:111]
	buffer_store_dword v4, off, s[0:3], 0 offset:708
	buffer_store_dword v3, off, s[0:3], 0 offset:704
	buffer_store_dword v2, off, s[0:3], 0 offset:716
	buffer_store_dword v1, off, s[0:3], 0 offset:712
.LBB113_187:
	s_or_b32 exec_lo, exec_lo, s4
	v_mov_b32_e32 v4, s17
	s_waitcnt_vscnt null, 0x0
	s_barrier
	buffer_gl0_inv
	s_mov_b32 s4, exec_lo
	s_clause 0x3
	buffer_load_dword v1, v4, s[0:3], 0 offen
	buffer_load_dword v2, v4, s[0:3], 0 offen offset:4
	buffer_load_dword v3, v4, s[0:3], 0 offen offset:8
	;; [unrolled: 1-line block ×3, first 2 shown]
	s_waitcnt vmcnt(0)
	ds_write_b128 v5, v[1:4]
	s_waitcnt lgkmcnt(0)
	s_barrier
	buffer_gl0_inv
	v_cmpx_gt_u32_e32 44, v0
	s_cbranch_execz .LBB113_191
; %bb.188:
	v_mov_b32_e32 v1, 0
	v_mov_b32_e32 v3, 0
	v_add_nc_u32_e32 v108, -1, v0
	v_add_nc_u32_e32 v109, 0x320, v7
	v_mov_b32_e32 v2, 0
	v_mov_b32_e32 v4, 0
	v_add_nc_u32_e32 v110, 16, v7
	s_mov_b32 s5, 0
	.p2align	6
.LBB113_189:                            ; =>This Inner Loop Header: Depth=1
	s_clause 0x3
	buffer_load_dword v115, v110, s[0:3], 0 offen offset:8
	buffer_load_dword v116, v110, s[0:3], 0 offen offset:12
	buffer_load_dword v117, v110, s[0:3], 0 offen
	buffer_load_dword v118, v110, s[0:3], 0 offen offset:4
	ds_read_b128 v[111:114], v109
	v_add_nc_u32_e32 v108, 1, v108
	v_add_nc_u32_e32 v109, 16, v109
	v_add_nc_u32_e32 v110, 16, v110
	v_cmp_lt_u32_e32 vcc_lo, 42, v108
	s_or_b32 s5, vcc_lo, s5
	s_waitcnt vmcnt(2) lgkmcnt(0)
	v_mul_f64 v[119:120], v[113:114], v[115:116]
	v_mul_f64 v[115:116], v[111:112], v[115:116]
	s_waitcnt vmcnt(0)
	v_fma_f64 v[111:112], v[111:112], v[117:118], -v[119:120]
	v_fma_f64 v[113:114], v[113:114], v[117:118], v[115:116]
	v_add_f64 v[3:4], v[3:4], v[111:112]
	v_add_f64 v[1:2], v[1:2], v[113:114]
	s_andn2_b32 exec_lo, exec_lo, s5
	s_cbranch_execnz .LBB113_189
; %bb.190:
	s_or_b32 exec_lo, exec_lo, s5
	v_mov_b32_e32 v108, 0
	ds_read_b128 v[108:111], v108 offset:704
	s_waitcnt lgkmcnt(0)
	v_mul_f64 v[112:113], v[1:2], v[110:111]
	v_mul_f64 v[110:111], v[3:4], v[110:111]
	v_fma_f64 v[3:4], v[3:4], v[108:109], -v[112:113]
	v_fma_f64 v[1:2], v[1:2], v[108:109], v[110:111]
	buffer_store_dword v4, off, s[0:3], 0 offset:724
	buffer_store_dword v3, off, s[0:3], 0 offset:720
	;; [unrolled: 1-line block ×4, first 2 shown]
.LBB113_191:
	s_or_b32 exec_lo, exec_lo, s4
	v_mov_b32_e32 v4, s16
	s_waitcnt_vscnt null, 0x0
	s_barrier
	buffer_gl0_inv
	s_mov_b32 s4, exec_lo
	s_clause 0x3
	buffer_load_dword v1, v4, s[0:3], 0 offen
	buffer_load_dword v2, v4, s[0:3], 0 offen offset:4
	buffer_load_dword v3, v4, s[0:3], 0 offen offset:8
	;; [unrolled: 1-line block ×3, first 2 shown]
	s_waitcnt vmcnt(0)
	ds_write_b128 v5, v[1:4]
	s_waitcnt lgkmcnt(0)
	s_barrier
	buffer_gl0_inv
	v_cmpx_gt_u32_e32 45, v0
	s_cbranch_execz .LBB113_195
; %bb.192:
	v_mov_b32_e32 v1, 0
	v_mov_b32_e32 v3, 0
	v_add_nc_u32_e32 v108, -1, v0
	v_add_nc_u32_e32 v109, 0x320, v7
	v_mov_b32_e32 v2, 0
	v_mov_b32_e32 v4, 0
	v_add_nc_u32_e32 v110, 16, v7
	s_mov_b32 s5, 0
	.p2align	6
.LBB113_193:                            ; =>This Inner Loop Header: Depth=1
	s_clause 0x3
	buffer_load_dword v115, v110, s[0:3], 0 offen offset:8
	buffer_load_dword v116, v110, s[0:3], 0 offen offset:12
	buffer_load_dword v117, v110, s[0:3], 0 offen
	buffer_load_dword v118, v110, s[0:3], 0 offen offset:4
	ds_read_b128 v[111:114], v109
	v_add_nc_u32_e32 v108, 1, v108
	v_add_nc_u32_e32 v109, 16, v109
	;; [unrolled: 1-line block ×3, first 2 shown]
	v_cmp_lt_u32_e32 vcc_lo, 43, v108
	s_or_b32 s5, vcc_lo, s5
	s_waitcnt vmcnt(2) lgkmcnt(0)
	v_mul_f64 v[119:120], v[113:114], v[115:116]
	v_mul_f64 v[115:116], v[111:112], v[115:116]
	s_waitcnt vmcnt(0)
	v_fma_f64 v[111:112], v[111:112], v[117:118], -v[119:120]
	v_fma_f64 v[113:114], v[113:114], v[117:118], v[115:116]
	v_add_f64 v[3:4], v[3:4], v[111:112]
	v_add_f64 v[1:2], v[1:2], v[113:114]
	s_andn2_b32 exec_lo, exec_lo, s5
	s_cbranch_execnz .LBB113_193
; %bb.194:
	s_or_b32 exec_lo, exec_lo, s5
	v_mov_b32_e32 v108, 0
	ds_read_b128 v[108:111], v108 offset:720
	s_waitcnt lgkmcnt(0)
	v_mul_f64 v[112:113], v[1:2], v[110:111]
	v_mul_f64 v[110:111], v[3:4], v[110:111]
	v_fma_f64 v[3:4], v[3:4], v[108:109], -v[112:113]
	v_fma_f64 v[1:2], v[1:2], v[108:109], v[110:111]
	buffer_store_dword v4, off, s[0:3], 0 offset:740
	buffer_store_dword v3, off, s[0:3], 0 offset:736
	;; [unrolled: 1-line block ×4, first 2 shown]
.LBB113_195:
	s_or_b32 exec_lo, exec_lo, s4
	v_mov_b32_e32 v4, s15
	s_waitcnt_vscnt null, 0x0
	s_barrier
	buffer_gl0_inv
	s_mov_b32 s4, exec_lo
	s_clause 0x3
	buffer_load_dword v1, v4, s[0:3], 0 offen
	buffer_load_dword v2, v4, s[0:3], 0 offen offset:4
	buffer_load_dword v3, v4, s[0:3], 0 offen offset:8
	;; [unrolled: 1-line block ×3, first 2 shown]
	s_waitcnt vmcnt(0)
	ds_write_b128 v5, v[1:4]
	s_waitcnt lgkmcnt(0)
	s_barrier
	buffer_gl0_inv
	v_cmpx_gt_u32_e32 46, v0
	s_cbranch_execz .LBB113_199
; %bb.196:
	v_mov_b32_e32 v1, 0
	v_mov_b32_e32 v3, 0
	v_add_nc_u32_e32 v108, -1, v0
	v_add_nc_u32_e32 v109, 0x320, v7
	v_mov_b32_e32 v2, 0
	v_mov_b32_e32 v4, 0
	v_add_nc_u32_e32 v110, 16, v7
	s_mov_b32 s5, 0
	.p2align	6
.LBB113_197:                            ; =>This Inner Loop Header: Depth=1
	s_clause 0x3
	buffer_load_dword v115, v110, s[0:3], 0 offen offset:8
	buffer_load_dword v116, v110, s[0:3], 0 offen offset:12
	buffer_load_dword v117, v110, s[0:3], 0 offen
	buffer_load_dword v118, v110, s[0:3], 0 offen offset:4
	ds_read_b128 v[111:114], v109
	v_add_nc_u32_e32 v108, 1, v108
	v_add_nc_u32_e32 v109, 16, v109
	;; [unrolled: 1-line block ×3, first 2 shown]
	v_cmp_lt_u32_e32 vcc_lo, 44, v108
	s_or_b32 s5, vcc_lo, s5
	s_waitcnt vmcnt(2) lgkmcnt(0)
	v_mul_f64 v[119:120], v[113:114], v[115:116]
	v_mul_f64 v[115:116], v[111:112], v[115:116]
	s_waitcnt vmcnt(0)
	v_fma_f64 v[111:112], v[111:112], v[117:118], -v[119:120]
	v_fma_f64 v[113:114], v[113:114], v[117:118], v[115:116]
	v_add_f64 v[3:4], v[3:4], v[111:112]
	v_add_f64 v[1:2], v[1:2], v[113:114]
	s_andn2_b32 exec_lo, exec_lo, s5
	s_cbranch_execnz .LBB113_197
; %bb.198:
	s_or_b32 exec_lo, exec_lo, s5
	v_mov_b32_e32 v108, 0
	ds_read_b128 v[108:111], v108 offset:736
	s_waitcnt lgkmcnt(0)
	v_mul_f64 v[112:113], v[1:2], v[110:111]
	v_mul_f64 v[110:111], v[3:4], v[110:111]
	v_fma_f64 v[3:4], v[3:4], v[108:109], -v[112:113]
	v_fma_f64 v[1:2], v[1:2], v[108:109], v[110:111]
	buffer_store_dword v4, off, s[0:3], 0 offset:756
	buffer_store_dword v3, off, s[0:3], 0 offset:752
	;; [unrolled: 1-line block ×4, first 2 shown]
.LBB113_199:
	s_or_b32 exec_lo, exec_lo, s4
	v_mov_b32_e32 v4, s14
	s_waitcnt_vscnt null, 0x0
	s_barrier
	buffer_gl0_inv
	s_mov_b32 s4, exec_lo
	s_clause 0x3
	buffer_load_dword v1, v4, s[0:3], 0 offen
	buffer_load_dword v2, v4, s[0:3], 0 offen offset:4
	buffer_load_dword v3, v4, s[0:3], 0 offen offset:8
	;; [unrolled: 1-line block ×3, first 2 shown]
	s_waitcnt vmcnt(0)
	ds_write_b128 v5, v[1:4]
	s_waitcnt lgkmcnt(0)
	s_barrier
	buffer_gl0_inv
	v_cmpx_gt_u32_e32 47, v0
	s_cbranch_execz .LBB113_203
; %bb.200:
	v_mov_b32_e32 v1, 0
	v_mov_b32_e32 v3, 0
	v_add_nc_u32_e32 v108, -1, v0
	v_add_nc_u32_e32 v109, 0x320, v7
	v_mov_b32_e32 v2, 0
	v_mov_b32_e32 v4, 0
	v_add_nc_u32_e32 v110, 16, v7
	s_mov_b32 s5, 0
	.p2align	6
.LBB113_201:                            ; =>This Inner Loop Header: Depth=1
	s_clause 0x3
	buffer_load_dword v115, v110, s[0:3], 0 offen offset:8
	buffer_load_dword v116, v110, s[0:3], 0 offen offset:12
	buffer_load_dword v117, v110, s[0:3], 0 offen
	buffer_load_dword v118, v110, s[0:3], 0 offen offset:4
	ds_read_b128 v[111:114], v109
	v_add_nc_u32_e32 v108, 1, v108
	v_add_nc_u32_e32 v109, 16, v109
	;; [unrolled: 1-line block ×3, first 2 shown]
	v_cmp_lt_u32_e32 vcc_lo, 45, v108
	s_or_b32 s5, vcc_lo, s5
	s_waitcnt vmcnt(2) lgkmcnt(0)
	v_mul_f64 v[119:120], v[113:114], v[115:116]
	v_mul_f64 v[115:116], v[111:112], v[115:116]
	s_waitcnt vmcnt(0)
	v_fma_f64 v[111:112], v[111:112], v[117:118], -v[119:120]
	v_fma_f64 v[113:114], v[113:114], v[117:118], v[115:116]
	v_add_f64 v[3:4], v[3:4], v[111:112]
	v_add_f64 v[1:2], v[1:2], v[113:114]
	s_andn2_b32 exec_lo, exec_lo, s5
	s_cbranch_execnz .LBB113_201
; %bb.202:
	s_or_b32 exec_lo, exec_lo, s5
	v_mov_b32_e32 v108, 0
	ds_read_b128 v[108:111], v108 offset:752
	s_waitcnt lgkmcnt(0)
	v_mul_f64 v[112:113], v[1:2], v[110:111]
	v_mul_f64 v[110:111], v[3:4], v[110:111]
	v_fma_f64 v[3:4], v[3:4], v[108:109], -v[112:113]
	v_fma_f64 v[1:2], v[1:2], v[108:109], v[110:111]
	buffer_store_dword v4, off, s[0:3], 0 offset:772
	buffer_store_dword v3, off, s[0:3], 0 offset:768
	;; [unrolled: 1-line block ×4, first 2 shown]
.LBB113_203:
	s_or_b32 exec_lo, exec_lo, s4
	v_mov_b32_e32 v4, s9
	s_waitcnt_vscnt null, 0x0
	s_barrier
	buffer_gl0_inv
	s_mov_b32 s4, exec_lo
	s_clause 0x3
	buffer_load_dword v1, v4, s[0:3], 0 offen
	buffer_load_dword v2, v4, s[0:3], 0 offen offset:4
	buffer_load_dword v3, v4, s[0:3], 0 offen offset:8
	;; [unrolled: 1-line block ×3, first 2 shown]
	s_waitcnt vmcnt(0)
	ds_write_b128 v5, v[1:4]
	s_waitcnt lgkmcnt(0)
	s_barrier
	buffer_gl0_inv
	v_cmpx_gt_u32_e32 48, v0
	s_cbranch_execz .LBB113_207
; %bb.204:
	v_mov_b32_e32 v1, 0
	v_mov_b32_e32 v3, 0
	v_add_nc_u32_e32 v108, -1, v0
	v_add_nc_u32_e32 v109, 0x320, v7
	v_mov_b32_e32 v2, 0
	v_mov_b32_e32 v4, 0
	v_add_nc_u32_e32 v110, 16, v7
	s_mov_b32 s5, 0
	.p2align	6
.LBB113_205:                            ; =>This Inner Loop Header: Depth=1
	s_clause 0x3
	buffer_load_dword v115, v110, s[0:3], 0 offen offset:8
	buffer_load_dword v116, v110, s[0:3], 0 offen offset:12
	buffer_load_dword v117, v110, s[0:3], 0 offen
	buffer_load_dword v118, v110, s[0:3], 0 offen offset:4
	ds_read_b128 v[111:114], v109
	v_add_nc_u32_e32 v108, 1, v108
	v_add_nc_u32_e32 v109, 16, v109
	;; [unrolled: 1-line block ×3, first 2 shown]
	v_cmp_lt_u32_e32 vcc_lo, 46, v108
	s_or_b32 s5, vcc_lo, s5
	s_waitcnt vmcnt(2) lgkmcnt(0)
	v_mul_f64 v[119:120], v[113:114], v[115:116]
	v_mul_f64 v[115:116], v[111:112], v[115:116]
	s_waitcnt vmcnt(0)
	v_fma_f64 v[111:112], v[111:112], v[117:118], -v[119:120]
	v_fma_f64 v[113:114], v[113:114], v[117:118], v[115:116]
	v_add_f64 v[3:4], v[3:4], v[111:112]
	v_add_f64 v[1:2], v[1:2], v[113:114]
	s_andn2_b32 exec_lo, exec_lo, s5
	s_cbranch_execnz .LBB113_205
; %bb.206:
	s_or_b32 exec_lo, exec_lo, s5
	v_mov_b32_e32 v108, 0
	ds_read_b128 v[108:111], v108 offset:768
	s_waitcnt lgkmcnt(0)
	v_mul_f64 v[112:113], v[1:2], v[110:111]
	v_mul_f64 v[110:111], v[3:4], v[110:111]
	v_fma_f64 v[3:4], v[3:4], v[108:109], -v[112:113]
	v_fma_f64 v[1:2], v[1:2], v[108:109], v[110:111]
	buffer_store_dword v4, off, s[0:3], 0 offset:788
	buffer_store_dword v3, off, s[0:3], 0 offset:784
	;; [unrolled: 1-line block ×4, first 2 shown]
.LBB113_207:
	s_or_b32 exec_lo, exec_lo, s4
	v_mov_b32_e32 v4, s8
	s_waitcnt_vscnt null, 0x0
	s_barrier
	buffer_gl0_inv
	s_mov_b32 s4, exec_lo
	s_clause 0x3
	buffer_load_dword v1, v4, s[0:3], 0 offen
	buffer_load_dword v2, v4, s[0:3], 0 offen offset:4
	buffer_load_dword v3, v4, s[0:3], 0 offen offset:8
	;; [unrolled: 1-line block ×3, first 2 shown]
	s_waitcnt vmcnt(0)
	ds_write_b128 v5, v[1:4]
	s_waitcnt lgkmcnt(0)
	s_barrier
	buffer_gl0_inv
	v_cmpx_ne_u32_e32 49, v0
	s_cbranch_execz .LBB113_211
; %bb.208:
	v_mov_b32_e32 v1, 0
	v_mov_b32_e32 v3, 0
	;; [unrolled: 1-line block ×4, first 2 shown]
	v_add_nc_u32_e32 v7, 16, v7
	s_mov_b32 s5, 0
	.p2align	6
.LBB113_209:                            ; =>This Inner Loop Header: Depth=1
	s_clause 0x3
	buffer_load_dword v112, v7, s[0:3], 0 offen offset:8
	buffer_load_dword v113, v7, s[0:3], 0 offen offset:12
	buffer_load_dword v114, v7, s[0:3], 0 offen
	buffer_load_dword v115, v7, s[0:3], 0 offen offset:4
	ds_read_b128 v[108:111], v5
	v_add_nc_u32_e32 v6, 1, v6
	v_add_nc_u32_e32 v5, 16, v5
	;; [unrolled: 1-line block ×3, first 2 shown]
	v_cmp_lt_u32_e32 vcc_lo, 47, v6
	s_or_b32 s5, vcc_lo, s5
	s_waitcnt vmcnt(2) lgkmcnt(0)
	v_mul_f64 v[116:117], v[110:111], v[112:113]
	v_mul_f64 v[112:113], v[108:109], v[112:113]
	s_waitcnt vmcnt(0)
	v_fma_f64 v[108:109], v[108:109], v[114:115], -v[116:117]
	v_fma_f64 v[110:111], v[110:111], v[114:115], v[112:113]
	v_add_f64 v[3:4], v[3:4], v[108:109]
	v_add_f64 v[1:2], v[1:2], v[110:111]
	s_andn2_b32 exec_lo, exec_lo, s5
	s_cbranch_execnz .LBB113_209
; %bb.210:
	s_or_b32 exec_lo, exec_lo, s5
	v_mov_b32_e32 v5, 0
	ds_read_b128 v[108:111], v5 offset:784
	s_waitcnt lgkmcnt(0)
	v_mul_f64 v[5:6], v[1:2], v[110:111]
	v_mul_f64 v[110:111], v[3:4], v[110:111]
	v_fma_f64 v[3:4], v[3:4], v[108:109], -v[5:6]
	v_fma_f64 v[1:2], v[1:2], v[108:109], v[110:111]
	buffer_store_dword v4, off, s[0:3], 0 offset:804
	buffer_store_dword v3, off, s[0:3], 0 offset:800
	;; [unrolled: 1-line block ×4, first 2 shown]
.LBB113_211:
	s_or_b32 exec_lo, exec_lo, s4
	s_mov_b32 s5, -1
	s_waitcnt_vscnt null, 0x0
	s_barrier
	buffer_gl0_inv
.LBB113_212:
	s_and_b32 vcc_lo, exec_lo, s5
	s_cbranch_vccz .LBB113_214
; %bb.213:
	s_lshl_b64 s[4:5], s[6:7], 2
	v_mov_b32_e32 v1, 0
	s_add_u32 s4, s10, s4
	s_addc_u32 s5, s11, s5
	global_load_dword v1, v1, s[4:5]
	s_waitcnt vmcnt(0)
	v_cmp_ne_u32_e32 vcc_lo, 0, v1
	s_cbranch_vccz .LBB113_215
.LBB113_214:
	s_endpgm
.LBB113_215:
	v_lshl_add_u32 v7, v0, 4, 0x320
	s_mov_b32 s4, exec_lo
	v_cmpx_eq_u32_e32 49, v0
	s_cbranch_execz .LBB113_217
; %bb.216:
	v_mov_b32_e32 v4, s9
	v_mov_b32_e32 v5, 0
	s_clause 0x3
	buffer_load_dword v1, v4, s[0:3], 0 offen
	buffer_load_dword v2, v4, s[0:3], 0 offen offset:4
	buffer_load_dword v3, v4, s[0:3], 0 offen offset:8
	;; [unrolled: 1-line block ×3, first 2 shown]
	buffer_store_dword v5, off, s[0:3], 0 offset:784
	buffer_store_dword v5, off, s[0:3], 0 offset:788
	;; [unrolled: 1-line block ×4, first 2 shown]
	s_waitcnt vmcnt(0)
	ds_write_b128 v7, v[1:4]
.LBB113_217:
	s_or_b32 exec_lo, exec_lo, s4
	s_waitcnt lgkmcnt(0)
	s_waitcnt_vscnt null, 0x0
	s_barrier
	buffer_gl0_inv
	s_clause 0x7
	buffer_load_dword v108, off, s[0:3], 0 offset:808
	buffer_load_dword v109, off, s[0:3], 0 offset:812
	;; [unrolled: 1-line block ×8, first 2 shown]
	v_mov_b32_e32 v1, 0
	s_mov_b32 s4, exec_lo
	ds_read_b128 v[2:5], v1 offset:1584
	s_waitcnt vmcnt(6) lgkmcnt(0)
	v_mul_f64 v[116:117], v[4:5], v[108:109]
	v_mul_f64 v[108:109], v[2:3], v[108:109]
	s_waitcnt vmcnt(4)
	v_fma_f64 v[2:3], v[2:3], v[110:111], -v[116:117]
	v_fma_f64 v[4:5], v[4:5], v[110:111], v[108:109]
	v_add_f64 v[2:3], v[2:3], 0
	v_add_f64 v[4:5], v[4:5], 0
	s_waitcnt vmcnt(2)
	v_add_f64 v[2:3], v[112:113], -v[2:3]
	s_waitcnt vmcnt(0)
	v_add_f64 v[4:5], v[114:115], -v[4:5]
	buffer_store_dword v2, off, s[0:3], 0 offset:784
	buffer_store_dword v3, off, s[0:3], 0 offset:788
	;; [unrolled: 1-line block ×4, first 2 shown]
	v_cmpx_lt_u32_e32 47, v0
	s_cbranch_execz .LBB113_219
; %bb.218:
	v_mov_b32_e32 v5, s14
	s_clause 0x3
	buffer_load_dword v2, v5, s[0:3], 0 offen
	buffer_load_dword v3, v5, s[0:3], 0 offen offset:4
	buffer_load_dword v4, v5, s[0:3], 0 offen offset:8
	;; [unrolled: 1-line block ×3, first 2 shown]
	buffer_store_dword v1, off, s[0:3], 0 offset:768
	buffer_store_dword v1, off, s[0:3], 0 offset:772
	;; [unrolled: 1-line block ×4, first 2 shown]
	s_waitcnt vmcnt(0)
	ds_write_b128 v7, v[2:5]
.LBB113_219:
	s_or_b32 exec_lo, exec_lo, s4
	s_waitcnt lgkmcnt(0)
	s_waitcnt_vscnt null, 0x0
	s_barrier
	buffer_gl0_inv
	s_clause 0xb
	buffer_load_dword v112, off, s[0:3], 0 offset:792
	buffer_load_dword v113, off, s[0:3], 0 offset:796
	;; [unrolled: 1-line block ×12, first 2 shown]
	ds_read_b128 v[2:5], v1 offset:1568
	ds_read_b128 v[108:111], v1 offset:1584
	s_mov_b32 s4, exec_lo
	s_waitcnt vmcnt(10) lgkmcnt(1)
	v_mul_f64 v[124:125], v[4:5], v[112:113]
	v_mul_f64 v[112:113], v[2:3], v[112:113]
	s_waitcnt vmcnt(8) lgkmcnt(0)
	v_mul_f64 v[126:127], v[110:111], v[114:115]
	v_mul_f64 v[114:115], v[108:109], v[114:115]
	s_waitcnt vmcnt(6)
	v_fma_f64 v[1:2], v[2:3], v[116:117], -v[124:125]
	v_fma_f64 v[3:4], v[4:5], v[116:117], v[112:113]
	s_waitcnt vmcnt(4)
	v_fma_f64 v[5:6], v[108:109], v[118:119], -v[126:127]
	v_fma_f64 v[108:109], v[110:111], v[118:119], v[114:115]
	v_add_f64 v[1:2], v[1:2], 0
	v_add_f64 v[3:4], v[3:4], 0
	;; [unrolled: 1-line block ×4, first 2 shown]
	s_waitcnt vmcnt(2)
	v_add_f64 v[1:2], v[120:121], -v[1:2]
	s_waitcnt vmcnt(0)
	v_add_f64 v[3:4], v[122:123], -v[3:4]
	buffer_store_dword v1, off, s[0:3], 0 offset:768
	buffer_store_dword v2, off, s[0:3], 0 offset:772
	;; [unrolled: 1-line block ×4, first 2 shown]
	v_cmpx_lt_u32_e32 46, v0
	s_cbranch_execz .LBB113_221
; %bb.220:
	v_mov_b32_e32 v4, s15
	v_mov_b32_e32 v5, 0
	s_clause 0x3
	buffer_load_dword v1, v4, s[0:3], 0 offen
	buffer_load_dword v2, v4, s[0:3], 0 offen offset:4
	buffer_load_dword v3, v4, s[0:3], 0 offen offset:8
	;; [unrolled: 1-line block ×3, first 2 shown]
	buffer_store_dword v5, off, s[0:3], 0 offset:752
	buffer_store_dword v5, off, s[0:3], 0 offset:756
	;; [unrolled: 1-line block ×4, first 2 shown]
	s_waitcnt vmcnt(0)
	ds_write_b128 v7, v[1:4]
.LBB113_221:
	s_or_b32 exec_lo, exec_lo, s4
	s_waitcnt lgkmcnt(0)
	s_waitcnt_vscnt null, 0x0
	s_barrier
	buffer_gl0_inv
	s_clause 0xf
	buffer_load_dword v112, off, s[0:3], 0 offset:776
	buffer_load_dword v113, off, s[0:3], 0 offset:780
	;; [unrolled: 1-line block ×16, first 2 shown]
	v_mov_b32_e32 v1, 0
	ds_read_b128 v[2:5], v1 offset:1552
	ds_read_b128 v[108:111], v1 offset:1568
	s_mov_b32 s4, exec_lo
	s_waitcnt vmcnt(14) lgkmcnt(1)
	v_mul_f64 v[130:131], v[4:5], v[112:113]
	v_mul_f64 v[132:133], v[2:3], v[112:113]
	s_waitcnt vmcnt(12) lgkmcnt(0)
	v_mul_f64 v[134:135], v[110:111], v[116:117]
	ds_read_b128 v[112:115], v1 offset:1584
	v_mul_f64 v[116:117], v[108:109], v[116:117]
	s_waitcnt vmcnt(10)
	v_fma_f64 v[2:3], v[2:3], v[118:119], -v[130:131]
	v_fma_f64 v[4:5], v[4:5], v[118:119], v[132:133]
	s_waitcnt vmcnt(8) lgkmcnt(0)
	v_mul_f64 v[118:119], v[112:113], v[120:121]
	v_mul_f64 v[120:121], v[114:115], v[120:121]
	s_waitcnt vmcnt(6)
	v_fma_f64 v[108:109], v[108:109], v[122:123], -v[134:135]
	v_fma_f64 v[110:111], v[110:111], v[122:123], v[116:117]
	v_add_f64 v[2:3], v[2:3], 0
	v_add_f64 v[4:5], v[4:5], 0
	s_waitcnt vmcnt(4)
	v_fma_f64 v[112:113], v[112:113], v[124:125], -v[120:121]
	v_add_f64 v[2:3], v[2:3], v[108:109]
	v_fma_f64 v[108:109], v[114:115], v[124:125], v[118:119]
	v_add_f64 v[4:5], v[4:5], v[110:111]
	v_add_f64 v[2:3], v[2:3], v[112:113]
	;; [unrolled: 1-line block ×3, first 2 shown]
	s_waitcnt vmcnt(2)
	v_add_f64 v[2:3], v[126:127], -v[2:3]
	s_waitcnt vmcnt(0)
	v_add_f64 v[4:5], v[128:129], -v[4:5]
	buffer_store_dword v2, off, s[0:3], 0 offset:752
	buffer_store_dword v3, off, s[0:3], 0 offset:756
	;; [unrolled: 1-line block ×4, first 2 shown]
	v_cmpx_lt_u32_e32 45, v0
	s_cbranch_execz .LBB113_223
; %bb.222:
	v_mov_b32_e32 v5, s16
	s_clause 0x3
	buffer_load_dword v2, v5, s[0:3], 0 offen
	buffer_load_dword v3, v5, s[0:3], 0 offen offset:4
	buffer_load_dword v4, v5, s[0:3], 0 offen offset:8
	;; [unrolled: 1-line block ×3, first 2 shown]
	buffer_store_dword v1, off, s[0:3], 0 offset:736
	buffer_store_dword v1, off, s[0:3], 0 offset:740
	;; [unrolled: 1-line block ×4, first 2 shown]
	s_waitcnt vmcnt(0)
	ds_write_b128 v7, v[2:5]
.LBB113_223:
	s_or_b32 exec_lo, exec_lo, s4
	s_waitcnt lgkmcnt(0)
	s_waitcnt_vscnt null, 0x0
	s_barrier
	buffer_gl0_inv
	s_clause 0x13
	buffer_load_dword v112, off, s[0:3], 0 offset:760
	buffer_load_dword v113, off, s[0:3], 0 offset:764
	;; [unrolled: 1-line block ×20, first 2 shown]
	ds_read_b128 v[2:5], v1 offset:1536
	ds_read_b128 v[108:111], v1 offset:1552
	s_mov_b32 s4, exec_lo
	s_waitcnt vmcnt(18) lgkmcnt(1)
	v_mul_f64 v[134:135], v[4:5], v[112:113]
	v_mul_f64 v[136:137], v[2:3], v[112:113]
	s_waitcnt vmcnt(16) lgkmcnt(0)
	v_mul_f64 v[138:139], v[110:111], v[116:117]
	ds_read_b128 v[112:115], v1 offset:1568
	v_mul_f64 v[116:117], v[108:109], v[116:117]
	s_waitcnt vmcnt(14)
	v_fma_f64 v[134:135], v[2:3], v[118:119], -v[134:135]
	v_fma_f64 v[5:6], v[4:5], v[118:119], v[136:137]
	s_waitcnt vmcnt(12) lgkmcnt(0)
	v_mul_f64 v[118:119], v[112:113], v[120:121]
	v_mul_f64 v[120:121], v[114:115], v[120:121]
	s_waitcnt vmcnt(10)
	v_fma_f64 v[108:109], v[108:109], v[122:123], -v[138:139]
	ds_read_b128 v[1:4], v1 offset:1584
	v_fma_f64 v[110:111], v[110:111], v[122:123], v[116:117]
	v_add_f64 v[134:135], v[134:135], 0
	v_add_f64 v[5:6], v[5:6], 0
	s_waitcnt vmcnt(6)
	v_fma_f64 v[114:115], v[114:115], v[126:127], v[118:119]
	s_waitcnt lgkmcnt(0)
	v_mul_f64 v[122:123], v[3:4], v[124:125]
	v_fma_f64 v[112:113], v[112:113], v[126:127], -v[120:121]
	v_mul_f64 v[116:117], v[1:2], v[124:125]
	v_add_f64 v[108:109], v[134:135], v[108:109]
	v_add_f64 v[5:6], v[5:6], v[110:111]
	s_waitcnt vmcnt(4)
	v_fma_f64 v[1:2], v[1:2], v[128:129], -v[122:123]
	v_fma_f64 v[3:4], v[3:4], v[128:129], v[116:117]
	v_add_f64 v[108:109], v[108:109], v[112:113]
	v_add_f64 v[5:6], v[5:6], v[114:115]
	;; [unrolled: 1-line block ×4, first 2 shown]
	s_waitcnt vmcnt(2)
	v_add_f64 v[1:2], v[130:131], -v[1:2]
	s_waitcnt vmcnt(0)
	v_add_f64 v[3:4], v[132:133], -v[3:4]
	buffer_store_dword v1, off, s[0:3], 0 offset:736
	buffer_store_dword v2, off, s[0:3], 0 offset:740
	buffer_store_dword v3, off, s[0:3], 0 offset:744
	buffer_store_dword v4, off, s[0:3], 0 offset:748
	v_cmpx_lt_u32_e32 44, v0
	s_cbranch_execz .LBB113_225
; %bb.224:
	v_mov_b32_e32 v4, s17
	v_mov_b32_e32 v5, 0
	s_clause 0x3
	buffer_load_dword v1, v4, s[0:3], 0 offen
	buffer_load_dword v2, v4, s[0:3], 0 offen offset:4
	buffer_load_dword v3, v4, s[0:3], 0 offen offset:8
	;; [unrolled: 1-line block ×3, first 2 shown]
	buffer_store_dword v5, off, s[0:3], 0 offset:720
	buffer_store_dword v5, off, s[0:3], 0 offset:724
	;; [unrolled: 1-line block ×4, first 2 shown]
	s_waitcnt vmcnt(0)
	ds_write_b128 v7, v[1:4]
.LBB113_225:
	s_or_b32 exec_lo, exec_lo, s4
	s_waitcnt lgkmcnt(0)
	s_waitcnt_vscnt null, 0x0
	s_barrier
	buffer_gl0_inv
	s_clause 0x17
	buffer_load_dword v112, off, s[0:3], 0 offset:744
	buffer_load_dword v113, off, s[0:3], 0 offset:748
	;; [unrolled: 1-line block ×24, first 2 shown]
	v_mov_b32_e32 v1, 0
	ds_read_b128 v[2:5], v1 offset:1520
	ds_read_b128 v[108:111], v1 offset:1536
	s_mov_b32 s4, exec_lo
	s_waitcnt vmcnt(22) lgkmcnt(1)
	v_mul_f64 v[138:139], v[4:5], v[112:113]
	v_mul_f64 v[140:141], v[2:3], v[112:113]
	s_waitcnt vmcnt(20) lgkmcnt(0)
	v_mul_f64 v[142:143], v[110:111], v[116:117]
	ds_read_b128 v[112:115], v1 offset:1552
	v_mul_f64 v[116:117], v[108:109], v[116:117]
	s_waitcnt vmcnt(18)
	v_fma_f64 v[138:139], v[2:3], v[118:119], -v[138:139]
	v_fma_f64 v[118:119], v[4:5], v[118:119], v[140:141]
	ds_read_b128 v[2:5], v1 offset:1568
	s_waitcnt vmcnt(16) lgkmcnt(1)
	v_mul_f64 v[140:141], v[112:113], v[120:121]
	v_mul_f64 v[120:121], v[114:115], v[120:121]
	s_waitcnt vmcnt(14)
	v_fma_f64 v[142:143], v[108:109], v[122:123], -v[142:143]
	v_fma_f64 v[116:117], v[110:111], v[122:123], v[116:117]
	ds_read_b128 v[108:111], v1 offset:1584
	s_waitcnt vmcnt(10) lgkmcnt(1)
	v_mul_f64 v[122:123], v[2:3], v[124:125]
	v_add_f64 v[138:139], v[138:139], 0
	v_add_f64 v[118:119], v[118:119], 0
	v_mul_f64 v[124:125], v[4:5], v[124:125]
	s_waitcnt vmcnt(8)
	v_fma_f64 v[112:113], v[112:113], v[130:131], -v[120:121]
	v_fma_f64 v[114:115], v[114:115], v[130:131], v[140:141]
	s_waitcnt vmcnt(5)
	v_fma_f64 v[4:5], v[4:5], v[132:133], v[122:123]
	v_add_f64 v[120:121], v[138:139], v[142:143]
	v_add_f64 v[116:117], v[118:119], v[116:117]
	s_waitcnt lgkmcnt(0)
	v_mul_f64 v[118:119], v[108:109], v[126:127]
	v_mul_f64 v[126:127], v[110:111], v[126:127]
	v_fma_f64 v[2:3], v[2:3], v[132:133], -v[124:125]
	v_add_f64 v[112:113], v[120:121], v[112:113]
	v_add_f64 v[114:115], v[116:117], v[114:115]
	s_waitcnt vmcnt(4)
	v_fma_f64 v[110:111], v[110:111], v[128:129], v[118:119]
	v_fma_f64 v[108:109], v[108:109], v[128:129], -v[126:127]
	v_add_f64 v[2:3], v[112:113], v[2:3]
	v_add_f64 v[4:5], v[114:115], v[4:5]
	v_add_f64 v[2:3], v[2:3], v[108:109]
	v_add_f64 v[4:5], v[4:5], v[110:111]
	s_waitcnt vmcnt(2)
	v_add_f64 v[2:3], v[134:135], -v[2:3]
	s_waitcnt vmcnt(0)
	v_add_f64 v[4:5], v[136:137], -v[4:5]
	buffer_store_dword v3, off, s[0:3], 0 offset:724
	buffer_store_dword v2, off, s[0:3], 0 offset:720
	;; [unrolled: 1-line block ×4, first 2 shown]
	v_cmpx_lt_u32_e32 43, v0
	s_cbranch_execz .LBB113_227
; %bb.226:
	v_mov_b32_e32 v5, s18
	s_clause 0x3
	buffer_load_dword v2, v5, s[0:3], 0 offen
	buffer_load_dword v3, v5, s[0:3], 0 offen offset:4
	buffer_load_dword v4, v5, s[0:3], 0 offen offset:8
	buffer_load_dword v5, v5, s[0:3], 0 offen offset:12
	buffer_store_dword v1, off, s[0:3], 0 offset:704
	buffer_store_dword v1, off, s[0:3], 0 offset:708
	;; [unrolled: 1-line block ×4, first 2 shown]
	s_waitcnt vmcnt(0)
	ds_write_b128 v7, v[2:5]
.LBB113_227:
	s_or_b32 exec_lo, exec_lo, s4
	s_waitcnt lgkmcnt(0)
	s_waitcnt_vscnt null, 0x0
	s_barrier
	buffer_gl0_inv
	s_clause 0x1b
	buffer_load_dword v112, off, s[0:3], 0 offset:728
	buffer_load_dword v113, off, s[0:3], 0 offset:732
	;; [unrolled: 1-line block ×28, first 2 shown]
	ds_read_b128 v[2:5], v1 offset:1504
	ds_read_b128 v[108:111], v1 offset:1520
	s_mov_b32 s4, exec_lo
	s_waitcnt vmcnt(26) lgkmcnt(1)
	v_mul_f64 v[142:143], v[4:5], v[112:113]
	v_mul_f64 v[144:145], v[2:3], v[112:113]
	s_waitcnt vmcnt(24) lgkmcnt(0)
	v_mul_f64 v[146:147], v[110:111], v[116:117]
	ds_read_b128 v[112:115], v1 offset:1536
	v_mul_f64 v[116:117], v[108:109], v[116:117]
	s_waitcnt vmcnt(22)
	v_fma_f64 v[142:143], v[2:3], v[118:119], -v[142:143]
	v_fma_f64 v[118:119], v[4:5], v[118:119], v[144:145]
	ds_read_b128 v[2:5], v1 offset:1552
	s_waitcnt vmcnt(20) lgkmcnt(1)
	v_mul_f64 v[144:145], v[112:113], v[120:121]
	v_mul_f64 v[120:121], v[114:115], v[120:121]
	s_waitcnt vmcnt(18)
	v_fma_f64 v[146:147], v[108:109], v[122:123], -v[146:147]
	v_fma_f64 v[116:117], v[110:111], v[122:123], v[116:117]
	ds_read_b128 v[108:111], v1 offset:1568
	s_waitcnt vmcnt(14) lgkmcnt(1)
	v_mul_f64 v[122:123], v[2:3], v[124:125]
	v_add_f64 v[142:143], v[142:143], 0
	v_add_f64 v[118:119], v[118:119], 0
	v_mul_f64 v[124:125], v[4:5], v[124:125]
	s_waitcnt vmcnt(12)
	v_fma_f64 v[120:121], v[112:113], v[130:131], -v[120:121]
	v_fma_f64 v[130:131], v[114:115], v[130:131], v[144:145]
	ds_read_b128 v[112:115], v1 offset:1584
	v_add_f64 v[142:143], v[142:143], v[146:147]
	v_add_f64 v[116:117], v[118:119], v[116:117]
	s_waitcnt vmcnt(11) lgkmcnt(1)
	v_mul_f64 v[118:119], v[108:109], v[126:127]
	v_mul_f64 v[126:127], v[110:111], v[126:127]
	s_waitcnt vmcnt(9)
	v_fma_f64 v[1:2], v[2:3], v[132:133], -v[124:125]
	v_fma_f64 v[3:4], v[4:5], v[132:133], v[122:123]
	s_waitcnt vmcnt(7) lgkmcnt(0)
	v_mul_f64 v[122:123], v[114:115], v[134:135]
	v_add_f64 v[120:121], v[142:143], v[120:121]
	v_add_f64 v[5:6], v[116:117], v[130:131]
	v_mul_f64 v[116:117], v[112:113], v[134:135]
	s_waitcnt vmcnt(6)
	v_fma_f64 v[108:109], v[108:109], v[128:129], -v[126:127]
	v_fma_f64 v[110:111], v[110:111], v[128:129], v[118:119]
	v_add_f64 v[1:2], v[120:121], v[1:2]
	v_add_f64 v[3:4], v[5:6], v[3:4]
	s_waitcnt vmcnt(4)
	v_fma_f64 v[5:6], v[112:113], v[136:137], -v[122:123]
	v_add_f64 v[1:2], v[1:2], v[108:109]
	v_fma_f64 v[108:109], v[114:115], v[136:137], v[116:117]
	v_add_f64 v[3:4], v[3:4], v[110:111]
	v_add_f64 v[1:2], v[1:2], v[5:6]
	v_add_f64 v[3:4], v[3:4], v[108:109]
	s_waitcnt vmcnt(2)
	v_add_f64 v[1:2], v[138:139], -v[1:2]
	s_waitcnt vmcnt(0)
	v_add_f64 v[3:4], v[140:141], -v[3:4]
	buffer_store_dword v2, off, s[0:3], 0 offset:708
	buffer_store_dword v1, off, s[0:3], 0 offset:704
	;; [unrolled: 1-line block ×4, first 2 shown]
	v_cmpx_lt_u32_e32 42, v0
	s_cbranch_execz .LBB113_229
; %bb.228:
	v_mov_b32_e32 v4, s19
	v_mov_b32_e32 v5, 0
	s_clause 0x3
	buffer_load_dword v1, v4, s[0:3], 0 offen
	buffer_load_dword v2, v4, s[0:3], 0 offen offset:4
	buffer_load_dword v3, v4, s[0:3], 0 offen offset:8
	;; [unrolled: 1-line block ×3, first 2 shown]
	buffer_store_dword v5, off, s[0:3], 0 offset:688
	buffer_store_dword v5, off, s[0:3], 0 offset:692
	;; [unrolled: 1-line block ×4, first 2 shown]
	s_waitcnt vmcnt(0)
	ds_write_b128 v7, v[1:4]
.LBB113_229:
	s_or_b32 exec_lo, exec_lo, s4
	s_waitcnt lgkmcnt(0)
	s_waitcnt_vscnt null, 0x0
	s_barrier
	buffer_gl0_inv
	s_clause 0x1f
	buffer_load_dword v112, off, s[0:3], 0 offset:712
	buffer_load_dword v113, off, s[0:3], 0 offset:716
	;; [unrolled: 1-line block ×32, first 2 shown]
	v_mov_b32_e32 v1, 0
	ds_read_b128 v[2:5], v1 offset:1488
	ds_read_b128 v[108:111], v1 offset:1504
	s_mov_b32 s4, exec_lo
	s_waitcnt vmcnt(30) lgkmcnt(1)
	v_mul_f64 v[146:147], v[4:5], v[112:113]
	v_mul_f64 v[148:149], v[2:3], v[112:113]
	s_waitcnt vmcnt(28) lgkmcnt(0)
	v_mul_f64 v[150:151], v[110:111], v[116:117]
	ds_read_b128 v[112:115], v1 offset:1520
	v_mul_f64 v[116:117], v[108:109], v[116:117]
	s_waitcnt vmcnt(26)
	v_fma_f64 v[146:147], v[2:3], v[118:119], -v[146:147]
	v_fma_f64 v[118:119], v[4:5], v[118:119], v[148:149]
	ds_read_b128 v[2:5], v1 offset:1536
	s_waitcnt vmcnt(24) lgkmcnt(1)
	v_mul_f64 v[148:149], v[112:113], v[120:121]
	v_mul_f64 v[120:121], v[114:115], v[120:121]
	s_waitcnt vmcnt(22)
	v_fma_f64 v[150:151], v[108:109], v[122:123], -v[150:151]
	v_fma_f64 v[116:117], v[110:111], v[122:123], v[116:117]
	ds_read_b128 v[108:111], v1 offset:1552
	s_waitcnt vmcnt(18) lgkmcnt(1)
	v_mul_f64 v[122:123], v[2:3], v[124:125]
	v_add_f64 v[146:147], v[146:147], 0
	v_add_f64 v[118:119], v[118:119], 0
	v_mul_f64 v[124:125], v[4:5], v[124:125]
	s_waitcnt vmcnt(16)
	v_fma_f64 v[120:121], v[112:113], v[130:131], -v[120:121]
	v_fma_f64 v[130:131], v[114:115], v[130:131], v[148:149]
	ds_read_b128 v[112:115], v1 offset:1568
	s_waitcnt vmcnt(13)
	v_fma_f64 v[122:123], v[4:5], v[132:133], v[122:123]
	v_add_f64 v[146:147], v[146:147], v[150:151]
	v_add_f64 v[116:117], v[118:119], v[116:117]
	s_waitcnt lgkmcnt(1)
	v_mul_f64 v[118:119], v[108:109], v[126:127]
	v_mul_f64 v[126:127], v[110:111], v[126:127]
	v_fma_f64 v[124:125], v[2:3], v[132:133], -v[124:125]
	s_waitcnt vmcnt(9) lgkmcnt(0)
	v_mul_f64 v[132:133], v[114:115], v[134:135]
	ds_read_b128 v[2:5], v1 offset:1584
	v_add_f64 v[120:121], v[146:147], v[120:121]
	v_add_f64 v[116:117], v[116:117], v[130:131]
	v_mul_f64 v[130:131], v[112:113], v[134:135]
	s_waitcnt vmcnt(8)
	v_fma_f64 v[108:109], v[108:109], v[128:129], -v[126:127]
	v_fma_f64 v[110:111], v[110:111], v[128:129], v[118:119]
	s_waitcnt vmcnt(5)
	v_fma_f64 v[112:113], v[112:113], v[140:141], -v[132:133]
	s_waitcnt lgkmcnt(0)
	v_mul_f64 v[118:119], v[2:3], v[136:137]
	v_add_f64 v[120:121], v[120:121], v[124:125]
	v_add_f64 v[116:117], v[116:117], v[122:123]
	v_mul_f64 v[122:123], v[4:5], v[136:137]
	v_fma_f64 v[114:115], v[114:115], v[140:141], v[130:131]
	s_waitcnt vmcnt(4)
	v_fma_f64 v[4:5], v[4:5], v[138:139], v[118:119]
	v_add_f64 v[108:109], v[120:121], v[108:109]
	v_add_f64 v[110:111], v[116:117], v[110:111]
	v_fma_f64 v[2:3], v[2:3], v[138:139], -v[122:123]
	v_add_f64 v[108:109], v[108:109], v[112:113]
	v_add_f64 v[110:111], v[110:111], v[114:115]
	;; [unrolled: 1-line block ×4, first 2 shown]
	s_waitcnt vmcnt(2)
	v_add_f64 v[2:3], v[142:143], -v[2:3]
	s_waitcnt vmcnt(0)
	v_add_f64 v[4:5], v[144:145], -v[4:5]
	buffer_store_dword v3, off, s[0:3], 0 offset:692
	buffer_store_dword v2, off, s[0:3], 0 offset:688
	;; [unrolled: 1-line block ×4, first 2 shown]
	v_cmpx_lt_u32_e32 41, v0
	s_cbranch_execz .LBB113_231
; %bb.230:
	v_mov_b32_e32 v5, s20
	s_clause 0x3
	buffer_load_dword v2, v5, s[0:3], 0 offen
	buffer_load_dword v3, v5, s[0:3], 0 offen offset:4
	buffer_load_dword v4, v5, s[0:3], 0 offen offset:8
	;; [unrolled: 1-line block ×3, first 2 shown]
	buffer_store_dword v1, off, s[0:3], 0 offset:672
	buffer_store_dword v1, off, s[0:3], 0 offset:676
	;; [unrolled: 1-line block ×4, first 2 shown]
	s_waitcnt vmcnt(0)
	ds_write_b128 v7, v[2:5]
.LBB113_231:
	s_or_b32 exec_lo, exec_lo, s4
	s_waitcnt lgkmcnt(0)
	s_waitcnt_vscnt null, 0x0
	s_barrier
	buffer_gl0_inv
	s_clause 0x23
	buffer_load_dword v112, off, s[0:3], 0 offset:696
	buffer_load_dword v113, off, s[0:3], 0 offset:700
	;; [unrolled: 1-line block ×36, first 2 shown]
	ds_read_b128 v[2:5], v1 offset:1472
	ds_read_b128 v[108:111], v1 offset:1488
	s_mov_b32 s4, exec_lo
	s_waitcnt vmcnt(34) lgkmcnt(1)
	v_mul_f64 v[150:151], v[4:5], v[112:113]
	v_mul_f64 v[152:153], v[2:3], v[112:113]
	s_waitcnt vmcnt(32) lgkmcnt(0)
	v_mul_f64 v[154:155], v[110:111], v[116:117]
	ds_read_b128 v[112:115], v1 offset:1504
	v_mul_f64 v[116:117], v[108:109], v[116:117]
	s_waitcnt vmcnt(30)
	v_fma_f64 v[150:151], v[2:3], v[118:119], -v[150:151]
	v_fma_f64 v[118:119], v[4:5], v[118:119], v[152:153]
	ds_read_b128 v[2:5], v1 offset:1520
	s_waitcnt vmcnt(28) lgkmcnt(1)
	v_mul_f64 v[152:153], v[112:113], v[120:121]
	v_mul_f64 v[120:121], v[114:115], v[120:121]
	s_waitcnt vmcnt(26)
	v_fma_f64 v[154:155], v[108:109], v[122:123], -v[154:155]
	v_fma_f64 v[116:117], v[110:111], v[122:123], v[116:117]
	ds_read_b128 v[108:111], v1 offset:1536
	s_waitcnt vmcnt(22) lgkmcnt(1)
	v_mul_f64 v[122:123], v[2:3], v[124:125]
	v_add_f64 v[150:151], v[150:151], 0
	v_add_f64 v[118:119], v[118:119], 0
	v_mul_f64 v[124:125], v[4:5], v[124:125]
	s_waitcnt vmcnt(20)
	v_fma_f64 v[120:121], v[112:113], v[130:131], -v[120:121]
	v_fma_f64 v[130:131], v[114:115], v[130:131], v[152:153]
	ds_read_b128 v[112:115], v1 offset:1552
	s_waitcnt vmcnt(17)
	v_fma_f64 v[122:123], v[4:5], v[132:133], v[122:123]
	v_add_f64 v[150:151], v[150:151], v[154:155]
	v_add_f64 v[116:117], v[118:119], v[116:117]
	s_waitcnt lgkmcnt(1)
	v_mul_f64 v[118:119], v[108:109], v[126:127]
	v_mul_f64 v[126:127], v[110:111], v[126:127]
	v_fma_f64 v[124:125], v[2:3], v[132:133], -v[124:125]
	s_waitcnt vmcnt(13) lgkmcnt(0)
	v_mul_f64 v[132:133], v[114:115], v[134:135]
	ds_read_b128 v[2:5], v1 offset:1568
	v_add_f64 v[120:121], v[150:151], v[120:121]
	v_add_f64 v[116:117], v[116:117], v[130:131]
	v_mul_f64 v[130:131], v[112:113], v[134:135]
	s_waitcnt vmcnt(12)
	v_fma_f64 v[126:127], v[108:109], v[128:129], -v[126:127]
	v_fma_f64 v[118:119], v[110:111], v[128:129], v[118:119]
	ds_read_b128 v[108:111], v1 offset:1584
	s_waitcnt vmcnt(9)
	v_fma_f64 v[112:113], v[112:113], v[140:141], -v[132:133]
	v_add_f64 v[120:121], v[120:121], v[124:125]
	v_add_f64 v[116:117], v[116:117], v[122:123]
	s_waitcnt lgkmcnt(1)
	v_mul_f64 v[124:125], v[4:5], v[136:137]
	v_mul_f64 v[122:123], v[2:3], v[136:137]
	v_fma_f64 v[114:115], v[114:115], v[140:141], v[130:131]
	v_add_f64 v[120:121], v[120:121], v[126:127]
	v_add_f64 v[116:117], v[116:117], v[118:119]
	s_waitcnt vmcnt(7) lgkmcnt(0)
	v_mul_f64 v[126:127], v[110:111], v[142:143]
	s_waitcnt vmcnt(6)
	v_fma_f64 v[1:2], v[2:3], v[138:139], -v[124:125]
	v_mul_f64 v[118:119], v[108:109], v[142:143]
	v_fma_f64 v[3:4], v[4:5], v[138:139], v[122:123]
	v_add_f64 v[112:113], v[120:121], v[112:113]
	v_add_f64 v[5:6], v[116:117], v[114:115]
	s_waitcnt vmcnt(4)
	v_fma_f64 v[108:109], v[108:109], v[144:145], -v[126:127]
	v_fma_f64 v[110:111], v[110:111], v[144:145], v[118:119]
	v_add_f64 v[1:2], v[112:113], v[1:2]
	v_add_f64 v[3:4], v[5:6], v[3:4]
	;; [unrolled: 1-line block ×4, first 2 shown]
	s_waitcnt vmcnt(2)
	v_add_f64 v[1:2], v[146:147], -v[1:2]
	s_waitcnt vmcnt(0)
	v_add_f64 v[3:4], v[148:149], -v[3:4]
	buffer_store_dword v2, off, s[0:3], 0 offset:676
	buffer_store_dword v1, off, s[0:3], 0 offset:672
	;; [unrolled: 1-line block ×4, first 2 shown]
	v_cmpx_lt_u32_e32 40, v0
	s_cbranch_execz .LBB113_233
; %bb.232:
	v_mov_b32_e32 v4, s21
	v_mov_b32_e32 v5, 0
	s_clause 0x3
	buffer_load_dword v1, v4, s[0:3], 0 offen
	buffer_load_dword v2, v4, s[0:3], 0 offen offset:4
	buffer_load_dword v3, v4, s[0:3], 0 offen offset:8
	;; [unrolled: 1-line block ×3, first 2 shown]
	buffer_store_dword v5, off, s[0:3], 0 offset:656
	buffer_store_dword v5, off, s[0:3], 0 offset:660
	;; [unrolled: 1-line block ×4, first 2 shown]
	s_waitcnt vmcnt(0)
	ds_write_b128 v7, v[1:4]
.LBB113_233:
	s_or_b32 exec_lo, exec_lo, s4
	s_waitcnt lgkmcnt(0)
	s_waitcnt_vscnt null, 0x0
	s_barrier
	buffer_gl0_inv
	s_clause 0x27
	buffer_load_dword v112, off, s[0:3], 0 offset:680
	buffer_load_dword v113, off, s[0:3], 0 offset:684
	;; [unrolled: 1-line block ×40, first 2 shown]
	v_mov_b32_e32 v1, 0
	ds_read_b128 v[2:5], v1 offset:1456
	ds_read_b128 v[108:111], v1 offset:1472
	s_mov_b32 s4, exec_lo
	s_waitcnt vmcnt(38) lgkmcnt(1)
	v_mul_f64 v[154:155], v[4:5], v[112:113]
	v_mul_f64 v[156:157], v[2:3], v[112:113]
	s_waitcnt vmcnt(36) lgkmcnt(0)
	v_mul_f64 v[158:159], v[110:111], v[116:117]
	ds_read_b128 v[112:115], v1 offset:1488
	v_mul_f64 v[116:117], v[108:109], v[116:117]
	s_waitcnt vmcnt(34)
	v_fma_f64 v[154:155], v[2:3], v[118:119], -v[154:155]
	v_fma_f64 v[118:119], v[4:5], v[118:119], v[156:157]
	ds_read_b128 v[2:5], v1 offset:1504
	s_waitcnt vmcnt(32) lgkmcnt(1)
	v_mul_f64 v[156:157], v[112:113], v[120:121]
	v_mul_f64 v[120:121], v[114:115], v[120:121]
	s_waitcnt vmcnt(30)
	v_fma_f64 v[158:159], v[108:109], v[122:123], -v[158:159]
	v_fma_f64 v[116:117], v[110:111], v[122:123], v[116:117]
	ds_read_b128 v[108:111], v1 offset:1520
	s_waitcnt vmcnt(26) lgkmcnt(1)
	v_mul_f64 v[122:123], v[2:3], v[124:125]
	v_add_f64 v[154:155], v[154:155], 0
	v_add_f64 v[118:119], v[118:119], 0
	v_mul_f64 v[124:125], v[4:5], v[124:125]
	s_waitcnt vmcnt(24)
	v_fma_f64 v[120:121], v[112:113], v[130:131], -v[120:121]
	v_fma_f64 v[130:131], v[114:115], v[130:131], v[156:157]
	ds_read_b128 v[112:115], v1 offset:1536
	s_waitcnt vmcnt(21)
	v_fma_f64 v[122:123], v[4:5], v[132:133], v[122:123]
	v_add_f64 v[154:155], v[154:155], v[158:159]
	v_add_f64 v[116:117], v[118:119], v[116:117]
	s_waitcnt lgkmcnt(1)
	v_mul_f64 v[118:119], v[108:109], v[126:127]
	v_mul_f64 v[126:127], v[110:111], v[126:127]
	v_fma_f64 v[124:125], v[2:3], v[132:133], -v[124:125]
	s_waitcnt vmcnt(17) lgkmcnt(0)
	v_mul_f64 v[132:133], v[114:115], v[134:135]
	ds_read_b128 v[2:5], v1 offset:1552
	v_add_f64 v[120:121], v[154:155], v[120:121]
	v_add_f64 v[116:117], v[116:117], v[130:131]
	v_mul_f64 v[130:131], v[112:113], v[134:135]
	s_waitcnt vmcnt(16)
	v_fma_f64 v[126:127], v[108:109], v[128:129], -v[126:127]
	v_fma_f64 v[118:119], v[110:111], v[128:129], v[118:119]
	ds_read_b128 v[108:111], v1 offset:1568
	s_waitcnt vmcnt(13)
	v_fma_f64 v[128:129], v[112:113], v[140:141], -v[132:133]
	v_add_f64 v[120:121], v[120:121], v[124:125]
	v_add_f64 v[116:117], v[116:117], v[122:123]
	s_waitcnt lgkmcnt(1)
	v_mul_f64 v[124:125], v[4:5], v[136:137]
	v_mul_f64 v[122:123], v[2:3], v[136:137]
	v_add_f64 v[120:121], v[120:121], v[126:127]
	v_fma_f64 v[126:127], v[114:115], v[140:141], v[130:131]
	v_add_f64 v[116:117], v[116:117], v[118:119]
	s_waitcnt vmcnt(9) lgkmcnt(0)
	v_mul_f64 v[130:131], v[110:111], v[142:143]
	s_waitcnt vmcnt(8)
	v_fma_f64 v[2:3], v[2:3], v[138:139], -v[124:125]
	ds_read_b128 v[112:115], v1 offset:1584
	v_mul_f64 v[118:119], v[108:109], v[142:143]
	v_fma_f64 v[4:5], v[4:5], v[138:139], v[122:123]
	v_add_f64 v[120:121], v[120:121], v[128:129]
	v_add_f64 v[116:117], v[116:117], v[126:127]
	s_waitcnt vmcnt(7) lgkmcnt(0)
	v_mul_f64 v[124:125], v[114:115], v[144:145]
	s_waitcnt vmcnt(5)
	v_fma_f64 v[108:109], v[108:109], v[148:149], -v[130:131]
	v_mul_f64 v[122:123], v[112:113], v[144:145]
	v_fma_f64 v[110:111], v[110:111], v[148:149], v[118:119]
	v_add_f64 v[2:3], v[120:121], v[2:3]
	v_add_f64 v[4:5], v[116:117], v[4:5]
	s_waitcnt vmcnt(4)
	v_fma_f64 v[112:113], v[112:113], v[146:147], -v[124:125]
	v_add_f64 v[2:3], v[2:3], v[108:109]
	v_fma_f64 v[108:109], v[114:115], v[146:147], v[122:123]
	v_add_f64 v[4:5], v[4:5], v[110:111]
	v_add_f64 v[2:3], v[2:3], v[112:113]
	;; [unrolled: 1-line block ×3, first 2 shown]
	s_waitcnt vmcnt(2)
	v_add_f64 v[2:3], v[150:151], -v[2:3]
	s_waitcnt vmcnt(0)
	v_add_f64 v[4:5], v[152:153], -v[4:5]
	buffer_store_dword v3, off, s[0:3], 0 offset:660
	buffer_store_dword v2, off, s[0:3], 0 offset:656
	;; [unrolled: 1-line block ×4, first 2 shown]
	v_cmpx_lt_u32_e32 39, v0
	s_cbranch_execz .LBB113_235
; %bb.234:
	v_mov_b32_e32 v5, s22
	s_clause 0x3
	buffer_load_dword v2, v5, s[0:3], 0 offen
	buffer_load_dword v3, v5, s[0:3], 0 offen offset:4
	buffer_load_dword v4, v5, s[0:3], 0 offen offset:8
	;; [unrolled: 1-line block ×3, first 2 shown]
	buffer_store_dword v1, off, s[0:3], 0 offset:640
	buffer_store_dword v1, off, s[0:3], 0 offset:644
	;; [unrolled: 1-line block ×4, first 2 shown]
	s_waitcnt vmcnt(0)
	ds_write_b128 v7, v[2:5]
.LBB113_235:
	s_or_b32 exec_lo, exec_lo, s4
	s_waitcnt lgkmcnt(0)
	s_waitcnt_vscnt null, 0x0
	s_barrier
	buffer_gl0_inv
	s_clause 0x2b
	buffer_load_dword v112, off, s[0:3], 0 offset:664
	buffer_load_dword v113, off, s[0:3], 0 offset:668
	;; [unrolled: 1-line block ×44, first 2 shown]
	ds_read_b128 v[2:5], v1 offset:1440
	ds_read_b128 v[108:111], v1 offset:1456
	s_mov_b32 s4, exec_lo
	s_waitcnt vmcnt(42) lgkmcnt(1)
	v_mul_f64 v[158:159], v[4:5], v[112:113]
	v_mul_f64 v[160:161], v[2:3], v[112:113]
	s_waitcnt vmcnt(40) lgkmcnt(0)
	v_mul_f64 v[162:163], v[110:111], v[116:117]
	ds_read_b128 v[112:115], v1 offset:1472
	v_mul_f64 v[116:117], v[108:109], v[116:117]
	s_waitcnt vmcnt(38)
	v_fma_f64 v[158:159], v[2:3], v[118:119], -v[158:159]
	v_fma_f64 v[118:119], v[4:5], v[118:119], v[160:161]
	ds_read_b128 v[2:5], v1 offset:1488
	s_waitcnt vmcnt(36) lgkmcnt(1)
	v_mul_f64 v[160:161], v[112:113], v[120:121]
	v_mul_f64 v[120:121], v[114:115], v[120:121]
	s_waitcnt vmcnt(34)
	v_fma_f64 v[162:163], v[108:109], v[122:123], -v[162:163]
	v_fma_f64 v[116:117], v[110:111], v[122:123], v[116:117]
	ds_read_b128 v[108:111], v1 offset:1504
	s_waitcnt vmcnt(30) lgkmcnt(1)
	v_mul_f64 v[122:123], v[2:3], v[124:125]
	v_add_f64 v[158:159], v[158:159], 0
	v_add_f64 v[118:119], v[118:119], 0
	v_mul_f64 v[124:125], v[4:5], v[124:125]
	s_waitcnt vmcnt(28)
	v_fma_f64 v[120:121], v[112:113], v[130:131], -v[120:121]
	v_fma_f64 v[130:131], v[114:115], v[130:131], v[160:161]
	ds_read_b128 v[112:115], v1 offset:1520
	s_waitcnt vmcnt(25)
	v_fma_f64 v[122:123], v[4:5], v[132:133], v[122:123]
	v_add_f64 v[158:159], v[158:159], v[162:163]
	v_add_f64 v[116:117], v[118:119], v[116:117]
	s_waitcnt lgkmcnt(1)
	v_mul_f64 v[118:119], v[108:109], v[126:127]
	v_mul_f64 v[126:127], v[110:111], v[126:127]
	v_fma_f64 v[124:125], v[2:3], v[132:133], -v[124:125]
	s_waitcnt vmcnt(21) lgkmcnt(0)
	v_mul_f64 v[132:133], v[114:115], v[134:135]
	ds_read_b128 v[2:5], v1 offset:1536
	v_add_f64 v[120:121], v[158:159], v[120:121]
	v_add_f64 v[116:117], v[116:117], v[130:131]
	v_mul_f64 v[130:131], v[112:113], v[134:135]
	s_waitcnt vmcnt(20)
	v_fma_f64 v[126:127], v[108:109], v[128:129], -v[126:127]
	v_fma_f64 v[118:119], v[110:111], v[128:129], v[118:119]
	ds_read_b128 v[108:111], v1 offset:1552
	s_waitcnt vmcnt(17)
	v_fma_f64 v[128:129], v[112:113], v[140:141], -v[132:133]
	v_add_f64 v[120:121], v[120:121], v[124:125]
	v_add_f64 v[116:117], v[116:117], v[122:123]
	s_waitcnt lgkmcnt(1)
	v_mul_f64 v[124:125], v[4:5], v[136:137]
	v_mul_f64 v[122:123], v[2:3], v[136:137]
	v_add_f64 v[120:121], v[120:121], v[126:127]
	v_fma_f64 v[126:127], v[114:115], v[140:141], v[130:131]
	v_add_f64 v[116:117], v[116:117], v[118:119]
	s_waitcnt vmcnt(13) lgkmcnt(0)
	v_mul_f64 v[130:131], v[110:111], v[142:143]
	s_waitcnt vmcnt(12)
	v_fma_f64 v[124:125], v[2:3], v[138:139], -v[124:125]
	ds_read_b128 v[112:115], v1 offset:1568
	v_mul_f64 v[118:119], v[108:109], v[142:143]
	v_fma_f64 v[5:6], v[4:5], v[138:139], v[122:123]
	ds_read_b128 v[1:4], v1 offset:1584
	v_add_f64 v[120:121], v[120:121], v[128:129]
	v_add_f64 v[116:117], v[116:117], v[126:127]
	s_waitcnt vmcnt(11) lgkmcnt(1)
	v_mul_f64 v[126:127], v[114:115], v[144:145]
	s_waitcnt vmcnt(9)
	v_fma_f64 v[108:109], v[108:109], v[148:149], -v[130:131]
	v_mul_f64 v[122:123], v[112:113], v[144:145]
	v_fma_f64 v[110:111], v[110:111], v[148:149], v[118:119]
	s_waitcnt vmcnt(7) lgkmcnt(0)
	v_mul_f64 v[118:119], v[3:4], v[150:151]
	v_add_f64 v[120:121], v[120:121], v[124:125]
	v_add_f64 v[5:6], v[116:117], v[5:6]
	s_waitcnt vmcnt(6)
	v_fma_f64 v[112:113], v[112:113], v[146:147], -v[126:127]
	v_mul_f64 v[116:117], v[1:2], v[150:151]
	v_fma_f64 v[114:115], v[114:115], v[146:147], v[122:123]
	s_waitcnt vmcnt(4)
	v_fma_f64 v[1:2], v[1:2], v[152:153], -v[118:119]
	v_add_f64 v[108:109], v[120:121], v[108:109]
	v_add_f64 v[5:6], v[5:6], v[110:111]
	v_fma_f64 v[3:4], v[3:4], v[152:153], v[116:117]
	v_add_f64 v[108:109], v[108:109], v[112:113]
	v_add_f64 v[5:6], v[5:6], v[114:115]
	;; [unrolled: 1-line block ×4, first 2 shown]
	s_waitcnt vmcnt(2)
	v_add_f64 v[1:2], v[154:155], -v[1:2]
	s_waitcnt vmcnt(0)
	v_add_f64 v[3:4], v[156:157], -v[3:4]
	buffer_store_dword v2, off, s[0:3], 0 offset:644
	buffer_store_dword v1, off, s[0:3], 0 offset:640
	;; [unrolled: 1-line block ×4, first 2 shown]
	v_cmpx_lt_u32_e32 38, v0
	s_cbranch_execz .LBB113_237
; %bb.236:
	v_mov_b32_e32 v4, s23
	v_mov_b32_e32 v5, 0
	s_clause 0x3
	buffer_load_dword v1, v4, s[0:3], 0 offen
	buffer_load_dword v2, v4, s[0:3], 0 offen offset:4
	buffer_load_dword v3, v4, s[0:3], 0 offen offset:8
	;; [unrolled: 1-line block ×3, first 2 shown]
	buffer_store_dword v5, off, s[0:3], 0 offset:624
	buffer_store_dword v5, off, s[0:3], 0 offset:628
	;; [unrolled: 1-line block ×4, first 2 shown]
	s_waitcnt vmcnt(0)
	ds_write_b128 v7, v[1:4]
.LBB113_237:
	s_or_b32 exec_lo, exec_lo, s4
	s_waitcnt lgkmcnt(0)
	s_waitcnt_vscnt null, 0x0
	s_barrier
	buffer_gl0_inv
	s_clause 0x2f
	buffer_load_dword v112, off, s[0:3], 0 offset:648
	buffer_load_dword v113, off, s[0:3], 0 offset:652
	;; [unrolled: 1-line block ×48, first 2 shown]
	v_mov_b32_e32 v1, 0
	ds_read_b128 v[2:5], v1 offset:1424
	ds_read_b128 v[108:111], v1 offset:1440
	s_mov_b32 s4, exec_lo
	s_waitcnt vmcnt(46) lgkmcnt(1)
	v_mul_f64 v[162:163], v[4:5], v[112:113]
	v_mul_f64 v[164:165], v[2:3], v[112:113]
	s_waitcnt vmcnt(44) lgkmcnt(0)
	v_mul_f64 v[166:167], v[110:111], v[116:117]
	ds_read_b128 v[112:115], v1 offset:1456
	v_mul_f64 v[116:117], v[108:109], v[116:117]
	s_waitcnt vmcnt(42)
	v_fma_f64 v[162:163], v[2:3], v[118:119], -v[162:163]
	v_fma_f64 v[118:119], v[4:5], v[118:119], v[164:165]
	ds_read_b128 v[2:5], v1 offset:1472
	s_waitcnt vmcnt(40) lgkmcnt(1)
	v_mul_f64 v[164:165], v[112:113], v[120:121]
	v_mul_f64 v[120:121], v[114:115], v[120:121]
	s_waitcnt vmcnt(38)
	v_fma_f64 v[166:167], v[108:109], v[122:123], -v[166:167]
	v_fma_f64 v[116:117], v[110:111], v[122:123], v[116:117]
	ds_read_b128 v[108:111], v1 offset:1488
	s_waitcnt vmcnt(34) lgkmcnt(1)
	v_mul_f64 v[122:123], v[2:3], v[124:125]
	v_add_f64 v[162:163], v[162:163], 0
	v_add_f64 v[118:119], v[118:119], 0
	v_mul_f64 v[124:125], v[4:5], v[124:125]
	s_waitcnt vmcnt(32)
	v_fma_f64 v[120:121], v[112:113], v[130:131], -v[120:121]
	v_fma_f64 v[130:131], v[114:115], v[130:131], v[164:165]
	ds_read_b128 v[112:115], v1 offset:1504
	s_waitcnt vmcnt(29)
	v_fma_f64 v[122:123], v[4:5], v[132:133], v[122:123]
	v_add_f64 v[162:163], v[162:163], v[166:167]
	v_add_f64 v[116:117], v[118:119], v[116:117]
	s_waitcnt lgkmcnt(1)
	v_mul_f64 v[118:119], v[108:109], v[126:127]
	v_mul_f64 v[126:127], v[110:111], v[126:127]
	v_fma_f64 v[124:125], v[2:3], v[132:133], -v[124:125]
	s_waitcnt vmcnt(25) lgkmcnt(0)
	v_mul_f64 v[132:133], v[114:115], v[134:135]
	ds_read_b128 v[2:5], v1 offset:1520
	v_add_f64 v[120:121], v[162:163], v[120:121]
	v_add_f64 v[116:117], v[116:117], v[130:131]
	v_mul_f64 v[130:131], v[112:113], v[134:135]
	s_waitcnt vmcnt(24)
	v_fma_f64 v[126:127], v[108:109], v[128:129], -v[126:127]
	v_fma_f64 v[118:119], v[110:111], v[128:129], v[118:119]
	ds_read_b128 v[108:111], v1 offset:1536
	s_waitcnt vmcnt(21)
	v_fma_f64 v[128:129], v[112:113], v[140:141], -v[132:133]
	v_add_f64 v[120:121], v[120:121], v[124:125]
	v_add_f64 v[116:117], v[116:117], v[122:123]
	s_waitcnt lgkmcnt(1)
	v_mul_f64 v[124:125], v[4:5], v[136:137]
	v_mul_f64 v[122:123], v[2:3], v[136:137]
	v_add_f64 v[120:121], v[120:121], v[126:127]
	v_fma_f64 v[126:127], v[114:115], v[140:141], v[130:131]
	v_add_f64 v[116:117], v[116:117], v[118:119]
	s_waitcnt vmcnt(17) lgkmcnt(0)
	v_mul_f64 v[130:131], v[110:111], v[142:143]
	s_waitcnt vmcnt(16)
	v_fma_f64 v[124:125], v[2:3], v[138:139], -v[124:125]
	ds_read_b128 v[112:115], v1 offset:1552
	v_mul_f64 v[118:119], v[108:109], v[142:143]
	v_fma_f64 v[122:123], v[4:5], v[138:139], v[122:123]
	ds_read_b128 v[2:5], v1 offset:1568
	v_add_f64 v[120:121], v[120:121], v[128:129]
	v_add_f64 v[116:117], v[116:117], v[126:127]
	s_waitcnt vmcnt(15) lgkmcnt(1)
	v_mul_f64 v[128:129], v[114:115], v[144:145]
	s_waitcnt vmcnt(13)
	v_fma_f64 v[130:131], v[108:109], v[148:149], -v[130:131]
	v_mul_f64 v[126:127], v[112:113], v[144:145]
	v_fma_f64 v[118:119], v[110:111], v[148:149], v[118:119]
	ds_read_b128 v[108:111], v1 offset:1584
	v_add_f64 v[120:121], v[120:121], v[124:125]
	s_waitcnt vmcnt(9) lgkmcnt(1)
	v_mul_f64 v[124:125], v[4:5], v[150:151]
	v_add_f64 v[116:117], v[116:117], v[122:123]
	s_waitcnt vmcnt(8)
	v_fma_f64 v[112:113], v[112:113], v[146:147], -v[128:129]
	v_mul_f64 v[122:123], v[2:3], v[150:151]
	v_fma_f64 v[114:115], v[114:115], v[146:147], v[126:127]
	s_waitcnt vmcnt(7) lgkmcnt(0)
	v_mul_f64 v[126:127], v[110:111], v[152:153]
	v_add_f64 v[120:121], v[120:121], v[130:131]
	s_waitcnt vmcnt(5)
	v_fma_f64 v[2:3], v[2:3], v[156:157], -v[124:125]
	v_add_f64 v[116:117], v[116:117], v[118:119]
	v_mul_f64 v[118:119], v[108:109], v[152:153]
	v_fma_f64 v[4:5], v[4:5], v[156:157], v[122:123]
	s_waitcnt vmcnt(4)
	v_fma_f64 v[108:109], v[108:109], v[154:155], -v[126:127]
	v_add_f64 v[112:113], v[120:121], v[112:113]
	v_add_f64 v[114:115], v[116:117], v[114:115]
	v_fma_f64 v[110:111], v[110:111], v[154:155], v[118:119]
	v_add_f64 v[2:3], v[112:113], v[2:3]
	v_add_f64 v[4:5], v[114:115], v[4:5]
	;; [unrolled: 1-line block ×4, first 2 shown]
	s_waitcnt vmcnt(2)
	v_add_f64 v[2:3], v[158:159], -v[2:3]
	s_waitcnt vmcnt(0)
	v_add_f64 v[4:5], v[160:161], -v[4:5]
	buffer_store_dword v3, off, s[0:3], 0 offset:628
	buffer_store_dword v2, off, s[0:3], 0 offset:624
	;; [unrolled: 1-line block ×4, first 2 shown]
	v_cmpx_lt_u32_e32 37, v0
	s_cbranch_execz .LBB113_239
; %bb.238:
	v_mov_b32_e32 v5, s24
	s_clause 0x3
	buffer_load_dword v2, v5, s[0:3], 0 offen
	buffer_load_dword v3, v5, s[0:3], 0 offen offset:4
	buffer_load_dword v4, v5, s[0:3], 0 offen offset:8
	buffer_load_dword v5, v5, s[0:3], 0 offen offset:12
	buffer_store_dword v1, off, s[0:3], 0 offset:608
	buffer_store_dword v1, off, s[0:3], 0 offset:612
	;; [unrolled: 1-line block ×4, first 2 shown]
	s_waitcnt vmcnt(0)
	ds_write_b128 v7, v[2:5]
.LBB113_239:
	s_or_b32 exec_lo, exec_lo, s4
	s_waitcnt lgkmcnt(0)
	s_waitcnt_vscnt null, 0x0
	s_barrier
	buffer_gl0_inv
	s_clause 0x2f
	buffer_load_dword v112, off, s[0:3], 0 offset:632
	buffer_load_dword v113, off, s[0:3], 0 offset:636
	;; [unrolled: 1-line block ×48, first 2 shown]
	ds_read_b128 v[2:5], v1 offset:1408
	s_clause 0x3
	buffer_load_dword v162, off, s[0:3], 0 offset:608
	buffer_load_dword v163, off, s[0:3], 0 offset:612
	;; [unrolled: 1-line block ×4, first 2 shown]
	ds_read_b128 v[108:111], v1 offset:1424
	s_mov_b32 s4, exec_lo
	s_waitcnt vmcnt(50) lgkmcnt(1)
	v_mul_f64 v[166:167], v[4:5], v[112:113]
	v_mul_f64 v[168:169], v[2:3], v[112:113]
	ds_read_b128 v[112:115], v1 offset:1440
	s_waitcnt vmcnt(48) lgkmcnt(1)
	v_mul_f64 v[170:171], v[110:111], v[116:117]
	v_mul_f64 v[116:117], v[108:109], v[116:117]
	s_waitcnt vmcnt(46)
	v_fma_f64 v[166:167], v[2:3], v[118:119], -v[166:167]
	v_fma_f64 v[118:119], v[4:5], v[118:119], v[168:169]
	s_waitcnt vmcnt(44) lgkmcnt(0)
	v_mul_f64 v[168:169], v[112:113], v[120:121]
	v_mul_f64 v[120:121], v[114:115], v[120:121]
	s_waitcnt vmcnt(42)
	v_fma_f64 v[170:171], v[108:109], v[122:123], -v[170:171]
	ds_read_b128 v[2:5], v1 offset:1456
	v_fma_f64 v[116:117], v[110:111], v[122:123], v[116:117]
	ds_read_b128 v[108:111], v1 offset:1472
	v_add_f64 v[166:167], v[166:167], 0
	v_add_f64 v[118:119], v[118:119], 0
	s_waitcnt vmcnt(38) lgkmcnt(1)
	v_mul_f64 v[122:123], v[2:3], v[124:125]
	v_mul_f64 v[124:125], v[4:5], v[124:125]
	s_waitcnt vmcnt(36)
	v_fma_f64 v[120:121], v[112:113], v[130:131], -v[120:121]
	v_fma_f64 v[130:131], v[114:115], v[130:131], v[168:169]
	ds_read_b128 v[112:115], v1 offset:1488
	v_add_f64 v[166:167], v[166:167], v[170:171]
	v_add_f64 v[116:117], v[118:119], v[116:117]
	s_waitcnt vmcnt(35) lgkmcnt(1)
	v_mul_f64 v[118:119], v[108:109], v[126:127]
	v_mul_f64 v[126:127], v[110:111], v[126:127]
	s_waitcnt vmcnt(33)
	v_fma_f64 v[124:125], v[2:3], v[132:133], -v[124:125]
	v_fma_f64 v[122:123], v[4:5], v[132:133], v[122:123]
	ds_read_b128 v[2:5], v1 offset:1504
	s_waitcnt vmcnt(29) lgkmcnt(1)
	v_mul_f64 v[132:133], v[114:115], v[134:135]
	v_add_f64 v[120:121], v[166:167], v[120:121]
	v_add_f64 v[116:117], v[116:117], v[130:131]
	v_mul_f64 v[130:131], v[112:113], v[134:135]
	s_waitcnt vmcnt(28)
	v_fma_f64 v[126:127], v[108:109], v[128:129], -v[126:127]
	v_fma_f64 v[118:119], v[110:111], v[128:129], v[118:119]
	ds_read_b128 v[108:111], v1 offset:1520
	s_waitcnt vmcnt(25)
	v_fma_f64 v[128:129], v[112:113], v[140:141], -v[132:133]
	v_add_f64 v[120:121], v[120:121], v[124:125]
	v_add_f64 v[116:117], v[116:117], v[122:123]
	s_waitcnt lgkmcnt(1)
	v_mul_f64 v[124:125], v[4:5], v[136:137]
	v_mul_f64 v[122:123], v[2:3], v[136:137]
	v_add_f64 v[120:121], v[120:121], v[126:127]
	v_fma_f64 v[126:127], v[114:115], v[140:141], v[130:131]
	v_add_f64 v[116:117], v[116:117], v[118:119]
	ds_read_b128 v[112:115], v1 offset:1536
	s_waitcnt vmcnt(21) lgkmcnt(1)
	v_mul_f64 v[130:131], v[110:111], v[142:143]
	s_waitcnt vmcnt(20)
	v_fma_f64 v[124:125], v[2:3], v[138:139], -v[124:125]
	v_mul_f64 v[118:119], v[108:109], v[142:143]
	v_fma_f64 v[122:123], v[4:5], v[138:139], v[122:123]
	ds_read_b128 v[2:5], v1 offset:1552
	v_add_f64 v[120:121], v[120:121], v[128:129]
	s_waitcnt vmcnt(19) lgkmcnt(1)
	v_mul_f64 v[128:129], v[114:115], v[144:145]
	v_add_f64 v[116:117], v[116:117], v[126:127]
	v_mul_f64 v[126:127], v[112:113], v[144:145]
	s_waitcnt vmcnt(17)
	v_fma_f64 v[130:131], v[108:109], v[148:149], -v[130:131]
	v_fma_f64 v[118:119], v[110:111], v[148:149], v[118:119]
	ds_read_b128 v[108:111], v1 offset:1568
	v_add_f64 v[120:121], v[120:121], v[124:125]
	s_waitcnt vmcnt(13) lgkmcnt(1)
	v_mul_f64 v[124:125], v[4:5], v[150:151]
	v_add_f64 v[116:117], v[116:117], v[122:123]
	s_waitcnt vmcnt(12)
	v_fma_f64 v[128:129], v[112:113], v[146:147], -v[128:129]
	v_mul_f64 v[122:123], v[2:3], v[150:151]
	v_fma_f64 v[126:127], v[114:115], v[146:147], v[126:127]
	ds_read_b128 v[112:115], v1 offset:1584
	v_add_f64 v[120:121], v[120:121], v[130:131]
	s_waitcnt vmcnt(11) lgkmcnt(1)
	v_mul_f64 v[130:131], v[110:111], v[152:153]
	v_add_f64 v[116:117], v[116:117], v[118:119]
	s_waitcnt vmcnt(9)
	v_fma_f64 v[1:2], v[2:3], v[156:157], -v[124:125]
	v_mul_f64 v[118:119], v[108:109], v[152:153]
	v_fma_f64 v[3:4], v[4:5], v[156:157], v[122:123]
	s_waitcnt vmcnt(7) lgkmcnt(0)
	v_mul_f64 v[122:123], v[114:115], v[158:159]
	v_add_f64 v[120:121], v[120:121], v[128:129]
	s_waitcnt vmcnt(6)
	v_fma_f64 v[108:109], v[108:109], v[154:155], -v[130:131]
	v_add_f64 v[5:6], v[116:117], v[126:127]
	v_mul_f64 v[116:117], v[112:113], v[158:159]
	v_fma_f64 v[110:111], v[110:111], v[154:155], v[118:119]
	v_add_f64 v[1:2], v[120:121], v[1:2]
	v_add_f64 v[3:4], v[5:6], v[3:4]
	s_waitcnt vmcnt(4)
	v_fma_f64 v[5:6], v[112:113], v[160:161], -v[122:123]
	v_add_f64 v[1:2], v[1:2], v[108:109]
	v_fma_f64 v[108:109], v[114:115], v[160:161], v[116:117]
	v_add_f64 v[3:4], v[3:4], v[110:111]
	v_add_f64 v[1:2], v[1:2], v[5:6]
	;; [unrolled: 1-line block ×3, first 2 shown]
	s_waitcnt vmcnt(2)
	v_add_f64 v[1:2], v[162:163], -v[1:2]
	s_waitcnt vmcnt(0)
	v_add_f64 v[3:4], v[164:165], -v[3:4]
	buffer_store_dword v2, off, s[0:3], 0 offset:612
	buffer_store_dword v1, off, s[0:3], 0 offset:608
	;; [unrolled: 1-line block ×4, first 2 shown]
	v_cmpx_lt_u32_e32 36, v0
	s_cbranch_execz .LBB113_241
; %bb.240:
	v_mov_b32_e32 v4, s25
	v_mov_b32_e32 v5, 0
	s_clause 0x3
	buffer_load_dword v1, v4, s[0:3], 0 offen
	buffer_load_dword v2, v4, s[0:3], 0 offen offset:4
	buffer_load_dword v3, v4, s[0:3], 0 offen offset:8
	;; [unrolled: 1-line block ×3, first 2 shown]
	buffer_store_dword v5, off, s[0:3], 0 offset:592
	buffer_store_dword v5, off, s[0:3], 0 offset:596
	;; [unrolled: 1-line block ×4, first 2 shown]
	s_waitcnt vmcnt(0)
	ds_write_b128 v7, v[1:4]
.LBB113_241:
	s_or_b32 exec_lo, exec_lo, s4
	s_waitcnt lgkmcnt(0)
	s_waitcnt_vscnt null, 0x0
	s_barrier
	buffer_gl0_inv
	s_clause 0x33
	buffer_load_dword v112, off, s[0:3], 0 offset:616
	buffer_load_dword v113, off, s[0:3], 0 offset:620
	;; [unrolled: 1-line block ×52, first 2 shown]
	v_mov_b32_e32 v1, 0
	ds_read_b128 v[2:5], v1 offset:1392
	ds_read_b128 v[108:111], v1 offset:1408
	s_clause 0x3
	buffer_load_dword v170, off, s[0:3], 0 offset:592
	buffer_load_dword v171, off, s[0:3], 0 offset:596
	;; [unrolled: 1-line block ×4, first 2 shown]
	s_mov_b32 s4, exec_lo
	s_waitcnt vmcnt(54) lgkmcnt(1)
	v_mul_f64 v[166:167], v[4:5], v[112:113]
	v_mul_f64 v[168:169], v[2:3], v[112:113]
	s_waitcnt vmcnt(52) lgkmcnt(0)
	v_mul_f64 v[174:175], v[110:111], v[116:117]
	ds_read_b128 v[112:115], v1 offset:1424
	v_mul_f64 v[116:117], v[108:109], v[116:117]
	s_waitcnt vmcnt(50)
	v_fma_f64 v[166:167], v[2:3], v[118:119], -v[166:167]
	v_fma_f64 v[118:119], v[4:5], v[118:119], v[168:169]
	ds_read_b128 v[2:5], v1 offset:1440
	s_waitcnt vmcnt(48) lgkmcnt(1)
	v_mul_f64 v[168:169], v[112:113], v[120:121]
	v_mul_f64 v[120:121], v[114:115], v[120:121]
	s_waitcnt vmcnt(46)
	v_fma_f64 v[174:175], v[108:109], v[122:123], -v[174:175]
	v_fma_f64 v[116:117], v[110:111], v[122:123], v[116:117]
	ds_read_b128 v[108:111], v1 offset:1456
	s_waitcnt vmcnt(42) lgkmcnt(1)
	v_mul_f64 v[122:123], v[2:3], v[124:125]
	v_add_f64 v[166:167], v[166:167], 0
	v_add_f64 v[118:119], v[118:119], 0
	v_mul_f64 v[124:125], v[4:5], v[124:125]
	s_waitcnt vmcnt(40)
	v_fma_f64 v[120:121], v[112:113], v[130:131], -v[120:121]
	v_fma_f64 v[130:131], v[114:115], v[130:131], v[168:169]
	ds_read_b128 v[112:115], v1 offset:1472
	s_waitcnt vmcnt(37)
	v_fma_f64 v[122:123], v[4:5], v[132:133], v[122:123]
	v_add_f64 v[166:167], v[166:167], v[174:175]
	v_add_f64 v[116:117], v[118:119], v[116:117]
	s_waitcnt lgkmcnt(1)
	v_mul_f64 v[118:119], v[108:109], v[126:127]
	v_mul_f64 v[126:127], v[110:111], v[126:127]
	v_fma_f64 v[124:125], v[2:3], v[132:133], -v[124:125]
	s_waitcnt vmcnt(33) lgkmcnt(0)
	v_mul_f64 v[132:133], v[114:115], v[134:135]
	ds_read_b128 v[2:5], v1 offset:1488
	v_add_f64 v[120:121], v[166:167], v[120:121]
	v_add_f64 v[116:117], v[116:117], v[130:131]
	v_mul_f64 v[130:131], v[112:113], v[134:135]
	s_waitcnt vmcnt(32)
	v_fma_f64 v[126:127], v[108:109], v[128:129], -v[126:127]
	v_fma_f64 v[118:119], v[110:111], v[128:129], v[118:119]
	ds_read_b128 v[108:111], v1 offset:1504
	s_waitcnt vmcnt(29)
	v_fma_f64 v[128:129], v[112:113], v[140:141], -v[132:133]
	v_add_f64 v[120:121], v[120:121], v[124:125]
	v_add_f64 v[116:117], v[116:117], v[122:123]
	s_waitcnt lgkmcnt(1)
	v_mul_f64 v[124:125], v[4:5], v[136:137]
	v_mul_f64 v[122:123], v[2:3], v[136:137]
	v_add_f64 v[120:121], v[120:121], v[126:127]
	v_fma_f64 v[126:127], v[114:115], v[140:141], v[130:131]
	v_add_f64 v[116:117], v[116:117], v[118:119]
	s_waitcnt vmcnt(25) lgkmcnt(0)
	v_mul_f64 v[130:131], v[110:111], v[142:143]
	s_waitcnt vmcnt(24)
	v_fma_f64 v[124:125], v[2:3], v[138:139], -v[124:125]
	ds_read_b128 v[112:115], v1 offset:1520
	v_mul_f64 v[118:119], v[108:109], v[142:143]
	v_fma_f64 v[122:123], v[4:5], v[138:139], v[122:123]
	ds_read_b128 v[2:5], v1 offset:1536
	v_add_f64 v[120:121], v[120:121], v[128:129]
	v_add_f64 v[116:117], v[116:117], v[126:127]
	s_waitcnt vmcnt(23) lgkmcnt(1)
	v_mul_f64 v[128:129], v[114:115], v[144:145]
	s_waitcnt vmcnt(21)
	v_fma_f64 v[130:131], v[108:109], v[148:149], -v[130:131]
	v_mul_f64 v[126:127], v[112:113], v[144:145]
	v_fma_f64 v[118:119], v[110:111], v[148:149], v[118:119]
	ds_read_b128 v[108:111], v1 offset:1552
	v_add_f64 v[120:121], v[120:121], v[124:125]
	s_waitcnt vmcnt(17) lgkmcnt(1)
	v_mul_f64 v[124:125], v[4:5], v[150:151]
	v_add_f64 v[116:117], v[116:117], v[122:123]
	s_waitcnt vmcnt(16)
	v_fma_f64 v[128:129], v[112:113], v[146:147], -v[128:129]
	v_mul_f64 v[122:123], v[2:3], v[150:151]
	v_fma_f64 v[126:127], v[114:115], v[146:147], v[126:127]
	ds_read_b128 v[112:115], v1 offset:1568
	v_add_f64 v[120:121], v[120:121], v[130:131]
	s_waitcnt vmcnt(15) lgkmcnt(1)
	v_mul_f64 v[130:131], v[110:111], v[152:153]
	v_add_f64 v[116:117], v[116:117], v[118:119]
	;; [unrolled: 9-line block ×3, first 2 shown]
	s_waitcnt vmcnt(8)
	v_fma_f64 v[108:109], v[108:109], v[154:155], -v[130:131]
	v_mul_f64 v[126:127], v[112:113], v[158:159]
	v_fma_f64 v[110:111], v[110:111], v[154:155], v[118:119]
	s_waitcnt vmcnt(7) lgkmcnt(0)
	v_mul_f64 v[118:119], v[2:3], v[160:161]
	v_add_f64 v[120:121], v[120:121], v[124:125]
	s_waitcnt vmcnt(5)
	v_fma_f64 v[112:113], v[112:113], v[164:165], -v[128:129]
	v_add_f64 v[116:117], v[116:117], v[122:123]
	v_mul_f64 v[122:123], v[4:5], v[160:161]
	v_fma_f64 v[114:115], v[114:115], v[164:165], v[126:127]
	s_waitcnt vmcnt(4)
	v_fma_f64 v[4:5], v[4:5], v[162:163], v[118:119]
	v_add_f64 v[108:109], v[120:121], v[108:109]
	v_add_f64 v[110:111], v[116:117], v[110:111]
	v_fma_f64 v[2:3], v[2:3], v[162:163], -v[122:123]
	v_add_f64 v[108:109], v[108:109], v[112:113]
	v_add_f64 v[110:111], v[110:111], v[114:115]
	;; [unrolled: 1-line block ×4, first 2 shown]
	s_waitcnt vmcnt(2)
	v_add_f64 v[2:3], v[170:171], -v[2:3]
	s_waitcnt vmcnt(0)
	v_add_f64 v[4:5], v[172:173], -v[4:5]
	buffer_store_dword v3, off, s[0:3], 0 offset:596
	buffer_store_dword v2, off, s[0:3], 0 offset:592
	;; [unrolled: 1-line block ×4, first 2 shown]
	v_cmpx_lt_u32_e32 35, v0
	s_cbranch_execz .LBB113_243
; %bb.242:
	v_mov_b32_e32 v5, s26
	s_clause 0x3
	buffer_load_dword v2, v5, s[0:3], 0 offen
	buffer_load_dword v3, v5, s[0:3], 0 offen offset:4
	buffer_load_dword v4, v5, s[0:3], 0 offen offset:8
	;; [unrolled: 1-line block ×3, first 2 shown]
	buffer_store_dword v1, off, s[0:3], 0 offset:576
	buffer_store_dword v1, off, s[0:3], 0 offset:580
	buffer_store_dword v1, off, s[0:3], 0 offset:584
	buffer_store_dword v1, off, s[0:3], 0 offset:588
	s_waitcnt vmcnt(0)
	ds_write_b128 v7, v[2:5]
.LBB113_243:
	s_or_b32 exec_lo, exec_lo, s4
	s_waitcnt lgkmcnt(0)
	s_waitcnt_vscnt null, 0x0
	s_barrier
	buffer_gl0_inv
	s_clause 0x35
	buffer_load_dword v112, off, s[0:3], 0 offset:600
	buffer_load_dword v113, off, s[0:3], 0 offset:604
	;; [unrolled: 1-line block ×54, first 2 shown]
	ds_read_b128 v[2:5], v1 offset:1376
	s_clause 0x1
	buffer_load_dword v169, off, s[0:3], 0 offset:804
	buffer_load_dword v168, off, s[0:3], 0 offset:800
	ds_read_b128 v[108:111], v1 offset:1392
	s_mov_b32 s4, exec_lo
	s_waitcnt vmcnt(54) lgkmcnt(1)
	v_mul_f64 v[170:171], v[4:5], v[112:113]
	v_mul_f64 v[172:173], v[2:3], v[112:113]
	ds_read_b128 v[112:115], v1 offset:1408
	s_waitcnt vmcnt(52) lgkmcnt(1)
	v_mul_f64 v[174:175], v[110:111], v[116:117]
	v_mul_f64 v[116:117], v[108:109], v[116:117]
	s_waitcnt vmcnt(48) lgkmcnt(0)
	v_mul_f64 v[178:179], v[112:113], v[120:121]
	v_fma_f64 v[170:171], v[2:3], v[118:119], -v[170:171]
	v_fma_f64 v[118:119], v[4:5], v[118:119], v[172:173]
	s_clause 0x3
	buffer_load_dword v172, off, s[0:3], 0 offset:576
	buffer_load_dword v173, off, s[0:3], 0 offset:580
	;; [unrolled: 1-line block ×4, first 2 shown]
	v_mul_f64 v[120:121], v[114:115], v[120:121]
	s_waitcnt vmcnt(50)
	v_fma_f64 v[174:175], v[108:109], v[122:123], -v[174:175]
	ds_read_b128 v[2:5], v1 offset:1424
	v_fma_f64 v[116:117], v[110:111], v[122:123], v[116:117]
	ds_read_b128 v[108:111], v1 offset:1440
	v_add_f64 v[170:171], v[170:171], 0
	v_add_f64 v[118:119], v[118:119], 0
	s_waitcnt vmcnt(46) lgkmcnt(1)
	v_mul_f64 v[122:123], v[2:3], v[124:125]
	v_mul_f64 v[124:125], v[4:5], v[124:125]
	s_waitcnt vmcnt(44)
	v_fma_f64 v[120:121], v[112:113], v[130:131], -v[120:121]
	v_fma_f64 v[130:131], v[114:115], v[130:131], v[178:179]
	ds_read_b128 v[112:115], v1 offset:1456
	v_add_f64 v[170:171], v[170:171], v[174:175]
	v_add_f64 v[116:117], v[118:119], v[116:117]
	s_waitcnt vmcnt(43) lgkmcnt(1)
	v_mul_f64 v[118:119], v[108:109], v[126:127]
	v_mul_f64 v[126:127], v[110:111], v[126:127]
	s_waitcnt vmcnt(41)
	v_fma_f64 v[124:125], v[2:3], v[132:133], -v[124:125]
	v_fma_f64 v[122:123], v[4:5], v[132:133], v[122:123]
	ds_read_b128 v[2:5], v1 offset:1472
	s_waitcnt vmcnt(37) lgkmcnt(1)
	v_mul_f64 v[132:133], v[114:115], v[134:135]
	v_add_f64 v[120:121], v[170:171], v[120:121]
	v_add_f64 v[116:117], v[116:117], v[130:131]
	v_mul_f64 v[130:131], v[112:113], v[134:135]
	s_waitcnt vmcnt(36)
	v_fma_f64 v[126:127], v[108:109], v[128:129], -v[126:127]
	v_fma_f64 v[118:119], v[110:111], v[128:129], v[118:119]
	ds_read_b128 v[108:111], v1 offset:1488
	s_waitcnt vmcnt(33)
	v_fma_f64 v[128:129], v[112:113], v[140:141], -v[132:133]
	v_add_f64 v[120:121], v[120:121], v[124:125]
	v_add_f64 v[116:117], v[116:117], v[122:123]
	s_waitcnt lgkmcnt(1)
	v_mul_f64 v[124:125], v[4:5], v[136:137]
	v_mul_f64 v[122:123], v[2:3], v[136:137]
	v_add_f64 v[120:121], v[120:121], v[126:127]
	v_fma_f64 v[126:127], v[114:115], v[140:141], v[130:131]
	v_add_f64 v[116:117], v[116:117], v[118:119]
	ds_read_b128 v[112:115], v1 offset:1504
	s_waitcnt vmcnt(29) lgkmcnt(1)
	v_mul_f64 v[130:131], v[110:111], v[142:143]
	s_waitcnt vmcnt(28)
	v_fma_f64 v[124:125], v[2:3], v[138:139], -v[124:125]
	v_mul_f64 v[118:119], v[108:109], v[142:143]
	v_fma_f64 v[122:123], v[4:5], v[138:139], v[122:123]
	ds_read_b128 v[2:5], v1 offset:1520
	v_add_f64 v[120:121], v[120:121], v[128:129]
	s_waitcnt vmcnt(27) lgkmcnt(1)
	v_mul_f64 v[128:129], v[114:115], v[144:145]
	v_add_f64 v[116:117], v[116:117], v[126:127]
	v_mul_f64 v[126:127], v[112:113], v[144:145]
	s_waitcnt vmcnt(25)
	v_fma_f64 v[130:131], v[108:109], v[148:149], -v[130:131]
	v_fma_f64 v[118:119], v[110:111], v[148:149], v[118:119]
	ds_read_b128 v[108:111], v1 offset:1536
	v_add_f64 v[120:121], v[120:121], v[124:125]
	s_waitcnt vmcnt(21) lgkmcnt(1)
	v_mul_f64 v[124:125], v[4:5], v[150:151]
	v_add_f64 v[116:117], v[116:117], v[122:123]
	s_waitcnt vmcnt(20)
	v_fma_f64 v[128:129], v[112:113], v[146:147], -v[128:129]
	v_mul_f64 v[122:123], v[2:3], v[150:151]
	v_fma_f64 v[126:127], v[114:115], v[146:147], v[126:127]
	ds_read_b128 v[112:115], v1 offset:1552
	v_add_f64 v[120:121], v[120:121], v[130:131]
	s_waitcnt vmcnt(19) lgkmcnt(1)
	v_mul_f64 v[130:131], v[110:111], v[152:153]
	v_add_f64 v[116:117], v[116:117], v[118:119]
	s_waitcnt vmcnt(17)
	v_fma_f64 v[124:125], v[2:3], v[156:157], -v[124:125]
	v_mul_f64 v[118:119], v[108:109], v[152:153]
	;; [unrolled: 9-line block ×4, first 2 shown]
	v_fma_f64 v[114:115], v[114:115], v[164:165], v[126:127]
	s_waitcnt vmcnt(7) lgkmcnt(0)
	v_mul_f64 v[126:127], v[110:111], v[166:167]
	v_add_f64 v[120:121], v[120:121], v[130:131]
	s_waitcnt vmcnt(6)
	v_fma_f64 v[1:2], v[2:3], v[162:163], -v[124:125]
	v_add_f64 v[116:117], v[116:117], v[118:119]
	v_mul_f64 v[118:119], v[108:109], v[166:167]
	v_fma_f64 v[3:4], v[4:5], v[162:163], v[122:123]
	s_waitcnt vmcnt(4)
	v_fma_f64 v[108:109], v[108:109], v[168:169], -v[126:127]
	v_add_f64 v[112:113], v[120:121], v[112:113]
	v_add_f64 v[5:6], v[116:117], v[114:115]
	v_fma_f64 v[110:111], v[110:111], v[168:169], v[118:119]
	v_add_f64 v[1:2], v[112:113], v[1:2]
	v_add_f64 v[3:4], v[5:6], v[3:4]
	;; [unrolled: 1-line block ×4, first 2 shown]
	s_waitcnt vmcnt(2)
	v_add_f64 v[1:2], v[172:173], -v[1:2]
	s_waitcnt vmcnt(0)
	v_add_f64 v[3:4], v[176:177], -v[3:4]
	buffer_store_dword v2, off, s[0:3], 0 offset:580
	buffer_store_dword v1, off, s[0:3], 0 offset:576
	;; [unrolled: 1-line block ×4, first 2 shown]
	v_cmpx_lt_u32_e32 34, v0
	s_cbranch_execz .LBB113_245
; %bb.244:
	v_mov_b32_e32 v4, s27
	v_mov_b32_e32 v5, 0
	s_clause 0x3
	buffer_load_dword v1, v4, s[0:3], 0 offen
	buffer_load_dword v2, v4, s[0:3], 0 offen offset:4
	buffer_load_dword v3, v4, s[0:3], 0 offen offset:8
	;; [unrolled: 1-line block ×3, first 2 shown]
	buffer_store_dword v5, off, s[0:3], 0 offset:560
	buffer_store_dword v5, off, s[0:3], 0 offset:564
	;; [unrolled: 1-line block ×4, first 2 shown]
	s_waitcnt vmcnt(0)
	ds_write_b128 v7, v[1:4]
.LBB113_245:
	s_or_b32 exec_lo, exec_lo, s4
	s_waitcnt lgkmcnt(0)
	s_waitcnt_vscnt null, 0x0
	s_barrier
	buffer_gl0_inv
	s_clause 0x37
	buffer_load_dword v112, off, s[0:3], 0 offset:584
	buffer_load_dword v113, off, s[0:3], 0 offset:588
	;; [unrolled: 1-line block ×56, first 2 shown]
	v_mov_b32_e32 v1, 0
	s_mov_b32 s4, exec_lo
	ds_read_b128 v[2:5], v1 offset:1360
	s_clause 0x2
	buffer_load_dword v169, off, s[0:3], 0 offset:812
	buffer_load_dword v173, off, s[0:3], 0 offset:788
	;; [unrolled: 1-line block ×3, first 2 shown]
	ds_read_b128 v[108:111], v1 offset:1376
	buffer_load_dword v171, off, s[0:3], 0 offset:804
	s_waitcnt vmcnt(58) lgkmcnt(1)
	v_mul_f64 v[174:175], v[4:5], v[112:113]
	v_mul_f64 v[176:177], v[2:3], v[112:113]
	ds_read_b128 v[112:115], v1 offset:1392
	s_waitcnt vmcnt(56) lgkmcnt(1)
	v_mul_f64 v[178:179], v[110:111], v[116:117]
	v_mul_f64 v[116:117], v[108:109], v[116:117]
	s_waitcnt vmcnt(54)
	v_fma_f64 v[174:175], v[2:3], v[118:119], -v[174:175]
	v_fma_f64 v[118:119], v[4:5], v[118:119], v[176:177]
	s_waitcnt vmcnt(52) lgkmcnt(0)
	v_mul_f64 v[176:177], v[112:113], v[120:121]
	v_mul_f64 v[120:121], v[114:115], v[120:121]
	s_waitcnt vmcnt(50)
	v_fma_f64 v[178:179], v[108:109], v[122:123], -v[178:179]
	ds_read_b128 v[2:5], v1 offset:1408
	v_fma_f64 v[116:117], v[110:111], v[122:123], v[116:117]
	s_clause 0x3
	buffer_load_dword v122, off, s[0:3], 0 offset:560
	buffer_load_dword v123, off, s[0:3], 0 offset:564
	;; [unrolled: 1-line block ×4, first 2 shown]
	ds_read_b128 v[108:111], v1 offset:1424
	v_add_f64 v[174:175], v[174:175], 0
	v_add_f64 v[118:119], v[118:119], 0
	s_waitcnt vmcnt(50) lgkmcnt(1)
	v_mul_f64 v[182:183], v[2:3], v[124:125]
	v_mul_f64 v[124:125], v[4:5], v[124:125]
	s_waitcnt vmcnt(48)
	v_fma_f64 v[120:121], v[112:113], v[130:131], -v[120:121]
	v_fma_f64 v[130:131], v[114:115], v[130:131], v[176:177]
	ds_read_b128 v[112:115], v1 offset:1440
	v_add_f64 v[174:175], v[174:175], v[178:179]
	v_add_f64 v[116:117], v[118:119], v[116:117]
	s_waitcnt vmcnt(47) lgkmcnt(1)
	v_mul_f64 v[118:119], v[108:109], v[126:127]
	v_mul_f64 v[126:127], v[110:111], v[126:127]
	s_waitcnt vmcnt(45)
	v_fma_f64 v[124:125], v[2:3], v[132:133], -v[124:125]
	v_fma_f64 v[132:133], v[4:5], v[132:133], v[182:183]
	;; [unrolled: 9-line block ×3, first 2 shown]
	ds_read_b128 v[108:111], v1 offset:1472
	s_waitcnt vmcnt(39) lgkmcnt(1)
	v_mul_f64 v[128:129], v[4:5], v[136:137]
	v_add_f64 v[120:121], v[120:121], v[124:125]
	v_add_f64 v[116:117], v[116:117], v[132:133]
	v_mul_f64 v[124:125], v[2:3], v[136:137]
	s_waitcnt vmcnt(37)
	v_fma_f64 v[132:133], v[112:113], v[140:141], -v[134:135]
	s_waitcnt vmcnt(32)
	v_fma_f64 v[128:129], v[2:3], v[138:139], -v[128:129]
	v_add_f64 v[120:121], v[120:121], v[126:127]
	v_fma_f64 v[126:127], v[114:115], v[140:141], v[130:131]
	v_add_f64 v[116:117], v[116:117], v[118:119]
	s_waitcnt lgkmcnt(0)
	v_mul_f64 v[130:131], v[110:111], v[142:143]
	ds_read_b128 v[112:115], v1 offset:1488
	v_mul_f64 v[118:119], v[108:109], v[142:143]
	v_fma_f64 v[124:125], v[4:5], v[138:139], v[124:125]
	ds_read_b128 v[2:5], v1 offset:1504
	v_add_f64 v[120:121], v[120:121], v[132:133]
	v_add_f64 v[116:117], v[116:117], v[126:127]
	s_waitcnt vmcnt(31) lgkmcnt(1)
	v_mul_f64 v[132:133], v[114:115], v[144:145]
	s_waitcnt vmcnt(29)
	v_fma_f64 v[130:131], v[108:109], v[148:149], -v[130:131]
	v_mul_f64 v[126:127], v[112:113], v[144:145]
	v_fma_f64 v[118:119], v[110:111], v[148:149], v[118:119]
	ds_read_b128 v[108:111], v1 offset:1520
	v_add_f64 v[120:121], v[120:121], v[128:129]
	s_waitcnt vmcnt(25) lgkmcnt(1)
	v_mul_f64 v[128:129], v[4:5], v[150:151]
	v_add_f64 v[116:117], v[116:117], v[124:125]
	s_waitcnt vmcnt(24)
	v_fma_f64 v[132:133], v[112:113], v[146:147], -v[132:133]
	v_mul_f64 v[124:125], v[2:3], v[150:151]
	v_fma_f64 v[126:127], v[114:115], v[146:147], v[126:127]
	ds_read_b128 v[112:115], v1 offset:1536
	v_add_f64 v[120:121], v[120:121], v[130:131]
	s_waitcnt vmcnt(23) lgkmcnt(1)
	v_mul_f64 v[130:131], v[110:111], v[152:153]
	v_add_f64 v[116:117], v[116:117], v[118:119]
	;; [unrolled: 9-line block ×5, first 2 shown]
	s_waitcnt vmcnt(8)
	v_fma_f64 v[2:3], v[2:3], v[162:163], -v[128:129]
	v_mul_f64 v[118:119], v[108:109], v[166:167]
	v_fma_f64 v[4:5], v[4:5], v[162:163], v[124:125]
	s_waitcnt vmcnt(7) lgkmcnt(0)
	v_mul_f64 v[124:125], v[112:113], v[168:169]
	v_add_f64 v[120:121], v[120:121], v[132:133]
	s_waitcnt vmcnt(5)
	v_fma_f64 v[108:109], v[108:109], v[172:173], -v[130:131]
	v_add_f64 v[116:117], v[116:117], v[126:127]
	v_mul_f64 v[126:127], v[114:115], v[168:169]
	v_fma_f64 v[110:111], v[110:111], v[172:173], v[118:119]
	v_add_f64 v[2:3], v[120:121], v[2:3]
	v_add_f64 v[4:5], v[116:117], v[4:5]
	s_waitcnt vmcnt(4)
	v_fma_f64 v[112:113], v[112:113], v[170:171], -v[126:127]
	v_add_f64 v[2:3], v[2:3], v[108:109]
	v_fma_f64 v[108:109], v[114:115], v[170:171], v[124:125]
	v_add_f64 v[4:5], v[4:5], v[110:111]
	v_add_f64 v[2:3], v[2:3], v[112:113]
	v_add_f64 v[4:5], v[4:5], v[108:109]
	s_waitcnt vmcnt(2)
	v_add_f64 v[2:3], v[122:123], -v[2:3]
	s_waitcnt vmcnt(0)
	v_add_f64 v[4:5], v[180:181], -v[4:5]
	buffer_store_dword v3, off, s[0:3], 0 offset:564
	buffer_store_dword v2, off, s[0:3], 0 offset:560
	;; [unrolled: 1-line block ×4, first 2 shown]
	v_cmpx_lt_u32_e32 33, v0
	s_cbranch_execz .LBB113_247
; %bb.246:
	v_mov_b32_e32 v5, s28
	s_clause 0x3
	buffer_load_dword v2, v5, s[0:3], 0 offen
	buffer_load_dword v3, v5, s[0:3], 0 offen offset:4
	buffer_load_dword v4, v5, s[0:3], 0 offen offset:8
	;; [unrolled: 1-line block ×3, first 2 shown]
	buffer_store_dword v1, off, s[0:3], 0 offset:544
	buffer_store_dword v1, off, s[0:3], 0 offset:548
	;; [unrolled: 1-line block ×4, first 2 shown]
	s_waitcnt vmcnt(0)
	ds_write_b128 v7, v[2:5]
.LBB113_247:
	s_or_b32 exec_lo, exec_lo, s4
	s_waitcnt lgkmcnt(0)
	s_waitcnt_vscnt null, 0x0
	s_barrier
	buffer_gl0_inv
	s_clause 0x37
	buffer_load_dword v112, off, s[0:3], 0 offset:568
	buffer_load_dword v113, off, s[0:3], 0 offset:572
	buffer_load_dword v116, off, s[0:3], 0 offset:584
	buffer_load_dword v117, off, s[0:3], 0 offset:588
	buffer_load_dword v118, off, s[0:3], 0 offset:560
	buffer_load_dword v119, off, s[0:3], 0 offset:564
	buffer_load_dword v120, off, s[0:3], 0 offset:600
	buffer_load_dword v121, off, s[0:3], 0 offset:604
	buffer_load_dword v122, off, s[0:3], 0 offset:576
	buffer_load_dword v123, off, s[0:3], 0 offset:580
	buffer_load_dword v125, off, s[0:3], 0 offset:620
	buffer_load_dword v126, off, s[0:3], 0 offset:632
	buffer_load_dword v128, off, s[0:3], 0 offset:624
	buffer_load_dword v124, off, s[0:3], 0 offset:616
	buffer_load_dword v130, off, s[0:3], 0 offset:592
	buffer_load_dword v131, off, s[0:3], 0 offset:596
	buffer_load_dword v127, off, s[0:3], 0 offset:636
	buffer_load_dword v133, off, s[0:3], 0 offset:612
	buffer_load_dword v132, off, s[0:3], 0 offset:608
	buffer_load_dword v135, off, s[0:3], 0 offset:652
	buffer_load_dword v136, off, s[0:3], 0 offset:664
	buffer_load_dword v138, off, s[0:3], 0 offset:656
	buffer_load_dword v134, off, s[0:3], 0 offset:648
	buffer_load_dword v129, off, s[0:3], 0 offset:628
	buffer_load_dword v137, off, s[0:3], 0 offset:668
	buffer_load_dword v141, off, s[0:3], 0 offset:644
	buffer_load_dword v140, off, s[0:3], 0 offset:640
	buffer_load_dword v143, off, s[0:3], 0 offset:684
	buffer_load_dword v144, off, s[0:3], 0 offset:696
	buffer_load_dword v146, off, s[0:3], 0 offset:688
	buffer_load_dword v142, off, s[0:3], 0 offset:680
	buffer_load_dword v139, off, s[0:3], 0 offset:660
	buffer_load_dword v145, off, s[0:3], 0 offset:700
	buffer_load_dword v149, off, s[0:3], 0 offset:676
	buffer_load_dword v148, off, s[0:3], 0 offset:672
	buffer_load_dword v151, off, s[0:3], 0 offset:716
	buffer_load_dword v152, off, s[0:3], 0 offset:728
	buffer_load_dword v154, off, s[0:3], 0 offset:720
	buffer_load_dword v150, off, s[0:3], 0 offset:712
	buffer_load_dword v147, off, s[0:3], 0 offset:692
	buffer_load_dword v153, off, s[0:3], 0 offset:732
	buffer_load_dword v157, off, s[0:3], 0 offset:708
	buffer_load_dword v156, off, s[0:3], 0 offset:704
	buffer_load_dword v159, off, s[0:3], 0 offset:748
	buffer_load_dword v160, off, s[0:3], 0 offset:760
	buffer_load_dword v162, off, s[0:3], 0 offset:752
	buffer_load_dword v158, off, s[0:3], 0 offset:744
	buffer_load_dword v155, off, s[0:3], 0 offset:724
	buffer_load_dword v161, off, s[0:3], 0 offset:764
	buffer_load_dword v165, off, s[0:3], 0 offset:740
	buffer_load_dword v164, off, s[0:3], 0 offset:736
	buffer_load_dword v167, off, s[0:3], 0 offset:780
	buffer_load_dword v168, off, s[0:3], 0 offset:792
	buffer_load_dword v170, off, s[0:3], 0 offset:784
	buffer_load_dword v166, off, s[0:3], 0 offset:776
	buffer_load_dword v163, off, s[0:3], 0 offset:756
	ds_read_b128 v[2:5], v1 offset:1344
	s_clause 0x2
	buffer_load_dword v169, off, s[0:3], 0 offset:796
	buffer_load_dword v173, off, s[0:3], 0 offset:772
	;; [unrolled: 1-line block ×3, first 2 shown]
	ds_read_b128 v[108:111], v1 offset:1360
	s_clause 0x2
	buffer_load_dword v179, off, s[0:3], 0 offset:812
	buffer_load_dword v178, off, s[0:3], 0 offset:808
	;; [unrolled: 1-line block ×3, first 2 shown]
	s_mov_b32 s4, exec_lo
	s_waitcnt vmcnt(60) lgkmcnt(1)
	v_mul_f64 v[174:175], v[4:5], v[112:113]
	v_mul_f64 v[176:177], v[2:3], v[112:113]
	s_waitcnt vmcnt(58) lgkmcnt(0)
	v_mul_f64 v[180:181], v[110:111], v[116:117]
	ds_read_b128 v[112:115], v1 offset:1376
	v_mul_f64 v[116:117], v[108:109], v[116:117]
	s_waitcnt vmcnt(56)
	v_fma_f64 v[174:175], v[2:3], v[118:119], -v[174:175]
	v_fma_f64 v[118:119], v[4:5], v[118:119], v[176:177]
	s_clause 0x1
	buffer_load_dword v177, off, s[0:3], 0 offset:804
	buffer_load_dword v176, off, s[0:3], 0 offset:800
	s_waitcnt vmcnt(56) lgkmcnt(0)
	v_mul_f64 v[182:183], v[112:113], v[120:121]
	v_mul_f64 v[120:121], v[114:115], v[120:121]
	s_waitcnt vmcnt(54)
	v_fma_f64 v[180:181], v[108:109], v[122:123], -v[180:181]
	ds_read_b128 v[2:5], v1 offset:1392
	v_fma_f64 v[116:117], v[110:111], v[122:123], v[116:117]
	ds_read_b128 v[108:111], v1 offset:1408
	v_add_f64 v[174:175], v[174:175], 0
	v_add_f64 v[118:119], v[118:119], 0
	s_waitcnt vmcnt(50) lgkmcnt(1)
	v_mul_f64 v[122:123], v[2:3], v[124:125]
	v_mul_f64 v[124:125], v[4:5], v[124:125]
	s_waitcnt vmcnt(48)
	v_fma_f64 v[120:121], v[112:113], v[130:131], -v[120:121]
	v_fma_f64 v[130:131], v[114:115], v[130:131], v[182:183]
	s_waitcnt vmcnt(47) lgkmcnt(0)
	v_mul_f64 v[182:183], v[108:109], v[126:127]
	v_mul_f64 v[126:127], v[110:111], v[126:127]
	v_add_f64 v[174:175], v[174:175], v[180:181]
	v_add_f64 v[116:117], v[118:119], v[116:117]
	s_clause 0x3
	buffer_load_dword v118, off, s[0:3], 0 offset:544
	buffer_load_dword v119, off, s[0:3], 0 offset:548
	;; [unrolled: 1-line block ×4, first 2 shown]
	ds_read_b128 v[112:115], v1 offset:1424
	s_waitcnt vmcnt(49)
	v_fma_f64 v[122:123], v[4:5], v[132:133], v[122:123]
	v_fma_f64 v[124:125], v[2:3], v[132:133], -v[124:125]
	ds_read_b128 v[2:5], v1 offset:1440
	s_waitcnt vmcnt(44)
	v_fma_f64 v[126:127], v[108:109], v[128:129], -v[126:127]
	v_add_f64 v[120:121], v[174:175], v[120:121]
	v_add_f64 v[116:117], v[116:117], v[130:131]
	s_waitcnt lgkmcnt(1)
	v_mul_f64 v[132:133], v[114:115], v[134:135]
	v_mul_f64 v[130:131], v[112:113], v[134:135]
	v_add_f64 v[120:121], v[120:121], v[124:125]
	v_fma_f64 v[124:125], v[110:111], v[128:129], v[182:183]
	v_add_f64 v[116:117], v[116:117], v[122:123]
	s_waitcnt vmcnt(43) lgkmcnt(0)
	v_mul_f64 v[128:129], v[4:5], v[136:137]
	s_waitcnt vmcnt(41)
	v_fma_f64 v[132:133], v[112:113], v[140:141], -v[132:133]
	ds_read_b128 v[108:111], v1 offset:1456
	v_mul_f64 v[122:123], v[2:3], v[136:137]
	v_add_f64 v[120:121], v[120:121], v[126:127]
	v_fma_f64 v[126:127], v[114:115], v[140:141], v[130:131]
	v_add_f64 v[116:117], v[116:117], v[124:125]
	ds_read_b128 v[112:115], v1 offset:1472
	s_waitcnt vmcnt(37) lgkmcnt(1)
	v_mul_f64 v[130:131], v[110:111], v[142:143]
	s_waitcnt vmcnt(36)
	v_fma_f64 v[128:129], v[2:3], v[138:139], -v[128:129]
	v_mul_f64 v[124:125], v[108:109], v[142:143]
	v_fma_f64 v[122:123], v[4:5], v[138:139], v[122:123]
	ds_read_b128 v[2:5], v1 offset:1488
	v_add_f64 v[120:121], v[120:121], v[132:133]
	s_waitcnt vmcnt(35) lgkmcnt(1)
	v_mul_f64 v[132:133], v[114:115], v[144:145]
	v_add_f64 v[116:117], v[116:117], v[126:127]
	v_mul_f64 v[126:127], v[112:113], v[144:145]
	s_waitcnt vmcnt(33)
	v_fma_f64 v[130:131], v[108:109], v[148:149], -v[130:131]
	v_fma_f64 v[124:125], v[110:111], v[148:149], v[124:125]
	ds_read_b128 v[108:111], v1 offset:1504
	v_add_f64 v[120:121], v[120:121], v[128:129]
	s_waitcnt vmcnt(29) lgkmcnt(1)
	v_mul_f64 v[128:129], v[4:5], v[150:151]
	v_add_f64 v[116:117], v[116:117], v[122:123]
	s_waitcnt vmcnt(28)
	v_fma_f64 v[132:133], v[112:113], v[146:147], -v[132:133]
	v_mul_f64 v[122:123], v[2:3], v[150:151]
	v_fma_f64 v[126:127], v[114:115], v[146:147], v[126:127]
	ds_read_b128 v[112:115], v1 offset:1520
	v_add_f64 v[120:121], v[120:121], v[130:131]
	s_waitcnt vmcnt(27) lgkmcnt(1)
	v_mul_f64 v[130:131], v[110:111], v[152:153]
	v_add_f64 v[116:117], v[116:117], v[124:125]
	s_waitcnt vmcnt(25)
	v_fma_f64 v[128:129], v[2:3], v[156:157], -v[128:129]
	v_mul_f64 v[124:125], v[108:109], v[152:153]
	;; [unrolled: 9-line block ×5, first 2 shown]
	v_fma_f64 v[5:6], v[4:5], v[162:163], v[122:123]
	ds_read_b128 v[1:4], v1 offset:1584
	s_waitcnt vmcnt(11) lgkmcnt(1)
	v_mul_f64 v[122:123], v[112:113], v[168:169]
	v_add_f64 v[120:121], v[120:121], v[132:133]
	s_waitcnt vmcnt(9)
	v_fma_f64 v[108:109], v[108:109], v[172:173], -v[130:131]
	v_add_f64 v[116:117], v[116:117], v[126:127]
	v_mul_f64 v[126:127], v[114:115], v[168:169]
	v_fma_f64 v[110:111], v[110:111], v[172:173], v[124:125]
	s_waitcnt vmcnt(7) lgkmcnt(0)
	v_mul_f64 v[124:125], v[3:4], v[178:179]
	s_waitcnt vmcnt(6)
	v_fma_f64 v[114:115], v[114:115], v[170:171], v[122:123]
	v_add_f64 v[120:121], v[120:121], v[128:129]
	v_add_f64 v[5:6], v[116:117], v[5:6]
	v_fma_f64 v[112:113], v[112:113], v[170:171], -v[126:127]
	v_mul_f64 v[116:117], v[1:2], v[178:179]
	v_add_f64 v[108:109], v[120:121], v[108:109]
	v_add_f64 v[5:6], v[5:6], v[110:111]
	s_waitcnt vmcnt(4)
	v_fma_f64 v[1:2], v[1:2], v[176:177], -v[124:125]
	v_fma_f64 v[3:4], v[3:4], v[176:177], v[116:117]
	v_add_f64 v[108:109], v[108:109], v[112:113]
	v_add_f64 v[5:6], v[5:6], v[114:115]
	;; [unrolled: 1-line block ×4, first 2 shown]
	s_waitcnt vmcnt(2)
	v_add_f64 v[1:2], v[118:119], -v[1:2]
	s_waitcnt vmcnt(0)
	v_add_f64 v[3:4], v[180:181], -v[3:4]
	buffer_store_dword v2, off, s[0:3], 0 offset:548
	buffer_store_dword v1, off, s[0:3], 0 offset:544
	;; [unrolled: 1-line block ×4, first 2 shown]
	v_cmpx_lt_u32_e32 32, v0
	s_cbranch_execz .LBB113_249
; %bb.248:
	v_mov_b32_e32 v4, s29
	v_mov_b32_e32 v5, 0
	s_clause 0x3
	buffer_load_dword v1, v4, s[0:3], 0 offen
	buffer_load_dword v2, v4, s[0:3], 0 offen offset:4
	buffer_load_dword v3, v4, s[0:3], 0 offen offset:8
	;; [unrolled: 1-line block ×3, first 2 shown]
	buffer_store_dword v5, off, s[0:3], 0 offset:528
	buffer_store_dword v5, off, s[0:3], 0 offset:532
	;; [unrolled: 1-line block ×4, first 2 shown]
	s_waitcnt vmcnt(0)
	ds_write_b128 v7, v[1:4]
.LBB113_249:
	s_or_b32 exec_lo, exec_lo, s4
	s_waitcnt lgkmcnt(0)
	s_waitcnt_vscnt null, 0x0
	s_barrier
	buffer_gl0_inv
	s_clause 0x37
	buffer_load_dword v112, off, s[0:3], 0 offset:552
	buffer_load_dword v113, off, s[0:3], 0 offset:556
	;; [unrolled: 1-line block ×56, first 2 shown]
	v_mov_b32_e32 v1, 0
	s_mov_b32 s4, exec_lo
	ds_read_b128 v[2:5], v1 offset:1328
	s_clause 0x2
	buffer_load_dword v169, off, s[0:3], 0 offset:780
	buffer_load_dword v173, off, s[0:3], 0 offset:756
	;; [unrolled: 1-line block ×3, first 2 shown]
	ds_read_b128 v[108:111], v1 offset:1344
	s_clause 0x4
	buffer_load_dword v179, off, s[0:3], 0 offset:796
	buffer_load_dword v180, off, s[0:3], 0 offset:808
	;; [unrolled: 1-line block ×5, first 2 shown]
	s_waitcnt vmcnt(62) lgkmcnt(1)
	v_mul_f64 v[174:175], v[4:5], v[112:113]
	v_mul_f64 v[176:177], v[2:3], v[112:113]
	s_waitcnt vmcnt(60) lgkmcnt(0)
	v_mul_f64 v[183:184], v[110:111], v[116:117]
	ds_read_b128 v[112:115], v1 offset:1360
	v_mul_f64 v[116:117], v[108:109], v[116:117]
	s_waitcnt vmcnt(58)
	v_fma_f64 v[174:175], v[2:3], v[118:119], -v[174:175]
	v_fma_f64 v[118:119], v[4:5], v[118:119], v[176:177]
	s_clause 0x2
	buffer_load_dword v181, off, s[0:3], 0 offset:812
	buffer_load_dword v177, off, s[0:3], 0 offset:788
	;; [unrolled: 1-line block ×3, first 2 shown]
	s_waitcnt vmcnt(59) lgkmcnt(0)
	v_mul_f64 v[185:186], v[112:113], v[120:121]
	v_mul_f64 v[120:121], v[114:115], v[120:121]
	s_waitcnt vmcnt(57)
	v_fma_f64 v[187:188], v[108:109], v[122:123], -v[183:184]
	ds_read_b128 v[2:5], v1 offset:1376
	v_fma_f64 v[116:117], v[110:111], v[122:123], v[116:117]
	buffer_load_dword v183, off, s[0:3], 0 offset:804
	ds_read_b128 v[108:111], v1 offset:1392
	v_add_f64 v[174:175], v[174:175], 0
	v_add_f64 v[118:119], v[118:119], 0
	s_waitcnt vmcnt(54) lgkmcnt(1)
	v_mul_f64 v[122:123], v[2:3], v[124:125]
	v_mul_f64 v[124:125], v[4:5], v[124:125]
	s_waitcnt vmcnt(52)
	v_fma_f64 v[120:121], v[112:113], v[130:131], -v[120:121]
	v_fma_f64 v[130:131], v[114:115], v[130:131], v[185:186]
	ds_read_b128 v[112:115], v1 offset:1408
	v_add_f64 v[174:175], v[174:175], v[187:188]
	v_add_f64 v[116:117], v[118:119], v[116:117]
	s_waitcnt vmcnt(51) lgkmcnt(1)
	v_mul_f64 v[118:119], v[108:109], v[126:127]
	v_mul_f64 v[126:127], v[110:111], v[126:127]
	s_waitcnt vmcnt(49)
	v_fma_f64 v[122:123], v[4:5], v[132:133], v[122:123]
	v_fma_f64 v[124:125], v[2:3], v[132:133], -v[124:125]
	v_add_f64 v[120:121], v[174:175], v[120:121]
	v_add_f64 v[116:117], v[116:117], v[130:131]
	s_clause 0x3
	buffer_load_dword v130, off, s[0:3], 0 offset:528
	buffer_load_dword v131, off, s[0:3], 0 offset:532
	;; [unrolled: 1-line block ×4, first 2 shown]
	s_waitcnt vmcnt(49) lgkmcnt(0)
	v_mul_f64 v[174:175], v[112:113], v[134:135]
	v_mul_f64 v[134:135], v[114:115], v[134:135]
	s_waitcnt vmcnt(48)
	v_fma_f64 v[126:127], v[108:109], v[128:129], -v[126:127]
	ds_read_b128 v[2:5], v1 offset:1424
	v_fma_f64 v[118:119], v[110:111], v[128:129], v[118:119]
	ds_read_b128 v[108:111], v1 offset:1440
	v_add_f64 v[120:121], v[120:121], v[124:125]
	v_add_f64 v[116:117], v[116:117], v[122:123]
	s_waitcnt vmcnt(47) lgkmcnt(1)
	v_mul_f64 v[124:125], v[4:5], v[136:137]
	s_waitcnt vmcnt(45)
	v_fma_f64 v[128:129], v[112:113], v[140:141], -v[134:135]
	v_mul_f64 v[122:123], v[2:3], v[136:137]
	s_waitcnt vmcnt(41) lgkmcnt(0)
	v_mul_f64 v[134:135], v[110:111], v[142:143]
	v_add_f64 v[120:121], v[120:121], v[126:127]
	v_fma_f64 v[126:127], v[114:115], v[140:141], v[174:175]
	v_add_f64 v[116:117], v[116:117], v[118:119]
	ds_read_b128 v[112:115], v1 offset:1456
	s_waitcnt vmcnt(40)
	v_fma_f64 v[124:125], v[2:3], v[138:139], -v[124:125]
	v_mul_f64 v[118:119], v[108:109], v[142:143]
	v_fma_f64 v[122:123], v[4:5], v[138:139], v[122:123]
	ds_read_b128 v[2:5], v1 offset:1472
	s_waitcnt vmcnt(37)
	v_fma_f64 v[134:135], v[108:109], v[148:149], -v[134:135]
	v_add_f64 v[120:121], v[120:121], v[128:129]
	s_waitcnt lgkmcnt(1)
	v_mul_f64 v[128:129], v[114:115], v[144:145]
	v_add_f64 v[116:117], v[116:117], v[126:127]
	v_mul_f64 v[126:127], v[112:113], v[144:145]
	v_fma_f64 v[118:119], v[110:111], v[148:149], v[118:119]
	ds_read_b128 v[108:111], v1 offset:1488
	v_add_f64 v[120:121], v[120:121], v[124:125]
	s_waitcnt vmcnt(33) lgkmcnt(1)
	v_mul_f64 v[124:125], v[4:5], v[150:151]
	v_add_f64 v[116:117], v[116:117], v[122:123]
	s_waitcnt vmcnt(32)
	v_fma_f64 v[128:129], v[112:113], v[146:147], -v[128:129]
	v_mul_f64 v[122:123], v[2:3], v[150:151]
	v_fma_f64 v[126:127], v[114:115], v[146:147], v[126:127]
	ds_read_b128 v[112:115], v1 offset:1504
	v_add_f64 v[120:121], v[120:121], v[134:135]
	s_waitcnt vmcnt(31) lgkmcnt(1)
	v_mul_f64 v[134:135], v[110:111], v[152:153]
	v_add_f64 v[116:117], v[116:117], v[118:119]
	s_waitcnt vmcnt(29)
	v_fma_f64 v[124:125], v[2:3], v[156:157], -v[124:125]
	;; [unrolled: 9-line block ×7, first 2 shown]
	v_mul_f64 v[122:123], v[2:3], v[178:179]
	v_fma_f64 v[114:115], v[114:115], v[170:171], v[126:127]
	v_add_f64 v[120:121], v[120:121], v[134:135]
	v_add_f64 v[116:117], v[116:117], v[118:119]
	s_waitcnt vmcnt(7) lgkmcnt(0)
	v_mul_f64 v[126:127], v[110:111], v[180:181]
	v_mul_f64 v[118:119], v[108:109], v[180:181]
	s_waitcnt vmcnt(5)
	v_fma_f64 v[2:3], v[2:3], v[176:177], -v[124:125]
	v_fma_f64 v[4:5], v[4:5], v[176:177], v[122:123]
	v_add_f64 v[112:113], v[120:121], v[112:113]
	v_add_f64 v[114:115], v[116:117], v[114:115]
	s_waitcnt vmcnt(4)
	v_fma_f64 v[108:109], v[108:109], v[182:183], -v[126:127]
	v_fma_f64 v[110:111], v[110:111], v[182:183], v[118:119]
	v_add_f64 v[2:3], v[112:113], v[2:3]
	v_add_f64 v[4:5], v[114:115], v[4:5]
	;; [unrolled: 1-line block ×4, first 2 shown]
	s_waitcnt vmcnt(2)
	v_add_f64 v[2:3], v[130:131], -v[2:3]
	s_waitcnt vmcnt(0)
	v_add_f64 v[4:5], v[132:133], -v[4:5]
	buffer_store_dword v3, off, s[0:3], 0 offset:532
	buffer_store_dword v2, off, s[0:3], 0 offset:528
	;; [unrolled: 1-line block ×4, first 2 shown]
	v_cmpx_lt_u32_e32 31, v0
	s_cbranch_execz .LBB113_251
; %bb.250:
	v_mov_b32_e32 v5, s30
	s_clause 0x3
	buffer_load_dword v2, v5, s[0:3], 0 offen
	buffer_load_dword v3, v5, s[0:3], 0 offen offset:4
	buffer_load_dword v4, v5, s[0:3], 0 offen offset:8
	;; [unrolled: 1-line block ×3, first 2 shown]
	buffer_store_dword v1, off, s[0:3], 0 offset:512
	buffer_store_dword v1, off, s[0:3], 0 offset:516
	;; [unrolled: 1-line block ×4, first 2 shown]
	s_waitcnt vmcnt(0)
	ds_write_b128 v7, v[2:5]
.LBB113_251:
	s_or_b32 exec_lo, exec_lo, s4
	s_waitcnt lgkmcnt(0)
	s_waitcnt_vscnt null, 0x0
	s_barrier
	buffer_gl0_inv
	s_clause 0x37
	buffer_load_dword v112, off, s[0:3], 0 offset:536
	buffer_load_dword v113, off, s[0:3], 0 offset:540
	;; [unrolled: 1-line block ×56, first 2 shown]
	ds_read_b128 v[2:5], v1 offset:1312
	s_clause 0x2
	buffer_load_dword v169, off, s[0:3], 0 offset:764
	buffer_load_dword v173, off, s[0:3], 0 offset:740
	;; [unrolled: 1-line block ×3, first 2 shown]
	ds_read_b128 v[108:111], v1 offset:1328
	s_clause 0x4
	buffer_load_dword v179, off, s[0:3], 0 offset:780
	buffer_load_dword v180, off, s[0:3], 0 offset:792
	;; [unrolled: 1-line block ×5, first 2 shown]
	s_mov_b32 s4, exec_lo
	s_waitcnt vmcnt(62) lgkmcnt(1)
	v_mul_f64 v[174:175], v[4:5], v[112:113]
	v_mul_f64 v[176:177], v[2:3], v[112:113]
	s_waitcnt vmcnt(60) lgkmcnt(0)
	v_mul_f64 v[183:184], v[110:111], v[116:117]
	ds_read_b128 v[112:115], v1 offset:1344
	v_mul_f64 v[116:117], v[108:109], v[116:117]
	s_waitcnt vmcnt(58)
	v_fma_f64 v[174:175], v[2:3], v[118:119], -v[174:175]
	v_fma_f64 v[118:119], v[4:5], v[118:119], v[176:177]
	s_clause 0x2
	buffer_load_dword v181, off, s[0:3], 0 offset:796
	buffer_load_dword v177, off, s[0:3], 0 offset:772
	;; [unrolled: 1-line block ×3, first 2 shown]
	s_waitcnt vmcnt(59) lgkmcnt(0)
	v_mul_f64 v[185:186], v[112:113], v[120:121]
	v_mul_f64 v[120:121], v[114:115], v[120:121]
	s_waitcnt vmcnt(57)
	v_fma_f64 v[187:188], v[108:109], v[122:123], -v[183:184]
	ds_read_b128 v[2:5], v1 offset:1360
	v_fma_f64 v[116:117], v[110:111], v[122:123], v[116:117]
	s_clause 0x2
	buffer_load_dword v123, off, s[0:3], 0 offset:812
	buffer_load_dword v122, off, s[0:3], 0 offset:808
	;; [unrolled: 1-line block ×3, first 2 shown]
	ds_read_b128 v[108:111], v1 offset:1376
	v_add_f64 v[174:175], v[174:175], 0
	v_add_f64 v[118:119], v[118:119], 0
	s_waitcnt vmcnt(56) lgkmcnt(1)
	v_mul_f64 v[189:190], v[2:3], v[124:125]
	v_mul_f64 v[124:125], v[4:5], v[124:125]
	s_waitcnt vmcnt(54)
	v_fma_f64 v[120:121], v[112:113], v[130:131], -v[120:121]
	v_fma_f64 v[130:131], v[114:115], v[130:131], v[185:186]
	s_waitcnt vmcnt(53) lgkmcnt(0)
	v_mul_f64 v[184:185], v[108:109], v[126:127]
	v_mul_f64 v[126:127], v[110:111], v[126:127]
	v_add_f64 v[174:175], v[174:175], v[187:188]
	v_add_f64 v[116:117], v[118:119], v[116:117]
	s_clause 0x1
	buffer_load_dword v119, off, s[0:3], 0 offset:804
	buffer_load_dword v118, off, s[0:3], 0 offset:800
	ds_read_b128 v[112:115], v1 offset:1392
	s_waitcnt vmcnt(53)
	v_fma_f64 v[124:125], v[2:3], v[132:133], -v[124:125]
	v_fma_f64 v[132:133], v[4:5], v[132:133], v[189:190]
	ds_read_b128 v[2:5], v1 offset:1408
	s_waitcnt vmcnt(48)
	v_fma_f64 v[126:127], v[108:109], v[128:129], -v[126:127]
	v_add_f64 v[120:121], v[174:175], v[120:121]
	v_add_f64 v[116:117], v[116:117], v[130:131]
	s_waitcnt lgkmcnt(1)
	v_mul_f64 v[130:131], v[112:113], v[134:135]
	v_mul_f64 v[134:135], v[114:115], v[134:135]
	s_waitcnt vmcnt(47) lgkmcnt(0)
	v_mul_f64 v[174:175], v[2:3], v[136:137]
	v_mul_f64 v[136:137], v[4:5], v[136:137]
	v_add_f64 v[120:121], v[120:121], v[124:125]
	v_fma_f64 v[124:125], v[110:111], v[128:129], v[184:185]
	v_add_f64 v[116:117], v[116:117], v[132:133]
	s_clause 0x3
	buffer_load_dword v128, off, s[0:3], 0 offset:512
	buffer_load_dword v129, off, s[0:3], 0 offset:516
	;; [unrolled: 1-line block ×4, first 2 shown]
	s_waitcnt vmcnt(49)
	v_fma_f64 v[134:135], v[112:113], v[140:141], -v[134:135]
	ds_read_b128 v[108:111], v1 offset:1424
	s_waitcnt vmcnt(44)
	v_fma_f64 v[136:137], v[2:3], v[138:139], -v[136:137]
	v_add_f64 v[120:121], v[120:121], v[126:127]
	v_fma_f64 v[126:127], v[114:115], v[140:141], v[130:131]
	v_add_f64 v[116:117], v[116:117], v[124:125]
	ds_read_b128 v[112:115], v1 offset:1440
	s_waitcnt lgkmcnt(1)
	v_mul_f64 v[130:131], v[110:111], v[142:143]
	v_mul_f64 v[124:125], v[108:109], v[142:143]
	v_add_f64 v[120:121], v[120:121], v[134:135]
	v_fma_f64 v[134:135], v[4:5], v[138:139], v[174:175]
	v_add_f64 v[116:117], v[116:117], v[126:127]
	s_waitcnt vmcnt(43) lgkmcnt(0)
	v_mul_f64 v[138:139], v[114:115], v[144:145]
	s_waitcnt vmcnt(41)
	v_fma_f64 v[130:131], v[108:109], v[148:149], -v[130:131]
	ds_read_b128 v[2:5], v1 offset:1456
	v_mul_f64 v[126:127], v[112:113], v[144:145]
	v_fma_f64 v[124:125], v[110:111], v[148:149], v[124:125]
	ds_read_b128 v[108:111], v1 offset:1472
	v_add_f64 v[120:121], v[120:121], v[136:137]
	v_add_f64 v[116:117], v[116:117], v[134:135]
	s_waitcnt vmcnt(37) lgkmcnt(1)
	v_mul_f64 v[136:137], v[4:5], v[150:151]
	s_waitcnt vmcnt(36)
	v_fma_f64 v[138:139], v[112:113], v[146:147], -v[138:139]
	v_mul_f64 v[134:135], v[2:3], v[150:151]
	v_fma_f64 v[126:127], v[114:115], v[146:147], v[126:127]
	ds_read_b128 v[112:115], v1 offset:1488
	v_add_f64 v[120:121], v[120:121], v[130:131]
	s_waitcnt vmcnt(35) lgkmcnt(1)
	v_mul_f64 v[130:131], v[110:111], v[152:153]
	v_add_f64 v[116:117], v[116:117], v[124:125]
	s_waitcnt vmcnt(33)
	v_fma_f64 v[136:137], v[2:3], v[156:157], -v[136:137]
	v_mul_f64 v[124:125], v[108:109], v[152:153]
	v_fma_f64 v[134:135], v[4:5], v[156:157], v[134:135]
	ds_read_b128 v[2:5], v1 offset:1504
	v_add_f64 v[120:121], v[120:121], v[138:139]
	s_waitcnt vmcnt(29) lgkmcnt(1)
	v_mul_f64 v[138:139], v[114:115], v[158:159]
	v_add_f64 v[116:117], v[116:117], v[126:127]
	s_waitcnt vmcnt(28)
	v_fma_f64 v[130:131], v[108:109], v[154:155], -v[130:131]
	v_mul_f64 v[126:127], v[112:113], v[158:159]
	v_fma_f64 v[124:125], v[110:111], v[154:155], v[124:125]
	ds_read_b128 v[108:111], v1 offset:1520
	v_add_f64 v[120:121], v[120:121], v[136:137]
	s_waitcnt vmcnt(27) lgkmcnt(1)
	v_mul_f64 v[136:137], v[4:5], v[160:161]
	v_add_f64 v[116:117], v[116:117], v[134:135]
	s_waitcnt vmcnt(25)
	v_fma_f64 v[138:139], v[112:113], v[164:165], -v[138:139]
	v_mul_f64 v[134:135], v[2:3], v[160:161]
	v_fma_f64 v[126:127], v[114:115], v[164:165], v[126:127]
	ds_read_b128 v[112:115], v1 offset:1536
	v_add_f64 v[120:121], v[120:121], v[130:131]
	s_waitcnt vmcnt(21) lgkmcnt(1)
	v_mul_f64 v[130:131], v[110:111], v[166:167]
	v_add_f64 v[116:117], v[116:117], v[124:125]
	s_waitcnt vmcnt(20)
	v_fma_f64 v[136:137], v[2:3], v[162:163], -v[136:137]
	v_mul_f64 v[124:125], v[108:109], v[166:167]
	v_fma_f64 v[134:135], v[4:5], v[162:163], v[134:135]
	ds_read_b128 v[2:5], v1 offset:1552
	v_add_f64 v[120:121], v[120:121], v[138:139]
	s_waitcnt vmcnt(19) lgkmcnt(1)
	v_mul_f64 v[138:139], v[114:115], v[168:169]
	v_add_f64 v[116:117], v[116:117], v[126:127]
	s_waitcnt vmcnt(17)
	v_fma_f64 v[130:131], v[108:109], v[172:173], -v[130:131]
	v_mul_f64 v[126:127], v[112:113], v[168:169]
	v_fma_f64 v[124:125], v[110:111], v[172:173], v[124:125]
	ds_read_b128 v[108:111], v1 offset:1568
	v_add_f64 v[120:121], v[120:121], v[136:137]
	s_waitcnt vmcnt(13) lgkmcnt(1)
	v_mul_f64 v[136:137], v[4:5], v[178:179]
	v_add_f64 v[116:117], v[116:117], v[134:135]
	s_waitcnt vmcnt(12)
	v_fma_f64 v[138:139], v[112:113], v[170:171], -v[138:139]
	v_mul_f64 v[134:135], v[2:3], v[178:179]
	v_fma_f64 v[126:127], v[114:115], v[170:171], v[126:127]
	ds_read_b128 v[112:115], v1 offset:1584
	v_add_f64 v[120:121], v[120:121], v[130:131]
	v_add_f64 v[116:117], v[116:117], v[124:125]
	s_waitcnt vmcnt(11) lgkmcnt(1)
	v_mul_f64 v[130:131], v[110:111], v[180:181]
	v_mul_f64 v[124:125], v[108:109], v[180:181]
	s_waitcnt vmcnt(9)
	v_fma_f64 v[1:2], v[2:3], v[176:177], -v[136:137]
	v_fma_f64 v[3:4], v[4:5], v[176:177], v[134:135]
	v_add_f64 v[120:121], v[120:121], v[138:139]
	v_add_f64 v[5:6], v[116:117], v[126:127]
	s_waitcnt vmcnt(7) lgkmcnt(0)
	v_mul_f64 v[116:117], v[112:113], v[122:123]
	v_mul_f64 v[122:123], v[114:115], v[122:123]
	s_waitcnt vmcnt(6)
	v_fma_f64 v[108:109], v[108:109], v[182:183], -v[130:131]
	v_fma_f64 v[110:111], v[110:111], v[182:183], v[124:125]
	v_add_f64 v[1:2], v[120:121], v[1:2]
	v_add_f64 v[3:4], v[5:6], v[3:4]
	s_waitcnt vmcnt(4)
	v_fma_f64 v[5:6], v[112:113], v[118:119], -v[122:123]
	v_add_f64 v[1:2], v[1:2], v[108:109]
	v_fma_f64 v[108:109], v[114:115], v[118:119], v[116:117]
	v_add_f64 v[3:4], v[3:4], v[110:111]
	v_add_f64 v[1:2], v[1:2], v[5:6]
	;; [unrolled: 1-line block ×3, first 2 shown]
	s_waitcnt vmcnt(2)
	v_add_f64 v[1:2], v[128:129], -v[1:2]
	s_waitcnt vmcnt(0)
	v_add_f64 v[3:4], v[132:133], -v[3:4]
	buffer_store_dword v2, off, s[0:3], 0 offset:516
	buffer_store_dword v1, off, s[0:3], 0 offset:512
	buffer_store_dword v4, off, s[0:3], 0 offset:524
	buffer_store_dword v3, off, s[0:3], 0 offset:520
	v_cmpx_lt_u32_e32 30, v0
	s_cbranch_execz .LBB113_253
; %bb.252:
	v_mov_b32_e32 v4, s31
	v_mov_b32_e32 v5, 0
	s_clause 0x3
	buffer_load_dword v1, v4, s[0:3], 0 offen
	buffer_load_dword v2, v4, s[0:3], 0 offen offset:4
	buffer_load_dword v3, v4, s[0:3], 0 offen offset:8
	;; [unrolled: 1-line block ×3, first 2 shown]
	buffer_store_dword v5, off, s[0:3], 0 offset:496
	buffer_store_dword v5, off, s[0:3], 0 offset:500
	;; [unrolled: 1-line block ×4, first 2 shown]
	s_waitcnt vmcnt(0)
	ds_write_b128 v7, v[1:4]
.LBB113_253:
	s_or_b32 exec_lo, exec_lo, s4
	s_waitcnt lgkmcnt(0)
	s_waitcnt_vscnt null, 0x0
	s_barrier
	buffer_gl0_inv
	s_clause 0x35
	buffer_load_dword v112, off, s[0:3], 0 offset:520
	buffer_load_dword v113, off, s[0:3], 0 offset:524
	;; [unrolled: 1-line block ×54, first 2 shown]
	v_mov_b32_e32 v1, 0
	s_mov_b32 s4, exec_lo
	ds_read_b128 v[2:5], v1 offset:1296
	s_clause 0x3
	buffer_load_dword v168, off, s[0:3], 0 offset:744
	buffer_load_dword v169, off, s[0:3], 0 offset:748
	;; [unrolled: 1-line block ×4, first 2 shown]
	ds_read_b128 v[108:111], v1 offset:1312
	s_clause 0x3
	buffer_load_dword v177, off, s[0:3], 0 offset:764
	buffer_load_dword v176, off, s[0:3], 0 offset:760
	;; [unrolled: 1-line block ×4, first 2 shown]
	s_waitcnt vmcnt(60) lgkmcnt(1)
	v_mul_f64 v[172:173], v[4:5], v[112:113]
	v_mul_f64 v[174:175], v[2:3], v[112:113]
	s_waitcnt vmcnt(58) lgkmcnt(0)
	v_mul_f64 v[180:181], v[110:111], v[116:117]
	ds_read_b128 v[112:115], v1 offset:1328
	v_mul_f64 v[116:117], v[108:109], v[116:117]
	s_waitcnt vmcnt(56)
	v_fma_f64 v[172:173], v[2:3], v[118:119], -v[172:173]
	v_fma_f64 v[118:119], v[4:5], v[118:119], v[174:175]
	s_clause 0x3
	buffer_load_dword v174, off, s[0:3], 0 offset:776
	buffer_load_dword v175, off, s[0:3], 0 offset:780
	;; [unrolled: 1-line block ×4, first 2 shown]
	s_waitcnt vmcnt(58) lgkmcnt(0)
	v_mul_f64 v[184:185], v[112:113], v[120:121]
	v_mul_f64 v[120:121], v[114:115], v[120:121]
	s_waitcnt vmcnt(56)
	v_fma_f64 v[180:181], v[108:109], v[122:123], -v[180:181]
	ds_read_b128 v[2:5], v1 offset:1344
	v_fma_f64 v[116:117], v[110:111], v[122:123], v[116:117]
	s_clause 0x3
	buffer_load_dword v123, off, s[0:3], 0 offset:796
	buffer_load_dword v122, off, s[0:3], 0 offset:792
	;; [unrolled: 1-line block ×4, first 2 shown]
	ds_read_b128 v[108:111], v1 offset:1360
	v_add_f64 v[172:173], v[172:173], 0
	v_add_f64 v[118:119], v[118:119], 0
	s_waitcnt vmcnt(58) lgkmcnt(1)
	v_mul_f64 v[188:189], v[2:3], v[124:125]
	v_mul_f64 v[124:125], v[4:5], v[124:125]
	s_waitcnt vmcnt(56)
	v_fma_f64 v[120:121], v[112:113], v[126:127], -v[120:121]
	v_fma_f64 v[126:127], v[114:115], v[126:127], v[184:185]
	s_waitcnt vmcnt(54) lgkmcnt(0)
	v_mul_f64 v[184:185], v[108:109], v[128:129]
	v_mul_f64 v[128:129], v[110:111], v[128:129]
	v_add_f64 v[172:173], v[172:173], v[180:181]
	v_add_f64 v[116:117], v[118:119], v[116:117]
	s_clause 0x3
	buffer_load_dword v118, off, s[0:3], 0 offset:808
	buffer_load_dword v119, off, s[0:3], 0 offset:812
	;; [unrolled: 1-line block ×4, first 2 shown]
	ds_read_b128 v[112:115], v1 offset:1376
	s_waitcnt vmcnt(56)
	v_fma_f64 v[124:125], v[2:3], v[130:131], -v[124:125]
	v_fma_f64 v[130:131], v[4:5], v[130:131], v[188:189]
	s_waitcnt vmcnt(52)
	v_fma_f64 v[128:129], v[108:109], v[134:135], -v[128:129]
	v_add_f64 v[120:121], v[172:173], v[120:121]
	v_add_f64 v[116:117], v[116:117], v[126:127]
	s_clause 0x1
	buffer_load_dword v126, off, s[0:3], 0 offset:800
	buffer_load_dword v127, off, s[0:3], 0 offset:804
	s_waitcnt lgkmcnt(0)
	v_mul_f64 v[172:173], v[112:113], v[132:133]
	v_mul_f64 v[132:133], v[114:115], v[132:133]
	ds_read_b128 v[2:5], v1 offset:1392
	v_add_f64 v[120:121], v[120:121], v[124:125]
	v_fma_f64 v[124:125], v[110:111], v[134:135], v[184:185]
	v_add_f64 v[116:117], v[116:117], v[130:131]
	ds_read_b128 v[108:111], v1 offset:1408
	s_waitcnt vmcnt(52) lgkmcnt(1)
	v_mul_f64 v[134:135], v[4:5], v[136:137]
	s_waitcnt vmcnt(50)
	v_fma_f64 v[132:133], v[112:113], v[138:139], -v[132:133]
	v_mul_f64 v[130:131], v[2:3], v[136:137]
	v_add_f64 v[120:121], v[120:121], v[128:129]
	v_fma_f64 v[128:129], v[114:115], v[138:139], v[172:173]
	v_add_f64 v[116:117], v[116:117], v[124:125]
	s_clause 0x3
	buffer_load_dword v124, off, s[0:3], 0 offset:496
	buffer_load_dword v125, off, s[0:3], 0 offset:500
	;; [unrolled: 1-line block ×4, first 2 shown]
	s_waitcnt vmcnt(52) lgkmcnt(0)
	v_mul_f64 v[138:139], v[108:109], v[140:141]
	v_mul_f64 v[140:141], v[110:111], v[140:141]
	s_waitcnt vmcnt(50)
	v_fma_f64 v[134:135], v[2:3], v[142:143], -v[134:135]
	ds_read_b128 v[112:115], v1 offset:1424
	v_fma_f64 v[130:131], v[4:5], v[142:143], v[130:131]
	ds_read_b128 v[2:5], v1 offset:1440
	v_add_f64 v[120:121], v[120:121], v[132:133]
	v_add_f64 v[116:117], v[116:117], v[128:129]
	s_waitcnt vmcnt(48) lgkmcnt(1)
	v_mul_f64 v[132:133], v[114:115], v[144:145]
	s_waitcnt vmcnt(46)
	v_fma_f64 v[140:141], v[108:109], v[146:147], -v[140:141]
	v_mul_f64 v[128:129], v[112:113], v[144:145]
	v_add_f64 v[120:121], v[120:121], v[134:135]
	v_fma_f64 v[134:135], v[110:111], v[146:147], v[138:139]
	v_add_f64 v[116:117], v[116:117], v[130:131]
	s_waitcnt vmcnt(44) lgkmcnt(0)
	v_mul_f64 v[138:139], v[4:5], v[148:149]
	ds_read_b128 v[108:111], v1 offset:1456
	s_waitcnt vmcnt(42)
	v_fma_f64 v[132:133], v[112:113], v[150:151], -v[132:133]
	v_mul_f64 v[130:131], v[2:3], v[148:149]
	v_fma_f64 v[128:129], v[114:115], v[150:151], v[128:129]
	ds_read_b128 v[112:115], v1 offset:1472
	v_add_f64 v[120:121], v[120:121], v[140:141]
	v_add_f64 v[116:117], v[116:117], v[134:135]
	s_waitcnt vmcnt(40) lgkmcnt(1)
	v_mul_f64 v[140:141], v[110:111], v[152:153]
	s_waitcnt vmcnt(38)
	v_fma_f64 v[138:139], v[2:3], v[154:155], -v[138:139]
	v_mul_f64 v[134:135], v[108:109], v[152:153]
	v_fma_f64 v[130:131], v[4:5], v[154:155], v[130:131]
	ds_read_b128 v[2:5], v1 offset:1488
	v_add_f64 v[120:121], v[120:121], v[132:133]
	s_waitcnt vmcnt(36) lgkmcnt(1)
	v_mul_f64 v[132:133], v[114:115], v[156:157]
	v_add_f64 v[116:117], v[116:117], v[128:129]
	s_waitcnt vmcnt(34)
	v_fma_f64 v[140:141], v[108:109], v[158:159], -v[140:141]
	v_mul_f64 v[128:129], v[112:113], v[156:157]
	v_fma_f64 v[134:135], v[110:111], v[158:159], v[134:135]
	ds_read_b128 v[108:111], v1 offset:1504
	v_add_f64 v[120:121], v[120:121], v[138:139]
	s_waitcnt vmcnt(32) lgkmcnt(1)
	v_mul_f64 v[138:139], v[4:5], v[160:161]
	v_add_f64 v[116:117], v[116:117], v[130:131]
	;; [unrolled: 9-line block ×5, first 2 shown]
	s_waitcnt vmcnt(18)
	v_fma_f64 v[132:133], v[112:113], v[178:179], -v[132:133]
	v_mul_f64 v[130:131], v[2:3], v[176:177]
	v_fma_f64 v[128:129], v[114:115], v[178:179], v[128:129]
	ds_read_b128 v[112:115], v1 offset:1568
	v_add_f64 v[120:121], v[120:121], v[140:141]
	v_add_f64 v[116:117], v[116:117], v[134:135]
	s_waitcnt vmcnt(16) lgkmcnt(1)
	v_mul_f64 v[140:141], v[110:111], v[174:175]
	v_mul_f64 v[134:135], v[108:109], v[174:175]
	s_waitcnt vmcnt(14)
	v_fma_f64 v[138:139], v[2:3], v[182:183], -v[138:139]
	v_fma_f64 v[130:131], v[4:5], v[182:183], v[130:131]
	ds_read_b128 v[2:5], v1 offset:1584
	v_add_f64 v[120:121], v[120:121], v[132:133]
	v_add_f64 v[116:117], v[116:117], v[128:129]
	s_waitcnt vmcnt(12) lgkmcnt(1)
	v_mul_f64 v[128:129], v[112:113], v[122:123]
	v_mul_f64 v[122:123], v[114:115], v[122:123]
	s_waitcnt vmcnt(10)
	v_fma_f64 v[108:109], v[108:109], v[186:187], -v[140:141]
	v_fma_f64 v[110:111], v[110:111], v[186:187], v[134:135]
	v_add_f64 v[120:121], v[120:121], v[138:139]
	v_add_f64 v[116:117], v[116:117], v[130:131]
	s_waitcnt vmcnt(8) lgkmcnt(0)
	v_mul_f64 v[130:131], v[2:3], v[118:119]
	v_mul_f64 v[118:119], v[4:5], v[118:119]
	s_waitcnt vmcnt(6)
	v_fma_f64 v[112:113], v[112:113], v[180:181], -v[122:123]
	v_fma_f64 v[114:115], v[114:115], v[180:181], v[128:129]
	v_add_f64 v[108:109], v[120:121], v[108:109]
	v_add_f64 v[110:111], v[116:117], v[110:111]
	s_waitcnt vmcnt(4)
	v_fma_f64 v[2:3], v[2:3], v[126:127], -v[118:119]
	v_fma_f64 v[4:5], v[4:5], v[126:127], v[130:131]
	v_add_f64 v[108:109], v[108:109], v[112:113]
	v_add_f64 v[110:111], v[110:111], v[114:115]
	;; [unrolled: 1-line block ×4, first 2 shown]
	s_waitcnt vmcnt(2)
	v_add_f64 v[2:3], v[124:125], -v[2:3]
	s_waitcnt vmcnt(0)
	v_add_f64 v[4:5], v[136:137], -v[4:5]
	buffer_store_dword v3, off, s[0:3], 0 offset:500
	buffer_store_dword v2, off, s[0:3], 0 offset:496
	;; [unrolled: 1-line block ×4, first 2 shown]
	v_cmpx_lt_u32_e32 29, v0
	s_cbranch_execz .LBB113_255
; %bb.254:
	v_mov_b32_e32 v5, s33
	s_clause 0x3
	buffer_load_dword v2, v5, s[0:3], 0 offen
	buffer_load_dword v3, v5, s[0:3], 0 offen offset:4
	buffer_load_dword v4, v5, s[0:3], 0 offen offset:8
	;; [unrolled: 1-line block ×3, first 2 shown]
	buffer_store_dword v1, off, s[0:3], 0 offset:480
	buffer_store_dword v1, off, s[0:3], 0 offset:484
	;; [unrolled: 1-line block ×4, first 2 shown]
	s_waitcnt vmcnt(0)
	ds_write_b128 v7, v[2:5]
.LBB113_255:
	s_or_b32 exec_lo, exec_lo, s4
	s_waitcnt lgkmcnt(0)
	s_waitcnt_vscnt null, 0x0
	s_barrier
	buffer_gl0_inv
	s_clause 0x35
	buffer_load_dword v112, off, s[0:3], 0 offset:504
	buffer_load_dword v113, off, s[0:3], 0 offset:508
	;; [unrolled: 1-line block ×54, first 2 shown]
	ds_read_b128 v[2:5], v1 offset:1280
	s_clause 0x3
	buffer_load_dword v168, off, s[0:3], 0 offset:728
	buffer_load_dword v169, off, s[0:3], 0 offset:732
	;; [unrolled: 1-line block ×4, first 2 shown]
	ds_read_b128 v[108:111], v1 offset:1296
	s_clause 0x3
	buffer_load_dword v177, off, s[0:3], 0 offset:748
	buffer_load_dword v176, off, s[0:3], 0 offset:744
	;; [unrolled: 1-line block ×4, first 2 shown]
	s_mov_b32 s4, exec_lo
	s_waitcnt vmcnt(60) lgkmcnt(1)
	v_mul_f64 v[172:173], v[4:5], v[112:113]
	v_mul_f64 v[174:175], v[2:3], v[112:113]
	s_waitcnt vmcnt(58) lgkmcnt(0)
	v_mul_f64 v[180:181], v[110:111], v[116:117]
	ds_read_b128 v[112:115], v1 offset:1312
	v_mul_f64 v[116:117], v[108:109], v[116:117]
	s_waitcnt vmcnt(56)
	v_fma_f64 v[172:173], v[2:3], v[118:119], -v[172:173]
	v_fma_f64 v[118:119], v[4:5], v[118:119], v[174:175]
	s_clause 0x3
	buffer_load_dword v174, off, s[0:3], 0 offset:760
	buffer_load_dword v175, off, s[0:3], 0 offset:764
	;; [unrolled: 1-line block ×4, first 2 shown]
	s_waitcnt vmcnt(58) lgkmcnt(0)
	v_mul_f64 v[184:185], v[112:113], v[120:121]
	v_mul_f64 v[120:121], v[114:115], v[120:121]
	s_waitcnt vmcnt(56)
	v_fma_f64 v[180:181], v[108:109], v[122:123], -v[180:181]
	ds_read_b128 v[2:5], v1 offset:1328
	v_fma_f64 v[116:117], v[110:111], v[122:123], v[116:117]
	s_clause 0x3
	buffer_load_dword v123, off, s[0:3], 0 offset:780
	buffer_load_dword v122, off, s[0:3], 0 offset:776
	;; [unrolled: 1-line block ×4, first 2 shown]
	ds_read_b128 v[108:111], v1 offset:1344
	v_add_f64 v[172:173], v[172:173], 0
	v_add_f64 v[118:119], v[118:119], 0
	s_waitcnt vmcnt(58) lgkmcnt(1)
	v_mul_f64 v[188:189], v[2:3], v[124:125]
	v_mul_f64 v[124:125], v[4:5], v[124:125]
	s_waitcnt vmcnt(56)
	v_fma_f64 v[120:121], v[112:113], v[126:127], -v[120:121]
	v_fma_f64 v[126:127], v[114:115], v[126:127], v[184:185]
	s_waitcnt vmcnt(54) lgkmcnt(0)
	v_mul_f64 v[184:185], v[108:109], v[128:129]
	v_mul_f64 v[128:129], v[110:111], v[128:129]
	v_add_f64 v[172:173], v[172:173], v[180:181]
	v_add_f64 v[116:117], v[118:119], v[116:117]
	s_clause 0x3
	buffer_load_dword v118, off, s[0:3], 0 offset:792
	buffer_load_dword v119, off, s[0:3], 0 offset:796
	;; [unrolled: 1-line block ×4, first 2 shown]
	ds_read_b128 v[112:115], v1 offset:1360
	s_waitcnt vmcnt(56)
	v_fma_f64 v[124:125], v[2:3], v[130:131], -v[124:125]
	v_fma_f64 v[130:131], v[4:5], v[130:131], v[188:189]
	s_waitcnt vmcnt(52)
	v_fma_f64 v[128:129], v[108:109], v[134:135], -v[128:129]
	v_add_f64 v[120:121], v[172:173], v[120:121]
	v_add_f64 v[116:117], v[116:117], v[126:127]
	s_clause 0x3
	buffer_load_dword v127, off, s[0:3], 0 offset:812
	buffer_load_dword v126, off, s[0:3], 0 offset:808
	;; [unrolled: 1-line block ×4, first 2 shown]
	s_waitcnt lgkmcnt(0)
	v_mul_f64 v[188:189], v[112:113], v[132:133]
	v_mul_f64 v[132:133], v[114:115], v[132:133]
	ds_read_b128 v[2:5], v1 offset:1376
	v_add_f64 v[120:121], v[120:121], v[124:125]
	v_fma_f64 v[124:125], v[110:111], v[134:135], v[184:185]
	v_add_f64 v[116:117], v[116:117], v[130:131]
	s_clause 0x1
	buffer_load_dword v131, off, s[0:3], 0 offset:804
	buffer_load_dword v130, off, s[0:3], 0 offset:800
	s_waitcnt vmcnt(56) lgkmcnt(0)
	v_mul_f64 v[134:135], v[2:3], v[136:137]
	v_mul_f64 v[136:137], v[4:5], v[136:137]
	s_waitcnt vmcnt(54)
	v_fma_f64 v[132:133], v[112:113], v[138:139], -v[132:133]
	ds_read_b128 v[108:111], v1 offset:1392
	v_add_f64 v[120:121], v[120:121], v[128:129]
	v_fma_f64 v[128:129], v[114:115], v[138:139], v[188:189]
	v_add_f64 v[116:117], v[116:117], v[124:125]
	ds_read_b128 v[112:115], v1 offset:1408
	s_waitcnt vmcnt(52) lgkmcnt(1)
	v_mul_f64 v[138:139], v[110:111], v[140:141]
	s_waitcnt vmcnt(50)
	v_fma_f64 v[136:137], v[2:3], v[142:143], -v[136:137]
	v_mul_f64 v[124:125], v[108:109], v[140:141]
	v_add_f64 v[120:121], v[120:121], v[132:133]
	v_fma_f64 v[132:133], v[4:5], v[142:143], v[134:135]
	v_add_f64 v[116:117], v[116:117], v[128:129]
	s_clause 0x3
	buffer_load_dword v128, off, s[0:3], 0 offset:480
	buffer_load_dword v129, off, s[0:3], 0 offset:484
	;; [unrolled: 1-line block ×4, first 2 shown]
	s_waitcnt vmcnt(52) lgkmcnt(0)
	v_mul_f64 v[142:143], v[114:115], v[144:145]
	s_waitcnt vmcnt(50)
	v_fma_f64 v[138:139], v[108:109], v[146:147], -v[138:139]
	ds_read_b128 v[2:5], v1 offset:1424
	v_mul_f64 v[140:141], v[112:113], v[144:145]
	v_fma_f64 v[124:125], v[110:111], v[146:147], v[124:125]
	ds_read_b128 v[108:111], v1 offset:1440
	v_add_f64 v[120:121], v[120:121], v[136:137]
	v_add_f64 v[116:117], v[116:117], v[132:133]
	s_waitcnt vmcnt(48) lgkmcnt(1)
	v_mul_f64 v[136:137], v[4:5], v[148:149]
	s_waitcnt vmcnt(46)
	v_fma_f64 v[142:143], v[112:113], v[150:151], -v[142:143]
	v_mul_f64 v[132:133], v[2:3], v[148:149]
	v_add_f64 v[120:121], v[120:121], v[138:139]
	v_fma_f64 v[138:139], v[114:115], v[150:151], v[140:141]
	v_add_f64 v[116:117], v[116:117], v[124:125]
	s_waitcnt vmcnt(44) lgkmcnt(0)
	v_mul_f64 v[140:141], v[110:111], v[152:153]
	s_waitcnt vmcnt(42)
	v_fma_f64 v[136:137], v[2:3], v[154:155], -v[136:137]
	ds_read_b128 v[112:115], v1 offset:1456
	v_mul_f64 v[124:125], v[108:109], v[152:153]
	v_fma_f64 v[132:133], v[4:5], v[154:155], v[132:133]
	ds_read_b128 v[2:5], v1 offset:1472
	v_add_f64 v[120:121], v[120:121], v[142:143]
	v_add_f64 v[116:117], v[116:117], v[138:139]
	s_waitcnt vmcnt(40) lgkmcnt(1)
	v_mul_f64 v[142:143], v[114:115], v[156:157]
	s_waitcnt vmcnt(38)
	v_fma_f64 v[140:141], v[108:109], v[158:159], -v[140:141]
	v_mul_f64 v[138:139], v[112:113], v[156:157]
	v_fma_f64 v[124:125], v[110:111], v[158:159], v[124:125]
	ds_read_b128 v[108:111], v1 offset:1488
	v_add_f64 v[120:121], v[120:121], v[136:137]
	s_waitcnt vmcnt(36) lgkmcnt(1)
	v_mul_f64 v[136:137], v[4:5], v[160:161]
	v_add_f64 v[116:117], v[116:117], v[132:133]
	s_waitcnt vmcnt(34)
	v_fma_f64 v[142:143], v[112:113], v[162:163], -v[142:143]
	v_mul_f64 v[132:133], v[2:3], v[160:161]
	v_fma_f64 v[138:139], v[114:115], v[162:163], v[138:139]
	ds_read_b128 v[112:115], v1 offset:1504
	v_add_f64 v[120:121], v[120:121], v[140:141]
	s_waitcnt vmcnt(32) lgkmcnt(1)
	v_mul_f64 v[140:141], v[110:111], v[164:165]
	v_add_f64 v[116:117], v[116:117], v[124:125]
	;; [unrolled: 9-line block ×4, first 2 shown]
	s_waitcnt vmcnt(22)
	v_fma_f64 v[142:143], v[112:113], v[178:179], -v[142:143]
	v_mul_f64 v[132:133], v[2:3], v[176:177]
	v_fma_f64 v[138:139], v[114:115], v[178:179], v[138:139]
	ds_read_b128 v[112:115], v1 offset:1552
	v_add_f64 v[120:121], v[120:121], v[140:141]
	v_add_f64 v[116:117], v[116:117], v[124:125]
	s_waitcnt vmcnt(20) lgkmcnt(1)
	v_mul_f64 v[140:141], v[110:111], v[174:175]
	v_mul_f64 v[124:125], v[108:109], v[174:175]
	s_waitcnt vmcnt(18)
	v_fma_f64 v[136:137], v[2:3], v[182:183], -v[136:137]
	v_fma_f64 v[132:133], v[4:5], v[182:183], v[132:133]
	ds_read_b128 v[2:5], v1 offset:1568
	v_add_f64 v[120:121], v[120:121], v[142:143]
	v_add_f64 v[116:117], v[116:117], v[138:139]
	s_waitcnt vmcnt(16) lgkmcnt(1)
	v_mul_f64 v[138:139], v[112:113], v[122:123]
	v_mul_f64 v[122:123], v[114:115], v[122:123]
	s_waitcnt vmcnt(14)
	v_fma_f64 v[140:141], v[108:109], v[186:187], -v[140:141]
	;; [unrolled: 9-line block ×3, first 2 shown]
	v_fma_f64 v[114:115], v[114:115], v[180:181], v[138:139]
	v_add_f64 v[120:121], v[120:121], v[140:141]
	v_add_f64 v[116:117], v[116:117], v[124:125]
	s_waitcnt vmcnt(8) lgkmcnt(0)
	v_mul_f64 v[124:125], v[110:111], v[126:127]
	v_mul_f64 v[122:123], v[108:109], v[126:127]
	s_waitcnt vmcnt(6)
	v_fma_f64 v[1:2], v[2:3], v[172:173], -v[118:119]
	v_fma_f64 v[3:4], v[4:5], v[172:173], v[132:133]
	v_add_f64 v[112:113], v[120:121], v[112:113]
	v_add_f64 v[5:6], v[116:117], v[114:115]
	s_waitcnt vmcnt(4)
	v_fma_f64 v[108:109], v[108:109], v[130:131], -v[124:125]
	v_fma_f64 v[110:111], v[110:111], v[130:131], v[122:123]
	v_add_f64 v[1:2], v[112:113], v[1:2]
	v_add_f64 v[3:4], v[5:6], v[3:4]
	;; [unrolled: 1-line block ×4, first 2 shown]
	s_waitcnt vmcnt(2)
	v_add_f64 v[1:2], v[128:129], -v[1:2]
	s_waitcnt vmcnt(0)
	v_add_f64 v[3:4], v[134:135], -v[3:4]
	buffer_store_dword v2, off, s[0:3], 0 offset:484
	buffer_store_dword v1, off, s[0:3], 0 offset:480
	;; [unrolled: 1-line block ×4, first 2 shown]
	v_cmpx_lt_u32_e32 28, v0
	s_cbranch_execz .LBB113_257
; %bb.256:
	v_mov_b32_e32 v4, s34
	v_mov_b32_e32 v5, 0
	s_clause 0x3
	buffer_load_dword v1, v4, s[0:3], 0 offen
	buffer_load_dword v2, v4, s[0:3], 0 offen offset:4
	buffer_load_dword v3, v4, s[0:3], 0 offen offset:8
	;; [unrolled: 1-line block ×3, first 2 shown]
	buffer_store_dword v5, off, s[0:3], 0 offset:464
	buffer_store_dword v5, off, s[0:3], 0 offset:468
	buffer_store_dword v5, off, s[0:3], 0 offset:472
	buffer_store_dword v5, off, s[0:3], 0 offset:476
	s_waitcnt vmcnt(0)
	ds_write_b128 v7, v[1:4]
.LBB113_257:
	s_or_b32 exec_lo, exec_lo, s4
	s_waitcnt lgkmcnt(0)
	s_waitcnt_vscnt null, 0x0
	s_barrier
	buffer_gl0_inv
	s_clause 0x35
	buffer_load_dword v112, off, s[0:3], 0 offset:488
	buffer_load_dword v113, off, s[0:3], 0 offset:492
	;; [unrolled: 1-line block ×54, first 2 shown]
	v_mov_b32_e32 v1, 0
	s_mov_b32 s4, exec_lo
	ds_read_b128 v[2:5], v1 offset:1264
	s_clause 0x3
	buffer_load_dword v168, off, s[0:3], 0 offset:712
	buffer_load_dword v169, off, s[0:3], 0 offset:716
	;; [unrolled: 1-line block ×4, first 2 shown]
	ds_read_b128 v[108:111], v1 offset:1280
	s_clause 0x3
	buffer_load_dword v177, off, s[0:3], 0 offset:732
	buffer_load_dword v176, off, s[0:3], 0 offset:728
	buffer_load_dword v178, off, s[0:3], 0 offset:704
	buffer_load_dword v179, off, s[0:3], 0 offset:708
	s_waitcnt vmcnt(60) lgkmcnt(1)
	v_mul_f64 v[172:173], v[4:5], v[112:113]
	v_mul_f64 v[174:175], v[2:3], v[112:113]
	s_waitcnt vmcnt(58) lgkmcnt(0)
	v_mul_f64 v[180:181], v[110:111], v[116:117]
	ds_read_b128 v[112:115], v1 offset:1296
	v_mul_f64 v[116:117], v[108:109], v[116:117]
	s_waitcnt vmcnt(56)
	v_fma_f64 v[172:173], v[2:3], v[118:119], -v[172:173]
	v_fma_f64 v[118:119], v[4:5], v[118:119], v[174:175]
	s_clause 0x3
	buffer_load_dword v174, off, s[0:3], 0 offset:744
	buffer_load_dword v175, off, s[0:3], 0 offset:748
	;; [unrolled: 1-line block ×4, first 2 shown]
	s_waitcnt vmcnt(58) lgkmcnt(0)
	v_mul_f64 v[184:185], v[112:113], v[120:121]
	v_mul_f64 v[120:121], v[114:115], v[120:121]
	s_waitcnt vmcnt(56)
	v_fma_f64 v[180:181], v[108:109], v[122:123], -v[180:181]
	ds_read_b128 v[2:5], v1 offset:1312
	v_fma_f64 v[116:117], v[110:111], v[122:123], v[116:117]
	s_clause 0x3
	buffer_load_dword v123, off, s[0:3], 0 offset:764
	buffer_load_dword v122, off, s[0:3], 0 offset:760
	;; [unrolled: 1-line block ×4, first 2 shown]
	ds_read_b128 v[108:111], v1 offset:1328
	v_add_f64 v[172:173], v[172:173], 0
	v_add_f64 v[118:119], v[118:119], 0
	s_waitcnt vmcnt(58) lgkmcnt(1)
	v_mul_f64 v[188:189], v[2:3], v[124:125]
	v_mul_f64 v[124:125], v[4:5], v[124:125]
	s_waitcnt vmcnt(56)
	v_fma_f64 v[120:121], v[112:113], v[126:127], -v[120:121]
	v_fma_f64 v[126:127], v[114:115], v[126:127], v[184:185]
	s_waitcnt vmcnt(54) lgkmcnt(0)
	v_mul_f64 v[184:185], v[108:109], v[128:129]
	v_mul_f64 v[128:129], v[110:111], v[128:129]
	v_add_f64 v[172:173], v[172:173], v[180:181]
	v_add_f64 v[116:117], v[118:119], v[116:117]
	s_clause 0x3
	buffer_load_dword v118, off, s[0:3], 0 offset:776
	buffer_load_dword v119, off, s[0:3], 0 offset:780
	;; [unrolled: 1-line block ×4, first 2 shown]
	ds_read_b128 v[112:115], v1 offset:1344
	s_waitcnt vmcnt(56)
	v_fma_f64 v[124:125], v[2:3], v[130:131], -v[124:125]
	v_fma_f64 v[130:131], v[4:5], v[130:131], v[188:189]
	s_waitcnt vmcnt(52)
	v_fma_f64 v[128:129], v[108:109], v[134:135], -v[128:129]
	v_add_f64 v[120:121], v[172:173], v[120:121]
	v_add_f64 v[116:117], v[116:117], v[126:127]
	s_clause 0x3
	buffer_load_dword v127, off, s[0:3], 0 offset:796
	buffer_load_dword v126, off, s[0:3], 0 offset:792
	;; [unrolled: 1-line block ×4, first 2 shown]
	s_waitcnt lgkmcnt(0)
	v_mul_f64 v[188:189], v[112:113], v[132:133]
	v_mul_f64 v[132:133], v[114:115], v[132:133]
	ds_read_b128 v[2:5], v1 offset:1360
	v_add_f64 v[120:121], v[120:121], v[124:125]
	v_fma_f64 v[124:125], v[110:111], v[134:135], v[184:185]
	v_add_f64 v[116:117], v[116:117], v[130:131]
	s_clause 0x3
	buffer_load_dword v130, off, s[0:3], 0 offset:808
	buffer_load_dword v131, off, s[0:3], 0 offset:812
	;; [unrolled: 1-line block ×4, first 2 shown]
	s_waitcnt vmcnt(58) lgkmcnt(0)
	v_mul_f64 v[184:185], v[2:3], v[136:137]
	v_mul_f64 v[136:137], v[4:5], v[136:137]
	s_waitcnt vmcnt(56)
	v_fma_f64 v[132:133], v[112:113], v[138:139], -v[132:133]
	ds_read_b128 v[108:111], v1 offset:1376
	v_add_f64 v[120:121], v[120:121], v[128:129]
	v_fma_f64 v[128:129], v[114:115], v[138:139], v[188:189]
	v_add_f64 v[116:117], v[116:117], v[124:125]
	s_clause 0x1
	buffer_load_dword v124, off, s[0:3], 0 offset:800
	buffer_load_dword v125, off, s[0:3], 0 offset:804
	ds_read_b128 v[112:115], v1 offset:1392
	s_waitcnt vmcnt(56) lgkmcnt(1)
	v_mul_f64 v[138:139], v[108:109], v[140:141]
	v_mul_f64 v[140:141], v[110:111], v[140:141]
	s_waitcnt vmcnt(54)
	v_fma_f64 v[136:137], v[2:3], v[142:143], -v[136:137]
	v_add_f64 v[120:121], v[120:121], v[132:133]
	v_fma_f64 v[132:133], v[4:5], v[142:143], v[184:185]
	v_add_f64 v[116:117], v[116:117], v[128:129]
	ds_read_b128 v[2:5], v1 offset:1408
	s_waitcnt vmcnt(52) lgkmcnt(1)
	v_mul_f64 v[142:143], v[114:115], v[144:145]
	v_mul_f64 v[128:129], v[112:113], v[144:145]
	s_waitcnt vmcnt(50)
	v_fma_f64 v[140:141], v[108:109], v[146:147], -v[140:141]
	v_add_f64 v[120:121], v[120:121], v[136:137]
	v_fma_f64 v[136:137], v[110:111], v[146:147], v[138:139]
	v_add_f64 v[116:117], v[116:117], v[132:133]
	s_clause 0x3
	buffer_load_dword v132, off, s[0:3], 0 offset:464
	buffer_load_dword v133, off, s[0:3], 0 offset:468
	;; [unrolled: 1-line block ×4, first 2 shown]
	s_waitcnt vmcnt(52) lgkmcnt(0)
	v_mul_f64 v[146:147], v[4:5], v[148:149]
	s_waitcnt vmcnt(50)
	v_fma_f64 v[142:143], v[112:113], v[150:151], -v[142:143]
	ds_read_b128 v[108:111], v1 offset:1424
	v_mul_f64 v[144:145], v[2:3], v[148:149]
	v_fma_f64 v[128:129], v[114:115], v[150:151], v[128:129]
	ds_read_b128 v[112:115], v1 offset:1440
	v_add_f64 v[120:121], v[120:121], v[140:141]
	v_add_f64 v[116:117], v[116:117], v[136:137]
	s_waitcnt vmcnt(48) lgkmcnt(1)
	v_mul_f64 v[140:141], v[110:111], v[152:153]
	s_waitcnt vmcnt(46)
	v_fma_f64 v[146:147], v[2:3], v[154:155], -v[146:147]
	v_mul_f64 v[136:137], v[108:109], v[152:153]
	v_add_f64 v[120:121], v[120:121], v[142:143]
	v_fma_f64 v[142:143], v[4:5], v[154:155], v[144:145]
	v_add_f64 v[116:117], v[116:117], v[128:129]
	s_waitcnt vmcnt(44) lgkmcnt(0)
	v_mul_f64 v[144:145], v[114:115], v[156:157]
	s_waitcnt vmcnt(42)
	v_fma_f64 v[140:141], v[108:109], v[158:159], -v[140:141]
	ds_read_b128 v[2:5], v1 offset:1456
	v_mul_f64 v[128:129], v[112:113], v[156:157]
	v_fma_f64 v[136:137], v[110:111], v[158:159], v[136:137]
	ds_read_b128 v[108:111], v1 offset:1472
	v_add_f64 v[120:121], v[120:121], v[146:147]
	v_add_f64 v[116:117], v[116:117], v[142:143]
	s_waitcnt vmcnt(40) lgkmcnt(1)
	v_mul_f64 v[146:147], v[4:5], v[160:161]
	s_waitcnt vmcnt(38)
	v_fma_f64 v[144:145], v[112:113], v[162:163], -v[144:145]
	v_mul_f64 v[142:143], v[2:3], v[160:161]
	v_fma_f64 v[128:129], v[114:115], v[162:163], v[128:129]
	ds_read_b128 v[112:115], v1 offset:1488
	v_add_f64 v[120:121], v[120:121], v[140:141]
	s_waitcnt vmcnt(36) lgkmcnt(1)
	v_mul_f64 v[140:141], v[110:111], v[164:165]
	v_add_f64 v[116:117], v[116:117], v[136:137]
	s_waitcnt vmcnt(34)
	v_fma_f64 v[146:147], v[2:3], v[166:167], -v[146:147]
	v_mul_f64 v[136:137], v[108:109], v[164:165]
	v_fma_f64 v[142:143], v[4:5], v[166:167], v[142:143]
	ds_read_b128 v[2:5], v1 offset:1504
	v_add_f64 v[120:121], v[120:121], v[144:145]
	s_waitcnt vmcnt(32) lgkmcnt(1)
	v_mul_f64 v[144:145], v[114:115], v[168:169]
	v_add_f64 v[116:117], v[116:117], v[128:129]
	;; [unrolled: 9-line block ×3, first 2 shown]
	s_waitcnt vmcnt(26)
	v_fma_f64 v[144:145], v[112:113], v[178:179], -v[144:145]
	v_mul_f64 v[142:143], v[2:3], v[176:177]
	v_fma_f64 v[128:129], v[114:115], v[178:179], v[128:129]
	ds_read_b128 v[112:115], v1 offset:1536
	v_add_f64 v[120:121], v[120:121], v[140:141]
	v_add_f64 v[116:117], v[116:117], v[136:137]
	s_waitcnt vmcnt(24) lgkmcnt(1)
	v_mul_f64 v[140:141], v[110:111], v[174:175]
	v_mul_f64 v[136:137], v[108:109], v[174:175]
	s_waitcnt vmcnt(22)
	v_fma_f64 v[146:147], v[2:3], v[182:183], -v[146:147]
	v_fma_f64 v[142:143], v[4:5], v[182:183], v[142:143]
	ds_read_b128 v[2:5], v1 offset:1552
	v_add_f64 v[120:121], v[120:121], v[144:145]
	v_add_f64 v[116:117], v[116:117], v[128:129]
	s_waitcnt vmcnt(20) lgkmcnt(1)
	v_mul_f64 v[128:129], v[112:113], v[122:123]
	v_mul_f64 v[122:123], v[114:115], v[122:123]
	s_waitcnt vmcnt(18)
	v_fma_f64 v[140:141], v[108:109], v[186:187], -v[140:141]
	;; [unrolled: 9-line block ×4, first 2 shown]
	v_fma_f64 v[4:5], v[4:5], v[172:173], v[142:143]
	v_add_f64 v[118:119], v[120:121], v[122:123]
	v_add_f64 v[116:117], v[116:117], v[128:129]
	s_waitcnt vmcnt(8) lgkmcnt(0)
	v_mul_f64 v[122:123], v[114:115], v[130:131]
	v_mul_f64 v[120:121], v[112:113], v[130:131]
	s_waitcnt vmcnt(6)
	v_fma_f64 v[108:109], v[108:109], v[134:135], -v[126:127]
	v_fma_f64 v[110:111], v[110:111], v[134:135], v[136:137]
	v_add_f64 v[2:3], v[118:119], v[2:3]
	v_add_f64 v[4:5], v[116:117], v[4:5]
	s_waitcnt vmcnt(4)
	v_fma_f64 v[112:113], v[112:113], v[124:125], -v[122:123]
	v_add_f64 v[2:3], v[2:3], v[108:109]
	v_fma_f64 v[108:109], v[114:115], v[124:125], v[120:121]
	v_add_f64 v[4:5], v[4:5], v[110:111]
	v_add_f64 v[2:3], v[2:3], v[112:113]
	;; [unrolled: 1-line block ×3, first 2 shown]
	s_waitcnt vmcnt(2)
	v_add_f64 v[2:3], v[132:133], -v[2:3]
	s_waitcnt vmcnt(0)
	v_add_f64 v[4:5], v[138:139], -v[4:5]
	buffer_store_dword v3, off, s[0:3], 0 offset:468
	buffer_store_dword v2, off, s[0:3], 0 offset:464
	;; [unrolled: 1-line block ×4, first 2 shown]
	v_cmpx_lt_u32_e32 27, v0
	s_cbranch_execz .LBB113_259
; %bb.258:
	v_mov_b32_e32 v5, s35
	s_clause 0x3
	buffer_load_dword v2, v5, s[0:3], 0 offen
	buffer_load_dword v3, v5, s[0:3], 0 offen offset:4
	buffer_load_dword v4, v5, s[0:3], 0 offen offset:8
	;; [unrolled: 1-line block ×3, first 2 shown]
	buffer_store_dword v1, off, s[0:3], 0 offset:448
	buffer_store_dword v1, off, s[0:3], 0 offset:452
	buffer_store_dword v1, off, s[0:3], 0 offset:456
	buffer_store_dword v1, off, s[0:3], 0 offset:460
	s_waitcnt vmcnt(0)
	ds_write_b128 v7, v[2:5]
.LBB113_259:
	s_or_b32 exec_lo, exec_lo, s4
	s_waitcnt lgkmcnt(0)
	s_waitcnt_vscnt null, 0x0
	s_barrier
	buffer_gl0_inv
	s_clause 0x35
	buffer_load_dword v112, off, s[0:3], 0 offset:472
	buffer_load_dword v113, off, s[0:3], 0 offset:476
	;; [unrolled: 1-line block ×54, first 2 shown]
	ds_read_b128 v[2:5], v1 offset:1248
	s_clause 0x3
	buffer_load_dword v168, off, s[0:3], 0 offset:696
	buffer_load_dword v169, off, s[0:3], 0 offset:700
	;; [unrolled: 1-line block ×4, first 2 shown]
	ds_read_b128 v[108:111], v1 offset:1264
	s_clause 0x3
	buffer_load_dword v177, off, s[0:3], 0 offset:716
	buffer_load_dword v176, off, s[0:3], 0 offset:712
	;; [unrolled: 1-line block ×4, first 2 shown]
	s_mov_b32 s4, exec_lo
	s_waitcnt vmcnt(60) lgkmcnt(1)
	v_mul_f64 v[172:173], v[4:5], v[112:113]
	v_mul_f64 v[174:175], v[2:3], v[112:113]
	s_waitcnt vmcnt(58) lgkmcnt(0)
	v_mul_f64 v[180:181], v[110:111], v[116:117]
	ds_read_b128 v[112:115], v1 offset:1280
	v_mul_f64 v[116:117], v[108:109], v[116:117]
	s_waitcnt vmcnt(56)
	v_fma_f64 v[172:173], v[2:3], v[118:119], -v[172:173]
	v_fma_f64 v[118:119], v[4:5], v[118:119], v[174:175]
	s_clause 0x3
	buffer_load_dword v174, off, s[0:3], 0 offset:728
	buffer_load_dword v175, off, s[0:3], 0 offset:732
	;; [unrolled: 1-line block ×4, first 2 shown]
	s_waitcnt vmcnt(58) lgkmcnt(0)
	v_mul_f64 v[184:185], v[112:113], v[120:121]
	v_mul_f64 v[120:121], v[114:115], v[120:121]
	s_waitcnt vmcnt(56)
	v_fma_f64 v[180:181], v[108:109], v[122:123], -v[180:181]
	ds_read_b128 v[2:5], v1 offset:1296
	v_fma_f64 v[116:117], v[110:111], v[122:123], v[116:117]
	s_clause 0x3
	buffer_load_dword v123, off, s[0:3], 0 offset:748
	buffer_load_dword v122, off, s[0:3], 0 offset:744
	;; [unrolled: 1-line block ×4, first 2 shown]
	ds_read_b128 v[108:111], v1 offset:1312
	v_add_f64 v[172:173], v[172:173], 0
	v_add_f64 v[118:119], v[118:119], 0
	s_waitcnt vmcnt(58) lgkmcnt(1)
	v_mul_f64 v[188:189], v[2:3], v[124:125]
	v_mul_f64 v[124:125], v[4:5], v[124:125]
	s_waitcnt vmcnt(56)
	v_fma_f64 v[120:121], v[112:113], v[126:127], -v[120:121]
	v_fma_f64 v[126:127], v[114:115], v[126:127], v[184:185]
	s_waitcnt vmcnt(54) lgkmcnt(0)
	v_mul_f64 v[184:185], v[108:109], v[128:129]
	v_mul_f64 v[128:129], v[110:111], v[128:129]
	v_add_f64 v[172:173], v[172:173], v[180:181]
	v_add_f64 v[116:117], v[118:119], v[116:117]
	s_clause 0x3
	buffer_load_dword v118, off, s[0:3], 0 offset:760
	buffer_load_dword v119, off, s[0:3], 0 offset:764
	;; [unrolled: 1-line block ×4, first 2 shown]
	ds_read_b128 v[112:115], v1 offset:1328
	s_waitcnt vmcnt(56)
	v_fma_f64 v[124:125], v[2:3], v[130:131], -v[124:125]
	v_fma_f64 v[130:131], v[4:5], v[130:131], v[188:189]
	s_waitcnt vmcnt(52)
	v_fma_f64 v[128:129], v[108:109], v[134:135], -v[128:129]
	v_add_f64 v[120:121], v[172:173], v[120:121]
	v_add_f64 v[116:117], v[116:117], v[126:127]
	s_clause 0x3
	buffer_load_dword v127, off, s[0:3], 0 offset:780
	buffer_load_dword v126, off, s[0:3], 0 offset:776
	;; [unrolled: 1-line block ×4, first 2 shown]
	s_waitcnt lgkmcnt(0)
	v_mul_f64 v[188:189], v[112:113], v[132:133]
	v_mul_f64 v[132:133], v[114:115], v[132:133]
	ds_read_b128 v[2:5], v1 offset:1344
	v_add_f64 v[120:121], v[120:121], v[124:125]
	v_fma_f64 v[124:125], v[110:111], v[134:135], v[184:185]
	v_add_f64 v[116:117], v[116:117], v[130:131]
	s_clause 0x3
	buffer_load_dword v130, off, s[0:3], 0 offset:792
	buffer_load_dword v131, off, s[0:3], 0 offset:796
	;; [unrolled: 1-line block ×4, first 2 shown]
	s_waitcnt vmcnt(58) lgkmcnt(0)
	v_mul_f64 v[184:185], v[2:3], v[136:137]
	v_mul_f64 v[136:137], v[4:5], v[136:137]
	s_waitcnt vmcnt(56)
	v_fma_f64 v[132:133], v[112:113], v[138:139], -v[132:133]
	ds_read_b128 v[108:111], v1 offset:1360
	v_add_f64 v[120:121], v[120:121], v[128:129]
	v_fma_f64 v[128:129], v[114:115], v[138:139], v[188:189]
	v_add_f64 v[116:117], v[116:117], v[124:125]
	s_clause 0x3
	buffer_load_dword v125, off, s[0:3], 0 offset:812
	buffer_load_dword v124, off, s[0:3], 0 offset:808
	;; [unrolled: 1-line block ×4, first 2 shown]
	ds_read_b128 v[112:115], v1 offset:1376
	s_waitcnt vmcnt(58) lgkmcnt(1)
	v_mul_f64 v[188:189], v[108:109], v[140:141]
	v_mul_f64 v[140:141], v[110:111], v[140:141]
	s_waitcnt vmcnt(56)
	v_fma_f64 v[136:137], v[2:3], v[142:143], -v[136:137]
	v_add_f64 v[120:121], v[120:121], v[132:133]
	v_fma_f64 v[132:133], v[4:5], v[142:143], v[184:185]
	v_add_f64 v[116:117], v[116:117], v[128:129]
	s_clause 0x1
	buffer_load_dword v129, off, s[0:3], 0 offset:804
	buffer_load_dword v128, off, s[0:3], 0 offset:800
	s_waitcnt vmcnt(56) lgkmcnt(0)
	v_mul_f64 v[142:143], v[112:113], v[144:145]
	v_mul_f64 v[144:145], v[114:115], v[144:145]
	s_waitcnt vmcnt(54)
	v_fma_f64 v[140:141], v[108:109], v[146:147], -v[140:141]
	ds_read_b128 v[2:5], v1 offset:1392
	v_add_f64 v[120:121], v[120:121], v[136:137]
	v_fma_f64 v[136:137], v[110:111], v[146:147], v[188:189]
	v_add_f64 v[116:117], v[116:117], v[132:133]
	ds_read_b128 v[108:111], v1 offset:1408
	s_waitcnt vmcnt(52) lgkmcnt(1)
	v_mul_f64 v[146:147], v[4:5], v[148:149]
	s_waitcnt vmcnt(50)
	v_fma_f64 v[144:145], v[112:113], v[150:151], -v[144:145]
	v_mul_f64 v[132:133], v[2:3], v[148:149]
	v_add_f64 v[120:121], v[120:121], v[140:141]
	v_fma_f64 v[140:141], v[114:115], v[150:151], v[142:143]
	v_add_f64 v[116:117], v[116:117], v[136:137]
	s_clause 0x3
	buffer_load_dword v136, off, s[0:3], 0 offset:448
	buffer_load_dword v137, off, s[0:3], 0 offset:452
	;; [unrolled: 1-line block ×4, first 2 shown]
	s_waitcnt vmcnt(52) lgkmcnt(0)
	v_mul_f64 v[150:151], v[110:111], v[152:153]
	s_waitcnt vmcnt(50)
	v_fma_f64 v[146:147], v[2:3], v[154:155], -v[146:147]
	ds_read_b128 v[112:115], v1 offset:1424
	v_mul_f64 v[148:149], v[108:109], v[152:153]
	v_fma_f64 v[132:133], v[4:5], v[154:155], v[132:133]
	ds_read_b128 v[2:5], v1 offset:1440
	v_add_f64 v[120:121], v[120:121], v[144:145]
	v_add_f64 v[116:117], v[116:117], v[140:141]
	s_waitcnt vmcnt(48) lgkmcnt(1)
	v_mul_f64 v[144:145], v[114:115], v[156:157]
	s_waitcnt vmcnt(46)
	v_fma_f64 v[150:151], v[108:109], v[158:159], -v[150:151]
	v_mul_f64 v[140:141], v[112:113], v[156:157]
	v_add_f64 v[120:121], v[120:121], v[146:147]
	v_fma_f64 v[146:147], v[110:111], v[158:159], v[148:149]
	v_add_f64 v[116:117], v[116:117], v[132:133]
	s_waitcnt vmcnt(44) lgkmcnt(0)
	v_mul_f64 v[148:149], v[4:5], v[160:161]
	s_waitcnt vmcnt(42)
	v_fma_f64 v[144:145], v[112:113], v[162:163], -v[144:145]
	ds_read_b128 v[108:111], v1 offset:1456
	v_mul_f64 v[132:133], v[2:3], v[160:161]
	v_fma_f64 v[140:141], v[114:115], v[162:163], v[140:141]
	ds_read_b128 v[112:115], v1 offset:1472
	v_add_f64 v[120:121], v[120:121], v[150:151]
	v_add_f64 v[116:117], v[116:117], v[146:147]
	s_waitcnt vmcnt(40) lgkmcnt(1)
	v_mul_f64 v[150:151], v[110:111], v[164:165]
	s_waitcnt vmcnt(38)
	v_fma_f64 v[148:149], v[2:3], v[166:167], -v[148:149]
	v_mul_f64 v[146:147], v[108:109], v[164:165]
	v_fma_f64 v[132:133], v[4:5], v[166:167], v[132:133]
	ds_read_b128 v[2:5], v1 offset:1488
	v_add_f64 v[120:121], v[120:121], v[144:145]
	s_waitcnt vmcnt(36) lgkmcnt(1)
	v_mul_f64 v[144:145], v[114:115], v[168:169]
	v_add_f64 v[116:117], v[116:117], v[140:141]
	s_waitcnt vmcnt(34)
	v_fma_f64 v[150:151], v[108:109], v[170:171], -v[150:151]
	v_mul_f64 v[140:141], v[112:113], v[168:169]
	v_fma_f64 v[146:147], v[110:111], v[170:171], v[146:147]
	ds_read_b128 v[108:111], v1 offset:1504
	v_add_f64 v[120:121], v[120:121], v[148:149]
	s_waitcnt vmcnt(32) lgkmcnt(1)
	v_mul_f64 v[148:149], v[4:5], v[176:177]
	v_add_f64 v[116:117], v[116:117], v[132:133]
	s_waitcnt vmcnt(30)
	v_fma_f64 v[144:145], v[112:113], v[178:179], -v[144:145]
	v_mul_f64 v[132:133], v[2:3], v[176:177]
	v_fma_f64 v[140:141], v[114:115], v[178:179], v[140:141]
	ds_read_b128 v[112:115], v1 offset:1520
	v_add_f64 v[120:121], v[120:121], v[150:151]
	v_add_f64 v[116:117], v[116:117], v[146:147]
	s_waitcnt vmcnt(28) lgkmcnt(1)
	v_mul_f64 v[150:151], v[110:111], v[174:175]
	v_mul_f64 v[146:147], v[108:109], v[174:175]
	s_waitcnt vmcnt(26)
	v_fma_f64 v[148:149], v[2:3], v[182:183], -v[148:149]
	v_fma_f64 v[132:133], v[4:5], v[182:183], v[132:133]
	ds_read_b128 v[2:5], v1 offset:1536
	v_add_f64 v[120:121], v[120:121], v[144:145]
	v_add_f64 v[116:117], v[116:117], v[140:141]
	s_waitcnt vmcnt(24) lgkmcnt(1)
	v_mul_f64 v[140:141], v[112:113], v[122:123]
	v_mul_f64 v[122:123], v[114:115], v[122:123]
	s_waitcnt vmcnt(22)
	v_fma_f64 v[144:145], v[108:109], v[186:187], -v[150:151]
	;; [unrolled: 9-line block ×5, first 2 shown]
	v_fma_f64 v[110:111], v[110:111], v[134:135], v[144:145]
	v_add_f64 v[118:119], v[120:121], v[118:119]
	v_add_f64 v[5:6], v[116:117], v[5:6]
	s_waitcnt vmcnt(8) lgkmcnt(0)
	v_mul_f64 v[120:121], v[3:4], v[124:125]
	v_mul_f64 v[116:117], v[1:2], v[124:125]
	s_waitcnt vmcnt(6)
	v_fma_f64 v[112:113], v[112:113], v[138:139], -v[130:131]
	v_fma_f64 v[114:115], v[114:115], v[138:139], v[122:123]
	v_add_f64 v[108:109], v[118:119], v[108:109]
	v_add_f64 v[5:6], v[5:6], v[110:111]
	s_waitcnt vmcnt(4)
	v_fma_f64 v[1:2], v[1:2], v[128:129], -v[120:121]
	v_fma_f64 v[3:4], v[3:4], v[128:129], v[116:117]
	v_add_f64 v[108:109], v[108:109], v[112:113]
	v_add_f64 v[5:6], v[5:6], v[114:115]
	;; [unrolled: 1-line block ×4, first 2 shown]
	s_waitcnt vmcnt(2)
	v_add_f64 v[1:2], v[136:137], -v[1:2]
	s_waitcnt vmcnt(0)
	v_add_f64 v[3:4], v[142:143], -v[3:4]
	buffer_store_dword v2, off, s[0:3], 0 offset:452
	buffer_store_dword v1, off, s[0:3], 0 offset:448
	;; [unrolled: 1-line block ×4, first 2 shown]
	v_cmpx_lt_u32_e32 26, v0
	s_cbranch_execz .LBB113_261
; %bb.260:
	v_mov_b32_e32 v4, s36
	v_mov_b32_e32 v5, 0
	s_clause 0x3
	buffer_load_dword v1, v4, s[0:3], 0 offen
	buffer_load_dword v2, v4, s[0:3], 0 offen offset:4
	buffer_load_dword v3, v4, s[0:3], 0 offen offset:8
	;; [unrolled: 1-line block ×3, first 2 shown]
	buffer_store_dword v5, off, s[0:3], 0 offset:432
	buffer_store_dword v5, off, s[0:3], 0 offset:436
	;; [unrolled: 1-line block ×4, first 2 shown]
	s_waitcnt vmcnt(0)
	ds_write_b128 v7, v[1:4]
.LBB113_261:
	s_or_b32 exec_lo, exec_lo, s4
	s_waitcnt lgkmcnt(0)
	s_waitcnt_vscnt null, 0x0
	s_barrier
	buffer_gl0_inv
	s_clause 0x35
	buffer_load_dword v112, off, s[0:3], 0 offset:456
	buffer_load_dword v113, off, s[0:3], 0 offset:460
	;; [unrolled: 1-line block ×54, first 2 shown]
	v_mov_b32_e32 v1, 0
	s_mov_b32 s4, exec_lo
	ds_read_b128 v[2:5], v1 offset:1232
	s_clause 0x3
	buffer_load_dword v168, off, s[0:3], 0 offset:680
	buffer_load_dword v169, off, s[0:3], 0 offset:684
	;; [unrolled: 1-line block ×4, first 2 shown]
	ds_read_b128 v[108:111], v1 offset:1248
	s_clause 0x3
	buffer_load_dword v177, off, s[0:3], 0 offset:700
	buffer_load_dword v176, off, s[0:3], 0 offset:696
	;; [unrolled: 1-line block ×4, first 2 shown]
	s_waitcnt vmcnt(60) lgkmcnt(1)
	v_mul_f64 v[172:173], v[4:5], v[112:113]
	v_mul_f64 v[174:175], v[2:3], v[112:113]
	s_waitcnt vmcnt(58) lgkmcnt(0)
	v_mul_f64 v[180:181], v[110:111], v[116:117]
	ds_read_b128 v[112:115], v1 offset:1264
	v_mul_f64 v[116:117], v[108:109], v[116:117]
	s_waitcnt vmcnt(56)
	v_fma_f64 v[172:173], v[2:3], v[118:119], -v[172:173]
	v_fma_f64 v[118:119], v[4:5], v[118:119], v[174:175]
	s_clause 0x3
	buffer_load_dword v174, off, s[0:3], 0 offset:712
	buffer_load_dword v175, off, s[0:3], 0 offset:716
	buffer_load_dword v183, off, s[0:3], 0 offset:692
	buffer_load_dword v182, off, s[0:3], 0 offset:688
	s_waitcnt vmcnt(58) lgkmcnt(0)
	v_mul_f64 v[184:185], v[112:113], v[120:121]
	v_mul_f64 v[120:121], v[114:115], v[120:121]
	s_waitcnt vmcnt(56)
	v_fma_f64 v[180:181], v[108:109], v[122:123], -v[180:181]
	ds_read_b128 v[2:5], v1 offset:1280
	v_fma_f64 v[116:117], v[110:111], v[122:123], v[116:117]
	s_clause 0x3
	buffer_load_dword v123, off, s[0:3], 0 offset:732
	buffer_load_dword v122, off, s[0:3], 0 offset:728
	;; [unrolled: 1-line block ×4, first 2 shown]
	ds_read_b128 v[108:111], v1 offset:1296
	v_add_f64 v[172:173], v[172:173], 0
	v_add_f64 v[118:119], v[118:119], 0
	s_waitcnt vmcnt(58) lgkmcnt(1)
	v_mul_f64 v[188:189], v[2:3], v[124:125]
	v_mul_f64 v[124:125], v[4:5], v[124:125]
	s_waitcnt vmcnt(56)
	v_fma_f64 v[120:121], v[112:113], v[126:127], -v[120:121]
	v_fma_f64 v[126:127], v[114:115], v[126:127], v[184:185]
	s_waitcnt vmcnt(54) lgkmcnt(0)
	v_mul_f64 v[184:185], v[108:109], v[128:129]
	v_mul_f64 v[128:129], v[110:111], v[128:129]
	v_add_f64 v[172:173], v[172:173], v[180:181]
	v_add_f64 v[116:117], v[118:119], v[116:117]
	s_clause 0x3
	buffer_load_dword v118, off, s[0:3], 0 offset:744
	buffer_load_dword v119, off, s[0:3], 0 offset:748
	;; [unrolled: 1-line block ×4, first 2 shown]
	ds_read_b128 v[112:115], v1 offset:1312
	s_waitcnt vmcnt(56)
	v_fma_f64 v[124:125], v[2:3], v[130:131], -v[124:125]
	v_fma_f64 v[130:131], v[4:5], v[130:131], v[188:189]
	s_waitcnt vmcnt(52)
	v_fma_f64 v[128:129], v[108:109], v[134:135], -v[128:129]
	v_add_f64 v[120:121], v[172:173], v[120:121]
	v_add_f64 v[116:117], v[116:117], v[126:127]
	s_clause 0x3
	buffer_load_dword v127, off, s[0:3], 0 offset:764
	buffer_load_dword v126, off, s[0:3], 0 offset:760
	;; [unrolled: 1-line block ×4, first 2 shown]
	s_waitcnt lgkmcnt(0)
	v_mul_f64 v[188:189], v[112:113], v[132:133]
	v_mul_f64 v[132:133], v[114:115], v[132:133]
	ds_read_b128 v[2:5], v1 offset:1328
	v_add_f64 v[120:121], v[120:121], v[124:125]
	v_fma_f64 v[124:125], v[110:111], v[134:135], v[184:185]
	v_add_f64 v[116:117], v[116:117], v[130:131]
	s_clause 0x3
	buffer_load_dword v130, off, s[0:3], 0 offset:776
	buffer_load_dword v131, off, s[0:3], 0 offset:780
	;; [unrolled: 1-line block ×4, first 2 shown]
	s_waitcnt vmcnt(58) lgkmcnt(0)
	v_mul_f64 v[184:185], v[2:3], v[136:137]
	v_mul_f64 v[136:137], v[4:5], v[136:137]
	s_waitcnt vmcnt(56)
	v_fma_f64 v[132:133], v[112:113], v[138:139], -v[132:133]
	ds_read_b128 v[108:111], v1 offset:1344
	v_add_f64 v[120:121], v[120:121], v[128:129]
	v_fma_f64 v[128:129], v[114:115], v[138:139], v[188:189]
	v_add_f64 v[116:117], v[116:117], v[124:125]
	s_clause 0x3
	buffer_load_dword v125, off, s[0:3], 0 offset:796
	buffer_load_dword v124, off, s[0:3], 0 offset:792
	;; [unrolled: 1-line block ×4, first 2 shown]
	ds_read_b128 v[112:115], v1 offset:1360
	s_waitcnt vmcnt(58) lgkmcnt(1)
	v_mul_f64 v[188:189], v[108:109], v[140:141]
	v_mul_f64 v[140:141], v[110:111], v[140:141]
	s_waitcnt vmcnt(56)
	v_fma_f64 v[136:137], v[2:3], v[142:143], -v[136:137]
	v_add_f64 v[120:121], v[120:121], v[132:133]
	v_fma_f64 v[132:133], v[4:5], v[142:143], v[184:185]
	v_add_f64 v[116:117], v[116:117], v[128:129]
	s_clause 0x3
	buffer_load_dword v128, off, s[0:3], 0 offset:808
	buffer_load_dword v129, off, s[0:3], 0 offset:812
	;; [unrolled: 1-line block ×4, first 2 shown]
	s_waitcnt vmcnt(58) lgkmcnt(0)
	v_mul_f64 v[184:185], v[112:113], v[144:145]
	v_mul_f64 v[144:145], v[114:115], v[144:145]
	s_waitcnt vmcnt(56)
	v_fma_f64 v[140:141], v[108:109], v[146:147], -v[140:141]
	ds_read_b128 v[2:5], v1 offset:1376
	v_add_f64 v[120:121], v[120:121], v[136:137]
	v_fma_f64 v[136:137], v[110:111], v[146:147], v[188:189]
	v_add_f64 v[116:117], v[116:117], v[132:133]
	s_clause 0x1
	buffer_load_dword v132, off, s[0:3], 0 offset:800
	buffer_load_dword v133, off, s[0:3], 0 offset:804
	ds_read_b128 v[108:111], v1 offset:1392
	s_waitcnt vmcnt(56) lgkmcnt(1)
	v_mul_f64 v[146:147], v[2:3], v[148:149]
	v_mul_f64 v[148:149], v[4:5], v[148:149]
	s_waitcnt vmcnt(54)
	v_fma_f64 v[144:145], v[112:113], v[150:151], -v[144:145]
	v_add_f64 v[120:121], v[120:121], v[140:141]
	v_fma_f64 v[140:141], v[114:115], v[150:151], v[184:185]
	v_add_f64 v[116:117], v[116:117], v[136:137]
	ds_read_b128 v[112:115], v1 offset:1408
	s_waitcnt vmcnt(52) lgkmcnt(1)
	v_mul_f64 v[150:151], v[110:111], v[152:153]
	v_mul_f64 v[136:137], v[108:109], v[152:153]
	s_waitcnt vmcnt(50)
	v_fma_f64 v[148:149], v[2:3], v[154:155], -v[148:149]
	v_add_f64 v[120:121], v[120:121], v[144:145]
	v_fma_f64 v[144:145], v[4:5], v[154:155], v[146:147]
	v_add_f64 v[116:117], v[116:117], v[140:141]
	s_clause 0x3
	buffer_load_dword v140, off, s[0:3], 0 offset:432
	buffer_load_dword v141, off, s[0:3], 0 offset:436
	;; [unrolled: 1-line block ×4, first 2 shown]
	s_waitcnt vmcnt(52) lgkmcnt(0)
	v_mul_f64 v[154:155], v[114:115], v[156:157]
	s_waitcnt vmcnt(50)
	v_fma_f64 v[150:151], v[108:109], v[158:159], -v[150:151]
	ds_read_b128 v[2:5], v1 offset:1424
	v_mul_f64 v[152:153], v[112:113], v[156:157]
	v_fma_f64 v[136:137], v[110:111], v[158:159], v[136:137]
	ds_read_b128 v[108:111], v1 offset:1440
	v_add_f64 v[120:121], v[120:121], v[148:149]
	v_add_f64 v[116:117], v[116:117], v[144:145]
	s_waitcnt vmcnt(48) lgkmcnt(1)
	v_mul_f64 v[148:149], v[4:5], v[160:161]
	s_waitcnt vmcnt(46)
	v_fma_f64 v[154:155], v[112:113], v[162:163], -v[154:155]
	v_mul_f64 v[144:145], v[2:3], v[160:161]
	v_add_f64 v[120:121], v[120:121], v[150:151]
	v_fma_f64 v[150:151], v[114:115], v[162:163], v[152:153]
	v_add_f64 v[116:117], v[116:117], v[136:137]
	s_waitcnt vmcnt(44) lgkmcnt(0)
	v_mul_f64 v[152:153], v[110:111], v[164:165]
	s_waitcnt vmcnt(42)
	v_fma_f64 v[148:149], v[2:3], v[166:167], -v[148:149]
	ds_read_b128 v[112:115], v1 offset:1456
	v_mul_f64 v[136:137], v[108:109], v[164:165]
	v_fma_f64 v[144:145], v[4:5], v[166:167], v[144:145]
	ds_read_b128 v[2:5], v1 offset:1472
	v_add_f64 v[120:121], v[120:121], v[154:155]
	v_add_f64 v[116:117], v[116:117], v[150:151]
	s_waitcnt vmcnt(40) lgkmcnt(1)
	v_mul_f64 v[154:155], v[114:115], v[168:169]
	s_waitcnt vmcnt(38)
	v_fma_f64 v[152:153], v[108:109], v[170:171], -v[152:153]
	v_mul_f64 v[150:151], v[112:113], v[168:169]
	v_fma_f64 v[136:137], v[110:111], v[170:171], v[136:137]
	ds_read_b128 v[108:111], v1 offset:1488
	v_add_f64 v[120:121], v[120:121], v[148:149]
	s_waitcnt vmcnt(36) lgkmcnt(1)
	v_mul_f64 v[148:149], v[4:5], v[176:177]
	v_add_f64 v[116:117], v[116:117], v[144:145]
	s_waitcnt vmcnt(34)
	v_fma_f64 v[154:155], v[112:113], v[178:179], -v[154:155]
	v_mul_f64 v[144:145], v[2:3], v[176:177]
	v_fma_f64 v[150:151], v[114:115], v[178:179], v[150:151]
	ds_read_b128 v[112:115], v1 offset:1504
	v_add_f64 v[120:121], v[120:121], v[152:153]
	v_add_f64 v[116:117], v[116:117], v[136:137]
	s_waitcnt vmcnt(32) lgkmcnt(1)
	v_mul_f64 v[152:153], v[110:111], v[174:175]
	v_mul_f64 v[136:137], v[108:109], v[174:175]
	s_waitcnt vmcnt(30)
	v_fma_f64 v[148:149], v[2:3], v[182:183], -v[148:149]
	v_fma_f64 v[144:145], v[4:5], v[182:183], v[144:145]
	ds_read_b128 v[2:5], v1 offset:1520
	v_add_f64 v[120:121], v[120:121], v[154:155]
	v_add_f64 v[116:117], v[116:117], v[150:151]
	s_waitcnt vmcnt(28) lgkmcnt(1)
	v_mul_f64 v[150:151], v[112:113], v[122:123]
	v_mul_f64 v[122:123], v[114:115], v[122:123]
	s_waitcnt vmcnt(26)
	v_fma_f64 v[152:153], v[108:109], v[186:187], -v[152:153]
	;; [unrolled: 9-line block ×4, first 2 shown]
	v_add_f64 v[120:121], v[120:121], v[122:123]
	v_fma_f64 v[122:123], v[4:5], v[172:173], v[144:145]
	v_add_f64 v[116:117], v[116:117], v[148:149]
	ds_read_b128 v[2:5], v1 offset:1568
	s_waitcnt vmcnt(16) lgkmcnt(1)
	v_mul_f64 v[144:145], v[112:113], v[130:131]
	v_mul_f64 v[130:131], v[114:115], v[130:131]
	s_waitcnt vmcnt(14)
	v_fma_f64 v[126:127], v[108:109], v[134:135], -v[126:127]
	v_add_f64 v[118:119], v[120:121], v[118:119]
	v_fma_f64 v[120:121], v[110:111], v[134:135], v[136:137]
	v_add_f64 v[116:117], v[116:117], v[122:123]
	ds_read_b128 v[108:111], v1 offset:1584
	s_waitcnt vmcnt(12) lgkmcnt(1)
	v_mul_f64 v[122:123], v[2:3], v[124:125]
	v_mul_f64 v[124:125], v[4:5], v[124:125]
	s_waitcnt vmcnt(10)
	v_fma_f64 v[112:113], v[112:113], v[138:139], -v[130:131]
	v_fma_f64 v[114:115], v[114:115], v[138:139], v[144:145]
	v_add_f64 v[118:119], v[118:119], v[126:127]
	v_add_f64 v[116:117], v[116:117], v[120:121]
	s_waitcnt vmcnt(8) lgkmcnt(0)
	v_mul_f64 v[126:127], v[110:111], v[128:129]
	v_mul_f64 v[120:121], v[108:109], v[128:129]
	s_waitcnt vmcnt(6)
	v_fma_f64 v[2:3], v[2:3], v[142:143], -v[124:125]
	v_fma_f64 v[4:5], v[4:5], v[142:143], v[122:123]
	v_add_f64 v[112:113], v[118:119], v[112:113]
	v_add_f64 v[114:115], v[116:117], v[114:115]
	s_waitcnt vmcnt(4)
	v_fma_f64 v[108:109], v[108:109], v[132:133], -v[126:127]
	v_fma_f64 v[110:111], v[110:111], v[132:133], v[120:121]
	v_add_f64 v[2:3], v[112:113], v[2:3]
	v_add_f64 v[4:5], v[114:115], v[4:5]
	;; [unrolled: 1-line block ×4, first 2 shown]
	s_waitcnt vmcnt(2)
	v_add_f64 v[2:3], v[140:141], -v[2:3]
	s_waitcnt vmcnt(0)
	v_add_f64 v[4:5], v[146:147], -v[4:5]
	buffer_store_dword v3, off, s[0:3], 0 offset:436
	buffer_store_dword v2, off, s[0:3], 0 offset:432
	;; [unrolled: 1-line block ×4, first 2 shown]
	v_cmpx_lt_u32_e32 25, v0
	s_cbranch_execz .LBB113_263
; %bb.262:
	v_mov_b32_e32 v5, s37
	s_clause 0x3
	buffer_load_dword v2, v5, s[0:3], 0 offen
	buffer_load_dword v3, v5, s[0:3], 0 offen offset:4
	buffer_load_dword v4, v5, s[0:3], 0 offen offset:8
	;; [unrolled: 1-line block ×3, first 2 shown]
	buffer_store_dword v1, off, s[0:3], 0 offset:416
	buffer_store_dword v1, off, s[0:3], 0 offset:420
	;; [unrolled: 1-line block ×4, first 2 shown]
	s_waitcnt vmcnt(0)
	ds_write_b128 v7, v[2:5]
.LBB113_263:
	s_or_b32 exec_lo, exec_lo, s4
	s_waitcnt lgkmcnt(0)
	s_waitcnt_vscnt null, 0x0
	s_barrier
	buffer_gl0_inv
	s_clause 0x35
	buffer_load_dword v112, off, s[0:3], 0 offset:440
	buffer_load_dword v113, off, s[0:3], 0 offset:444
	;; [unrolled: 1-line block ×54, first 2 shown]
	ds_read_b128 v[2:5], v1 offset:1216
	s_clause 0x3
	buffer_load_dword v168, off, s[0:3], 0 offset:664
	buffer_load_dword v169, off, s[0:3], 0 offset:668
	;; [unrolled: 1-line block ×4, first 2 shown]
	ds_read_b128 v[108:111], v1 offset:1232
	s_clause 0x3
	buffer_load_dword v177, off, s[0:3], 0 offset:684
	buffer_load_dword v176, off, s[0:3], 0 offset:680
	;; [unrolled: 1-line block ×4, first 2 shown]
	s_mov_b32 s4, exec_lo
	s_waitcnt vmcnt(60) lgkmcnt(1)
	v_mul_f64 v[172:173], v[4:5], v[112:113]
	v_mul_f64 v[174:175], v[2:3], v[112:113]
	s_waitcnt vmcnt(58) lgkmcnt(0)
	v_mul_f64 v[180:181], v[110:111], v[116:117]
	ds_read_b128 v[112:115], v1 offset:1248
	v_mul_f64 v[116:117], v[108:109], v[116:117]
	s_waitcnt vmcnt(56)
	v_fma_f64 v[172:173], v[2:3], v[118:119], -v[172:173]
	v_fma_f64 v[118:119], v[4:5], v[118:119], v[174:175]
	s_clause 0x3
	buffer_load_dword v174, off, s[0:3], 0 offset:696
	buffer_load_dword v175, off, s[0:3], 0 offset:700
	;; [unrolled: 1-line block ×4, first 2 shown]
	s_waitcnt vmcnt(58) lgkmcnt(0)
	v_mul_f64 v[184:185], v[112:113], v[120:121]
	v_mul_f64 v[120:121], v[114:115], v[120:121]
	s_waitcnt vmcnt(56)
	v_fma_f64 v[180:181], v[108:109], v[122:123], -v[180:181]
	ds_read_b128 v[2:5], v1 offset:1264
	v_fma_f64 v[116:117], v[110:111], v[122:123], v[116:117]
	s_clause 0x3
	buffer_load_dword v123, off, s[0:3], 0 offset:716
	buffer_load_dword v122, off, s[0:3], 0 offset:712
	;; [unrolled: 1-line block ×4, first 2 shown]
	ds_read_b128 v[108:111], v1 offset:1280
	v_add_f64 v[172:173], v[172:173], 0
	v_add_f64 v[118:119], v[118:119], 0
	s_waitcnt vmcnt(58) lgkmcnt(1)
	v_mul_f64 v[188:189], v[2:3], v[124:125]
	v_mul_f64 v[124:125], v[4:5], v[124:125]
	s_waitcnt vmcnt(56)
	v_fma_f64 v[120:121], v[112:113], v[126:127], -v[120:121]
	v_fma_f64 v[126:127], v[114:115], v[126:127], v[184:185]
	s_waitcnt vmcnt(54) lgkmcnt(0)
	v_mul_f64 v[184:185], v[108:109], v[128:129]
	v_mul_f64 v[128:129], v[110:111], v[128:129]
	v_add_f64 v[172:173], v[172:173], v[180:181]
	v_add_f64 v[116:117], v[118:119], v[116:117]
	s_clause 0x3
	buffer_load_dword v118, off, s[0:3], 0 offset:728
	buffer_load_dword v119, off, s[0:3], 0 offset:732
	;; [unrolled: 1-line block ×4, first 2 shown]
	ds_read_b128 v[112:115], v1 offset:1296
	s_waitcnt vmcnt(56)
	v_fma_f64 v[124:125], v[2:3], v[130:131], -v[124:125]
	v_fma_f64 v[130:131], v[4:5], v[130:131], v[188:189]
	s_waitcnt vmcnt(52)
	v_fma_f64 v[128:129], v[108:109], v[134:135], -v[128:129]
	v_add_f64 v[120:121], v[172:173], v[120:121]
	v_add_f64 v[116:117], v[116:117], v[126:127]
	s_clause 0x3
	buffer_load_dword v127, off, s[0:3], 0 offset:748
	buffer_load_dword v126, off, s[0:3], 0 offset:744
	;; [unrolled: 1-line block ×4, first 2 shown]
	s_waitcnt lgkmcnt(0)
	v_mul_f64 v[188:189], v[112:113], v[132:133]
	v_mul_f64 v[132:133], v[114:115], v[132:133]
	ds_read_b128 v[2:5], v1 offset:1312
	v_add_f64 v[120:121], v[120:121], v[124:125]
	v_fma_f64 v[124:125], v[110:111], v[134:135], v[184:185]
	v_add_f64 v[116:117], v[116:117], v[130:131]
	s_clause 0x3
	buffer_load_dword v130, off, s[0:3], 0 offset:760
	buffer_load_dword v131, off, s[0:3], 0 offset:764
	;; [unrolled: 1-line block ×4, first 2 shown]
	s_waitcnt vmcnt(58) lgkmcnt(0)
	v_mul_f64 v[184:185], v[2:3], v[136:137]
	v_mul_f64 v[136:137], v[4:5], v[136:137]
	s_waitcnt vmcnt(56)
	v_fma_f64 v[132:133], v[112:113], v[138:139], -v[132:133]
	ds_read_b128 v[108:111], v1 offset:1328
	v_add_f64 v[120:121], v[120:121], v[128:129]
	v_fma_f64 v[128:129], v[114:115], v[138:139], v[188:189]
	v_add_f64 v[116:117], v[116:117], v[124:125]
	s_clause 0x3
	buffer_load_dword v125, off, s[0:3], 0 offset:780
	buffer_load_dword v124, off, s[0:3], 0 offset:776
	buffer_load_dword v138, off, s[0:3], 0 offset:752
	buffer_load_dword v139, off, s[0:3], 0 offset:756
	ds_read_b128 v[112:115], v1 offset:1344
	s_waitcnt vmcnt(58) lgkmcnt(1)
	v_mul_f64 v[188:189], v[108:109], v[140:141]
	v_mul_f64 v[140:141], v[110:111], v[140:141]
	s_waitcnt vmcnt(56)
	v_fma_f64 v[136:137], v[2:3], v[142:143], -v[136:137]
	v_add_f64 v[120:121], v[120:121], v[132:133]
	v_fma_f64 v[132:133], v[4:5], v[142:143], v[184:185]
	v_add_f64 v[116:117], v[116:117], v[128:129]
	s_clause 0x3
	buffer_load_dword v128, off, s[0:3], 0 offset:792
	buffer_load_dword v129, off, s[0:3], 0 offset:796
	;; [unrolled: 1-line block ×4, first 2 shown]
	s_waitcnt vmcnt(58) lgkmcnt(0)
	v_mul_f64 v[184:185], v[112:113], v[144:145]
	v_mul_f64 v[144:145], v[114:115], v[144:145]
	s_waitcnt vmcnt(56)
	v_fma_f64 v[140:141], v[108:109], v[146:147], -v[140:141]
	ds_read_b128 v[2:5], v1 offset:1360
	v_add_f64 v[120:121], v[120:121], v[136:137]
	v_fma_f64 v[136:137], v[110:111], v[146:147], v[188:189]
	v_add_f64 v[116:117], v[116:117], v[132:133]
	s_clause 0x3
	buffer_load_dword v133, off, s[0:3], 0 offset:812
	buffer_load_dword v132, off, s[0:3], 0 offset:808
	;; [unrolled: 1-line block ×4, first 2 shown]
	ds_read_b128 v[108:111], v1 offset:1376
	s_waitcnt vmcnt(58) lgkmcnt(1)
	v_mul_f64 v[188:189], v[2:3], v[148:149]
	v_mul_f64 v[148:149], v[4:5], v[148:149]
	s_waitcnt vmcnt(56)
	v_fma_f64 v[144:145], v[112:113], v[150:151], -v[144:145]
	v_add_f64 v[120:121], v[120:121], v[140:141]
	v_fma_f64 v[140:141], v[114:115], v[150:151], v[184:185]
	v_add_f64 v[116:117], v[116:117], v[136:137]
	s_clause 0x1
	buffer_load_dword v137, off, s[0:3], 0 offset:804
	buffer_load_dword v136, off, s[0:3], 0 offset:800
	s_waitcnt vmcnt(56) lgkmcnt(0)
	v_mul_f64 v[150:151], v[108:109], v[152:153]
	v_mul_f64 v[152:153], v[110:111], v[152:153]
	s_waitcnt vmcnt(54)
	v_fma_f64 v[148:149], v[2:3], v[154:155], -v[148:149]
	ds_read_b128 v[112:115], v1 offset:1392
	v_add_f64 v[120:121], v[120:121], v[144:145]
	v_fma_f64 v[144:145], v[4:5], v[154:155], v[188:189]
	v_add_f64 v[116:117], v[116:117], v[140:141]
	ds_read_b128 v[2:5], v1 offset:1408
	s_waitcnt vmcnt(52) lgkmcnt(1)
	v_mul_f64 v[154:155], v[114:115], v[156:157]
	s_waitcnt vmcnt(50)
	v_fma_f64 v[152:153], v[108:109], v[158:159], -v[152:153]
	v_mul_f64 v[140:141], v[112:113], v[156:157]
	v_add_f64 v[120:121], v[120:121], v[148:149]
	v_fma_f64 v[148:149], v[110:111], v[158:159], v[150:151]
	v_add_f64 v[116:117], v[116:117], v[144:145]
	s_clause 0x3
	buffer_load_dword v144, off, s[0:3], 0 offset:416
	buffer_load_dword v145, off, s[0:3], 0 offset:420
	;; [unrolled: 1-line block ×4, first 2 shown]
	s_waitcnt vmcnt(52) lgkmcnt(0)
	v_mul_f64 v[158:159], v[4:5], v[160:161]
	s_waitcnt vmcnt(50)
	v_fma_f64 v[154:155], v[112:113], v[162:163], -v[154:155]
	ds_read_b128 v[108:111], v1 offset:1424
	v_mul_f64 v[156:157], v[2:3], v[160:161]
	v_fma_f64 v[140:141], v[114:115], v[162:163], v[140:141]
	ds_read_b128 v[112:115], v1 offset:1440
	v_add_f64 v[120:121], v[120:121], v[152:153]
	v_add_f64 v[116:117], v[116:117], v[148:149]
	s_waitcnt vmcnt(48) lgkmcnt(1)
	v_mul_f64 v[152:153], v[110:111], v[164:165]
	s_waitcnt vmcnt(46)
	v_fma_f64 v[158:159], v[2:3], v[166:167], -v[158:159]
	v_mul_f64 v[148:149], v[108:109], v[164:165]
	v_add_f64 v[120:121], v[120:121], v[154:155]
	v_fma_f64 v[154:155], v[4:5], v[166:167], v[156:157]
	v_add_f64 v[116:117], v[116:117], v[140:141]
	s_waitcnt vmcnt(44) lgkmcnt(0)
	v_mul_f64 v[156:157], v[114:115], v[168:169]
	s_waitcnt vmcnt(42)
	v_fma_f64 v[152:153], v[108:109], v[170:171], -v[152:153]
	ds_read_b128 v[2:5], v1 offset:1456
	v_mul_f64 v[140:141], v[112:113], v[168:169]
	v_fma_f64 v[148:149], v[110:111], v[170:171], v[148:149]
	ds_read_b128 v[108:111], v1 offset:1472
	v_add_f64 v[120:121], v[120:121], v[158:159]
	v_add_f64 v[116:117], v[116:117], v[154:155]
	s_waitcnt vmcnt(40) lgkmcnt(1)
	v_mul_f64 v[158:159], v[4:5], v[176:177]
	s_waitcnt vmcnt(38)
	v_fma_f64 v[156:157], v[112:113], v[178:179], -v[156:157]
	v_mul_f64 v[154:155], v[2:3], v[176:177]
	v_fma_f64 v[140:141], v[114:115], v[178:179], v[140:141]
	ds_read_b128 v[112:115], v1 offset:1488
	v_add_f64 v[120:121], v[120:121], v[152:153]
	v_add_f64 v[116:117], v[116:117], v[148:149]
	s_waitcnt vmcnt(36) lgkmcnt(1)
	v_mul_f64 v[152:153], v[110:111], v[174:175]
	v_mul_f64 v[148:149], v[108:109], v[174:175]
	s_waitcnt vmcnt(34)
	v_fma_f64 v[158:159], v[2:3], v[182:183], -v[158:159]
	v_fma_f64 v[154:155], v[4:5], v[182:183], v[154:155]
	ds_read_b128 v[2:5], v1 offset:1504
	v_add_f64 v[120:121], v[120:121], v[156:157]
	v_add_f64 v[116:117], v[116:117], v[140:141]
	s_waitcnt vmcnt(32) lgkmcnt(1)
	v_mul_f64 v[140:141], v[112:113], v[122:123]
	v_mul_f64 v[122:123], v[114:115], v[122:123]
	s_waitcnt vmcnt(30)
	v_fma_f64 v[152:153], v[108:109], v[186:187], -v[152:153]
	v_fma_f64 v[148:149], v[110:111], v[186:187], v[148:149]
	ds_read_b128 v[108:111], v1 offset:1520
	v_add_f64 v[120:121], v[120:121], v[158:159]
	v_add_f64 v[116:117], v[116:117], v[154:155]
	s_waitcnt vmcnt(28) lgkmcnt(1)
	v_mul_f64 v[154:155], v[2:3], v[118:119]
	v_mul_f64 v[118:119], v[4:5], v[118:119]
	s_waitcnt vmcnt(26)
	v_fma_f64 v[122:123], v[112:113], v[180:181], -v[122:123]
	v_fma_f64 v[140:141], v[114:115], v[180:181], v[140:141]
	ds_read_b128 v[112:115], v1 offset:1536
	v_add_f64 v[120:121], v[120:121], v[152:153]
	v_add_f64 v[116:117], v[116:117], v[148:149]
	s_waitcnt vmcnt(24) lgkmcnt(1)
	v_mul_f64 v[148:149], v[108:109], v[126:127]
	v_mul_f64 v[126:127], v[110:111], v[126:127]
	s_waitcnt vmcnt(22)
	v_fma_f64 v[118:119], v[2:3], v[172:173], -v[118:119]
	v_add_f64 v[120:121], v[120:121], v[122:123]
	v_fma_f64 v[122:123], v[4:5], v[172:173], v[154:155]
	v_add_f64 v[116:117], v[116:117], v[140:141]
	ds_read_b128 v[2:5], v1 offset:1552
	s_waitcnt vmcnt(20) lgkmcnt(1)
	v_mul_f64 v[140:141], v[112:113], v[130:131]
	v_mul_f64 v[130:131], v[114:115], v[130:131]
	s_waitcnt vmcnt(18)
	v_fma_f64 v[126:127], v[108:109], v[134:135], -v[126:127]
	v_add_f64 v[118:119], v[120:121], v[118:119]
	v_fma_f64 v[120:121], v[110:111], v[134:135], v[148:149]
	v_add_f64 v[116:117], v[116:117], v[122:123]
	ds_read_b128 v[108:111], v1 offset:1568
	s_waitcnt vmcnt(16) lgkmcnt(1)
	v_mul_f64 v[122:123], v[2:3], v[124:125]
	v_mul_f64 v[124:125], v[4:5], v[124:125]
	s_waitcnt vmcnt(14)
	v_fma_f64 v[130:131], v[112:113], v[138:139], -v[130:131]
	;; [unrolled: 9-line block ×3, first 2 shown]
	v_fma_f64 v[3:4], v[4:5], v[142:143], v[122:123]
	v_add_f64 v[118:119], v[118:119], v[130:131]
	v_add_f64 v[5:6], v[116:117], v[126:127]
	s_waitcnt vmcnt(8) lgkmcnt(0)
	v_mul_f64 v[122:123], v[114:115], v[132:133]
	v_mul_f64 v[116:117], v[112:113], v[132:133]
	s_waitcnt vmcnt(6)
	v_fma_f64 v[108:109], v[108:109], v[146:147], -v[128:129]
	v_fma_f64 v[110:111], v[110:111], v[146:147], v[120:121]
	v_add_f64 v[1:2], v[118:119], v[1:2]
	v_add_f64 v[3:4], v[5:6], v[3:4]
	s_waitcnt vmcnt(4)
	v_fma_f64 v[5:6], v[112:113], v[136:137], -v[122:123]
	v_add_f64 v[1:2], v[1:2], v[108:109]
	v_fma_f64 v[108:109], v[114:115], v[136:137], v[116:117]
	v_add_f64 v[3:4], v[3:4], v[110:111]
	v_add_f64 v[1:2], v[1:2], v[5:6]
	;; [unrolled: 1-line block ×3, first 2 shown]
	s_waitcnt vmcnt(2)
	v_add_f64 v[1:2], v[144:145], -v[1:2]
	s_waitcnt vmcnt(0)
	v_add_f64 v[3:4], v[150:151], -v[3:4]
	buffer_store_dword v2, off, s[0:3], 0 offset:420
	buffer_store_dword v1, off, s[0:3], 0 offset:416
	;; [unrolled: 1-line block ×4, first 2 shown]
	v_cmpx_lt_u32_e32 24, v0
	s_cbranch_execz .LBB113_265
; %bb.264:
	v_mov_b32_e32 v4, s38
	v_mov_b32_e32 v5, 0
	s_clause 0x3
	buffer_load_dword v1, v4, s[0:3], 0 offen
	buffer_load_dword v2, v4, s[0:3], 0 offen offset:4
	buffer_load_dword v3, v4, s[0:3], 0 offen offset:8
	;; [unrolled: 1-line block ×3, first 2 shown]
	buffer_store_dword v5, off, s[0:3], 0 offset:400
	buffer_store_dword v5, off, s[0:3], 0 offset:404
	;; [unrolled: 1-line block ×4, first 2 shown]
	s_waitcnt vmcnt(0)
	ds_write_b128 v7, v[1:4]
.LBB113_265:
	s_or_b32 exec_lo, exec_lo, s4
	s_waitcnt lgkmcnt(0)
	s_waitcnt_vscnt null, 0x0
	s_barrier
	buffer_gl0_inv
	s_clause 0x35
	buffer_load_dword v112, off, s[0:3], 0 offset:424
	buffer_load_dword v113, off, s[0:3], 0 offset:428
	;; [unrolled: 1-line block ×54, first 2 shown]
	v_mov_b32_e32 v1, 0
	s_mov_b32 s4, exec_lo
	ds_read_b128 v[2:5], v1 offset:1200
	s_clause 0x3
	buffer_load_dword v168, off, s[0:3], 0 offset:648
	buffer_load_dword v169, off, s[0:3], 0 offset:652
	;; [unrolled: 1-line block ×4, first 2 shown]
	ds_read_b128 v[108:111], v1 offset:1216
	s_clause 0x3
	buffer_load_dword v177, off, s[0:3], 0 offset:668
	buffer_load_dword v176, off, s[0:3], 0 offset:664
	;; [unrolled: 1-line block ×4, first 2 shown]
	s_waitcnt vmcnt(60) lgkmcnt(1)
	v_mul_f64 v[172:173], v[4:5], v[112:113]
	v_mul_f64 v[174:175], v[2:3], v[112:113]
	s_waitcnt vmcnt(58) lgkmcnt(0)
	v_mul_f64 v[180:181], v[110:111], v[116:117]
	ds_read_b128 v[112:115], v1 offset:1232
	v_mul_f64 v[116:117], v[108:109], v[116:117]
	s_waitcnt vmcnt(56)
	v_fma_f64 v[172:173], v[2:3], v[118:119], -v[172:173]
	v_fma_f64 v[118:119], v[4:5], v[118:119], v[174:175]
	s_clause 0x3
	buffer_load_dword v174, off, s[0:3], 0 offset:680
	buffer_load_dword v175, off, s[0:3], 0 offset:684
	;; [unrolled: 1-line block ×4, first 2 shown]
	s_waitcnt vmcnt(58) lgkmcnt(0)
	v_mul_f64 v[184:185], v[112:113], v[120:121]
	v_mul_f64 v[120:121], v[114:115], v[120:121]
	s_waitcnt vmcnt(56)
	v_fma_f64 v[180:181], v[108:109], v[122:123], -v[180:181]
	ds_read_b128 v[2:5], v1 offset:1248
	v_fma_f64 v[116:117], v[110:111], v[122:123], v[116:117]
	s_clause 0x3
	buffer_load_dword v123, off, s[0:3], 0 offset:700
	buffer_load_dword v122, off, s[0:3], 0 offset:696
	;; [unrolled: 1-line block ×4, first 2 shown]
	ds_read_b128 v[108:111], v1 offset:1264
	v_add_f64 v[172:173], v[172:173], 0
	v_add_f64 v[118:119], v[118:119], 0
	s_waitcnt vmcnt(58) lgkmcnt(1)
	v_mul_f64 v[188:189], v[2:3], v[124:125]
	v_mul_f64 v[124:125], v[4:5], v[124:125]
	s_waitcnt vmcnt(56)
	v_fma_f64 v[120:121], v[112:113], v[126:127], -v[120:121]
	v_fma_f64 v[126:127], v[114:115], v[126:127], v[184:185]
	s_waitcnt vmcnt(54) lgkmcnt(0)
	v_mul_f64 v[184:185], v[108:109], v[128:129]
	v_mul_f64 v[128:129], v[110:111], v[128:129]
	v_add_f64 v[172:173], v[172:173], v[180:181]
	v_add_f64 v[116:117], v[118:119], v[116:117]
	s_clause 0x3
	buffer_load_dword v118, off, s[0:3], 0 offset:712
	buffer_load_dword v119, off, s[0:3], 0 offset:716
	;; [unrolled: 1-line block ×4, first 2 shown]
	ds_read_b128 v[112:115], v1 offset:1280
	s_waitcnt vmcnt(56)
	v_fma_f64 v[124:125], v[2:3], v[130:131], -v[124:125]
	v_fma_f64 v[130:131], v[4:5], v[130:131], v[188:189]
	s_waitcnt vmcnt(52)
	v_fma_f64 v[128:129], v[108:109], v[134:135], -v[128:129]
	v_add_f64 v[120:121], v[172:173], v[120:121]
	v_add_f64 v[116:117], v[116:117], v[126:127]
	s_clause 0x3
	buffer_load_dword v127, off, s[0:3], 0 offset:732
	buffer_load_dword v126, off, s[0:3], 0 offset:728
	;; [unrolled: 1-line block ×4, first 2 shown]
	s_waitcnt lgkmcnt(0)
	v_mul_f64 v[188:189], v[112:113], v[132:133]
	v_mul_f64 v[132:133], v[114:115], v[132:133]
	ds_read_b128 v[2:5], v1 offset:1296
	v_add_f64 v[120:121], v[120:121], v[124:125]
	v_fma_f64 v[124:125], v[110:111], v[134:135], v[184:185]
	v_add_f64 v[116:117], v[116:117], v[130:131]
	s_clause 0x3
	buffer_load_dword v130, off, s[0:3], 0 offset:744
	buffer_load_dword v131, off, s[0:3], 0 offset:748
	;; [unrolled: 1-line block ×4, first 2 shown]
	s_waitcnt vmcnt(58) lgkmcnt(0)
	v_mul_f64 v[184:185], v[2:3], v[136:137]
	v_mul_f64 v[136:137], v[4:5], v[136:137]
	s_waitcnt vmcnt(56)
	v_fma_f64 v[132:133], v[112:113], v[138:139], -v[132:133]
	ds_read_b128 v[108:111], v1 offset:1312
	v_add_f64 v[120:121], v[120:121], v[128:129]
	v_fma_f64 v[128:129], v[114:115], v[138:139], v[188:189]
	v_add_f64 v[116:117], v[116:117], v[124:125]
	s_clause 0x3
	buffer_load_dword v125, off, s[0:3], 0 offset:764
	buffer_load_dword v124, off, s[0:3], 0 offset:760
	;; [unrolled: 1-line block ×4, first 2 shown]
	ds_read_b128 v[112:115], v1 offset:1328
	s_waitcnt vmcnt(58) lgkmcnt(1)
	v_mul_f64 v[188:189], v[108:109], v[140:141]
	v_mul_f64 v[140:141], v[110:111], v[140:141]
	s_waitcnt vmcnt(56)
	v_fma_f64 v[136:137], v[2:3], v[142:143], -v[136:137]
	v_add_f64 v[120:121], v[120:121], v[132:133]
	v_fma_f64 v[132:133], v[4:5], v[142:143], v[184:185]
	v_add_f64 v[116:117], v[116:117], v[128:129]
	s_clause 0x3
	buffer_load_dword v128, off, s[0:3], 0 offset:776
	buffer_load_dword v129, off, s[0:3], 0 offset:780
	;; [unrolled: 1-line block ×4, first 2 shown]
	s_waitcnt vmcnt(58) lgkmcnt(0)
	v_mul_f64 v[184:185], v[112:113], v[144:145]
	v_mul_f64 v[144:145], v[114:115], v[144:145]
	s_waitcnt vmcnt(56)
	v_fma_f64 v[140:141], v[108:109], v[146:147], -v[140:141]
	ds_read_b128 v[2:5], v1 offset:1344
	v_add_f64 v[120:121], v[120:121], v[136:137]
	v_fma_f64 v[136:137], v[110:111], v[146:147], v[188:189]
	v_add_f64 v[116:117], v[116:117], v[132:133]
	s_clause 0x3
	buffer_load_dword v133, off, s[0:3], 0 offset:796
	buffer_load_dword v132, off, s[0:3], 0 offset:792
	;; [unrolled: 1-line block ×4, first 2 shown]
	ds_read_b128 v[108:111], v1 offset:1360
	s_waitcnt vmcnt(58) lgkmcnt(1)
	v_mul_f64 v[188:189], v[2:3], v[148:149]
	v_mul_f64 v[148:149], v[4:5], v[148:149]
	s_waitcnt vmcnt(56)
	v_fma_f64 v[144:145], v[112:113], v[150:151], -v[144:145]
	v_add_f64 v[120:121], v[120:121], v[140:141]
	v_fma_f64 v[140:141], v[114:115], v[150:151], v[184:185]
	v_add_f64 v[116:117], v[116:117], v[136:137]
	s_clause 0x3
	buffer_load_dword v136, off, s[0:3], 0 offset:808
	buffer_load_dword v137, off, s[0:3], 0 offset:812
	;; [unrolled: 1-line block ×4, first 2 shown]
	s_waitcnt vmcnt(58) lgkmcnt(0)
	v_mul_f64 v[184:185], v[108:109], v[152:153]
	v_mul_f64 v[152:153], v[110:111], v[152:153]
	s_waitcnt vmcnt(56)
	v_fma_f64 v[148:149], v[2:3], v[154:155], -v[148:149]
	ds_read_b128 v[112:115], v1 offset:1376
	v_add_f64 v[120:121], v[120:121], v[144:145]
	v_fma_f64 v[144:145], v[4:5], v[154:155], v[188:189]
	v_add_f64 v[116:117], v[116:117], v[140:141]
	s_clause 0x1
	buffer_load_dword v140, off, s[0:3], 0 offset:800
	buffer_load_dword v141, off, s[0:3], 0 offset:804
	ds_read_b128 v[2:5], v1 offset:1392
	s_waitcnt vmcnt(56) lgkmcnt(1)
	v_mul_f64 v[154:155], v[112:113], v[156:157]
	v_mul_f64 v[156:157], v[114:115], v[156:157]
	s_waitcnt vmcnt(54)
	v_fma_f64 v[152:153], v[108:109], v[158:159], -v[152:153]
	v_add_f64 v[120:121], v[120:121], v[148:149]
	v_fma_f64 v[148:149], v[110:111], v[158:159], v[184:185]
	v_add_f64 v[116:117], v[116:117], v[144:145]
	ds_read_b128 v[108:111], v1 offset:1408
	s_waitcnt vmcnt(52) lgkmcnt(1)
	v_mul_f64 v[158:159], v[4:5], v[160:161]
	v_mul_f64 v[144:145], v[2:3], v[160:161]
	s_waitcnt vmcnt(50)
	v_fma_f64 v[156:157], v[112:113], v[162:163], -v[156:157]
	v_add_f64 v[120:121], v[120:121], v[152:153]
	v_fma_f64 v[152:153], v[114:115], v[162:163], v[154:155]
	v_add_f64 v[116:117], v[116:117], v[148:149]
	s_clause 0x3
	buffer_load_dword v148, off, s[0:3], 0 offset:400
	buffer_load_dword v149, off, s[0:3], 0 offset:404
	;; [unrolled: 1-line block ×4, first 2 shown]
	s_waitcnt vmcnt(52) lgkmcnt(0)
	v_mul_f64 v[162:163], v[110:111], v[164:165]
	s_waitcnt vmcnt(50)
	v_fma_f64 v[158:159], v[2:3], v[166:167], -v[158:159]
	ds_read_b128 v[112:115], v1 offset:1424
	v_mul_f64 v[160:161], v[108:109], v[164:165]
	v_fma_f64 v[144:145], v[4:5], v[166:167], v[144:145]
	ds_read_b128 v[2:5], v1 offset:1440
	v_add_f64 v[120:121], v[120:121], v[156:157]
	v_add_f64 v[116:117], v[116:117], v[152:153]
	s_waitcnt vmcnt(48) lgkmcnt(1)
	v_mul_f64 v[156:157], v[114:115], v[168:169]
	s_waitcnt vmcnt(46)
	v_fma_f64 v[162:163], v[108:109], v[170:171], -v[162:163]
	v_mul_f64 v[152:153], v[112:113], v[168:169]
	v_add_f64 v[120:121], v[120:121], v[158:159]
	v_fma_f64 v[158:159], v[110:111], v[170:171], v[160:161]
	v_add_f64 v[116:117], v[116:117], v[144:145]
	s_waitcnt vmcnt(44) lgkmcnt(0)
	v_mul_f64 v[160:161], v[4:5], v[176:177]
	s_waitcnt vmcnt(42)
	v_fma_f64 v[156:157], v[112:113], v[178:179], -v[156:157]
	ds_read_b128 v[108:111], v1 offset:1456
	v_mul_f64 v[144:145], v[2:3], v[176:177]
	v_fma_f64 v[152:153], v[114:115], v[178:179], v[152:153]
	ds_read_b128 v[112:115], v1 offset:1472
	v_add_f64 v[120:121], v[120:121], v[162:163]
	v_add_f64 v[116:117], v[116:117], v[158:159]
	s_waitcnt vmcnt(40) lgkmcnt(1)
	v_mul_f64 v[162:163], v[110:111], v[174:175]
	v_mul_f64 v[158:159], v[108:109], v[174:175]
	s_waitcnt vmcnt(38)
	v_fma_f64 v[160:161], v[2:3], v[182:183], -v[160:161]
	v_fma_f64 v[144:145], v[4:5], v[182:183], v[144:145]
	ds_read_b128 v[2:5], v1 offset:1488
	v_add_f64 v[120:121], v[120:121], v[156:157]
	v_add_f64 v[116:117], v[116:117], v[152:153]
	s_waitcnt vmcnt(36) lgkmcnt(1)
	v_mul_f64 v[152:153], v[112:113], v[122:123]
	v_mul_f64 v[122:123], v[114:115], v[122:123]
	s_waitcnt vmcnt(34)
	v_fma_f64 v[156:157], v[108:109], v[186:187], -v[162:163]
	;; [unrolled: 9-line block ×4, first 2 shown]
	v_add_f64 v[120:121], v[120:121], v[122:123]
	v_fma_f64 v[122:123], v[4:5], v[172:173], v[144:145]
	v_add_f64 v[116:117], v[116:117], v[152:153]
	ds_read_b128 v[2:5], v1 offset:1536
	s_waitcnt vmcnt(24) lgkmcnt(1)
	v_mul_f64 v[144:145], v[112:113], v[130:131]
	v_mul_f64 v[130:131], v[114:115], v[130:131]
	s_waitcnt vmcnt(22)
	v_fma_f64 v[126:127], v[108:109], v[134:135], -v[126:127]
	v_add_f64 v[118:119], v[120:121], v[118:119]
	v_fma_f64 v[120:121], v[110:111], v[134:135], v[156:157]
	v_add_f64 v[116:117], v[116:117], v[122:123]
	ds_read_b128 v[108:111], v1 offset:1552
	s_waitcnt vmcnt(20) lgkmcnt(1)
	v_mul_f64 v[122:123], v[2:3], v[124:125]
	v_mul_f64 v[124:125], v[4:5], v[124:125]
	s_waitcnt vmcnt(18)
	v_fma_f64 v[130:131], v[112:113], v[138:139], -v[130:131]
	;; [unrolled: 9-line block ×3, first 2 shown]
	v_fma_f64 v[122:123], v[4:5], v[142:143], v[122:123]
	ds_read_b128 v[2:5], v1 offset:1584
	v_add_f64 v[118:119], v[118:119], v[130:131]
	v_add_f64 v[116:117], v[116:117], v[126:127]
	s_waitcnt vmcnt(12) lgkmcnt(1)
	v_mul_f64 v[130:131], v[114:115], v[132:133]
	v_mul_f64 v[126:127], v[112:113], v[132:133]
	s_waitcnt vmcnt(10)
	v_fma_f64 v[108:109], v[108:109], v[146:147], -v[128:129]
	v_fma_f64 v[110:111], v[110:111], v[146:147], v[120:121]
	v_add_f64 v[118:119], v[118:119], v[124:125]
	v_add_f64 v[116:117], v[116:117], v[122:123]
	s_waitcnt vmcnt(8) lgkmcnt(0)
	v_mul_f64 v[122:123], v[4:5], v[136:137]
	v_mul_f64 v[120:121], v[2:3], v[136:137]
	s_waitcnt vmcnt(6)
	v_fma_f64 v[112:113], v[112:113], v[150:151], -v[130:131]
	v_fma_f64 v[114:115], v[114:115], v[150:151], v[126:127]
	v_add_f64 v[108:109], v[118:119], v[108:109]
	v_add_f64 v[110:111], v[116:117], v[110:111]
	s_waitcnt vmcnt(4)
	v_fma_f64 v[2:3], v[2:3], v[140:141], -v[122:123]
	v_fma_f64 v[4:5], v[4:5], v[140:141], v[120:121]
	v_add_f64 v[108:109], v[108:109], v[112:113]
	v_add_f64 v[110:111], v[110:111], v[114:115]
	;; [unrolled: 1-line block ×4, first 2 shown]
	s_waitcnt vmcnt(2)
	v_add_f64 v[2:3], v[148:149], -v[2:3]
	s_waitcnt vmcnt(0)
	v_add_f64 v[4:5], v[154:155], -v[4:5]
	buffer_store_dword v3, off, s[0:3], 0 offset:404
	buffer_store_dword v2, off, s[0:3], 0 offset:400
	;; [unrolled: 1-line block ×4, first 2 shown]
	v_cmpx_lt_u32_e32 23, v0
	s_cbranch_execz .LBB113_267
; %bb.266:
	v_mov_b32_e32 v5, s39
	s_clause 0x3
	buffer_load_dword v2, v5, s[0:3], 0 offen
	buffer_load_dword v3, v5, s[0:3], 0 offen offset:4
	buffer_load_dword v4, v5, s[0:3], 0 offen offset:8
	;; [unrolled: 1-line block ×3, first 2 shown]
	buffer_store_dword v1, off, s[0:3], 0 offset:384
	buffer_store_dword v1, off, s[0:3], 0 offset:388
	;; [unrolled: 1-line block ×4, first 2 shown]
	s_waitcnt vmcnt(0)
	ds_write_b128 v7, v[2:5]
.LBB113_267:
	s_or_b32 exec_lo, exec_lo, s4
	s_waitcnt lgkmcnt(0)
	s_waitcnt_vscnt null, 0x0
	s_barrier
	buffer_gl0_inv
	s_clause 0x35
	buffer_load_dword v112, off, s[0:3], 0 offset:408
	buffer_load_dword v113, off, s[0:3], 0 offset:412
	;; [unrolled: 1-line block ×54, first 2 shown]
	ds_read_b128 v[2:5], v1 offset:1184
	s_clause 0x3
	buffer_load_dword v168, off, s[0:3], 0 offset:632
	buffer_load_dword v169, off, s[0:3], 0 offset:636
	;; [unrolled: 1-line block ×4, first 2 shown]
	ds_read_b128 v[108:111], v1 offset:1200
	s_clause 0x3
	buffer_load_dword v177, off, s[0:3], 0 offset:652
	buffer_load_dword v176, off, s[0:3], 0 offset:648
	;; [unrolled: 1-line block ×4, first 2 shown]
	s_mov_b32 s4, exec_lo
	s_waitcnt vmcnt(60) lgkmcnt(1)
	v_mul_f64 v[172:173], v[4:5], v[112:113]
	v_mul_f64 v[174:175], v[2:3], v[112:113]
	s_waitcnt vmcnt(58) lgkmcnt(0)
	v_mul_f64 v[180:181], v[110:111], v[116:117]
	ds_read_b128 v[112:115], v1 offset:1216
	v_mul_f64 v[116:117], v[108:109], v[116:117]
	s_waitcnt vmcnt(56)
	v_fma_f64 v[172:173], v[2:3], v[118:119], -v[172:173]
	v_fma_f64 v[118:119], v[4:5], v[118:119], v[174:175]
	s_clause 0x3
	buffer_load_dword v174, off, s[0:3], 0 offset:664
	buffer_load_dword v175, off, s[0:3], 0 offset:668
	;; [unrolled: 1-line block ×4, first 2 shown]
	s_waitcnt vmcnt(58) lgkmcnt(0)
	v_mul_f64 v[184:185], v[112:113], v[120:121]
	v_mul_f64 v[120:121], v[114:115], v[120:121]
	s_waitcnt vmcnt(56)
	v_fma_f64 v[180:181], v[108:109], v[122:123], -v[180:181]
	ds_read_b128 v[2:5], v1 offset:1232
	v_fma_f64 v[116:117], v[110:111], v[122:123], v[116:117]
	s_clause 0x3
	buffer_load_dword v123, off, s[0:3], 0 offset:684
	buffer_load_dword v122, off, s[0:3], 0 offset:680
	;; [unrolled: 1-line block ×4, first 2 shown]
	ds_read_b128 v[108:111], v1 offset:1248
	v_add_f64 v[172:173], v[172:173], 0
	v_add_f64 v[118:119], v[118:119], 0
	s_waitcnt vmcnt(58) lgkmcnt(1)
	v_mul_f64 v[188:189], v[2:3], v[124:125]
	v_mul_f64 v[124:125], v[4:5], v[124:125]
	s_waitcnt vmcnt(56)
	v_fma_f64 v[120:121], v[112:113], v[126:127], -v[120:121]
	v_fma_f64 v[126:127], v[114:115], v[126:127], v[184:185]
	s_waitcnt vmcnt(54) lgkmcnt(0)
	v_mul_f64 v[184:185], v[108:109], v[128:129]
	v_mul_f64 v[128:129], v[110:111], v[128:129]
	v_add_f64 v[172:173], v[172:173], v[180:181]
	v_add_f64 v[116:117], v[118:119], v[116:117]
	s_clause 0x3
	buffer_load_dword v118, off, s[0:3], 0 offset:696
	buffer_load_dword v119, off, s[0:3], 0 offset:700
	;; [unrolled: 1-line block ×4, first 2 shown]
	ds_read_b128 v[112:115], v1 offset:1264
	s_waitcnt vmcnt(56)
	v_fma_f64 v[124:125], v[2:3], v[130:131], -v[124:125]
	v_fma_f64 v[130:131], v[4:5], v[130:131], v[188:189]
	s_waitcnt vmcnt(52)
	v_fma_f64 v[128:129], v[108:109], v[134:135], -v[128:129]
	v_add_f64 v[120:121], v[172:173], v[120:121]
	v_add_f64 v[116:117], v[116:117], v[126:127]
	s_clause 0x3
	buffer_load_dword v127, off, s[0:3], 0 offset:716
	buffer_load_dword v126, off, s[0:3], 0 offset:712
	;; [unrolled: 1-line block ×4, first 2 shown]
	s_waitcnt lgkmcnt(0)
	v_mul_f64 v[188:189], v[112:113], v[132:133]
	v_mul_f64 v[132:133], v[114:115], v[132:133]
	ds_read_b128 v[2:5], v1 offset:1280
	v_add_f64 v[120:121], v[120:121], v[124:125]
	v_fma_f64 v[124:125], v[110:111], v[134:135], v[184:185]
	v_add_f64 v[116:117], v[116:117], v[130:131]
	s_clause 0x3
	buffer_load_dword v130, off, s[0:3], 0 offset:728
	buffer_load_dword v131, off, s[0:3], 0 offset:732
	buffer_load_dword v135, off, s[0:3], 0 offset:708
	buffer_load_dword v134, off, s[0:3], 0 offset:704
	s_waitcnt vmcnt(58) lgkmcnt(0)
	v_mul_f64 v[184:185], v[2:3], v[136:137]
	v_mul_f64 v[136:137], v[4:5], v[136:137]
	s_waitcnt vmcnt(56)
	v_fma_f64 v[132:133], v[112:113], v[138:139], -v[132:133]
	ds_read_b128 v[108:111], v1 offset:1296
	v_add_f64 v[120:121], v[120:121], v[128:129]
	v_fma_f64 v[128:129], v[114:115], v[138:139], v[188:189]
	v_add_f64 v[116:117], v[116:117], v[124:125]
	s_clause 0x3
	buffer_load_dword v125, off, s[0:3], 0 offset:748
	buffer_load_dword v124, off, s[0:3], 0 offset:744
	buffer_load_dword v138, off, s[0:3], 0 offset:720
	buffer_load_dword v139, off, s[0:3], 0 offset:724
	ds_read_b128 v[112:115], v1 offset:1312
	s_waitcnt vmcnt(58) lgkmcnt(1)
	v_mul_f64 v[188:189], v[108:109], v[140:141]
	v_mul_f64 v[140:141], v[110:111], v[140:141]
	s_waitcnt vmcnt(56)
	v_fma_f64 v[136:137], v[2:3], v[142:143], -v[136:137]
	v_add_f64 v[120:121], v[120:121], v[132:133]
	v_fma_f64 v[132:133], v[4:5], v[142:143], v[184:185]
	v_add_f64 v[116:117], v[116:117], v[128:129]
	s_clause 0x3
	buffer_load_dword v128, off, s[0:3], 0 offset:760
	buffer_load_dword v129, off, s[0:3], 0 offset:764
	buffer_load_dword v143, off, s[0:3], 0 offset:740
	buffer_load_dword v142, off, s[0:3], 0 offset:736
	s_waitcnt vmcnt(58) lgkmcnt(0)
	v_mul_f64 v[184:185], v[112:113], v[144:145]
	v_mul_f64 v[144:145], v[114:115], v[144:145]
	s_waitcnt vmcnt(56)
	v_fma_f64 v[140:141], v[108:109], v[146:147], -v[140:141]
	ds_read_b128 v[2:5], v1 offset:1328
	v_add_f64 v[120:121], v[120:121], v[136:137]
	v_fma_f64 v[136:137], v[110:111], v[146:147], v[188:189]
	v_add_f64 v[116:117], v[116:117], v[132:133]
	s_clause 0x3
	buffer_load_dword v133, off, s[0:3], 0 offset:780
	buffer_load_dword v132, off, s[0:3], 0 offset:776
	buffer_load_dword v146, off, s[0:3], 0 offset:752
	buffer_load_dword v147, off, s[0:3], 0 offset:756
	ds_read_b128 v[108:111], v1 offset:1344
	s_waitcnt vmcnt(58) lgkmcnt(1)
	v_mul_f64 v[188:189], v[2:3], v[148:149]
	v_mul_f64 v[148:149], v[4:5], v[148:149]
	s_waitcnt vmcnt(56)
	v_fma_f64 v[144:145], v[112:113], v[150:151], -v[144:145]
	;; [unrolled: 28-line block ×3, first 2 shown]
	v_add_f64 v[120:121], v[120:121], v[148:149]
	v_fma_f64 v[148:149], v[110:111], v[158:159], v[184:185]
	v_add_f64 v[116:117], v[116:117], v[144:145]
	s_clause 0x1
	buffer_load_dword v145, off, s[0:3], 0 offset:804
	buffer_load_dword v144, off, s[0:3], 0 offset:800
	s_waitcnt vmcnt(56) lgkmcnt(0)
	v_mul_f64 v[158:159], v[2:3], v[160:161]
	v_mul_f64 v[160:161], v[4:5], v[160:161]
	s_waitcnt vmcnt(54)
	v_fma_f64 v[156:157], v[112:113], v[162:163], -v[156:157]
	ds_read_b128 v[108:111], v1 offset:1392
	v_add_f64 v[120:121], v[120:121], v[152:153]
	v_fma_f64 v[152:153], v[114:115], v[162:163], v[188:189]
	v_add_f64 v[116:117], v[116:117], v[148:149]
	ds_read_b128 v[112:115], v1 offset:1408
	s_waitcnt vmcnt(52) lgkmcnt(1)
	v_mul_f64 v[162:163], v[110:111], v[164:165]
	s_waitcnt vmcnt(50)
	v_fma_f64 v[160:161], v[2:3], v[166:167], -v[160:161]
	v_mul_f64 v[148:149], v[108:109], v[164:165]
	v_add_f64 v[120:121], v[120:121], v[156:157]
	v_fma_f64 v[156:157], v[4:5], v[166:167], v[158:159]
	v_add_f64 v[116:117], v[116:117], v[152:153]
	s_clause 0x3
	buffer_load_dword v152, off, s[0:3], 0 offset:384
	buffer_load_dword v153, off, s[0:3], 0 offset:388
	;; [unrolled: 1-line block ×4, first 2 shown]
	s_waitcnt vmcnt(52) lgkmcnt(0)
	v_mul_f64 v[166:167], v[114:115], v[168:169]
	s_waitcnt vmcnt(50)
	v_fma_f64 v[162:163], v[108:109], v[170:171], -v[162:163]
	ds_read_b128 v[2:5], v1 offset:1424
	v_mul_f64 v[164:165], v[112:113], v[168:169]
	v_fma_f64 v[148:149], v[110:111], v[170:171], v[148:149]
	ds_read_b128 v[108:111], v1 offset:1440
	v_add_f64 v[120:121], v[120:121], v[160:161]
	v_add_f64 v[116:117], v[116:117], v[156:157]
	s_waitcnt vmcnt(48) lgkmcnt(1)
	v_mul_f64 v[160:161], v[4:5], v[176:177]
	s_waitcnt vmcnt(46)
	v_fma_f64 v[166:167], v[112:113], v[178:179], -v[166:167]
	v_mul_f64 v[156:157], v[2:3], v[176:177]
	v_add_f64 v[120:121], v[120:121], v[162:163]
	v_fma_f64 v[162:163], v[114:115], v[178:179], v[164:165]
	v_add_f64 v[116:117], v[116:117], v[148:149]
	ds_read_b128 v[112:115], v1 offset:1456
	s_waitcnt vmcnt(44) lgkmcnt(1)
	v_mul_f64 v[164:165], v[110:111], v[174:175]
	v_mul_f64 v[148:149], v[108:109], v[174:175]
	s_waitcnt vmcnt(42)
	v_fma_f64 v[160:161], v[2:3], v[182:183], -v[160:161]
	v_fma_f64 v[156:157], v[4:5], v[182:183], v[156:157]
	ds_read_b128 v[2:5], v1 offset:1472
	v_add_f64 v[120:121], v[120:121], v[166:167]
	v_add_f64 v[116:117], v[116:117], v[162:163]
	s_waitcnt vmcnt(40) lgkmcnt(1)
	v_mul_f64 v[162:163], v[112:113], v[122:123]
	v_mul_f64 v[122:123], v[114:115], v[122:123]
	s_waitcnt vmcnt(38)
	v_fma_f64 v[164:165], v[108:109], v[186:187], -v[164:165]
	v_fma_f64 v[148:149], v[110:111], v[186:187], v[148:149]
	ds_read_b128 v[108:111], v1 offset:1488
	v_add_f64 v[120:121], v[120:121], v[160:161]
	v_add_f64 v[116:117], v[116:117], v[156:157]
	;; [unrolled: 9-line block ×3, first 2 shown]
	s_waitcnt vmcnt(32) lgkmcnt(1)
	v_mul_f64 v[148:149], v[108:109], v[126:127]
	v_mul_f64 v[126:127], v[110:111], v[126:127]
	s_waitcnt vmcnt(30)
	v_fma_f64 v[118:119], v[2:3], v[172:173], -v[118:119]
	v_add_f64 v[120:121], v[120:121], v[122:123]
	v_fma_f64 v[122:123], v[4:5], v[172:173], v[156:157]
	v_add_f64 v[116:117], v[116:117], v[160:161]
	ds_read_b128 v[2:5], v1 offset:1520
	s_waitcnt vmcnt(28) lgkmcnt(1)
	v_mul_f64 v[156:157], v[112:113], v[130:131]
	v_mul_f64 v[130:131], v[114:115], v[130:131]
	s_waitcnt vmcnt(26)
	v_fma_f64 v[126:127], v[108:109], v[134:135], -v[126:127]
	v_add_f64 v[118:119], v[120:121], v[118:119]
	v_fma_f64 v[120:121], v[110:111], v[134:135], v[148:149]
	v_add_f64 v[116:117], v[116:117], v[122:123]
	ds_read_b128 v[108:111], v1 offset:1536
	;; [unrolled: 9-line block ×3, first 2 shown]
	s_waitcnt vmcnt(20) lgkmcnt(1)
	v_mul_f64 v[120:121], v[108:109], v[128:129]
	v_mul_f64 v[128:129], v[110:111], v[128:129]
	s_waitcnt vmcnt(18)
	v_fma_f64 v[124:125], v[2:3], v[142:143], -v[124:125]
	v_fma_f64 v[122:123], v[4:5], v[142:143], v[122:123]
	ds_read_b128 v[2:5], v1 offset:1568
	v_add_f64 v[118:119], v[118:119], v[130:131]
	v_add_f64 v[116:117], v[116:117], v[126:127]
	s_waitcnt vmcnt(16) lgkmcnt(1)
	v_mul_f64 v[130:131], v[114:115], v[132:133]
	v_mul_f64 v[126:127], v[112:113], v[132:133]
	s_waitcnt vmcnt(14)
	v_fma_f64 v[128:129], v[108:109], v[146:147], -v[128:129]
	v_fma_f64 v[120:121], v[110:111], v[146:147], v[120:121]
	ds_read_b128 v[108:111], v1 offset:1584
	v_add_f64 v[118:119], v[118:119], v[124:125]
	v_add_f64 v[116:117], v[116:117], v[122:123]
	s_waitcnt vmcnt(12) lgkmcnt(1)
	v_mul_f64 v[124:125], v[4:5], v[136:137]
	v_mul_f64 v[122:123], v[2:3], v[136:137]
	s_waitcnt vmcnt(10)
	v_fma_f64 v[112:113], v[112:113], v[150:151], -v[130:131]
	v_fma_f64 v[114:115], v[114:115], v[150:151], v[126:127]
	v_add_f64 v[118:119], v[118:119], v[128:129]
	v_add_f64 v[116:117], v[116:117], v[120:121]
	s_waitcnt vmcnt(8) lgkmcnt(0)
	v_mul_f64 v[126:127], v[110:111], v[140:141]
	v_mul_f64 v[120:121], v[108:109], v[140:141]
	s_waitcnt vmcnt(6)
	v_fma_f64 v[1:2], v[2:3], v[154:155], -v[124:125]
	v_fma_f64 v[3:4], v[4:5], v[154:155], v[122:123]
	v_add_f64 v[112:113], v[118:119], v[112:113]
	v_add_f64 v[5:6], v[116:117], v[114:115]
	s_waitcnt vmcnt(4)
	v_fma_f64 v[108:109], v[108:109], v[144:145], -v[126:127]
	v_fma_f64 v[110:111], v[110:111], v[144:145], v[120:121]
	v_add_f64 v[1:2], v[112:113], v[1:2]
	v_add_f64 v[3:4], v[5:6], v[3:4]
	v_add_f64 v[1:2], v[1:2], v[108:109]
	v_add_f64 v[3:4], v[3:4], v[110:111]
	s_waitcnt vmcnt(2)
	v_add_f64 v[1:2], v[152:153], -v[1:2]
	s_waitcnt vmcnt(0)
	v_add_f64 v[3:4], v[158:159], -v[3:4]
	buffer_store_dword v2, off, s[0:3], 0 offset:388
	buffer_store_dword v1, off, s[0:3], 0 offset:384
	;; [unrolled: 1-line block ×4, first 2 shown]
	v_cmpx_lt_u32_e32 22, v0
	s_cbranch_execz .LBB113_269
; %bb.268:
	v_mov_b32_e32 v4, s40
	v_mov_b32_e32 v5, 0
	s_clause 0x3
	buffer_load_dword v1, v4, s[0:3], 0 offen
	buffer_load_dword v2, v4, s[0:3], 0 offen offset:4
	buffer_load_dword v3, v4, s[0:3], 0 offen offset:8
	;; [unrolled: 1-line block ×3, first 2 shown]
	buffer_store_dword v5, off, s[0:3], 0 offset:368
	buffer_store_dword v5, off, s[0:3], 0 offset:372
	;; [unrolled: 1-line block ×4, first 2 shown]
	s_waitcnt vmcnt(0)
	ds_write_b128 v7, v[1:4]
.LBB113_269:
	s_or_b32 exec_lo, exec_lo, s4
	s_waitcnt lgkmcnt(0)
	s_waitcnt_vscnt null, 0x0
	s_barrier
	buffer_gl0_inv
	s_clause 0x35
	buffer_load_dword v112, off, s[0:3], 0 offset:392
	buffer_load_dword v113, off, s[0:3], 0 offset:396
	;; [unrolled: 1-line block ×54, first 2 shown]
	v_mov_b32_e32 v1, 0
	s_mov_b32 s4, exec_lo
	ds_read_b128 v[2:5], v1 offset:1168
	s_clause 0x3
	buffer_load_dword v168, off, s[0:3], 0 offset:616
	buffer_load_dword v169, off, s[0:3], 0 offset:620
	;; [unrolled: 1-line block ×4, first 2 shown]
	ds_read_b128 v[108:111], v1 offset:1184
	s_clause 0x3
	buffer_load_dword v177, off, s[0:3], 0 offset:636
	buffer_load_dword v176, off, s[0:3], 0 offset:632
	;; [unrolled: 1-line block ×4, first 2 shown]
	s_waitcnt vmcnt(60) lgkmcnt(1)
	v_mul_f64 v[172:173], v[4:5], v[112:113]
	v_mul_f64 v[174:175], v[2:3], v[112:113]
	s_waitcnt vmcnt(58) lgkmcnt(0)
	v_mul_f64 v[180:181], v[110:111], v[116:117]
	ds_read_b128 v[112:115], v1 offset:1200
	v_mul_f64 v[116:117], v[108:109], v[116:117]
	s_waitcnt vmcnt(56)
	v_fma_f64 v[172:173], v[2:3], v[118:119], -v[172:173]
	v_fma_f64 v[118:119], v[4:5], v[118:119], v[174:175]
	s_clause 0x3
	buffer_load_dword v174, off, s[0:3], 0 offset:648
	buffer_load_dword v175, off, s[0:3], 0 offset:652
	;; [unrolled: 1-line block ×4, first 2 shown]
	s_waitcnt vmcnt(58) lgkmcnt(0)
	v_mul_f64 v[184:185], v[112:113], v[120:121]
	v_mul_f64 v[120:121], v[114:115], v[120:121]
	s_waitcnt vmcnt(56)
	v_fma_f64 v[180:181], v[108:109], v[122:123], -v[180:181]
	ds_read_b128 v[2:5], v1 offset:1216
	v_fma_f64 v[116:117], v[110:111], v[122:123], v[116:117]
	s_clause 0x3
	buffer_load_dword v123, off, s[0:3], 0 offset:668
	buffer_load_dword v122, off, s[0:3], 0 offset:664
	;; [unrolled: 1-line block ×4, first 2 shown]
	ds_read_b128 v[108:111], v1 offset:1232
	v_add_f64 v[172:173], v[172:173], 0
	v_add_f64 v[118:119], v[118:119], 0
	s_waitcnt vmcnt(58) lgkmcnt(1)
	v_mul_f64 v[188:189], v[2:3], v[124:125]
	v_mul_f64 v[124:125], v[4:5], v[124:125]
	s_waitcnt vmcnt(56)
	v_fma_f64 v[120:121], v[112:113], v[126:127], -v[120:121]
	v_fma_f64 v[126:127], v[114:115], v[126:127], v[184:185]
	s_waitcnt vmcnt(54) lgkmcnt(0)
	v_mul_f64 v[184:185], v[108:109], v[128:129]
	v_mul_f64 v[128:129], v[110:111], v[128:129]
	v_add_f64 v[172:173], v[172:173], v[180:181]
	v_add_f64 v[116:117], v[118:119], v[116:117]
	s_clause 0x3
	buffer_load_dword v118, off, s[0:3], 0 offset:680
	buffer_load_dword v119, off, s[0:3], 0 offset:684
	;; [unrolled: 1-line block ×4, first 2 shown]
	ds_read_b128 v[112:115], v1 offset:1248
	s_waitcnt vmcnt(56)
	v_fma_f64 v[124:125], v[2:3], v[130:131], -v[124:125]
	v_fma_f64 v[130:131], v[4:5], v[130:131], v[188:189]
	s_waitcnt vmcnt(52)
	v_fma_f64 v[128:129], v[108:109], v[134:135], -v[128:129]
	v_add_f64 v[120:121], v[172:173], v[120:121]
	v_add_f64 v[116:117], v[116:117], v[126:127]
	s_clause 0x3
	buffer_load_dword v127, off, s[0:3], 0 offset:700
	buffer_load_dword v126, off, s[0:3], 0 offset:696
	;; [unrolled: 1-line block ×4, first 2 shown]
	s_waitcnt lgkmcnt(0)
	v_mul_f64 v[188:189], v[112:113], v[132:133]
	v_mul_f64 v[132:133], v[114:115], v[132:133]
	ds_read_b128 v[2:5], v1 offset:1264
	v_add_f64 v[120:121], v[120:121], v[124:125]
	v_fma_f64 v[124:125], v[110:111], v[134:135], v[184:185]
	v_add_f64 v[116:117], v[116:117], v[130:131]
	s_clause 0x3
	buffer_load_dword v130, off, s[0:3], 0 offset:712
	buffer_load_dword v131, off, s[0:3], 0 offset:716
	buffer_load_dword v135, off, s[0:3], 0 offset:692
	buffer_load_dword v134, off, s[0:3], 0 offset:688
	s_waitcnt vmcnt(58) lgkmcnt(0)
	v_mul_f64 v[184:185], v[2:3], v[136:137]
	v_mul_f64 v[136:137], v[4:5], v[136:137]
	s_waitcnt vmcnt(56)
	v_fma_f64 v[132:133], v[112:113], v[138:139], -v[132:133]
	ds_read_b128 v[108:111], v1 offset:1280
	v_add_f64 v[120:121], v[120:121], v[128:129]
	v_fma_f64 v[128:129], v[114:115], v[138:139], v[188:189]
	v_add_f64 v[116:117], v[116:117], v[124:125]
	s_clause 0x3
	buffer_load_dword v125, off, s[0:3], 0 offset:732
	buffer_load_dword v124, off, s[0:3], 0 offset:728
	buffer_load_dword v138, off, s[0:3], 0 offset:704
	buffer_load_dword v139, off, s[0:3], 0 offset:708
	ds_read_b128 v[112:115], v1 offset:1296
	s_waitcnt vmcnt(58) lgkmcnt(1)
	v_mul_f64 v[188:189], v[108:109], v[140:141]
	v_mul_f64 v[140:141], v[110:111], v[140:141]
	s_waitcnt vmcnt(56)
	v_fma_f64 v[136:137], v[2:3], v[142:143], -v[136:137]
	v_add_f64 v[120:121], v[120:121], v[132:133]
	v_fma_f64 v[132:133], v[4:5], v[142:143], v[184:185]
	v_add_f64 v[116:117], v[116:117], v[128:129]
	s_clause 0x3
	buffer_load_dword v128, off, s[0:3], 0 offset:744
	buffer_load_dword v129, off, s[0:3], 0 offset:748
	buffer_load_dword v143, off, s[0:3], 0 offset:724
	buffer_load_dword v142, off, s[0:3], 0 offset:720
	s_waitcnt vmcnt(58) lgkmcnt(0)
	v_mul_f64 v[184:185], v[112:113], v[144:145]
	v_mul_f64 v[144:145], v[114:115], v[144:145]
	s_waitcnt vmcnt(56)
	v_fma_f64 v[140:141], v[108:109], v[146:147], -v[140:141]
	ds_read_b128 v[2:5], v1 offset:1312
	v_add_f64 v[120:121], v[120:121], v[136:137]
	v_fma_f64 v[136:137], v[110:111], v[146:147], v[188:189]
	v_add_f64 v[116:117], v[116:117], v[132:133]
	s_clause 0x3
	buffer_load_dword v133, off, s[0:3], 0 offset:764
	buffer_load_dword v132, off, s[0:3], 0 offset:760
	buffer_load_dword v146, off, s[0:3], 0 offset:736
	buffer_load_dword v147, off, s[0:3], 0 offset:740
	ds_read_b128 v[108:111], v1 offset:1328
	s_waitcnt vmcnt(58) lgkmcnt(1)
	v_mul_f64 v[188:189], v[2:3], v[148:149]
	v_mul_f64 v[148:149], v[4:5], v[148:149]
	s_waitcnt vmcnt(56)
	v_fma_f64 v[144:145], v[112:113], v[150:151], -v[144:145]
	;; [unrolled: 28-line block ×3, first 2 shown]
	v_add_f64 v[120:121], v[120:121], v[148:149]
	v_fma_f64 v[148:149], v[110:111], v[158:159], v[184:185]
	v_add_f64 v[116:117], v[116:117], v[144:145]
	s_clause 0x3
	buffer_load_dword v144, off, s[0:3], 0 offset:808
	buffer_load_dword v145, off, s[0:3], 0 offset:812
	;; [unrolled: 1-line block ×4, first 2 shown]
	s_waitcnt vmcnt(58) lgkmcnt(0)
	v_mul_f64 v[184:185], v[2:3], v[160:161]
	v_mul_f64 v[160:161], v[4:5], v[160:161]
	s_waitcnt vmcnt(56)
	v_fma_f64 v[156:157], v[112:113], v[162:163], -v[156:157]
	ds_read_b128 v[108:111], v1 offset:1376
	v_add_f64 v[120:121], v[120:121], v[152:153]
	v_fma_f64 v[152:153], v[114:115], v[162:163], v[188:189]
	v_add_f64 v[116:117], v[116:117], v[148:149]
	s_clause 0x1
	buffer_load_dword v148, off, s[0:3], 0 offset:800
	buffer_load_dword v149, off, s[0:3], 0 offset:804
	ds_read_b128 v[112:115], v1 offset:1392
	s_waitcnt vmcnt(56) lgkmcnt(1)
	v_mul_f64 v[162:163], v[108:109], v[164:165]
	v_mul_f64 v[164:165], v[110:111], v[164:165]
	s_waitcnt vmcnt(54)
	v_fma_f64 v[160:161], v[2:3], v[166:167], -v[160:161]
	v_add_f64 v[120:121], v[120:121], v[156:157]
	v_fma_f64 v[156:157], v[4:5], v[166:167], v[184:185]
	v_add_f64 v[116:117], v[116:117], v[152:153]
	ds_read_b128 v[2:5], v1 offset:1408
	s_waitcnt vmcnt(52) lgkmcnt(1)
	v_mul_f64 v[166:167], v[114:115], v[168:169]
	v_mul_f64 v[152:153], v[112:113], v[168:169]
	s_waitcnt vmcnt(50)
	v_fma_f64 v[164:165], v[108:109], v[170:171], -v[164:165]
	v_add_f64 v[120:121], v[120:121], v[160:161]
	v_fma_f64 v[160:161], v[110:111], v[170:171], v[162:163]
	v_add_f64 v[116:117], v[116:117], v[156:157]
	s_clause 0x3
	buffer_load_dword v156, off, s[0:3], 0 offset:368
	buffer_load_dword v157, off, s[0:3], 0 offset:372
	;; [unrolled: 1-line block ×4, first 2 shown]
	s_waitcnt vmcnt(52) lgkmcnt(0)
	v_mul_f64 v[170:171], v[4:5], v[176:177]
	s_waitcnt vmcnt(50)
	v_fma_f64 v[166:167], v[112:113], v[178:179], -v[166:167]
	ds_read_b128 v[108:111], v1 offset:1424
	v_mul_f64 v[168:169], v[2:3], v[176:177]
	v_fma_f64 v[152:153], v[114:115], v[178:179], v[152:153]
	ds_read_b128 v[112:115], v1 offset:1440
	v_add_f64 v[120:121], v[120:121], v[164:165]
	v_add_f64 v[116:117], v[116:117], v[160:161]
	s_waitcnt vmcnt(48) lgkmcnt(1)
	v_mul_f64 v[164:165], v[110:111], v[174:175]
	v_mul_f64 v[160:161], v[108:109], v[174:175]
	s_waitcnt vmcnt(46)
	v_fma_f64 v[170:171], v[2:3], v[182:183], -v[170:171]
	v_add_f64 v[120:121], v[120:121], v[166:167]
	v_fma_f64 v[166:167], v[4:5], v[182:183], v[168:169]
	v_add_f64 v[116:117], v[116:117], v[152:153]
	s_waitcnt vmcnt(44) lgkmcnt(0)
	v_mul_f64 v[152:153], v[112:113], v[122:123]
	v_mul_f64 v[122:123], v[114:115], v[122:123]
	ds_read_b128 v[2:5], v1 offset:1456
	s_waitcnt vmcnt(42)
	v_fma_f64 v[164:165], v[108:109], v[186:187], -v[164:165]
	v_fma_f64 v[160:161], v[110:111], v[186:187], v[160:161]
	ds_read_b128 v[108:111], v1 offset:1472
	v_add_f64 v[120:121], v[120:121], v[170:171]
	v_add_f64 v[116:117], v[116:117], v[166:167]
	s_waitcnt vmcnt(40) lgkmcnt(1)
	v_mul_f64 v[166:167], v[2:3], v[118:119]
	v_mul_f64 v[118:119], v[4:5], v[118:119]
	s_waitcnt vmcnt(38)
	v_fma_f64 v[122:123], v[112:113], v[180:181], -v[122:123]
	v_fma_f64 v[152:153], v[114:115], v[180:181], v[152:153]
	ds_read_b128 v[112:115], v1 offset:1488
	v_add_f64 v[120:121], v[120:121], v[164:165]
	v_add_f64 v[116:117], v[116:117], v[160:161]
	s_waitcnt vmcnt(36) lgkmcnt(1)
	v_mul_f64 v[160:161], v[108:109], v[126:127]
	v_mul_f64 v[126:127], v[110:111], v[126:127]
	s_waitcnt vmcnt(34)
	v_fma_f64 v[118:119], v[2:3], v[172:173], -v[118:119]
	v_add_f64 v[120:121], v[120:121], v[122:123]
	v_fma_f64 v[122:123], v[4:5], v[172:173], v[166:167]
	v_add_f64 v[116:117], v[116:117], v[152:153]
	ds_read_b128 v[2:5], v1 offset:1504
	s_waitcnt vmcnt(32) lgkmcnt(1)
	v_mul_f64 v[152:153], v[112:113], v[130:131]
	v_mul_f64 v[130:131], v[114:115], v[130:131]
	s_waitcnt vmcnt(30)
	v_fma_f64 v[126:127], v[108:109], v[134:135], -v[126:127]
	v_add_f64 v[118:119], v[120:121], v[118:119]
	v_fma_f64 v[120:121], v[110:111], v[134:135], v[160:161]
	v_add_f64 v[116:117], v[116:117], v[122:123]
	ds_read_b128 v[108:111], v1 offset:1520
	;; [unrolled: 9-line block ×3, first 2 shown]
	s_waitcnt vmcnt(24) lgkmcnt(1)
	v_mul_f64 v[120:121], v[108:109], v[128:129]
	v_mul_f64 v[128:129], v[110:111], v[128:129]
	s_waitcnt vmcnt(22)
	v_fma_f64 v[124:125], v[2:3], v[142:143], -v[124:125]
	v_fma_f64 v[122:123], v[4:5], v[142:143], v[122:123]
	ds_read_b128 v[2:5], v1 offset:1552
	v_add_f64 v[118:119], v[118:119], v[130:131]
	v_add_f64 v[116:117], v[116:117], v[126:127]
	s_waitcnt vmcnt(20) lgkmcnt(1)
	v_mul_f64 v[130:131], v[114:115], v[132:133]
	v_mul_f64 v[126:127], v[112:113], v[132:133]
	s_waitcnt vmcnt(18)
	v_fma_f64 v[128:129], v[108:109], v[146:147], -v[128:129]
	v_fma_f64 v[120:121], v[110:111], v[146:147], v[120:121]
	ds_read_b128 v[108:111], v1 offset:1568
	v_add_f64 v[118:119], v[118:119], v[124:125]
	v_add_f64 v[116:117], v[116:117], v[122:123]
	;; [unrolled: 9-line block ×3, first 2 shown]
	s_waitcnt vmcnt(12) lgkmcnt(1)
	v_mul_f64 v[128:129], v[110:111], v[140:141]
	v_mul_f64 v[120:121], v[108:109], v[140:141]
	s_waitcnt vmcnt(10)
	v_fma_f64 v[2:3], v[2:3], v[154:155], -v[124:125]
	v_fma_f64 v[4:5], v[4:5], v[154:155], v[122:123]
	v_add_f64 v[118:119], v[118:119], v[130:131]
	v_add_f64 v[116:117], v[116:117], v[126:127]
	s_waitcnt vmcnt(8) lgkmcnt(0)
	v_mul_f64 v[124:125], v[114:115], v[144:145]
	v_mul_f64 v[122:123], v[112:113], v[144:145]
	s_waitcnt vmcnt(6)
	v_fma_f64 v[108:109], v[108:109], v[158:159], -v[128:129]
	v_fma_f64 v[110:111], v[110:111], v[158:159], v[120:121]
	v_add_f64 v[2:3], v[118:119], v[2:3]
	v_add_f64 v[4:5], v[116:117], v[4:5]
	s_waitcnt vmcnt(4)
	v_fma_f64 v[112:113], v[112:113], v[148:149], -v[124:125]
	v_add_f64 v[2:3], v[2:3], v[108:109]
	v_fma_f64 v[108:109], v[114:115], v[148:149], v[122:123]
	v_add_f64 v[4:5], v[4:5], v[110:111]
	v_add_f64 v[2:3], v[2:3], v[112:113]
	;; [unrolled: 1-line block ×3, first 2 shown]
	s_waitcnt vmcnt(2)
	v_add_f64 v[2:3], v[156:157], -v[2:3]
	s_waitcnt vmcnt(0)
	v_add_f64 v[4:5], v[162:163], -v[4:5]
	buffer_store_dword v3, off, s[0:3], 0 offset:372
	buffer_store_dword v2, off, s[0:3], 0 offset:368
	;; [unrolled: 1-line block ×4, first 2 shown]
	v_cmpx_lt_u32_e32 21, v0
	s_cbranch_execz .LBB113_271
; %bb.270:
	v_mov_b32_e32 v5, s41
	s_clause 0x3
	buffer_load_dword v2, v5, s[0:3], 0 offen
	buffer_load_dword v3, v5, s[0:3], 0 offen offset:4
	buffer_load_dword v4, v5, s[0:3], 0 offen offset:8
	;; [unrolled: 1-line block ×3, first 2 shown]
	buffer_store_dword v1, off, s[0:3], 0 offset:352
	buffer_store_dword v1, off, s[0:3], 0 offset:356
	;; [unrolled: 1-line block ×4, first 2 shown]
	s_waitcnt vmcnt(0)
	ds_write_b128 v7, v[2:5]
.LBB113_271:
	s_or_b32 exec_lo, exec_lo, s4
	s_waitcnt lgkmcnt(0)
	s_waitcnt_vscnt null, 0x0
	s_barrier
	buffer_gl0_inv
	s_clause 0x35
	buffer_load_dword v112, off, s[0:3], 0 offset:376
	buffer_load_dword v113, off, s[0:3], 0 offset:380
	;; [unrolled: 1-line block ×54, first 2 shown]
	ds_read_b128 v[2:5], v1 offset:1152
	s_clause 0x3
	buffer_load_dword v168, off, s[0:3], 0 offset:600
	buffer_load_dword v169, off, s[0:3], 0 offset:604
	;; [unrolled: 1-line block ×4, first 2 shown]
	ds_read_b128 v[108:111], v1 offset:1168
	s_clause 0x3
	buffer_load_dword v177, off, s[0:3], 0 offset:620
	buffer_load_dword v176, off, s[0:3], 0 offset:616
	;; [unrolled: 1-line block ×4, first 2 shown]
	s_mov_b32 s4, exec_lo
	s_waitcnt vmcnt(60) lgkmcnt(1)
	v_mul_f64 v[172:173], v[4:5], v[112:113]
	v_mul_f64 v[174:175], v[2:3], v[112:113]
	s_waitcnt vmcnt(58) lgkmcnt(0)
	v_mul_f64 v[180:181], v[110:111], v[116:117]
	ds_read_b128 v[112:115], v1 offset:1184
	v_mul_f64 v[116:117], v[108:109], v[116:117]
	s_waitcnt vmcnt(56)
	v_fma_f64 v[172:173], v[2:3], v[118:119], -v[172:173]
	v_fma_f64 v[118:119], v[4:5], v[118:119], v[174:175]
	s_clause 0x3
	buffer_load_dword v174, off, s[0:3], 0 offset:632
	buffer_load_dword v175, off, s[0:3], 0 offset:636
	buffer_load_dword v183, off, s[0:3], 0 offset:612
	buffer_load_dword v182, off, s[0:3], 0 offset:608
	s_waitcnt vmcnt(58) lgkmcnt(0)
	v_mul_f64 v[184:185], v[112:113], v[120:121]
	v_mul_f64 v[120:121], v[114:115], v[120:121]
	s_waitcnt vmcnt(56)
	v_fma_f64 v[180:181], v[108:109], v[122:123], -v[180:181]
	ds_read_b128 v[2:5], v1 offset:1200
	v_fma_f64 v[116:117], v[110:111], v[122:123], v[116:117]
	s_clause 0x3
	buffer_load_dword v123, off, s[0:3], 0 offset:652
	buffer_load_dword v122, off, s[0:3], 0 offset:648
	;; [unrolled: 1-line block ×4, first 2 shown]
	ds_read_b128 v[108:111], v1 offset:1216
	v_add_f64 v[172:173], v[172:173], 0
	v_add_f64 v[118:119], v[118:119], 0
	s_waitcnt vmcnt(58) lgkmcnt(1)
	v_mul_f64 v[188:189], v[2:3], v[124:125]
	v_mul_f64 v[124:125], v[4:5], v[124:125]
	s_waitcnt vmcnt(56)
	v_fma_f64 v[120:121], v[112:113], v[126:127], -v[120:121]
	v_fma_f64 v[126:127], v[114:115], v[126:127], v[184:185]
	s_waitcnt vmcnt(54) lgkmcnt(0)
	v_mul_f64 v[184:185], v[108:109], v[128:129]
	v_mul_f64 v[128:129], v[110:111], v[128:129]
	v_add_f64 v[172:173], v[172:173], v[180:181]
	v_add_f64 v[116:117], v[118:119], v[116:117]
	s_clause 0x3
	buffer_load_dword v118, off, s[0:3], 0 offset:664
	buffer_load_dword v119, off, s[0:3], 0 offset:668
	buffer_load_dword v181, off, s[0:3], 0 offset:644
	buffer_load_dword v180, off, s[0:3], 0 offset:640
	ds_read_b128 v[112:115], v1 offset:1232
	s_waitcnt vmcnt(56)
	v_fma_f64 v[124:125], v[2:3], v[130:131], -v[124:125]
	v_fma_f64 v[130:131], v[4:5], v[130:131], v[188:189]
	s_waitcnt vmcnt(52)
	v_fma_f64 v[128:129], v[108:109], v[134:135], -v[128:129]
	v_add_f64 v[120:121], v[172:173], v[120:121]
	v_add_f64 v[116:117], v[116:117], v[126:127]
	s_clause 0x3
	buffer_load_dword v127, off, s[0:3], 0 offset:684
	buffer_load_dword v126, off, s[0:3], 0 offset:680
	;; [unrolled: 1-line block ×4, first 2 shown]
	s_waitcnt lgkmcnt(0)
	v_mul_f64 v[188:189], v[112:113], v[132:133]
	v_mul_f64 v[132:133], v[114:115], v[132:133]
	ds_read_b128 v[2:5], v1 offset:1248
	v_add_f64 v[120:121], v[120:121], v[124:125]
	v_fma_f64 v[124:125], v[110:111], v[134:135], v[184:185]
	v_add_f64 v[116:117], v[116:117], v[130:131]
	s_clause 0x3
	buffer_load_dword v130, off, s[0:3], 0 offset:696
	buffer_load_dword v131, off, s[0:3], 0 offset:700
	buffer_load_dword v135, off, s[0:3], 0 offset:676
	buffer_load_dword v134, off, s[0:3], 0 offset:672
	s_waitcnt vmcnt(58) lgkmcnt(0)
	v_mul_f64 v[184:185], v[2:3], v[136:137]
	v_mul_f64 v[136:137], v[4:5], v[136:137]
	s_waitcnt vmcnt(56)
	v_fma_f64 v[132:133], v[112:113], v[138:139], -v[132:133]
	ds_read_b128 v[108:111], v1 offset:1264
	v_add_f64 v[120:121], v[120:121], v[128:129]
	v_fma_f64 v[128:129], v[114:115], v[138:139], v[188:189]
	v_add_f64 v[116:117], v[116:117], v[124:125]
	s_clause 0x3
	buffer_load_dword v125, off, s[0:3], 0 offset:716
	buffer_load_dword v124, off, s[0:3], 0 offset:712
	buffer_load_dword v138, off, s[0:3], 0 offset:688
	buffer_load_dword v139, off, s[0:3], 0 offset:692
	ds_read_b128 v[112:115], v1 offset:1280
	s_waitcnt vmcnt(58) lgkmcnt(1)
	v_mul_f64 v[188:189], v[108:109], v[140:141]
	v_mul_f64 v[140:141], v[110:111], v[140:141]
	s_waitcnt vmcnt(56)
	v_fma_f64 v[136:137], v[2:3], v[142:143], -v[136:137]
	v_add_f64 v[120:121], v[120:121], v[132:133]
	v_fma_f64 v[132:133], v[4:5], v[142:143], v[184:185]
	v_add_f64 v[116:117], v[116:117], v[128:129]
	s_clause 0x3
	buffer_load_dword v128, off, s[0:3], 0 offset:728
	buffer_load_dword v129, off, s[0:3], 0 offset:732
	buffer_load_dword v143, off, s[0:3], 0 offset:708
	buffer_load_dword v142, off, s[0:3], 0 offset:704
	s_waitcnt vmcnt(58) lgkmcnt(0)
	v_mul_f64 v[184:185], v[112:113], v[144:145]
	v_mul_f64 v[144:145], v[114:115], v[144:145]
	s_waitcnt vmcnt(56)
	v_fma_f64 v[140:141], v[108:109], v[146:147], -v[140:141]
	ds_read_b128 v[2:5], v1 offset:1296
	v_add_f64 v[120:121], v[120:121], v[136:137]
	v_fma_f64 v[136:137], v[110:111], v[146:147], v[188:189]
	v_add_f64 v[116:117], v[116:117], v[132:133]
	s_clause 0x3
	buffer_load_dword v133, off, s[0:3], 0 offset:748
	buffer_load_dword v132, off, s[0:3], 0 offset:744
	buffer_load_dword v146, off, s[0:3], 0 offset:720
	buffer_load_dword v147, off, s[0:3], 0 offset:724
	ds_read_b128 v[108:111], v1 offset:1312
	s_waitcnt vmcnt(58) lgkmcnt(1)
	v_mul_f64 v[188:189], v[2:3], v[148:149]
	v_mul_f64 v[148:149], v[4:5], v[148:149]
	s_waitcnt vmcnt(56)
	v_fma_f64 v[144:145], v[112:113], v[150:151], -v[144:145]
	;; [unrolled: 28-line block ×4, first 2 shown]
	v_add_f64 v[120:121], v[120:121], v[156:157]
	v_fma_f64 v[156:157], v[4:5], v[166:167], v[184:185]
	v_add_f64 v[116:117], v[116:117], v[152:153]
	s_clause 0x1
	buffer_load_dword v153, off, s[0:3], 0 offset:804
	buffer_load_dword v152, off, s[0:3], 0 offset:800
	s_waitcnt vmcnt(56) lgkmcnt(0)
	v_mul_f64 v[166:167], v[112:113], v[168:169]
	v_mul_f64 v[168:169], v[114:115], v[168:169]
	s_waitcnt vmcnt(54)
	v_fma_f64 v[164:165], v[108:109], v[170:171], -v[164:165]
	ds_read_b128 v[2:5], v1 offset:1392
	v_add_f64 v[120:121], v[120:121], v[160:161]
	v_fma_f64 v[160:161], v[110:111], v[170:171], v[188:189]
	v_add_f64 v[116:117], v[116:117], v[156:157]
	ds_read_b128 v[108:111], v1 offset:1408
	s_waitcnt vmcnt(52) lgkmcnt(1)
	v_mul_f64 v[170:171], v[4:5], v[176:177]
	s_waitcnt vmcnt(50)
	v_fma_f64 v[168:169], v[112:113], v[178:179], -v[168:169]
	v_mul_f64 v[156:157], v[2:3], v[176:177]
	v_add_f64 v[120:121], v[120:121], v[164:165]
	v_fma_f64 v[164:165], v[114:115], v[178:179], v[166:167]
	v_add_f64 v[116:117], v[116:117], v[160:161]
	s_clause 0x3
	buffer_load_dword v160, off, s[0:3], 0 offset:352
	buffer_load_dword v161, off, s[0:3], 0 offset:356
	;; [unrolled: 1-line block ×4, first 2 shown]
	ds_read_b128 v[112:115], v1 offset:1424
	s_waitcnt vmcnt(52) lgkmcnt(1)
	v_mul_f64 v[176:177], v[108:109], v[174:175]
	v_mul_f64 v[174:175], v[110:111], v[174:175]
	s_waitcnt vmcnt(50)
	v_fma_f64 v[170:171], v[2:3], v[182:183], -v[170:171]
	v_fma_f64 v[156:157], v[4:5], v[182:183], v[156:157]
	ds_read_b128 v[2:5], v1 offset:1440
	v_add_f64 v[120:121], v[120:121], v[168:169]
	v_add_f64 v[116:117], v[116:117], v[164:165]
	s_waitcnt vmcnt(48) lgkmcnt(1)
	v_mul_f64 v[164:165], v[112:113], v[122:123]
	v_mul_f64 v[122:123], v[114:115], v[122:123]
	s_waitcnt vmcnt(46)
	v_fma_f64 v[168:169], v[108:109], v[186:187], -v[174:175]
	v_add_f64 v[120:121], v[120:121], v[170:171]
	v_fma_f64 v[170:171], v[110:111], v[186:187], v[176:177]
	v_add_f64 v[116:117], v[116:117], v[156:157]
	ds_read_b128 v[108:111], v1 offset:1456
	s_waitcnt vmcnt(44) lgkmcnt(1)
	v_mul_f64 v[156:157], v[2:3], v[118:119]
	v_mul_f64 v[118:119], v[4:5], v[118:119]
	s_waitcnt vmcnt(42)
	v_fma_f64 v[122:123], v[112:113], v[180:181], -v[122:123]
	v_fma_f64 v[164:165], v[114:115], v[180:181], v[164:165]
	ds_read_b128 v[112:115], v1 offset:1472
	v_add_f64 v[120:121], v[120:121], v[168:169]
	v_add_f64 v[116:117], v[116:117], v[170:171]
	s_waitcnt vmcnt(40) lgkmcnt(1)
	v_mul_f64 v[168:169], v[108:109], v[126:127]
	v_mul_f64 v[126:127], v[110:111], v[126:127]
	s_waitcnt vmcnt(38)
	v_fma_f64 v[118:119], v[2:3], v[172:173], -v[118:119]
	v_add_f64 v[120:121], v[120:121], v[122:123]
	v_fma_f64 v[122:123], v[4:5], v[172:173], v[156:157]
	v_add_f64 v[116:117], v[116:117], v[164:165]
	ds_read_b128 v[2:5], v1 offset:1488
	s_waitcnt vmcnt(36) lgkmcnt(1)
	v_mul_f64 v[156:157], v[112:113], v[130:131]
	v_mul_f64 v[130:131], v[114:115], v[130:131]
	s_waitcnt vmcnt(34)
	v_fma_f64 v[126:127], v[108:109], v[134:135], -v[126:127]
	v_add_f64 v[118:119], v[120:121], v[118:119]
	v_fma_f64 v[120:121], v[110:111], v[134:135], v[168:169]
	v_add_f64 v[116:117], v[116:117], v[122:123]
	ds_read_b128 v[108:111], v1 offset:1504
	;; [unrolled: 9-line block ×3, first 2 shown]
	s_waitcnt vmcnt(28) lgkmcnt(1)
	v_mul_f64 v[120:121], v[108:109], v[128:129]
	v_mul_f64 v[128:129], v[110:111], v[128:129]
	s_waitcnt vmcnt(26)
	v_fma_f64 v[124:125], v[2:3], v[142:143], -v[124:125]
	v_fma_f64 v[122:123], v[4:5], v[142:143], v[122:123]
	ds_read_b128 v[2:5], v1 offset:1536
	v_add_f64 v[118:119], v[118:119], v[130:131]
	v_add_f64 v[116:117], v[116:117], v[126:127]
	s_waitcnt vmcnt(24) lgkmcnt(1)
	v_mul_f64 v[130:131], v[114:115], v[132:133]
	v_mul_f64 v[126:127], v[112:113], v[132:133]
	s_waitcnt vmcnt(22)
	v_fma_f64 v[128:129], v[108:109], v[146:147], -v[128:129]
	v_fma_f64 v[120:121], v[110:111], v[146:147], v[120:121]
	ds_read_b128 v[108:111], v1 offset:1552
	v_add_f64 v[118:119], v[118:119], v[124:125]
	v_add_f64 v[116:117], v[116:117], v[122:123]
	;; [unrolled: 9-line block ×4, first 2 shown]
	s_waitcnt vmcnt(12) lgkmcnt(1)
	v_mul_f64 v[126:127], v[114:115], v[144:145]
	v_mul_f64 v[122:123], v[112:113], v[144:145]
	s_waitcnt vmcnt(10)
	v_fma_f64 v[108:109], v[108:109], v[158:159], -v[128:129]
	v_fma_f64 v[110:111], v[110:111], v[158:159], v[120:121]
	v_add_f64 v[118:119], v[118:119], v[124:125]
	v_add_f64 v[5:6], v[116:117], v[5:6]
	s_waitcnt vmcnt(8) lgkmcnt(0)
	v_mul_f64 v[120:121], v[3:4], v[148:149]
	v_mul_f64 v[116:117], v[1:2], v[148:149]
	s_waitcnt vmcnt(6)
	v_fma_f64 v[112:113], v[112:113], v[162:163], -v[126:127]
	v_fma_f64 v[114:115], v[114:115], v[162:163], v[122:123]
	v_add_f64 v[108:109], v[118:119], v[108:109]
	v_add_f64 v[5:6], v[5:6], v[110:111]
	s_waitcnt vmcnt(4)
	v_fma_f64 v[1:2], v[1:2], v[152:153], -v[120:121]
	v_fma_f64 v[3:4], v[3:4], v[152:153], v[116:117]
	v_add_f64 v[108:109], v[108:109], v[112:113]
	v_add_f64 v[5:6], v[5:6], v[114:115]
	;; [unrolled: 1-line block ×4, first 2 shown]
	s_waitcnt vmcnt(2)
	v_add_f64 v[1:2], v[160:161], -v[1:2]
	s_waitcnt vmcnt(0)
	v_add_f64 v[3:4], v[166:167], -v[3:4]
	buffer_store_dword v2, off, s[0:3], 0 offset:356
	buffer_store_dword v1, off, s[0:3], 0 offset:352
	buffer_store_dword v4, off, s[0:3], 0 offset:364
	buffer_store_dword v3, off, s[0:3], 0 offset:360
	v_cmpx_lt_u32_e32 20, v0
	s_cbranch_execz .LBB113_273
; %bb.272:
	v_mov_b32_e32 v4, s42
	v_mov_b32_e32 v5, 0
	s_clause 0x3
	buffer_load_dword v1, v4, s[0:3], 0 offen
	buffer_load_dword v2, v4, s[0:3], 0 offen offset:4
	buffer_load_dword v3, v4, s[0:3], 0 offen offset:8
	;; [unrolled: 1-line block ×3, first 2 shown]
	buffer_store_dword v5, off, s[0:3], 0 offset:336
	buffer_store_dword v5, off, s[0:3], 0 offset:340
	;; [unrolled: 1-line block ×4, first 2 shown]
	s_waitcnt vmcnt(0)
	ds_write_b128 v7, v[1:4]
.LBB113_273:
	s_or_b32 exec_lo, exec_lo, s4
	s_waitcnt lgkmcnt(0)
	s_waitcnt_vscnt null, 0x0
	s_barrier
	buffer_gl0_inv
	s_clause 0x35
	buffer_load_dword v110, off, s[0:3], 0 offset:360
	buffer_load_dword v111, off, s[0:3], 0 offset:364
	;; [unrolled: 1-line block ×54, first 2 shown]
	v_mov_b32_e32 v114, 0
	s_mov_b32 s4, exec_lo
	ds_read_b128 v[115:118], v114 offset:1136
	s_clause 0x3
	buffer_load_dword v167, off, s[0:3], 0 offset:584
	buffer_load_dword v168, off, s[0:3], 0 offset:588
	;; [unrolled: 1-line block ×4, first 2 shown]
	ds_read_b128 v[119:122], v114 offset:1152
	s_clause 0x3
	buffer_load_dword v176, off, s[0:3], 0 offset:604
	buffer_load_dword v175, off, s[0:3], 0 offset:600
	;; [unrolled: 1-line block ×4, first 2 shown]
	s_waitcnt vmcnt(60) lgkmcnt(1)
	v_mul_f64 v[171:172], v[117:118], v[110:111]
	v_mul_f64 v[173:174], v[115:116], v[110:111]
	s_waitcnt vmcnt(58) lgkmcnt(0)
	v_mul_f64 v[179:180], v[121:122], v[5:6]
	ds_read_b128 v[110:113], v114 offset:1168
	v_mul_f64 v[5:6], v[119:120], v[5:6]
	s_waitcnt vmcnt(56)
	v_fma_f64 v[171:172], v[115:116], v[108:109], -v[171:172]
	v_fma_f64 v[108:109], v[117:118], v[108:109], v[173:174]
	s_clause 0x3
	buffer_load_dword v173, off, s[0:3], 0 offset:616
	buffer_load_dword v174, off, s[0:3], 0 offset:620
	buffer_load_dword v182, off, s[0:3], 0 offset:596
	buffer_load_dword v181, off, s[0:3], 0 offset:592
	s_waitcnt vmcnt(58) lgkmcnt(0)
	v_mul_f64 v[185:186], v[112:113], v[3:4]
	s_waitcnt vmcnt(56)
	v_fma_f64 v[119:120], v[119:120], v[1:2], -v[179:180]
	ds_read_b128 v[115:118], v114 offset:1184
	v_mul_f64 v[183:184], v[110:111], v[3:4]
	v_fma_f64 v[5:6], v[121:122], v[1:2], v[5:6]
	s_clause 0x3
	buffer_load_dword v122, off, s[0:3], 0 offset:636
	buffer_load_dword v121, off, s[0:3], 0 offset:632
	;; [unrolled: 1-line block ×4, first 2 shown]
	ds_read_b128 v[1:4], v114 offset:1200
	v_add_f64 v[171:172], v[171:172], 0
	v_add_f64 v[108:109], v[108:109], 0
	s_waitcnt vmcnt(58) lgkmcnt(1)
	v_mul_f64 v[187:188], v[115:116], v[123:124]
	v_mul_f64 v[123:124], v[117:118], v[123:124]
	s_waitcnt vmcnt(56)
	v_fma_f64 v[185:186], v[110:111], v[125:126], -v[185:186]
	v_fma_f64 v[112:113], v[112:113], v[125:126], v[183:184]
	s_waitcnt vmcnt(54) lgkmcnt(0)
	v_mul_f64 v[183:184], v[1:2], v[127:128]
	v_mul_f64 v[127:128], v[3:4], v[127:128]
	v_add_f64 v[119:120], v[171:172], v[119:120]
	v_add_f64 v[5:6], v[108:109], v[5:6]
	s_clause 0x3
	buffer_load_dword v125, off, s[0:3], 0 offset:648
	buffer_load_dword v126, off, s[0:3], 0 offset:652
	;; [unrolled: 1-line block ×4, first 2 shown]
	ds_read_b128 v[108:111], v114 offset:1216
	s_waitcnt vmcnt(56)
	v_fma_f64 v[123:124], v[115:116], v[129:130], -v[123:124]
	v_fma_f64 v[129:130], v[117:118], v[129:130], v[187:188]
	s_waitcnt vmcnt(52)
	v_fma_f64 v[127:128], v[1:2], v[133:134], -v[127:128]
	v_add_f64 v[119:120], v[119:120], v[185:186]
	v_add_f64 v[5:6], v[5:6], v[112:113]
	s_clause 0x3
	buffer_load_dword v113, off, s[0:3], 0 offset:668
	buffer_load_dword v112, off, s[0:3], 0 offset:664
	;; [unrolled: 1-line block ×4, first 2 shown]
	s_waitcnt lgkmcnt(0)
	v_mul_f64 v[187:188], v[108:109], v[131:132]
	v_mul_f64 v[131:132], v[110:111], v[131:132]
	ds_read_b128 v[115:118], v114 offset:1232
	v_add_f64 v[119:120], v[119:120], v[123:124]
	v_fma_f64 v[123:124], v[3:4], v[133:134], v[183:184]
	v_add_f64 v[5:6], v[5:6], v[129:130]
	s_clause 0x3
	buffer_load_dword v129, off, s[0:3], 0 offset:680
	buffer_load_dword v130, off, s[0:3], 0 offset:684
	buffer_load_dword v134, off, s[0:3], 0 offset:660
	buffer_load_dword v133, off, s[0:3], 0 offset:656
	s_waitcnt vmcnt(58) lgkmcnt(0)
	v_mul_f64 v[183:184], v[115:116], v[135:136]
	v_mul_f64 v[135:136], v[117:118], v[135:136]
	s_waitcnt vmcnt(56)
	v_fma_f64 v[131:132], v[108:109], v[137:138], -v[131:132]
	ds_read_b128 v[1:4], v114 offset:1248
	v_add_f64 v[119:120], v[119:120], v[127:128]
	v_fma_f64 v[127:128], v[110:111], v[137:138], v[187:188]
	v_add_f64 v[5:6], v[5:6], v[123:124]
	s_clause 0x3
	buffer_load_dword v124, off, s[0:3], 0 offset:700
	buffer_load_dword v123, off, s[0:3], 0 offset:696
	buffer_load_dword v137, off, s[0:3], 0 offset:672
	buffer_load_dword v138, off, s[0:3], 0 offset:676
	ds_read_b128 v[108:111], v114 offset:1264
	s_waitcnt vmcnt(58) lgkmcnt(1)
	v_mul_f64 v[187:188], v[1:2], v[139:140]
	v_mul_f64 v[139:140], v[3:4], v[139:140]
	s_waitcnt vmcnt(56)
	v_fma_f64 v[135:136], v[115:116], v[141:142], -v[135:136]
	v_add_f64 v[119:120], v[119:120], v[131:132]
	v_fma_f64 v[131:132], v[117:118], v[141:142], v[183:184]
	v_add_f64 v[5:6], v[5:6], v[127:128]
	s_clause 0x3
	buffer_load_dword v127, off, s[0:3], 0 offset:712
	buffer_load_dword v128, off, s[0:3], 0 offset:716
	buffer_load_dword v142, off, s[0:3], 0 offset:692
	buffer_load_dword v141, off, s[0:3], 0 offset:688
	s_waitcnt vmcnt(58) lgkmcnt(0)
	v_mul_f64 v[183:184], v[108:109], v[143:144]
	v_mul_f64 v[143:144], v[110:111], v[143:144]
	s_waitcnt vmcnt(56)
	v_fma_f64 v[139:140], v[1:2], v[145:146], -v[139:140]
	ds_read_b128 v[115:118], v114 offset:1280
	v_add_f64 v[119:120], v[119:120], v[135:136]
	v_fma_f64 v[135:136], v[3:4], v[145:146], v[187:188]
	v_add_f64 v[5:6], v[5:6], v[131:132]
	s_clause 0x3
	buffer_load_dword v132, off, s[0:3], 0 offset:732
	buffer_load_dword v131, off, s[0:3], 0 offset:728
	buffer_load_dword v145, off, s[0:3], 0 offset:704
	buffer_load_dword v146, off, s[0:3], 0 offset:708
	ds_read_b128 v[1:4], v114 offset:1296
	s_waitcnt vmcnt(58) lgkmcnt(1)
	v_mul_f64 v[187:188], v[115:116], v[147:148]
	v_mul_f64 v[147:148], v[117:118], v[147:148]
	s_waitcnt vmcnt(56)
	v_fma_f64 v[143:144], v[108:109], v[149:150], -v[143:144]
	;; [unrolled: 28-line block ×4, first 2 shown]
	v_add_f64 v[119:120], v[119:120], v[155:156]
	v_fma_f64 v[155:156], v[117:118], v[165:166], v[183:184]
	v_add_f64 v[5:6], v[5:6], v[151:152]
	s_clause 0x3
	buffer_load_dword v151, off, s[0:3], 0 offset:808
	buffer_load_dword v152, off, s[0:3], 0 offset:812
	buffer_load_dword v166, off, s[0:3], 0 offset:788
	buffer_load_dword v165, off, s[0:3], 0 offset:784
	s_waitcnt vmcnt(58) lgkmcnt(0)
	v_mul_f64 v[183:184], v[108:109], v[167:168]
	v_mul_f64 v[167:168], v[110:111], v[167:168]
	s_waitcnt vmcnt(56)
	v_fma_f64 v[163:164], v[1:2], v[169:170], -v[163:164]
	ds_read_b128 v[115:118], v114 offset:1376
	v_add_f64 v[119:120], v[119:120], v[159:160]
	v_fma_f64 v[159:160], v[3:4], v[169:170], v[187:188]
	v_add_f64 v[5:6], v[5:6], v[155:156]
	s_clause 0x1
	buffer_load_dword v155, off, s[0:3], 0 offset:800
	buffer_load_dword v156, off, s[0:3], 0 offset:804
	ds_read_b128 v[1:4], v114 offset:1392
	s_waitcnt vmcnt(56) lgkmcnt(1)
	v_mul_f64 v[169:170], v[115:116], v[175:176]
	v_mul_f64 v[175:176], v[117:118], v[175:176]
	s_waitcnt vmcnt(54)
	v_fma_f64 v[167:168], v[108:109], v[177:178], -v[167:168]
	v_add_f64 v[119:120], v[119:120], v[163:164]
	v_fma_f64 v[163:164], v[110:111], v[177:178], v[183:184]
	v_add_f64 v[5:6], v[5:6], v[159:160]
	ds_read_b128 v[108:111], v114 offset:1408
	s_waitcnt vmcnt(52) lgkmcnt(1)
	v_mul_f64 v[159:160], v[1:2], v[173:174]
	v_mul_f64 v[173:174], v[3:4], v[173:174]
	s_waitcnt vmcnt(50)
	v_fma_f64 v[175:176], v[115:116], v[181:182], -v[175:176]
	v_add_f64 v[119:120], v[119:120], v[167:168]
	v_fma_f64 v[167:168], v[117:118], v[181:182], v[169:170]
	v_add_f64 v[5:6], v[5:6], v[163:164]
	s_clause 0x3
	buffer_load_dword v163, off, s[0:3], 0 offset:336
	buffer_load_dword v164, off, s[0:3], 0 offset:340
	buffer_load_dword v169, off, s[0:3], 0 offset:344
	buffer_load_dword v170, off, s[0:3], 0 offset:348
	s_waitcnt vmcnt(52) lgkmcnt(0)
	v_mul_f64 v[177:178], v[108:109], v[121:122]
	v_mul_f64 v[121:122], v[110:111], v[121:122]
	ds_read_b128 v[115:118], v114 offset:1424
	s_waitcnt vmcnt(50)
	v_fma_f64 v[159:160], v[3:4], v[179:180], v[159:160]
	v_fma_f64 v[173:174], v[1:2], v[179:180], -v[173:174]
	ds_read_b128 v[1:4], v114 offset:1440
	v_add_f64 v[119:120], v[119:120], v[175:176]
	v_add_f64 v[5:6], v[5:6], v[167:168]
	s_waitcnt vmcnt(48) lgkmcnt(1)
	v_mul_f64 v[167:168], v[115:116], v[125:126]
	v_mul_f64 v[125:126], v[117:118], v[125:126]
	s_waitcnt vmcnt(46)
	v_fma_f64 v[121:122], v[108:109], v[171:172], -v[121:122]
	v_fma_f64 v[171:172], v[110:111], v[171:172], v[177:178]
	ds_read_b128 v[108:111], v114 offset:1456
	v_add_f64 v[119:120], v[119:120], v[173:174]
	v_add_f64 v[5:6], v[5:6], v[159:160]
	s_waitcnt vmcnt(44) lgkmcnt(1)
	v_mul_f64 v[159:160], v[1:2], v[112:113]
	v_mul_f64 v[112:113], v[3:4], v[112:113]
	s_waitcnt vmcnt(42)
	v_fma_f64 v[125:126], v[115:116], v[185:186], -v[125:126]
	v_add_f64 v[119:120], v[119:120], v[121:122]
	v_fma_f64 v[121:122], v[117:118], v[185:186], v[167:168]
	v_add_f64 v[5:6], v[5:6], v[171:172]
	ds_read_b128 v[115:118], v114 offset:1472
	s_waitcnt vmcnt(40) lgkmcnt(1)
	v_mul_f64 v[167:168], v[108:109], v[129:130]
	v_mul_f64 v[129:130], v[110:111], v[129:130]
	s_waitcnt vmcnt(38)
	v_fma_f64 v[112:113], v[1:2], v[133:134], -v[112:113]
	v_add_f64 v[119:120], v[119:120], v[125:126]
	v_fma_f64 v[125:126], v[3:4], v[133:134], v[159:160]
	v_add_f64 v[5:6], v[5:6], v[121:122]
	ds_read_b128 v[1:4], v114 offset:1488
	;; [unrolled: 9-line block ×3, first 2 shown]
	s_waitcnt vmcnt(32) lgkmcnt(1)
	v_mul_f64 v[125:126], v[1:2], v[127:128]
	v_mul_f64 v[127:128], v[3:4], v[127:128]
	s_waitcnt vmcnt(30)
	v_fma_f64 v[123:124], v[115:116], v[141:142], -v[123:124]
	v_fma_f64 v[121:122], v[117:118], v[141:142], v[121:122]
	ds_read_b128 v[115:118], v114 offset:1520
	v_add_f64 v[112:113], v[112:113], v[129:130]
	v_add_f64 v[5:6], v[5:6], v[119:120]
	s_waitcnt vmcnt(28) lgkmcnt(1)
	v_mul_f64 v[129:130], v[110:111], v[131:132]
	v_mul_f64 v[119:120], v[108:109], v[131:132]
	s_waitcnt vmcnt(26)
	v_fma_f64 v[127:128], v[1:2], v[145:146], -v[127:128]
	v_add_f64 v[112:113], v[112:113], v[123:124]
	v_fma_f64 v[123:124], v[3:4], v[145:146], v[125:126]
	v_add_f64 v[5:6], v[5:6], v[121:122]
	ds_read_b128 v[1:4], v114 offset:1536
	s_waitcnt vmcnt(24) lgkmcnt(1)
	v_mul_f64 v[125:126], v[117:118], v[135:136]
	v_mul_f64 v[121:122], v[115:116], v[135:136]
	s_waitcnt vmcnt(22)
	v_fma_f64 v[129:130], v[108:109], v[149:150], -v[129:130]
	v_fma_f64 v[119:120], v[110:111], v[149:150], v[119:120]
	ds_read_b128 v[108:111], v114 offset:1552
	v_add_f64 v[112:113], v[112:113], v[127:128]
	v_add_f64 v[5:6], v[5:6], v[123:124]
	s_waitcnt vmcnt(20) lgkmcnt(1)
	v_mul_f64 v[127:128], v[3:4], v[139:140]
	v_mul_f64 v[123:124], v[1:2], v[139:140]
	s_waitcnt vmcnt(18)
	v_fma_f64 v[125:126], v[115:116], v[153:154], -v[125:126]
	v_fma_f64 v[121:122], v[117:118], v[153:154], v[121:122]
	ds_read_b128 v[115:118], v114 offset:1568
	v_add_f64 v[112:113], v[112:113], v[129:130]
	v_add_f64 v[5:6], v[5:6], v[119:120]
	;; [unrolled: 9-line block ×3, first 2 shown]
	s_waitcnt vmcnt(12) lgkmcnt(1)
	v_mul_f64 v[125:126], v[117:118], v[147:148]
	v_mul_f64 v[121:122], v[115:116], v[147:148]
	s_waitcnt vmcnt(10)
	v_fma_f64 v[108:109], v[108:109], v[161:162], -v[129:130]
	v_fma_f64 v[110:111], v[110:111], v[161:162], v[119:120]
	v_add_f64 v[112:113], v[112:113], v[127:128]
	v_add_f64 v[5:6], v[5:6], v[123:124]
	s_waitcnt vmcnt(8) lgkmcnt(0)
	v_mul_f64 v[123:124], v[3:4], v[151:152]
	v_mul_f64 v[119:120], v[1:2], v[151:152]
	s_waitcnt vmcnt(6)
	v_fma_f64 v[115:116], v[115:116], v[165:166], -v[125:126]
	v_add_f64 v[108:109], v[112:113], v[108:109]
	v_fma_f64 v[112:113], v[117:118], v[165:166], v[121:122]
	v_add_f64 v[5:6], v[5:6], v[110:111]
	s_waitcnt vmcnt(4)
	v_fma_f64 v[1:2], v[1:2], v[155:156], -v[123:124]
	v_fma_f64 v[3:4], v[3:4], v[155:156], v[119:120]
	v_add_f64 v[108:109], v[108:109], v[115:116]
	v_add_f64 v[5:6], v[5:6], v[112:113]
	;; [unrolled: 1-line block ×4, first 2 shown]
	s_waitcnt vmcnt(2)
	v_add_f64 v[1:2], v[163:164], -v[1:2]
	s_waitcnt vmcnt(0)
	v_add_f64 v[3:4], v[169:170], -v[3:4]
	buffer_store_dword v2, off, s[0:3], 0 offset:340
	buffer_store_dword v1, off, s[0:3], 0 offset:336
	;; [unrolled: 1-line block ×4, first 2 shown]
	v_cmpx_lt_u32_e32 19, v0
	s_cbranch_execz .LBB113_275
; %bb.274:
	v_mov_b32_e32 v4, s43
	s_clause 0x3
	buffer_load_dword v1, v4, s[0:3], 0 offen
	buffer_load_dword v2, v4, s[0:3], 0 offen offset:4
	buffer_load_dword v3, v4, s[0:3], 0 offen offset:8
	;; [unrolled: 1-line block ×3, first 2 shown]
	buffer_store_dword v114, off, s[0:3], 0 offset:320
	buffer_store_dword v114, off, s[0:3], 0 offset:324
	;; [unrolled: 1-line block ×4, first 2 shown]
	s_waitcnt vmcnt(0)
	ds_write_b128 v7, v[1:4]
.LBB113_275:
	s_or_b32 exec_lo, exec_lo, s4
	s_waitcnt lgkmcnt(0)
	s_waitcnt_vscnt null, 0x0
	s_barrier
	buffer_gl0_inv
	s_clause 0x35
	buffer_load_dword v110, off, s[0:3], 0 offset:344
	buffer_load_dword v111, off, s[0:3], 0 offset:348
	;; [unrolled: 1-line block ×54, first 2 shown]
	ds_read_b128 v[115:118], v114 offset:1120
	s_clause 0x3
	buffer_load_dword v169, off, s[0:3], 0 offset:568
	buffer_load_dword v170, off, s[0:3], 0 offset:572
	;; [unrolled: 1-line block ×4, first 2 shown]
	ds_read_b128 v[119:122], v114 offset:1136
	s_clause 0x3
	buffer_load_dword v176, off, s[0:3], 0 offset:588
	buffer_load_dword v175, off, s[0:3], 0 offset:584
	;; [unrolled: 1-line block ×4, first 2 shown]
	ds_read_b128 v[123:126], v114 offset:1152
	s_mov_b32 s4, exec_lo
	s_waitcnt vmcnt(60) lgkmcnt(2)
	v_mul_f64 v[173:174], v[117:118], v[110:111]
	v_mul_f64 v[110:111], v[115:116], v[110:111]
	s_waitcnt vmcnt(58) lgkmcnt(1)
	v_mul_f64 v[179:180], v[121:122], v[5:6]
	v_mul_f64 v[5:6], v[119:120], v[5:6]
	;; [unrolled: 3-line block ×3, first 2 shown]
	v_fma_f64 v[115:116], v[115:116], v[108:109], -v[173:174]
	v_fma_f64 v[117:118], v[117:118], v[108:109], v[110:111]
	s_clause 0x3
	buffer_load_dword v173, off, s[0:3], 0 offset:600
	buffer_load_dword v174, off, s[0:3], 0 offset:604
	;; [unrolled: 1-line block ×4, first 2 shown]
	s_waitcnt vmcnt(56)
	v_fma_f64 v[119:120], v[119:120], v[1:2], -v[179:180]
	ds_read_b128 v[108:111], v114 offset:1168
	v_fma_f64 v[5:6], v[121:122], v[1:2], v[5:6]
	s_clause 0x3
	buffer_load_dword v122, off, s[0:3], 0 offset:620
	buffer_load_dword v121, off, s[0:3], 0 offset:616
	;; [unrolled: 1-line block ×4, first 2 shown]
	s_waitcnt vmcnt(56)
	v_fma_f64 v[123:124], v[123:124], v[127:128], -v[185:186]
	ds_read_b128 v[1:4], v114 offset:1184
	v_fma_f64 v[125:126], v[125:126], v[127:128], v[183:184]
	s_clause 0x3
	buffer_load_dword v127, off, s[0:3], 0 offset:632
	buffer_load_dword v128, off, s[0:3], 0 offset:636
	;; [unrolled: 1-line block ×4, first 2 shown]
	v_add_f64 v[115:116], v[115:116], 0
	v_add_f64 v[117:118], v[117:118], 0
	s_waitcnt lgkmcnt(1)
	v_mul_f64 v[187:188], v[108:109], v[112:113]
	v_mul_f64 v[112:113], v[110:111], v[112:113]
	s_waitcnt vmcnt(58) lgkmcnt(0)
	v_mul_f64 v[185:186], v[1:2], v[129:130]
	v_mul_f64 v[129:130], v[3:4], v[129:130]
	v_add_f64 v[119:120], v[115:116], v[119:120]
	v_add_f64 v[5:6], v[117:118], v[5:6]
	ds_read_b128 v[115:118], v114 offset:1200
	s_waitcnt vmcnt(56)
	v_fma_f64 v[112:113], v[108:109], v[131:132], -v[112:113]
	s_waitcnt vmcnt(52)
	v_fma_f64 v[129:130], v[1:2], v[135:136], -v[129:130]
	v_add_f64 v[119:120], v[119:120], v[123:124]
	v_fma_f64 v[123:124], v[110:111], v[131:132], v[187:188]
	v_add_f64 v[5:6], v[5:6], v[125:126]
	s_clause 0x3
	buffer_load_dword v126, off, s[0:3], 0 offset:652
	buffer_load_dword v125, off, s[0:3], 0 offset:648
	;; [unrolled: 1-line block ×4, first 2 shown]
	s_waitcnt lgkmcnt(0)
	v_mul_f64 v[187:188], v[115:116], v[133:134]
	v_mul_f64 v[133:134], v[117:118], v[133:134]
	ds_read_b128 v[108:111], v114 offset:1216
	v_add_f64 v[112:113], v[119:120], v[112:113]
	v_fma_f64 v[119:120], v[3:4], v[135:136], v[185:186]
	v_add_f64 v[5:6], v[5:6], v[123:124]
	s_clause 0x3
	buffer_load_dword v123, off, s[0:3], 0 offset:664
	buffer_load_dword v124, off, s[0:3], 0 offset:668
	buffer_load_dword v136, off, s[0:3], 0 offset:644
	buffer_load_dword v135, off, s[0:3], 0 offset:640
	s_waitcnt vmcnt(58) lgkmcnt(0)
	v_mul_f64 v[185:186], v[108:109], v[137:138]
	v_mul_f64 v[137:138], v[110:111], v[137:138]
	s_waitcnt vmcnt(56)
	v_fma_f64 v[133:134], v[115:116], v[139:140], -v[133:134]
	ds_read_b128 v[1:4], v114 offset:1232
	v_add_f64 v[112:113], v[112:113], v[129:130]
	v_fma_f64 v[129:130], v[117:118], v[139:140], v[187:188]
	v_add_f64 v[5:6], v[5:6], v[119:120]
	s_clause 0x3
	buffer_load_dword v120, off, s[0:3], 0 offset:684
	buffer_load_dword v119, off, s[0:3], 0 offset:680
	buffer_load_dword v139, off, s[0:3], 0 offset:656
	buffer_load_dword v140, off, s[0:3], 0 offset:660
	ds_read_b128 v[115:118], v114 offset:1248
	s_waitcnt vmcnt(58) lgkmcnt(1)
	v_mul_f64 v[187:188], v[1:2], v[141:142]
	v_mul_f64 v[141:142], v[3:4], v[141:142]
	s_waitcnt vmcnt(56)
	v_fma_f64 v[137:138], v[108:109], v[143:144], -v[137:138]
	v_add_f64 v[112:113], v[112:113], v[133:134]
	v_fma_f64 v[133:134], v[110:111], v[143:144], v[185:186]
	v_add_f64 v[5:6], v[5:6], v[129:130]
	s_clause 0x3
	buffer_load_dword v129, off, s[0:3], 0 offset:696
	buffer_load_dword v130, off, s[0:3], 0 offset:700
	buffer_load_dword v144, off, s[0:3], 0 offset:676
	buffer_load_dword v143, off, s[0:3], 0 offset:672
	s_waitcnt vmcnt(58) lgkmcnt(0)
	v_mul_f64 v[185:186], v[115:116], v[145:146]
	v_mul_f64 v[145:146], v[117:118], v[145:146]
	s_waitcnt vmcnt(56)
	v_fma_f64 v[141:142], v[1:2], v[147:148], -v[141:142]
	ds_read_b128 v[108:111], v114 offset:1264
	v_add_f64 v[112:113], v[112:113], v[137:138]
	v_fma_f64 v[137:138], v[3:4], v[147:148], v[187:188]
	v_add_f64 v[5:6], v[5:6], v[133:134]
	s_clause 0x3
	buffer_load_dword v134, off, s[0:3], 0 offset:716
	buffer_load_dword v133, off, s[0:3], 0 offset:712
	buffer_load_dword v147, off, s[0:3], 0 offset:688
	buffer_load_dword v148, off, s[0:3], 0 offset:692
	ds_read_b128 v[1:4], v114 offset:1280
	s_waitcnt vmcnt(58) lgkmcnt(1)
	v_mul_f64 v[187:188], v[108:109], v[149:150]
	v_mul_f64 v[149:150], v[110:111], v[149:150]
	s_waitcnt vmcnt(56)
	v_fma_f64 v[145:146], v[115:116], v[151:152], -v[145:146]
	;; [unrolled: 28-line block ×5, first 2 shown]
	v_add_f64 v[112:113], v[112:113], v[165:166]
	v_fma_f64 v[165:166], v[117:118], v[177:178], v[185:186]
	v_add_f64 v[5:6], v[5:6], v[161:162]
	s_clause 0x1
	buffer_load_dword v162, off, s[0:3], 0 offset:804
	buffer_load_dword v161, off, s[0:3], 0 offset:800
	ds_read_b128 v[115:118], v114 offset:1392
	s_waitcnt vmcnt(56) lgkmcnt(1)
	v_mul_f64 v[177:178], v[1:2], v[173:174]
	v_mul_f64 v[173:174], v[3:4], v[173:174]
	s_waitcnt vmcnt(54)
	v_fma_f64 v[175:176], v[108:109], v[181:182], -v[175:176]
	v_add_f64 v[112:113], v[112:113], v[169:170]
	v_fma_f64 v[169:170], v[110:111], v[181:182], v[187:188]
	v_add_f64 v[5:6], v[5:6], v[165:166]
	ds_read_b128 v[108:111], v114 offset:1408
	s_waitcnt vmcnt(52) lgkmcnt(1)
	v_mul_f64 v[165:166], v[115:116], v[121:122]
	v_mul_f64 v[121:122], v[117:118], v[121:122]
	s_waitcnt vmcnt(50)
	v_fma_f64 v[173:174], v[1:2], v[179:180], -v[173:174]
	v_add_f64 v[112:113], v[112:113], v[175:176]
	v_fma_f64 v[175:176], v[3:4], v[179:180], v[177:178]
	v_add_f64 v[5:6], v[5:6], v[169:170]
	s_clause 0x3
	buffer_load_dword v169, off, s[0:3], 0 offset:320
	buffer_load_dword v170, off, s[0:3], 0 offset:324
	;; [unrolled: 1-line block ×4, first 2 shown]
	s_waitcnt vmcnt(52) lgkmcnt(0)
	v_mul_f64 v[179:180], v[108:109], v[127:128]
	v_mul_f64 v[127:128], v[110:111], v[127:128]
	s_waitcnt vmcnt(50)
	v_fma_f64 v[121:122], v[115:116], v[183:184], -v[121:122]
	ds_read_b128 v[1:4], v114 offset:1424
	v_fma_f64 v[165:166], v[117:118], v[183:184], v[165:166]
	ds_read_b128 v[115:118], v114 offset:1440
	v_add_f64 v[112:113], v[112:113], v[173:174]
	v_add_f64 v[5:6], v[5:6], v[175:176]
	s_waitcnt vmcnt(48) lgkmcnt(1)
	v_mul_f64 v[173:174], v[1:2], v[125:126]
	v_mul_f64 v[125:126], v[3:4], v[125:126]
	s_waitcnt vmcnt(46)
	v_fma_f64 v[127:128], v[108:109], v[131:132], -v[127:128]
	v_add_f64 v[112:113], v[112:113], v[121:122]
	v_fma_f64 v[121:122], v[110:111], v[131:132], v[179:180]
	v_add_f64 v[5:6], v[5:6], v[165:166]
	ds_read_b128 v[108:111], v114 offset:1456
	s_waitcnt vmcnt(44) lgkmcnt(1)
	v_mul_f64 v[131:132], v[115:116], v[123:124]
	v_mul_f64 v[123:124], v[117:118], v[123:124]
	s_waitcnt vmcnt(42)
	v_fma_f64 v[125:126], v[1:2], v[135:136], -v[125:126]
	v_add_f64 v[112:113], v[112:113], v[127:128]
	v_fma_f64 v[127:128], v[3:4], v[135:136], v[173:174]
	v_add_f64 v[5:6], v[5:6], v[121:122]
	ds_read_b128 v[1:4], v114 offset:1472
	;; [unrolled: 9-line block ×3, first 2 shown]
	s_waitcnt vmcnt(36) lgkmcnt(1)
	v_mul_f64 v[127:128], v[1:2], v[129:130]
	v_mul_f64 v[129:130], v[3:4], v[129:130]
	s_waitcnt vmcnt(34)
	v_fma_f64 v[119:120], v[108:109], v[143:144], -v[119:120]
	v_fma_f64 v[121:122], v[110:111], v[143:144], v[121:122]
	ds_read_b128 v[108:111], v114 offset:1504
	v_add_f64 v[112:113], v[112:113], v[123:124]
	v_add_f64 v[5:6], v[5:6], v[125:126]
	s_waitcnt vmcnt(32) lgkmcnt(1)
	v_mul_f64 v[125:126], v[117:118], v[133:134]
	v_mul_f64 v[123:124], v[115:116], v[133:134]
	s_waitcnt vmcnt(30)
	v_fma_f64 v[129:130], v[1:2], v[147:148], -v[129:130]
	v_add_f64 v[112:113], v[112:113], v[119:120]
	v_fma_f64 v[119:120], v[3:4], v[147:148], v[127:128]
	v_add_f64 v[5:6], v[5:6], v[121:122]
	ds_read_b128 v[1:4], v114 offset:1520
	s_waitcnt vmcnt(28) lgkmcnt(1)
	v_mul_f64 v[127:128], v[110:111], v[137:138]
	v_mul_f64 v[121:122], v[108:109], v[137:138]
	s_waitcnt vmcnt(26)
	v_fma_f64 v[125:126], v[115:116], v[151:152], -v[125:126]
	v_fma_f64 v[123:124], v[117:118], v[151:152], v[123:124]
	ds_read_b128 v[115:118], v114 offset:1536
	v_add_f64 v[112:113], v[112:113], v[129:130]
	v_add_f64 v[5:6], v[5:6], v[119:120]
	s_waitcnt vmcnt(24) lgkmcnt(1)
	v_mul_f64 v[129:130], v[3:4], v[141:142]
	v_mul_f64 v[119:120], v[1:2], v[141:142]
	s_waitcnt vmcnt(22)
	v_fma_f64 v[127:128], v[108:109], v[155:156], -v[127:128]
	v_fma_f64 v[121:122], v[110:111], v[155:156], v[121:122]
	ds_read_b128 v[108:111], v114 offset:1552
	v_add_f64 v[112:113], v[112:113], v[125:126]
	v_add_f64 v[5:6], v[5:6], v[123:124]
	;; [unrolled: 9-line block ×3, first 2 shown]
	s_waitcnt vmcnt(16) lgkmcnt(1)
	v_mul_f64 v[127:128], v[110:111], v[149:150]
	v_mul_f64 v[121:122], v[108:109], v[149:150]
	s_waitcnt vmcnt(14)
	v_fma_f64 v[125:126], v[115:116], v[163:164], -v[125:126]
	v_fma_f64 v[116:117], v[117:118], v[163:164], v[123:124]
	v_add_f64 v[129:130], v[112:113], v[129:130]
	ds_read_b128 v[112:115], v114 offset:1584
	v_add_f64 v[5:6], v[5:6], v[119:120]
	s_waitcnt vmcnt(12) lgkmcnt(1)
	v_mul_f64 v[123:124], v[3:4], v[153:154]
	v_mul_f64 v[118:119], v[1:2], v[153:154]
	s_waitcnt vmcnt(10)
	v_fma_f64 v[108:109], v[108:109], v[167:168], -v[127:128]
	v_fma_f64 v[110:111], v[110:111], v[167:168], v[121:122]
	v_add_f64 v[125:126], v[129:130], v[125:126]
	v_add_f64 v[5:6], v[5:6], v[116:117]
	s_waitcnt vmcnt(8) lgkmcnt(0)
	v_mul_f64 v[120:121], v[114:115], v[157:158]
	v_mul_f64 v[116:117], v[112:113], v[157:158]
	s_waitcnt vmcnt(6)
	v_fma_f64 v[1:2], v[1:2], v[171:172], -v[123:124]
	v_fma_f64 v[3:4], v[3:4], v[171:172], v[118:119]
	v_add_f64 v[108:109], v[125:126], v[108:109]
	v_add_f64 v[5:6], v[5:6], v[110:111]
	s_waitcnt vmcnt(4)
	v_fma_f64 v[110:111], v[112:113], v[161:162], -v[120:121]
	v_add_f64 v[1:2], v[108:109], v[1:2]
	v_fma_f64 v[108:109], v[114:115], v[161:162], v[116:117]
	v_add_f64 v[3:4], v[5:6], v[3:4]
	v_add_f64 v[1:2], v[1:2], v[110:111]
	;; [unrolled: 1-line block ×3, first 2 shown]
	s_waitcnt vmcnt(2)
	v_add_f64 v[1:2], v[169:170], -v[1:2]
	s_waitcnt vmcnt(0)
	v_add_f64 v[3:4], v[177:178], -v[3:4]
	buffer_store_dword v2, off, s[0:3], 0 offset:324
	buffer_store_dword v1, off, s[0:3], 0 offset:320
	buffer_store_dword v4, off, s[0:3], 0 offset:332
	buffer_store_dword v3, off, s[0:3], 0 offset:328
	v_cmpx_lt_u32_e32 18, v0
	s_cbranch_execz .LBB113_277
; %bb.276:
	v_mov_b32_e32 v4, s44
	v_mov_b32_e32 v5, 0
	s_clause 0x3
	buffer_load_dword v1, v4, s[0:3], 0 offen
	buffer_load_dword v2, v4, s[0:3], 0 offen offset:4
	buffer_load_dword v3, v4, s[0:3], 0 offen offset:8
	;; [unrolled: 1-line block ×3, first 2 shown]
	buffer_store_dword v5, off, s[0:3], 0 offset:304
	buffer_store_dword v5, off, s[0:3], 0 offset:308
	;; [unrolled: 1-line block ×4, first 2 shown]
	s_waitcnt vmcnt(0)
	ds_write_b128 v7, v[1:4]
.LBB113_277:
	s_or_b32 exec_lo, exec_lo, s4
	s_waitcnt lgkmcnt(0)
	s_waitcnt_vscnt null, 0x0
	s_barrier
	buffer_gl0_inv
	s_clause 0x35
	buffer_load_dword v110, off, s[0:3], 0 offset:328
	buffer_load_dword v111, off, s[0:3], 0 offset:332
	;; [unrolled: 1-line block ×54, first 2 shown]
	v_mov_b32_e32 v134, 0
	s_mov_b32 s4, exec_lo
	ds_read_b128 v[122:125], v134 offset:1104
	s_clause 0x3
	buffer_load_dword v169, off, s[0:3], 0 offset:552
	buffer_load_dword v170, off, s[0:3], 0 offset:556
	;; [unrolled: 1-line block ×4, first 2 shown]
	ds_read_b128 v[126:129], v134 offset:1120
	s_clause 0x3
	buffer_load_dword v176, off, s[0:3], 0 offset:572
	buffer_load_dword v175, off, s[0:3], 0 offset:568
	;; [unrolled: 1-line block ×4, first 2 shown]
	ds_read_b128 v[130:133], v134 offset:1136
	s_waitcnt vmcnt(60) lgkmcnt(2)
	v_mul_f64 v[173:174], v[124:125], v[110:111]
	v_mul_f64 v[110:111], v[122:123], v[110:111]
	s_waitcnt vmcnt(58) lgkmcnt(1)
	v_mul_f64 v[179:180], v[128:129], v[5:6]
	v_mul_f64 v[5:6], v[126:127], v[5:6]
	;; [unrolled: 3-line block ×3, first 2 shown]
	v_fma_f64 v[122:123], v[122:123], v[108:109], -v[173:174]
	v_fma_f64 v[124:125], v[124:125], v[108:109], v[110:111]
	s_clause 0x3
	buffer_load_dword v173, off, s[0:3], 0 offset:584
	buffer_load_dword v174, off, s[0:3], 0 offset:588
	;; [unrolled: 1-line block ×4, first 2 shown]
	s_waitcnt vmcnt(56)
	v_fma_f64 v[126:127], v[126:127], v[1:2], -v[179:180]
	ds_read_b128 v[108:111], v134 offset:1152
	v_fma_f64 v[5:6], v[128:129], v[1:2], v[5:6]
	s_clause 0x3
	buffer_load_dword v129, off, s[0:3], 0 offset:604
	buffer_load_dword v128, off, s[0:3], 0 offset:600
	;; [unrolled: 1-line block ×4, first 2 shown]
	s_waitcnt vmcnt(56)
	v_fma_f64 v[130:131], v[130:131], v[120:121], -v[185:186]
	ds_read_b128 v[1:4], v134 offset:1168
	v_fma_f64 v[132:133], v[132:133], v[120:121], v[183:184]
	v_add_f64 v[122:123], v[122:123], 0
	v_add_f64 v[124:125], v[124:125], 0
	s_waitcnt lgkmcnt(1)
	v_mul_f64 v[187:188], v[108:109], v[112:113]
	v_mul_f64 v[112:113], v[110:111], v[112:113]
	s_waitcnt vmcnt(54) lgkmcnt(0)
	v_mul_f64 v[185:186], v[1:2], v[116:117]
	v_mul_f64 v[116:117], v[3:4], v[116:117]
	v_add_f64 v[126:127], v[122:123], v[126:127]
	v_add_f64 v[5:6], v[124:125], v[5:6]
	s_clause 0x3
	buffer_load_dword v124, off, s[0:3], 0 offset:616
	buffer_load_dword v125, off, s[0:3], 0 offset:620
	buffer_load_dword v184, off, s[0:3], 0 offset:596
	buffer_load_dword v183, off, s[0:3], 0 offset:592
	s_waitcnt vmcnt(56)
	v_fma_f64 v[112:113], v[108:109], v[114:115], -v[112:113]
	ds_read_b128 v[120:123], v134 offset:1184
	v_fma_f64 v[114:115], v[110:111], v[114:115], v[187:188]
	s_waitcnt vmcnt(52)
	v_fma_f64 v[116:117], v[1:2], v[135:136], -v[116:117]
	v_add_f64 v[126:127], v[126:127], v[130:131]
	v_add_f64 v[5:6], v[5:6], v[132:133]
	s_clause 0x3
	buffer_load_dword v131, off, s[0:3], 0 offset:636
	buffer_load_dword v130, off, s[0:3], 0 offset:632
	;; [unrolled: 1-line block ×4, first 2 shown]
	s_waitcnt lgkmcnt(0)
	v_mul_f64 v[187:188], v[120:121], v[118:119]
	v_mul_f64 v[118:119], v[122:123], v[118:119]
	ds_read_b128 v[108:111], v134 offset:1200
	v_add_f64 v[112:113], v[126:127], v[112:113]
	v_fma_f64 v[126:127], v[3:4], v[135:136], v[185:186]
	v_add_f64 v[5:6], v[5:6], v[114:115]
	s_clause 0x3
	buffer_load_dword v135, off, s[0:3], 0 offset:648
	buffer_load_dword v136, off, s[0:3], 0 offset:652
	;; [unrolled: 1-line block ×4, first 2 shown]
	s_waitcnt vmcnt(58) lgkmcnt(0)
	v_mul_f64 v[189:190], v[108:109], v[137:138]
	v_mul_f64 v[137:138], v[110:111], v[137:138]
	s_waitcnt vmcnt(56)
	v_fma_f64 v[118:119], v[120:121], v[139:140], -v[118:119]
	ds_read_b128 v[1:4], v134 offset:1216
	v_fma_f64 v[120:121], v[122:123], v[139:140], v[187:188]
	v_add_f64 v[116:117], v[112:113], v[116:117]
	v_add_f64 v[5:6], v[5:6], v[126:127]
	s_clause 0x3
	buffer_load_dword v123, off, s[0:3], 0 offset:668
	buffer_load_dword v122, off, s[0:3], 0 offset:664
	buffer_load_dword v126, off, s[0:3], 0 offset:640
	buffer_load_dword v127, off, s[0:3], 0 offset:644
	ds_read_b128 v[112:115], v134 offset:1232
	s_waitcnt vmcnt(58) lgkmcnt(1)
	v_mul_f64 v[139:140], v[1:2], v[141:142]
	v_mul_f64 v[141:142], v[3:4], v[141:142]
	s_waitcnt vmcnt(56)
	v_fma_f64 v[137:138], v[108:109], v[143:144], -v[137:138]
	v_add_f64 v[116:117], v[116:117], v[118:119]
	v_fma_f64 v[118:119], v[110:111], v[143:144], v[189:190]
	v_add_f64 v[5:6], v[5:6], v[120:121]
	s_clause 0x3
	buffer_load_dword v120, off, s[0:3], 0 offset:680
	buffer_load_dword v121, off, s[0:3], 0 offset:684
	buffer_load_dword v144, off, s[0:3], 0 offset:660
	buffer_load_dword v143, off, s[0:3], 0 offset:656
	s_waitcnt vmcnt(58) lgkmcnt(0)
	v_mul_f64 v[187:188], v[112:113], v[145:146]
	v_mul_f64 v[145:146], v[114:115], v[145:146]
	s_waitcnt vmcnt(56)
	v_fma_f64 v[141:142], v[1:2], v[147:148], -v[141:142]
	ds_read_b128 v[108:111], v134 offset:1248
	v_add_f64 v[116:117], v[116:117], v[137:138]
	v_fma_f64 v[137:138], v[3:4], v[147:148], v[139:140]
	v_add_f64 v[5:6], v[5:6], v[118:119]
	s_clause 0x3
	buffer_load_dword v119, off, s[0:3], 0 offset:700
	buffer_load_dword v118, off, s[0:3], 0 offset:696
	buffer_load_dword v139, off, s[0:3], 0 offset:672
	buffer_load_dword v140, off, s[0:3], 0 offset:676
	ds_read_b128 v[1:4], v134 offset:1264
	s_waitcnt vmcnt(58) lgkmcnt(1)
	v_mul_f64 v[147:148], v[108:109], v[149:150]
	v_mul_f64 v[149:150], v[110:111], v[149:150]
	s_waitcnt vmcnt(56)
	v_fma_f64 v[145:146], v[112:113], v[151:152], -v[145:146]
	v_add_f64 v[116:117], v[116:117], v[141:142]
	v_fma_f64 v[141:142], v[114:115], v[151:152], v[187:188]
	v_add_f64 v[5:6], v[5:6], v[137:138]
	s_clause 0x3
	buffer_load_dword v137, off, s[0:3], 0 offset:712
	buffer_load_dword v138, off, s[0:3], 0 offset:716
	buffer_load_dword v152, off, s[0:3], 0 offset:692
	buffer_load_dword v151, off, s[0:3], 0 offset:688
	s_waitcnt vmcnt(58) lgkmcnt(0)
	v_mul_f64 v[187:188], v[1:2], v[153:154]
	v_mul_f64 v[153:154], v[3:4], v[153:154]
	s_waitcnt vmcnt(56)
	v_fma_f64 v[149:150], v[108:109], v[155:156], -v[149:150]
	ds_read_b128 v[112:115], v134 offset:1280
	v_add_f64 v[116:117], v[116:117], v[145:146]
	v_fma_f64 v[145:146], v[110:111], v[155:156], v[147:148]
	;; [unrolled: 28-line block ×4, first 2 shown]
	v_add_f64 v[5:6], v[5:6], v[157:158]
	s_clause 0x3
	buffer_load_dword v158, off, s[0:3], 0 offset:796
	buffer_load_dword v157, off, s[0:3], 0 offset:792
	;; [unrolled: 1-line block ×4, first 2 shown]
	ds_read_b128 v[1:4], v134 offset:1360
	s_waitcnt vmcnt(58) lgkmcnt(1)
	v_mul_f64 v[171:172], v[108:109], v[175:176]
	v_mul_f64 v[175:176], v[110:111], v[175:176]
	s_waitcnt vmcnt(56)
	v_fma_f64 v[169:170], v[112:113], v[177:178], -v[169:170]
	v_add_f64 v[116:117], v[116:117], v[165:166]
	v_fma_f64 v[165:166], v[114:115], v[177:178], v[187:188]
	v_add_f64 v[5:6], v[5:6], v[161:162]
	s_clause 0x3
	buffer_load_dword v161, off, s[0:3], 0 offset:808
	buffer_load_dword v162, off, s[0:3], 0 offset:812
	;; [unrolled: 1-line block ×4, first 2 shown]
	ds_read_b128 v[112:115], v134 offset:1376
	s_waitcnt vmcnt(58) lgkmcnt(1)
	v_mul_f64 v[187:188], v[1:2], v[173:174]
	v_mul_f64 v[173:174], v[3:4], v[173:174]
	s_waitcnt vmcnt(56)
	v_fma_f64 v[175:176], v[108:109], v[181:182], -v[175:176]
	v_add_f64 v[116:117], v[116:117], v[169:170]
	v_fma_f64 v[169:170], v[110:111], v[181:182], v[171:172]
	v_add_f64 v[5:6], v[5:6], v[165:166]
	s_clause 0x1
	buffer_load_dword v165, off, s[0:3], 0 offset:800
	buffer_load_dword v166, off, s[0:3], 0 offset:804
	s_waitcnt vmcnt(56) lgkmcnt(0)
	v_mul_f64 v[171:172], v[112:113], v[128:129]
	v_mul_f64 v[128:129], v[114:115], v[128:129]
	ds_read_b128 v[108:111], v134 offset:1392
	s_waitcnt vmcnt(54)
	v_fma_f64 v[173:174], v[1:2], v[179:180], -v[173:174]
	v_add_f64 v[116:117], v[116:117], v[175:176]
	v_fma_f64 v[175:176], v[3:4], v[179:180], v[187:188]
	v_add_f64 v[5:6], v[5:6], v[169:170]
	ds_read_b128 v[1:4], v134 offset:1408
	s_waitcnt vmcnt(52) lgkmcnt(1)
	v_mul_f64 v[169:170], v[108:109], v[124:125]
	v_mul_f64 v[124:125], v[110:111], v[124:125]
	s_waitcnt vmcnt(50)
	v_fma_f64 v[128:129], v[112:113], v[183:184], -v[128:129]
	v_fma_f64 v[171:172], v[114:115], v[183:184], v[171:172]
	v_add_f64 v[116:117], v[116:117], v[173:174]
	v_add_f64 v[5:6], v[5:6], v[175:176]
	s_clause 0x3
	buffer_load_dword v173, off, s[0:3], 0 offset:304
	buffer_load_dword v174, off, s[0:3], 0 offset:308
	;; [unrolled: 1-line block ×4, first 2 shown]
	ds_read_b128 v[112:115], v134 offset:1424
	s_waitcnt vmcnt(52) lgkmcnt(1)
	v_mul_f64 v[179:180], v[1:2], v[130:131]
	v_mul_f64 v[130:131], v[3:4], v[130:131]
	s_waitcnt vmcnt(50)
	v_fma_f64 v[124:125], v[108:109], v[132:133], -v[124:125]
	v_add_f64 v[116:117], v[116:117], v[128:129]
	v_fma_f64 v[128:129], v[110:111], v[132:133], v[169:170]
	v_add_f64 v[5:6], v[5:6], v[171:172]
	ds_read_b128 v[108:111], v134 offset:1440
	s_waitcnt vmcnt(48) lgkmcnt(1)
	v_mul_f64 v[132:133], v[112:113], v[135:136]
	v_mul_f64 v[135:136], v[114:115], v[135:136]
	s_waitcnt vmcnt(46)
	v_fma_f64 v[130:131], v[1:2], v[185:186], -v[130:131]
	v_add_f64 v[116:117], v[116:117], v[124:125]
	v_fma_f64 v[124:125], v[3:4], v[185:186], v[179:180]
	v_add_f64 v[5:6], v[5:6], v[128:129]
	ds_read_b128 v[1:4], v134 offset:1456
	s_waitcnt vmcnt(44) lgkmcnt(1)
	v_mul_f64 v[128:129], v[108:109], v[122:123]
	v_mul_f64 v[122:123], v[110:111], v[122:123]
	s_waitcnt vmcnt(42)
	v_fma_f64 v[135:136], v[112:113], v[126:127], -v[135:136]
	v_fma_f64 v[126:127], v[114:115], v[126:127], v[132:133]
	ds_read_b128 v[112:115], v134 offset:1472
	v_add_f64 v[116:117], v[116:117], v[130:131]
	v_add_f64 v[5:6], v[5:6], v[124:125]
	s_waitcnt vmcnt(40) lgkmcnt(1)
	v_mul_f64 v[124:125], v[1:2], v[120:121]
	v_mul_f64 v[120:121], v[3:4], v[120:121]
	s_waitcnt vmcnt(38)
	v_fma_f64 v[122:123], v[108:109], v[143:144], -v[122:123]
	v_fma_f64 v[128:129], v[110:111], v[143:144], v[128:129]
	ds_read_b128 v[108:111], v134 offset:1488
	v_add_f64 v[116:117], v[116:117], v[135:136]
	v_add_f64 v[5:6], v[5:6], v[126:127]
	s_waitcnt vmcnt(36) lgkmcnt(1)
	v_mul_f64 v[126:127], v[112:113], v[118:119]
	v_mul_f64 v[118:119], v[114:115], v[118:119]
	s_waitcnt vmcnt(34)
	v_fma_f64 v[120:121], v[1:2], v[139:140], -v[120:121]
	v_add_f64 v[116:117], v[116:117], v[122:123]
	v_fma_f64 v[122:123], v[3:4], v[139:140], v[124:125]
	v_add_f64 v[5:6], v[5:6], v[128:129]
	ds_read_b128 v[1:4], v134 offset:1504
	s_waitcnt vmcnt(32) lgkmcnt(1)
	v_mul_f64 v[128:129], v[110:111], v[137:138]
	v_mul_f64 v[124:125], v[108:109], v[137:138]
	s_waitcnt vmcnt(30)
	v_fma_f64 v[118:119], v[112:113], v[151:152], -v[118:119]
	v_add_f64 v[116:117], v[116:117], v[120:121]
	v_fma_f64 v[120:121], v[114:115], v[151:152], v[126:127]
	v_add_f64 v[5:6], v[5:6], v[122:123]
	ds_read_b128 v[112:115], v134 offset:1520
	;; [unrolled: 9-line block ×3, first 2 shown]
	s_waitcnt vmcnt(24) lgkmcnt(1)
	v_mul_f64 v[124:125], v[114:115], v[145:146]
	v_mul_f64 v[120:121], v[112:113], v[145:146]
	s_waitcnt vmcnt(22)
	v_fma_f64 v[126:127], v[1:2], v[159:160], -v[126:127]
	v_fma_f64 v[122:123], v[3:4], v[159:160], v[122:123]
	ds_read_b128 v[1:4], v134 offset:1552
	v_add_f64 v[116:117], v[116:117], v[128:129]
	v_add_f64 v[5:6], v[5:6], v[118:119]
	s_waitcnt vmcnt(20) lgkmcnt(1)
	v_mul_f64 v[128:129], v[110:111], v[149:150]
	v_mul_f64 v[118:119], v[108:109], v[149:150]
	s_waitcnt vmcnt(18)
	v_fma_f64 v[124:125], v[112:113], v[155:156], -v[124:125]
	v_fma_f64 v[120:121], v[114:115], v[155:156], v[120:121]
	ds_read_b128 v[112:115], v134 offset:1568
	v_add_f64 v[116:117], v[116:117], v[126:127]
	v_add_f64 v[5:6], v[5:6], v[122:123]
	;; [unrolled: 9-line block ×3, first 2 shown]
	s_waitcnt vmcnt(12) lgkmcnt(1)
	v_mul_f64 v[124:125], v[114:115], v[157:158]
	v_mul_f64 v[120:121], v[112:113], v[157:158]
	s_waitcnt vmcnt(10)
	v_fma_f64 v[1:2], v[1:2], v[163:164], -v[126:127]
	v_fma_f64 v[3:4], v[3:4], v[163:164], v[122:123]
	v_add_f64 v[116:117], v[116:117], v[128:129]
	v_add_f64 v[5:6], v[5:6], v[118:119]
	s_waitcnt vmcnt(8) lgkmcnt(0)
	v_mul_f64 v[122:123], v[110:111], v[161:162]
	v_mul_f64 v[118:119], v[108:109], v[161:162]
	s_waitcnt vmcnt(6)
	v_fma_f64 v[112:113], v[112:113], v[177:178], -v[124:125]
	v_fma_f64 v[114:115], v[114:115], v[177:178], v[120:121]
	v_add_f64 v[1:2], v[116:117], v[1:2]
	v_add_f64 v[3:4], v[5:6], v[3:4]
	s_waitcnt vmcnt(4)
	v_fma_f64 v[5:6], v[108:109], v[165:166], -v[122:123]
	v_fma_f64 v[108:109], v[110:111], v[165:166], v[118:119]
	v_add_f64 v[1:2], v[1:2], v[112:113]
	v_add_f64 v[3:4], v[3:4], v[114:115]
	;; [unrolled: 1-line block ×4, first 2 shown]
	s_waitcnt vmcnt(2)
	v_add_f64 v[1:2], v[173:174], -v[1:2]
	s_waitcnt vmcnt(0)
	v_add_f64 v[3:4], v[175:176], -v[3:4]
	buffer_store_dword v2, off, s[0:3], 0 offset:308
	buffer_store_dword v1, off, s[0:3], 0 offset:304
	;; [unrolled: 1-line block ×4, first 2 shown]
	v_cmpx_lt_u32_e32 17, v0
	s_cbranch_execz .LBB113_279
; %bb.278:
	v_mov_b32_e32 v4, s45
	s_clause 0x3
	buffer_load_dword v1, v4, s[0:3], 0 offen
	buffer_load_dword v2, v4, s[0:3], 0 offen offset:4
	buffer_load_dword v3, v4, s[0:3], 0 offen offset:8
	;; [unrolled: 1-line block ×3, first 2 shown]
	buffer_store_dword v134, off, s[0:3], 0 offset:288
	buffer_store_dword v134, off, s[0:3], 0 offset:292
	;; [unrolled: 1-line block ×4, first 2 shown]
	s_waitcnt vmcnt(0)
	ds_write_b128 v7, v[1:4]
.LBB113_279:
	s_or_b32 exec_lo, exec_lo, s4
	s_waitcnt lgkmcnt(0)
	s_waitcnt_vscnt null, 0x0
	s_barrier
	buffer_gl0_inv
	s_clause 0x35
	buffer_load_dword v110, off, s[0:3], 0 offset:312
	buffer_load_dword v111, off, s[0:3], 0 offset:316
	;; [unrolled: 1-line block ×54, first 2 shown]
	ds_read_b128 v[135:138], v134 offset:1088
	s_clause 0x3
	buffer_load_dword v169, off, s[0:3], 0 offset:536
	buffer_load_dword v170, off, s[0:3], 0 offset:540
	;; [unrolled: 1-line block ×4, first 2 shown]
	ds_read_b128 v[139:142], v134 offset:1104
	s_clause 0x3
	buffer_load_dword v176, off, s[0:3], 0 offset:556
	buffer_load_dword v175, off, s[0:3], 0 offset:552
	;; [unrolled: 1-line block ×4, first 2 shown]
	ds_read_b128 v[143:146], v134 offset:1120
	s_mov_b32 s4, exec_lo
	s_waitcnt vmcnt(60) lgkmcnt(2)
	v_mul_f64 v[173:174], v[137:138], v[110:111]
	v_mul_f64 v[110:111], v[135:136], v[110:111]
	s_waitcnt vmcnt(58) lgkmcnt(1)
	v_mul_f64 v[179:180], v[141:142], v[5:6]
	v_mul_f64 v[5:6], v[139:140], v[5:6]
	;; [unrolled: 3-line block ×3, first 2 shown]
	v_fma_f64 v[135:136], v[135:136], v[108:109], -v[173:174]
	v_fma_f64 v[137:138], v[137:138], v[108:109], v[110:111]
	s_clause 0x3
	buffer_load_dword v173, off, s[0:3], 0 offset:568
	buffer_load_dword v174, off, s[0:3], 0 offset:572
	;; [unrolled: 1-line block ×4, first 2 shown]
	s_waitcnt vmcnt(56)
	v_fma_f64 v[139:140], v[139:140], v[1:2], -v[179:180]
	ds_read_b128 v[108:111], v134 offset:1136
	v_fma_f64 v[5:6], v[141:142], v[1:2], v[5:6]
	s_clause 0x3
	buffer_load_dword v142, off, s[0:3], 0 offset:588
	buffer_load_dword v141, off, s[0:3], 0 offset:584
	;; [unrolled: 1-line block ×4, first 2 shown]
	s_waitcnt vmcnt(56)
	v_fma_f64 v[143:144], v[143:144], v[120:121], -v[185:186]
	ds_read_b128 v[1:4], v134 offset:1152
	v_fma_f64 v[120:121], v[145:146], v[120:121], v[183:184]
	s_clause 0x3
	buffer_load_dword v145, off, s[0:3], 0 offset:600
	buffer_load_dword v146, off, s[0:3], 0 offset:604
	;; [unrolled: 1-line block ×4, first 2 shown]
	v_add_f64 v[135:136], v[135:136], 0
	v_add_f64 v[137:138], v[137:138], 0
	s_waitcnt lgkmcnt(1)
	v_mul_f64 v[187:188], v[108:109], v[112:113]
	v_mul_f64 v[112:113], v[110:111], v[112:113]
	s_waitcnt vmcnt(58) lgkmcnt(0)
	v_mul_f64 v[185:186], v[1:2], v[116:117]
	v_mul_f64 v[116:117], v[3:4], v[116:117]
	v_add_f64 v[139:140], v[135:136], v[139:140]
	v_add_f64 v[5:6], v[137:138], v[5:6]
	ds_read_b128 v[135:138], v134 offset:1168
	s_waitcnt vmcnt(56)
	v_fma_f64 v[112:113], v[108:109], v[114:115], -v[112:113]
	v_fma_f64 v[114:115], v[110:111], v[114:115], v[187:188]
	s_waitcnt vmcnt(52)
	v_fma_f64 v[116:117], v[1:2], v[128:129], -v[116:117]
	v_fma_f64 v[128:129], v[3:4], v[128:129], v[185:186]
	s_waitcnt lgkmcnt(0)
	v_mul_f64 v[187:188], v[135:136], v[118:119]
	v_add_f64 v[139:140], v[139:140], v[143:144]
	v_add_f64 v[5:6], v[5:6], v[120:121]
	s_clause 0x3
	buffer_load_dword v121, off, s[0:3], 0 offset:620
	buffer_load_dword v120, off, s[0:3], 0 offset:616
	;; [unrolled: 1-line block ×4, first 2 shown]
	v_mul_f64 v[118:119], v[137:138], v[118:119]
	ds_read_b128 v[108:111], v134 offset:1184
	v_add_f64 v[112:113], v[139:140], v[112:113]
	v_add_f64 v[5:6], v[5:6], v[114:115]
	s_clause 0x3
	buffer_load_dword v139, off, s[0:3], 0 offset:632
	buffer_load_dword v140, off, s[0:3], 0 offset:636
	;; [unrolled: 1-line block ×4, first 2 shown]
	s_waitcnt vmcnt(58) lgkmcnt(0)
	v_mul_f64 v[189:190], v[108:109], v[124:125]
	v_mul_f64 v[124:125], v[110:111], v[124:125]
	s_waitcnt vmcnt(56)
	v_fma_f64 v[118:119], v[135:136], v[122:123], -v[118:119]
	ds_read_b128 v[1:4], v134 offset:1200
	v_fma_f64 v[122:123], v[137:138], v[122:123], v[187:188]
	v_add_f64 v[116:117], v[112:113], v[116:117]
	v_add_f64 v[5:6], v[5:6], v[128:129]
	s_clause 0x3
	buffer_load_dword v129, off, s[0:3], 0 offset:652
	buffer_load_dword v128, off, s[0:3], 0 offset:648
	buffer_load_dword v135, off, s[0:3], 0 offset:624
	buffer_load_dword v136, off, s[0:3], 0 offset:628
	ds_read_b128 v[112:115], v134 offset:1216
	s_waitcnt vmcnt(58) lgkmcnt(1)
	v_mul_f64 v[137:138], v[1:2], v[126:127]
	v_mul_f64 v[126:127], v[3:4], v[126:127]
	s_waitcnt vmcnt(56)
	v_fma_f64 v[124:125], v[108:109], v[147:148], -v[124:125]
	v_add_f64 v[116:117], v[116:117], v[118:119]
	v_fma_f64 v[118:119], v[110:111], v[147:148], v[189:190]
	v_add_f64 v[5:6], v[5:6], v[122:123]
	s_clause 0x3
	buffer_load_dword v122, off, s[0:3], 0 offset:664
	buffer_load_dword v123, off, s[0:3], 0 offset:668
	buffer_load_dword v148, off, s[0:3], 0 offset:644
	buffer_load_dword v147, off, s[0:3], 0 offset:640
	s_waitcnt vmcnt(58) lgkmcnt(0)
	v_mul_f64 v[187:188], v[112:113], v[132:133]
	v_mul_f64 v[132:133], v[114:115], v[132:133]
	s_waitcnt vmcnt(56)
	v_fma_f64 v[126:127], v[1:2], v[130:131], -v[126:127]
	ds_read_b128 v[108:111], v134 offset:1232
	v_add_f64 v[116:117], v[116:117], v[124:125]
	v_fma_f64 v[124:125], v[3:4], v[130:131], v[137:138]
	v_add_f64 v[5:6], v[5:6], v[118:119]
	s_clause 0x3
	buffer_load_dword v119, off, s[0:3], 0 offset:684
	buffer_load_dword v118, off, s[0:3], 0 offset:680
	buffer_load_dword v130, off, s[0:3], 0 offset:656
	buffer_load_dword v131, off, s[0:3], 0 offset:660
	ds_read_b128 v[1:4], v134 offset:1248
	s_waitcnt vmcnt(58) lgkmcnt(1)
	v_mul_f64 v[137:138], v[108:109], v[149:150]
	v_mul_f64 v[149:150], v[110:111], v[149:150]
	s_waitcnt vmcnt(56)
	v_fma_f64 v[132:133], v[112:113], v[151:152], -v[132:133]
	v_add_f64 v[116:117], v[116:117], v[126:127]
	v_fma_f64 v[126:127], v[114:115], v[151:152], v[187:188]
	v_add_f64 v[5:6], v[5:6], v[124:125]
	s_clause 0x3
	buffer_load_dword v124, off, s[0:3], 0 offset:696
	buffer_load_dword v125, off, s[0:3], 0 offset:700
	buffer_load_dword v152, off, s[0:3], 0 offset:676
	buffer_load_dword v151, off, s[0:3], 0 offset:672
	s_waitcnt vmcnt(58) lgkmcnt(0)
	v_mul_f64 v[187:188], v[1:2], v[153:154]
	v_mul_f64 v[153:154], v[3:4], v[153:154]
	s_waitcnt vmcnt(56)
	v_fma_f64 v[149:150], v[108:109], v[155:156], -v[149:150]
	ds_read_b128 v[112:115], v134 offset:1264
	v_add_f64 v[116:117], v[116:117], v[132:133]
	v_fma_f64 v[132:133], v[110:111], v[155:156], v[137:138]
	;; [unrolled: 28-line block ×4, first 2 shown]
	v_add_f64 v[5:6], v[5:6], v[157:158]
	s_clause 0x3
	buffer_load_dword v158, off, s[0:3], 0 offset:780
	buffer_load_dword v157, off, s[0:3], 0 offset:776
	;; [unrolled: 1-line block ×4, first 2 shown]
	ds_read_b128 v[1:4], v134 offset:1344
	s_waitcnt vmcnt(58) lgkmcnt(1)
	v_mul_f64 v[171:172], v[108:109], v[175:176]
	v_mul_f64 v[175:176], v[110:111], v[175:176]
	s_waitcnt vmcnt(56)
	v_fma_f64 v[169:170], v[112:113], v[177:178], -v[169:170]
	v_add_f64 v[116:117], v[116:117], v[165:166]
	v_fma_f64 v[165:166], v[114:115], v[177:178], v[187:188]
	v_add_f64 v[5:6], v[5:6], v[161:162]
	s_clause 0x3
	buffer_load_dword v161, off, s[0:3], 0 offset:792
	buffer_load_dword v162, off, s[0:3], 0 offset:796
	;; [unrolled: 1-line block ×4, first 2 shown]
	ds_read_b128 v[112:115], v134 offset:1360
	s_waitcnt vmcnt(58) lgkmcnt(1)
	v_mul_f64 v[187:188], v[1:2], v[173:174]
	v_mul_f64 v[173:174], v[3:4], v[173:174]
	s_waitcnt vmcnt(56)
	v_fma_f64 v[175:176], v[108:109], v[181:182], -v[175:176]
	v_add_f64 v[116:117], v[116:117], v[169:170]
	v_fma_f64 v[169:170], v[110:111], v[181:182], v[171:172]
	v_add_f64 v[5:6], v[5:6], v[165:166]
	s_clause 0x3
	buffer_load_dword v166, off, s[0:3], 0 offset:812
	buffer_load_dword v165, off, s[0:3], 0 offset:808
	;; [unrolled: 1-line block ×4, first 2 shown]
	s_waitcnt vmcnt(58) lgkmcnt(0)
	v_mul_f64 v[181:182], v[112:113], v[141:142]
	v_mul_f64 v[141:142], v[114:115], v[141:142]
	ds_read_b128 v[108:111], v134 offset:1376
	s_waitcnt vmcnt(56)
	v_fma_f64 v[173:174], v[1:2], v[179:180], -v[173:174]
	v_add_f64 v[116:117], v[116:117], v[175:176]
	v_fma_f64 v[175:176], v[3:4], v[179:180], v[187:188]
	v_add_f64 v[5:6], v[5:6], v[169:170]
	s_clause 0x1
	buffer_load_dword v170, off, s[0:3], 0 offset:804
	buffer_load_dword v169, off, s[0:3], 0 offset:800
	s_waitcnt vmcnt(56) lgkmcnt(0)
	v_mul_f64 v[179:180], v[108:109], v[145:146]
	v_mul_f64 v[145:146], v[110:111], v[145:146]
	s_waitcnt vmcnt(54)
	v_fma_f64 v[141:142], v[112:113], v[183:184], -v[141:142]
	ds_read_b128 v[1:4], v134 offset:1392
	v_add_f64 v[116:117], v[116:117], v[173:174]
	v_fma_f64 v[173:174], v[114:115], v[183:184], v[181:182]
	v_add_f64 v[5:6], v[5:6], v[175:176]
	ds_read_b128 v[112:115], v134 offset:1408
	s_waitcnt vmcnt(52) lgkmcnt(1)
	v_mul_f64 v[175:176], v[1:2], v[120:121]
	v_mul_f64 v[120:121], v[3:4], v[120:121]
	s_waitcnt vmcnt(50)
	v_fma_f64 v[145:146], v[108:109], v[143:144], -v[145:146]
	v_add_f64 v[116:117], v[116:117], v[141:142]
	v_fma_f64 v[141:142], v[110:111], v[143:144], v[179:180]
	v_add_f64 v[5:6], v[5:6], v[173:174]
	s_clause 0x3
	buffer_load_dword v143, off, s[0:3], 0 offset:288
	buffer_load_dword v144, off, s[0:3], 0 offset:292
	;; [unrolled: 1-line block ×4, first 2 shown]
	ds_read_b128 v[108:111], v134 offset:1424
	s_waitcnt vmcnt(52) lgkmcnt(1)
	v_mul_f64 v[179:180], v[112:113], v[139:140]
	v_mul_f64 v[139:140], v[114:115], v[139:140]
	s_waitcnt vmcnt(50)
	v_fma_f64 v[120:121], v[1:2], v[185:186], -v[120:121]
	v_add_f64 v[116:117], v[116:117], v[145:146]
	v_fma_f64 v[145:146], v[3:4], v[185:186], v[175:176]
	v_add_f64 v[5:6], v[5:6], v[141:142]
	ds_read_b128 v[1:4], v134 offset:1440
	s_waitcnt vmcnt(48) lgkmcnt(1)
	v_mul_f64 v[141:142], v[108:109], v[128:129]
	v_mul_f64 v[128:129], v[110:111], v[128:129]
	s_waitcnt vmcnt(46)
	v_fma_f64 v[139:140], v[112:113], v[135:136], -v[139:140]
	v_add_f64 v[116:117], v[116:117], v[120:121]
	v_fma_f64 v[120:121], v[114:115], v[135:136], v[179:180]
	v_add_f64 v[5:6], v[5:6], v[145:146]
	;; [unrolled: 9-line block ×4, first 2 shown]
	ds_read_b128 v[1:4], v134 offset:1488
	s_waitcnt vmcnt(36) lgkmcnt(1)
	v_mul_f64 v[130:131], v[108:109], v[124:125]
	v_mul_f64 v[124:125], v[110:111], v[124:125]
	s_waitcnt vmcnt(34)
	v_fma_f64 v[118:119], v[112:113], v[151:152], -v[118:119]
	v_fma_f64 v[120:121], v[114:115], v[151:152], v[120:121]
	ds_read_b128 v[112:115], v134 offset:1504
	v_add_f64 v[116:117], v[116:117], v[122:123]
	v_add_f64 v[5:6], v[5:6], v[128:129]
	s_waitcnt vmcnt(32) lgkmcnt(1)
	v_mul_f64 v[122:123], v[1:2], v[126:127]
	v_mul_f64 v[126:127], v[3:4], v[126:127]
	s_waitcnt vmcnt(30)
	v_fma_f64 v[124:125], v[108:109], v[137:138], -v[124:125]
	v_add_f64 v[116:117], v[116:117], v[118:119]
	v_fma_f64 v[118:119], v[110:111], v[137:138], v[130:131]
	v_add_f64 v[5:6], v[5:6], v[120:121]
	ds_read_b128 v[108:111], v134 offset:1520
	s_waitcnt vmcnt(28) lgkmcnt(1)
	v_mul_f64 v[128:129], v[114:115], v[132:133]
	v_mul_f64 v[120:121], v[112:113], v[132:133]
	s_waitcnt vmcnt(26)
	v_fma_f64 v[126:127], v[1:2], v[159:160], -v[126:127]
	v_fma_f64 v[122:123], v[3:4], v[159:160], v[122:123]
	ds_read_b128 v[1:4], v134 offset:1536
	v_add_f64 v[116:117], v[116:117], v[124:125]
	v_add_f64 v[5:6], v[5:6], v[118:119]
	s_waitcnt vmcnt(24) lgkmcnt(1)
	v_mul_f64 v[124:125], v[110:111], v[149:150]
	v_mul_f64 v[118:119], v[108:109], v[149:150]
	s_waitcnt vmcnt(22)
	v_fma_f64 v[128:129], v[112:113], v[155:156], -v[128:129]
	v_fma_f64 v[120:121], v[114:115], v[155:156], v[120:121]
	ds_read_b128 v[112:115], v134 offset:1552
	v_add_f64 v[116:117], v[116:117], v[126:127]
	v_add_f64 v[5:6], v[5:6], v[122:123]
	;; [unrolled: 9-line block ×4, first 2 shown]
	s_waitcnt vmcnt(12) lgkmcnt(1)
	v_mul_f64 v[124:125], v[110:111], v[161:162]
	v_mul_f64 v[118:119], v[108:109], v[161:162]
	s_waitcnt vmcnt(10)
	v_fma_f64 v[112:113], v[112:113], v[177:178], -v[128:129]
	v_fma_f64 v[114:115], v[114:115], v[177:178], v[120:121]
	v_add_f64 v[116:117], v[116:117], v[126:127]
	v_add_f64 v[5:6], v[5:6], v[122:123]
	s_waitcnt vmcnt(8) lgkmcnt(0)
	v_mul_f64 v[122:123], v[3:4], v[165:166]
	v_mul_f64 v[120:121], v[1:2], v[165:166]
	s_waitcnt vmcnt(6)
	v_fma_f64 v[108:109], v[108:109], v[171:172], -v[124:125]
	v_fma_f64 v[110:111], v[110:111], v[171:172], v[118:119]
	v_add_f64 v[112:113], v[116:117], v[112:113]
	v_add_f64 v[5:6], v[5:6], v[114:115]
	s_waitcnt vmcnt(4)
	v_fma_f64 v[1:2], v[1:2], v[169:170], -v[122:123]
	v_fma_f64 v[3:4], v[3:4], v[169:170], v[120:121]
	v_add_f64 v[108:109], v[112:113], v[108:109]
	v_add_f64 v[5:6], v[5:6], v[110:111]
	;; [unrolled: 1-line block ×4, first 2 shown]
	s_waitcnt vmcnt(2)
	v_add_f64 v[1:2], v[143:144], -v[1:2]
	s_waitcnt vmcnt(0)
	v_add_f64 v[3:4], v[173:174], -v[3:4]
	buffer_store_dword v2, off, s[0:3], 0 offset:292
	buffer_store_dword v1, off, s[0:3], 0 offset:288
	;; [unrolled: 1-line block ×4, first 2 shown]
	v_cmpx_lt_u32_e32 16, v0
	s_cbranch_execz .LBB113_281
; %bb.280:
	v_mov_b32_e32 v4, s46
	v_mov_b32_e32 v5, 0
	s_clause 0x3
	buffer_load_dword v1, v4, s[0:3], 0 offen
	buffer_load_dword v2, v4, s[0:3], 0 offen offset:4
	buffer_load_dword v3, v4, s[0:3], 0 offen offset:8
	;; [unrolled: 1-line block ×3, first 2 shown]
	buffer_store_dword v5, off, s[0:3], 0 offset:272
	buffer_store_dword v5, off, s[0:3], 0 offset:276
	;; [unrolled: 1-line block ×4, first 2 shown]
	s_waitcnt vmcnt(0)
	ds_write_b128 v7, v[1:4]
.LBB113_281:
	s_or_b32 exec_lo, exec_lo, s4
	s_waitcnt lgkmcnt(0)
	s_waitcnt_vscnt null, 0x0
	s_barrier
	buffer_gl0_inv
	s_clause 0x35
	buffer_load_dword v110, off, s[0:3], 0 offset:296
	buffer_load_dword v111, off, s[0:3], 0 offset:300
	;; [unrolled: 1-line block ×54, first 2 shown]
	v_mov_b32_e32 v154, 0
	s_mov_b32 s4, exec_lo
	ds_read_b128 v[144:147], v154 offset:1072
	s_clause 0x3
	buffer_load_dword v169, off, s[0:3], 0 offset:520
	buffer_load_dword v170, off, s[0:3], 0 offset:524
	;; [unrolled: 1-line block ×4, first 2 shown]
	ds_read_b128 v[148:151], v154 offset:1088
	s_clause 0x3
	buffer_load_dword v176, off, s[0:3], 0 offset:540
	buffer_load_dword v175, off, s[0:3], 0 offset:536
	;; [unrolled: 1-line block ×4, first 2 shown]
	ds_read_b128 v[155:158], v154 offset:1104
	s_waitcnt vmcnt(60) lgkmcnt(2)
	v_mul_f64 v[173:174], v[146:147], v[110:111]
	v_mul_f64 v[110:111], v[144:145], v[110:111]
	s_waitcnt vmcnt(58) lgkmcnt(1)
	v_mul_f64 v[179:180], v[150:151], v[5:6]
	v_mul_f64 v[5:6], v[148:149], v[5:6]
	;; [unrolled: 3-line block ×3, first 2 shown]
	v_fma_f64 v[144:145], v[144:145], v[108:109], -v[173:174]
	v_fma_f64 v[146:147], v[146:147], v[108:109], v[110:111]
	s_clause 0x3
	buffer_load_dword v173, off, s[0:3], 0 offset:552
	buffer_load_dword v174, off, s[0:3], 0 offset:556
	;; [unrolled: 1-line block ×4, first 2 shown]
	s_waitcnt vmcnt(56)
	v_fma_f64 v[148:149], v[148:149], v[1:2], -v[179:180]
	ds_read_b128 v[108:111], v154 offset:1120
	v_fma_f64 v[5:6], v[150:151], v[1:2], v[5:6]
	s_clause 0x3
	buffer_load_dword v151, off, s[0:3], 0 offset:572
	buffer_load_dword v150, off, s[0:3], 0 offset:568
	;; [unrolled: 1-line block ×4, first 2 shown]
	s_waitcnt vmcnt(56)
	v_fma_f64 v[155:156], v[155:156], v[120:121], -v[185:186]
	ds_read_b128 v[1:4], v154 offset:1136
	v_fma_f64 v[120:121], v[157:158], v[120:121], v[183:184]
	s_clause 0x3
	buffer_load_dword v157, off, s[0:3], 0 offset:584
	buffer_load_dword v158, off, s[0:3], 0 offset:588
	;; [unrolled: 1-line block ×4, first 2 shown]
	v_add_f64 v[144:145], v[144:145], 0
	v_add_f64 v[146:147], v[146:147], 0
	s_waitcnt lgkmcnt(1)
	v_mul_f64 v[187:188], v[108:109], v[112:113]
	v_mul_f64 v[112:113], v[110:111], v[112:113]
	s_waitcnt vmcnt(58) lgkmcnt(0)
	v_mul_f64 v[185:186], v[1:2], v[116:117]
	v_mul_f64 v[116:117], v[3:4], v[116:117]
	v_add_f64 v[148:149], v[144:145], v[148:149]
	v_add_f64 v[5:6], v[146:147], v[5:6]
	ds_read_b128 v[144:147], v154 offset:1152
	s_waitcnt vmcnt(56)
	v_fma_f64 v[112:113], v[108:109], v[114:115], -v[112:113]
	v_fma_f64 v[114:115], v[110:111], v[114:115], v[187:188]
	s_waitcnt vmcnt(52)
	v_fma_f64 v[116:117], v[1:2], v[128:129], -v[116:117]
	v_fma_f64 v[128:129], v[3:4], v[128:129], v[185:186]
	s_waitcnt lgkmcnt(0)
	v_mul_f64 v[187:188], v[144:145], v[118:119]
	v_add_f64 v[148:149], v[148:149], v[155:156]
	v_add_f64 v[5:6], v[5:6], v[120:121]
	s_clause 0x3
	buffer_load_dword v121, off, s[0:3], 0 offset:604
	buffer_load_dword v120, off, s[0:3], 0 offset:600
	;; [unrolled: 1-line block ×4, first 2 shown]
	v_mul_f64 v[118:119], v[146:147], v[118:119]
	ds_read_b128 v[108:111], v154 offset:1168
	v_add_f64 v[112:113], v[148:149], v[112:113]
	v_add_f64 v[5:6], v[5:6], v[114:115]
	s_clause 0x3
	buffer_load_dword v148, off, s[0:3], 0 offset:616
	buffer_load_dword v149, off, s[0:3], 0 offset:620
	;; [unrolled: 1-line block ×4, first 2 shown]
	s_waitcnt vmcnt(58) lgkmcnt(0)
	v_mul_f64 v[189:190], v[108:109], v[124:125]
	v_mul_f64 v[124:125], v[110:111], v[124:125]
	s_waitcnt vmcnt(56)
	v_fma_f64 v[118:119], v[144:145], v[122:123], -v[118:119]
	ds_read_b128 v[1:4], v154 offset:1184
	v_fma_f64 v[122:123], v[146:147], v[122:123], v[187:188]
	v_add_f64 v[116:117], v[112:113], v[116:117]
	v_add_f64 v[5:6], v[5:6], v[128:129]
	s_clause 0x3
	buffer_load_dword v129, off, s[0:3], 0 offset:636
	buffer_load_dword v128, off, s[0:3], 0 offset:632
	buffer_load_dword v144, off, s[0:3], 0 offset:608
	buffer_load_dword v145, off, s[0:3], 0 offset:612
	ds_read_b128 v[112:115], v154 offset:1200
	s_waitcnt vmcnt(58) lgkmcnt(1)
	v_mul_f64 v[146:147], v[1:2], v[126:127]
	v_mul_f64 v[126:127], v[3:4], v[126:127]
	s_waitcnt vmcnt(56)
	v_fma_f64 v[124:125], v[108:109], v[136:137], -v[124:125]
	v_add_f64 v[116:117], v[116:117], v[118:119]
	v_fma_f64 v[118:119], v[110:111], v[136:137], v[189:190]
	v_add_f64 v[5:6], v[5:6], v[122:123]
	s_clause 0x3
	buffer_load_dword v122, off, s[0:3], 0 offset:648
	buffer_load_dword v123, off, s[0:3], 0 offset:652
	buffer_load_dword v137, off, s[0:3], 0 offset:628
	buffer_load_dword v136, off, s[0:3], 0 offset:624
	s_waitcnt vmcnt(58) lgkmcnt(0)
	v_mul_f64 v[187:188], v[112:113], v[132:133]
	v_mul_f64 v[132:133], v[114:115], v[132:133]
	s_waitcnt vmcnt(56)
	v_fma_f64 v[126:127], v[1:2], v[130:131], -v[126:127]
	ds_read_b128 v[108:111], v154 offset:1216
	v_add_f64 v[116:117], v[116:117], v[124:125]
	v_fma_f64 v[124:125], v[3:4], v[130:131], v[146:147]
	v_add_f64 v[5:6], v[5:6], v[118:119]
	s_clause 0x3
	buffer_load_dword v119, off, s[0:3], 0 offset:668
	buffer_load_dword v118, off, s[0:3], 0 offset:664
	buffer_load_dword v130, off, s[0:3], 0 offset:640
	buffer_load_dword v131, off, s[0:3], 0 offset:644
	ds_read_b128 v[1:4], v154 offset:1232
	s_waitcnt vmcnt(58) lgkmcnt(1)
	v_mul_f64 v[146:147], v[108:109], v[134:135]
	v_mul_f64 v[134:135], v[110:111], v[134:135]
	s_waitcnt vmcnt(56)
	v_fma_f64 v[132:133], v[112:113], v[152:153], -v[132:133]
	v_add_f64 v[116:117], v[116:117], v[126:127]
	v_fma_f64 v[126:127], v[114:115], v[152:153], v[187:188]
	v_add_f64 v[5:6], v[5:6], v[124:125]
	s_clause 0x3
	buffer_load_dword v124, off, s[0:3], 0 offset:680
	buffer_load_dword v125, off, s[0:3], 0 offset:684
	buffer_load_dword v153, off, s[0:3], 0 offset:660
	buffer_load_dword v152, off, s[0:3], 0 offset:656
	s_waitcnt vmcnt(58) lgkmcnt(0)
	v_mul_f64 v[187:188], v[1:2], v[140:141]
	v_mul_f64 v[140:141], v[3:4], v[140:141]
	s_waitcnt vmcnt(56)
	v_fma_f64 v[134:135], v[108:109], v[138:139], -v[134:135]
	ds_read_b128 v[112:115], v154 offset:1248
	v_add_f64 v[116:117], v[116:117], v[132:133]
	v_fma_f64 v[132:133], v[110:111], v[138:139], v[146:147]
	;; [unrolled: 28-line block ×4, first 2 shown]
	v_add_f64 v[5:6], v[5:6], v[142:143]
	s_clause 0x3
	buffer_load_dword v143, off, s[0:3], 0 offset:764
	buffer_load_dword v142, off, s[0:3], 0 offset:760
	;; [unrolled: 1-line block ×4, first 2 shown]
	ds_read_b128 v[1:4], v154 offset:1328
	s_waitcnt vmcnt(58) lgkmcnt(1)
	v_mul_f64 v[171:172], v[108:109], v[175:176]
	v_mul_f64 v[175:176], v[110:111], v[175:176]
	s_waitcnt vmcnt(56)
	v_fma_f64 v[169:170], v[112:113], v[177:178], -v[169:170]
	v_add_f64 v[116:117], v[116:117], v[165:166]
	v_fma_f64 v[165:166], v[114:115], v[177:178], v[187:188]
	v_add_f64 v[5:6], v[5:6], v[161:162]
	s_clause 0x3
	buffer_load_dword v161, off, s[0:3], 0 offset:776
	buffer_load_dword v162, off, s[0:3], 0 offset:780
	;; [unrolled: 1-line block ×4, first 2 shown]
	ds_read_b128 v[112:115], v154 offset:1344
	s_waitcnt vmcnt(58) lgkmcnt(1)
	v_mul_f64 v[187:188], v[1:2], v[173:174]
	v_mul_f64 v[173:174], v[3:4], v[173:174]
	s_waitcnt vmcnt(56)
	v_fma_f64 v[175:176], v[108:109], v[181:182], -v[175:176]
	v_add_f64 v[116:117], v[116:117], v[169:170]
	v_fma_f64 v[169:170], v[110:111], v[181:182], v[171:172]
	v_add_f64 v[5:6], v[5:6], v[165:166]
	s_clause 0x3
	buffer_load_dword v166, off, s[0:3], 0 offset:796
	buffer_load_dword v165, off, s[0:3], 0 offset:792
	;; [unrolled: 1-line block ×4, first 2 shown]
	s_waitcnt vmcnt(58) lgkmcnt(0)
	v_mul_f64 v[181:182], v[112:113], v[150:151]
	v_mul_f64 v[150:151], v[114:115], v[150:151]
	ds_read_b128 v[108:111], v154 offset:1360
	s_waitcnt vmcnt(56)
	v_fma_f64 v[173:174], v[1:2], v[179:180], -v[173:174]
	v_add_f64 v[116:117], v[116:117], v[175:176]
	v_fma_f64 v[175:176], v[3:4], v[179:180], v[187:188]
	v_add_f64 v[5:6], v[5:6], v[169:170]
	s_clause 0x3
	buffer_load_dword v169, off, s[0:3], 0 offset:808
	buffer_load_dword v170, off, s[0:3], 0 offset:812
	;; [unrolled: 1-line block ×4, first 2 shown]
	s_waitcnt vmcnt(58) lgkmcnt(0)
	v_mul_f64 v[187:188], v[108:109], v[157:158]
	v_mul_f64 v[157:158], v[110:111], v[157:158]
	s_waitcnt vmcnt(56)
	v_fma_f64 v[150:151], v[112:113], v[183:184], -v[150:151]
	ds_read_b128 v[1:4], v154 offset:1376
	v_add_f64 v[116:117], v[116:117], v[173:174]
	v_fma_f64 v[173:174], v[114:115], v[183:184], v[181:182]
	v_add_f64 v[5:6], v[5:6], v[175:176]
	s_clause 0x1
	buffer_load_dword v175, off, s[0:3], 0 offset:800
	buffer_load_dword v176, off, s[0:3], 0 offset:804
	ds_read_b128 v[112:115], v154 offset:1392
	s_waitcnt vmcnt(56) lgkmcnt(1)
	v_mul_f64 v[181:182], v[1:2], v[120:121]
	v_mul_f64 v[120:121], v[3:4], v[120:121]
	s_waitcnt vmcnt(54)
	v_fma_f64 v[157:158], v[108:109], v[155:156], -v[157:158]
	v_add_f64 v[116:117], v[116:117], v[150:151]
	v_fma_f64 v[150:151], v[110:111], v[155:156], v[187:188]
	v_add_f64 v[5:6], v[5:6], v[173:174]
	ds_read_b128 v[108:111], v154 offset:1408
	s_waitcnt vmcnt(52) lgkmcnt(1)
	v_mul_f64 v[155:156], v[112:113], v[148:149]
	v_mul_f64 v[148:149], v[114:115], v[148:149]
	s_waitcnt vmcnt(50)
	v_fma_f64 v[120:121], v[1:2], v[185:186], -v[120:121]
	v_add_f64 v[116:117], v[116:117], v[157:158]
	v_fma_f64 v[157:158], v[3:4], v[185:186], v[181:182]
	v_add_f64 v[5:6], v[5:6], v[150:151]
	s_clause 0x3
	buffer_load_dword v150, off, s[0:3], 0 offset:272
	buffer_load_dword v151, off, s[0:3], 0 offset:276
	;; [unrolled: 1-line block ×4, first 2 shown]
	ds_read_b128 v[1:4], v154 offset:1424
	s_waitcnt vmcnt(52) lgkmcnt(1)
	v_mul_f64 v[181:182], v[108:109], v[128:129]
	v_mul_f64 v[128:129], v[110:111], v[128:129]
	s_waitcnt vmcnt(50)
	v_fma_f64 v[148:149], v[112:113], v[144:145], -v[148:149]
	v_add_f64 v[116:117], v[116:117], v[120:121]
	v_fma_f64 v[120:121], v[114:115], v[144:145], v[155:156]
	v_add_f64 v[5:6], v[5:6], v[157:158]
	ds_read_b128 v[112:115], v154 offset:1440
	s_waitcnt vmcnt(48) lgkmcnt(1)
	v_mul_f64 v[144:145], v[1:2], v[122:123]
	v_mul_f64 v[122:123], v[3:4], v[122:123]
	s_waitcnt vmcnt(46)
	v_fma_f64 v[128:129], v[108:109], v[136:137], -v[128:129]
	v_fma_f64 v[136:137], v[110:111], v[136:137], v[181:182]
	ds_read_b128 v[108:111], v154 offset:1456
	v_add_f64 v[116:117], v[116:117], v[148:149]
	v_add_f64 v[5:6], v[5:6], v[120:121]
	s_waitcnt vmcnt(44) lgkmcnt(1)
	v_mul_f64 v[120:121], v[112:113], v[118:119]
	v_mul_f64 v[118:119], v[114:115], v[118:119]
	s_waitcnt vmcnt(42)
	v_fma_f64 v[122:123], v[1:2], v[130:131], -v[122:123]
	v_add_f64 v[116:117], v[116:117], v[128:129]
	v_fma_f64 v[128:129], v[3:4], v[130:131], v[144:145]
	v_add_f64 v[5:6], v[5:6], v[136:137]
	ds_read_b128 v[1:4], v154 offset:1472
	s_waitcnt vmcnt(40) lgkmcnt(1)
	v_mul_f64 v[130:131], v[108:109], v[124:125]
	v_mul_f64 v[124:125], v[110:111], v[124:125]
	s_waitcnt vmcnt(38)
	v_fma_f64 v[118:119], v[112:113], v[152:153], -v[118:119]
	v_fma_f64 v[120:121], v[114:115], v[152:153], v[120:121]
	ds_read_b128 v[112:115], v154 offset:1488
	v_add_f64 v[116:117], v[116:117], v[122:123]
	v_add_f64 v[5:6], v[5:6], v[128:129]
	;; [unrolled: 18-line block ×3, first 2 shown]
	s_waitcnt vmcnt(28) lgkmcnt(1)
	v_mul_f64 v[124:125], v[110:111], v[134:135]
	v_mul_f64 v[118:119], v[108:109], v[134:135]
	s_waitcnt vmcnt(26)
	v_fma_f64 v[128:129], v[112:113], v[146:147], -v[128:129]
	v_fma_f64 v[120:121], v[114:115], v[146:147], v[120:121]
	ds_read_b128 v[112:115], v154 offset:1536
	v_add_f64 v[116:117], v[116:117], v[126:127]
	v_add_f64 v[5:6], v[5:6], v[122:123]
	s_waitcnt vmcnt(24) lgkmcnt(1)
	v_mul_f64 v[126:127], v[3:4], v[140:141]
	v_mul_f64 v[122:123], v[1:2], v[140:141]
	s_waitcnt vmcnt(22)
	v_fma_f64 v[124:125], v[108:109], v[167:168], -v[124:125]
	v_fma_f64 v[118:119], v[110:111], v[167:168], v[118:119]
	ds_read_b128 v[108:111], v154 offset:1552
	v_add_f64 v[116:117], v[116:117], v[128:129]
	v_add_f64 v[5:6], v[5:6], v[120:121]
	;; [unrolled: 9-line block ×4, first 2 shown]
	s_waitcnt vmcnt(12) lgkmcnt(1)
	v_mul_f64 v[126:127], v[3:4], v[165:166]
	v_mul_f64 v[122:123], v[1:2], v[165:166]
	s_waitcnt vmcnt(10)
	v_fma_f64 v[108:109], v[108:109], v[171:172], -v[124:125]
	v_fma_f64 v[110:111], v[110:111], v[171:172], v[118:119]
	v_add_f64 v[116:117], v[116:117], v[128:129]
	v_add_f64 v[5:6], v[5:6], v[120:121]
	s_waitcnt vmcnt(8) lgkmcnt(0)
	v_mul_f64 v[120:121], v[114:115], v[169:170]
	v_mul_f64 v[118:119], v[112:113], v[169:170]
	s_waitcnt vmcnt(6)
	v_fma_f64 v[1:2], v[1:2], v[179:180], -v[126:127]
	v_fma_f64 v[3:4], v[3:4], v[179:180], v[122:123]
	v_add_f64 v[108:109], v[116:117], v[108:109]
	v_add_f64 v[5:6], v[5:6], v[110:111]
	s_waitcnt vmcnt(4)
	v_fma_f64 v[110:111], v[112:113], v[175:176], -v[120:121]
	v_add_f64 v[1:2], v[108:109], v[1:2]
	v_fma_f64 v[108:109], v[114:115], v[175:176], v[118:119]
	v_add_f64 v[3:4], v[5:6], v[3:4]
	v_add_f64 v[1:2], v[1:2], v[110:111]
	;; [unrolled: 1-line block ×3, first 2 shown]
	s_waitcnt vmcnt(2)
	v_add_f64 v[1:2], v[150:151], -v[1:2]
	s_waitcnt vmcnt(0)
	v_add_f64 v[3:4], v[173:174], -v[3:4]
	buffer_store_dword v2, off, s[0:3], 0 offset:276
	buffer_store_dword v1, off, s[0:3], 0 offset:272
	;; [unrolled: 1-line block ×4, first 2 shown]
	v_cmpx_lt_u32_e32 15, v0
	s_cbranch_execz .LBB113_283
; %bb.282:
	v_mov_b32_e32 v4, s47
	s_clause 0x3
	buffer_load_dword v1, v4, s[0:3], 0 offen
	buffer_load_dword v2, v4, s[0:3], 0 offen offset:4
	buffer_load_dword v3, v4, s[0:3], 0 offen offset:8
	buffer_load_dword v4, v4, s[0:3], 0 offen offset:12
	buffer_store_dword v154, off, s[0:3], 0 offset:256
	buffer_store_dword v154, off, s[0:3], 0 offset:260
	;; [unrolled: 1-line block ×4, first 2 shown]
	s_waitcnt vmcnt(0)
	ds_write_b128 v7, v[1:4]
.LBB113_283:
	s_or_b32 exec_lo, exec_lo, s4
	s_waitcnt lgkmcnt(0)
	s_waitcnt_vscnt null, 0x0
	s_barrier
	buffer_gl0_inv
	s_clause 0x35
	buffer_load_dword v110, off, s[0:3], 0 offset:280
	buffer_load_dword v111, off, s[0:3], 0 offset:284
	;; [unrolled: 1-line block ×54, first 2 shown]
	ds_read_b128 v[155:158], v154 offset:1056
	s_clause 0x3
	buffer_load_dword v169, off, s[0:3], 0 offset:504
	buffer_load_dword v170, off, s[0:3], 0 offset:508
	buffer_load_dword v172, off, s[0:3], 0 offset:484
	buffer_load_dword v171, off, s[0:3], 0 offset:480
	ds_read_b128 v[159:162], v154 offset:1072
	s_clause 0x3
	buffer_load_dword v176, off, s[0:3], 0 offset:524
	buffer_load_dword v175, off, s[0:3], 0 offset:520
	;; [unrolled: 1-line block ×4, first 2 shown]
	ds_read_b128 v[163:166], v154 offset:1088
	s_mov_b32 s4, exec_lo
	s_waitcnt vmcnt(60) lgkmcnt(2)
	v_mul_f64 v[173:174], v[157:158], v[110:111]
	v_mul_f64 v[110:111], v[155:156], v[110:111]
	s_waitcnt vmcnt(58) lgkmcnt(1)
	v_mul_f64 v[179:180], v[161:162], v[5:6]
	v_mul_f64 v[5:6], v[159:160], v[5:6]
	;; [unrolled: 3-line block ×3, first 2 shown]
	v_fma_f64 v[155:156], v[155:156], v[108:109], -v[173:174]
	v_fma_f64 v[157:158], v[157:158], v[108:109], v[110:111]
	s_clause 0x3
	buffer_load_dword v173, off, s[0:3], 0 offset:536
	buffer_load_dword v174, off, s[0:3], 0 offset:540
	;; [unrolled: 1-line block ×4, first 2 shown]
	s_waitcnt vmcnt(56)
	v_fma_f64 v[159:160], v[159:160], v[1:2], -v[179:180]
	ds_read_b128 v[108:111], v154 offset:1104
	v_fma_f64 v[5:6], v[161:162], v[1:2], v[5:6]
	s_clause 0x3
	buffer_load_dword v162, off, s[0:3], 0 offset:556
	buffer_load_dword v161, off, s[0:3], 0 offset:552
	;; [unrolled: 1-line block ×4, first 2 shown]
	s_waitcnt vmcnt(56)
	v_fma_f64 v[163:164], v[163:164], v[120:121], -v[185:186]
	ds_read_b128 v[1:4], v154 offset:1120
	v_fma_f64 v[120:121], v[165:166], v[120:121], v[183:184]
	s_clause 0x3
	buffer_load_dword v165, off, s[0:3], 0 offset:568
	buffer_load_dword v166, off, s[0:3], 0 offset:572
	;; [unrolled: 1-line block ×4, first 2 shown]
	v_add_f64 v[155:156], v[155:156], 0
	v_add_f64 v[157:158], v[157:158], 0
	s_waitcnt lgkmcnt(1)
	v_mul_f64 v[187:188], v[108:109], v[112:113]
	v_mul_f64 v[112:113], v[110:111], v[112:113]
	s_waitcnt vmcnt(58) lgkmcnt(0)
	v_mul_f64 v[185:186], v[1:2], v[116:117]
	v_mul_f64 v[116:117], v[3:4], v[116:117]
	v_add_f64 v[159:160], v[155:156], v[159:160]
	v_add_f64 v[5:6], v[157:158], v[5:6]
	ds_read_b128 v[155:158], v154 offset:1136
	s_waitcnt vmcnt(56)
	v_fma_f64 v[112:113], v[108:109], v[114:115], -v[112:113]
	v_fma_f64 v[114:115], v[110:111], v[114:115], v[187:188]
	s_waitcnt vmcnt(52)
	v_fma_f64 v[116:117], v[1:2], v[128:129], -v[116:117]
	v_fma_f64 v[128:129], v[3:4], v[128:129], v[185:186]
	s_waitcnt lgkmcnt(0)
	v_mul_f64 v[187:188], v[155:156], v[118:119]
	v_add_f64 v[159:160], v[159:160], v[163:164]
	v_add_f64 v[5:6], v[5:6], v[120:121]
	s_clause 0x3
	buffer_load_dword v121, off, s[0:3], 0 offset:588
	buffer_load_dword v120, off, s[0:3], 0 offset:584
	;; [unrolled: 1-line block ×4, first 2 shown]
	v_mul_f64 v[118:119], v[157:158], v[118:119]
	ds_read_b128 v[108:111], v154 offset:1152
	v_add_f64 v[112:113], v[159:160], v[112:113]
	v_add_f64 v[5:6], v[5:6], v[114:115]
	s_clause 0x3
	buffer_load_dword v159, off, s[0:3], 0 offset:600
	buffer_load_dword v160, off, s[0:3], 0 offset:604
	;; [unrolled: 1-line block ×4, first 2 shown]
	s_waitcnt vmcnt(58) lgkmcnt(0)
	v_mul_f64 v[189:190], v[108:109], v[124:125]
	v_mul_f64 v[124:125], v[110:111], v[124:125]
	s_waitcnt vmcnt(56)
	v_fma_f64 v[118:119], v[155:156], v[122:123], -v[118:119]
	ds_read_b128 v[1:4], v154 offset:1168
	v_fma_f64 v[122:123], v[157:158], v[122:123], v[187:188]
	v_add_f64 v[116:117], v[112:113], v[116:117]
	v_add_f64 v[5:6], v[5:6], v[128:129]
	s_clause 0x3
	buffer_load_dword v129, off, s[0:3], 0 offset:620
	buffer_load_dword v128, off, s[0:3], 0 offset:616
	buffer_load_dword v155, off, s[0:3], 0 offset:592
	buffer_load_dword v156, off, s[0:3], 0 offset:596
	ds_read_b128 v[112:115], v154 offset:1184
	s_waitcnt vmcnt(58) lgkmcnt(1)
	v_mul_f64 v[157:158], v[1:2], v[126:127]
	v_mul_f64 v[126:127], v[3:4], v[126:127]
	s_waitcnt vmcnt(56)
	v_fma_f64 v[124:125], v[108:109], v[136:137], -v[124:125]
	v_add_f64 v[116:117], v[116:117], v[118:119]
	v_fma_f64 v[118:119], v[110:111], v[136:137], v[189:190]
	v_add_f64 v[5:6], v[5:6], v[122:123]
	s_clause 0x3
	buffer_load_dword v122, off, s[0:3], 0 offset:632
	buffer_load_dword v123, off, s[0:3], 0 offset:636
	buffer_load_dword v137, off, s[0:3], 0 offset:612
	buffer_load_dword v136, off, s[0:3], 0 offset:608
	s_waitcnt vmcnt(58) lgkmcnt(0)
	v_mul_f64 v[187:188], v[112:113], v[132:133]
	v_mul_f64 v[132:133], v[114:115], v[132:133]
	s_waitcnt vmcnt(56)
	v_fma_f64 v[126:127], v[1:2], v[130:131], -v[126:127]
	ds_read_b128 v[108:111], v154 offset:1200
	v_add_f64 v[116:117], v[116:117], v[124:125]
	v_fma_f64 v[124:125], v[3:4], v[130:131], v[157:158]
	v_add_f64 v[5:6], v[5:6], v[118:119]
	s_clause 0x3
	buffer_load_dword v119, off, s[0:3], 0 offset:652
	buffer_load_dword v118, off, s[0:3], 0 offset:648
	buffer_load_dword v130, off, s[0:3], 0 offset:624
	buffer_load_dword v131, off, s[0:3], 0 offset:628
	ds_read_b128 v[1:4], v154 offset:1216
	s_waitcnt vmcnt(58) lgkmcnt(1)
	v_mul_f64 v[157:158], v[108:109], v[134:135]
	v_mul_f64 v[134:135], v[110:111], v[134:135]
	s_waitcnt vmcnt(56)
	v_fma_f64 v[132:133], v[112:113], v[144:145], -v[132:133]
	v_add_f64 v[116:117], v[116:117], v[126:127]
	v_fma_f64 v[126:127], v[114:115], v[144:145], v[187:188]
	v_add_f64 v[5:6], v[5:6], v[124:125]
	s_clause 0x3
	buffer_load_dword v124, off, s[0:3], 0 offset:664
	buffer_load_dword v125, off, s[0:3], 0 offset:668
	buffer_load_dword v145, off, s[0:3], 0 offset:644
	buffer_load_dword v144, off, s[0:3], 0 offset:640
	s_waitcnt vmcnt(58) lgkmcnt(0)
	v_mul_f64 v[187:188], v[1:2], v[140:141]
	v_mul_f64 v[140:141], v[3:4], v[140:141]
	s_waitcnt vmcnt(56)
	v_fma_f64 v[134:135], v[108:109], v[138:139], -v[134:135]
	ds_read_b128 v[112:115], v154 offset:1232
	v_add_f64 v[116:117], v[116:117], v[132:133]
	v_fma_f64 v[132:133], v[110:111], v[138:139], v[157:158]
	;; [unrolled: 28-line block ×4, first 2 shown]
	v_add_f64 v[5:6], v[5:6], v[142:143]
	s_clause 0x3
	buffer_load_dword v143, off, s[0:3], 0 offset:748
	buffer_load_dword v142, off, s[0:3], 0 offset:744
	;; [unrolled: 1-line block ×4, first 2 shown]
	ds_read_b128 v[1:4], v154 offset:1312
	s_waitcnt vmcnt(58) lgkmcnt(1)
	v_mul_f64 v[171:172], v[108:109], v[175:176]
	v_mul_f64 v[175:176], v[110:111], v[175:176]
	s_waitcnt vmcnt(56)
	v_fma_f64 v[169:170], v[112:113], v[177:178], -v[169:170]
	v_add_f64 v[116:117], v[116:117], v[150:151]
	v_fma_f64 v[150:151], v[114:115], v[177:178], v[187:188]
	v_add_f64 v[5:6], v[5:6], v[148:149]
	s_clause 0x3
	buffer_load_dword v148, off, s[0:3], 0 offset:760
	buffer_load_dword v149, off, s[0:3], 0 offset:764
	;; [unrolled: 1-line block ×4, first 2 shown]
	ds_read_b128 v[112:115], v154 offset:1328
	s_waitcnt vmcnt(58) lgkmcnt(1)
	v_mul_f64 v[187:188], v[1:2], v[173:174]
	v_mul_f64 v[173:174], v[3:4], v[173:174]
	s_waitcnt vmcnt(56)
	v_fma_f64 v[175:176], v[108:109], v[181:182], -v[175:176]
	v_add_f64 v[116:117], v[116:117], v[169:170]
	v_fma_f64 v[169:170], v[110:111], v[181:182], v[171:172]
	v_add_f64 v[5:6], v[5:6], v[150:151]
	s_clause 0x3
	buffer_load_dword v151, off, s[0:3], 0 offset:780
	buffer_load_dword v150, off, s[0:3], 0 offset:776
	;; [unrolled: 1-line block ×4, first 2 shown]
	s_waitcnt vmcnt(58) lgkmcnt(0)
	v_mul_f64 v[181:182], v[112:113], v[161:162]
	v_mul_f64 v[161:162], v[114:115], v[161:162]
	ds_read_b128 v[108:111], v154 offset:1344
	s_waitcnt vmcnt(56)
	v_fma_f64 v[173:174], v[1:2], v[179:180], -v[173:174]
	v_add_f64 v[116:117], v[116:117], v[175:176]
	v_fma_f64 v[175:176], v[3:4], v[179:180], v[187:188]
	v_add_f64 v[5:6], v[5:6], v[169:170]
	s_clause 0x3
	buffer_load_dword v169, off, s[0:3], 0 offset:792
	buffer_load_dword v170, off, s[0:3], 0 offset:796
	;; [unrolled: 1-line block ×4, first 2 shown]
	s_waitcnt vmcnt(58) lgkmcnt(0)
	v_mul_f64 v[187:188], v[108:109], v[165:166]
	v_mul_f64 v[165:166], v[110:111], v[165:166]
	s_waitcnt vmcnt(56)
	v_fma_f64 v[161:162], v[112:113], v[183:184], -v[161:162]
	ds_read_b128 v[1:4], v154 offset:1360
	v_add_f64 v[116:117], v[116:117], v[173:174]
	v_fma_f64 v[173:174], v[114:115], v[183:184], v[181:182]
	v_add_f64 v[5:6], v[5:6], v[175:176]
	s_clause 0x3
	buffer_load_dword v176, off, s[0:3], 0 offset:812
	buffer_load_dword v175, off, s[0:3], 0 offset:808
	;; [unrolled: 1-line block ×4, first 2 shown]
	ds_read_b128 v[112:115], v154 offset:1376
	s_waitcnt vmcnt(58) lgkmcnt(1)
	v_mul_f64 v[183:184], v[1:2], v[120:121]
	v_mul_f64 v[120:121], v[3:4], v[120:121]
	s_waitcnt vmcnt(56)
	v_fma_f64 v[165:166], v[108:109], v[163:164], -v[165:166]
	v_add_f64 v[116:117], v[116:117], v[161:162]
	v_fma_f64 v[161:162], v[110:111], v[163:164], v[187:188]
	v_add_f64 v[5:6], v[5:6], v[173:174]
	s_clause 0x1
	buffer_load_dword v164, off, s[0:3], 0 offset:804
	buffer_load_dword v163, off, s[0:3], 0 offset:800
	ds_read_b128 v[108:111], v154 offset:1392
	s_waitcnt vmcnt(56) lgkmcnt(1)
	v_mul_f64 v[173:174], v[112:113], v[159:160]
	v_mul_f64 v[159:160], v[114:115], v[159:160]
	s_waitcnt vmcnt(54)
	v_fma_f64 v[120:121], v[1:2], v[185:186], -v[120:121]
	v_add_f64 v[116:117], v[116:117], v[165:166]
	v_fma_f64 v[165:166], v[3:4], v[185:186], v[183:184]
	v_add_f64 v[5:6], v[5:6], v[161:162]
	ds_read_b128 v[1:4], v154 offset:1408
	s_waitcnt vmcnt(52) lgkmcnt(1)
	v_mul_f64 v[161:162], v[108:109], v[128:129]
	v_mul_f64 v[128:129], v[110:111], v[128:129]
	s_waitcnt vmcnt(50)
	v_fma_f64 v[159:160], v[112:113], v[155:156], -v[159:160]
	v_add_f64 v[116:117], v[116:117], v[120:121]
	v_fma_f64 v[120:121], v[114:115], v[155:156], v[173:174]
	v_add_f64 v[5:6], v[5:6], v[165:166]
	s_clause 0x3
	buffer_load_dword v155, off, s[0:3], 0 offset:256
	buffer_load_dword v156, off, s[0:3], 0 offset:260
	;; [unrolled: 1-line block ×4, first 2 shown]
	ds_read_b128 v[112:115], v154 offset:1424
	s_waitcnt vmcnt(52) lgkmcnt(1)
	v_mul_f64 v[173:174], v[1:2], v[122:123]
	v_mul_f64 v[122:123], v[3:4], v[122:123]
	s_waitcnt vmcnt(50)
	v_fma_f64 v[128:129], v[108:109], v[136:137], -v[128:129]
	v_fma_f64 v[136:137], v[110:111], v[136:137], v[161:162]
	ds_read_b128 v[108:111], v154 offset:1440
	v_add_f64 v[116:117], v[116:117], v[159:160]
	v_add_f64 v[5:6], v[5:6], v[120:121]
	s_waitcnt vmcnt(48) lgkmcnt(1)
	v_mul_f64 v[120:121], v[112:113], v[118:119]
	v_mul_f64 v[118:119], v[114:115], v[118:119]
	s_waitcnt vmcnt(46)
	v_fma_f64 v[122:123], v[1:2], v[130:131], -v[122:123]
	v_add_f64 v[116:117], v[116:117], v[128:129]
	v_fma_f64 v[128:129], v[3:4], v[130:131], v[173:174]
	v_add_f64 v[5:6], v[5:6], v[136:137]
	ds_read_b128 v[1:4], v154 offset:1456
	s_waitcnt vmcnt(44) lgkmcnt(1)
	v_mul_f64 v[130:131], v[108:109], v[124:125]
	v_mul_f64 v[124:125], v[110:111], v[124:125]
	s_waitcnt vmcnt(42)
	v_fma_f64 v[118:119], v[112:113], v[144:145], -v[118:119]
	v_fma_f64 v[120:121], v[114:115], v[144:145], v[120:121]
	ds_read_b128 v[112:115], v154 offset:1472
	v_add_f64 v[116:117], v[116:117], v[122:123]
	v_add_f64 v[5:6], v[5:6], v[128:129]
	s_waitcnt vmcnt(40) lgkmcnt(1)
	v_mul_f64 v[122:123], v[1:2], v[126:127]
	v_mul_f64 v[126:127], v[3:4], v[126:127]
	s_waitcnt vmcnt(38)
	v_fma_f64 v[124:125], v[108:109], v[138:139], -v[124:125]
	v_add_f64 v[116:117], v[116:117], v[118:119]
	v_fma_f64 v[118:119], v[110:111], v[138:139], v[130:131]
	v_add_f64 v[5:6], v[5:6], v[120:121]
	ds_read_b128 v[108:111], v154 offset:1488
	s_waitcnt vmcnt(36) lgkmcnt(1)
	v_mul_f64 v[128:129], v[114:115], v[132:133]
	v_mul_f64 v[120:121], v[112:113], v[132:133]
	s_waitcnt vmcnt(34)
	v_fma_f64 v[126:127], v[1:2], v[152:153], -v[126:127]
	v_fma_f64 v[122:123], v[3:4], v[152:153], v[122:123]
	ds_read_b128 v[1:4], v154 offset:1504
	v_add_f64 v[116:117], v[116:117], v[124:125]
	v_add_f64 v[5:6], v[5:6], v[118:119]
	s_waitcnt vmcnt(32) lgkmcnt(1)
	v_mul_f64 v[124:125], v[110:111], v[134:135]
	v_mul_f64 v[118:119], v[108:109], v[134:135]
	s_waitcnt vmcnt(30)
	v_fma_f64 v[128:129], v[112:113], v[146:147], -v[128:129]
	v_fma_f64 v[120:121], v[114:115], v[146:147], v[120:121]
	ds_read_b128 v[112:115], v154 offset:1520
	v_add_f64 v[116:117], v[116:117], v[126:127]
	v_add_f64 v[5:6], v[5:6], v[122:123]
	;; [unrolled: 9-line block ×6, first 2 shown]
	s_waitcnt vmcnt(12) lgkmcnt(1)
	v_mul_f64 v[128:129], v[114:115], v[169:170]
	v_mul_f64 v[120:121], v[112:113], v[169:170]
	s_waitcnt vmcnt(10)
	v_fma_f64 v[1:2], v[1:2], v[179:180], -v[126:127]
	v_fma_f64 v[3:4], v[3:4], v[179:180], v[122:123]
	v_add_f64 v[116:117], v[116:117], v[124:125]
	v_add_f64 v[5:6], v[5:6], v[118:119]
	s_waitcnt vmcnt(8) lgkmcnt(0)
	v_mul_f64 v[122:123], v[110:111], v[175:176]
	v_mul_f64 v[118:119], v[108:109], v[175:176]
	s_waitcnt vmcnt(6)
	v_fma_f64 v[112:113], v[112:113], v[181:182], -v[128:129]
	v_fma_f64 v[114:115], v[114:115], v[181:182], v[120:121]
	v_add_f64 v[1:2], v[116:117], v[1:2]
	v_add_f64 v[3:4], v[5:6], v[3:4]
	s_waitcnt vmcnt(4)
	v_fma_f64 v[5:6], v[108:109], v[163:164], -v[122:123]
	v_fma_f64 v[108:109], v[110:111], v[163:164], v[118:119]
	v_add_f64 v[1:2], v[1:2], v[112:113]
	v_add_f64 v[3:4], v[3:4], v[114:115]
	;; [unrolled: 1-line block ×4, first 2 shown]
	s_waitcnt vmcnt(2)
	v_add_f64 v[1:2], v[155:156], -v[1:2]
	s_waitcnt vmcnt(0)
	v_add_f64 v[3:4], v[165:166], -v[3:4]
	buffer_store_dword v2, off, s[0:3], 0 offset:260
	buffer_store_dword v1, off, s[0:3], 0 offset:256
	;; [unrolled: 1-line block ×4, first 2 shown]
	v_cmpx_lt_u32_e32 14, v0
	s_cbranch_execz .LBB113_285
; %bb.284:
	v_mov_b32_e32 v4, s48
	v_mov_b32_e32 v5, 0
	s_clause 0x3
	buffer_load_dword v1, v4, s[0:3], 0 offen
	buffer_load_dword v2, v4, s[0:3], 0 offen offset:4
	buffer_load_dword v3, v4, s[0:3], 0 offen offset:8
	;; [unrolled: 1-line block ×3, first 2 shown]
	buffer_store_dword v5, off, s[0:3], 0 offset:240
	buffer_store_dword v5, off, s[0:3], 0 offset:244
	;; [unrolled: 1-line block ×4, first 2 shown]
	s_waitcnt vmcnt(0)
	ds_write_b128 v7, v[1:4]
.LBB113_285:
	s_or_b32 exec_lo, exec_lo, s4
	s_waitcnt lgkmcnt(0)
	s_waitcnt_vscnt null, 0x0
	s_barrier
	buffer_gl0_inv
	s_clause 0x35
	buffer_load_dword v110, off, s[0:3], 0 offset:264
	buffer_load_dword v111, off, s[0:3], 0 offset:268
	;; [unrolled: 1-line block ×54, first 2 shown]
	v_mov_b32_e32 v160, 0
	s_mov_b32 s4, exec_lo
	ds_read_b128 v[161:164], v160 offset:1040
	s_clause 0x3
	buffer_load_dword v156, off, s[0:3], 0 offset:488
	buffer_load_dword v157, off, s[0:3], 0 offset:492
	;; [unrolled: 1-line block ×4, first 2 shown]
	ds_read_b128 v[165:168], v160 offset:1056
	s_clause 0x3
	buffer_load_dword v176, off, s[0:3], 0 offset:508
	buffer_load_dword v175, off, s[0:3], 0 offset:504
	;; [unrolled: 1-line block ×4, first 2 shown]
	ds_read_b128 v[169:172], v160 offset:1072
	s_waitcnt vmcnt(60) lgkmcnt(2)
	v_mul_f64 v[173:174], v[163:164], v[110:111]
	v_mul_f64 v[110:111], v[161:162], v[110:111]
	s_waitcnt vmcnt(58) lgkmcnt(1)
	v_mul_f64 v[179:180], v[167:168], v[5:6]
	v_mul_f64 v[5:6], v[165:166], v[5:6]
	;; [unrolled: 3-line block ×3, first 2 shown]
	v_fma_f64 v[161:162], v[161:162], v[108:109], -v[173:174]
	v_fma_f64 v[163:164], v[163:164], v[108:109], v[110:111]
	s_clause 0x3
	buffer_load_dword v173, off, s[0:3], 0 offset:520
	buffer_load_dword v174, off, s[0:3], 0 offset:524
	;; [unrolled: 1-line block ×4, first 2 shown]
	s_waitcnt vmcnt(56)
	v_fma_f64 v[165:166], v[165:166], v[1:2], -v[179:180]
	ds_read_b128 v[108:111], v160 offset:1088
	v_fma_f64 v[5:6], v[167:168], v[1:2], v[5:6]
	s_clause 0x3
	buffer_load_dword v168, off, s[0:3], 0 offset:540
	buffer_load_dword v167, off, s[0:3], 0 offset:536
	;; [unrolled: 1-line block ×4, first 2 shown]
	s_waitcnt vmcnt(56)
	v_fma_f64 v[169:170], v[169:170], v[120:121], -v[185:186]
	ds_read_b128 v[1:4], v160 offset:1104
	v_fma_f64 v[120:121], v[171:172], v[120:121], v[183:184]
	s_clause 0x3
	buffer_load_dword v171, off, s[0:3], 0 offset:552
	buffer_load_dword v172, off, s[0:3], 0 offset:556
	;; [unrolled: 1-line block ×4, first 2 shown]
	v_add_f64 v[161:162], v[161:162], 0
	v_add_f64 v[163:164], v[163:164], 0
	s_waitcnt lgkmcnt(1)
	v_mul_f64 v[187:188], v[108:109], v[112:113]
	v_mul_f64 v[112:113], v[110:111], v[112:113]
	s_waitcnt vmcnt(58) lgkmcnt(0)
	v_mul_f64 v[185:186], v[1:2], v[116:117]
	v_mul_f64 v[116:117], v[3:4], v[116:117]
	v_add_f64 v[165:166], v[161:162], v[165:166]
	v_add_f64 v[5:6], v[163:164], v[5:6]
	ds_read_b128 v[161:164], v160 offset:1120
	s_waitcnt vmcnt(56)
	v_fma_f64 v[112:113], v[108:109], v[114:115], -v[112:113]
	v_fma_f64 v[114:115], v[110:111], v[114:115], v[187:188]
	s_waitcnt vmcnt(52)
	v_fma_f64 v[116:117], v[1:2], v[128:129], -v[116:117]
	v_fma_f64 v[128:129], v[3:4], v[128:129], v[185:186]
	s_waitcnt lgkmcnt(0)
	v_mul_f64 v[187:188], v[161:162], v[118:119]
	v_add_f64 v[165:166], v[165:166], v[169:170]
	v_add_f64 v[5:6], v[5:6], v[120:121]
	s_clause 0x3
	buffer_load_dword v121, off, s[0:3], 0 offset:572
	buffer_load_dword v120, off, s[0:3], 0 offset:568
	;; [unrolled: 1-line block ×4, first 2 shown]
	v_mul_f64 v[118:119], v[163:164], v[118:119]
	ds_read_b128 v[108:111], v160 offset:1136
	v_add_f64 v[112:113], v[165:166], v[112:113]
	v_add_f64 v[5:6], v[5:6], v[114:115]
	s_clause 0x3
	buffer_load_dword v165, off, s[0:3], 0 offset:584
	buffer_load_dword v166, off, s[0:3], 0 offset:588
	;; [unrolled: 1-line block ×4, first 2 shown]
	s_waitcnt vmcnt(58) lgkmcnt(0)
	v_mul_f64 v[189:190], v[108:109], v[124:125]
	v_mul_f64 v[124:125], v[110:111], v[124:125]
	s_waitcnt vmcnt(56)
	v_fma_f64 v[118:119], v[161:162], v[122:123], -v[118:119]
	ds_read_b128 v[1:4], v160 offset:1152
	v_fma_f64 v[122:123], v[163:164], v[122:123], v[187:188]
	v_add_f64 v[116:117], v[112:113], v[116:117]
	v_add_f64 v[5:6], v[5:6], v[128:129]
	s_clause 0x3
	buffer_load_dword v129, off, s[0:3], 0 offset:604
	buffer_load_dword v128, off, s[0:3], 0 offset:600
	buffer_load_dword v161, off, s[0:3], 0 offset:576
	buffer_load_dword v162, off, s[0:3], 0 offset:580
	ds_read_b128 v[112:115], v160 offset:1168
	s_waitcnt vmcnt(58) lgkmcnt(1)
	v_mul_f64 v[163:164], v[1:2], v[126:127]
	v_mul_f64 v[126:127], v[3:4], v[126:127]
	s_waitcnt vmcnt(56)
	v_fma_f64 v[124:125], v[108:109], v[136:137], -v[124:125]
	v_add_f64 v[116:117], v[116:117], v[118:119]
	v_fma_f64 v[118:119], v[110:111], v[136:137], v[189:190]
	v_add_f64 v[5:6], v[5:6], v[122:123]
	s_clause 0x3
	buffer_load_dword v122, off, s[0:3], 0 offset:616
	buffer_load_dword v123, off, s[0:3], 0 offset:620
	buffer_load_dword v137, off, s[0:3], 0 offset:596
	buffer_load_dword v136, off, s[0:3], 0 offset:592
	s_waitcnt vmcnt(58) lgkmcnt(0)
	v_mul_f64 v[187:188], v[112:113], v[132:133]
	v_mul_f64 v[132:133], v[114:115], v[132:133]
	s_waitcnt vmcnt(56)
	v_fma_f64 v[126:127], v[1:2], v[130:131], -v[126:127]
	ds_read_b128 v[108:111], v160 offset:1184
	v_add_f64 v[116:117], v[116:117], v[124:125]
	v_fma_f64 v[124:125], v[3:4], v[130:131], v[163:164]
	v_add_f64 v[5:6], v[5:6], v[118:119]
	s_clause 0x3
	buffer_load_dword v119, off, s[0:3], 0 offset:636
	buffer_load_dword v118, off, s[0:3], 0 offset:632
	buffer_load_dword v130, off, s[0:3], 0 offset:608
	buffer_load_dword v131, off, s[0:3], 0 offset:612
	ds_read_b128 v[1:4], v160 offset:1200
	s_waitcnt vmcnt(58) lgkmcnt(1)
	v_mul_f64 v[163:164], v[108:109], v[134:135]
	v_mul_f64 v[134:135], v[110:111], v[134:135]
	s_waitcnt vmcnt(56)
	v_fma_f64 v[132:133], v[112:113], v[144:145], -v[132:133]
	v_add_f64 v[116:117], v[116:117], v[126:127]
	v_fma_f64 v[126:127], v[114:115], v[144:145], v[187:188]
	v_add_f64 v[5:6], v[5:6], v[124:125]
	s_clause 0x3
	buffer_load_dword v124, off, s[0:3], 0 offset:648
	buffer_load_dword v125, off, s[0:3], 0 offset:652
	buffer_load_dword v145, off, s[0:3], 0 offset:628
	buffer_load_dword v144, off, s[0:3], 0 offset:624
	s_waitcnt vmcnt(58) lgkmcnt(0)
	v_mul_f64 v[187:188], v[1:2], v[140:141]
	v_mul_f64 v[140:141], v[3:4], v[140:141]
	s_waitcnt vmcnt(56)
	v_fma_f64 v[134:135], v[108:109], v[138:139], -v[134:135]
	ds_read_b128 v[112:115], v160 offset:1216
	v_add_f64 v[116:117], v[116:117], v[132:133]
	v_fma_f64 v[132:133], v[110:111], v[138:139], v[163:164]
	;; [unrolled: 28-line block ×4, first 2 shown]
	v_add_f64 v[5:6], v[5:6], v[142:143]
	s_clause 0x3
	buffer_load_dword v143, off, s[0:3], 0 offset:732
	buffer_load_dword v142, off, s[0:3], 0 offset:728
	;; [unrolled: 1-line block ×4, first 2 shown]
	ds_read_b128 v[1:4], v160 offset:1296
	s_waitcnt vmcnt(58) lgkmcnt(1)
	v_mul_f64 v[163:164], v[108:109], v[175:176]
	v_mul_f64 v[175:176], v[110:111], v[175:176]
	s_waitcnt vmcnt(56)
	v_fma_f64 v[156:157], v[112:113], v[177:178], -v[156:157]
	v_add_f64 v[116:117], v[116:117], v[150:151]
	v_fma_f64 v[150:151], v[114:115], v[177:178], v[187:188]
	v_add_f64 v[5:6], v[5:6], v[148:149]
	s_clause 0x3
	buffer_load_dword v148, off, s[0:3], 0 offset:744
	buffer_load_dword v149, off, s[0:3], 0 offset:748
	buffer_load_dword v178, off, s[0:3], 0 offset:724
	buffer_load_dword v177, off, s[0:3], 0 offset:720
	ds_read_b128 v[112:115], v160 offset:1312
	s_waitcnt vmcnt(58) lgkmcnt(1)
	v_mul_f64 v[187:188], v[1:2], v[173:174]
	v_mul_f64 v[173:174], v[3:4], v[173:174]
	s_waitcnt vmcnt(56)
	v_fma_f64 v[175:176], v[108:109], v[181:182], -v[175:176]
	v_add_f64 v[116:117], v[116:117], v[156:157]
	v_fma_f64 v[156:157], v[110:111], v[181:182], v[163:164]
	v_add_f64 v[5:6], v[5:6], v[150:151]
	s_clause 0x3
	buffer_load_dword v151, off, s[0:3], 0 offset:764
	buffer_load_dword v150, off, s[0:3], 0 offset:760
	;; [unrolled: 1-line block ×4, first 2 shown]
	s_waitcnt vmcnt(58) lgkmcnt(0)
	v_mul_f64 v[181:182], v[112:113], v[167:168]
	v_mul_f64 v[167:168], v[114:115], v[167:168]
	ds_read_b128 v[108:111], v160 offset:1328
	s_waitcnt vmcnt(56)
	v_fma_f64 v[173:174], v[1:2], v[179:180], -v[173:174]
	v_add_f64 v[116:117], v[116:117], v[175:176]
	v_fma_f64 v[175:176], v[3:4], v[179:180], v[187:188]
	v_add_f64 v[5:6], v[5:6], v[156:157]
	s_clause 0x3
	buffer_load_dword v156, off, s[0:3], 0 offset:776
	buffer_load_dword v157, off, s[0:3], 0 offset:780
	;; [unrolled: 1-line block ×4, first 2 shown]
	s_waitcnt vmcnt(58) lgkmcnt(0)
	v_mul_f64 v[187:188], v[108:109], v[171:172]
	v_mul_f64 v[171:172], v[110:111], v[171:172]
	s_waitcnt vmcnt(56)
	v_fma_f64 v[167:168], v[112:113], v[183:184], -v[167:168]
	ds_read_b128 v[1:4], v160 offset:1344
	v_add_f64 v[116:117], v[116:117], v[173:174]
	v_fma_f64 v[173:174], v[114:115], v[183:184], v[181:182]
	v_add_f64 v[5:6], v[5:6], v[175:176]
	s_clause 0x3
	buffer_load_dword v176, off, s[0:3], 0 offset:796
	buffer_load_dword v175, off, s[0:3], 0 offset:792
	;; [unrolled: 1-line block ×4, first 2 shown]
	ds_read_b128 v[112:115], v160 offset:1360
	s_waitcnt vmcnt(58) lgkmcnt(1)
	v_mul_f64 v[183:184], v[1:2], v[120:121]
	v_mul_f64 v[120:121], v[3:4], v[120:121]
	s_waitcnt vmcnt(56)
	v_fma_f64 v[171:172], v[108:109], v[169:170], -v[171:172]
	v_add_f64 v[116:117], v[116:117], v[167:168]
	v_fma_f64 v[167:168], v[110:111], v[169:170], v[187:188]
	v_add_f64 v[5:6], v[5:6], v[173:174]
	s_clause 0x3
	buffer_load_dword v169, off, s[0:3], 0 offset:808
	buffer_load_dword v170, off, s[0:3], 0 offset:812
	;; [unrolled: 1-line block ×4, first 2 shown]
	ds_read_b128 v[108:111], v160 offset:1376
	s_waitcnt vmcnt(58) lgkmcnt(1)
	v_mul_f64 v[187:188], v[112:113], v[165:166]
	v_mul_f64 v[165:166], v[114:115], v[165:166]
	s_waitcnt vmcnt(56)
	v_fma_f64 v[120:121], v[1:2], v[185:186], -v[120:121]
	v_add_f64 v[116:117], v[116:117], v[171:172]
	v_fma_f64 v[171:172], v[3:4], v[185:186], v[183:184]
	v_add_f64 v[5:6], v[5:6], v[167:168]
	s_clause 0x1
	buffer_load_dword v167, off, s[0:3], 0 offset:800
	buffer_load_dword v168, off, s[0:3], 0 offset:804
	ds_read_b128 v[1:4], v160 offset:1392
	s_waitcnt vmcnt(56) lgkmcnt(1)
	v_mul_f64 v[183:184], v[108:109], v[128:129]
	v_mul_f64 v[128:129], v[110:111], v[128:129]
	s_waitcnt vmcnt(54)
	v_fma_f64 v[165:166], v[112:113], v[161:162], -v[165:166]
	v_add_f64 v[116:117], v[116:117], v[120:121]
	v_fma_f64 v[120:121], v[114:115], v[161:162], v[187:188]
	v_add_f64 v[5:6], v[5:6], v[171:172]
	ds_read_b128 v[112:115], v160 offset:1408
	s_waitcnt vmcnt(52) lgkmcnt(1)
	v_mul_f64 v[161:162], v[1:2], v[122:123]
	v_mul_f64 v[122:123], v[3:4], v[122:123]
	s_waitcnt vmcnt(50)
	v_fma_f64 v[128:129], v[108:109], v[136:137], -v[128:129]
	v_fma_f64 v[136:137], v[110:111], v[136:137], v[183:184]
	v_add_f64 v[116:117], v[116:117], v[165:166]
	v_add_f64 v[5:6], v[5:6], v[120:121]
	s_clause 0x3
	buffer_load_dword v120, off, s[0:3], 0 offset:240
	buffer_load_dword v121, off, s[0:3], 0 offset:244
	;; [unrolled: 1-line block ×4, first 2 shown]
	ds_read_b128 v[108:111], v160 offset:1424
	s_waitcnt vmcnt(52) lgkmcnt(1)
	v_mul_f64 v[171:172], v[112:113], v[118:119]
	v_mul_f64 v[118:119], v[114:115], v[118:119]
	s_waitcnt vmcnt(50)
	v_fma_f64 v[122:123], v[1:2], v[130:131], -v[122:123]
	v_add_f64 v[116:117], v[116:117], v[128:129]
	v_fma_f64 v[128:129], v[3:4], v[130:131], v[161:162]
	v_add_f64 v[5:6], v[5:6], v[136:137]
	ds_read_b128 v[1:4], v160 offset:1440
	s_waitcnt vmcnt(48) lgkmcnt(1)
	v_mul_f64 v[130:131], v[108:109], v[124:125]
	v_mul_f64 v[124:125], v[110:111], v[124:125]
	s_waitcnt vmcnt(46)
	v_fma_f64 v[118:119], v[112:113], v[144:145], -v[118:119]
	v_add_f64 v[116:117], v[116:117], v[122:123]
	v_fma_f64 v[122:123], v[114:115], v[144:145], v[171:172]
	v_add_f64 v[5:6], v[5:6], v[128:129]
	;; [unrolled: 9-line block ×4, first 2 shown]
	ds_read_b128 v[1:4], v160 offset:1488
	s_waitcnt vmcnt(36) lgkmcnt(1)
	v_mul_f64 v[128:129], v[110:111], v[134:135]
	v_mul_f64 v[118:119], v[108:109], v[134:135]
	s_waitcnt vmcnt(34)
	v_fma_f64 v[130:131], v[112:113], v[146:147], -v[130:131]
	v_fma_f64 v[122:123], v[114:115], v[146:147], v[122:123]
	ds_read_b128 v[112:115], v160 offset:1504
	v_add_f64 v[116:117], v[116:117], v[126:127]
	v_add_f64 v[5:6], v[5:6], v[124:125]
	s_waitcnt vmcnt(32) lgkmcnt(1)
	v_mul_f64 v[126:127], v[3:4], v[140:141]
	v_mul_f64 v[124:125], v[1:2], v[140:141]
	s_waitcnt vmcnt(30)
	v_fma_f64 v[128:129], v[108:109], v[158:159], -v[128:129]
	v_fma_f64 v[118:119], v[110:111], v[158:159], v[118:119]
	ds_read_b128 v[108:111], v160 offset:1520
	v_add_f64 v[116:117], v[116:117], v[130:131]
	v_add_f64 v[5:6], v[5:6], v[122:123]
	;; [unrolled: 9-line block ×6, first 2 shown]
	s_waitcnt vmcnt(12) lgkmcnt(1)
	v_mul_f64 v[128:129], v[110:111], v[175:176]
	v_mul_f64 v[118:119], v[108:109], v[175:176]
	s_waitcnt vmcnt(10)
	v_fma_f64 v[112:113], v[112:113], v[181:182], -v[130:131]
	v_fma_f64 v[114:115], v[114:115], v[181:182], v[122:123]
	v_add_f64 v[116:117], v[116:117], v[126:127]
	v_add_f64 v[5:6], v[5:6], v[124:125]
	s_waitcnt vmcnt(8) lgkmcnt(0)
	v_mul_f64 v[124:125], v[3:4], v[169:170]
	v_mul_f64 v[122:123], v[1:2], v[169:170]
	s_waitcnt vmcnt(6)
	v_fma_f64 v[108:109], v[108:109], v[173:174], -v[128:129]
	v_fma_f64 v[110:111], v[110:111], v[173:174], v[118:119]
	v_add_f64 v[112:113], v[116:117], v[112:113]
	v_add_f64 v[5:6], v[5:6], v[114:115]
	s_waitcnt vmcnt(4)
	v_fma_f64 v[1:2], v[1:2], v[167:168], -v[124:125]
	v_fma_f64 v[3:4], v[3:4], v[167:168], v[122:123]
	v_add_f64 v[108:109], v[112:113], v[108:109]
	v_add_f64 v[5:6], v[5:6], v[110:111]
	;; [unrolled: 1-line block ×4, first 2 shown]
	s_waitcnt vmcnt(2)
	v_add_f64 v[1:2], v[120:121], -v[1:2]
	s_waitcnt vmcnt(0)
	v_add_f64 v[3:4], v[165:166], -v[3:4]
	buffer_store_dword v2, off, s[0:3], 0 offset:244
	buffer_store_dword v1, off, s[0:3], 0 offset:240
	;; [unrolled: 1-line block ×4, first 2 shown]
	v_cmpx_lt_u32_e32 13, v0
	s_cbranch_execz .LBB113_287
; %bb.286:
	v_mov_b32_e32 v4, s49
	s_clause 0x3
	buffer_load_dword v1, v4, s[0:3], 0 offen
	buffer_load_dword v2, v4, s[0:3], 0 offen offset:4
	buffer_load_dword v3, v4, s[0:3], 0 offen offset:8
	;; [unrolled: 1-line block ×3, first 2 shown]
	buffer_store_dword v160, off, s[0:3], 0 offset:224
	buffer_store_dword v160, off, s[0:3], 0 offset:228
	;; [unrolled: 1-line block ×4, first 2 shown]
	s_waitcnt vmcnt(0)
	ds_write_b128 v7, v[1:4]
.LBB113_287:
	s_or_b32 exec_lo, exec_lo, s4
	s_waitcnt lgkmcnt(0)
	s_waitcnt_vscnt null, 0x0
	s_barrier
	buffer_gl0_inv
	s_clause 0x35
	buffer_load_dword v110, off, s[0:3], 0 offset:248
	buffer_load_dword v111, off, s[0:3], 0 offset:252
	;; [unrolled: 1-line block ×54, first 2 shown]
	ds_read_b128 v[161:164], v160 offset:1024
	s_clause 0x3
	buffer_load_dword v156, off, s[0:3], 0 offset:472
	buffer_load_dword v157, off, s[0:3], 0 offset:476
	;; [unrolled: 1-line block ×4, first 2 shown]
	ds_read_b128 v[165:168], v160 offset:1040
	s_clause 0x3
	buffer_load_dword v176, off, s[0:3], 0 offset:492
	buffer_load_dword v175, off, s[0:3], 0 offset:488
	;; [unrolled: 1-line block ×4, first 2 shown]
	ds_read_b128 v[169:172], v160 offset:1056
	s_mov_b32 s4, exec_lo
	s_waitcnt vmcnt(60) lgkmcnt(2)
	v_mul_f64 v[173:174], v[163:164], v[110:111]
	v_mul_f64 v[110:111], v[161:162], v[110:111]
	s_waitcnt vmcnt(58) lgkmcnt(1)
	v_mul_f64 v[179:180], v[167:168], v[5:6]
	v_mul_f64 v[5:6], v[165:166], v[5:6]
	;; [unrolled: 3-line block ×3, first 2 shown]
	v_fma_f64 v[161:162], v[161:162], v[108:109], -v[173:174]
	v_fma_f64 v[163:164], v[163:164], v[108:109], v[110:111]
	s_clause 0x3
	buffer_load_dword v173, off, s[0:3], 0 offset:504
	buffer_load_dword v174, off, s[0:3], 0 offset:508
	;; [unrolled: 1-line block ×4, first 2 shown]
	s_waitcnt vmcnt(56)
	v_fma_f64 v[165:166], v[165:166], v[1:2], -v[179:180]
	ds_read_b128 v[108:111], v160 offset:1072
	v_fma_f64 v[5:6], v[167:168], v[1:2], v[5:6]
	s_clause 0x3
	buffer_load_dword v168, off, s[0:3], 0 offset:524
	buffer_load_dword v167, off, s[0:3], 0 offset:520
	;; [unrolled: 1-line block ×4, first 2 shown]
	s_waitcnt vmcnt(56)
	v_fma_f64 v[169:170], v[169:170], v[120:121], -v[185:186]
	ds_read_b128 v[1:4], v160 offset:1088
	v_fma_f64 v[120:121], v[171:172], v[120:121], v[183:184]
	s_clause 0x3
	buffer_load_dword v171, off, s[0:3], 0 offset:536
	buffer_load_dword v172, off, s[0:3], 0 offset:540
	;; [unrolled: 1-line block ×4, first 2 shown]
	v_add_f64 v[161:162], v[161:162], 0
	v_add_f64 v[163:164], v[163:164], 0
	s_waitcnt lgkmcnt(1)
	v_mul_f64 v[187:188], v[108:109], v[112:113]
	v_mul_f64 v[112:113], v[110:111], v[112:113]
	s_waitcnt vmcnt(58) lgkmcnt(0)
	v_mul_f64 v[185:186], v[1:2], v[116:117]
	v_mul_f64 v[116:117], v[3:4], v[116:117]
	v_add_f64 v[165:166], v[161:162], v[165:166]
	v_add_f64 v[5:6], v[163:164], v[5:6]
	ds_read_b128 v[161:164], v160 offset:1104
	s_waitcnt vmcnt(56)
	v_fma_f64 v[112:113], v[108:109], v[114:115], -v[112:113]
	v_fma_f64 v[114:115], v[110:111], v[114:115], v[187:188]
	s_waitcnt vmcnt(52)
	v_fma_f64 v[116:117], v[1:2], v[128:129], -v[116:117]
	v_fma_f64 v[128:129], v[3:4], v[128:129], v[185:186]
	s_waitcnt lgkmcnt(0)
	v_mul_f64 v[187:188], v[161:162], v[118:119]
	v_add_f64 v[165:166], v[165:166], v[169:170]
	v_add_f64 v[5:6], v[5:6], v[120:121]
	s_clause 0x3
	buffer_load_dword v121, off, s[0:3], 0 offset:556
	buffer_load_dword v120, off, s[0:3], 0 offset:552
	buffer_load_dword v169, off, s[0:3], 0 offset:528
	buffer_load_dword v170, off, s[0:3], 0 offset:532
	v_mul_f64 v[118:119], v[163:164], v[118:119]
	ds_read_b128 v[108:111], v160 offset:1120
	v_add_f64 v[112:113], v[165:166], v[112:113]
	v_add_f64 v[5:6], v[5:6], v[114:115]
	s_clause 0x3
	buffer_load_dword v165, off, s[0:3], 0 offset:568
	buffer_load_dword v166, off, s[0:3], 0 offset:572
	;; [unrolled: 1-line block ×4, first 2 shown]
	s_waitcnt vmcnt(58) lgkmcnt(0)
	v_mul_f64 v[189:190], v[108:109], v[124:125]
	v_mul_f64 v[124:125], v[110:111], v[124:125]
	s_waitcnt vmcnt(56)
	v_fma_f64 v[118:119], v[161:162], v[122:123], -v[118:119]
	ds_read_b128 v[1:4], v160 offset:1136
	v_fma_f64 v[122:123], v[163:164], v[122:123], v[187:188]
	v_add_f64 v[116:117], v[112:113], v[116:117]
	v_add_f64 v[5:6], v[5:6], v[128:129]
	s_clause 0x3
	buffer_load_dword v129, off, s[0:3], 0 offset:588
	buffer_load_dword v128, off, s[0:3], 0 offset:584
	buffer_load_dword v161, off, s[0:3], 0 offset:560
	buffer_load_dword v162, off, s[0:3], 0 offset:564
	ds_read_b128 v[112:115], v160 offset:1152
	s_waitcnt vmcnt(58) lgkmcnt(1)
	v_mul_f64 v[163:164], v[1:2], v[126:127]
	v_mul_f64 v[126:127], v[3:4], v[126:127]
	s_waitcnt vmcnt(56)
	v_fma_f64 v[124:125], v[108:109], v[136:137], -v[124:125]
	v_add_f64 v[116:117], v[116:117], v[118:119]
	v_fma_f64 v[118:119], v[110:111], v[136:137], v[189:190]
	v_add_f64 v[5:6], v[5:6], v[122:123]
	s_clause 0x3
	buffer_load_dword v122, off, s[0:3], 0 offset:600
	buffer_load_dword v123, off, s[0:3], 0 offset:604
	buffer_load_dword v137, off, s[0:3], 0 offset:580
	buffer_load_dword v136, off, s[0:3], 0 offset:576
	s_waitcnt vmcnt(58) lgkmcnt(0)
	v_mul_f64 v[187:188], v[112:113], v[132:133]
	v_mul_f64 v[132:133], v[114:115], v[132:133]
	s_waitcnt vmcnt(56)
	v_fma_f64 v[126:127], v[1:2], v[130:131], -v[126:127]
	ds_read_b128 v[108:111], v160 offset:1168
	v_add_f64 v[116:117], v[116:117], v[124:125]
	v_fma_f64 v[124:125], v[3:4], v[130:131], v[163:164]
	v_add_f64 v[5:6], v[5:6], v[118:119]
	s_clause 0x3
	buffer_load_dword v119, off, s[0:3], 0 offset:620
	buffer_load_dword v118, off, s[0:3], 0 offset:616
	buffer_load_dword v130, off, s[0:3], 0 offset:592
	buffer_load_dword v131, off, s[0:3], 0 offset:596
	ds_read_b128 v[1:4], v160 offset:1184
	s_waitcnt vmcnt(58) lgkmcnt(1)
	v_mul_f64 v[163:164], v[108:109], v[134:135]
	v_mul_f64 v[134:135], v[110:111], v[134:135]
	s_waitcnt vmcnt(56)
	v_fma_f64 v[132:133], v[112:113], v[144:145], -v[132:133]
	v_add_f64 v[116:117], v[116:117], v[126:127]
	v_fma_f64 v[126:127], v[114:115], v[144:145], v[187:188]
	v_add_f64 v[5:6], v[5:6], v[124:125]
	s_clause 0x3
	buffer_load_dword v124, off, s[0:3], 0 offset:632
	buffer_load_dword v125, off, s[0:3], 0 offset:636
	buffer_load_dword v145, off, s[0:3], 0 offset:612
	buffer_load_dword v144, off, s[0:3], 0 offset:608
	s_waitcnt vmcnt(58) lgkmcnt(0)
	v_mul_f64 v[187:188], v[1:2], v[140:141]
	v_mul_f64 v[140:141], v[3:4], v[140:141]
	s_waitcnt vmcnt(56)
	v_fma_f64 v[134:135], v[108:109], v[138:139], -v[134:135]
	ds_read_b128 v[112:115], v160 offset:1200
	v_add_f64 v[116:117], v[116:117], v[132:133]
	v_fma_f64 v[132:133], v[110:111], v[138:139], v[163:164]
	;; [unrolled: 28-line block ×4, first 2 shown]
	v_add_f64 v[5:6], v[5:6], v[142:143]
	s_clause 0x3
	buffer_load_dword v143, off, s[0:3], 0 offset:716
	buffer_load_dword v142, off, s[0:3], 0 offset:712
	;; [unrolled: 1-line block ×4, first 2 shown]
	ds_read_b128 v[1:4], v160 offset:1280
	s_waitcnt vmcnt(58) lgkmcnt(1)
	v_mul_f64 v[163:164], v[108:109], v[175:176]
	v_mul_f64 v[175:176], v[110:111], v[175:176]
	s_waitcnt vmcnt(56)
	v_fma_f64 v[156:157], v[112:113], v[177:178], -v[156:157]
	v_add_f64 v[116:117], v[116:117], v[150:151]
	v_fma_f64 v[150:151], v[114:115], v[177:178], v[187:188]
	v_add_f64 v[5:6], v[5:6], v[148:149]
	s_clause 0x3
	buffer_load_dword v148, off, s[0:3], 0 offset:728
	buffer_load_dword v149, off, s[0:3], 0 offset:732
	;; [unrolled: 1-line block ×4, first 2 shown]
	ds_read_b128 v[112:115], v160 offset:1296
	s_waitcnt vmcnt(58) lgkmcnt(1)
	v_mul_f64 v[187:188], v[1:2], v[173:174]
	v_mul_f64 v[173:174], v[3:4], v[173:174]
	s_waitcnt vmcnt(56)
	v_fma_f64 v[175:176], v[108:109], v[181:182], -v[175:176]
	v_add_f64 v[116:117], v[116:117], v[156:157]
	v_fma_f64 v[156:157], v[110:111], v[181:182], v[163:164]
	v_add_f64 v[5:6], v[5:6], v[150:151]
	s_clause 0x3
	buffer_load_dword v151, off, s[0:3], 0 offset:748
	buffer_load_dword v150, off, s[0:3], 0 offset:744
	;; [unrolled: 1-line block ×4, first 2 shown]
	s_waitcnt vmcnt(58) lgkmcnt(0)
	v_mul_f64 v[181:182], v[112:113], v[167:168]
	v_mul_f64 v[167:168], v[114:115], v[167:168]
	ds_read_b128 v[108:111], v160 offset:1312
	s_waitcnt vmcnt(56)
	v_fma_f64 v[173:174], v[1:2], v[179:180], -v[173:174]
	v_add_f64 v[116:117], v[116:117], v[175:176]
	v_fma_f64 v[175:176], v[3:4], v[179:180], v[187:188]
	v_add_f64 v[5:6], v[5:6], v[156:157]
	s_clause 0x3
	buffer_load_dword v156, off, s[0:3], 0 offset:760
	buffer_load_dword v157, off, s[0:3], 0 offset:764
	;; [unrolled: 1-line block ×4, first 2 shown]
	s_waitcnt vmcnt(58) lgkmcnt(0)
	v_mul_f64 v[187:188], v[108:109], v[171:172]
	v_mul_f64 v[171:172], v[110:111], v[171:172]
	s_waitcnt vmcnt(56)
	v_fma_f64 v[167:168], v[112:113], v[183:184], -v[167:168]
	ds_read_b128 v[1:4], v160 offset:1328
	v_add_f64 v[116:117], v[116:117], v[173:174]
	v_fma_f64 v[173:174], v[114:115], v[183:184], v[181:182]
	v_add_f64 v[5:6], v[5:6], v[175:176]
	s_clause 0x3
	buffer_load_dword v176, off, s[0:3], 0 offset:780
	buffer_load_dword v175, off, s[0:3], 0 offset:776
	buffer_load_dword v181, off, s[0:3], 0 offset:752
	buffer_load_dword v182, off, s[0:3], 0 offset:756
	ds_read_b128 v[112:115], v160 offset:1344
	s_waitcnt vmcnt(58) lgkmcnt(1)
	v_mul_f64 v[183:184], v[1:2], v[120:121]
	v_mul_f64 v[120:121], v[3:4], v[120:121]
	s_waitcnt vmcnt(56)
	v_fma_f64 v[171:172], v[108:109], v[169:170], -v[171:172]
	v_add_f64 v[116:117], v[116:117], v[167:168]
	v_fma_f64 v[167:168], v[110:111], v[169:170], v[187:188]
	v_add_f64 v[5:6], v[5:6], v[173:174]
	s_clause 0x3
	buffer_load_dword v169, off, s[0:3], 0 offset:792
	buffer_load_dword v170, off, s[0:3], 0 offset:796
	buffer_load_dword v174, off, s[0:3], 0 offset:772
	buffer_load_dword v173, off, s[0:3], 0 offset:768
	ds_read_b128 v[108:111], v160 offset:1360
	s_waitcnt vmcnt(58) lgkmcnt(1)
	v_mul_f64 v[187:188], v[112:113], v[165:166]
	v_mul_f64 v[165:166], v[114:115], v[165:166]
	s_waitcnt vmcnt(56)
	v_fma_f64 v[120:121], v[1:2], v[185:186], -v[120:121]
	;; [unrolled: 14-line block ×3, first 2 shown]
	v_add_f64 v[116:117], v[116:117], v[120:121]
	v_fma_f64 v[120:121], v[114:115], v[161:162], v[187:188]
	v_add_f64 v[5:6], v[5:6], v[171:172]
	s_clause 0x1
	buffer_load_dword v162, off, s[0:3], 0 offset:804
	buffer_load_dword v161, off, s[0:3], 0 offset:800
	ds_read_b128 v[112:115], v160 offset:1392
	s_waitcnt vmcnt(56) lgkmcnt(1)
	v_mul_f64 v[171:172], v[1:2], v[122:123]
	v_mul_f64 v[122:123], v[3:4], v[122:123]
	s_waitcnt vmcnt(54)
	v_fma_f64 v[128:129], v[108:109], v[136:137], -v[128:129]
	v_fma_f64 v[136:137], v[110:111], v[136:137], v[185:186]
	ds_read_b128 v[108:111], v160 offset:1408
	v_add_f64 v[116:117], v[116:117], v[165:166]
	v_add_f64 v[5:6], v[5:6], v[120:121]
	s_waitcnt vmcnt(52) lgkmcnt(1)
	v_mul_f64 v[120:121], v[112:113], v[118:119]
	v_mul_f64 v[118:119], v[114:115], v[118:119]
	s_waitcnt vmcnt(50)
	v_fma_f64 v[122:123], v[1:2], v[130:131], -v[122:123]
	v_add_f64 v[116:117], v[116:117], v[128:129]
	v_fma_f64 v[128:129], v[3:4], v[130:131], v[171:172]
	v_add_f64 v[5:6], v[5:6], v[136:137]
	s_clause 0x3
	buffer_load_dword v130, off, s[0:3], 0 offset:224
	buffer_load_dword v131, off, s[0:3], 0 offset:228
	;; [unrolled: 1-line block ×4, first 2 shown]
	ds_read_b128 v[1:4], v160 offset:1424
	s_waitcnt vmcnt(52) lgkmcnt(1)
	v_mul_f64 v[165:166], v[108:109], v[124:125]
	v_mul_f64 v[124:125], v[110:111], v[124:125]
	s_waitcnt vmcnt(50)
	v_fma_f64 v[118:119], v[112:113], v[144:145], -v[118:119]
	v_fma_f64 v[120:121], v[114:115], v[144:145], v[120:121]
	ds_read_b128 v[112:115], v160 offset:1440
	v_add_f64 v[116:117], v[116:117], v[122:123]
	v_add_f64 v[5:6], v[5:6], v[128:129]
	s_waitcnt vmcnt(48) lgkmcnt(1)
	v_mul_f64 v[122:123], v[1:2], v[126:127]
	v_mul_f64 v[126:127], v[3:4], v[126:127]
	s_waitcnt vmcnt(46)
	v_fma_f64 v[124:125], v[108:109], v[138:139], -v[124:125]
	v_add_f64 v[116:117], v[116:117], v[118:119]
	v_fma_f64 v[118:119], v[110:111], v[138:139], v[165:166]
	v_add_f64 v[5:6], v[5:6], v[120:121]
	ds_read_b128 v[108:111], v160 offset:1456
	s_waitcnt vmcnt(44) lgkmcnt(1)
	v_mul_f64 v[128:129], v[114:115], v[132:133]
	v_mul_f64 v[120:121], v[112:113], v[132:133]
	s_waitcnt vmcnt(42)
	v_fma_f64 v[126:127], v[1:2], v[152:153], -v[126:127]
	v_fma_f64 v[122:123], v[3:4], v[152:153], v[122:123]
	ds_read_b128 v[1:4], v160 offset:1472
	v_add_f64 v[116:117], v[116:117], v[124:125]
	v_add_f64 v[5:6], v[5:6], v[118:119]
	s_waitcnt vmcnt(40) lgkmcnt(1)
	v_mul_f64 v[124:125], v[110:111], v[134:135]
	v_mul_f64 v[118:119], v[108:109], v[134:135]
	s_waitcnt vmcnt(38)
	v_fma_f64 v[128:129], v[112:113], v[146:147], -v[128:129]
	v_fma_f64 v[120:121], v[114:115], v[146:147], v[120:121]
	ds_read_b128 v[112:115], v160 offset:1488
	v_add_f64 v[116:117], v[116:117], v[126:127]
	v_add_f64 v[5:6], v[5:6], v[122:123]
	;; [unrolled: 9-line block ×8, first 2 shown]
	s_waitcnt vmcnt(12) lgkmcnt(1)
	v_mul_f64 v[126:127], v[3:4], v[169:170]
	v_mul_f64 v[122:123], v[1:2], v[169:170]
	s_waitcnt vmcnt(10)
	v_fma_f64 v[108:109], v[108:109], v[173:174], -v[124:125]
	v_fma_f64 v[110:111], v[110:111], v[173:174], v[118:119]
	v_add_f64 v[116:117], v[116:117], v[128:129]
	v_add_f64 v[5:6], v[5:6], v[120:121]
	s_waitcnt vmcnt(8) lgkmcnt(0)
	v_mul_f64 v[120:121], v[114:115], v[167:168]
	v_mul_f64 v[118:119], v[112:113], v[167:168]
	s_waitcnt vmcnt(6)
	v_fma_f64 v[1:2], v[1:2], v[183:184], -v[126:127]
	v_fma_f64 v[3:4], v[3:4], v[183:184], v[122:123]
	v_add_f64 v[108:109], v[116:117], v[108:109]
	v_add_f64 v[5:6], v[5:6], v[110:111]
	s_waitcnt vmcnt(4)
	v_fma_f64 v[110:111], v[112:113], v[161:162], -v[120:121]
	v_add_f64 v[1:2], v[108:109], v[1:2]
	v_fma_f64 v[108:109], v[114:115], v[161:162], v[118:119]
	v_add_f64 v[3:4], v[5:6], v[3:4]
	v_add_f64 v[1:2], v[1:2], v[110:111]
	;; [unrolled: 1-line block ×3, first 2 shown]
	s_waitcnt vmcnt(2)
	v_add_f64 v[1:2], v[130:131], -v[1:2]
	s_waitcnt vmcnt(0)
	v_add_f64 v[3:4], v[136:137], -v[3:4]
	buffer_store_dword v2, off, s[0:3], 0 offset:228
	buffer_store_dword v1, off, s[0:3], 0 offset:224
	;; [unrolled: 1-line block ×4, first 2 shown]
	v_cmpx_lt_u32_e32 12, v0
	s_cbranch_execz .LBB113_289
; %bb.288:
	v_mov_b32_e32 v4, s50
	v_mov_b32_e32 v5, 0
	s_clause 0x3
	buffer_load_dword v1, v4, s[0:3], 0 offen
	buffer_load_dword v2, v4, s[0:3], 0 offen offset:4
	buffer_load_dword v3, v4, s[0:3], 0 offen offset:8
	;; [unrolled: 1-line block ×3, first 2 shown]
	buffer_store_dword v5, off, s[0:3], 0 offset:208
	buffer_store_dword v5, off, s[0:3], 0 offset:212
	;; [unrolled: 1-line block ×4, first 2 shown]
	s_waitcnt vmcnt(0)
	ds_write_b128 v7, v[1:4]
.LBB113_289:
	s_or_b32 exec_lo, exec_lo, s4
	s_waitcnt lgkmcnt(0)
	s_waitcnt_vscnt null, 0x0
	s_barrier
	buffer_gl0_inv
	s_clause 0x35
	buffer_load_dword v110, off, s[0:3], 0 offset:232
	buffer_load_dword v111, off, s[0:3], 0 offset:236
	;; [unrolled: 1-line block ×54, first 2 shown]
	v_mov_b32_e32 v160, 0
	s_mov_b32 s4, exec_lo
	ds_read_b128 v[161:164], v160 offset:1008
	s_clause 0x3
	buffer_load_dword v156, off, s[0:3], 0 offset:456
	buffer_load_dword v157, off, s[0:3], 0 offset:460
	;; [unrolled: 1-line block ×4, first 2 shown]
	ds_read_b128 v[165:168], v160 offset:1024
	s_clause 0x3
	buffer_load_dword v176, off, s[0:3], 0 offset:476
	buffer_load_dword v175, off, s[0:3], 0 offset:472
	;; [unrolled: 1-line block ×4, first 2 shown]
	ds_read_b128 v[169:172], v160 offset:1040
	s_waitcnt vmcnt(60) lgkmcnt(2)
	v_mul_f64 v[173:174], v[163:164], v[110:111]
	v_mul_f64 v[110:111], v[161:162], v[110:111]
	s_waitcnt vmcnt(58) lgkmcnt(1)
	v_mul_f64 v[179:180], v[167:168], v[5:6]
	v_mul_f64 v[5:6], v[165:166], v[5:6]
	;; [unrolled: 3-line block ×3, first 2 shown]
	v_fma_f64 v[161:162], v[161:162], v[108:109], -v[173:174]
	v_fma_f64 v[163:164], v[163:164], v[108:109], v[110:111]
	s_clause 0x3
	buffer_load_dword v173, off, s[0:3], 0 offset:488
	buffer_load_dword v174, off, s[0:3], 0 offset:492
	;; [unrolled: 1-line block ×4, first 2 shown]
	s_waitcnt vmcnt(56)
	v_fma_f64 v[165:166], v[165:166], v[1:2], -v[179:180]
	ds_read_b128 v[108:111], v160 offset:1056
	v_fma_f64 v[5:6], v[167:168], v[1:2], v[5:6]
	s_clause 0x3
	buffer_load_dword v168, off, s[0:3], 0 offset:508
	buffer_load_dword v167, off, s[0:3], 0 offset:504
	buffer_load_dword v179, off, s[0:3], 0 offset:480
	buffer_load_dword v180, off, s[0:3], 0 offset:484
	s_waitcnt vmcnt(56)
	v_fma_f64 v[169:170], v[169:170], v[120:121], -v[185:186]
	ds_read_b128 v[1:4], v160 offset:1072
	v_fma_f64 v[120:121], v[171:172], v[120:121], v[183:184]
	s_clause 0x3
	buffer_load_dword v171, off, s[0:3], 0 offset:520
	buffer_load_dword v172, off, s[0:3], 0 offset:524
	;; [unrolled: 1-line block ×4, first 2 shown]
	v_add_f64 v[161:162], v[161:162], 0
	v_add_f64 v[163:164], v[163:164], 0
	s_waitcnt lgkmcnt(1)
	v_mul_f64 v[187:188], v[108:109], v[112:113]
	v_mul_f64 v[112:113], v[110:111], v[112:113]
	s_waitcnt vmcnt(58) lgkmcnt(0)
	v_mul_f64 v[185:186], v[1:2], v[116:117]
	v_mul_f64 v[116:117], v[3:4], v[116:117]
	v_add_f64 v[165:166], v[161:162], v[165:166]
	v_add_f64 v[5:6], v[163:164], v[5:6]
	ds_read_b128 v[161:164], v160 offset:1088
	s_waitcnt vmcnt(56)
	v_fma_f64 v[112:113], v[108:109], v[114:115], -v[112:113]
	v_fma_f64 v[114:115], v[110:111], v[114:115], v[187:188]
	s_waitcnt vmcnt(52)
	v_fma_f64 v[116:117], v[1:2], v[128:129], -v[116:117]
	v_fma_f64 v[128:129], v[3:4], v[128:129], v[185:186]
	s_waitcnt lgkmcnt(0)
	v_mul_f64 v[187:188], v[161:162], v[118:119]
	v_add_f64 v[165:166], v[165:166], v[169:170]
	v_add_f64 v[5:6], v[5:6], v[120:121]
	s_clause 0x3
	buffer_load_dword v121, off, s[0:3], 0 offset:540
	buffer_load_dword v120, off, s[0:3], 0 offset:536
	;; [unrolled: 1-line block ×4, first 2 shown]
	v_mul_f64 v[118:119], v[163:164], v[118:119]
	ds_read_b128 v[108:111], v160 offset:1104
	v_add_f64 v[112:113], v[165:166], v[112:113]
	v_add_f64 v[5:6], v[5:6], v[114:115]
	s_clause 0x3
	buffer_load_dword v165, off, s[0:3], 0 offset:552
	buffer_load_dword v166, off, s[0:3], 0 offset:556
	;; [unrolled: 1-line block ×4, first 2 shown]
	s_waitcnt vmcnt(58) lgkmcnt(0)
	v_mul_f64 v[189:190], v[108:109], v[124:125]
	v_mul_f64 v[124:125], v[110:111], v[124:125]
	s_waitcnt vmcnt(56)
	v_fma_f64 v[118:119], v[161:162], v[122:123], -v[118:119]
	ds_read_b128 v[1:4], v160 offset:1120
	v_fma_f64 v[122:123], v[163:164], v[122:123], v[187:188]
	v_add_f64 v[116:117], v[112:113], v[116:117]
	v_add_f64 v[5:6], v[5:6], v[128:129]
	s_clause 0x3
	buffer_load_dword v129, off, s[0:3], 0 offset:572
	buffer_load_dword v128, off, s[0:3], 0 offset:568
	buffer_load_dword v161, off, s[0:3], 0 offset:544
	buffer_load_dword v162, off, s[0:3], 0 offset:548
	ds_read_b128 v[112:115], v160 offset:1136
	s_waitcnt vmcnt(58) lgkmcnt(1)
	v_mul_f64 v[163:164], v[1:2], v[126:127]
	v_mul_f64 v[126:127], v[3:4], v[126:127]
	s_waitcnt vmcnt(56)
	v_fma_f64 v[124:125], v[108:109], v[136:137], -v[124:125]
	v_add_f64 v[116:117], v[116:117], v[118:119]
	v_fma_f64 v[118:119], v[110:111], v[136:137], v[189:190]
	v_add_f64 v[5:6], v[5:6], v[122:123]
	s_clause 0x3
	buffer_load_dword v122, off, s[0:3], 0 offset:584
	buffer_load_dword v123, off, s[0:3], 0 offset:588
	buffer_load_dword v137, off, s[0:3], 0 offset:564
	buffer_load_dword v136, off, s[0:3], 0 offset:560
	s_waitcnt vmcnt(58) lgkmcnt(0)
	v_mul_f64 v[187:188], v[112:113], v[132:133]
	v_mul_f64 v[132:133], v[114:115], v[132:133]
	s_waitcnt vmcnt(56)
	v_fma_f64 v[126:127], v[1:2], v[130:131], -v[126:127]
	ds_read_b128 v[108:111], v160 offset:1152
	v_add_f64 v[116:117], v[116:117], v[124:125]
	v_fma_f64 v[124:125], v[3:4], v[130:131], v[163:164]
	v_add_f64 v[5:6], v[5:6], v[118:119]
	s_clause 0x3
	buffer_load_dword v119, off, s[0:3], 0 offset:604
	buffer_load_dword v118, off, s[0:3], 0 offset:600
	buffer_load_dword v130, off, s[0:3], 0 offset:576
	buffer_load_dword v131, off, s[0:3], 0 offset:580
	ds_read_b128 v[1:4], v160 offset:1168
	s_waitcnt vmcnt(58) lgkmcnt(1)
	v_mul_f64 v[163:164], v[108:109], v[134:135]
	v_mul_f64 v[134:135], v[110:111], v[134:135]
	s_waitcnt vmcnt(56)
	v_fma_f64 v[132:133], v[112:113], v[144:145], -v[132:133]
	v_add_f64 v[116:117], v[116:117], v[126:127]
	v_fma_f64 v[126:127], v[114:115], v[144:145], v[187:188]
	v_add_f64 v[5:6], v[5:6], v[124:125]
	s_clause 0x3
	buffer_load_dword v124, off, s[0:3], 0 offset:616
	buffer_load_dword v125, off, s[0:3], 0 offset:620
	buffer_load_dword v145, off, s[0:3], 0 offset:596
	buffer_load_dword v144, off, s[0:3], 0 offset:592
	s_waitcnt vmcnt(58) lgkmcnt(0)
	v_mul_f64 v[187:188], v[1:2], v[140:141]
	v_mul_f64 v[140:141], v[3:4], v[140:141]
	s_waitcnt vmcnt(56)
	v_fma_f64 v[134:135], v[108:109], v[138:139], -v[134:135]
	ds_read_b128 v[112:115], v160 offset:1184
	v_add_f64 v[116:117], v[116:117], v[132:133]
	v_fma_f64 v[132:133], v[110:111], v[138:139], v[163:164]
	;; [unrolled: 28-line block ×4, first 2 shown]
	v_add_f64 v[5:6], v[5:6], v[142:143]
	s_clause 0x3
	buffer_load_dword v143, off, s[0:3], 0 offset:700
	buffer_load_dword v142, off, s[0:3], 0 offset:696
	buffer_load_dword v154, off, s[0:3], 0 offset:672
	buffer_load_dword v155, off, s[0:3], 0 offset:676
	ds_read_b128 v[1:4], v160 offset:1264
	s_waitcnt vmcnt(58) lgkmcnt(1)
	v_mul_f64 v[163:164], v[108:109], v[175:176]
	v_mul_f64 v[175:176], v[110:111], v[175:176]
	s_waitcnt vmcnt(56)
	v_fma_f64 v[156:157], v[112:113], v[177:178], -v[156:157]
	v_add_f64 v[116:117], v[116:117], v[150:151]
	v_fma_f64 v[150:151], v[114:115], v[177:178], v[187:188]
	v_add_f64 v[5:6], v[5:6], v[148:149]
	s_clause 0x3
	buffer_load_dword v148, off, s[0:3], 0 offset:712
	buffer_load_dword v149, off, s[0:3], 0 offset:716
	;; [unrolled: 1-line block ×4, first 2 shown]
	ds_read_b128 v[112:115], v160 offset:1280
	s_waitcnt vmcnt(58) lgkmcnt(1)
	v_mul_f64 v[187:188], v[1:2], v[173:174]
	v_mul_f64 v[173:174], v[3:4], v[173:174]
	s_waitcnt vmcnt(56)
	v_fma_f64 v[175:176], v[108:109], v[181:182], -v[175:176]
	v_add_f64 v[116:117], v[116:117], v[156:157]
	v_fma_f64 v[156:157], v[110:111], v[181:182], v[163:164]
	v_add_f64 v[5:6], v[5:6], v[150:151]
	s_clause 0x3
	buffer_load_dword v151, off, s[0:3], 0 offset:732
	buffer_load_dword v150, off, s[0:3], 0 offset:728
	buffer_load_dword v163, off, s[0:3], 0 offset:704
	buffer_load_dword v164, off, s[0:3], 0 offset:708
	s_waitcnt vmcnt(58) lgkmcnt(0)
	v_mul_f64 v[181:182], v[112:113], v[167:168]
	v_mul_f64 v[167:168], v[114:115], v[167:168]
	ds_read_b128 v[108:111], v160 offset:1296
	s_waitcnt vmcnt(56)
	v_fma_f64 v[173:174], v[1:2], v[179:180], -v[173:174]
	v_add_f64 v[116:117], v[116:117], v[175:176]
	v_fma_f64 v[175:176], v[3:4], v[179:180], v[187:188]
	v_add_f64 v[5:6], v[5:6], v[156:157]
	s_clause 0x3
	buffer_load_dword v156, off, s[0:3], 0 offset:744
	buffer_load_dword v157, off, s[0:3], 0 offset:748
	;; [unrolled: 1-line block ×4, first 2 shown]
	s_waitcnt vmcnt(58) lgkmcnt(0)
	v_mul_f64 v[187:188], v[108:109], v[171:172]
	v_mul_f64 v[171:172], v[110:111], v[171:172]
	s_waitcnt vmcnt(56)
	v_fma_f64 v[167:168], v[112:113], v[183:184], -v[167:168]
	ds_read_b128 v[1:4], v160 offset:1312
	v_add_f64 v[116:117], v[116:117], v[173:174]
	v_fma_f64 v[173:174], v[114:115], v[183:184], v[181:182]
	v_add_f64 v[5:6], v[5:6], v[175:176]
	s_clause 0x3
	buffer_load_dword v176, off, s[0:3], 0 offset:764
	buffer_load_dword v175, off, s[0:3], 0 offset:760
	buffer_load_dword v181, off, s[0:3], 0 offset:736
	buffer_load_dword v182, off, s[0:3], 0 offset:740
	ds_read_b128 v[112:115], v160 offset:1328
	s_waitcnt vmcnt(58) lgkmcnt(1)
	v_mul_f64 v[183:184], v[1:2], v[120:121]
	v_mul_f64 v[120:121], v[3:4], v[120:121]
	s_waitcnt vmcnt(56)
	v_fma_f64 v[171:172], v[108:109], v[169:170], -v[171:172]
	v_add_f64 v[116:117], v[116:117], v[167:168]
	v_fma_f64 v[167:168], v[110:111], v[169:170], v[187:188]
	v_add_f64 v[5:6], v[5:6], v[173:174]
	s_clause 0x3
	buffer_load_dword v169, off, s[0:3], 0 offset:776
	buffer_load_dword v170, off, s[0:3], 0 offset:780
	buffer_load_dword v174, off, s[0:3], 0 offset:756
	buffer_load_dword v173, off, s[0:3], 0 offset:752
	ds_read_b128 v[108:111], v160 offset:1344
	s_waitcnt vmcnt(58) lgkmcnt(1)
	v_mul_f64 v[187:188], v[112:113], v[165:166]
	v_mul_f64 v[165:166], v[114:115], v[165:166]
	s_waitcnt vmcnt(56)
	v_fma_f64 v[120:121], v[1:2], v[185:186], -v[120:121]
	v_add_f64 v[116:117], v[116:117], v[171:172]
	v_fma_f64 v[171:172], v[3:4], v[185:186], v[183:184]
	v_add_f64 v[5:6], v[5:6], v[167:168]
	s_clause 0x3
	buffer_load_dword v168, off, s[0:3], 0 offset:796
	buffer_load_dword v167, off, s[0:3], 0 offset:792
	buffer_load_dword v183, off, s[0:3], 0 offset:768
	buffer_load_dword v184, off, s[0:3], 0 offset:772
	ds_read_b128 v[1:4], v160 offset:1360
	s_waitcnt vmcnt(58) lgkmcnt(1)
	v_mul_f64 v[185:186], v[108:109], v[128:129]
	v_mul_f64 v[128:129], v[110:111], v[128:129]
	s_waitcnt vmcnt(56)
	v_fma_f64 v[165:166], v[112:113], v[161:162], -v[165:166]
	v_add_f64 v[116:117], v[116:117], v[120:121]
	v_fma_f64 v[120:121], v[114:115], v[161:162], v[187:188]
	v_add_f64 v[5:6], v[5:6], v[171:172]
	s_clause 0x3
	buffer_load_dword v161, off, s[0:3], 0 offset:808
	buffer_load_dword v162, off, s[0:3], 0 offset:812
	buffer_load_dword v172, off, s[0:3], 0 offset:788
	buffer_load_dword v171, off, s[0:3], 0 offset:784
	ds_read_b128 v[112:115], v160 offset:1376
	s_waitcnt vmcnt(58) lgkmcnt(1)
	v_mul_f64 v[187:188], v[1:2], v[122:123]
	v_mul_f64 v[122:123], v[3:4], v[122:123]
	s_waitcnt vmcnt(56)
	v_fma_f64 v[128:129], v[108:109], v[136:137], -v[128:129]
	v_fma_f64 v[136:137], v[110:111], v[136:137], v[185:186]
	v_add_f64 v[116:117], v[116:117], v[165:166]
	v_add_f64 v[5:6], v[5:6], v[120:121]
	s_clause 0x1
	buffer_load_dword v120, off, s[0:3], 0 offset:800
	buffer_load_dword v121, off, s[0:3], 0 offset:804
	ds_read_b128 v[108:111], v160 offset:1392
	s_waitcnt vmcnt(56) lgkmcnt(1)
	v_mul_f64 v[165:166], v[112:113], v[118:119]
	v_mul_f64 v[118:119], v[114:115], v[118:119]
	s_waitcnt vmcnt(54)
	v_fma_f64 v[122:123], v[1:2], v[130:131], -v[122:123]
	v_add_f64 v[116:117], v[116:117], v[128:129]
	v_fma_f64 v[128:129], v[3:4], v[130:131], v[187:188]
	v_add_f64 v[5:6], v[5:6], v[136:137]
	ds_read_b128 v[1:4], v160 offset:1408
	s_waitcnt vmcnt(52) lgkmcnt(1)
	v_mul_f64 v[130:131], v[108:109], v[124:125]
	v_mul_f64 v[124:125], v[110:111], v[124:125]
	s_waitcnt vmcnt(50)
	v_fma_f64 v[118:119], v[112:113], v[144:145], -v[118:119]
	v_add_f64 v[116:117], v[116:117], v[122:123]
	v_fma_f64 v[122:123], v[114:115], v[144:145], v[165:166]
	v_add_f64 v[5:6], v[5:6], v[128:129]
	s_clause 0x3
	buffer_load_dword v128, off, s[0:3], 0 offset:208
	buffer_load_dword v129, off, s[0:3], 0 offset:212
	;; [unrolled: 1-line block ×4, first 2 shown]
	ds_read_b128 v[112:115], v160 offset:1424
	s_waitcnt vmcnt(52) lgkmcnt(1)
	v_mul_f64 v[144:145], v[1:2], v[126:127]
	v_mul_f64 v[126:127], v[3:4], v[126:127]
	s_waitcnt vmcnt(50)
	v_fma_f64 v[124:125], v[108:109], v[138:139], -v[124:125]
	v_add_f64 v[116:117], v[116:117], v[118:119]
	v_fma_f64 v[118:119], v[110:111], v[138:139], v[130:131]
	v_add_f64 v[5:6], v[5:6], v[122:123]
	ds_read_b128 v[108:111], v160 offset:1440
	s_waitcnt vmcnt(48) lgkmcnt(1)
	v_mul_f64 v[130:131], v[114:115], v[132:133]
	v_mul_f64 v[122:123], v[112:113], v[132:133]
	s_waitcnt vmcnt(46)
	v_fma_f64 v[126:127], v[1:2], v[152:153], -v[126:127]
	v_add_f64 v[116:117], v[116:117], v[124:125]
	v_fma_f64 v[124:125], v[3:4], v[152:153], v[144:145]
	v_add_f64 v[5:6], v[5:6], v[118:119]
	ds_read_b128 v[1:4], v160 offset:1456
	s_waitcnt vmcnt(44) lgkmcnt(1)
	v_mul_f64 v[132:133], v[110:111], v[134:135]
	v_mul_f64 v[118:119], v[108:109], v[134:135]
	s_waitcnt vmcnt(42)
	v_fma_f64 v[130:131], v[112:113], v[146:147], -v[130:131]
	v_fma_f64 v[122:123], v[114:115], v[146:147], v[122:123]
	ds_read_b128 v[112:115], v160 offset:1472
	v_add_f64 v[116:117], v[116:117], v[126:127]
	v_add_f64 v[5:6], v[5:6], v[124:125]
	s_waitcnt vmcnt(40) lgkmcnt(1)
	v_mul_f64 v[126:127], v[3:4], v[140:141]
	v_mul_f64 v[124:125], v[1:2], v[140:141]
	s_waitcnt vmcnt(38)
	v_fma_f64 v[132:133], v[108:109], v[158:159], -v[132:133]
	v_fma_f64 v[118:119], v[110:111], v[158:159], v[118:119]
	ds_read_b128 v[108:111], v160 offset:1488
	v_add_f64 v[116:117], v[116:117], v[130:131]
	v_add_f64 v[5:6], v[5:6], v[122:123]
	;; [unrolled: 9-line block ×8, first 2 shown]
	s_waitcnt vmcnt(12) lgkmcnt(1)
	v_mul_f64 v[130:131], v[114:115], v[167:168]
	v_mul_f64 v[122:123], v[112:113], v[167:168]
	s_waitcnt vmcnt(10)
	v_fma_f64 v[1:2], v[1:2], v[183:184], -v[126:127]
	v_fma_f64 v[3:4], v[3:4], v[183:184], v[124:125]
	v_add_f64 v[116:117], v[116:117], v[132:133]
	v_add_f64 v[5:6], v[5:6], v[118:119]
	s_waitcnt vmcnt(8) lgkmcnt(0)
	v_mul_f64 v[124:125], v[110:111], v[161:162]
	v_mul_f64 v[118:119], v[108:109], v[161:162]
	s_waitcnt vmcnt(6)
	v_fma_f64 v[112:113], v[112:113], v[171:172], -v[130:131]
	v_fma_f64 v[114:115], v[114:115], v[171:172], v[122:123]
	v_add_f64 v[1:2], v[116:117], v[1:2]
	v_add_f64 v[3:4], v[5:6], v[3:4]
	s_waitcnt vmcnt(4)
	v_fma_f64 v[5:6], v[108:109], v[120:121], -v[124:125]
	v_fma_f64 v[108:109], v[110:111], v[120:121], v[118:119]
	v_add_f64 v[1:2], v[1:2], v[112:113]
	v_add_f64 v[3:4], v[3:4], v[114:115]
	;; [unrolled: 1-line block ×4, first 2 shown]
	s_waitcnt vmcnt(2)
	v_add_f64 v[1:2], v[128:129], -v[1:2]
	s_waitcnt vmcnt(0)
	v_add_f64 v[3:4], v[136:137], -v[3:4]
	buffer_store_dword v2, off, s[0:3], 0 offset:212
	buffer_store_dword v1, off, s[0:3], 0 offset:208
	;; [unrolled: 1-line block ×4, first 2 shown]
	v_cmpx_lt_u32_e32 11, v0
	s_cbranch_execz .LBB113_291
; %bb.290:
	v_mov_b32_e32 v4, s51
	s_clause 0x3
	buffer_load_dword v1, v4, s[0:3], 0 offen
	buffer_load_dword v2, v4, s[0:3], 0 offen offset:4
	buffer_load_dword v3, v4, s[0:3], 0 offen offset:8
	;; [unrolled: 1-line block ×3, first 2 shown]
	buffer_store_dword v160, off, s[0:3], 0 offset:192
	buffer_store_dword v160, off, s[0:3], 0 offset:196
	;; [unrolled: 1-line block ×4, first 2 shown]
	s_waitcnt vmcnt(0)
	ds_write_b128 v7, v[1:4]
.LBB113_291:
	s_or_b32 exec_lo, exec_lo, s4
	s_waitcnt lgkmcnt(0)
	s_waitcnt_vscnt null, 0x0
	s_barrier
	buffer_gl0_inv
	s_clause 0x35
	buffer_load_dword v110, off, s[0:3], 0 offset:216
	buffer_load_dword v111, off, s[0:3], 0 offset:220
	;; [unrolled: 1-line block ×54, first 2 shown]
	ds_read_b128 v[161:164], v160 offset:992
	s_clause 0x3
	buffer_load_dword v156, off, s[0:3], 0 offset:440
	buffer_load_dword v157, off, s[0:3], 0 offset:444
	;; [unrolled: 1-line block ×4, first 2 shown]
	ds_read_b128 v[165:168], v160 offset:1008
	s_clause 0x3
	buffer_load_dword v176, off, s[0:3], 0 offset:460
	buffer_load_dword v175, off, s[0:3], 0 offset:456
	;; [unrolled: 1-line block ×4, first 2 shown]
	ds_read_b128 v[169:172], v160 offset:1024
	s_mov_b32 s4, exec_lo
	s_waitcnt vmcnt(60) lgkmcnt(2)
	v_mul_f64 v[173:174], v[163:164], v[110:111]
	v_mul_f64 v[110:111], v[161:162], v[110:111]
	s_waitcnt vmcnt(58) lgkmcnt(1)
	v_mul_f64 v[179:180], v[167:168], v[5:6]
	v_mul_f64 v[5:6], v[165:166], v[5:6]
	;; [unrolled: 3-line block ×3, first 2 shown]
	v_fma_f64 v[161:162], v[161:162], v[108:109], -v[173:174]
	v_fma_f64 v[163:164], v[163:164], v[108:109], v[110:111]
	s_clause 0x3
	buffer_load_dword v173, off, s[0:3], 0 offset:472
	buffer_load_dword v174, off, s[0:3], 0 offset:476
	;; [unrolled: 1-line block ×4, first 2 shown]
	s_waitcnt vmcnt(56)
	v_fma_f64 v[165:166], v[165:166], v[1:2], -v[179:180]
	ds_read_b128 v[108:111], v160 offset:1040
	v_fma_f64 v[5:6], v[167:168], v[1:2], v[5:6]
	s_clause 0x3
	buffer_load_dword v168, off, s[0:3], 0 offset:492
	buffer_load_dword v167, off, s[0:3], 0 offset:488
	;; [unrolled: 1-line block ×4, first 2 shown]
	s_waitcnt vmcnt(56)
	v_fma_f64 v[169:170], v[169:170], v[120:121], -v[185:186]
	ds_read_b128 v[1:4], v160 offset:1056
	v_fma_f64 v[120:121], v[171:172], v[120:121], v[183:184]
	s_clause 0x3
	buffer_load_dword v171, off, s[0:3], 0 offset:504
	buffer_load_dword v172, off, s[0:3], 0 offset:508
	;; [unrolled: 1-line block ×4, first 2 shown]
	v_add_f64 v[161:162], v[161:162], 0
	v_add_f64 v[163:164], v[163:164], 0
	s_waitcnt lgkmcnt(1)
	v_mul_f64 v[187:188], v[108:109], v[112:113]
	v_mul_f64 v[112:113], v[110:111], v[112:113]
	s_waitcnt vmcnt(58) lgkmcnt(0)
	v_mul_f64 v[185:186], v[1:2], v[116:117]
	v_mul_f64 v[116:117], v[3:4], v[116:117]
	v_add_f64 v[165:166], v[161:162], v[165:166]
	v_add_f64 v[5:6], v[163:164], v[5:6]
	ds_read_b128 v[161:164], v160 offset:1072
	s_waitcnt vmcnt(56)
	v_fma_f64 v[112:113], v[108:109], v[114:115], -v[112:113]
	v_fma_f64 v[114:115], v[110:111], v[114:115], v[187:188]
	s_waitcnt vmcnt(52)
	v_fma_f64 v[116:117], v[1:2], v[128:129], -v[116:117]
	v_fma_f64 v[128:129], v[3:4], v[128:129], v[185:186]
	s_waitcnt lgkmcnt(0)
	v_mul_f64 v[187:188], v[161:162], v[118:119]
	v_add_f64 v[165:166], v[165:166], v[169:170]
	v_add_f64 v[5:6], v[5:6], v[120:121]
	s_clause 0x3
	buffer_load_dword v121, off, s[0:3], 0 offset:524
	buffer_load_dword v120, off, s[0:3], 0 offset:520
	;; [unrolled: 1-line block ×4, first 2 shown]
	v_mul_f64 v[118:119], v[163:164], v[118:119]
	ds_read_b128 v[108:111], v160 offset:1088
	v_add_f64 v[112:113], v[165:166], v[112:113]
	v_add_f64 v[5:6], v[5:6], v[114:115]
	s_clause 0x3
	buffer_load_dword v165, off, s[0:3], 0 offset:536
	buffer_load_dword v166, off, s[0:3], 0 offset:540
	;; [unrolled: 1-line block ×4, first 2 shown]
	s_waitcnt vmcnt(58) lgkmcnt(0)
	v_mul_f64 v[189:190], v[108:109], v[124:125]
	v_mul_f64 v[124:125], v[110:111], v[124:125]
	s_waitcnt vmcnt(56)
	v_fma_f64 v[118:119], v[161:162], v[122:123], -v[118:119]
	ds_read_b128 v[1:4], v160 offset:1104
	v_fma_f64 v[122:123], v[163:164], v[122:123], v[187:188]
	v_add_f64 v[116:117], v[112:113], v[116:117]
	v_add_f64 v[5:6], v[5:6], v[128:129]
	s_clause 0x3
	buffer_load_dword v129, off, s[0:3], 0 offset:556
	buffer_load_dword v128, off, s[0:3], 0 offset:552
	buffer_load_dword v161, off, s[0:3], 0 offset:528
	buffer_load_dword v162, off, s[0:3], 0 offset:532
	ds_read_b128 v[112:115], v160 offset:1120
	s_waitcnt vmcnt(58) lgkmcnt(1)
	v_mul_f64 v[163:164], v[1:2], v[126:127]
	v_mul_f64 v[126:127], v[3:4], v[126:127]
	s_waitcnt vmcnt(56)
	v_fma_f64 v[124:125], v[108:109], v[136:137], -v[124:125]
	v_add_f64 v[116:117], v[116:117], v[118:119]
	v_fma_f64 v[118:119], v[110:111], v[136:137], v[189:190]
	v_add_f64 v[5:6], v[5:6], v[122:123]
	s_clause 0x3
	buffer_load_dword v122, off, s[0:3], 0 offset:568
	buffer_load_dword v123, off, s[0:3], 0 offset:572
	buffer_load_dword v137, off, s[0:3], 0 offset:548
	buffer_load_dword v136, off, s[0:3], 0 offset:544
	s_waitcnt vmcnt(58) lgkmcnt(0)
	v_mul_f64 v[187:188], v[112:113], v[132:133]
	v_mul_f64 v[132:133], v[114:115], v[132:133]
	s_waitcnt vmcnt(56)
	v_fma_f64 v[126:127], v[1:2], v[130:131], -v[126:127]
	ds_read_b128 v[108:111], v160 offset:1136
	v_add_f64 v[116:117], v[116:117], v[124:125]
	v_fma_f64 v[124:125], v[3:4], v[130:131], v[163:164]
	v_add_f64 v[5:6], v[5:6], v[118:119]
	s_clause 0x3
	buffer_load_dword v119, off, s[0:3], 0 offset:588
	buffer_load_dword v118, off, s[0:3], 0 offset:584
	buffer_load_dword v130, off, s[0:3], 0 offset:560
	buffer_load_dword v131, off, s[0:3], 0 offset:564
	ds_read_b128 v[1:4], v160 offset:1152
	s_waitcnt vmcnt(58) lgkmcnt(1)
	v_mul_f64 v[163:164], v[108:109], v[134:135]
	v_mul_f64 v[134:135], v[110:111], v[134:135]
	s_waitcnt vmcnt(56)
	v_fma_f64 v[132:133], v[112:113], v[144:145], -v[132:133]
	v_add_f64 v[116:117], v[116:117], v[126:127]
	v_fma_f64 v[126:127], v[114:115], v[144:145], v[187:188]
	v_add_f64 v[5:6], v[5:6], v[124:125]
	s_clause 0x3
	buffer_load_dword v124, off, s[0:3], 0 offset:600
	buffer_load_dword v125, off, s[0:3], 0 offset:604
	buffer_load_dword v145, off, s[0:3], 0 offset:580
	buffer_load_dword v144, off, s[0:3], 0 offset:576
	s_waitcnt vmcnt(58) lgkmcnt(0)
	v_mul_f64 v[187:188], v[1:2], v[140:141]
	v_mul_f64 v[140:141], v[3:4], v[140:141]
	s_waitcnt vmcnt(56)
	v_fma_f64 v[134:135], v[108:109], v[138:139], -v[134:135]
	ds_read_b128 v[112:115], v160 offset:1168
	v_add_f64 v[116:117], v[116:117], v[132:133]
	v_fma_f64 v[132:133], v[110:111], v[138:139], v[163:164]
	;; [unrolled: 28-line block ×4, first 2 shown]
	v_add_f64 v[5:6], v[5:6], v[142:143]
	s_clause 0x3
	buffer_load_dword v143, off, s[0:3], 0 offset:684
	buffer_load_dword v142, off, s[0:3], 0 offset:680
	;; [unrolled: 1-line block ×4, first 2 shown]
	ds_read_b128 v[1:4], v160 offset:1248
	s_waitcnt vmcnt(58) lgkmcnt(1)
	v_mul_f64 v[163:164], v[108:109], v[175:176]
	v_mul_f64 v[175:176], v[110:111], v[175:176]
	s_waitcnt vmcnt(56)
	v_fma_f64 v[156:157], v[112:113], v[177:178], -v[156:157]
	v_add_f64 v[116:117], v[116:117], v[150:151]
	v_fma_f64 v[150:151], v[114:115], v[177:178], v[187:188]
	v_add_f64 v[5:6], v[5:6], v[148:149]
	s_clause 0x3
	buffer_load_dword v148, off, s[0:3], 0 offset:696
	buffer_load_dword v149, off, s[0:3], 0 offset:700
	;; [unrolled: 1-line block ×4, first 2 shown]
	ds_read_b128 v[112:115], v160 offset:1264
	s_waitcnt vmcnt(58) lgkmcnt(1)
	v_mul_f64 v[187:188], v[1:2], v[173:174]
	v_mul_f64 v[173:174], v[3:4], v[173:174]
	s_waitcnt vmcnt(56)
	v_fma_f64 v[175:176], v[108:109], v[181:182], -v[175:176]
	v_add_f64 v[116:117], v[116:117], v[156:157]
	v_fma_f64 v[156:157], v[110:111], v[181:182], v[163:164]
	v_add_f64 v[5:6], v[5:6], v[150:151]
	s_clause 0x3
	buffer_load_dword v151, off, s[0:3], 0 offset:716
	buffer_load_dword v150, off, s[0:3], 0 offset:712
	;; [unrolled: 1-line block ×4, first 2 shown]
	s_waitcnt vmcnt(58) lgkmcnt(0)
	v_mul_f64 v[181:182], v[112:113], v[167:168]
	v_mul_f64 v[167:168], v[114:115], v[167:168]
	ds_read_b128 v[108:111], v160 offset:1280
	s_waitcnt vmcnt(56)
	v_fma_f64 v[173:174], v[1:2], v[179:180], -v[173:174]
	v_add_f64 v[116:117], v[116:117], v[175:176]
	v_fma_f64 v[175:176], v[3:4], v[179:180], v[187:188]
	v_add_f64 v[5:6], v[5:6], v[156:157]
	s_clause 0x3
	buffer_load_dword v156, off, s[0:3], 0 offset:728
	buffer_load_dword v157, off, s[0:3], 0 offset:732
	;; [unrolled: 1-line block ×4, first 2 shown]
	s_waitcnt vmcnt(58) lgkmcnt(0)
	v_mul_f64 v[187:188], v[108:109], v[171:172]
	v_mul_f64 v[171:172], v[110:111], v[171:172]
	s_waitcnt vmcnt(56)
	v_fma_f64 v[167:168], v[112:113], v[183:184], -v[167:168]
	ds_read_b128 v[1:4], v160 offset:1296
	v_add_f64 v[116:117], v[116:117], v[173:174]
	v_fma_f64 v[173:174], v[114:115], v[183:184], v[181:182]
	v_add_f64 v[5:6], v[5:6], v[175:176]
	s_clause 0x3
	buffer_load_dword v176, off, s[0:3], 0 offset:748
	buffer_load_dword v175, off, s[0:3], 0 offset:744
	buffer_load_dword v181, off, s[0:3], 0 offset:720
	buffer_load_dword v182, off, s[0:3], 0 offset:724
	ds_read_b128 v[112:115], v160 offset:1312
	s_waitcnt vmcnt(58) lgkmcnt(1)
	v_mul_f64 v[183:184], v[1:2], v[120:121]
	v_mul_f64 v[120:121], v[3:4], v[120:121]
	s_waitcnt vmcnt(56)
	v_fma_f64 v[171:172], v[108:109], v[169:170], -v[171:172]
	v_add_f64 v[116:117], v[116:117], v[167:168]
	v_fma_f64 v[167:168], v[110:111], v[169:170], v[187:188]
	v_add_f64 v[5:6], v[5:6], v[173:174]
	s_clause 0x3
	buffer_load_dword v169, off, s[0:3], 0 offset:760
	buffer_load_dword v170, off, s[0:3], 0 offset:764
	buffer_load_dword v174, off, s[0:3], 0 offset:740
	buffer_load_dword v173, off, s[0:3], 0 offset:736
	ds_read_b128 v[108:111], v160 offset:1328
	s_waitcnt vmcnt(58) lgkmcnt(1)
	v_mul_f64 v[187:188], v[112:113], v[165:166]
	v_mul_f64 v[165:166], v[114:115], v[165:166]
	s_waitcnt vmcnt(56)
	v_fma_f64 v[120:121], v[1:2], v[185:186], -v[120:121]
	;; [unrolled: 14-line block ×4, first 2 shown]
	v_fma_f64 v[136:137], v[110:111], v[136:137], v[185:186]
	v_add_f64 v[116:117], v[116:117], v[165:166]
	v_add_f64 v[5:6], v[5:6], v[120:121]
	s_clause 0x3
	buffer_load_dword v121, off, s[0:3], 0 offset:812
	buffer_load_dword v120, off, s[0:3], 0 offset:808
	;; [unrolled: 1-line block ×4, first 2 shown]
	ds_read_b128 v[108:111], v160 offset:1376
	s_waitcnt vmcnt(58) lgkmcnt(1)
	v_mul_f64 v[185:186], v[112:113], v[118:119]
	v_mul_f64 v[118:119], v[114:115], v[118:119]
	s_waitcnt vmcnt(56)
	v_fma_f64 v[122:123], v[1:2], v[130:131], -v[122:123]
	v_add_f64 v[116:117], v[116:117], v[128:129]
	v_fma_f64 v[128:129], v[3:4], v[130:131], v[187:188]
	v_add_f64 v[5:6], v[5:6], v[136:137]
	s_clause 0x1
	buffer_load_dword v131, off, s[0:3], 0 offset:804
	buffer_load_dword v130, off, s[0:3], 0 offset:800
	ds_read_b128 v[1:4], v160 offset:1392
	s_waitcnt vmcnt(56) lgkmcnt(1)
	v_mul_f64 v[136:137], v[108:109], v[124:125]
	v_mul_f64 v[124:125], v[110:111], v[124:125]
	s_waitcnt vmcnt(54)
	v_fma_f64 v[118:119], v[112:113], v[144:145], -v[118:119]
	v_add_f64 v[116:117], v[116:117], v[122:123]
	v_fma_f64 v[122:123], v[114:115], v[144:145], v[185:186]
	v_add_f64 v[5:6], v[5:6], v[128:129]
	ds_read_b128 v[112:115], v160 offset:1408
	s_waitcnt vmcnt(52) lgkmcnt(1)
	v_mul_f64 v[128:129], v[1:2], v[126:127]
	v_mul_f64 v[126:127], v[3:4], v[126:127]
	s_waitcnt vmcnt(50)
	v_fma_f64 v[124:125], v[108:109], v[138:139], -v[124:125]
	v_add_f64 v[116:117], v[116:117], v[118:119]
	v_fma_f64 v[118:119], v[110:111], v[138:139], v[136:137]
	v_add_f64 v[5:6], v[5:6], v[122:123]
	s_clause 0x3
	buffer_load_dword v122, off, s[0:3], 0 offset:192
	buffer_load_dword v123, off, s[0:3], 0 offset:196
	;; [unrolled: 1-line block ×4, first 2 shown]
	ds_read_b128 v[108:111], v160 offset:1424
	s_waitcnt vmcnt(52) lgkmcnt(1)
	v_mul_f64 v[138:139], v[112:113], v[132:133]
	v_mul_f64 v[132:133], v[114:115], v[132:133]
	s_waitcnt vmcnt(50)
	v_fma_f64 v[126:127], v[1:2], v[152:153], -v[126:127]
	v_add_f64 v[116:117], v[116:117], v[124:125]
	v_fma_f64 v[124:125], v[3:4], v[152:153], v[128:129]
	v_add_f64 v[5:6], v[5:6], v[118:119]
	ds_read_b128 v[1:4], v160 offset:1440
	s_waitcnt vmcnt(48) lgkmcnt(1)
	v_mul_f64 v[128:129], v[110:111], v[134:135]
	v_mul_f64 v[118:119], v[108:109], v[134:135]
	s_waitcnt vmcnt(46)
	v_fma_f64 v[132:133], v[112:113], v[146:147], -v[132:133]
	v_add_f64 v[116:117], v[116:117], v[126:127]
	v_fma_f64 v[126:127], v[114:115], v[146:147], v[138:139]
	v_add_f64 v[5:6], v[5:6], v[124:125]
	ds_read_b128 v[112:115], v160 offset:1456
	s_waitcnt vmcnt(44) lgkmcnt(1)
	v_mul_f64 v[134:135], v[3:4], v[140:141]
	v_mul_f64 v[124:125], v[1:2], v[140:141]
	s_waitcnt vmcnt(42)
	v_fma_f64 v[128:129], v[108:109], v[158:159], -v[128:129]
	v_fma_f64 v[118:119], v[110:111], v[158:159], v[118:119]
	ds_read_b128 v[108:111], v160 offset:1472
	v_add_f64 v[116:117], v[116:117], v[132:133]
	v_add_f64 v[5:6], v[5:6], v[126:127]
	s_waitcnt vmcnt(40) lgkmcnt(1)
	v_mul_f64 v[132:133], v[114:115], v[142:143]
	v_mul_f64 v[126:127], v[112:113], v[142:143]
	s_waitcnt vmcnt(38)
	v_fma_f64 v[134:135], v[1:2], v[154:155], -v[134:135]
	v_fma_f64 v[124:125], v[3:4], v[154:155], v[124:125]
	ds_read_b128 v[1:4], v160 offset:1488
	v_add_f64 v[116:117], v[116:117], v[128:129]
	v_add_f64 v[5:6], v[5:6], v[118:119]
	;; [unrolled: 9-line block ×8, first 2 shown]
	s_waitcnt vmcnt(12) lgkmcnt(1)
	v_mul_f64 v[128:129], v[110:111], v[161:162]
	v_mul_f64 v[118:119], v[108:109], v[161:162]
	s_waitcnt vmcnt(10)
	v_fma_f64 v[112:113], v[112:113], v[171:172], -v[132:133]
	v_fma_f64 v[114:115], v[114:115], v[171:172], v[126:127]
	v_add_f64 v[116:117], v[116:117], v[134:135]
	v_add_f64 v[5:6], v[5:6], v[124:125]
	s_waitcnt vmcnt(8) lgkmcnt(0)
	v_mul_f64 v[124:125], v[1:2], v[120:121]
	v_mul_f64 v[120:121], v[3:4], v[120:121]
	s_waitcnt vmcnt(6)
	v_fma_f64 v[108:109], v[108:109], v[165:166], -v[128:129]
	v_fma_f64 v[110:111], v[110:111], v[165:166], v[118:119]
	v_add_f64 v[112:113], v[116:117], v[112:113]
	v_add_f64 v[5:6], v[5:6], v[114:115]
	s_waitcnt vmcnt(4)
	v_fma_f64 v[1:2], v[1:2], v[130:131], -v[120:121]
	v_fma_f64 v[3:4], v[3:4], v[130:131], v[124:125]
	v_add_f64 v[108:109], v[112:113], v[108:109]
	v_add_f64 v[5:6], v[5:6], v[110:111]
	;; [unrolled: 1-line block ×4, first 2 shown]
	s_waitcnt vmcnt(2)
	v_add_f64 v[1:2], v[122:123], -v[1:2]
	s_waitcnt vmcnt(0)
	v_add_f64 v[3:4], v[136:137], -v[3:4]
	buffer_store_dword v2, off, s[0:3], 0 offset:196
	buffer_store_dword v1, off, s[0:3], 0 offset:192
	;; [unrolled: 1-line block ×4, first 2 shown]
	v_cmpx_lt_u32_e32 10, v0
	s_cbranch_execz .LBB113_293
; %bb.292:
	v_mov_b32_e32 v4, s52
	v_mov_b32_e32 v5, 0
	s_clause 0x3
	buffer_load_dword v1, v4, s[0:3], 0 offen
	buffer_load_dword v2, v4, s[0:3], 0 offen offset:4
	buffer_load_dword v3, v4, s[0:3], 0 offen offset:8
	;; [unrolled: 1-line block ×3, first 2 shown]
	buffer_store_dword v5, off, s[0:3], 0 offset:176
	buffer_store_dword v5, off, s[0:3], 0 offset:180
	;; [unrolled: 1-line block ×4, first 2 shown]
	s_waitcnt vmcnt(0)
	ds_write_b128 v7, v[1:4]
.LBB113_293:
	s_or_b32 exec_lo, exec_lo, s4
	s_waitcnt lgkmcnt(0)
	s_waitcnt_vscnt null, 0x0
	s_barrier
	buffer_gl0_inv
	s_clause 0x35
	buffer_load_dword v110, off, s[0:3], 0 offset:200
	buffer_load_dword v111, off, s[0:3], 0 offset:204
	;; [unrolled: 1-line block ×54, first 2 shown]
	v_mov_b32_e32 v160, 0
	s_mov_b32 s4, exec_lo
	ds_read_b128 v[161:164], v160 offset:976
	s_clause 0x3
	buffer_load_dword v156, off, s[0:3], 0 offset:424
	buffer_load_dword v157, off, s[0:3], 0 offset:428
	;; [unrolled: 1-line block ×4, first 2 shown]
	ds_read_b128 v[165:168], v160 offset:992
	s_clause 0x3
	buffer_load_dword v176, off, s[0:3], 0 offset:444
	buffer_load_dword v175, off, s[0:3], 0 offset:440
	;; [unrolled: 1-line block ×4, first 2 shown]
	ds_read_b128 v[169:172], v160 offset:1008
	s_waitcnt vmcnt(60) lgkmcnt(2)
	v_mul_f64 v[173:174], v[163:164], v[110:111]
	v_mul_f64 v[110:111], v[161:162], v[110:111]
	s_waitcnt vmcnt(58) lgkmcnt(1)
	v_mul_f64 v[179:180], v[167:168], v[5:6]
	v_mul_f64 v[5:6], v[165:166], v[5:6]
	;; [unrolled: 3-line block ×3, first 2 shown]
	v_fma_f64 v[161:162], v[161:162], v[108:109], -v[173:174]
	v_fma_f64 v[163:164], v[163:164], v[108:109], v[110:111]
	s_clause 0x3
	buffer_load_dword v173, off, s[0:3], 0 offset:456
	buffer_load_dword v174, off, s[0:3], 0 offset:460
	;; [unrolled: 1-line block ×4, first 2 shown]
	s_waitcnt vmcnt(56)
	v_fma_f64 v[165:166], v[165:166], v[1:2], -v[179:180]
	ds_read_b128 v[108:111], v160 offset:1024
	v_fma_f64 v[5:6], v[167:168], v[1:2], v[5:6]
	s_clause 0x3
	buffer_load_dword v168, off, s[0:3], 0 offset:476
	buffer_load_dword v167, off, s[0:3], 0 offset:472
	;; [unrolled: 1-line block ×4, first 2 shown]
	s_waitcnt vmcnt(56)
	v_fma_f64 v[169:170], v[169:170], v[120:121], -v[185:186]
	ds_read_b128 v[1:4], v160 offset:1040
	v_fma_f64 v[120:121], v[171:172], v[120:121], v[183:184]
	s_clause 0x3
	buffer_load_dword v171, off, s[0:3], 0 offset:488
	buffer_load_dword v172, off, s[0:3], 0 offset:492
	;; [unrolled: 1-line block ×4, first 2 shown]
	v_add_f64 v[161:162], v[161:162], 0
	v_add_f64 v[163:164], v[163:164], 0
	s_waitcnt lgkmcnt(1)
	v_mul_f64 v[187:188], v[108:109], v[112:113]
	v_mul_f64 v[112:113], v[110:111], v[112:113]
	s_waitcnt vmcnt(58) lgkmcnt(0)
	v_mul_f64 v[185:186], v[1:2], v[116:117]
	v_mul_f64 v[116:117], v[3:4], v[116:117]
	v_add_f64 v[165:166], v[161:162], v[165:166]
	v_add_f64 v[5:6], v[163:164], v[5:6]
	ds_read_b128 v[161:164], v160 offset:1056
	s_waitcnt vmcnt(56)
	v_fma_f64 v[112:113], v[108:109], v[114:115], -v[112:113]
	v_fma_f64 v[114:115], v[110:111], v[114:115], v[187:188]
	s_waitcnt vmcnt(52)
	v_fma_f64 v[116:117], v[1:2], v[128:129], -v[116:117]
	v_fma_f64 v[128:129], v[3:4], v[128:129], v[185:186]
	s_waitcnt lgkmcnt(0)
	v_mul_f64 v[187:188], v[161:162], v[118:119]
	v_add_f64 v[165:166], v[165:166], v[169:170]
	v_add_f64 v[5:6], v[5:6], v[120:121]
	s_clause 0x3
	buffer_load_dword v121, off, s[0:3], 0 offset:508
	buffer_load_dword v120, off, s[0:3], 0 offset:504
	;; [unrolled: 1-line block ×4, first 2 shown]
	v_mul_f64 v[118:119], v[163:164], v[118:119]
	ds_read_b128 v[108:111], v160 offset:1072
	v_add_f64 v[112:113], v[165:166], v[112:113]
	v_add_f64 v[5:6], v[5:6], v[114:115]
	s_clause 0x3
	buffer_load_dword v165, off, s[0:3], 0 offset:520
	buffer_load_dword v166, off, s[0:3], 0 offset:524
	;; [unrolled: 1-line block ×4, first 2 shown]
	s_waitcnt vmcnt(58) lgkmcnt(0)
	v_mul_f64 v[189:190], v[108:109], v[124:125]
	v_mul_f64 v[124:125], v[110:111], v[124:125]
	s_waitcnt vmcnt(56)
	v_fma_f64 v[118:119], v[161:162], v[122:123], -v[118:119]
	ds_read_b128 v[1:4], v160 offset:1088
	v_fma_f64 v[122:123], v[163:164], v[122:123], v[187:188]
	v_add_f64 v[116:117], v[112:113], v[116:117]
	v_add_f64 v[5:6], v[5:6], v[128:129]
	s_clause 0x3
	buffer_load_dword v129, off, s[0:3], 0 offset:540
	buffer_load_dword v128, off, s[0:3], 0 offset:536
	buffer_load_dword v161, off, s[0:3], 0 offset:512
	buffer_load_dword v162, off, s[0:3], 0 offset:516
	ds_read_b128 v[112:115], v160 offset:1104
	s_waitcnt vmcnt(58) lgkmcnt(1)
	v_mul_f64 v[163:164], v[1:2], v[126:127]
	v_mul_f64 v[126:127], v[3:4], v[126:127]
	s_waitcnt vmcnt(56)
	v_fma_f64 v[124:125], v[108:109], v[136:137], -v[124:125]
	v_add_f64 v[116:117], v[116:117], v[118:119]
	v_fma_f64 v[118:119], v[110:111], v[136:137], v[189:190]
	v_add_f64 v[5:6], v[5:6], v[122:123]
	s_clause 0x3
	buffer_load_dword v122, off, s[0:3], 0 offset:552
	buffer_load_dword v123, off, s[0:3], 0 offset:556
	buffer_load_dword v137, off, s[0:3], 0 offset:532
	buffer_load_dword v136, off, s[0:3], 0 offset:528
	s_waitcnt vmcnt(58) lgkmcnt(0)
	v_mul_f64 v[187:188], v[112:113], v[132:133]
	v_mul_f64 v[132:133], v[114:115], v[132:133]
	s_waitcnt vmcnt(56)
	v_fma_f64 v[126:127], v[1:2], v[130:131], -v[126:127]
	ds_read_b128 v[108:111], v160 offset:1120
	v_add_f64 v[116:117], v[116:117], v[124:125]
	v_fma_f64 v[124:125], v[3:4], v[130:131], v[163:164]
	v_add_f64 v[5:6], v[5:6], v[118:119]
	s_clause 0x3
	buffer_load_dword v119, off, s[0:3], 0 offset:572
	buffer_load_dword v118, off, s[0:3], 0 offset:568
	buffer_load_dword v130, off, s[0:3], 0 offset:544
	buffer_load_dword v131, off, s[0:3], 0 offset:548
	ds_read_b128 v[1:4], v160 offset:1136
	s_waitcnt vmcnt(58) lgkmcnt(1)
	v_mul_f64 v[163:164], v[108:109], v[134:135]
	v_mul_f64 v[134:135], v[110:111], v[134:135]
	s_waitcnt vmcnt(56)
	v_fma_f64 v[132:133], v[112:113], v[144:145], -v[132:133]
	v_add_f64 v[116:117], v[116:117], v[126:127]
	v_fma_f64 v[126:127], v[114:115], v[144:145], v[187:188]
	v_add_f64 v[5:6], v[5:6], v[124:125]
	s_clause 0x3
	buffer_load_dword v124, off, s[0:3], 0 offset:584
	buffer_load_dword v125, off, s[0:3], 0 offset:588
	buffer_load_dword v145, off, s[0:3], 0 offset:564
	buffer_load_dword v144, off, s[0:3], 0 offset:560
	s_waitcnt vmcnt(58) lgkmcnt(0)
	v_mul_f64 v[187:188], v[1:2], v[140:141]
	v_mul_f64 v[140:141], v[3:4], v[140:141]
	s_waitcnt vmcnt(56)
	v_fma_f64 v[134:135], v[108:109], v[138:139], -v[134:135]
	ds_read_b128 v[112:115], v160 offset:1152
	v_add_f64 v[116:117], v[116:117], v[132:133]
	v_fma_f64 v[132:133], v[110:111], v[138:139], v[163:164]
	;; [unrolled: 28-line block ×4, first 2 shown]
	v_add_f64 v[5:6], v[5:6], v[142:143]
	s_clause 0x3
	buffer_load_dword v143, off, s[0:3], 0 offset:668
	buffer_load_dword v142, off, s[0:3], 0 offset:664
	;; [unrolled: 1-line block ×4, first 2 shown]
	ds_read_b128 v[1:4], v160 offset:1232
	s_waitcnt vmcnt(58) lgkmcnt(1)
	v_mul_f64 v[163:164], v[108:109], v[175:176]
	v_mul_f64 v[175:176], v[110:111], v[175:176]
	s_waitcnt vmcnt(56)
	v_fma_f64 v[156:157], v[112:113], v[177:178], -v[156:157]
	v_add_f64 v[116:117], v[116:117], v[150:151]
	v_fma_f64 v[150:151], v[114:115], v[177:178], v[187:188]
	v_add_f64 v[5:6], v[5:6], v[148:149]
	s_clause 0x3
	buffer_load_dword v148, off, s[0:3], 0 offset:680
	buffer_load_dword v149, off, s[0:3], 0 offset:684
	;; [unrolled: 1-line block ×4, first 2 shown]
	ds_read_b128 v[112:115], v160 offset:1248
	s_waitcnt vmcnt(58) lgkmcnt(1)
	v_mul_f64 v[187:188], v[1:2], v[173:174]
	v_mul_f64 v[173:174], v[3:4], v[173:174]
	s_waitcnt vmcnt(56)
	v_fma_f64 v[175:176], v[108:109], v[181:182], -v[175:176]
	v_add_f64 v[116:117], v[116:117], v[156:157]
	v_fma_f64 v[156:157], v[110:111], v[181:182], v[163:164]
	v_add_f64 v[5:6], v[5:6], v[150:151]
	s_clause 0x3
	buffer_load_dword v151, off, s[0:3], 0 offset:700
	buffer_load_dword v150, off, s[0:3], 0 offset:696
	;; [unrolled: 1-line block ×4, first 2 shown]
	s_waitcnt vmcnt(58) lgkmcnt(0)
	v_mul_f64 v[181:182], v[112:113], v[167:168]
	v_mul_f64 v[167:168], v[114:115], v[167:168]
	ds_read_b128 v[108:111], v160 offset:1264
	s_waitcnt vmcnt(56)
	v_fma_f64 v[173:174], v[1:2], v[179:180], -v[173:174]
	v_add_f64 v[116:117], v[116:117], v[175:176]
	v_fma_f64 v[175:176], v[3:4], v[179:180], v[187:188]
	v_add_f64 v[5:6], v[5:6], v[156:157]
	s_clause 0x3
	buffer_load_dword v156, off, s[0:3], 0 offset:712
	buffer_load_dword v157, off, s[0:3], 0 offset:716
	;; [unrolled: 1-line block ×4, first 2 shown]
	s_waitcnt vmcnt(58) lgkmcnt(0)
	v_mul_f64 v[187:188], v[108:109], v[171:172]
	v_mul_f64 v[171:172], v[110:111], v[171:172]
	s_waitcnt vmcnt(56)
	v_fma_f64 v[167:168], v[112:113], v[183:184], -v[167:168]
	ds_read_b128 v[1:4], v160 offset:1280
	v_add_f64 v[116:117], v[116:117], v[173:174]
	v_fma_f64 v[173:174], v[114:115], v[183:184], v[181:182]
	v_add_f64 v[5:6], v[5:6], v[175:176]
	s_clause 0x3
	buffer_load_dword v176, off, s[0:3], 0 offset:732
	buffer_load_dword v175, off, s[0:3], 0 offset:728
	buffer_load_dword v181, off, s[0:3], 0 offset:704
	buffer_load_dword v182, off, s[0:3], 0 offset:708
	ds_read_b128 v[112:115], v160 offset:1296
	s_waitcnt vmcnt(58) lgkmcnt(1)
	v_mul_f64 v[183:184], v[1:2], v[120:121]
	v_mul_f64 v[120:121], v[3:4], v[120:121]
	s_waitcnt vmcnt(56)
	v_fma_f64 v[171:172], v[108:109], v[169:170], -v[171:172]
	v_add_f64 v[116:117], v[116:117], v[167:168]
	v_fma_f64 v[167:168], v[110:111], v[169:170], v[187:188]
	v_add_f64 v[5:6], v[5:6], v[173:174]
	s_clause 0x3
	buffer_load_dword v169, off, s[0:3], 0 offset:744
	buffer_load_dword v170, off, s[0:3], 0 offset:748
	buffer_load_dword v174, off, s[0:3], 0 offset:724
	buffer_load_dword v173, off, s[0:3], 0 offset:720
	ds_read_b128 v[108:111], v160 offset:1312
	s_waitcnt vmcnt(58) lgkmcnt(1)
	v_mul_f64 v[187:188], v[112:113], v[165:166]
	v_mul_f64 v[165:166], v[114:115], v[165:166]
	s_waitcnt vmcnt(56)
	v_fma_f64 v[120:121], v[1:2], v[185:186], -v[120:121]
	;; [unrolled: 14-line block ×4, first 2 shown]
	v_fma_f64 v[136:137], v[110:111], v[136:137], v[185:186]
	v_add_f64 v[116:117], v[116:117], v[165:166]
	v_add_f64 v[5:6], v[5:6], v[120:121]
	s_clause 0x3
	buffer_load_dword v121, off, s[0:3], 0 offset:796
	buffer_load_dword v120, off, s[0:3], 0 offset:792
	;; [unrolled: 1-line block ×4, first 2 shown]
	ds_read_b128 v[108:111], v160 offset:1360
	s_waitcnt vmcnt(58) lgkmcnt(1)
	v_mul_f64 v[185:186], v[112:113], v[118:119]
	v_mul_f64 v[118:119], v[114:115], v[118:119]
	s_waitcnt vmcnt(56)
	v_fma_f64 v[122:123], v[1:2], v[130:131], -v[122:123]
	v_add_f64 v[116:117], v[116:117], v[128:129]
	v_fma_f64 v[128:129], v[3:4], v[130:131], v[187:188]
	v_add_f64 v[5:6], v[5:6], v[136:137]
	s_clause 0x3
	buffer_load_dword v130, off, s[0:3], 0 offset:808
	buffer_load_dword v131, off, s[0:3], 0 offset:812
	;; [unrolled: 1-line block ×4, first 2 shown]
	ds_read_b128 v[1:4], v160 offset:1376
	s_waitcnt vmcnt(58) lgkmcnt(1)
	v_mul_f64 v[187:188], v[108:109], v[124:125]
	v_mul_f64 v[124:125], v[110:111], v[124:125]
	s_waitcnt vmcnt(56)
	v_fma_f64 v[118:119], v[112:113], v[144:145], -v[118:119]
	v_add_f64 v[116:117], v[116:117], v[122:123]
	v_fma_f64 v[122:123], v[114:115], v[144:145], v[185:186]
	v_add_f64 v[5:6], v[5:6], v[128:129]
	s_clause 0x1
	buffer_load_dword v128, off, s[0:3], 0 offset:800
	buffer_load_dword v129, off, s[0:3], 0 offset:804
	ds_read_b128 v[112:115], v160 offset:1392
	s_waitcnt vmcnt(56) lgkmcnt(1)
	v_mul_f64 v[144:145], v[1:2], v[126:127]
	v_mul_f64 v[126:127], v[3:4], v[126:127]
	s_waitcnt vmcnt(54)
	v_fma_f64 v[124:125], v[108:109], v[138:139], -v[124:125]
	v_add_f64 v[116:117], v[116:117], v[118:119]
	v_fma_f64 v[118:119], v[110:111], v[138:139], v[187:188]
	v_add_f64 v[5:6], v[5:6], v[122:123]
	ds_read_b128 v[108:111], v160 offset:1408
	s_waitcnt vmcnt(52) lgkmcnt(1)
	v_mul_f64 v[122:123], v[112:113], v[132:133]
	v_mul_f64 v[132:133], v[114:115], v[132:133]
	s_waitcnt vmcnt(50)
	v_fma_f64 v[126:127], v[1:2], v[152:153], -v[126:127]
	v_add_f64 v[116:117], v[116:117], v[124:125]
	v_fma_f64 v[124:125], v[3:4], v[152:153], v[144:145]
	v_add_f64 v[5:6], v[5:6], v[118:119]
	s_clause 0x3
	buffer_load_dword v118, off, s[0:3], 0 offset:176
	buffer_load_dword v119, off, s[0:3], 0 offset:180
	;; [unrolled: 1-line block ×4, first 2 shown]
	ds_read_b128 v[1:4], v160 offset:1424
	s_waitcnt vmcnt(52) lgkmcnt(1)
	v_mul_f64 v[144:145], v[108:109], v[134:135]
	v_mul_f64 v[134:135], v[110:111], v[134:135]
	s_waitcnt vmcnt(50)
	v_fma_f64 v[132:133], v[112:113], v[146:147], -v[132:133]
	v_fma_f64 v[122:123], v[114:115], v[146:147], v[122:123]
	ds_read_b128 v[112:115], v160 offset:1440
	v_add_f64 v[116:117], v[116:117], v[126:127]
	v_add_f64 v[5:6], v[5:6], v[124:125]
	s_waitcnt vmcnt(48) lgkmcnt(1)
	v_mul_f64 v[126:127], v[3:4], v[140:141]
	v_mul_f64 v[124:125], v[1:2], v[140:141]
	s_waitcnt vmcnt(46)
	v_fma_f64 v[134:135], v[108:109], v[158:159], -v[134:135]
	v_add_f64 v[116:117], v[116:117], v[132:133]
	v_fma_f64 v[132:133], v[110:111], v[158:159], v[144:145]
	v_add_f64 v[5:6], v[5:6], v[122:123]
	ds_read_b128 v[108:111], v160 offset:1456
	s_waitcnt vmcnt(44) lgkmcnt(1)
	v_mul_f64 v[140:141], v[114:115], v[142:143]
	v_mul_f64 v[122:123], v[112:113], v[142:143]
	s_waitcnt vmcnt(42)
	v_fma_f64 v[126:127], v[1:2], v[154:155], -v[126:127]
	v_fma_f64 v[124:125], v[3:4], v[154:155], v[124:125]
	ds_read_b128 v[1:4], v160 offset:1472
	v_add_f64 v[116:117], v[116:117], v[134:135]
	v_add_f64 v[5:6], v[5:6], v[132:133]
	s_waitcnt vmcnt(40) lgkmcnt(1)
	v_mul_f64 v[134:135], v[110:111], v[148:149]
	v_mul_f64 v[132:133], v[108:109], v[148:149]
	s_waitcnt vmcnt(38)
	v_fma_f64 v[140:141], v[112:113], v[177:178], -v[140:141]
	v_fma_f64 v[122:123], v[114:115], v[177:178], v[122:123]
	ds_read_b128 v[112:115], v160 offset:1488
	v_add_f64 v[116:117], v[116:117], v[126:127]
	v_add_f64 v[5:6], v[5:6], v[124:125]
	;; [unrolled: 9-line block ×8, first 2 shown]
	s_waitcnt vmcnt(12) lgkmcnt(1)
	v_mul_f64 v[124:125], v[1:2], v[120:121]
	v_mul_f64 v[120:121], v[3:4], v[120:121]
	s_waitcnt vmcnt(10)
	v_fma_f64 v[108:109], v[108:109], v[165:166], -v[134:135]
	v_fma_f64 v[110:111], v[110:111], v[165:166], v[132:133]
	v_add_f64 v[116:117], v[116:117], v[140:141]
	v_add_f64 v[5:6], v[5:6], v[122:123]
	s_waitcnt vmcnt(8) lgkmcnt(0)
	v_mul_f64 v[126:127], v[114:115], v[130:131]
	v_mul_f64 v[122:123], v[112:113], v[130:131]
	s_waitcnt vmcnt(6)
	v_fma_f64 v[1:2], v[1:2], v[136:137], -v[120:121]
	v_fma_f64 v[3:4], v[3:4], v[136:137], v[124:125]
	v_add_f64 v[108:109], v[116:117], v[108:109]
	v_add_f64 v[5:6], v[5:6], v[110:111]
	s_waitcnt vmcnt(4)
	v_fma_f64 v[110:111], v[112:113], v[128:129], -v[126:127]
	v_add_f64 v[1:2], v[108:109], v[1:2]
	v_fma_f64 v[108:109], v[114:115], v[128:129], v[122:123]
	v_add_f64 v[3:4], v[5:6], v[3:4]
	v_add_f64 v[1:2], v[1:2], v[110:111]
	;; [unrolled: 1-line block ×3, first 2 shown]
	s_waitcnt vmcnt(2)
	v_add_f64 v[1:2], v[118:119], -v[1:2]
	s_waitcnt vmcnt(0)
	v_add_f64 v[3:4], v[138:139], -v[3:4]
	buffer_store_dword v2, off, s[0:3], 0 offset:180
	buffer_store_dword v1, off, s[0:3], 0 offset:176
	;; [unrolled: 1-line block ×4, first 2 shown]
	v_cmpx_lt_u32_e32 9, v0
	s_cbranch_execz .LBB113_295
; %bb.294:
	v_mov_b32_e32 v4, s53
	s_clause 0x3
	buffer_load_dword v1, v4, s[0:3], 0 offen
	buffer_load_dword v2, v4, s[0:3], 0 offen offset:4
	buffer_load_dword v3, v4, s[0:3], 0 offen offset:8
	;; [unrolled: 1-line block ×3, first 2 shown]
	buffer_store_dword v160, off, s[0:3], 0 offset:160
	buffer_store_dword v160, off, s[0:3], 0 offset:164
	;; [unrolled: 1-line block ×4, first 2 shown]
	s_waitcnt vmcnt(0)
	ds_write_b128 v7, v[1:4]
.LBB113_295:
	s_or_b32 exec_lo, exec_lo, s4
	s_waitcnt lgkmcnt(0)
	s_waitcnt_vscnt null, 0x0
	s_barrier
	buffer_gl0_inv
	s_clause 0x35
	buffer_load_dword v110, off, s[0:3], 0 offset:184
	buffer_load_dword v111, off, s[0:3], 0 offset:188
	;; [unrolled: 1-line block ×54, first 2 shown]
	ds_read_b128 v[161:164], v160 offset:960
	s_clause 0x3
	buffer_load_dword v156, off, s[0:3], 0 offset:408
	buffer_load_dword v157, off, s[0:3], 0 offset:412
	;; [unrolled: 1-line block ×4, first 2 shown]
	ds_read_b128 v[165:168], v160 offset:976
	s_clause 0x3
	buffer_load_dword v176, off, s[0:3], 0 offset:428
	buffer_load_dword v175, off, s[0:3], 0 offset:424
	;; [unrolled: 1-line block ×4, first 2 shown]
	ds_read_b128 v[169:172], v160 offset:992
	s_mov_b32 s4, exec_lo
	s_waitcnt vmcnt(60) lgkmcnt(2)
	v_mul_f64 v[173:174], v[163:164], v[110:111]
	v_mul_f64 v[110:111], v[161:162], v[110:111]
	s_waitcnt vmcnt(58) lgkmcnt(1)
	v_mul_f64 v[179:180], v[167:168], v[5:6]
	v_mul_f64 v[5:6], v[165:166], v[5:6]
	;; [unrolled: 3-line block ×3, first 2 shown]
	v_fma_f64 v[161:162], v[161:162], v[108:109], -v[173:174]
	v_fma_f64 v[163:164], v[163:164], v[108:109], v[110:111]
	s_clause 0x3
	buffer_load_dword v173, off, s[0:3], 0 offset:440
	buffer_load_dword v174, off, s[0:3], 0 offset:444
	;; [unrolled: 1-line block ×4, first 2 shown]
	s_waitcnt vmcnt(56)
	v_fma_f64 v[165:166], v[165:166], v[1:2], -v[179:180]
	ds_read_b128 v[108:111], v160 offset:1008
	v_fma_f64 v[5:6], v[167:168], v[1:2], v[5:6]
	s_clause 0x3
	buffer_load_dword v168, off, s[0:3], 0 offset:460
	buffer_load_dword v167, off, s[0:3], 0 offset:456
	;; [unrolled: 1-line block ×4, first 2 shown]
	s_waitcnt vmcnt(56)
	v_fma_f64 v[169:170], v[169:170], v[120:121], -v[185:186]
	ds_read_b128 v[1:4], v160 offset:1024
	v_fma_f64 v[120:121], v[171:172], v[120:121], v[183:184]
	s_clause 0x3
	buffer_load_dword v171, off, s[0:3], 0 offset:472
	buffer_load_dword v172, off, s[0:3], 0 offset:476
	buffer_load_dword v184, off, s[0:3], 0 offset:452
	buffer_load_dword v183, off, s[0:3], 0 offset:448
	v_add_f64 v[161:162], v[161:162], 0
	v_add_f64 v[163:164], v[163:164], 0
	s_waitcnt lgkmcnt(1)
	v_mul_f64 v[187:188], v[108:109], v[112:113]
	v_mul_f64 v[112:113], v[110:111], v[112:113]
	s_waitcnt vmcnt(58) lgkmcnt(0)
	v_mul_f64 v[185:186], v[1:2], v[116:117]
	v_mul_f64 v[116:117], v[3:4], v[116:117]
	v_add_f64 v[165:166], v[161:162], v[165:166]
	v_add_f64 v[5:6], v[163:164], v[5:6]
	ds_read_b128 v[161:164], v160 offset:1040
	s_waitcnt vmcnt(56)
	v_fma_f64 v[112:113], v[108:109], v[114:115], -v[112:113]
	v_fma_f64 v[114:115], v[110:111], v[114:115], v[187:188]
	s_waitcnt vmcnt(52)
	v_fma_f64 v[116:117], v[1:2], v[128:129], -v[116:117]
	v_fma_f64 v[128:129], v[3:4], v[128:129], v[185:186]
	s_waitcnt lgkmcnt(0)
	v_mul_f64 v[187:188], v[161:162], v[118:119]
	v_add_f64 v[165:166], v[165:166], v[169:170]
	v_add_f64 v[5:6], v[5:6], v[120:121]
	s_clause 0x3
	buffer_load_dword v121, off, s[0:3], 0 offset:492
	buffer_load_dword v120, off, s[0:3], 0 offset:488
	;; [unrolled: 1-line block ×4, first 2 shown]
	v_mul_f64 v[118:119], v[163:164], v[118:119]
	ds_read_b128 v[108:111], v160 offset:1056
	v_add_f64 v[112:113], v[165:166], v[112:113]
	v_add_f64 v[5:6], v[5:6], v[114:115]
	s_clause 0x3
	buffer_load_dword v165, off, s[0:3], 0 offset:504
	buffer_load_dword v166, off, s[0:3], 0 offset:508
	;; [unrolled: 1-line block ×4, first 2 shown]
	s_waitcnt vmcnt(58) lgkmcnt(0)
	v_mul_f64 v[189:190], v[108:109], v[124:125]
	v_mul_f64 v[124:125], v[110:111], v[124:125]
	s_waitcnt vmcnt(56)
	v_fma_f64 v[118:119], v[161:162], v[122:123], -v[118:119]
	ds_read_b128 v[1:4], v160 offset:1072
	v_fma_f64 v[122:123], v[163:164], v[122:123], v[187:188]
	v_add_f64 v[116:117], v[112:113], v[116:117]
	v_add_f64 v[5:6], v[5:6], v[128:129]
	s_clause 0x3
	buffer_load_dword v129, off, s[0:3], 0 offset:524
	buffer_load_dword v128, off, s[0:3], 0 offset:520
	buffer_load_dword v161, off, s[0:3], 0 offset:496
	buffer_load_dword v162, off, s[0:3], 0 offset:500
	ds_read_b128 v[112:115], v160 offset:1088
	s_waitcnt vmcnt(58) lgkmcnt(1)
	v_mul_f64 v[163:164], v[1:2], v[126:127]
	v_mul_f64 v[126:127], v[3:4], v[126:127]
	s_waitcnt vmcnt(56)
	v_fma_f64 v[124:125], v[108:109], v[136:137], -v[124:125]
	v_add_f64 v[116:117], v[116:117], v[118:119]
	v_fma_f64 v[118:119], v[110:111], v[136:137], v[189:190]
	v_add_f64 v[5:6], v[5:6], v[122:123]
	s_clause 0x3
	buffer_load_dword v122, off, s[0:3], 0 offset:536
	buffer_load_dword v123, off, s[0:3], 0 offset:540
	buffer_load_dword v137, off, s[0:3], 0 offset:516
	buffer_load_dword v136, off, s[0:3], 0 offset:512
	s_waitcnt vmcnt(58) lgkmcnt(0)
	v_mul_f64 v[187:188], v[112:113], v[132:133]
	v_mul_f64 v[132:133], v[114:115], v[132:133]
	s_waitcnt vmcnt(56)
	v_fma_f64 v[126:127], v[1:2], v[130:131], -v[126:127]
	ds_read_b128 v[108:111], v160 offset:1104
	v_add_f64 v[116:117], v[116:117], v[124:125]
	v_fma_f64 v[124:125], v[3:4], v[130:131], v[163:164]
	v_add_f64 v[5:6], v[5:6], v[118:119]
	s_clause 0x3
	buffer_load_dword v119, off, s[0:3], 0 offset:556
	buffer_load_dword v118, off, s[0:3], 0 offset:552
	buffer_load_dword v130, off, s[0:3], 0 offset:528
	buffer_load_dword v131, off, s[0:3], 0 offset:532
	ds_read_b128 v[1:4], v160 offset:1120
	s_waitcnt vmcnt(58) lgkmcnt(1)
	v_mul_f64 v[163:164], v[108:109], v[134:135]
	v_mul_f64 v[134:135], v[110:111], v[134:135]
	s_waitcnt vmcnt(56)
	v_fma_f64 v[132:133], v[112:113], v[144:145], -v[132:133]
	v_add_f64 v[116:117], v[116:117], v[126:127]
	v_fma_f64 v[126:127], v[114:115], v[144:145], v[187:188]
	v_add_f64 v[5:6], v[5:6], v[124:125]
	s_clause 0x3
	buffer_load_dword v124, off, s[0:3], 0 offset:568
	buffer_load_dword v125, off, s[0:3], 0 offset:572
	buffer_load_dword v145, off, s[0:3], 0 offset:548
	buffer_load_dword v144, off, s[0:3], 0 offset:544
	s_waitcnt vmcnt(58) lgkmcnt(0)
	v_mul_f64 v[187:188], v[1:2], v[140:141]
	v_mul_f64 v[140:141], v[3:4], v[140:141]
	s_waitcnt vmcnt(56)
	v_fma_f64 v[134:135], v[108:109], v[138:139], -v[134:135]
	ds_read_b128 v[112:115], v160 offset:1136
	v_add_f64 v[116:117], v[116:117], v[132:133]
	v_fma_f64 v[132:133], v[110:111], v[138:139], v[163:164]
	;; [unrolled: 28-line block ×4, first 2 shown]
	v_add_f64 v[5:6], v[5:6], v[142:143]
	s_clause 0x3
	buffer_load_dword v143, off, s[0:3], 0 offset:652
	buffer_load_dword v142, off, s[0:3], 0 offset:648
	;; [unrolled: 1-line block ×4, first 2 shown]
	ds_read_b128 v[1:4], v160 offset:1216
	s_waitcnt vmcnt(58) lgkmcnt(1)
	v_mul_f64 v[163:164], v[108:109], v[175:176]
	v_mul_f64 v[175:176], v[110:111], v[175:176]
	s_waitcnt vmcnt(56)
	v_fma_f64 v[156:157], v[112:113], v[177:178], -v[156:157]
	v_add_f64 v[116:117], v[116:117], v[150:151]
	v_fma_f64 v[150:151], v[114:115], v[177:178], v[187:188]
	v_add_f64 v[5:6], v[5:6], v[148:149]
	s_clause 0x3
	buffer_load_dword v148, off, s[0:3], 0 offset:664
	buffer_load_dword v149, off, s[0:3], 0 offset:668
	;; [unrolled: 1-line block ×4, first 2 shown]
	ds_read_b128 v[112:115], v160 offset:1232
	s_waitcnt vmcnt(58) lgkmcnt(1)
	v_mul_f64 v[187:188], v[1:2], v[173:174]
	v_mul_f64 v[173:174], v[3:4], v[173:174]
	s_waitcnt vmcnt(56)
	v_fma_f64 v[175:176], v[108:109], v[181:182], -v[175:176]
	v_add_f64 v[116:117], v[116:117], v[156:157]
	v_fma_f64 v[156:157], v[110:111], v[181:182], v[163:164]
	v_add_f64 v[5:6], v[5:6], v[150:151]
	s_clause 0x3
	buffer_load_dword v151, off, s[0:3], 0 offset:684
	buffer_load_dword v150, off, s[0:3], 0 offset:680
	buffer_load_dword v163, off, s[0:3], 0 offset:656
	buffer_load_dword v164, off, s[0:3], 0 offset:660
	s_waitcnt vmcnt(58) lgkmcnt(0)
	v_mul_f64 v[181:182], v[112:113], v[167:168]
	v_mul_f64 v[167:168], v[114:115], v[167:168]
	ds_read_b128 v[108:111], v160 offset:1248
	s_waitcnt vmcnt(56)
	v_fma_f64 v[173:174], v[1:2], v[179:180], -v[173:174]
	v_add_f64 v[116:117], v[116:117], v[175:176]
	v_fma_f64 v[175:176], v[3:4], v[179:180], v[187:188]
	v_add_f64 v[5:6], v[5:6], v[156:157]
	s_clause 0x3
	buffer_load_dword v156, off, s[0:3], 0 offset:696
	buffer_load_dword v157, off, s[0:3], 0 offset:700
	;; [unrolled: 1-line block ×4, first 2 shown]
	s_waitcnt vmcnt(58) lgkmcnt(0)
	v_mul_f64 v[187:188], v[108:109], v[171:172]
	v_mul_f64 v[171:172], v[110:111], v[171:172]
	s_waitcnt vmcnt(56)
	v_fma_f64 v[167:168], v[112:113], v[183:184], -v[167:168]
	ds_read_b128 v[1:4], v160 offset:1264
	v_add_f64 v[116:117], v[116:117], v[173:174]
	v_fma_f64 v[173:174], v[114:115], v[183:184], v[181:182]
	v_add_f64 v[5:6], v[5:6], v[175:176]
	s_clause 0x3
	buffer_load_dword v176, off, s[0:3], 0 offset:716
	buffer_load_dword v175, off, s[0:3], 0 offset:712
	buffer_load_dword v181, off, s[0:3], 0 offset:688
	buffer_load_dword v182, off, s[0:3], 0 offset:692
	ds_read_b128 v[112:115], v160 offset:1280
	s_waitcnt vmcnt(58) lgkmcnt(1)
	v_mul_f64 v[183:184], v[1:2], v[120:121]
	v_mul_f64 v[120:121], v[3:4], v[120:121]
	s_waitcnt vmcnt(56)
	v_fma_f64 v[171:172], v[108:109], v[169:170], -v[171:172]
	v_add_f64 v[116:117], v[116:117], v[167:168]
	v_fma_f64 v[167:168], v[110:111], v[169:170], v[187:188]
	v_add_f64 v[5:6], v[5:6], v[173:174]
	s_clause 0x3
	buffer_load_dword v169, off, s[0:3], 0 offset:728
	buffer_load_dword v170, off, s[0:3], 0 offset:732
	buffer_load_dword v174, off, s[0:3], 0 offset:708
	buffer_load_dword v173, off, s[0:3], 0 offset:704
	ds_read_b128 v[108:111], v160 offset:1296
	s_waitcnt vmcnt(58) lgkmcnt(1)
	v_mul_f64 v[187:188], v[112:113], v[165:166]
	v_mul_f64 v[165:166], v[114:115], v[165:166]
	s_waitcnt vmcnt(56)
	v_fma_f64 v[120:121], v[1:2], v[185:186], -v[120:121]
	;; [unrolled: 14-line block ×4, first 2 shown]
	v_fma_f64 v[136:137], v[110:111], v[136:137], v[185:186]
	v_add_f64 v[116:117], v[116:117], v[165:166]
	v_add_f64 v[5:6], v[5:6], v[120:121]
	s_clause 0x3
	buffer_load_dword v121, off, s[0:3], 0 offset:780
	buffer_load_dword v120, off, s[0:3], 0 offset:776
	buffer_load_dword v165, off, s[0:3], 0 offset:752
	buffer_load_dword v166, off, s[0:3], 0 offset:756
	ds_read_b128 v[108:111], v160 offset:1344
	s_waitcnt vmcnt(58) lgkmcnt(1)
	v_mul_f64 v[185:186], v[112:113], v[118:119]
	v_mul_f64 v[118:119], v[114:115], v[118:119]
	s_waitcnt vmcnt(56)
	v_fma_f64 v[122:123], v[1:2], v[130:131], -v[122:123]
	v_add_f64 v[116:117], v[116:117], v[128:129]
	v_fma_f64 v[128:129], v[3:4], v[130:131], v[187:188]
	v_add_f64 v[5:6], v[5:6], v[136:137]
	s_clause 0x3
	buffer_load_dword v130, off, s[0:3], 0 offset:792
	buffer_load_dword v131, off, s[0:3], 0 offset:796
	buffer_load_dword v137, off, s[0:3], 0 offset:772
	buffer_load_dword v136, off, s[0:3], 0 offset:768
	ds_read_b128 v[1:4], v160 offset:1360
	s_waitcnt vmcnt(58) lgkmcnt(1)
	v_mul_f64 v[187:188], v[108:109], v[124:125]
	v_mul_f64 v[124:125], v[110:111], v[124:125]
	s_waitcnt vmcnt(56)
	v_fma_f64 v[118:119], v[112:113], v[144:145], -v[118:119]
	v_add_f64 v[116:117], v[116:117], v[122:123]
	v_fma_f64 v[122:123], v[114:115], v[144:145], v[185:186]
	;; [unrolled: 14-line block ×3, first 2 shown]
	v_add_f64 v[5:6], v[5:6], v[122:123]
	s_clause 0x1
	buffer_load_dword v123, off, s[0:3], 0 offset:804
	buffer_load_dword v122, off, s[0:3], 0 offset:800
	ds_read_b128 v[108:111], v160 offset:1392
	s_waitcnt vmcnt(56) lgkmcnt(1)
	v_mul_f64 v[138:139], v[112:113], v[132:133]
	v_mul_f64 v[132:133], v[114:115], v[132:133]
	s_waitcnt vmcnt(54)
	v_fma_f64 v[126:127], v[1:2], v[152:153], -v[126:127]
	v_add_f64 v[116:117], v[116:117], v[124:125]
	v_fma_f64 v[124:125], v[3:4], v[152:153], v[185:186]
	v_add_f64 v[5:6], v[5:6], v[118:119]
	ds_read_b128 v[1:4], v160 offset:1408
	s_waitcnt vmcnt(52) lgkmcnt(1)
	v_mul_f64 v[118:119], v[108:109], v[134:135]
	v_mul_f64 v[134:135], v[110:111], v[134:135]
	s_waitcnt vmcnt(50)
	v_fma_f64 v[132:133], v[112:113], v[146:147], -v[132:133]
	v_add_f64 v[116:117], v[116:117], v[126:127]
	v_fma_f64 v[126:127], v[114:115], v[146:147], v[138:139]
	v_add_f64 v[5:6], v[5:6], v[124:125]
	s_clause 0x3
	buffer_load_dword v124, off, s[0:3], 0 offset:160
	buffer_load_dword v125, off, s[0:3], 0 offset:164
	;; [unrolled: 1-line block ×4, first 2 shown]
	ds_read_b128 v[112:115], v160 offset:1424
	s_waitcnt vmcnt(52) lgkmcnt(1)
	v_mul_f64 v[146:147], v[1:2], v[140:141]
	v_mul_f64 v[140:141], v[3:4], v[140:141]
	s_waitcnt vmcnt(50)
	v_fma_f64 v[134:135], v[108:109], v[158:159], -v[134:135]
	v_fma_f64 v[118:119], v[110:111], v[158:159], v[118:119]
	ds_read_b128 v[108:111], v160 offset:1440
	v_add_f64 v[116:117], v[116:117], v[132:133]
	v_add_f64 v[5:6], v[5:6], v[126:127]
	s_waitcnt vmcnt(48) lgkmcnt(1)
	v_mul_f64 v[132:133], v[114:115], v[142:143]
	v_mul_f64 v[126:127], v[112:113], v[142:143]
	s_waitcnt vmcnt(46)
	v_fma_f64 v[140:141], v[1:2], v[154:155], -v[140:141]
	v_add_f64 v[116:117], v[116:117], v[134:135]
	v_fma_f64 v[134:135], v[3:4], v[154:155], v[146:147]
	v_add_f64 v[5:6], v[5:6], v[118:119]
	ds_read_b128 v[1:4], v160 offset:1456
	s_waitcnt vmcnt(44) lgkmcnt(1)
	v_mul_f64 v[142:143], v[110:111], v[148:149]
	v_mul_f64 v[118:119], v[108:109], v[148:149]
	s_waitcnt vmcnt(42)
	v_fma_f64 v[132:133], v[112:113], v[177:178], -v[132:133]
	v_fma_f64 v[126:127], v[114:115], v[177:178], v[126:127]
	ds_read_b128 v[112:115], v160 offset:1472
	v_add_f64 v[116:117], v[116:117], v[140:141]
	v_add_f64 v[5:6], v[5:6], v[134:135]
	s_waitcnt vmcnt(40) lgkmcnt(1)
	v_mul_f64 v[140:141], v[3:4], v[150:151]
	v_mul_f64 v[134:135], v[1:2], v[150:151]
	s_waitcnt vmcnt(38)
	v_fma_f64 v[142:143], v[108:109], v[163:164], -v[142:143]
	v_fma_f64 v[118:119], v[110:111], v[163:164], v[118:119]
	ds_read_b128 v[108:111], v160 offset:1488
	v_add_f64 v[116:117], v[116:117], v[132:133]
	v_add_f64 v[5:6], v[5:6], v[126:127]
	;; [unrolled: 9-line block ×8, first 2 shown]
	s_waitcnt vmcnt(12) lgkmcnt(1)
	v_mul_f64 v[126:127], v[112:113], v[130:131]
	v_mul_f64 v[130:131], v[114:115], v[130:131]
	s_waitcnt vmcnt(10)
	v_fma_f64 v[1:2], v[1:2], v[136:137], -v[120:121]
	v_fma_f64 v[3:4], v[3:4], v[136:137], v[134:135]
	v_add_f64 v[116:117], v[116:117], v[140:141]
	v_add_f64 v[5:6], v[5:6], v[118:119]
	s_waitcnt vmcnt(8) lgkmcnt(0)
	v_mul_f64 v[120:121], v[110:111], v[128:129]
	v_mul_f64 v[118:119], v[108:109], v[128:129]
	s_waitcnt vmcnt(6)
	v_fma_f64 v[112:113], v[112:113], v[144:145], -v[130:131]
	v_fma_f64 v[114:115], v[114:115], v[144:145], v[126:127]
	v_add_f64 v[1:2], v[116:117], v[1:2]
	v_add_f64 v[3:4], v[5:6], v[3:4]
	s_waitcnt vmcnt(4)
	v_fma_f64 v[5:6], v[108:109], v[122:123], -v[120:121]
	v_fma_f64 v[108:109], v[110:111], v[122:123], v[118:119]
	v_add_f64 v[1:2], v[1:2], v[112:113]
	v_add_f64 v[3:4], v[3:4], v[114:115]
	;; [unrolled: 1-line block ×4, first 2 shown]
	s_waitcnt vmcnt(2)
	v_add_f64 v[1:2], v[124:125], -v[1:2]
	s_waitcnt vmcnt(0)
	v_add_f64 v[3:4], v[138:139], -v[3:4]
	buffer_store_dword v2, off, s[0:3], 0 offset:164
	buffer_store_dword v1, off, s[0:3], 0 offset:160
	;; [unrolled: 1-line block ×4, first 2 shown]
	v_cmpx_lt_u32_e32 8, v0
	s_cbranch_execz .LBB113_297
; %bb.296:
	v_mov_b32_e32 v4, s54
	v_mov_b32_e32 v5, 0
	s_clause 0x3
	buffer_load_dword v1, v4, s[0:3], 0 offen
	buffer_load_dword v2, v4, s[0:3], 0 offen offset:4
	buffer_load_dword v3, v4, s[0:3], 0 offen offset:8
	buffer_load_dword v4, v4, s[0:3], 0 offen offset:12
	buffer_store_dword v5, off, s[0:3], 0 offset:144
	buffer_store_dword v5, off, s[0:3], 0 offset:148
	;; [unrolled: 1-line block ×4, first 2 shown]
	s_waitcnt vmcnt(0)
	ds_write_b128 v7, v[1:4]
.LBB113_297:
	s_or_b32 exec_lo, exec_lo, s4
	s_waitcnt lgkmcnt(0)
	s_waitcnt_vscnt null, 0x0
	s_barrier
	buffer_gl0_inv
	s_clause 0x35
	buffer_load_dword v110, off, s[0:3], 0 offset:168
	buffer_load_dword v111, off, s[0:3], 0 offset:172
	;; [unrolled: 1-line block ×54, first 2 shown]
	v_mov_b32_e32 v160, 0
	s_mov_b32 s4, exec_lo
	ds_read_b128 v[161:164], v160 offset:944
	s_clause 0x3
	buffer_load_dword v156, off, s[0:3], 0 offset:392
	buffer_load_dword v157, off, s[0:3], 0 offset:396
	;; [unrolled: 1-line block ×4, first 2 shown]
	ds_read_b128 v[165:168], v160 offset:960
	s_clause 0x3
	buffer_load_dword v176, off, s[0:3], 0 offset:412
	buffer_load_dword v175, off, s[0:3], 0 offset:408
	;; [unrolled: 1-line block ×4, first 2 shown]
	ds_read_b128 v[169:172], v160 offset:976
	s_waitcnt vmcnt(60) lgkmcnt(2)
	v_mul_f64 v[173:174], v[163:164], v[110:111]
	v_mul_f64 v[110:111], v[161:162], v[110:111]
	s_waitcnt vmcnt(58) lgkmcnt(1)
	v_mul_f64 v[179:180], v[167:168], v[5:6]
	v_mul_f64 v[5:6], v[165:166], v[5:6]
	;; [unrolled: 3-line block ×3, first 2 shown]
	v_fma_f64 v[161:162], v[161:162], v[108:109], -v[173:174]
	v_fma_f64 v[163:164], v[163:164], v[108:109], v[110:111]
	s_clause 0x3
	buffer_load_dword v173, off, s[0:3], 0 offset:424
	buffer_load_dword v174, off, s[0:3], 0 offset:428
	;; [unrolled: 1-line block ×4, first 2 shown]
	s_waitcnt vmcnt(56)
	v_fma_f64 v[165:166], v[165:166], v[1:2], -v[179:180]
	ds_read_b128 v[108:111], v160 offset:992
	v_fma_f64 v[5:6], v[167:168], v[1:2], v[5:6]
	s_clause 0x3
	buffer_load_dword v168, off, s[0:3], 0 offset:444
	buffer_load_dword v167, off, s[0:3], 0 offset:440
	;; [unrolled: 1-line block ×4, first 2 shown]
	s_waitcnt vmcnt(56)
	v_fma_f64 v[169:170], v[169:170], v[120:121], -v[185:186]
	ds_read_b128 v[1:4], v160 offset:1008
	v_fma_f64 v[120:121], v[171:172], v[120:121], v[183:184]
	s_clause 0x3
	buffer_load_dword v171, off, s[0:3], 0 offset:456
	buffer_load_dword v172, off, s[0:3], 0 offset:460
	;; [unrolled: 1-line block ×4, first 2 shown]
	v_add_f64 v[161:162], v[161:162], 0
	v_add_f64 v[163:164], v[163:164], 0
	s_waitcnt lgkmcnt(1)
	v_mul_f64 v[187:188], v[108:109], v[112:113]
	v_mul_f64 v[112:113], v[110:111], v[112:113]
	s_waitcnt vmcnt(58) lgkmcnt(0)
	v_mul_f64 v[185:186], v[1:2], v[116:117]
	v_mul_f64 v[116:117], v[3:4], v[116:117]
	v_add_f64 v[165:166], v[161:162], v[165:166]
	v_add_f64 v[5:6], v[163:164], v[5:6]
	ds_read_b128 v[161:164], v160 offset:1024
	s_waitcnt vmcnt(56)
	v_fma_f64 v[112:113], v[108:109], v[114:115], -v[112:113]
	v_fma_f64 v[114:115], v[110:111], v[114:115], v[187:188]
	s_waitcnt vmcnt(52)
	v_fma_f64 v[116:117], v[1:2], v[128:129], -v[116:117]
	v_fma_f64 v[128:129], v[3:4], v[128:129], v[185:186]
	s_waitcnt lgkmcnt(0)
	v_mul_f64 v[187:188], v[161:162], v[118:119]
	v_add_f64 v[165:166], v[165:166], v[169:170]
	v_add_f64 v[5:6], v[5:6], v[120:121]
	s_clause 0x3
	buffer_load_dword v121, off, s[0:3], 0 offset:476
	buffer_load_dword v120, off, s[0:3], 0 offset:472
	;; [unrolled: 1-line block ×4, first 2 shown]
	v_mul_f64 v[118:119], v[163:164], v[118:119]
	ds_read_b128 v[108:111], v160 offset:1040
	v_add_f64 v[112:113], v[165:166], v[112:113]
	v_add_f64 v[5:6], v[5:6], v[114:115]
	s_clause 0x3
	buffer_load_dword v165, off, s[0:3], 0 offset:488
	buffer_load_dword v166, off, s[0:3], 0 offset:492
	;; [unrolled: 1-line block ×4, first 2 shown]
	s_waitcnt vmcnt(58) lgkmcnt(0)
	v_mul_f64 v[189:190], v[108:109], v[124:125]
	v_mul_f64 v[124:125], v[110:111], v[124:125]
	s_waitcnt vmcnt(56)
	v_fma_f64 v[118:119], v[161:162], v[122:123], -v[118:119]
	ds_read_b128 v[1:4], v160 offset:1056
	v_fma_f64 v[122:123], v[163:164], v[122:123], v[187:188]
	v_add_f64 v[116:117], v[112:113], v[116:117]
	v_add_f64 v[5:6], v[5:6], v[128:129]
	s_clause 0x3
	buffer_load_dword v129, off, s[0:3], 0 offset:508
	buffer_load_dword v128, off, s[0:3], 0 offset:504
	buffer_load_dword v161, off, s[0:3], 0 offset:480
	buffer_load_dword v162, off, s[0:3], 0 offset:484
	ds_read_b128 v[112:115], v160 offset:1072
	s_waitcnt vmcnt(58) lgkmcnt(1)
	v_mul_f64 v[163:164], v[1:2], v[126:127]
	v_mul_f64 v[126:127], v[3:4], v[126:127]
	s_waitcnt vmcnt(56)
	v_fma_f64 v[124:125], v[108:109], v[136:137], -v[124:125]
	v_add_f64 v[116:117], v[116:117], v[118:119]
	v_fma_f64 v[118:119], v[110:111], v[136:137], v[189:190]
	v_add_f64 v[5:6], v[5:6], v[122:123]
	s_clause 0x3
	buffer_load_dword v122, off, s[0:3], 0 offset:520
	buffer_load_dword v123, off, s[0:3], 0 offset:524
	buffer_load_dword v137, off, s[0:3], 0 offset:500
	buffer_load_dword v136, off, s[0:3], 0 offset:496
	s_waitcnt vmcnt(58) lgkmcnt(0)
	v_mul_f64 v[187:188], v[112:113], v[132:133]
	v_mul_f64 v[132:133], v[114:115], v[132:133]
	s_waitcnt vmcnt(56)
	v_fma_f64 v[126:127], v[1:2], v[130:131], -v[126:127]
	ds_read_b128 v[108:111], v160 offset:1088
	v_add_f64 v[116:117], v[116:117], v[124:125]
	v_fma_f64 v[124:125], v[3:4], v[130:131], v[163:164]
	v_add_f64 v[5:6], v[5:6], v[118:119]
	s_clause 0x3
	buffer_load_dword v119, off, s[0:3], 0 offset:540
	buffer_load_dword v118, off, s[0:3], 0 offset:536
	buffer_load_dword v130, off, s[0:3], 0 offset:512
	buffer_load_dword v131, off, s[0:3], 0 offset:516
	ds_read_b128 v[1:4], v160 offset:1104
	s_waitcnt vmcnt(58) lgkmcnt(1)
	v_mul_f64 v[163:164], v[108:109], v[134:135]
	v_mul_f64 v[134:135], v[110:111], v[134:135]
	s_waitcnt vmcnt(56)
	v_fma_f64 v[132:133], v[112:113], v[144:145], -v[132:133]
	v_add_f64 v[116:117], v[116:117], v[126:127]
	v_fma_f64 v[126:127], v[114:115], v[144:145], v[187:188]
	v_add_f64 v[5:6], v[5:6], v[124:125]
	s_clause 0x3
	buffer_load_dword v124, off, s[0:3], 0 offset:552
	buffer_load_dword v125, off, s[0:3], 0 offset:556
	buffer_load_dword v145, off, s[0:3], 0 offset:532
	buffer_load_dword v144, off, s[0:3], 0 offset:528
	s_waitcnt vmcnt(58) lgkmcnt(0)
	v_mul_f64 v[187:188], v[1:2], v[140:141]
	v_mul_f64 v[140:141], v[3:4], v[140:141]
	s_waitcnt vmcnt(56)
	v_fma_f64 v[134:135], v[108:109], v[138:139], -v[134:135]
	ds_read_b128 v[112:115], v160 offset:1120
	v_add_f64 v[116:117], v[116:117], v[132:133]
	v_fma_f64 v[132:133], v[110:111], v[138:139], v[163:164]
	v_add_f64 v[5:6], v[5:6], v[126:127]
	s_clause 0x3
	buffer_load_dword v127, off, s[0:3], 0 offset:572
	buffer_load_dword v126, off, s[0:3], 0 offset:568
	buffer_load_dword v138, off, s[0:3], 0 offset:544
	buffer_load_dword v139, off, s[0:3], 0 offset:548
	ds_read_b128 v[108:111], v160 offset:1136
	s_waitcnt vmcnt(58) lgkmcnt(1)
	v_mul_f64 v[163:164], v[112:113], v[142:143]
	v_mul_f64 v[142:143], v[114:115], v[142:143]
	s_waitcnt vmcnt(56)
	v_fma_f64 v[140:141], v[1:2], v[152:153], -v[140:141]
	v_add_f64 v[116:117], v[116:117], v[134:135]
	v_fma_f64 v[134:135], v[3:4], v[152:153], v[187:188]
	v_add_f64 v[5:6], v[5:6], v[132:133]
	s_clause 0x3
	buffer_load_dword v132, off, s[0:3], 0 offset:584
	buffer_load_dword v133, off, s[0:3], 0 offset:588
	buffer_load_dword v153, off, s[0:3], 0 offset:564
	buffer_load_dword v152, off, s[0:3], 0 offset:560
	s_waitcnt vmcnt(58) lgkmcnt(0)
	v_mul_f64 v[187:188], v[108:109], v[148:149]
	v_mul_f64 v[148:149], v[110:111], v[148:149]
	s_waitcnt vmcnt(56)
	v_fma_f64 v[142:143], v[112:113], v[146:147], -v[142:143]
	ds_read_b128 v[1:4], v160 offset:1152
	v_add_f64 v[116:117], v[116:117], v[140:141]
	v_fma_f64 v[140:141], v[114:115], v[146:147], v[163:164]
	v_add_f64 v[5:6], v[5:6], v[134:135]
	s_clause 0x3
	buffer_load_dword v135, off, s[0:3], 0 offset:604
	buffer_load_dword v134, off, s[0:3], 0 offset:600
	buffer_load_dword v146, off, s[0:3], 0 offset:576
	buffer_load_dword v147, off, s[0:3], 0 offset:580
	ds_read_b128 v[112:115], v160 offset:1168
	s_waitcnt vmcnt(58) lgkmcnt(1)
	v_mul_f64 v[163:164], v[1:2], v[150:151]
	v_mul_f64 v[150:151], v[3:4], v[150:151]
	s_waitcnt vmcnt(56)
	v_fma_f64 v[148:149], v[108:109], v[158:159], -v[148:149]
	v_add_f64 v[116:117], v[116:117], v[142:143]
	v_fma_f64 v[142:143], v[110:111], v[158:159], v[187:188]
	v_add_f64 v[5:6], v[5:6], v[140:141]
	s_clause 0x3
	buffer_load_dword v140, off, s[0:3], 0 offset:616
	buffer_load_dword v141, off, s[0:3], 0 offset:620
	buffer_load_dword v159, off, s[0:3], 0 offset:596
	buffer_load_dword v158, off, s[0:3], 0 offset:592
	s_waitcnt vmcnt(58) lgkmcnt(0)
	v_mul_f64 v[187:188], v[112:113], v[156:157]
	v_mul_f64 v[156:157], v[114:115], v[156:157]
	s_waitcnt vmcnt(56)
	v_fma_f64 v[150:151], v[1:2], v[154:155], -v[150:151]
	ds_read_b128 v[108:111], v160 offset:1184
	v_add_f64 v[116:117], v[116:117], v[148:149]
	v_fma_f64 v[148:149], v[3:4], v[154:155], v[163:164]
	v_add_f64 v[5:6], v[5:6], v[142:143]
	s_clause 0x3
	buffer_load_dword v143, off, s[0:3], 0 offset:636
	buffer_load_dword v142, off, s[0:3], 0 offset:632
	;; [unrolled: 1-line block ×4, first 2 shown]
	ds_read_b128 v[1:4], v160 offset:1200
	s_waitcnt vmcnt(58) lgkmcnt(1)
	v_mul_f64 v[163:164], v[108:109], v[175:176]
	v_mul_f64 v[175:176], v[110:111], v[175:176]
	s_waitcnt vmcnt(56)
	v_fma_f64 v[156:157], v[112:113], v[177:178], -v[156:157]
	v_add_f64 v[116:117], v[116:117], v[150:151]
	v_fma_f64 v[150:151], v[114:115], v[177:178], v[187:188]
	v_add_f64 v[5:6], v[5:6], v[148:149]
	s_clause 0x3
	buffer_load_dword v148, off, s[0:3], 0 offset:648
	buffer_load_dword v149, off, s[0:3], 0 offset:652
	;; [unrolled: 1-line block ×4, first 2 shown]
	ds_read_b128 v[112:115], v160 offset:1216
	s_waitcnt vmcnt(58) lgkmcnt(1)
	v_mul_f64 v[187:188], v[1:2], v[173:174]
	v_mul_f64 v[173:174], v[3:4], v[173:174]
	s_waitcnt vmcnt(56)
	v_fma_f64 v[175:176], v[108:109], v[181:182], -v[175:176]
	v_add_f64 v[116:117], v[116:117], v[156:157]
	v_fma_f64 v[156:157], v[110:111], v[181:182], v[163:164]
	v_add_f64 v[5:6], v[5:6], v[150:151]
	s_clause 0x3
	buffer_load_dword v151, off, s[0:3], 0 offset:668
	buffer_load_dword v150, off, s[0:3], 0 offset:664
	;; [unrolled: 1-line block ×4, first 2 shown]
	s_waitcnt vmcnt(58) lgkmcnt(0)
	v_mul_f64 v[181:182], v[112:113], v[167:168]
	v_mul_f64 v[167:168], v[114:115], v[167:168]
	ds_read_b128 v[108:111], v160 offset:1232
	s_waitcnt vmcnt(56)
	v_fma_f64 v[173:174], v[1:2], v[179:180], -v[173:174]
	v_add_f64 v[116:117], v[116:117], v[175:176]
	v_fma_f64 v[175:176], v[3:4], v[179:180], v[187:188]
	v_add_f64 v[5:6], v[5:6], v[156:157]
	s_clause 0x3
	buffer_load_dword v156, off, s[0:3], 0 offset:680
	buffer_load_dword v157, off, s[0:3], 0 offset:684
	;; [unrolled: 1-line block ×4, first 2 shown]
	s_waitcnt vmcnt(58) lgkmcnt(0)
	v_mul_f64 v[187:188], v[108:109], v[171:172]
	v_mul_f64 v[171:172], v[110:111], v[171:172]
	s_waitcnt vmcnt(56)
	v_fma_f64 v[167:168], v[112:113], v[183:184], -v[167:168]
	ds_read_b128 v[1:4], v160 offset:1248
	v_add_f64 v[116:117], v[116:117], v[173:174]
	v_fma_f64 v[173:174], v[114:115], v[183:184], v[181:182]
	v_add_f64 v[5:6], v[5:6], v[175:176]
	s_clause 0x3
	buffer_load_dword v176, off, s[0:3], 0 offset:700
	buffer_load_dword v175, off, s[0:3], 0 offset:696
	buffer_load_dword v181, off, s[0:3], 0 offset:672
	buffer_load_dword v182, off, s[0:3], 0 offset:676
	ds_read_b128 v[112:115], v160 offset:1264
	s_waitcnt vmcnt(58) lgkmcnt(1)
	v_mul_f64 v[183:184], v[1:2], v[120:121]
	v_mul_f64 v[120:121], v[3:4], v[120:121]
	s_waitcnt vmcnt(56)
	v_fma_f64 v[171:172], v[108:109], v[169:170], -v[171:172]
	v_add_f64 v[116:117], v[116:117], v[167:168]
	v_fma_f64 v[167:168], v[110:111], v[169:170], v[187:188]
	v_add_f64 v[5:6], v[5:6], v[173:174]
	s_clause 0x3
	buffer_load_dword v169, off, s[0:3], 0 offset:712
	buffer_load_dword v170, off, s[0:3], 0 offset:716
	buffer_load_dword v174, off, s[0:3], 0 offset:692
	buffer_load_dword v173, off, s[0:3], 0 offset:688
	ds_read_b128 v[108:111], v160 offset:1280
	s_waitcnt vmcnt(58) lgkmcnt(1)
	v_mul_f64 v[187:188], v[112:113], v[165:166]
	v_mul_f64 v[165:166], v[114:115], v[165:166]
	s_waitcnt vmcnt(56)
	v_fma_f64 v[120:121], v[1:2], v[185:186], -v[120:121]
	v_add_f64 v[116:117], v[116:117], v[171:172]
	v_fma_f64 v[171:172], v[3:4], v[185:186], v[183:184]
	v_add_f64 v[5:6], v[5:6], v[167:168]
	s_clause 0x3
	buffer_load_dword v168, off, s[0:3], 0 offset:732
	buffer_load_dword v167, off, s[0:3], 0 offset:728
	buffer_load_dword v183, off, s[0:3], 0 offset:704
	buffer_load_dword v184, off, s[0:3], 0 offset:708
	ds_read_b128 v[1:4], v160 offset:1296
	s_waitcnt vmcnt(58) lgkmcnt(1)
	v_mul_f64 v[185:186], v[108:109], v[128:129]
	v_mul_f64 v[128:129], v[110:111], v[128:129]
	s_waitcnt vmcnt(56)
	v_fma_f64 v[165:166], v[112:113], v[161:162], -v[165:166]
	v_add_f64 v[116:117], v[116:117], v[120:121]
	v_fma_f64 v[120:121], v[114:115], v[161:162], v[187:188]
	v_add_f64 v[5:6], v[5:6], v[171:172]
	s_clause 0x3
	buffer_load_dword v161, off, s[0:3], 0 offset:744
	buffer_load_dword v162, off, s[0:3], 0 offset:748
	buffer_load_dword v172, off, s[0:3], 0 offset:724
	buffer_load_dword v171, off, s[0:3], 0 offset:720
	ds_read_b128 v[112:115], v160 offset:1312
	s_waitcnt vmcnt(58) lgkmcnt(1)
	v_mul_f64 v[187:188], v[1:2], v[122:123]
	v_mul_f64 v[122:123], v[3:4], v[122:123]
	s_waitcnt vmcnt(56)
	v_fma_f64 v[128:129], v[108:109], v[136:137], -v[128:129]
	v_fma_f64 v[136:137], v[110:111], v[136:137], v[185:186]
	v_add_f64 v[116:117], v[116:117], v[165:166]
	v_add_f64 v[5:6], v[5:6], v[120:121]
	s_clause 0x3
	buffer_load_dword v121, off, s[0:3], 0 offset:764
	buffer_load_dword v120, off, s[0:3], 0 offset:760
	buffer_load_dword v165, off, s[0:3], 0 offset:736
	buffer_load_dword v166, off, s[0:3], 0 offset:740
	ds_read_b128 v[108:111], v160 offset:1328
	s_waitcnt vmcnt(58) lgkmcnt(1)
	v_mul_f64 v[185:186], v[112:113], v[118:119]
	v_mul_f64 v[118:119], v[114:115], v[118:119]
	s_waitcnt vmcnt(56)
	v_fma_f64 v[122:123], v[1:2], v[130:131], -v[122:123]
	v_add_f64 v[116:117], v[116:117], v[128:129]
	v_fma_f64 v[128:129], v[3:4], v[130:131], v[187:188]
	v_add_f64 v[5:6], v[5:6], v[136:137]
	s_clause 0x3
	buffer_load_dword v130, off, s[0:3], 0 offset:776
	buffer_load_dword v131, off, s[0:3], 0 offset:780
	buffer_load_dword v137, off, s[0:3], 0 offset:756
	buffer_load_dword v136, off, s[0:3], 0 offset:752
	ds_read_b128 v[1:4], v160 offset:1344
	s_waitcnt vmcnt(58) lgkmcnt(1)
	v_mul_f64 v[187:188], v[108:109], v[124:125]
	v_mul_f64 v[124:125], v[110:111], v[124:125]
	s_waitcnt vmcnt(56)
	v_fma_f64 v[118:119], v[112:113], v[144:145], -v[118:119]
	v_add_f64 v[116:117], v[116:117], v[122:123]
	v_fma_f64 v[122:123], v[114:115], v[144:145], v[185:186]
	;; [unrolled: 14-line block ×4, first 2 shown]
	v_add_f64 v[5:6], v[5:6], v[118:119]
	s_clause 0x1
	buffer_load_dword v118, off, s[0:3], 0 offset:800
	buffer_load_dword v119, off, s[0:3], 0 offset:804
	ds_read_b128 v[1:4], v160 offset:1392
	s_waitcnt vmcnt(56) lgkmcnt(1)
	v_mul_f64 v[152:153], v[108:109], v[134:135]
	v_mul_f64 v[134:135], v[110:111], v[134:135]
	s_waitcnt vmcnt(54)
	v_fma_f64 v[132:133], v[112:113], v[146:147], -v[132:133]
	v_add_f64 v[116:117], v[116:117], v[126:127]
	v_fma_f64 v[126:127], v[114:115], v[146:147], v[187:188]
	v_add_f64 v[5:6], v[5:6], v[124:125]
	ds_read_b128 v[112:115], v160 offset:1408
	s_waitcnt vmcnt(52) lgkmcnt(1)
	v_mul_f64 v[124:125], v[1:2], v[140:141]
	v_mul_f64 v[140:141], v[3:4], v[140:141]
	s_waitcnt vmcnt(50)
	v_fma_f64 v[134:135], v[108:109], v[158:159], -v[134:135]
	v_add_f64 v[116:117], v[116:117], v[132:133]
	v_fma_f64 v[132:133], v[110:111], v[158:159], v[152:153]
	v_add_f64 v[5:6], v[5:6], v[126:127]
	s_clause 0x3
	buffer_load_dword v126, off, s[0:3], 0 offset:144
	buffer_load_dword v127, off, s[0:3], 0 offset:148
	buffer_load_dword v146, off, s[0:3], 0 offset:152
	buffer_load_dword v147, off, s[0:3], 0 offset:156
	ds_read_b128 v[108:111], v160 offset:1424
	s_waitcnt vmcnt(52) lgkmcnt(1)
	v_mul_f64 v[152:153], v[112:113], v[142:143]
	v_mul_f64 v[142:143], v[114:115], v[142:143]
	s_waitcnt vmcnt(50)
	v_fma_f64 v[140:141], v[1:2], v[154:155], -v[140:141]
	v_fma_f64 v[124:125], v[3:4], v[154:155], v[124:125]
	ds_read_b128 v[1:4], v160 offset:1440
	v_add_f64 v[116:117], v[116:117], v[134:135]
	v_add_f64 v[5:6], v[5:6], v[132:133]
	s_waitcnt vmcnt(48) lgkmcnt(1)
	v_mul_f64 v[134:135], v[110:111], v[148:149]
	v_mul_f64 v[132:133], v[108:109], v[148:149]
	s_waitcnt vmcnt(46)
	v_fma_f64 v[142:143], v[112:113], v[177:178], -v[142:143]
	v_add_f64 v[116:117], v[116:117], v[140:141]
	v_fma_f64 v[140:141], v[114:115], v[177:178], v[152:153]
	v_add_f64 v[5:6], v[5:6], v[124:125]
	ds_read_b128 v[112:115], v160 offset:1456
	s_waitcnt vmcnt(44) lgkmcnt(1)
	v_mul_f64 v[148:149], v[3:4], v[150:151]
	v_mul_f64 v[124:125], v[1:2], v[150:151]
	s_waitcnt vmcnt(42)
	v_fma_f64 v[134:135], v[108:109], v[163:164], -v[134:135]
	v_fma_f64 v[132:133], v[110:111], v[163:164], v[132:133]
	ds_read_b128 v[108:111], v160 offset:1472
	v_add_f64 v[116:117], v[116:117], v[142:143]
	v_add_f64 v[5:6], v[5:6], v[140:141]
	s_waitcnt vmcnt(40) lgkmcnt(1)
	v_mul_f64 v[142:143], v[114:115], v[156:157]
	v_mul_f64 v[140:141], v[112:113], v[156:157]
	s_waitcnt vmcnt(38)
	v_fma_f64 v[148:149], v[1:2], v[179:180], -v[148:149]
	v_fma_f64 v[124:125], v[3:4], v[179:180], v[124:125]
	ds_read_b128 v[1:4], v160 offset:1488
	v_add_f64 v[116:117], v[116:117], v[134:135]
	v_add_f64 v[5:6], v[5:6], v[132:133]
	;; [unrolled: 9-line block ×8, first 2 shown]
	s_waitcnt vmcnt(12) lgkmcnt(1)
	v_mul_f64 v[132:133], v[108:109], v[128:129]
	v_mul_f64 v[128:129], v[110:111], v[128:129]
	s_waitcnt vmcnt(10)
	v_fma_f64 v[112:113], v[112:113], v[144:145], -v[130:131]
	v_fma_f64 v[114:115], v[114:115], v[144:145], v[140:141]
	v_add_f64 v[116:117], v[116:117], v[120:121]
	v_add_f64 v[5:6], v[5:6], v[124:125]
	s_waitcnt vmcnt(8) lgkmcnt(0)
	v_mul_f64 v[120:121], v[1:2], v[122:123]
	v_mul_f64 v[122:123], v[3:4], v[122:123]
	s_waitcnt vmcnt(6)
	v_fma_f64 v[108:109], v[108:109], v[138:139], -v[128:129]
	v_fma_f64 v[110:111], v[110:111], v[138:139], v[132:133]
	v_add_f64 v[112:113], v[116:117], v[112:113]
	v_add_f64 v[5:6], v[5:6], v[114:115]
	s_waitcnt vmcnt(4)
	v_fma_f64 v[1:2], v[1:2], v[118:119], -v[122:123]
	v_fma_f64 v[3:4], v[3:4], v[118:119], v[120:121]
	v_add_f64 v[108:109], v[112:113], v[108:109]
	v_add_f64 v[5:6], v[5:6], v[110:111]
	;; [unrolled: 1-line block ×4, first 2 shown]
	s_waitcnt vmcnt(2)
	v_add_f64 v[1:2], v[126:127], -v[1:2]
	s_waitcnt vmcnt(0)
	v_add_f64 v[3:4], v[146:147], -v[3:4]
	buffer_store_dword v2, off, s[0:3], 0 offset:148
	buffer_store_dword v1, off, s[0:3], 0 offset:144
	buffer_store_dword v4, off, s[0:3], 0 offset:156
	buffer_store_dword v3, off, s[0:3], 0 offset:152
	v_cmpx_lt_u32_e32 7, v0
	s_cbranch_execz .LBB113_299
; %bb.298:
	v_mov_b32_e32 v4, s55
	s_clause 0x3
	buffer_load_dword v1, v4, s[0:3], 0 offen
	buffer_load_dword v2, v4, s[0:3], 0 offen offset:4
	buffer_load_dword v3, v4, s[0:3], 0 offen offset:8
	;; [unrolled: 1-line block ×3, first 2 shown]
	buffer_store_dword v160, off, s[0:3], 0 offset:128
	buffer_store_dword v160, off, s[0:3], 0 offset:132
	;; [unrolled: 1-line block ×4, first 2 shown]
	s_waitcnt vmcnt(0)
	ds_write_b128 v7, v[1:4]
.LBB113_299:
	s_or_b32 exec_lo, exec_lo, s4
	s_waitcnt lgkmcnt(0)
	s_waitcnt_vscnt null, 0x0
	s_barrier
	buffer_gl0_inv
	s_clause 0x35
	buffer_load_dword v110, off, s[0:3], 0 offset:152
	buffer_load_dword v111, off, s[0:3], 0 offset:156
	buffer_load_dword v5, off, s[0:3], 0 offset:168
	buffer_load_dword v6, off, s[0:3], 0 offset:172
	buffer_load_dword v108, off, s[0:3], 0 offset:144
	buffer_load_dword v109, off, s[0:3], 0 offset:148
	buffer_load_dword v3, off, s[0:3], 0 offset:184
	buffer_load_dword v4, off, s[0:3], 0 offset:188
	buffer_load_dword v1, off, s[0:3], 0 offset:160
	buffer_load_dword v2, off, s[0:3], 0 offset:164
	buffer_load_dword v113, off, s[0:3], 0 offset:204
	buffer_load_dword v112, off, s[0:3], 0 offset:200
	buffer_load_dword v120, off, s[0:3], 0 offset:176
	buffer_load_dword v121, off, s[0:3], 0 offset:180
	buffer_load_dword v116, off, s[0:3], 0 offset:216
	buffer_load_dword v117, off, s[0:3], 0 offset:220
	buffer_load_dword v115, off, s[0:3], 0 offset:196
	buffer_load_dword v114, off, s[0:3], 0 offset:192
	buffer_load_dword v119, off, s[0:3], 0 offset:236
	buffer_load_dword v118, off, s[0:3], 0 offset:232
	buffer_load_dword v128, off, s[0:3], 0 offset:208
	buffer_load_dword v129, off, s[0:3], 0 offset:212
	buffer_load_dword v124, off, s[0:3], 0 offset:248
	buffer_load_dword v125, off, s[0:3], 0 offset:252
	buffer_load_dword v123, off, s[0:3], 0 offset:228
	buffer_load_dword v122, off, s[0:3], 0 offset:224
	buffer_load_dword v127, off, s[0:3], 0 offset:268
	buffer_load_dword v126, off, s[0:3], 0 offset:264
	buffer_load_dword v136, off, s[0:3], 0 offset:240
	buffer_load_dword v137, off, s[0:3], 0 offset:244
	buffer_load_dword v132, off, s[0:3], 0 offset:280
	buffer_load_dword v133, off, s[0:3], 0 offset:284
	buffer_load_dword v131, off, s[0:3], 0 offset:260
	buffer_load_dword v130, off, s[0:3], 0 offset:256
	buffer_load_dword v135, off, s[0:3], 0 offset:300
	buffer_load_dword v134, off, s[0:3], 0 offset:296
	buffer_load_dword v144, off, s[0:3], 0 offset:272
	buffer_load_dword v145, off, s[0:3], 0 offset:276
	buffer_load_dword v140, off, s[0:3], 0 offset:312
	buffer_load_dword v141, off, s[0:3], 0 offset:316
	buffer_load_dword v139, off, s[0:3], 0 offset:292
	buffer_load_dword v138, off, s[0:3], 0 offset:288
	buffer_load_dword v143, off, s[0:3], 0 offset:332
	buffer_load_dword v142, off, s[0:3], 0 offset:328
	buffer_load_dword v152, off, s[0:3], 0 offset:304
	buffer_load_dword v153, off, s[0:3], 0 offset:308
	buffer_load_dword v148, off, s[0:3], 0 offset:344
	buffer_load_dword v149, off, s[0:3], 0 offset:348
	buffer_load_dword v147, off, s[0:3], 0 offset:324
	buffer_load_dword v146, off, s[0:3], 0 offset:320
	buffer_load_dword v151, off, s[0:3], 0 offset:364
	buffer_load_dword v150, off, s[0:3], 0 offset:360
	buffer_load_dword v158, off, s[0:3], 0 offset:336
	buffer_load_dword v159, off, s[0:3], 0 offset:340
	ds_read_b128 v[161:164], v160 offset:928
	s_clause 0x3
	buffer_load_dword v156, off, s[0:3], 0 offset:376
	buffer_load_dword v157, off, s[0:3], 0 offset:380
	;; [unrolled: 1-line block ×4, first 2 shown]
	ds_read_b128 v[165:168], v160 offset:944
	s_clause 0x3
	buffer_load_dword v176, off, s[0:3], 0 offset:396
	buffer_load_dword v175, off, s[0:3], 0 offset:392
	;; [unrolled: 1-line block ×4, first 2 shown]
	ds_read_b128 v[169:172], v160 offset:960
	s_mov_b32 s4, exec_lo
	s_waitcnt vmcnt(60) lgkmcnt(2)
	v_mul_f64 v[173:174], v[163:164], v[110:111]
	v_mul_f64 v[110:111], v[161:162], v[110:111]
	s_waitcnt vmcnt(58) lgkmcnt(1)
	v_mul_f64 v[179:180], v[167:168], v[5:6]
	v_mul_f64 v[5:6], v[165:166], v[5:6]
	;; [unrolled: 3-line block ×3, first 2 shown]
	v_fma_f64 v[161:162], v[161:162], v[108:109], -v[173:174]
	v_fma_f64 v[163:164], v[163:164], v[108:109], v[110:111]
	s_clause 0x3
	buffer_load_dword v173, off, s[0:3], 0 offset:408
	buffer_load_dword v174, off, s[0:3], 0 offset:412
	;; [unrolled: 1-line block ×4, first 2 shown]
	s_waitcnt vmcnt(56)
	v_fma_f64 v[165:166], v[165:166], v[1:2], -v[179:180]
	ds_read_b128 v[108:111], v160 offset:976
	v_fma_f64 v[5:6], v[167:168], v[1:2], v[5:6]
	s_clause 0x3
	buffer_load_dword v168, off, s[0:3], 0 offset:428
	buffer_load_dword v167, off, s[0:3], 0 offset:424
	;; [unrolled: 1-line block ×4, first 2 shown]
	s_waitcnt vmcnt(56)
	v_fma_f64 v[169:170], v[169:170], v[120:121], -v[185:186]
	ds_read_b128 v[1:4], v160 offset:992
	v_fma_f64 v[120:121], v[171:172], v[120:121], v[183:184]
	s_clause 0x3
	buffer_load_dword v171, off, s[0:3], 0 offset:440
	buffer_load_dword v172, off, s[0:3], 0 offset:444
	buffer_load_dword v184, off, s[0:3], 0 offset:420
	buffer_load_dword v183, off, s[0:3], 0 offset:416
	v_add_f64 v[161:162], v[161:162], 0
	v_add_f64 v[163:164], v[163:164], 0
	s_waitcnt lgkmcnt(1)
	v_mul_f64 v[187:188], v[108:109], v[112:113]
	v_mul_f64 v[112:113], v[110:111], v[112:113]
	s_waitcnt vmcnt(58) lgkmcnt(0)
	v_mul_f64 v[185:186], v[1:2], v[116:117]
	v_mul_f64 v[116:117], v[3:4], v[116:117]
	v_add_f64 v[165:166], v[161:162], v[165:166]
	v_add_f64 v[5:6], v[163:164], v[5:6]
	ds_read_b128 v[161:164], v160 offset:1008
	s_waitcnt vmcnt(56)
	v_fma_f64 v[112:113], v[108:109], v[114:115], -v[112:113]
	v_fma_f64 v[114:115], v[110:111], v[114:115], v[187:188]
	s_waitcnt vmcnt(52)
	v_fma_f64 v[116:117], v[1:2], v[128:129], -v[116:117]
	v_fma_f64 v[128:129], v[3:4], v[128:129], v[185:186]
	s_waitcnt lgkmcnt(0)
	v_mul_f64 v[187:188], v[161:162], v[118:119]
	v_add_f64 v[165:166], v[165:166], v[169:170]
	v_add_f64 v[5:6], v[5:6], v[120:121]
	s_clause 0x3
	buffer_load_dword v121, off, s[0:3], 0 offset:460
	buffer_load_dword v120, off, s[0:3], 0 offset:456
	;; [unrolled: 1-line block ×4, first 2 shown]
	v_mul_f64 v[118:119], v[163:164], v[118:119]
	ds_read_b128 v[108:111], v160 offset:1024
	v_add_f64 v[112:113], v[165:166], v[112:113]
	v_add_f64 v[5:6], v[5:6], v[114:115]
	s_clause 0x3
	buffer_load_dword v165, off, s[0:3], 0 offset:472
	buffer_load_dword v166, off, s[0:3], 0 offset:476
	;; [unrolled: 1-line block ×4, first 2 shown]
	s_waitcnt vmcnt(58) lgkmcnt(0)
	v_mul_f64 v[189:190], v[108:109], v[124:125]
	v_mul_f64 v[124:125], v[110:111], v[124:125]
	s_waitcnt vmcnt(56)
	v_fma_f64 v[118:119], v[161:162], v[122:123], -v[118:119]
	ds_read_b128 v[1:4], v160 offset:1040
	v_fma_f64 v[122:123], v[163:164], v[122:123], v[187:188]
	v_add_f64 v[116:117], v[112:113], v[116:117]
	v_add_f64 v[5:6], v[5:6], v[128:129]
	s_clause 0x3
	buffer_load_dword v129, off, s[0:3], 0 offset:492
	buffer_load_dword v128, off, s[0:3], 0 offset:488
	buffer_load_dword v161, off, s[0:3], 0 offset:464
	buffer_load_dword v162, off, s[0:3], 0 offset:468
	ds_read_b128 v[112:115], v160 offset:1056
	s_waitcnt vmcnt(58) lgkmcnt(1)
	v_mul_f64 v[163:164], v[1:2], v[126:127]
	v_mul_f64 v[126:127], v[3:4], v[126:127]
	s_waitcnt vmcnt(56)
	v_fma_f64 v[124:125], v[108:109], v[136:137], -v[124:125]
	v_add_f64 v[116:117], v[116:117], v[118:119]
	v_fma_f64 v[118:119], v[110:111], v[136:137], v[189:190]
	v_add_f64 v[5:6], v[5:6], v[122:123]
	s_clause 0x3
	buffer_load_dword v122, off, s[0:3], 0 offset:504
	buffer_load_dword v123, off, s[0:3], 0 offset:508
	buffer_load_dword v137, off, s[0:3], 0 offset:484
	buffer_load_dword v136, off, s[0:3], 0 offset:480
	s_waitcnt vmcnt(58) lgkmcnt(0)
	v_mul_f64 v[187:188], v[112:113], v[132:133]
	v_mul_f64 v[132:133], v[114:115], v[132:133]
	s_waitcnt vmcnt(56)
	v_fma_f64 v[126:127], v[1:2], v[130:131], -v[126:127]
	ds_read_b128 v[108:111], v160 offset:1072
	v_add_f64 v[116:117], v[116:117], v[124:125]
	v_fma_f64 v[124:125], v[3:4], v[130:131], v[163:164]
	v_add_f64 v[5:6], v[5:6], v[118:119]
	s_clause 0x3
	buffer_load_dword v119, off, s[0:3], 0 offset:524
	buffer_load_dword v118, off, s[0:3], 0 offset:520
	buffer_load_dword v130, off, s[0:3], 0 offset:496
	buffer_load_dword v131, off, s[0:3], 0 offset:500
	ds_read_b128 v[1:4], v160 offset:1088
	s_waitcnt vmcnt(58) lgkmcnt(1)
	v_mul_f64 v[163:164], v[108:109], v[134:135]
	v_mul_f64 v[134:135], v[110:111], v[134:135]
	s_waitcnt vmcnt(56)
	v_fma_f64 v[132:133], v[112:113], v[144:145], -v[132:133]
	v_add_f64 v[116:117], v[116:117], v[126:127]
	v_fma_f64 v[126:127], v[114:115], v[144:145], v[187:188]
	v_add_f64 v[5:6], v[5:6], v[124:125]
	s_clause 0x3
	buffer_load_dword v124, off, s[0:3], 0 offset:536
	buffer_load_dword v125, off, s[0:3], 0 offset:540
	buffer_load_dword v145, off, s[0:3], 0 offset:516
	buffer_load_dword v144, off, s[0:3], 0 offset:512
	s_waitcnt vmcnt(58) lgkmcnt(0)
	v_mul_f64 v[187:188], v[1:2], v[140:141]
	v_mul_f64 v[140:141], v[3:4], v[140:141]
	s_waitcnt vmcnt(56)
	v_fma_f64 v[134:135], v[108:109], v[138:139], -v[134:135]
	ds_read_b128 v[112:115], v160 offset:1104
	v_add_f64 v[116:117], v[116:117], v[132:133]
	v_fma_f64 v[132:133], v[110:111], v[138:139], v[163:164]
	;; [unrolled: 28-line block ×4, first 2 shown]
	v_add_f64 v[5:6], v[5:6], v[142:143]
	s_clause 0x3
	buffer_load_dword v143, off, s[0:3], 0 offset:620
	buffer_load_dword v142, off, s[0:3], 0 offset:616
	;; [unrolled: 1-line block ×4, first 2 shown]
	ds_read_b128 v[1:4], v160 offset:1184
	s_waitcnt vmcnt(58) lgkmcnt(1)
	v_mul_f64 v[163:164], v[108:109], v[175:176]
	v_mul_f64 v[175:176], v[110:111], v[175:176]
	s_waitcnt vmcnt(56)
	v_fma_f64 v[156:157], v[112:113], v[177:178], -v[156:157]
	v_add_f64 v[116:117], v[116:117], v[150:151]
	v_fma_f64 v[150:151], v[114:115], v[177:178], v[187:188]
	v_add_f64 v[5:6], v[5:6], v[148:149]
	s_clause 0x3
	buffer_load_dword v148, off, s[0:3], 0 offset:632
	buffer_load_dword v149, off, s[0:3], 0 offset:636
	buffer_load_dword v178, off, s[0:3], 0 offset:612
	buffer_load_dword v177, off, s[0:3], 0 offset:608
	ds_read_b128 v[112:115], v160 offset:1200
	s_waitcnt vmcnt(58) lgkmcnt(1)
	v_mul_f64 v[187:188], v[1:2], v[173:174]
	v_mul_f64 v[173:174], v[3:4], v[173:174]
	s_waitcnt vmcnt(56)
	v_fma_f64 v[175:176], v[108:109], v[181:182], -v[175:176]
	v_add_f64 v[116:117], v[116:117], v[156:157]
	v_fma_f64 v[156:157], v[110:111], v[181:182], v[163:164]
	v_add_f64 v[5:6], v[5:6], v[150:151]
	s_clause 0x3
	buffer_load_dword v151, off, s[0:3], 0 offset:652
	buffer_load_dword v150, off, s[0:3], 0 offset:648
	;; [unrolled: 1-line block ×4, first 2 shown]
	s_waitcnt vmcnt(58) lgkmcnt(0)
	v_mul_f64 v[181:182], v[112:113], v[167:168]
	v_mul_f64 v[167:168], v[114:115], v[167:168]
	ds_read_b128 v[108:111], v160 offset:1216
	s_waitcnt vmcnt(56)
	v_fma_f64 v[173:174], v[1:2], v[179:180], -v[173:174]
	v_add_f64 v[116:117], v[116:117], v[175:176]
	v_fma_f64 v[175:176], v[3:4], v[179:180], v[187:188]
	v_add_f64 v[5:6], v[5:6], v[156:157]
	s_clause 0x3
	buffer_load_dword v156, off, s[0:3], 0 offset:664
	buffer_load_dword v157, off, s[0:3], 0 offset:668
	;; [unrolled: 1-line block ×4, first 2 shown]
	s_waitcnt vmcnt(58) lgkmcnt(0)
	v_mul_f64 v[187:188], v[108:109], v[171:172]
	v_mul_f64 v[171:172], v[110:111], v[171:172]
	s_waitcnt vmcnt(56)
	v_fma_f64 v[167:168], v[112:113], v[183:184], -v[167:168]
	ds_read_b128 v[1:4], v160 offset:1232
	v_add_f64 v[116:117], v[116:117], v[173:174]
	v_fma_f64 v[173:174], v[114:115], v[183:184], v[181:182]
	v_add_f64 v[5:6], v[5:6], v[175:176]
	s_clause 0x3
	buffer_load_dword v176, off, s[0:3], 0 offset:684
	buffer_load_dword v175, off, s[0:3], 0 offset:680
	buffer_load_dword v181, off, s[0:3], 0 offset:656
	buffer_load_dword v182, off, s[0:3], 0 offset:660
	ds_read_b128 v[112:115], v160 offset:1248
	s_waitcnt vmcnt(58) lgkmcnt(1)
	v_mul_f64 v[183:184], v[1:2], v[120:121]
	v_mul_f64 v[120:121], v[3:4], v[120:121]
	s_waitcnt vmcnt(56)
	v_fma_f64 v[171:172], v[108:109], v[169:170], -v[171:172]
	v_add_f64 v[116:117], v[116:117], v[167:168]
	v_fma_f64 v[167:168], v[110:111], v[169:170], v[187:188]
	v_add_f64 v[5:6], v[5:6], v[173:174]
	s_clause 0x3
	buffer_load_dword v169, off, s[0:3], 0 offset:696
	buffer_load_dword v170, off, s[0:3], 0 offset:700
	buffer_load_dword v174, off, s[0:3], 0 offset:676
	buffer_load_dword v173, off, s[0:3], 0 offset:672
	ds_read_b128 v[108:111], v160 offset:1264
	s_waitcnt vmcnt(58) lgkmcnt(1)
	v_mul_f64 v[187:188], v[112:113], v[165:166]
	v_mul_f64 v[165:166], v[114:115], v[165:166]
	s_waitcnt vmcnt(56)
	v_fma_f64 v[120:121], v[1:2], v[185:186], -v[120:121]
	;; [unrolled: 14-line block ×4, first 2 shown]
	v_fma_f64 v[136:137], v[110:111], v[136:137], v[185:186]
	v_add_f64 v[116:117], v[116:117], v[165:166]
	v_add_f64 v[5:6], v[5:6], v[120:121]
	s_clause 0x3
	buffer_load_dword v121, off, s[0:3], 0 offset:748
	buffer_load_dword v120, off, s[0:3], 0 offset:744
	buffer_load_dword v165, off, s[0:3], 0 offset:720
	buffer_load_dword v166, off, s[0:3], 0 offset:724
	ds_read_b128 v[108:111], v160 offset:1312
	s_waitcnt vmcnt(58) lgkmcnt(1)
	v_mul_f64 v[185:186], v[112:113], v[118:119]
	v_mul_f64 v[118:119], v[114:115], v[118:119]
	s_waitcnt vmcnt(56)
	v_fma_f64 v[122:123], v[1:2], v[130:131], -v[122:123]
	v_add_f64 v[116:117], v[116:117], v[128:129]
	v_fma_f64 v[128:129], v[3:4], v[130:131], v[187:188]
	v_add_f64 v[5:6], v[5:6], v[136:137]
	s_clause 0x3
	buffer_load_dword v130, off, s[0:3], 0 offset:760
	buffer_load_dword v131, off, s[0:3], 0 offset:764
	buffer_load_dword v137, off, s[0:3], 0 offset:740
	buffer_load_dword v136, off, s[0:3], 0 offset:736
	ds_read_b128 v[1:4], v160 offset:1328
	s_waitcnt vmcnt(58) lgkmcnt(1)
	v_mul_f64 v[187:188], v[108:109], v[124:125]
	v_mul_f64 v[124:125], v[110:111], v[124:125]
	s_waitcnt vmcnt(56)
	v_fma_f64 v[118:119], v[112:113], v[144:145], -v[118:119]
	v_add_f64 v[116:117], v[116:117], v[122:123]
	v_fma_f64 v[122:123], v[114:115], v[144:145], v[185:186]
	;; [unrolled: 14-line block ×5, first 2 shown]
	v_add_f64 v[5:6], v[5:6], v[124:125]
	s_clause 0x1
	buffer_load_dword v125, off, s[0:3], 0 offset:804
	buffer_load_dword v124, off, s[0:3], 0 offset:800
	ds_read_b128 v[112:115], v160 offset:1392
	s_waitcnt vmcnt(56) lgkmcnt(1)
	v_mul_f64 v[146:147], v[1:2], v[140:141]
	v_mul_f64 v[140:141], v[3:4], v[140:141]
	s_waitcnt vmcnt(54)
	v_fma_f64 v[134:135], v[108:109], v[158:159], -v[134:135]
	v_add_f64 v[116:117], v[116:117], v[132:133]
	v_fma_f64 v[132:133], v[110:111], v[158:159], v[185:186]
	v_add_f64 v[5:6], v[5:6], v[126:127]
	ds_read_b128 v[108:111], v160 offset:1408
	s_waitcnt vmcnt(52) lgkmcnt(1)
	v_mul_f64 v[126:127], v[112:113], v[142:143]
	v_mul_f64 v[142:143], v[114:115], v[142:143]
	s_waitcnt vmcnt(50)
	v_fma_f64 v[140:141], v[1:2], v[154:155], -v[140:141]
	v_add_f64 v[116:117], v[116:117], v[134:135]
	v_fma_f64 v[134:135], v[3:4], v[154:155], v[146:147]
	v_add_f64 v[5:6], v[5:6], v[132:133]
	s_clause 0x3
	buffer_load_dword v132, off, s[0:3], 0 offset:128
	buffer_load_dword v133, off, s[0:3], 0 offset:132
	;; [unrolled: 1-line block ×4, first 2 shown]
	ds_read_b128 v[1:4], v160 offset:1424
	s_waitcnt vmcnt(52) lgkmcnt(1)
	v_mul_f64 v[154:155], v[108:109], v[148:149]
	v_mul_f64 v[148:149], v[110:111], v[148:149]
	s_waitcnt vmcnt(50)
	v_fma_f64 v[142:143], v[112:113], v[177:178], -v[142:143]
	v_fma_f64 v[126:127], v[114:115], v[177:178], v[126:127]
	ds_read_b128 v[112:115], v160 offset:1440
	v_add_f64 v[116:117], v[116:117], v[140:141]
	v_add_f64 v[5:6], v[5:6], v[134:135]
	s_waitcnt vmcnt(48) lgkmcnt(1)
	v_mul_f64 v[140:141], v[3:4], v[150:151]
	v_mul_f64 v[134:135], v[1:2], v[150:151]
	s_waitcnt vmcnt(46)
	v_fma_f64 v[148:149], v[108:109], v[163:164], -v[148:149]
	v_add_f64 v[116:117], v[116:117], v[142:143]
	v_fma_f64 v[142:143], v[110:111], v[163:164], v[154:155]
	v_add_f64 v[5:6], v[5:6], v[126:127]
	ds_read_b128 v[108:111], v160 offset:1456
	s_waitcnt vmcnt(44) lgkmcnt(1)
	v_mul_f64 v[150:151], v[114:115], v[156:157]
	v_mul_f64 v[126:127], v[112:113], v[156:157]
	s_waitcnt vmcnt(42)
	v_fma_f64 v[140:141], v[1:2], v[179:180], -v[140:141]
	v_fma_f64 v[134:135], v[3:4], v[179:180], v[134:135]
	ds_read_b128 v[1:4], v160 offset:1472
	v_add_f64 v[116:117], v[116:117], v[148:149]
	v_add_f64 v[5:6], v[5:6], v[142:143]
	s_waitcnt vmcnt(40) lgkmcnt(1)
	v_mul_f64 v[148:149], v[110:111], v[175:176]
	v_mul_f64 v[142:143], v[108:109], v[175:176]
	s_waitcnt vmcnt(38)
	v_fma_f64 v[150:151], v[112:113], v[181:182], -v[150:151]
	v_fma_f64 v[126:127], v[114:115], v[181:182], v[126:127]
	ds_read_b128 v[112:115], v160 offset:1488
	v_add_f64 v[116:117], v[116:117], v[140:141]
	v_add_f64 v[5:6], v[5:6], v[134:135]
	;; [unrolled: 9-line block ×7, first 2 shown]
	s_waitcnt vmcnt(16) lgkmcnt(1)
	v_mul_f64 v[136:137], v[108:109], v[128:129]
	v_mul_f64 v[128:129], v[110:111], v[128:129]
	s_waitcnt vmcnt(14)
	v_fma_f64 v[130:131], v[112:113], v[144:145], -v[130:131]
	v_add_f64 v[116:117], v[116:117], v[120:121]
	v_fma_f64 v[120:121], v[114:115], v[144:145], v[126:127]
	v_add_f64 v[5:6], v[5:6], v[134:135]
	ds_read_b128 v[112:115], v160 offset:1584
	s_waitcnt vmcnt(12) lgkmcnt(1)
	v_mul_f64 v[126:127], v[1:2], v[122:123]
	v_mul_f64 v[122:123], v[3:4], v[122:123]
	s_waitcnt vmcnt(10)
	v_fma_f64 v[108:109], v[108:109], v[138:139], -v[128:129]
	v_fma_f64 v[110:111], v[110:111], v[138:139], v[136:137]
	v_add_f64 v[116:117], v[116:117], v[130:131]
	v_add_f64 v[5:6], v[5:6], v[120:121]
	s_waitcnt vmcnt(8) lgkmcnt(0)
	v_mul_f64 v[120:121], v[112:113], v[118:119]
	v_mul_f64 v[118:119], v[114:115], v[118:119]
	s_waitcnt vmcnt(6)
	v_fma_f64 v[1:2], v[1:2], v[152:153], -v[122:123]
	v_fma_f64 v[3:4], v[3:4], v[152:153], v[126:127]
	v_add_f64 v[108:109], v[116:117], v[108:109]
	v_add_f64 v[5:6], v[5:6], v[110:111]
	s_waitcnt vmcnt(4)
	v_fma_f64 v[110:111], v[112:113], v[124:125], -v[118:119]
	v_add_f64 v[1:2], v[108:109], v[1:2]
	v_fma_f64 v[108:109], v[114:115], v[124:125], v[120:121]
	v_add_f64 v[3:4], v[5:6], v[3:4]
	v_add_f64 v[1:2], v[1:2], v[110:111]
	;; [unrolled: 1-line block ×3, first 2 shown]
	s_waitcnt vmcnt(2)
	v_add_f64 v[1:2], v[132:133], -v[1:2]
	s_waitcnt vmcnt(0)
	v_add_f64 v[3:4], v[146:147], -v[3:4]
	buffer_store_dword v2, off, s[0:3], 0 offset:132
	buffer_store_dword v1, off, s[0:3], 0 offset:128
	;; [unrolled: 1-line block ×4, first 2 shown]
	v_cmpx_lt_u32_e32 6, v0
	s_cbranch_execz .LBB113_301
; %bb.300:
	v_mov_b32_e32 v4, s56
	v_mov_b32_e32 v5, 0
	s_clause 0x3
	buffer_load_dword v1, v4, s[0:3], 0 offen
	buffer_load_dword v2, v4, s[0:3], 0 offen offset:4
	buffer_load_dword v3, v4, s[0:3], 0 offen offset:8
	buffer_load_dword v4, v4, s[0:3], 0 offen offset:12
	buffer_store_dword v5, off, s[0:3], 0 offset:112
	buffer_store_dword v5, off, s[0:3], 0 offset:116
	;; [unrolled: 1-line block ×4, first 2 shown]
	s_waitcnt vmcnt(0)
	ds_write_b128 v7, v[1:4]
.LBB113_301:
	s_or_b32 exec_lo, exec_lo, s4
	s_waitcnt lgkmcnt(0)
	s_waitcnt_vscnt null, 0x0
	s_barrier
	buffer_gl0_inv
	s_clause 0x35
	buffer_load_dword v110, off, s[0:3], 0 offset:136
	buffer_load_dword v111, off, s[0:3], 0 offset:140
	;; [unrolled: 1-line block ×54, first 2 shown]
	v_mov_b32_e32 v160, 0
	s_mov_b32 s4, exec_lo
	ds_read_b128 v[161:164], v160 offset:912
	s_clause 0x3
	buffer_load_dword v156, off, s[0:3], 0 offset:360
	buffer_load_dword v157, off, s[0:3], 0 offset:364
	;; [unrolled: 1-line block ×4, first 2 shown]
	ds_read_b128 v[165:168], v160 offset:928
	s_clause 0x3
	buffer_load_dword v176, off, s[0:3], 0 offset:380
	buffer_load_dword v175, off, s[0:3], 0 offset:376
	;; [unrolled: 1-line block ×4, first 2 shown]
	ds_read_b128 v[169:172], v160 offset:944
	s_waitcnt vmcnt(60) lgkmcnt(2)
	v_mul_f64 v[173:174], v[163:164], v[110:111]
	v_mul_f64 v[110:111], v[161:162], v[110:111]
	s_waitcnt vmcnt(58) lgkmcnt(1)
	v_mul_f64 v[179:180], v[167:168], v[5:6]
	v_mul_f64 v[5:6], v[165:166], v[5:6]
	s_waitcnt vmcnt(54) lgkmcnt(0)
	v_mul_f64 v[185:186], v[171:172], v[3:4]
	v_mul_f64 v[183:184], v[169:170], v[3:4]
	v_fma_f64 v[161:162], v[161:162], v[108:109], -v[173:174]
	v_fma_f64 v[163:164], v[163:164], v[108:109], v[110:111]
	s_clause 0x3
	buffer_load_dword v173, off, s[0:3], 0 offset:392
	buffer_load_dword v174, off, s[0:3], 0 offset:396
	;; [unrolled: 1-line block ×4, first 2 shown]
	s_waitcnt vmcnt(56)
	v_fma_f64 v[165:166], v[165:166], v[1:2], -v[179:180]
	ds_read_b128 v[108:111], v160 offset:960
	v_fma_f64 v[5:6], v[167:168], v[1:2], v[5:6]
	s_clause 0x3
	buffer_load_dword v168, off, s[0:3], 0 offset:412
	buffer_load_dword v167, off, s[0:3], 0 offset:408
	;; [unrolled: 1-line block ×4, first 2 shown]
	s_waitcnt vmcnt(56)
	v_fma_f64 v[169:170], v[169:170], v[120:121], -v[185:186]
	ds_read_b128 v[1:4], v160 offset:976
	v_fma_f64 v[120:121], v[171:172], v[120:121], v[183:184]
	s_clause 0x3
	buffer_load_dword v171, off, s[0:3], 0 offset:424
	buffer_load_dword v172, off, s[0:3], 0 offset:428
	buffer_load_dword v184, off, s[0:3], 0 offset:404
	buffer_load_dword v183, off, s[0:3], 0 offset:400
	v_add_f64 v[161:162], v[161:162], 0
	v_add_f64 v[163:164], v[163:164], 0
	s_waitcnt lgkmcnt(1)
	v_mul_f64 v[187:188], v[108:109], v[112:113]
	v_mul_f64 v[112:113], v[110:111], v[112:113]
	s_waitcnt vmcnt(58) lgkmcnt(0)
	v_mul_f64 v[185:186], v[1:2], v[116:117]
	v_mul_f64 v[116:117], v[3:4], v[116:117]
	v_add_f64 v[165:166], v[161:162], v[165:166]
	v_add_f64 v[5:6], v[163:164], v[5:6]
	ds_read_b128 v[161:164], v160 offset:992
	s_waitcnt vmcnt(56)
	v_fma_f64 v[112:113], v[108:109], v[114:115], -v[112:113]
	v_fma_f64 v[114:115], v[110:111], v[114:115], v[187:188]
	s_waitcnt vmcnt(52)
	v_fma_f64 v[116:117], v[1:2], v[128:129], -v[116:117]
	v_fma_f64 v[128:129], v[3:4], v[128:129], v[185:186]
	s_waitcnt lgkmcnt(0)
	v_mul_f64 v[187:188], v[161:162], v[118:119]
	v_add_f64 v[165:166], v[165:166], v[169:170]
	v_add_f64 v[5:6], v[5:6], v[120:121]
	s_clause 0x3
	buffer_load_dword v121, off, s[0:3], 0 offset:444
	buffer_load_dword v120, off, s[0:3], 0 offset:440
	;; [unrolled: 1-line block ×4, first 2 shown]
	v_mul_f64 v[118:119], v[163:164], v[118:119]
	ds_read_b128 v[108:111], v160 offset:1008
	v_add_f64 v[112:113], v[165:166], v[112:113]
	v_add_f64 v[5:6], v[5:6], v[114:115]
	s_clause 0x3
	buffer_load_dword v165, off, s[0:3], 0 offset:456
	buffer_load_dword v166, off, s[0:3], 0 offset:460
	;; [unrolled: 1-line block ×4, first 2 shown]
	s_waitcnt vmcnt(58) lgkmcnt(0)
	v_mul_f64 v[189:190], v[108:109], v[124:125]
	v_mul_f64 v[124:125], v[110:111], v[124:125]
	s_waitcnt vmcnt(56)
	v_fma_f64 v[118:119], v[161:162], v[122:123], -v[118:119]
	ds_read_b128 v[1:4], v160 offset:1024
	v_fma_f64 v[122:123], v[163:164], v[122:123], v[187:188]
	v_add_f64 v[116:117], v[112:113], v[116:117]
	v_add_f64 v[5:6], v[5:6], v[128:129]
	s_clause 0x3
	buffer_load_dword v129, off, s[0:3], 0 offset:476
	buffer_load_dword v128, off, s[0:3], 0 offset:472
	buffer_load_dword v161, off, s[0:3], 0 offset:448
	buffer_load_dword v162, off, s[0:3], 0 offset:452
	ds_read_b128 v[112:115], v160 offset:1040
	s_waitcnt vmcnt(58) lgkmcnt(1)
	v_mul_f64 v[163:164], v[1:2], v[126:127]
	v_mul_f64 v[126:127], v[3:4], v[126:127]
	s_waitcnt vmcnt(56)
	v_fma_f64 v[124:125], v[108:109], v[136:137], -v[124:125]
	v_add_f64 v[116:117], v[116:117], v[118:119]
	v_fma_f64 v[118:119], v[110:111], v[136:137], v[189:190]
	v_add_f64 v[5:6], v[5:6], v[122:123]
	s_clause 0x3
	buffer_load_dword v122, off, s[0:3], 0 offset:488
	buffer_load_dword v123, off, s[0:3], 0 offset:492
	buffer_load_dword v137, off, s[0:3], 0 offset:468
	buffer_load_dword v136, off, s[0:3], 0 offset:464
	s_waitcnt vmcnt(58) lgkmcnt(0)
	v_mul_f64 v[187:188], v[112:113], v[132:133]
	v_mul_f64 v[132:133], v[114:115], v[132:133]
	s_waitcnt vmcnt(56)
	v_fma_f64 v[126:127], v[1:2], v[130:131], -v[126:127]
	ds_read_b128 v[108:111], v160 offset:1056
	v_add_f64 v[116:117], v[116:117], v[124:125]
	v_fma_f64 v[124:125], v[3:4], v[130:131], v[163:164]
	v_add_f64 v[5:6], v[5:6], v[118:119]
	s_clause 0x3
	buffer_load_dword v119, off, s[0:3], 0 offset:508
	buffer_load_dword v118, off, s[0:3], 0 offset:504
	buffer_load_dword v130, off, s[0:3], 0 offset:480
	buffer_load_dword v131, off, s[0:3], 0 offset:484
	ds_read_b128 v[1:4], v160 offset:1072
	s_waitcnt vmcnt(58) lgkmcnt(1)
	v_mul_f64 v[163:164], v[108:109], v[134:135]
	v_mul_f64 v[134:135], v[110:111], v[134:135]
	s_waitcnt vmcnt(56)
	v_fma_f64 v[132:133], v[112:113], v[144:145], -v[132:133]
	v_add_f64 v[116:117], v[116:117], v[126:127]
	v_fma_f64 v[126:127], v[114:115], v[144:145], v[187:188]
	v_add_f64 v[5:6], v[5:6], v[124:125]
	s_clause 0x3
	buffer_load_dword v124, off, s[0:3], 0 offset:520
	buffer_load_dword v125, off, s[0:3], 0 offset:524
	buffer_load_dword v145, off, s[0:3], 0 offset:500
	buffer_load_dword v144, off, s[0:3], 0 offset:496
	s_waitcnt vmcnt(58) lgkmcnt(0)
	v_mul_f64 v[187:188], v[1:2], v[140:141]
	v_mul_f64 v[140:141], v[3:4], v[140:141]
	s_waitcnt vmcnt(56)
	v_fma_f64 v[134:135], v[108:109], v[138:139], -v[134:135]
	ds_read_b128 v[112:115], v160 offset:1088
	v_add_f64 v[116:117], v[116:117], v[132:133]
	v_fma_f64 v[132:133], v[110:111], v[138:139], v[163:164]
	;; [unrolled: 28-line block ×4, first 2 shown]
	v_add_f64 v[5:6], v[5:6], v[142:143]
	s_clause 0x3
	buffer_load_dword v143, off, s[0:3], 0 offset:604
	buffer_load_dword v142, off, s[0:3], 0 offset:600
	;; [unrolled: 1-line block ×4, first 2 shown]
	ds_read_b128 v[1:4], v160 offset:1168
	s_waitcnt vmcnt(58) lgkmcnt(1)
	v_mul_f64 v[163:164], v[108:109], v[175:176]
	v_mul_f64 v[175:176], v[110:111], v[175:176]
	s_waitcnt vmcnt(56)
	v_fma_f64 v[156:157], v[112:113], v[177:178], -v[156:157]
	v_add_f64 v[116:117], v[116:117], v[150:151]
	v_fma_f64 v[150:151], v[114:115], v[177:178], v[187:188]
	v_add_f64 v[5:6], v[5:6], v[148:149]
	s_clause 0x3
	buffer_load_dword v148, off, s[0:3], 0 offset:616
	buffer_load_dword v149, off, s[0:3], 0 offset:620
	;; [unrolled: 1-line block ×4, first 2 shown]
	ds_read_b128 v[112:115], v160 offset:1184
	s_waitcnt vmcnt(58) lgkmcnt(1)
	v_mul_f64 v[187:188], v[1:2], v[173:174]
	v_mul_f64 v[173:174], v[3:4], v[173:174]
	s_waitcnt vmcnt(56)
	v_fma_f64 v[175:176], v[108:109], v[181:182], -v[175:176]
	v_add_f64 v[116:117], v[116:117], v[156:157]
	v_fma_f64 v[156:157], v[110:111], v[181:182], v[163:164]
	v_add_f64 v[5:6], v[5:6], v[150:151]
	s_clause 0x3
	buffer_load_dword v151, off, s[0:3], 0 offset:636
	buffer_load_dword v150, off, s[0:3], 0 offset:632
	;; [unrolled: 1-line block ×4, first 2 shown]
	s_waitcnt vmcnt(58) lgkmcnt(0)
	v_mul_f64 v[181:182], v[112:113], v[167:168]
	v_mul_f64 v[167:168], v[114:115], v[167:168]
	ds_read_b128 v[108:111], v160 offset:1200
	s_waitcnt vmcnt(56)
	v_fma_f64 v[173:174], v[1:2], v[179:180], -v[173:174]
	v_add_f64 v[116:117], v[116:117], v[175:176]
	v_fma_f64 v[175:176], v[3:4], v[179:180], v[187:188]
	v_add_f64 v[5:6], v[5:6], v[156:157]
	s_clause 0x3
	buffer_load_dword v156, off, s[0:3], 0 offset:648
	buffer_load_dword v157, off, s[0:3], 0 offset:652
	buffer_load_dword v180, off, s[0:3], 0 offset:628
	buffer_load_dword v179, off, s[0:3], 0 offset:624
	s_waitcnt vmcnt(58) lgkmcnt(0)
	v_mul_f64 v[187:188], v[108:109], v[171:172]
	v_mul_f64 v[171:172], v[110:111], v[171:172]
	s_waitcnt vmcnt(56)
	v_fma_f64 v[167:168], v[112:113], v[183:184], -v[167:168]
	ds_read_b128 v[1:4], v160 offset:1216
	v_add_f64 v[116:117], v[116:117], v[173:174]
	v_fma_f64 v[173:174], v[114:115], v[183:184], v[181:182]
	v_add_f64 v[5:6], v[5:6], v[175:176]
	s_clause 0x3
	buffer_load_dword v176, off, s[0:3], 0 offset:668
	buffer_load_dword v175, off, s[0:3], 0 offset:664
	buffer_load_dword v181, off, s[0:3], 0 offset:640
	buffer_load_dword v182, off, s[0:3], 0 offset:644
	ds_read_b128 v[112:115], v160 offset:1232
	s_waitcnt vmcnt(58) lgkmcnt(1)
	v_mul_f64 v[183:184], v[1:2], v[120:121]
	v_mul_f64 v[120:121], v[3:4], v[120:121]
	s_waitcnt vmcnt(56)
	v_fma_f64 v[171:172], v[108:109], v[169:170], -v[171:172]
	v_add_f64 v[116:117], v[116:117], v[167:168]
	v_fma_f64 v[167:168], v[110:111], v[169:170], v[187:188]
	v_add_f64 v[5:6], v[5:6], v[173:174]
	s_clause 0x3
	buffer_load_dword v169, off, s[0:3], 0 offset:680
	buffer_load_dword v170, off, s[0:3], 0 offset:684
	buffer_load_dword v174, off, s[0:3], 0 offset:660
	buffer_load_dword v173, off, s[0:3], 0 offset:656
	ds_read_b128 v[108:111], v160 offset:1248
	s_waitcnt vmcnt(58) lgkmcnt(1)
	v_mul_f64 v[187:188], v[112:113], v[165:166]
	v_mul_f64 v[165:166], v[114:115], v[165:166]
	s_waitcnt vmcnt(56)
	v_fma_f64 v[120:121], v[1:2], v[185:186], -v[120:121]
	;; [unrolled: 14-line block ×4, first 2 shown]
	v_fma_f64 v[136:137], v[110:111], v[136:137], v[185:186]
	v_add_f64 v[116:117], v[116:117], v[165:166]
	v_add_f64 v[5:6], v[5:6], v[120:121]
	s_clause 0x3
	buffer_load_dword v121, off, s[0:3], 0 offset:732
	buffer_load_dword v120, off, s[0:3], 0 offset:728
	buffer_load_dword v165, off, s[0:3], 0 offset:704
	buffer_load_dword v166, off, s[0:3], 0 offset:708
	ds_read_b128 v[108:111], v160 offset:1296
	s_waitcnt vmcnt(58) lgkmcnt(1)
	v_mul_f64 v[185:186], v[112:113], v[118:119]
	v_mul_f64 v[118:119], v[114:115], v[118:119]
	s_waitcnt vmcnt(56)
	v_fma_f64 v[122:123], v[1:2], v[130:131], -v[122:123]
	v_add_f64 v[116:117], v[116:117], v[128:129]
	v_fma_f64 v[128:129], v[3:4], v[130:131], v[187:188]
	v_add_f64 v[5:6], v[5:6], v[136:137]
	s_clause 0x3
	buffer_load_dword v130, off, s[0:3], 0 offset:744
	buffer_load_dword v131, off, s[0:3], 0 offset:748
	buffer_load_dword v137, off, s[0:3], 0 offset:724
	buffer_load_dword v136, off, s[0:3], 0 offset:720
	ds_read_b128 v[1:4], v160 offset:1312
	s_waitcnt vmcnt(58) lgkmcnt(1)
	v_mul_f64 v[187:188], v[108:109], v[124:125]
	v_mul_f64 v[124:125], v[110:111], v[124:125]
	s_waitcnt vmcnt(56)
	v_fma_f64 v[118:119], v[112:113], v[144:145], -v[118:119]
	v_add_f64 v[116:117], v[116:117], v[122:123]
	v_fma_f64 v[122:123], v[114:115], v[144:145], v[185:186]
	;; [unrolled: 14-line block ×6, first 2 shown]
	v_add_f64 v[5:6], v[5:6], v[126:127]
	s_clause 0x1
	buffer_load_dword v126, off, s[0:3], 0 offset:800
	buffer_load_dword v127, off, s[0:3], 0 offset:804
	ds_read_b128 v[108:111], v160 offset:1392
	s_waitcnt vmcnt(56) lgkmcnt(1)
	v_mul_f64 v[158:159], v[112:113], v[142:143]
	v_mul_f64 v[142:143], v[114:115], v[142:143]
	s_waitcnt vmcnt(54)
	v_fma_f64 v[140:141], v[1:2], v[154:155], -v[140:141]
	v_add_f64 v[116:117], v[116:117], v[134:135]
	v_fma_f64 v[134:135], v[3:4], v[154:155], v[187:188]
	v_add_f64 v[5:6], v[5:6], v[132:133]
	ds_read_b128 v[1:4], v160 offset:1408
	s_waitcnt vmcnt(52) lgkmcnt(1)
	v_mul_f64 v[132:133], v[108:109], v[148:149]
	v_mul_f64 v[148:149], v[110:111], v[148:149]
	s_waitcnt vmcnt(50)
	v_fma_f64 v[142:143], v[112:113], v[177:178], -v[142:143]
	v_add_f64 v[116:117], v[116:117], v[140:141]
	v_fma_f64 v[140:141], v[114:115], v[177:178], v[158:159]
	v_add_f64 v[5:6], v[5:6], v[134:135]
	s_clause 0x3
	buffer_load_dword v134, off, s[0:3], 0 offset:112
	buffer_load_dword v135, off, s[0:3], 0 offset:116
	;; [unrolled: 1-line block ×4, first 2 shown]
	ds_read_b128 v[112:115], v160 offset:1424
	s_waitcnt vmcnt(52) lgkmcnt(1)
	v_mul_f64 v[158:159], v[1:2], v[150:151]
	v_mul_f64 v[150:151], v[3:4], v[150:151]
	s_waitcnt vmcnt(50)
	v_fma_f64 v[148:149], v[108:109], v[163:164], -v[148:149]
	v_fma_f64 v[132:133], v[110:111], v[163:164], v[132:133]
	ds_read_b128 v[108:111], v160 offset:1440
	v_add_f64 v[116:117], v[116:117], v[142:143]
	v_add_f64 v[5:6], v[5:6], v[140:141]
	s_waitcnt vmcnt(48) lgkmcnt(1)
	v_mul_f64 v[142:143], v[114:115], v[156:157]
	v_mul_f64 v[140:141], v[112:113], v[156:157]
	s_waitcnt vmcnt(46)
	v_fma_f64 v[150:151], v[1:2], v[179:180], -v[150:151]
	v_add_f64 v[116:117], v[116:117], v[148:149]
	v_fma_f64 v[148:149], v[3:4], v[179:180], v[158:159]
	v_add_f64 v[5:6], v[5:6], v[132:133]
	ds_read_b128 v[1:4], v160 offset:1456
	s_waitcnt vmcnt(44) lgkmcnt(1)
	v_mul_f64 v[156:157], v[110:111], v[175:176]
	v_mul_f64 v[132:133], v[108:109], v[175:176]
	s_waitcnt vmcnt(42)
	v_fma_f64 v[142:143], v[112:113], v[181:182], -v[142:143]
	v_fma_f64 v[140:141], v[114:115], v[181:182], v[140:141]
	ds_read_b128 v[112:115], v160 offset:1472
	v_add_f64 v[116:117], v[116:117], v[150:151]
	v_add_f64 v[5:6], v[5:6], v[148:149]
	s_waitcnt vmcnt(40) lgkmcnt(1)
	v_mul_f64 v[150:151], v[3:4], v[169:170]
	v_mul_f64 v[148:149], v[1:2], v[169:170]
	s_waitcnt vmcnt(38)
	v_fma_f64 v[156:157], v[108:109], v[173:174], -v[156:157]
	v_fma_f64 v[132:133], v[110:111], v[173:174], v[132:133]
	ds_read_b128 v[108:111], v160 offset:1488
	v_add_f64 v[116:117], v[116:117], v[142:143]
	v_add_f64 v[5:6], v[5:6], v[140:141]
	;; [unrolled: 9-line block ×6, first 2 shown]
	s_waitcnt vmcnt(20) lgkmcnt(1)
	v_mul_f64 v[132:133], v[108:109], v[128:129]
	v_mul_f64 v[128:129], v[110:111], v[128:129]
	s_waitcnt vmcnt(18)
	v_fma_f64 v[130:131], v[112:113], v[144:145], -v[130:131]
	v_add_f64 v[116:117], v[116:117], v[120:121]
	v_fma_f64 v[120:121], v[114:115], v[144:145], v[140:141]
	v_add_f64 v[5:6], v[5:6], v[136:137]
	ds_read_b128 v[112:115], v160 offset:1568
	s_waitcnt vmcnt(16) lgkmcnt(1)
	v_mul_f64 v[136:137], v[1:2], v[122:123]
	v_mul_f64 v[122:123], v[3:4], v[122:123]
	s_waitcnt vmcnt(14)
	v_fma_f64 v[128:129], v[108:109], v[138:139], -v[128:129]
	v_add_f64 v[116:117], v[116:117], v[130:131]
	v_fma_f64 v[130:131], v[110:111], v[138:139], v[132:133]
	v_add_f64 v[5:6], v[5:6], v[120:121]
	ds_read_b128 v[108:111], v160 offset:1584
	s_waitcnt vmcnt(12) lgkmcnt(1)
	v_mul_f64 v[120:121], v[112:113], v[118:119]
	v_mul_f64 v[118:119], v[114:115], v[118:119]
	s_waitcnt vmcnt(10)
	v_fma_f64 v[1:2], v[1:2], v[152:153], -v[122:123]
	v_fma_f64 v[3:4], v[3:4], v[152:153], v[136:137]
	v_add_f64 v[116:117], v[116:117], v[128:129]
	v_add_f64 v[5:6], v[5:6], v[130:131]
	s_waitcnt vmcnt(8) lgkmcnt(0)
	v_mul_f64 v[122:123], v[108:109], v[124:125]
	v_mul_f64 v[124:125], v[110:111], v[124:125]
	s_waitcnt vmcnt(6)
	v_fma_f64 v[112:113], v[112:113], v[146:147], -v[118:119]
	v_fma_f64 v[114:115], v[114:115], v[146:147], v[120:121]
	v_add_f64 v[1:2], v[116:117], v[1:2]
	v_add_f64 v[3:4], v[5:6], v[3:4]
	s_waitcnt vmcnt(4)
	v_fma_f64 v[5:6], v[108:109], v[126:127], -v[124:125]
	v_fma_f64 v[108:109], v[110:111], v[126:127], v[122:123]
	v_add_f64 v[1:2], v[1:2], v[112:113]
	v_add_f64 v[3:4], v[3:4], v[114:115]
	;; [unrolled: 1-line block ×4, first 2 shown]
	s_waitcnt vmcnt(2)
	v_add_f64 v[1:2], v[134:135], -v[1:2]
	s_waitcnt vmcnt(0)
	v_add_f64 v[3:4], v[154:155], -v[3:4]
	buffer_store_dword v2, off, s[0:3], 0 offset:116
	buffer_store_dword v1, off, s[0:3], 0 offset:112
	;; [unrolled: 1-line block ×4, first 2 shown]
	v_cmpx_lt_u32_e32 5, v0
	s_cbranch_execz .LBB113_303
; %bb.302:
	v_mov_b32_e32 v4, s57
	s_clause 0x3
	buffer_load_dword v1, v4, s[0:3], 0 offen
	buffer_load_dword v2, v4, s[0:3], 0 offen offset:4
	buffer_load_dword v3, v4, s[0:3], 0 offen offset:8
	;; [unrolled: 1-line block ×3, first 2 shown]
	buffer_store_dword v160, off, s[0:3], 0 offset:96
	buffer_store_dword v160, off, s[0:3], 0 offset:100
	buffer_store_dword v160, off, s[0:3], 0 offset:104
	buffer_store_dword v160, off, s[0:3], 0 offset:108
	s_waitcnt vmcnt(0)
	ds_write_b128 v7, v[1:4]
.LBB113_303:
	s_or_b32 exec_lo, exec_lo, s4
	s_waitcnt lgkmcnt(0)
	s_waitcnt_vscnt null, 0x0
	s_barrier
	buffer_gl0_inv
	s_clause 0x35
	buffer_load_dword v110, off, s[0:3], 0 offset:120
	buffer_load_dword v111, off, s[0:3], 0 offset:124
	;; [unrolled: 1-line block ×54, first 2 shown]
	ds_read_b128 v[161:164], v160 offset:896
	s_clause 0x3
	buffer_load_dword v156, off, s[0:3], 0 offset:344
	buffer_load_dword v157, off, s[0:3], 0 offset:348
	;; [unrolled: 1-line block ×4, first 2 shown]
	ds_read_b128 v[165:168], v160 offset:912
	s_clause 0x3
	buffer_load_dword v176, off, s[0:3], 0 offset:364
	buffer_load_dword v175, off, s[0:3], 0 offset:360
	;; [unrolled: 1-line block ×4, first 2 shown]
	ds_read_b128 v[169:172], v160 offset:928
	s_mov_b32 s4, exec_lo
	s_waitcnt vmcnt(60) lgkmcnt(2)
	v_mul_f64 v[173:174], v[163:164], v[110:111]
	v_mul_f64 v[110:111], v[161:162], v[110:111]
	s_waitcnt vmcnt(58) lgkmcnt(1)
	v_mul_f64 v[179:180], v[167:168], v[5:6]
	v_mul_f64 v[5:6], v[165:166], v[5:6]
	;; [unrolled: 3-line block ×3, first 2 shown]
	v_fma_f64 v[161:162], v[161:162], v[108:109], -v[173:174]
	v_fma_f64 v[163:164], v[163:164], v[108:109], v[110:111]
	s_clause 0x3
	buffer_load_dword v173, off, s[0:3], 0 offset:376
	buffer_load_dword v174, off, s[0:3], 0 offset:380
	;; [unrolled: 1-line block ×4, first 2 shown]
	s_waitcnt vmcnt(56)
	v_fma_f64 v[165:166], v[165:166], v[1:2], -v[179:180]
	ds_read_b128 v[108:111], v160 offset:944
	v_fma_f64 v[5:6], v[167:168], v[1:2], v[5:6]
	s_clause 0x3
	buffer_load_dword v168, off, s[0:3], 0 offset:396
	buffer_load_dword v167, off, s[0:3], 0 offset:392
	buffer_load_dword v179, off, s[0:3], 0 offset:368
	buffer_load_dword v180, off, s[0:3], 0 offset:372
	s_waitcnt vmcnt(56)
	v_fma_f64 v[169:170], v[169:170], v[120:121], -v[185:186]
	ds_read_b128 v[1:4], v160 offset:960
	v_fma_f64 v[120:121], v[171:172], v[120:121], v[183:184]
	s_clause 0x3
	buffer_load_dword v171, off, s[0:3], 0 offset:408
	buffer_load_dword v172, off, s[0:3], 0 offset:412
	;; [unrolled: 1-line block ×4, first 2 shown]
	v_add_f64 v[161:162], v[161:162], 0
	v_add_f64 v[163:164], v[163:164], 0
	s_waitcnt lgkmcnt(1)
	v_mul_f64 v[187:188], v[108:109], v[112:113]
	v_mul_f64 v[112:113], v[110:111], v[112:113]
	s_waitcnt vmcnt(58) lgkmcnt(0)
	v_mul_f64 v[185:186], v[1:2], v[116:117]
	v_mul_f64 v[116:117], v[3:4], v[116:117]
	v_add_f64 v[165:166], v[161:162], v[165:166]
	v_add_f64 v[5:6], v[163:164], v[5:6]
	ds_read_b128 v[161:164], v160 offset:976
	s_waitcnt vmcnt(56)
	v_fma_f64 v[112:113], v[108:109], v[114:115], -v[112:113]
	v_fma_f64 v[114:115], v[110:111], v[114:115], v[187:188]
	s_waitcnt vmcnt(52)
	v_fma_f64 v[116:117], v[1:2], v[128:129], -v[116:117]
	v_fma_f64 v[128:129], v[3:4], v[128:129], v[185:186]
	s_waitcnt lgkmcnt(0)
	v_mul_f64 v[187:188], v[161:162], v[118:119]
	v_add_f64 v[165:166], v[165:166], v[169:170]
	v_add_f64 v[5:6], v[5:6], v[120:121]
	s_clause 0x3
	buffer_load_dword v121, off, s[0:3], 0 offset:428
	buffer_load_dword v120, off, s[0:3], 0 offset:424
	;; [unrolled: 1-line block ×4, first 2 shown]
	v_mul_f64 v[118:119], v[163:164], v[118:119]
	ds_read_b128 v[108:111], v160 offset:992
	v_add_f64 v[112:113], v[165:166], v[112:113]
	v_add_f64 v[5:6], v[5:6], v[114:115]
	s_clause 0x3
	buffer_load_dword v165, off, s[0:3], 0 offset:440
	buffer_load_dword v166, off, s[0:3], 0 offset:444
	;; [unrolled: 1-line block ×4, first 2 shown]
	s_waitcnt vmcnt(58) lgkmcnt(0)
	v_mul_f64 v[189:190], v[108:109], v[124:125]
	v_mul_f64 v[124:125], v[110:111], v[124:125]
	s_waitcnt vmcnt(56)
	v_fma_f64 v[118:119], v[161:162], v[122:123], -v[118:119]
	ds_read_b128 v[1:4], v160 offset:1008
	v_fma_f64 v[122:123], v[163:164], v[122:123], v[187:188]
	v_add_f64 v[116:117], v[112:113], v[116:117]
	v_add_f64 v[5:6], v[5:6], v[128:129]
	s_clause 0x3
	buffer_load_dword v129, off, s[0:3], 0 offset:460
	buffer_load_dword v128, off, s[0:3], 0 offset:456
	buffer_load_dword v161, off, s[0:3], 0 offset:432
	buffer_load_dword v162, off, s[0:3], 0 offset:436
	ds_read_b128 v[112:115], v160 offset:1024
	s_waitcnt vmcnt(58) lgkmcnt(1)
	v_mul_f64 v[163:164], v[1:2], v[126:127]
	v_mul_f64 v[126:127], v[3:4], v[126:127]
	s_waitcnt vmcnt(56)
	v_fma_f64 v[124:125], v[108:109], v[136:137], -v[124:125]
	v_add_f64 v[116:117], v[116:117], v[118:119]
	v_fma_f64 v[118:119], v[110:111], v[136:137], v[189:190]
	v_add_f64 v[5:6], v[5:6], v[122:123]
	s_clause 0x3
	buffer_load_dword v122, off, s[0:3], 0 offset:472
	buffer_load_dword v123, off, s[0:3], 0 offset:476
	buffer_load_dword v137, off, s[0:3], 0 offset:452
	buffer_load_dword v136, off, s[0:3], 0 offset:448
	s_waitcnt vmcnt(58) lgkmcnt(0)
	v_mul_f64 v[187:188], v[112:113], v[132:133]
	v_mul_f64 v[132:133], v[114:115], v[132:133]
	s_waitcnt vmcnt(56)
	v_fma_f64 v[126:127], v[1:2], v[130:131], -v[126:127]
	ds_read_b128 v[108:111], v160 offset:1040
	v_add_f64 v[116:117], v[116:117], v[124:125]
	v_fma_f64 v[124:125], v[3:4], v[130:131], v[163:164]
	v_add_f64 v[5:6], v[5:6], v[118:119]
	s_clause 0x3
	buffer_load_dword v119, off, s[0:3], 0 offset:492
	buffer_load_dword v118, off, s[0:3], 0 offset:488
	buffer_load_dword v130, off, s[0:3], 0 offset:464
	buffer_load_dword v131, off, s[0:3], 0 offset:468
	ds_read_b128 v[1:4], v160 offset:1056
	s_waitcnt vmcnt(58) lgkmcnt(1)
	v_mul_f64 v[163:164], v[108:109], v[134:135]
	v_mul_f64 v[134:135], v[110:111], v[134:135]
	s_waitcnt vmcnt(56)
	v_fma_f64 v[132:133], v[112:113], v[144:145], -v[132:133]
	v_add_f64 v[116:117], v[116:117], v[126:127]
	v_fma_f64 v[126:127], v[114:115], v[144:145], v[187:188]
	v_add_f64 v[5:6], v[5:6], v[124:125]
	s_clause 0x3
	buffer_load_dword v124, off, s[0:3], 0 offset:504
	buffer_load_dword v125, off, s[0:3], 0 offset:508
	buffer_load_dword v145, off, s[0:3], 0 offset:484
	buffer_load_dword v144, off, s[0:3], 0 offset:480
	s_waitcnt vmcnt(58) lgkmcnt(0)
	v_mul_f64 v[187:188], v[1:2], v[140:141]
	v_mul_f64 v[140:141], v[3:4], v[140:141]
	s_waitcnt vmcnt(56)
	v_fma_f64 v[134:135], v[108:109], v[138:139], -v[134:135]
	ds_read_b128 v[112:115], v160 offset:1072
	v_add_f64 v[116:117], v[116:117], v[132:133]
	v_fma_f64 v[132:133], v[110:111], v[138:139], v[163:164]
	;; [unrolled: 28-line block ×4, first 2 shown]
	v_add_f64 v[5:6], v[5:6], v[142:143]
	s_clause 0x3
	buffer_load_dword v143, off, s[0:3], 0 offset:588
	buffer_load_dword v142, off, s[0:3], 0 offset:584
	;; [unrolled: 1-line block ×4, first 2 shown]
	ds_read_b128 v[1:4], v160 offset:1152
	s_waitcnt vmcnt(58) lgkmcnt(1)
	v_mul_f64 v[163:164], v[108:109], v[175:176]
	v_mul_f64 v[175:176], v[110:111], v[175:176]
	s_waitcnt vmcnt(56)
	v_fma_f64 v[156:157], v[112:113], v[177:178], -v[156:157]
	v_add_f64 v[116:117], v[116:117], v[150:151]
	v_fma_f64 v[150:151], v[114:115], v[177:178], v[187:188]
	v_add_f64 v[5:6], v[5:6], v[148:149]
	s_clause 0x3
	buffer_load_dword v148, off, s[0:3], 0 offset:600
	buffer_load_dword v149, off, s[0:3], 0 offset:604
	;; [unrolled: 1-line block ×4, first 2 shown]
	ds_read_b128 v[112:115], v160 offset:1168
	s_waitcnt vmcnt(58) lgkmcnt(1)
	v_mul_f64 v[187:188], v[1:2], v[173:174]
	v_mul_f64 v[173:174], v[3:4], v[173:174]
	s_waitcnt vmcnt(56)
	v_fma_f64 v[175:176], v[108:109], v[181:182], -v[175:176]
	v_add_f64 v[116:117], v[116:117], v[156:157]
	v_fma_f64 v[156:157], v[110:111], v[181:182], v[163:164]
	v_add_f64 v[5:6], v[5:6], v[150:151]
	s_clause 0x3
	buffer_load_dword v151, off, s[0:3], 0 offset:620
	buffer_load_dword v150, off, s[0:3], 0 offset:616
	buffer_load_dword v163, off, s[0:3], 0 offset:592
	buffer_load_dword v164, off, s[0:3], 0 offset:596
	s_waitcnt vmcnt(58) lgkmcnt(0)
	v_mul_f64 v[181:182], v[112:113], v[167:168]
	v_mul_f64 v[167:168], v[114:115], v[167:168]
	ds_read_b128 v[108:111], v160 offset:1184
	s_waitcnt vmcnt(56)
	v_fma_f64 v[173:174], v[1:2], v[179:180], -v[173:174]
	v_add_f64 v[116:117], v[116:117], v[175:176]
	v_fma_f64 v[175:176], v[3:4], v[179:180], v[187:188]
	v_add_f64 v[5:6], v[5:6], v[156:157]
	s_clause 0x3
	buffer_load_dword v156, off, s[0:3], 0 offset:632
	buffer_load_dword v157, off, s[0:3], 0 offset:636
	;; [unrolled: 1-line block ×4, first 2 shown]
	s_waitcnt vmcnt(58) lgkmcnt(0)
	v_mul_f64 v[187:188], v[108:109], v[171:172]
	v_mul_f64 v[171:172], v[110:111], v[171:172]
	s_waitcnt vmcnt(56)
	v_fma_f64 v[167:168], v[112:113], v[183:184], -v[167:168]
	ds_read_b128 v[1:4], v160 offset:1200
	v_add_f64 v[116:117], v[116:117], v[173:174]
	v_fma_f64 v[173:174], v[114:115], v[183:184], v[181:182]
	v_add_f64 v[5:6], v[5:6], v[175:176]
	s_clause 0x3
	buffer_load_dword v176, off, s[0:3], 0 offset:652
	buffer_load_dword v175, off, s[0:3], 0 offset:648
	buffer_load_dword v181, off, s[0:3], 0 offset:624
	buffer_load_dword v182, off, s[0:3], 0 offset:628
	ds_read_b128 v[112:115], v160 offset:1216
	s_waitcnt vmcnt(58) lgkmcnt(1)
	v_mul_f64 v[183:184], v[1:2], v[120:121]
	v_mul_f64 v[120:121], v[3:4], v[120:121]
	s_waitcnt vmcnt(56)
	v_fma_f64 v[171:172], v[108:109], v[169:170], -v[171:172]
	v_add_f64 v[116:117], v[116:117], v[167:168]
	v_fma_f64 v[167:168], v[110:111], v[169:170], v[187:188]
	v_add_f64 v[5:6], v[5:6], v[173:174]
	s_clause 0x3
	buffer_load_dword v169, off, s[0:3], 0 offset:664
	buffer_load_dword v170, off, s[0:3], 0 offset:668
	buffer_load_dword v174, off, s[0:3], 0 offset:644
	buffer_load_dword v173, off, s[0:3], 0 offset:640
	ds_read_b128 v[108:111], v160 offset:1232
	s_waitcnt vmcnt(58) lgkmcnt(1)
	v_mul_f64 v[187:188], v[112:113], v[165:166]
	v_mul_f64 v[165:166], v[114:115], v[165:166]
	s_waitcnt vmcnt(56)
	v_fma_f64 v[120:121], v[1:2], v[185:186], -v[120:121]
	v_add_f64 v[116:117], v[116:117], v[171:172]
	v_fma_f64 v[171:172], v[3:4], v[185:186], v[183:184]
	v_add_f64 v[5:6], v[5:6], v[167:168]
	s_clause 0x3
	buffer_load_dword v168, off, s[0:3], 0 offset:684
	buffer_load_dword v167, off, s[0:3], 0 offset:680
	buffer_load_dword v183, off, s[0:3], 0 offset:656
	buffer_load_dword v184, off, s[0:3], 0 offset:660
	ds_read_b128 v[1:4], v160 offset:1248
	s_waitcnt vmcnt(58) lgkmcnt(1)
	v_mul_f64 v[185:186], v[108:109], v[128:129]
	v_mul_f64 v[128:129], v[110:111], v[128:129]
	s_waitcnt vmcnt(56)
	v_fma_f64 v[165:166], v[112:113], v[161:162], -v[165:166]
	v_add_f64 v[116:117], v[116:117], v[120:121]
	v_fma_f64 v[120:121], v[114:115], v[161:162], v[187:188]
	v_add_f64 v[5:6], v[5:6], v[171:172]
	s_clause 0x3
	buffer_load_dword v161, off, s[0:3], 0 offset:696
	buffer_load_dword v162, off, s[0:3], 0 offset:700
	buffer_load_dword v172, off, s[0:3], 0 offset:676
	buffer_load_dword v171, off, s[0:3], 0 offset:672
	ds_read_b128 v[112:115], v160 offset:1264
	s_waitcnt vmcnt(58) lgkmcnt(1)
	v_mul_f64 v[187:188], v[1:2], v[122:123]
	v_mul_f64 v[122:123], v[3:4], v[122:123]
	s_waitcnt vmcnt(56)
	v_fma_f64 v[128:129], v[108:109], v[136:137], -v[128:129]
	v_fma_f64 v[136:137], v[110:111], v[136:137], v[185:186]
	v_add_f64 v[116:117], v[116:117], v[165:166]
	v_add_f64 v[5:6], v[5:6], v[120:121]
	s_clause 0x3
	buffer_load_dword v121, off, s[0:3], 0 offset:716
	buffer_load_dword v120, off, s[0:3], 0 offset:712
	buffer_load_dword v165, off, s[0:3], 0 offset:688
	buffer_load_dword v166, off, s[0:3], 0 offset:692
	ds_read_b128 v[108:111], v160 offset:1280
	s_waitcnt vmcnt(58) lgkmcnt(1)
	v_mul_f64 v[185:186], v[112:113], v[118:119]
	v_mul_f64 v[118:119], v[114:115], v[118:119]
	s_waitcnt vmcnt(56)
	v_fma_f64 v[122:123], v[1:2], v[130:131], -v[122:123]
	v_add_f64 v[116:117], v[116:117], v[128:129]
	v_fma_f64 v[128:129], v[3:4], v[130:131], v[187:188]
	v_add_f64 v[5:6], v[5:6], v[136:137]
	s_clause 0x3
	buffer_load_dword v130, off, s[0:3], 0 offset:728
	buffer_load_dword v131, off, s[0:3], 0 offset:732
	buffer_load_dword v137, off, s[0:3], 0 offset:708
	buffer_load_dword v136, off, s[0:3], 0 offset:704
	ds_read_b128 v[1:4], v160 offset:1296
	s_waitcnt vmcnt(58) lgkmcnt(1)
	v_mul_f64 v[187:188], v[108:109], v[124:125]
	v_mul_f64 v[124:125], v[110:111], v[124:125]
	s_waitcnt vmcnt(56)
	v_fma_f64 v[118:119], v[112:113], v[144:145], -v[118:119]
	v_add_f64 v[116:117], v[116:117], v[122:123]
	v_fma_f64 v[122:123], v[114:115], v[144:145], v[185:186]
	;; [unrolled: 14-line block ×7, first 2 shown]
	v_add_f64 v[5:6], v[5:6], v[132:133]
	s_clause 0x1
	buffer_load_dword v133, off, s[0:3], 0 offset:804
	buffer_load_dword v132, off, s[0:3], 0 offset:800
	ds_read_b128 v[1:4], v160 offset:1392
	s_waitcnt vmcnt(56) lgkmcnt(1)
	v_mul_f64 v[154:155], v[108:109], v[148:149]
	v_mul_f64 v[148:149], v[110:111], v[148:149]
	s_waitcnt vmcnt(54)
	v_fma_f64 v[142:143], v[112:113], v[177:178], -v[142:143]
	v_add_f64 v[116:117], v[116:117], v[140:141]
	v_fma_f64 v[140:141], v[114:115], v[177:178], v[185:186]
	v_add_f64 v[5:6], v[5:6], v[134:135]
	ds_read_b128 v[112:115], v160 offset:1408
	s_waitcnt vmcnt(52) lgkmcnt(1)
	v_mul_f64 v[134:135], v[1:2], v[150:151]
	v_mul_f64 v[150:151], v[3:4], v[150:151]
	s_waitcnt vmcnt(50)
	v_fma_f64 v[148:149], v[108:109], v[163:164], -v[148:149]
	v_add_f64 v[116:117], v[116:117], v[142:143]
	v_fma_f64 v[142:143], v[110:111], v[163:164], v[154:155]
	v_add_f64 v[5:6], v[5:6], v[140:141]
	s_clause 0x3
	buffer_load_dword v140, off, s[0:3], 0 offset:96
	buffer_load_dword v141, off, s[0:3], 0 offset:100
	;; [unrolled: 1-line block ×4, first 2 shown]
	ds_read_b128 v[108:111], v160 offset:1424
	s_waitcnt vmcnt(52) lgkmcnt(1)
	v_mul_f64 v[163:164], v[112:113], v[156:157]
	v_mul_f64 v[156:157], v[114:115], v[156:157]
	s_waitcnt vmcnt(50)
	v_fma_f64 v[150:151], v[1:2], v[179:180], -v[150:151]
	v_fma_f64 v[134:135], v[3:4], v[179:180], v[134:135]
	ds_read_b128 v[1:4], v160 offset:1440
	v_add_f64 v[116:117], v[116:117], v[148:149]
	v_add_f64 v[5:6], v[5:6], v[142:143]
	s_waitcnt vmcnt(48) lgkmcnt(1)
	v_mul_f64 v[148:149], v[110:111], v[175:176]
	v_mul_f64 v[142:143], v[108:109], v[175:176]
	s_waitcnt vmcnt(46)
	v_fma_f64 v[156:157], v[112:113], v[181:182], -v[156:157]
	v_add_f64 v[116:117], v[116:117], v[150:151]
	v_fma_f64 v[150:151], v[114:115], v[181:182], v[163:164]
	v_add_f64 v[5:6], v[5:6], v[134:135]
	ds_read_b128 v[112:115], v160 offset:1456
	s_waitcnt vmcnt(44) lgkmcnt(1)
	v_mul_f64 v[163:164], v[3:4], v[169:170]
	v_mul_f64 v[134:135], v[1:2], v[169:170]
	s_waitcnt vmcnt(42)
	v_fma_f64 v[148:149], v[108:109], v[173:174], -v[148:149]
	v_fma_f64 v[142:143], v[110:111], v[173:174], v[142:143]
	ds_read_b128 v[108:111], v160 offset:1472
	v_add_f64 v[116:117], v[116:117], v[156:157]
	v_add_f64 v[5:6], v[5:6], v[150:151]
	s_waitcnt vmcnt(40) lgkmcnt(1)
	v_mul_f64 v[156:157], v[114:115], v[167:168]
	v_mul_f64 v[150:151], v[112:113], v[167:168]
	s_waitcnt vmcnt(38)
	v_fma_f64 v[163:164], v[1:2], v[183:184], -v[163:164]
	v_fma_f64 v[134:135], v[3:4], v[183:184], v[134:135]
	ds_read_b128 v[1:4], v160 offset:1488
	v_add_f64 v[116:117], v[116:117], v[148:149]
	v_add_f64 v[5:6], v[5:6], v[142:143]
	;; [unrolled: 9-line block ×5, first 2 shown]
	s_waitcnt vmcnt(24) lgkmcnt(1)
	v_mul_f64 v[136:137], v[108:109], v[128:129]
	v_mul_f64 v[128:129], v[110:111], v[128:129]
	s_waitcnt vmcnt(22)
	v_fma_f64 v[130:131], v[112:113], v[144:145], -v[130:131]
	v_add_f64 v[116:117], v[116:117], v[120:121]
	v_fma_f64 v[120:121], v[114:115], v[144:145], v[150:151]
	v_add_f64 v[5:6], v[5:6], v[134:135]
	ds_read_b128 v[112:115], v160 offset:1552
	s_waitcnt vmcnt(20) lgkmcnt(1)
	v_mul_f64 v[134:135], v[1:2], v[122:123]
	v_mul_f64 v[122:123], v[3:4], v[122:123]
	s_waitcnt vmcnt(18)
	v_fma_f64 v[128:129], v[108:109], v[138:139], -v[128:129]
	v_add_f64 v[116:117], v[116:117], v[130:131]
	v_fma_f64 v[130:131], v[110:111], v[138:139], v[136:137]
	v_add_f64 v[5:6], v[5:6], v[120:121]
	ds_read_b128 v[108:111], v160 offset:1568
	s_waitcnt vmcnt(16) lgkmcnt(1)
	v_mul_f64 v[120:121], v[112:113], v[118:119]
	v_mul_f64 v[118:119], v[114:115], v[118:119]
	s_waitcnt vmcnt(14)
	v_fma_f64 v[122:123], v[1:2], v[152:153], -v[122:123]
	v_add_f64 v[116:117], v[116:117], v[128:129]
	v_fma_f64 v[128:129], v[3:4], v[152:153], v[134:135]
	v_add_f64 v[5:6], v[5:6], v[130:131]
	ds_read_b128 v[1:4], v160 offset:1584
	s_waitcnt vmcnt(12) lgkmcnt(1)
	v_mul_f64 v[130:131], v[108:109], v[124:125]
	v_mul_f64 v[124:125], v[110:111], v[124:125]
	s_waitcnt vmcnt(10)
	v_fma_f64 v[112:113], v[112:113], v[146:147], -v[118:119]
	v_fma_f64 v[114:115], v[114:115], v[146:147], v[120:121]
	v_add_f64 v[116:117], v[116:117], v[122:123]
	v_add_f64 v[5:6], v[5:6], v[128:129]
	s_waitcnt vmcnt(8) lgkmcnt(0)
	v_mul_f64 v[120:121], v[3:4], v[126:127]
	v_mul_f64 v[118:119], v[1:2], v[126:127]
	s_waitcnt vmcnt(6)
	v_fma_f64 v[108:109], v[108:109], v[158:159], -v[124:125]
	v_fma_f64 v[110:111], v[110:111], v[158:159], v[130:131]
	v_add_f64 v[112:113], v[116:117], v[112:113]
	v_add_f64 v[5:6], v[5:6], v[114:115]
	s_waitcnt vmcnt(4)
	v_fma_f64 v[1:2], v[1:2], v[132:133], -v[120:121]
	v_fma_f64 v[3:4], v[3:4], v[132:133], v[118:119]
	v_add_f64 v[108:109], v[112:113], v[108:109]
	v_add_f64 v[5:6], v[5:6], v[110:111]
	;; [unrolled: 1-line block ×4, first 2 shown]
	s_waitcnt vmcnt(2)
	v_add_f64 v[1:2], v[140:141], -v[1:2]
	s_waitcnt vmcnt(0)
	v_add_f64 v[3:4], v[154:155], -v[3:4]
	buffer_store_dword v2, off, s[0:3], 0 offset:100
	buffer_store_dword v1, off, s[0:3], 0 offset:96
	;; [unrolled: 1-line block ×4, first 2 shown]
	v_cmpx_lt_u32_e32 4, v0
	s_cbranch_execz .LBB113_305
; %bb.304:
	v_mov_b32_e32 v4, s58
	v_mov_b32_e32 v5, 0
	s_clause 0x3
	buffer_load_dword v1, v4, s[0:3], 0 offen
	buffer_load_dword v2, v4, s[0:3], 0 offen offset:4
	buffer_load_dword v3, v4, s[0:3], 0 offen offset:8
	;; [unrolled: 1-line block ×3, first 2 shown]
	buffer_store_dword v5, off, s[0:3], 0 offset:80
	buffer_store_dword v5, off, s[0:3], 0 offset:84
	;; [unrolled: 1-line block ×4, first 2 shown]
	s_waitcnt vmcnt(0)
	ds_write_b128 v7, v[1:4]
.LBB113_305:
	s_or_b32 exec_lo, exec_lo, s4
	s_waitcnt lgkmcnt(0)
	s_waitcnt_vscnt null, 0x0
	s_barrier
	buffer_gl0_inv
	s_clause 0x35
	buffer_load_dword v110, off, s[0:3], 0 offset:104
	buffer_load_dword v111, off, s[0:3], 0 offset:108
	;; [unrolled: 1-line block ×54, first 2 shown]
	v_mov_b32_e32 v164, 0
	s_mov_b32 s4, exec_lo
	ds_read_b128 v[160:163], v164 offset:880
	s_clause 0x3
	buffer_load_dword v156, off, s[0:3], 0 offset:328
	buffer_load_dword v157, off, s[0:3], 0 offset:332
	;; [unrolled: 1-line block ×4, first 2 shown]
	ds_read_b128 v[165:168], v164 offset:896
	s_clause 0x3
	buffer_load_dword v176, off, s[0:3], 0 offset:348
	buffer_load_dword v175, off, s[0:3], 0 offset:344
	;; [unrolled: 1-line block ×4, first 2 shown]
	ds_read_b128 v[169:172], v164 offset:912
	s_waitcnt vmcnt(60) lgkmcnt(2)
	v_mul_f64 v[173:174], v[162:163], v[110:111]
	v_mul_f64 v[110:111], v[160:161], v[110:111]
	s_waitcnt vmcnt(58) lgkmcnt(1)
	v_mul_f64 v[179:180], v[167:168], v[5:6]
	v_mul_f64 v[5:6], v[165:166], v[5:6]
	;; [unrolled: 3-line block ×3, first 2 shown]
	v_fma_f64 v[160:161], v[160:161], v[108:109], -v[173:174]
	v_fma_f64 v[162:163], v[162:163], v[108:109], v[110:111]
	s_clause 0x3
	buffer_load_dword v173, off, s[0:3], 0 offset:360
	buffer_load_dword v174, off, s[0:3], 0 offset:364
	;; [unrolled: 1-line block ×4, first 2 shown]
	s_waitcnt vmcnt(56)
	v_fma_f64 v[165:166], v[165:166], v[1:2], -v[179:180]
	ds_read_b128 v[108:111], v164 offset:928
	v_fma_f64 v[5:6], v[167:168], v[1:2], v[5:6]
	s_clause 0x3
	buffer_load_dword v168, off, s[0:3], 0 offset:380
	buffer_load_dword v167, off, s[0:3], 0 offset:376
	;; [unrolled: 1-line block ×4, first 2 shown]
	s_waitcnt vmcnt(56)
	v_fma_f64 v[169:170], v[169:170], v[120:121], -v[185:186]
	ds_read_b128 v[1:4], v164 offset:944
	v_fma_f64 v[120:121], v[171:172], v[120:121], v[183:184]
	s_clause 0x3
	buffer_load_dword v171, off, s[0:3], 0 offset:392
	buffer_load_dword v172, off, s[0:3], 0 offset:396
	;; [unrolled: 1-line block ×4, first 2 shown]
	v_add_f64 v[160:161], v[160:161], 0
	v_add_f64 v[162:163], v[162:163], 0
	s_waitcnt lgkmcnt(1)
	v_mul_f64 v[187:188], v[108:109], v[112:113]
	v_mul_f64 v[112:113], v[110:111], v[112:113]
	s_waitcnt vmcnt(58) lgkmcnt(0)
	v_mul_f64 v[185:186], v[1:2], v[116:117]
	v_mul_f64 v[116:117], v[3:4], v[116:117]
	v_add_f64 v[165:166], v[160:161], v[165:166]
	v_add_f64 v[5:6], v[162:163], v[5:6]
	ds_read_b128 v[160:163], v164 offset:960
	s_waitcnt vmcnt(56)
	v_fma_f64 v[112:113], v[108:109], v[114:115], -v[112:113]
	v_fma_f64 v[114:115], v[110:111], v[114:115], v[187:188]
	s_waitcnt vmcnt(52)
	v_fma_f64 v[116:117], v[1:2], v[128:129], -v[116:117]
	v_fma_f64 v[128:129], v[3:4], v[128:129], v[185:186]
	s_waitcnt lgkmcnt(0)
	v_mul_f64 v[187:188], v[160:161], v[118:119]
	v_add_f64 v[165:166], v[165:166], v[169:170]
	v_add_f64 v[5:6], v[5:6], v[120:121]
	s_clause 0x3
	buffer_load_dword v121, off, s[0:3], 0 offset:412
	buffer_load_dword v120, off, s[0:3], 0 offset:408
	buffer_load_dword v169, off, s[0:3], 0 offset:384
	buffer_load_dword v170, off, s[0:3], 0 offset:388
	v_mul_f64 v[118:119], v[162:163], v[118:119]
	ds_read_b128 v[108:111], v164 offset:976
	v_add_f64 v[112:113], v[165:166], v[112:113]
	v_add_f64 v[5:6], v[5:6], v[114:115]
	s_clause 0x3
	buffer_load_dword v165, off, s[0:3], 0 offset:424
	buffer_load_dword v166, off, s[0:3], 0 offset:428
	;; [unrolled: 1-line block ×4, first 2 shown]
	s_waitcnt vmcnt(58) lgkmcnt(0)
	v_mul_f64 v[189:190], v[108:109], v[124:125]
	v_mul_f64 v[124:125], v[110:111], v[124:125]
	s_waitcnt vmcnt(56)
	v_fma_f64 v[118:119], v[160:161], v[122:123], -v[118:119]
	ds_read_b128 v[1:4], v164 offset:992
	v_fma_f64 v[122:123], v[162:163], v[122:123], v[187:188]
	v_add_f64 v[116:117], v[112:113], v[116:117]
	v_add_f64 v[5:6], v[5:6], v[128:129]
	s_clause 0x3
	buffer_load_dword v129, off, s[0:3], 0 offset:444
	buffer_load_dword v128, off, s[0:3], 0 offset:440
	buffer_load_dword v160, off, s[0:3], 0 offset:416
	buffer_load_dword v161, off, s[0:3], 0 offset:420
	ds_read_b128 v[112:115], v164 offset:1008
	s_waitcnt vmcnt(58) lgkmcnt(1)
	v_mul_f64 v[162:163], v[1:2], v[126:127]
	v_mul_f64 v[126:127], v[3:4], v[126:127]
	s_waitcnt vmcnt(56)
	v_fma_f64 v[124:125], v[108:109], v[136:137], -v[124:125]
	v_add_f64 v[116:117], v[116:117], v[118:119]
	v_fma_f64 v[118:119], v[110:111], v[136:137], v[189:190]
	v_add_f64 v[5:6], v[5:6], v[122:123]
	s_clause 0x3
	buffer_load_dword v122, off, s[0:3], 0 offset:456
	buffer_load_dword v123, off, s[0:3], 0 offset:460
	buffer_load_dword v137, off, s[0:3], 0 offset:436
	buffer_load_dword v136, off, s[0:3], 0 offset:432
	s_waitcnt vmcnt(58) lgkmcnt(0)
	v_mul_f64 v[187:188], v[112:113], v[132:133]
	v_mul_f64 v[132:133], v[114:115], v[132:133]
	s_waitcnt vmcnt(56)
	v_fma_f64 v[126:127], v[1:2], v[130:131], -v[126:127]
	ds_read_b128 v[108:111], v164 offset:1024
	v_add_f64 v[116:117], v[116:117], v[124:125]
	v_fma_f64 v[124:125], v[3:4], v[130:131], v[162:163]
	v_add_f64 v[5:6], v[5:6], v[118:119]
	s_clause 0x3
	buffer_load_dword v119, off, s[0:3], 0 offset:476
	buffer_load_dword v118, off, s[0:3], 0 offset:472
	buffer_load_dword v130, off, s[0:3], 0 offset:448
	buffer_load_dword v131, off, s[0:3], 0 offset:452
	ds_read_b128 v[1:4], v164 offset:1040
	s_waitcnt vmcnt(58) lgkmcnt(1)
	v_mul_f64 v[162:163], v[108:109], v[134:135]
	v_mul_f64 v[134:135], v[110:111], v[134:135]
	s_waitcnt vmcnt(56)
	v_fma_f64 v[132:133], v[112:113], v[144:145], -v[132:133]
	v_add_f64 v[116:117], v[116:117], v[126:127]
	v_fma_f64 v[126:127], v[114:115], v[144:145], v[187:188]
	v_add_f64 v[5:6], v[5:6], v[124:125]
	s_clause 0x3
	buffer_load_dword v124, off, s[0:3], 0 offset:488
	buffer_load_dword v125, off, s[0:3], 0 offset:492
	buffer_load_dword v145, off, s[0:3], 0 offset:468
	buffer_load_dword v144, off, s[0:3], 0 offset:464
	s_waitcnt vmcnt(58) lgkmcnt(0)
	v_mul_f64 v[187:188], v[1:2], v[140:141]
	v_mul_f64 v[140:141], v[3:4], v[140:141]
	s_waitcnt vmcnt(56)
	v_fma_f64 v[134:135], v[108:109], v[138:139], -v[134:135]
	ds_read_b128 v[112:115], v164 offset:1056
	v_add_f64 v[116:117], v[116:117], v[132:133]
	v_fma_f64 v[132:133], v[110:111], v[138:139], v[162:163]
	;; [unrolled: 28-line block ×4, first 2 shown]
	v_add_f64 v[5:6], v[5:6], v[142:143]
	s_clause 0x3
	buffer_load_dword v143, off, s[0:3], 0 offset:572
	buffer_load_dword v142, off, s[0:3], 0 offset:568
	;; [unrolled: 1-line block ×4, first 2 shown]
	ds_read_b128 v[1:4], v164 offset:1136
	s_waitcnt vmcnt(58) lgkmcnt(1)
	v_mul_f64 v[162:163], v[108:109], v[175:176]
	v_mul_f64 v[175:176], v[110:111], v[175:176]
	s_waitcnt vmcnt(56)
	v_fma_f64 v[156:157], v[112:113], v[177:178], -v[156:157]
	v_add_f64 v[116:117], v[116:117], v[150:151]
	v_fma_f64 v[150:151], v[114:115], v[177:178], v[187:188]
	v_add_f64 v[5:6], v[5:6], v[148:149]
	s_clause 0x3
	buffer_load_dword v148, off, s[0:3], 0 offset:584
	buffer_load_dword v149, off, s[0:3], 0 offset:588
	;; [unrolled: 1-line block ×4, first 2 shown]
	ds_read_b128 v[112:115], v164 offset:1152
	s_waitcnt vmcnt(58) lgkmcnt(1)
	v_mul_f64 v[187:188], v[1:2], v[173:174]
	v_mul_f64 v[173:174], v[3:4], v[173:174]
	s_waitcnt vmcnt(56)
	v_fma_f64 v[175:176], v[108:109], v[181:182], -v[175:176]
	v_add_f64 v[116:117], v[116:117], v[156:157]
	v_fma_f64 v[156:157], v[110:111], v[181:182], v[162:163]
	v_add_f64 v[5:6], v[5:6], v[150:151]
	s_clause 0x3
	buffer_load_dword v151, off, s[0:3], 0 offset:604
	buffer_load_dword v150, off, s[0:3], 0 offset:600
	;; [unrolled: 1-line block ×4, first 2 shown]
	s_waitcnt vmcnt(58) lgkmcnt(0)
	v_mul_f64 v[181:182], v[112:113], v[167:168]
	v_mul_f64 v[167:168], v[114:115], v[167:168]
	ds_read_b128 v[108:111], v164 offset:1168
	s_waitcnt vmcnt(56)
	v_fma_f64 v[173:174], v[1:2], v[179:180], -v[173:174]
	v_add_f64 v[116:117], v[116:117], v[175:176]
	v_fma_f64 v[175:176], v[3:4], v[179:180], v[187:188]
	v_add_f64 v[5:6], v[5:6], v[156:157]
	s_clause 0x3
	buffer_load_dword v156, off, s[0:3], 0 offset:616
	buffer_load_dword v157, off, s[0:3], 0 offset:620
	;; [unrolled: 1-line block ×4, first 2 shown]
	s_waitcnt vmcnt(58) lgkmcnt(0)
	v_mul_f64 v[187:188], v[108:109], v[171:172]
	v_mul_f64 v[171:172], v[110:111], v[171:172]
	s_waitcnt vmcnt(56)
	v_fma_f64 v[167:168], v[112:113], v[183:184], -v[167:168]
	ds_read_b128 v[1:4], v164 offset:1184
	v_add_f64 v[116:117], v[116:117], v[173:174]
	v_fma_f64 v[173:174], v[114:115], v[183:184], v[181:182]
	v_add_f64 v[5:6], v[5:6], v[175:176]
	s_clause 0x3
	buffer_load_dword v176, off, s[0:3], 0 offset:636
	buffer_load_dword v175, off, s[0:3], 0 offset:632
	buffer_load_dword v181, off, s[0:3], 0 offset:608
	buffer_load_dword v182, off, s[0:3], 0 offset:612
	ds_read_b128 v[112:115], v164 offset:1200
	s_waitcnt vmcnt(58) lgkmcnt(1)
	v_mul_f64 v[183:184], v[1:2], v[120:121]
	v_mul_f64 v[120:121], v[3:4], v[120:121]
	s_waitcnt vmcnt(56)
	v_fma_f64 v[171:172], v[108:109], v[169:170], -v[171:172]
	v_add_f64 v[116:117], v[116:117], v[167:168]
	v_fma_f64 v[167:168], v[110:111], v[169:170], v[187:188]
	v_add_f64 v[5:6], v[5:6], v[173:174]
	s_clause 0x3
	buffer_load_dword v169, off, s[0:3], 0 offset:648
	buffer_load_dword v170, off, s[0:3], 0 offset:652
	buffer_load_dword v174, off, s[0:3], 0 offset:628
	buffer_load_dword v173, off, s[0:3], 0 offset:624
	ds_read_b128 v[108:111], v164 offset:1216
	s_waitcnt vmcnt(58) lgkmcnt(1)
	v_mul_f64 v[187:188], v[112:113], v[165:166]
	v_mul_f64 v[165:166], v[114:115], v[165:166]
	s_waitcnt vmcnt(56)
	v_fma_f64 v[120:121], v[1:2], v[185:186], -v[120:121]
	;; [unrolled: 14-line block ×4, first 2 shown]
	v_fma_f64 v[136:137], v[110:111], v[136:137], v[185:186]
	v_add_f64 v[116:117], v[116:117], v[165:166]
	v_add_f64 v[5:6], v[5:6], v[120:121]
	s_clause 0x3
	buffer_load_dword v121, off, s[0:3], 0 offset:700
	buffer_load_dword v120, off, s[0:3], 0 offset:696
	buffer_load_dword v165, off, s[0:3], 0 offset:672
	buffer_load_dword v166, off, s[0:3], 0 offset:676
	ds_read_b128 v[108:111], v164 offset:1264
	s_waitcnt vmcnt(58) lgkmcnt(1)
	v_mul_f64 v[185:186], v[112:113], v[118:119]
	v_mul_f64 v[118:119], v[114:115], v[118:119]
	s_waitcnt vmcnt(56)
	v_fma_f64 v[122:123], v[1:2], v[130:131], -v[122:123]
	v_add_f64 v[116:117], v[116:117], v[128:129]
	v_fma_f64 v[128:129], v[3:4], v[130:131], v[187:188]
	v_add_f64 v[5:6], v[5:6], v[136:137]
	s_clause 0x3
	buffer_load_dword v130, off, s[0:3], 0 offset:712
	buffer_load_dword v131, off, s[0:3], 0 offset:716
	buffer_load_dword v137, off, s[0:3], 0 offset:692
	buffer_load_dword v136, off, s[0:3], 0 offset:688
	ds_read_b128 v[1:4], v164 offset:1280
	s_waitcnt vmcnt(58) lgkmcnt(1)
	v_mul_f64 v[187:188], v[108:109], v[124:125]
	v_mul_f64 v[124:125], v[110:111], v[124:125]
	s_waitcnt vmcnt(56)
	v_fma_f64 v[118:119], v[112:113], v[144:145], -v[118:119]
	v_add_f64 v[116:117], v[116:117], v[122:123]
	v_fma_f64 v[122:123], v[114:115], v[144:145], v[185:186]
	;; [unrolled: 14-line block ×8, first 2 shown]
	v_add_f64 v[5:6], v[5:6], v[134:135]
	s_clause 0x1
	buffer_load_dword v134, off, s[0:3], 0 offset:800
	buffer_load_dword v135, off, s[0:3], 0 offset:804
	ds_read_b128 v[112:115], v164 offset:1392
	s_waitcnt vmcnt(56) lgkmcnt(1)
	v_mul_f64 v[177:178], v[1:2], v[150:151]
	v_mul_f64 v[150:151], v[3:4], v[150:151]
	s_waitcnt vmcnt(54)
	v_fma_f64 v[148:149], v[108:109], v[162:163], -v[148:149]
	v_add_f64 v[116:117], v[116:117], v[142:143]
	v_fma_f64 v[142:143], v[110:111], v[162:163], v[187:188]
	v_add_f64 v[5:6], v[5:6], v[140:141]
	ds_read_b128 v[108:111], v164 offset:1408
	s_waitcnt vmcnt(52) lgkmcnt(1)
	v_mul_f64 v[140:141], v[112:113], v[156:157]
	v_mul_f64 v[156:157], v[114:115], v[156:157]
	s_waitcnt vmcnt(50)
	v_fma_f64 v[150:151], v[1:2], v[179:180], -v[150:151]
	v_add_f64 v[116:117], v[116:117], v[148:149]
	v_fma_f64 v[148:149], v[3:4], v[179:180], v[177:178]
	v_add_f64 v[5:6], v[5:6], v[142:143]
	s_clause 0x3
	buffer_load_dword v142, off, s[0:3], 0 offset:80
	buffer_load_dword v143, off, s[0:3], 0 offset:84
	;; [unrolled: 1-line block ×4, first 2 shown]
	ds_read_b128 v[1:4], v164 offset:1424
	s_waitcnt vmcnt(52) lgkmcnt(1)
	v_mul_f64 v[177:178], v[108:109], v[175:176]
	v_mul_f64 v[175:176], v[110:111], v[175:176]
	s_waitcnt vmcnt(50)
	v_fma_f64 v[156:157], v[112:113], v[181:182], -v[156:157]
	v_fma_f64 v[140:141], v[114:115], v[181:182], v[140:141]
	ds_read_b128 v[112:115], v164 offset:1440
	v_add_f64 v[116:117], v[116:117], v[150:151]
	v_add_f64 v[5:6], v[5:6], v[148:149]
	s_waitcnt vmcnt(48) lgkmcnt(1)
	v_mul_f64 v[148:149], v[1:2], v[169:170]
	v_mul_f64 v[150:151], v[3:4], v[169:170]
	s_waitcnt vmcnt(46)
	v_fma_f64 v[169:170], v[108:109], v[173:174], -v[175:176]
	v_add_f64 v[116:117], v[116:117], v[156:157]
	v_fma_f64 v[156:157], v[110:111], v[173:174], v[177:178]
	v_add_f64 v[5:6], v[5:6], v[140:141]
	ds_read_b128 v[108:111], v164 offset:1456
	s_waitcnt vmcnt(44) lgkmcnt(1)
	v_mul_f64 v[140:141], v[112:113], v[167:168]
	v_mul_f64 v[167:168], v[114:115], v[167:168]
	s_waitcnt vmcnt(42)
	v_fma_f64 v[150:151], v[1:2], v[183:184], -v[150:151]
	v_fma_f64 v[148:149], v[3:4], v[183:184], v[148:149]
	ds_read_b128 v[1:4], v164 offset:1472
	v_add_f64 v[116:117], v[116:117], v[169:170]
	v_add_f64 v[5:6], v[5:6], v[156:157]
	s_waitcnt vmcnt(40) lgkmcnt(1)
	v_mul_f64 v[156:157], v[108:109], v[160:161]
	v_mul_f64 v[160:161], v[110:111], v[160:161]
	s_waitcnt vmcnt(38)
	v_fma_f64 v[167:168], v[112:113], v[171:172], -v[167:168]
	v_fma_f64 v[140:141], v[114:115], v[171:172], v[140:141]
	ds_read_b128 v[112:115], v164 offset:1488
	v_add_f64 v[116:117], v[116:117], v[150:151]
	v_add_f64 v[5:6], v[5:6], v[148:149]
	s_waitcnt vmcnt(36) lgkmcnt(1)
	v_mul_f64 v[148:149], v[1:2], v[120:121]
	v_mul_f64 v[120:121], v[3:4], v[120:121]
	s_waitcnt vmcnt(34)
	v_fma_f64 v[150:151], v[108:109], v[165:166], -v[160:161]
	v_fma_f64 v[156:157], v[110:111], v[165:166], v[156:157]
	ds_read_b128 v[108:111], v164 offset:1504
	v_add_f64 v[116:117], v[116:117], v[167:168]
	v_add_f64 v[5:6], v[5:6], v[140:141]
	s_waitcnt vmcnt(32) lgkmcnt(1)
	v_mul_f64 v[140:141], v[112:113], v[130:131]
	v_mul_f64 v[130:131], v[114:115], v[130:131]
	s_waitcnt vmcnt(30)
	v_fma_f64 v[120:121], v[1:2], v[136:137], -v[120:121]
	v_fma_f64 v[136:137], v[3:4], v[136:137], v[148:149]
	ds_read_b128 v[1:4], v164 offset:1520
	v_add_f64 v[116:117], v[116:117], v[150:151]
	v_add_f64 v[5:6], v[5:6], v[156:157]
	s_waitcnt vmcnt(28) lgkmcnt(1)
	v_mul_f64 v[148:149], v[108:109], v[128:129]
	v_mul_f64 v[128:129], v[110:111], v[128:129]
	s_waitcnt vmcnt(26)
	v_fma_f64 v[130:131], v[112:113], v[144:145], -v[130:131]
	v_add_f64 v[116:117], v[116:117], v[120:121]
	v_fma_f64 v[120:121], v[114:115], v[144:145], v[140:141]
	v_add_f64 v[5:6], v[5:6], v[136:137]
	ds_read_b128 v[112:115], v164 offset:1536
	s_waitcnt vmcnt(24) lgkmcnt(1)
	v_mul_f64 v[136:137], v[1:2], v[122:123]
	v_mul_f64 v[122:123], v[3:4], v[122:123]
	s_waitcnt vmcnt(22)
	v_fma_f64 v[128:129], v[108:109], v[138:139], -v[128:129]
	v_add_f64 v[116:117], v[116:117], v[130:131]
	v_fma_f64 v[130:131], v[110:111], v[138:139], v[148:149]
	v_add_f64 v[5:6], v[5:6], v[120:121]
	ds_read_b128 v[108:111], v164 offset:1552
	;; [unrolled: 9-line block ×3, first 2 shown]
	s_waitcnt vmcnt(16) lgkmcnt(1)
	v_mul_f64 v[130:131], v[108:109], v[124:125]
	v_mul_f64 v[124:125], v[110:111], v[124:125]
	s_waitcnt vmcnt(14)
	v_fma_f64 v[118:119], v[112:113], v[146:147], -v[118:119]
	v_fma_f64 v[120:121], v[114:115], v[146:147], v[120:121]
	ds_read_b128 v[112:115], v164 offset:1584
	v_add_f64 v[116:117], v[116:117], v[122:123]
	v_add_f64 v[5:6], v[5:6], v[128:129]
	s_waitcnt vmcnt(12) lgkmcnt(1)
	v_mul_f64 v[122:123], v[1:2], v[126:127]
	v_mul_f64 v[126:127], v[3:4], v[126:127]
	s_waitcnt vmcnt(10)
	v_fma_f64 v[108:109], v[108:109], v[158:159], -v[124:125]
	v_fma_f64 v[110:111], v[110:111], v[158:159], v[130:131]
	v_add_f64 v[116:117], v[116:117], v[118:119]
	v_add_f64 v[5:6], v[5:6], v[120:121]
	s_waitcnt vmcnt(8) lgkmcnt(0)
	v_mul_f64 v[120:121], v[114:115], v[132:133]
	v_mul_f64 v[118:119], v[112:113], v[132:133]
	s_waitcnt vmcnt(6)
	v_fma_f64 v[1:2], v[1:2], v[154:155], -v[126:127]
	v_fma_f64 v[3:4], v[3:4], v[154:155], v[122:123]
	v_add_f64 v[108:109], v[116:117], v[108:109]
	v_add_f64 v[5:6], v[5:6], v[110:111]
	s_waitcnt vmcnt(4)
	v_fma_f64 v[110:111], v[112:113], v[134:135], -v[120:121]
	v_add_f64 v[1:2], v[108:109], v[1:2]
	v_fma_f64 v[108:109], v[114:115], v[134:135], v[118:119]
	v_add_f64 v[3:4], v[5:6], v[3:4]
	v_add_f64 v[1:2], v[1:2], v[110:111]
	v_add_f64 v[3:4], v[3:4], v[108:109]
	s_waitcnt vmcnt(2)
	v_add_f64 v[1:2], v[142:143], -v[1:2]
	s_waitcnt vmcnt(0)
	v_add_f64 v[3:4], v[162:163], -v[3:4]
	buffer_store_dword v2, off, s[0:3], 0 offset:84
	buffer_store_dword v1, off, s[0:3], 0 offset:80
	;; [unrolled: 1-line block ×4, first 2 shown]
	v_cmpx_lt_u32_e32 3, v0
	s_cbranch_execz .LBB113_307
; %bb.306:
	v_mov_b32_e32 v4, s59
	s_clause 0x3
	buffer_load_dword v1, v4, s[0:3], 0 offen
	buffer_load_dword v2, v4, s[0:3], 0 offen offset:4
	buffer_load_dword v3, v4, s[0:3], 0 offen offset:8
	buffer_load_dword v4, v4, s[0:3], 0 offen offset:12
	buffer_store_dword v164, off, s[0:3], 0 offset:64
	buffer_store_dword v164, off, s[0:3], 0 offset:68
	buffer_store_dword v164, off, s[0:3], 0 offset:72
	buffer_store_dword v164, off, s[0:3], 0 offset:76
	s_waitcnt vmcnt(0)
	ds_write_b128 v7, v[1:4]
.LBB113_307:
	s_or_b32 exec_lo, exec_lo, s4
	s_waitcnt lgkmcnt(0)
	s_waitcnt_vscnt null, 0x0
	s_barrier
	buffer_gl0_inv
	s_clause 0x35
	buffer_load_dword v114, off, s[0:3], 0 offset:88
	buffer_load_dword v115, off, s[0:3], 0 offset:92
	;; [unrolled: 1-line block ×54, first 2 shown]
	ds_read_b128 v[1:4], v164 offset:864
	s_clause 0x3
	buffer_load_dword v160, off, s[0:3], 0 offset:312
	buffer_load_dword v161, off, s[0:3], 0 offset:316
	buffer_load_dword v159, off, s[0:3], 0 offset:292
	buffer_load_dword v158, off, s[0:3], 0 offset:288
	ds_read_b128 v[165:168], v164 offset:880
	s_clause 0x3
	buffer_load_dword v176, off, s[0:3], 0 offset:332
	buffer_load_dword v175, off, s[0:3], 0 offset:328
	buffer_load_dword v177, off, s[0:3], 0 offset:304
	buffer_load_dword v178, off, s[0:3], 0 offset:308
	;; [unrolled: 6-line block ×3, first 2 shown]
	s_mov_b32 s4, exec_lo
	s_waitcnt vmcnt(62) lgkmcnt(2)
	v_mul_f64 v[173:174], v[3:4], v[114:115]
	v_mul_f64 v[114:115], v[1:2], v[114:115]
	s_waitcnt lgkmcnt(1)
	v_mul_f64 v[179:180], v[167:168], v[110:111]
	v_mul_f64 v[110:111], v[165:166], v[110:111]
	s_waitcnt vmcnt(58) lgkmcnt(0)
	v_mul_f64 v[185:186], v[171:172], v[108:109]
	v_fma_f64 v[173:174], v[1:2], v[112:113], -v[173:174]
	v_fma_f64 v[112:113], v[3:4], v[112:113], v[114:115]
	s_waitcnt vmcnt(56)
	v_fma_f64 v[165:166], v[165:166], v[5:6], -v[179:180]
	ds_read_b128 v[1:4], v164 offset:912
	v_mul_f64 v[114:115], v[169:170], v[108:109]
	v_fma_f64 v[5:6], v[167:168], v[5:6], v[110:111]
	s_clause 0x3
	buffer_load_dword v168, off, s[0:3], 0 offset:364
	buffer_load_dword v167, off, s[0:3], 0 offset:360
	;; [unrolled: 1-line block ×4, first 2 shown]
	s_waitcnt vmcnt(56)
	v_fma_f64 v[169:170], v[169:170], v[124:125], -v[185:186]
	ds_read_b128 v[108:111], v164 offset:928
	v_add_f64 v[173:174], v[173:174], 0
	v_add_f64 v[112:113], v[112:113], 0
	s_waitcnt lgkmcnt(1)
	v_mul_f64 v[187:188], v[1:2], v[116:117]
	v_mul_f64 v[116:117], v[3:4], v[116:117]
	v_fma_f64 v[124:125], v[171:172], v[124:125], v[114:115]
	s_waitcnt vmcnt(54) lgkmcnt(0)
	v_mul_f64 v[185:186], v[108:109], v[120:121]
	v_mul_f64 v[120:121], v[110:111], v[120:121]
	v_add_f64 v[165:166], v[173:174], v[165:166]
	v_add_f64 v[5:6], v[112:113], v[5:6]
	s_clause 0x3
	buffer_load_dword v171, off, s[0:3], 0 offset:376
	buffer_load_dword v172, off, s[0:3], 0 offset:380
	;; [unrolled: 1-line block ×4, first 2 shown]
	s_waitcnt vmcnt(56)
	v_fma_f64 v[116:117], v[1:2], v[118:119], -v[116:117]
	ds_read_b128 v[112:115], v164 offset:944
	v_fma_f64 v[118:119], v[3:4], v[118:119], v[187:188]
	s_waitcnt vmcnt(52)
	v_fma_f64 v[120:121], v[108:109], v[132:133], -v[120:121]
	v_fma_f64 v[132:133], v[110:111], v[132:133], v[185:186]
	v_add_f64 v[165:166], v[165:166], v[169:170]
	v_add_f64 v[5:6], v[5:6], v[124:125]
	s_clause 0x3
	buffer_load_dword v125, off, s[0:3], 0 offset:396
	buffer_load_dword v124, off, s[0:3], 0 offset:392
	;; [unrolled: 1-line block ×4, first 2 shown]
	s_waitcnt lgkmcnt(0)
	v_mul_f64 v[187:188], v[112:113], v[122:123]
	v_mul_f64 v[122:123], v[114:115], v[122:123]
	ds_read_b128 v[1:4], v164 offset:960
	v_add_f64 v[116:117], v[165:166], v[116:117]
	v_add_f64 v[5:6], v[5:6], v[118:119]
	s_clause 0x3
	buffer_load_dword v118, off, s[0:3], 0 offset:408
	buffer_load_dword v119, off, s[0:3], 0 offset:412
	;; [unrolled: 1-line block ×4, first 2 shown]
	s_waitcnt vmcnt(58) lgkmcnt(0)
	v_mul_f64 v[185:186], v[1:2], v[128:129]
	v_mul_f64 v[128:129], v[3:4], v[128:129]
	s_waitcnt vmcnt(56)
	v_fma_f64 v[122:123], v[112:113], v[126:127], -v[122:123]
	ds_read_b128 v[108:111], v164 offset:976
	v_add_f64 v[116:117], v[116:117], v[120:121]
	v_fma_f64 v[120:121], v[114:115], v[126:127], v[187:188]
	v_add_f64 v[5:6], v[5:6], v[132:133]
	s_clause 0x3
	buffer_load_dword v127, off, s[0:3], 0 offset:428
	buffer_load_dword v126, off, s[0:3], 0 offset:424
	buffer_load_dword v132, off, s[0:3], 0 offset:400
	buffer_load_dword v133, off, s[0:3], 0 offset:404
	s_waitcnt vmcnt(58) lgkmcnt(0)
	v_mul_f64 v[187:188], v[108:109], v[130:131]
	v_mul_f64 v[130:131], v[110:111], v[130:131]
	s_waitcnt vmcnt(56)
	v_fma_f64 v[128:129], v[1:2], v[140:141], -v[128:129]
	ds_read_b128 v[112:115], v164 offset:992
	v_add_f64 v[116:117], v[116:117], v[122:123]
	v_fma_f64 v[122:123], v[3:4], v[140:141], v[185:186]
	v_add_f64 v[5:6], v[5:6], v[120:121]
	s_clause 0x3
	buffer_load_dword v120, off, s[0:3], 0 offset:440
	buffer_load_dword v121, off, s[0:3], 0 offset:444
	buffer_load_dword v141, off, s[0:3], 0 offset:420
	buffer_load_dword v140, off, s[0:3], 0 offset:416
	ds_read_b128 v[1:4], v164 offset:1008
	s_waitcnt vmcnt(58) lgkmcnt(1)
	v_mul_f64 v[185:186], v[112:113], v[136:137]
	v_mul_f64 v[136:137], v[114:115], v[136:137]
	s_waitcnt vmcnt(56)
	v_fma_f64 v[130:131], v[108:109], v[134:135], -v[130:131]
	v_add_f64 v[116:117], v[116:117], v[128:129]
	v_fma_f64 v[128:129], v[110:111], v[134:135], v[187:188]
	v_add_f64 v[5:6], v[5:6], v[122:123]
	s_clause 0x3
	buffer_load_dword v123, off, s[0:3], 0 offset:460
	buffer_load_dword v122, off, s[0:3], 0 offset:456
	buffer_load_dword v134, off, s[0:3], 0 offset:432
	buffer_load_dword v135, off, s[0:3], 0 offset:436
	s_waitcnt vmcnt(58) lgkmcnt(0)
	v_mul_f64 v[187:188], v[1:2], v[138:139]
	v_mul_f64 v[138:139], v[3:4], v[138:139]
	s_waitcnt vmcnt(56)
	v_fma_f64 v[136:137], v[112:113], v[148:149], -v[136:137]
	ds_read_b128 v[108:111], v164 offset:1024
	v_add_f64 v[116:117], v[116:117], v[130:131]
	v_fma_f64 v[130:131], v[114:115], v[148:149], v[185:186]
	v_add_f64 v[5:6], v[5:6], v[128:129]
	s_clause 0x3
	buffer_load_dword v128, off, s[0:3], 0 offset:472
	buffer_load_dword v129, off, s[0:3], 0 offset:476
	buffer_load_dword v149, off, s[0:3], 0 offset:452
	buffer_load_dword v148, off, s[0:3], 0 offset:448
	ds_read_b128 v[112:115], v164 offset:1040
	s_waitcnt vmcnt(58) lgkmcnt(1)
	v_mul_f64 v[185:186], v[108:109], v[144:145]
	v_mul_f64 v[144:145], v[110:111], v[144:145]
	s_waitcnt vmcnt(56)
	v_fma_f64 v[138:139], v[1:2], v[142:143], -v[138:139]
	;; [unrolled: 28-line block ×6, first 2 shown]
	v_fma_f64 v[173:174], v[114:115], v[173:174], v[187:188]
	v_add_f64 v[116:117], v[116:117], v[181:182]
	v_add_f64 v[5:6], v[5:6], v[175:176]
	s_clause 0x3
	buffer_load_dword v176, off, s[0:3], 0 offset:620
	buffer_load_dword v175, off, s[0:3], 0 offset:616
	;; [unrolled: 1-line block ×4, first 2 shown]
	ds_read_b128 v[112:115], v164 offset:1184
	s_waitcnt vmcnt(58) lgkmcnt(1)
	v_mul_f64 v[187:188], v[108:109], v[124:125]
	v_mul_f64 v[124:125], v[110:111], v[124:125]
	s_waitcnt vmcnt(56)
	v_fma_f64 v[171:172], v[1:2], v[169:170], -v[171:172]
	v_add_f64 v[116:117], v[116:117], v[167:168]
	v_fma_f64 v[167:168], v[3:4], v[169:170], v[185:186]
	v_add_f64 v[5:6], v[5:6], v[173:174]
	s_clause 0x3
	buffer_load_dword v169, off, s[0:3], 0 offset:632
	buffer_load_dword v170, off, s[0:3], 0 offset:636
	;; [unrolled: 1-line block ×4, first 2 shown]
	ds_read_b128 v[1:4], v164 offset:1200
	s_waitcnt vmcnt(58) lgkmcnt(1)
	v_mul_f64 v[185:186], v[112:113], v[118:119]
	v_mul_f64 v[118:119], v[114:115], v[118:119]
	s_waitcnt vmcnt(56)
	v_fma_f64 v[124:125], v[108:109], v[165:166], -v[124:125]
	v_fma_f64 v[165:166], v[110:111], v[165:166], v[187:188]
	v_add_f64 v[116:117], v[116:117], v[171:172]
	v_add_f64 v[5:6], v[5:6], v[167:168]
	s_clause 0x3
	buffer_load_dword v168, off, s[0:3], 0 offset:652
	buffer_load_dword v167, off, s[0:3], 0 offset:648
	buffer_load_dword v171, off, s[0:3], 0 offset:624
	buffer_load_dword v172, off, s[0:3], 0 offset:628
	ds_read_b128 v[108:111], v164 offset:1216
	s_waitcnt vmcnt(58) lgkmcnt(1)
	v_mul_f64 v[187:188], v[1:2], v[126:127]
	v_mul_f64 v[126:127], v[3:4], v[126:127]
	s_waitcnt vmcnt(56)
	v_fma_f64 v[118:119], v[112:113], v[132:133], -v[118:119]
	v_add_f64 v[116:117], v[116:117], v[124:125]
	v_fma_f64 v[124:125], v[114:115], v[132:133], v[185:186]
	v_add_f64 v[5:6], v[5:6], v[165:166]
	s_clause 0x3
	buffer_load_dword v132, off, s[0:3], 0 offset:664
	buffer_load_dword v133, off, s[0:3], 0 offset:668
	buffer_load_dword v166, off, s[0:3], 0 offset:644
	buffer_load_dword v165, off, s[0:3], 0 offset:640
	ds_read_b128 v[112:115], v164 offset:1232
	s_waitcnt vmcnt(58) lgkmcnt(1)
	v_mul_f64 v[185:186], v[108:109], v[120:121]
	v_mul_f64 v[120:121], v[110:111], v[120:121]
	s_waitcnt vmcnt(56)
	v_fma_f64 v[126:127], v[1:2], v[140:141], -v[126:127]
	v_add_f64 v[116:117], v[116:117], v[118:119]
	v_fma_f64 v[118:119], v[3:4], v[140:141], v[187:188]
	;; [unrolled: 14-line block ×11, first 2 shown]
	v_add_f64 v[5:6], v[5:6], v[144:145]
	s_clause 0x1
	buffer_load_dword v145, off, s[0:3], 0 offset:804
	buffer_load_dword v144, off, s[0:3], 0 offset:800
	ds_read_b128 v[1:4], v164 offset:1392
	s_waitcnt vmcnt(56) lgkmcnt(1)
	v_mul_f64 v[183:184], v[112:113], v[160:161]
	v_mul_f64 v[160:161], v[114:115], v[160:161]
	s_waitcnt vmcnt(54)
	v_fma_f64 v[154:155], v[108:109], v[179:180], -v[154:155]
	v_add_f64 v[116:117], v[116:117], v[152:153]
	v_fma_f64 v[152:153], v[110:111], v[179:180], v[187:188]
	v_add_f64 v[5:6], v[5:6], v[146:147]
	ds_read_b128 v[108:111], v164 offset:1408
	s_waitcnt vmcnt(52) lgkmcnt(1)
	v_mul_f64 v[146:147], v[1:2], v[175:176]
	v_mul_f64 v[175:176], v[3:4], v[175:176]
	s_waitcnt vmcnt(50)
	v_fma_f64 v[160:161], v[112:113], v[181:182], -v[160:161]
	v_add_f64 v[116:117], v[116:117], v[154:155]
	v_fma_f64 v[154:155], v[114:115], v[181:182], v[183:184]
	v_add_f64 v[5:6], v[5:6], v[152:153]
	s_clause 0x3
	buffer_load_dword v152, off, s[0:3], 0 offset:64
	buffer_load_dword v153, off, s[0:3], 0 offset:68
	;; [unrolled: 1-line block ×4, first 2 shown]
	ds_read_b128 v[112:115], v164 offset:1424
	s_waitcnt vmcnt(52) lgkmcnt(1)
	v_mul_f64 v[181:182], v[108:109], v[169:170]
	v_mul_f64 v[169:170], v[110:111], v[169:170]
	s_waitcnt vmcnt(50)
	v_fma_f64 v[175:176], v[1:2], v[173:174], -v[175:176]
	v_fma_f64 v[146:147], v[3:4], v[173:174], v[146:147]
	ds_read_b128 v[1:4], v164 offset:1440
	v_add_f64 v[116:117], v[116:117], v[160:161]
	v_add_f64 v[5:6], v[5:6], v[154:155]
	s_waitcnt vmcnt(48) lgkmcnt(1)
	v_mul_f64 v[154:155], v[112:113], v[167:168]
	v_mul_f64 v[160:161], v[114:115], v[167:168]
	s_waitcnt vmcnt(46)
	v_fma_f64 v[167:168], v[108:109], v[171:172], -v[169:170]
	v_fma_f64 v[169:170], v[110:111], v[171:172], v[181:182]
	ds_read_b128 v[108:111], v164 offset:1456
	v_add_f64 v[116:117], v[116:117], v[175:176]
	v_add_f64 v[5:6], v[5:6], v[146:147]
	;; [unrolled: 9-line block ×4, first 2 shown]
	s_waitcnt vmcnt(36) lgkmcnt(1)
	v_mul_f64 v[146:147], v[112:113], v[118:119]
	v_mul_f64 v[118:119], v[114:115], v[118:119]
	s_waitcnt vmcnt(34)
	v_fma_f64 v[124:125], v[108:109], v[134:135], -v[124:125]
	v_add_f64 v[116:117], v[116:117], v[132:133]
	v_fma_f64 v[132:133], v[110:111], v[134:135], v[165:166]
	v_add_f64 v[5:6], v[5:6], v[140:141]
	ds_read_b128 v[108:111], v164 offset:1504
	s_waitcnt vmcnt(32) lgkmcnt(1)
	v_mul_f64 v[134:135], v[1:2], v[126:127]
	v_mul_f64 v[126:127], v[3:4], v[126:127]
	s_waitcnt vmcnt(30)
	v_fma_f64 v[118:119], v[112:113], v[148:149], -v[118:119]
	v_add_f64 v[116:117], v[116:117], v[124:125]
	v_fma_f64 v[124:125], v[114:115], v[148:149], v[146:147]
	v_add_f64 v[5:6], v[5:6], v[132:133]
	ds_read_b128 v[112:115], v164 offset:1520
	;; [unrolled: 9-line block ×5, first 2 shown]
	s_waitcnt vmcnt(16) lgkmcnt(1)
	v_mul_f64 v[126:127], v[110:111], v[130:131]
	v_mul_f64 v[124:125], v[108:109], v[130:131]
	s_waitcnt vmcnt(14)
	v_fma_f64 v[128:129], v[1:2], v[162:163], -v[128:129]
	v_fma_f64 v[118:119], v[3:4], v[162:163], v[118:119]
	ds_read_b128 v[1:4], v164 offset:1584
	v_add_f64 v[116:117], v[116:117], v[122:123]
	v_add_f64 v[5:6], v[5:6], v[120:121]
	s_waitcnt vmcnt(12) lgkmcnt(1)
	v_mul_f64 v[122:123], v[114:115], v[136:137]
	v_mul_f64 v[120:121], v[112:113], v[136:137]
	s_waitcnt vmcnt(10)
	v_fma_f64 v[108:109], v[108:109], v[158:159], -v[126:127]
	v_fma_f64 v[110:111], v[110:111], v[158:159], v[124:125]
	v_add_f64 v[116:117], v[116:117], v[128:129]
	v_add_f64 v[5:6], v[5:6], v[118:119]
	s_waitcnt vmcnt(8) lgkmcnt(0)
	v_mul_f64 v[124:125], v[3:4], v[138:139]
	v_mul_f64 v[118:119], v[1:2], v[138:139]
	s_waitcnt vmcnt(6)
	v_fma_f64 v[112:113], v[112:113], v[177:178], -v[122:123]
	v_fma_f64 v[114:115], v[114:115], v[177:178], v[120:121]
	v_add_f64 v[108:109], v[116:117], v[108:109]
	v_add_f64 v[5:6], v[5:6], v[110:111]
	s_waitcnt vmcnt(4)
	v_fma_f64 v[1:2], v[1:2], v[144:145], -v[124:125]
	v_fma_f64 v[3:4], v[3:4], v[144:145], v[118:119]
	v_add_f64 v[108:109], v[108:109], v[112:113]
	v_add_f64 v[5:6], v[5:6], v[114:115]
	;; [unrolled: 1-line block ×4, first 2 shown]
	s_waitcnt vmcnt(2)
	v_add_f64 v[1:2], v[152:153], -v[1:2]
	s_waitcnt vmcnt(0)
	v_add_f64 v[3:4], v[179:180], -v[3:4]
	buffer_store_dword v2, off, s[0:3], 0 offset:68
	buffer_store_dword v1, off, s[0:3], 0 offset:64
	;; [unrolled: 1-line block ×4, first 2 shown]
	v_cmpx_lt_u32_e32 2, v0
	s_cbranch_execz .LBB113_309
; %bb.308:
	v_mov_b32_e32 v4, s60
	v_mov_b32_e32 v5, 0
	s_clause 0x3
	buffer_load_dword v1, v4, s[0:3], 0 offen
	buffer_load_dword v2, v4, s[0:3], 0 offen offset:4
	buffer_load_dword v3, v4, s[0:3], 0 offen offset:8
	;; [unrolled: 1-line block ×3, first 2 shown]
	buffer_store_dword v5, off, s[0:3], 0 offset:48
	buffer_store_dword v5, off, s[0:3], 0 offset:52
	;; [unrolled: 1-line block ×4, first 2 shown]
	s_waitcnt vmcnt(0)
	ds_write_b128 v7, v[1:4]
.LBB113_309:
	s_or_b32 exec_lo, exec_lo, s4
	s_waitcnt lgkmcnt(0)
	s_waitcnt_vscnt null, 0x0
	s_barrier
	buffer_gl0_inv
	s_clause 0x35
	buffer_load_dword v114, off, s[0:3], 0 offset:72
	buffer_load_dword v115, off, s[0:3], 0 offset:76
	buffer_load_dword v110, off, s[0:3], 0 offset:88
	buffer_load_dword v111, off, s[0:3], 0 offset:92
	buffer_load_dword v112, off, s[0:3], 0 offset:64
	buffer_load_dword v113, off, s[0:3], 0 offset:68
	buffer_load_dword v108, off, s[0:3], 0 offset:104
	buffer_load_dword v109, off, s[0:3], 0 offset:108
	buffer_load_dword v5, off, s[0:3], 0 offset:80
	buffer_load_dword v6, off, s[0:3], 0 offset:84
	buffer_load_dword v117, off, s[0:3], 0 offset:124
	buffer_load_dword v116, off, s[0:3], 0 offset:120
	buffer_load_dword v124, off, s[0:3], 0 offset:96
	buffer_load_dword v125, off, s[0:3], 0 offset:100
	buffer_load_dword v120, off, s[0:3], 0 offset:136
	buffer_load_dword v121, off, s[0:3], 0 offset:140
	buffer_load_dword v119, off, s[0:3], 0 offset:116
	buffer_load_dword v118, off, s[0:3], 0 offset:112
	buffer_load_dword v123, off, s[0:3], 0 offset:156
	buffer_load_dword v122, off, s[0:3], 0 offset:152
	buffer_load_dword v132, off, s[0:3], 0 offset:128
	buffer_load_dword v133, off, s[0:3], 0 offset:132
	buffer_load_dword v128, off, s[0:3], 0 offset:168
	buffer_load_dword v129, off, s[0:3], 0 offset:172
	buffer_load_dword v127, off, s[0:3], 0 offset:148
	buffer_load_dword v126, off, s[0:3], 0 offset:144
	buffer_load_dword v131, off, s[0:3], 0 offset:188
	buffer_load_dword v130, off, s[0:3], 0 offset:184
	buffer_load_dword v140, off, s[0:3], 0 offset:160
	buffer_load_dword v141, off, s[0:3], 0 offset:164
	buffer_load_dword v136, off, s[0:3], 0 offset:200
	buffer_load_dword v137, off, s[0:3], 0 offset:204
	buffer_load_dword v135, off, s[0:3], 0 offset:180
	buffer_load_dword v134, off, s[0:3], 0 offset:176
	buffer_load_dword v139, off, s[0:3], 0 offset:220
	buffer_load_dword v138, off, s[0:3], 0 offset:216
	buffer_load_dword v148, off, s[0:3], 0 offset:192
	buffer_load_dword v149, off, s[0:3], 0 offset:196
	buffer_load_dword v144, off, s[0:3], 0 offset:232
	buffer_load_dword v145, off, s[0:3], 0 offset:236
	buffer_load_dword v143, off, s[0:3], 0 offset:212
	buffer_load_dword v142, off, s[0:3], 0 offset:208
	buffer_load_dword v147, off, s[0:3], 0 offset:252
	buffer_load_dword v146, off, s[0:3], 0 offset:248
	buffer_load_dword v156, off, s[0:3], 0 offset:224
	buffer_load_dword v157, off, s[0:3], 0 offset:228
	buffer_load_dword v152, off, s[0:3], 0 offset:264
	buffer_load_dword v153, off, s[0:3], 0 offset:268
	buffer_load_dword v151, off, s[0:3], 0 offset:244
	buffer_load_dword v150, off, s[0:3], 0 offset:240
	buffer_load_dword v155, off, s[0:3], 0 offset:284
	buffer_load_dword v154, off, s[0:3], 0 offset:280
	buffer_load_dword v162, off, s[0:3], 0 offset:256
	buffer_load_dword v163, off, s[0:3], 0 offset:260
	v_mov_b32_e32 v164, 0
	s_mov_b32 s4, exec_lo
	ds_read_b128 v[1:4], v164 offset:848
	s_clause 0x3
	buffer_load_dword v160, off, s[0:3], 0 offset:296
	buffer_load_dword v161, off, s[0:3], 0 offset:300
	buffer_load_dword v159, off, s[0:3], 0 offset:276
	buffer_load_dword v158, off, s[0:3], 0 offset:272
	ds_read_b128 v[165:168], v164 offset:864
	s_clause 0x3
	buffer_load_dword v176, off, s[0:3], 0 offset:316
	buffer_load_dword v175, off, s[0:3], 0 offset:312
	buffer_load_dword v177, off, s[0:3], 0 offset:288
	buffer_load_dword v178, off, s[0:3], 0 offset:292
	;; [unrolled: 6-line block ×3, first 2 shown]
	s_waitcnt vmcnt(62) lgkmcnt(2)
	v_mul_f64 v[173:174], v[3:4], v[114:115]
	v_mul_f64 v[114:115], v[1:2], v[114:115]
	s_waitcnt lgkmcnt(1)
	v_mul_f64 v[179:180], v[167:168], v[110:111]
	v_mul_f64 v[110:111], v[165:166], v[110:111]
	s_waitcnt vmcnt(58) lgkmcnt(0)
	v_mul_f64 v[185:186], v[171:172], v[108:109]
	v_fma_f64 v[173:174], v[1:2], v[112:113], -v[173:174]
	v_fma_f64 v[112:113], v[3:4], v[112:113], v[114:115]
	s_waitcnt vmcnt(56)
	v_fma_f64 v[165:166], v[165:166], v[5:6], -v[179:180]
	ds_read_b128 v[1:4], v164 offset:896
	v_mul_f64 v[114:115], v[169:170], v[108:109]
	v_fma_f64 v[5:6], v[167:168], v[5:6], v[110:111]
	s_clause 0x3
	buffer_load_dword v168, off, s[0:3], 0 offset:348
	buffer_load_dword v167, off, s[0:3], 0 offset:344
	buffer_load_dword v179, off, s[0:3], 0 offset:320
	buffer_load_dword v180, off, s[0:3], 0 offset:324
	s_waitcnt vmcnt(56)
	v_fma_f64 v[169:170], v[169:170], v[124:125], -v[185:186]
	ds_read_b128 v[108:111], v164 offset:912
	v_add_f64 v[173:174], v[173:174], 0
	v_add_f64 v[112:113], v[112:113], 0
	s_waitcnt lgkmcnt(1)
	v_mul_f64 v[187:188], v[1:2], v[116:117]
	v_mul_f64 v[116:117], v[3:4], v[116:117]
	v_fma_f64 v[124:125], v[171:172], v[124:125], v[114:115]
	s_waitcnt vmcnt(54) lgkmcnt(0)
	v_mul_f64 v[185:186], v[108:109], v[120:121]
	v_mul_f64 v[120:121], v[110:111], v[120:121]
	v_add_f64 v[165:166], v[173:174], v[165:166]
	v_add_f64 v[5:6], v[112:113], v[5:6]
	s_clause 0x3
	buffer_load_dword v171, off, s[0:3], 0 offset:360
	buffer_load_dword v172, off, s[0:3], 0 offset:364
	;; [unrolled: 1-line block ×4, first 2 shown]
	s_waitcnt vmcnt(56)
	v_fma_f64 v[116:117], v[1:2], v[118:119], -v[116:117]
	ds_read_b128 v[112:115], v164 offset:928
	v_fma_f64 v[118:119], v[3:4], v[118:119], v[187:188]
	s_waitcnt vmcnt(52)
	v_fma_f64 v[120:121], v[108:109], v[132:133], -v[120:121]
	v_fma_f64 v[132:133], v[110:111], v[132:133], v[185:186]
	v_add_f64 v[165:166], v[165:166], v[169:170]
	v_add_f64 v[5:6], v[5:6], v[124:125]
	s_clause 0x3
	buffer_load_dword v125, off, s[0:3], 0 offset:380
	buffer_load_dword v124, off, s[0:3], 0 offset:376
	;; [unrolled: 1-line block ×4, first 2 shown]
	s_waitcnt lgkmcnt(0)
	v_mul_f64 v[187:188], v[112:113], v[122:123]
	v_mul_f64 v[122:123], v[114:115], v[122:123]
	ds_read_b128 v[1:4], v164 offset:944
	v_add_f64 v[116:117], v[165:166], v[116:117]
	v_add_f64 v[5:6], v[5:6], v[118:119]
	s_clause 0x3
	buffer_load_dword v118, off, s[0:3], 0 offset:392
	buffer_load_dword v119, off, s[0:3], 0 offset:396
	;; [unrolled: 1-line block ×4, first 2 shown]
	s_waitcnt vmcnt(58) lgkmcnt(0)
	v_mul_f64 v[185:186], v[1:2], v[128:129]
	v_mul_f64 v[128:129], v[3:4], v[128:129]
	s_waitcnt vmcnt(56)
	v_fma_f64 v[122:123], v[112:113], v[126:127], -v[122:123]
	ds_read_b128 v[108:111], v164 offset:960
	v_add_f64 v[116:117], v[116:117], v[120:121]
	v_fma_f64 v[120:121], v[114:115], v[126:127], v[187:188]
	v_add_f64 v[5:6], v[5:6], v[132:133]
	s_clause 0x3
	buffer_load_dword v127, off, s[0:3], 0 offset:412
	buffer_load_dword v126, off, s[0:3], 0 offset:408
	buffer_load_dword v132, off, s[0:3], 0 offset:384
	buffer_load_dword v133, off, s[0:3], 0 offset:388
	s_waitcnt vmcnt(58) lgkmcnt(0)
	v_mul_f64 v[187:188], v[108:109], v[130:131]
	v_mul_f64 v[130:131], v[110:111], v[130:131]
	s_waitcnt vmcnt(56)
	v_fma_f64 v[128:129], v[1:2], v[140:141], -v[128:129]
	ds_read_b128 v[112:115], v164 offset:976
	v_add_f64 v[116:117], v[116:117], v[122:123]
	v_fma_f64 v[122:123], v[3:4], v[140:141], v[185:186]
	v_add_f64 v[5:6], v[5:6], v[120:121]
	s_clause 0x3
	buffer_load_dword v120, off, s[0:3], 0 offset:424
	buffer_load_dword v121, off, s[0:3], 0 offset:428
	buffer_load_dword v141, off, s[0:3], 0 offset:404
	buffer_load_dword v140, off, s[0:3], 0 offset:400
	ds_read_b128 v[1:4], v164 offset:992
	s_waitcnt vmcnt(58) lgkmcnt(1)
	v_mul_f64 v[185:186], v[112:113], v[136:137]
	v_mul_f64 v[136:137], v[114:115], v[136:137]
	s_waitcnt vmcnt(56)
	v_fma_f64 v[130:131], v[108:109], v[134:135], -v[130:131]
	v_add_f64 v[116:117], v[116:117], v[128:129]
	v_fma_f64 v[128:129], v[110:111], v[134:135], v[187:188]
	v_add_f64 v[5:6], v[5:6], v[122:123]
	s_clause 0x3
	buffer_load_dword v123, off, s[0:3], 0 offset:444
	buffer_load_dword v122, off, s[0:3], 0 offset:440
	buffer_load_dword v134, off, s[0:3], 0 offset:416
	buffer_load_dword v135, off, s[0:3], 0 offset:420
	s_waitcnt vmcnt(58) lgkmcnt(0)
	v_mul_f64 v[187:188], v[1:2], v[138:139]
	v_mul_f64 v[138:139], v[3:4], v[138:139]
	s_waitcnt vmcnt(56)
	v_fma_f64 v[136:137], v[112:113], v[148:149], -v[136:137]
	ds_read_b128 v[108:111], v164 offset:1008
	v_add_f64 v[116:117], v[116:117], v[130:131]
	v_fma_f64 v[130:131], v[114:115], v[148:149], v[185:186]
	v_add_f64 v[5:6], v[5:6], v[128:129]
	s_clause 0x3
	buffer_load_dword v128, off, s[0:3], 0 offset:456
	buffer_load_dword v129, off, s[0:3], 0 offset:460
	buffer_load_dword v149, off, s[0:3], 0 offset:436
	buffer_load_dword v148, off, s[0:3], 0 offset:432
	ds_read_b128 v[112:115], v164 offset:1024
	s_waitcnt vmcnt(58) lgkmcnt(1)
	v_mul_f64 v[185:186], v[108:109], v[144:145]
	v_mul_f64 v[144:145], v[110:111], v[144:145]
	s_waitcnt vmcnt(56)
	v_fma_f64 v[138:139], v[1:2], v[142:143], -v[138:139]
	;; [unrolled: 28-line block ×6, first 2 shown]
	v_fma_f64 v[173:174], v[114:115], v[173:174], v[187:188]
	v_add_f64 v[116:117], v[116:117], v[181:182]
	v_add_f64 v[5:6], v[5:6], v[175:176]
	s_clause 0x3
	buffer_load_dword v176, off, s[0:3], 0 offset:604
	buffer_load_dword v175, off, s[0:3], 0 offset:600
	;; [unrolled: 1-line block ×4, first 2 shown]
	ds_read_b128 v[112:115], v164 offset:1168
	s_waitcnt vmcnt(58) lgkmcnt(1)
	v_mul_f64 v[187:188], v[108:109], v[124:125]
	v_mul_f64 v[124:125], v[110:111], v[124:125]
	s_waitcnt vmcnt(56)
	v_fma_f64 v[171:172], v[1:2], v[169:170], -v[171:172]
	v_add_f64 v[116:117], v[116:117], v[167:168]
	v_fma_f64 v[167:168], v[3:4], v[169:170], v[185:186]
	v_add_f64 v[5:6], v[5:6], v[173:174]
	s_clause 0x3
	buffer_load_dword v169, off, s[0:3], 0 offset:616
	buffer_load_dword v170, off, s[0:3], 0 offset:620
	;; [unrolled: 1-line block ×4, first 2 shown]
	ds_read_b128 v[1:4], v164 offset:1184
	s_waitcnt vmcnt(58) lgkmcnt(1)
	v_mul_f64 v[185:186], v[112:113], v[118:119]
	v_mul_f64 v[118:119], v[114:115], v[118:119]
	s_waitcnt vmcnt(56)
	v_fma_f64 v[124:125], v[108:109], v[165:166], -v[124:125]
	v_fma_f64 v[165:166], v[110:111], v[165:166], v[187:188]
	v_add_f64 v[116:117], v[116:117], v[171:172]
	v_add_f64 v[5:6], v[5:6], v[167:168]
	s_clause 0x3
	buffer_load_dword v168, off, s[0:3], 0 offset:636
	buffer_load_dword v167, off, s[0:3], 0 offset:632
	buffer_load_dword v171, off, s[0:3], 0 offset:608
	buffer_load_dword v172, off, s[0:3], 0 offset:612
	ds_read_b128 v[108:111], v164 offset:1200
	s_waitcnt vmcnt(58) lgkmcnt(1)
	v_mul_f64 v[187:188], v[1:2], v[126:127]
	v_mul_f64 v[126:127], v[3:4], v[126:127]
	s_waitcnt vmcnt(56)
	v_fma_f64 v[118:119], v[112:113], v[132:133], -v[118:119]
	v_add_f64 v[116:117], v[116:117], v[124:125]
	v_fma_f64 v[124:125], v[114:115], v[132:133], v[185:186]
	v_add_f64 v[5:6], v[5:6], v[165:166]
	s_clause 0x3
	buffer_load_dword v132, off, s[0:3], 0 offset:648
	buffer_load_dword v133, off, s[0:3], 0 offset:652
	buffer_load_dword v166, off, s[0:3], 0 offset:628
	buffer_load_dword v165, off, s[0:3], 0 offset:624
	ds_read_b128 v[112:115], v164 offset:1216
	s_waitcnt vmcnt(58) lgkmcnt(1)
	v_mul_f64 v[185:186], v[108:109], v[120:121]
	v_mul_f64 v[120:121], v[110:111], v[120:121]
	s_waitcnt vmcnt(56)
	v_fma_f64 v[126:127], v[1:2], v[140:141], -v[126:127]
	v_add_f64 v[116:117], v[116:117], v[118:119]
	v_fma_f64 v[118:119], v[3:4], v[140:141], v[187:188]
	;; [unrolled: 14-line block ×12, first 2 shown]
	v_add_f64 v[5:6], v[5:6], v[146:147]
	s_clause 0x1
	buffer_load_dword v146, off, s[0:3], 0 offset:800
	buffer_load_dword v147, off, s[0:3], 0 offset:804
	ds_read_b128 v[108:111], v164 offset:1392
	s_waitcnt vmcnt(56) lgkmcnt(1)
	v_mul_f64 v[179:180], v[1:2], v[175:176]
	v_mul_f64 v[175:176], v[3:4], v[175:176]
	s_waitcnt vmcnt(54)
	v_fma_f64 v[160:161], v[112:113], v[181:182], -v[160:161]
	v_add_f64 v[116:117], v[116:117], v[154:155]
	v_fma_f64 v[154:155], v[114:115], v[181:182], v[185:186]
	v_add_f64 v[5:6], v[5:6], v[152:153]
	ds_read_b128 v[112:115], v164 offset:1408
	s_waitcnt vmcnt(52) lgkmcnt(1)
	v_mul_f64 v[152:153], v[108:109], v[169:170]
	v_mul_f64 v[169:170], v[110:111], v[169:170]
	s_waitcnt vmcnt(50)
	v_fma_f64 v[175:176], v[1:2], v[173:174], -v[175:176]
	v_add_f64 v[116:117], v[116:117], v[160:161]
	v_fma_f64 v[160:161], v[3:4], v[173:174], v[179:180]
	v_add_f64 v[5:6], v[5:6], v[154:155]
	s_clause 0x3
	buffer_load_dword v154, off, s[0:3], 0 offset:48
	buffer_load_dword v155, off, s[0:3], 0 offset:52
	;; [unrolled: 1-line block ×4, first 2 shown]
	ds_read_b128 v[1:4], v164 offset:1424
	s_waitcnt vmcnt(52) lgkmcnt(1)
	v_mul_f64 v[179:180], v[112:113], v[167:168]
	v_mul_f64 v[167:168], v[114:115], v[167:168]
	s_waitcnt vmcnt(50)
	v_fma_f64 v[169:170], v[108:109], v[171:172], -v[169:170]
	v_fma_f64 v[152:153], v[110:111], v[171:172], v[152:153]
	ds_read_b128 v[108:111], v164 offset:1440
	v_add_f64 v[116:117], v[116:117], v[175:176]
	v_add_f64 v[5:6], v[5:6], v[160:161]
	s_waitcnt vmcnt(48) lgkmcnt(1)
	v_mul_f64 v[160:161], v[1:2], v[132:133]
	v_mul_f64 v[132:133], v[3:4], v[132:133]
	s_waitcnt vmcnt(46)
	v_fma_f64 v[167:168], v[112:113], v[165:166], -v[167:168]
	v_fma_f64 v[165:166], v[114:115], v[165:166], v[179:180]
	ds_read_b128 v[112:115], v164 offset:1456
	v_add_f64 v[116:117], v[116:117], v[169:170]
	v_add_f64 v[5:6], v[5:6], v[152:153]
	;; [unrolled: 9-line block ×3, first 2 shown]
	s_waitcnt vmcnt(40) lgkmcnt(1)
	v_mul_f64 v[160:161], v[112:113], v[118:119]
	v_mul_f64 v[118:119], v[114:115], v[118:119]
	s_waitcnt vmcnt(38)
	v_fma_f64 v[124:125], v[108:109], v[134:135], -v[124:125]
	v_add_f64 v[116:117], v[116:117], v[132:133]
	v_fma_f64 v[132:133], v[110:111], v[134:135], v[152:153]
	v_add_f64 v[5:6], v[5:6], v[140:141]
	ds_read_b128 v[108:111], v164 offset:1488
	s_waitcnt vmcnt(36) lgkmcnt(1)
	v_mul_f64 v[134:135], v[1:2], v[126:127]
	v_mul_f64 v[126:127], v[3:4], v[126:127]
	s_waitcnt vmcnt(34)
	v_fma_f64 v[118:119], v[112:113], v[148:149], -v[118:119]
	v_add_f64 v[116:117], v[116:117], v[124:125]
	v_fma_f64 v[124:125], v[114:115], v[148:149], v[160:161]
	v_add_f64 v[5:6], v[5:6], v[132:133]
	ds_read_b128 v[112:115], v164 offset:1504
	;; [unrolled: 9-line block ×5, first 2 shown]
	s_waitcnt vmcnt(20) lgkmcnt(1)
	v_mul_f64 v[126:127], v[110:111], v[130:131]
	v_mul_f64 v[124:125], v[108:109], v[130:131]
	s_waitcnt vmcnt(18)
	v_fma_f64 v[128:129], v[1:2], v[162:163], -v[128:129]
	v_fma_f64 v[118:119], v[3:4], v[162:163], v[118:119]
	ds_read_b128 v[1:4], v164 offset:1568
	v_add_f64 v[116:117], v[116:117], v[122:123]
	v_add_f64 v[5:6], v[5:6], v[120:121]
	s_waitcnt vmcnt(16) lgkmcnt(1)
	v_mul_f64 v[122:123], v[114:115], v[136:137]
	v_mul_f64 v[120:121], v[112:113], v[136:137]
	s_waitcnt vmcnt(14)
	v_fma_f64 v[126:127], v[108:109], v[158:159], -v[126:127]
	v_fma_f64 v[124:125], v[110:111], v[158:159], v[124:125]
	ds_read_b128 v[108:111], v164 offset:1584
	v_add_f64 v[116:117], v[116:117], v[128:129]
	v_add_f64 v[5:6], v[5:6], v[118:119]
	s_waitcnt vmcnt(12) lgkmcnt(1)
	v_mul_f64 v[128:129], v[3:4], v[138:139]
	v_mul_f64 v[118:119], v[1:2], v[138:139]
	s_waitcnt vmcnt(10)
	v_fma_f64 v[112:113], v[112:113], v[177:178], -v[122:123]
	v_fma_f64 v[114:115], v[114:115], v[177:178], v[120:121]
	v_add_f64 v[116:117], v[116:117], v[126:127]
	v_add_f64 v[5:6], v[5:6], v[124:125]
	s_waitcnt vmcnt(8) lgkmcnt(0)
	v_mul_f64 v[122:123], v[110:111], v[144:145]
	v_mul_f64 v[120:121], v[108:109], v[144:145]
	s_waitcnt vmcnt(6)
	v_fma_f64 v[1:2], v[1:2], v[183:184], -v[128:129]
	v_fma_f64 v[3:4], v[3:4], v[183:184], v[118:119]
	v_add_f64 v[112:113], v[116:117], v[112:113]
	v_add_f64 v[5:6], v[5:6], v[114:115]
	s_waitcnt vmcnt(4)
	v_fma_f64 v[108:109], v[108:109], v[146:147], -v[122:123]
	v_fma_f64 v[110:111], v[110:111], v[146:147], v[120:121]
	v_add_f64 v[1:2], v[112:113], v[1:2]
	v_add_f64 v[3:4], v[5:6], v[3:4]
	;; [unrolled: 1-line block ×4, first 2 shown]
	s_waitcnt vmcnt(2)
	v_add_f64 v[1:2], v[154:155], -v[1:2]
	s_waitcnt vmcnt(0)
	v_add_f64 v[3:4], v[173:174], -v[3:4]
	buffer_store_dword v2, off, s[0:3], 0 offset:52
	buffer_store_dword v1, off, s[0:3], 0 offset:48
	;; [unrolled: 1-line block ×4, first 2 shown]
	v_cmpx_lt_u32_e32 1, v0
	s_cbranch_execz .LBB113_311
; %bb.310:
	v_mov_b32_e32 v4, s61
	s_clause 0x3
	buffer_load_dword v1, v4, s[0:3], 0 offen
	buffer_load_dword v2, v4, s[0:3], 0 offen offset:4
	buffer_load_dword v3, v4, s[0:3], 0 offen offset:8
	;; [unrolled: 1-line block ×3, first 2 shown]
	buffer_store_dword v164, off, s[0:3], 0 offset:32
	buffer_store_dword v164, off, s[0:3], 0 offset:36
	;; [unrolled: 1-line block ×4, first 2 shown]
	s_waitcnt vmcnt(0)
	ds_write_b128 v7, v[1:4]
.LBB113_311:
	s_or_b32 exec_lo, exec_lo, s4
	s_waitcnt lgkmcnt(0)
	s_waitcnt_vscnt null, 0x0
	s_barrier
	buffer_gl0_inv
	s_clause 0x35
	buffer_load_dword v114, off, s[0:3], 0 offset:56
	buffer_load_dword v115, off, s[0:3], 0 offset:60
	;; [unrolled: 1-line block ×54, first 2 shown]
	ds_read_b128 v[1:4], v164 offset:832
	s_clause 0x3
	buffer_load_dword v160, off, s[0:3], 0 offset:280
	buffer_load_dword v161, off, s[0:3], 0 offset:284
	buffer_load_dword v159, off, s[0:3], 0 offset:260
	buffer_load_dword v158, off, s[0:3], 0 offset:256
	ds_read_b128 v[165:168], v164 offset:848
	s_clause 0x3
	buffer_load_dword v176, off, s[0:3], 0 offset:300
	buffer_load_dword v175, off, s[0:3], 0 offset:296
	buffer_load_dword v177, off, s[0:3], 0 offset:272
	buffer_load_dword v178, off, s[0:3], 0 offset:276
	;; [unrolled: 6-line block ×3, first 2 shown]
	s_mov_b32 s4, exec_lo
	s_waitcnt vmcnt(62) lgkmcnt(2)
	v_mul_f64 v[173:174], v[3:4], v[114:115]
	v_mul_f64 v[114:115], v[1:2], v[114:115]
	s_waitcnt lgkmcnt(1)
	v_mul_f64 v[179:180], v[167:168], v[110:111]
	v_mul_f64 v[110:111], v[165:166], v[110:111]
	s_waitcnt vmcnt(58) lgkmcnt(0)
	v_mul_f64 v[185:186], v[171:172], v[108:109]
	v_fma_f64 v[173:174], v[1:2], v[112:113], -v[173:174]
	v_fma_f64 v[112:113], v[3:4], v[112:113], v[114:115]
	s_waitcnt vmcnt(56)
	v_fma_f64 v[165:166], v[165:166], v[5:6], -v[179:180]
	ds_read_b128 v[1:4], v164 offset:880
	v_mul_f64 v[114:115], v[169:170], v[108:109]
	v_fma_f64 v[5:6], v[167:168], v[5:6], v[110:111]
	s_clause 0x3
	buffer_load_dword v168, off, s[0:3], 0 offset:332
	buffer_load_dword v167, off, s[0:3], 0 offset:328
	;; [unrolled: 1-line block ×4, first 2 shown]
	s_waitcnt vmcnt(56)
	v_fma_f64 v[169:170], v[169:170], v[124:125], -v[185:186]
	ds_read_b128 v[108:111], v164 offset:896
	v_add_f64 v[173:174], v[173:174], 0
	v_add_f64 v[112:113], v[112:113], 0
	s_waitcnt lgkmcnt(1)
	v_mul_f64 v[187:188], v[1:2], v[116:117]
	v_mul_f64 v[116:117], v[3:4], v[116:117]
	v_fma_f64 v[124:125], v[171:172], v[124:125], v[114:115]
	s_waitcnt vmcnt(54) lgkmcnt(0)
	v_mul_f64 v[185:186], v[108:109], v[120:121]
	v_mul_f64 v[120:121], v[110:111], v[120:121]
	v_add_f64 v[165:166], v[173:174], v[165:166]
	v_add_f64 v[5:6], v[112:113], v[5:6]
	s_clause 0x3
	buffer_load_dword v171, off, s[0:3], 0 offset:344
	buffer_load_dword v172, off, s[0:3], 0 offset:348
	buffer_load_dword v174, off, s[0:3], 0 offset:324
	buffer_load_dword v173, off, s[0:3], 0 offset:320
	s_waitcnt vmcnt(56)
	v_fma_f64 v[116:117], v[1:2], v[118:119], -v[116:117]
	ds_read_b128 v[112:115], v164 offset:912
	v_fma_f64 v[118:119], v[3:4], v[118:119], v[187:188]
	s_waitcnt vmcnt(52)
	v_fma_f64 v[120:121], v[108:109], v[132:133], -v[120:121]
	v_fma_f64 v[132:133], v[110:111], v[132:133], v[185:186]
	v_add_f64 v[165:166], v[165:166], v[169:170]
	v_add_f64 v[5:6], v[5:6], v[124:125]
	s_clause 0x3
	buffer_load_dword v125, off, s[0:3], 0 offset:364
	buffer_load_dword v124, off, s[0:3], 0 offset:360
	;; [unrolled: 1-line block ×4, first 2 shown]
	s_waitcnt lgkmcnt(0)
	v_mul_f64 v[187:188], v[112:113], v[122:123]
	v_mul_f64 v[122:123], v[114:115], v[122:123]
	ds_read_b128 v[1:4], v164 offset:928
	v_add_f64 v[116:117], v[165:166], v[116:117]
	v_add_f64 v[5:6], v[5:6], v[118:119]
	s_clause 0x3
	buffer_load_dword v118, off, s[0:3], 0 offset:376
	buffer_load_dword v119, off, s[0:3], 0 offset:380
	;; [unrolled: 1-line block ×4, first 2 shown]
	s_waitcnt vmcnt(58) lgkmcnt(0)
	v_mul_f64 v[185:186], v[1:2], v[128:129]
	v_mul_f64 v[128:129], v[3:4], v[128:129]
	s_waitcnt vmcnt(56)
	v_fma_f64 v[122:123], v[112:113], v[126:127], -v[122:123]
	ds_read_b128 v[108:111], v164 offset:944
	v_add_f64 v[116:117], v[116:117], v[120:121]
	v_fma_f64 v[120:121], v[114:115], v[126:127], v[187:188]
	v_add_f64 v[5:6], v[5:6], v[132:133]
	s_clause 0x3
	buffer_load_dword v127, off, s[0:3], 0 offset:396
	buffer_load_dword v126, off, s[0:3], 0 offset:392
	buffer_load_dword v132, off, s[0:3], 0 offset:368
	buffer_load_dword v133, off, s[0:3], 0 offset:372
	s_waitcnt vmcnt(58) lgkmcnt(0)
	v_mul_f64 v[187:188], v[108:109], v[130:131]
	v_mul_f64 v[130:131], v[110:111], v[130:131]
	s_waitcnt vmcnt(56)
	v_fma_f64 v[128:129], v[1:2], v[140:141], -v[128:129]
	ds_read_b128 v[112:115], v164 offset:960
	v_add_f64 v[116:117], v[116:117], v[122:123]
	v_fma_f64 v[122:123], v[3:4], v[140:141], v[185:186]
	v_add_f64 v[5:6], v[5:6], v[120:121]
	s_clause 0x3
	buffer_load_dword v120, off, s[0:3], 0 offset:408
	buffer_load_dword v121, off, s[0:3], 0 offset:412
	buffer_load_dword v141, off, s[0:3], 0 offset:388
	buffer_load_dword v140, off, s[0:3], 0 offset:384
	ds_read_b128 v[1:4], v164 offset:976
	s_waitcnt vmcnt(58) lgkmcnt(1)
	v_mul_f64 v[185:186], v[112:113], v[136:137]
	v_mul_f64 v[136:137], v[114:115], v[136:137]
	s_waitcnt vmcnt(56)
	v_fma_f64 v[130:131], v[108:109], v[134:135], -v[130:131]
	v_add_f64 v[116:117], v[116:117], v[128:129]
	v_fma_f64 v[128:129], v[110:111], v[134:135], v[187:188]
	v_add_f64 v[5:6], v[5:6], v[122:123]
	s_clause 0x3
	buffer_load_dword v123, off, s[0:3], 0 offset:428
	buffer_load_dword v122, off, s[0:3], 0 offset:424
	buffer_load_dword v134, off, s[0:3], 0 offset:400
	buffer_load_dword v135, off, s[0:3], 0 offset:404
	s_waitcnt vmcnt(58) lgkmcnt(0)
	v_mul_f64 v[187:188], v[1:2], v[138:139]
	v_mul_f64 v[138:139], v[3:4], v[138:139]
	s_waitcnt vmcnt(56)
	v_fma_f64 v[136:137], v[112:113], v[148:149], -v[136:137]
	ds_read_b128 v[108:111], v164 offset:992
	v_add_f64 v[116:117], v[116:117], v[130:131]
	v_fma_f64 v[130:131], v[114:115], v[148:149], v[185:186]
	v_add_f64 v[5:6], v[5:6], v[128:129]
	s_clause 0x3
	buffer_load_dword v128, off, s[0:3], 0 offset:440
	buffer_load_dword v129, off, s[0:3], 0 offset:444
	buffer_load_dword v149, off, s[0:3], 0 offset:420
	buffer_load_dword v148, off, s[0:3], 0 offset:416
	ds_read_b128 v[112:115], v164 offset:1008
	s_waitcnt vmcnt(58) lgkmcnt(1)
	v_mul_f64 v[185:186], v[108:109], v[144:145]
	v_mul_f64 v[144:145], v[110:111], v[144:145]
	s_waitcnt vmcnt(56)
	v_fma_f64 v[138:139], v[1:2], v[142:143], -v[138:139]
	;; [unrolled: 28-line block ×6, first 2 shown]
	v_fma_f64 v[173:174], v[114:115], v[173:174], v[187:188]
	v_add_f64 v[116:117], v[116:117], v[181:182]
	v_add_f64 v[5:6], v[5:6], v[175:176]
	s_clause 0x3
	buffer_load_dword v176, off, s[0:3], 0 offset:588
	buffer_load_dword v175, off, s[0:3], 0 offset:584
	;; [unrolled: 1-line block ×4, first 2 shown]
	ds_read_b128 v[112:115], v164 offset:1152
	s_waitcnt vmcnt(58) lgkmcnt(1)
	v_mul_f64 v[187:188], v[108:109], v[124:125]
	v_mul_f64 v[124:125], v[110:111], v[124:125]
	s_waitcnt vmcnt(56)
	v_fma_f64 v[171:172], v[1:2], v[169:170], -v[171:172]
	v_add_f64 v[116:117], v[116:117], v[167:168]
	v_fma_f64 v[167:168], v[3:4], v[169:170], v[185:186]
	v_add_f64 v[5:6], v[5:6], v[173:174]
	s_clause 0x3
	buffer_load_dword v169, off, s[0:3], 0 offset:600
	buffer_load_dword v170, off, s[0:3], 0 offset:604
	;; [unrolled: 1-line block ×4, first 2 shown]
	ds_read_b128 v[1:4], v164 offset:1168
	s_waitcnt vmcnt(58) lgkmcnt(1)
	v_mul_f64 v[185:186], v[112:113], v[118:119]
	v_mul_f64 v[118:119], v[114:115], v[118:119]
	s_waitcnt vmcnt(56)
	v_fma_f64 v[124:125], v[108:109], v[165:166], -v[124:125]
	v_fma_f64 v[165:166], v[110:111], v[165:166], v[187:188]
	v_add_f64 v[116:117], v[116:117], v[171:172]
	v_add_f64 v[5:6], v[5:6], v[167:168]
	s_clause 0x3
	buffer_load_dword v168, off, s[0:3], 0 offset:620
	buffer_load_dword v167, off, s[0:3], 0 offset:616
	buffer_load_dword v171, off, s[0:3], 0 offset:592
	buffer_load_dword v172, off, s[0:3], 0 offset:596
	ds_read_b128 v[108:111], v164 offset:1184
	s_waitcnt vmcnt(58) lgkmcnt(1)
	v_mul_f64 v[187:188], v[1:2], v[126:127]
	v_mul_f64 v[126:127], v[3:4], v[126:127]
	s_waitcnt vmcnt(56)
	v_fma_f64 v[118:119], v[112:113], v[132:133], -v[118:119]
	v_add_f64 v[116:117], v[116:117], v[124:125]
	v_fma_f64 v[124:125], v[114:115], v[132:133], v[185:186]
	v_add_f64 v[5:6], v[5:6], v[165:166]
	s_clause 0x3
	buffer_load_dword v132, off, s[0:3], 0 offset:632
	buffer_load_dword v133, off, s[0:3], 0 offset:636
	buffer_load_dword v166, off, s[0:3], 0 offset:612
	buffer_load_dword v165, off, s[0:3], 0 offset:608
	ds_read_b128 v[112:115], v164 offset:1200
	s_waitcnt vmcnt(58) lgkmcnt(1)
	v_mul_f64 v[185:186], v[108:109], v[120:121]
	v_mul_f64 v[120:121], v[110:111], v[120:121]
	s_waitcnt vmcnt(56)
	v_fma_f64 v[126:127], v[1:2], v[140:141], -v[126:127]
	v_add_f64 v[116:117], v[116:117], v[118:119]
	v_fma_f64 v[118:119], v[3:4], v[140:141], v[187:188]
	;; [unrolled: 14-line block ×13, first 2 shown]
	v_add_f64 v[5:6], v[5:6], v[152:153]
	s_clause 0x1
	buffer_load_dword v153, off, s[0:3], 0 offset:804
	buffer_load_dword v152, off, s[0:3], 0 offset:800
	ds_read_b128 v[112:115], v164 offset:1392
	s_waitcnt vmcnt(56) lgkmcnt(1)
	v_mul_f64 v[181:182], v[108:109], v[169:170]
	v_mul_f64 v[169:170], v[110:111], v[169:170]
	s_waitcnt vmcnt(54)
	v_fma_f64 v[175:176], v[1:2], v[173:174], -v[175:176]
	v_add_f64 v[116:117], v[116:117], v[160:161]
	v_fma_f64 v[160:161], v[3:4], v[173:174], v[187:188]
	v_add_f64 v[5:6], v[5:6], v[154:155]
	ds_read_b128 v[1:4], v164 offset:1408
	s_waitcnt vmcnt(52) lgkmcnt(1)
	v_mul_f64 v[154:155], v[112:113], v[167:168]
	v_mul_f64 v[167:168], v[114:115], v[167:168]
	s_waitcnt vmcnt(50)
	v_fma_f64 v[169:170], v[108:109], v[171:172], -v[169:170]
	v_fma_f64 v[171:172], v[110:111], v[171:172], v[181:182]
	v_add_f64 v[116:117], v[116:117], v[175:176]
	v_add_f64 v[5:6], v[5:6], v[160:161]
	s_clause 0x3
	buffer_load_dword v160, off, s[0:3], 0 offset:32
	buffer_load_dword v161, off, s[0:3], 0 offset:36
	;; [unrolled: 1-line block ×4, first 2 shown]
	ds_read_b128 v[108:111], v164 offset:1424
	s_waitcnt vmcnt(52) lgkmcnt(1)
	v_mul_f64 v[175:176], v[1:2], v[132:133]
	v_mul_f64 v[132:133], v[3:4], v[132:133]
	s_waitcnt vmcnt(50)
	v_fma_f64 v[167:168], v[112:113], v[165:166], -v[167:168]
	v_fma_f64 v[154:155], v[114:115], v[165:166], v[154:155]
	ds_read_b128 v[112:115], v164 offset:1440
	v_add_f64 v[116:117], v[116:117], v[169:170]
	v_add_f64 v[5:6], v[5:6], v[171:172]
	s_waitcnt vmcnt(48) lgkmcnt(1)
	v_mul_f64 v[165:166], v[108:109], v[124:125]
	v_mul_f64 v[124:125], v[110:111], v[124:125]
	s_waitcnt vmcnt(46)
	v_fma_f64 v[132:133], v[1:2], v[140:141], -v[132:133]
	v_fma_f64 v[140:141], v[3:4], v[140:141], v[175:176]
	ds_read_b128 v[1:4], v164 offset:1456
	v_add_f64 v[116:117], v[116:117], v[167:168]
	v_add_f64 v[5:6], v[5:6], v[154:155]
	s_waitcnt vmcnt(44) lgkmcnt(1)
	v_mul_f64 v[154:155], v[112:113], v[118:119]
	v_mul_f64 v[118:119], v[114:115], v[118:119]
	s_waitcnt vmcnt(42)
	v_fma_f64 v[124:125], v[108:109], v[134:135], -v[124:125]
	v_add_f64 v[116:117], v[116:117], v[132:133]
	v_fma_f64 v[132:133], v[110:111], v[134:135], v[165:166]
	v_add_f64 v[5:6], v[5:6], v[140:141]
	ds_read_b128 v[108:111], v164 offset:1472
	s_waitcnt vmcnt(40) lgkmcnt(1)
	v_mul_f64 v[134:135], v[1:2], v[126:127]
	v_mul_f64 v[126:127], v[3:4], v[126:127]
	s_waitcnt vmcnt(38)
	v_fma_f64 v[118:119], v[112:113], v[148:149], -v[118:119]
	v_add_f64 v[116:117], v[116:117], v[124:125]
	v_fma_f64 v[124:125], v[114:115], v[148:149], v[154:155]
	v_add_f64 v[5:6], v[5:6], v[132:133]
	ds_read_b128 v[112:115], v164 offset:1488
	;; [unrolled: 9-line block ×5, first 2 shown]
	s_waitcnt vmcnt(24) lgkmcnt(1)
	v_mul_f64 v[126:127], v[110:111], v[130:131]
	v_mul_f64 v[124:125], v[108:109], v[130:131]
	s_waitcnt vmcnt(22)
	v_fma_f64 v[128:129], v[1:2], v[162:163], -v[128:129]
	v_fma_f64 v[118:119], v[3:4], v[162:163], v[118:119]
	ds_read_b128 v[1:4], v164 offset:1552
	v_add_f64 v[116:117], v[116:117], v[122:123]
	v_add_f64 v[5:6], v[5:6], v[120:121]
	s_waitcnt vmcnt(20) lgkmcnt(1)
	v_mul_f64 v[122:123], v[114:115], v[136:137]
	v_mul_f64 v[120:121], v[112:113], v[136:137]
	s_waitcnt vmcnt(18)
	v_fma_f64 v[126:127], v[108:109], v[158:159], -v[126:127]
	v_fma_f64 v[124:125], v[110:111], v[158:159], v[124:125]
	ds_read_b128 v[108:111], v164 offset:1568
	v_add_f64 v[116:117], v[116:117], v[128:129]
	v_add_f64 v[5:6], v[5:6], v[118:119]
	;; [unrolled: 9-line block ×3, first 2 shown]
	s_waitcnt vmcnt(12) lgkmcnt(1)
	v_mul_f64 v[126:127], v[110:111], v[144:145]
	v_mul_f64 v[124:125], v[108:109], v[144:145]
	s_waitcnt vmcnt(10)
	v_fma_f64 v[1:2], v[1:2], v[183:184], -v[128:129]
	v_fma_f64 v[3:4], v[3:4], v[183:184], v[118:119]
	v_add_f64 v[116:117], v[116:117], v[122:123]
	v_add_f64 v[5:6], v[5:6], v[120:121]
	s_waitcnt vmcnt(8) lgkmcnt(0)
	v_mul_f64 v[120:121], v[114:115], v[146:147]
	v_mul_f64 v[118:119], v[112:113], v[146:147]
	s_waitcnt vmcnt(6)
	v_fma_f64 v[108:109], v[108:109], v[179:180], -v[126:127]
	v_fma_f64 v[110:111], v[110:111], v[179:180], v[124:125]
	v_add_f64 v[1:2], v[116:117], v[1:2]
	v_add_f64 v[3:4], v[5:6], v[3:4]
	s_waitcnt vmcnt(4)
	v_fma_f64 v[5:6], v[112:113], v[152:153], -v[120:121]
	v_add_f64 v[1:2], v[1:2], v[108:109]
	v_fma_f64 v[108:109], v[114:115], v[152:153], v[118:119]
	v_add_f64 v[3:4], v[3:4], v[110:111]
	v_add_f64 v[1:2], v[1:2], v[5:6]
	;; [unrolled: 1-line block ×3, first 2 shown]
	s_waitcnt vmcnt(2)
	v_add_f64 v[1:2], v[160:161], -v[1:2]
	s_waitcnt vmcnt(0)
	v_add_f64 v[3:4], v[173:174], -v[3:4]
	buffer_store_dword v2, off, s[0:3], 0 offset:36
	buffer_store_dword v1, off, s[0:3], 0 offset:32
	buffer_store_dword v4, off, s[0:3], 0 offset:44
	buffer_store_dword v3, off, s[0:3], 0 offset:40
	v_cmpx_ne_u32_e32 0, v0
	s_cbranch_execz .LBB113_313
; %bb.312:
	s_clause 0x3
	buffer_load_dword v0, off, s[0:3], 0 offset:16
	buffer_load_dword v1, off, s[0:3], 0 offset:20
	;; [unrolled: 1-line block ×4, first 2 shown]
	v_mov_b32_e32 v4, 0
	buffer_store_dword v4, off, s[0:3], 0 offset:16
	buffer_store_dword v4, off, s[0:3], 0 offset:20
	;; [unrolled: 1-line block ×4, first 2 shown]
	s_waitcnt vmcnt(0)
	ds_write_b128 v7, v[0:3]
.LBB113_313:
	s_or_b32 exec_lo, exec_lo, s4
	s_waitcnt lgkmcnt(0)
	s_waitcnt_vscnt null, 0x0
	s_barrier
	buffer_gl0_inv
	s_clause 0x37
	buffer_load_dword v116, off, s[0:3], 0 offset:40
	buffer_load_dword v117, off, s[0:3], 0 offset:44
	;; [unrolled: 1-line block ×56, first 2 shown]
	v_mov_b32_e32 v168, 0
	s_and_b32 vcc_lo, exec_lo, s62
	ds_read_b128 v[4:7], v168 offset:816
	s_clause 0x2
	buffer_load_dword v165, off, s[0:3], 0 offset:268
	buffer_load_dword v167, off, s[0:3], 0 offset:244
	;; [unrolled: 1-line block ×3, first 2 shown]
	ds_read_b128 v[0:3], v168 offset:832
	s_clause 0x4
	buffer_load_dword v176, off, s[0:3], 0 offset:284
	buffer_load_dword v177, off, s[0:3], 0 offset:296
	;; [unrolled: 1-line block ×5, first 2 shown]
	ds_read_b128 v[169:172], v168 offset:848
	s_waitcnt vmcnt(62) lgkmcnt(2)
	v_mul_f64 v[173:174], v[6:7], v[116:117]
	v_mul_f64 v[116:117], v[4:5], v[116:117]
	s_waitcnt vmcnt(60) lgkmcnt(1)
	v_mul_f64 v[180:181], v[2:3], v[112:113]
	v_mul_f64 v[112:113], v[0:1], v[112:113]
	s_waitcnt vmcnt(56) lgkmcnt(0)
	v_mul_f64 v[182:183], v[169:170], v[110:111]
	v_mul_f64 v[110:111], v[171:172], v[110:111]
	v_fma_f64 v[173:174], v[4:5], v[114:115], -v[173:174]
	v_fma_f64 v[114:115], v[6:7], v[114:115], v[116:117]
	s_clause 0x2
	buffer_load_dword v178, off, s[0:3], 0 offset:300
	buffer_load_dword v117, off, s[0:3], 0 offset:276
	;; [unrolled: 1-line block ×3, first 2 shown]
	s_waitcnt vmcnt(57)
	v_fma_f64 v[184:185], v[0:1], v[108:109], -v[180:181]
	ds_read_b128 v[4:7], v168 offset:864
	v_fma_f64 v[108:109], v[2:3], v[108:109], v[112:113]
	s_waitcnt vmcnt(51)
	v_fma_f64 v[169:170], v[169:170], v[132:133], -v[110:111]
	v_fma_f64 v[132:133], v[171:172], v[132:133], v[182:183]
	v_add_f64 v[173:174], v[173:174], 0
	v_add_f64 v[112:113], v[114:115], 0
	s_clause 0x4
	buffer_load_dword v115, off, s[0:3], 0 offset:316
	buffer_load_dword v181, off, s[0:3], 0 offset:328
	;; [unrolled: 1-line block ×5, first 2 shown]
	s_waitcnt lgkmcnt(0)
	v_mul_f64 v[187:188], v[4:5], v[120:121]
	v_mul_f64 v[120:121], v[6:7], v[120:121]
	ds_read_b128 v[0:3], v168 offset:880
	s_clause 0x2
	buffer_load_dword v182, off, s[0:3], 0 offset:332
	buffer_load_dword v172, off, s[0:3], 0 offset:308
	;; [unrolled: 1-line block ×3, first 2 shown]
	v_add_f64 v[173:174], v[173:174], v[184:185]
	v_add_f64 v[112:113], v[112:113], v[108:109]
	ds_read_b128 v[108:111], v168 offset:896
	s_waitcnt vmcnt(58) lgkmcnt(1)
	v_mul_f64 v[183:184], v[0:1], v[124:125]
	v_mul_f64 v[124:125], v[2:3], v[124:125]
	s_waitcnt vmcnt(56)
	v_fma_f64 v[120:121], v[4:5], v[126:127], -v[120:121]
	v_fma_f64 v[126:127], v[6:7], v[126:127], v[187:188]
	s_waitcnt vmcnt(52) lgkmcnt(0)
	v_mul_f64 v[189:190], v[108:109], v[128:129]
	v_add_f64 v[169:170], v[173:174], v[169:170]
	v_add_f64 v[112:113], v[112:113], v[132:133]
	s_clause 0x4
	buffer_load_dword v133, off, s[0:3], 0 offset:348
	buffer_load_dword v173, off, s[0:3], 0 offset:360
	;; [unrolled: 1-line block ×5, first 2 shown]
	v_mul_f64 v[128:129], v[110:111], v[128:129]
	s_waitcnt vmcnt(56)
	v_fma_f64 v[124:125], v[0:1], v[118:119], -v[124:125]
	ds_read_b128 v[4:7], v168 offset:912
	v_fma_f64 v[118:119], v[2:3], v[118:119], v[183:184]
	v_add_f64 v[120:121], v[169:170], v[120:121]
	v_add_f64 v[112:113], v[112:113], v[126:127]
	s_clause 0x2
	buffer_load_dword v174, off, s[0:3], 0 offset:364
	buffer_load_dword v127, off, s[0:3], 0 offset:340
	;; [unrolled: 1-line block ×3, first 2 shown]
	s_waitcnt vmcnt(58) lgkmcnt(0)
	v_mul_f64 v[169:170], v[4:5], v[134:135]
	v_mul_f64 v[134:135], v[6:7], v[134:135]
	s_waitcnt vmcnt(56)
	v_fma_f64 v[128:129], v[108:109], v[136:137], -v[128:129]
	ds_read_b128 v[0:3], v168 offset:928
	v_add_f64 v[120:121], v[120:121], v[124:125]
	v_fma_f64 v[124:125], v[110:111], v[136:137], v[189:190]
	v_add_f64 v[112:113], v[112:113], v[118:119]
	s_clause 0x4
	buffer_load_dword v119, off, s[0:3], 0 offset:380
	buffer_load_dword v136, off, s[0:3], 0 offset:392
	;; [unrolled: 1-line block ×5, first 2 shown]
	s_waitcnt vmcnt(57) lgkmcnt(0)
	v_mul_f64 v[184:185], v[0:1], v[138:139]
	v_mul_f64 v[138:139], v[2:3], v[138:139]
	s_waitcnt vmcnt(56)
	v_fma_f64 v[134:135], v[4:5], v[122:123], -v[134:135]
	ds_read_b128 v[108:111], v168 offset:944
	v_fma_f64 v[122:123], v[6:7], v[122:123], v[169:170]
	v_add_f64 v[120:121], v[120:121], v[128:129]
	v_add_f64 v[112:113], v[112:113], v[124:125]
	s_clause 0x2
	buffer_load_dword v137, off, s[0:3], 0 offset:396
	buffer_load_dword v125, off, s[0:3], 0 offset:372
	;; [unrolled: 1-line block ×3, first 2 shown]
	ds_read_b128 v[4:7], v168 offset:960
	s_waitcnt vmcnt(58) lgkmcnt(1)
	v_mul_f64 v[128:129], v[108:109], v[142:143]
	v_mul_f64 v[142:143], v[110:111], v[142:143]
	s_waitcnt vmcnt(56)
	v_fma_f64 v[138:139], v[0:1], v[144:145], -v[138:139]
	v_add_f64 v[120:121], v[120:121], v[134:135]
	v_fma_f64 v[134:135], v[2:3], v[144:145], v[184:185]
	v_add_f64 v[112:113], v[112:113], v[122:123]
	s_clause 0x4
	buffer_load_dword v123, off, s[0:3], 0 offset:412
	buffer_load_dword v144, off, s[0:3], 0 offset:424
	;; [unrolled: 1-line block ×5, first 2 shown]
	s_waitcnt vmcnt(57) lgkmcnt(0)
	v_mul_f64 v[190:191], v[4:5], v[146:147]
	v_mul_f64 v[146:147], v[6:7], v[146:147]
	s_waitcnt vmcnt(56)
	v_fma_f64 v[142:143], v[108:109], v[130:131], -v[142:143]
	ds_read_b128 v[0:3], v168 offset:976
	v_fma_f64 v[128:129], v[110:111], v[130:131], v[128:129]
	s_clause 0x2
	buffer_load_dword v145, off, s[0:3], 0 offset:428
	buffer_load_dword v131, off, s[0:3], 0 offset:404
	;; [unrolled: 1-line block ×3, first 2 shown]
	ds_read_b128 v[108:111], v168 offset:992
	v_add_f64 v[120:121], v[120:121], v[138:139]
	v_add_f64 v[112:113], v[112:113], v[134:135]
	s_waitcnt vmcnt(58) lgkmcnt(1)
	v_mul_f64 v[138:139], v[2:3], v[150:151]
	s_waitcnt vmcnt(56)
	v_fma_f64 v[146:147], v[4:5], v[152:153], -v[146:147]
	v_mul_f64 v[134:135], v[0:1], v[150:151]
	v_add_f64 v[120:121], v[120:121], v[142:143]
	v_fma_f64 v[142:143], v[6:7], v[152:153], v[190:191]
	v_add_f64 v[112:113], v[112:113], v[128:129]
	s_clause 0x4
	buffer_load_dword v129, off, s[0:3], 0 offset:444
	buffer_load_dword v150, off, s[0:3], 0 offset:456
	;; [unrolled: 1-line block ×5, first 2 shown]
	s_waitcnt vmcnt(57) lgkmcnt(0)
	v_mul_f64 v[190:191], v[108:109], v[154:155]
	v_mul_f64 v[153:154], v[110:111], v[154:155]
	s_waitcnt vmcnt(56)
	v_fma_f64 v[138:139], v[0:1], v[140:141], -v[138:139]
	ds_read_b128 v[4:7], v168 offset:1008
	v_fma_f64 v[134:135], v[2:3], v[140:141], v[134:135]
	s_clause 0x2
	buffer_load_dword v151, off, s[0:3], 0 offset:460
	buffer_load_dword v141, off, s[0:3], 0 offset:436
	;; [unrolled: 1-line block ×3, first 2 shown]
	ds_read_b128 v[0:3], v168 offset:1024
	v_add_f64 v[120:121], v[120:121], v[146:147]
	v_add_f64 v[112:113], v[112:113], v[142:143]
	s_waitcnt vmcnt(58) lgkmcnt(1)
	v_mul_f64 v[146:147], v[6:7], v[158:159]
	s_waitcnt vmcnt(56)
	v_fma_f64 v[154:155], v[108:109], v[160:161], -v[153:154]
	v_mul_f64 v[142:143], v[4:5], v[158:159]
	v_add_f64 v[120:121], v[120:121], v[138:139]
	v_fma_f64 v[138:139], v[110:111], v[160:161], v[190:191]
	v_add_f64 v[112:113], v[112:113], v[134:135]
	s_clause 0x4
	buffer_load_dword v135, off, s[0:3], 0 offset:476
	buffer_load_dword v158, off, s[0:3], 0 offset:488
	;; [unrolled: 1-line block ×5, first 2 shown]
	s_waitcnt vmcnt(57) lgkmcnt(0)
	v_mul_f64 v[190:191], v[0:1], v[162:163]
	v_mul_f64 v[161:162], v[2:3], v[162:163]
	s_waitcnt vmcnt(56)
	v_fma_f64 v[146:147], v[4:5], v[148:149], -v[146:147]
	ds_read_b128 v[108:111], v168 offset:1040
	v_fma_f64 v[142:143], v[6:7], v[148:149], v[142:143]
	v_add_f64 v[120:121], v[120:121], v[154:155]
	v_add_f64 v[112:113], v[112:113], v[138:139]
	s_clause 0x2
	buffer_load_dword v159, off, s[0:3], 0 offset:492
	buffer_load_dword v139, off, s[0:3], 0 offset:468
	;; [unrolled: 1-line block ×3, first 2 shown]
	ds_read_b128 v[4:7], v168 offset:1056
	s_waitcnt vmcnt(58) lgkmcnt(1)
	v_mul_f64 v[154:155], v[110:111], v[164:165]
	s_waitcnt vmcnt(56)
	v_fma_f64 v[162:163], v[0:1], v[166:167], -v[161:162]
	v_mul_f64 v[148:149], v[108:109], v[164:165]
	v_add_f64 v[120:121], v[120:121], v[146:147]
	v_fma_f64 v[146:147], v[2:3], v[166:167], v[190:191]
	v_add_f64 v[112:113], v[112:113], v[142:143]
	s_clause 0x4
	buffer_load_dword v143, off, s[0:3], 0 offset:508
	buffer_load_dword v164, off, s[0:3], 0 offset:520
	;; [unrolled: 1-line block ×5, first 2 shown]
	s_waitcnt vmcnt(57) lgkmcnt(0)
	v_mul_f64 v[190:191], v[4:5], v[175:176]
	v_mul_f64 v[175:176], v[6:7], v[175:176]
	s_waitcnt vmcnt(56)
	v_fma_f64 v[154:155], v[108:109], v[156:157], -v[154:155]
	ds_read_b128 v[0:3], v168 offset:1072
	v_fma_f64 v[148:149], v[110:111], v[156:157], v[148:149]
	v_add_f64 v[120:121], v[120:121], v[162:163]
	v_add_f64 v[112:113], v[112:113], v[146:147]
	s_clause 0x2
	buffer_load_dword v165, off, s[0:3], 0 offset:524
	buffer_load_dword v147, off, s[0:3], 0 offset:500
	;; [unrolled: 1-line block ×3, first 2 shown]
	ds_read_b128 v[108:111], v168 offset:1088
	s_waitcnt vmcnt(58) lgkmcnt(1)
	v_mul_f64 v[162:163], v[2:3], v[177:178]
	v_mul_f64 v[156:157], v[0:1], v[177:178]
	s_waitcnt vmcnt(56)
	v_fma_f64 v[175:176], v[4:5], v[116:117], -v[175:176]
	v_fma_f64 v[116:117], v[6:7], v[116:117], v[190:191]
	v_add_f64 v[120:121], v[120:121], v[154:155]
	v_add_f64 v[112:113], v[112:113], v[148:149]
	s_clause 0x4
	buffer_load_dword v149, off, s[0:3], 0 offset:540
	buffer_load_dword v154, off, s[0:3], 0 offset:552
	;; [unrolled: 1-line block ×5, first 2 shown]
	ds_read_b128 v[4:7], v168 offset:1104
	s_waitcnt vmcnt(57) lgkmcnt(1)
	v_mul_f64 v[190:191], v[108:109], v[114:115]
	v_mul_f64 v[114:115], v[110:111], v[114:115]
	s_waitcnt vmcnt(56)
	v_fma_f64 v[162:163], v[0:1], v[179:180], -v[162:163]
	v_fma_f64 v[156:157], v[2:3], v[179:180], v[156:157]
	v_add_f64 v[120:121], v[120:121], v[175:176]
	v_add_f64 v[112:113], v[112:113], v[116:117]
	s_clause 0x2
	buffer_load_dword v155, off, s[0:3], 0 offset:556
	buffer_load_dword v117, off, s[0:3], 0 offset:532
	;; [unrolled: 1-line block ×3, first 2 shown]
	s_waitcnt vmcnt(58) lgkmcnt(0)
	v_mul_f64 v[179:180], v[6:7], v[181:182]
	ds_read_b128 v[0:3], v168 offset:1120
	v_mul_f64 v[175:176], v[4:5], v[181:182]
	s_waitcnt vmcnt(56)
	v_fma_f64 v[114:115], v[108:109], v[171:172], -v[114:115]
	v_add_f64 v[120:121], v[120:121], v[162:163]
	v_fma_f64 v[162:163], v[110:111], v[171:172], v[190:191]
	v_add_f64 v[112:113], v[112:113], v[156:157]
	s_clause 0x4
	buffer_load_dword v157, off, s[0:3], 0 offset:572
	buffer_load_dword v171, off, s[0:3], 0 offset:584
	;; [unrolled: 1-line block ×5, first 2 shown]
	ds_read_b128 v[108:111], v168 offset:1136
	s_waitcnt vmcnt(57) lgkmcnt(1)
	v_mul_f64 v[190:191], v[0:1], v[132:133]
	v_mul_f64 v[132:133], v[2:3], v[132:133]
	s_waitcnt vmcnt(56)
	v_fma_f64 v[179:180], v[4:5], v[186:187], -v[179:180]
	v_add_f64 v[114:115], v[120:121], v[114:115]
	v_fma_f64 v[120:121], v[6:7], v[186:187], v[175:176]
	v_add_f64 v[112:113], v[112:113], v[162:163]
	s_clause 0x2
	buffer_load_dword v172, off, s[0:3], 0 offset:588
	buffer_load_dword v163, off, s[0:3], 0 offset:564
	;; [unrolled: 1-line block ×3, first 2 shown]
	ds_read_b128 v[4:7], v168 offset:1152
	s_waitcnt vmcnt(58) lgkmcnt(1)
	v_mul_f64 v[175:176], v[108:109], v[173:174]
	v_mul_f64 v[173:174], v[110:111], v[173:174]
	s_waitcnt vmcnt(56)
	v_fma_f64 v[132:133], v[0:1], v[126:127], -v[132:133]
	v_fma_f64 v[126:127], v[2:3], v[126:127], v[190:191]
	v_add_f64 v[114:115], v[114:115], v[179:180]
	v_add_f64 v[112:113], v[112:113], v[120:121]
	s_clause 0x4
	buffer_load_dword v121, off, s[0:3], 0 offset:604
	buffer_load_dword v179, off, s[0:3], 0 offset:616
	;; [unrolled: 1-line block ×5, first 2 shown]
	ds_read_b128 v[0:3], v168 offset:1168
	s_waitcnt vmcnt(57) lgkmcnt(1)
	v_mul_f64 v[186:187], v[4:5], v[118:119]
	v_mul_f64 v[118:119], v[6:7], v[118:119]
	s_waitcnt vmcnt(56)
	v_fma_f64 v[173:174], v[108:109], v[188:189], -v[173:174]
	v_add_f64 v[114:115], v[114:115], v[132:133]
	v_fma_f64 v[132:133], v[110:111], v[188:189], v[175:176]
	v_add_f64 v[112:113], v[112:113], v[126:127]
	s_clause 0x2
	buffer_load_dword v180, off, s[0:3], 0 offset:620
	buffer_load_dword v127, off, s[0:3], 0 offset:596
	;; [unrolled: 1-line block ×3, first 2 shown]
	ds_read_b128 v[108:111], v168 offset:1184
	s_waitcnt vmcnt(58) lgkmcnt(1)
	v_mul_f64 v[175:176], v[0:1], v[136:137]
	v_mul_f64 v[136:137], v[2:3], v[136:137]
	s_waitcnt vmcnt(56)
	v_fma_f64 v[118:119], v[4:5], v[124:125], -v[118:119]
	v_fma_f64 v[124:125], v[6:7], v[124:125], v[186:187]
	v_add_f64 v[114:115], v[114:115], v[173:174]
	v_add_f64 v[112:113], v[112:113], v[132:133]
	s_clause 0x4
	buffer_load_dword v133, off, s[0:3], 0 offset:636
	buffer_load_dword v173, off, s[0:3], 0 offset:648
	;; [unrolled: 1-line block ×5, first 2 shown]
	ds_read_b128 v[4:7], v168 offset:1200
	s_waitcnt vmcnt(57) lgkmcnt(1)
	v_mul_f64 v[188:189], v[108:109], v[122:123]
	v_mul_f64 v[122:123], v[110:111], v[122:123]
	s_waitcnt vmcnt(56)
	v_fma_f64 v[136:137], v[0:1], v[183:184], -v[136:137]
	v_add_f64 v[114:115], v[114:115], v[118:119]
	v_fma_f64 v[118:119], v[2:3], v[183:184], v[175:176]
	v_add_f64 v[112:113], v[112:113], v[124:125]
	s_clause 0x2
	buffer_load_dword v174, off, s[0:3], 0 offset:652
	buffer_load_dword v125, off, s[0:3], 0 offset:628
	;; [unrolled: 1-line block ×3, first 2 shown]
	s_waitcnt vmcnt(58) lgkmcnt(0)
	v_mul_f64 v[175:176], v[4:5], v[144:145]
	v_mul_f64 v[144:145], v[6:7], v[144:145]
	ds_read_b128 v[0:3], v168 offset:1216
	s_waitcnt vmcnt(56)
	v_fma_f64 v[122:123], v[108:109], v[130:131], -v[122:123]
	v_fma_f64 v[130:131], v[110:111], v[130:131], v[188:189]
	v_add_f64 v[114:115], v[114:115], v[136:137]
	v_add_f64 v[112:113], v[112:113], v[118:119]
	s_clause 0x4
	buffer_load_dword v119, off, s[0:3], 0 offset:668
	buffer_load_dword v136, off, s[0:3], 0 offset:680
	;; [unrolled: 1-line block ×5, first 2 shown]
	ds_read_b128 v[108:111], v168 offset:1232
	s_waitcnt vmcnt(57) lgkmcnt(1)
	v_mul_f64 v[189:190], v[0:1], v[128:129]
	v_mul_f64 v[128:129], v[2:3], v[128:129]
	s_waitcnt vmcnt(56)
	v_fma_f64 v[144:145], v[4:5], v[169:170], -v[144:145]
	v_add_f64 v[114:115], v[114:115], v[122:123]
	v_fma_f64 v[122:123], v[6:7], v[169:170], v[175:176]
	v_add_f64 v[112:113], v[112:113], v[130:131]
	s_clause 0x2
	buffer_load_dword v137, off, s[0:3], 0 offset:684
	buffer_load_dword v131, off, s[0:3], 0 offset:660
	;; [unrolled: 1-line block ×3, first 2 shown]
	s_waitcnt vmcnt(58) lgkmcnt(0)
	v_mul_f64 v[169:170], v[108:109], v[150:151]
	v_mul_f64 v[150:151], v[110:111], v[150:151]
	ds_read_b128 v[4:7], v168 offset:1248
	s_waitcnt vmcnt(56)
	v_fma_f64 v[128:129], v[0:1], v[140:141], -v[128:129]
	v_fma_f64 v[140:141], v[2:3], v[140:141], v[189:190]
	v_add_f64 v[114:115], v[114:115], v[144:145]
	v_add_f64 v[112:113], v[112:113], v[122:123]
	s_clause 0x4
	buffer_load_dword v123, off, s[0:3], 0 offset:700
	buffer_load_dword v144, off, s[0:3], 0 offset:712
	buffer_load_dword v175, off, s[0:3], 0 offset:704
	buffer_load_dword v122, off, s[0:3], 0 offset:696
	buffer_load_dword v184, off, s[0:3], 0 offset:676
	ds_read_b128 v[0:3], v168 offset:1264
	s_waitcnt vmcnt(57) lgkmcnt(1)
	v_mul_f64 v[189:190], v[4:5], v[134:135]
	v_mul_f64 v[134:135], v[6:7], v[134:135]
	s_waitcnt vmcnt(56)
	v_fma_f64 v[150:151], v[108:109], v[152:153], -v[150:151]
	v_add_f64 v[114:115], v[114:115], v[128:129]
	v_fma_f64 v[128:129], v[110:111], v[152:153], v[169:170]
	v_add_f64 v[112:113], v[112:113], v[140:141]
	s_clause 0x2
	buffer_load_dword v145, off, s[0:3], 0 offset:716
	buffer_load_dword v141, off, s[0:3], 0 offset:692
	buffer_load_dword v140, off, s[0:3], 0 offset:688
	ds_read_b128 v[108:111], v168 offset:1280
	s_waitcnt vmcnt(58) lgkmcnt(1)
	v_mul_f64 v[152:153], v[0:1], v[158:159]
	v_mul_f64 v[158:159], v[2:3], v[158:159]
	s_waitcnt vmcnt(56)
	v_fma_f64 v[134:135], v[4:5], v[138:139], -v[134:135]
	v_fma_f64 v[138:139], v[6:7], v[138:139], v[189:190]
	v_add_f64 v[114:115], v[114:115], v[150:151]
	v_add_f64 v[112:113], v[112:113], v[128:129]
	s_clause 0x4
	buffer_load_dword v129, off, s[0:3], 0 offset:732
	buffer_load_dword v150, off, s[0:3], 0 offset:744
	buffer_load_dword v169, off, s[0:3], 0 offset:736
	buffer_load_dword v128, off, s[0:3], 0 offset:728
	buffer_load_dword v176, off, s[0:3], 0 offset:708
	ds_read_b128 v[4:7], v168 offset:1296
	s_waitcnt vmcnt(57) lgkmcnt(1)
	v_mul_f64 v[189:190], v[108:109], v[142:143]
	v_mul_f64 v[142:143], v[110:111], v[142:143]
	s_waitcnt vmcnt(56)
	v_fma_f64 v[158:159], v[0:1], v[160:161], -v[158:159]
	v_add_f64 v[114:115], v[114:115], v[134:135]
	v_fma_f64 v[134:135], v[2:3], v[160:161], v[152:153]
	v_add_f64 v[112:113], v[112:113], v[138:139]
	s_clause 0x2
	buffer_load_dword v151, off, s[0:3], 0 offset:748
	buffer_load_dword v139, off, s[0:3], 0 offset:724
	buffer_load_dword v138, off, s[0:3], 0 offset:720
	ds_read_b128 v[0:3], v168 offset:1312
	s_waitcnt vmcnt(58) lgkmcnt(1)
	v_mul_f64 v[160:161], v[6:7], v[164:165]
	v_mul_f64 v[152:153], v[4:5], v[164:165]
	s_waitcnt vmcnt(56)
	v_fma_f64 v[142:143], v[108:109], v[146:147], -v[142:143]
	v_fma_f64 v[146:147], v[110:111], v[146:147], v[189:190]
	v_add_f64 v[114:115], v[114:115], v[158:159]
	v_add_f64 v[112:113], v[112:113], v[134:135]
	s_clause 0x4
	buffer_load_dword v135, off, s[0:3], 0 offset:764
	buffer_load_dword v158, off, s[0:3], 0 offset:776
	buffer_load_dword v164, off, s[0:3], 0 offset:768
	buffer_load_dword v134, off, s[0:3], 0 offset:760
	buffer_load_dword v170, off, s[0:3], 0 offset:740
	ds_read_b128 v[108:111], v168 offset:1328
	s_waitcnt vmcnt(57) lgkmcnt(1)
	v_mul_f64 v[189:190], v[0:1], v[148:149]
	v_mul_f64 v[148:149], v[2:3], v[148:149]
	s_waitcnt vmcnt(56)
	v_fma_f64 v[160:161], v[4:5], v[166:167], -v[160:161]
	v_add_f64 v[114:115], v[114:115], v[142:143]
	v_fma_f64 v[142:143], v[6:7], v[166:167], v[152:153]
	v_add_f64 v[112:113], v[112:113], v[146:147]
	s_clause 0x2
	buffer_load_dword v159, off, s[0:3], 0 offset:780
	buffer_load_dword v147, off, s[0:3], 0 offset:756
	buffer_load_dword v146, off, s[0:3], 0 offset:752
	ds_read_b128 v[4:7], v168 offset:1344
	s_waitcnt vmcnt(58) lgkmcnt(1)
	v_mul_f64 v[152:153], v[108:109], v[154:155]
	v_mul_f64 v[154:155], v[110:111], v[154:155]
	s_waitcnt vmcnt(56)
	v_fma_f64 v[148:149], v[0:1], v[116:117], -v[148:149]
	v_fma_f64 v[116:117], v[2:3], v[116:117], v[189:190]
	v_add_f64 v[114:115], v[114:115], v[160:161]
	v_add_f64 v[112:113], v[112:113], v[142:143]
	s_clause 0x4
	buffer_load_dword v143, off, s[0:3], 0 offset:796
	buffer_load_dword v160, off, s[0:3], 0 offset:808
	;; [unrolled: 1-line block ×5, first 2 shown]
	ds_read_b128 v[0:3], v168 offset:1360
	s_waitcnt vmcnt(57) lgkmcnt(1)
	v_mul_f64 v[189:190], v[4:5], v[156:157]
	v_mul_f64 v[156:157], v[6:7], v[156:157]
	s_waitcnt vmcnt(56)
	v_fma_f64 v[154:155], v[108:109], v[177:178], -v[154:155]
	v_add_f64 v[114:115], v[114:115], v[148:149]
	v_fma_f64 v[148:149], v[110:111], v[177:178], v[152:153]
	v_add_f64 v[112:113], v[112:113], v[116:117]
	s_clause 0x2
	buffer_load_dword v161, off, s[0:3], 0 offset:812
	buffer_load_dword v117, off, s[0:3], 0 offset:788
	;; [unrolled: 1-line block ×3, first 2 shown]
	ds_read_b128 v[108:111], v168 offset:1376
	buffer_load_dword v167, off, s[0:3], 0 offset:804
	s_waitcnt vmcnt(59) lgkmcnt(1)
	v_mul_f64 v[152:153], v[0:1], v[171:172]
	v_mul_f64 v[171:172], v[2:3], v[171:172]
	s_waitcnt vmcnt(57)
	v_fma_f64 v[156:157], v[4:5], v[162:163], -v[156:157]
	v_add_f64 v[114:115], v[114:115], v[154:155]
	v_fma_f64 v[154:155], v[6:7], v[162:163], v[189:190]
	v_add_f64 v[112:113], v[112:113], v[148:149]
	ds_read_b128 v[4:7], v168 offset:1392
	s_waitcnt vmcnt(53) lgkmcnt(1)
	v_mul_f64 v[148:149], v[108:109], v[120:121]
	v_mul_f64 v[120:121], v[110:111], v[120:121]
	s_waitcnt vmcnt(52)
	v_fma_f64 v[162:163], v[0:1], v[181:182], -v[171:172]
	v_fma_f64 v[152:153], v[2:3], v[181:182], v[152:153]
	ds_read_b128 v[0:3], v168 offset:1408
	v_add_f64 v[114:115], v[114:115], v[156:157]
	v_add_f64 v[112:113], v[112:113], v[154:155]
	s_waitcnt vmcnt(51) lgkmcnt(1)
	v_mul_f64 v[156:157], v[6:7], v[179:180]
	v_mul_f64 v[154:155], v[4:5], v[179:180]
	s_waitcnt vmcnt(49)
	v_fma_f64 v[120:121], v[108:109], v[126:127], -v[120:121]
	v_fma_f64 v[126:127], v[110:111], v[126:127], v[148:149]
	v_add_f64 v[114:115], v[114:115], v[162:163]
	v_add_f64 v[112:113], v[112:113], v[152:153]
	s_clause 0x3
	buffer_load_dword v148, off, s[0:3], 0 offset:16
	buffer_load_dword v149, off, s[0:3], 0 offset:20
	;; [unrolled: 1-line block ×4, first 2 shown]
	ds_read_b128 v[108:111], v168 offset:1424
	s_waitcnt vmcnt(49) lgkmcnt(1)
	v_mul_f64 v[162:163], v[0:1], v[132:133]
	v_mul_f64 v[132:133], v[2:3], v[132:133]
	s_waitcnt vmcnt(48)
	v_fma_f64 v[156:157], v[4:5], v[185:186], -v[156:157]
	v_add_f64 v[114:115], v[114:115], v[120:121]
	v_fma_f64 v[120:121], v[6:7], v[185:186], v[154:155]
	v_add_f64 v[112:113], v[112:113], v[126:127]
	ds_read_b128 v[4:7], v168 offset:1440
	s_waitcnt vmcnt(47) lgkmcnt(1)
	v_mul_f64 v[154:155], v[110:111], v[173:174]
	v_mul_f64 v[126:127], v[108:109], v[173:174]
	s_waitcnt vmcnt(45)
	v_fma_f64 v[132:133], v[0:1], v[124:125], -v[132:133]
	v_fma_f64 v[124:125], v[2:3], v[124:125], v[162:163]
	ds_read_b128 v[0:3], v168 offset:1456
	v_add_f64 v[114:115], v[114:115], v[156:157]
	v_add_f64 v[112:113], v[112:113], v[120:121]
	s_waitcnt vmcnt(41) lgkmcnt(1)
	v_mul_f64 v[120:121], v[4:5], v[118:119]
	v_mul_f64 v[118:119], v[6:7], v[118:119]
	s_waitcnt vmcnt(40)
	v_fma_f64 v[154:155], v[108:109], v[187:188], -v[154:155]
	v_fma_f64 v[126:127], v[110:111], v[187:188], v[126:127]
	ds_read_b128 v[108:111], v168 offset:1472
	v_add_f64 v[114:115], v[114:115], v[132:133]
	v_add_f64 v[112:113], v[112:113], v[124:125]
	;; [unrolled: 9-line block ×3, first 2 shown]
	s_waitcnt vmcnt(33) lgkmcnt(1)
	v_mul_f64 v[126:127], v[108:109], v[122:123]
	v_mul_f64 v[122:123], v[110:111], v[122:123]
	s_waitcnt vmcnt(32)
	v_fma_f64 v[130:131], v[0:1], v[183:184], -v[132:133]
	v_add_f64 v[114:115], v[114:115], v[118:119]
	v_fma_f64 v[118:119], v[2:3], v[183:184], v[124:125]
	v_add_f64 v[112:113], v[112:113], v[120:121]
	ds_read_b128 v[0:3], v168 offset:1504
	s_waitcnt vmcnt(31) lgkmcnt(1)
	v_mul_f64 v[124:125], v[6:7], v[144:145]
	v_mul_f64 v[120:121], v[4:5], v[144:145]
	s_waitcnt vmcnt(29)
	v_fma_f64 v[122:123], v[108:109], v[140:141], -v[122:123]
	v_fma_f64 v[126:127], v[110:111], v[140:141], v[126:127]
	ds_read_b128 v[108:111], v168 offset:1520
	v_add_f64 v[114:115], v[114:115], v[130:131]
	v_add_f64 v[112:113], v[112:113], v[118:119]
	s_waitcnt vmcnt(25) lgkmcnt(1)
	v_mul_f64 v[118:119], v[0:1], v[128:129]
	v_mul_f64 v[128:129], v[2:3], v[128:129]
	s_waitcnt vmcnt(24)
	v_fma_f64 v[124:125], v[4:5], v[175:176], -v[124:125]
	v_fma_f64 v[120:121], v[6:7], v[175:176], v[120:121]
	ds_read_b128 v[4:7], v168 offset:1536
	v_add_f64 v[114:115], v[114:115], v[122:123]
	v_add_f64 v[112:113], v[112:113], v[126:127]
	;; [unrolled: 9-line block ×3, first 2 shown]
	s_waitcnt vmcnt(17) lgkmcnt(1)
	v_mul_f64 v[124:125], v[6:7], v[134:135]
	s_waitcnt vmcnt(16)
	v_fma_f64 v[126:127], v[108:109], v[169:170], -v[126:127]
	v_mul_f64 v[120:121], v[4:5], v[134:135]
	v_fma_f64 v[122:123], v[110:111], v[169:170], v[122:123]
	ds_read_b128 v[108:111], v168 offset:1568
	v_add_f64 v[114:115], v[114:115], v[128:129]
	v_add_f64 v[112:113], v[112:113], v[118:119]
	s_waitcnt vmcnt(15) lgkmcnt(1)
	v_mul_f64 v[128:129], v[2:3], v[158:159]
	v_mul_f64 v[118:119], v[0:1], v[158:159]
	s_waitcnt vmcnt(13)
	v_fma_f64 v[124:125], v[4:5], v[146:147], -v[124:125]
	v_fma_f64 v[120:121], v[6:7], v[146:147], v[120:121]
	ds_read_b128 v[4:7], v168 offset:1584
	v_add_f64 v[114:115], v[114:115], v[126:127]
	v_add_f64 v[112:113], v[112:113], v[122:123]
	s_waitcnt vmcnt(9) lgkmcnt(1)
	v_mul_f64 v[126:127], v[110:111], v[142:143]
	s_waitcnt vmcnt(8)
	v_fma_f64 v[0:1], v[0:1], v[164:165], -v[128:129]
	v_mul_f64 v[122:123], v[108:109], v[142:143]
	v_fma_f64 v[2:3], v[2:3], v[164:165], v[118:119]
	v_add_f64 v[114:115], v[114:115], v[124:125]
	v_add_f64 v[112:113], v[112:113], v[120:121]
	s_waitcnt vmcnt(7) lgkmcnt(0)
	v_mul_f64 v[120:121], v[6:7], v[160:161]
	v_mul_f64 v[118:119], v[4:5], v[160:161]
	s_waitcnt vmcnt(5)
	v_fma_f64 v[108:109], v[108:109], v[116:117], -v[126:127]
	v_fma_f64 v[110:111], v[110:111], v[116:117], v[122:123]
	v_add_f64 v[0:1], v[114:115], v[0:1]
	v_add_f64 v[2:3], v[112:113], v[2:3]
	s_waitcnt vmcnt(4)
	v_fma_f64 v[4:5], v[4:5], v[166:167], -v[120:121]
	v_fma_f64 v[6:7], v[6:7], v[166:167], v[118:119]
	v_add_f64 v[0:1], v[0:1], v[108:109]
	v_add_f64 v[2:3], v[2:3], v[110:111]
	;; [unrolled: 1-line block ×4, first 2 shown]
	s_waitcnt vmcnt(2)
	v_add_f64 v[0:1], v[148:149], -v[0:1]
	s_waitcnt vmcnt(0)
	v_add_f64 v[2:3], v[152:153], -v[2:3]
	buffer_store_dword v1, off, s[0:3], 0 offset:20
	buffer_store_dword v0, off, s[0:3], 0 offset:16
	;; [unrolled: 1-line block ×4, first 2 shown]
	s_cbranch_vccz .LBB113_412
; %bb.314:
	global_load_dword v0, v168, s[12:13] offset:192
	s_waitcnt vmcnt(0)
	v_add_nc_u32_e32 v0, -1, v0
	v_cmp_ne_u32_e32 vcc_lo, 48, v0
	s_cbranch_vccz .LBB113_316
; %bb.315:
	v_lshlrev_b32_e32 v0, 4, v0
	v_mov_b32_e32 v1, s9
	v_add_nc_u32_e32 v0, 16, v0
	s_clause 0x7
	buffer_load_dword v2, v0, s[0:3], 0 offen
	buffer_load_dword v3, v0, s[0:3], 0 offen offset:4
	buffer_load_dword v4, v0, s[0:3], 0 offen offset:8
	;; [unrolled: 1-line block ×6, first 2 shown]
	buffer_load_dword v109, v1, s[0:3], 0 offen
	s_waitcnt vmcnt(7)
	buffer_store_dword v2, v1, s[0:3], 0 offen
	s_waitcnt vmcnt(6)
	buffer_store_dword v3, v1, s[0:3], 0 offen offset:4
	s_waitcnt vmcnt(5)
	buffer_store_dword v4, v1, s[0:3], 0 offen offset:8
	;; [unrolled: 2-line block ×6, first 2 shown]
	s_waitcnt vmcnt(0)
	buffer_store_dword v109, v0, s[0:3], 0 offen
.LBB113_316:
	v_mov_b32_e32 v0, 0
	global_load_dword v1, v0, s[12:13] offset:188
	s_waitcnt vmcnt(0)
	v_add_nc_u32_e32 v1, -1, v1
	v_cmp_eq_u32_e32 vcc_lo, 47, v1
	s_cbranch_vccnz .LBB113_318
; %bb.317:
	v_lshlrev_b32_e32 v1, 4, v1
	v_mov_b32_e32 v2, s14
	v_add_nc_u32_e32 v1, 16, v1
	s_clause 0x7
	buffer_load_dword v3, v1, s[0:3], 0 offen
	buffer_load_dword v4, v1, s[0:3], 0 offen offset:4
	buffer_load_dword v5, v1, s[0:3], 0 offen offset:8
	;; [unrolled: 1-line block ×6, first 2 shown]
	buffer_load_dword v110, v2, s[0:3], 0 offen
	s_waitcnt vmcnt(7)
	buffer_store_dword v3, v2, s[0:3], 0 offen
	s_waitcnt vmcnt(6)
	buffer_store_dword v4, v2, s[0:3], 0 offen offset:4
	s_waitcnt vmcnt(5)
	buffer_store_dword v5, v2, s[0:3], 0 offen offset:8
	;; [unrolled: 2-line block ×6, first 2 shown]
	s_waitcnt vmcnt(0)
	buffer_store_dword v110, v1, s[0:3], 0 offen
.LBB113_318:
	global_load_dword v0, v0, s[12:13] offset:184
	s_waitcnt vmcnt(0)
	v_add_nc_u32_e32 v0, -1, v0
	v_cmp_eq_u32_e32 vcc_lo, 46, v0
	s_cbranch_vccnz .LBB113_320
; %bb.319:
	v_lshlrev_b32_e32 v0, 4, v0
	v_mov_b32_e32 v1, s15
	v_add_nc_u32_e32 v0, 16, v0
	s_clause 0x7
	buffer_load_dword v2, v0, s[0:3], 0 offen
	buffer_load_dword v3, v0, s[0:3], 0 offen offset:4
	buffer_load_dword v4, v0, s[0:3], 0 offen offset:8
	;; [unrolled: 1-line block ×6, first 2 shown]
	buffer_load_dword v109, v1, s[0:3], 0 offen
	s_waitcnt vmcnt(7)
	buffer_store_dword v2, v1, s[0:3], 0 offen
	s_waitcnt vmcnt(6)
	buffer_store_dword v3, v1, s[0:3], 0 offen offset:4
	s_waitcnt vmcnt(5)
	buffer_store_dword v4, v1, s[0:3], 0 offen offset:8
	;; [unrolled: 2-line block ×6, first 2 shown]
	s_waitcnt vmcnt(0)
	buffer_store_dword v109, v0, s[0:3], 0 offen
.LBB113_320:
	v_mov_b32_e32 v0, 0
	global_load_dword v1, v0, s[12:13] offset:180
	s_waitcnt vmcnt(0)
	v_add_nc_u32_e32 v1, -1, v1
	v_cmp_eq_u32_e32 vcc_lo, 45, v1
	s_cbranch_vccnz .LBB113_322
; %bb.321:
	v_lshlrev_b32_e32 v1, 4, v1
	v_mov_b32_e32 v2, s16
	v_add_nc_u32_e32 v1, 16, v1
	s_clause 0x7
	buffer_load_dword v3, v1, s[0:3], 0 offen
	buffer_load_dword v4, v1, s[0:3], 0 offen offset:4
	buffer_load_dword v5, v1, s[0:3], 0 offen offset:8
	;; [unrolled: 1-line block ×6, first 2 shown]
	buffer_load_dword v110, v2, s[0:3], 0 offen
	s_waitcnt vmcnt(7)
	buffer_store_dword v3, v2, s[0:3], 0 offen
	s_waitcnt vmcnt(6)
	buffer_store_dword v4, v2, s[0:3], 0 offen offset:4
	s_waitcnt vmcnt(5)
	buffer_store_dword v5, v2, s[0:3], 0 offen offset:8
	;; [unrolled: 2-line block ×6, first 2 shown]
	s_waitcnt vmcnt(0)
	buffer_store_dword v110, v1, s[0:3], 0 offen
.LBB113_322:
	global_load_dword v0, v0, s[12:13] offset:176
	s_waitcnt vmcnt(0)
	v_add_nc_u32_e32 v0, -1, v0
	v_cmp_eq_u32_e32 vcc_lo, 44, v0
	s_cbranch_vccnz .LBB113_324
; %bb.323:
	v_lshlrev_b32_e32 v0, 4, v0
	v_mov_b32_e32 v1, s17
	v_add_nc_u32_e32 v0, 16, v0
	s_clause 0x7
	buffer_load_dword v2, v0, s[0:3], 0 offen
	buffer_load_dword v3, v0, s[0:3], 0 offen offset:4
	buffer_load_dword v4, v0, s[0:3], 0 offen offset:8
	;; [unrolled: 1-line block ×6, first 2 shown]
	buffer_load_dword v109, v1, s[0:3], 0 offen
	s_waitcnt vmcnt(7)
	buffer_store_dword v2, v1, s[0:3], 0 offen
	s_waitcnt vmcnt(6)
	buffer_store_dword v3, v1, s[0:3], 0 offen offset:4
	s_waitcnt vmcnt(5)
	buffer_store_dword v4, v1, s[0:3], 0 offen offset:8
	;; [unrolled: 2-line block ×6, first 2 shown]
	s_waitcnt vmcnt(0)
	buffer_store_dword v109, v0, s[0:3], 0 offen
.LBB113_324:
	v_mov_b32_e32 v0, 0
	global_load_dword v1, v0, s[12:13] offset:172
	s_waitcnt vmcnt(0)
	v_add_nc_u32_e32 v1, -1, v1
	v_cmp_eq_u32_e32 vcc_lo, 43, v1
	s_cbranch_vccnz .LBB113_326
; %bb.325:
	v_lshlrev_b32_e32 v1, 4, v1
	v_mov_b32_e32 v2, s18
	v_add_nc_u32_e32 v1, 16, v1
	s_clause 0x7
	buffer_load_dword v3, v1, s[0:3], 0 offen
	buffer_load_dword v4, v1, s[0:3], 0 offen offset:4
	buffer_load_dword v5, v1, s[0:3], 0 offen offset:8
	;; [unrolled: 1-line block ×6, first 2 shown]
	buffer_load_dword v110, v2, s[0:3], 0 offen
	s_waitcnt vmcnt(7)
	buffer_store_dword v3, v2, s[0:3], 0 offen
	s_waitcnt vmcnt(6)
	buffer_store_dword v4, v2, s[0:3], 0 offen offset:4
	s_waitcnt vmcnt(5)
	buffer_store_dword v5, v2, s[0:3], 0 offen offset:8
	;; [unrolled: 2-line block ×6, first 2 shown]
	s_waitcnt vmcnt(0)
	buffer_store_dword v110, v1, s[0:3], 0 offen
.LBB113_326:
	global_load_dword v0, v0, s[12:13] offset:168
	s_waitcnt vmcnt(0)
	v_add_nc_u32_e32 v0, -1, v0
	v_cmp_eq_u32_e32 vcc_lo, 42, v0
	s_cbranch_vccnz .LBB113_328
; %bb.327:
	v_lshlrev_b32_e32 v0, 4, v0
	v_mov_b32_e32 v1, s19
	v_add_nc_u32_e32 v0, 16, v0
	s_clause 0x7
	buffer_load_dword v2, v0, s[0:3], 0 offen
	buffer_load_dword v3, v0, s[0:3], 0 offen offset:4
	buffer_load_dword v4, v0, s[0:3], 0 offen offset:8
	buffer_load_dword v5, v0, s[0:3], 0 offen offset:12
	buffer_load_dword v6, v1, s[0:3], 0 offen offset:12
	buffer_load_dword v7, v1, s[0:3], 0 offen offset:8
	buffer_load_dword v108, v1, s[0:3], 0 offen offset:4
	buffer_load_dword v109, v1, s[0:3], 0 offen
	s_waitcnt vmcnt(7)
	buffer_store_dword v2, v1, s[0:3], 0 offen
	s_waitcnt vmcnt(6)
	buffer_store_dword v3, v1, s[0:3], 0 offen offset:4
	s_waitcnt vmcnt(5)
	buffer_store_dword v4, v1, s[0:3], 0 offen offset:8
	;; [unrolled: 2-line block ×6, first 2 shown]
	s_waitcnt vmcnt(0)
	buffer_store_dword v109, v0, s[0:3], 0 offen
.LBB113_328:
	v_mov_b32_e32 v0, 0
	global_load_dword v1, v0, s[12:13] offset:164
	s_waitcnt vmcnt(0)
	v_add_nc_u32_e32 v1, -1, v1
	v_cmp_eq_u32_e32 vcc_lo, 41, v1
	s_cbranch_vccnz .LBB113_330
; %bb.329:
	v_lshlrev_b32_e32 v1, 4, v1
	v_mov_b32_e32 v2, s20
	v_add_nc_u32_e32 v1, 16, v1
	s_clause 0x7
	buffer_load_dword v3, v1, s[0:3], 0 offen
	buffer_load_dword v4, v1, s[0:3], 0 offen offset:4
	buffer_load_dword v5, v1, s[0:3], 0 offen offset:8
	;; [unrolled: 1-line block ×6, first 2 shown]
	buffer_load_dword v110, v2, s[0:3], 0 offen
	s_waitcnt vmcnt(7)
	buffer_store_dword v3, v2, s[0:3], 0 offen
	s_waitcnt vmcnt(6)
	buffer_store_dword v4, v2, s[0:3], 0 offen offset:4
	s_waitcnt vmcnt(5)
	buffer_store_dword v5, v2, s[0:3], 0 offen offset:8
	;; [unrolled: 2-line block ×6, first 2 shown]
	s_waitcnt vmcnt(0)
	buffer_store_dword v110, v1, s[0:3], 0 offen
.LBB113_330:
	global_load_dword v0, v0, s[12:13] offset:160
	s_waitcnt vmcnt(0)
	v_add_nc_u32_e32 v0, -1, v0
	v_cmp_eq_u32_e32 vcc_lo, 40, v0
	s_cbranch_vccnz .LBB113_332
; %bb.331:
	v_lshlrev_b32_e32 v0, 4, v0
	v_mov_b32_e32 v1, s21
	v_add_nc_u32_e32 v0, 16, v0
	s_clause 0x7
	buffer_load_dword v2, v0, s[0:3], 0 offen
	buffer_load_dword v3, v0, s[0:3], 0 offen offset:4
	buffer_load_dword v4, v0, s[0:3], 0 offen offset:8
	;; [unrolled: 1-line block ×6, first 2 shown]
	buffer_load_dword v109, v1, s[0:3], 0 offen
	s_waitcnt vmcnt(7)
	buffer_store_dword v2, v1, s[0:3], 0 offen
	s_waitcnt vmcnt(6)
	buffer_store_dword v3, v1, s[0:3], 0 offen offset:4
	s_waitcnt vmcnt(5)
	buffer_store_dword v4, v1, s[0:3], 0 offen offset:8
	;; [unrolled: 2-line block ×6, first 2 shown]
	s_waitcnt vmcnt(0)
	buffer_store_dword v109, v0, s[0:3], 0 offen
.LBB113_332:
	v_mov_b32_e32 v0, 0
	global_load_dword v1, v0, s[12:13] offset:156
	s_waitcnt vmcnt(0)
	v_add_nc_u32_e32 v1, -1, v1
	v_cmp_eq_u32_e32 vcc_lo, 39, v1
	s_cbranch_vccnz .LBB113_334
; %bb.333:
	v_lshlrev_b32_e32 v1, 4, v1
	v_mov_b32_e32 v2, s22
	v_add_nc_u32_e32 v1, 16, v1
	s_clause 0x7
	buffer_load_dword v3, v1, s[0:3], 0 offen
	buffer_load_dword v4, v1, s[0:3], 0 offen offset:4
	buffer_load_dword v5, v1, s[0:3], 0 offen offset:8
	;; [unrolled: 1-line block ×6, first 2 shown]
	buffer_load_dword v110, v2, s[0:3], 0 offen
	s_waitcnt vmcnt(7)
	buffer_store_dword v3, v2, s[0:3], 0 offen
	s_waitcnt vmcnt(6)
	buffer_store_dword v4, v2, s[0:3], 0 offen offset:4
	s_waitcnt vmcnt(5)
	buffer_store_dword v5, v2, s[0:3], 0 offen offset:8
	s_waitcnt vmcnt(4)
	buffer_store_dword v6, v2, s[0:3], 0 offen offset:12
	s_waitcnt vmcnt(3)
	buffer_store_dword v7, v1, s[0:3], 0 offen offset:12
	s_waitcnt vmcnt(2)
	buffer_store_dword v108, v1, s[0:3], 0 offen offset:8
	s_waitcnt vmcnt(1)
	buffer_store_dword v109, v1, s[0:3], 0 offen offset:4
	s_waitcnt vmcnt(0)
	buffer_store_dword v110, v1, s[0:3], 0 offen
.LBB113_334:
	global_load_dword v0, v0, s[12:13] offset:152
	s_waitcnt vmcnt(0)
	v_add_nc_u32_e32 v0, -1, v0
	v_cmp_eq_u32_e32 vcc_lo, 38, v0
	s_cbranch_vccnz .LBB113_336
; %bb.335:
	v_lshlrev_b32_e32 v0, 4, v0
	v_mov_b32_e32 v1, s23
	v_add_nc_u32_e32 v0, 16, v0
	s_clause 0x7
	buffer_load_dword v2, v0, s[0:3], 0 offen
	buffer_load_dword v3, v0, s[0:3], 0 offen offset:4
	buffer_load_dword v4, v0, s[0:3], 0 offen offset:8
	;; [unrolled: 1-line block ×6, first 2 shown]
	buffer_load_dword v109, v1, s[0:3], 0 offen
	s_waitcnt vmcnt(7)
	buffer_store_dword v2, v1, s[0:3], 0 offen
	s_waitcnt vmcnt(6)
	buffer_store_dword v3, v1, s[0:3], 0 offen offset:4
	s_waitcnt vmcnt(5)
	buffer_store_dword v4, v1, s[0:3], 0 offen offset:8
	;; [unrolled: 2-line block ×6, first 2 shown]
	s_waitcnt vmcnt(0)
	buffer_store_dword v109, v0, s[0:3], 0 offen
.LBB113_336:
	v_mov_b32_e32 v0, 0
	global_load_dword v1, v0, s[12:13] offset:148
	s_waitcnt vmcnt(0)
	v_add_nc_u32_e32 v1, -1, v1
	v_cmp_eq_u32_e32 vcc_lo, 37, v1
	s_cbranch_vccnz .LBB113_338
; %bb.337:
	v_lshlrev_b32_e32 v1, 4, v1
	v_mov_b32_e32 v2, s24
	v_add_nc_u32_e32 v1, 16, v1
	s_clause 0x7
	buffer_load_dword v3, v1, s[0:3], 0 offen
	buffer_load_dword v4, v1, s[0:3], 0 offen offset:4
	buffer_load_dword v5, v1, s[0:3], 0 offen offset:8
	;; [unrolled: 1-line block ×6, first 2 shown]
	buffer_load_dword v110, v2, s[0:3], 0 offen
	s_waitcnt vmcnt(7)
	buffer_store_dword v3, v2, s[0:3], 0 offen
	s_waitcnt vmcnt(6)
	buffer_store_dword v4, v2, s[0:3], 0 offen offset:4
	s_waitcnt vmcnt(5)
	buffer_store_dword v5, v2, s[0:3], 0 offen offset:8
	;; [unrolled: 2-line block ×6, first 2 shown]
	s_waitcnt vmcnt(0)
	buffer_store_dword v110, v1, s[0:3], 0 offen
.LBB113_338:
	global_load_dword v0, v0, s[12:13] offset:144
	s_waitcnt vmcnt(0)
	v_add_nc_u32_e32 v0, -1, v0
	v_cmp_eq_u32_e32 vcc_lo, 36, v0
	s_cbranch_vccnz .LBB113_340
; %bb.339:
	v_lshlrev_b32_e32 v0, 4, v0
	v_mov_b32_e32 v1, s25
	v_add_nc_u32_e32 v0, 16, v0
	s_clause 0x7
	buffer_load_dword v2, v0, s[0:3], 0 offen
	buffer_load_dword v3, v0, s[0:3], 0 offen offset:4
	buffer_load_dword v4, v0, s[0:3], 0 offen offset:8
	;; [unrolled: 1-line block ×6, first 2 shown]
	buffer_load_dword v109, v1, s[0:3], 0 offen
	s_waitcnt vmcnt(7)
	buffer_store_dword v2, v1, s[0:3], 0 offen
	s_waitcnt vmcnt(6)
	buffer_store_dword v3, v1, s[0:3], 0 offen offset:4
	s_waitcnt vmcnt(5)
	buffer_store_dword v4, v1, s[0:3], 0 offen offset:8
	;; [unrolled: 2-line block ×6, first 2 shown]
	s_waitcnt vmcnt(0)
	buffer_store_dword v109, v0, s[0:3], 0 offen
.LBB113_340:
	v_mov_b32_e32 v0, 0
	global_load_dword v1, v0, s[12:13] offset:140
	s_waitcnt vmcnt(0)
	v_add_nc_u32_e32 v1, -1, v1
	v_cmp_eq_u32_e32 vcc_lo, 35, v1
	s_cbranch_vccnz .LBB113_342
; %bb.341:
	v_lshlrev_b32_e32 v1, 4, v1
	v_mov_b32_e32 v2, s26
	v_add_nc_u32_e32 v1, 16, v1
	s_clause 0x7
	buffer_load_dword v3, v1, s[0:3], 0 offen
	buffer_load_dword v4, v1, s[0:3], 0 offen offset:4
	buffer_load_dword v5, v1, s[0:3], 0 offen offset:8
	;; [unrolled: 1-line block ×6, first 2 shown]
	buffer_load_dword v110, v2, s[0:3], 0 offen
	s_waitcnt vmcnt(7)
	buffer_store_dword v3, v2, s[0:3], 0 offen
	s_waitcnt vmcnt(6)
	buffer_store_dword v4, v2, s[0:3], 0 offen offset:4
	s_waitcnt vmcnt(5)
	buffer_store_dword v5, v2, s[0:3], 0 offen offset:8
	;; [unrolled: 2-line block ×6, first 2 shown]
	s_waitcnt vmcnt(0)
	buffer_store_dword v110, v1, s[0:3], 0 offen
.LBB113_342:
	global_load_dword v0, v0, s[12:13] offset:136
	s_waitcnt vmcnt(0)
	v_add_nc_u32_e32 v0, -1, v0
	v_cmp_eq_u32_e32 vcc_lo, 34, v0
	s_cbranch_vccnz .LBB113_344
; %bb.343:
	v_lshlrev_b32_e32 v0, 4, v0
	v_mov_b32_e32 v1, s27
	v_add_nc_u32_e32 v0, 16, v0
	s_clause 0x7
	buffer_load_dword v2, v0, s[0:3], 0 offen
	buffer_load_dword v3, v0, s[0:3], 0 offen offset:4
	buffer_load_dword v4, v0, s[0:3], 0 offen offset:8
	;; [unrolled: 1-line block ×6, first 2 shown]
	buffer_load_dword v109, v1, s[0:3], 0 offen
	s_waitcnt vmcnt(7)
	buffer_store_dword v2, v1, s[0:3], 0 offen
	s_waitcnt vmcnt(6)
	buffer_store_dword v3, v1, s[0:3], 0 offen offset:4
	s_waitcnt vmcnt(5)
	buffer_store_dword v4, v1, s[0:3], 0 offen offset:8
	;; [unrolled: 2-line block ×6, first 2 shown]
	s_waitcnt vmcnt(0)
	buffer_store_dword v109, v0, s[0:3], 0 offen
.LBB113_344:
	v_mov_b32_e32 v0, 0
	global_load_dword v1, v0, s[12:13] offset:132
	s_waitcnt vmcnt(0)
	v_add_nc_u32_e32 v1, -1, v1
	v_cmp_eq_u32_e32 vcc_lo, 33, v1
	s_cbranch_vccnz .LBB113_346
; %bb.345:
	v_lshlrev_b32_e32 v1, 4, v1
	v_mov_b32_e32 v2, s28
	v_add_nc_u32_e32 v1, 16, v1
	s_clause 0x7
	buffer_load_dword v3, v1, s[0:3], 0 offen
	buffer_load_dword v4, v1, s[0:3], 0 offen offset:4
	buffer_load_dword v5, v1, s[0:3], 0 offen offset:8
	;; [unrolled: 1-line block ×6, first 2 shown]
	buffer_load_dword v110, v2, s[0:3], 0 offen
	s_waitcnt vmcnt(7)
	buffer_store_dword v3, v2, s[0:3], 0 offen
	s_waitcnt vmcnt(6)
	buffer_store_dword v4, v2, s[0:3], 0 offen offset:4
	s_waitcnt vmcnt(5)
	buffer_store_dword v5, v2, s[0:3], 0 offen offset:8
	;; [unrolled: 2-line block ×6, first 2 shown]
	s_waitcnt vmcnt(0)
	buffer_store_dword v110, v1, s[0:3], 0 offen
.LBB113_346:
	global_load_dword v0, v0, s[12:13] offset:128
	s_waitcnt vmcnt(0)
	v_add_nc_u32_e32 v0, -1, v0
	v_cmp_eq_u32_e32 vcc_lo, 32, v0
	s_cbranch_vccnz .LBB113_348
; %bb.347:
	v_lshlrev_b32_e32 v0, 4, v0
	v_mov_b32_e32 v1, s29
	v_add_nc_u32_e32 v0, 16, v0
	s_clause 0x7
	buffer_load_dword v2, v0, s[0:3], 0 offen
	buffer_load_dword v3, v0, s[0:3], 0 offen offset:4
	buffer_load_dword v4, v0, s[0:3], 0 offen offset:8
	;; [unrolled: 1-line block ×6, first 2 shown]
	buffer_load_dword v109, v1, s[0:3], 0 offen
	s_waitcnt vmcnt(7)
	buffer_store_dword v2, v1, s[0:3], 0 offen
	s_waitcnt vmcnt(6)
	buffer_store_dword v3, v1, s[0:3], 0 offen offset:4
	s_waitcnt vmcnt(5)
	buffer_store_dword v4, v1, s[0:3], 0 offen offset:8
	;; [unrolled: 2-line block ×6, first 2 shown]
	s_waitcnt vmcnt(0)
	buffer_store_dword v109, v0, s[0:3], 0 offen
.LBB113_348:
	v_mov_b32_e32 v0, 0
	global_load_dword v1, v0, s[12:13] offset:124
	s_waitcnt vmcnt(0)
	v_add_nc_u32_e32 v1, -1, v1
	v_cmp_eq_u32_e32 vcc_lo, 31, v1
	s_cbranch_vccnz .LBB113_350
; %bb.349:
	v_lshlrev_b32_e32 v1, 4, v1
	v_mov_b32_e32 v2, s30
	v_add_nc_u32_e32 v1, 16, v1
	s_clause 0x7
	buffer_load_dword v3, v1, s[0:3], 0 offen
	buffer_load_dword v4, v1, s[0:3], 0 offen offset:4
	buffer_load_dword v5, v1, s[0:3], 0 offen offset:8
	;; [unrolled: 1-line block ×6, first 2 shown]
	buffer_load_dword v110, v2, s[0:3], 0 offen
	s_waitcnt vmcnt(7)
	buffer_store_dword v3, v2, s[0:3], 0 offen
	s_waitcnt vmcnt(6)
	buffer_store_dword v4, v2, s[0:3], 0 offen offset:4
	s_waitcnt vmcnt(5)
	buffer_store_dword v5, v2, s[0:3], 0 offen offset:8
	;; [unrolled: 2-line block ×6, first 2 shown]
	s_waitcnt vmcnt(0)
	buffer_store_dword v110, v1, s[0:3], 0 offen
.LBB113_350:
	global_load_dword v0, v0, s[12:13] offset:120
	s_waitcnt vmcnt(0)
	v_add_nc_u32_e32 v0, -1, v0
	v_cmp_eq_u32_e32 vcc_lo, 30, v0
	s_cbranch_vccnz .LBB113_352
; %bb.351:
	v_lshlrev_b32_e32 v0, 4, v0
	v_mov_b32_e32 v1, s31
	v_add_nc_u32_e32 v0, 16, v0
	s_clause 0x7
	buffer_load_dword v2, v0, s[0:3], 0 offen
	buffer_load_dword v3, v0, s[0:3], 0 offen offset:4
	buffer_load_dword v4, v0, s[0:3], 0 offen offset:8
	;; [unrolled: 1-line block ×6, first 2 shown]
	buffer_load_dword v109, v1, s[0:3], 0 offen
	s_waitcnt vmcnt(7)
	buffer_store_dword v2, v1, s[0:3], 0 offen
	s_waitcnt vmcnt(6)
	buffer_store_dword v3, v1, s[0:3], 0 offen offset:4
	s_waitcnt vmcnt(5)
	buffer_store_dword v4, v1, s[0:3], 0 offen offset:8
	;; [unrolled: 2-line block ×6, first 2 shown]
	s_waitcnt vmcnt(0)
	buffer_store_dword v109, v0, s[0:3], 0 offen
.LBB113_352:
	v_mov_b32_e32 v0, 0
	global_load_dword v1, v0, s[12:13] offset:116
	s_waitcnt vmcnt(0)
	v_add_nc_u32_e32 v1, -1, v1
	v_cmp_eq_u32_e32 vcc_lo, 29, v1
	s_cbranch_vccnz .LBB113_354
; %bb.353:
	v_lshlrev_b32_e32 v1, 4, v1
	v_mov_b32_e32 v2, s33
	v_add_nc_u32_e32 v1, 16, v1
	s_clause 0x7
	buffer_load_dword v3, v1, s[0:3], 0 offen
	buffer_load_dword v4, v1, s[0:3], 0 offen offset:4
	buffer_load_dword v5, v1, s[0:3], 0 offen offset:8
	;; [unrolled: 1-line block ×6, first 2 shown]
	buffer_load_dword v110, v2, s[0:3], 0 offen
	s_waitcnt vmcnt(7)
	buffer_store_dword v3, v2, s[0:3], 0 offen
	s_waitcnt vmcnt(6)
	buffer_store_dword v4, v2, s[0:3], 0 offen offset:4
	s_waitcnt vmcnt(5)
	buffer_store_dword v5, v2, s[0:3], 0 offen offset:8
	;; [unrolled: 2-line block ×6, first 2 shown]
	s_waitcnt vmcnt(0)
	buffer_store_dword v110, v1, s[0:3], 0 offen
.LBB113_354:
	global_load_dword v0, v0, s[12:13] offset:112
	s_waitcnt vmcnt(0)
	v_add_nc_u32_e32 v0, -1, v0
	v_cmp_eq_u32_e32 vcc_lo, 28, v0
	s_cbranch_vccnz .LBB113_356
; %bb.355:
	v_lshlrev_b32_e32 v0, 4, v0
	v_mov_b32_e32 v1, s34
	v_add_nc_u32_e32 v0, 16, v0
	s_clause 0x7
	buffer_load_dword v2, v0, s[0:3], 0 offen
	buffer_load_dword v3, v0, s[0:3], 0 offen offset:4
	buffer_load_dword v4, v0, s[0:3], 0 offen offset:8
	;; [unrolled: 1-line block ×6, first 2 shown]
	buffer_load_dword v109, v1, s[0:3], 0 offen
	s_waitcnt vmcnt(7)
	buffer_store_dword v2, v1, s[0:3], 0 offen
	s_waitcnt vmcnt(6)
	buffer_store_dword v3, v1, s[0:3], 0 offen offset:4
	s_waitcnt vmcnt(5)
	buffer_store_dword v4, v1, s[0:3], 0 offen offset:8
	;; [unrolled: 2-line block ×6, first 2 shown]
	s_waitcnt vmcnt(0)
	buffer_store_dword v109, v0, s[0:3], 0 offen
.LBB113_356:
	v_mov_b32_e32 v0, 0
	global_load_dword v1, v0, s[12:13] offset:108
	s_waitcnt vmcnt(0)
	v_add_nc_u32_e32 v1, -1, v1
	v_cmp_eq_u32_e32 vcc_lo, 27, v1
	s_cbranch_vccnz .LBB113_358
; %bb.357:
	v_lshlrev_b32_e32 v1, 4, v1
	v_mov_b32_e32 v2, s35
	v_add_nc_u32_e32 v1, 16, v1
	s_clause 0x7
	buffer_load_dword v3, v1, s[0:3], 0 offen
	buffer_load_dword v4, v1, s[0:3], 0 offen offset:4
	buffer_load_dword v5, v1, s[0:3], 0 offen offset:8
	;; [unrolled: 1-line block ×6, first 2 shown]
	buffer_load_dword v110, v2, s[0:3], 0 offen
	s_waitcnt vmcnt(7)
	buffer_store_dword v3, v2, s[0:3], 0 offen
	s_waitcnt vmcnt(6)
	buffer_store_dword v4, v2, s[0:3], 0 offen offset:4
	s_waitcnt vmcnt(5)
	buffer_store_dword v5, v2, s[0:3], 0 offen offset:8
	;; [unrolled: 2-line block ×6, first 2 shown]
	s_waitcnt vmcnt(0)
	buffer_store_dword v110, v1, s[0:3], 0 offen
.LBB113_358:
	global_load_dword v0, v0, s[12:13] offset:104
	s_waitcnt vmcnt(0)
	v_add_nc_u32_e32 v0, -1, v0
	v_cmp_eq_u32_e32 vcc_lo, 26, v0
	s_cbranch_vccnz .LBB113_360
; %bb.359:
	v_lshlrev_b32_e32 v0, 4, v0
	v_mov_b32_e32 v1, s36
	v_add_nc_u32_e32 v0, 16, v0
	s_clause 0x7
	buffer_load_dword v2, v0, s[0:3], 0 offen
	buffer_load_dword v3, v0, s[0:3], 0 offen offset:4
	buffer_load_dword v4, v0, s[0:3], 0 offen offset:8
	;; [unrolled: 1-line block ×6, first 2 shown]
	buffer_load_dword v109, v1, s[0:3], 0 offen
	s_waitcnt vmcnt(7)
	buffer_store_dword v2, v1, s[0:3], 0 offen
	s_waitcnt vmcnt(6)
	buffer_store_dword v3, v1, s[0:3], 0 offen offset:4
	s_waitcnt vmcnt(5)
	buffer_store_dword v4, v1, s[0:3], 0 offen offset:8
	;; [unrolled: 2-line block ×6, first 2 shown]
	s_waitcnt vmcnt(0)
	buffer_store_dword v109, v0, s[0:3], 0 offen
.LBB113_360:
	v_mov_b32_e32 v0, 0
	global_load_dword v1, v0, s[12:13] offset:100
	s_waitcnt vmcnt(0)
	v_add_nc_u32_e32 v1, -1, v1
	v_cmp_eq_u32_e32 vcc_lo, 25, v1
	s_cbranch_vccnz .LBB113_362
; %bb.361:
	v_lshlrev_b32_e32 v1, 4, v1
	v_mov_b32_e32 v2, s37
	v_add_nc_u32_e32 v1, 16, v1
	s_clause 0x7
	buffer_load_dword v3, v1, s[0:3], 0 offen
	buffer_load_dword v4, v1, s[0:3], 0 offen offset:4
	buffer_load_dword v5, v1, s[0:3], 0 offen offset:8
	buffer_load_dword v6, v1, s[0:3], 0 offen offset:12
	buffer_load_dword v7, v2, s[0:3], 0 offen offset:12
	buffer_load_dword v108, v2, s[0:3], 0 offen offset:8
	buffer_load_dword v109, v2, s[0:3], 0 offen offset:4
	buffer_load_dword v110, v2, s[0:3], 0 offen
	s_waitcnt vmcnt(7)
	buffer_store_dword v3, v2, s[0:3], 0 offen
	s_waitcnt vmcnt(6)
	buffer_store_dword v4, v2, s[0:3], 0 offen offset:4
	s_waitcnt vmcnt(5)
	buffer_store_dword v5, v2, s[0:3], 0 offen offset:8
	;; [unrolled: 2-line block ×6, first 2 shown]
	s_waitcnt vmcnt(0)
	buffer_store_dword v110, v1, s[0:3], 0 offen
.LBB113_362:
	global_load_dword v0, v0, s[12:13] offset:96
	s_waitcnt vmcnt(0)
	v_add_nc_u32_e32 v0, -1, v0
	v_cmp_eq_u32_e32 vcc_lo, 24, v0
	s_cbranch_vccnz .LBB113_364
; %bb.363:
	v_lshlrev_b32_e32 v0, 4, v0
	v_mov_b32_e32 v1, s38
	v_add_nc_u32_e32 v0, 16, v0
	s_clause 0x7
	buffer_load_dword v2, v0, s[0:3], 0 offen
	buffer_load_dword v3, v0, s[0:3], 0 offen offset:4
	buffer_load_dword v4, v0, s[0:3], 0 offen offset:8
	;; [unrolled: 1-line block ×6, first 2 shown]
	buffer_load_dword v109, v1, s[0:3], 0 offen
	s_waitcnt vmcnt(7)
	buffer_store_dword v2, v1, s[0:3], 0 offen
	s_waitcnt vmcnt(6)
	buffer_store_dword v3, v1, s[0:3], 0 offen offset:4
	s_waitcnt vmcnt(5)
	buffer_store_dword v4, v1, s[0:3], 0 offen offset:8
	;; [unrolled: 2-line block ×6, first 2 shown]
	s_waitcnt vmcnt(0)
	buffer_store_dword v109, v0, s[0:3], 0 offen
.LBB113_364:
	v_mov_b32_e32 v0, 0
	global_load_dword v1, v0, s[12:13] offset:92
	s_waitcnt vmcnt(0)
	v_add_nc_u32_e32 v1, -1, v1
	v_cmp_eq_u32_e32 vcc_lo, 23, v1
	s_cbranch_vccnz .LBB113_366
; %bb.365:
	v_lshlrev_b32_e32 v1, 4, v1
	v_mov_b32_e32 v2, s39
	v_add_nc_u32_e32 v1, 16, v1
	s_clause 0x7
	buffer_load_dword v3, v1, s[0:3], 0 offen
	buffer_load_dword v4, v1, s[0:3], 0 offen offset:4
	buffer_load_dword v5, v1, s[0:3], 0 offen offset:8
	;; [unrolled: 1-line block ×6, first 2 shown]
	buffer_load_dword v110, v2, s[0:3], 0 offen
	s_waitcnt vmcnt(7)
	buffer_store_dword v3, v2, s[0:3], 0 offen
	s_waitcnt vmcnt(6)
	buffer_store_dword v4, v2, s[0:3], 0 offen offset:4
	s_waitcnt vmcnt(5)
	buffer_store_dword v5, v2, s[0:3], 0 offen offset:8
	;; [unrolled: 2-line block ×6, first 2 shown]
	s_waitcnt vmcnt(0)
	buffer_store_dword v110, v1, s[0:3], 0 offen
.LBB113_366:
	global_load_dword v0, v0, s[12:13] offset:88
	s_waitcnt vmcnt(0)
	v_add_nc_u32_e32 v0, -1, v0
	v_cmp_eq_u32_e32 vcc_lo, 22, v0
	s_cbranch_vccnz .LBB113_368
; %bb.367:
	v_lshlrev_b32_e32 v0, 4, v0
	v_mov_b32_e32 v1, s40
	v_add_nc_u32_e32 v0, 16, v0
	s_clause 0x7
	buffer_load_dword v2, v0, s[0:3], 0 offen
	buffer_load_dword v3, v0, s[0:3], 0 offen offset:4
	buffer_load_dword v4, v0, s[0:3], 0 offen offset:8
	;; [unrolled: 1-line block ×6, first 2 shown]
	buffer_load_dword v109, v1, s[0:3], 0 offen
	s_waitcnt vmcnt(7)
	buffer_store_dword v2, v1, s[0:3], 0 offen
	s_waitcnt vmcnt(6)
	buffer_store_dword v3, v1, s[0:3], 0 offen offset:4
	s_waitcnt vmcnt(5)
	buffer_store_dword v4, v1, s[0:3], 0 offen offset:8
	;; [unrolled: 2-line block ×6, first 2 shown]
	s_waitcnt vmcnt(0)
	buffer_store_dword v109, v0, s[0:3], 0 offen
.LBB113_368:
	v_mov_b32_e32 v0, 0
	global_load_dword v1, v0, s[12:13] offset:84
	s_waitcnt vmcnt(0)
	v_add_nc_u32_e32 v1, -1, v1
	v_cmp_eq_u32_e32 vcc_lo, 21, v1
	s_cbranch_vccnz .LBB113_370
; %bb.369:
	v_lshlrev_b32_e32 v1, 4, v1
	v_mov_b32_e32 v2, s41
	v_add_nc_u32_e32 v1, 16, v1
	s_clause 0x7
	buffer_load_dword v3, v1, s[0:3], 0 offen
	buffer_load_dword v4, v1, s[0:3], 0 offen offset:4
	buffer_load_dword v5, v1, s[0:3], 0 offen offset:8
	;; [unrolled: 1-line block ×6, first 2 shown]
	buffer_load_dword v110, v2, s[0:3], 0 offen
	s_waitcnt vmcnt(7)
	buffer_store_dword v3, v2, s[0:3], 0 offen
	s_waitcnt vmcnt(6)
	buffer_store_dword v4, v2, s[0:3], 0 offen offset:4
	s_waitcnt vmcnt(5)
	buffer_store_dword v5, v2, s[0:3], 0 offen offset:8
	;; [unrolled: 2-line block ×6, first 2 shown]
	s_waitcnt vmcnt(0)
	buffer_store_dword v110, v1, s[0:3], 0 offen
.LBB113_370:
	global_load_dword v0, v0, s[12:13] offset:80
	s_waitcnt vmcnt(0)
	v_add_nc_u32_e32 v0, -1, v0
	v_cmp_eq_u32_e32 vcc_lo, 20, v0
	s_cbranch_vccnz .LBB113_372
; %bb.371:
	v_lshlrev_b32_e32 v0, 4, v0
	v_mov_b32_e32 v1, s42
	v_add_nc_u32_e32 v0, 16, v0
	s_clause 0x7
	buffer_load_dword v2, v0, s[0:3], 0 offen
	buffer_load_dword v3, v0, s[0:3], 0 offen offset:4
	buffer_load_dword v4, v0, s[0:3], 0 offen offset:8
	;; [unrolled: 1-line block ×6, first 2 shown]
	buffer_load_dword v109, v1, s[0:3], 0 offen
	s_waitcnt vmcnt(7)
	buffer_store_dword v2, v1, s[0:3], 0 offen
	s_waitcnt vmcnt(6)
	buffer_store_dword v3, v1, s[0:3], 0 offen offset:4
	s_waitcnt vmcnt(5)
	buffer_store_dword v4, v1, s[0:3], 0 offen offset:8
	;; [unrolled: 2-line block ×6, first 2 shown]
	s_waitcnt vmcnt(0)
	buffer_store_dword v109, v0, s[0:3], 0 offen
.LBB113_372:
	v_mov_b32_e32 v0, 0
	global_load_dword v1, v0, s[12:13] offset:76
	s_waitcnt vmcnt(0)
	v_add_nc_u32_e32 v1, -1, v1
	v_cmp_eq_u32_e32 vcc_lo, 19, v1
	s_cbranch_vccnz .LBB113_374
; %bb.373:
	v_lshlrev_b32_e32 v1, 4, v1
	v_mov_b32_e32 v2, s43
	v_add_nc_u32_e32 v1, 16, v1
	s_clause 0x7
	buffer_load_dword v3, v1, s[0:3], 0 offen
	buffer_load_dword v4, v1, s[0:3], 0 offen offset:4
	buffer_load_dword v5, v1, s[0:3], 0 offen offset:8
	;; [unrolled: 1-line block ×6, first 2 shown]
	buffer_load_dword v110, v2, s[0:3], 0 offen
	s_waitcnt vmcnt(7)
	buffer_store_dword v3, v2, s[0:3], 0 offen
	s_waitcnt vmcnt(6)
	buffer_store_dword v4, v2, s[0:3], 0 offen offset:4
	s_waitcnt vmcnt(5)
	buffer_store_dword v5, v2, s[0:3], 0 offen offset:8
	s_waitcnt vmcnt(4)
	buffer_store_dword v6, v2, s[0:3], 0 offen offset:12
	s_waitcnt vmcnt(3)
	buffer_store_dword v7, v1, s[0:3], 0 offen offset:12
	s_waitcnt vmcnt(2)
	buffer_store_dword v108, v1, s[0:3], 0 offen offset:8
	s_waitcnt vmcnt(1)
	buffer_store_dword v109, v1, s[0:3], 0 offen offset:4
	s_waitcnt vmcnt(0)
	buffer_store_dword v110, v1, s[0:3], 0 offen
.LBB113_374:
	global_load_dword v0, v0, s[12:13] offset:72
	s_waitcnt vmcnt(0)
	v_add_nc_u32_e32 v0, -1, v0
	v_cmp_eq_u32_e32 vcc_lo, 18, v0
	s_cbranch_vccnz .LBB113_376
; %bb.375:
	v_lshlrev_b32_e32 v0, 4, v0
	v_mov_b32_e32 v1, s44
	v_add_nc_u32_e32 v0, 16, v0
	s_clause 0x7
	buffer_load_dword v2, v0, s[0:3], 0 offen
	buffer_load_dword v3, v0, s[0:3], 0 offen offset:4
	buffer_load_dword v4, v0, s[0:3], 0 offen offset:8
	;; [unrolled: 1-line block ×6, first 2 shown]
	buffer_load_dword v109, v1, s[0:3], 0 offen
	s_waitcnt vmcnt(7)
	buffer_store_dword v2, v1, s[0:3], 0 offen
	s_waitcnt vmcnt(6)
	buffer_store_dword v3, v1, s[0:3], 0 offen offset:4
	s_waitcnt vmcnt(5)
	buffer_store_dword v4, v1, s[0:3], 0 offen offset:8
	;; [unrolled: 2-line block ×6, first 2 shown]
	s_waitcnt vmcnt(0)
	buffer_store_dword v109, v0, s[0:3], 0 offen
.LBB113_376:
	v_mov_b32_e32 v0, 0
	global_load_dword v1, v0, s[12:13] offset:68
	s_waitcnt vmcnt(0)
	v_add_nc_u32_e32 v1, -1, v1
	v_cmp_eq_u32_e32 vcc_lo, 17, v1
	s_cbranch_vccnz .LBB113_378
; %bb.377:
	v_lshlrev_b32_e32 v1, 4, v1
	v_mov_b32_e32 v2, s45
	v_add_nc_u32_e32 v1, 16, v1
	s_clause 0x7
	buffer_load_dword v3, v1, s[0:3], 0 offen
	buffer_load_dword v4, v1, s[0:3], 0 offen offset:4
	buffer_load_dword v5, v1, s[0:3], 0 offen offset:8
	;; [unrolled: 1-line block ×6, first 2 shown]
	buffer_load_dword v110, v2, s[0:3], 0 offen
	s_waitcnt vmcnt(7)
	buffer_store_dword v3, v2, s[0:3], 0 offen
	s_waitcnt vmcnt(6)
	buffer_store_dword v4, v2, s[0:3], 0 offen offset:4
	s_waitcnt vmcnt(5)
	buffer_store_dword v5, v2, s[0:3], 0 offen offset:8
	;; [unrolled: 2-line block ×6, first 2 shown]
	s_waitcnt vmcnt(0)
	buffer_store_dword v110, v1, s[0:3], 0 offen
.LBB113_378:
	global_load_dword v0, v0, s[12:13] offset:64
	s_waitcnt vmcnt(0)
	v_add_nc_u32_e32 v0, -1, v0
	v_cmp_eq_u32_e32 vcc_lo, 16, v0
	s_cbranch_vccnz .LBB113_380
; %bb.379:
	v_lshlrev_b32_e32 v0, 4, v0
	v_mov_b32_e32 v1, s46
	v_add_nc_u32_e32 v0, 16, v0
	s_clause 0x7
	buffer_load_dword v2, v0, s[0:3], 0 offen
	buffer_load_dword v3, v0, s[0:3], 0 offen offset:4
	buffer_load_dword v4, v0, s[0:3], 0 offen offset:8
	;; [unrolled: 1-line block ×6, first 2 shown]
	buffer_load_dword v109, v1, s[0:3], 0 offen
	s_waitcnt vmcnt(7)
	buffer_store_dword v2, v1, s[0:3], 0 offen
	s_waitcnt vmcnt(6)
	buffer_store_dword v3, v1, s[0:3], 0 offen offset:4
	s_waitcnt vmcnt(5)
	buffer_store_dword v4, v1, s[0:3], 0 offen offset:8
	;; [unrolled: 2-line block ×6, first 2 shown]
	s_waitcnt vmcnt(0)
	buffer_store_dword v109, v0, s[0:3], 0 offen
.LBB113_380:
	v_mov_b32_e32 v0, 0
	global_load_dword v1, v0, s[12:13] offset:60
	s_waitcnt vmcnt(0)
	v_add_nc_u32_e32 v1, -1, v1
	v_cmp_eq_u32_e32 vcc_lo, 15, v1
	s_cbranch_vccnz .LBB113_382
; %bb.381:
	v_lshlrev_b32_e32 v1, 4, v1
	v_mov_b32_e32 v2, s47
	v_add_nc_u32_e32 v1, 16, v1
	s_clause 0x7
	buffer_load_dword v3, v1, s[0:3], 0 offen
	buffer_load_dword v4, v1, s[0:3], 0 offen offset:4
	buffer_load_dword v5, v1, s[0:3], 0 offen offset:8
	;; [unrolled: 1-line block ×6, first 2 shown]
	buffer_load_dword v110, v2, s[0:3], 0 offen
	s_waitcnt vmcnt(7)
	buffer_store_dword v3, v2, s[0:3], 0 offen
	s_waitcnt vmcnt(6)
	buffer_store_dword v4, v2, s[0:3], 0 offen offset:4
	s_waitcnt vmcnt(5)
	buffer_store_dword v5, v2, s[0:3], 0 offen offset:8
	s_waitcnt vmcnt(4)
	buffer_store_dword v6, v2, s[0:3], 0 offen offset:12
	s_waitcnt vmcnt(3)
	buffer_store_dword v7, v1, s[0:3], 0 offen offset:12
	s_waitcnt vmcnt(2)
	buffer_store_dword v108, v1, s[0:3], 0 offen offset:8
	s_waitcnt vmcnt(1)
	buffer_store_dword v109, v1, s[0:3], 0 offen offset:4
	s_waitcnt vmcnt(0)
	buffer_store_dword v110, v1, s[0:3], 0 offen
.LBB113_382:
	global_load_dword v0, v0, s[12:13] offset:56
	s_waitcnt vmcnt(0)
	v_add_nc_u32_e32 v0, -1, v0
	v_cmp_eq_u32_e32 vcc_lo, 14, v0
	s_cbranch_vccnz .LBB113_384
; %bb.383:
	v_lshlrev_b32_e32 v0, 4, v0
	v_mov_b32_e32 v1, s48
	v_add_nc_u32_e32 v0, 16, v0
	s_clause 0x7
	buffer_load_dword v2, v0, s[0:3], 0 offen
	buffer_load_dword v3, v0, s[0:3], 0 offen offset:4
	buffer_load_dword v4, v0, s[0:3], 0 offen offset:8
	;; [unrolled: 1-line block ×6, first 2 shown]
	buffer_load_dword v109, v1, s[0:3], 0 offen
	s_waitcnt vmcnt(7)
	buffer_store_dword v2, v1, s[0:3], 0 offen
	s_waitcnt vmcnt(6)
	buffer_store_dword v3, v1, s[0:3], 0 offen offset:4
	s_waitcnt vmcnt(5)
	buffer_store_dword v4, v1, s[0:3], 0 offen offset:8
	;; [unrolled: 2-line block ×6, first 2 shown]
	s_waitcnt vmcnt(0)
	buffer_store_dword v109, v0, s[0:3], 0 offen
.LBB113_384:
	v_mov_b32_e32 v0, 0
	global_load_dword v1, v0, s[12:13] offset:52
	s_waitcnt vmcnt(0)
	v_add_nc_u32_e32 v1, -1, v1
	v_cmp_eq_u32_e32 vcc_lo, 13, v1
	s_cbranch_vccnz .LBB113_386
; %bb.385:
	v_lshlrev_b32_e32 v1, 4, v1
	v_mov_b32_e32 v2, s49
	v_add_nc_u32_e32 v1, 16, v1
	s_clause 0x7
	buffer_load_dword v3, v1, s[0:3], 0 offen
	buffer_load_dword v4, v1, s[0:3], 0 offen offset:4
	buffer_load_dword v5, v1, s[0:3], 0 offen offset:8
	;; [unrolled: 1-line block ×6, first 2 shown]
	buffer_load_dword v110, v2, s[0:3], 0 offen
	s_waitcnt vmcnt(7)
	buffer_store_dword v3, v2, s[0:3], 0 offen
	s_waitcnt vmcnt(6)
	buffer_store_dword v4, v2, s[0:3], 0 offen offset:4
	s_waitcnt vmcnt(5)
	buffer_store_dword v5, v2, s[0:3], 0 offen offset:8
	;; [unrolled: 2-line block ×6, first 2 shown]
	s_waitcnt vmcnt(0)
	buffer_store_dword v110, v1, s[0:3], 0 offen
.LBB113_386:
	global_load_dword v0, v0, s[12:13] offset:48
	s_waitcnt vmcnt(0)
	v_add_nc_u32_e32 v0, -1, v0
	v_cmp_eq_u32_e32 vcc_lo, 12, v0
	s_cbranch_vccnz .LBB113_388
; %bb.387:
	v_lshlrev_b32_e32 v0, 4, v0
	v_mov_b32_e32 v1, s50
	v_add_nc_u32_e32 v0, 16, v0
	s_clause 0x7
	buffer_load_dword v2, v0, s[0:3], 0 offen
	buffer_load_dword v3, v0, s[0:3], 0 offen offset:4
	buffer_load_dword v4, v0, s[0:3], 0 offen offset:8
	buffer_load_dword v5, v0, s[0:3], 0 offen offset:12
	buffer_load_dword v6, v1, s[0:3], 0 offen offset:12
	buffer_load_dword v7, v1, s[0:3], 0 offen offset:8
	buffer_load_dword v108, v1, s[0:3], 0 offen offset:4
	buffer_load_dword v109, v1, s[0:3], 0 offen
	s_waitcnt vmcnt(7)
	buffer_store_dword v2, v1, s[0:3], 0 offen
	s_waitcnt vmcnt(6)
	buffer_store_dword v3, v1, s[0:3], 0 offen offset:4
	s_waitcnt vmcnt(5)
	buffer_store_dword v4, v1, s[0:3], 0 offen offset:8
	;; [unrolled: 2-line block ×6, first 2 shown]
	s_waitcnt vmcnt(0)
	buffer_store_dword v109, v0, s[0:3], 0 offen
.LBB113_388:
	v_mov_b32_e32 v0, 0
	global_load_dword v1, v0, s[12:13] offset:44
	s_waitcnt vmcnt(0)
	v_add_nc_u32_e32 v1, -1, v1
	v_cmp_eq_u32_e32 vcc_lo, 11, v1
	s_cbranch_vccnz .LBB113_390
; %bb.389:
	v_lshlrev_b32_e32 v1, 4, v1
	v_mov_b32_e32 v2, s51
	v_add_nc_u32_e32 v1, 16, v1
	s_clause 0x7
	buffer_load_dword v3, v1, s[0:3], 0 offen
	buffer_load_dword v4, v1, s[0:3], 0 offen offset:4
	buffer_load_dword v5, v1, s[0:3], 0 offen offset:8
	;; [unrolled: 1-line block ×6, first 2 shown]
	buffer_load_dword v110, v2, s[0:3], 0 offen
	s_waitcnt vmcnt(7)
	buffer_store_dword v3, v2, s[0:3], 0 offen
	s_waitcnt vmcnt(6)
	buffer_store_dword v4, v2, s[0:3], 0 offen offset:4
	s_waitcnt vmcnt(5)
	buffer_store_dword v5, v2, s[0:3], 0 offen offset:8
	;; [unrolled: 2-line block ×6, first 2 shown]
	s_waitcnt vmcnt(0)
	buffer_store_dword v110, v1, s[0:3], 0 offen
.LBB113_390:
	global_load_dword v0, v0, s[12:13] offset:40
	s_waitcnt vmcnt(0)
	v_add_nc_u32_e32 v0, -1, v0
	v_cmp_eq_u32_e32 vcc_lo, 10, v0
	s_cbranch_vccnz .LBB113_392
; %bb.391:
	v_lshlrev_b32_e32 v0, 4, v0
	v_mov_b32_e32 v1, s52
	v_add_nc_u32_e32 v0, 16, v0
	s_clause 0x7
	buffer_load_dword v2, v0, s[0:3], 0 offen
	buffer_load_dword v3, v0, s[0:3], 0 offen offset:4
	buffer_load_dword v4, v0, s[0:3], 0 offen offset:8
	;; [unrolled: 1-line block ×6, first 2 shown]
	buffer_load_dword v109, v1, s[0:3], 0 offen
	s_waitcnt vmcnt(7)
	buffer_store_dword v2, v1, s[0:3], 0 offen
	s_waitcnt vmcnt(6)
	buffer_store_dword v3, v1, s[0:3], 0 offen offset:4
	s_waitcnt vmcnt(5)
	buffer_store_dword v4, v1, s[0:3], 0 offen offset:8
	;; [unrolled: 2-line block ×6, first 2 shown]
	s_waitcnt vmcnt(0)
	buffer_store_dword v109, v0, s[0:3], 0 offen
.LBB113_392:
	v_mov_b32_e32 v0, 0
	global_load_dword v1, v0, s[12:13] offset:36
	s_waitcnt vmcnt(0)
	v_add_nc_u32_e32 v1, -1, v1
	v_cmp_eq_u32_e32 vcc_lo, 9, v1
	s_cbranch_vccnz .LBB113_394
; %bb.393:
	v_lshlrev_b32_e32 v1, 4, v1
	v_mov_b32_e32 v2, s53
	v_add_nc_u32_e32 v1, 16, v1
	s_clause 0x7
	buffer_load_dword v3, v1, s[0:3], 0 offen
	buffer_load_dword v4, v1, s[0:3], 0 offen offset:4
	buffer_load_dword v5, v1, s[0:3], 0 offen offset:8
	;; [unrolled: 1-line block ×6, first 2 shown]
	buffer_load_dword v110, v2, s[0:3], 0 offen
	s_waitcnt vmcnt(7)
	buffer_store_dword v3, v2, s[0:3], 0 offen
	s_waitcnt vmcnt(6)
	buffer_store_dword v4, v2, s[0:3], 0 offen offset:4
	s_waitcnt vmcnt(5)
	buffer_store_dword v5, v2, s[0:3], 0 offen offset:8
	s_waitcnt vmcnt(4)
	buffer_store_dword v6, v2, s[0:3], 0 offen offset:12
	s_waitcnt vmcnt(3)
	buffer_store_dword v7, v1, s[0:3], 0 offen offset:12
	s_waitcnt vmcnt(2)
	buffer_store_dword v108, v1, s[0:3], 0 offen offset:8
	s_waitcnt vmcnt(1)
	buffer_store_dword v109, v1, s[0:3], 0 offen offset:4
	s_waitcnt vmcnt(0)
	buffer_store_dword v110, v1, s[0:3], 0 offen
.LBB113_394:
	global_load_dword v0, v0, s[12:13] offset:32
	s_waitcnt vmcnt(0)
	v_add_nc_u32_e32 v0, -1, v0
	v_cmp_eq_u32_e32 vcc_lo, 8, v0
	s_cbranch_vccnz .LBB113_396
; %bb.395:
	v_lshlrev_b32_e32 v0, 4, v0
	v_mov_b32_e32 v1, s54
	v_add_nc_u32_e32 v0, 16, v0
	s_clause 0x7
	buffer_load_dword v2, v0, s[0:3], 0 offen
	buffer_load_dword v3, v0, s[0:3], 0 offen offset:4
	buffer_load_dword v4, v0, s[0:3], 0 offen offset:8
	;; [unrolled: 1-line block ×6, first 2 shown]
	buffer_load_dword v109, v1, s[0:3], 0 offen
	s_waitcnt vmcnt(7)
	buffer_store_dword v2, v1, s[0:3], 0 offen
	s_waitcnt vmcnt(6)
	buffer_store_dword v3, v1, s[0:3], 0 offen offset:4
	s_waitcnt vmcnt(5)
	buffer_store_dword v4, v1, s[0:3], 0 offen offset:8
	s_waitcnt vmcnt(4)
	buffer_store_dword v5, v1, s[0:3], 0 offen offset:12
	s_waitcnt vmcnt(3)
	buffer_store_dword v6, v0, s[0:3], 0 offen offset:12
	s_waitcnt vmcnt(2)
	buffer_store_dword v7, v0, s[0:3], 0 offen offset:8
	s_waitcnt vmcnt(1)
	buffer_store_dword v108, v0, s[0:3], 0 offen offset:4
	s_waitcnt vmcnt(0)
	buffer_store_dword v109, v0, s[0:3], 0 offen
.LBB113_396:
	v_mov_b32_e32 v0, 0
	global_load_dword v1, v0, s[12:13] offset:28
	s_waitcnt vmcnt(0)
	v_add_nc_u32_e32 v1, -1, v1
	v_cmp_eq_u32_e32 vcc_lo, 7, v1
	s_cbranch_vccnz .LBB113_398
; %bb.397:
	v_lshlrev_b32_e32 v1, 4, v1
	v_mov_b32_e32 v2, s55
	v_add_nc_u32_e32 v1, 16, v1
	s_clause 0x7
	buffer_load_dword v3, v1, s[0:3], 0 offen
	buffer_load_dword v4, v1, s[0:3], 0 offen offset:4
	buffer_load_dword v5, v1, s[0:3], 0 offen offset:8
	;; [unrolled: 1-line block ×6, first 2 shown]
	buffer_load_dword v110, v2, s[0:3], 0 offen
	s_waitcnt vmcnt(7)
	buffer_store_dword v3, v2, s[0:3], 0 offen
	s_waitcnt vmcnt(6)
	buffer_store_dword v4, v2, s[0:3], 0 offen offset:4
	s_waitcnt vmcnt(5)
	buffer_store_dword v5, v2, s[0:3], 0 offen offset:8
	;; [unrolled: 2-line block ×6, first 2 shown]
	s_waitcnt vmcnt(0)
	buffer_store_dword v110, v1, s[0:3], 0 offen
.LBB113_398:
	global_load_dword v0, v0, s[12:13] offset:24
	s_waitcnt vmcnt(0)
	v_add_nc_u32_e32 v0, -1, v0
	v_cmp_eq_u32_e32 vcc_lo, 6, v0
	s_cbranch_vccnz .LBB113_400
; %bb.399:
	v_lshlrev_b32_e32 v0, 4, v0
	v_mov_b32_e32 v1, s56
	v_add_nc_u32_e32 v0, 16, v0
	s_clause 0x7
	buffer_load_dword v2, v0, s[0:3], 0 offen
	buffer_load_dword v3, v0, s[0:3], 0 offen offset:4
	buffer_load_dword v4, v0, s[0:3], 0 offen offset:8
	;; [unrolled: 1-line block ×6, first 2 shown]
	buffer_load_dword v109, v1, s[0:3], 0 offen
	s_waitcnt vmcnt(7)
	buffer_store_dword v2, v1, s[0:3], 0 offen
	s_waitcnt vmcnt(6)
	buffer_store_dword v3, v1, s[0:3], 0 offen offset:4
	s_waitcnt vmcnt(5)
	buffer_store_dword v4, v1, s[0:3], 0 offen offset:8
	;; [unrolled: 2-line block ×6, first 2 shown]
	s_waitcnt vmcnt(0)
	buffer_store_dword v109, v0, s[0:3], 0 offen
.LBB113_400:
	v_mov_b32_e32 v0, 0
	global_load_dword v1, v0, s[12:13] offset:20
	s_waitcnt vmcnt(0)
	v_add_nc_u32_e32 v1, -1, v1
	v_cmp_eq_u32_e32 vcc_lo, 5, v1
	s_cbranch_vccnz .LBB113_402
; %bb.401:
	v_lshlrev_b32_e32 v1, 4, v1
	v_mov_b32_e32 v2, s57
	v_add_nc_u32_e32 v1, 16, v1
	s_clause 0x7
	buffer_load_dword v3, v1, s[0:3], 0 offen
	buffer_load_dword v4, v1, s[0:3], 0 offen offset:4
	buffer_load_dword v5, v1, s[0:3], 0 offen offset:8
	;; [unrolled: 1-line block ×6, first 2 shown]
	buffer_load_dword v110, v2, s[0:3], 0 offen
	s_waitcnt vmcnt(7)
	buffer_store_dword v3, v2, s[0:3], 0 offen
	s_waitcnt vmcnt(6)
	buffer_store_dword v4, v2, s[0:3], 0 offen offset:4
	s_waitcnt vmcnt(5)
	buffer_store_dword v5, v2, s[0:3], 0 offen offset:8
	;; [unrolled: 2-line block ×6, first 2 shown]
	s_waitcnt vmcnt(0)
	buffer_store_dword v110, v1, s[0:3], 0 offen
.LBB113_402:
	global_load_dword v0, v0, s[12:13] offset:16
	s_waitcnt vmcnt(0)
	v_add_nc_u32_e32 v0, -1, v0
	v_cmp_eq_u32_e32 vcc_lo, 4, v0
	s_cbranch_vccnz .LBB113_404
; %bb.403:
	v_lshlrev_b32_e32 v0, 4, v0
	v_mov_b32_e32 v1, s58
	v_add_nc_u32_e32 v0, 16, v0
	s_clause 0x7
	buffer_load_dword v2, v0, s[0:3], 0 offen
	buffer_load_dword v3, v0, s[0:3], 0 offen offset:4
	buffer_load_dword v4, v0, s[0:3], 0 offen offset:8
	;; [unrolled: 1-line block ×6, first 2 shown]
	buffer_load_dword v109, v1, s[0:3], 0 offen
	s_waitcnt vmcnt(7)
	buffer_store_dword v2, v1, s[0:3], 0 offen
	s_waitcnt vmcnt(6)
	buffer_store_dword v3, v1, s[0:3], 0 offen offset:4
	s_waitcnt vmcnt(5)
	buffer_store_dword v4, v1, s[0:3], 0 offen offset:8
	;; [unrolled: 2-line block ×6, first 2 shown]
	s_waitcnt vmcnt(0)
	buffer_store_dword v109, v0, s[0:3], 0 offen
.LBB113_404:
	v_mov_b32_e32 v0, 0
	global_load_dword v1, v0, s[12:13] offset:12
	s_waitcnt vmcnt(0)
	v_add_nc_u32_e32 v1, -1, v1
	v_cmp_eq_u32_e32 vcc_lo, 3, v1
	s_cbranch_vccnz .LBB113_406
; %bb.405:
	v_lshlrev_b32_e32 v1, 4, v1
	v_mov_b32_e32 v2, s59
	v_add_nc_u32_e32 v1, 16, v1
	s_clause 0x7
	buffer_load_dword v3, v1, s[0:3], 0 offen
	buffer_load_dword v4, v1, s[0:3], 0 offen offset:4
	buffer_load_dword v5, v1, s[0:3], 0 offen offset:8
	;; [unrolled: 1-line block ×6, first 2 shown]
	buffer_load_dword v110, v2, s[0:3], 0 offen
	s_waitcnt vmcnt(7)
	buffer_store_dword v3, v2, s[0:3], 0 offen
	s_waitcnt vmcnt(6)
	buffer_store_dword v4, v2, s[0:3], 0 offen offset:4
	s_waitcnt vmcnt(5)
	buffer_store_dword v5, v2, s[0:3], 0 offen offset:8
	;; [unrolled: 2-line block ×6, first 2 shown]
	s_waitcnt vmcnt(0)
	buffer_store_dword v110, v1, s[0:3], 0 offen
.LBB113_406:
	global_load_dword v0, v0, s[12:13] offset:8
	s_waitcnt vmcnt(0)
	v_add_nc_u32_e32 v0, -1, v0
	v_cmp_eq_u32_e32 vcc_lo, 2, v0
	s_cbranch_vccnz .LBB113_408
; %bb.407:
	v_lshlrev_b32_e32 v0, 4, v0
	v_mov_b32_e32 v1, s60
	v_add_nc_u32_e32 v0, 16, v0
	s_clause 0x7
	buffer_load_dword v2, v0, s[0:3], 0 offen
	buffer_load_dword v3, v0, s[0:3], 0 offen offset:4
	buffer_load_dword v4, v0, s[0:3], 0 offen offset:8
	;; [unrolled: 1-line block ×6, first 2 shown]
	buffer_load_dword v109, v1, s[0:3], 0 offen
	s_waitcnt vmcnt(7)
	buffer_store_dword v2, v1, s[0:3], 0 offen
	s_waitcnt vmcnt(6)
	buffer_store_dword v3, v1, s[0:3], 0 offen offset:4
	s_waitcnt vmcnt(5)
	buffer_store_dword v4, v1, s[0:3], 0 offen offset:8
	;; [unrolled: 2-line block ×6, first 2 shown]
	s_waitcnt vmcnt(0)
	buffer_store_dword v109, v0, s[0:3], 0 offen
.LBB113_408:
	v_mov_b32_e32 v0, 0
	global_load_dword v1, v0, s[12:13] offset:4
	s_waitcnt vmcnt(0)
	v_add_nc_u32_e32 v1, -1, v1
	v_cmp_eq_u32_e32 vcc_lo, 1, v1
	s_cbranch_vccnz .LBB113_410
; %bb.409:
	v_lshlrev_b32_e32 v1, 4, v1
	v_mov_b32_e32 v2, s61
	v_add_nc_u32_e32 v1, 16, v1
	s_clause 0x7
	buffer_load_dword v3, v1, s[0:3], 0 offen
	buffer_load_dword v4, v1, s[0:3], 0 offen offset:4
	buffer_load_dword v5, v1, s[0:3], 0 offen offset:8
	;; [unrolled: 1-line block ×6, first 2 shown]
	buffer_load_dword v110, v2, s[0:3], 0 offen
	s_waitcnt vmcnt(7)
	buffer_store_dword v3, v2, s[0:3], 0 offen
	s_waitcnt vmcnt(6)
	buffer_store_dword v4, v2, s[0:3], 0 offen offset:4
	s_waitcnt vmcnt(5)
	buffer_store_dword v5, v2, s[0:3], 0 offen offset:8
	;; [unrolled: 2-line block ×6, first 2 shown]
	s_waitcnt vmcnt(0)
	buffer_store_dword v110, v1, s[0:3], 0 offen
.LBB113_410:
	global_load_dword v0, v0, s[12:13]
	s_waitcnt vmcnt(0)
	v_add_nc_u32_e32 v0, -1, v0
	v_cmp_eq_u32_e32 vcc_lo, 0, v0
	s_cbranch_vccnz .LBB113_412
; %bb.411:
	v_lshlrev_b32_e32 v0, 4, v0
	v_add_nc_u32_e32 v0, 16, v0
	s_clause 0x7
	buffer_load_dword v1, v0, s[0:3], 0 offen
	buffer_load_dword v2, v0, s[0:3], 0 offen offset:4
	buffer_load_dword v3, v0, s[0:3], 0 offen offset:8
	;; [unrolled: 1-line block ×3, first 2 shown]
	buffer_load_dword v5, off, s[0:3], 0 offset:28
	buffer_load_dword v6, off, s[0:3], 0 offset:24
	;; [unrolled: 1-line block ×4, first 2 shown]
	s_waitcnt vmcnt(7)
	buffer_store_dword v1, off, s[0:3], 0 offset:16
	s_waitcnt vmcnt(6)
	buffer_store_dword v2, off, s[0:3], 0 offset:20
	;; [unrolled: 2-line block ×4, first 2 shown]
	s_waitcnt vmcnt(3)
	buffer_store_dword v5, v0, s[0:3], 0 offen offset:12
	s_waitcnt vmcnt(2)
	buffer_store_dword v6, v0, s[0:3], 0 offen offset:8
	;; [unrolled: 2-line block ×3, first 2 shown]
	s_waitcnt vmcnt(0)
	buffer_store_dword v108, v0, s[0:3], 0 offen
.LBB113_412:
	s_clause 0x3
	buffer_load_dword v0, off, s[0:3], 0 offset:16
	buffer_load_dword v1, off, s[0:3], 0 offset:20
	;; [unrolled: 1-line block ×4, first 2 shown]
	v_mov_b32_e32 v4, s61
	s_waitcnt vmcnt(0)
	flat_store_dwordx4 v[8:9], v[0:3]
	s_clause 0x3
	buffer_load_dword v0, v4, s[0:3], 0 offen
	buffer_load_dword v1, v4, s[0:3], 0 offen offset:4
	buffer_load_dword v2, v4, s[0:3], 0 offen offset:8
	buffer_load_dword v3, v4, s[0:3], 0 offen offset:12
	v_mov_b32_e32 v4, s60
	s_waitcnt vmcnt(0)
	flat_store_dwordx4 v[62:63], v[0:3]
	s_clause 0x3
	buffer_load_dword v0, v4, s[0:3], 0 offen
	buffer_load_dword v1, v4, s[0:3], 0 offen offset:4
	buffer_load_dword v2, v4, s[0:3], 0 offen offset:8
	buffer_load_dword v3, v4, s[0:3], 0 offen offset:12
	;; [unrolled: 8-line block ×49, first 2 shown]
	s_waitcnt vmcnt(0)
	flat_store_dwordx4 v[106:107], v[0:3]
	s_endpgm
	.section	.rodata,"a",@progbits
	.p2align	6, 0x0
	.amdhsa_kernel _ZN9rocsolver6v33100L18getri_kernel_smallILi50E19rocblas_complex_numIdEPKPS3_EEvT1_iilPiilS8_bb
		.amdhsa_group_segment_fixed_size 1608
		.amdhsa_private_segment_fixed_size 832
		.amdhsa_kernarg_size 60
		.amdhsa_user_sgpr_count 6
		.amdhsa_user_sgpr_private_segment_buffer 1
		.amdhsa_user_sgpr_dispatch_ptr 0
		.amdhsa_user_sgpr_queue_ptr 0
		.amdhsa_user_sgpr_kernarg_segment_ptr 1
		.amdhsa_user_sgpr_dispatch_id 0
		.amdhsa_user_sgpr_flat_scratch_init 0
		.amdhsa_user_sgpr_private_segment_size 0
		.amdhsa_wavefront_size32 1
		.amdhsa_uses_dynamic_stack 0
		.amdhsa_system_sgpr_private_segment_wavefront_offset 1
		.amdhsa_system_sgpr_workgroup_id_x 1
		.amdhsa_system_sgpr_workgroup_id_y 0
		.amdhsa_system_sgpr_workgroup_id_z 0
		.amdhsa_system_sgpr_workgroup_info 0
		.amdhsa_system_vgpr_workitem_id 0
		.amdhsa_next_free_vgpr 192
		.amdhsa_next_free_sgpr 86
		.amdhsa_reserve_vcc 1
		.amdhsa_reserve_flat_scratch 0
		.amdhsa_float_round_mode_32 0
		.amdhsa_float_round_mode_16_64 0
		.amdhsa_float_denorm_mode_32 3
		.amdhsa_float_denorm_mode_16_64 3
		.amdhsa_dx10_clamp 1
		.amdhsa_ieee_mode 1
		.amdhsa_fp16_overflow 0
		.amdhsa_workgroup_processor_mode 1
		.amdhsa_memory_ordered 1
		.amdhsa_forward_progress 1
		.amdhsa_shared_vgpr_count 0
		.amdhsa_exception_fp_ieee_invalid_op 0
		.amdhsa_exception_fp_denorm_src 0
		.amdhsa_exception_fp_ieee_div_zero 0
		.amdhsa_exception_fp_ieee_overflow 0
		.amdhsa_exception_fp_ieee_underflow 0
		.amdhsa_exception_fp_ieee_inexact 0
		.amdhsa_exception_int_div_zero 0
	.end_amdhsa_kernel
	.section	.text._ZN9rocsolver6v33100L18getri_kernel_smallILi50E19rocblas_complex_numIdEPKPS3_EEvT1_iilPiilS8_bb,"axG",@progbits,_ZN9rocsolver6v33100L18getri_kernel_smallILi50E19rocblas_complex_numIdEPKPS3_EEvT1_iilPiilS8_bb,comdat
.Lfunc_end113:
	.size	_ZN9rocsolver6v33100L18getri_kernel_smallILi50E19rocblas_complex_numIdEPKPS3_EEvT1_iilPiilS8_bb, .Lfunc_end113-_ZN9rocsolver6v33100L18getri_kernel_smallILi50E19rocblas_complex_numIdEPKPS3_EEvT1_iilPiilS8_bb
                                        ; -- End function
	.set _ZN9rocsolver6v33100L18getri_kernel_smallILi50E19rocblas_complex_numIdEPKPS3_EEvT1_iilPiilS8_bb.num_vgpr, 192
	.set _ZN9rocsolver6v33100L18getri_kernel_smallILi50E19rocblas_complex_numIdEPKPS3_EEvT1_iilPiilS8_bb.num_agpr, 0
	.set _ZN9rocsolver6v33100L18getri_kernel_smallILi50E19rocblas_complex_numIdEPKPS3_EEvT1_iilPiilS8_bb.numbered_sgpr, 86
	.set _ZN9rocsolver6v33100L18getri_kernel_smallILi50E19rocblas_complex_numIdEPKPS3_EEvT1_iilPiilS8_bb.num_named_barrier, 0
	.set _ZN9rocsolver6v33100L18getri_kernel_smallILi50E19rocblas_complex_numIdEPKPS3_EEvT1_iilPiilS8_bb.private_seg_size, 832
	.set _ZN9rocsolver6v33100L18getri_kernel_smallILi50E19rocblas_complex_numIdEPKPS3_EEvT1_iilPiilS8_bb.uses_vcc, 1
	.set _ZN9rocsolver6v33100L18getri_kernel_smallILi50E19rocblas_complex_numIdEPKPS3_EEvT1_iilPiilS8_bb.uses_flat_scratch, 0
	.set _ZN9rocsolver6v33100L18getri_kernel_smallILi50E19rocblas_complex_numIdEPKPS3_EEvT1_iilPiilS8_bb.has_dyn_sized_stack, 0
	.set _ZN9rocsolver6v33100L18getri_kernel_smallILi50E19rocblas_complex_numIdEPKPS3_EEvT1_iilPiilS8_bb.has_recursion, 0
	.set _ZN9rocsolver6v33100L18getri_kernel_smallILi50E19rocblas_complex_numIdEPKPS3_EEvT1_iilPiilS8_bb.has_indirect_call, 0
	.section	.AMDGPU.csdata,"",@progbits
; Kernel info:
; codeLenInByte = 167444
; TotalNumSgprs: 88
; NumVgprs: 192
; ScratchSize: 832
; MemoryBound: 0
; FloatMode: 240
; IeeeMode: 1
; LDSByteSize: 1608 bytes/workgroup (compile time only)
; SGPRBlocks: 0
; VGPRBlocks: 23
; NumSGPRsForWavesPerEU: 88
; NumVGPRsForWavesPerEU: 192
; Occupancy: 5
; WaveLimiterHint : 1
; COMPUTE_PGM_RSRC2:SCRATCH_EN: 1
; COMPUTE_PGM_RSRC2:USER_SGPR: 6
; COMPUTE_PGM_RSRC2:TRAP_HANDLER: 0
; COMPUTE_PGM_RSRC2:TGID_X_EN: 1
; COMPUTE_PGM_RSRC2:TGID_Y_EN: 0
; COMPUTE_PGM_RSRC2:TGID_Z_EN: 0
; COMPUTE_PGM_RSRC2:TIDIG_COMP_CNT: 0
	.section	.text._ZN9rocsolver6v33100L18getri_kernel_smallILi51E19rocblas_complex_numIdEPKPS3_EEvT1_iilPiilS8_bb,"axG",@progbits,_ZN9rocsolver6v33100L18getri_kernel_smallILi51E19rocblas_complex_numIdEPKPS3_EEvT1_iilPiilS8_bb,comdat
	.globl	_ZN9rocsolver6v33100L18getri_kernel_smallILi51E19rocblas_complex_numIdEPKPS3_EEvT1_iilPiilS8_bb ; -- Begin function _ZN9rocsolver6v33100L18getri_kernel_smallILi51E19rocblas_complex_numIdEPKPS3_EEvT1_iilPiilS8_bb
	.p2align	8
	.type	_ZN9rocsolver6v33100L18getri_kernel_smallILi51E19rocblas_complex_numIdEPKPS3_EEvT1_iilPiilS8_bb,@function
_ZN9rocsolver6v33100L18getri_kernel_smallILi51E19rocblas_complex_numIdEPKPS3_EEvT1_iilPiilS8_bb: ; @_ZN9rocsolver6v33100L18getri_kernel_smallILi51E19rocblas_complex_numIdEPKPS3_EEvT1_iilPiilS8_bb
; %bb.0:
	s_add_u32 s0, s0, s7
	s_addc_u32 s1, s1, 0
	s_mov_b32 s7, exec_lo
	v_cmpx_gt_u32_e32 51, v0
	s_cbranch_execz .LBB114_218
; %bb.1:
	s_clause 0x2
	s_load_dword s16, s[4:5], 0x38
	s_load_dwordx2 s[12:13], s[4:5], 0x0
	s_load_dwordx4 s[8:11], s[4:5], 0x28
	s_waitcnt lgkmcnt(0)
	s_bitcmp1_b32 s16, 8
	s_cselect_b32 s63, -1, 0
	s_ashr_i32 s7, s6, 31
	s_lshl_b64 s[14:15], s[6:7], 3
	s_add_u32 s12, s12, s14
	s_addc_u32 s13, s13, s15
	s_load_dwordx2 s[14:15], s[12:13], 0x0
	s_bfe_u32 s12, s16, 0x10008
	s_cmp_eq_u32 s12, 0
                                        ; implicit-def: $sgpr12_sgpr13
	s_cbranch_scc1 .LBB114_3
; %bb.2:
	s_clause 0x1
	s_load_dword s12, s[4:5], 0x20
	s_load_dwordx2 s[16:17], s[4:5], 0x18
	s_mul_i32 s13, s8, s7
	s_mul_hi_u32 s18, s8, s6
	s_mul_i32 s9, s9, s6
	s_add_i32 s13, s18, s13
	s_mul_i32 s8, s8, s6
	s_add_i32 s9, s13, s9
	s_lshl_b64 s[8:9], s[8:9], 2
	s_waitcnt lgkmcnt(0)
	s_ashr_i32 s13, s12, 31
	s_add_u32 s16, s16, s8
	s_addc_u32 s17, s17, s9
	s_lshl_b64 s[8:9], s[12:13], 2
	s_add_u32 s12, s16, s8
	s_addc_u32 s13, s17, s9
.LBB114_3:
	s_clause 0x1
	s_load_dwordx2 s[8:9], s[4:5], 0x8
	s_load_dword s64, s[4:5], 0x38
	v_lshlrev_b32_e32 v113, 4, v0
	s_movk_i32 s16, 0xa0
	s_movk_i32 s17, 0xb0
	;; [unrolled: 1-line block ×17, first 2 shown]
	s_waitcnt lgkmcnt(0)
	s_ashr_i32 s5, s8, 31
	s_mov_b32 s4, s8
	v_add3_u32 v5, s9, s9, v0
	s_lshl_b64 s[4:5], s[4:5], 4
	s_movk_i32 s34, 0x1b0
	s_add_u32 s8, s14, s4
	s_addc_u32 s14, s15, s5
	v_add_co_u32 v9, s4, s8, v113
	v_add_co_ci_u32_e64 v10, null, s14, 0, s4
	s_mov_b32 s4, s9
	s_ashr_i32 s5, s9, 31
	v_ashrrev_i32_e32 v6, 31, v5
	flat_load_dwordx4 v[1:4], v[9:10]
	s_lshl_b64 s[4:5], s[4:5], 4
	s_movk_i32 s15, 0x90
	v_add_co_u32 v63, vcc_lo, v9, s4
	v_add_co_ci_u32_e64 v64, null, s5, v10, vcc_lo
	v_lshlrev_b64 v[6:7], 4, v[5:6]
	v_add_nc_u32_e32 v5, s9, v5
	s_movk_i32 s4, 0x50
	s_movk_i32 s35, 0x1c0
	s_movk_i32 s65, 0x1d0
	s_movk_i32 s66, 0x1e0
	v_add_co_u32 v61, vcc_lo, s8, v6
	v_add_co_ci_u32_e64 v62, null, s14, v7, vcc_lo
	v_ashrrev_i32_e32 v6, 31, v5
	s_movk_i32 s67, 0x1f0
	s_movk_i32 s68, 0x200
	s_movk_i32 s69, 0x210
	s_movk_i32 s70, 0x220
	v_lshlrev_b64 v[6:7], 4, v[5:6]
	v_add_nc_u32_e32 v5, s9, v5
	s_movk_i32 s71, 0x230
	s_movk_i32 s72, 0x240
	s_movk_i32 s73, 0x250
	s_movk_i32 s74, 0x260
	v_add_co_u32 v57, vcc_lo, s8, v6
	v_add_co_ci_u32_e64 v58, null, s14, v7, vcc_lo
	v_ashrrev_i32_e32 v6, 31, v5
	s_movk_i32 s75, 0x270
	s_movk_i32 s76, 0x280
	s_movk_i32 s77, 0x290
	s_movk_i32 s78, 0x2a0
	v_lshlrev_b64 v[6:7], 4, v[5:6]
	v_add_nc_u32_e32 v5, s9, v5
	s_movk_i32 s79, 0x2b0
	s_movk_i32 s80, 0x2c0
	s_movk_i32 s81, 0x2d0
	s_movk_i32 s82, 0x2e0
	v_add_co_u32 v55, vcc_lo, s8, v6
	v_add_co_ci_u32_e64 v56, null, s14, v7, vcc_lo
	v_ashrrev_i32_e32 v6, 31, v5
	s_movk_i32 s83, 0x2f0
	s_movk_i32 s84, 0x300
	s_movk_i32 s85, 0x310
	s_movk_i32 s86, 0x320
	v_lshlrev_b64 v[6:7], 4, v[5:6]
	v_add_nc_u32_e32 v5, s9, v5
	s_add_i32 s58, s4, 16
	s_add_i32 s54, s15, 16
	s_add_i32 s53, s16, 16
	s_add_i32 s52, s17, 16
	v_add_co_u32 v53, vcc_lo, s8, v6
	v_add_co_ci_u32_e64 v54, null, s14, v7, vcc_lo
	v_ashrrev_i32_e32 v6, 31, v5
	s_add_i32 s51, s18, 16
	s_add_i32 s50, s19, 16
	s_add_i32 s49, s20, 16
	s_add_i32 s48, s21, 16
	v_lshlrev_b64 v[6:7], 4, v[5:6]
	v_add_nc_u32_e32 v5, s9, v5
	s_add_i32 s47, s22, 16
	s_add_i32 s46, s23, 16
	s_add_i32 s45, s24, 16
	s_add_i32 s44, s25, 16
	v_add_co_u32 v51, vcc_lo, s8, v6
	v_add_co_ci_u32_e64 v52, null, s14, v7, vcc_lo
	v_ashrrev_i32_e32 v6, 31, v5
	s_add_i32 s43, s26, 16
	s_add_i32 s42, s27, 16
	s_add_i32 s41, s28, 16
	s_add_i32 s40, s29, 16
	;; [unrolled: 13-line block ×5, first 2 shown]
	v_lshlrev_b64 v[6:7], 4, v[5:6]
	v_add_nc_u32_e32 v5, s9, v5
	s_mov_b32 s5, -1
	s_mov_b32 s62, 32
	s_mov_b32 s61, 48
	;; [unrolled: 1-line block ×3, first 2 shown]
	v_add_co_u32 v43, vcc_lo, s8, v6
	v_add_co_ci_u32_e64 v44, null, s14, v7, vcc_lo
	v_ashrrev_i32_e32 v6, 31, v5
	s_movk_i32 s59, 0x50
	s_waitcnt vmcnt(0) lgkmcnt(0)
	buffer_store_dword v4, off, s[0:3], 0 offset:28
	buffer_store_dword v3, off, s[0:3], 0 offset:24
	buffer_store_dword v2, off, s[0:3], 0 offset:20
	buffer_store_dword v1, off, s[0:3], 0 offset:16
	flat_load_dwordx4 v[1:4], v[63:64]
	v_lshlrev_b64 v[6:7], 4, v[5:6]
	v_add_nc_u32_e32 v5, s9, v5
	s_waitcnt vmcnt(0) lgkmcnt(0)
	buffer_store_dword v4, off, s[0:3], 0 offset:44
	buffer_store_dword v3, off, s[0:3], 0 offset:40
	buffer_store_dword v2, off, s[0:3], 0 offset:36
	buffer_store_dword v1, off, s[0:3], 0 offset:32
	flat_load_dwordx4 v[1:4], v[61:62]
	v_add_co_u32 v41, vcc_lo, s8, v6
	v_add_co_ci_u32_e64 v42, null, s14, v7, vcc_lo
	v_ashrrev_i32_e32 v6, 31, v5
	s_waitcnt vmcnt(0) lgkmcnt(0)
	buffer_store_dword v4, off, s[0:3], 0 offset:60
	buffer_store_dword v3, off, s[0:3], 0 offset:56
	buffer_store_dword v2, off, s[0:3], 0 offset:52
	buffer_store_dword v1, off, s[0:3], 0 offset:48
	flat_load_dwordx4 v[1:4], v[57:58]
	v_lshlrev_b64 v[6:7], 4, v[5:6]
	v_add_nc_u32_e32 v5, s9, v5
	s_waitcnt vmcnt(0) lgkmcnt(0)
	buffer_store_dword v4, off, s[0:3], 0 offset:76
	buffer_store_dword v3, off, s[0:3], 0 offset:72
	buffer_store_dword v2, off, s[0:3], 0 offset:68
	buffer_store_dword v1, off, s[0:3], 0 offset:64
	flat_load_dwordx4 v[1:4], v[55:56]
	v_add_co_u32 v37, vcc_lo, s8, v6
	v_add_co_ci_u32_e64 v38, null, s14, v7, vcc_lo
	v_ashrrev_i32_e32 v6, 31, v5
	;; [unrolled: 17-line block ×9, first 2 shown]
	s_waitcnt vmcnt(0) lgkmcnt(0)
	buffer_store_dword v4, off, s[0:3], 0 offset:316
	buffer_store_dword v3, off, s[0:3], 0 offset:312
	;; [unrolled: 1-line block ×4, first 2 shown]
	flat_load_dwordx4 v[1:4], v[23:24]
	v_lshlrev_b64 v[6:7], 4, v[5:6]
	v_add_nc_u32_e32 v5, s9, v5
	s_waitcnt vmcnt(0) lgkmcnt(0)
	buffer_store_dword v4, off, s[0:3], 0 offset:332
	buffer_store_dword v3, off, s[0:3], 0 offset:328
	;; [unrolled: 1-line block ×4, first 2 shown]
	v_add_co_u32 v21, vcc_lo, s8, v6
	v_add_co_ci_u32_e64 v22, null, s14, v7, vcc_lo
	v_ashrrev_i32_e32 v6, 31, v5
	flat_load_dwordx4 v[1:4], v[21:22]
	s_waitcnt vmcnt(0) lgkmcnt(0)
	buffer_store_dword v4, off, s[0:3], 0 offset:348
	buffer_store_dword v3, off, s[0:3], 0 offset:344
	buffer_store_dword v2, off, s[0:3], 0 offset:340
	buffer_store_dword v1, off, s[0:3], 0 offset:336
	v_lshlrev_b64 v[6:7], 4, v[5:6]
	v_add_nc_u32_e32 v5, s9, v5
	v_add_co_u32 v19, vcc_lo, s8, v6
	v_add_co_ci_u32_e64 v20, null, s14, v7, vcc_lo
	v_ashrrev_i32_e32 v6, 31, v5
	flat_load_dwordx4 v[1:4], v[19:20]
	s_waitcnt vmcnt(0) lgkmcnt(0)
	buffer_store_dword v4, off, s[0:3], 0 offset:364
	buffer_store_dword v3, off, s[0:3], 0 offset:360
	buffer_store_dword v2, off, s[0:3], 0 offset:356
	buffer_store_dword v1, off, s[0:3], 0 offset:352
	v_lshlrev_b64 v[6:7], 4, v[5:6]
	v_add_nc_u32_e32 v5, s9, v5
	;; [unrolled: 11-line block ×29, first 2 shown]
	s_movk_i32 s9, 0x70
	s_add_i32 s56, s9, 16
	s_add_i32 s9, s85, 16
	v_add_co_u32 v107, vcc_lo, s8, v6
	v_add_co_ci_u32_e64 v108, null, s14, v7, vcc_lo
	v_ashrrev_i32_e32 v6, 31, v5
	flat_load_dwordx4 v[1:4], v[107:108]
	s_waitcnt vmcnt(0) lgkmcnt(0)
	buffer_store_dword v4, off, s[0:3], 0 offset:812
	buffer_store_dword v3, off, s[0:3], 0 offset:808
	buffer_store_dword v2, off, s[0:3], 0 offset:804
	buffer_store_dword v1, off, s[0:3], 0 offset:800
	v_lshlrev_b64 v[5:6], 4, v[5:6]
	v_add_co_u32 v109, vcc_lo, s8, v5
	v_add_co_ci_u32_e64 v110, null, s14, v6, vcc_lo
	s_movk_i32 s8, 0x60
	s_movk_i32 s14, 0x80
	s_add_i32 s57, s8, 16
	flat_load_dwordx4 v[1:4], v[109:110]
	s_add_i32 s55, s14, 16
	s_add_i32 s14, s84, 16
	;; [unrolled: 1-line block ×3, first 2 shown]
	s_bitcmp0_b32 s64, 0
	s_waitcnt vmcnt(0) lgkmcnt(0)
	buffer_store_dword v4, off, s[0:3], 0 offset:828
	buffer_store_dword v3, off, s[0:3], 0 offset:824
	;; [unrolled: 1-line block ×4, first 2 shown]
	s_cbranch_scc1 .LBB114_216
; %bb.4:
	v_cmp_eq_u32_e64 s4, 0, v0
	s_and_saveexec_b32 s5, s4
; %bb.5:
	v_mov_b32_e32 v1, 0
	ds_write_b32 v1, v1 offset:1632
; %bb.6:
	s_or_b32 exec_lo, exec_lo, s5
	v_lshl_add_u32 v114, v0, 4, 16
	s_waitcnt lgkmcnt(0)
	s_waitcnt_vscnt null, 0x0
	s_barrier
	buffer_gl0_inv
	s_clause 0x3
	buffer_load_dword v1, v114, s[0:3], 0 offen
	buffer_load_dword v2, v114, s[0:3], 0 offen offset:4
	buffer_load_dword v3, v114, s[0:3], 0 offen offset:8
	;; [unrolled: 1-line block ×3, first 2 shown]
	s_waitcnt vmcnt(2)
	v_cmp_eq_f64_e32 vcc_lo, 0, v[1:2]
	s_waitcnt vmcnt(0)
	v_cmp_eq_f64_e64 s5, 0, v[3:4]
	s_and_b32 s5, vcc_lo, s5
	s_and_saveexec_b32 s64, s5
	s_cbranch_execz .LBB114_10
; %bb.7:
	v_mov_b32_e32 v1, 0
	s_mov_b32 s65, 0
	ds_read_b32 v2, v1 offset:1632
	s_waitcnt lgkmcnt(0)
	v_readfirstlane_b32 s5, v2
	v_add_nc_u32_e32 v2, 1, v0
	s_cmp_eq_u32 s5, 0
	v_cmp_gt_i32_e32 vcc_lo, s5, v2
	s_cselect_b32 s66, -1, 0
	s_or_b32 s66, s66, vcc_lo
	s_and_b32 exec_lo, exec_lo, s66
	s_cbranch_execz .LBB114_10
; %bb.8:
	v_mov_b32_e32 v3, s5
.LBB114_9:                              ; =>This Inner Loop Header: Depth=1
	ds_cmpst_rtn_b32 v3, v1, v3, v2 offset:1632
	s_waitcnt lgkmcnt(0)
	v_cmp_ne_u32_e32 vcc_lo, 0, v3
	v_cmp_le_i32_e64 s5, v3, v2
	s_and_b32 s5, vcc_lo, s5
	s_and_b32 s5, exec_lo, s5
	s_or_b32 s65, s5, s65
	s_andn2_b32 exec_lo, exec_lo, s65
	s_cbranch_execnz .LBB114_9
.LBB114_10:
	s_or_b32 exec_lo, exec_lo, s64
	v_mov_b32_e32 v1, 0
	s_barrier
	buffer_gl0_inv
	ds_read_b32 v2, v1 offset:1632
	s_and_saveexec_b32 s5, s4
	s_cbranch_execz .LBB114_12
; %bb.11:
	s_lshl_b64 s[64:65], s[6:7], 2
	s_add_u32 s64, s10, s64
	s_addc_u32 s65, s11, s65
	s_waitcnt lgkmcnt(0)
	global_store_dword v1, v2, s[64:65]
.LBB114_12:
	s_or_b32 exec_lo, exec_lo, s5
	s_waitcnt lgkmcnt(0)
	v_cmp_ne_u32_e32 vcc_lo, 0, v2
	s_mov_b32 s5, 0
	s_cbranch_vccnz .LBB114_216
; %bb.13:
	s_clause 0x3
	buffer_load_dword v7, v114, s[0:3], 0 offen
	buffer_load_dword v8, v114, s[0:3], 0 offen offset:4
	buffer_load_dword v111, v114, s[0:3], 0 offen offset:8
	;; [unrolled: 1-line block ×3, first 2 shown]
                                        ; implicit-def: $vgpr5_vgpr6
                                        ; implicit-def: $vgpr3_vgpr4
	s_waitcnt vmcnt(0)
	v_cmp_ngt_f64_e64 s5, |v[7:8]|, |v[111:112]|
	s_and_saveexec_b32 s64, s5
	s_xor_b32 s5, exec_lo, s64
	s_cbranch_execz .LBB114_15
; %bb.14:
	v_div_scale_f64 v[1:2], null, v[111:112], v[111:112], v[7:8]
	v_div_scale_f64 v[115:116], vcc_lo, v[7:8], v[111:112], v[7:8]
	v_rcp_f64_e32 v[3:4], v[1:2]
	v_fma_f64 v[5:6], -v[1:2], v[3:4], 1.0
	v_fma_f64 v[3:4], v[3:4], v[5:6], v[3:4]
	v_fma_f64 v[5:6], -v[1:2], v[3:4], 1.0
	v_fma_f64 v[3:4], v[3:4], v[5:6], v[3:4]
	v_mul_f64 v[5:6], v[115:116], v[3:4]
	v_fma_f64 v[1:2], -v[1:2], v[5:6], v[115:116]
	v_div_fmas_f64 v[1:2], v[1:2], v[3:4], v[5:6]
	v_div_fixup_f64 v[1:2], v[1:2], v[111:112], v[7:8]
	v_fma_f64 v[3:4], v[7:8], v[1:2], v[111:112]
	v_div_scale_f64 v[5:6], null, v[3:4], v[3:4], 1.0
	v_div_scale_f64 v[115:116], vcc_lo, 1.0, v[3:4], 1.0
	v_rcp_f64_e32 v[7:8], v[5:6]
	v_fma_f64 v[111:112], -v[5:6], v[7:8], 1.0
	v_fma_f64 v[7:8], v[7:8], v[111:112], v[7:8]
	v_fma_f64 v[111:112], -v[5:6], v[7:8], 1.0
	v_fma_f64 v[7:8], v[7:8], v[111:112], v[7:8]
	v_mul_f64 v[111:112], v[115:116], v[7:8]
	v_fma_f64 v[5:6], -v[5:6], v[111:112], v[115:116]
	v_div_fmas_f64 v[5:6], v[5:6], v[7:8], v[111:112]
                                        ; implicit-def: $vgpr7_vgpr8
                                        ; implicit-def: $vgpr111_vgpr112
	v_div_fixup_f64 v[3:4], v[5:6], v[3:4], 1.0
	v_mul_f64 v[5:6], v[1:2], v[3:4]
	v_xor_b32_e32 v4, 0x80000000, v4
	v_xor_b32_e32 v2, 0x80000000, v6
	v_mov_b32_e32 v1, v5
.LBB114_15:
	s_andn2_saveexec_b32 s5, s5
	s_cbranch_execz .LBB114_17
; %bb.16:
	v_div_scale_f64 v[1:2], null, v[7:8], v[7:8], v[111:112]
	v_div_scale_f64 v[115:116], vcc_lo, v[111:112], v[7:8], v[111:112]
	v_rcp_f64_e32 v[3:4], v[1:2]
	v_fma_f64 v[5:6], -v[1:2], v[3:4], 1.0
	v_fma_f64 v[3:4], v[3:4], v[5:6], v[3:4]
	v_fma_f64 v[5:6], -v[1:2], v[3:4], 1.0
	v_fma_f64 v[3:4], v[3:4], v[5:6], v[3:4]
	v_mul_f64 v[5:6], v[115:116], v[3:4]
	v_fma_f64 v[1:2], -v[1:2], v[5:6], v[115:116]
	v_div_fmas_f64 v[1:2], v[1:2], v[3:4], v[5:6]
	v_div_fixup_f64 v[1:2], v[1:2], v[7:8], v[111:112]
	v_fma_f64 v[3:4], v[111:112], v[1:2], v[7:8]
	v_div_scale_f64 v[5:6], null, v[3:4], v[3:4], 1.0
	v_rcp_f64_e32 v[7:8], v[5:6]
	v_fma_f64 v[111:112], -v[5:6], v[7:8], 1.0
	v_fma_f64 v[7:8], v[7:8], v[111:112], v[7:8]
	v_fma_f64 v[111:112], -v[5:6], v[7:8], 1.0
	v_fma_f64 v[7:8], v[7:8], v[111:112], v[7:8]
	v_div_scale_f64 v[111:112], vcc_lo, 1.0, v[3:4], 1.0
	v_mul_f64 v[115:116], v[111:112], v[7:8]
	v_fma_f64 v[5:6], -v[5:6], v[115:116], v[111:112]
	v_div_fmas_f64 v[5:6], v[5:6], v[7:8], v[115:116]
	v_div_fixup_f64 v[5:6], v[5:6], v[3:4], 1.0
	v_mul_f64 v[3:4], v[1:2], -v[5:6]
	v_xor_b32_e32 v2, 0x80000000, v6
	v_mov_b32_e32 v1, v5
.LBB114_17:
	s_or_b32 exec_lo, exec_lo, s5
	v_mov_b32_e32 v7, s62
	buffer_store_dword v6, v114, s[0:3], 0 offen offset:4
	buffer_store_dword v5, v114, s[0:3], 0 offen
	buffer_store_dword v4, v114, s[0:3], 0 offen offset:12
	buffer_store_dword v3, v114, s[0:3], 0 offen offset:8
	v_xor_b32_e32 v4, 0x80000000, v4
	v_add_nc_u32_e32 v5, 0x330, v113
	s_clause 0x3
	buffer_load_dword v118, v7, s[0:3], 0 offen offset:12
	buffer_load_dword v117, v7, s[0:3], 0 offen offset:8
	;; [unrolled: 1-line block ×3, first 2 shown]
	buffer_load_dword v115, v7, s[0:3], 0 offen
	ds_write_b128 v113, v[1:4]
	s_waitcnt vmcnt(0)
	ds_write_b128 v113, v[115:118] offset:816
	s_waitcnt lgkmcnt(0)
	s_waitcnt_vscnt null, 0x0
	s_barrier
	buffer_gl0_inv
	s_and_saveexec_b32 s5, s4
	s_cbranch_execz .LBB114_19
; %bb.18:
	s_clause 0x3
	buffer_load_dword v6, v114, s[0:3], 0 offen offset:8
	buffer_load_dword v7, v114, s[0:3], 0 offen offset:12
	buffer_load_dword v111, v114, s[0:3], 0 offen
	buffer_load_dword v112, v114, s[0:3], 0 offen offset:4
	ds_read_b128 v[1:4], v5
	v_mov_b32_e32 v8, 0
	ds_read_b128 v[115:118], v8 offset:16
	s_waitcnt vmcnt(2) lgkmcnt(1)
	v_mul_f64 v[119:120], v[1:2], v[6:7]
	v_mul_f64 v[6:7], v[3:4], v[6:7]
	s_waitcnt vmcnt(0)
	v_fma_f64 v[3:4], v[3:4], v[111:112], v[119:120]
	v_fma_f64 v[1:2], v[1:2], v[111:112], -v[6:7]
	v_add_f64 v[3:4], v[3:4], 0
	v_add_f64 v[1:2], v[1:2], 0
	s_waitcnt lgkmcnt(0)
	v_mul_f64 v[6:7], v[3:4], v[117:118]
	v_mul_f64 v[111:112], v[1:2], v[117:118]
	v_fma_f64 v[1:2], v[1:2], v[115:116], -v[6:7]
	v_fma_f64 v[3:4], v[3:4], v[115:116], v[111:112]
	buffer_store_dword v1, off, s[0:3], 0 offset:32
	buffer_store_dword v2, off, s[0:3], 0 offset:36
	;; [unrolled: 1-line block ×4, first 2 shown]
.LBB114_19:
	s_or_b32 exec_lo, exec_lo, s5
	v_mov_b32_e32 v4, s61
	s_waitcnt_vscnt null, 0x0
	s_barrier
	buffer_gl0_inv
	s_mov_b32 s5, exec_lo
	s_clause 0x3
	buffer_load_dword v1, v4, s[0:3], 0 offen
	buffer_load_dword v2, v4, s[0:3], 0 offen offset:4
	buffer_load_dword v3, v4, s[0:3], 0 offen offset:8
	;; [unrolled: 1-line block ×3, first 2 shown]
	s_waitcnt vmcnt(0)
	ds_write_b128 v5, v[1:4]
	s_waitcnt lgkmcnt(0)
	s_barrier
	buffer_gl0_inv
	v_cmpx_gt_u32_e32 2, v0
	s_cbranch_execz .LBB114_23
; %bb.20:
	s_clause 0x3
	buffer_load_dword v6, v114, s[0:3], 0 offen offset:8
	buffer_load_dword v7, v114, s[0:3], 0 offen offset:12
	buffer_load_dword v111, v114, s[0:3], 0 offen
	buffer_load_dword v112, v114, s[0:3], 0 offen offset:4
	ds_read_b128 v[1:4], v5
	s_waitcnt vmcnt(2) lgkmcnt(0)
	v_mul_f64 v[114:115], v[3:4], v[6:7]
	v_mul_f64 v[6:7], v[1:2], v[6:7]
	s_waitcnt vmcnt(0)
	v_fma_f64 v[1:2], v[1:2], v[111:112], -v[114:115]
	v_fma_f64 v[3:4], v[3:4], v[111:112], v[6:7]
	v_add_f64 v[1:2], v[1:2], 0
	v_add_f64 v[3:4], v[3:4], 0
	s_and_saveexec_b32 s64, s4
	s_cbranch_execz .LBB114_22
; %bb.21:
	s_clause 0x3
	buffer_load_dword v6, off, s[0:3], 0 offset:40
	buffer_load_dword v7, off, s[0:3], 0 offset:44
	buffer_load_dword v111, off, s[0:3], 0 offset:32
	buffer_load_dword v112, off, s[0:3], 0 offset:36
	v_mov_b32_e32 v8, 0
	ds_read_b128 v[114:117], v8 offset:832
	s_waitcnt vmcnt(2) lgkmcnt(0)
	v_mul_f64 v[118:119], v[114:115], v[6:7]
	v_mul_f64 v[6:7], v[116:117], v[6:7]
	s_waitcnt vmcnt(0)
	v_fma_f64 v[116:117], v[116:117], v[111:112], v[118:119]
	v_fma_f64 v[6:7], v[114:115], v[111:112], -v[6:7]
	v_add_f64 v[3:4], v[3:4], v[116:117]
	v_add_f64 v[1:2], v[1:2], v[6:7]
.LBB114_22:
	s_or_b32 exec_lo, exec_lo, s64
	v_mov_b32_e32 v6, 0
	ds_read_b128 v[114:117], v6 offset:32
	s_waitcnt lgkmcnt(0)
	v_mul_f64 v[6:7], v[3:4], v[116:117]
	v_mul_f64 v[111:112], v[1:2], v[116:117]
	v_fma_f64 v[1:2], v[1:2], v[114:115], -v[6:7]
	v_fma_f64 v[3:4], v[3:4], v[114:115], v[111:112]
	buffer_store_dword v2, off, s[0:3], 0 offset:52
	buffer_store_dword v1, off, s[0:3], 0 offset:48
	;; [unrolled: 1-line block ×4, first 2 shown]
.LBB114_23:
	s_or_b32 exec_lo, exec_lo, s5
	v_mov_b32_e32 v4, s60
	s_waitcnt_vscnt null, 0x0
	s_barrier
	buffer_gl0_inv
	v_add_nc_u32_e32 v6, -1, v0
	s_clause 0x3
	buffer_load_dword v1, v4, s[0:3], 0 offen
	buffer_load_dword v2, v4, s[0:3], 0 offen offset:4
	buffer_load_dword v3, v4, s[0:3], 0 offen offset:8
	buffer_load_dword v4, v4, s[0:3], 0 offen offset:12
	s_mov_b32 s4, exec_lo
	s_waitcnt vmcnt(0)
	ds_write_b128 v5, v[1:4]
	s_waitcnt lgkmcnt(0)
	s_barrier
	buffer_gl0_inv
	v_cmpx_gt_u32_e32 3, v0
	s_cbranch_execz .LBB114_27
; %bb.24:
	v_mov_b32_e32 v1, 0
	v_mov_b32_e32 v3, 0
	v_add_nc_u32_e32 v7, -1, v0
	v_add_nc_u32_e32 v8, 0x330, v113
	v_mov_b32_e32 v2, 0
	v_mov_b32_e32 v4, 0
	v_add_nc_u32_e32 v111, 16, v113
	s_mov_b32 s5, 0
	.p2align	6
.LBB114_25:                             ; =>This Inner Loop Header: Depth=1
	s_clause 0x3
	buffer_load_dword v118, v111, s[0:3], 0 offen offset:8
	buffer_load_dword v119, v111, s[0:3], 0 offen offset:12
	buffer_load_dword v120, v111, s[0:3], 0 offen
	buffer_load_dword v121, v111, s[0:3], 0 offen offset:4
	ds_read_b128 v[114:117], v8
	v_add_nc_u32_e32 v7, 1, v7
	v_add_nc_u32_e32 v8, 16, v8
	;; [unrolled: 1-line block ×3, first 2 shown]
	v_cmp_lt_u32_e32 vcc_lo, 1, v7
	s_or_b32 s5, vcc_lo, s5
	s_waitcnt vmcnt(2) lgkmcnt(0)
	v_mul_f64 v[122:123], v[116:117], v[118:119]
	v_mul_f64 v[118:119], v[114:115], v[118:119]
	s_waitcnt vmcnt(0)
	v_fma_f64 v[114:115], v[114:115], v[120:121], -v[122:123]
	v_fma_f64 v[116:117], v[116:117], v[120:121], v[118:119]
	v_add_f64 v[3:4], v[3:4], v[114:115]
	v_add_f64 v[1:2], v[1:2], v[116:117]
	s_andn2_b32 exec_lo, exec_lo, s5
	s_cbranch_execnz .LBB114_25
; %bb.26:
	s_or_b32 exec_lo, exec_lo, s5
	v_mov_b32_e32 v7, 0
	ds_read_b128 v[114:117], v7 offset:48
	s_waitcnt lgkmcnt(0)
	v_mul_f64 v[7:8], v[1:2], v[116:117]
	v_mul_f64 v[111:112], v[3:4], v[116:117]
	v_fma_f64 v[3:4], v[3:4], v[114:115], -v[7:8]
	v_fma_f64 v[1:2], v[1:2], v[114:115], v[111:112]
	buffer_store_dword v4, off, s[0:3], 0 offset:68
	buffer_store_dword v3, off, s[0:3], 0 offset:64
	buffer_store_dword v2, off, s[0:3], 0 offset:76
	buffer_store_dword v1, off, s[0:3], 0 offset:72
.LBB114_27:
	s_or_b32 exec_lo, exec_lo, s4
	v_mov_b32_e32 v4, s59
	s_waitcnt_vscnt null, 0x0
	s_barrier
	buffer_gl0_inv
	s_mov_b32 s4, exec_lo
	s_clause 0x3
	buffer_load_dword v1, v4, s[0:3], 0 offen
	buffer_load_dword v2, v4, s[0:3], 0 offen offset:4
	buffer_load_dword v3, v4, s[0:3], 0 offen offset:8
	;; [unrolled: 1-line block ×3, first 2 shown]
	s_waitcnt vmcnt(0)
	ds_write_b128 v5, v[1:4]
	s_waitcnt lgkmcnt(0)
	s_barrier
	buffer_gl0_inv
	v_cmpx_gt_u32_e32 4, v0
	s_cbranch_execz .LBB114_31
; %bb.28:
	v_mov_b32_e32 v1, 0
	v_mov_b32_e32 v3, 0
	v_add_nc_u32_e32 v7, -1, v0
	v_add_nc_u32_e32 v8, 0x330, v113
	v_mov_b32_e32 v2, 0
	v_mov_b32_e32 v4, 0
	v_add_nc_u32_e32 v111, 16, v113
	s_mov_b32 s5, 0
	.p2align	6
.LBB114_29:                             ; =>This Inner Loop Header: Depth=1
	s_clause 0x3
	buffer_load_dword v118, v111, s[0:3], 0 offen offset:8
	buffer_load_dword v119, v111, s[0:3], 0 offen offset:12
	buffer_load_dword v120, v111, s[0:3], 0 offen
	buffer_load_dword v121, v111, s[0:3], 0 offen offset:4
	ds_read_b128 v[114:117], v8
	v_add_nc_u32_e32 v7, 1, v7
	v_add_nc_u32_e32 v8, 16, v8
	;; [unrolled: 1-line block ×3, first 2 shown]
	v_cmp_lt_u32_e32 vcc_lo, 2, v7
	s_or_b32 s5, vcc_lo, s5
	s_waitcnt vmcnt(2) lgkmcnt(0)
	v_mul_f64 v[122:123], v[116:117], v[118:119]
	v_mul_f64 v[118:119], v[114:115], v[118:119]
	s_waitcnt vmcnt(0)
	v_fma_f64 v[114:115], v[114:115], v[120:121], -v[122:123]
	v_fma_f64 v[116:117], v[116:117], v[120:121], v[118:119]
	v_add_f64 v[3:4], v[3:4], v[114:115]
	v_add_f64 v[1:2], v[1:2], v[116:117]
	s_andn2_b32 exec_lo, exec_lo, s5
	s_cbranch_execnz .LBB114_29
; %bb.30:
	s_or_b32 exec_lo, exec_lo, s5
	v_mov_b32_e32 v7, 0
	ds_read_b128 v[114:117], v7 offset:64
	s_waitcnt lgkmcnt(0)
	v_mul_f64 v[7:8], v[1:2], v[116:117]
	v_mul_f64 v[111:112], v[3:4], v[116:117]
	v_fma_f64 v[3:4], v[3:4], v[114:115], -v[7:8]
	v_fma_f64 v[1:2], v[1:2], v[114:115], v[111:112]
	buffer_store_dword v4, off, s[0:3], 0 offset:84
	buffer_store_dword v3, off, s[0:3], 0 offset:80
	;; [unrolled: 1-line block ×4, first 2 shown]
.LBB114_31:
	s_or_b32 exec_lo, exec_lo, s4
	v_mov_b32_e32 v4, s58
	s_waitcnt_vscnt null, 0x0
	s_barrier
	buffer_gl0_inv
	s_mov_b32 s4, exec_lo
	s_clause 0x3
	buffer_load_dword v1, v4, s[0:3], 0 offen
	buffer_load_dword v2, v4, s[0:3], 0 offen offset:4
	buffer_load_dword v3, v4, s[0:3], 0 offen offset:8
	;; [unrolled: 1-line block ×3, first 2 shown]
	s_waitcnt vmcnt(0)
	ds_write_b128 v5, v[1:4]
	s_waitcnt lgkmcnt(0)
	s_barrier
	buffer_gl0_inv
	v_cmpx_gt_u32_e32 5, v0
	s_cbranch_execz .LBB114_35
; %bb.32:
	v_mov_b32_e32 v1, 0
	v_mov_b32_e32 v3, 0
	v_add_nc_u32_e32 v7, -1, v0
	v_add_nc_u32_e32 v8, 0x330, v113
	v_mov_b32_e32 v2, 0
	v_mov_b32_e32 v4, 0
	v_add_nc_u32_e32 v111, 16, v113
	s_mov_b32 s5, 0
	.p2align	6
.LBB114_33:                             ; =>This Inner Loop Header: Depth=1
	s_clause 0x3
	buffer_load_dword v118, v111, s[0:3], 0 offen offset:8
	buffer_load_dword v119, v111, s[0:3], 0 offen offset:12
	buffer_load_dword v120, v111, s[0:3], 0 offen
	buffer_load_dword v121, v111, s[0:3], 0 offen offset:4
	ds_read_b128 v[114:117], v8
	v_add_nc_u32_e32 v7, 1, v7
	v_add_nc_u32_e32 v8, 16, v8
	;; [unrolled: 1-line block ×3, first 2 shown]
	v_cmp_lt_u32_e32 vcc_lo, 3, v7
	s_or_b32 s5, vcc_lo, s5
	s_waitcnt vmcnt(2) lgkmcnt(0)
	v_mul_f64 v[122:123], v[116:117], v[118:119]
	v_mul_f64 v[118:119], v[114:115], v[118:119]
	s_waitcnt vmcnt(0)
	v_fma_f64 v[114:115], v[114:115], v[120:121], -v[122:123]
	v_fma_f64 v[116:117], v[116:117], v[120:121], v[118:119]
	v_add_f64 v[3:4], v[3:4], v[114:115]
	v_add_f64 v[1:2], v[1:2], v[116:117]
	s_andn2_b32 exec_lo, exec_lo, s5
	s_cbranch_execnz .LBB114_33
; %bb.34:
	s_or_b32 exec_lo, exec_lo, s5
	v_mov_b32_e32 v7, 0
	ds_read_b128 v[114:117], v7 offset:80
	s_waitcnt lgkmcnt(0)
	v_mul_f64 v[7:8], v[1:2], v[116:117]
	v_mul_f64 v[111:112], v[3:4], v[116:117]
	v_fma_f64 v[3:4], v[3:4], v[114:115], -v[7:8]
	v_fma_f64 v[1:2], v[1:2], v[114:115], v[111:112]
	buffer_store_dword v4, off, s[0:3], 0 offset:100
	buffer_store_dword v3, off, s[0:3], 0 offset:96
	;; [unrolled: 1-line block ×4, first 2 shown]
.LBB114_35:
	s_or_b32 exec_lo, exec_lo, s4
	v_mov_b32_e32 v4, s57
	s_waitcnt_vscnt null, 0x0
	s_barrier
	buffer_gl0_inv
	s_mov_b32 s4, exec_lo
	s_clause 0x3
	buffer_load_dword v1, v4, s[0:3], 0 offen
	buffer_load_dword v2, v4, s[0:3], 0 offen offset:4
	buffer_load_dword v3, v4, s[0:3], 0 offen offset:8
	;; [unrolled: 1-line block ×3, first 2 shown]
	s_waitcnt vmcnt(0)
	ds_write_b128 v5, v[1:4]
	s_waitcnt lgkmcnt(0)
	s_barrier
	buffer_gl0_inv
	v_cmpx_gt_u32_e32 6, v0
	s_cbranch_execz .LBB114_39
; %bb.36:
	v_mov_b32_e32 v1, 0
	v_mov_b32_e32 v3, 0
	v_add_nc_u32_e32 v7, -1, v0
	v_add_nc_u32_e32 v8, 0x330, v113
	v_mov_b32_e32 v2, 0
	v_mov_b32_e32 v4, 0
	v_add_nc_u32_e32 v111, 16, v113
	s_mov_b32 s5, 0
	.p2align	6
.LBB114_37:                             ; =>This Inner Loop Header: Depth=1
	s_clause 0x3
	buffer_load_dword v118, v111, s[0:3], 0 offen offset:8
	buffer_load_dword v119, v111, s[0:3], 0 offen offset:12
	buffer_load_dword v120, v111, s[0:3], 0 offen
	buffer_load_dword v121, v111, s[0:3], 0 offen offset:4
	ds_read_b128 v[114:117], v8
	v_add_nc_u32_e32 v7, 1, v7
	v_add_nc_u32_e32 v8, 16, v8
	;; [unrolled: 1-line block ×3, first 2 shown]
	v_cmp_lt_u32_e32 vcc_lo, 4, v7
	s_or_b32 s5, vcc_lo, s5
	s_waitcnt vmcnt(2) lgkmcnt(0)
	v_mul_f64 v[122:123], v[116:117], v[118:119]
	v_mul_f64 v[118:119], v[114:115], v[118:119]
	s_waitcnt vmcnt(0)
	v_fma_f64 v[114:115], v[114:115], v[120:121], -v[122:123]
	v_fma_f64 v[116:117], v[116:117], v[120:121], v[118:119]
	v_add_f64 v[3:4], v[3:4], v[114:115]
	v_add_f64 v[1:2], v[1:2], v[116:117]
	s_andn2_b32 exec_lo, exec_lo, s5
	s_cbranch_execnz .LBB114_37
; %bb.38:
	s_or_b32 exec_lo, exec_lo, s5
	v_mov_b32_e32 v7, 0
	ds_read_b128 v[114:117], v7 offset:96
	s_waitcnt lgkmcnt(0)
	v_mul_f64 v[7:8], v[1:2], v[116:117]
	v_mul_f64 v[111:112], v[3:4], v[116:117]
	v_fma_f64 v[3:4], v[3:4], v[114:115], -v[7:8]
	v_fma_f64 v[1:2], v[1:2], v[114:115], v[111:112]
	buffer_store_dword v4, off, s[0:3], 0 offset:116
	buffer_store_dword v3, off, s[0:3], 0 offset:112
	;; [unrolled: 1-line block ×4, first 2 shown]
.LBB114_39:
	s_or_b32 exec_lo, exec_lo, s4
	v_mov_b32_e32 v4, s56
	s_waitcnt_vscnt null, 0x0
	s_barrier
	buffer_gl0_inv
	s_mov_b32 s4, exec_lo
	s_clause 0x3
	buffer_load_dword v1, v4, s[0:3], 0 offen
	buffer_load_dword v2, v4, s[0:3], 0 offen offset:4
	buffer_load_dword v3, v4, s[0:3], 0 offen offset:8
	;; [unrolled: 1-line block ×3, first 2 shown]
	s_waitcnt vmcnt(0)
	ds_write_b128 v5, v[1:4]
	s_waitcnt lgkmcnt(0)
	s_barrier
	buffer_gl0_inv
	v_cmpx_gt_u32_e32 7, v0
	s_cbranch_execz .LBB114_43
; %bb.40:
	v_mov_b32_e32 v1, 0
	v_mov_b32_e32 v3, 0
	v_add_nc_u32_e32 v7, -1, v0
	v_add_nc_u32_e32 v8, 0x330, v113
	v_mov_b32_e32 v2, 0
	v_mov_b32_e32 v4, 0
	v_add_nc_u32_e32 v111, 16, v113
	s_mov_b32 s5, 0
	.p2align	6
.LBB114_41:                             ; =>This Inner Loop Header: Depth=1
	s_clause 0x3
	buffer_load_dword v118, v111, s[0:3], 0 offen offset:8
	buffer_load_dword v119, v111, s[0:3], 0 offen offset:12
	buffer_load_dword v120, v111, s[0:3], 0 offen
	buffer_load_dword v121, v111, s[0:3], 0 offen offset:4
	ds_read_b128 v[114:117], v8
	v_add_nc_u32_e32 v7, 1, v7
	v_add_nc_u32_e32 v8, 16, v8
	;; [unrolled: 1-line block ×3, first 2 shown]
	v_cmp_lt_u32_e32 vcc_lo, 5, v7
	s_or_b32 s5, vcc_lo, s5
	s_waitcnt vmcnt(2) lgkmcnt(0)
	v_mul_f64 v[122:123], v[116:117], v[118:119]
	v_mul_f64 v[118:119], v[114:115], v[118:119]
	s_waitcnt vmcnt(0)
	v_fma_f64 v[114:115], v[114:115], v[120:121], -v[122:123]
	v_fma_f64 v[116:117], v[116:117], v[120:121], v[118:119]
	v_add_f64 v[3:4], v[3:4], v[114:115]
	v_add_f64 v[1:2], v[1:2], v[116:117]
	s_andn2_b32 exec_lo, exec_lo, s5
	s_cbranch_execnz .LBB114_41
; %bb.42:
	s_or_b32 exec_lo, exec_lo, s5
	v_mov_b32_e32 v7, 0
	ds_read_b128 v[114:117], v7 offset:112
	s_waitcnt lgkmcnt(0)
	v_mul_f64 v[7:8], v[1:2], v[116:117]
	v_mul_f64 v[111:112], v[3:4], v[116:117]
	v_fma_f64 v[3:4], v[3:4], v[114:115], -v[7:8]
	v_fma_f64 v[1:2], v[1:2], v[114:115], v[111:112]
	buffer_store_dword v4, off, s[0:3], 0 offset:132
	buffer_store_dword v3, off, s[0:3], 0 offset:128
	;; [unrolled: 1-line block ×4, first 2 shown]
.LBB114_43:
	s_or_b32 exec_lo, exec_lo, s4
	v_mov_b32_e32 v4, s55
	s_waitcnt_vscnt null, 0x0
	s_barrier
	buffer_gl0_inv
	s_mov_b32 s4, exec_lo
	s_clause 0x3
	buffer_load_dword v1, v4, s[0:3], 0 offen
	buffer_load_dword v2, v4, s[0:3], 0 offen offset:4
	buffer_load_dword v3, v4, s[0:3], 0 offen offset:8
	;; [unrolled: 1-line block ×3, first 2 shown]
	s_waitcnt vmcnt(0)
	ds_write_b128 v5, v[1:4]
	s_waitcnt lgkmcnt(0)
	s_barrier
	buffer_gl0_inv
	v_cmpx_gt_u32_e32 8, v0
	s_cbranch_execz .LBB114_47
; %bb.44:
	v_mov_b32_e32 v1, 0
	v_mov_b32_e32 v3, 0
	v_add_nc_u32_e32 v7, -1, v0
	v_add_nc_u32_e32 v8, 0x330, v113
	v_mov_b32_e32 v2, 0
	v_mov_b32_e32 v4, 0
	v_add_nc_u32_e32 v111, 16, v113
	s_mov_b32 s5, 0
	.p2align	6
.LBB114_45:                             ; =>This Inner Loop Header: Depth=1
	s_clause 0x3
	buffer_load_dword v118, v111, s[0:3], 0 offen offset:8
	buffer_load_dword v119, v111, s[0:3], 0 offen offset:12
	buffer_load_dword v120, v111, s[0:3], 0 offen
	buffer_load_dword v121, v111, s[0:3], 0 offen offset:4
	ds_read_b128 v[114:117], v8
	v_add_nc_u32_e32 v7, 1, v7
	v_add_nc_u32_e32 v8, 16, v8
	;; [unrolled: 1-line block ×3, first 2 shown]
	v_cmp_lt_u32_e32 vcc_lo, 6, v7
	s_or_b32 s5, vcc_lo, s5
	s_waitcnt vmcnt(2) lgkmcnt(0)
	v_mul_f64 v[122:123], v[116:117], v[118:119]
	v_mul_f64 v[118:119], v[114:115], v[118:119]
	s_waitcnt vmcnt(0)
	v_fma_f64 v[114:115], v[114:115], v[120:121], -v[122:123]
	v_fma_f64 v[116:117], v[116:117], v[120:121], v[118:119]
	v_add_f64 v[3:4], v[3:4], v[114:115]
	v_add_f64 v[1:2], v[1:2], v[116:117]
	s_andn2_b32 exec_lo, exec_lo, s5
	s_cbranch_execnz .LBB114_45
; %bb.46:
	s_or_b32 exec_lo, exec_lo, s5
	v_mov_b32_e32 v7, 0
	ds_read_b128 v[114:117], v7 offset:128
	s_waitcnt lgkmcnt(0)
	v_mul_f64 v[7:8], v[1:2], v[116:117]
	v_mul_f64 v[111:112], v[3:4], v[116:117]
	v_fma_f64 v[3:4], v[3:4], v[114:115], -v[7:8]
	v_fma_f64 v[1:2], v[1:2], v[114:115], v[111:112]
	buffer_store_dword v4, off, s[0:3], 0 offset:148
	buffer_store_dword v3, off, s[0:3], 0 offset:144
	buffer_store_dword v2, off, s[0:3], 0 offset:156
	buffer_store_dword v1, off, s[0:3], 0 offset:152
.LBB114_47:
	s_or_b32 exec_lo, exec_lo, s4
	v_mov_b32_e32 v4, s54
	s_waitcnt_vscnt null, 0x0
	s_barrier
	buffer_gl0_inv
	s_mov_b32 s4, exec_lo
	s_clause 0x3
	buffer_load_dword v1, v4, s[0:3], 0 offen
	buffer_load_dword v2, v4, s[0:3], 0 offen offset:4
	buffer_load_dword v3, v4, s[0:3], 0 offen offset:8
	;; [unrolled: 1-line block ×3, first 2 shown]
	s_waitcnt vmcnt(0)
	ds_write_b128 v5, v[1:4]
	s_waitcnt lgkmcnt(0)
	s_barrier
	buffer_gl0_inv
	v_cmpx_gt_u32_e32 9, v0
	s_cbranch_execz .LBB114_51
; %bb.48:
	v_mov_b32_e32 v1, 0
	v_mov_b32_e32 v3, 0
	v_add_nc_u32_e32 v7, -1, v0
	v_add_nc_u32_e32 v8, 0x330, v113
	v_mov_b32_e32 v2, 0
	v_mov_b32_e32 v4, 0
	v_add_nc_u32_e32 v111, 16, v113
	s_mov_b32 s5, 0
	.p2align	6
.LBB114_49:                             ; =>This Inner Loop Header: Depth=1
	s_clause 0x3
	buffer_load_dword v118, v111, s[0:3], 0 offen offset:8
	buffer_load_dword v119, v111, s[0:3], 0 offen offset:12
	buffer_load_dword v120, v111, s[0:3], 0 offen
	buffer_load_dword v121, v111, s[0:3], 0 offen offset:4
	ds_read_b128 v[114:117], v8
	v_add_nc_u32_e32 v7, 1, v7
	v_add_nc_u32_e32 v8, 16, v8
	;; [unrolled: 1-line block ×3, first 2 shown]
	v_cmp_lt_u32_e32 vcc_lo, 7, v7
	s_or_b32 s5, vcc_lo, s5
	s_waitcnt vmcnt(2) lgkmcnt(0)
	v_mul_f64 v[122:123], v[116:117], v[118:119]
	v_mul_f64 v[118:119], v[114:115], v[118:119]
	s_waitcnt vmcnt(0)
	v_fma_f64 v[114:115], v[114:115], v[120:121], -v[122:123]
	v_fma_f64 v[116:117], v[116:117], v[120:121], v[118:119]
	v_add_f64 v[3:4], v[3:4], v[114:115]
	v_add_f64 v[1:2], v[1:2], v[116:117]
	s_andn2_b32 exec_lo, exec_lo, s5
	s_cbranch_execnz .LBB114_49
; %bb.50:
	s_or_b32 exec_lo, exec_lo, s5
	v_mov_b32_e32 v7, 0
	ds_read_b128 v[114:117], v7 offset:144
	s_waitcnt lgkmcnt(0)
	v_mul_f64 v[7:8], v[1:2], v[116:117]
	v_mul_f64 v[111:112], v[3:4], v[116:117]
	v_fma_f64 v[3:4], v[3:4], v[114:115], -v[7:8]
	v_fma_f64 v[1:2], v[1:2], v[114:115], v[111:112]
	buffer_store_dword v4, off, s[0:3], 0 offset:164
	buffer_store_dword v3, off, s[0:3], 0 offset:160
	buffer_store_dword v2, off, s[0:3], 0 offset:172
	buffer_store_dword v1, off, s[0:3], 0 offset:168
.LBB114_51:
	s_or_b32 exec_lo, exec_lo, s4
	v_mov_b32_e32 v4, s53
	s_waitcnt_vscnt null, 0x0
	s_barrier
	buffer_gl0_inv
	s_mov_b32 s4, exec_lo
	s_clause 0x3
	buffer_load_dword v1, v4, s[0:3], 0 offen
	buffer_load_dword v2, v4, s[0:3], 0 offen offset:4
	buffer_load_dword v3, v4, s[0:3], 0 offen offset:8
	;; [unrolled: 1-line block ×3, first 2 shown]
	s_waitcnt vmcnt(0)
	ds_write_b128 v5, v[1:4]
	s_waitcnt lgkmcnt(0)
	s_barrier
	buffer_gl0_inv
	v_cmpx_gt_u32_e32 10, v0
	s_cbranch_execz .LBB114_55
; %bb.52:
	v_mov_b32_e32 v1, 0
	v_mov_b32_e32 v3, 0
	v_add_nc_u32_e32 v7, -1, v0
	v_add_nc_u32_e32 v8, 0x330, v113
	v_mov_b32_e32 v2, 0
	v_mov_b32_e32 v4, 0
	v_add_nc_u32_e32 v111, 16, v113
	s_mov_b32 s5, 0
	.p2align	6
.LBB114_53:                             ; =>This Inner Loop Header: Depth=1
	s_clause 0x3
	buffer_load_dword v118, v111, s[0:3], 0 offen offset:8
	buffer_load_dword v119, v111, s[0:3], 0 offen offset:12
	buffer_load_dword v120, v111, s[0:3], 0 offen
	buffer_load_dword v121, v111, s[0:3], 0 offen offset:4
	ds_read_b128 v[114:117], v8
	v_add_nc_u32_e32 v7, 1, v7
	v_add_nc_u32_e32 v8, 16, v8
	;; [unrolled: 1-line block ×3, first 2 shown]
	v_cmp_lt_u32_e32 vcc_lo, 8, v7
	s_or_b32 s5, vcc_lo, s5
	s_waitcnt vmcnt(2) lgkmcnt(0)
	v_mul_f64 v[122:123], v[116:117], v[118:119]
	v_mul_f64 v[118:119], v[114:115], v[118:119]
	s_waitcnt vmcnt(0)
	v_fma_f64 v[114:115], v[114:115], v[120:121], -v[122:123]
	v_fma_f64 v[116:117], v[116:117], v[120:121], v[118:119]
	v_add_f64 v[3:4], v[3:4], v[114:115]
	v_add_f64 v[1:2], v[1:2], v[116:117]
	s_andn2_b32 exec_lo, exec_lo, s5
	s_cbranch_execnz .LBB114_53
; %bb.54:
	s_or_b32 exec_lo, exec_lo, s5
	v_mov_b32_e32 v7, 0
	ds_read_b128 v[114:117], v7 offset:160
	s_waitcnt lgkmcnt(0)
	v_mul_f64 v[7:8], v[1:2], v[116:117]
	v_mul_f64 v[111:112], v[3:4], v[116:117]
	v_fma_f64 v[3:4], v[3:4], v[114:115], -v[7:8]
	v_fma_f64 v[1:2], v[1:2], v[114:115], v[111:112]
	buffer_store_dword v4, off, s[0:3], 0 offset:180
	buffer_store_dword v3, off, s[0:3], 0 offset:176
	;; [unrolled: 1-line block ×4, first 2 shown]
.LBB114_55:
	s_or_b32 exec_lo, exec_lo, s4
	v_mov_b32_e32 v4, s52
	s_waitcnt_vscnt null, 0x0
	s_barrier
	buffer_gl0_inv
	s_mov_b32 s4, exec_lo
	s_clause 0x3
	buffer_load_dword v1, v4, s[0:3], 0 offen
	buffer_load_dword v2, v4, s[0:3], 0 offen offset:4
	buffer_load_dword v3, v4, s[0:3], 0 offen offset:8
	;; [unrolled: 1-line block ×3, first 2 shown]
	s_waitcnt vmcnt(0)
	ds_write_b128 v5, v[1:4]
	s_waitcnt lgkmcnt(0)
	s_barrier
	buffer_gl0_inv
	v_cmpx_gt_u32_e32 11, v0
	s_cbranch_execz .LBB114_59
; %bb.56:
	v_mov_b32_e32 v1, 0
	v_mov_b32_e32 v3, 0
	v_add_nc_u32_e32 v7, -1, v0
	v_add_nc_u32_e32 v8, 0x330, v113
	v_mov_b32_e32 v2, 0
	v_mov_b32_e32 v4, 0
	v_add_nc_u32_e32 v111, 16, v113
	s_mov_b32 s5, 0
	.p2align	6
.LBB114_57:                             ; =>This Inner Loop Header: Depth=1
	s_clause 0x3
	buffer_load_dword v118, v111, s[0:3], 0 offen offset:8
	buffer_load_dword v119, v111, s[0:3], 0 offen offset:12
	buffer_load_dword v120, v111, s[0:3], 0 offen
	buffer_load_dword v121, v111, s[0:3], 0 offen offset:4
	ds_read_b128 v[114:117], v8
	v_add_nc_u32_e32 v7, 1, v7
	v_add_nc_u32_e32 v8, 16, v8
	;; [unrolled: 1-line block ×3, first 2 shown]
	v_cmp_lt_u32_e32 vcc_lo, 9, v7
	s_or_b32 s5, vcc_lo, s5
	s_waitcnt vmcnt(2) lgkmcnt(0)
	v_mul_f64 v[122:123], v[116:117], v[118:119]
	v_mul_f64 v[118:119], v[114:115], v[118:119]
	s_waitcnt vmcnt(0)
	v_fma_f64 v[114:115], v[114:115], v[120:121], -v[122:123]
	v_fma_f64 v[116:117], v[116:117], v[120:121], v[118:119]
	v_add_f64 v[3:4], v[3:4], v[114:115]
	v_add_f64 v[1:2], v[1:2], v[116:117]
	s_andn2_b32 exec_lo, exec_lo, s5
	s_cbranch_execnz .LBB114_57
; %bb.58:
	s_or_b32 exec_lo, exec_lo, s5
	v_mov_b32_e32 v7, 0
	ds_read_b128 v[114:117], v7 offset:176
	s_waitcnt lgkmcnt(0)
	v_mul_f64 v[7:8], v[1:2], v[116:117]
	v_mul_f64 v[111:112], v[3:4], v[116:117]
	v_fma_f64 v[3:4], v[3:4], v[114:115], -v[7:8]
	v_fma_f64 v[1:2], v[1:2], v[114:115], v[111:112]
	buffer_store_dword v4, off, s[0:3], 0 offset:196
	buffer_store_dword v3, off, s[0:3], 0 offset:192
	;; [unrolled: 1-line block ×4, first 2 shown]
.LBB114_59:
	s_or_b32 exec_lo, exec_lo, s4
	v_mov_b32_e32 v4, s51
	s_waitcnt_vscnt null, 0x0
	s_barrier
	buffer_gl0_inv
	s_mov_b32 s4, exec_lo
	s_clause 0x3
	buffer_load_dword v1, v4, s[0:3], 0 offen
	buffer_load_dword v2, v4, s[0:3], 0 offen offset:4
	buffer_load_dword v3, v4, s[0:3], 0 offen offset:8
	;; [unrolled: 1-line block ×3, first 2 shown]
	s_waitcnt vmcnt(0)
	ds_write_b128 v5, v[1:4]
	s_waitcnt lgkmcnt(0)
	s_barrier
	buffer_gl0_inv
	v_cmpx_gt_u32_e32 12, v0
	s_cbranch_execz .LBB114_63
; %bb.60:
	v_mov_b32_e32 v1, 0
	v_mov_b32_e32 v3, 0
	v_add_nc_u32_e32 v7, -1, v0
	v_add_nc_u32_e32 v8, 0x330, v113
	v_mov_b32_e32 v2, 0
	v_mov_b32_e32 v4, 0
	v_add_nc_u32_e32 v111, 16, v113
	s_mov_b32 s5, 0
	.p2align	6
.LBB114_61:                             ; =>This Inner Loop Header: Depth=1
	s_clause 0x3
	buffer_load_dword v118, v111, s[0:3], 0 offen offset:8
	buffer_load_dword v119, v111, s[0:3], 0 offen offset:12
	buffer_load_dword v120, v111, s[0:3], 0 offen
	buffer_load_dword v121, v111, s[0:3], 0 offen offset:4
	ds_read_b128 v[114:117], v8
	v_add_nc_u32_e32 v7, 1, v7
	v_add_nc_u32_e32 v8, 16, v8
	;; [unrolled: 1-line block ×3, first 2 shown]
	v_cmp_lt_u32_e32 vcc_lo, 10, v7
	s_or_b32 s5, vcc_lo, s5
	s_waitcnt vmcnt(2) lgkmcnt(0)
	v_mul_f64 v[122:123], v[116:117], v[118:119]
	v_mul_f64 v[118:119], v[114:115], v[118:119]
	s_waitcnt vmcnt(0)
	v_fma_f64 v[114:115], v[114:115], v[120:121], -v[122:123]
	v_fma_f64 v[116:117], v[116:117], v[120:121], v[118:119]
	v_add_f64 v[3:4], v[3:4], v[114:115]
	v_add_f64 v[1:2], v[1:2], v[116:117]
	s_andn2_b32 exec_lo, exec_lo, s5
	s_cbranch_execnz .LBB114_61
; %bb.62:
	s_or_b32 exec_lo, exec_lo, s5
	v_mov_b32_e32 v7, 0
	ds_read_b128 v[114:117], v7 offset:192
	s_waitcnt lgkmcnt(0)
	v_mul_f64 v[7:8], v[1:2], v[116:117]
	v_mul_f64 v[111:112], v[3:4], v[116:117]
	v_fma_f64 v[3:4], v[3:4], v[114:115], -v[7:8]
	v_fma_f64 v[1:2], v[1:2], v[114:115], v[111:112]
	buffer_store_dword v4, off, s[0:3], 0 offset:212
	buffer_store_dword v3, off, s[0:3], 0 offset:208
	;; [unrolled: 1-line block ×4, first 2 shown]
.LBB114_63:
	s_or_b32 exec_lo, exec_lo, s4
	v_mov_b32_e32 v4, s50
	s_waitcnt_vscnt null, 0x0
	s_barrier
	buffer_gl0_inv
	s_mov_b32 s4, exec_lo
	s_clause 0x3
	buffer_load_dword v1, v4, s[0:3], 0 offen
	buffer_load_dword v2, v4, s[0:3], 0 offen offset:4
	buffer_load_dword v3, v4, s[0:3], 0 offen offset:8
	;; [unrolled: 1-line block ×3, first 2 shown]
	s_waitcnt vmcnt(0)
	ds_write_b128 v5, v[1:4]
	s_waitcnt lgkmcnt(0)
	s_barrier
	buffer_gl0_inv
	v_cmpx_gt_u32_e32 13, v0
	s_cbranch_execz .LBB114_67
; %bb.64:
	v_mov_b32_e32 v1, 0
	v_mov_b32_e32 v3, 0
	v_add_nc_u32_e32 v7, -1, v0
	v_add_nc_u32_e32 v8, 0x330, v113
	v_mov_b32_e32 v2, 0
	v_mov_b32_e32 v4, 0
	v_add_nc_u32_e32 v111, 16, v113
	s_mov_b32 s5, 0
	.p2align	6
.LBB114_65:                             ; =>This Inner Loop Header: Depth=1
	s_clause 0x3
	buffer_load_dword v118, v111, s[0:3], 0 offen offset:8
	buffer_load_dword v119, v111, s[0:3], 0 offen offset:12
	buffer_load_dword v120, v111, s[0:3], 0 offen
	buffer_load_dword v121, v111, s[0:3], 0 offen offset:4
	ds_read_b128 v[114:117], v8
	v_add_nc_u32_e32 v7, 1, v7
	v_add_nc_u32_e32 v8, 16, v8
	;; [unrolled: 1-line block ×3, first 2 shown]
	v_cmp_lt_u32_e32 vcc_lo, 11, v7
	s_or_b32 s5, vcc_lo, s5
	s_waitcnt vmcnt(2) lgkmcnt(0)
	v_mul_f64 v[122:123], v[116:117], v[118:119]
	v_mul_f64 v[118:119], v[114:115], v[118:119]
	s_waitcnt vmcnt(0)
	v_fma_f64 v[114:115], v[114:115], v[120:121], -v[122:123]
	v_fma_f64 v[116:117], v[116:117], v[120:121], v[118:119]
	v_add_f64 v[3:4], v[3:4], v[114:115]
	v_add_f64 v[1:2], v[1:2], v[116:117]
	s_andn2_b32 exec_lo, exec_lo, s5
	s_cbranch_execnz .LBB114_65
; %bb.66:
	s_or_b32 exec_lo, exec_lo, s5
	v_mov_b32_e32 v7, 0
	ds_read_b128 v[114:117], v7 offset:208
	s_waitcnt lgkmcnt(0)
	v_mul_f64 v[7:8], v[1:2], v[116:117]
	v_mul_f64 v[111:112], v[3:4], v[116:117]
	v_fma_f64 v[3:4], v[3:4], v[114:115], -v[7:8]
	v_fma_f64 v[1:2], v[1:2], v[114:115], v[111:112]
	buffer_store_dword v4, off, s[0:3], 0 offset:228
	buffer_store_dword v3, off, s[0:3], 0 offset:224
	;; [unrolled: 1-line block ×4, first 2 shown]
.LBB114_67:
	s_or_b32 exec_lo, exec_lo, s4
	v_mov_b32_e32 v4, s49
	s_waitcnt_vscnt null, 0x0
	s_barrier
	buffer_gl0_inv
	s_mov_b32 s4, exec_lo
	s_clause 0x3
	buffer_load_dword v1, v4, s[0:3], 0 offen
	buffer_load_dword v2, v4, s[0:3], 0 offen offset:4
	buffer_load_dword v3, v4, s[0:3], 0 offen offset:8
	;; [unrolled: 1-line block ×3, first 2 shown]
	s_waitcnt vmcnt(0)
	ds_write_b128 v5, v[1:4]
	s_waitcnt lgkmcnt(0)
	s_barrier
	buffer_gl0_inv
	v_cmpx_gt_u32_e32 14, v0
	s_cbranch_execz .LBB114_71
; %bb.68:
	v_mov_b32_e32 v1, 0
	v_mov_b32_e32 v3, 0
	v_add_nc_u32_e32 v7, -1, v0
	v_add_nc_u32_e32 v8, 0x330, v113
	v_mov_b32_e32 v2, 0
	v_mov_b32_e32 v4, 0
	v_add_nc_u32_e32 v111, 16, v113
	s_mov_b32 s5, 0
	.p2align	6
.LBB114_69:                             ; =>This Inner Loop Header: Depth=1
	s_clause 0x3
	buffer_load_dword v118, v111, s[0:3], 0 offen offset:8
	buffer_load_dword v119, v111, s[0:3], 0 offen offset:12
	buffer_load_dword v120, v111, s[0:3], 0 offen
	buffer_load_dword v121, v111, s[0:3], 0 offen offset:4
	ds_read_b128 v[114:117], v8
	v_add_nc_u32_e32 v7, 1, v7
	v_add_nc_u32_e32 v8, 16, v8
	;; [unrolled: 1-line block ×3, first 2 shown]
	v_cmp_lt_u32_e32 vcc_lo, 12, v7
	s_or_b32 s5, vcc_lo, s5
	s_waitcnt vmcnt(2) lgkmcnt(0)
	v_mul_f64 v[122:123], v[116:117], v[118:119]
	v_mul_f64 v[118:119], v[114:115], v[118:119]
	s_waitcnt vmcnt(0)
	v_fma_f64 v[114:115], v[114:115], v[120:121], -v[122:123]
	v_fma_f64 v[116:117], v[116:117], v[120:121], v[118:119]
	v_add_f64 v[3:4], v[3:4], v[114:115]
	v_add_f64 v[1:2], v[1:2], v[116:117]
	s_andn2_b32 exec_lo, exec_lo, s5
	s_cbranch_execnz .LBB114_69
; %bb.70:
	s_or_b32 exec_lo, exec_lo, s5
	v_mov_b32_e32 v7, 0
	ds_read_b128 v[114:117], v7 offset:224
	s_waitcnt lgkmcnt(0)
	v_mul_f64 v[7:8], v[1:2], v[116:117]
	v_mul_f64 v[111:112], v[3:4], v[116:117]
	v_fma_f64 v[3:4], v[3:4], v[114:115], -v[7:8]
	v_fma_f64 v[1:2], v[1:2], v[114:115], v[111:112]
	buffer_store_dword v4, off, s[0:3], 0 offset:244
	buffer_store_dword v3, off, s[0:3], 0 offset:240
	;; [unrolled: 1-line block ×4, first 2 shown]
.LBB114_71:
	s_or_b32 exec_lo, exec_lo, s4
	v_mov_b32_e32 v4, s48
	s_waitcnt_vscnt null, 0x0
	s_barrier
	buffer_gl0_inv
	s_mov_b32 s4, exec_lo
	s_clause 0x3
	buffer_load_dword v1, v4, s[0:3], 0 offen
	buffer_load_dword v2, v4, s[0:3], 0 offen offset:4
	buffer_load_dword v3, v4, s[0:3], 0 offen offset:8
	;; [unrolled: 1-line block ×3, first 2 shown]
	s_waitcnt vmcnt(0)
	ds_write_b128 v5, v[1:4]
	s_waitcnt lgkmcnt(0)
	s_barrier
	buffer_gl0_inv
	v_cmpx_gt_u32_e32 15, v0
	s_cbranch_execz .LBB114_75
; %bb.72:
	v_mov_b32_e32 v1, 0
	v_mov_b32_e32 v3, 0
	v_add_nc_u32_e32 v7, -1, v0
	v_add_nc_u32_e32 v8, 0x330, v113
	v_mov_b32_e32 v2, 0
	v_mov_b32_e32 v4, 0
	v_add_nc_u32_e32 v111, 16, v113
	s_mov_b32 s5, 0
	.p2align	6
.LBB114_73:                             ; =>This Inner Loop Header: Depth=1
	s_clause 0x3
	buffer_load_dword v118, v111, s[0:3], 0 offen offset:8
	buffer_load_dword v119, v111, s[0:3], 0 offen offset:12
	buffer_load_dword v120, v111, s[0:3], 0 offen
	buffer_load_dword v121, v111, s[0:3], 0 offen offset:4
	ds_read_b128 v[114:117], v8
	v_add_nc_u32_e32 v7, 1, v7
	v_add_nc_u32_e32 v8, 16, v8
	;; [unrolled: 1-line block ×3, first 2 shown]
	v_cmp_lt_u32_e32 vcc_lo, 13, v7
	s_or_b32 s5, vcc_lo, s5
	s_waitcnt vmcnt(2) lgkmcnt(0)
	v_mul_f64 v[122:123], v[116:117], v[118:119]
	v_mul_f64 v[118:119], v[114:115], v[118:119]
	s_waitcnt vmcnt(0)
	v_fma_f64 v[114:115], v[114:115], v[120:121], -v[122:123]
	v_fma_f64 v[116:117], v[116:117], v[120:121], v[118:119]
	v_add_f64 v[3:4], v[3:4], v[114:115]
	v_add_f64 v[1:2], v[1:2], v[116:117]
	s_andn2_b32 exec_lo, exec_lo, s5
	s_cbranch_execnz .LBB114_73
; %bb.74:
	s_or_b32 exec_lo, exec_lo, s5
	v_mov_b32_e32 v7, 0
	ds_read_b128 v[114:117], v7 offset:240
	s_waitcnt lgkmcnt(0)
	v_mul_f64 v[7:8], v[1:2], v[116:117]
	v_mul_f64 v[111:112], v[3:4], v[116:117]
	v_fma_f64 v[3:4], v[3:4], v[114:115], -v[7:8]
	v_fma_f64 v[1:2], v[1:2], v[114:115], v[111:112]
	buffer_store_dword v4, off, s[0:3], 0 offset:260
	buffer_store_dword v3, off, s[0:3], 0 offset:256
	;; [unrolled: 1-line block ×4, first 2 shown]
.LBB114_75:
	s_or_b32 exec_lo, exec_lo, s4
	v_mov_b32_e32 v4, s47
	s_waitcnt_vscnt null, 0x0
	s_barrier
	buffer_gl0_inv
	s_mov_b32 s4, exec_lo
	s_clause 0x3
	buffer_load_dword v1, v4, s[0:3], 0 offen
	buffer_load_dword v2, v4, s[0:3], 0 offen offset:4
	buffer_load_dword v3, v4, s[0:3], 0 offen offset:8
	;; [unrolled: 1-line block ×3, first 2 shown]
	s_waitcnt vmcnt(0)
	ds_write_b128 v5, v[1:4]
	s_waitcnt lgkmcnt(0)
	s_barrier
	buffer_gl0_inv
	v_cmpx_gt_u32_e32 16, v0
	s_cbranch_execz .LBB114_79
; %bb.76:
	v_mov_b32_e32 v1, 0
	v_mov_b32_e32 v3, 0
	v_add_nc_u32_e32 v7, -1, v0
	v_add_nc_u32_e32 v8, 0x330, v113
	v_mov_b32_e32 v2, 0
	v_mov_b32_e32 v4, 0
	v_add_nc_u32_e32 v111, 16, v113
	s_mov_b32 s5, 0
	.p2align	6
.LBB114_77:                             ; =>This Inner Loop Header: Depth=1
	s_clause 0x3
	buffer_load_dword v118, v111, s[0:3], 0 offen offset:8
	buffer_load_dword v119, v111, s[0:3], 0 offen offset:12
	buffer_load_dword v120, v111, s[0:3], 0 offen
	buffer_load_dword v121, v111, s[0:3], 0 offen offset:4
	ds_read_b128 v[114:117], v8
	v_add_nc_u32_e32 v7, 1, v7
	v_add_nc_u32_e32 v8, 16, v8
	;; [unrolled: 1-line block ×3, first 2 shown]
	v_cmp_lt_u32_e32 vcc_lo, 14, v7
	s_or_b32 s5, vcc_lo, s5
	s_waitcnt vmcnt(2) lgkmcnt(0)
	v_mul_f64 v[122:123], v[116:117], v[118:119]
	v_mul_f64 v[118:119], v[114:115], v[118:119]
	s_waitcnt vmcnt(0)
	v_fma_f64 v[114:115], v[114:115], v[120:121], -v[122:123]
	v_fma_f64 v[116:117], v[116:117], v[120:121], v[118:119]
	v_add_f64 v[3:4], v[3:4], v[114:115]
	v_add_f64 v[1:2], v[1:2], v[116:117]
	s_andn2_b32 exec_lo, exec_lo, s5
	s_cbranch_execnz .LBB114_77
; %bb.78:
	s_or_b32 exec_lo, exec_lo, s5
	v_mov_b32_e32 v7, 0
	ds_read_b128 v[114:117], v7 offset:256
	s_waitcnt lgkmcnt(0)
	v_mul_f64 v[7:8], v[1:2], v[116:117]
	v_mul_f64 v[111:112], v[3:4], v[116:117]
	v_fma_f64 v[3:4], v[3:4], v[114:115], -v[7:8]
	v_fma_f64 v[1:2], v[1:2], v[114:115], v[111:112]
	buffer_store_dword v4, off, s[0:3], 0 offset:276
	buffer_store_dword v3, off, s[0:3], 0 offset:272
	buffer_store_dword v2, off, s[0:3], 0 offset:284
	buffer_store_dword v1, off, s[0:3], 0 offset:280
.LBB114_79:
	s_or_b32 exec_lo, exec_lo, s4
	v_mov_b32_e32 v4, s46
	s_waitcnt_vscnt null, 0x0
	s_barrier
	buffer_gl0_inv
	s_mov_b32 s4, exec_lo
	s_clause 0x3
	buffer_load_dword v1, v4, s[0:3], 0 offen
	buffer_load_dword v2, v4, s[0:3], 0 offen offset:4
	buffer_load_dword v3, v4, s[0:3], 0 offen offset:8
	;; [unrolled: 1-line block ×3, first 2 shown]
	s_waitcnt vmcnt(0)
	ds_write_b128 v5, v[1:4]
	s_waitcnt lgkmcnt(0)
	s_barrier
	buffer_gl0_inv
	v_cmpx_gt_u32_e32 17, v0
	s_cbranch_execz .LBB114_83
; %bb.80:
	v_mov_b32_e32 v1, 0
	v_mov_b32_e32 v3, 0
	v_add_nc_u32_e32 v7, -1, v0
	v_add_nc_u32_e32 v8, 0x330, v113
	v_mov_b32_e32 v2, 0
	v_mov_b32_e32 v4, 0
	v_add_nc_u32_e32 v111, 16, v113
	s_mov_b32 s5, 0
	.p2align	6
.LBB114_81:                             ; =>This Inner Loop Header: Depth=1
	s_clause 0x3
	buffer_load_dword v118, v111, s[0:3], 0 offen offset:8
	buffer_load_dword v119, v111, s[0:3], 0 offen offset:12
	buffer_load_dword v120, v111, s[0:3], 0 offen
	buffer_load_dword v121, v111, s[0:3], 0 offen offset:4
	ds_read_b128 v[114:117], v8
	v_add_nc_u32_e32 v7, 1, v7
	v_add_nc_u32_e32 v8, 16, v8
	;; [unrolled: 1-line block ×3, first 2 shown]
	v_cmp_lt_u32_e32 vcc_lo, 15, v7
	s_or_b32 s5, vcc_lo, s5
	s_waitcnt vmcnt(2) lgkmcnt(0)
	v_mul_f64 v[122:123], v[116:117], v[118:119]
	v_mul_f64 v[118:119], v[114:115], v[118:119]
	s_waitcnt vmcnt(0)
	v_fma_f64 v[114:115], v[114:115], v[120:121], -v[122:123]
	v_fma_f64 v[116:117], v[116:117], v[120:121], v[118:119]
	v_add_f64 v[3:4], v[3:4], v[114:115]
	v_add_f64 v[1:2], v[1:2], v[116:117]
	s_andn2_b32 exec_lo, exec_lo, s5
	s_cbranch_execnz .LBB114_81
; %bb.82:
	s_or_b32 exec_lo, exec_lo, s5
	v_mov_b32_e32 v7, 0
	ds_read_b128 v[114:117], v7 offset:272
	s_waitcnt lgkmcnt(0)
	v_mul_f64 v[7:8], v[1:2], v[116:117]
	v_mul_f64 v[111:112], v[3:4], v[116:117]
	v_fma_f64 v[3:4], v[3:4], v[114:115], -v[7:8]
	v_fma_f64 v[1:2], v[1:2], v[114:115], v[111:112]
	buffer_store_dword v4, off, s[0:3], 0 offset:292
	buffer_store_dword v3, off, s[0:3], 0 offset:288
	;; [unrolled: 1-line block ×4, first 2 shown]
.LBB114_83:
	s_or_b32 exec_lo, exec_lo, s4
	v_mov_b32_e32 v4, s45
	s_waitcnt_vscnt null, 0x0
	s_barrier
	buffer_gl0_inv
	s_mov_b32 s4, exec_lo
	s_clause 0x3
	buffer_load_dword v1, v4, s[0:3], 0 offen
	buffer_load_dword v2, v4, s[0:3], 0 offen offset:4
	buffer_load_dword v3, v4, s[0:3], 0 offen offset:8
	;; [unrolled: 1-line block ×3, first 2 shown]
	s_waitcnt vmcnt(0)
	ds_write_b128 v5, v[1:4]
	s_waitcnt lgkmcnt(0)
	s_barrier
	buffer_gl0_inv
	v_cmpx_gt_u32_e32 18, v0
	s_cbranch_execz .LBB114_87
; %bb.84:
	v_mov_b32_e32 v1, 0
	v_mov_b32_e32 v3, 0
	v_add_nc_u32_e32 v7, -1, v0
	v_add_nc_u32_e32 v8, 0x330, v113
	v_mov_b32_e32 v2, 0
	v_mov_b32_e32 v4, 0
	v_add_nc_u32_e32 v111, 16, v113
	s_mov_b32 s5, 0
	.p2align	6
.LBB114_85:                             ; =>This Inner Loop Header: Depth=1
	s_clause 0x3
	buffer_load_dword v118, v111, s[0:3], 0 offen offset:8
	buffer_load_dword v119, v111, s[0:3], 0 offen offset:12
	buffer_load_dword v120, v111, s[0:3], 0 offen
	buffer_load_dword v121, v111, s[0:3], 0 offen offset:4
	ds_read_b128 v[114:117], v8
	v_add_nc_u32_e32 v7, 1, v7
	v_add_nc_u32_e32 v8, 16, v8
	;; [unrolled: 1-line block ×3, first 2 shown]
	v_cmp_lt_u32_e32 vcc_lo, 16, v7
	s_or_b32 s5, vcc_lo, s5
	s_waitcnt vmcnt(2) lgkmcnt(0)
	v_mul_f64 v[122:123], v[116:117], v[118:119]
	v_mul_f64 v[118:119], v[114:115], v[118:119]
	s_waitcnt vmcnt(0)
	v_fma_f64 v[114:115], v[114:115], v[120:121], -v[122:123]
	v_fma_f64 v[116:117], v[116:117], v[120:121], v[118:119]
	v_add_f64 v[3:4], v[3:4], v[114:115]
	v_add_f64 v[1:2], v[1:2], v[116:117]
	s_andn2_b32 exec_lo, exec_lo, s5
	s_cbranch_execnz .LBB114_85
; %bb.86:
	s_or_b32 exec_lo, exec_lo, s5
	v_mov_b32_e32 v7, 0
	ds_read_b128 v[114:117], v7 offset:288
	s_waitcnt lgkmcnt(0)
	v_mul_f64 v[7:8], v[1:2], v[116:117]
	v_mul_f64 v[111:112], v[3:4], v[116:117]
	v_fma_f64 v[3:4], v[3:4], v[114:115], -v[7:8]
	v_fma_f64 v[1:2], v[1:2], v[114:115], v[111:112]
	buffer_store_dword v4, off, s[0:3], 0 offset:308
	buffer_store_dword v3, off, s[0:3], 0 offset:304
	;; [unrolled: 1-line block ×4, first 2 shown]
.LBB114_87:
	s_or_b32 exec_lo, exec_lo, s4
	v_mov_b32_e32 v4, s44
	s_waitcnt_vscnt null, 0x0
	s_barrier
	buffer_gl0_inv
	s_mov_b32 s4, exec_lo
	s_clause 0x3
	buffer_load_dword v1, v4, s[0:3], 0 offen
	buffer_load_dword v2, v4, s[0:3], 0 offen offset:4
	buffer_load_dword v3, v4, s[0:3], 0 offen offset:8
	;; [unrolled: 1-line block ×3, first 2 shown]
	s_waitcnt vmcnt(0)
	ds_write_b128 v5, v[1:4]
	s_waitcnt lgkmcnt(0)
	s_barrier
	buffer_gl0_inv
	v_cmpx_gt_u32_e32 19, v0
	s_cbranch_execz .LBB114_91
; %bb.88:
	v_mov_b32_e32 v1, 0
	v_mov_b32_e32 v3, 0
	v_add_nc_u32_e32 v7, -1, v0
	v_add_nc_u32_e32 v8, 0x330, v113
	v_mov_b32_e32 v2, 0
	v_mov_b32_e32 v4, 0
	v_add_nc_u32_e32 v111, 16, v113
	s_mov_b32 s5, 0
	.p2align	6
.LBB114_89:                             ; =>This Inner Loop Header: Depth=1
	s_clause 0x3
	buffer_load_dword v118, v111, s[0:3], 0 offen offset:8
	buffer_load_dword v119, v111, s[0:3], 0 offen offset:12
	buffer_load_dword v120, v111, s[0:3], 0 offen
	buffer_load_dword v121, v111, s[0:3], 0 offen offset:4
	ds_read_b128 v[114:117], v8
	v_add_nc_u32_e32 v7, 1, v7
	v_add_nc_u32_e32 v8, 16, v8
	;; [unrolled: 1-line block ×3, first 2 shown]
	v_cmp_lt_u32_e32 vcc_lo, 17, v7
	s_or_b32 s5, vcc_lo, s5
	s_waitcnt vmcnt(2) lgkmcnt(0)
	v_mul_f64 v[122:123], v[116:117], v[118:119]
	v_mul_f64 v[118:119], v[114:115], v[118:119]
	s_waitcnt vmcnt(0)
	v_fma_f64 v[114:115], v[114:115], v[120:121], -v[122:123]
	v_fma_f64 v[116:117], v[116:117], v[120:121], v[118:119]
	v_add_f64 v[3:4], v[3:4], v[114:115]
	v_add_f64 v[1:2], v[1:2], v[116:117]
	s_andn2_b32 exec_lo, exec_lo, s5
	s_cbranch_execnz .LBB114_89
; %bb.90:
	s_or_b32 exec_lo, exec_lo, s5
	v_mov_b32_e32 v7, 0
	ds_read_b128 v[114:117], v7 offset:304
	s_waitcnt lgkmcnt(0)
	v_mul_f64 v[7:8], v[1:2], v[116:117]
	v_mul_f64 v[111:112], v[3:4], v[116:117]
	v_fma_f64 v[3:4], v[3:4], v[114:115], -v[7:8]
	v_fma_f64 v[1:2], v[1:2], v[114:115], v[111:112]
	buffer_store_dword v4, off, s[0:3], 0 offset:324
	buffer_store_dword v3, off, s[0:3], 0 offset:320
	;; [unrolled: 1-line block ×4, first 2 shown]
.LBB114_91:
	s_or_b32 exec_lo, exec_lo, s4
	v_mov_b32_e32 v4, s43
	s_waitcnt_vscnt null, 0x0
	s_barrier
	buffer_gl0_inv
	s_mov_b32 s4, exec_lo
	s_clause 0x3
	buffer_load_dword v1, v4, s[0:3], 0 offen
	buffer_load_dword v2, v4, s[0:3], 0 offen offset:4
	buffer_load_dword v3, v4, s[0:3], 0 offen offset:8
	;; [unrolled: 1-line block ×3, first 2 shown]
	s_waitcnt vmcnt(0)
	ds_write_b128 v5, v[1:4]
	s_waitcnt lgkmcnt(0)
	s_barrier
	buffer_gl0_inv
	v_cmpx_gt_u32_e32 20, v0
	s_cbranch_execz .LBB114_95
; %bb.92:
	v_mov_b32_e32 v1, 0
	v_mov_b32_e32 v3, 0
	v_add_nc_u32_e32 v7, -1, v0
	v_add_nc_u32_e32 v8, 0x330, v113
	v_mov_b32_e32 v2, 0
	v_mov_b32_e32 v4, 0
	v_add_nc_u32_e32 v111, 16, v113
	s_mov_b32 s5, 0
	.p2align	6
.LBB114_93:                             ; =>This Inner Loop Header: Depth=1
	s_clause 0x3
	buffer_load_dword v118, v111, s[0:3], 0 offen offset:8
	buffer_load_dword v119, v111, s[0:3], 0 offen offset:12
	buffer_load_dword v120, v111, s[0:3], 0 offen
	buffer_load_dword v121, v111, s[0:3], 0 offen offset:4
	ds_read_b128 v[114:117], v8
	v_add_nc_u32_e32 v7, 1, v7
	v_add_nc_u32_e32 v8, 16, v8
	v_add_nc_u32_e32 v111, 16, v111
	v_cmp_lt_u32_e32 vcc_lo, 18, v7
	s_or_b32 s5, vcc_lo, s5
	s_waitcnt vmcnt(2) lgkmcnt(0)
	v_mul_f64 v[122:123], v[116:117], v[118:119]
	v_mul_f64 v[118:119], v[114:115], v[118:119]
	s_waitcnt vmcnt(0)
	v_fma_f64 v[114:115], v[114:115], v[120:121], -v[122:123]
	v_fma_f64 v[116:117], v[116:117], v[120:121], v[118:119]
	v_add_f64 v[3:4], v[3:4], v[114:115]
	v_add_f64 v[1:2], v[1:2], v[116:117]
	s_andn2_b32 exec_lo, exec_lo, s5
	s_cbranch_execnz .LBB114_93
; %bb.94:
	s_or_b32 exec_lo, exec_lo, s5
	v_mov_b32_e32 v7, 0
	ds_read_b128 v[114:117], v7 offset:320
	s_waitcnt lgkmcnt(0)
	v_mul_f64 v[7:8], v[1:2], v[116:117]
	v_mul_f64 v[111:112], v[3:4], v[116:117]
	v_fma_f64 v[3:4], v[3:4], v[114:115], -v[7:8]
	v_fma_f64 v[1:2], v[1:2], v[114:115], v[111:112]
	buffer_store_dword v4, off, s[0:3], 0 offset:340
	buffer_store_dword v3, off, s[0:3], 0 offset:336
	;; [unrolled: 1-line block ×4, first 2 shown]
.LBB114_95:
	s_or_b32 exec_lo, exec_lo, s4
	v_mov_b32_e32 v4, s42
	s_waitcnt_vscnt null, 0x0
	s_barrier
	buffer_gl0_inv
	s_mov_b32 s4, exec_lo
	s_clause 0x3
	buffer_load_dword v1, v4, s[0:3], 0 offen
	buffer_load_dword v2, v4, s[0:3], 0 offen offset:4
	buffer_load_dword v3, v4, s[0:3], 0 offen offset:8
	;; [unrolled: 1-line block ×3, first 2 shown]
	s_waitcnt vmcnt(0)
	ds_write_b128 v5, v[1:4]
	s_waitcnt lgkmcnt(0)
	s_barrier
	buffer_gl0_inv
	v_cmpx_gt_u32_e32 21, v0
	s_cbranch_execz .LBB114_99
; %bb.96:
	v_mov_b32_e32 v1, 0
	v_mov_b32_e32 v3, 0
	v_add_nc_u32_e32 v7, -1, v0
	v_add_nc_u32_e32 v8, 0x330, v113
	v_mov_b32_e32 v2, 0
	v_mov_b32_e32 v4, 0
	v_add_nc_u32_e32 v111, 16, v113
	s_mov_b32 s5, 0
	.p2align	6
.LBB114_97:                             ; =>This Inner Loop Header: Depth=1
	s_clause 0x3
	buffer_load_dword v118, v111, s[0:3], 0 offen offset:8
	buffer_load_dword v119, v111, s[0:3], 0 offen offset:12
	buffer_load_dword v120, v111, s[0:3], 0 offen
	buffer_load_dword v121, v111, s[0:3], 0 offen offset:4
	ds_read_b128 v[114:117], v8
	v_add_nc_u32_e32 v7, 1, v7
	v_add_nc_u32_e32 v8, 16, v8
	;; [unrolled: 1-line block ×3, first 2 shown]
	v_cmp_lt_u32_e32 vcc_lo, 19, v7
	s_or_b32 s5, vcc_lo, s5
	s_waitcnt vmcnt(2) lgkmcnt(0)
	v_mul_f64 v[122:123], v[116:117], v[118:119]
	v_mul_f64 v[118:119], v[114:115], v[118:119]
	s_waitcnt vmcnt(0)
	v_fma_f64 v[114:115], v[114:115], v[120:121], -v[122:123]
	v_fma_f64 v[116:117], v[116:117], v[120:121], v[118:119]
	v_add_f64 v[3:4], v[3:4], v[114:115]
	v_add_f64 v[1:2], v[1:2], v[116:117]
	s_andn2_b32 exec_lo, exec_lo, s5
	s_cbranch_execnz .LBB114_97
; %bb.98:
	s_or_b32 exec_lo, exec_lo, s5
	v_mov_b32_e32 v7, 0
	ds_read_b128 v[114:117], v7 offset:336
	s_waitcnt lgkmcnt(0)
	v_mul_f64 v[7:8], v[1:2], v[116:117]
	v_mul_f64 v[111:112], v[3:4], v[116:117]
	v_fma_f64 v[3:4], v[3:4], v[114:115], -v[7:8]
	v_fma_f64 v[1:2], v[1:2], v[114:115], v[111:112]
	buffer_store_dword v4, off, s[0:3], 0 offset:356
	buffer_store_dword v3, off, s[0:3], 0 offset:352
	buffer_store_dword v2, off, s[0:3], 0 offset:364
	buffer_store_dword v1, off, s[0:3], 0 offset:360
.LBB114_99:
	s_or_b32 exec_lo, exec_lo, s4
	v_mov_b32_e32 v4, s41
	s_waitcnt_vscnt null, 0x0
	s_barrier
	buffer_gl0_inv
	s_mov_b32 s4, exec_lo
	s_clause 0x3
	buffer_load_dword v1, v4, s[0:3], 0 offen
	buffer_load_dword v2, v4, s[0:3], 0 offen offset:4
	buffer_load_dword v3, v4, s[0:3], 0 offen offset:8
	;; [unrolled: 1-line block ×3, first 2 shown]
	s_waitcnt vmcnt(0)
	ds_write_b128 v5, v[1:4]
	s_waitcnt lgkmcnt(0)
	s_barrier
	buffer_gl0_inv
	v_cmpx_gt_u32_e32 22, v0
	s_cbranch_execz .LBB114_103
; %bb.100:
	v_mov_b32_e32 v1, 0
	v_mov_b32_e32 v3, 0
	v_add_nc_u32_e32 v7, -1, v0
	v_add_nc_u32_e32 v8, 0x330, v113
	v_mov_b32_e32 v2, 0
	v_mov_b32_e32 v4, 0
	v_add_nc_u32_e32 v111, 16, v113
	s_mov_b32 s5, 0
	.p2align	6
.LBB114_101:                            ; =>This Inner Loop Header: Depth=1
	s_clause 0x3
	buffer_load_dword v118, v111, s[0:3], 0 offen offset:8
	buffer_load_dword v119, v111, s[0:3], 0 offen offset:12
	buffer_load_dword v120, v111, s[0:3], 0 offen
	buffer_load_dword v121, v111, s[0:3], 0 offen offset:4
	ds_read_b128 v[114:117], v8
	v_add_nc_u32_e32 v7, 1, v7
	v_add_nc_u32_e32 v8, 16, v8
	;; [unrolled: 1-line block ×3, first 2 shown]
	v_cmp_lt_u32_e32 vcc_lo, 20, v7
	s_or_b32 s5, vcc_lo, s5
	s_waitcnt vmcnt(2) lgkmcnt(0)
	v_mul_f64 v[122:123], v[116:117], v[118:119]
	v_mul_f64 v[118:119], v[114:115], v[118:119]
	s_waitcnt vmcnt(0)
	v_fma_f64 v[114:115], v[114:115], v[120:121], -v[122:123]
	v_fma_f64 v[116:117], v[116:117], v[120:121], v[118:119]
	v_add_f64 v[3:4], v[3:4], v[114:115]
	v_add_f64 v[1:2], v[1:2], v[116:117]
	s_andn2_b32 exec_lo, exec_lo, s5
	s_cbranch_execnz .LBB114_101
; %bb.102:
	s_or_b32 exec_lo, exec_lo, s5
	v_mov_b32_e32 v7, 0
	ds_read_b128 v[114:117], v7 offset:352
	s_waitcnt lgkmcnt(0)
	v_mul_f64 v[7:8], v[1:2], v[116:117]
	v_mul_f64 v[111:112], v[3:4], v[116:117]
	v_fma_f64 v[3:4], v[3:4], v[114:115], -v[7:8]
	v_fma_f64 v[1:2], v[1:2], v[114:115], v[111:112]
	buffer_store_dword v4, off, s[0:3], 0 offset:372
	buffer_store_dword v3, off, s[0:3], 0 offset:368
	;; [unrolled: 1-line block ×4, first 2 shown]
.LBB114_103:
	s_or_b32 exec_lo, exec_lo, s4
	v_mov_b32_e32 v4, s40
	s_waitcnt_vscnt null, 0x0
	s_barrier
	buffer_gl0_inv
	s_mov_b32 s4, exec_lo
	s_clause 0x3
	buffer_load_dword v1, v4, s[0:3], 0 offen
	buffer_load_dword v2, v4, s[0:3], 0 offen offset:4
	buffer_load_dword v3, v4, s[0:3], 0 offen offset:8
	;; [unrolled: 1-line block ×3, first 2 shown]
	s_waitcnt vmcnt(0)
	ds_write_b128 v5, v[1:4]
	s_waitcnt lgkmcnt(0)
	s_barrier
	buffer_gl0_inv
	v_cmpx_gt_u32_e32 23, v0
	s_cbranch_execz .LBB114_107
; %bb.104:
	v_mov_b32_e32 v1, 0
	v_mov_b32_e32 v3, 0
	v_add_nc_u32_e32 v7, -1, v0
	v_add_nc_u32_e32 v8, 0x330, v113
	v_mov_b32_e32 v2, 0
	v_mov_b32_e32 v4, 0
	v_add_nc_u32_e32 v111, 16, v113
	s_mov_b32 s5, 0
	.p2align	6
.LBB114_105:                            ; =>This Inner Loop Header: Depth=1
	s_clause 0x3
	buffer_load_dword v118, v111, s[0:3], 0 offen offset:8
	buffer_load_dword v119, v111, s[0:3], 0 offen offset:12
	buffer_load_dword v120, v111, s[0:3], 0 offen
	buffer_load_dword v121, v111, s[0:3], 0 offen offset:4
	ds_read_b128 v[114:117], v8
	v_add_nc_u32_e32 v7, 1, v7
	v_add_nc_u32_e32 v8, 16, v8
	;; [unrolled: 1-line block ×3, first 2 shown]
	v_cmp_lt_u32_e32 vcc_lo, 21, v7
	s_or_b32 s5, vcc_lo, s5
	s_waitcnt vmcnt(2) lgkmcnt(0)
	v_mul_f64 v[122:123], v[116:117], v[118:119]
	v_mul_f64 v[118:119], v[114:115], v[118:119]
	s_waitcnt vmcnt(0)
	v_fma_f64 v[114:115], v[114:115], v[120:121], -v[122:123]
	v_fma_f64 v[116:117], v[116:117], v[120:121], v[118:119]
	v_add_f64 v[3:4], v[3:4], v[114:115]
	v_add_f64 v[1:2], v[1:2], v[116:117]
	s_andn2_b32 exec_lo, exec_lo, s5
	s_cbranch_execnz .LBB114_105
; %bb.106:
	s_or_b32 exec_lo, exec_lo, s5
	v_mov_b32_e32 v7, 0
	ds_read_b128 v[114:117], v7 offset:368
	s_waitcnt lgkmcnt(0)
	v_mul_f64 v[7:8], v[1:2], v[116:117]
	v_mul_f64 v[111:112], v[3:4], v[116:117]
	v_fma_f64 v[3:4], v[3:4], v[114:115], -v[7:8]
	v_fma_f64 v[1:2], v[1:2], v[114:115], v[111:112]
	buffer_store_dword v4, off, s[0:3], 0 offset:388
	buffer_store_dword v3, off, s[0:3], 0 offset:384
	;; [unrolled: 1-line block ×4, first 2 shown]
.LBB114_107:
	s_or_b32 exec_lo, exec_lo, s4
	v_mov_b32_e32 v4, s39
	s_waitcnt_vscnt null, 0x0
	s_barrier
	buffer_gl0_inv
	s_mov_b32 s4, exec_lo
	s_clause 0x3
	buffer_load_dword v1, v4, s[0:3], 0 offen
	buffer_load_dword v2, v4, s[0:3], 0 offen offset:4
	buffer_load_dword v3, v4, s[0:3], 0 offen offset:8
	;; [unrolled: 1-line block ×3, first 2 shown]
	s_waitcnt vmcnt(0)
	ds_write_b128 v5, v[1:4]
	s_waitcnt lgkmcnt(0)
	s_barrier
	buffer_gl0_inv
	v_cmpx_gt_u32_e32 24, v0
	s_cbranch_execz .LBB114_111
; %bb.108:
	v_mov_b32_e32 v1, 0
	v_mov_b32_e32 v3, 0
	v_add_nc_u32_e32 v7, -1, v0
	v_add_nc_u32_e32 v8, 0x330, v113
	v_mov_b32_e32 v2, 0
	v_mov_b32_e32 v4, 0
	v_add_nc_u32_e32 v111, 16, v113
	s_mov_b32 s5, 0
	.p2align	6
.LBB114_109:                            ; =>This Inner Loop Header: Depth=1
	s_clause 0x3
	buffer_load_dword v118, v111, s[0:3], 0 offen offset:8
	buffer_load_dword v119, v111, s[0:3], 0 offen offset:12
	buffer_load_dword v120, v111, s[0:3], 0 offen
	buffer_load_dword v121, v111, s[0:3], 0 offen offset:4
	ds_read_b128 v[114:117], v8
	v_add_nc_u32_e32 v7, 1, v7
	v_add_nc_u32_e32 v8, 16, v8
	;; [unrolled: 1-line block ×3, first 2 shown]
	v_cmp_lt_u32_e32 vcc_lo, 22, v7
	s_or_b32 s5, vcc_lo, s5
	s_waitcnt vmcnt(2) lgkmcnt(0)
	v_mul_f64 v[122:123], v[116:117], v[118:119]
	v_mul_f64 v[118:119], v[114:115], v[118:119]
	s_waitcnt vmcnt(0)
	v_fma_f64 v[114:115], v[114:115], v[120:121], -v[122:123]
	v_fma_f64 v[116:117], v[116:117], v[120:121], v[118:119]
	v_add_f64 v[3:4], v[3:4], v[114:115]
	v_add_f64 v[1:2], v[1:2], v[116:117]
	s_andn2_b32 exec_lo, exec_lo, s5
	s_cbranch_execnz .LBB114_109
; %bb.110:
	s_or_b32 exec_lo, exec_lo, s5
	v_mov_b32_e32 v7, 0
	ds_read_b128 v[114:117], v7 offset:384
	s_waitcnt lgkmcnt(0)
	v_mul_f64 v[7:8], v[1:2], v[116:117]
	v_mul_f64 v[111:112], v[3:4], v[116:117]
	v_fma_f64 v[3:4], v[3:4], v[114:115], -v[7:8]
	v_fma_f64 v[1:2], v[1:2], v[114:115], v[111:112]
	buffer_store_dword v4, off, s[0:3], 0 offset:404
	buffer_store_dword v3, off, s[0:3], 0 offset:400
	;; [unrolled: 1-line block ×4, first 2 shown]
.LBB114_111:
	s_or_b32 exec_lo, exec_lo, s4
	v_mov_b32_e32 v4, s38
	s_waitcnt_vscnt null, 0x0
	s_barrier
	buffer_gl0_inv
	s_mov_b32 s4, exec_lo
	s_clause 0x3
	buffer_load_dword v1, v4, s[0:3], 0 offen
	buffer_load_dword v2, v4, s[0:3], 0 offen offset:4
	buffer_load_dword v3, v4, s[0:3], 0 offen offset:8
	;; [unrolled: 1-line block ×3, first 2 shown]
	s_waitcnt vmcnt(0)
	ds_write_b128 v5, v[1:4]
	s_waitcnt lgkmcnt(0)
	s_barrier
	buffer_gl0_inv
	v_cmpx_gt_u32_e32 25, v0
	s_cbranch_execz .LBB114_115
; %bb.112:
	v_mov_b32_e32 v1, 0
	v_mov_b32_e32 v3, 0
	v_add_nc_u32_e32 v7, -1, v0
	v_add_nc_u32_e32 v8, 0x330, v113
	v_mov_b32_e32 v2, 0
	v_mov_b32_e32 v4, 0
	v_add_nc_u32_e32 v111, 16, v113
	s_mov_b32 s5, 0
	.p2align	6
.LBB114_113:                            ; =>This Inner Loop Header: Depth=1
	s_clause 0x3
	buffer_load_dword v118, v111, s[0:3], 0 offen offset:8
	buffer_load_dword v119, v111, s[0:3], 0 offen offset:12
	buffer_load_dword v120, v111, s[0:3], 0 offen
	buffer_load_dword v121, v111, s[0:3], 0 offen offset:4
	ds_read_b128 v[114:117], v8
	v_add_nc_u32_e32 v7, 1, v7
	v_add_nc_u32_e32 v8, 16, v8
	;; [unrolled: 1-line block ×3, first 2 shown]
	v_cmp_lt_u32_e32 vcc_lo, 23, v7
	s_or_b32 s5, vcc_lo, s5
	s_waitcnt vmcnt(2) lgkmcnt(0)
	v_mul_f64 v[122:123], v[116:117], v[118:119]
	v_mul_f64 v[118:119], v[114:115], v[118:119]
	s_waitcnt vmcnt(0)
	v_fma_f64 v[114:115], v[114:115], v[120:121], -v[122:123]
	v_fma_f64 v[116:117], v[116:117], v[120:121], v[118:119]
	v_add_f64 v[3:4], v[3:4], v[114:115]
	v_add_f64 v[1:2], v[1:2], v[116:117]
	s_andn2_b32 exec_lo, exec_lo, s5
	s_cbranch_execnz .LBB114_113
; %bb.114:
	s_or_b32 exec_lo, exec_lo, s5
	v_mov_b32_e32 v7, 0
	ds_read_b128 v[114:117], v7 offset:400
	s_waitcnt lgkmcnt(0)
	v_mul_f64 v[7:8], v[1:2], v[116:117]
	v_mul_f64 v[111:112], v[3:4], v[116:117]
	v_fma_f64 v[3:4], v[3:4], v[114:115], -v[7:8]
	v_fma_f64 v[1:2], v[1:2], v[114:115], v[111:112]
	buffer_store_dword v4, off, s[0:3], 0 offset:420
	buffer_store_dword v3, off, s[0:3], 0 offset:416
	;; [unrolled: 1-line block ×4, first 2 shown]
.LBB114_115:
	s_or_b32 exec_lo, exec_lo, s4
	v_mov_b32_e32 v4, s37
	s_waitcnt_vscnt null, 0x0
	s_barrier
	buffer_gl0_inv
	s_mov_b32 s4, exec_lo
	s_clause 0x3
	buffer_load_dword v1, v4, s[0:3], 0 offen
	buffer_load_dword v2, v4, s[0:3], 0 offen offset:4
	buffer_load_dword v3, v4, s[0:3], 0 offen offset:8
	buffer_load_dword v4, v4, s[0:3], 0 offen offset:12
	s_waitcnt vmcnt(0)
	ds_write_b128 v5, v[1:4]
	s_waitcnt lgkmcnt(0)
	s_barrier
	buffer_gl0_inv
	v_cmpx_gt_u32_e32 26, v0
	s_cbranch_execz .LBB114_119
; %bb.116:
	v_mov_b32_e32 v1, 0
	v_mov_b32_e32 v3, 0
	v_add_nc_u32_e32 v7, -1, v0
	v_add_nc_u32_e32 v8, 0x330, v113
	v_mov_b32_e32 v2, 0
	v_mov_b32_e32 v4, 0
	v_add_nc_u32_e32 v111, 16, v113
	s_mov_b32 s5, 0
	.p2align	6
.LBB114_117:                            ; =>This Inner Loop Header: Depth=1
	s_clause 0x3
	buffer_load_dword v118, v111, s[0:3], 0 offen offset:8
	buffer_load_dword v119, v111, s[0:3], 0 offen offset:12
	buffer_load_dword v120, v111, s[0:3], 0 offen
	buffer_load_dword v121, v111, s[0:3], 0 offen offset:4
	ds_read_b128 v[114:117], v8
	v_add_nc_u32_e32 v7, 1, v7
	v_add_nc_u32_e32 v8, 16, v8
	;; [unrolled: 1-line block ×3, first 2 shown]
	v_cmp_lt_u32_e32 vcc_lo, 24, v7
	s_or_b32 s5, vcc_lo, s5
	s_waitcnt vmcnt(2) lgkmcnt(0)
	v_mul_f64 v[122:123], v[116:117], v[118:119]
	v_mul_f64 v[118:119], v[114:115], v[118:119]
	s_waitcnt vmcnt(0)
	v_fma_f64 v[114:115], v[114:115], v[120:121], -v[122:123]
	v_fma_f64 v[116:117], v[116:117], v[120:121], v[118:119]
	v_add_f64 v[3:4], v[3:4], v[114:115]
	v_add_f64 v[1:2], v[1:2], v[116:117]
	s_andn2_b32 exec_lo, exec_lo, s5
	s_cbranch_execnz .LBB114_117
; %bb.118:
	s_or_b32 exec_lo, exec_lo, s5
	v_mov_b32_e32 v7, 0
	ds_read_b128 v[114:117], v7 offset:416
	s_waitcnt lgkmcnt(0)
	v_mul_f64 v[7:8], v[1:2], v[116:117]
	v_mul_f64 v[111:112], v[3:4], v[116:117]
	v_fma_f64 v[3:4], v[3:4], v[114:115], -v[7:8]
	v_fma_f64 v[1:2], v[1:2], v[114:115], v[111:112]
	buffer_store_dword v4, off, s[0:3], 0 offset:436
	buffer_store_dword v3, off, s[0:3], 0 offset:432
	;; [unrolled: 1-line block ×4, first 2 shown]
.LBB114_119:
	s_or_b32 exec_lo, exec_lo, s4
	v_mov_b32_e32 v4, s36
	s_waitcnt_vscnt null, 0x0
	s_barrier
	buffer_gl0_inv
	s_mov_b32 s4, exec_lo
	s_clause 0x3
	buffer_load_dword v1, v4, s[0:3], 0 offen
	buffer_load_dword v2, v4, s[0:3], 0 offen offset:4
	buffer_load_dword v3, v4, s[0:3], 0 offen offset:8
	;; [unrolled: 1-line block ×3, first 2 shown]
	s_waitcnt vmcnt(0)
	ds_write_b128 v5, v[1:4]
	s_waitcnt lgkmcnt(0)
	s_barrier
	buffer_gl0_inv
	v_cmpx_gt_u32_e32 27, v0
	s_cbranch_execz .LBB114_123
; %bb.120:
	v_mov_b32_e32 v1, 0
	v_mov_b32_e32 v3, 0
	v_add_nc_u32_e32 v7, -1, v0
	v_add_nc_u32_e32 v8, 0x330, v113
	v_mov_b32_e32 v2, 0
	v_mov_b32_e32 v4, 0
	v_add_nc_u32_e32 v111, 16, v113
	s_mov_b32 s5, 0
	.p2align	6
.LBB114_121:                            ; =>This Inner Loop Header: Depth=1
	s_clause 0x3
	buffer_load_dword v118, v111, s[0:3], 0 offen offset:8
	buffer_load_dword v119, v111, s[0:3], 0 offen offset:12
	buffer_load_dword v120, v111, s[0:3], 0 offen
	buffer_load_dword v121, v111, s[0:3], 0 offen offset:4
	ds_read_b128 v[114:117], v8
	v_add_nc_u32_e32 v7, 1, v7
	v_add_nc_u32_e32 v8, 16, v8
	;; [unrolled: 1-line block ×3, first 2 shown]
	v_cmp_lt_u32_e32 vcc_lo, 25, v7
	s_or_b32 s5, vcc_lo, s5
	s_waitcnt vmcnt(2) lgkmcnt(0)
	v_mul_f64 v[122:123], v[116:117], v[118:119]
	v_mul_f64 v[118:119], v[114:115], v[118:119]
	s_waitcnt vmcnt(0)
	v_fma_f64 v[114:115], v[114:115], v[120:121], -v[122:123]
	v_fma_f64 v[116:117], v[116:117], v[120:121], v[118:119]
	v_add_f64 v[3:4], v[3:4], v[114:115]
	v_add_f64 v[1:2], v[1:2], v[116:117]
	s_andn2_b32 exec_lo, exec_lo, s5
	s_cbranch_execnz .LBB114_121
; %bb.122:
	s_or_b32 exec_lo, exec_lo, s5
	v_mov_b32_e32 v7, 0
	ds_read_b128 v[114:117], v7 offset:432
	s_waitcnt lgkmcnt(0)
	v_mul_f64 v[7:8], v[1:2], v[116:117]
	v_mul_f64 v[111:112], v[3:4], v[116:117]
	v_fma_f64 v[3:4], v[3:4], v[114:115], -v[7:8]
	v_fma_f64 v[1:2], v[1:2], v[114:115], v[111:112]
	buffer_store_dword v4, off, s[0:3], 0 offset:452
	buffer_store_dword v3, off, s[0:3], 0 offset:448
	;; [unrolled: 1-line block ×4, first 2 shown]
.LBB114_123:
	s_or_b32 exec_lo, exec_lo, s4
	v_mov_b32_e32 v4, s35
	s_waitcnt_vscnt null, 0x0
	s_barrier
	buffer_gl0_inv
	s_mov_b32 s4, exec_lo
	s_clause 0x3
	buffer_load_dword v1, v4, s[0:3], 0 offen
	buffer_load_dword v2, v4, s[0:3], 0 offen offset:4
	buffer_load_dword v3, v4, s[0:3], 0 offen offset:8
	;; [unrolled: 1-line block ×3, first 2 shown]
	s_waitcnt vmcnt(0)
	ds_write_b128 v5, v[1:4]
	s_waitcnt lgkmcnt(0)
	s_barrier
	buffer_gl0_inv
	v_cmpx_gt_u32_e32 28, v0
	s_cbranch_execz .LBB114_127
; %bb.124:
	v_mov_b32_e32 v1, 0
	v_mov_b32_e32 v3, 0
	v_add_nc_u32_e32 v7, -1, v0
	v_add_nc_u32_e32 v8, 0x330, v113
	v_mov_b32_e32 v2, 0
	v_mov_b32_e32 v4, 0
	v_add_nc_u32_e32 v111, 16, v113
	s_mov_b32 s5, 0
	.p2align	6
.LBB114_125:                            ; =>This Inner Loop Header: Depth=1
	s_clause 0x3
	buffer_load_dword v118, v111, s[0:3], 0 offen offset:8
	buffer_load_dword v119, v111, s[0:3], 0 offen offset:12
	buffer_load_dword v120, v111, s[0:3], 0 offen
	buffer_load_dword v121, v111, s[0:3], 0 offen offset:4
	ds_read_b128 v[114:117], v8
	v_add_nc_u32_e32 v7, 1, v7
	v_add_nc_u32_e32 v8, 16, v8
	;; [unrolled: 1-line block ×3, first 2 shown]
	v_cmp_lt_u32_e32 vcc_lo, 26, v7
	s_or_b32 s5, vcc_lo, s5
	s_waitcnt vmcnt(2) lgkmcnt(0)
	v_mul_f64 v[122:123], v[116:117], v[118:119]
	v_mul_f64 v[118:119], v[114:115], v[118:119]
	s_waitcnt vmcnt(0)
	v_fma_f64 v[114:115], v[114:115], v[120:121], -v[122:123]
	v_fma_f64 v[116:117], v[116:117], v[120:121], v[118:119]
	v_add_f64 v[3:4], v[3:4], v[114:115]
	v_add_f64 v[1:2], v[1:2], v[116:117]
	s_andn2_b32 exec_lo, exec_lo, s5
	s_cbranch_execnz .LBB114_125
; %bb.126:
	s_or_b32 exec_lo, exec_lo, s5
	v_mov_b32_e32 v7, 0
	ds_read_b128 v[114:117], v7 offset:448
	s_waitcnt lgkmcnt(0)
	v_mul_f64 v[7:8], v[1:2], v[116:117]
	v_mul_f64 v[111:112], v[3:4], v[116:117]
	v_fma_f64 v[3:4], v[3:4], v[114:115], -v[7:8]
	v_fma_f64 v[1:2], v[1:2], v[114:115], v[111:112]
	buffer_store_dword v4, off, s[0:3], 0 offset:468
	buffer_store_dword v3, off, s[0:3], 0 offset:464
	;; [unrolled: 1-line block ×4, first 2 shown]
.LBB114_127:
	s_or_b32 exec_lo, exec_lo, s4
	v_mov_b32_e32 v4, s34
	s_waitcnt_vscnt null, 0x0
	s_barrier
	buffer_gl0_inv
	s_mov_b32 s4, exec_lo
	s_clause 0x3
	buffer_load_dword v1, v4, s[0:3], 0 offen
	buffer_load_dword v2, v4, s[0:3], 0 offen offset:4
	buffer_load_dword v3, v4, s[0:3], 0 offen offset:8
	;; [unrolled: 1-line block ×3, first 2 shown]
	s_waitcnt vmcnt(0)
	ds_write_b128 v5, v[1:4]
	s_waitcnt lgkmcnt(0)
	s_barrier
	buffer_gl0_inv
	v_cmpx_gt_u32_e32 29, v0
	s_cbranch_execz .LBB114_131
; %bb.128:
	v_mov_b32_e32 v1, 0
	v_mov_b32_e32 v3, 0
	v_add_nc_u32_e32 v7, -1, v0
	v_add_nc_u32_e32 v8, 0x330, v113
	v_mov_b32_e32 v2, 0
	v_mov_b32_e32 v4, 0
	v_add_nc_u32_e32 v111, 16, v113
	s_mov_b32 s5, 0
	.p2align	6
.LBB114_129:                            ; =>This Inner Loop Header: Depth=1
	s_clause 0x3
	buffer_load_dword v118, v111, s[0:3], 0 offen offset:8
	buffer_load_dword v119, v111, s[0:3], 0 offen offset:12
	buffer_load_dword v120, v111, s[0:3], 0 offen
	buffer_load_dword v121, v111, s[0:3], 0 offen offset:4
	ds_read_b128 v[114:117], v8
	v_add_nc_u32_e32 v7, 1, v7
	v_add_nc_u32_e32 v8, 16, v8
	;; [unrolled: 1-line block ×3, first 2 shown]
	v_cmp_lt_u32_e32 vcc_lo, 27, v7
	s_or_b32 s5, vcc_lo, s5
	s_waitcnt vmcnt(2) lgkmcnt(0)
	v_mul_f64 v[122:123], v[116:117], v[118:119]
	v_mul_f64 v[118:119], v[114:115], v[118:119]
	s_waitcnt vmcnt(0)
	v_fma_f64 v[114:115], v[114:115], v[120:121], -v[122:123]
	v_fma_f64 v[116:117], v[116:117], v[120:121], v[118:119]
	v_add_f64 v[3:4], v[3:4], v[114:115]
	v_add_f64 v[1:2], v[1:2], v[116:117]
	s_andn2_b32 exec_lo, exec_lo, s5
	s_cbranch_execnz .LBB114_129
; %bb.130:
	s_or_b32 exec_lo, exec_lo, s5
	v_mov_b32_e32 v7, 0
	ds_read_b128 v[114:117], v7 offset:464
	s_waitcnt lgkmcnt(0)
	v_mul_f64 v[7:8], v[1:2], v[116:117]
	v_mul_f64 v[111:112], v[3:4], v[116:117]
	v_fma_f64 v[3:4], v[3:4], v[114:115], -v[7:8]
	v_fma_f64 v[1:2], v[1:2], v[114:115], v[111:112]
	buffer_store_dword v4, off, s[0:3], 0 offset:484
	buffer_store_dword v3, off, s[0:3], 0 offset:480
	;; [unrolled: 1-line block ×4, first 2 shown]
.LBB114_131:
	s_or_b32 exec_lo, exec_lo, s4
	v_mov_b32_e32 v4, s33
	s_waitcnt_vscnt null, 0x0
	s_barrier
	buffer_gl0_inv
	s_mov_b32 s4, exec_lo
	s_clause 0x3
	buffer_load_dword v1, v4, s[0:3], 0 offen
	buffer_load_dword v2, v4, s[0:3], 0 offen offset:4
	buffer_load_dword v3, v4, s[0:3], 0 offen offset:8
	;; [unrolled: 1-line block ×3, first 2 shown]
	s_waitcnt vmcnt(0)
	ds_write_b128 v5, v[1:4]
	s_waitcnt lgkmcnt(0)
	s_barrier
	buffer_gl0_inv
	v_cmpx_gt_u32_e32 30, v0
	s_cbranch_execz .LBB114_135
; %bb.132:
	v_mov_b32_e32 v1, 0
	v_mov_b32_e32 v3, 0
	v_add_nc_u32_e32 v7, -1, v0
	v_add_nc_u32_e32 v8, 0x330, v113
	v_mov_b32_e32 v2, 0
	v_mov_b32_e32 v4, 0
	v_add_nc_u32_e32 v111, 16, v113
	s_mov_b32 s5, 0
	.p2align	6
.LBB114_133:                            ; =>This Inner Loop Header: Depth=1
	s_clause 0x3
	buffer_load_dword v118, v111, s[0:3], 0 offen offset:8
	buffer_load_dword v119, v111, s[0:3], 0 offen offset:12
	buffer_load_dword v120, v111, s[0:3], 0 offen
	buffer_load_dword v121, v111, s[0:3], 0 offen offset:4
	ds_read_b128 v[114:117], v8
	v_add_nc_u32_e32 v7, 1, v7
	v_add_nc_u32_e32 v8, 16, v8
	;; [unrolled: 1-line block ×3, first 2 shown]
	v_cmp_lt_u32_e32 vcc_lo, 28, v7
	s_or_b32 s5, vcc_lo, s5
	s_waitcnt vmcnt(2) lgkmcnt(0)
	v_mul_f64 v[122:123], v[116:117], v[118:119]
	v_mul_f64 v[118:119], v[114:115], v[118:119]
	s_waitcnt vmcnt(0)
	v_fma_f64 v[114:115], v[114:115], v[120:121], -v[122:123]
	v_fma_f64 v[116:117], v[116:117], v[120:121], v[118:119]
	v_add_f64 v[3:4], v[3:4], v[114:115]
	v_add_f64 v[1:2], v[1:2], v[116:117]
	s_andn2_b32 exec_lo, exec_lo, s5
	s_cbranch_execnz .LBB114_133
; %bb.134:
	s_or_b32 exec_lo, exec_lo, s5
	v_mov_b32_e32 v7, 0
	ds_read_b128 v[114:117], v7 offset:480
	s_waitcnt lgkmcnt(0)
	v_mul_f64 v[7:8], v[1:2], v[116:117]
	v_mul_f64 v[111:112], v[3:4], v[116:117]
	v_fma_f64 v[3:4], v[3:4], v[114:115], -v[7:8]
	v_fma_f64 v[1:2], v[1:2], v[114:115], v[111:112]
	buffer_store_dword v4, off, s[0:3], 0 offset:500
	buffer_store_dword v3, off, s[0:3], 0 offset:496
	;; [unrolled: 1-line block ×4, first 2 shown]
.LBB114_135:
	s_or_b32 exec_lo, exec_lo, s4
	v_mov_b32_e32 v4, s31
	s_waitcnt_vscnt null, 0x0
	s_barrier
	buffer_gl0_inv
	s_mov_b32 s4, exec_lo
	s_clause 0x3
	buffer_load_dword v1, v4, s[0:3], 0 offen
	buffer_load_dword v2, v4, s[0:3], 0 offen offset:4
	buffer_load_dword v3, v4, s[0:3], 0 offen offset:8
	;; [unrolled: 1-line block ×3, first 2 shown]
	s_waitcnt vmcnt(0)
	ds_write_b128 v5, v[1:4]
	s_waitcnt lgkmcnt(0)
	s_barrier
	buffer_gl0_inv
	v_cmpx_gt_u32_e32 31, v0
	s_cbranch_execz .LBB114_139
; %bb.136:
	v_mov_b32_e32 v1, 0
	v_mov_b32_e32 v3, 0
	v_add_nc_u32_e32 v7, -1, v0
	v_add_nc_u32_e32 v8, 0x330, v113
	v_mov_b32_e32 v2, 0
	v_mov_b32_e32 v4, 0
	v_add_nc_u32_e32 v111, 16, v113
	s_mov_b32 s5, 0
	.p2align	6
.LBB114_137:                            ; =>This Inner Loop Header: Depth=1
	s_clause 0x3
	buffer_load_dword v118, v111, s[0:3], 0 offen offset:8
	buffer_load_dword v119, v111, s[0:3], 0 offen offset:12
	buffer_load_dword v120, v111, s[0:3], 0 offen
	buffer_load_dword v121, v111, s[0:3], 0 offen offset:4
	ds_read_b128 v[114:117], v8
	v_add_nc_u32_e32 v7, 1, v7
	v_add_nc_u32_e32 v8, 16, v8
	;; [unrolled: 1-line block ×3, first 2 shown]
	v_cmp_lt_u32_e32 vcc_lo, 29, v7
	s_or_b32 s5, vcc_lo, s5
	s_waitcnt vmcnt(2) lgkmcnt(0)
	v_mul_f64 v[122:123], v[116:117], v[118:119]
	v_mul_f64 v[118:119], v[114:115], v[118:119]
	s_waitcnt vmcnt(0)
	v_fma_f64 v[114:115], v[114:115], v[120:121], -v[122:123]
	v_fma_f64 v[116:117], v[116:117], v[120:121], v[118:119]
	v_add_f64 v[3:4], v[3:4], v[114:115]
	v_add_f64 v[1:2], v[1:2], v[116:117]
	s_andn2_b32 exec_lo, exec_lo, s5
	s_cbranch_execnz .LBB114_137
; %bb.138:
	s_or_b32 exec_lo, exec_lo, s5
	v_mov_b32_e32 v7, 0
	ds_read_b128 v[114:117], v7 offset:496
	s_waitcnt lgkmcnt(0)
	v_mul_f64 v[7:8], v[1:2], v[116:117]
	v_mul_f64 v[111:112], v[3:4], v[116:117]
	v_fma_f64 v[3:4], v[3:4], v[114:115], -v[7:8]
	v_fma_f64 v[1:2], v[1:2], v[114:115], v[111:112]
	buffer_store_dword v4, off, s[0:3], 0 offset:516
	buffer_store_dword v3, off, s[0:3], 0 offset:512
	;; [unrolled: 1-line block ×4, first 2 shown]
.LBB114_139:
	s_or_b32 exec_lo, exec_lo, s4
	v_mov_b32_e32 v4, s30
	s_waitcnt_vscnt null, 0x0
	s_barrier
	buffer_gl0_inv
	s_mov_b32 s4, exec_lo
	s_clause 0x3
	buffer_load_dword v1, v4, s[0:3], 0 offen
	buffer_load_dword v2, v4, s[0:3], 0 offen offset:4
	buffer_load_dword v3, v4, s[0:3], 0 offen offset:8
	;; [unrolled: 1-line block ×3, first 2 shown]
	s_waitcnt vmcnt(0)
	ds_write_b128 v5, v[1:4]
	s_waitcnt lgkmcnt(0)
	s_barrier
	buffer_gl0_inv
	v_cmpx_gt_u32_e32 32, v0
	s_cbranch_execz .LBB114_143
; %bb.140:
	v_mov_b32_e32 v1, 0
	v_mov_b32_e32 v3, 0
	v_add_nc_u32_e32 v7, -1, v0
	v_add_nc_u32_e32 v8, 0x330, v113
	v_mov_b32_e32 v2, 0
	v_mov_b32_e32 v4, 0
	v_add_nc_u32_e32 v111, 16, v113
	s_mov_b32 s5, 0
	.p2align	6
.LBB114_141:                            ; =>This Inner Loop Header: Depth=1
	s_clause 0x3
	buffer_load_dword v118, v111, s[0:3], 0 offen offset:8
	buffer_load_dword v119, v111, s[0:3], 0 offen offset:12
	buffer_load_dword v120, v111, s[0:3], 0 offen
	buffer_load_dword v121, v111, s[0:3], 0 offen offset:4
	ds_read_b128 v[114:117], v8
	v_add_nc_u32_e32 v7, 1, v7
	v_add_nc_u32_e32 v8, 16, v8
	;; [unrolled: 1-line block ×3, first 2 shown]
	v_cmp_lt_u32_e32 vcc_lo, 30, v7
	s_or_b32 s5, vcc_lo, s5
	s_waitcnt vmcnt(2) lgkmcnt(0)
	v_mul_f64 v[122:123], v[116:117], v[118:119]
	v_mul_f64 v[118:119], v[114:115], v[118:119]
	s_waitcnt vmcnt(0)
	v_fma_f64 v[114:115], v[114:115], v[120:121], -v[122:123]
	v_fma_f64 v[116:117], v[116:117], v[120:121], v[118:119]
	v_add_f64 v[3:4], v[3:4], v[114:115]
	v_add_f64 v[1:2], v[1:2], v[116:117]
	s_andn2_b32 exec_lo, exec_lo, s5
	s_cbranch_execnz .LBB114_141
; %bb.142:
	s_or_b32 exec_lo, exec_lo, s5
	v_mov_b32_e32 v7, 0
	ds_read_b128 v[114:117], v7 offset:512
	s_waitcnt lgkmcnt(0)
	v_mul_f64 v[7:8], v[1:2], v[116:117]
	v_mul_f64 v[111:112], v[3:4], v[116:117]
	v_fma_f64 v[3:4], v[3:4], v[114:115], -v[7:8]
	v_fma_f64 v[1:2], v[1:2], v[114:115], v[111:112]
	buffer_store_dword v4, off, s[0:3], 0 offset:532
	buffer_store_dword v3, off, s[0:3], 0 offset:528
	;; [unrolled: 1-line block ×4, first 2 shown]
.LBB114_143:
	s_or_b32 exec_lo, exec_lo, s4
	v_mov_b32_e32 v4, s29
	s_waitcnt_vscnt null, 0x0
	s_barrier
	buffer_gl0_inv
	s_mov_b32 s4, exec_lo
	s_clause 0x3
	buffer_load_dword v1, v4, s[0:3], 0 offen
	buffer_load_dword v2, v4, s[0:3], 0 offen offset:4
	buffer_load_dword v3, v4, s[0:3], 0 offen offset:8
	;; [unrolled: 1-line block ×3, first 2 shown]
	s_waitcnt vmcnt(0)
	ds_write_b128 v5, v[1:4]
	s_waitcnt lgkmcnt(0)
	s_barrier
	buffer_gl0_inv
	v_cmpx_gt_u32_e32 33, v0
	s_cbranch_execz .LBB114_147
; %bb.144:
	v_mov_b32_e32 v1, 0
	v_mov_b32_e32 v3, 0
	v_add_nc_u32_e32 v7, -1, v0
	v_add_nc_u32_e32 v8, 0x330, v113
	v_mov_b32_e32 v2, 0
	v_mov_b32_e32 v4, 0
	v_add_nc_u32_e32 v111, 16, v113
	s_mov_b32 s5, 0
	.p2align	6
.LBB114_145:                            ; =>This Inner Loop Header: Depth=1
	s_clause 0x3
	buffer_load_dword v118, v111, s[0:3], 0 offen offset:8
	buffer_load_dword v119, v111, s[0:3], 0 offen offset:12
	buffer_load_dword v120, v111, s[0:3], 0 offen
	buffer_load_dword v121, v111, s[0:3], 0 offen offset:4
	ds_read_b128 v[114:117], v8
	v_add_nc_u32_e32 v7, 1, v7
	v_add_nc_u32_e32 v8, 16, v8
	;; [unrolled: 1-line block ×3, first 2 shown]
	v_cmp_lt_u32_e32 vcc_lo, 31, v7
	s_or_b32 s5, vcc_lo, s5
	s_waitcnt vmcnt(2) lgkmcnt(0)
	v_mul_f64 v[122:123], v[116:117], v[118:119]
	v_mul_f64 v[118:119], v[114:115], v[118:119]
	s_waitcnt vmcnt(0)
	v_fma_f64 v[114:115], v[114:115], v[120:121], -v[122:123]
	v_fma_f64 v[116:117], v[116:117], v[120:121], v[118:119]
	v_add_f64 v[3:4], v[3:4], v[114:115]
	v_add_f64 v[1:2], v[1:2], v[116:117]
	s_andn2_b32 exec_lo, exec_lo, s5
	s_cbranch_execnz .LBB114_145
; %bb.146:
	s_or_b32 exec_lo, exec_lo, s5
	v_mov_b32_e32 v7, 0
	ds_read_b128 v[114:117], v7 offset:528
	s_waitcnt lgkmcnt(0)
	v_mul_f64 v[7:8], v[1:2], v[116:117]
	v_mul_f64 v[111:112], v[3:4], v[116:117]
	v_fma_f64 v[3:4], v[3:4], v[114:115], -v[7:8]
	v_fma_f64 v[1:2], v[1:2], v[114:115], v[111:112]
	buffer_store_dword v4, off, s[0:3], 0 offset:548
	buffer_store_dword v3, off, s[0:3], 0 offset:544
	;; [unrolled: 1-line block ×4, first 2 shown]
.LBB114_147:
	s_or_b32 exec_lo, exec_lo, s4
	v_mov_b32_e32 v4, s28
	s_waitcnt_vscnt null, 0x0
	s_barrier
	buffer_gl0_inv
	s_mov_b32 s4, exec_lo
	s_clause 0x3
	buffer_load_dword v1, v4, s[0:3], 0 offen
	buffer_load_dword v2, v4, s[0:3], 0 offen offset:4
	buffer_load_dword v3, v4, s[0:3], 0 offen offset:8
	;; [unrolled: 1-line block ×3, first 2 shown]
	s_waitcnt vmcnt(0)
	ds_write_b128 v5, v[1:4]
	s_waitcnt lgkmcnt(0)
	s_barrier
	buffer_gl0_inv
	v_cmpx_gt_u32_e32 34, v0
	s_cbranch_execz .LBB114_151
; %bb.148:
	v_mov_b32_e32 v1, 0
	v_mov_b32_e32 v3, 0
	v_add_nc_u32_e32 v7, -1, v0
	v_add_nc_u32_e32 v8, 0x330, v113
	v_mov_b32_e32 v2, 0
	v_mov_b32_e32 v4, 0
	v_add_nc_u32_e32 v111, 16, v113
	s_mov_b32 s5, 0
	.p2align	6
.LBB114_149:                            ; =>This Inner Loop Header: Depth=1
	s_clause 0x3
	buffer_load_dword v118, v111, s[0:3], 0 offen offset:8
	buffer_load_dword v119, v111, s[0:3], 0 offen offset:12
	buffer_load_dword v120, v111, s[0:3], 0 offen
	buffer_load_dword v121, v111, s[0:3], 0 offen offset:4
	ds_read_b128 v[114:117], v8
	v_add_nc_u32_e32 v7, 1, v7
	v_add_nc_u32_e32 v8, 16, v8
	;; [unrolled: 1-line block ×3, first 2 shown]
	v_cmp_lt_u32_e32 vcc_lo, 32, v7
	s_or_b32 s5, vcc_lo, s5
	s_waitcnt vmcnt(2) lgkmcnt(0)
	v_mul_f64 v[122:123], v[116:117], v[118:119]
	v_mul_f64 v[118:119], v[114:115], v[118:119]
	s_waitcnt vmcnt(0)
	v_fma_f64 v[114:115], v[114:115], v[120:121], -v[122:123]
	v_fma_f64 v[116:117], v[116:117], v[120:121], v[118:119]
	v_add_f64 v[3:4], v[3:4], v[114:115]
	v_add_f64 v[1:2], v[1:2], v[116:117]
	s_andn2_b32 exec_lo, exec_lo, s5
	s_cbranch_execnz .LBB114_149
; %bb.150:
	s_or_b32 exec_lo, exec_lo, s5
	v_mov_b32_e32 v7, 0
	ds_read_b128 v[114:117], v7 offset:544
	s_waitcnt lgkmcnt(0)
	v_mul_f64 v[7:8], v[1:2], v[116:117]
	v_mul_f64 v[111:112], v[3:4], v[116:117]
	v_fma_f64 v[3:4], v[3:4], v[114:115], -v[7:8]
	v_fma_f64 v[1:2], v[1:2], v[114:115], v[111:112]
	buffer_store_dword v4, off, s[0:3], 0 offset:564
	buffer_store_dword v3, off, s[0:3], 0 offset:560
	;; [unrolled: 1-line block ×4, first 2 shown]
.LBB114_151:
	s_or_b32 exec_lo, exec_lo, s4
	v_mov_b32_e32 v4, s27
	s_waitcnt_vscnt null, 0x0
	s_barrier
	buffer_gl0_inv
	s_mov_b32 s4, exec_lo
	s_clause 0x3
	buffer_load_dword v1, v4, s[0:3], 0 offen
	buffer_load_dword v2, v4, s[0:3], 0 offen offset:4
	buffer_load_dword v3, v4, s[0:3], 0 offen offset:8
	;; [unrolled: 1-line block ×3, first 2 shown]
	s_waitcnt vmcnt(0)
	ds_write_b128 v5, v[1:4]
	s_waitcnt lgkmcnt(0)
	s_barrier
	buffer_gl0_inv
	v_cmpx_gt_u32_e32 35, v0
	s_cbranch_execz .LBB114_155
; %bb.152:
	v_mov_b32_e32 v1, 0
	v_mov_b32_e32 v3, 0
	v_add_nc_u32_e32 v7, -1, v0
	v_add_nc_u32_e32 v8, 0x330, v113
	v_mov_b32_e32 v2, 0
	v_mov_b32_e32 v4, 0
	v_add_nc_u32_e32 v111, 16, v113
	s_mov_b32 s5, 0
	.p2align	6
.LBB114_153:                            ; =>This Inner Loop Header: Depth=1
	s_clause 0x3
	buffer_load_dword v118, v111, s[0:3], 0 offen offset:8
	buffer_load_dword v119, v111, s[0:3], 0 offen offset:12
	buffer_load_dword v120, v111, s[0:3], 0 offen
	buffer_load_dword v121, v111, s[0:3], 0 offen offset:4
	ds_read_b128 v[114:117], v8
	v_add_nc_u32_e32 v7, 1, v7
	v_add_nc_u32_e32 v8, 16, v8
	;; [unrolled: 1-line block ×3, first 2 shown]
	v_cmp_lt_u32_e32 vcc_lo, 33, v7
	s_or_b32 s5, vcc_lo, s5
	s_waitcnt vmcnt(2) lgkmcnt(0)
	v_mul_f64 v[122:123], v[116:117], v[118:119]
	v_mul_f64 v[118:119], v[114:115], v[118:119]
	s_waitcnt vmcnt(0)
	v_fma_f64 v[114:115], v[114:115], v[120:121], -v[122:123]
	v_fma_f64 v[116:117], v[116:117], v[120:121], v[118:119]
	v_add_f64 v[3:4], v[3:4], v[114:115]
	v_add_f64 v[1:2], v[1:2], v[116:117]
	s_andn2_b32 exec_lo, exec_lo, s5
	s_cbranch_execnz .LBB114_153
; %bb.154:
	s_or_b32 exec_lo, exec_lo, s5
	v_mov_b32_e32 v7, 0
	ds_read_b128 v[114:117], v7 offset:560
	s_waitcnt lgkmcnt(0)
	v_mul_f64 v[7:8], v[1:2], v[116:117]
	v_mul_f64 v[111:112], v[3:4], v[116:117]
	v_fma_f64 v[3:4], v[3:4], v[114:115], -v[7:8]
	v_fma_f64 v[1:2], v[1:2], v[114:115], v[111:112]
	buffer_store_dword v4, off, s[0:3], 0 offset:580
	buffer_store_dword v3, off, s[0:3], 0 offset:576
	buffer_store_dword v2, off, s[0:3], 0 offset:588
	buffer_store_dword v1, off, s[0:3], 0 offset:584
.LBB114_155:
	s_or_b32 exec_lo, exec_lo, s4
	v_mov_b32_e32 v4, s26
	s_waitcnt_vscnt null, 0x0
	s_barrier
	buffer_gl0_inv
	s_mov_b32 s4, exec_lo
	s_clause 0x3
	buffer_load_dword v1, v4, s[0:3], 0 offen
	buffer_load_dword v2, v4, s[0:3], 0 offen offset:4
	buffer_load_dword v3, v4, s[0:3], 0 offen offset:8
	;; [unrolled: 1-line block ×3, first 2 shown]
	s_waitcnt vmcnt(0)
	ds_write_b128 v5, v[1:4]
	s_waitcnt lgkmcnt(0)
	s_barrier
	buffer_gl0_inv
	v_cmpx_gt_u32_e32 36, v0
	s_cbranch_execz .LBB114_159
; %bb.156:
	v_mov_b32_e32 v1, 0
	v_mov_b32_e32 v3, 0
	v_add_nc_u32_e32 v7, -1, v0
	v_add_nc_u32_e32 v8, 0x330, v113
	v_mov_b32_e32 v2, 0
	v_mov_b32_e32 v4, 0
	v_add_nc_u32_e32 v111, 16, v113
	s_mov_b32 s5, 0
	.p2align	6
.LBB114_157:                            ; =>This Inner Loop Header: Depth=1
	s_clause 0x3
	buffer_load_dword v118, v111, s[0:3], 0 offen offset:8
	buffer_load_dword v119, v111, s[0:3], 0 offen offset:12
	buffer_load_dword v120, v111, s[0:3], 0 offen
	buffer_load_dword v121, v111, s[0:3], 0 offen offset:4
	ds_read_b128 v[114:117], v8
	v_add_nc_u32_e32 v7, 1, v7
	v_add_nc_u32_e32 v8, 16, v8
	;; [unrolled: 1-line block ×3, first 2 shown]
	v_cmp_lt_u32_e32 vcc_lo, 34, v7
	s_or_b32 s5, vcc_lo, s5
	s_waitcnt vmcnt(2) lgkmcnt(0)
	v_mul_f64 v[122:123], v[116:117], v[118:119]
	v_mul_f64 v[118:119], v[114:115], v[118:119]
	s_waitcnt vmcnt(0)
	v_fma_f64 v[114:115], v[114:115], v[120:121], -v[122:123]
	v_fma_f64 v[116:117], v[116:117], v[120:121], v[118:119]
	v_add_f64 v[3:4], v[3:4], v[114:115]
	v_add_f64 v[1:2], v[1:2], v[116:117]
	s_andn2_b32 exec_lo, exec_lo, s5
	s_cbranch_execnz .LBB114_157
; %bb.158:
	s_or_b32 exec_lo, exec_lo, s5
	v_mov_b32_e32 v7, 0
	ds_read_b128 v[114:117], v7 offset:576
	s_waitcnt lgkmcnt(0)
	v_mul_f64 v[7:8], v[1:2], v[116:117]
	v_mul_f64 v[111:112], v[3:4], v[116:117]
	v_fma_f64 v[3:4], v[3:4], v[114:115], -v[7:8]
	v_fma_f64 v[1:2], v[1:2], v[114:115], v[111:112]
	buffer_store_dword v4, off, s[0:3], 0 offset:596
	buffer_store_dword v3, off, s[0:3], 0 offset:592
	;; [unrolled: 1-line block ×4, first 2 shown]
.LBB114_159:
	s_or_b32 exec_lo, exec_lo, s4
	v_mov_b32_e32 v4, s25
	s_waitcnt_vscnt null, 0x0
	s_barrier
	buffer_gl0_inv
	s_mov_b32 s4, exec_lo
	s_clause 0x3
	buffer_load_dword v1, v4, s[0:3], 0 offen
	buffer_load_dword v2, v4, s[0:3], 0 offen offset:4
	buffer_load_dword v3, v4, s[0:3], 0 offen offset:8
	;; [unrolled: 1-line block ×3, first 2 shown]
	s_waitcnt vmcnt(0)
	ds_write_b128 v5, v[1:4]
	s_waitcnt lgkmcnt(0)
	s_barrier
	buffer_gl0_inv
	v_cmpx_gt_u32_e32 37, v0
	s_cbranch_execz .LBB114_163
; %bb.160:
	v_mov_b32_e32 v1, 0
	v_mov_b32_e32 v3, 0
	v_add_nc_u32_e32 v7, -1, v0
	v_add_nc_u32_e32 v8, 0x330, v113
	v_mov_b32_e32 v2, 0
	v_mov_b32_e32 v4, 0
	v_add_nc_u32_e32 v111, 16, v113
	s_mov_b32 s5, 0
	.p2align	6
.LBB114_161:                            ; =>This Inner Loop Header: Depth=1
	s_clause 0x3
	buffer_load_dword v118, v111, s[0:3], 0 offen offset:8
	buffer_load_dword v119, v111, s[0:3], 0 offen offset:12
	buffer_load_dword v120, v111, s[0:3], 0 offen
	buffer_load_dword v121, v111, s[0:3], 0 offen offset:4
	ds_read_b128 v[114:117], v8
	v_add_nc_u32_e32 v7, 1, v7
	v_add_nc_u32_e32 v8, 16, v8
	;; [unrolled: 1-line block ×3, first 2 shown]
	v_cmp_lt_u32_e32 vcc_lo, 35, v7
	s_or_b32 s5, vcc_lo, s5
	s_waitcnt vmcnt(2) lgkmcnt(0)
	v_mul_f64 v[122:123], v[116:117], v[118:119]
	v_mul_f64 v[118:119], v[114:115], v[118:119]
	s_waitcnt vmcnt(0)
	v_fma_f64 v[114:115], v[114:115], v[120:121], -v[122:123]
	v_fma_f64 v[116:117], v[116:117], v[120:121], v[118:119]
	v_add_f64 v[3:4], v[3:4], v[114:115]
	v_add_f64 v[1:2], v[1:2], v[116:117]
	s_andn2_b32 exec_lo, exec_lo, s5
	s_cbranch_execnz .LBB114_161
; %bb.162:
	s_or_b32 exec_lo, exec_lo, s5
	v_mov_b32_e32 v7, 0
	ds_read_b128 v[114:117], v7 offset:592
	s_waitcnt lgkmcnt(0)
	v_mul_f64 v[7:8], v[1:2], v[116:117]
	v_mul_f64 v[111:112], v[3:4], v[116:117]
	v_fma_f64 v[3:4], v[3:4], v[114:115], -v[7:8]
	v_fma_f64 v[1:2], v[1:2], v[114:115], v[111:112]
	buffer_store_dword v4, off, s[0:3], 0 offset:612
	buffer_store_dword v3, off, s[0:3], 0 offset:608
	;; [unrolled: 1-line block ×4, first 2 shown]
.LBB114_163:
	s_or_b32 exec_lo, exec_lo, s4
	v_mov_b32_e32 v4, s24
	s_waitcnt_vscnt null, 0x0
	s_barrier
	buffer_gl0_inv
	s_mov_b32 s4, exec_lo
	s_clause 0x3
	buffer_load_dword v1, v4, s[0:3], 0 offen
	buffer_load_dword v2, v4, s[0:3], 0 offen offset:4
	buffer_load_dword v3, v4, s[0:3], 0 offen offset:8
	buffer_load_dword v4, v4, s[0:3], 0 offen offset:12
	s_waitcnt vmcnt(0)
	ds_write_b128 v5, v[1:4]
	s_waitcnt lgkmcnt(0)
	s_barrier
	buffer_gl0_inv
	v_cmpx_gt_u32_e32 38, v0
	s_cbranch_execz .LBB114_167
; %bb.164:
	v_mov_b32_e32 v1, 0
	v_mov_b32_e32 v3, 0
	v_add_nc_u32_e32 v7, -1, v0
	v_add_nc_u32_e32 v8, 0x330, v113
	v_mov_b32_e32 v2, 0
	v_mov_b32_e32 v4, 0
	v_add_nc_u32_e32 v111, 16, v113
	s_mov_b32 s5, 0
	.p2align	6
.LBB114_165:                            ; =>This Inner Loop Header: Depth=1
	s_clause 0x3
	buffer_load_dword v118, v111, s[0:3], 0 offen offset:8
	buffer_load_dword v119, v111, s[0:3], 0 offen offset:12
	buffer_load_dword v120, v111, s[0:3], 0 offen
	buffer_load_dword v121, v111, s[0:3], 0 offen offset:4
	ds_read_b128 v[114:117], v8
	v_add_nc_u32_e32 v7, 1, v7
	v_add_nc_u32_e32 v8, 16, v8
	;; [unrolled: 1-line block ×3, first 2 shown]
	v_cmp_lt_u32_e32 vcc_lo, 36, v7
	s_or_b32 s5, vcc_lo, s5
	s_waitcnt vmcnt(2) lgkmcnt(0)
	v_mul_f64 v[122:123], v[116:117], v[118:119]
	v_mul_f64 v[118:119], v[114:115], v[118:119]
	s_waitcnt vmcnt(0)
	v_fma_f64 v[114:115], v[114:115], v[120:121], -v[122:123]
	v_fma_f64 v[116:117], v[116:117], v[120:121], v[118:119]
	v_add_f64 v[3:4], v[3:4], v[114:115]
	v_add_f64 v[1:2], v[1:2], v[116:117]
	s_andn2_b32 exec_lo, exec_lo, s5
	s_cbranch_execnz .LBB114_165
; %bb.166:
	s_or_b32 exec_lo, exec_lo, s5
	v_mov_b32_e32 v7, 0
	ds_read_b128 v[114:117], v7 offset:608
	s_waitcnt lgkmcnt(0)
	v_mul_f64 v[7:8], v[1:2], v[116:117]
	v_mul_f64 v[111:112], v[3:4], v[116:117]
	v_fma_f64 v[3:4], v[3:4], v[114:115], -v[7:8]
	v_fma_f64 v[1:2], v[1:2], v[114:115], v[111:112]
	buffer_store_dword v4, off, s[0:3], 0 offset:628
	buffer_store_dword v3, off, s[0:3], 0 offset:624
	;; [unrolled: 1-line block ×4, first 2 shown]
.LBB114_167:
	s_or_b32 exec_lo, exec_lo, s4
	v_mov_b32_e32 v4, s23
	s_waitcnt_vscnt null, 0x0
	s_barrier
	buffer_gl0_inv
	s_mov_b32 s4, exec_lo
	s_clause 0x3
	buffer_load_dword v1, v4, s[0:3], 0 offen
	buffer_load_dword v2, v4, s[0:3], 0 offen offset:4
	buffer_load_dword v3, v4, s[0:3], 0 offen offset:8
	;; [unrolled: 1-line block ×3, first 2 shown]
	s_waitcnt vmcnt(0)
	ds_write_b128 v5, v[1:4]
	s_waitcnt lgkmcnt(0)
	s_barrier
	buffer_gl0_inv
	v_cmpx_gt_u32_e32 39, v0
	s_cbranch_execz .LBB114_171
; %bb.168:
	v_mov_b32_e32 v1, 0
	v_mov_b32_e32 v3, 0
	v_add_nc_u32_e32 v7, -1, v0
	v_add_nc_u32_e32 v8, 0x330, v113
	v_mov_b32_e32 v2, 0
	v_mov_b32_e32 v4, 0
	v_add_nc_u32_e32 v111, 16, v113
	s_mov_b32 s5, 0
	.p2align	6
.LBB114_169:                            ; =>This Inner Loop Header: Depth=1
	s_clause 0x3
	buffer_load_dword v118, v111, s[0:3], 0 offen offset:8
	buffer_load_dword v119, v111, s[0:3], 0 offen offset:12
	buffer_load_dword v120, v111, s[0:3], 0 offen
	buffer_load_dword v121, v111, s[0:3], 0 offen offset:4
	ds_read_b128 v[114:117], v8
	v_add_nc_u32_e32 v7, 1, v7
	v_add_nc_u32_e32 v8, 16, v8
	;; [unrolled: 1-line block ×3, first 2 shown]
	v_cmp_lt_u32_e32 vcc_lo, 37, v7
	s_or_b32 s5, vcc_lo, s5
	s_waitcnt vmcnt(2) lgkmcnt(0)
	v_mul_f64 v[122:123], v[116:117], v[118:119]
	v_mul_f64 v[118:119], v[114:115], v[118:119]
	s_waitcnt vmcnt(0)
	v_fma_f64 v[114:115], v[114:115], v[120:121], -v[122:123]
	v_fma_f64 v[116:117], v[116:117], v[120:121], v[118:119]
	v_add_f64 v[3:4], v[3:4], v[114:115]
	v_add_f64 v[1:2], v[1:2], v[116:117]
	s_andn2_b32 exec_lo, exec_lo, s5
	s_cbranch_execnz .LBB114_169
; %bb.170:
	s_or_b32 exec_lo, exec_lo, s5
	v_mov_b32_e32 v7, 0
	ds_read_b128 v[114:117], v7 offset:624
	s_waitcnt lgkmcnt(0)
	v_mul_f64 v[7:8], v[1:2], v[116:117]
	v_mul_f64 v[111:112], v[3:4], v[116:117]
	v_fma_f64 v[3:4], v[3:4], v[114:115], -v[7:8]
	v_fma_f64 v[1:2], v[1:2], v[114:115], v[111:112]
	buffer_store_dword v4, off, s[0:3], 0 offset:644
	buffer_store_dword v3, off, s[0:3], 0 offset:640
	;; [unrolled: 1-line block ×4, first 2 shown]
.LBB114_171:
	s_or_b32 exec_lo, exec_lo, s4
	v_mov_b32_e32 v4, s22
	s_waitcnt_vscnt null, 0x0
	s_barrier
	buffer_gl0_inv
	s_mov_b32 s4, exec_lo
	s_clause 0x3
	buffer_load_dword v1, v4, s[0:3], 0 offen
	buffer_load_dword v2, v4, s[0:3], 0 offen offset:4
	buffer_load_dword v3, v4, s[0:3], 0 offen offset:8
	;; [unrolled: 1-line block ×3, first 2 shown]
	s_waitcnt vmcnt(0)
	ds_write_b128 v5, v[1:4]
	s_waitcnt lgkmcnt(0)
	s_barrier
	buffer_gl0_inv
	v_cmpx_gt_u32_e32 40, v0
	s_cbranch_execz .LBB114_175
; %bb.172:
	v_mov_b32_e32 v1, 0
	v_mov_b32_e32 v3, 0
	v_add_nc_u32_e32 v7, -1, v0
	v_add_nc_u32_e32 v8, 0x330, v113
	v_mov_b32_e32 v2, 0
	v_mov_b32_e32 v4, 0
	v_add_nc_u32_e32 v111, 16, v113
	s_mov_b32 s5, 0
	.p2align	6
.LBB114_173:                            ; =>This Inner Loop Header: Depth=1
	s_clause 0x3
	buffer_load_dword v118, v111, s[0:3], 0 offen offset:8
	buffer_load_dword v119, v111, s[0:3], 0 offen offset:12
	buffer_load_dword v120, v111, s[0:3], 0 offen
	buffer_load_dword v121, v111, s[0:3], 0 offen offset:4
	ds_read_b128 v[114:117], v8
	v_add_nc_u32_e32 v7, 1, v7
	v_add_nc_u32_e32 v8, 16, v8
	;; [unrolled: 1-line block ×3, first 2 shown]
	v_cmp_lt_u32_e32 vcc_lo, 38, v7
	s_or_b32 s5, vcc_lo, s5
	s_waitcnt vmcnt(2) lgkmcnt(0)
	v_mul_f64 v[122:123], v[116:117], v[118:119]
	v_mul_f64 v[118:119], v[114:115], v[118:119]
	s_waitcnt vmcnt(0)
	v_fma_f64 v[114:115], v[114:115], v[120:121], -v[122:123]
	v_fma_f64 v[116:117], v[116:117], v[120:121], v[118:119]
	v_add_f64 v[3:4], v[3:4], v[114:115]
	v_add_f64 v[1:2], v[1:2], v[116:117]
	s_andn2_b32 exec_lo, exec_lo, s5
	s_cbranch_execnz .LBB114_173
; %bb.174:
	s_or_b32 exec_lo, exec_lo, s5
	v_mov_b32_e32 v7, 0
	ds_read_b128 v[114:117], v7 offset:640
	s_waitcnt lgkmcnt(0)
	v_mul_f64 v[7:8], v[1:2], v[116:117]
	v_mul_f64 v[111:112], v[3:4], v[116:117]
	v_fma_f64 v[3:4], v[3:4], v[114:115], -v[7:8]
	v_fma_f64 v[1:2], v[1:2], v[114:115], v[111:112]
	buffer_store_dword v4, off, s[0:3], 0 offset:660
	buffer_store_dword v3, off, s[0:3], 0 offset:656
	;; [unrolled: 1-line block ×4, first 2 shown]
.LBB114_175:
	s_or_b32 exec_lo, exec_lo, s4
	v_mov_b32_e32 v4, s21
	s_waitcnt_vscnt null, 0x0
	s_barrier
	buffer_gl0_inv
	s_mov_b32 s4, exec_lo
	s_clause 0x3
	buffer_load_dword v1, v4, s[0:3], 0 offen
	buffer_load_dword v2, v4, s[0:3], 0 offen offset:4
	buffer_load_dword v3, v4, s[0:3], 0 offen offset:8
	;; [unrolled: 1-line block ×3, first 2 shown]
	s_waitcnt vmcnt(0)
	ds_write_b128 v5, v[1:4]
	s_waitcnt lgkmcnt(0)
	s_barrier
	buffer_gl0_inv
	v_cmpx_gt_u32_e32 41, v0
	s_cbranch_execz .LBB114_179
; %bb.176:
	v_mov_b32_e32 v1, 0
	v_mov_b32_e32 v3, 0
	v_add_nc_u32_e32 v7, -1, v0
	v_add_nc_u32_e32 v8, 0x330, v113
	v_mov_b32_e32 v2, 0
	v_mov_b32_e32 v4, 0
	v_add_nc_u32_e32 v111, 16, v113
	s_mov_b32 s5, 0
	.p2align	6
.LBB114_177:                            ; =>This Inner Loop Header: Depth=1
	s_clause 0x3
	buffer_load_dword v118, v111, s[0:3], 0 offen offset:8
	buffer_load_dword v119, v111, s[0:3], 0 offen offset:12
	buffer_load_dword v120, v111, s[0:3], 0 offen
	buffer_load_dword v121, v111, s[0:3], 0 offen offset:4
	ds_read_b128 v[114:117], v8
	v_add_nc_u32_e32 v7, 1, v7
	v_add_nc_u32_e32 v8, 16, v8
	;; [unrolled: 1-line block ×3, first 2 shown]
	v_cmp_lt_u32_e32 vcc_lo, 39, v7
	s_or_b32 s5, vcc_lo, s5
	s_waitcnt vmcnt(2) lgkmcnt(0)
	v_mul_f64 v[122:123], v[116:117], v[118:119]
	v_mul_f64 v[118:119], v[114:115], v[118:119]
	s_waitcnt vmcnt(0)
	v_fma_f64 v[114:115], v[114:115], v[120:121], -v[122:123]
	v_fma_f64 v[116:117], v[116:117], v[120:121], v[118:119]
	v_add_f64 v[3:4], v[3:4], v[114:115]
	v_add_f64 v[1:2], v[1:2], v[116:117]
	s_andn2_b32 exec_lo, exec_lo, s5
	s_cbranch_execnz .LBB114_177
; %bb.178:
	s_or_b32 exec_lo, exec_lo, s5
	v_mov_b32_e32 v7, 0
	ds_read_b128 v[114:117], v7 offset:656
	s_waitcnt lgkmcnt(0)
	v_mul_f64 v[7:8], v[1:2], v[116:117]
	v_mul_f64 v[111:112], v[3:4], v[116:117]
	v_fma_f64 v[3:4], v[3:4], v[114:115], -v[7:8]
	v_fma_f64 v[1:2], v[1:2], v[114:115], v[111:112]
	buffer_store_dword v4, off, s[0:3], 0 offset:676
	buffer_store_dword v3, off, s[0:3], 0 offset:672
	;; [unrolled: 1-line block ×4, first 2 shown]
.LBB114_179:
	s_or_b32 exec_lo, exec_lo, s4
	v_mov_b32_e32 v4, s20
	s_waitcnt_vscnt null, 0x0
	s_barrier
	buffer_gl0_inv
	s_mov_b32 s4, exec_lo
	s_clause 0x3
	buffer_load_dword v1, v4, s[0:3], 0 offen
	buffer_load_dword v2, v4, s[0:3], 0 offen offset:4
	buffer_load_dword v3, v4, s[0:3], 0 offen offset:8
	;; [unrolled: 1-line block ×3, first 2 shown]
	s_waitcnt vmcnt(0)
	ds_write_b128 v5, v[1:4]
	s_waitcnt lgkmcnt(0)
	s_barrier
	buffer_gl0_inv
	v_cmpx_gt_u32_e32 42, v0
	s_cbranch_execz .LBB114_183
; %bb.180:
	v_mov_b32_e32 v1, 0
	v_mov_b32_e32 v3, 0
	v_add_nc_u32_e32 v7, -1, v0
	v_add_nc_u32_e32 v8, 0x330, v113
	v_mov_b32_e32 v2, 0
	v_mov_b32_e32 v4, 0
	v_add_nc_u32_e32 v111, 16, v113
	s_mov_b32 s5, 0
	.p2align	6
.LBB114_181:                            ; =>This Inner Loop Header: Depth=1
	s_clause 0x3
	buffer_load_dword v118, v111, s[0:3], 0 offen offset:8
	buffer_load_dword v119, v111, s[0:3], 0 offen offset:12
	buffer_load_dword v120, v111, s[0:3], 0 offen
	buffer_load_dword v121, v111, s[0:3], 0 offen offset:4
	ds_read_b128 v[114:117], v8
	v_add_nc_u32_e32 v7, 1, v7
	v_add_nc_u32_e32 v8, 16, v8
	;; [unrolled: 1-line block ×3, first 2 shown]
	v_cmp_lt_u32_e32 vcc_lo, 40, v7
	s_or_b32 s5, vcc_lo, s5
	s_waitcnt vmcnt(2) lgkmcnt(0)
	v_mul_f64 v[122:123], v[116:117], v[118:119]
	v_mul_f64 v[118:119], v[114:115], v[118:119]
	s_waitcnt vmcnt(0)
	v_fma_f64 v[114:115], v[114:115], v[120:121], -v[122:123]
	v_fma_f64 v[116:117], v[116:117], v[120:121], v[118:119]
	v_add_f64 v[3:4], v[3:4], v[114:115]
	v_add_f64 v[1:2], v[1:2], v[116:117]
	s_andn2_b32 exec_lo, exec_lo, s5
	s_cbranch_execnz .LBB114_181
; %bb.182:
	s_or_b32 exec_lo, exec_lo, s5
	v_mov_b32_e32 v7, 0
	ds_read_b128 v[114:117], v7 offset:672
	s_waitcnt lgkmcnt(0)
	v_mul_f64 v[7:8], v[1:2], v[116:117]
	v_mul_f64 v[111:112], v[3:4], v[116:117]
	v_fma_f64 v[3:4], v[3:4], v[114:115], -v[7:8]
	v_fma_f64 v[1:2], v[1:2], v[114:115], v[111:112]
	buffer_store_dword v4, off, s[0:3], 0 offset:692
	buffer_store_dword v3, off, s[0:3], 0 offset:688
	;; [unrolled: 1-line block ×4, first 2 shown]
.LBB114_183:
	s_or_b32 exec_lo, exec_lo, s4
	v_mov_b32_e32 v4, s19
	s_waitcnt_vscnt null, 0x0
	s_barrier
	buffer_gl0_inv
	s_mov_b32 s4, exec_lo
	s_clause 0x3
	buffer_load_dword v1, v4, s[0:3], 0 offen
	buffer_load_dword v2, v4, s[0:3], 0 offen offset:4
	buffer_load_dword v3, v4, s[0:3], 0 offen offset:8
	;; [unrolled: 1-line block ×3, first 2 shown]
	s_waitcnt vmcnt(0)
	ds_write_b128 v5, v[1:4]
	s_waitcnt lgkmcnt(0)
	s_barrier
	buffer_gl0_inv
	v_cmpx_gt_u32_e32 43, v0
	s_cbranch_execz .LBB114_187
; %bb.184:
	v_mov_b32_e32 v1, 0
	v_mov_b32_e32 v3, 0
	v_add_nc_u32_e32 v7, -1, v0
	v_add_nc_u32_e32 v8, 0x330, v113
	v_mov_b32_e32 v2, 0
	v_mov_b32_e32 v4, 0
	v_add_nc_u32_e32 v111, 16, v113
	s_mov_b32 s5, 0
	.p2align	6
.LBB114_185:                            ; =>This Inner Loop Header: Depth=1
	s_clause 0x3
	buffer_load_dword v118, v111, s[0:3], 0 offen offset:8
	buffer_load_dword v119, v111, s[0:3], 0 offen offset:12
	buffer_load_dword v120, v111, s[0:3], 0 offen
	buffer_load_dword v121, v111, s[0:3], 0 offen offset:4
	ds_read_b128 v[114:117], v8
	v_add_nc_u32_e32 v7, 1, v7
	v_add_nc_u32_e32 v8, 16, v8
	;; [unrolled: 1-line block ×3, first 2 shown]
	v_cmp_lt_u32_e32 vcc_lo, 41, v7
	s_or_b32 s5, vcc_lo, s5
	s_waitcnt vmcnt(2) lgkmcnt(0)
	v_mul_f64 v[122:123], v[116:117], v[118:119]
	v_mul_f64 v[118:119], v[114:115], v[118:119]
	s_waitcnt vmcnt(0)
	v_fma_f64 v[114:115], v[114:115], v[120:121], -v[122:123]
	v_fma_f64 v[116:117], v[116:117], v[120:121], v[118:119]
	v_add_f64 v[3:4], v[3:4], v[114:115]
	v_add_f64 v[1:2], v[1:2], v[116:117]
	s_andn2_b32 exec_lo, exec_lo, s5
	s_cbranch_execnz .LBB114_185
; %bb.186:
	s_or_b32 exec_lo, exec_lo, s5
	v_mov_b32_e32 v7, 0
	ds_read_b128 v[114:117], v7 offset:688
	s_waitcnt lgkmcnt(0)
	v_mul_f64 v[7:8], v[1:2], v[116:117]
	v_mul_f64 v[111:112], v[3:4], v[116:117]
	v_fma_f64 v[3:4], v[3:4], v[114:115], -v[7:8]
	v_fma_f64 v[1:2], v[1:2], v[114:115], v[111:112]
	buffer_store_dword v4, off, s[0:3], 0 offset:708
	buffer_store_dword v3, off, s[0:3], 0 offset:704
	;; [unrolled: 1-line block ×4, first 2 shown]
.LBB114_187:
	s_or_b32 exec_lo, exec_lo, s4
	v_mov_b32_e32 v4, s18
	s_waitcnt_vscnt null, 0x0
	s_barrier
	buffer_gl0_inv
	s_mov_b32 s4, exec_lo
	s_clause 0x3
	buffer_load_dword v1, v4, s[0:3], 0 offen
	buffer_load_dword v2, v4, s[0:3], 0 offen offset:4
	buffer_load_dword v3, v4, s[0:3], 0 offen offset:8
	;; [unrolled: 1-line block ×3, first 2 shown]
	s_waitcnt vmcnt(0)
	ds_write_b128 v5, v[1:4]
	s_waitcnt lgkmcnt(0)
	s_barrier
	buffer_gl0_inv
	v_cmpx_gt_u32_e32 44, v0
	s_cbranch_execz .LBB114_191
; %bb.188:
	v_mov_b32_e32 v1, 0
	v_mov_b32_e32 v3, 0
	v_add_nc_u32_e32 v7, -1, v0
	v_add_nc_u32_e32 v8, 0x330, v113
	v_mov_b32_e32 v2, 0
	v_mov_b32_e32 v4, 0
	v_add_nc_u32_e32 v111, 16, v113
	s_mov_b32 s5, 0
	.p2align	6
.LBB114_189:                            ; =>This Inner Loop Header: Depth=1
	s_clause 0x3
	buffer_load_dword v118, v111, s[0:3], 0 offen offset:8
	buffer_load_dword v119, v111, s[0:3], 0 offen offset:12
	buffer_load_dword v120, v111, s[0:3], 0 offen
	buffer_load_dword v121, v111, s[0:3], 0 offen offset:4
	ds_read_b128 v[114:117], v8
	v_add_nc_u32_e32 v7, 1, v7
	v_add_nc_u32_e32 v8, 16, v8
	;; [unrolled: 1-line block ×3, first 2 shown]
	v_cmp_lt_u32_e32 vcc_lo, 42, v7
	s_or_b32 s5, vcc_lo, s5
	s_waitcnt vmcnt(2) lgkmcnt(0)
	v_mul_f64 v[122:123], v[116:117], v[118:119]
	v_mul_f64 v[118:119], v[114:115], v[118:119]
	s_waitcnt vmcnt(0)
	v_fma_f64 v[114:115], v[114:115], v[120:121], -v[122:123]
	v_fma_f64 v[116:117], v[116:117], v[120:121], v[118:119]
	v_add_f64 v[3:4], v[3:4], v[114:115]
	v_add_f64 v[1:2], v[1:2], v[116:117]
	s_andn2_b32 exec_lo, exec_lo, s5
	s_cbranch_execnz .LBB114_189
; %bb.190:
	s_or_b32 exec_lo, exec_lo, s5
	v_mov_b32_e32 v7, 0
	ds_read_b128 v[114:117], v7 offset:704
	s_waitcnt lgkmcnt(0)
	v_mul_f64 v[7:8], v[1:2], v[116:117]
	v_mul_f64 v[111:112], v[3:4], v[116:117]
	v_fma_f64 v[3:4], v[3:4], v[114:115], -v[7:8]
	v_fma_f64 v[1:2], v[1:2], v[114:115], v[111:112]
	buffer_store_dword v4, off, s[0:3], 0 offset:724
	buffer_store_dword v3, off, s[0:3], 0 offset:720
	;; [unrolled: 1-line block ×4, first 2 shown]
.LBB114_191:
	s_or_b32 exec_lo, exec_lo, s4
	v_mov_b32_e32 v4, s17
	s_waitcnt_vscnt null, 0x0
	s_barrier
	buffer_gl0_inv
	s_mov_b32 s4, exec_lo
	s_clause 0x3
	buffer_load_dword v1, v4, s[0:3], 0 offen
	buffer_load_dword v2, v4, s[0:3], 0 offen offset:4
	buffer_load_dword v3, v4, s[0:3], 0 offen offset:8
	;; [unrolled: 1-line block ×3, first 2 shown]
	s_waitcnt vmcnt(0)
	ds_write_b128 v5, v[1:4]
	s_waitcnt lgkmcnt(0)
	s_barrier
	buffer_gl0_inv
	v_cmpx_gt_u32_e32 45, v0
	s_cbranch_execz .LBB114_195
; %bb.192:
	v_mov_b32_e32 v1, 0
	v_mov_b32_e32 v3, 0
	v_add_nc_u32_e32 v7, -1, v0
	v_add_nc_u32_e32 v8, 0x330, v113
	v_mov_b32_e32 v2, 0
	v_mov_b32_e32 v4, 0
	v_add_nc_u32_e32 v111, 16, v113
	s_mov_b32 s5, 0
	.p2align	6
.LBB114_193:                            ; =>This Inner Loop Header: Depth=1
	s_clause 0x3
	buffer_load_dword v118, v111, s[0:3], 0 offen offset:8
	buffer_load_dword v119, v111, s[0:3], 0 offen offset:12
	buffer_load_dword v120, v111, s[0:3], 0 offen
	buffer_load_dword v121, v111, s[0:3], 0 offen offset:4
	ds_read_b128 v[114:117], v8
	v_add_nc_u32_e32 v7, 1, v7
	v_add_nc_u32_e32 v8, 16, v8
	;; [unrolled: 1-line block ×3, first 2 shown]
	v_cmp_lt_u32_e32 vcc_lo, 43, v7
	s_or_b32 s5, vcc_lo, s5
	s_waitcnt vmcnt(2) lgkmcnt(0)
	v_mul_f64 v[122:123], v[116:117], v[118:119]
	v_mul_f64 v[118:119], v[114:115], v[118:119]
	s_waitcnt vmcnt(0)
	v_fma_f64 v[114:115], v[114:115], v[120:121], -v[122:123]
	v_fma_f64 v[116:117], v[116:117], v[120:121], v[118:119]
	v_add_f64 v[3:4], v[3:4], v[114:115]
	v_add_f64 v[1:2], v[1:2], v[116:117]
	s_andn2_b32 exec_lo, exec_lo, s5
	s_cbranch_execnz .LBB114_193
; %bb.194:
	s_or_b32 exec_lo, exec_lo, s5
	v_mov_b32_e32 v7, 0
	ds_read_b128 v[114:117], v7 offset:720
	s_waitcnt lgkmcnt(0)
	v_mul_f64 v[7:8], v[1:2], v[116:117]
	v_mul_f64 v[111:112], v[3:4], v[116:117]
	v_fma_f64 v[3:4], v[3:4], v[114:115], -v[7:8]
	v_fma_f64 v[1:2], v[1:2], v[114:115], v[111:112]
	buffer_store_dword v4, off, s[0:3], 0 offset:740
	buffer_store_dword v3, off, s[0:3], 0 offset:736
	buffer_store_dword v2, off, s[0:3], 0 offset:748
	buffer_store_dword v1, off, s[0:3], 0 offset:744
.LBB114_195:
	s_or_b32 exec_lo, exec_lo, s4
	v_mov_b32_e32 v4, s16
	s_waitcnt_vscnt null, 0x0
	s_barrier
	buffer_gl0_inv
	s_mov_b32 s4, exec_lo
	s_clause 0x3
	buffer_load_dword v1, v4, s[0:3], 0 offen
	buffer_load_dword v2, v4, s[0:3], 0 offen offset:4
	buffer_load_dword v3, v4, s[0:3], 0 offen offset:8
	;; [unrolled: 1-line block ×3, first 2 shown]
	s_waitcnt vmcnt(0)
	ds_write_b128 v5, v[1:4]
	s_waitcnt lgkmcnt(0)
	s_barrier
	buffer_gl0_inv
	v_cmpx_gt_u32_e32 46, v0
	s_cbranch_execz .LBB114_199
; %bb.196:
	v_mov_b32_e32 v1, 0
	v_mov_b32_e32 v3, 0
	v_add_nc_u32_e32 v7, -1, v0
	v_add_nc_u32_e32 v8, 0x330, v113
	v_mov_b32_e32 v2, 0
	v_mov_b32_e32 v4, 0
	v_add_nc_u32_e32 v111, 16, v113
	s_mov_b32 s5, 0
	.p2align	6
.LBB114_197:                            ; =>This Inner Loop Header: Depth=1
	s_clause 0x3
	buffer_load_dword v118, v111, s[0:3], 0 offen offset:8
	buffer_load_dword v119, v111, s[0:3], 0 offen offset:12
	buffer_load_dword v120, v111, s[0:3], 0 offen
	buffer_load_dword v121, v111, s[0:3], 0 offen offset:4
	ds_read_b128 v[114:117], v8
	v_add_nc_u32_e32 v7, 1, v7
	v_add_nc_u32_e32 v8, 16, v8
	;; [unrolled: 1-line block ×3, first 2 shown]
	v_cmp_lt_u32_e32 vcc_lo, 44, v7
	s_or_b32 s5, vcc_lo, s5
	s_waitcnt vmcnt(2) lgkmcnt(0)
	v_mul_f64 v[122:123], v[116:117], v[118:119]
	v_mul_f64 v[118:119], v[114:115], v[118:119]
	s_waitcnt vmcnt(0)
	v_fma_f64 v[114:115], v[114:115], v[120:121], -v[122:123]
	v_fma_f64 v[116:117], v[116:117], v[120:121], v[118:119]
	v_add_f64 v[3:4], v[3:4], v[114:115]
	v_add_f64 v[1:2], v[1:2], v[116:117]
	s_andn2_b32 exec_lo, exec_lo, s5
	s_cbranch_execnz .LBB114_197
; %bb.198:
	s_or_b32 exec_lo, exec_lo, s5
	v_mov_b32_e32 v7, 0
	ds_read_b128 v[114:117], v7 offset:736
	s_waitcnt lgkmcnt(0)
	v_mul_f64 v[7:8], v[1:2], v[116:117]
	v_mul_f64 v[111:112], v[3:4], v[116:117]
	v_fma_f64 v[3:4], v[3:4], v[114:115], -v[7:8]
	v_fma_f64 v[1:2], v[1:2], v[114:115], v[111:112]
	buffer_store_dword v4, off, s[0:3], 0 offset:756
	buffer_store_dword v3, off, s[0:3], 0 offset:752
	;; [unrolled: 1-line block ×4, first 2 shown]
.LBB114_199:
	s_or_b32 exec_lo, exec_lo, s4
	v_mov_b32_e32 v4, s15
	s_waitcnt_vscnt null, 0x0
	s_barrier
	buffer_gl0_inv
	s_mov_b32 s4, exec_lo
	s_clause 0x3
	buffer_load_dword v1, v4, s[0:3], 0 offen
	buffer_load_dword v2, v4, s[0:3], 0 offen offset:4
	buffer_load_dword v3, v4, s[0:3], 0 offen offset:8
	;; [unrolled: 1-line block ×3, first 2 shown]
	s_waitcnt vmcnt(0)
	ds_write_b128 v5, v[1:4]
	s_waitcnt lgkmcnt(0)
	s_barrier
	buffer_gl0_inv
	v_cmpx_gt_u32_e32 47, v0
	s_cbranch_execz .LBB114_203
; %bb.200:
	v_mov_b32_e32 v1, 0
	v_mov_b32_e32 v3, 0
	v_add_nc_u32_e32 v7, -1, v0
	v_add_nc_u32_e32 v8, 0x330, v113
	v_mov_b32_e32 v2, 0
	v_mov_b32_e32 v4, 0
	v_add_nc_u32_e32 v111, 16, v113
	s_mov_b32 s5, 0
	.p2align	6
.LBB114_201:                            ; =>This Inner Loop Header: Depth=1
	s_clause 0x3
	buffer_load_dword v118, v111, s[0:3], 0 offen offset:8
	buffer_load_dword v119, v111, s[0:3], 0 offen offset:12
	buffer_load_dword v120, v111, s[0:3], 0 offen
	buffer_load_dword v121, v111, s[0:3], 0 offen offset:4
	ds_read_b128 v[114:117], v8
	v_add_nc_u32_e32 v7, 1, v7
	v_add_nc_u32_e32 v8, 16, v8
	;; [unrolled: 1-line block ×3, first 2 shown]
	v_cmp_lt_u32_e32 vcc_lo, 45, v7
	s_or_b32 s5, vcc_lo, s5
	s_waitcnt vmcnt(2) lgkmcnt(0)
	v_mul_f64 v[122:123], v[116:117], v[118:119]
	v_mul_f64 v[118:119], v[114:115], v[118:119]
	s_waitcnt vmcnt(0)
	v_fma_f64 v[114:115], v[114:115], v[120:121], -v[122:123]
	v_fma_f64 v[116:117], v[116:117], v[120:121], v[118:119]
	v_add_f64 v[3:4], v[3:4], v[114:115]
	v_add_f64 v[1:2], v[1:2], v[116:117]
	s_andn2_b32 exec_lo, exec_lo, s5
	s_cbranch_execnz .LBB114_201
; %bb.202:
	s_or_b32 exec_lo, exec_lo, s5
	v_mov_b32_e32 v7, 0
	ds_read_b128 v[114:117], v7 offset:752
	s_waitcnt lgkmcnt(0)
	v_mul_f64 v[7:8], v[1:2], v[116:117]
	v_mul_f64 v[111:112], v[3:4], v[116:117]
	v_fma_f64 v[3:4], v[3:4], v[114:115], -v[7:8]
	v_fma_f64 v[1:2], v[1:2], v[114:115], v[111:112]
	buffer_store_dword v4, off, s[0:3], 0 offset:772
	buffer_store_dword v3, off, s[0:3], 0 offset:768
	;; [unrolled: 1-line block ×4, first 2 shown]
.LBB114_203:
	s_or_b32 exec_lo, exec_lo, s4
	v_mov_b32_e32 v4, s14
	s_waitcnt_vscnt null, 0x0
	s_barrier
	buffer_gl0_inv
	s_mov_b32 s4, exec_lo
	s_clause 0x3
	buffer_load_dword v1, v4, s[0:3], 0 offen
	buffer_load_dword v2, v4, s[0:3], 0 offen offset:4
	buffer_load_dword v3, v4, s[0:3], 0 offen offset:8
	;; [unrolled: 1-line block ×3, first 2 shown]
	s_waitcnt vmcnt(0)
	ds_write_b128 v5, v[1:4]
	s_waitcnt lgkmcnt(0)
	s_barrier
	buffer_gl0_inv
	v_cmpx_gt_u32_e32 48, v0
	s_cbranch_execz .LBB114_207
; %bb.204:
	v_mov_b32_e32 v1, 0
	v_mov_b32_e32 v3, 0
	v_add_nc_u32_e32 v7, -1, v0
	v_add_nc_u32_e32 v8, 0x330, v113
	v_mov_b32_e32 v2, 0
	v_mov_b32_e32 v4, 0
	v_add_nc_u32_e32 v111, 16, v113
	s_mov_b32 s5, 0
	.p2align	6
.LBB114_205:                            ; =>This Inner Loop Header: Depth=1
	s_clause 0x3
	buffer_load_dword v118, v111, s[0:3], 0 offen offset:8
	buffer_load_dword v119, v111, s[0:3], 0 offen offset:12
	buffer_load_dword v120, v111, s[0:3], 0 offen
	buffer_load_dword v121, v111, s[0:3], 0 offen offset:4
	ds_read_b128 v[114:117], v8
	v_add_nc_u32_e32 v7, 1, v7
	v_add_nc_u32_e32 v8, 16, v8
	;; [unrolled: 1-line block ×3, first 2 shown]
	v_cmp_lt_u32_e32 vcc_lo, 46, v7
	s_or_b32 s5, vcc_lo, s5
	s_waitcnt vmcnt(2) lgkmcnt(0)
	v_mul_f64 v[122:123], v[116:117], v[118:119]
	v_mul_f64 v[118:119], v[114:115], v[118:119]
	s_waitcnt vmcnt(0)
	v_fma_f64 v[114:115], v[114:115], v[120:121], -v[122:123]
	v_fma_f64 v[116:117], v[116:117], v[120:121], v[118:119]
	v_add_f64 v[3:4], v[3:4], v[114:115]
	v_add_f64 v[1:2], v[1:2], v[116:117]
	s_andn2_b32 exec_lo, exec_lo, s5
	s_cbranch_execnz .LBB114_205
; %bb.206:
	s_or_b32 exec_lo, exec_lo, s5
	v_mov_b32_e32 v7, 0
	ds_read_b128 v[114:117], v7 offset:768
	s_waitcnt lgkmcnt(0)
	v_mul_f64 v[7:8], v[1:2], v[116:117]
	v_mul_f64 v[111:112], v[3:4], v[116:117]
	v_fma_f64 v[3:4], v[3:4], v[114:115], -v[7:8]
	v_fma_f64 v[1:2], v[1:2], v[114:115], v[111:112]
	buffer_store_dword v4, off, s[0:3], 0 offset:788
	buffer_store_dword v3, off, s[0:3], 0 offset:784
	;; [unrolled: 1-line block ×4, first 2 shown]
.LBB114_207:
	s_or_b32 exec_lo, exec_lo, s4
	v_mov_b32_e32 v4, s9
	s_waitcnt_vscnt null, 0x0
	s_barrier
	buffer_gl0_inv
	s_mov_b32 s4, exec_lo
	s_clause 0x3
	buffer_load_dword v1, v4, s[0:3], 0 offen
	buffer_load_dword v2, v4, s[0:3], 0 offen offset:4
	buffer_load_dword v3, v4, s[0:3], 0 offen offset:8
	;; [unrolled: 1-line block ×3, first 2 shown]
	s_waitcnt vmcnt(0)
	ds_write_b128 v5, v[1:4]
	s_waitcnt lgkmcnt(0)
	s_barrier
	buffer_gl0_inv
	v_cmpx_gt_u32_e32 49, v0
	s_cbranch_execz .LBB114_211
; %bb.208:
	v_mov_b32_e32 v1, 0
	v_mov_b32_e32 v3, 0
	v_add_nc_u32_e32 v7, -1, v0
	v_add_nc_u32_e32 v8, 0x330, v113
	v_mov_b32_e32 v2, 0
	v_mov_b32_e32 v4, 0
	v_add_nc_u32_e32 v111, 16, v113
	s_mov_b32 s5, 0
	.p2align	6
.LBB114_209:                            ; =>This Inner Loop Header: Depth=1
	s_clause 0x3
	buffer_load_dword v118, v111, s[0:3], 0 offen offset:8
	buffer_load_dword v119, v111, s[0:3], 0 offen offset:12
	buffer_load_dword v120, v111, s[0:3], 0 offen
	buffer_load_dword v121, v111, s[0:3], 0 offen offset:4
	ds_read_b128 v[114:117], v8
	v_add_nc_u32_e32 v7, 1, v7
	v_add_nc_u32_e32 v8, 16, v8
	;; [unrolled: 1-line block ×3, first 2 shown]
	v_cmp_lt_u32_e32 vcc_lo, 47, v7
	s_or_b32 s5, vcc_lo, s5
	s_waitcnt vmcnt(2) lgkmcnt(0)
	v_mul_f64 v[122:123], v[116:117], v[118:119]
	v_mul_f64 v[118:119], v[114:115], v[118:119]
	s_waitcnt vmcnt(0)
	v_fma_f64 v[114:115], v[114:115], v[120:121], -v[122:123]
	v_fma_f64 v[116:117], v[116:117], v[120:121], v[118:119]
	v_add_f64 v[3:4], v[3:4], v[114:115]
	v_add_f64 v[1:2], v[1:2], v[116:117]
	s_andn2_b32 exec_lo, exec_lo, s5
	s_cbranch_execnz .LBB114_209
; %bb.210:
	s_or_b32 exec_lo, exec_lo, s5
	v_mov_b32_e32 v7, 0
	ds_read_b128 v[114:117], v7 offset:784
	s_waitcnt lgkmcnt(0)
	v_mul_f64 v[7:8], v[1:2], v[116:117]
	v_mul_f64 v[111:112], v[3:4], v[116:117]
	v_fma_f64 v[3:4], v[3:4], v[114:115], -v[7:8]
	v_fma_f64 v[1:2], v[1:2], v[114:115], v[111:112]
	buffer_store_dword v4, off, s[0:3], 0 offset:804
	buffer_store_dword v3, off, s[0:3], 0 offset:800
	;; [unrolled: 1-line block ×4, first 2 shown]
.LBB114_211:
	s_or_b32 exec_lo, exec_lo, s4
	v_mov_b32_e32 v4, s8
	s_waitcnt_vscnt null, 0x0
	s_barrier
	buffer_gl0_inv
	s_mov_b32 s4, exec_lo
	s_clause 0x3
	buffer_load_dword v1, v4, s[0:3], 0 offen
	buffer_load_dword v2, v4, s[0:3], 0 offen offset:4
	buffer_load_dword v3, v4, s[0:3], 0 offen offset:8
	;; [unrolled: 1-line block ×3, first 2 shown]
	s_waitcnt vmcnt(0)
	ds_write_b128 v5, v[1:4]
	s_waitcnt lgkmcnt(0)
	s_barrier
	buffer_gl0_inv
	v_cmpx_ne_u32_e32 50, v0
	s_cbranch_execz .LBB114_215
; %bb.212:
	v_mov_b32_e32 v1, 0
	v_mov_b32_e32 v3, 0
	;; [unrolled: 1-line block ×4, first 2 shown]
	v_add_nc_u32_e32 v7, 16, v113
	s_mov_b32 s5, 0
	.p2align	6
.LBB114_213:                            ; =>This Inner Loop Header: Depth=1
	s_clause 0x3
	buffer_load_dword v115, v7, s[0:3], 0 offen offset:8
	buffer_load_dword v116, v7, s[0:3], 0 offen offset:12
	buffer_load_dword v117, v7, s[0:3], 0 offen
	buffer_load_dword v118, v7, s[0:3], 0 offen offset:4
	ds_read_b128 v[111:114], v5
	v_add_nc_u32_e32 v6, 1, v6
	v_add_nc_u32_e32 v5, 16, v5
	;; [unrolled: 1-line block ×3, first 2 shown]
	v_cmp_lt_u32_e32 vcc_lo, 48, v6
	s_or_b32 s5, vcc_lo, s5
	s_waitcnt vmcnt(2) lgkmcnt(0)
	v_mul_f64 v[119:120], v[113:114], v[115:116]
	v_mul_f64 v[115:116], v[111:112], v[115:116]
	s_waitcnt vmcnt(0)
	v_fma_f64 v[111:112], v[111:112], v[117:118], -v[119:120]
	v_fma_f64 v[113:114], v[113:114], v[117:118], v[115:116]
	v_add_f64 v[3:4], v[3:4], v[111:112]
	v_add_f64 v[1:2], v[1:2], v[113:114]
	s_andn2_b32 exec_lo, exec_lo, s5
	s_cbranch_execnz .LBB114_213
; %bb.214:
	s_or_b32 exec_lo, exec_lo, s5
	v_mov_b32_e32 v5, 0
	ds_read_b128 v[5:8], v5 offset:800
	s_waitcnt lgkmcnt(0)
	v_mul_f64 v[111:112], v[1:2], v[7:8]
	v_mul_f64 v[7:8], v[3:4], v[7:8]
	v_fma_f64 v[3:4], v[3:4], v[5:6], -v[111:112]
	v_fma_f64 v[1:2], v[1:2], v[5:6], v[7:8]
	buffer_store_dword v4, off, s[0:3], 0 offset:820
	buffer_store_dword v3, off, s[0:3], 0 offset:816
	;; [unrolled: 1-line block ×4, first 2 shown]
.LBB114_215:
	s_or_b32 exec_lo, exec_lo, s4
	s_mov_b32 s5, -1
	s_waitcnt_vscnt null, 0x0
	s_barrier
	buffer_gl0_inv
.LBB114_216:
	s_and_b32 vcc_lo, exec_lo, s5
	s_cbranch_vccz .LBB114_218
; %bb.217:
	s_lshl_b64 s[4:5], s[6:7], 2
	v_mov_b32_e32 v1, 0
	s_add_u32 s4, s10, s4
	s_addc_u32 s5, s11, s5
	global_load_dword v1, v1, s[4:5]
	s_waitcnt vmcnt(0)
	v_cmp_ne_u32_e32 vcc_lo, 0, v1
	s_cbranch_vccz .LBB114_219
.LBB114_218:
	s_endpgm
.LBB114_219:
	v_lshl_add_u32 v171, v0, 4, 0x330
	s_mov_b32 s4, exec_lo
	v_cmpx_eq_u32_e32 50, v0
	s_cbranch_execz .LBB114_221
; %bb.220:
	v_mov_b32_e32 v4, s9
	v_mov_b32_e32 v5, 0
	s_clause 0x3
	buffer_load_dword v1, v4, s[0:3], 0 offen
	buffer_load_dword v2, v4, s[0:3], 0 offen offset:4
	buffer_load_dword v3, v4, s[0:3], 0 offen offset:8
	;; [unrolled: 1-line block ×3, first 2 shown]
	buffer_store_dword v5, off, s[0:3], 0 offset:800
	buffer_store_dword v5, off, s[0:3], 0 offset:804
	;; [unrolled: 1-line block ×4, first 2 shown]
	s_waitcnt vmcnt(0)
	ds_write_b128 v171, v[1:4]
.LBB114_221:
	s_or_b32 exec_lo, exec_lo, s4
	s_waitcnt lgkmcnt(0)
	s_waitcnt_vscnt null, 0x0
	s_barrier
	buffer_gl0_inv
	s_clause 0x7
	buffer_load_dword v6, off, s[0:3], 0 offset:824
	buffer_load_dword v7, off, s[0:3], 0 offset:828
	;; [unrolled: 1-line block ×8, first 2 shown]
	v_mov_b32_e32 v1, 0
	s_mov_b32 s4, exec_lo
	ds_read_b128 v[2:5], v1 offset:1616
	s_waitcnt vmcnt(6) lgkmcnt(0)
	v_mul_f64 v[117:118], v[4:5], v[6:7]
	v_mul_f64 v[6:7], v[2:3], v[6:7]
	s_waitcnt vmcnt(4)
	v_fma_f64 v[2:3], v[2:3], v[111:112], -v[117:118]
	v_fma_f64 v[4:5], v[4:5], v[111:112], v[6:7]
	v_add_f64 v[2:3], v[2:3], 0
	v_add_f64 v[4:5], v[4:5], 0
	s_waitcnt vmcnt(2)
	v_add_f64 v[2:3], v[113:114], -v[2:3]
	s_waitcnt vmcnt(0)
	v_add_f64 v[4:5], v[115:116], -v[4:5]
	buffer_store_dword v2, off, s[0:3], 0 offset:800
	buffer_store_dword v3, off, s[0:3], 0 offset:804
	;; [unrolled: 1-line block ×4, first 2 shown]
	v_cmpx_lt_u32_e32 48, v0
	s_cbranch_execz .LBB114_223
; %bb.222:
	v_mov_b32_e32 v5, s14
	s_clause 0x3
	buffer_load_dword v2, v5, s[0:3], 0 offen
	buffer_load_dword v3, v5, s[0:3], 0 offen offset:4
	buffer_load_dword v4, v5, s[0:3], 0 offen offset:8
	;; [unrolled: 1-line block ×3, first 2 shown]
	buffer_store_dword v1, off, s[0:3], 0 offset:784
	buffer_store_dword v1, off, s[0:3], 0 offset:788
	;; [unrolled: 1-line block ×4, first 2 shown]
	s_waitcnt vmcnt(0)
	ds_write_b128 v171, v[2:5]
.LBB114_223:
	s_or_b32 exec_lo, exec_lo, s4
	s_waitcnt lgkmcnt(0)
	s_waitcnt_vscnt null, 0x0
	s_barrier
	buffer_gl0_inv
	s_clause 0xb
	buffer_load_dword v6, off, s[0:3], 0 offset:808
	buffer_load_dword v7, off, s[0:3], 0 offset:812
	;; [unrolled: 1-line block ×12, first 2 shown]
	ds_read_b128 v[2:5], v1 offset:1600
	ds_read_b128 v[111:114], v1 offset:1616
	s_mov_b32 s4, exec_lo
	s_waitcnt vmcnt(10) lgkmcnt(1)
	v_mul_f64 v[125:126], v[4:5], v[6:7]
	v_mul_f64 v[6:7], v[2:3], v[6:7]
	s_waitcnt vmcnt(8) lgkmcnt(0)
	v_mul_f64 v[127:128], v[113:114], v[115:116]
	v_mul_f64 v[115:116], v[111:112], v[115:116]
	s_waitcnt vmcnt(6)
	v_fma_f64 v[1:2], v[2:3], v[117:118], -v[125:126]
	v_fma_f64 v[3:4], v[4:5], v[117:118], v[6:7]
	s_waitcnt vmcnt(4)
	v_fma_f64 v[5:6], v[111:112], v[119:120], -v[127:128]
	v_fma_f64 v[7:8], v[113:114], v[119:120], v[115:116]
	v_add_f64 v[1:2], v[1:2], 0
	v_add_f64 v[3:4], v[3:4], 0
	;; [unrolled: 1-line block ×4, first 2 shown]
	s_waitcnt vmcnt(2)
	v_add_f64 v[1:2], v[121:122], -v[1:2]
	s_waitcnt vmcnt(0)
	v_add_f64 v[3:4], v[123:124], -v[3:4]
	buffer_store_dword v1, off, s[0:3], 0 offset:784
	buffer_store_dword v2, off, s[0:3], 0 offset:788
	;; [unrolled: 1-line block ×4, first 2 shown]
	v_cmpx_lt_u32_e32 47, v0
	s_cbranch_execz .LBB114_225
; %bb.224:
	v_mov_b32_e32 v4, s15
	v_mov_b32_e32 v5, 0
	s_clause 0x3
	buffer_load_dword v1, v4, s[0:3], 0 offen
	buffer_load_dword v2, v4, s[0:3], 0 offen offset:4
	buffer_load_dword v3, v4, s[0:3], 0 offen offset:8
	;; [unrolled: 1-line block ×3, first 2 shown]
	buffer_store_dword v5, off, s[0:3], 0 offset:768
	buffer_store_dword v5, off, s[0:3], 0 offset:772
	;; [unrolled: 1-line block ×4, first 2 shown]
	s_waitcnt vmcnt(0)
	ds_write_b128 v171, v[1:4]
.LBB114_225:
	s_or_b32 exec_lo, exec_lo, s4
	s_waitcnt lgkmcnt(0)
	s_waitcnt_vscnt null, 0x0
	s_barrier
	buffer_gl0_inv
	s_clause 0xf
	buffer_load_dword v6, off, s[0:3], 0 offset:792
	buffer_load_dword v7, off, s[0:3], 0 offset:796
	buffer_load_dword v119, off, s[0:3], 0 offset:808
	buffer_load_dword v120, off, s[0:3], 0 offset:812
	buffer_load_dword v121, off, s[0:3], 0 offset:784
	buffer_load_dword v122, off, s[0:3], 0 offset:788
	buffer_load_dword v123, off, s[0:3], 0 offset:824
	buffer_load_dword v124, off, s[0:3], 0 offset:828
	buffer_load_dword v125, off, s[0:3], 0 offset:800
	buffer_load_dword v126, off, s[0:3], 0 offset:804
	buffer_load_dword v127, off, s[0:3], 0 offset:816
	buffer_load_dword v128, off, s[0:3], 0 offset:820
	buffer_load_dword v129, off, s[0:3], 0 offset:768
	buffer_load_dword v130, off, s[0:3], 0 offset:772
	buffer_load_dword v131, off, s[0:3], 0 offset:776
	buffer_load_dword v132, off, s[0:3], 0 offset:780
	v_mov_b32_e32 v1, 0
	ds_read_b128 v[2:5], v1 offset:1584
	ds_read_b128 v[111:114], v1 offset:1600
	;; [unrolled: 1-line block ×3, first 2 shown]
	s_mov_b32 s4, exec_lo
	s_waitcnt vmcnt(14) lgkmcnt(2)
	v_mul_f64 v[133:134], v[4:5], v[6:7]
	v_mul_f64 v[6:7], v[2:3], v[6:7]
	s_waitcnt vmcnt(12) lgkmcnt(1)
	v_mul_f64 v[135:136], v[113:114], v[119:120]
	v_mul_f64 v[119:120], v[111:112], v[119:120]
	s_waitcnt vmcnt(10)
	v_fma_f64 v[2:3], v[2:3], v[121:122], -v[133:134]
	v_fma_f64 v[4:5], v[4:5], v[121:122], v[6:7]
	s_waitcnt vmcnt(8) lgkmcnt(0)
	v_mul_f64 v[121:122], v[117:118], v[123:124]
	s_waitcnt vmcnt(6)
	v_fma_f64 v[111:112], v[111:112], v[125:126], -v[135:136]
	v_mul_f64 v[6:7], v[115:116], v[123:124]
	v_fma_f64 v[113:114], v[113:114], v[125:126], v[119:120]
	v_add_f64 v[2:3], v[2:3], 0
	v_add_f64 v[4:5], v[4:5], 0
	s_waitcnt vmcnt(4)
	v_fma_f64 v[115:116], v[115:116], v[127:128], -v[121:122]
	v_fma_f64 v[6:7], v[117:118], v[127:128], v[6:7]
	v_add_f64 v[2:3], v[2:3], v[111:112]
	v_add_f64 v[4:5], v[4:5], v[113:114]
	;; [unrolled: 1-line block ×4, first 2 shown]
	s_waitcnt vmcnt(2)
	v_add_f64 v[2:3], v[129:130], -v[2:3]
	s_waitcnt vmcnt(0)
	v_add_f64 v[4:5], v[131:132], -v[4:5]
	buffer_store_dword v2, off, s[0:3], 0 offset:768
	buffer_store_dword v3, off, s[0:3], 0 offset:772
	;; [unrolled: 1-line block ×4, first 2 shown]
	v_cmpx_lt_u32_e32 46, v0
	s_cbranch_execz .LBB114_227
; %bb.226:
	v_mov_b32_e32 v5, s16
	s_clause 0x3
	buffer_load_dword v2, v5, s[0:3], 0 offen
	buffer_load_dword v3, v5, s[0:3], 0 offen offset:4
	buffer_load_dword v4, v5, s[0:3], 0 offen offset:8
	;; [unrolled: 1-line block ×3, first 2 shown]
	buffer_store_dword v1, off, s[0:3], 0 offset:752
	buffer_store_dword v1, off, s[0:3], 0 offset:756
	;; [unrolled: 1-line block ×4, first 2 shown]
	s_waitcnt vmcnt(0)
	ds_write_b128 v171, v[2:5]
.LBB114_227:
	s_or_b32 exec_lo, exec_lo, s4
	s_waitcnt lgkmcnt(0)
	s_waitcnt_vscnt null, 0x0
	s_barrier
	buffer_gl0_inv
	s_clause 0x13
	buffer_load_dword v6, off, s[0:3], 0 offset:776
	buffer_load_dword v7, off, s[0:3], 0 offset:780
	;; [unrolled: 1-line block ×20, first 2 shown]
	ds_read_b128 v[2:5], v1 offset:1568
	ds_read_b128 v[111:114], v1 offset:1584
	;; [unrolled: 1-line block ×3, first 2 shown]
	s_mov_b32 s4, exec_lo
	s_waitcnt vmcnt(18) lgkmcnt(2)
	v_mul_f64 v[137:138], v[4:5], v[6:7]
	v_mul_f64 v[6:7], v[2:3], v[6:7]
	s_waitcnt vmcnt(16) lgkmcnt(1)
	v_mul_f64 v[139:140], v[113:114], v[119:120]
	v_mul_f64 v[119:120], v[111:112], v[119:120]
	s_waitcnt vmcnt(14)
	v_fma_f64 v[137:138], v[2:3], v[121:122], -v[137:138]
	v_fma_f64 v[5:6], v[4:5], v[121:122], v[6:7]
	s_waitcnt vmcnt(12) lgkmcnt(0)
	v_mul_f64 v[7:8], v[115:116], v[123:124]
	v_mul_f64 v[121:122], v[117:118], v[123:124]
	s_waitcnt vmcnt(10)
	v_fma_f64 v[111:112], v[111:112], v[125:126], -v[139:140]
	ds_read_b128 v[1:4], v1 offset:1616
	v_fma_f64 v[113:114], v[113:114], v[125:126], v[119:120]
	v_add_f64 v[123:124], v[137:138], 0
	v_add_f64 v[5:6], v[5:6], 0
	s_waitcnt vmcnt(6)
	v_fma_f64 v[7:8], v[117:118], v[129:130], v[7:8]
	s_waitcnt lgkmcnt(0)
	v_mul_f64 v[125:126], v[3:4], v[127:128]
	v_fma_f64 v[115:116], v[115:116], v[129:130], -v[121:122]
	v_mul_f64 v[119:120], v[1:2], v[127:128]
	v_add_f64 v[111:112], v[123:124], v[111:112]
	v_add_f64 v[5:6], v[5:6], v[113:114]
	s_waitcnt vmcnt(4)
	v_fma_f64 v[1:2], v[1:2], v[131:132], -v[125:126]
	v_fma_f64 v[3:4], v[3:4], v[131:132], v[119:120]
	v_add_f64 v[111:112], v[111:112], v[115:116]
	v_add_f64 v[5:6], v[5:6], v[7:8]
	;; [unrolled: 1-line block ×4, first 2 shown]
	s_waitcnt vmcnt(2)
	v_add_f64 v[1:2], v[133:134], -v[1:2]
	s_waitcnt vmcnt(0)
	v_add_f64 v[3:4], v[135:136], -v[3:4]
	buffer_store_dword v1, off, s[0:3], 0 offset:752
	buffer_store_dword v2, off, s[0:3], 0 offset:756
	;; [unrolled: 1-line block ×4, first 2 shown]
	v_cmpx_lt_u32_e32 45, v0
	s_cbranch_execz .LBB114_229
; %bb.228:
	v_mov_b32_e32 v4, s17
	v_mov_b32_e32 v5, 0
	s_clause 0x3
	buffer_load_dword v1, v4, s[0:3], 0 offen
	buffer_load_dword v2, v4, s[0:3], 0 offen offset:4
	buffer_load_dword v3, v4, s[0:3], 0 offen offset:8
	;; [unrolled: 1-line block ×3, first 2 shown]
	buffer_store_dword v5, off, s[0:3], 0 offset:736
	buffer_store_dword v5, off, s[0:3], 0 offset:740
	;; [unrolled: 1-line block ×4, first 2 shown]
	s_waitcnt vmcnt(0)
	ds_write_b128 v171, v[1:4]
.LBB114_229:
	s_or_b32 exec_lo, exec_lo, s4
	s_waitcnt lgkmcnt(0)
	s_waitcnt_vscnt null, 0x0
	s_barrier
	buffer_gl0_inv
	s_clause 0x17
	buffer_load_dword v6, off, s[0:3], 0 offset:760
	buffer_load_dword v7, off, s[0:3], 0 offset:764
	;; [unrolled: 1-line block ×24, first 2 shown]
	v_mov_b32_e32 v1, 0
	ds_read_b128 v[2:5], v1 offset:1552
	ds_read_b128 v[111:114], v1 offset:1568
	;; [unrolled: 1-line block ×3, first 2 shown]
	s_mov_b32 s4, exec_lo
	s_waitcnt vmcnt(22) lgkmcnt(2)
	v_mul_f64 v[141:142], v[4:5], v[6:7]
	v_mul_f64 v[6:7], v[2:3], v[6:7]
	s_waitcnt vmcnt(20) lgkmcnt(1)
	v_mul_f64 v[143:144], v[113:114], v[119:120]
	v_mul_f64 v[119:120], v[111:112], v[119:120]
	s_waitcnt vmcnt(18)
	v_fma_f64 v[141:142], v[2:3], v[121:122], -v[141:142]
	v_fma_f64 v[6:7], v[4:5], v[121:122], v[6:7]
	ds_read_b128 v[2:5], v1 offset:1600
	s_waitcnt vmcnt(16) lgkmcnt(1)
	v_mul_f64 v[121:122], v[115:116], v[123:124]
	v_mul_f64 v[123:124], v[117:118], v[123:124]
	s_waitcnt vmcnt(14)
	v_fma_f64 v[143:144], v[111:112], v[125:126], -v[143:144]
	v_fma_f64 v[119:120], v[113:114], v[125:126], v[119:120]
	ds_read_b128 v[111:114], v1 offset:1616
	s_waitcnt vmcnt(10) lgkmcnt(1)
	v_mul_f64 v[125:126], v[2:3], v[127:128]
	v_add_f64 v[141:142], v[141:142], 0
	v_add_f64 v[6:7], v[6:7], 0
	v_mul_f64 v[127:128], v[4:5], v[127:128]
	s_waitcnt vmcnt(8)
	v_fma_f64 v[115:116], v[115:116], v[133:134], -v[123:124]
	v_fma_f64 v[117:118], v[117:118], v[133:134], v[121:122]
	s_waitcnt vmcnt(7) lgkmcnt(0)
	v_mul_f64 v[121:122], v[113:114], v[129:130]
	s_waitcnt vmcnt(5)
	v_fma_f64 v[4:5], v[4:5], v[135:136], v[125:126]
	v_add_f64 v[123:124], v[141:142], v[143:144]
	v_add_f64 v[6:7], v[6:7], v[119:120]
	v_fma_f64 v[2:3], v[2:3], v[135:136], -v[127:128]
	v_mul_f64 v[119:120], v[111:112], v[129:130]
	s_waitcnt vmcnt(4)
	v_fma_f64 v[111:112], v[111:112], v[131:132], -v[121:122]
	v_add_f64 v[115:116], v[123:124], v[115:116]
	v_add_f64 v[6:7], v[6:7], v[117:118]
	v_fma_f64 v[113:114], v[113:114], v[131:132], v[119:120]
	v_add_f64 v[2:3], v[115:116], v[2:3]
	v_add_f64 v[4:5], v[6:7], v[4:5]
	;; [unrolled: 1-line block ×4, first 2 shown]
	s_waitcnt vmcnt(2)
	v_add_f64 v[2:3], v[137:138], -v[2:3]
	s_waitcnt vmcnt(0)
	v_add_f64 v[4:5], v[139:140], -v[4:5]
	buffer_store_dword v3, off, s[0:3], 0 offset:740
	buffer_store_dword v2, off, s[0:3], 0 offset:736
	;; [unrolled: 1-line block ×4, first 2 shown]
	v_cmpx_lt_u32_e32 44, v0
	s_cbranch_execz .LBB114_231
; %bb.230:
	v_mov_b32_e32 v5, s18
	s_clause 0x3
	buffer_load_dword v2, v5, s[0:3], 0 offen
	buffer_load_dword v3, v5, s[0:3], 0 offen offset:4
	buffer_load_dword v4, v5, s[0:3], 0 offen offset:8
	;; [unrolled: 1-line block ×3, first 2 shown]
	buffer_store_dword v1, off, s[0:3], 0 offset:720
	buffer_store_dword v1, off, s[0:3], 0 offset:724
	;; [unrolled: 1-line block ×4, first 2 shown]
	s_waitcnt vmcnt(0)
	ds_write_b128 v171, v[2:5]
.LBB114_231:
	s_or_b32 exec_lo, exec_lo, s4
	s_waitcnt lgkmcnt(0)
	s_waitcnt_vscnt null, 0x0
	s_barrier
	buffer_gl0_inv
	s_clause 0x1b
	buffer_load_dword v6, off, s[0:3], 0 offset:744
	buffer_load_dword v7, off, s[0:3], 0 offset:748
	;; [unrolled: 1-line block ×28, first 2 shown]
	ds_read_b128 v[2:5], v1 offset:1536
	ds_read_b128 v[111:114], v1 offset:1552
	;; [unrolled: 1-line block ×3, first 2 shown]
	s_mov_b32 s4, exec_lo
	s_waitcnt vmcnt(26) lgkmcnt(2)
	v_mul_f64 v[145:146], v[4:5], v[6:7]
	v_mul_f64 v[6:7], v[2:3], v[6:7]
	s_waitcnt vmcnt(24) lgkmcnt(1)
	v_mul_f64 v[147:148], v[113:114], v[119:120]
	v_mul_f64 v[119:120], v[111:112], v[119:120]
	s_waitcnt vmcnt(22)
	v_fma_f64 v[145:146], v[2:3], v[121:122], -v[145:146]
	v_fma_f64 v[6:7], v[4:5], v[121:122], v[6:7]
	ds_read_b128 v[2:5], v1 offset:1584
	s_waitcnt vmcnt(20) lgkmcnt(1)
	v_mul_f64 v[121:122], v[115:116], v[123:124]
	v_mul_f64 v[123:124], v[117:118], v[123:124]
	s_waitcnt vmcnt(18)
	v_fma_f64 v[147:148], v[111:112], v[125:126], -v[147:148]
	v_fma_f64 v[119:120], v[113:114], v[125:126], v[119:120]
	ds_read_b128 v[111:114], v1 offset:1600
	s_waitcnt vmcnt(14) lgkmcnt(1)
	v_mul_f64 v[125:126], v[2:3], v[127:128]
	v_add_f64 v[145:146], v[145:146], 0
	v_add_f64 v[6:7], v[6:7], 0
	v_mul_f64 v[127:128], v[4:5], v[127:128]
	s_waitcnt vmcnt(12)
	v_fma_f64 v[123:124], v[115:116], v[133:134], -v[123:124]
	v_fma_f64 v[121:122], v[117:118], v[133:134], v[121:122]
	ds_read_b128 v[115:118], v1 offset:1616
	v_add_f64 v[145:146], v[145:146], v[147:148]
	v_add_f64 v[6:7], v[6:7], v[119:120]
	s_waitcnt vmcnt(11) lgkmcnt(1)
	v_mul_f64 v[119:120], v[111:112], v[129:130]
	v_mul_f64 v[129:130], v[113:114], v[129:130]
	s_waitcnt vmcnt(9)
	v_fma_f64 v[1:2], v[2:3], v[135:136], -v[127:128]
	v_fma_f64 v[3:4], v[4:5], v[135:136], v[125:126]
	v_add_f64 v[123:124], v[145:146], v[123:124]
	v_add_f64 v[5:6], v[6:7], v[121:122]
	s_waitcnt vmcnt(7) lgkmcnt(0)
	v_mul_f64 v[121:122], v[117:118], v[137:138]
	s_waitcnt vmcnt(6)
	v_fma_f64 v[111:112], v[111:112], v[131:132], -v[129:130]
	v_mul_f64 v[7:8], v[115:116], v[137:138]
	v_fma_f64 v[113:114], v[113:114], v[131:132], v[119:120]
	v_add_f64 v[1:2], v[123:124], v[1:2]
	v_add_f64 v[3:4], v[5:6], v[3:4]
	s_waitcnt vmcnt(4)
	v_fma_f64 v[5:6], v[115:116], v[139:140], -v[121:122]
	v_fma_f64 v[7:8], v[117:118], v[139:140], v[7:8]
	v_add_f64 v[1:2], v[1:2], v[111:112]
	v_add_f64 v[3:4], v[3:4], v[113:114]
	;; [unrolled: 1-line block ×4, first 2 shown]
	s_waitcnt vmcnt(2)
	v_add_f64 v[1:2], v[141:142], -v[1:2]
	s_waitcnt vmcnt(0)
	v_add_f64 v[3:4], v[143:144], -v[3:4]
	buffer_store_dword v2, off, s[0:3], 0 offset:724
	buffer_store_dword v1, off, s[0:3], 0 offset:720
	;; [unrolled: 1-line block ×4, first 2 shown]
	v_cmpx_lt_u32_e32 43, v0
	s_cbranch_execz .LBB114_233
; %bb.232:
	v_mov_b32_e32 v4, s19
	v_mov_b32_e32 v5, 0
	s_clause 0x3
	buffer_load_dword v1, v4, s[0:3], 0 offen
	buffer_load_dword v2, v4, s[0:3], 0 offen offset:4
	buffer_load_dword v3, v4, s[0:3], 0 offen offset:8
	;; [unrolled: 1-line block ×3, first 2 shown]
	buffer_store_dword v5, off, s[0:3], 0 offset:704
	buffer_store_dword v5, off, s[0:3], 0 offset:708
	;; [unrolled: 1-line block ×4, first 2 shown]
	s_waitcnt vmcnt(0)
	ds_write_b128 v171, v[1:4]
.LBB114_233:
	s_or_b32 exec_lo, exec_lo, s4
	s_waitcnt lgkmcnt(0)
	s_waitcnt_vscnt null, 0x0
	s_barrier
	buffer_gl0_inv
	s_clause 0x1f
	buffer_load_dword v6, off, s[0:3], 0 offset:728
	buffer_load_dword v7, off, s[0:3], 0 offset:732
	;; [unrolled: 1-line block ×32, first 2 shown]
	v_mov_b32_e32 v1, 0
	ds_read_b128 v[2:5], v1 offset:1520
	ds_read_b128 v[111:114], v1 offset:1536
	ds_read_b128 v[115:118], v1 offset:1552
	s_mov_b32 s4, exec_lo
	s_waitcnt vmcnt(30) lgkmcnt(2)
	v_mul_f64 v[149:150], v[4:5], v[6:7]
	v_mul_f64 v[6:7], v[2:3], v[6:7]
	s_waitcnt vmcnt(28) lgkmcnt(1)
	v_mul_f64 v[151:152], v[113:114], v[119:120]
	v_mul_f64 v[119:120], v[111:112], v[119:120]
	s_waitcnt vmcnt(26)
	v_fma_f64 v[149:150], v[2:3], v[121:122], -v[149:150]
	v_fma_f64 v[6:7], v[4:5], v[121:122], v[6:7]
	ds_read_b128 v[2:5], v1 offset:1568
	s_waitcnt vmcnt(24) lgkmcnt(1)
	v_mul_f64 v[121:122], v[115:116], v[123:124]
	v_mul_f64 v[123:124], v[117:118], v[123:124]
	s_waitcnt vmcnt(22)
	v_fma_f64 v[151:152], v[111:112], v[125:126], -v[151:152]
	v_fma_f64 v[119:120], v[113:114], v[125:126], v[119:120]
	ds_read_b128 v[111:114], v1 offset:1584
	s_waitcnt vmcnt(18) lgkmcnt(1)
	v_mul_f64 v[125:126], v[2:3], v[127:128]
	v_add_f64 v[149:150], v[149:150], 0
	v_add_f64 v[6:7], v[6:7], 0
	v_mul_f64 v[127:128], v[4:5], v[127:128]
	s_waitcnt vmcnt(16)
	v_fma_f64 v[123:124], v[115:116], v[133:134], -v[123:124]
	v_fma_f64 v[121:122], v[117:118], v[133:134], v[121:122]
	ds_read_b128 v[115:118], v1 offset:1600
	s_waitcnt vmcnt(13)
	v_fma_f64 v[125:126], v[4:5], v[135:136], v[125:126]
	v_add_f64 v[149:150], v[149:150], v[151:152]
	v_add_f64 v[6:7], v[6:7], v[119:120]
	s_waitcnt lgkmcnt(1)
	v_mul_f64 v[119:120], v[111:112], v[129:130]
	v_mul_f64 v[129:130], v[113:114], v[129:130]
	v_fma_f64 v[127:128], v[2:3], v[135:136], -v[127:128]
	s_waitcnt vmcnt(9) lgkmcnt(0)
	v_mul_f64 v[133:134], v[117:118], v[137:138]
	ds_read_b128 v[2:5], v1 offset:1616
	v_add_f64 v[123:124], v[149:150], v[123:124]
	v_add_f64 v[6:7], v[6:7], v[121:122]
	v_mul_f64 v[121:122], v[115:116], v[137:138]
	s_waitcnt vmcnt(8)
	v_fma_f64 v[111:112], v[111:112], v[131:132], -v[129:130]
	v_fma_f64 v[113:114], v[113:114], v[131:132], v[119:120]
	s_waitcnt vmcnt(5)
	v_fma_f64 v[115:116], v[115:116], v[143:144], -v[133:134]
	s_waitcnt lgkmcnt(0)
	v_mul_f64 v[119:120], v[2:3], v[139:140]
	v_add_f64 v[123:124], v[123:124], v[127:128]
	v_add_f64 v[6:7], v[6:7], v[125:126]
	v_mul_f64 v[125:126], v[4:5], v[139:140]
	v_fma_f64 v[117:118], v[117:118], v[143:144], v[121:122]
	s_waitcnt vmcnt(4)
	v_fma_f64 v[4:5], v[4:5], v[141:142], v[119:120]
	v_add_f64 v[111:112], v[123:124], v[111:112]
	v_add_f64 v[6:7], v[6:7], v[113:114]
	v_fma_f64 v[2:3], v[2:3], v[141:142], -v[125:126]
	v_add_f64 v[111:112], v[111:112], v[115:116]
	v_add_f64 v[6:7], v[6:7], v[117:118]
	;; [unrolled: 1-line block ×4, first 2 shown]
	s_waitcnt vmcnt(2)
	v_add_f64 v[2:3], v[145:146], -v[2:3]
	s_waitcnt vmcnt(0)
	v_add_f64 v[4:5], v[147:148], -v[4:5]
	buffer_store_dword v3, off, s[0:3], 0 offset:708
	buffer_store_dword v2, off, s[0:3], 0 offset:704
	;; [unrolled: 1-line block ×4, first 2 shown]
	v_cmpx_lt_u32_e32 42, v0
	s_cbranch_execz .LBB114_235
; %bb.234:
	v_mov_b32_e32 v5, s20
	s_clause 0x3
	buffer_load_dword v2, v5, s[0:3], 0 offen
	buffer_load_dword v3, v5, s[0:3], 0 offen offset:4
	buffer_load_dword v4, v5, s[0:3], 0 offen offset:8
	;; [unrolled: 1-line block ×3, first 2 shown]
	buffer_store_dword v1, off, s[0:3], 0 offset:688
	buffer_store_dword v1, off, s[0:3], 0 offset:692
	;; [unrolled: 1-line block ×4, first 2 shown]
	s_waitcnt vmcnt(0)
	ds_write_b128 v171, v[2:5]
.LBB114_235:
	s_or_b32 exec_lo, exec_lo, s4
	s_waitcnt lgkmcnt(0)
	s_waitcnt_vscnt null, 0x0
	s_barrier
	buffer_gl0_inv
	s_clause 0x23
	buffer_load_dword v6, off, s[0:3], 0 offset:712
	buffer_load_dword v7, off, s[0:3], 0 offset:716
	;; [unrolled: 1-line block ×36, first 2 shown]
	ds_read_b128 v[2:5], v1 offset:1504
	ds_read_b128 v[111:114], v1 offset:1520
	;; [unrolled: 1-line block ×3, first 2 shown]
	s_mov_b32 s4, exec_lo
	s_waitcnt vmcnt(34) lgkmcnt(2)
	v_mul_f64 v[153:154], v[4:5], v[6:7]
	v_mul_f64 v[6:7], v[2:3], v[6:7]
	s_waitcnt vmcnt(32) lgkmcnt(1)
	v_mul_f64 v[155:156], v[113:114], v[119:120]
	v_mul_f64 v[119:120], v[111:112], v[119:120]
	s_waitcnt vmcnt(30)
	v_fma_f64 v[153:154], v[2:3], v[121:122], -v[153:154]
	v_fma_f64 v[6:7], v[4:5], v[121:122], v[6:7]
	ds_read_b128 v[2:5], v1 offset:1552
	s_waitcnt vmcnt(28) lgkmcnt(1)
	v_mul_f64 v[121:122], v[115:116], v[123:124]
	v_mul_f64 v[123:124], v[117:118], v[123:124]
	s_waitcnt vmcnt(26)
	v_fma_f64 v[155:156], v[111:112], v[125:126], -v[155:156]
	v_fma_f64 v[119:120], v[113:114], v[125:126], v[119:120]
	ds_read_b128 v[111:114], v1 offset:1568
	s_waitcnt vmcnt(22) lgkmcnt(1)
	v_mul_f64 v[125:126], v[2:3], v[127:128]
	v_add_f64 v[153:154], v[153:154], 0
	v_add_f64 v[6:7], v[6:7], 0
	v_mul_f64 v[127:128], v[4:5], v[127:128]
	s_waitcnt vmcnt(20)
	v_fma_f64 v[123:124], v[115:116], v[133:134], -v[123:124]
	v_fma_f64 v[121:122], v[117:118], v[133:134], v[121:122]
	ds_read_b128 v[115:118], v1 offset:1584
	s_waitcnt vmcnt(17)
	v_fma_f64 v[125:126], v[4:5], v[135:136], v[125:126]
	v_add_f64 v[153:154], v[153:154], v[155:156]
	v_add_f64 v[6:7], v[6:7], v[119:120]
	s_waitcnt lgkmcnt(1)
	v_mul_f64 v[119:120], v[111:112], v[129:130]
	v_mul_f64 v[129:130], v[113:114], v[129:130]
	v_fma_f64 v[127:128], v[2:3], v[135:136], -v[127:128]
	s_waitcnt vmcnt(13) lgkmcnt(0)
	v_mul_f64 v[133:134], v[117:118], v[137:138]
	ds_read_b128 v[2:5], v1 offset:1600
	v_add_f64 v[123:124], v[153:154], v[123:124]
	v_add_f64 v[6:7], v[6:7], v[121:122]
	v_mul_f64 v[121:122], v[115:116], v[137:138]
	s_waitcnt vmcnt(12)
	v_fma_f64 v[129:130], v[111:112], v[131:132], -v[129:130]
	v_fma_f64 v[119:120], v[113:114], v[131:132], v[119:120]
	ds_read_b128 v[111:114], v1 offset:1616
	s_waitcnt vmcnt(9)
	v_fma_f64 v[115:116], v[115:116], v[143:144], -v[133:134]
	v_add_f64 v[123:124], v[123:124], v[127:128]
	v_add_f64 v[6:7], v[6:7], v[125:126]
	s_waitcnt lgkmcnt(1)
	v_mul_f64 v[127:128], v[4:5], v[139:140]
	v_mul_f64 v[125:126], v[2:3], v[139:140]
	v_fma_f64 v[117:118], v[117:118], v[143:144], v[121:122]
	s_waitcnt vmcnt(7) lgkmcnt(0)
	v_mul_f64 v[121:122], v[113:114], v[145:146]
	v_add_f64 v[123:124], v[123:124], v[129:130]
	v_add_f64 v[6:7], v[6:7], v[119:120]
	s_waitcnt vmcnt(6)
	v_fma_f64 v[1:2], v[2:3], v[141:142], -v[127:128]
	v_mul_f64 v[119:120], v[111:112], v[145:146]
	v_fma_f64 v[3:4], v[4:5], v[141:142], v[125:126]
	v_add_f64 v[115:116], v[123:124], v[115:116]
	v_add_f64 v[5:6], v[6:7], v[117:118]
	s_waitcnt vmcnt(4)
	v_fma_f64 v[7:8], v[111:112], v[147:148], -v[121:122]
	v_fma_f64 v[111:112], v[113:114], v[147:148], v[119:120]
	v_add_f64 v[1:2], v[115:116], v[1:2]
	v_add_f64 v[3:4], v[5:6], v[3:4]
	;; [unrolled: 1-line block ×4, first 2 shown]
	s_waitcnt vmcnt(2)
	v_add_f64 v[1:2], v[149:150], -v[1:2]
	s_waitcnt vmcnt(0)
	v_add_f64 v[3:4], v[151:152], -v[3:4]
	buffer_store_dword v2, off, s[0:3], 0 offset:692
	buffer_store_dword v1, off, s[0:3], 0 offset:688
	;; [unrolled: 1-line block ×4, first 2 shown]
	v_cmpx_lt_u32_e32 41, v0
	s_cbranch_execz .LBB114_237
; %bb.236:
	v_mov_b32_e32 v4, s21
	v_mov_b32_e32 v5, 0
	s_clause 0x3
	buffer_load_dword v1, v4, s[0:3], 0 offen
	buffer_load_dword v2, v4, s[0:3], 0 offen offset:4
	buffer_load_dword v3, v4, s[0:3], 0 offen offset:8
	;; [unrolled: 1-line block ×3, first 2 shown]
	buffer_store_dword v5, off, s[0:3], 0 offset:672
	buffer_store_dword v5, off, s[0:3], 0 offset:676
	;; [unrolled: 1-line block ×4, first 2 shown]
	s_waitcnt vmcnt(0)
	ds_write_b128 v171, v[1:4]
.LBB114_237:
	s_or_b32 exec_lo, exec_lo, s4
	s_waitcnt lgkmcnt(0)
	s_waitcnt_vscnt null, 0x0
	s_barrier
	buffer_gl0_inv
	s_clause 0x27
	buffer_load_dword v6, off, s[0:3], 0 offset:696
	buffer_load_dword v7, off, s[0:3], 0 offset:700
	;; [unrolled: 1-line block ×40, first 2 shown]
	v_mov_b32_e32 v1, 0
	ds_read_b128 v[2:5], v1 offset:1488
	ds_read_b128 v[111:114], v1 offset:1504
	;; [unrolled: 1-line block ×3, first 2 shown]
	s_mov_b32 s4, exec_lo
	s_waitcnt vmcnt(38) lgkmcnt(2)
	v_mul_f64 v[157:158], v[4:5], v[6:7]
	v_mul_f64 v[6:7], v[2:3], v[6:7]
	s_waitcnt vmcnt(36) lgkmcnt(1)
	v_mul_f64 v[159:160], v[113:114], v[119:120]
	v_mul_f64 v[119:120], v[111:112], v[119:120]
	s_waitcnt vmcnt(34)
	v_fma_f64 v[157:158], v[2:3], v[121:122], -v[157:158]
	v_fma_f64 v[6:7], v[4:5], v[121:122], v[6:7]
	ds_read_b128 v[2:5], v1 offset:1536
	s_waitcnt vmcnt(32) lgkmcnt(1)
	v_mul_f64 v[121:122], v[115:116], v[123:124]
	v_mul_f64 v[123:124], v[117:118], v[123:124]
	s_waitcnt vmcnt(30)
	v_fma_f64 v[159:160], v[111:112], v[125:126], -v[159:160]
	v_fma_f64 v[119:120], v[113:114], v[125:126], v[119:120]
	ds_read_b128 v[111:114], v1 offset:1552
	s_waitcnt vmcnt(26) lgkmcnt(1)
	v_mul_f64 v[125:126], v[2:3], v[127:128]
	v_add_f64 v[157:158], v[157:158], 0
	v_add_f64 v[6:7], v[6:7], 0
	v_mul_f64 v[127:128], v[4:5], v[127:128]
	s_waitcnt vmcnt(24)
	v_fma_f64 v[123:124], v[115:116], v[133:134], -v[123:124]
	v_fma_f64 v[121:122], v[117:118], v[133:134], v[121:122]
	ds_read_b128 v[115:118], v1 offset:1568
	s_waitcnt vmcnt(21)
	v_fma_f64 v[125:126], v[4:5], v[135:136], v[125:126]
	v_add_f64 v[157:158], v[157:158], v[159:160]
	v_add_f64 v[6:7], v[6:7], v[119:120]
	s_waitcnt lgkmcnt(1)
	v_mul_f64 v[119:120], v[111:112], v[129:130]
	v_mul_f64 v[129:130], v[113:114], v[129:130]
	v_fma_f64 v[127:128], v[2:3], v[135:136], -v[127:128]
	s_waitcnt vmcnt(17) lgkmcnt(0)
	v_mul_f64 v[133:134], v[117:118], v[137:138]
	ds_read_b128 v[2:5], v1 offset:1584
	v_add_f64 v[123:124], v[157:158], v[123:124]
	v_add_f64 v[6:7], v[6:7], v[121:122]
	v_mul_f64 v[121:122], v[115:116], v[137:138]
	s_waitcnt vmcnt(16)
	v_fma_f64 v[129:130], v[111:112], v[131:132], -v[129:130]
	v_fma_f64 v[119:120], v[113:114], v[131:132], v[119:120]
	ds_read_b128 v[111:114], v1 offset:1600
	s_waitcnt vmcnt(13)
	v_fma_f64 v[131:132], v[115:116], v[143:144], -v[133:134]
	v_add_f64 v[123:124], v[123:124], v[127:128]
	v_add_f64 v[6:7], v[6:7], v[125:126]
	s_waitcnt lgkmcnt(1)
	v_mul_f64 v[127:128], v[4:5], v[139:140]
	v_mul_f64 v[125:126], v[2:3], v[139:140]
	v_fma_f64 v[121:122], v[117:118], v[143:144], v[121:122]
	ds_read_b128 v[115:118], v1 offset:1616
	v_add_f64 v[123:124], v[123:124], v[129:130]
	v_add_f64 v[6:7], v[6:7], v[119:120]
	s_waitcnt vmcnt(9) lgkmcnt(1)
	v_mul_f64 v[129:130], v[113:114], v[145:146]
	s_waitcnt vmcnt(8)
	v_fma_f64 v[2:3], v[2:3], v[141:142], -v[127:128]
	v_mul_f64 v[119:120], v[111:112], v[145:146]
	v_fma_f64 v[4:5], v[4:5], v[141:142], v[125:126]
	s_waitcnt vmcnt(7) lgkmcnt(0)
	v_mul_f64 v[125:126], v[117:118], v[147:148]
	v_add_f64 v[123:124], v[123:124], v[131:132]
	v_add_f64 v[6:7], v[6:7], v[121:122]
	s_waitcnt vmcnt(5)
	v_fma_f64 v[111:112], v[111:112], v[151:152], -v[129:130]
	v_mul_f64 v[121:122], v[115:116], v[147:148]
	v_fma_f64 v[113:114], v[113:114], v[151:152], v[119:120]
	v_add_f64 v[2:3], v[123:124], v[2:3]
	v_add_f64 v[4:5], v[6:7], v[4:5]
	s_waitcnt vmcnt(4)
	v_fma_f64 v[6:7], v[115:116], v[149:150], -v[125:126]
	v_add_f64 v[2:3], v[2:3], v[111:112]
	v_fma_f64 v[111:112], v[117:118], v[149:150], v[121:122]
	v_add_f64 v[4:5], v[4:5], v[113:114]
	v_add_f64 v[2:3], v[2:3], v[6:7]
	;; [unrolled: 1-line block ×3, first 2 shown]
	s_waitcnt vmcnt(2)
	v_add_f64 v[2:3], v[153:154], -v[2:3]
	s_waitcnt vmcnt(0)
	v_add_f64 v[4:5], v[155:156], -v[4:5]
	buffer_store_dword v3, off, s[0:3], 0 offset:676
	buffer_store_dword v2, off, s[0:3], 0 offset:672
	;; [unrolled: 1-line block ×4, first 2 shown]
	v_cmpx_lt_u32_e32 40, v0
	s_cbranch_execz .LBB114_239
; %bb.238:
	v_mov_b32_e32 v5, s22
	s_clause 0x3
	buffer_load_dword v2, v5, s[0:3], 0 offen
	buffer_load_dword v3, v5, s[0:3], 0 offen offset:4
	buffer_load_dword v4, v5, s[0:3], 0 offen offset:8
	buffer_load_dword v5, v5, s[0:3], 0 offen offset:12
	buffer_store_dword v1, off, s[0:3], 0 offset:656
	buffer_store_dword v1, off, s[0:3], 0 offset:660
	;; [unrolled: 1-line block ×4, first 2 shown]
	s_waitcnt vmcnt(0)
	ds_write_b128 v171, v[2:5]
.LBB114_239:
	s_or_b32 exec_lo, exec_lo, s4
	s_waitcnt lgkmcnt(0)
	s_waitcnt_vscnt null, 0x0
	s_barrier
	buffer_gl0_inv
	s_clause 0x2b
	buffer_load_dword v6, off, s[0:3], 0 offset:680
	buffer_load_dword v7, off, s[0:3], 0 offset:684
	;; [unrolled: 1-line block ×44, first 2 shown]
	ds_read_b128 v[2:5], v1 offset:1472
	ds_read_b128 v[111:114], v1 offset:1488
	ds_read_b128 v[115:118], v1 offset:1504
	s_mov_b32 s4, exec_lo
	s_waitcnt vmcnt(42) lgkmcnt(2)
	v_mul_f64 v[161:162], v[4:5], v[6:7]
	v_mul_f64 v[6:7], v[2:3], v[6:7]
	s_waitcnt vmcnt(40) lgkmcnt(1)
	v_mul_f64 v[163:164], v[113:114], v[119:120]
	v_mul_f64 v[119:120], v[111:112], v[119:120]
	s_waitcnt vmcnt(38)
	v_fma_f64 v[161:162], v[2:3], v[121:122], -v[161:162]
	v_fma_f64 v[6:7], v[4:5], v[121:122], v[6:7]
	ds_read_b128 v[2:5], v1 offset:1520
	s_waitcnt vmcnt(36) lgkmcnt(1)
	v_mul_f64 v[121:122], v[115:116], v[123:124]
	v_mul_f64 v[123:124], v[117:118], v[123:124]
	s_waitcnt vmcnt(34)
	v_fma_f64 v[163:164], v[111:112], v[125:126], -v[163:164]
	v_fma_f64 v[119:120], v[113:114], v[125:126], v[119:120]
	ds_read_b128 v[111:114], v1 offset:1536
	s_waitcnt vmcnt(30) lgkmcnt(1)
	v_mul_f64 v[125:126], v[2:3], v[127:128]
	v_add_f64 v[161:162], v[161:162], 0
	v_add_f64 v[6:7], v[6:7], 0
	v_mul_f64 v[127:128], v[4:5], v[127:128]
	s_waitcnt vmcnt(28)
	v_fma_f64 v[123:124], v[115:116], v[133:134], -v[123:124]
	v_fma_f64 v[121:122], v[117:118], v[133:134], v[121:122]
	ds_read_b128 v[115:118], v1 offset:1552
	s_waitcnt vmcnt(25)
	v_fma_f64 v[125:126], v[4:5], v[135:136], v[125:126]
	v_add_f64 v[161:162], v[161:162], v[163:164]
	v_add_f64 v[6:7], v[6:7], v[119:120]
	s_waitcnt lgkmcnt(1)
	v_mul_f64 v[119:120], v[111:112], v[129:130]
	v_mul_f64 v[129:130], v[113:114], v[129:130]
	v_fma_f64 v[127:128], v[2:3], v[135:136], -v[127:128]
	s_waitcnt vmcnt(21) lgkmcnt(0)
	v_mul_f64 v[133:134], v[117:118], v[137:138]
	ds_read_b128 v[2:5], v1 offset:1568
	v_add_f64 v[123:124], v[161:162], v[123:124]
	v_add_f64 v[6:7], v[6:7], v[121:122]
	v_mul_f64 v[121:122], v[115:116], v[137:138]
	s_waitcnt vmcnt(20)
	v_fma_f64 v[129:130], v[111:112], v[131:132], -v[129:130]
	v_fma_f64 v[119:120], v[113:114], v[131:132], v[119:120]
	ds_read_b128 v[111:114], v1 offset:1584
	s_waitcnt vmcnt(17)
	v_fma_f64 v[131:132], v[115:116], v[143:144], -v[133:134]
	v_add_f64 v[123:124], v[123:124], v[127:128]
	v_add_f64 v[6:7], v[6:7], v[125:126]
	s_waitcnt lgkmcnt(1)
	v_mul_f64 v[127:128], v[4:5], v[139:140]
	v_mul_f64 v[125:126], v[2:3], v[139:140]
	v_fma_f64 v[121:122], v[117:118], v[143:144], v[121:122]
	ds_read_b128 v[115:118], v1 offset:1600
	v_add_f64 v[123:124], v[123:124], v[129:130]
	v_add_f64 v[6:7], v[6:7], v[119:120]
	s_waitcnt vmcnt(13) lgkmcnt(1)
	v_mul_f64 v[129:130], v[113:114], v[145:146]
	s_waitcnt vmcnt(12)
	v_fma_f64 v[127:128], v[2:3], v[141:142], -v[127:128]
	v_mul_f64 v[119:120], v[111:112], v[145:146]
	v_fma_f64 v[125:126], v[4:5], v[141:142], v[125:126]
	ds_read_b128 v[1:4], v1 offset:1616
	v_add_f64 v[123:124], v[123:124], v[131:132]
	v_add_f64 v[5:6], v[6:7], v[121:122]
	s_waitcnt vmcnt(11) lgkmcnt(1)
	v_mul_f64 v[121:122], v[117:118], v[147:148]
	s_waitcnt vmcnt(9)
	v_fma_f64 v[111:112], v[111:112], v[151:152], -v[129:130]
	v_mul_f64 v[7:8], v[115:116], v[147:148]
	v_fma_f64 v[113:114], v[113:114], v[151:152], v[119:120]
	s_waitcnt vmcnt(7) lgkmcnt(0)
	v_mul_f64 v[119:120], v[1:2], v[153:154]
	v_add_f64 v[123:124], v[123:124], v[127:128]
	v_add_f64 v[5:6], v[5:6], v[125:126]
	v_mul_f64 v[125:126], v[3:4], v[153:154]
	s_waitcnt vmcnt(6)
	v_fma_f64 v[115:116], v[115:116], v[149:150], -v[121:122]
	v_fma_f64 v[7:8], v[117:118], v[149:150], v[7:8]
	s_waitcnt vmcnt(4)
	v_fma_f64 v[3:4], v[3:4], v[155:156], v[119:120]
	v_add_f64 v[111:112], v[123:124], v[111:112]
	v_add_f64 v[5:6], v[5:6], v[113:114]
	v_fma_f64 v[1:2], v[1:2], v[155:156], -v[125:126]
	v_add_f64 v[111:112], v[111:112], v[115:116]
	v_add_f64 v[5:6], v[5:6], v[7:8]
	;; [unrolled: 1-line block ×4, first 2 shown]
	s_waitcnt vmcnt(2)
	v_add_f64 v[1:2], v[157:158], -v[1:2]
	s_waitcnt vmcnt(0)
	v_add_f64 v[3:4], v[159:160], -v[3:4]
	buffer_store_dword v2, off, s[0:3], 0 offset:660
	buffer_store_dword v1, off, s[0:3], 0 offset:656
	;; [unrolled: 1-line block ×4, first 2 shown]
	v_cmpx_lt_u32_e32 39, v0
	s_cbranch_execz .LBB114_241
; %bb.240:
	v_mov_b32_e32 v4, s23
	v_mov_b32_e32 v5, 0
	s_clause 0x3
	buffer_load_dword v1, v4, s[0:3], 0 offen
	buffer_load_dword v2, v4, s[0:3], 0 offen offset:4
	buffer_load_dword v3, v4, s[0:3], 0 offen offset:8
	;; [unrolled: 1-line block ×3, first 2 shown]
	buffer_store_dword v5, off, s[0:3], 0 offset:640
	buffer_store_dword v5, off, s[0:3], 0 offset:644
	;; [unrolled: 1-line block ×4, first 2 shown]
	s_waitcnt vmcnt(0)
	ds_write_b128 v171, v[1:4]
.LBB114_241:
	s_or_b32 exec_lo, exec_lo, s4
	s_waitcnt lgkmcnt(0)
	s_waitcnt_vscnt null, 0x0
	s_barrier
	buffer_gl0_inv
	s_clause 0x2f
	buffer_load_dword v6, off, s[0:3], 0 offset:664
	buffer_load_dword v7, off, s[0:3], 0 offset:668
	;; [unrolled: 1-line block ×48, first 2 shown]
	v_mov_b32_e32 v1, 0
	ds_read_b128 v[2:5], v1 offset:1456
	ds_read_b128 v[111:114], v1 offset:1472
	;; [unrolled: 1-line block ×3, first 2 shown]
	s_mov_b32 s4, exec_lo
	s_waitcnt vmcnt(46) lgkmcnt(2)
	v_mul_f64 v[165:166], v[4:5], v[6:7]
	v_mul_f64 v[6:7], v[2:3], v[6:7]
	s_waitcnt vmcnt(44) lgkmcnt(1)
	v_mul_f64 v[167:168], v[113:114], v[119:120]
	v_mul_f64 v[119:120], v[111:112], v[119:120]
	s_waitcnt vmcnt(42)
	v_fma_f64 v[165:166], v[2:3], v[121:122], -v[165:166]
	v_fma_f64 v[6:7], v[4:5], v[121:122], v[6:7]
	ds_read_b128 v[2:5], v1 offset:1504
	s_waitcnt vmcnt(40) lgkmcnt(1)
	v_mul_f64 v[121:122], v[115:116], v[123:124]
	v_mul_f64 v[123:124], v[117:118], v[123:124]
	s_waitcnt vmcnt(38)
	v_fma_f64 v[167:168], v[111:112], v[125:126], -v[167:168]
	v_fma_f64 v[119:120], v[113:114], v[125:126], v[119:120]
	ds_read_b128 v[111:114], v1 offset:1520
	s_waitcnt vmcnt(34) lgkmcnt(1)
	v_mul_f64 v[125:126], v[2:3], v[127:128]
	v_add_f64 v[165:166], v[165:166], 0
	v_add_f64 v[6:7], v[6:7], 0
	v_mul_f64 v[127:128], v[4:5], v[127:128]
	s_waitcnt vmcnt(32)
	v_fma_f64 v[123:124], v[115:116], v[133:134], -v[123:124]
	v_fma_f64 v[121:122], v[117:118], v[133:134], v[121:122]
	ds_read_b128 v[115:118], v1 offset:1536
	s_waitcnt vmcnt(29)
	v_fma_f64 v[125:126], v[4:5], v[135:136], v[125:126]
	v_add_f64 v[165:166], v[165:166], v[167:168]
	v_add_f64 v[6:7], v[6:7], v[119:120]
	s_waitcnt lgkmcnt(1)
	v_mul_f64 v[119:120], v[111:112], v[129:130]
	v_mul_f64 v[129:130], v[113:114], v[129:130]
	v_fma_f64 v[127:128], v[2:3], v[135:136], -v[127:128]
	s_waitcnt vmcnt(25) lgkmcnt(0)
	v_mul_f64 v[133:134], v[117:118], v[137:138]
	ds_read_b128 v[2:5], v1 offset:1552
	v_add_f64 v[123:124], v[165:166], v[123:124]
	v_add_f64 v[6:7], v[6:7], v[121:122]
	v_mul_f64 v[121:122], v[115:116], v[137:138]
	s_waitcnt vmcnt(24)
	v_fma_f64 v[129:130], v[111:112], v[131:132], -v[129:130]
	v_fma_f64 v[119:120], v[113:114], v[131:132], v[119:120]
	ds_read_b128 v[111:114], v1 offset:1568
	s_waitcnt vmcnt(21)
	v_fma_f64 v[131:132], v[115:116], v[143:144], -v[133:134]
	v_add_f64 v[123:124], v[123:124], v[127:128]
	v_add_f64 v[6:7], v[6:7], v[125:126]
	s_waitcnt lgkmcnt(1)
	v_mul_f64 v[127:128], v[4:5], v[139:140]
	v_mul_f64 v[125:126], v[2:3], v[139:140]
	v_fma_f64 v[121:122], v[117:118], v[143:144], v[121:122]
	ds_read_b128 v[115:118], v1 offset:1584
	v_add_f64 v[123:124], v[123:124], v[129:130]
	v_add_f64 v[6:7], v[6:7], v[119:120]
	s_waitcnt vmcnt(17) lgkmcnt(1)
	v_mul_f64 v[129:130], v[113:114], v[145:146]
	s_waitcnt vmcnt(16)
	v_fma_f64 v[127:128], v[2:3], v[141:142], -v[127:128]
	v_mul_f64 v[119:120], v[111:112], v[145:146]
	v_fma_f64 v[125:126], v[4:5], v[141:142], v[125:126]
	ds_read_b128 v[2:5], v1 offset:1600
	v_add_f64 v[123:124], v[123:124], v[131:132]
	v_add_f64 v[6:7], v[6:7], v[121:122]
	s_waitcnt vmcnt(15) lgkmcnt(1)
	v_mul_f64 v[131:132], v[117:118], v[147:148]
	s_waitcnt vmcnt(13)
	v_fma_f64 v[129:130], v[111:112], v[151:152], -v[129:130]
	;; [unrolled: 9-line block ×3, first 2 shown]
	v_mul_f64 v[125:126], v[2:3], v[153:154]
	v_fma_f64 v[117:118], v[117:118], v[149:150], v[121:122]
	s_waitcnt vmcnt(7) lgkmcnt(0)
	v_mul_f64 v[121:122], v[113:114], v[155:156]
	v_add_f64 v[123:124], v[123:124], v[129:130]
	v_add_f64 v[6:7], v[6:7], v[119:120]
	s_waitcnt vmcnt(5)
	v_fma_f64 v[2:3], v[2:3], v[159:160], -v[127:128]
	v_mul_f64 v[119:120], v[111:112], v[155:156]
	v_fma_f64 v[4:5], v[4:5], v[159:160], v[125:126]
	s_waitcnt vmcnt(4)
	v_fma_f64 v[111:112], v[111:112], v[157:158], -v[121:122]
	v_add_f64 v[115:116], v[123:124], v[115:116]
	v_add_f64 v[6:7], v[6:7], v[117:118]
	v_fma_f64 v[113:114], v[113:114], v[157:158], v[119:120]
	v_add_f64 v[2:3], v[115:116], v[2:3]
	v_add_f64 v[4:5], v[6:7], v[4:5]
	;; [unrolled: 1-line block ×4, first 2 shown]
	s_waitcnt vmcnt(2)
	v_add_f64 v[2:3], v[161:162], -v[2:3]
	s_waitcnt vmcnt(0)
	v_add_f64 v[4:5], v[163:164], -v[4:5]
	buffer_store_dword v3, off, s[0:3], 0 offset:644
	buffer_store_dword v2, off, s[0:3], 0 offset:640
	;; [unrolled: 1-line block ×4, first 2 shown]
	v_cmpx_lt_u32_e32 38, v0
	s_cbranch_execz .LBB114_243
; %bb.242:
	v_mov_b32_e32 v5, s24
	s_clause 0x3
	buffer_load_dword v2, v5, s[0:3], 0 offen
	buffer_load_dword v3, v5, s[0:3], 0 offen offset:4
	buffer_load_dword v4, v5, s[0:3], 0 offen offset:8
	;; [unrolled: 1-line block ×3, first 2 shown]
	buffer_store_dword v1, off, s[0:3], 0 offset:624
	buffer_store_dword v1, off, s[0:3], 0 offset:628
	;; [unrolled: 1-line block ×4, first 2 shown]
	s_waitcnt vmcnt(0)
	ds_write_b128 v171, v[2:5]
.LBB114_243:
	s_or_b32 exec_lo, exec_lo, s4
	s_waitcnt lgkmcnt(0)
	s_waitcnt_vscnt null, 0x0
	s_barrier
	buffer_gl0_inv
	s_clause 0x2f
	buffer_load_dword v6, off, s[0:3], 0 offset:648
	buffer_load_dword v7, off, s[0:3], 0 offset:652
	;; [unrolled: 1-line block ×48, first 2 shown]
	ds_read_b128 v[2:5], v1 offset:1440
	s_clause 0x3
	buffer_load_dword v165, off, s[0:3], 0 offset:624
	buffer_load_dword v166, off, s[0:3], 0 offset:628
	;; [unrolled: 1-line block ×4, first 2 shown]
	ds_read_b128 v[111:114], v1 offset:1456
	ds_read_b128 v[115:118], v1 offset:1472
	s_mov_b32 s4, exec_lo
	s_waitcnt vmcnt(50) lgkmcnt(2)
	v_mul_f64 v[169:170], v[4:5], v[6:7]
	v_mul_f64 v[6:7], v[2:3], v[6:7]
	s_waitcnt vmcnt(48) lgkmcnt(1)
	v_mul_f64 v[172:173], v[113:114], v[119:120]
	v_mul_f64 v[119:120], v[111:112], v[119:120]
	s_waitcnt vmcnt(46)
	v_fma_f64 v[169:170], v[2:3], v[121:122], -v[169:170]
	v_fma_f64 v[6:7], v[4:5], v[121:122], v[6:7]
	s_waitcnt vmcnt(44) lgkmcnt(0)
	v_mul_f64 v[121:122], v[115:116], v[123:124]
	v_mul_f64 v[123:124], v[117:118], v[123:124]
	s_waitcnt vmcnt(42)
	v_fma_f64 v[172:173], v[111:112], v[125:126], -v[172:173]
	ds_read_b128 v[2:5], v1 offset:1488
	v_fma_f64 v[119:120], v[113:114], v[125:126], v[119:120]
	ds_read_b128 v[111:114], v1 offset:1504
	v_add_f64 v[169:170], v[169:170], 0
	v_add_f64 v[6:7], v[6:7], 0
	s_waitcnt vmcnt(36)
	v_fma_f64 v[121:122], v[117:118], v[133:134], v[121:122]
	s_waitcnt lgkmcnt(1)
	v_mul_f64 v[125:126], v[2:3], v[127:128]
	v_mul_f64 v[127:128], v[4:5], v[127:128]
	v_fma_f64 v[123:124], v[115:116], v[133:134], -v[123:124]
	ds_read_b128 v[115:118], v1 offset:1520
	v_add_f64 v[169:170], v[169:170], v[172:173]
	v_add_f64 v[6:7], v[6:7], v[119:120]
	s_waitcnt vmcnt(35) lgkmcnt(1)
	v_mul_f64 v[119:120], v[111:112], v[129:130]
	v_mul_f64 v[129:130], v[113:114], v[129:130]
	s_waitcnt vmcnt(33)
	v_fma_f64 v[127:128], v[2:3], v[135:136], -v[127:128]
	v_fma_f64 v[125:126], v[4:5], v[135:136], v[125:126]
	ds_read_b128 v[2:5], v1 offset:1536
	s_waitcnt vmcnt(29) lgkmcnt(1)
	v_mul_f64 v[133:134], v[117:118], v[137:138]
	v_add_f64 v[123:124], v[169:170], v[123:124]
	v_add_f64 v[6:7], v[6:7], v[121:122]
	v_mul_f64 v[121:122], v[115:116], v[137:138]
	s_waitcnt vmcnt(28)
	v_fma_f64 v[129:130], v[111:112], v[131:132], -v[129:130]
	v_fma_f64 v[119:120], v[113:114], v[131:132], v[119:120]
	ds_read_b128 v[111:114], v1 offset:1552
	s_waitcnt vmcnt(25)
	v_fma_f64 v[131:132], v[115:116], v[143:144], -v[133:134]
	v_add_f64 v[123:124], v[123:124], v[127:128]
	v_add_f64 v[6:7], v[6:7], v[125:126]
	s_waitcnt lgkmcnt(1)
	v_mul_f64 v[127:128], v[4:5], v[139:140]
	v_mul_f64 v[125:126], v[2:3], v[139:140]
	v_fma_f64 v[121:122], v[117:118], v[143:144], v[121:122]
	ds_read_b128 v[115:118], v1 offset:1568
	v_add_f64 v[123:124], v[123:124], v[129:130]
	v_add_f64 v[6:7], v[6:7], v[119:120]
	s_waitcnt vmcnt(21) lgkmcnt(1)
	v_mul_f64 v[129:130], v[113:114], v[145:146]
	s_waitcnt vmcnt(20)
	v_fma_f64 v[127:128], v[2:3], v[141:142], -v[127:128]
	v_mul_f64 v[119:120], v[111:112], v[145:146]
	v_fma_f64 v[125:126], v[4:5], v[141:142], v[125:126]
	ds_read_b128 v[2:5], v1 offset:1584
	v_add_f64 v[123:124], v[123:124], v[131:132]
	v_add_f64 v[6:7], v[6:7], v[121:122]
	s_waitcnt vmcnt(19) lgkmcnt(1)
	v_mul_f64 v[131:132], v[117:118], v[147:148]
	s_waitcnt vmcnt(17)
	v_fma_f64 v[129:130], v[111:112], v[151:152], -v[129:130]
	;; [unrolled: 9-line block ×4, first 2 shown]
	v_mul_f64 v[119:120], v[111:112], v[155:156]
	v_fma_f64 v[3:4], v[4:5], v[159:160], v[125:126]
	v_add_f64 v[123:124], v[123:124], v[131:132]
	v_add_f64 v[5:6], v[6:7], v[121:122]
	s_waitcnt vmcnt(7) lgkmcnt(0)
	v_mul_f64 v[121:122], v[117:118], v[161:162]
	s_waitcnt vmcnt(6)
	v_fma_f64 v[111:112], v[111:112], v[157:158], -v[129:130]
	v_mul_f64 v[7:8], v[115:116], v[161:162]
	v_fma_f64 v[113:114], v[113:114], v[157:158], v[119:120]
	v_add_f64 v[1:2], v[123:124], v[1:2]
	v_add_f64 v[3:4], v[5:6], v[3:4]
	s_waitcnt vmcnt(4)
	v_fma_f64 v[5:6], v[115:116], v[163:164], -v[121:122]
	v_fma_f64 v[7:8], v[117:118], v[163:164], v[7:8]
	v_add_f64 v[1:2], v[1:2], v[111:112]
	v_add_f64 v[3:4], v[3:4], v[113:114]
	;; [unrolled: 1-line block ×4, first 2 shown]
	s_waitcnt vmcnt(2)
	v_add_f64 v[1:2], v[165:166], -v[1:2]
	s_waitcnt vmcnt(0)
	v_add_f64 v[3:4], v[167:168], -v[3:4]
	buffer_store_dword v2, off, s[0:3], 0 offset:628
	buffer_store_dword v1, off, s[0:3], 0 offset:624
	;; [unrolled: 1-line block ×4, first 2 shown]
	v_cmpx_lt_u32_e32 37, v0
	s_cbranch_execz .LBB114_245
; %bb.244:
	v_mov_b32_e32 v4, s25
	v_mov_b32_e32 v5, 0
	s_clause 0x3
	buffer_load_dword v1, v4, s[0:3], 0 offen
	buffer_load_dword v2, v4, s[0:3], 0 offen offset:4
	buffer_load_dword v3, v4, s[0:3], 0 offen offset:8
	;; [unrolled: 1-line block ×3, first 2 shown]
	buffer_store_dword v5, off, s[0:3], 0 offset:608
	buffer_store_dword v5, off, s[0:3], 0 offset:612
	;; [unrolled: 1-line block ×4, first 2 shown]
	s_waitcnt vmcnt(0)
	ds_write_b128 v171, v[1:4]
.LBB114_245:
	s_or_b32 exec_lo, exec_lo, s4
	s_waitcnt lgkmcnt(0)
	s_waitcnt_vscnt null, 0x0
	s_barrier
	buffer_gl0_inv
	s_clause 0x33
	buffer_load_dword v6, off, s[0:3], 0 offset:632
	buffer_load_dword v7, off, s[0:3], 0 offset:636
	;; [unrolled: 1-line block ×52, first 2 shown]
	v_mov_b32_e32 v1, 0
	ds_read_b128 v[2:5], v1 offset:1424
	ds_read_b128 v[111:114], v1 offset:1440
	s_clause 0x3
	buffer_load_dword v172, off, s[0:3], 0 offset:608
	buffer_load_dword v173, off, s[0:3], 0 offset:612
	;; [unrolled: 1-line block ×4, first 2 shown]
	ds_read_b128 v[115:118], v1 offset:1456
	s_mov_b32 s4, exec_lo
	s_waitcnt vmcnt(54) lgkmcnt(2)
	v_mul_f64 v[169:170], v[4:5], v[6:7]
	v_mul_f64 v[6:7], v[2:3], v[6:7]
	s_waitcnt vmcnt(52) lgkmcnt(1)
	v_mul_f64 v[176:177], v[113:114], v[119:120]
	v_mul_f64 v[119:120], v[111:112], v[119:120]
	s_waitcnt vmcnt(50)
	v_fma_f64 v[169:170], v[2:3], v[121:122], -v[169:170]
	v_fma_f64 v[6:7], v[4:5], v[121:122], v[6:7]
	ds_read_b128 v[2:5], v1 offset:1472
	s_waitcnt vmcnt(48) lgkmcnt(1)
	v_mul_f64 v[121:122], v[115:116], v[123:124]
	v_mul_f64 v[123:124], v[117:118], v[123:124]
	s_waitcnt vmcnt(46)
	v_fma_f64 v[176:177], v[111:112], v[125:126], -v[176:177]
	v_fma_f64 v[119:120], v[113:114], v[125:126], v[119:120]
	ds_read_b128 v[111:114], v1 offset:1488
	s_waitcnt vmcnt(42) lgkmcnt(1)
	v_mul_f64 v[125:126], v[2:3], v[127:128]
	v_add_f64 v[169:170], v[169:170], 0
	v_add_f64 v[6:7], v[6:7], 0
	v_mul_f64 v[127:128], v[4:5], v[127:128]
	s_waitcnt vmcnt(40)
	v_fma_f64 v[123:124], v[115:116], v[133:134], -v[123:124]
	v_fma_f64 v[121:122], v[117:118], v[133:134], v[121:122]
	ds_read_b128 v[115:118], v1 offset:1504
	s_waitcnt vmcnt(37)
	v_fma_f64 v[125:126], v[4:5], v[135:136], v[125:126]
	v_add_f64 v[169:170], v[169:170], v[176:177]
	v_add_f64 v[6:7], v[6:7], v[119:120]
	s_waitcnt lgkmcnt(1)
	v_mul_f64 v[119:120], v[111:112], v[129:130]
	v_mul_f64 v[129:130], v[113:114], v[129:130]
	v_fma_f64 v[127:128], v[2:3], v[135:136], -v[127:128]
	s_waitcnt vmcnt(33) lgkmcnt(0)
	v_mul_f64 v[133:134], v[117:118], v[137:138]
	ds_read_b128 v[2:5], v1 offset:1520
	v_add_f64 v[123:124], v[169:170], v[123:124]
	v_add_f64 v[6:7], v[6:7], v[121:122]
	v_mul_f64 v[121:122], v[115:116], v[137:138]
	s_waitcnt vmcnt(32)
	v_fma_f64 v[129:130], v[111:112], v[131:132], -v[129:130]
	v_fma_f64 v[119:120], v[113:114], v[131:132], v[119:120]
	ds_read_b128 v[111:114], v1 offset:1536
	s_waitcnt vmcnt(29)
	v_fma_f64 v[131:132], v[115:116], v[143:144], -v[133:134]
	v_add_f64 v[123:124], v[123:124], v[127:128]
	v_add_f64 v[6:7], v[6:7], v[125:126]
	s_waitcnt lgkmcnt(1)
	v_mul_f64 v[127:128], v[4:5], v[139:140]
	v_mul_f64 v[125:126], v[2:3], v[139:140]
	v_fma_f64 v[121:122], v[117:118], v[143:144], v[121:122]
	ds_read_b128 v[115:118], v1 offset:1552
	v_add_f64 v[123:124], v[123:124], v[129:130]
	v_add_f64 v[6:7], v[6:7], v[119:120]
	s_waitcnt vmcnt(25) lgkmcnt(1)
	v_mul_f64 v[129:130], v[113:114], v[145:146]
	s_waitcnt vmcnt(24)
	v_fma_f64 v[127:128], v[2:3], v[141:142], -v[127:128]
	v_mul_f64 v[119:120], v[111:112], v[145:146]
	v_fma_f64 v[125:126], v[4:5], v[141:142], v[125:126]
	ds_read_b128 v[2:5], v1 offset:1568
	v_add_f64 v[123:124], v[123:124], v[131:132]
	v_add_f64 v[6:7], v[6:7], v[121:122]
	s_waitcnt vmcnt(23) lgkmcnt(1)
	v_mul_f64 v[131:132], v[117:118], v[147:148]
	s_waitcnt vmcnt(21)
	v_fma_f64 v[129:130], v[111:112], v[151:152], -v[129:130]
	;; [unrolled: 9-line block ×5, first 2 shown]
	v_mul_f64 v[121:122], v[115:116], v[161:162]
	v_fma_f64 v[113:114], v[113:114], v[157:158], v[119:120]
	s_waitcnt vmcnt(7) lgkmcnt(0)
	v_mul_f64 v[119:120], v[2:3], v[163:164]
	v_add_f64 v[123:124], v[123:124], v[127:128]
	v_add_f64 v[6:7], v[6:7], v[125:126]
	v_mul_f64 v[125:126], v[4:5], v[163:164]
	s_waitcnt vmcnt(5)
	v_fma_f64 v[115:116], v[115:116], v[167:168], -v[131:132]
	v_fma_f64 v[117:118], v[117:118], v[167:168], v[121:122]
	s_waitcnt vmcnt(4)
	v_fma_f64 v[4:5], v[4:5], v[165:166], v[119:120]
	v_add_f64 v[111:112], v[123:124], v[111:112]
	v_add_f64 v[6:7], v[6:7], v[113:114]
	v_fma_f64 v[2:3], v[2:3], v[165:166], -v[125:126]
	v_add_f64 v[111:112], v[111:112], v[115:116]
	v_add_f64 v[6:7], v[6:7], v[117:118]
	;; [unrolled: 1-line block ×4, first 2 shown]
	s_waitcnt vmcnt(2)
	v_add_f64 v[2:3], v[172:173], -v[2:3]
	s_waitcnt vmcnt(0)
	v_add_f64 v[4:5], v[174:175], -v[4:5]
	buffer_store_dword v3, off, s[0:3], 0 offset:612
	buffer_store_dword v2, off, s[0:3], 0 offset:608
	buffer_store_dword v5, off, s[0:3], 0 offset:620
	buffer_store_dword v4, off, s[0:3], 0 offset:616
	v_cmpx_lt_u32_e32 36, v0
	s_cbranch_execz .LBB114_247
; %bb.246:
	v_mov_b32_e32 v5, s26
	s_clause 0x3
	buffer_load_dword v2, v5, s[0:3], 0 offen
	buffer_load_dword v3, v5, s[0:3], 0 offen offset:4
	buffer_load_dword v4, v5, s[0:3], 0 offen offset:8
	;; [unrolled: 1-line block ×3, first 2 shown]
	buffer_store_dword v1, off, s[0:3], 0 offset:592
	buffer_store_dword v1, off, s[0:3], 0 offset:596
	;; [unrolled: 1-line block ×4, first 2 shown]
	s_waitcnt vmcnt(0)
	ds_write_b128 v171, v[2:5]
.LBB114_247:
	s_or_b32 exec_lo, exec_lo, s4
	s_waitcnt lgkmcnt(0)
	s_waitcnt_vscnt null, 0x0
	s_barrier
	buffer_gl0_inv
	s_clause 0x35
	buffer_load_dword v6, off, s[0:3], 0 offset:616
	buffer_load_dword v7, off, s[0:3], 0 offset:620
	;; [unrolled: 1-line block ×54, first 2 shown]
	ds_read_b128 v[2:5], v1 offset:1408
	s_clause 0x1
	buffer_load_dword v173, off, s[0:3], 0 offset:820
	buffer_load_dword v172, off, s[0:3], 0 offset:816
	ds_read_b128 v[111:114], v1 offset:1424
	ds_read_b128 v[115:118], v1 offset:1440
	s_mov_b32 s4, exec_lo
	s_waitcnt vmcnt(54) lgkmcnt(2)
	v_mul_f64 v[174:175], v[4:5], v[6:7]
	v_mul_f64 v[6:7], v[2:3], v[6:7]
	s_waitcnt vmcnt(52) lgkmcnt(1)
	v_mul_f64 v[176:177], v[113:114], v[119:120]
	v_mul_f64 v[119:120], v[111:112], v[119:120]
	;; [unrolled: 3-line block ×3, first 2 shown]
	v_fma_f64 v[174:175], v[2:3], v[121:122], -v[174:175]
	v_fma_f64 v[6:7], v[4:5], v[121:122], v[6:7]
	s_clause 0x3
	buffer_load_dword v121, off, s[0:3], 0 offset:592
	buffer_load_dword v122, off, s[0:3], 0 offset:596
	;; [unrolled: 1-line block ×4, first 2 shown]
	s_waitcnt vmcnt(50)
	v_fma_f64 v[176:177], v[111:112], v[125:126], -v[176:177]
	ds_read_b128 v[2:5], v1 offset:1456
	v_fma_f64 v[119:120], v[113:114], v[125:126], v[119:120]
	ds_read_b128 v[111:114], v1 offset:1472
	s_waitcnt vmcnt(44)
	v_fma_f64 v[123:124], v[115:116], v[133:134], -v[123:124]
	v_fma_f64 v[133:134], v[117:118], v[133:134], v[180:181]
	ds_read_b128 v[115:118], v1 offset:1488
	v_add_f64 v[174:175], v[174:175], 0
	v_add_f64 v[6:7], v[6:7], 0
	s_waitcnt lgkmcnt(2)
	v_mul_f64 v[125:126], v[2:3], v[127:128]
	v_mul_f64 v[127:128], v[4:5], v[127:128]
	v_add_f64 v[174:175], v[174:175], v[176:177]
	v_add_f64 v[6:7], v[6:7], v[119:120]
	s_waitcnt vmcnt(43) lgkmcnt(1)
	v_mul_f64 v[119:120], v[111:112], v[129:130]
	v_mul_f64 v[129:130], v[113:114], v[129:130]
	s_waitcnt vmcnt(41)
	v_fma_f64 v[127:128], v[2:3], v[135:136], -v[127:128]
	v_fma_f64 v[125:126], v[4:5], v[135:136], v[125:126]
	ds_read_b128 v[2:5], v1 offset:1504
	s_waitcnt vmcnt(37) lgkmcnt(1)
	v_mul_f64 v[135:136], v[117:118], v[137:138]
	v_add_f64 v[123:124], v[174:175], v[123:124]
	v_add_f64 v[6:7], v[6:7], v[133:134]
	v_mul_f64 v[133:134], v[115:116], v[137:138]
	s_waitcnt vmcnt(36)
	v_fma_f64 v[129:130], v[111:112], v[131:132], -v[129:130]
	v_fma_f64 v[119:120], v[113:114], v[131:132], v[119:120]
	ds_read_b128 v[111:114], v1 offset:1520
	s_waitcnt vmcnt(33)
	v_fma_f64 v[131:132], v[115:116], v[143:144], -v[135:136]
	v_add_f64 v[123:124], v[123:124], v[127:128]
	v_add_f64 v[6:7], v[6:7], v[125:126]
	s_waitcnt lgkmcnt(1)
	v_mul_f64 v[127:128], v[4:5], v[139:140]
	v_mul_f64 v[125:126], v[2:3], v[139:140]
	v_add_f64 v[123:124], v[123:124], v[129:130]
	v_fma_f64 v[129:130], v[117:118], v[143:144], v[133:134]
	v_add_f64 v[6:7], v[6:7], v[119:120]
	ds_read_b128 v[115:118], v1 offset:1536
	s_waitcnt vmcnt(29) lgkmcnt(1)
	v_mul_f64 v[133:134], v[113:114], v[145:146]
	s_waitcnt vmcnt(28)
	v_fma_f64 v[127:128], v[2:3], v[141:142], -v[127:128]
	v_mul_f64 v[119:120], v[111:112], v[145:146]
	v_fma_f64 v[125:126], v[4:5], v[141:142], v[125:126]
	ds_read_b128 v[2:5], v1 offset:1552
	v_add_f64 v[123:124], v[123:124], v[131:132]
	s_waitcnt vmcnt(27) lgkmcnt(1)
	v_mul_f64 v[131:132], v[117:118], v[147:148]
	v_add_f64 v[6:7], v[6:7], v[129:130]
	v_mul_f64 v[129:130], v[115:116], v[147:148]
	s_waitcnt vmcnt(25)
	v_fma_f64 v[133:134], v[111:112], v[151:152], -v[133:134]
	v_fma_f64 v[119:120], v[113:114], v[151:152], v[119:120]
	ds_read_b128 v[111:114], v1 offset:1568
	v_add_f64 v[123:124], v[123:124], v[127:128]
	s_waitcnt vmcnt(21) lgkmcnt(1)
	v_mul_f64 v[127:128], v[4:5], v[153:154]
	v_add_f64 v[6:7], v[6:7], v[125:126]
	s_waitcnt vmcnt(20)
	v_fma_f64 v[131:132], v[115:116], v[149:150], -v[131:132]
	v_mul_f64 v[125:126], v[2:3], v[153:154]
	v_fma_f64 v[129:130], v[117:118], v[149:150], v[129:130]
	ds_read_b128 v[115:118], v1 offset:1584
	v_add_f64 v[123:124], v[123:124], v[133:134]
	s_waitcnt vmcnt(19) lgkmcnt(1)
	v_mul_f64 v[133:134], v[113:114], v[155:156]
	v_add_f64 v[6:7], v[6:7], v[119:120]
	s_waitcnt vmcnt(17)
	v_fma_f64 v[127:128], v[2:3], v[159:160], -v[127:128]
	v_mul_f64 v[119:120], v[111:112], v[155:156]
	;; [unrolled: 9-line block ×4, first 2 shown]
	v_fma_f64 v[117:118], v[117:118], v[167:168], v[129:130]
	s_waitcnt vmcnt(7) lgkmcnt(0)
	v_mul_f64 v[129:130], v[113:114], v[169:170]
	v_add_f64 v[123:124], v[123:124], v[133:134]
	s_waitcnt vmcnt(6)
	v_fma_f64 v[1:2], v[2:3], v[165:166], -v[127:128]
	v_add_f64 v[6:7], v[6:7], v[119:120]
	v_mul_f64 v[119:120], v[111:112], v[169:170]
	v_fma_f64 v[3:4], v[4:5], v[165:166], v[125:126]
	v_add_f64 v[115:116], v[123:124], v[115:116]
	v_add_f64 v[5:6], v[6:7], v[117:118]
	s_waitcnt vmcnt(4)
	v_fma_f64 v[7:8], v[111:112], v[172:173], -v[129:130]
	v_fma_f64 v[111:112], v[113:114], v[172:173], v[119:120]
	v_add_f64 v[1:2], v[115:116], v[1:2]
	v_add_f64 v[3:4], v[5:6], v[3:4]
	;; [unrolled: 1-line block ×4, first 2 shown]
	s_waitcnt vmcnt(2)
	v_add_f64 v[1:2], v[121:122], -v[1:2]
	s_waitcnt vmcnt(0)
	v_add_f64 v[3:4], v[178:179], -v[3:4]
	buffer_store_dword v2, off, s[0:3], 0 offset:596
	buffer_store_dword v1, off, s[0:3], 0 offset:592
	;; [unrolled: 1-line block ×4, first 2 shown]
	v_cmpx_lt_u32_e32 35, v0
	s_cbranch_execz .LBB114_249
; %bb.248:
	v_mov_b32_e32 v4, s27
	v_mov_b32_e32 v5, 0
	s_clause 0x3
	buffer_load_dword v1, v4, s[0:3], 0 offen
	buffer_load_dword v2, v4, s[0:3], 0 offen offset:4
	buffer_load_dword v3, v4, s[0:3], 0 offen offset:8
	;; [unrolled: 1-line block ×3, first 2 shown]
	buffer_store_dword v5, off, s[0:3], 0 offset:576
	buffer_store_dword v5, off, s[0:3], 0 offset:580
	;; [unrolled: 1-line block ×4, first 2 shown]
	s_waitcnt vmcnt(0)
	ds_write_b128 v171, v[1:4]
.LBB114_249:
	s_or_b32 exec_lo, exec_lo, s4
	s_waitcnt lgkmcnt(0)
	s_waitcnt_vscnt null, 0x0
	s_barrier
	buffer_gl0_inv
	s_clause 0x37
	buffer_load_dword v6, off, s[0:3], 0 offset:600
	buffer_load_dword v7, off, s[0:3], 0 offset:604
	;; [unrolled: 1-line block ×56, first 2 shown]
	v_mov_b32_e32 v1, 0
	s_mov_b32 s4, exec_lo
	ds_read_b128 v[2:5], v1 offset:1392
	s_clause 0x2
	buffer_load_dword v173, off, s[0:3], 0 offset:828
	buffer_load_dword v177, off, s[0:3], 0 offset:804
	;; [unrolled: 1-line block ×3, first 2 shown]
	ds_read_b128 v[111:114], v1 offset:1408
	ds_read_b128 v[115:118], v1 offset:1424
	buffer_load_dword v175, off, s[0:3], 0 offset:820
	s_waitcnt vmcnt(58) lgkmcnt(2)
	v_mul_f64 v[178:179], v[4:5], v[6:7]
	v_mul_f64 v[6:7], v[2:3], v[6:7]
	s_waitcnt vmcnt(56) lgkmcnt(1)
	v_mul_f64 v[180:181], v[113:114], v[119:120]
	v_mul_f64 v[119:120], v[111:112], v[119:120]
	s_waitcnt vmcnt(54)
	v_fma_f64 v[178:179], v[2:3], v[121:122], -v[178:179]
	v_fma_f64 v[6:7], v[4:5], v[121:122], v[6:7]
	s_waitcnt vmcnt(52) lgkmcnt(0)
	v_mul_f64 v[121:122], v[115:116], v[123:124]
	v_mul_f64 v[123:124], v[117:118], v[123:124]
	s_waitcnt vmcnt(50)
	v_fma_f64 v[180:181], v[111:112], v[125:126], -v[180:181]
	ds_read_b128 v[2:5], v1 offset:1440
	v_fma_f64 v[119:120], v[113:114], v[125:126], v[119:120]
	s_clause 0x3
	buffer_load_dword v125, off, s[0:3], 0 offset:576
	buffer_load_dword v126, off, s[0:3], 0 offset:580
	;; [unrolled: 1-line block ×4, first 2 shown]
	ds_read_b128 v[111:114], v1 offset:1456
	v_add_f64 v[178:179], v[178:179], 0
	v_add_f64 v[6:7], v[6:7], 0
	s_waitcnt vmcnt(48)
	v_fma_f64 v[121:122], v[117:118], v[133:134], v[121:122]
	s_waitcnt lgkmcnt(1)
	v_mul_f64 v[184:185], v[2:3], v[127:128]
	v_mul_f64 v[127:128], v[4:5], v[127:128]
	v_fma_f64 v[123:124], v[115:116], v[133:134], -v[123:124]
	ds_read_b128 v[115:118], v1 offset:1472
	v_add_f64 v[178:179], v[178:179], v[180:181]
	v_add_f64 v[6:7], v[6:7], v[119:120]
	s_waitcnt vmcnt(47) lgkmcnt(1)
	v_mul_f64 v[119:120], v[111:112], v[129:130]
	v_mul_f64 v[129:130], v[113:114], v[129:130]
	s_waitcnt vmcnt(45)
	v_fma_f64 v[127:128], v[2:3], v[135:136], -v[127:128]
	v_fma_f64 v[133:134], v[4:5], v[135:136], v[184:185]
	s_waitcnt vmcnt(41) lgkmcnt(0)
	v_mul_f64 v[135:136], v[117:118], v[137:138]
	ds_read_b128 v[2:5], v1 offset:1488
	v_add_f64 v[123:124], v[178:179], v[123:124]
	v_add_f64 v[6:7], v[6:7], v[121:122]
	v_mul_f64 v[121:122], v[115:116], v[137:138]
	s_waitcnt vmcnt(40)
	v_fma_f64 v[129:130], v[111:112], v[131:132], -v[129:130]
	v_fma_f64 v[119:120], v[113:114], v[131:132], v[119:120]
	ds_read_b128 v[111:114], v1 offset:1504
	s_waitcnt vmcnt(39) lgkmcnt(1)
	v_mul_f64 v[131:132], v[4:5], v[139:140]
	v_add_f64 v[123:124], v[123:124], v[127:128]
	v_add_f64 v[6:7], v[6:7], v[133:134]
	s_waitcnt vmcnt(37)
	v_fma_f64 v[133:134], v[115:116], v[143:144], -v[135:136]
	v_mul_f64 v[127:128], v[2:3], v[139:140]
	v_fma_f64 v[121:122], v[117:118], v[143:144], v[121:122]
	ds_read_b128 v[115:118], v1 offset:1520
	s_waitcnt vmcnt(32)
	v_fma_f64 v[131:132], v[2:3], v[141:142], -v[131:132]
	v_add_f64 v[123:124], v[123:124], v[129:130]
	v_add_f64 v[6:7], v[6:7], v[119:120]
	s_waitcnt lgkmcnt(1)
	v_mul_f64 v[129:130], v[113:114], v[145:146]
	v_mul_f64 v[119:120], v[111:112], v[145:146]
	v_fma_f64 v[127:128], v[4:5], v[141:142], v[127:128]
	ds_read_b128 v[2:5], v1 offset:1536
	v_add_f64 v[123:124], v[123:124], v[133:134]
	v_add_f64 v[6:7], v[6:7], v[121:122]
	s_waitcnt vmcnt(31) lgkmcnt(1)
	v_mul_f64 v[133:134], v[117:118], v[147:148]
	s_waitcnt vmcnt(29)
	v_fma_f64 v[129:130], v[111:112], v[151:152], -v[129:130]
	v_mul_f64 v[121:122], v[115:116], v[147:148]
	v_fma_f64 v[119:120], v[113:114], v[151:152], v[119:120]
	ds_read_b128 v[111:114], v1 offset:1552
	v_add_f64 v[123:124], v[123:124], v[131:132]
	v_add_f64 v[6:7], v[6:7], v[127:128]
	s_waitcnt vmcnt(25) lgkmcnt(1)
	v_mul_f64 v[131:132], v[4:5], v[153:154]
	s_waitcnt vmcnt(24)
	v_fma_f64 v[133:134], v[115:116], v[149:150], -v[133:134]
	;; [unrolled: 9-line block ×6, first 2 shown]
	v_mul_f64 v[119:120], v[111:112], v[169:170]
	v_fma_f64 v[4:5], v[4:5], v[165:166], v[127:128]
	s_waitcnt vmcnt(7) lgkmcnt(0)
	v_mul_f64 v[127:128], v[117:118], v[172:173]
	v_add_f64 v[123:124], v[123:124], v[133:134]
	v_add_f64 v[6:7], v[6:7], v[121:122]
	s_waitcnt vmcnt(5)
	v_fma_f64 v[111:112], v[111:112], v[176:177], -v[129:130]
	v_mul_f64 v[121:122], v[115:116], v[172:173]
	v_fma_f64 v[113:114], v[113:114], v[176:177], v[119:120]
	v_add_f64 v[2:3], v[123:124], v[2:3]
	v_add_f64 v[4:5], v[6:7], v[4:5]
	s_waitcnt vmcnt(4)
	v_fma_f64 v[6:7], v[115:116], v[174:175], -v[127:128]
	v_add_f64 v[2:3], v[2:3], v[111:112]
	v_fma_f64 v[111:112], v[117:118], v[174:175], v[121:122]
	v_add_f64 v[4:5], v[4:5], v[113:114]
	v_add_f64 v[2:3], v[2:3], v[6:7]
	;; [unrolled: 1-line block ×3, first 2 shown]
	s_waitcnt vmcnt(2)
	v_add_f64 v[2:3], v[125:126], -v[2:3]
	s_waitcnt vmcnt(0)
	v_add_f64 v[4:5], v[182:183], -v[4:5]
	buffer_store_dword v3, off, s[0:3], 0 offset:580
	buffer_store_dword v2, off, s[0:3], 0 offset:576
	;; [unrolled: 1-line block ×4, first 2 shown]
	v_cmpx_lt_u32_e32 34, v0
	s_cbranch_execz .LBB114_251
; %bb.250:
	v_mov_b32_e32 v5, s28
	s_clause 0x3
	buffer_load_dword v2, v5, s[0:3], 0 offen
	buffer_load_dword v3, v5, s[0:3], 0 offen offset:4
	buffer_load_dword v4, v5, s[0:3], 0 offen offset:8
	;; [unrolled: 1-line block ×3, first 2 shown]
	buffer_store_dword v1, off, s[0:3], 0 offset:560
	buffer_store_dword v1, off, s[0:3], 0 offset:564
	;; [unrolled: 1-line block ×4, first 2 shown]
	s_waitcnt vmcnt(0)
	ds_write_b128 v171, v[2:5]
.LBB114_251:
	s_or_b32 exec_lo, exec_lo, s4
	s_waitcnt lgkmcnt(0)
	s_waitcnt_vscnt null, 0x0
	s_barrier
	buffer_gl0_inv
	s_clause 0x37
	buffer_load_dword v6, off, s[0:3], 0 offset:584
	buffer_load_dword v7, off, s[0:3], 0 offset:588
	;; [unrolled: 1-line block ×56, first 2 shown]
	ds_read_b128 v[2:5], v1 offset:1376
	s_clause 0x2
	buffer_load_dword v173, off, s[0:3], 0 offset:812
	buffer_load_dword v177, off, s[0:3], 0 offset:788
	;; [unrolled: 1-line block ×3, first 2 shown]
	ds_read_b128 v[111:114], v1 offset:1392
	s_clause 0x2
	buffer_load_dword v181, off, s[0:3], 0 offset:828
	buffer_load_dword v180, off, s[0:3], 0 offset:824
	;; [unrolled: 1-line block ×3, first 2 shown]
	ds_read_b128 v[115:118], v1 offset:1408
	s_mov_b32 s4, exec_lo
	s_waitcnt vmcnt(60) lgkmcnt(2)
	v_mul_f64 v[178:179], v[4:5], v[6:7]
	v_mul_f64 v[6:7], v[2:3], v[6:7]
	s_waitcnt vmcnt(58) lgkmcnt(1)
	v_mul_f64 v[182:183], v[113:114], v[119:120]
	v_mul_f64 v[119:120], v[111:112], v[119:120]
	s_waitcnt vmcnt(54) lgkmcnt(0)
	v_mul_f64 v[184:185], v[115:116], v[123:124]
	v_mul_f64 v[123:124], v[117:118], v[123:124]
	v_fma_f64 v[178:179], v[2:3], v[121:122], -v[178:179]
	v_fma_f64 v[6:7], v[4:5], v[121:122], v[6:7]
	s_clause 0x1
	buffer_load_dword v122, off, s[0:3], 0 offset:820
	buffer_load_dword v121, off, s[0:3], 0 offset:816
	s_waitcnt vmcnt(54)
	v_fma_f64 v[182:183], v[111:112], v[125:126], -v[182:183]
	ds_read_b128 v[2:5], v1 offset:1424
	v_fma_f64 v[119:120], v[113:114], v[125:126], v[119:120]
	ds_read_b128 v[111:114], v1 offset:1440
	s_waitcnt vmcnt(48)
	v_fma_f64 v[123:124], v[115:116], v[133:134], -v[123:124]
	v_fma_f64 v[133:134], v[117:118], v[133:134], v[184:185]
	v_add_f64 v[178:179], v[178:179], 0
	v_add_f64 v[6:7], v[6:7], 0
	s_waitcnt lgkmcnt(1)
	v_mul_f64 v[125:126], v[2:3], v[127:128]
	v_mul_f64 v[127:128], v[4:5], v[127:128]
	s_waitcnt vmcnt(47) lgkmcnt(0)
	v_mul_f64 v[184:185], v[111:112], v[129:130]
	v_mul_f64 v[129:130], v[113:114], v[129:130]
	v_add_f64 v[178:179], v[178:179], v[182:183]
	v_add_f64 v[6:7], v[6:7], v[119:120]
	s_clause 0x3
	buffer_load_dword v119, off, s[0:3], 0 offset:560
	buffer_load_dword v120, off, s[0:3], 0 offset:564
	;; [unrolled: 1-line block ×4, first 2 shown]
	s_waitcnt vmcnt(49)
	v_fma_f64 v[127:128], v[2:3], v[135:136], -v[127:128]
	ds_read_b128 v[115:118], v1 offset:1456
	v_fma_f64 v[125:126], v[4:5], v[135:136], v[125:126]
	ds_read_b128 v[2:5], v1 offset:1472
	s_waitcnt vmcnt(44)
	v_fma_f64 v[129:130], v[111:112], v[131:132], -v[129:130]
	v_add_f64 v[123:124], v[178:179], v[123:124]
	v_add_f64 v[6:7], v[6:7], v[133:134]
	s_waitcnt lgkmcnt(1)
	v_mul_f64 v[135:136], v[117:118], v[137:138]
	v_mul_f64 v[133:134], v[115:116], v[137:138]
	v_add_f64 v[123:124], v[123:124], v[127:128]
	v_fma_f64 v[127:128], v[113:114], v[131:132], v[184:185]
	v_add_f64 v[6:7], v[6:7], v[125:126]
	s_waitcnt vmcnt(43) lgkmcnt(0)
	v_mul_f64 v[131:132], v[4:5], v[139:140]
	s_waitcnt vmcnt(41)
	v_fma_f64 v[135:136], v[115:116], v[143:144], -v[135:136]
	ds_read_b128 v[111:114], v1 offset:1488
	v_mul_f64 v[125:126], v[2:3], v[139:140]
	v_add_f64 v[123:124], v[123:124], v[129:130]
	v_fma_f64 v[129:130], v[117:118], v[143:144], v[133:134]
	v_add_f64 v[6:7], v[6:7], v[127:128]
	ds_read_b128 v[115:118], v1 offset:1504
	s_waitcnt vmcnt(37) lgkmcnt(1)
	v_mul_f64 v[133:134], v[113:114], v[145:146]
	s_waitcnt vmcnt(36)
	v_fma_f64 v[131:132], v[2:3], v[141:142], -v[131:132]
	v_mul_f64 v[127:128], v[111:112], v[145:146]
	v_fma_f64 v[125:126], v[4:5], v[141:142], v[125:126]
	ds_read_b128 v[2:5], v1 offset:1520
	v_add_f64 v[123:124], v[123:124], v[135:136]
	s_waitcnt vmcnt(35) lgkmcnt(1)
	v_mul_f64 v[135:136], v[117:118], v[147:148]
	v_add_f64 v[6:7], v[6:7], v[129:130]
	v_mul_f64 v[129:130], v[115:116], v[147:148]
	s_waitcnt vmcnt(33)
	v_fma_f64 v[133:134], v[111:112], v[151:152], -v[133:134]
	v_fma_f64 v[127:128], v[113:114], v[151:152], v[127:128]
	ds_read_b128 v[111:114], v1 offset:1536
	v_add_f64 v[123:124], v[123:124], v[131:132]
	s_waitcnt vmcnt(29) lgkmcnt(1)
	v_mul_f64 v[131:132], v[4:5], v[153:154]
	v_add_f64 v[6:7], v[6:7], v[125:126]
	s_waitcnt vmcnt(28)
	v_fma_f64 v[135:136], v[115:116], v[149:150], -v[135:136]
	v_mul_f64 v[125:126], v[2:3], v[153:154]
	v_fma_f64 v[129:130], v[117:118], v[149:150], v[129:130]
	ds_read_b128 v[115:118], v1 offset:1552
	v_add_f64 v[123:124], v[123:124], v[133:134]
	s_waitcnt vmcnt(27) lgkmcnt(1)
	v_mul_f64 v[133:134], v[113:114], v[155:156]
	v_add_f64 v[6:7], v[6:7], v[127:128]
	s_waitcnt vmcnt(25)
	v_fma_f64 v[131:132], v[2:3], v[159:160], -v[131:132]
	v_mul_f64 v[127:128], v[111:112], v[155:156]
	;; [unrolled: 9-line block ×5, first 2 shown]
	v_fma_f64 v[125:126], v[4:5], v[165:166], v[125:126]
	ds_read_b128 v[1:4], v1 offset:1616
	v_add_f64 v[123:124], v[123:124], v[135:136]
	s_waitcnt vmcnt(9)
	v_fma_f64 v[111:112], v[111:112], v[176:177], -v[133:134]
	v_add_f64 v[5:6], v[6:7], v[129:130]
	s_waitcnt lgkmcnt(1)
	v_mul_f64 v[129:130], v[117:118], v[172:173]
	v_mul_f64 v[7:8], v[115:116], v[172:173]
	v_fma_f64 v[113:114], v[113:114], v[176:177], v[127:128]
	s_waitcnt vmcnt(7) lgkmcnt(0)
	v_mul_f64 v[127:128], v[3:4], v[180:181]
	v_add_f64 v[123:124], v[123:124], v[131:132]
	v_add_f64 v[5:6], v[5:6], v[125:126]
	s_waitcnt vmcnt(6)
	v_fma_f64 v[115:116], v[115:116], v[174:175], -v[129:130]
	v_mul_f64 v[125:126], v[1:2], v[180:181]
	v_fma_f64 v[7:8], v[117:118], v[174:175], v[7:8]
	v_add_f64 v[111:112], v[123:124], v[111:112]
	v_add_f64 v[5:6], v[5:6], v[113:114]
	s_waitcnt vmcnt(4)
	v_fma_f64 v[1:2], v[1:2], v[121:122], -v[127:128]
	v_fma_f64 v[3:4], v[3:4], v[121:122], v[125:126]
	v_add_f64 v[111:112], v[111:112], v[115:116]
	v_add_f64 v[5:6], v[5:6], v[7:8]
	;; [unrolled: 1-line block ×4, first 2 shown]
	s_waitcnt vmcnt(2)
	v_add_f64 v[1:2], v[119:120], -v[1:2]
	s_waitcnt vmcnt(0)
	v_add_f64 v[3:4], v[182:183], -v[3:4]
	buffer_store_dword v2, off, s[0:3], 0 offset:564
	buffer_store_dword v1, off, s[0:3], 0 offset:560
	;; [unrolled: 1-line block ×4, first 2 shown]
	v_cmpx_lt_u32_e32 33, v0
	s_cbranch_execz .LBB114_253
; %bb.252:
	v_mov_b32_e32 v4, s29
	v_mov_b32_e32 v5, 0
	s_clause 0x3
	buffer_load_dword v1, v4, s[0:3], 0 offen
	buffer_load_dword v2, v4, s[0:3], 0 offen offset:4
	buffer_load_dword v3, v4, s[0:3], 0 offen offset:8
	;; [unrolled: 1-line block ×3, first 2 shown]
	buffer_store_dword v5, off, s[0:3], 0 offset:544
	buffer_store_dword v5, off, s[0:3], 0 offset:548
	;; [unrolled: 1-line block ×4, first 2 shown]
	s_waitcnt vmcnt(0)
	ds_write_b128 v171, v[1:4]
.LBB114_253:
	s_or_b32 exec_lo, exec_lo, s4
	s_waitcnt lgkmcnt(0)
	s_waitcnt_vscnt null, 0x0
	s_barrier
	buffer_gl0_inv
	s_clause 0x37
	buffer_load_dword v6, off, s[0:3], 0 offset:568
	buffer_load_dword v7, off, s[0:3], 0 offset:572
	;; [unrolled: 1-line block ×56, first 2 shown]
	v_mov_b32_e32 v1, 0
	s_mov_b32 s4, exec_lo
	ds_read_b128 v[2:5], v1 offset:1360
	s_clause 0x2
	buffer_load_dword v173, off, s[0:3], 0 offset:796
	buffer_load_dword v177, off, s[0:3], 0 offset:772
	;; [unrolled: 1-line block ×3, first 2 shown]
	ds_read_b128 v[111:114], v1 offset:1376
	s_clause 0x4
	buffer_load_dword v181, off, s[0:3], 0 offset:812
	buffer_load_dword v182, off, s[0:3], 0 offset:824
	;; [unrolled: 1-line block ×5, first 2 shown]
	ds_read_b128 v[115:118], v1 offset:1392
	s_waitcnt vmcnt(62) lgkmcnt(2)
	v_mul_f64 v[178:179], v[4:5], v[6:7]
	v_mul_f64 v[6:7], v[2:3], v[6:7]
	s_waitcnt vmcnt(60) lgkmcnt(1)
	v_mul_f64 v[185:186], v[113:114], v[119:120]
	v_mul_f64 v[119:120], v[111:112], v[119:120]
	;; [unrolled: 3-line block ×3, first 2 shown]
	v_fma_f64 v[178:179], v[2:3], v[121:122], -v[178:179]
	v_fma_f64 v[6:7], v[4:5], v[121:122], v[6:7]
	s_clause 0x2
	buffer_load_dword v183, off, s[0:3], 0 offset:828
	buffer_load_dword v122, off, s[0:3], 0 offset:804
	;; [unrolled: 1-line block ×3, first 2 shown]
	s_waitcnt vmcnt(57)
	v_fma_f64 v[189:190], v[111:112], v[125:126], -v[185:186]
	ds_read_b128 v[2:5], v1 offset:1408
	v_fma_f64 v[119:120], v[113:114], v[125:126], v[119:120]
	buffer_load_dword v185, off, s[0:3], 0 offset:820
	ds_read_b128 v[111:114], v1 offset:1424
	s_waitcnt vmcnt(52)
	v_fma_f64 v[123:124], v[115:116], v[133:134], -v[123:124]
	v_fma_f64 v[133:134], v[117:118], v[133:134], v[187:188]
	ds_read_b128 v[115:118], v1 offset:1440
	v_add_f64 v[178:179], v[178:179], 0
	v_add_f64 v[6:7], v[6:7], 0
	s_waitcnt lgkmcnt(2)
	v_mul_f64 v[125:126], v[2:3], v[127:128]
	v_mul_f64 v[127:128], v[4:5], v[127:128]
	v_add_f64 v[178:179], v[178:179], v[189:190]
	v_add_f64 v[6:7], v[6:7], v[119:120]
	s_waitcnt vmcnt(51) lgkmcnt(1)
	v_mul_f64 v[119:120], v[111:112], v[129:130]
	v_mul_f64 v[129:130], v[113:114], v[129:130]
	s_waitcnt vmcnt(49)
	v_fma_f64 v[127:128], v[2:3], v[135:136], -v[127:128]
	v_fma_f64 v[125:126], v[4:5], v[135:136], v[125:126]
	v_add_f64 v[123:124], v[178:179], v[123:124]
	v_add_f64 v[6:7], v[6:7], v[133:134]
	s_clause 0x3
	buffer_load_dword v133, off, s[0:3], 0 offset:544
	buffer_load_dword v134, off, s[0:3], 0 offset:548
	;; [unrolled: 1-line block ×4, first 2 shown]
	s_waitcnt vmcnt(49) lgkmcnt(0)
	v_mul_f64 v[178:179], v[115:116], v[137:138]
	v_mul_f64 v[137:138], v[117:118], v[137:138]
	s_waitcnt vmcnt(48)
	v_fma_f64 v[129:130], v[111:112], v[131:132], -v[129:130]
	ds_read_b128 v[2:5], v1 offset:1456
	v_fma_f64 v[119:120], v[113:114], v[131:132], v[119:120]
	ds_read_b128 v[111:114], v1 offset:1472
	v_add_f64 v[123:124], v[123:124], v[127:128]
	v_add_f64 v[6:7], v[6:7], v[125:126]
	s_waitcnt vmcnt(47) lgkmcnt(1)
	v_mul_f64 v[127:128], v[4:5], v[139:140]
	s_waitcnt vmcnt(45)
	v_fma_f64 v[131:132], v[115:116], v[143:144], -v[137:138]
	v_mul_f64 v[125:126], v[2:3], v[139:140]
	s_waitcnt vmcnt(41) lgkmcnt(0)
	v_mul_f64 v[137:138], v[113:114], v[145:146]
	v_add_f64 v[123:124], v[123:124], v[129:130]
	v_fma_f64 v[129:130], v[117:118], v[143:144], v[178:179]
	v_add_f64 v[6:7], v[6:7], v[119:120]
	ds_read_b128 v[115:118], v1 offset:1488
	s_waitcnt vmcnt(40)
	v_fma_f64 v[127:128], v[2:3], v[141:142], -v[127:128]
	v_mul_f64 v[119:120], v[111:112], v[145:146]
	v_fma_f64 v[125:126], v[4:5], v[141:142], v[125:126]
	ds_read_b128 v[2:5], v1 offset:1504
	s_waitcnt vmcnt(37)
	v_fma_f64 v[137:138], v[111:112], v[151:152], -v[137:138]
	v_add_f64 v[123:124], v[123:124], v[131:132]
	s_waitcnt lgkmcnt(1)
	v_mul_f64 v[131:132], v[117:118], v[147:148]
	v_add_f64 v[6:7], v[6:7], v[129:130]
	v_mul_f64 v[129:130], v[115:116], v[147:148]
	v_fma_f64 v[119:120], v[113:114], v[151:152], v[119:120]
	ds_read_b128 v[111:114], v1 offset:1520
	v_add_f64 v[123:124], v[123:124], v[127:128]
	s_waitcnt vmcnt(33) lgkmcnt(1)
	v_mul_f64 v[127:128], v[4:5], v[153:154]
	v_add_f64 v[6:7], v[6:7], v[125:126]
	s_waitcnt vmcnt(32)
	v_fma_f64 v[131:132], v[115:116], v[149:150], -v[131:132]
	v_mul_f64 v[125:126], v[2:3], v[153:154]
	v_fma_f64 v[129:130], v[117:118], v[149:150], v[129:130]
	ds_read_b128 v[115:118], v1 offset:1536
	v_add_f64 v[123:124], v[123:124], v[137:138]
	s_waitcnt vmcnt(31) lgkmcnt(1)
	v_mul_f64 v[137:138], v[113:114], v[155:156]
	v_add_f64 v[6:7], v[6:7], v[119:120]
	s_waitcnt vmcnt(29)
	v_fma_f64 v[127:128], v[2:3], v[159:160], -v[127:128]
	;; [unrolled: 9-line block ×7, first 2 shown]
	v_mul_f64 v[125:126], v[2:3], v[180:181]
	v_fma_f64 v[117:118], v[117:118], v[174:175], v[129:130]
	v_add_f64 v[123:124], v[123:124], v[137:138]
	v_add_f64 v[6:7], v[6:7], v[119:120]
	s_waitcnt vmcnt(7) lgkmcnt(0)
	v_mul_f64 v[129:130], v[113:114], v[182:183]
	v_mul_f64 v[119:120], v[111:112], v[182:183]
	s_waitcnt vmcnt(5)
	v_fma_f64 v[2:3], v[2:3], v[121:122], -v[127:128]
	v_fma_f64 v[4:5], v[4:5], v[121:122], v[125:126]
	v_add_f64 v[115:116], v[123:124], v[115:116]
	v_add_f64 v[6:7], v[6:7], v[117:118]
	s_waitcnt vmcnt(4)
	v_fma_f64 v[111:112], v[111:112], v[184:185], -v[129:130]
	v_fma_f64 v[113:114], v[113:114], v[184:185], v[119:120]
	v_add_f64 v[2:3], v[115:116], v[2:3]
	v_add_f64 v[4:5], v[6:7], v[4:5]
	;; [unrolled: 1-line block ×4, first 2 shown]
	s_waitcnt vmcnt(2)
	v_add_f64 v[2:3], v[133:134], -v[2:3]
	s_waitcnt vmcnt(0)
	v_add_f64 v[4:5], v[135:136], -v[4:5]
	buffer_store_dword v3, off, s[0:3], 0 offset:548
	buffer_store_dword v2, off, s[0:3], 0 offset:544
	;; [unrolled: 1-line block ×4, first 2 shown]
	v_cmpx_lt_u32_e32 32, v0
	s_cbranch_execz .LBB114_255
; %bb.254:
	v_mov_b32_e32 v5, s30
	s_clause 0x3
	buffer_load_dword v2, v5, s[0:3], 0 offen
	buffer_load_dword v3, v5, s[0:3], 0 offen offset:4
	buffer_load_dword v4, v5, s[0:3], 0 offen offset:8
	;; [unrolled: 1-line block ×3, first 2 shown]
	buffer_store_dword v1, off, s[0:3], 0 offset:528
	buffer_store_dword v1, off, s[0:3], 0 offset:532
	;; [unrolled: 1-line block ×4, first 2 shown]
	s_waitcnt vmcnt(0)
	ds_write_b128 v171, v[2:5]
.LBB114_255:
	s_or_b32 exec_lo, exec_lo, s4
	s_waitcnt lgkmcnt(0)
	s_waitcnt_vscnt null, 0x0
	s_barrier
	buffer_gl0_inv
	s_clause 0x35
	buffer_load_dword v6, off, s[0:3], 0 offset:552
	buffer_load_dword v7, off, s[0:3], 0 offset:556
	;; [unrolled: 1-line block ×54, first 2 shown]
	ds_read_b128 v[2:5], v1 offset:1344
	s_clause 0x3
	buffer_load_dword v172, off, s[0:3], 0 offset:776
	buffer_load_dword v173, off, s[0:3], 0 offset:780
	buffer_load_dword v175, off, s[0:3], 0 offset:756
	buffer_load_dword v174, off, s[0:3], 0 offset:752
	ds_read_b128 v[111:114], v1 offset:1360
	s_clause 0x3
	buffer_load_dword v179, off, s[0:3], 0 offset:796
	buffer_load_dword v178, off, s[0:3], 0 offset:792
	;; [unrolled: 1-line block ×4, first 2 shown]
	ds_read_b128 v[115:118], v1 offset:1376
	s_mov_b32 s4, exec_lo
	s_waitcnt vmcnt(60) lgkmcnt(2)
	v_mul_f64 v[176:177], v[4:5], v[6:7]
	v_mul_f64 v[6:7], v[2:3], v[6:7]
	s_waitcnt vmcnt(58) lgkmcnt(1)
	v_mul_f64 v[182:183], v[113:114], v[119:120]
	v_mul_f64 v[119:120], v[111:112], v[119:120]
	;; [unrolled: 3-line block ×3, first 2 shown]
	v_fma_f64 v[176:177], v[2:3], v[121:122], -v[176:177]
	v_fma_f64 v[6:7], v[4:5], v[121:122], v[6:7]
	s_clause 0x3
	buffer_load_dword v121, off, s[0:3], 0 offset:808
	buffer_load_dword v122, off, s[0:3], 0 offset:812
	;; [unrolled: 1-line block ×4, first 2 shown]
	s_waitcnt vmcnt(56)
	v_fma_f64 v[182:183], v[111:112], v[125:126], -v[182:183]
	ds_read_b128 v[2:5], v1 offset:1392
	v_fma_f64 v[119:120], v[113:114], v[125:126], v[119:120]
	s_clause 0x3
	buffer_load_dword v126, off, s[0:3], 0 offset:828
	buffer_load_dword v125, off, s[0:3], 0 offset:824
	buffer_load_dword v188, off, s[0:3], 0 offset:800
	buffer_load_dword v189, off, s[0:3], 0 offset:804
	s_waitcnt vmcnt(56)
	v_fma_f64 v[123:124], v[115:116], v[129:130], -v[123:124]
	ds_read_b128 v[111:114], v1 offset:1408
	v_fma_f64 v[129:130], v[117:118], v[129:130], v[186:187]
	v_add_f64 v[176:177], v[176:177], 0
	v_add_f64 v[6:7], v[6:7], 0
	s_waitcnt lgkmcnt(1)
	v_mul_f64 v[190:191], v[2:3], v[127:128]
	v_mul_f64 v[127:128], v[4:5], v[127:128]
	v_add_f64 v[176:177], v[176:177], v[182:183]
	v_add_f64 v[6:7], v[6:7], v[119:120]
	s_clause 0x1
	buffer_load_dword v120, off, s[0:3], 0 offset:820
	buffer_load_dword v119, off, s[0:3], 0 offset:816
	s_waitcnt vmcnt(56) lgkmcnt(0)
	v_mul_f64 v[182:183], v[111:112], v[131:132]
	v_mul_f64 v[131:132], v[113:114], v[131:132]
	s_waitcnt vmcnt(54)
	v_fma_f64 v[127:128], v[2:3], v[133:134], -v[127:128]
	ds_read_b128 v[115:118], v1 offset:1424
	v_fma_f64 v[133:134], v[4:5], v[133:134], v[190:191]
	ds_read_b128 v[2:5], v1 offset:1440
	v_add_f64 v[123:124], v[176:177], v[123:124]
	v_add_f64 v[6:7], v[6:7], v[129:130]
	s_waitcnt vmcnt(52) lgkmcnt(1)
	v_mul_f64 v[129:130], v[115:116], v[135:136]
	v_mul_f64 v[135:136], v[117:118], v[135:136]
	s_waitcnt vmcnt(50)
	v_fma_f64 v[131:132], v[111:112], v[137:138], -v[131:132]
	s_waitcnt vmcnt(48) lgkmcnt(0)
	v_mul_f64 v[176:177], v[2:3], v[139:140]
	v_mul_f64 v[139:140], v[4:5], v[139:140]
	v_add_f64 v[123:124], v[123:124], v[127:128]
	v_fma_f64 v[127:128], v[113:114], v[137:138], v[182:183]
	v_add_f64 v[6:7], v[6:7], v[133:134]
	s_clause 0x3
	buffer_load_dword v133, off, s[0:3], 0 offset:528
	buffer_load_dword v134, off, s[0:3], 0 offset:532
	buffer_load_dword v137, off, s[0:3], 0 offset:536
	buffer_load_dword v138, off, s[0:3], 0 offset:540
	ds_read_b128 v[111:114], v1 offset:1456
	s_waitcnt vmcnt(50)
	v_fma_f64 v[135:136], v[115:116], v[141:142], -v[135:136]
	v_fma_f64 v[129:130], v[117:118], v[141:142], v[129:130]
	ds_read_b128 v[115:118], v1 offset:1472
	s_waitcnt vmcnt(46)
	v_fma_f64 v[139:140], v[2:3], v[145:146], -v[139:140]
	v_add_f64 v[123:124], v[123:124], v[131:132]
	v_add_f64 v[6:7], v[6:7], v[127:128]
	s_waitcnt lgkmcnt(1)
	v_mul_f64 v[131:132], v[113:114], v[143:144]
	v_mul_f64 v[127:128], v[111:112], v[143:144]
	s_waitcnt vmcnt(44) lgkmcnt(0)
	v_mul_f64 v[141:142], v[117:118], v[147:148]
	v_add_f64 v[123:124], v[123:124], v[135:136]
	v_fma_f64 v[135:136], v[4:5], v[145:146], v[176:177]
	v_add_f64 v[6:7], v[6:7], v[129:130]
	s_waitcnt vmcnt(42)
	v_fma_f64 v[131:132], v[111:112], v[149:150], -v[131:132]
	ds_read_b128 v[2:5], v1 offset:1488
	v_mul_f64 v[129:130], v[115:116], v[147:148]
	v_fma_f64 v[127:128], v[113:114], v[149:150], v[127:128]
	ds_read_b128 v[111:114], v1 offset:1504
	s_waitcnt vmcnt(38)
	v_fma_f64 v[141:142], v[115:116], v[153:154], -v[141:142]
	v_add_f64 v[123:124], v[123:124], v[139:140]
	v_add_f64 v[6:7], v[6:7], v[135:136]
	s_waitcnt lgkmcnt(1)
	v_mul_f64 v[139:140], v[4:5], v[151:152]
	v_mul_f64 v[135:136], v[2:3], v[151:152]
	v_fma_f64 v[129:130], v[117:118], v[153:154], v[129:130]
	ds_read_b128 v[115:118], v1 offset:1520
	v_add_f64 v[123:124], v[123:124], v[131:132]
	s_waitcnt vmcnt(36) lgkmcnt(1)
	v_mul_f64 v[131:132], v[113:114], v[155:156]
	v_add_f64 v[6:7], v[6:7], v[127:128]
	s_waitcnt vmcnt(34)
	v_fma_f64 v[139:140], v[2:3], v[157:158], -v[139:140]
	v_mul_f64 v[127:128], v[111:112], v[155:156]
	v_fma_f64 v[135:136], v[4:5], v[157:158], v[135:136]
	ds_read_b128 v[2:5], v1 offset:1536
	v_add_f64 v[123:124], v[123:124], v[141:142]
	s_waitcnt vmcnt(32) lgkmcnt(1)
	v_mul_f64 v[141:142], v[117:118], v[159:160]
	v_add_f64 v[6:7], v[6:7], v[129:130]
	s_waitcnt vmcnt(30)
	v_fma_f64 v[131:132], v[111:112], v[161:162], -v[131:132]
	;; [unrolled: 9-line block ×6, first 2 shown]
	v_mul_f64 v[135:136], v[2:3], v[178:179]
	v_fma_f64 v[129:130], v[117:118], v[180:181], v[129:130]
	ds_read_b128 v[115:118], v1 offset:1616
	v_add_f64 v[123:124], v[123:124], v[131:132]
	v_add_f64 v[6:7], v[6:7], v[127:128]
	s_waitcnt vmcnt(12) lgkmcnt(1)
	v_mul_f64 v[127:128], v[111:112], v[121:122]
	v_mul_f64 v[121:122], v[113:114], v[121:122]
	s_waitcnt vmcnt(10)
	v_fma_f64 v[1:2], v[2:3], v[184:185], -v[139:140]
	v_fma_f64 v[3:4], v[4:5], v[184:185], v[135:136]
	v_add_f64 v[123:124], v[123:124], v[141:142]
	v_add_f64 v[5:6], v[6:7], v[129:130]
	s_waitcnt vmcnt(8) lgkmcnt(0)
	v_mul_f64 v[7:8], v[115:116], v[125:126]
	v_mul_f64 v[125:126], v[117:118], v[125:126]
	s_waitcnt vmcnt(6)
	v_fma_f64 v[113:114], v[113:114], v[188:189], v[127:128]
	v_fma_f64 v[111:112], v[111:112], v[188:189], -v[121:122]
	v_add_f64 v[1:2], v[123:124], v[1:2]
	v_add_f64 v[3:4], v[5:6], v[3:4]
	s_waitcnt vmcnt(4)
	v_fma_f64 v[5:6], v[115:116], v[119:120], -v[125:126]
	v_fma_f64 v[7:8], v[117:118], v[119:120], v[7:8]
	v_add_f64 v[1:2], v[1:2], v[111:112]
	v_add_f64 v[3:4], v[3:4], v[113:114]
	;; [unrolled: 1-line block ×4, first 2 shown]
	s_waitcnt vmcnt(2)
	v_add_f64 v[1:2], v[133:134], -v[1:2]
	s_waitcnt vmcnt(0)
	v_add_f64 v[3:4], v[137:138], -v[3:4]
	buffer_store_dword v2, off, s[0:3], 0 offset:532
	buffer_store_dword v1, off, s[0:3], 0 offset:528
	;; [unrolled: 1-line block ×4, first 2 shown]
	v_cmpx_lt_u32_e32 31, v0
	s_cbranch_execz .LBB114_257
; %bb.256:
	v_mov_b32_e32 v4, s31
	v_mov_b32_e32 v5, 0
	s_clause 0x3
	buffer_load_dword v1, v4, s[0:3], 0 offen
	buffer_load_dword v2, v4, s[0:3], 0 offen offset:4
	buffer_load_dword v3, v4, s[0:3], 0 offen offset:8
	;; [unrolled: 1-line block ×3, first 2 shown]
	buffer_store_dword v5, off, s[0:3], 0 offset:512
	buffer_store_dword v5, off, s[0:3], 0 offset:516
	;; [unrolled: 1-line block ×4, first 2 shown]
	s_waitcnt vmcnt(0)
	ds_write_b128 v171, v[1:4]
.LBB114_257:
	s_or_b32 exec_lo, exec_lo, s4
	s_waitcnt lgkmcnt(0)
	s_waitcnt_vscnt null, 0x0
	s_barrier
	buffer_gl0_inv
	s_clause 0x37
	buffer_load_dword v6, off, s[0:3], 0 offset:536
	buffer_load_dword v7, off, s[0:3], 0 offset:540
	;; [unrolled: 1-line block ×56, first 2 shown]
	v_mov_b32_e32 v1, 0
	s_mov_b32 s4, exec_lo
	ds_read_b128 v[2:5], v1 offset:1328
	s_clause 0x2
	buffer_load_dword v173, off, s[0:3], 0 offset:764
	buffer_load_dword v177, off, s[0:3], 0 offset:740
	;; [unrolled: 1-line block ×3, first 2 shown]
	ds_read_b128 v[111:114], v1 offset:1344
	s_clause 0x4
	buffer_load_dword v181, off, s[0:3], 0 offset:780
	buffer_load_dword v182, off, s[0:3], 0 offset:792
	;; [unrolled: 1-line block ×5, first 2 shown]
	ds_read_b128 v[115:118], v1 offset:1360
	s_waitcnt vmcnt(62) lgkmcnt(2)
	v_mul_f64 v[178:179], v[4:5], v[6:7]
	v_mul_f64 v[6:7], v[2:3], v[6:7]
	s_waitcnt vmcnt(60) lgkmcnt(1)
	v_mul_f64 v[185:186], v[113:114], v[119:120]
	v_mul_f64 v[119:120], v[111:112], v[119:120]
	;; [unrolled: 3-line block ×3, first 2 shown]
	v_fma_f64 v[178:179], v[2:3], v[121:122], -v[178:179]
	v_fma_f64 v[6:7], v[4:5], v[121:122], v[6:7]
	s_clause 0x2
	buffer_load_dword v183, off, s[0:3], 0 offset:796
	buffer_load_dword v122, off, s[0:3], 0 offset:772
	;; [unrolled: 1-line block ×3, first 2 shown]
	s_waitcnt vmcnt(57)
	v_fma_f64 v[189:190], v[111:112], v[125:126], -v[185:186]
	ds_read_b128 v[2:5], v1 offset:1376
	v_fma_f64 v[119:120], v[113:114], v[125:126], v[119:120]
	s_clause 0x4
	buffer_load_dword v126, off, s[0:3], 0 offset:812
	buffer_load_dword v186, off, s[0:3], 0 offset:824
	;; [unrolled: 1-line block ×5, first 2 shown]
	s_waitcnt vmcnt(56)
	v_fma_f64 v[123:124], v[115:116], v[133:134], -v[123:124]
	ds_read_b128 v[111:114], v1 offset:1392
	v_fma_f64 v[133:134], v[117:118], v[133:134], v[187:188]
	v_add_f64 v[178:179], v[178:179], 0
	v_add_f64 v[6:7], v[6:7], 0
	s_waitcnt lgkmcnt(1)
	v_mul_f64 v[192:193], v[2:3], v[127:128]
	v_mul_f64 v[127:128], v[4:5], v[127:128]
	v_add_f64 v[178:179], v[178:179], v[189:190]
	v_add_f64 v[6:7], v[6:7], v[119:120]
	s_clause 0x2
	buffer_load_dword v187, off, s[0:3], 0 offset:828
	buffer_load_dword v120, off, s[0:3], 0 offset:804
	;; [unrolled: 1-line block ×3, first 2 shown]
	s_waitcnt vmcnt(58) lgkmcnt(0)
	v_mul_f64 v[188:189], v[111:112], v[129:130]
	v_mul_f64 v[129:130], v[113:114], v[129:130]
	s_waitcnt vmcnt(56)
	v_fma_f64 v[127:128], v[2:3], v[135:136], -v[127:128]
	ds_read_b128 v[115:118], v1 offset:1408
	v_fma_f64 v[135:136], v[4:5], v[135:136], v[192:193]
	buffer_load_dword v192, off, s[0:3], 0 offset:820
	ds_read_b128 v[2:5], v1 offset:1424
	v_add_f64 v[123:124], v[178:179], v[123:124]
	v_add_f64 v[6:7], v[6:7], v[133:134]
	s_waitcnt vmcnt(53) lgkmcnt(1)
	v_mul_f64 v[133:134], v[115:116], v[137:138]
	v_mul_f64 v[137:138], v[117:118], v[137:138]
	s_waitcnt vmcnt(52)
	v_fma_f64 v[129:130], v[111:112], v[131:132], -v[129:130]
	v_add_f64 v[123:124], v[123:124], v[127:128]
	v_fma_f64 v[127:128], v[113:114], v[131:132], v[188:189]
	v_add_f64 v[6:7], v[6:7], v[135:136]
	s_waitcnt vmcnt(51) lgkmcnt(0)
	v_mul_f64 v[135:136], v[4:5], v[139:140]
	ds_read_b128 v[111:114], v1 offset:1440
	s_waitcnt vmcnt(49)
	v_fma_f64 v[137:138], v[115:116], v[143:144], -v[137:138]
	v_mul_f64 v[131:132], v[2:3], v[139:140]
	v_add_f64 v[123:124], v[123:124], v[129:130]
	v_fma_f64 v[129:130], v[117:118], v[143:144], v[133:134]
	v_add_f64 v[6:7], v[6:7], v[127:128]
	s_clause 0x3
	buffer_load_dword v127, off, s[0:3], 0 offset:512
	buffer_load_dword v128, off, s[0:3], 0 offset:516
	;; [unrolled: 1-line block ×4, first 2 shown]
	s_waitcnt vmcnt(49) lgkmcnt(0)
	v_mul_f64 v[143:144], v[113:114], v[145:146]
	s_waitcnt vmcnt(48)
	v_fma_f64 v[135:136], v[2:3], v[141:142], -v[135:136]
	ds_read_b128 v[115:118], v1 offset:1456
	v_mul_f64 v[139:140], v[111:112], v[145:146]
	v_fma_f64 v[131:132], v[4:5], v[141:142], v[131:132]
	ds_read_b128 v[2:5], v1 offset:1472
	v_add_f64 v[123:124], v[123:124], v[137:138]
	v_add_f64 v[6:7], v[6:7], v[129:130]
	s_waitcnt vmcnt(47) lgkmcnt(1)
	v_mul_f64 v[137:138], v[117:118], v[147:148]
	s_waitcnt vmcnt(45)
	v_fma_f64 v[141:142], v[111:112], v[151:152], -v[143:144]
	v_mul_f64 v[129:130], v[115:116], v[147:148]
	v_add_f64 v[123:124], v[123:124], v[135:136]
	v_fma_f64 v[135:136], v[113:114], v[151:152], v[139:140]
	v_add_f64 v[6:7], v[6:7], v[131:132]
	s_waitcnt vmcnt(41) lgkmcnt(0)
	v_mul_f64 v[139:140], v[4:5], v[153:154]
	s_waitcnt vmcnt(40)
	v_fma_f64 v[137:138], v[115:116], v[149:150], -v[137:138]
	ds_read_b128 v[111:114], v1 offset:1488
	v_mul_f64 v[131:132], v[2:3], v[153:154]
	v_fma_f64 v[129:130], v[117:118], v[149:150], v[129:130]
	ds_read_b128 v[115:118], v1 offset:1504
	v_add_f64 v[123:124], v[123:124], v[141:142]
	v_add_f64 v[6:7], v[6:7], v[135:136]
	s_waitcnt vmcnt(39) lgkmcnt(1)
	v_mul_f64 v[141:142], v[113:114], v[155:156]
	s_waitcnt vmcnt(37)
	v_fma_f64 v[139:140], v[2:3], v[159:160], -v[139:140]
	v_mul_f64 v[135:136], v[111:112], v[155:156]
	v_fma_f64 v[131:132], v[4:5], v[159:160], v[131:132]
	ds_read_b128 v[2:5], v1 offset:1520
	v_add_f64 v[123:124], v[123:124], v[137:138]
	s_waitcnt vmcnt(33) lgkmcnt(1)
	v_mul_f64 v[137:138], v[117:118], v[161:162]
	v_add_f64 v[6:7], v[6:7], v[129:130]
	s_waitcnt vmcnt(32)
	v_fma_f64 v[141:142], v[111:112], v[157:158], -v[141:142]
	v_mul_f64 v[129:130], v[115:116], v[161:162]
	v_fma_f64 v[135:136], v[113:114], v[157:158], v[135:136]
	ds_read_b128 v[111:114], v1 offset:1536
	v_add_f64 v[123:124], v[123:124], v[139:140]
	s_waitcnt vmcnt(31) lgkmcnt(1)
	v_mul_f64 v[139:140], v[4:5], v[163:164]
	v_add_f64 v[6:7], v[6:7], v[131:132]
	;; [unrolled: 9-line block ×5, first 2 shown]
	s_waitcnt vmcnt(16)
	v_fma_f64 v[137:138], v[115:116], v[174:175], -v[137:138]
	v_mul_f64 v[131:132], v[2:3], v[180:181]
	v_fma_f64 v[129:130], v[117:118], v[174:175], v[129:130]
	ds_read_b128 v[115:118], v1 offset:1600
	v_add_f64 v[123:124], v[123:124], v[141:142]
	v_add_f64 v[6:7], v[6:7], v[135:136]
	s_waitcnt vmcnt(15) lgkmcnt(1)
	v_mul_f64 v[141:142], v[113:114], v[182:183]
	v_mul_f64 v[135:136], v[111:112], v[182:183]
	s_waitcnt vmcnt(13)
	v_fma_f64 v[139:140], v[2:3], v[121:122], -v[139:140]
	v_fma_f64 v[121:122], v[4:5], v[121:122], v[131:132]
	ds_read_b128 v[2:5], v1 offset:1616
	v_add_f64 v[123:124], v[123:124], v[137:138]
	v_add_f64 v[6:7], v[6:7], v[129:130]
	s_waitcnt vmcnt(9) lgkmcnt(1)
	v_mul_f64 v[129:130], v[115:116], v[125:126]
	v_mul_f64 v[125:126], v[117:118], v[125:126]
	s_waitcnt vmcnt(8)
	v_fma_f64 v[111:112], v[111:112], v[184:185], -v[141:142]
	v_fma_f64 v[113:114], v[113:114], v[184:185], v[135:136]
	v_add_f64 v[123:124], v[123:124], v[139:140]
	v_add_f64 v[6:7], v[6:7], v[121:122]
	s_waitcnt vmcnt(7) lgkmcnt(0)
	v_mul_f64 v[131:132], v[4:5], v[186:187]
	v_mul_f64 v[121:122], v[2:3], v[186:187]
	s_waitcnt vmcnt(5)
	v_fma_f64 v[115:116], v[115:116], v[119:120], -v[125:126]
	v_fma_f64 v[117:118], v[117:118], v[119:120], v[129:130]
	v_add_f64 v[111:112], v[123:124], v[111:112]
	v_add_f64 v[6:7], v[6:7], v[113:114]
	s_waitcnt vmcnt(4)
	v_fma_f64 v[2:3], v[2:3], v[191:192], -v[131:132]
	v_fma_f64 v[4:5], v[4:5], v[191:192], v[121:122]
	v_add_f64 v[111:112], v[111:112], v[115:116]
	v_add_f64 v[6:7], v[6:7], v[117:118]
	v_add_f64 v[2:3], v[111:112], v[2:3]
	v_add_f64 v[4:5], v[6:7], v[4:5]
	s_waitcnt vmcnt(2)
	v_add_f64 v[2:3], v[127:128], -v[2:3]
	s_waitcnt vmcnt(0)
	v_add_f64 v[4:5], v[133:134], -v[4:5]
	buffer_store_dword v3, off, s[0:3], 0 offset:516
	buffer_store_dword v2, off, s[0:3], 0 offset:512
	;; [unrolled: 1-line block ×4, first 2 shown]
	v_cmpx_lt_u32_e32 30, v0
	s_cbranch_execz .LBB114_259
; %bb.258:
	v_mov_b32_e32 v5, s33
	s_clause 0x3
	buffer_load_dword v2, v5, s[0:3], 0 offen
	buffer_load_dword v3, v5, s[0:3], 0 offen offset:4
	buffer_load_dword v4, v5, s[0:3], 0 offen offset:8
	;; [unrolled: 1-line block ×3, first 2 shown]
	buffer_store_dword v1, off, s[0:3], 0 offset:496
	buffer_store_dword v1, off, s[0:3], 0 offset:500
	;; [unrolled: 1-line block ×4, first 2 shown]
	s_waitcnt vmcnt(0)
	ds_write_b128 v171, v[2:5]
.LBB114_259:
	s_or_b32 exec_lo, exec_lo, s4
	s_waitcnt lgkmcnt(0)
	s_waitcnt_vscnt null, 0x0
	s_barrier
	buffer_gl0_inv
	s_clause 0x37
	buffer_load_dword v6, off, s[0:3], 0 offset:520
	buffer_load_dword v7, off, s[0:3], 0 offset:524
	;; [unrolled: 1-line block ×56, first 2 shown]
	ds_read_b128 v[2:5], v1 offset:1312
	s_clause 0x2
	buffer_load_dword v173, off, s[0:3], 0 offset:748
	buffer_load_dword v177, off, s[0:3], 0 offset:724
	;; [unrolled: 1-line block ×3, first 2 shown]
	ds_read_b128 v[111:114], v1 offset:1328
	s_clause 0x4
	buffer_load_dword v181, off, s[0:3], 0 offset:764
	buffer_load_dword v182, off, s[0:3], 0 offset:776
	;; [unrolled: 1-line block ×5, first 2 shown]
	ds_read_b128 v[115:118], v1 offset:1344
	s_mov_b32 s4, exec_lo
	s_waitcnt vmcnt(62) lgkmcnt(2)
	v_mul_f64 v[178:179], v[4:5], v[6:7]
	v_mul_f64 v[6:7], v[2:3], v[6:7]
	s_waitcnt vmcnt(60) lgkmcnt(1)
	v_mul_f64 v[185:186], v[113:114], v[119:120]
	v_mul_f64 v[119:120], v[111:112], v[119:120]
	;; [unrolled: 3-line block ×3, first 2 shown]
	v_fma_f64 v[178:179], v[2:3], v[121:122], -v[178:179]
	v_fma_f64 v[6:7], v[4:5], v[121:122], v[6:7]
	s_clause 0x2
	buffer_load_dword v183, off, s[0:3], 0 offset:780
	buffer_load_dword v122, off, s[0:3], 0 offset:756
	;; [unrolled: 1-line block ×3, first 2 shown]
	s_waitcnt vmcnt(57)
	v_fma_f64 v[189:190], v[111:112], v[125:126], -v[185:186]
	ds_read_b128 v[2:5], v1 offset:1360
	v_fma_f64 v[119:120], v[113:114], v[125:126], v[119:120]
	s_clause 0x4
	buffer_load_dword v126, off, s[0:3], 0 offset:796
	buffer_load_dword v186, off, s[0:3], 0 offset:808
	buffer_load_dword v191, off, s[0:3], 0 offset:800
	buffer_load_dword v125, off, s[0:3], 0 offset:792
	buffer_load_dword v185, off, s[0:3], 0 offset:772
	s_waitcnt vmcnt(56)
	v_fma_f64 v[123:124], v[115:116], v[133:134], -v[123:124]
	ds_read_b128 v[111:114], v1 offset:1376
	v_fma_f64 v[133:134], v[117:118], v[133:134], v[187:188]
	v_add_f64 v[178:179], v[178:179], 0
	v_add_f64 v[6:7], v[6:7], 0
	s_waitcnt lgkmcnt(1)
	v_mul_f64 v[192:193], v[2:3], v[127:128]
	v_mul_f64 v[127:128], v[4:5], v[127:128]
	v_add_f64 v[178:179], v[178:179], v[189:190]
	v_add_f64 v[6:7], v[6:7], v[119:120]
	s_clause 0x2
	buffer_load_dword v187, off, s[0:3], 0 offset:812
	buffer_load_dword v120, off, s[0:3], 0 offset:788
	;; [unrolled: 1-line block ×3, first 2 shown]
	s_waitcnt vmcnt(58) lgkmcnt(0)
	v_mul_f64 v[188:189], v[111:112], v[129:130]
	v_mul_f64 v[129:130], v[113:114], v[129:130]
	s_waitcnt vmcnt(56)
	v_fma_f64 v[127:128], v[2:3], v[135:136], -v[127:128]
	ds_read_b128 v[115:118], v1 offset:1392
	v_fma_f64 v[135:136], v[4:5], v[135:136], v[192:193]
	v_add_f64 v[123:124], v[178:179], v[123:124]
	v_add_f64 v[6:7], v[6:7], v[133:134]
	s_clause 0x2
	buffer_load_dword v134, off, s[0:3], 0 offset:828
	buffer_load_dword v133, off, s[0:3], 0 offset:824
	buffer_load_dword v192, off, s[0:3], 0 offset:804
	ds_read_b128 v[2:5], v1 offset:1408
	s_waitcnt vmcnt(55) lgkmcnt(1)
	v_mul_f64 v[178:179], v[115:116], v[137:138]
	v_mul_f64 v[137:138], v[117:118], v[137:138]
	s_waitcnt vmcnt(54)
	v_fma_f64 v[129:130], v[111:112], v[131:132], -v[129:130]
	v_add_f64 v[123:124], v[123:124], v[127:128]
	v_fma_f64 v[127:128], v[113:114], v[131:132], v[188:189]
	v_add_f64 v[6:7], v[6:7], v[135:136]
	s_clause 0x1
	buffer_load_dword v132, off, s[0:3], 0 offset:820
	buffer_load_dword v131, off, s[0:3], 0 offset:816
	s_waitcnt vmcnt(55) lgkmcnt(0)
	v_mul_f64 v[135:136], v[2:3], v[139:140]
	v_mul_f64 v[139:140], v[4:5], v[139:140]
	s_waitcnt vmcnt(53)
	v_fma_f64 v[137:138], v[115:116], v[143:144], -v[137:138]
	ds_read_b128 v[111:114], v1 offset:1424
	v_add_f64 v[123:124], v[123:124], v[129:130]
	v_fma_f64 v[129:130], v[117:118], v[143:144], v[178:179]
	v_add_f64 v[6:7], v[6:7], v[127:128]
	ds_read_b128 v[115:118], v1 offset:1440
	s_waitcnt vmcnt(48)
	v_fma_f64 v[135:136], v[4:5], v[141:142], v[135:136]
	s_waitcnt lgkmcnt(1)
	v_mul_f64 v[143:144], v[113:114], v[145:146]
	v_fma_f64 v[139:140], v[2:3], v[141:142], -v[139:140]
	v_mul_f64 v[127:128], v[111:112], v[145:146]
	v_add_f64 v[123:124], v[123:124], v[137:138]
	s_waitcnt vmcnt(47) lgkmcnt(0)
	v_mul_f64 v[145:146], v[117:118], v[147:148]
	v_add_f64 v[6:7], v[6:7], v[129:130]
	s_clause 0x3
	buffer_load_dword v129, off, s[0:3], 0 offset:496
	buffer_load_dword v130, off, s[0:3], 0 offset:500
	;; [unrolled: 1-line block ×4, first 2 shown]
	ds_read_b128 v[2:5], v1 offset:1456
	s_waitcnt vmcnt(49)
	v_fma_f64 v[143:144], v[111:112], v[151:152], -v[143:144]
	v_mul_f64 v[141:142], v[115:116], v[147:148]
	v_fma_f64 v[127:128], v[113:114], v[151:152], v[127:128]
	ds_read_b128 v[111:114], v1 offset:1472
	v_add_f64 v[123:124], v[123:124], v[139:140]
	s_waitcnt vmcnt(44)
	v_fma_f64 v[145:146], v[115:116], v[149:150], -v[145:146]
	v_add_f64 v[6:7], v[6:7], v[135:136]
	s_waitcnt lgkmcnt(1)
	v_mul_f64 v[139:140], v[4:5], v[153:154]
	v_mul_f64 v[135:136], v[2:3], v[153:154]
	v_fma_f64 v[141:142], v[117:118], v[149:150], v[141:142]
	ds_read_b128 v[115:118], v1 offset:1488
	v_add_f64 v[123:124], v[123:124], v[143:144]
	s_waitcnt vmcnt(43) lgkmcnt(1)
	v_mul_f64 v[143:144], v[113:114], v[155:156]
	v_add_f64 v[6:7], v[6:7], v[127:128]
	s_waitcnt vmcnt(41)
	v_fma_f64 v[139:140], v[2:3], v[159:160], -v[139:140]
	v_mul_f64 v[127:128], v[111:112], v[155:156]
	v_fma_f64 v[135:136], v[4:5], v[159:160], v[135:136]
	ds_read_b128 v[2:5], v1 offset:1504
	v_add_f64 v[123:124], v[123:124], v[145:146]
	s_waitcnt vmcnt(37) lgkmcnt(1)
	v_mul_f64 v[145:146], v[117:118], v[161:162]
	v_add_f64 v[6:7], v[6:7], v[141:142]
	s_waitcnt vmcnt(36)
	v_fma_f64 v[143:144], v[111:112], v[157:158], -v[143:144]
	;; [unrolled: 9-line block ×6, first 2 shown]
	v_mul_f64 v[135:136], v[2:3], v[180:181]
	v_fma_f64 v[141:142], v[117:118], v[174:175], v[141:142]
	ds_read_b128 v[115:118], v1 offset:1584
	v_add_f64 v[123:124], v[123:124], v[143:144]
	v_add_f64 v[6:7], v[6:7], v[127:128]
	s_waitcnt vmcnt(19) lgkmcnt(1)
	v_mul_f64 v[143:144], v[113:114], v[182:183]
	v_mul_f64 v[127:128], v[111:112], v[182:183]
	s_waitcnt vmcnt(17)
	v_fma_f64 v[139:140], v[2:3], v[121:122], -v[139:140]
	v_fma_f64 v[121:122], v[4:5], v[121:122], v[135:136]
	ds_read_b128 v[2:5], v1 offset:1600
	s_waitcnt vmcnt(13) lgkmcnt(1)
	v_mul_f64 v[135:136], v[115:116], v[125:126]
	v_mul_f64 v[125:126], v[117:118], v[125:126]
	v_add_f64 v[123:124], v[123:124], v[145:146]
	v_add_f64 v[6:7], v[6:7], v[141:142]
	s_waitcnt vmcnt(12)
	v_fma_f64 v[141:142], v[111:112], v[184:185], -v[143:144]
	v_fma_f64 v[127:128], v[113:114], v[184:185], v[127:128]
	ds_read_b128 v[111:114], v1 offset:1616
	v_add_f64 v[123:124], v[123:124], v[139:140]
	v_add_f64 v[6:7], v[6:7], v[121:122]
	s_waitcnt vmcnt(11) lgkmcnt(1)
	v_mul_f64 v[139:140], v[4:5], v[186:187]
	v_mul_f64 v[121:122], v[2:3], v[186:187]
	s_waitcnt vmcnt(9)
	v_fma_f64 v[115:116], v[115:116], v[119:120], -v[125:126]
	v_fma_f64 v[117:118], v[117:118], v[119:120], v[135:136]
	v_add_f64 v[123:124], v[123:124], v[141:142]
	v_add_f64 v[6:7], v[6:7], v[127:128]
	s_waitcnt vmcnt(7) lgkmcnt(0)
	v_mul_f64 v[125:126], v[113:114], v[133:134]
	s_waitcnt vmcnt(6)
	v_fma_f64 v[1:2], v[2:3], v[191:192], -v[139:140]
	v_mul_f64 v[119:120], v[111:112], v[133:134]
	v_fma_f64 v[3:4], v[4:5], v[191:192], v[121:122]
	v_add_f64 v[115:116], v[123:124], v[115:116]
	v_add_f64 v[5:6], v[6:7], v[117:118]
	s_waitcnt vmcnt(4)
	v_fma_f64 v[7:8], v[111:112], v[131:132], -v[125:126]
	v_fma_f64 v[111:112], v[113:114], v[131:132], v[119:120]
	v_add_f64 v[1:2], v[115:116], v[1:2]
	v_add_f64 v[3:4], v[5:6], v[3:4]
	;; [unrolled: 1-line block ×4, first 2 shown]
	s_waitcnt vmcnt(2)
	v_add_f64 v[1:2], v[129:130], -v[1:2]
	s_waitcnt vmcnt(0)
	v_add_f64 v[3:4], v[137:138], -v[3:4]
	buffer_store_dword v2, off, s[0:3], 0 offset:500
	buffer_store_dword v1, off, s[0:3], 0 offset:496
	;; [unrolled: 1-line block ×4, first 2 shown]
	v_cmpx_lt_u32_e32 29, v0
	s_cbranch_execz .LBB114_261
; %bb.260:
	v_mov_b32_e32 v4, s34
	v_mov_b32_e32 v5, 0
	s_clause 0x3
	buffer_load_dword v1, v4, s[0:3], 0 offen
	buffer_load_dword v2, v4, s[0:3], 0 offen offset:4
	buffer_load_dword v3, v4, s[0:3], 0 offen offset:8
	;; [unrolled: 1-line block ×3, first 2 shown]
	buffer_store_dword v5, off, s[0:3], 0 offset:480
	buffer_store_dword v5, off, s[0:3], 0 offset:484
	;; [unrolled: 1-line block ×4, first 2 shown]
	s_waitcnt vmcnt(0)
	ds_write_b128 v171, v[1:4]
.LBB114_261:
	s_or_b32 exec_lo, exec_lo, s4
	s_waitcnt lgkmcnt(0)
	s_waitcnt_vscnt null, 0x0
	s_barrier
	buffer_gl0_inv
	s_clause 0x37
	buffer_load_dword v6, off, s[0:3], 0 offset:504
	buffer_load_dword v7, off, s[0:3], 0 offset:508
	;; [unrolled: 1-line block ×56, first 2 shown]
	v_mov_b32_e32 v1, 0
	s_mov_b32 s4, exec_lo
	ds_read_b128 v[2:5], v1 offset:1296
	s_clause 0x2
	buffer_load_dword v173, off, s[0:3], 0 offset:732
	buffer_load_dword v177, off, s[0:3], 0 offset:708
	buffer_load_dword v176, off, s[0:3], 0 offset:704
	ds_read_b128 v[111:114], v1 offset:1312
	s_clause 0x4
	buffer_load_dword v181, off, s[0:3], 0 offset:748
	buffer_load_dword v182, off, s[0:3], 0 offset:760
	buffer_load_dword v184, off, s[0:3], 0 offset:752
	buffer_load_dword v180, off, s[0:3], 0 offset:744
	buffer_load_dword v175, off, s[0:3], 0 offset:724
	ds_read_b128 v[115:118], v1 offset:1328
	s_waitcnt vmcnt(62) lgkmcnt(2)
	v_mul_f64 v[178:179], v[4:5], v[6:7]
	v_mul_f64 v[6:7], v[2:3], v[6:7]
	s_waitcnt vmcnt(60) lgkmcnt(1)
	v_mul_f64 v[185:186], v[113:114], v[119:120]
	v_mul_f64 v[119:120], v[111:112], v[119:120]
	;; [unrolled: 3-line block ×3, first 2 shown]
	v_fma_f64 v[178:179], v[2:3], v[121:122], -v[178:179]
	v_fma_f64 v[6:7], v[4:5], v[121:122], v[6:7]
	s_clause 0x2
	buffer_load_dword v183, off, s[0:3], 0 offset:764
	buffer_load_dword v122, off, s[0:3], 0 offset:740
	;; [unrolled: 1-line block ×3, first 2 shown]
	s_waitcnt vmcnt(57)
	v_fma_f64 v[189:190], v[111:112], v[125:126], -v[185:186]
	ds_read_b128 v[2:5], v1 offset:1344
	v_fma_f64 v[119:120], v[113:114], v[125:126], v[119:120]
	s_clause 0x4
	buffer_load_dword v126, off, s[0:3], 0 offset:780
	buffer_load_dword v186, off, s[0:3], 0 offset:792
	;; [unrolled: 1-line block ×5, first 2 shown]
	s_waitcnt vmcnt(56)
	v_fma_f64 v[123:124], v[115:116], v[133:134], -v[123:124]
	ds_read_b128 v[111:114], v1 offset:1360
	v_fma_f64 v[133:134], v[117:118], v[133:134], v[187:188]
	v_add_f64 v[178:179], v[178:179], 0
	v_add_f64 v[6:7], v[6:7], 0
	s_waitcnt lgkmcnt(1)
	v_mul_f64 v[192:193], v[2:3], v[127:128]
	v_mul_f64 v[127:128], v[4:5], v[127:128]
	v_add_f64 v[178:179], v[178:179], v[189:190]
	v_add_f64 v[6:7], v[6:7], v[119:120]
	s_clause 0x2
	buffer_load_dword v187, off, s[0:3], 0 offset:796
	buffer_load_dword v120, off, s[0:3], 0 offset:772
	;; [unrolled: 1-line block ×3, first 2 shown]
	s_waitcnt vmcnt(58) lgkmcnt(0)
	v_mul_f64 v[188:189], v[111:112], v[129:130]
	v_mul_f64 v[129:130], v[113:114], v[129:130]
	s_waitcnt vmcnt(56)
	v_fma_f64 v[127:128], v[2:3], v[135:136], -v[127:128]
	ds_read_b128 v[115:118], v1 offset:1376
	v_fma_f64 v[135:136], v[4:5], v[135:136], v[192:193]
	v_add_f64 v[123:124], v[178:179], v[123:124]
	v_add_f64 v[6:7], v[6:7], v[133:134]
	s_clause 0x4
	buffer_load_dword v134, off, s[0:3], 0 offset:812
	buffer_load_dword v178, off, s[0:3], 0 offset:824
	;; [unrolled: 1-line block ×5, first 2 shown]
	ds_read_b128 v[2:5], v1 offset:1392
	s_waitcnt vmcnt(57) lgkmcnt(1)
	v_mul_f64 v[194:195], v[115:116], v[137:138]
	v_mul_f64 v[137:138], v[117:118], v[137:138]
	s_waitcnt vmcnt(56)
	v_fma_f64 v[129:130], v[111:112], v[131:132], -v[129:130]
	v_add_f64 v[123:124], v[123:124], v[127:128]
	v_fma_f64 v[127:128], v[113:114], v[131:132], v[188:189]
	v_add_f64 v[6:7], v[6:7], v[135:136]
	s_clause 0x2
	buffer_load_dword v179, off, s[0:3], 0 offset:828
	buffer_load_dword v132, off, s[0:3], 0 offset:804
	;; [unrolled: 1-line block ×3, first 2 shown]
	s_waitcnt vmcnt(58) lgkmcnt(0)
	v_mul_f64 v[135:136], v[2:3], v[139:140]
	v_mul_f64 v[139:140], v[4:5], v[139:140]
	s_waitcnt vmcnt(56)
	v_fma_f64 v[137:138], v[115:116], v[143:144], -v[137:138]
	ds_read_b128 v[111:114], v1 offset:1408
	v_add_f64 v[123:124], v[123:124], v[129:130]
	v_fma_f64 v[129:130], v[117:118], v[143:144], v[194:195]
	v_add_f64 v[6:7], v[6:7], v[127:128]
	buffer_load_dword v194, off, s[0:3], 0 offset:820
	ds_read_b128 v[115:118], v1 offset:1424
	s_waitcnt vmcnt(53) lgkmcnt(1)
	v_mul_f64 v[143:144], v[113:114], v[145:146]
	s_waitcnt vmcnt(52)
	v_fma_f64 v[139:140], v[2:3], v[141:142], -v[139:140]
	v_mul_f64 v[127:128], v[111:112], v[145:146]
	v_fma_f64 v[135:136], v[4:5], v[141:142], v[135:136]
	ds_read_b128 v[2:5], v1 offset:1440
	v_add_f64 v[123:124], v[123:124], v[137:138]
	v_add_f64 v[6:7], v[6:7], v[129:130]
	s_waitcnt vmcnt(51) lgkmcnt(1)
	v_mul_f64 v[137:138], v[117:118], v[147:148]
	v_mul_f64 v[129:130], v[115:116], v[147:148]
	s_waitcnt vmcnt(49)
	v_fma_f64 v[141:142], v[111:112], v[151:152], -v[143:144]
	v_fma_f64 v[127:128], v[113:114], v[151:152], v[127:128]
	s_waitcnt vmcnt(45) lgkmcnt(0)
	v_mul_f64 v[145:146], v[4:5], v[153:154]
	v_mul_f64 v[143:144], v[2:3], v[153:154]
	v_add_f64 v[123:124], v[123:124], v[139:140]
	v_add_f64 v[6:7], v[6:7], v[135:136]
	s_clause 0x3
	buffer_load_dword v135, off, s[0:3], 0 offset:480
	buffer_load_dword v136, off, s[0:3], 0 offset:484
	buffer_load_dword v139, off, s[0:3], 0 offset:488
	buffer_load_dword v140, off, s[0:3], 0 offset:492
	s_waitcnt vmcnt(48)
	v_fma_f64 v[137:138], v[115:116], v[149:150], -v[137:138]
	ds_read_b128 v[111:114], v1 offset:1456
	v_fma_f64 v[129:130], v[117:118], v[149:150], v[129:130]
	ds_read_b128 v[115:118], v1 offset:1472
	s_waitcnt vmcnt(45)
	v_fma_f64 v[145:146], v[2:3], v[159:160], -v[145:146]
	v_add_f64 v[123:124], v[123:124], v[141:142]
	v_add_f64 v[6:7], v[6:7], v[127:128]
	s_waitcnt lgkmcnt(1)
	v_mul_f64 v[141:142], v[113:114], v[155:156]
	v_mul_f64 v[127:128], v[111:112], v[155:156]
	v_add_f64 v[123:124], v[123:124], v[137:138]
	v_fma_f64 v[137:138], v[4:5], v[159:160], v[143:144]
	v_add_f64 v[6:7], v[6:7], v[129:130]
	s_waitcnt vmcnt(41) lgkmcnt(0)
	v_mul_f64 v[143:144], v[117:118], v[161:162]
	s_waitcnt vmcnt(40)
	v_fma_f64 v[141:142], v[111:112], v[157:158], -v[141:142]
	ds_read_b128 v[2:5], v1 offset:1488
	v_mul_f64 v[129:130], v[115:116], v[161:162]
	v_fma_f64 v[127:128], v[113:114], v[157:158], v[127:128]
	ds_read_b128 v[111:114], v1 offset:1504
	v_add_f64 v[123:124], v[123:124], v[145:146]
	v_add_f64 v[6:7], v[6:7], v[137:138]
	s_waitcnt vmcnt(39) lgkmcnt(1)
	v_mul_f64 v[145:146], v[4:5], v[163:164]
	s_waitcnt vmcnt(37)
	v_fma_f64 v[143:144], v[115:116], v[167:168], -v[143:144]
	v_mul_f64 v[137:138], v[2:3], v[163:164]
	v_fma_f64 v[129:130], v[117:118], v[167:168], v[129:130]
	ds_read_b128 v[115:118], v1 offset:1520
	v_add_f64 v[123:124], v[123:124], v[141:142]
	s_waitcnt vmcnt(33) lgkmcnt(1)
	v_mul_f64 v[141:142], v[113:114], v[169:170]
	v_add_f64 v[6:7], v[6:7], v[127:128]
	s_waitcnt vmcnt(32)
	v_fma_f64 v[145:146], v[2:3], v[165:166], -v[145:146]
	v_mul_f64 v[127:128], v[111:112], v[169:170]
	v_fma_f64 v[137:138], v[4:5], v[165:166], v[137:138]
	ds_read_b128 v[2:5], v1 offset:1536
	v_add_f64 v[123:124], v[123:124], v[143:144]
	s_waitcnt vmcnt(31) lgkmcnt(1)
	v_mul_f64 v[143:144], v[117:118], v[172:173]
	v_add_f64 v[6:7], v[6:7], v[129:130]
	;; [unrolled: 9-line block ×3, first 2 shown]
	s_waitcnt vmcnt(24)
	v_fma_f64 v[143:144], v[115:116], v[174:175], -v[143:144]
	v_mul_f64 v[137:138], v[2:3], v[180:181]
	v_fma_f64 v[129:130], v[117:118], v[174:175], v[129:130]
	ds_read_b128 v[115:118], v1 offset:1568
	v_add_f64 v[123:124], v[123:124], v[141:142]
	v_add_f64 v[6:7], v[6:7], v[127:128]
	s_waitcnt vmcnt(23) lgkmcnt(1)
	v_mul_f64 v[141:142], v[113:114], v[182:183]
	v_mul_f64 v[127:128], v[111:112], v[182:183]
	s_waitcnt vmcnt(21)
	v_fma_f64 v[145:146], v[2:3], v[121:122], -v[145:146]
	v_fma_f64 v[121:122], v[4:5], v[121:122], v[137:138]
	ds_read_b128 v[2:5], v1 offset:1584
	v_add_f64 v[123:124], v[123:124], v[143:144]
	v_add_f64 v[6:7], v[6:7], v[129:130]
	s_waitcnt vmcnt(17) lgkmcnt(1)
	v_mul_f64 v[129:130], v[115:116], v[125:126]
	v_mul_f64 v[125:126], v[117:118], v[125:126]
	s_waitcnt vmcnt(16)
	v_fma_f64 v[137:138], v[111:112], v[184:185], -v[141:142]
	;; [unrolled: 9-line block ×3, first 2 shown]
	v_fma_f64 v[119:120], v[117:118], v[119:120], v[129:130]
	ds_read_b128 v[115:118], v1 offset:1616
	v_add_f64 v[123:124], v[123:124], v[137:138]
	v_add_f64 v[6:7], v[6:7], v[127:128]
	s_waitcnt vmcnt(9) lgkmcnt(1)
	v_mul_f64 v[129:130], v[113:114], v[133:134]
	s_waitcnt vmcnt(8)
	v_fma_f64 v[2:3], v[2:3], v[191:192], -v[141:142]
	v_mul_f64 v[127:128], v[111:112], v[133:134]
	v_fma_f64 v[4:5], v[4:5], v[191:192], v[121:122]
	v_add_f64 v[123:124], v[123:124], v[125:126]
	v_add_f64 v[6:7], v[6:7], v[119:120]
	s_waitcnt vmcnt(7) lgkmcnt(0)
	v_mul_f64 v[121:122], v[117:118], v[178:179]
	v_mul_f64 v[119:120], v[115:116], v[178:179]
	s_waitcnt vmcnt(5)
	v_fma_f64 v[111:112], v[111:112], v[131:132], -v[129:130]
	v_fma_f64 v[113:114], v[113:114], v[131:132], v[127:128]
	v_add_f64 v[2:3], v[123:124], v[2:3]
	v_add_f64 v[4:5], v[6:7], v[4:5]
	s_waitcnt vmcnt(4)
	v_fma_f64 v[6:7], v[115:116], v[193:194], -v[121:122]
	v_add_f64 v[2:3], v[2:3], v[111:112]
	v_fma_f64 v[111:112], v[117:118], v[193:194], v[119:120]
	v_add_f64 v[4:5], v[4:5], v[113:114]
	v_add_f64 v[2:3], v[2:3], v[6:7]
	;; [unrolled: 1-line block ×3, first 2 shown]
	s_waitcnt vmcnt(2)
	v_add_f64 v[2:3], v[135:136], -v[2:3]
	s_waitcnt vmcnt(0)
	v_add_f64 v[4:5], v[139:140], -v[4:5]
	buffer_store_dword v3, off, s[0:3], 0 offset:484
	buffer_store_dword v2, off, s[0:3], 0 offset:480
	;; [unrolled: 1-line block ×4, first 2 shown]
	v_cmpx_lt_u32_e32 28, v0
	s_cbranch_execz .LBB114_263
; %bb.262:
	v_mov_b32_e32 v5, s35
	s_clause 0x3
	buffer_load_dword v2, v5, s[0:3], 0 offen
	buffer_load_dword v3, v5, s[0:3], 0 offen offset:4
	buffer_load_dword v4, v5, s[0:3], 0 offen offset:8
	;; [unrolled: 1-line block ×3, first 2 shown]
	buffer_store_dword v1, off, s[0:3], 0 offset:464
	buffer_store_dword v1, off, s[0:3], 0 offset:468
	;; [unrolled: 1-line block ×4, first 2 shown]
	s_waitcnt vmcnt(0)
	ds_write_b128 v171, v[2:5]
.LBB114_263:
	s_or_b32 exec_lo, exec_lo, s4
	s_waitcnt lgkmcnt(0)
	s_waitcnt_vscnt null, 0x0
	s_barrier
	buffer_gl0_inv
	s_clause 0x37
	buffer_load_dword v6, off, s[0:3], 0 offset:488
	buffer_load_dword v7, off, s[0:3], 0 offset:492
	;; [unrolled: 1-line block ×56, first 2 shown]
	ds_read_b128 v[2:5], v1 offset:1280
	s_clause 0x2
	buffer_load_dword v173, off, s[0:3], 0 offset:716
	buffer_load_dword v177, off, s[0:3], 0 offset:692
	buffer_load_dword v176, off, s[0:3], 0 offset:688
	ds_read_b128 v[111:114], v1 offset:1296
	s_clause 0x4
	buffer_load_dword v181, off, s[0:3], 0 offset:732
	buffer_load_dword v182, off, s[0:3], 0 offset:744
	;; [unrolled: 1-line block ×5, first 2 shown]
	ds_read_b128 v[115:118], v1 offset:1312
	s_mov_b32 s4, exec_lo
	s_waitcnt vmcnt(62) lgkmcnt(2)
	v_mul_f64 v[178:179], v[4:5], v[6:7]
	v_mul_f64 v[6:7], v[2:3], v[6:7]
	s_waitcnt vmcnt(60) lgkmcnt(1)
	v_mul_f64 v[185:186], v[113:114], v[119:120]
	v_mul_f64 v[119:120], v[111:112], v[119:120]
	;; [unrolled: 3-line block ×3, first 2 shown]
	v_fma_f64 v[178:179], v[2:3], v[121:122], -v[178:179]
	v_fma_f64 v[6:7], v[4:5], v[121:122], v[6:7]
	s_clause 0x2
	buffer_load_dword v183, off, s[0:3], 0 offset:748
	buffer_load_dword v122, off, s[0:3], 0 offset:724
	;; [unrolled: 1-line block ×3, first 2 shown]
	s_waitcnt vmcnt(57)
	v_fma_f64 v[189:190], v[111:112], v[125:126], -v[185:186]
	ds_read_b128 v[2:5], v1 offset:1328
	v_fma_f64 v[119:120], v[113:114], v[125:126], v[119:120]
	s_clause 0x4
	buffer_load_dword v126, off, s[0:3], 0 offset:764
	buffer_load_dword v186, off, s[0:3], 0 offset:776
	;; [unrolled: 1-line block ×5, first 2 shown]
	s_waitcnt vmcnt(56)
	v_fma_f64 v[123:124], v[115:116], v[133:134], -v[123:124]
	ds_read_b128 v[111:114], v1 offset:1344
	v_fma_f64 v[133:134], v[117:118], v[133:134], v[187:188]
	v_add_f64 v[178:179], v[178:179], 0
	v_add_f64 v[6:7], v[6:7], 0
	s_waitcnt lgkmcnt(1)
	v_mul_f64 v[192:193], v[2:3], v[127:128]
	v_mul_f64 v[127:128], v[4:5], v[127:128]
	v_add_f64 v[178:179], v[178:179], v[189:190]
	v_add_f64 v[6:7], v[6:7], v[119:120]
	s_clause 0x2
	buffer_load_dword v187, off, s[0:3], 0 offset:780
	buffer_load_dword v120, off, s[0:3], 0 offset:756
	;; [unrolled: 1-line block ×3, first 2 shown]
	s_waitcnt vmcnt(58) lgkmcnt(0)
	v_mul_f64 v[188:189], v[111:112], v[129:130]
	v_mul_f64 v[129:130], v[113:114], v[129:130]
	s_waitcnt vmcnt(56)
	v_fma_f64 v[127:128], v[2:3], v[135:136], -v[127:128]
	ds_read_b128 v[115:118], v1 offset:1360
	v_fma_f64 v[135:136], v[4:5], v[135:136], v[192:193]
	v_add_f64 v[123:124], v[178:179], v[123:124]
	v_add_f64 v[6:7], v[6:7], v[133:134]
	s_clause 0x4
	buffer_load_dword v134, off, s[0:3], 0 offset:796
	buffer_load_dword v178, off, s[0:3], 0 offset:808
	;; [unrolled: 1-line block ×5, first 2 shown]
	ds_read_b128 v[2:5], v1 offset:1376
	s_waitcnt vmcnt(57) lgkmcnt(1)
	v_mul_f64 v[194:195], v[115:116], v[137:138]
	v_mul_f64 v[137:138], v[117:118], v[137:138]
	s_waitcnt vmcnt(56)
	v_fma_f64 v[129:130], v[111:112], v[131:132], -v[129:130]
	v_add_f64 v[123:124], v[123:124], v[127:128]
	v_fma_f64 v[127:128], v[113:114], v[131:132], v[188:189]
	v_add_f64 v[6:7], v[6:7], v[135:136]
	s_clause 0x2
	buffer_load_dword v179, off, s[0:3], 0 offset:812
	buffer_load_dword v132, off, s[0:3], 0 offset:788
	;; [unrolled: 1-line block ×3, first 2 shown]
	s_waitcnt vmcnt(58) lgkmcnt(0)
	v_mul_f64 v[135:136], v[2:3], v[139:140]
	v_mul_f64 v[139:140], v[4:5], v[139:140]
	s_waitcnt vmcnt(56)
	v_fma_f64 v[137:138], v[115:116], v[143:144], -v[137:138]
	ds_read_b128 v[111:114], v1 offset:1392
	v_add_f64 v[123:124], v[123:124], v[129:130]
	v_fma_f64 v[129:130], v[117:118], v[143:144], v[194:195]
	v_add_f64 v[6:7], v[6:7], v[127:128]
	s_clause 0x2
	buffer_load_dword v128, off, s[0:3], 0 offset:828
	buffer_load_dword v127, off, s[0:3], 0 offset:824
	;; [unrolled: 1-line block ×3, first 2 shown]
	ds_read_b128 v[115:118], v1 offset:1408
	s_waitcnt vmcnt(55) lgkmcnt(1)
	v_mul_f64 v[143:144], v[111:112], v[145:146]
	v_mul_f64 v[145:146], v[113:114], v[145:146]
	s_waitcnt vmcnt(54)
	v_fma_f64 v[139:140], v[2:3], v[141:142], -v[139:140]
	v_fma_f64 v[135:136], v[4:5], v[141:142], v[135:136]
	v_add_f64 v[123:124], v[123:124], v[137:138]
	v_add_f64 v[6:7], v[6:7], v[129:130]
	s_clause 0x1
	buffer_load_dword v130, off, s[0:3], 0 offset:820
	buffer_load_dword v129, off, s[0:3], 0 offset:816
	s_waitcnt vmcnt(55) lgkmcnt(0)
	v_mul_f64 v[141:142], v[117:118], v[147:148]
	ds_read_b128 v[2:5], v1 offset:1424
	s_waitcnt vmcnt(53)
	v_fma_f64 v[145:146], v[111:112], v[151:152], -v[145:146]
	v_mul_f64 v[137:138], v[115:116], v[147:148]
	v_add_f64 v[123:124], v[123:124], v[139:140]
	v_fma_f64 v[139:140], v[113:114], v[151:152], v[143:144]
	v_add_f64 v[6:7], v[6:7], v[135:136]
	ds_read_b128 v[111:114], v1 offset:1440
	s_waitcnt vmcnt(49) lgkmcnt(1)
	v_mul_f64 v[143:144], v[4:5], v[153:154]
	s_waitcnt vmcnt(48)
	v_fma_f64 v[141:142], v[115:116], v[149:150], -v[141:142]
	v_mul_f64 v[135:136], v[2:3], v[153:154]
	v_fma_f64 v[137:138], v[117:118], v[149:150], v[137:138]
	v_add_f64 v[123:124], v[123:124], v[145:146]
	s_waitcnt vmcnt(47) lgkmcnt(0)
	v_mul_f64 v[149:150], v[113:114], v[155:156]
	v_add_f64 v[6:7], v[6:7], v[139:140]
	s_clause 0x3
	buffer_load_dword v139, off, s[0:3], 0 offset:464
	buffer_load_dword v140, off, s[0:3], 0 offset:468
	;; [unrolled: 1-line block ×4, first 2 shown]
	s_waitcnt vmcnt(49)
	v_fma_f64 v[143:144], v[2:3], v[159:160], -v[143:144]
	ds_read_b128 v[115:118], v1 offset:1456
	v_mul_f64 v[147:148], v[111:112], v[155:156]
	v_fma_f64 v[135:136], v[4:5], v[159:160], v[135:136]
	ds_read_b128 v[2:5], v1 offset:1472
	v_add_f64 v[123:124], v[123:124], v[141:142]
	s_waitcnt vmcnt(44)
	v_fma_f64 v[149:150], v[111:112], v[157:158], -v[149:150]
	v_add_f64 v[6:7], v[6:7], v[137:138]
	s_waitcnt lgkmcnt(1)
	v_mul_f64 v[141:142], v[117:118], v[161:162]
	v_mul_f64 v[137:138], v[115:116], v[161:162]
	v_add_f64 v[123:124], v[123:124], v[143:144]
	v_fma_f64 v[143:144], v[113:114], v[157:158], v[147:148]
	v_add_f64 v[6:7], v[6:7], v[135:136]
	s_waitcnt vmcnt(43) lgkmcnt(0)
	v_mul_f64 v[147:148], v[4:5], v[163:164]
	s_waitcnt vmcnt(41)
	v_fma_f64 v[141:142], v[115:116], v[167:168], -v[141:142]
	ds_read_b128 v[111:114], v1 offset:1488
	v_mul_f64 v[135:136], v[2:3], v[163:164]
	v_fma_f64 v[137:138], v[117:118], v[167:168], v[137:138]
	ds_read_b128 v[115:118], v1 offset:1504
	v_add_f64 v[123:124], v[123:124], v[149:150]
	v_add_f64 v[6:7], v[6:7], v[143:144]
	s_waitcnt vmcnt(37) lgkmcnt(1)
	v_mul_f64 v[149:150], v[113:114], v[169:170]
	s_waitcnt vmcnt(36)
	v_fma_f64 v[147:148], v[2:3], v[165:166], -v[147:148]
	v_mul_f64 v[143:144], v[111:112], v[169:170]
	v_fma_f64 v[135:136], v[4:5], v[165:166], v[135:136]
	ds_read_b128 v[2:5], v1 offset:1520
	v_add_f64 v[123:124], v[123:124], v[141:142]
	s_waitcnt vmcnt(35) lgkmcnt(1)
	v_mul_f64 v[141:142], v[117:118], v[172:173]
	v_add_f64 v[6:7], v[6:7], v[137:138]
	s_waitcnt vmcnt(33)
	v_fma_f64 v[149:150], v[111:112], v[176:177], -v[149:150]
	v_mul_f64 v[137:138], v[115:116], v[172:173]
	v_fma_f64 v[143:144], v[113:114], v[176:177], v[143:144]
	ds_read_b128 v[111:114], v1 offset:1536
	v_add_f64 v[123:124], v[123:124], v[147:148]
	s_waitcnt vmcnt(29) lgkmcnt(1)
	v_mul_f64 v[147:148], v[4:5], v[180:181]
	v_add_f64 v[6:7], v[6:7], v[135:136]
	s_waitcnt vmcnt(28)
	v_fma_f64 v[141:142], v[115:116], v[174:175], -v[141:142]
	v_mul_f64 v[135:136], v[2:3], v[180:181]
	v_fma_f64 v[137:138], v[117:118], v[174:175], v[137:138]
	ds_read_b128 v[115:118], v1 offset:1552
	v_add_f64 v[123:124], v[123:124], v[149:150]
	v_add_f64 v[6:7], v[6:7], v[143:144]
	s_waitcnt vmcnt(27) lgkmcnt(1)
	v_mul_f64 v[149:150], v[113:114], v[182:183]
	v_mul_f64 v[143:144], v[111:112], v[182:183]
	s_waitcnt vmcnt(25)
	v_fma_f64 v[147:148], v[2:3], v[121:122], -v[147:148]
	v_fma_f64 v[121:122], v[4:5], v[121:122], v[135:136]
	ds_read_b128 v[2:5], v1 offset:1568
	s_waitcnt vmcnt(21) lgkmcnt(1)
	v_mul_f64 v[135:136], v[115:116], v[125:126]
	v_mul_f64 v[125:126], v[117:118], v[125:126]
	v_add_f64 v[123:124], v[123:124], v[141:142]
	v_add_f64 v[6:7], v[6:7], v[137:138]
	s_waitcnt vmcnt(20)
	v_fma_f64 v[137:138], v[111:112], v[184:185], -v[149:150]
	v_fma_f64 v[141:142], v[113:114], v[184:185], v[143:144]
	ds_read_b128 v[111:114], v1 offset:1584
	v_add_f64 v[123:124], v[123:124], v[147:148]
	v_add_f64 v[6:7], v[6:7], v[121:122]
	s_waitcnt vmcnt(19) lgkmcnt(1)
	v_mul_f64 v[143:144], v[4:5], v[186:187]
	v_mul_f64 v[121:122], v[2:3], v[186:187]
	s_waitcnt vmcnt(17)
	v_fma_f64 v[125:126], v[115:116], v[119:120], -v[125:126]
	v_fma_f64 v[119:120], v[117:118], v[119:120], v[135:136]
	ds_read_b128 v[115:118], v1 offset:1600
	v_add_f64 v[123:124], v[123:124], v[137:138]
	v_add_f64 v[6:7], v[6:7], v[141:142]
	s_waitcnt vmcnt(13) lgkmcnt(1)
	v_mul_f64 v[135:136], v[111:112], v[133:134]
	v_mul_f64 v[133:134], v[113:114], v[133:134]
	;; [unrolled: 9-line block ×3, first 2 shown]
	s_waitcnt vmcnt(9)
	v_fma_f64 v[111:112], v[111:112], v[131:132], -v[133:134]
	v_fma_f64 v[113:114], v[113:114], v[131:132], v[135:136]
	v_add_f64 v[123:124], v[123:124], v[137:138]
	v_add_f64 v[5:6], v[5:6], v[121:122]
	s_waitcnt vmcnt(7) lgkmcnt(0)
	v_mul_f64 v[125:126], v[3:4], v[127:128]
	s_waitcnt vmcnt(6)
	v_fma_f64 v[115:116], v[115:116], v[193:194], -v[119:120]
	v_mul_f64 v[121:122], v[1:2], v[127:128]
	v_fma_f64 v[7:8], v[117:118], v[193:194], v[7:8]
	v_add_f64 v[111:112], v[123:124], v[111:112]
	v_add_f64 v[5:6], v[5:6], v[113:114]
	s_waitcnt vmcnt(4)
	v_fma_f64 v[1:2], v[1:2], v[129:130], -v[125:126]
	v_fma_f64 v[3:4], v[3:4], v[129:130], v[121:122]
	v_add_f64 v[111:112], v[111:112], v[115:116]
	v_add_f64 v[5:6], v[5:6], v[7:8]
	v_add_f64 v[1:2], v[111:112], v[1:2]
	v_add_f64 v[3:4], v[5:6], v[3:4]
	s_waitcnt vmcnt(2)
	v_add_f64 v[1:2], v[139:140], -v[1:2]
	s_waitcnt vmcnt(0)
	v_add_f64 v[3:4], v[145:146], -v[3:4]
	buffer_store_dword v2, off, s[0:3], 0 offset:468
	buffer_store_dword v1, off, s[0:3], 0 offset:464
	;; [unrolled: 1-line block ×4, first 2 shown]
	v_cmpx_lt_u32_e32 27, v0
	s_cbranch_execz .LBB114_265
; %bb.264:
	v_mov_b32_e32 v4, s36
	v_mov_b32_e32 v5, 0
	s_clause 0x3
	buffer_load_dword v1, v4, s[0:3], 0 offen
	buffer_load_dword v2, v4, s[0:3], 0 offen offset:4
	buffer_load_dword v3, v4, s[0:3], 0 offen offset:8
	;; [unrolled: 1-line block ×3, first 2 shown]
	buffer_store_dword v5, off, s[0:3], 0 offset:448
	buffer_store_dword v5, off, s[0:3], 0 offset:452
	;; [unrolled: 1-line block ×4, first 2 shown]
	s_waitcnt vmcnt(0)
	ds_write_b128 v171, v[1:4]
.LBB114_265:
	s_or_b32 exec_lo, exec_lo, s4
	s_waitcnt lgkmcnt(0)
	s_waitcnt_vscnt null, 0x0
	s_barrier
	buffer_gl0_inv
	s_clause 0x37
	buffer_load_dword v6, off, s[0:3], 0 offset:472
	buffer_load_dword v7, off, s[0:3], 0 offset:476
	;; [unrolled: 1-line block ×56, first 2 shown]
	v_mov_b32_e32 v1, 0
	s_mov_b32 s4, exec_lo
	ds_read_b128 v[2:5], v1 offset:1264
	s_clause 0x2
	buffer_load_dword v173, off, s[0:3], 0 offset:700
	buffer_load_dword v177, off, s[0:3], 0 offset:676
	;; [unrolled: 1-line block ×3, first 2 shown]
	ds_read_b128 v[111:114], v1 offset:1280
	s_clause 0x4
	buffer_load_dword v181, off, s[0:3], 0 offset:716
	buffer_load_dword v182, off, s[0:3], 0 offset:728
	;; [unrolled: 1-line block ×5, first 2 shown]
	ds_read_b128 v[115:118], v1 offset:1296
	s_waitcnt vmcnt(62) lgkmcnt(2)
	v_mul_f64 v[178:179], v[4:5], v[6:7]
	v_mul_f64 v[6:7], v[2:3], v[6:7]
	s_waitcnt vmcnt(60) lgkmcnt(1)
	v_mul_f64 v[185:186], v[113:114], v[119:120]
	v_mul_f64 v[119:120], v[111:112], v[119:120]
	;; [unrolled: 3-line block ×3, first 2 shown]
	v_fma_f64 v[178:179], v[2:3], v[121:122], -v[178:179]
	v_fma_f64 v[6:7], v[4:5], v[121:122], v[6:7]
	s_clause 0x2
	buffer_load_dword v183, off, s[0:3], 0 offset:732
	buffer_load_dword v122, off, s[0:3], 0 offset:708
	;; [unrolled: 1-line block ×3, first 2 shown]
	s_waitcnt vmcnt(57)
	v_fma_f64 v[189:190], v[111:112], v[125:126], -v[185:186]
	ds_read_b128 v[2:5], v1 offset:1312
	v_fma_f64 v[119:120], v[113:114], v[125:126], v[119:120]
	s_clause 0x4
	buffer_load_dword v126, off, s[0:3], 0 offset:748
	buffer_load_dword v186, off, s[0:3], 0 offset:760
	;; [unrolled: 1-line block ×5, first 2 shown]
	s_waitcnt vmcnt(56)
	v_fma_f64 v[123:124], v[115:116], v[133:134], -v[123:124]
	ds_read_b128 v[111:114], v1 offset:1328
	v_fma_f64 v[133:134], v[117:118], v[133:134], v[187:188]
	v_add_f64 v[178:179], v[178:179], 0
	v_add_f64 v[6:7], v[6:7], 0
	s_waitcnt lgkmcnt(1)
	v_mul_f64 v[192:193], v[2:3], v[127:128]
	v_mul_f64 v[127:128], v[4:5], v[127:128]
	v_add_f64 v[178:179], v[178:179], v[189:190]
	v_add_f64 v[6:7], v[6:7], v[119:120]
	s_clause 0x2
	buffer_load_dword v187, off, s[0:3], 0 offset:764
	buffer_load_dword v120, off, s[0:3], 0 offset:740
	buffer_load_dword v119, off, s[0:3], 0 offset:736
	s_waitcnt vmcnt(58) lgkmcnt(0)
	v_mul_f64 v[188:189], v[111:112], v[129:130]
	v_mul_f64 v[129:130], v[113:114], v[129:130]
	s_waitcnt vmcnt(56)
	v_fma_f64 v[127:128], v[2:3], v[135:136], -v[127:128]
	ds_read_b128 v[115:118], v1 offset:1344
	v_fma_f64 v[135:136], v[4:5], v[135:136], v[192:193]
	v_add_f64 v[123:124], v[178:179], v[123:124]
	v_add_f64 v[6:7], v[6:7], v[133:134]
	s_clause 0x4
	buffer_load_dword v134, off, s[0:3], 0 offset:780
	buffer_load_dword v178, off, s[0:3], 0 offset:792
	buffer_load_dword v193, off, s[0:3], 0 offset:784
	buffer_load_dword v133, off, s[0:3], 0 offset:776
	buffer_load_dword v192, off, s[0:3], 0 offset:756
	ds_read_b128 v[2:5], v1 offset:1360
	s_waitcnt vmcnt(57) lgkmcnt(1)
	v_mul_f64 v[194:195], v[115:116], v[137:138]
	v_mul_f64 v[137:138], v[117:118], v[137:138]
	s_waitcnt vmcnt(56)
	v_fma_f64 v[129:130], v[111:112], v[131:132], -v[129:130]
	v_add_f64 v[123:124], v[123:124], v[127:128]
	v_fma_f64 v[127:128], v[113:114], v[131:132], v[188:189]
	v_add_f64 v[6:7], v[6:7], v[135:136]
	s_clause 0x2
	buffer_load_dword v179, off, s[0:3], 0 offset:796
	buffer_load_dword v132, off, s[0:3], 0 offset:772
	;; [unrolled: 1-line block ×3, first 2 shown]
	s_waitcnt vmcnt(58) lgkmcnt(0)
	v_mul_f64 v[135:136], v[2:3], v[139:140]
	v_mul_f64 v[139:140], v[4:5], v[139:140]
	s_waitcnt vmcnt(56)
	v_fma_f64 v[137:138], v[115:116], v[143:144], -v[137:138]
	ds_read_b128 v[111:114], v1 offset:1376
	v_add_f64 v[123:124], v[123:124], v[129:130]
	v_fma_f64 v[129:130], v[117:118], v[143:144], v[194:195]
	v_add_f64 v[6:7], v[6:7], v[127:128]
	s_clause 0x4
	buffer_load_dword v128, off, s[0:3], 0 offset:812
	buffer_load_dword v143, off, s[0:3], 0 offset:824
	;; [unrolled: 1-line block ×5, first 2 shown]
	ds_read_b128 v[115:118], v1 offset:1392
	s_waitcnt vmcnt(57) lgkmcnt(1)
	v_mul_f64 v[189:190], v[111:112], v[145:146]
	v_mul_f64 v[145:146], v[113:114], v[145:146]
	s_waitcnt vmcnt(56)
	v_fma_f64 v[139:140], v[2:3], v[141:142], -v[139:140]
	v_fma_f64 v[135:136], v[4:5], v[141:142], v[135:136]
	v_add_f64 v[123:124], v[123:124], v[137:138]
	v_add_f64 v[6:7], v[6:7], v[129:130]
	s_clause 0x2
	buffer_load_dword v144, off, s[0:3], 0 offset:828
	buffer_load_dword v130, off, s[0:3], 0 offset:804
	;; [unrolled: 1-line block ×3, first 2 shown]
	s_waitcnt vmcnt(58) lgkmcnt(0)
	v_mul_f64 v[141:142], v[117:118], v[147:148]
	ds_read_b128 v[2:5], v1 offset:1408
	s_waitcnt vmcnt(56)
	v_fma_f64 v[145:146], v[111:112], v[151:152], -v[145:146]
	v_mul_f64 v[137:138], v[115:116], v[147:148]
	v_add_f64 v[123:124], v[123:124], v[139:140]
	v_fma_f64 v[139:140], v[113:114], v[151:152], v[189:190]
	v_add_f64 v[6:7], v[6:7], v[135:136]
	buffer_load_dword v189, off, s[0:3], 0 offset:820
	ds_read_b128 v[111:114], v1 offset:1424
	s_waitcnt vmcnt(53) lgkmcnt(1)
	v_mul_f64 v[147:148], v[4:5], v[153:154]
	s_waitcnt vmcnt(52)
	v_fma_f64 v[141:142], v[115:116], v[149:150], -v[141:142]
	v_mul_f64 v[135:136], v[2:3], v[153:154]
	v_fma_f64 v[137:138], v[117:118], v[149:150], v[137:138]
	ds_read_b128 v[115:118], v1 offset:1440
	v_add_f64 v[123:124], v[123:124], v[145:146]
	v_add_f64 v[6:7], v[6:7], v[139:140]
	s_waitcnt vmcnt(51) lgkmcnt(1)
	v_mul_f64 v[145:146], v[113:114], v[155:156]
	v_mul_f64 v[139:140], v[111:112], v[155:156]
	s_waitcnt vmcnt(49)
	v_fma_f64 v[147:148], v[2:3], v[159:160], -v[147:148]
	v_fma_f64 v[135:136], v[4:5], v[159:160], v[135:136]
	s_waitcnt vmcnt(45) lgkmcnt(0)
	v_mul_f64 v[151:152], v[117:118], v[161:162]
	v_mul_f64 v[149:150], v[115:116], v[161:162]
	v_add_f64 v[123:124], v[123:124], v[141:142]
	v_add_f64 v[6:7], v[6:7], v[137:138]
	s_clause 0x3
	buffer_load_dword v137, off, s[0:3], 0 offset:448
	buffer_load_dword v138, off, s[0:3], 0 offset:452
	buffer_load_dword v141, off, s[0:3], 0 offset:456
	buffer_load_dword v142, off, s[0:3], 0 offset:460
	s_waitcnt vmcnt(48)
	v_fma_f64 v[145:146], v[111:112], v[157:158], -v[145:146]
	ds_read_b128 v[2:5], v1 offset:1456
	v_fma_f64 v[139:140], v[113:114], v[157:158], v[139:140]
	ds_read_b128 v[111:114], v1 offset:1472
	s_waitcnt vmcnt(45)
	v_fma_f64 v[151:152], v[115:116], v[167:168], -v[151:152]
	v_add_f64 v[123:124], v[123:124], v[147:148]
	v_add_f64 v[6:7], v[6:7], v[135:136]
	s_waitcnt lgkmcnt(1)
	v_mul_f64 v[147:148], v[4:5], v[163:164]
	v_mul_f64 v[135:136], v[2:3], v[163:164]
	v_add_f64 v[123:124], v[123:124], v[145:146]
	v_fma_f64 v[145:146], v[117:118], v[167:168], v[149:150]
	v_add_f64 v[6:7], v[6:7], v[139:140]
	s_waitcnt vmcnt(41) lgkmcnt(0)
	v_mul_f64 v[149:150], v[113:114], v[169:170]
	s_waitcnt vmcnt(40)
	v_fma_f64 v[147:148], v[2:3], v[165:166], -v[147:148]
	ds_read_b128 v[115:118], v1 offset:1488
	v_mul_f64 v[139:140], v[111:112], v[169:170]
	v_fma_f64 v[135:136], v[4:5], v[165:166], v[135:136]
	ds_read_b128 v[2:5], v1 offset:1504
	v_add_f64 v[123:124], v[123:124], v[151:152]
	v_add_f64 v[6:7], v[6:7], v[145:146]
	s_waitcnt vmcnt(39) lgkmcnt(1)
	v_mul_f64 v[151:152], v[117:118], v[172:173]
	s_waitcnt vmcnt(37)
	v_fma_f64 v[149:150], v[111:112], v[176:177], -v[149:150]
	v_mul_f64 v[145:146], v[115:116], v[172:173]
	v_fma_f64 v[139:140], v[113:114], v[176:177], v[139:140]
	ds_read_b128 v[111:114], v1 offset:1520
	v_add_f64 v[123:124], v[123:124], v[147:148]
	s_waitcnt vmcnt(33) lgkmcnt(1)
	v_mul_f64 v[147:148], v[4:5], v[180:181]
	v_add_f64 v[6:7], v[6:7], v[135:136]
	s_waitcnt vmcnt(32)
	v_fma_f64 v[151:152], v[115:116], v[174:175], -v[151:152]
	v_mul_f64 v[135:136], v[2:3], v[180:181]
	v_fma_f64 v[145:146], v[117:118], v[174:175], v[145:146]
	ds_read_b128 v[115:118], v1 offset:1536
	v_add_f64 v[123:124], v[123:124], v[149:150]
	v_add_f64 v[6:7], v[6:7], v[139:140]
	s_waitcnt vmcnt(31) lgkmcnt(1)
	v_mul_f64 v[149:150], v[113:114], v[182:183]
	v_mul_f64 v[139:140], v[111:112], v[182:183]
	s_waitcnt vmcnt(29)
	v_fma_f64 v[147:148], v[2:3], v[121:122], -v[147:148]
	v_fma_f64 v[121:122], v[4:5], v[121:122], v[135:136]
	ds_read_b128 v[2:5], v1 offset:1552
	s_waitcnt vmcnt(25) lgkmcnt(1)
	v_mul_f64 v[135:136], v[115:116], v[125:126]
	v_mul_f64 v[125:126], v[117:118], v[125:126]
	v_add_f64 v[123:124], v[123:124], v[151:152]
	v_add_f64 v[6:7], v[6:7], v[145:146]
	s_waitcnt vmcnt(24)
	v_fma_f64 v[145:146], v[111:112], v[184:185], -v[149:150]
	v_fma_f64 v[139:140], v[113:114], v[184:185], v[139:140]
	ds_read_b128 v[111:114], v1 offset:1568
	v_add_f64 v[123:124], v[123:124], v[147:148]
	v_add_f64 v[6:7], v[6:7], v[121:122]
	s_waitcnt vmcnt(23) lgkmcnt(1)
	v_mul_f64 v[147:148], v[4:5], v[186:187]
	v_mul_f64 v[121:122], v[2:3], v[186:187]
	s_waitcnt vmcnt(21)
	v_fma_f64 v[125:126], v[115:116], v[119:120], -v[125:126]
	v_fma_f64 v[119:120], v[117:118], v[119:120], v[135:136]
	ds_read_b128 v[115:118], v1 offset:1584
	v_add_f64 v[123:124], v[123:124], v[145:146]
	v_add_f64 v[6:7], v[6:7], v[139:140]
	s_waitcnt vmcnt(17) lgkmcnt(1)
	v_mul_f64 v[135:136], v[111:112], v[133:134]
	v_mul_f64 v[133:134], v[113:114], v[133:134]
	;; [unrolled: 9-line block ×4, first 2 shown]
	s_waitcnt vmcnt(8)
	v_fma_f64 v[115:116], v[115:116], v[193:194], -v[125:126]
	v_fma_f64 v[117:118], v[117:118], v[193:194], v[119:120]
	v_add_f64 v[123:124], v[123:124], v[133:134]
	v_add_f64 v[6:7], v[6:7], v[131:132]
	s_waitcnt vmcnt(7) lgkmcnt(0)
	v_mul_f64 v[125:126], v[113:114], v[143:144]
	v_mul_f64 v[119:120], v[111:112], v[143:144]
	s_waitcnt vmcnt(5)
	v_fma_f64 v[2:3], v[2:3], v[129:130], -v[127:128]
	v_fma_f64 v[4:5], v[4:5], v[129:130], v[121:122]
	v_add_f64 v[115:116], v[123:124], v[115:116]
	v_add_f64 v[6:7], v[6:7], v[117:118]
	s_waitcnt vmcnt(4)
	v_fma_f64 v[111:112], v[111:112], v[188:189], -v[125:126]
	v_fma_f64 v[113:114], v[113:114], v[188:189], v[119:120]
	v_add_f64 v[2:3], v[115:116], v[2:3]
	v_add_f64 v[4:5], v[6:7], v[4:5]
	;; [unrolled: 1-line block ×4, first 2 shown]
	s_waitcnt vmcnt(2)
	v_add_f64 v[2:3], v[137:138], -v[2:3]
	s_waitcnt vmcnt(0)
	v_add_f64 v[4:5], v[141:142], -v[4:5]
	buffer_store_dword v3, off, s[0:3], 0 offset:452
	buffer_store_dword v2, off, s[0:3], 0 offset:448
	;; [unrolled: 1-line block ×4, first 2 shown]
	v_cmpx_lt_u32_e32 26, v0
	s_cbranch_execz .LBB114_267
; %bb.266:
	v_mov_b32_e32 v5, s37
	s_clause 0x3
	buffer_load_dword v2, v5, s[0:3], 0 offen
	buffer_load_dword v3, v5, s[0:3], 0 offen offset:4
	buffer_load_dword v4, v5, s[0:3], 0 offen offset:8
	;; [unrolled: 1-line block ×3, first 2 shown]
	buffer_store_dword v1, off, s[0:3], 0 offset:432
	buffer_store_dword v1, off, s[0:3], 0 offset:436
	;; [unrolled: 1-line block ×4, first 2 shown]
	s_waitcnt vmcnt(0)
	ds_write_b128 v171, v[2:5]
.LBB114_267:
	s_or_b32 exec_lo, exec_lo, s4
	s_waitcnt lgkmcnt(0)
	s_waitcnt_vscnt null, 0x0
	s_barrier
	buffer_gl0_inv
	s_clause 0x37
	buffer_load_dword v6, off, s[0:3], 0 offset:456
	buffer_load_dword v7, off, s[0:3], 0 offset:460
	;; [unrolled: 1-line block ×56, first 2 shown]
	ds_read_b128 v[2:5], v1 offset:1248
	s_clause 0x2
	buffer_load_dword v173, off, s[0:3], 0 offset:684
	buffer_load_dword v177, off, s[0:3], 0 offset:660
	;; [unrolled: 1-line block ×3, first 2 shown]
	ds_read_b128 v[111:114], v1 offset:1264
	s_clause 0x4
	buffer_load_dword v181, off, s[0:3], 0 offset:700
	buffer_load_dword v182, off, s[0:3], 0 offset:712
	;; [unrolled: 1-line block ×5, first 2 shown]
	ds_read_b128 v[115:118], v1 offset:1280
	s_mov_b32 s4, exec_lo
	s_waitcnt vmcnt(62) lgkmcnt(2)
	v_mul_f64 v[178:179], v[4:5], v[6:7]
	v_mul_f64 v[6:7], v[2:3], v[6:7]
	s_waitcnt vmcnt(60) lgkmcnt(1)
	v_mul_f64 v[185:186], v[113:114], v[119:120]
	v_mul_f64 v[119:120], v[111:112], v[119:120]
	;; [unrolled: 3-line block ×3, first 2 shown]
	v_fma_f64 v[178:179], v[2:3], v[121:122], -v[178:179]
	v_fma_f64 v[6:7], v[4:5], v[121:122], v[6:7]
	s_clause 0x2
	buffer_load_dword v183, off, s[0:3], 0 offset:716
	buffer_load_dword v122, off, s[0:3], 0 offset:692
	;; [unrolled: 1-line block ×3, first 2 shown]
	s_waitcnt vmcnt(57)
	v_fma_f64 v[189:190], v[111:112], v[125:126], -v[185:186]
	ds_read_b128 v[2:5], v1 offset:1296
	v_fma_f64 v[119:120], v[113:114], v[125:126], v[119:120]
	s_clause 0x4
	buffer_load_dword v126, off, s[0:3], 0 offset:732
	buffer_load_dword v186, off, s[0:3], 0 offset:744
	;; [unrolled: 1-line block ×5, first 2 shown]
	s_waitcnt vmcnt(56)
	v_fma_f64 v[123:124], v[115:116], v[133:134], -v[123:124]
	ds_read_b128 v[111:114], v1 offset:1312
	v_fma_f64 v[133:134], v[117:118], v[133:134], v[187:188]
	v_add_f64 v[178:179], v[178:179], 0
	v_add_f64 v[6:7], v[6:7], 0
	s_waitcnt lgkmcnt(1)
	v_mul_f64 v[192:193], v[2:3], v[127:128]
	v_mul_f64 v[127:128], v[4:5], v[127:128]
	v_add_f64 v[178:179], v[178:179], v[189:190]
	v_add_f64 v[6:7], v[6:7], v[119:120]
	s_clause 0x2
	buffer_load_dword v187, off, s[0:3], 0 offset:748
	buffer_load_dword v120, off, s[0:3], 0 offset:724
	;; [unrolled: 1-line block ×3, first 2 shown]
	s_waitcnt vmcnt(58) lgkmcnt(0)
	v_mul_f64 v[188:189], v[111:112], v[129:130]
	v_mul_f64 v[129:130], v[113:114], v[129:130]
	s_waitcnt vmcnt(56)
	v_fma_f64 v[127:128], v[2:3], v[135:136], -v[127:128]
	ds_read_b128 v[115:118], v1 offset:1328
	v_fma_f64 v[135:136], v[4:5], v[135:136], v[192:193]
	v_add_f64 v[123:124], v[178:179], v[123:124]
	v_add_f64 v[6:7], v[6:7], v[133:134]
	s_clause 0x4
	buffer_load_dword v134, off, s[0:3], 0 offset:764
	buffer_load_dword v178, off, s[0:3], 0 offset:776
	;; [unrolled: 1-line block ×5, first 2 shown]
	ds_read_b128 v[2:5], v1 offset:1344
	s_waitcnt vmcnt(57) lgkmcnt(1)
	v_mul_f64 v[194:195], v[115:116], v[137:138]
	v_mul_f64 v[137:138], v[117:118], v[137:138]
	s_waitcnt vmcnt(56)
	v_fma_f64 v[129:130], v[111:112], v[131:132], -v[129:130]
	v_add_f64 v[123:124], v[123:124], v[127:128]
	v_fma_f64 v[127:128], v[113:114], v[131:132], v[188:189]
	v_add_f64 v[6:7], v[6:7], v[135:136]
	s_clause 0x2
	buffer_load_dword v179, off, s[0:3], 0 offset:780
	buffer_load_dword v132, off, s[0:3], 0 offset:756
	;; [unrolled: 1-line block ×3, first 2 shown]
	s_waitcnt vmcnt(58) lgkmcnt(0)
	v_mul_f64 v[135:136], v[2:3], v[139:140]
	v_mul_f64 v[139:140], v[4:5], v[139:140]
	s_waitcnt vmcnt(56)
	v_fma_f64 v[137:138], v[115:116], v[143:144], -v[137:138]
	ds_read_b128 v[111:114], v1 offset:1360
	v_add_f64 v[123:124], v[123:124], v[129:130]
	v_fma_f64 v[129:130], v[117:118], v[143:144], v[194:195]
	v_add_f64 v[6:7], v[6:7], v[127:128]
	s_clause 0x4
	buffer_load_dword v128, off, s[0:3], 0 offset:796
	buffer_load_dword v143, off, s[0:3], 0 offset:808
	;; [unrolled: 1-line block ×5, first 2 shown]
	ds_read_b128 v[115:118], v1 offset:1376
	s_waitcnt vmcnt(57) lgkmcnt(1)
	v_mul_f64 v[189:190], v[111:112], v[145:146]
	v_mul_f64 v[145:146], v[113:114], v[145:146]
	s_waitcnt vmcnt(56)
	v_fma_f64 v[139:140], v[2:3], v[141:142], -v[139:140]
	v_fma_f64 v[135:136], v[4:5], v[141:142], v[135:136]
	v_add_f64 v[123:124], v[123:124], v[137:138]
	v_add_f64 v[6:7], v[6:7], v[129:130]
	s_clause 0x2
	buffer_load_dword v144, off, s[0:3], 0 offset:812
	buffer_load_dword v130, off, s[0:3], 0 offset:788
	;; [unrolled: 1-line block ×3, first 2 shown]
	s_waitcnt vmcnt(58) lgkmcnt(0)
	v_mul_f64 v[141:142], v[117:118], v[147:148]
	ds_read_b128 v[2:5], v1 offset:1392
	s_waitcnt vmcnt(56)
	v_fma_f64 v[145:146], v[111:112], v[151:152], -v[145:146]
	v_mul_f64 v[137:138], v[115:116], v[147:148]
	v_add_f64 v[123:124], v[123:124], v[139:140]
	v_fma_f64 v[139:140], v[113:114], v[151:152], v[189:190]
	v_add_f64 v[6:7], v[6:7], v[135:136]
	s_clause 0x2
	buffer_load_dword v136, off, s[0:3], 0 offset:828
	buffer_load_dword v135, off, s[0:3], 0 offset:824
	buffer_load_dword v189, off, s[0:3], 0 offset:804
	s_waitcnt vmcnt(55) lgkmcnt(0)
	v_mul_f64 v[151:152], v[4:5], v[153:154]
	s_waitcnt vmcnt(54)
	v_fma_f64 v[141:142], v[115:116], v[149:150], -v[141:142]
	ds_read_b128 v[111:114], v1 offset:1408
	v_mul_f64 v[147:148], v[2:3], v[153:154]
	v_fma_f64 v[137:138], v[117:118], v[149:150], v[137:138]
	v_add_f64 v[123:124], v[123:124], v[145:146]
	v_add_f64 v[6:7], v[6:7], v[139:140]
	s_clause 0x1
	buffer_load_dword v140, off, s[0:3], 0 offset:820
	buffer_load_dword v139, off, s[0:3], 0 offset:816
	s_waitcnt vmcnt(55) lgkmcnt(0)
	v_mul_f64 v[149:150], v[113:114], v[155:156]
	s_waitcnt vmcnt(53)
	v_fma_f64 v[151:152], v[2:3], v[159:160], -v[151:152]
	ds_read_b128 v[115:118], v1 offset:1424
	v_mul_f64 v[145:146], v[111:112], v[155:156]
	v_add_f64 v[123:124], v[123:124], v[141:142]
	v_fma_f64 v[141:142], v[4:5], v[159:160], v[147:148]
	v_add_f64 v[6:7], v[6:7], v[137:138]
	ds_read_b128 v[2:5], v1 offset:1440
	s_waitcnt vmcnt(49) lgkmcnt(1)
	v_mul_f64 v[147:148], v[117:118], v[161:162]
	s_waitcnt vmcnt(48)
	v_fma_f64 v[149:150], v[111:112], v[157:158], -v[149:150]
	v_mul_f64 v[137:138], v[115:116], v[161:162]
	v_fma_f64 v[145:146], v[113:114], v[157:158], v[145:146]
	v_add_f64 v[123:124], v[123:124], v[151:152]
	s_waitcnt vmcnt(47) lgkmcnt(0)
	v_mul_f64 v[155:156], v[4:5], v[163:164]
	v_add_f64 v[6:7], v[6:7], v[141:142]
	s_clause 0x3
	buffer_load_dword v141, off, s[0:3], 0 offset:432
	buffer_load_dword v142, off, s[0:3], 0 offset:436
	;; [unrolled: 1-line block ×4, first 2 shown]
	s_waitcnt vmcnt(49)
	v_fma_f64 v[147:148], v[115:116], v[167:168], -v[147:148]
	ds_read_b128 v[111:114], v1 offset:1456
	v_mul_f64 v[153:154], v[2:3], v[163:164]
	v_fma_f64 v[137:138], v[117:118], v[167:168], v[137:138]
	ds_read_b128 v[115:118], v1 offset:1472
	v_add_f64 v[123:124], v[123:124], v[149:150]
	s_waitcnt vmcnt(44)
	v_fma_f64 v[155:156], v[2:3], v[165:166], -v[155:156]
	v_add_f64 v[6:7], v[6:7], v[145:146]
	s_waitcnt lgkmcnt(1)
	v_mul_f64 v[149:150], v[113:114], v[169:170]
	v_mul_f64 v[145:146], v[111:112], v[169:170]
	v_add_f64 v[123:124], v[123:124], v[147:148]
	v_fma_f64 v[147:148], v[4:5], v[165:166], v[153:154]
	v_add_f64 v[6:7], v[6:7], v[137:138]
	s_waitcnt vmcnt(43) lgkmcnt(0)
	v_mul_f64 v[153:154], v[117:118], v[172:173]
	s_waitcnt vmcnt(41)
	v_fma_f64 v[149:150], v[111:112], v[176:177], -v[149:150]
	ds_read_b128 v[2:5], v1 offset:1488
	v_mul_f64 v[137:138], v[115:116], v[172:173]
	v_fma_f64 v[145:146], v[113:114], v[176:177], v[145:146]
	ds_read_b128 v[111:114], v1 offset:1504
	v_add_f64 v[123:124], v[123:124], v[155:156]
	v_add_f64 v[6:7], v[6:7], v[147:148]
	s_waitcnt vmcnt(37) lgkmcnt(1)
	v_mul_f64 v[155:156], v[4:5], v[180:181]
	s_waitcnt vmcnt(36)
	v_fma_f64 v[153:154], v[115:116], v[174:175], -v[153:154]
	v_mul_f64 v[147:148], v[2:3], v[180:181]
	v_fma_f64 v[137:138], v[117:118], v[174:175], v[137:138]
	ds_read_b128 v[115:118], v1 offset:1520
	v_add_f64 v[123:124], v[123:124], v[149:150]
	v_add_f64 v[6:7], v[6:7], v[145:146]
	s_waitcnt vmcnt(35) lgkmcnt(1)
	v_mul_f64 v[149:150], v[113:114], v[182:183]
	v_mul_f64 v[145:146], v[111:112], v[182:183]
	s_waitcnt vmcnt(33)
	v_fma_f64 v[155:156], v[2:3], v[121:122], -v[155:156]
	v_fma_f64 v[121:122], v[4:5], v[121:122], v[147:148]
	ds_read_b128 v[2:5], v1 offset:1536
	v_add_f64 v[123:124], v[123:124], v[153:154]
	v_add_f64 v[6:7], v[6:7], v[137:138]
	s_waitcnt vmcnt(29) lgkmcnt(1)
	v_mul_f64 v[137:138], v[115:116], v[125:126]
	v_mul_f64 v[125:126], v[117:118], v[125:126]
	s_waitcnt vmcnt(28)
	v_fma_f64 v[147:148], v[111:112], v[184:185], -v[149:150]
	;; [unrolled: 9-line block ×7, first 2 shown]
	v_fma_f64 v[3:4], v[4:5], v[129:130], v[121:122]
	v_add_f64 v[123:124], v[123:124], v[125:126]
	v_add_f64 v[5:6], v[6:7], v[119:120]
	s_waitcnt vmcnt(7) lgkmcnt(0)
	v_mul_f64 v[119:120], v[117:118], v[135:136]
	s_waitcnt vmcnt(6)
	v_fma_f64 v[111:112], v[111:112], v[188:189], -v[133:134]
	v_mul_f64 v[7:8], v[115:116], v[135:136]
	v_fma_f64 v[113:114], v[113:114], v[188:189], v[131:132]
	v_add_f64 v[1:2], v[123:124], v[1:2]
	v_add_f64 v[3:4], v[5:6], v[3:4]
	s_waitcnt vmcnt(4)
	v_fma_f64 v[5:6], v[115:116], v[139:140], -v[119:120]
	v_fma_f64 v[7:8], v[117:118], v[139:140], v[7:8]
	v_add_f64 v[1:2], v[1:2], v[111:112]
	v_add_f64 v[3:4], v[3:4], v[113:114]
	;; [unrolled: 1-line block ×4, first 2 shown]
	s_waitcnt vmcnt(2)
	v_add_f64 v[1:2], v[141:142], -v[1:2]
	s_waitcnt vmcnt(0)
	v_add_f64 v[3:4], v[151:152], -v[3:4]
	buffer_store_dword v2, off, s[0:3], 0 offset:436
	buffer_store_dword v1, off, s[0:3], 0 offset:432
	;; [unrolled: 1-line block ×4, first 2 shown]
	v_cmpx_lt_u32_e32 25, v0
	s_cbranch_execz .LBB114_269
; %bb.268:
	v_mov_b32_e32 v4, s38
	v_mov_b32_e32 v5, 0
	s_clause 0x3
	buffer_load_dword v1, v4, s[0:3], 0 offen
	buffer_load_dword v2, v4, s[0:3], 0 offen offset:4
	buffer_load_dword v3, v4, s[0:3], 0 offen offset:8
	;; [unrolled: 1-line block ×3, first 2 shown]
	buffer_store_dword v5, off, s[0:3], 0 offset:416
	buffer_store_dword v5, off, s[0:3], 0 offset:420
	;; [unrolled: 1-line block ×4, first 2 shown]
	s_waitcnt vmcnt(0)
	ds_write_b128 v171, v[1:4]
.LBB114_269:
	s_or_b32 exec_lo, exec_lo, s4
	s_waitcnt lgkmcnt(0)
	s_waitcnt_vscnt null, 0x0
	s_barrier
	buffer_gl0_inv
	s_clause 0x37
	buffer_load_dword v6, off, s[0:3], 0 offset:440
	buffer_load_dword v7, off, s[0:3], 0 offset:444
	;; [unrolled: 1-line block ×56, first 2 shown]
	v_mov_b32_e32 v1, 0
	s_mov_b32 s4, exec_lo
	ds_read_b128 v[2:5], v1 offset:1232
	s_clause 0x2
	buffer_load_dword v173, off, s[0:3], 0 offset:668
	buffer_load_dword v177, off, s[0:3], 0 offset:644
	;; [unrolled: 1-line block ×3, first 2 shown]
	ds_read_b128 v[111:114], v1 offset:1248
	s_clause 0x4
	buffer_load_dword v181, off, s[0:3], 0 offset:684
	buffer_load_dword v182, off, s[0:3], 0 offset:696
	buffer_load_dword v184, off, s[0:3], 0 offset:688
	buffer_load_dword v180, off, s[0:3], 0 offset:680
	buffer_load_dword v175, off, s[0:3], 0 offset:660
	ds_read_b128 v[115:118], v1 offset:1264
	s_waitcnt vmcnt(62) lgkmcnt(2)
	v_mul_f64 v[178:179], v[4:5], v[6:7]
	v_mul_f64 v[6:7], v[2:3], v[6:7]
	s_waitcnt vmcnt(60) lgkmcnt(1)
	v_mul_f64 v[185:186], v[113:114], v[119:120]
	v_mul_f64 v[119:120], v[111:112], v[119:120]
	;; [unrolled: 3-line block ×3, first 2 shown]
	v_fma_f64 v[178:179], v[2:3], v[121:122], -v[178:179]
	v_fma_f64 v[6:7], v[4:5], v[121:122], v[6:7]
	s_clause 0x2
	buffer_load_dword v183, off, s[0:3], 0 offset:700
	buffer_load_dword v122, off, s[0:3], 0 offset:676
	;; [unrolled: 1-line block ×3, first 2 shown]
	s_waitcnt vmcnt(57)
	v_fma_f64 v[189:190], v[111:112], v[125:126], -v[185:186]
	ds_read_b128 v[2:5], v1 offset:1280
	v_fma_f64 v[119:120], v[113:114], v[125:126], v[119:120]
	s_clause 0x4
	buffer_load_dword v126, off, s[0:3], 0 offset:716
	buffer_load_dword v186, off, s[0:3], 0 offset:728
	;; [unrolled: 1-line block ×5, first 2 shown]
	s_waitcnt vmcnt(56)
	v_fma_f64 v[123:124], v[115:116], v[133:134], -v[123:124]
	ds_read_b128 v[111:114], v1 offset:1296
	v_fma_f64 v[133:134], v[117:118], v[133:134], v[187:188]
	v_add_f64 v[178:179], v[178:179], 0
	v_add_f64 v[6:7], v[6:7], 0
	s_waitcnt lgkmcnt(1)
	v_mul_f64 v[192:193], v[2:3], v[127:128]
	v_mul_f64 v[127:128], v[4:5], v[127:128]
	v_add_f64 v[178:179], v[178:179], v[189:190]
	v_add_f64 v[6:7], v[6:7], v[119:120]
	s_clause 0x2
	buffer_load_dword v187, off, s[0:3], 0 offset:732
	buffer_load_dword v120, off, s[0:3], 0 offset:708
	;; [unrolled: 1-line block ×3, first 2 shown]
	s_waitcnt vmcnt(58) lgkmcnt(0)
	v_mul_f64 v[188:189], v[111:112], v[129:130]
	v_mul_f64 v[129:130], v[113:114], v[129:130]
	s_waitcnt vmcnt(56)
	v_fma_f64 v[127:128], v[2:3], v[135:136], -v[127:128]
	ds_read_b128 v[115:118], v1 offset:1312
	v_fma_f64 v[135:136], v[4:5], v[135:136], v[192:193]
	v_add_f64 v[123:124], v[178:179], v[123:124]
	v_add_f64 v[6:7], v[6:7], v[133:134]
	s_clause 0x4
	buffer_load_dword v134, off, s[0:3], 0 offset:748
	buffer_load_dword v178, off, s[0:3], 0 offset:760
	;; [unrolled: 1-line block ×5, first 2 shown]
	ds_read_b128 v[2:5], v1 offset:1328
	s_waitcnt vmcnt(57) lgkmcnt(1)
	v_mul_f64 v[194:195], v[115:116], v[137:138]
	v_mul_f64 v[137:138], v[117:118], v[137:138]
	s_waitcnt vmcnt(56)
	v_fma_f64 v[129:130], v[111:112], v[131:132], -v[129:130]
	v_add_f64 v[123:124], v[123:124], v[127:128]
	v_fma_f64 v[127:128], v[113:114], v[131:132], v[188:189]
	v_add_f64 v[6:7], v[6:7], v[135:136]
	s_clause 0x2
	buffer_load_dword v179, off, s[0:3], 0 offset:764
	buffer_load_dword v132, off, s[0:3], 0 offset:740
	;; [unrolled: 1-line block ×3, first 2 shown]
	s_waitcnt vmcnt(58) lgkmcnt(0)
	v_mul_f64 v[135:136], v[2:3], v[139:140]
	v_mul_f64 v[139:140], v[4:5], v[139:140]
	s_waitcnt vmcnt(56)
	v_fma_f64 v[137:138], v[115:116], v[143:144], -v[137:138]
	ds_read_b128 v[111:114], v1 offset:1344
	v_add_f64 v[123:124], v[123:124], v[129:130]
	v_fma_f64 v[129:130], v[117:118], v[143:144], v[194:195]
	v_add_f64 v[6:7], v[6:7], v[127:128]
	s_clause 0x4
	buffer_load_dword v128, off, s[0:3], 0 offset:780
	buffer_load_dword v143, off, s[0:3], 0 offset:792
	;; [unrolled: 1-line block ×5, first 2 shown]
	ds_read_b128 v[115:118], v1 offset:1360
	s_waitcnt vmcnt(57) lgkmcnt(1)
	v_mul_f64 v[189:190], v[111:112], v[145:146]
	v_mul_f64 v[145:146], v[113:114], v[145:146]
	s_waitcnt vmcnt(56)
	v_fma_f64 v[139:140], v[2:3], v[141:142], -v[139:140]
	v_fma_f64 v[135:136], v[4:5], v[141:142], v[135:136]
	v_add_f64 v[123:124], v[123:124], v[137:138]
	v_add_f64 v[6:7], v[6:7], v[129:130]
	s_clause 0x2
	buffer_load_dword v144, off, s[0:3], 0 offset:796
	buffer_load_dword v130, off, s[0:3], 0 offset:772
	;; [unrolled: 1-line block ×3, first 2 shown]
	s_waitcnt vmcnt(58) lgkmcnt(0)
	v_mul_f64 v[141:142], v[117:118], v[147:148]
	ds_read_b128 v[2:5], v1 offset:1376
	s_waitcnt vmcnt(56)
	v_fma_f64 v[145:146], v[111:112], v[151:152], -v[145:146]
	v_mul_f64 v[137:138], v[115:116], v[147:148]
	v_add_f64 v[123:124], v[123:124], v[139:140]
	v_fma_f64 v[139:140], v[113:114], v[151:152], v[189:190]
	v_add_f64 v[6:7], v[6:7], v[135:136]
	s_clause 0x4
	buffer_load_dword v136, off, s[0:3], 0 offset:812
	buffer_load_dword v147, off, s[0:3], 0 offset:824
	;; [unrolled: 1-line block ×5, first 2 shown]
	s_waitcnt vmcnt(57) lgkmcnt(0)
	v_mul_f64 v[195:196], v[2:3], v[153:154]
	v_mul_f64 v[152:153], v[4:5], v[153:154]
	s_waitcnt vmcnt(56)
	v_fma_f64 v[141:142], v[115:116], v[149:150], -v[141:142]
	ds_read_b128 v[111:114], v1 offset:1392
	v_fma_f64 v[137:138], v[117:118], v[149:150], v[137:138]
	v_add_f64 v[123:124], v[123:124], v[145:146]
	v_add_f64 v[6:7], v[6:7], v[139:140]
	s_clause 0x2
	buffer_load_dword v148, off, s[0:3], 0 offset:828
	buffer_load_dword v140, off, s[0:3], 0 offset:804
	;; [unrolled: 1-line block ×3, first 2 shown]
	ds_read_b128 v[115:118], v1 offset:1408
	s_waitcnt vmcnt(58) lgkmcnt(1)
	v_mul_f64 v[149:150], v[113:114], v[155:156]
	s_waitcnt vmcnt(56)
	v_fma_f64 v[153:154], v[2:3], v[159:160], -v[152:153]
	v_mul_f64 v[145:146], v[111:112], v[155:156]
	buffer_load_dword v152, off, s[0:3], 0 offset:820
	v_add_f64 v[123:124], v[123:124], v[141:142]
	v_fma_f64 v[141:142], v[4:5], v[159:160], v[195:196]
	v_add_f64 v[6:7], v[6:7], v[137:138]
	ds_read_b128 v[2:5], v1 offset:1424
	s_waitcnt vmcnt(53) lgkmcnt(1)
	v_mul_f64 v[155:156], v[117:118], v[161:162]
	s_waitcnt vmcnt(52)
	v_fma_f64 v[149:150], v[111:112], v[157:158], -v[149:150]
	v_mul_f64 v[137:138], v[115:116], v[161:162]
	v_fma_f64 v[145:146], v[113:114], v[157:158], v[145:146]
	ds_read_b128 v[111:114], v1 offset:1440
	v_add_f64 v[123:124], v[123:124], v[153:154]
	s_waitcnt vmcnt(51) lgkmcnt(1)
	v_mul_f64 v[153:154], v[4:5], v[163:164]
	v_add_f64 v[6:7], v[6:7], v[141:142]
	v_mul_f64 v[141:142], v[2:3], v[163:164]
	s_waitcnt vmcnt(49)
	v_fma_f64 v[155:156], v[115:116], v[167:168], -v[155:156]
	v_fma_f64 v[137:138], v[117:118], v[167:168], v[137:138]
	s_waitcnt vmcnt(45) lgkmcnt(0)
	v_mul_f64 v[159:160], v[113:114], v[169:170]
	v_mul_f64 v[157:158], v[111:112], v[169:170]
	v_add_f64 v[123:124], v[123:124], v[149:150]
	s_waitcnt vmcnt(44)
	v_fma_f64 v[153:154], v[2:3], v[165:166], -v[153:154]
	v_add_f64 v[6:7], v[6:7], v[145:146]
	s_clause 0x3
	buffer_load_dword v145, off, s[0:3], 0 offset:416
	buffer_load_dword v146, off, s[0:3], 0 offset:420
	;; [unrolled: 1-line block ×4, first 2 shown]
	ds_read_b128 v[115:118], v1 offset:1456
	v_fma_f64 v[141:142], v[4:5], v[165:166], v[141:142]
	ds_read_b128 v[2:5], v1 offset:1472
	s_waitcnt vmcnt(45)
	v_fma_f64 v[159:160], v[111:112], v[176:177], -v[159:160]
	v_add_f64 v[123:124], v[123:124], v[155:156]
	v_add_f64 v[6:7], v[6:7], v[137:138]
	s_waitcnt lgkmcnt(1)
	v_mul_f64 v[155:156], v[117:118], v[172:173]
	v_mul_f64 v[137:138], v[115:116], v[172:173]
	v_add_f64 v[123:124], v[123:124], v[153:154]
	v_fma_f64 v[153:154], v[113:114], v[176:177], v[157:158]
	v_add_f64 v[6:7], v[6:7], v[141:142]
	s_waitcnt vmcnt(41) lgkmcnt(0)
	v_mul_f64 v[157:158], v[4:5], v[180:181]
	s_waitcnt vmcnt(40)
	v_fma_f64 v[155:156], v[115:116], v[174:175], -v[155:156]
	ds_read_b128 v[111:114], v1 offset:1488
	v_mul_f64 v[141:142], v[2:3], v[180:181]
	v_fma_f64 v[137:138], v[117:118], v[174:175], v[137:138]
	ds_read_b128 v[115:118], v1 offset:1504
	v_add_f64 v[123:124], v[123:124], v[159:160]
	v_add_f64 v[6:7], v[6:7], v[153:154]
	s_waitcnt vmcnt(39) lgkmcnt(1)
	v_mul_f64 v[159:160], v[113:114], v[182:183]
	v_mul_f64 v[153:154], v[111:112], v[182:183]
	s_waitcnt vmcnt(37)
	v_fma_f64 v[157:158], v[2:3], v[121:122], -v[157:158]
	v_fma_f64 v[121:122], v[4:5], v[121:122], v[141:142]
	ds_read_b128 v[2:5], v1 offset:1520
	v_add_f64 v[123:124], v[123:124], v[155:156]
	v_add_f64 v[6:7], v[6:7], v[137:138]
	s_waitcnt vmcnt(33) lgkmcnt(1)
	v_mul_f64 v[137:138], v[115:116], v[125:126]
	v_mul_f64 v[125:126], v[117:118], v[125:126]
	s_waitcnt vmcnt(32)
	v_fma_f64 v[141:142], v[111:112], v[184:185], -v[159:160]
	;; [unrolled: 9-line block ×7, first 2 shown]
	v_fma_f64 v[121:122], v[4:5], v[129:130], v[121:122]
	ds_read_b128 v[2:5], v1 offset:1616
	v_add_f64 v[123:124], v[123:124], v[125:126]
	v_add_f64 v[6:7], v[6:7], v[119:120]
	s_waitcnt vmcnt(9) lgkmcnt(1)
	v_mul_f64 v[125:126], v[117:118], v[135:136]
	s_waitcnt vmcnt(8)
	v_fma_f64 v[111:112], v[111:112], v[188:189], -v[133:134]
	v_mul_f64 v[119:120], v[115:116], v[135:136]
	v_fma_f64 v[113:114], v[113:114], v[188:189], v[131:132]
	v_add_f64 v[123:124], v[123:124], v[127:128]
	v_add_f64 v[6:7], v[6:7], v[121:122]
	s_waitcnt vmcnt(7) lgkmcnt(0)
	v_mul_f64 v[127:128], v[4:5], v[147:148]
	v_mul_f64 v[121:122], v[2:3], v[147:148]
	s_waitcnt vmcnt(5)
	v_fma_f64 v[115:116], v[115:116], v[139:140], -v[125:126]
	v_fma_f64 v[117:118], v[117:118], v[139:140], v[119:120]
	v_add_f64 v[111:112], v[123:124], v[111:112]
	v_add_f64 v[6:7], v[6:7], v[113:114]
	s_waitcnt vmcnt(4)
	v_fma_f64 v[2:3], v[2:3], v[151:152], -v[127:128]
	v_fma_f64 v[4:5], v[4:5], v[151:152], v[121:122]
	v_add_f64 v[111:112], v[111:112], v[115:116]
	v_add_f64 v[6:7], v[6:7], v[117:118]
	;; [unrolled: 1-line block ×4, first 2 shown]
	s_waitcnt vmcnt(2)
	v_add_f64 v[2:3], v[145:146], -v[2:3]
	s_waitcnt vmcnt(0)
	v_add_f64 v[4:5], v[149:150], -v[4:5]
	buffer_store_dword v3, off, s[0:3], 0 offset:420
	buffer_store_dword v2, off, s[0:3], 0 offset:416
	buffer_store_dword v5, off, s[0:3], 0 offset:428
	buffer_store_dword v4, off, s[0:3], 0 offset:424
	v_cmpx_lt_u32_e32 24, v0
	s_cbranch_execz .LBB114_271
; %bb.270:
	v_mov_b32_e32 v5, s39
	s_clause 0x3
	buffer_load_dword v2, v5, s[0:3], 0 offen
	buffer_load_dword v3, v5, s[0:3], 0 offen offset:4
	buffer_load_dword v4, v5, s[0:3], 0 offen offset:8
	;; [unrolled: 1-line block ×3, first 2 shown]
	buffer_store_dword v1, off, s[0:3], 0 offset:400
	buffer_store_dword v1, off, s[0:3], 0 offset:404
	;; [unrolled: 1-line block ×4, first 2 shown]
	s_waitcnt vmcnt(0)
	ds_write_b128 v171, v[2:5]
.LBB114_271:
	s_or_b32 exec_lo, exec_lo, s4
	s_waitcnt lgkmcnt(0)
	s_waitcnt_vscnt null, 0x0
	s_barrier
	buffer_gl0_inv
	s_clause 0x37
	buffer_load_dword v6, off, s[0:3], 0 offset:424
	buffer_load_dword v7, off, s[0:3], 0 offset:428
	;; [unrolled: 1-line block ×56, first 2 shown]
	ds_read_b128 v[2:5], v1 offset:1216
	s_clause 0x2
	buffer_load_dword v173, off, s[0:3], 0 offset:652
	buffer_load_dword v177, off, s[0:3], 0 offset:628
	;; [unrolled: 1-line block ×3, first 2 shown]
	ds_read_b128 v[111:114], v1 offset:1232
	s_clause 0x4
	buffer_load_dword v181, off, s[0:3], 0 offset:668
	buffer_load_dword v182, off, s[0:3], 0 offset:680
	;; [unrolled: 1-line block ×5, first 2 shown]
	ds_read_b128 v[115:118], v1 offset:1248
	s_mov_b32 s4, exec_lo
	s_waitcnt vmcnt(62) lgkmcnt(2)
	v_mul_f64 v[178:179], v[4:5], v[6:7]
	v_mul_f64 v[6:7], v[2:3], v[6:7]
	s_waitcnt vmcnt(60) lgkmcnt(1)
	v_mul_f64 v[185:186], v[113:114], v[119:120]
	v_mul_f64 v[119:120], v[111:112], v[119:120]
	;; [unrolled: 3-line block ×3, first 2 shown]
	v_fma_f64 v[178:179], v[2:3], v[121:122], -v[178:179]
	v_fma_f64 v[6:7], v[4:5], v[121:122], v[6:7]
	s_clause 0x2
	buffer_load_dword v183, off, s[0:3], 0 offset:684
	buffer_load_dword v122, off, s[0:3], 0 offset:660
	;; [unrolled: 1-line block ×3, first 2 shown]
	s_waitcnt vmcnt(57)
	v_fma_f64 v[189:190], v[111:112], v[125:126], -v[185:186]
	ds_read_b128 v[2:5], v1 offset:1264
	v_fma_f64 v[119:120], v[113:114], v[125:126], v[119:120]
	s_clause 0x4
	buffer_load_dword v126, off, s[0:3], 0 offset:700
	buffer_load_dword v186, off, s[0:3], 0 offset:712
	;; [unrolled: 1-line block ×5, first 2 shown]
	s_waitcnt vmcnt(56)
	v_fma_f64 v[123:124], v[115:116], v[133:134], -v[123:124]
	ds_read_b128 v[111:114], v1 offset:1280
	v_fma_f64 v[133:134], v[117:118], v[133:134], v[187:188]
	v_add_f64 v[178:179], v[178:179], 0
	v_add_f64 v[6:7], v[6:7], 0
	s_waitcnt lgkmcnt(1)
	v_mul_f64 v[192:193], v[2:3], v[127:128]
	v_mul_f64 v[127:128], v[4:5], v[127:128]
	v_add_f64 v[178:179], v[178:179], v[189:190]
	v_add_f64 v[6:7], v[6:7], v[119:120]
	s_clause 0x2
	buffer_load_dword v187, off, s[0:3], 0 offset:716
	buffer_load_dword v120, off, s[0:3], 0 offset:692
	;; [unrolled: 1-line block ×3, first 2 shown]
	s_waitcnt vmcnt(58) lgkmcnt(0)
	v_mul_f64 v[188:189], v[111:112], v[129:130]
	v_mul_f64 v[129:130], v[113:114], v[129:130]
	s_waitcnt vmcnt(56)
	v_fma_f64 v[127:128], v[2:3], v[135:136], -v[127:128]
	ds_read_b128 v[115:118], v1 offset:1296
	v_fma_f64 v[135:136], v[4:5], v[135:136], v[192:193]
	v_add_f64 v[123:124], v[178:179], v[123:124]
	v_add_f64 v[6:7], v[6:7], v[133:134]
	s_clause 0x4
	buffer_load_dword v134, off, s[0:3], 0 offset:732
	buffer_load_dword v178, off, s[0:3], 0 offset:744
	;; [unrolled: 1-line block ×5, first 2 shown]
	ds_read_b128 v[2:5], v1 offset:1312
	s_waitcnt vmcnt(57) lgkmcnt(1)
	v_mul_f64 v[194:195], v[115:116], v[137:138]
	v_mul_f64 v[137:138], v[117:118], v[137:138]
	s_waitcnt vmcnt(56)
	v_fma_f64 v[129:130], v[111:112], v[131:132], -v[129:130]
	v_add_f64 v[123:124], v[123:124], v[127:128]
	v_fma_f64 v[127:128], v[113:114], v[131:132], v[188:189]
	v_add_f64 v[6:7], v[6:7], v[135:136]
	s_clause 0x2
	buffer_load_dword v179, off, s[0:3], 0 offset:748
	buffer_load_dword v132, off, s[0:3], 0 offset:724
	;; [unrolled: 1-line block ×3, first 2 shown]
	s_waitcnt vmcnt(58) lgkmcnt(0)
	v_mul_f64 v[135:136], v[2:3], v[139:140]
	v_mul_f64 v[139:140], v[4:5], v[139:140]
	s_waitcnt vmcnt(56)
	v_fma_f64 v[137:138], v[115:116], v[143:144], -v[137:138]
	ds_read_b128 v[111:114], v1 offset:1328
	v_add_f64 v[123:124], v[123:124], v[129:130]
	v_fma_f64 v[129:130], v[117:118], v[143:144], v[194:195]
	v_add_f64 v[6:7], v[6:7], v[127:128]
	s_clause 0x4
	buffer_load_dword v128, off, s[0:3], 0 offset:764
	buffer_load_dword v143, off, s[0:3], 0 offset:776
	;; [unrolled: 1-line block ×5, first 2 shown]
	ds_read_b128 v[115:118], v1 offset:1344
	s_waitcnt vmcnt(57) lgkmcnt(1)
	v_mul_f64 v[189:190], v[111:112], v[145:146]
	v_mul_f64 v[145:146], v[113:114], v[145:146]
	s_waitcnt vmcnt(56)
	v_fma_f64 v[139:140], v[2:3], v[141:142], -v[139:140]
	v_fma_f64 v[135:136], v[4:5], v[141:142], v[135:136]
	v_add_f64 v[123:124], v[123:124], v[137:138]
	v_add_f64 v[6:7], v[6:7], v[129:130]
	s_clause 0x2
	buffer_load_dword v144, off, s[0:3], 0 offset:780
	buffer_load_dword v130, off, s[0:3], 0 offset:756
	buffer_load_dword v129, off, s[0:3], 0 offset:752
	s_waitcnt vmcnt(58) lgkmcnt(0)
	v_mul_f64 v[141:142], v[117:118], v[147:148]
	ds_read_b128 v[2:5], v1 offset:1360
	s_waitcnt vmcnt(56)
	v_fma_f64 v[145:146], v[111:112], v[151:152], -v[145:146]
	v_mul_f64 v[137:138], v[115:116], v[147:148]
	v_add_f64 v[123:124], v[123:124], v[139:140]
	v_fma_f64 v[139:140], v[113:114], v[151:152], v[189:190]
	v_add_f64 v[6:7], v[6:7], v[135:136]
	s_clause 0x4
	buffer_load_dword v136, off, s[0:3], 0 offset:796
	buffer_load_dword v147, off, s[0:3], 0 offset:808
	;; [unrolled: 1-line block ×5, first 2 shown]
	s_waitcnt vmcnt(57) lgkmcnt(0)
	v_mul_f64 v[195:196], v[2:3], v[153:154]
	v_mul_f64 v[152:153], v[4:5], v[153:154]
	s_waitcnt vmcnt(56)
	v_fma_f64 v[141:142], v[115:116], v[149:150], -v[141:142]
	ds_read_b128 v[111:114], v1 offset:1376
	v_fma_f64 v[137:138], v[117:118], v[149:150], v[137:138]
	v_add_f64 v[123:124], v[123:124], v[145:146]
	v_add_f64 v[6:7], v[6:7], v[139:140]
	s_clause 0x2
	buffer_load_dword v148, off, s[0:3], 0 offset:812
	buffer_load_dword v140, off, s[0:3], 0 offset:788
	;; [unrolled: 1-line block ×3, first 2 shown]
	ds_read_b128 v[115:118], v1 offset:1392
	s_waitcnt vmcnt(58) lgkmcnt(1)
	v_mul_f64 v[149:150], v[113:114], v[155:156]
	s_waitcnt vmcnt(56)
	v_fma_f64 v[153:154], v[2:3], v[159:160], -v[152:153]
	v_mul_f64 v[145:146], v[111:112], v[155:156]
	v_add_f64 v[123:124], v[123:124], v[141:142]
	v_fma_f64 v[141:142], v[4:5], v[159:160], v[195:196]
	v_add_f64 v[6:7], v[6:7], v[137:138]
	s_clause 0x2
	buffer_load_dword v138, off, s[0:3], 0 offset:828
	buffer_load_dword v137, off, s[0:3], 0 offset:824
	;; [unrolled: 1-line block ×3, first 2 shown]
	s_waitcnt vmcnt(55) lgkmcnt(0)
	v_mul_f64 v[159:160], v[117:118], v[161:162]
	s_waitcnt vmcnt(54)
	v_fma_f64 v[149:150], v[111:112], v[157:158], -v[149:150]
	ds_read_b128 v[2:5], v1 offset:1408
	v_mul_f64 v[155:156], v[115:116], v[161:162]
	v_fma_f64 v[145:146], v[113:114], v[157:158], v[145:146]
	v_add_f64 v[123:124], v[123:124], v[153:154]
	v_add_f64 v[6:7], v[6:7], v[141:142]
	s_clause 0x1
	buffer_load_dword v142, off, s[0:3], 0 offset:820
	buffer_load_dword v141, off, s[0:3], 0 offset:816
	s_waitcnt vmcnt(55) lgkmcnt(0)
	v_mul_f64 v[157:158], v[4:5], v[163:164]
	s_waitcnt vmcnt(53)
	v_fma_f64 v[159:160], v[115:116], v[167:168], -v[159:160]
	ds_read_b128 v[111:114], v1 offset:1424
	v_mul_f64 v[153:154], v[2:3], v[163:164]
	v_add_f64 v[123:124], v[123:124], v[149:150]
	v_fma_f64 v[149:150], v[117:118], v[167:168], v[155:156]
	v_add_f64 v[6:7], v[6:7], v[145:146]
	ds_read_b128 v[115:118], v1 offset:1440
	s_waitcnt vmcnt(49) lgkmcnt(1)
	v_mul_f64 v[155:156], v[113:114], v[169:170]
	s_waitcnt vmcnt(48)
	v_fma_f64 v[157:158], v[2:3], v[165:166], -v[157:158]
	v_mul_f64 v[145:146], v[111:112], v[169:170]
	v_fma_f64 v[153:154], v[4:5], v[165:166], v[153:154]
	v_add_f64 v[123:124], v[123:124], v[159:160]
	s_waitcnt vmcnt(47) lgkmcnt(0)
	v_mul_f64 v[163:164], v[117:118], v[172:173]
	v_add_f64 v[6:7], v[6:7], v[149:150]
	s_clause 0x3
	buffer_load_dword v149, off, s[0:3], 0 offset:400
	buffer_load_dword v150, off, s[0:3], 0 offset:404
	;; [unrolled: 1-line block ×4, first 2 shown]
	s_waitcnt vmcnt(49)
	v_fma_f64 v[155:156], v[111:112], v[176:177], -v[155:156]
	ds_read_b128 v[2:5], v1 offset:1456
	v_mul_f64 v[161:162], v[115:116], v[172:173]
	v_fma_f64 v[145:146], v[113:114], v[176:177], v[145:146]
	ds_read_b128 v[111:114], v1 offset:1472
	v_add_f64 v[123:124], v[123:124], v[157:158]
	s_waitcnt vmcnt(44)
	v_fma_f64 v[163:164], v[115:116], v[174:175], -v[163:164]
	v_add_f64 v[6:7], v[6:7], v[153:154]
	s_waitcnt lgkmcnt(1)
	v_mul_f64 v[157:158], v[4:5], v[180:181]
	v_mul_f64 v[153:154], v[2:3], v[180:181]
	v_add_f64 v[123:124], v[123:124], v[155:156]
	v_fma_f64 v[155:156], v[117:118], v[174:175], v[161:162]
	v_add_f64 v[6:7], v[6:7], v[145:146]
	ds_read_b128 v[115:118], v1 offset:1488
	s_waitcnt vmcnt(43) lgkmcnt(1)
	v_mul_f64 v[161:162], v[113:114], v[182:183]
	v_mul_f64 v[145:146], v[111:112], v[182:183]
	s_waitcnt vmcnt(41)
	v_fma_f64 v[157:158], v[2:3], v[121:122], -v[157:158]
	v_fma_f64 v[121:122], v[4:5], v[121:122], v[153:154]
	ds_read_b128 v[2:5], v1 offset:1504
	v_add_f64 v[123:124], v[123:124], v[163:164]
	s_waitcnt vmcnt(37) lgkmcnt(1)
	v_mul_f64 v[153:154], v[115:116], v[125:126]
	v_add_f64 v[6:7], v[6:7], v[155:156]
	v_mul_f64 v[125:126], v[117:118], v[125:126]
	s_waitcnt vmcnt(36)
	v_fma_f64 v[155:156], v[111:112], v[184:185], -v[161:162]
	v_fma_f64 v[145:146], v[113:114], v[184:185], v[145:146]
	ds_read_b128 v[111:114], v1 offset:1520
	v_add_f64 v[123:124], v[123:124], v[157:158]
	v_add_f64 v[6:7], v[6:7], v[121:122]
	s_waitcnt vmcnt(35) lgkmcnt(1)
	v_mul_f64 v[157:158], v[4:5], v[186:187]
	v_mul_f64 v[121:122], v[2:3], v[186:187]
	s_waitcnt vmcnt(33)
	v_fma_f64 v[125:126], v[115:116], v[119:120], -v[125:126]
	v_fma_f64 v[119:120], v[117:118], v[119:120], v[153:154]
	ds_read_b128 v[115:118], v1 offset:1536
	v_add_f64 v[123:124], v[123:124], v[155:156]
	v_add_f64 v[6:7], v[6:7], v[145:146]
	s_waitcnt vmcnt(29) lgkmcnt(1)
	v_mul_f64 v[145:146], v[111:112], v[133:134]
	;; [unrolled: 9-line block ×6, first 2 shown]
	s_waitcnt vmcnt(12)
	v_fma_f64 v[129:130], v[111:112], v[188:189], -v[133:134]
	v_mul_f64 v[119:120], v[115:116], v[135:136]
	v_add_f64 v[123:124], v[123:124], v[127:128]
	v_fma_f64 v[127:128], v[113:114], v[188:189], v[131:132]
	v_add_f64 v[6:7], v[6:7], v[121:122]
	ds_read_b128 v[111:114], v1 offset:1616
	s_waitcnt vmcnt(11) lgkmcnt(1)
	v_mul_f64 v[131:132], v[4:5], v[147:148]
	v_mul_f64 v[121:122], v[2:3], v[147:148]
	s_waitcnt vmcnt(9)
	v_fma_f64 v[115:116], v[115:116], v[139:140], -v[125:126]
	v_fma_f64 v[117:118], v[117:118], v[139:140], v[119:120]
	v_add_f64 v[123:124], v[123:124], v[129:130]
	v_add_f64 v[6:7], v[6:7], v[127:128]
	s_waitcnt vmcnt(7) lgkmcnt(0)
	v_mul_f64 v[125:126], v[113:114], v[137:138]
	s_waitcnt vmcnt(6)
	v_fma_f64 v[1:2], v[2:3], v[151:152], -v[131:132]
	v_mul_f64 v[119:120], v[111:112], v[137:138]
	v_fma_f64 v[3:4], v[4:5], v[151:152], v[121:122]
	v_add_f64 v[115:116], v[123:124], v[115:116]
	v_add_f64 v[5:6], v[6:7], v[117:118]
	s_waitcnt vmcnt(4)
	v_fma_f64 v[7:8], v[111:112], v[141:142], -v[125:126]
	v_fma_f64 v[111:112], v[113:114], v[141:142], v[119:120]
	v_add_f64 v[1:2], v[115:116], v[1:2]
	v_add_f64 v[3:4], v[5:6], v[3:4]
	v_add_f64 v[1:2], v[1:2], v[7:8]
	v_add_f64 v[3:4], v[3:4], v[111:112]
	s_waitcnt vmcnt(2)
	v_add_f64 v[1:2], v[149:150], -v[1:2]
	s_waitcnt vmcnt(0)
	v_add_f64 v[3:4], v[159:160], -v[3:4]
	buffer_store_dword v2, off, s[0:3], 0 offset:404
	buffer_store_dword v1, off, s[0:3], 0 offset:400
	buffer_store_dword v4, off, s[0:3], 0 offset:412
	buffer_store_dword v3, off, s[0:3], 0 offset:408
	v_cmpx_lt_u32_e32 23, v0
	s_cbranch_execz .LBB114_273
; %bb.272:
	v_mov_b32_e32 v4, s40
	v_mov_b32_e32 v5, 0
	s_clause 0x3
	buffer_load_dword v1, v4, s[0:3], 0 offen
	buffer_load_dword v2, v4, s[0:3], 0 offen offset:4
	buffer_load_dword v3, v4, s[0:3], 0 offen offset:8
	buffer_load_dword v4, v4, s[0:3], 0 offen offset:12
	buffer_store_dword v5, off, s[0:3], 0 offset:384
	buffer_store_dword v5, off, s[0:3], 0 offset:388
	;; [unrolled: 1-line block ×4, first 2 shown]
	s_waitcnt vmcnt(0)
	ds_write_b128 v171, v[1:4]
.LBB114_273:
	s_or_b32 exec_lo, exec_lo, s4
	s_waitcnt lgkmcnt(0)
	s_waitcnt_vscnt null, 0x0
	s_barrier
	buffer_gl0_inv
	s_clause 0x37
	buffer_load_dword v6, off, s[0:3], 0 offset:408
	buffer_load_dword v7, off, s[0:3], 0 offset:412
	;; [unrolled: 1-line block ×56, first 2 shown]
	v_mov_b32_e32 v1, 0
	s_mov_b32 s4, exec_lo
	ds_read_b128 v[2:5], v1 offset:1200
	s_clause 0x2
	buffer_load_dword v173, off, s[0:3], 0 offset:636
	buffer_load_dword v177, off, s[0:3], 0 offset:612
	;; [unrolled: 1-line block ×3, first 2 shown]
	ds_read_b128 v[111:114], v1 offset:1216
	s_clause 0x4
	buffer_load_dword v181, off, s[0:3], 0 offset:652
	buffer_load_dword v182, off, s[0:3], 0 offset:664
	buffer_load_dword v184, off, s[0:3], 0 offset:656
	buffer_load_dword v180, off, s[0:3], 0 offset:648
	buffer_load_dword v175, off, s[0:3], 0 offset:628
	ds_read_b128 v[115:118], v1 offset:1232
	s_waitcnt vmcnt(62) lgkmcnt(2)
	v_mul_f64 v[178:179], v[4:5], v[6:7]
	v_mul_f64 v[6:7], v[2:3], v[6:7]
	s_waitcnt vmcnt(60) lgkmcnt(1)
	v_mul_f64 v[185:186], v[113:114], v[119:120]
	v_mul_f64 v[119:120], v[111:112], v[119:120]
	;; [unrolled: 3-line block ×3, first 2 shown]
	v_fma_f64 v[178:179], v[2:3], v[121:122], -v[178:179]
	v_fma_f64 v[6:7], v[4:5], v[121:122], v[6:7]
	s_clause 0x2
	buffer_load_dword v183, off, s[0:3], 0 offset:668
	buffer_load_dword v122, off, s[0:3], 0 offset:644
	;; [unrolled: 1-line block ×3, first 2 shown]
	s_waitcnt vmcnt(57)
	v_fma_f64 v[189:190], v[111:112], v[125:126], -v[185:186]
	ds_read_b128 v[2:5], v1 offset:1248
	v_fma_f64 v[119:120], v[113:114], v[125:126], v[119:120]
	s_clause 0x4
	buffer_load_dword v126, off, s[0:3], 0 offset:684
	buffer_load_dword v186, off, s[0:3], 0 offset:696
	;; [unrolled: 1-line block ×5, first 2 shown]
	s_waitcnt vmcnt(56)
	v_fma_f64 v[123:124], v[115:116], v[133:134], -v[123:124]
	ds_read_b128 v[111:114], v1 offset:1264
	v_fma_f64 v[133:134], v[117:118], v[133:134], v[187:188]
	v_add_f64 v[178:179], v[178:179], 0
	v_add_f64 v[6:7], v[6:7], 0
	s_waitcnt lgkmcnt(1)
	v_mul_f64 v[192:193], v[2:3], v[127:128]
	v_mul_f64 v[127:128], v[4:5], v[127:128]
	v_add_f64 v[178:179], v[178:179], v[189:190]
	v_add_f64 v[6:7], v[6:7], v[119:120]
	s_clause 0x2
	buffer_load_dword v187, off, s[0:3], 0 offset:700
	buffer_load_dword v120, off, s[0:3], 0 offset:676
	;; [unrolled: 1-line block ×3, first 2 shown]
	s_waitcnt vmcnt(58) lgkmcnt(0)
	v_mul_f64 v[188:189], v[111:112], v[129:130]
	v_mul_f64 v[129:130], v[113:114], v[129:130]
	s_waitcnt vmcnt(56)
	v_fma_f64 v[127:128], v[2:3], v[135:136], -v[127:128]
	ds_read_b128 v[115:118], v1 offset:1280
	v_fma_f64 v[135:136], v[4:5], v[135:136], v[192:193]
	v_add_f64 v[123:124], v[178:179], v[123:124]
	v_add_f64 v[6:7], v[6:7], v[133:134]
	s_clause 0x4
	buffer_load_dword v134, off, s[0:3], 0 offset:716
	buffer_load_dword v178, off, s[0:3], 0 offset:728
	;; [unrolled: 1-line block ×5, first 2 shown]
	ds_read_b128 v[2:5], v1 offset:1296
	s_waitcnt vmcnt(57) lgkmcnt(1)
	v_mul_f64 v[194:195], v[115:116], v[137:138]
	v_mul_f64 v[137:138], v[117:118], v[137:138]
	s_waitcnt vmcnt(56)
	v_fma_f64 v[129:130], v[111:112], v[131:132], -v[129:130]
	v_add_f64 v[123:124], v[123:124], v[127:128]
	v_fma_f64 v[127:128], v[113:114], v[131:132], v[188:189]
	v_add_f64 v[6:7], v[6:7], v[135:136]
	s_clause 0x2
	buffer_load_dword v179, off, s[0:3], 0 offset:732
	buffer_load_dword v132, off, s[0:3], 0 offset:708
	;; [unrolled: 1-line block ×3, first 2 shown]
	s_waitcnt vmcnt(58) lgkmcnt(0)
	v_mul_f64 v[135:136], v[2:3], v[139:140]
	v_mul_f64 v[139:140], v[4:5], v[139:140]
	s_waitcnt vmcnt(56)
	v_fma_f64 v[137:138], v[115:116], v[143:144], -v[137:138]
	ds_read_b128 v[111:114], v1 offset:1312
	v_add_f64 v[123:124], v[123:124], v[129:130]
	v_fma_f64 v[129:130], v[117:118], v[143:144], v[194:195]
	v_add_f64 v[6:7], v[6:7], v[127:128]
	s_clause 0x4
	buffer_load_dword v128, off, s[0:3], 0 offset:748
	buffer_load_dword v143, off, s[0:3], 0 offset:760
	buffer_load_dword v188, off, s[0:3], 0 offset:752
	buffer_load_dword v127, off, s[0:3], 0 offset:744
	buffer_load_dword v194, off, s[0:3], 0 offset:724
	ds_read_b128 v[115:118], v1 offset:1328
	s_waitcnt vmcnt(57) lgkmcnt(1)
	v_mul_f64 v[189:190], v[111:112], v[145:146]
	v_mul_f64 v[145:146], v[113:114], v[145:146]
	s_waitcnt vmcnt(56)
	v_fma_f64 v[139:140], v[2:3], v[141:142], -v[139:140]
	v_fma_f64 v[135:136], v[4:5], v[141:142], v[135:136]
	v_add_f64 v[123:124], v[123:124], v[137:138]
	v_add_f64 v[6:7], v[6:7], v[129:130]
	s_clause 0x2
	buffer_load_dword v144, off, s[0:3], 0 offset:764
	buffer_load_dword v130, off, s[0:3], 0 offset:740
	;; [unrolled: 1-line block ×3, first 2 shown]
	s_waitcnt vmcnt(58) lgkmcnt(0)
	v_mul_f64 v[141:142], v[117:118], v[147:148]
	ds_read_b128 v[2:5], v1 offset:1344
	s_waitcnt vmcnt(56)
	v_fma_f64 v[145:146], v[111:112], v[151:152], -v[145:146]
	v_mul_f64 v[137:138], v[115:116], v[147:148]
	v_add_f64 v[123:124], v[123:124], v[139:140]
	v_fma_f64 v[139:140], v[113:114], v[151:152], v[189:190]
	v_add_f64 v[6:7], v[6:7], v[135:136]
	s_clause 0x4
	buffer_load_dword v136, off, s[0:3], 0 offset:780
	buffer_load_dword v147, off, s[0:3], 0 offset:792
	;; [unrolled: 1-line block ×5, first 2 shown]
	s_waitcnt vmcnt(57) lgkmcnt(0)
	v_mul_f64 v[195:196], v[2:3], v[153:154]
	v_mul_f64 v[152:153], v[4:5], v[153:154]
	s_waitcnt vmcnt(56)
	v_fma_f64 v[141:142], v[115:116], v[149:150], -v[141:142]
	ds_read_b128 v[111:114], v1 offset:1360
	v_fma_f64 v[137:138], v[117:118], v[149:150], v[137:138]
	v_add_f64 v[123:124], v[123:124], v[145:146]
	v_add_f64 v[6:7], v[6:7], v[139:140]
	s_clause 0x2
	buffer_load_dword v148, off, s[0:3], 0 offset:796
	buffer_load_dword v140, off, s[0:3], 0 offset:772
	;; [unrolled: 1-line block ×3, first 2 shown]
	ds_read_b128 v[115:118], v1 offset:1376
	s_waitcnt vmcnt(58) lgkmcnt(1)
	v_mul_f64 v[149:150], v[113:114], v[155:156]
	s_waitcnt vmcnt(56)
	v_fma_f64 v[153:154], v[2:3], v[159:160], -v[152:153]
	v_mul_f64 v[145:146], v[111:112], v[155:156]
	v_add_f64 v[123:124], v[123:124], v[141:142]
	v_fma_f64 v[141:142], v[4:5], v[159:160], v[195:196]
	v_add_f64 v[6:7], v[6:7], v[137:138]
	s_clause 0x4
	buffer_load_dword v138, off, s[0:3], 0 offset:812
	buffer_load_dword v155, off, s[0:3], 0 offset:824
	;; [unrolled: 1-line block ×5, first 2 shown]
	s_waitcnt vmcnt(57) lgkmcnt(0)
	v_mul_f64 v[195:196], v[115:116], v[161:162]
	v_mul_f64 v[160:161], v[117:118], v[161:162]
	s_waitcnt vmcnt(56)
	v_fma_f64 v[149:150], v[111:112], v[157:158], -v[149:150]
	ds_read_b128 v[2:5], v1 offset:1392
	v_fma_f64 v[145:146], v[113:114], v[157:158], v[145:146]
	v_add_f64 v[123:124], v[123:124], v[153:154]
	v_add_f64 v[6:7], v[6:7], v[141:142]
	s_clause 0x2
	buffer_load_dword v156, off, s[0:3], 0 offset:828
	buffer_load_dword v142, off, s[0:3], 0 offset:804
	;; [unrolled: 1-line block ×3, first 2 shown]
	ds_read_b128 v[111:114], v1 offset:1408
	s_waitcnt vmcnt(58) lgkmcnt(1)
	v_mul_f64 v[157:158], v[4:5], v[163:164]
	s_waitcnt vmcnt(56)
	v_fma_f64 v[161:162], v[115:116], v[167:168], -v[160:161]
	v_mul_f64 v[153:154], v[2:3], v[163:164]
	buffer_load_dword v160, off, s[0:3], 0 offset:820
	v_add_f64 v[123:124], v[123:124], v[149:150]
	v_fma_f64 v[149:150], v[117:118], v[167:168], v[195:196]
	v_add_f64 v[6:7], v[6:7], v[145:146]
	ds_read_b128 v[115:118], v1 offset:1424
	s_waitcnt vmcnt(53) lgkmcnt(1)
	v_mul_f64 v[163:164], v[113:114], v[169:170]
	s_waitcnt vmcnt(52)
	v_fma_f64 v[157:158], v[2:3], v[165:166], -v[157:158]
	v_mul_f64 v[145:146], v[111:112], v[169:170]
	v_fma_f64 v[153:154], v[4:5], v[165:166], v[153:154]
	ds_read_b128 v[2:5], v1 offset:1440
	v_add_f64 v[123:124], v[123:124], v[161:162]
	s_waitcnt vmcnt(51) lgkmcnt(1)
	v_mul_f64 v[161:162], v[117:118], v[172:173]
	v_add_f64 v[6:7], v[6:7], v[149:150]
	v_mul_f64 v[149:150], v[115:116], v[172:173]
	s_waitcnt vmcnt(49)
	v_fma_f64 v[163:164], v[111:112], v[176:177], -v[163:164]
	v_fma_f64 v[145:146], v[113:114], v[176:177], v[145:146]
	s_waitcnt vmcnt(45) lgkmcnt(0)
	v_mul_f64 v[167:168], v[4:5], v[180:181]
	v_mul_f64 v[165:166], v[2:3], v[180:181]
	v_add_f64 v[123:124], v[123:124], v[157:158]
	s_waitcnt vmcnt(44)
	v_fma_f64 v[161:162], v[115:116], v[174:175], -v[161:162]
	v_add_f64 v[6:7], v[6:7], v[153:154]
	s_clause 0x3
	buffer_load_dword v153, off, s[0:3], 0 offset:384
	buffer_load_dword v154, off, s[0:3], 0 offset:388
	;; [unrolled: 1-line block ×4, first 2 shown]
	ds_read_b128 v[111:114], v1 offset:1456
	v_fma_f64 v[149:150], v[117:118], v[174:175], v[149:150]
	ds_read_b128 v[115:118], v1 offset:1472
	v_add_f64 v[123:124], v[123:124], v[163:164]
	v_add_f64 v[6:7], v[6:7], v[145:146]
	s_waitcnt vmcnt(47) lgkmcnt(1)
	v_mul_f64 v[163:164], v[113:114], v[182:183]
	v_mul_f64 v[145:146], v[111:112], v[182:183]
	s_waitcnt vmcnt(45)
	v_fma_f64 v[167:168], v[2:3], v[121:122], -v[167:168]
	v_fma_f64 v[121:122], v[4:5], v[121:122], v[165:166]
	ds_read_b128 v[2:5], v1 offset:1488
	v_add_f64 v[123:124], v[123:124], v[161:162]
	v_add_f64 v[6:7], v[6:7], v[149:150]
	s_waitcnt vmcnt(41) lgkmcnt(1)
	v_mul_f64 v[149:150], v[115:116], v[125:126]
	v_mul_f64 v[125:126], v[117:118], v[125:126]
	s_waitcnt vmcnt(40)
	v_fma_f64 v[161:162], v[111:112], v[184:185], -v[163:164]
	;; [unrolled: 9-line block ×7, first 2 shown]
	v_fma_f64 v[121:122], v[4:5], v[129:130], v[121:122]
	ds_read_b128 v[2:5], v1 offset:1584
	v_add_f64 v[123:124], v[123:124], v[125:126]
	v_add_f64 v[6:7], v[6:7], v[119:120]
	s_waitcnt vmcnt(17) lgkmcnt(1)
	v_mul_f64 v[125:126], v[117:118], v[135:136]
	s_waitcnt vmcnt(16)
	v_fma_f64 v[129:130], v[111:112], v[188:189], -v[133:134]
	v_mul_f64 v[119:120], v[115:116], v[135:136]
	v_add_f64 v[123:124], v[123:124], v[127:128]
	v_fma_f64 v[127:128], v[113:114], v[188:189], v[131:132]
	v_add_f64 v[6:7], v[6:7], v[121:122]
	ds_read_b128 v[111:114], v1 offset:1600
	s_waitcnt vmcnt(15) lgkmcnt(1)
	v_mul_f64 v[131:132], v[4:5], v[147:148]
	v_mul_f64 v[121:122], v[2:3], v[147:148]
	s_waitcnt vmcnt(13)
	v_fma_f64 v[125:126], v[115:116], v[139:140], -v[125:126]
	v_fma_f64 v[119:120], v[117:118], v[139:140], v[119:120]
	ds_read_b128 v[115:118], v1 offset:1616
	v_add_f64 v[123:124], v[123:124], v[129:130]
	v_add_f64 v[6:7], v[6:7], v[127:128]
	s_waitcnt vmcnt(9) lgkmcnt(1)
	v_mul_f64 v[129:130], v[113:114], v[137:138]
	s_waitcnt vmcnt(8)
	v_fma_f64 v[2:3], v[2:3], v[151:152], -v[131:132]
	v_mul_f64 v[127:128], v[111:112], v[137:138]
	v_fma_f64 v[4:5], v[4:5], v[151:152], v[121:122]
	v_add_f64 v[123:124], v[123:124], v[125:126]
	v_add_f64 v[6:7], v[6:7], v[119:120]
	s_waitcnt vmcnt(7) lgkmcnt(0)
	v_mul_f64 v[121:122], v[117:118], v[155:156]
	v_mul_f64 v[119:120], v[115:116], v[155:156]
	s_waitcnt vmcnt(5)
	v_fma_f64 v[111:112], v[111:112], v[141:142], -v[129:130]
	v_fma_f64 v[113:114], v[113:114], v[141:142], v[127:128]
	v_add_f64 v[2:3], v[123:124], v[2:3]
	v_add_f64 v[4:5], v[6:7], v[4:5]
	s_waitcnt vmcnt(4)
	v_fma_f64 v[6:7], v[115:116], v[159:160], -v[121:122]
	v_add_f64 v[2:3], v[2:3], v[111:112]
	v_fma_f64 v[111:112], v[117:118], v[159:160], v[119:120]
	v_add_f64 v[4:5], v[4:5], v[113:114]
	v_add_f64 v[2:3], v[2:3], v[6:7]
	;; [unrolled: 1-line block ×3, first 2 shown]
	s_waitcnt vmcnt(2)
	v_add_f64 v[2:3], v[153:154], -v[2:3]
	s_waitcnt vmcnt(0)
	v_add_f64 v[4:5], v[157:158], -v[4:5]
	buffer_store_dword v3, off, s[0:3], 0 offset:388
	buffer_store_dword v2, off, s[0:3], 0 offset:384
	;; [unrolled: 1-line block ×4, first 2 shown]
	v_cmpx_lt_u32_e32 22, v0
	s_cbranch_execz .LBB114_275
; %bb.274:
	v_mov_b32_e32 v5, s41
	s_clause 0x3
	buffer_load_dword v2, v5, s[0:3], 0 offen
	buffer_load_dword v3, v5, s[0:3], 0 offen offset:4
	buffer_load_dword v4, v5, s[0:3], 0 offen offset:8
	;; [unrolled: 1-line block ×3, first 2 shown]
	buffer_store_dword v1, off, s[0:3], 0 offset:368
	buffer_store_dword v1, off, s[0:3], 0 offset:372
	;; [unrolled: 1-line block ×4, first 2 shown]
	s_waitcnt vmcnt(0)
	ds_write_b128 v171, v[2:5]
.LBB114_275:
	s_or_b32 exec_lo, exec_lo, s4
	s_waitcnt lgkmcnt(0)
	s_waitcnt_vscnt null, 0x0
	s_barrier
	buffer_gl0_inv
	s_clause 0x37
	buffer_load_dword v6, off, s[0:3], 0 offset:392
	buffer_load_dword v7, off, s[0:3], 0 offset:396
	buffer_load_dword v119, off, s[0:3], 0 offset:408
	buffer_load_dword v120, off, s[0:3], 0 offset:412
	buffer_load_dword v121, off, s[0:3], 0 offset:384
	buffer_load_dword v122, off, s[0:3], 0 offset:388
	buffer_load_dword v123, off, s[0:3], 0 offset:424
	buffer_load_dword v124, off, s[0:3], 0 offset:428
	buffer_load_dword v125, off, s[0:3], 0 offset:400
	buffer_load_dword v126, off, s[0:3], 0 offset:404
	buffer_load_dword v128, off, s[0:3], 0 offset:444
	buffer_load_dword v129, off, s[0:3], 0 offset:456
	buffer_load_dword v131, off, s[0:3], 0 offset:448
	buffer_load_dword v127, off, s[0:3], 0 offset:440
	buffer_load_dword v133, off, s[0:3], 0 offset:416
	buffer_load_dword v134, off, s[0:3], 0 offset:420
	buffer_load_dword v130, off, s[0:3], 0 offset:460
	buffer_load_dword v136, off, s[0:3], 0 offset:436
	buffer_load_dword v135, off, s[0:3], 0 offset:432
	buffer_load_dword v138, off, s[0:3], 0 offset:476
	buffer_load_dword v139, off, s[0:3], 0 offset:488
	buffer_load_dword v141, off, s[0:3], 0 offset:480
	buffer_load_dword v137, off, s[0:3], 0 offset:472
	buffer_load_dword v132, off, s[0:3], 0 offset:452
	buffer_load_dword v140, off, s[0:3], 0 offset:492
	buffer_load_dword v144, off, s[0:3], 0 offset:468
	buffer_load_dword v143, off, s[0:3], 0 offset:464
	buffer_load_dword v146, off, s[0:3], 0 offset:508
	buffer_load_dword v147, off, s[0:3], 0 offset:520
	buffer_load_dword v149, off, s[0:3], 0 offset:512
	buffer_load_dword v145, off, s[0:3], 0 offset:504
	buffer_load_dword v142, off, s[0:3], 0 offset:484
	buffer_load_dword v148, off, s[0:3], 0 offset:524
	buffer_load_dword v152, off, s[0:3], 0 offset:500
	buffer_load_dword v151, off, s[0:3], 0 offset:496
	buffer_load_dword v154, off, s[0:3], 0 offset:540
	buffer_load_dword v155, off, s[0:3], 0 offset:552
	buffer_load_dword v157, off, s[0:3], 0 offset:544
	buffer_load_dword v153, off, s[0:3], 0 offset:536
	buffer_load_dword v150, off, s[0:3], 0 offset:516
	buffer_load_dword v156, off, s[0:3], 0 offset:556
	buffer_load_dword v160, off, s[0:3], 0 offset:532
	buffer_load_dword v159, off, s[0:3], 0 offset:528
	buffer_load_dword v162, off, s[0:3], 0 offset:572
	buffer_load_dword v163, off, s[0:3], 0 offset:584
	buffer_load_dword v165, off, s[0:3], 0 offset:576
	buffer_load_dword v161, off, s[0:3], 0 offset:568
	buffer_load_dword v158, off, s[0:3], 0 offset:548
	buffer_load_dword v164, off, s[0:3], 0 offset:588
	buffer_load_dword v168, off, s[0:3], 0 offset:564
	buffer_load_dword v167, off, s[0:3], 0 offset:560
	buffer_load_dword v170, off, s[0:3], 0 offset:604
	buffer_load_dword v172, off, s[0:3], 0 offset:616
	buffer_load_dword v174, off, s[0:3], 0 offset:608
	buffer_load_dword v169, off, s[0:3], 0 offset:600
	buffer_load_dword v166, off, s[0:3], 0 offset:580
	ds_read_b128 v[2:5], v1 offset:1184
	s_clause 0x2
	buffer_load_dword v173, off, s[0:3], 0 offset:620
	buffer_load_dword v177, off, s[0:3], 0 offset:596
	;; [unrolled: 1-line block ×3, first 2 shown]
	ds_read_b128 v[111:114], v1 offset:1200
	s_clause 0x4
	buffer_load_dword v181, off, s[0:3], 0 offset:636
	buffer_load_dword v182, off, s[0:3], 0 offset:648
	;; [unrolled: 1-line block ×5, first 2 shown]
	ds_read_b128 v[115:118], v1 offset:1216
	s_mov_b32 s4, exec_lo
	s_waitcnt vmcnt(62) lgkmcnt(2)
	v_mul_f64 v[178:179], v[4:5], v[6:7]
	v_mul_f64 v[6:7], v[2:3], v[6:7]
	s_waitcnt vmcnt(60) lgkmcnt(1)
	v_mul_f64 v[185:186], v[113:114], v[119:120]
	v_mul_f64 v[119:120], v[111:112], v[119:120]
	;; [unrolled: 3-line block ×3, first 2 shown]
	v_fma_f64 v[178:179], v[2:3], v[121:122], -v[178:179]
	v_fma_f64 v[6:7], v[4:5], v[121:122], v[6:7]
	s_clause 0x2
	buffer_load_dword v183, off, s[0:3], 0 offset:652
	buffer_load_dword v122, off, s[0:3], 0 offset:628
	;; [unrolled: 1-line block ×3, first 2 shown]
	s_waitcnt vmcnt(57)
	v_fma_f64 v[189:190], v[111:112], v[125:126], -v[185:186]
	ds_read_b128 v[2:5], v1 offset:1232
	v_fma_f64 v[119:120], v[113:114], v[125:126], v[119:120]
	s_clause 0x4
	buffer_load_dword v126, off, s[0:3], 0 offset:668
	buffer_load_dword v186, off, s[0:3], 0 offset:680
	;; [unrolled: 1-line block ×5, first 2 shown]
	s_waitcnt vmcnt(56)
	v_fma_f64 v[123:124], v[115:116], v[133:134], -v[123:124]
	ds_read_b128 v[111:114], v1 offset:1248
	v_fma_f64 v[133:134], v[117:118], v[133:134], v[187:188]
	v_add_f64 v[178:179], v[178:179], 0
	v_add_f64 v[6:7], v[6:7], 0
	s_waitcnt lgkmcnt(1)
	v_mul_f64 v[192:193], v[2:3], v[127:128]
	v_mul_f64 v[127:128], v[4:5], v[127:128]
	v_add_f64 v[178:179], v[178:179], v[189:190]
	v_add_f64 v[6:7], v[6:7], v[119:120]
	s_clause 0x2
	buffer_load_dword v187, off, s[0:3], 0 offset:684
	buffer_load_dword v120, off, s[0:3], 0 offset:660
	;; [unrolled: 1-line block ×3, first 2 shown]
	s_waitcnt vmcnt(58) lgkmcnt(0)
	v_mul_f64 v[188:189], v[111:112], v[129:130]
	v_mul_f64 v[129:130], v[113:114], v[129:130]
	s_waitcnt vmcnt(56)
	v_fma_f64 v[127:128], v[2:3], v[135:136], -v[127:128]
	ds_read_b128 v[115:118], v1 offset:1264
	v_fma_f64 v[135:136], v[4:5], v[135:136], v[192:193]
	v_add_f64 v[123:124], v[178:179], v[123:124]
	v_add_f64 v[6:7], v[6:7], v[133:134]
	s_clause 0x4
	buffer_load_dword v134, off, s[0:3], 0 offset:700
	buffer_load_dword v178, off, s[0:3], 0 offset:712
	;; [unrolled: 1-line block ×5, first 2 shown]
	ds_read_b128 v[2:5], v1 offset:1280
	s_waitcnt vmcnt(57) lgkmcnt(1)
	v_mul_f64 v[194:195], v[115:116], v[137:138]
	v_mul_f64 v[137:138], v[117:118], v[137:138]
	s_waitcnt vmcnt(56)
	v_fma_f64 v[129:130], v[111:112], v[131:132], -v[129:130]
	v_add_f64 v[123:124], v[123:124], v[127:128]
	v_fma_f64 v[127:128], v[113:114], v[131:132], v[188:189]
	v_add_f64 v[6:7], v[6:7], v[135:136]
	s_clause 0x2
	buffer_load_dword v179, off, s[0:3], 0 offset:716
	buffer_load_dword v132, off, s[0:3], 0 offset:692
	;; [unrolled: 1-line block ×3, first 2 shown]
	s_waitcnt vmcnt(58) lgkmcnt(0)
	v_mul_f64 v[135:136], v[2:3], v[139:140]
	v_mul_f64 v[139:140], v[4:5], v[139:140]
	s_waitcnt vmcnt(56)
	v_fma_f64 v[137:138], v[115:116], v[143:144], -v[137:138]
	ds_read_b128 v[111:114], v1 offset:1296
	v_add_f64 v[123:124], v[123:124], v[129:130]
	v_fma_f64 v[129:130], v[117:118], v[143:144], v[194:195]
	v_add_f64 v[6:7], v[6:7], v[127:128]
	s_clause 0x4
	buffer_load_dword v128, off, s[0:3], 0 offset:732
	buffer_load_dword v143, off, s[0:3], 0 offset:744
	;; [unrolled: 1-line block ×5, first 2 shown]
	ds_read_b128 v[115:118], v1 offset:1312
	s_waitcnt vmcnt(57) lgkmcnt(1)
	v_mul_f64 v[189:190], v[111:112], v[145:146]
	v_mul_f64 v[145:146], v[113:114], v[145:146]
	s_waitcnt vmcnt(56)
	v_fma_f64 v[139:140], v[2:3], v[141:142], -v[139:140]
	v_fma_f64 v[135:136], v[4:5], v[141:142], v[135:136]
	v_add_f64 v[123:124], v[123:124], v[137:138]
	v_add_f64 v[6:7], v[6:7], v[129:130]
	s_clause 0x2
	buffer_load_dword v144, off, s[0:3], 0 offset:748
	buffer_load_dword v130, off, s[0:3], 0 offset:724
	;; [unrolled: 1-line block ×3, first 2 shown]
	s_waitcnt vmcnt(58) lgkmcnt(0)
	v_mul_f64 v[141:142], v[117:118], v[147:148]
	ds_read_b128 v[2:5], v1 offset:1328
	s_waitcnt vmcnt(56)
	v_fma_f64 v[145:146], v[111:112], v[151:152], -v[145:146]
	v_mul_f64 v[137:138], v[115:116], v[147:148]
	v_add_f64 v[123:124], v[123:124], v[139:140]
	v_fma_f64 v[139:140], v[113:114], v[151:152], v[189:190]
	v_add_f64 v[6:7], v[6:7], v[135:136]
	s_clause 0x4
	buffer_load_dword v136, off, s[0:3], 0 offset:764
	buffer_load_dword v147, off, s[0:3], 0 offset:776
	;; [unrolled: 1-line block ×5, first 2 shown]
	s_waitcnt vmcnt(57) lgkmcnt(0)
	v_mul_f64 v[195:196], v[2:3], v[153:154]
	v_mul_f64 v[152:153], v[4:5], v[153:154]
	s_waitcnt vmcnt(56)
	v_fma_f64 v[141:142], v[115:116], v[149:150], -v[141:142]
	ds_read_b128 v[111:114], v1 offset:1344
	v_fma_f64 v[137:138], v[117:118], v[149:150], v[137:138]
	v_add_f64 v[123:124], v[123:124], v[145:146]
	v_add_f64 v[6:7], v[6:7], v[139:140]
	s_clause 0x2
	buffer_load_dword v148, off, s[0:3], 0 offset:780
	buffer_load_dword v140, off, s[0:3], 0 offset:756
	;; [unrolled: 1-line block ×3, first 2 shown]
	ds_read_b128 v[115:118], v1 offset:1360
	s_waitcnt vmcnt(58) lgkmcnt(1)
	v_mul_f64 v[149:150], v[113:114], v[155:156]
	s_waitcnt vmcnt(56)
	v_fma_f64 v[153:154], v[2:3], v[159:160], -v[152:153]
	v_mul_f64 v[145:146], v[111:112], v[155:156]
	v_add_f64 v[123:124], v[123:124], v[141:142]
	v_fma_f64 v[141:142], v[4:5], v[159:160], v[195:196]
	v_add_f64 v[6:7], v[6:7], v[137:138]
	s_clause 0x4
	buffer_load_dword v138, off, s[0:3], 0 offset:796
	buffer_load_dword v155, off, s[0:3], 0 offset:808
	;; [unrolled: 1-line block ×5, first 2 shown]
	s_waitcnt vmcnt(57) lgkmcnt(0)
	v_mul_f64 v[195:196], v[115:116], v[161:162]
	v_mul_f64 v[160:161], v[117:118], v[161:162]
	s_waitcnt vmcnt(56)
	v_fma_f64 v[149:150], v[111:112], v[157:158], -v[149:150]
	ds_read_b128 v[2:5], v1 offset:1376
	v_fma_f64 v[145:146], v[113:114], v[157:158], v[145:146]
	v_add_f64 v[123:124], v[123:124], v[153:154]
	v_add_f64 v[6:7], v[6:7], v[141:142]
	s_clause 0x2
	buffer_load_dword v156, off, s[0:3], 0 offset:812
	buffer_load_dword v142, off, s[0:3], 0 offset:788
	;; [unrolled: 1-line block ×3, first 2 shown]
	ds_read_b128 v[111:114], v1 offset:1392
	s_waitcnt vmcnt(58) lgkmcnt(1)
	v_mul_f64 v[157:158], v[4:5], v[163:164]
	s_waitcnt vmcnt(56)
	v_fma_f64 v[161:162], v[115:116], v[167:168], -v[160:161]
	v_mul_f64 v[153:154], v[2:3], v[163:164]
	v_add_f64 v[123:124], v[123:124], v[149:150]
	v_fma_f64 v[149:150], v[117:118], v[167:168], v[195:196]
	v_add_f64 v[6:7], v[6:7], v[145:146]
	s_clause 0x2
	buffer_load_dword v146, off, s[0:3], 0 offset:828
	buffer_load_dword v145, off, s[0:3], 0 offset:824
	;; [unrolled: 1-line block ×3, first 2 shown]
	s_waitcnt vmcnt(55) lgkmcnt(0)
	v_mul_f64 v[167:168], v[113:114], v[169:170]
	s_waitcnt vmcnt(54)
	v_fma_f64 v[157:158], v[2:3], v[165:166], -v[157:158]
	ds_read_b128 v[115:118], v1 offset:1408
	v_mul_f64 v[163:164], v[111:112], v[169:170]
	v_fma_f64 v[153:154], v[4:5], v[165:166], v[153:154]
	v_add_f64 v[123:124], v[123:124], v[161:162]
	v_add_f64 v[6:7], v[6:7], v[149:150]
	s_clause 0x1
	buffer_load_dword v150, off, s[0:3], 0 offset:820
	buffer_load_dword v149, off, s[0:3], 0 offset:816
	s_waitcnt vmcnt(55) lgkmcnt(0)
	v_mul_f64 v[165:166], v[117:118], v[172:173]
	s_waitcnt vmcnt(53)
	v_fma_f64 v[167:168], v[111:112], v[176:177], -v[167:168]
	ds_read_b128 v[2:5], v1 offset:1424
	v_mul_f64 v[161:162], v[115:116], v[172:173]
	v_add_f64 v[123:124], v[123:124], v[157:158]
	v_fma_f64 v[157:158], v[113:114], v[176:177], v[163:164]
	v_add_f64 v[6:7], v[6:7], v[153:154]
	ds_read_b128 v[111:114], v1 offset:1440
	s_waitcnt vmcnt(49) lgkmcnt(1)
	v_mul_f64 v[163:164], v[4:5], v[180:181]
	s_waitcnt vmcnt(48)
	v_fma_f64 v[165:166], v[115:116], v[174:175], -v[165:166]
	v_mul_f64 v[153:154], v[2:3], v[180:181]
	v_fma_f64 v[161:162], v[117:118], v[174:175], v[161:162]
	v_add_f64 v[123:124], v[123:124], v[167:168]
	v_add_f64 v[6:7], v[6:7], v[157:158]
	s_clause 0x3
	buffer_load_dword v157, off, s[0:3], 0 offset:368
	buffer_load_dword v158, off, s[0:3], 0 offset:372
	;; [unrolled: 1-line block ×4, first 2 shown]
	ds_read_b128 v[115:118], v1 offset:1456
	s_waitcnt vmcnt(51) lgkmcnt(1)
	v_mul_f64 v[172:173], v[113:114], v[182:183]
	v_mul_f64 v[169:170], v[111:112], v[182:183]
	s_waitcnt vmcnt(49)
	v_fma_f64 v[163:164], v[2:3], v[121:122], -v[163:164]
	v_fma_f64 v[121:122], v[4:5], v[121:122], v[153:154]
	ds_read_b128 v[2:5], v1 offset:1472
	v_add_f64 v[123:124], v[123:124], v[165:166]
	v_add_f64 v[6:7], v[6:7], v[161:162]
	s_waitcnt vmcnt(45) lgkmcnt(1)
	v_mul_f64 v[153:154], v[115:116], v[125:126]
	v_mul_f64 v[125:126], v[117:118], v[125:126]
	s_waitcnt vmcnt(44)
	v_fma_f64 v[161:162], v[111:112], v[184:185], -v[172:173]
	v_add_f64 v[123:124], v[123:124], v[163:164]
	v_fma_f64 v[163:164], v[113:114], v[184:185], v[169:170]
	v_add_f64 v[6:7], v[6:7], v[121:122]
	ds_read_b128 v[111:114], v1 offset:1488
	s_waitcnt vmcnt(43) lgkmcnt(1)
	v_mul_f64 v[165:166], v[4:5], v[186:187]
	v_mul_f64 v[121:122], v[2:3], v[186:187]
	s_waitcnt vmcnt(41)
	v_fma_f64 v[125:126], v[115:116], v[119:120], -v[125:126]
	v_fma_f64 v[119:120], v[117:118], v[119:120], v[153:154]
	ds_read_b128 v[115:118], v1 offset:1504
	v_add_f64 v[123:124], v[123:124], v[161:162]
	v_add_f64 v[6:7], v[6:7], v[163:164]
	s_waitcnt vmcnt(37) lgkmcnt(1)
	v_mul_f64 v[153:154], v[111:112], v[133:134]
	v_mul_f64 v[133:134], v[113:114], v[133:134]
	s_waitcnt vmcnt(36)
	v_fma_f64 v[161:162], v[2:3], v[191:192], -v[165:166]
	v_fma_f64 v[121:122], v[4:5], v[191:192], v[121:122]
	ds_read_b128 v[2:5], v1 offset:1520
	v_add_f64 v[123:124], v[123:124], v[125:126]
	v_add_f64 v[6:7], v[6:7], v[119:120]
	;; [unrolled: 9-line block ×5, first 2 shown]
	s_waitcnt vmcnt(21) lgkmcnt(1)
	v_mul_f64 v[125:126], v[117:118], v[135:136]
	s_waitcnt vmcnt(20)
	v_fma_f64 v[129:130], v[111:112], v[188:189], -v[133:134]
	v_mul_f64 v[119:120], v[115:116], v[135:136]
	v_add_f64 v[123:124], v[123:124], v[127:128]
	v_fma_f64 v[127:128], v[113:114], v[188:189], v[131:132]
	v_add_f64 v[6:7], v[6:7], v[121:122]
	ds_read_b128 v[111:114], v1 offset:1584
	s_waitcnt vmcnt(19) lgkmcnt(1)
	v_mul_f64 v[131:132], v[4:5], v[147:148]
	v_mul_f64 v[121:122], v[2:3], v[147:148]
	s_waitcnt vmcnt(17)
	v_fma_f64 v[125:126], v[115:116], v[139:140], -v[125:126]
	v_fma_f64 v[119:120], v[117:118], v[139:140], v[119:120]
	ds_read_b128 v[115:118], v1 offset:1600
	v_add_f64 v[123:124], v[123:124], v[129:130]
	v_add_f64 v[6:7], v[6:7], v[127:128]
	s_waitcnt vmcnt(13) lgkmcnt(1)
	v_mul_f64 v[129:130], v[113:114], v[137:138]
	s_waitcnt vmcnt(12)
	v_fma_f64 v[131:132], v[2:3], v[151:152], -v[131:132]
	v_mul_f64 v[127:128], v[111:112], v[137:138]
	v_fma_f64 v[121:122], v[4:5], v[151:152], v[121:122]
	ds_read_b128 v[1:4], v1 offset:1616
	v_add_f64 v[123:124], v[123:124], v[125:126]
	v_add_f64 v[5:6], v[6:7], v[119:120]
	s_waitcnt vmcnt(11) lgkmcnt(1)
	v_mul_f64 v[119:120], v[117:118], v[155:156]
	v_mul_f64 v[7:8], v[115:116], v[155:156]
	s_waitcnt vmcnt(9)
	v_fma_f64 v[111:112], v[111:112], v[141:142], -v[129:130]
	v_fma_f64 v[113:114], v[113:114], v[141:142], v[127:128]
	v_add_f64 v[123:124], v[123:124], v[131:132]
	v_add_f64 v[5:6], v[5:6], v[121:122]
	s_waitcnt vmcnt(7) lgkmcnt(0)
	v_mul_f64 v[125:126], v[3:4], v[145:146]
	s_waitcnt vmcnt(6)
	v_fma_f64 v[115:116], v[115:116], v[159:160], -v[119:120]
	v_mul_f64 v[121:122], v[1:2], v[145:146]
	v_fma_f64 v[7:8], v[117:118], v[159:160], v[7:8]
	v_add_f64 v[111:112], v[123:124], v[111:112]
	v_add_f64 v[5:6], v[5:6], v[113:114]
	s_waitcnt vmcnt(4)
	v_fma_f64 v[1:2], v[1:2], v[149:150], -v[125:126]
	v_fma_f64 v[3:4], v[3:4], v[149:150], v[121:122]
	v_add_f64 v[111:112], v[111:112], v[115:116]
	v_add_f64 v[5:6], v[5:6], v[7:8]
	;; [unrolled: 1-line block ×4, first 2 shown]
	s_waitcnt vmcnt(2)
	v_add_f64 v[1:2], v[157:158], -v[1:2]
	s_waitcnt vmcnt(0)
	v_add_f64 v[3:4], v[167:168], -v[3:4]
	buffer_store_dword v2, off, s[0:3], 0 offset:372
	buffer_store_dword v1, off, s[0:3], 0 offset:368
	;; [unrolled: 1-line block ×4, first 2 shown]
	v_cmpx_lt_u32_e32 21, v0
	s_cbranch_execz .LBB114_277
; %bb.276:
	v_mov_b32_e32 v4, s42
	v_mov_b32_e32 v5, 0
	s_clause 0x3
	buffer_load_dword v1, v4, s[0:3], 0 offen
	buffer_load_dword v2, v4, s[0:3], 0 offen offset:4
	buffer_load_dword v3, v4, s[0:3], 0 offen offset:8
	;; [unrolled: 1-line block ×3, first 2 shown]
	buffer_store_dword v5, off, s[0:3], 0 offset:352
	buffer_store_dword v5, off, s[0:3], 0 offset:356
	;; [unrolled: 1-line block ×4, first 2 shown]
	s_waitcnt vmcnt(0)
	ds_write_b128 v171, v[1:4]
.LBB114_277:
	s_or_b32 exec_lo, exec_lo, s4
	s_waitcnt lgkmcnt(0)
	s_waitcnt_vscnt null, 0x0
	s_barrier
	buffer_gl0_inv
	s_clause 0x37
	buffer_load_dword v111, off, s[0:3], 0 offset:376
	buffer_load_dword v112, off, s[0:3], 0 offset:380
	;; [unrolled: 1-line block ×56, first 2 shown]
	v_mov_b32_e32 v113, 0
	s_mov_b32 s4, exec_lo
	ds_read_b128 v[5:8], v113 offset:1168
	s_clause 0x2
	buffer_load_dword v173, off, s[0:3], 0 offset:604
	buffer_load_dword v177, off, s[0:3], 0 offset:580
	;; [unrolled: 1-line block ×3, first 2 shown]
	ds_read_b128 v[114:117], v113 offset:1184
	s_clause 0x4
	buffer_load_dword v181, off, s[0:3], 0 offset:620
	buffer_load_dword v182, off, s[0:3], 0 offset:632
	;; [unrolled: 1-line block ×5, first 2 shown]
	ds_read_b128 v[118:121], v113 offset:1200
	s_waitcnt vmcnt(62) lgkmcnt(2)
	v_mul_f64 v[178:179], v[7:8], v[111:112]
	v_mul_f64 v[111:112], v[5:6], v[111:112]
	s_waitcnt vmcnt(60) lgkmcnt(1)
	v_mul_f64 v[185:186], v[116:117], v[122:123]
	v_mul_f64 v[122:123], v[114:115], v[122:123]
	;; [unrolled: 3-line block ×3, first 2 shown]
	v_fma_f64 v[178:179], v[5:6], v[124:125], -v[178:179]
	v_fma_f64 v[111:112], v[7:8], v[124:125], v[111:112]
	s_clause 0x2
	buffer_load_dword v183, off, s[0:3], 0 offset:636
	buffer_load_dword v125, off, s[0:3], 0 offset:612
	;; [unrolled: 1-line block ×3, first 2 shown]
	s_waitcnt vmcnt(57)
	v_fma_f64 v[114:115], v[114:115], v[1:2], -v[185:186]
	ds_read_b128 v[5:8], v113 offset:1216
	v_fma_f64 v[116:117], v[116:117], v[1:2], v[122:123]
	s_clause 0x4
	buffer_load_dword v123, off, s[0:3], 0 offset:652
	buffer_load_dword v186, off, s[0:3], 0 offset:664
	;; [unrolled: 1-line block ×5, first 2 shown]
	s_waitcnt vmcnt(56)
	v_fma_f64 v[118:119], v[118:119], v[132:133], -v[189:190]
	ds_read_b128 v[1:4], v113 offset:1232
	v_fma_f64 v[120:121], v[120:121], v[132:133], v[187:188]
	s_clause 0x2
	buffer_load_dword v187, off, s[0:3], 0 offset:668
	buffer_load_dword v133, off, s[0:3], 0 offset:644
	;; [unrolled: 1-line block ×3, first 2 shown]
	v_add_f64 v[178:179], v[178:179], 0
	v_add_f64 v[111:112], v[111:112], 0
	s_waitcnt lgkmcnt(1)
	v_mul_f64 v[192:193], v[5:6], v[126:127]
	v_mul_f64 v[126:127], v[7:8], v[126:127]
	s_waitcnt vmcnt(58) lgkmcnt(0)
	v_mul_f64 v[188:189], v[1:2], v[128:129]
	v_mul_f64 v[128:129], v[3:4], v[128:129]
	v_add_f64 v[178:179], v[178:179], v[114:115]
	v_add_f64 v[111:112], v[111:112], v[116:117]
	ds_read_b128 v[114:117], v113 offset:1248
	s_waitcnt vmcnt(56)
	v_fma_f64 v[126:127], v[5:6], v[134:135], -v[126:127]
	v_fma_f64 v[134:135], v[7:8], v[134:135], v[192:193]
	s_waitcnt vmcnt(51)
	v_fma_f64 v[128:129], v[1:2], v[130:131], -v[128:129]
	s_waitcnt lgkmcnt(0)
	v_mul_f64 v[194:195], v[114:115], v[136:137]
	v_add_f64 v[118:119], v[178:179], v[118:119]
	v_add_f64 v[111:112], v[111:112], v[120:121]
	s_clause 0x4
	buffer_load_dword v121, off, s[0:3], 0 offset:684
	buffer_load_dword v178, off, s[0:3], 0 offset:696
	;; [unrolled: 1-line block ×5, first 2 shown]
	v_mul_f64 v[136:137], v[116:117], v[136:137]
	ds_read_b128 v[5:8], v113 offset:1264
	v_add_f64 v[118:119], v[118:119], v[126:127]
	v_fma_f64 v[126:127], v[3:4], v[130:131], v[188:189]
	v_add_f64 v[111:112], v[111:112], v[134:135]
	s_clause 0x2
	buffer_load_dword v179, off, s[0:3], 0 offset:700
	buffer_load_dword v131, off, s[0:3], 0 offset:676
	;; [unrolled: 1-line block ×3, first 2 shown]
	s_waitcnt vmcnt(58) lgkmcnt(0)
	v_mul_f64 v[134:135], v[5:6], v[138:139]
	v_mul_f64 v[138:139], v[7:8], v[138:139]
	s_waitcnt vmcnt(56)
	v_fma_f64 v[136:137], v[114:115], v[142:143], -v[136:137]
	ds_read_b128 v[1:4], v113 offset:1280
	v_add_f64 v[118:119], v[118:119], v[128:129]
	v_fma_f64 v[128:129], v[116:117], v[142:143], v[194:195]
	v_add_f64 v[111:112], v[111:112], v[126:127]
	s_clause 0x4
	buffer_load_dword v127, off, s[0:3], 0 offset:716
	buffer_load_dword v142, off, s[0:3], 0 offset:728
	;; [unrolled: 1-line block ×5, first 2 shown]
	ds_read_b128 v[114:117], v113 offset:1296
	s_waitcnt vmcnt(57) lgkmcnt(1)
	v_mul_f64 v[189:190], v[1:2], v[144:145]
	v_mul_f64 v[144:145], v[3:4], v[144:145]
	s_waitcnt vmcnt(56)
	v_fma_f64 v[138:139], v[5:6], v[140:141], -v[138:139]
	v_fma_f64 v[134:135], v[7:8], v[140:141], v[134:135]
	v_add_f64 v[118:119], v[118:119], v[136:137]
	v_add_f64 v[111:112], v[111:112], v[128:129]
	s_clause 0x2
	buffer_load_dword v143, off, s[0:3], 0 offset:732
	buffer_load_dword v129, off, s[0:3], 0 offset:708
	;; [unrolled: 1-line block ×3, first 2 shown]
	s_waitcnt vmcnt(58) lgkmcnt(0)
	v_mul_f64 v[140:141], v[116:117], v[146:147]
	ds_read_b128 v[5:8], v113 offset:1312
	s_waitcnt vmcnt(56)
	v_fma_f64 v[144:145], v[1:2], v[150:151], -v[144:145]
	v_mul_f64 v[136:137], v[114:115], v[146:147]
	v_add_f64 v[118:119], v[118:119], v[138:139]
	v_fma_f64 v[138:139], v[3:4], v[150:151], v[189:190]
	v_add_f64 v[111:112], v[111:112], v[134:135]
	s_clause 0x4
	buffer_load_dword v135, off, s[0:3], 0 offset:748
	buffer_load_dword v146, off, s[0:3], 0 offset:760
	buffer_load_dword v150, off, s[0:3], 0 offset:752
	buffer_load_dword v134, off, s[0:3], 0 offset:744
	buffer_load_dword v189, off, s[0:3], 0 offset:724
	s_waitcnt vmcnt(57) lgkmcnt(0)
	v_mul_f64 v[195:196], v[5:6], v[152:153]
	v_mul_f64 v[151:152], v[7:8], v[152:153]
	s_waitcnt vmcnt(56)
	v_fma_f64 v[140:141], v[114:115], v[148:149], -v[140:141]
	ds_read_b128 v[1:4], v113 offset:1328
	v_fma_f64 v[136:137], v[116:117], v[148:149], v[136:137]
	v_add_f64 v[118:119], v[118:119], v[144:145]
	v_add_f64 v[111:112], v[111:112], v[138:139]
	s_clause 0x2
	buffer_load_dword v147, off, s[0:3], 0 offset:764
	buffer_load_dword v139, off, s[0:3], 0 offset:740
	buffer_load_dword v138, off, s[0:3], 0 offset:736
	ds_read_b128 v[114:117], v113 offset:1344
	s_waitcnt vmcnt(58) lgkmcnt(1)
	v_mul_f64 v[148:149], v[3:4], v[154:155]
	s_waitcnt vmcnt(56)
	v_fma_f64 v[152:153], v[5:6], v[158:159], -v[151:152]
	v_mul_f64 v[144:145], v[1:2], v[154:155]
	v_add_f64 v[118:119], v[118:119], v[140:141]
	v_fma_f64 v[140:141], v[7:8], v[158:159], v[195:196]
	v_add_f64 v[111:112], v[111:112], v[136:137]
	s_clause 0x4
	buffer_load_dword v137, off, s[0:3], 0 offset:780
	buffer_load_dword v154, off, s[0:3], 0 offset:792
	buffer_load_dword v158, off, s[0:3], 0 offset:784
	buffer_load_dword v136, off, s[0:3], 0 offset:776
	buffer_load_dword v151, off, s[0:3], 0 offset:756
	s_waitcnt vmcnt(57) lgkmcnt(0)
	v_mul_f64 v[195:196], v[114:115], v[160:161]
	v_mul_f64 v[159:160], v[116:117], v[160:161]
	s_waitcnt vmcnt(56)
	v_fma_f64 v[148:149], v[1:2], v[156:157], -v[148:149]
	ds_read_b128 v[5:8], v113 offset:1360
	v_fma_f64 v[144:145], v[3:4], v[156:157], v[144:145]
	v_add_f64 v[118:119], v[118:119], v[152:153]
	v_add_f64 v[111:112], v[111:112], v[140:141]
	s_clause 0x2
	buffer_load_dword v155, off, s[0:3], 0 offset:796
	buffer_load_dword v141, off, s[0:3], 0 offset:772
	buffer_load_dword v140, off, s[0:3], 0 offset:768
	ds_read_b128 v[1:4], v113 offset:1376
	s_waitcnt vmcnt(58) lgkmcnt(1)
	v_mul_f64 v[156:157], v[7:8], v[162:163]
	;; [unrolled: 28-line block ×3, first 2 shown]
	s_waitcnt vmcnt(56)
	v_fma_f64 v[168:169], v[1:2], v[176:177], -v[167:168]
	v_mul_f64 v[160:161], v[114:115], v[172:173]
	buffer_load_dword v167, off, s[0:3], 0 offset:820
	v_add_f64 v[118:119], v[118:119], v[156:157]
	v_fma_f64 v[156:157], v[3:4], v[176:177], v[195:196]
	v_add_f64 v[111:112], v[111:112], v[152:153]
	ds_read_b128 v[1:4], v113 offset:1424
	s_waitcnt vmcnt(53) lgkmcnt(1)
	v_mul_f64 v[172:173], v[7:8], v[180:181]
	s_waitcnt vmcnt(52)
	v_fma_f64 v[164:165], v[114:115], v[174:175], -v[164:165]
	v_mul_f64 v[152:153], v[5:6], v[180:181]
	v_fma_f64 v[160:161], v[116:117], v[174:175], v[160:161]
	ds_read_b128 v[114:117], v113 offset:1440
	v_add_f64 v[118:119], v[118:119], v[168:169]
	v_add_f64 v[111:112], v[111:112], v[156:157]
	s_waitcnt vmcnt(51) lgkmcnt(1)
	v_mul_f64 v[168:169], v[3:4], v[182:183]
	v_mul_f64 v[156:157], v[1:2], v[182:183]
	s_waitcnt vmcnt(49)
	v_fma_f64 v[172:173], v[5:6], v[124:125], -v[172:173]
	v_fma_f64 v[124:125], v[7:8], v[124:125], v[152:153]
	v_add_f64 v[118:119], v[118:119], v[164:165]
	s_waitcnt vmcnt(45) lgkmcnt(0)
	v_mul_f64 v[164:165], v[114:115], v[122:123]
	v_add_f64 v[111:112], v[111:112], v[160:161]
	s_clause 0x3
	buffer_load_dword v152, off, s[0:3], 0 offset:352
	buffer_load_dword v153, off, s[0:3], 0 offset:356
	;; [unrolled: 1-line block ×4, first 2 shown]
	v_mul_f64 v[122:123], v[116:117], v[122:123]
	ds_read_b128 v[5:8], v113 offset:1456
	s_waitcnt vmcnt(48)
	v_fma_f64 v[168:169], v[1:2], v[184:185], -v[168:169]
	v_fma_f64 v[156:157], v[3:4], v[184:185], v[156:157]
	ds_read_b128 v[1:4], v113 offset:1472
	v_add_f64 v[118:119], v[118:119], v[172:173]
	v_add_f64 v[111:112], v[111:112], v[124:125]
	s_waitcnt vmcnt(47) lgkmcnt(1)
	v_mul_f64 v[172:173], v[7:8], v[186:187]
	s_waitcnt vmcnt(45)
	v_fma_f64 v[122:123], v[114:115], v[132:133], -v[122:123]
	v_mul_f64 v[124:125], v[5:6], v[186:187]
	v_fma_f64 v[132:133], v[116:117], v[132:133], v[164:165]
	ds_read_b128 v[114:117], v113 offset:1488
	v_add_f64 v[118:119], v[118:119], v[168:169]
	v_add_f64 v[111:112], v[111:112], v[156:157]
	s_waitcnt vmcnt(41) lgkmcnt(1)
	v_mul_f64 v[156:157], v[1:2], v[120:121]
	v_mul_f64 v[120:121], v[3:4], v[120:121]
	s_waitcnt vmcnt(40)
	v_fma_f64 v[164:165], v[5:6], v[191:192], -v[172:173]
	v_add_f64 v[118:119], v[118:119], v[122:123]
	v_fma_f64 v[122:123], v[7:8], v[191:192], v[124:125]
	v_add_f64 v[111:112], v[111:112], v[132:133]
	ds_read_b128 v[5:8], v113 offset:1504
	s_waitcnt vmcnt(39) lgkmcnt(1)
	v_mul_f64 v[132:133], v[116:117], v[178:179]
	v_mul_f64 v[124:125], v[114:115], v[178:179]
	s_waitcnt vmcnt(37)
	v_fma_f64 v[120:121], v[1:2], v[130:131], -v[120:121]
	v_fma_f64 v[130:131], v[3:4], v[130:131], v[156:157]
	ds_read_b128 v[1:4], v113 offset:1520
	v_add_f64 v[118:119], v[118:119], v[164:165]
	v_add_f64 v[111:112], v[111:112], v[122:123]
	s_waitcnt vmcnt(33) lgkmcnt(1)
	v_mul_f64 v[122:123], v[5:6], v[126:127]
	v_mul_f64 v[126:127], v[7:8], v[126:127]
	s_waitcnt vmcnt(32)
	v_fma_f64 v[132:133], v[114:115], v[193:194], -v[132:133]
	v_add_f64 v[118:119], v[118:119], v[120:121]
	v_fma_f64 v[120:121], v[116:117], v[193:194], v[124:125]
	v_add_f64 v[111:112], v[111:112], v[130:131]
	ds_read_b128 v[114:117], v113 offset:1536
	s_waitcnt vmcnt(31) lgkmcnt(1)
	v_mul_f64 v[130:131], v[3:4], v[142:143]
	v_mul_f64 v[124:125], v[1:2], v[142:143]
	s_waitcnt vmcnt(29)
	v_fma_f64 v[126:127], v[5:6], v[128:129], -v[126:127]
	v_fma_f64 v[122:123], v[7:8], v[128:129], v[122:123]
	ds_read_b128 v[5:8], v113 offset:1552
	v_add_f64 v[118:119], v[118:119], v[132:133]
	v_add_f64 v[111:112], v[111:112], v[120:121]
	s_waitcnt vmcnt(25) lgkmcnt(1)
	v_mul_f64 v[128:129], v[116:117], v[134:135]
	s_waitcnt vmcnt(24)
	v_fma_f64 v[130:131], v[1:2], v[188:189], -v[130:131]
	v_mul_f64 v[120:121], v[114:115], v[134:135]
	v_fma_f64 v[124:125], v[3:4], v[188:189], v[124:125]
	ds_read_b128 v[1:4], v113 offset:1568
	v_add_f64 v[118:119], v[118:119], v[126:127]
	v_add_f64 v[111:112], v[111:112], v[122:123]
	s_waitcnt vmcnt(23) lgkmcnt(1)
	v_mul_f64 v[126:127], v[7:8], v[146:147]
	v_mul_f64 v[122:123], v[5:6], v[146:147]
	s_waitcnt vmcnt(21)
	v_fma_f64 v[128:129], v[114:115], v[138:139], -v[128:129]
	v_fma_f64 v[120:121], v[116:117], v[138:139], v[120:121]
	ds_read_b128 v[114:117], v113 offset:1584
	v_add_f64 v[118:119], v[118:119], v[130:131]
	v_add_f64 v[111:112], v[111:112], v[124:125]
	s_waitcnt vmcnt(17) lgkmcnt(1)
	v_mul_f64 v[130:131], v[3:4], v[136:137]
	s_waitcnt vmcnt(16)
	v_fma_f64 v[126:127], v[5:6], v[150:151], -v[126:127]
	v_mul_f64 v[124:125], v[1:2], v[136:137]
	v_fma_f64 v[122:123], v[7:8], v[150:151], v[122:123]
	ds_read_b128 v[5:8], v113 offset:1600
	v_add_f64 v[118:119], v[118:119], v[128:129]
	v_add_f64 v[111:112], v[111:112], v[120:121]
	s_waitcnt vmcnt(15) lgkmcnt(1)
	v_mul_f64 v[128:129], v[116:117], v[154:155]
	v_mul_f64 v[120:121], v[114:115], v[154:155]
	s_waitcnt vmcnt(13)
	v_fma_f64 v[130:131], v[1:2], v[140:141], -v[130:131]
	v_fma_f64 v[124:125], v[3:4], v[140:141], v[124:125]
	ds_read_b128 v[1:4], v113 offset:1616
	v_add_f64 v[118:119], v[118:119], v[126:127]
	v_add_f64 v[111:112], v[111:112], v[122:123]
	s_waitcnt vmcnt(9) lgkmcnt(1)
	v_mul_f64 v[126:127], v[7:8], v[144:145]
	s_waitcnt vmcnt(8)
	v_fma_f64 v[114:115], v[114:115], v[158:159], -v[128:129]
	v_mul_f64 v[122:123], v[5:6], v[144:145]
	v_fma_f64 v[116:117], v[116:117], v[158:159], v[120:121]
	v_add_f64 v[118:119], v[118:119], v[130:131]
	v_add_f64 v[111:112], v[111:112], v[124:125]
	s_waitcnt vmcnt(7) lgkmcnt(0)
	v_mul_f64 v[124:125], v[3:4], v[162:163]
	v_mul_f64 v[120:121], v[1:2], v[162:163]
	s_waitcnt vmcnt(5)
	v_fma_f64 v[5:6], v[5:6], v[148:149], -v[126:127]
	v_fma_f64 v[7:8], v[7:8], v[148:149], v[122:123]
	v_add_f64 v[114:115], v[118:119], v[114:115]
	v_add_f64 v[111:112], v[111:112], v[116:117]
	s_waitcnt vmcnt(4)
	v_fma_f64 v[1:2], v[1:2], v[166:167], -v[124:125]
	v_fma_f64 v[3:4], v[3:4], v[166:167], v[120:121]
	v_add_f64 v[5:6], v[114:115], v[5:6]
	v_add_f64 v[7:8], v[111:112], v[7:8]
	;; [unrolled: 1-line block ×4, first 2 shown]
	s_waitcnt vmcnt(2)
	v_add_f64 v[1:2], v[152:153], -v[1:2]
	s_waitcnt vmcnt(0)
	v_add_f64 v[3:4], v[160:161], -v[3:4]
	buffer_store_dword v2, off, s[0:3], 0 offset:356
	buffer_store_dword v1, off, s[0:3], 0 offset:352
	;; [unrolled: 1-line block ×4, first 2 shown]
	v_cmpx_lt_u32_e32 20, v0
	s_cbranch_execz .LBB114_279
; %bb.278:
	v_mov_b32_e32 v4, s43
	s_clause 0x3
	buffer_load_dword v1, v4, s[0:3], 0 offen
	buffer_load_dword v2, v4, s[0:3], 0 offen offset:4
	buffer_load_dword v3, v4, s[0:3], 0 offen offset:8
	;; [unrolled: 1-line block ×3, first 2 shown]
	buffer_store_dword v113, off, s[0:3], 0 offset:336
	buffer_store_dword v113, off, s[0:3], 0 offset:340
	buffer_store_dword v113, off, s[0:3], 0 offset:344
	buffer_store_dword v113, off, s[0:3], 0 offset:348
	s_waitcnt vmcnt(0)
	ds_write_b128 v171, v[1:4]
.LBB114_279:
	s_or_b32 exec_lo, exec_lo, s4
	s_waitcnt lgkmcnt(0)
	s_waitcnt_vscnt null, 0x0
	s_barrier
	buffer_gl0_inv
	s_clause 0x37
	buffer_load_dword v111, off, s[0:3], 0 offset:360
	buffer_load_dword v112, off, s[0:3], 0 offset:364
	;; [unrolled: 1-line block ×56, first 2 shown]
	ds_read_b128 v[114:117], v113 offset:1152
	s_clause 0x2
	buffer_load_dword v173, off, s[0:3], 0 offset:588
	buffer_load_dword v177, off, s[0:3], 0 offset:564
	;; [unrolled: 1-line block ×3, first 2 shown]
	ds_read_b128 v[118:121], v113 offset:1168
	s_clause 0x4
	buffer_load_dword v181, off, s[0:3], 0 offset:604
	buffer_load_dword v182, off, s[0:3], 0 offset:616
	;; [unrolled: 1-line block ×5, first 2 shown]
	ds_read_b128 v[122:125], v113 offset:1184
	s_clause 0x2
	buffer_load_dword v183, off, s[0:3], 0 offset:620
	buffer_load_dword v188, off, s[0:3], 0 offset:596
	;; [unrolled: 1-line block ×3, first 2 shown]
	s_mov_b32 s4, exec_lo
	s_waitcnt vmcnt(62) lgkmcnt(2)
	v_mul_f64 v[178:179], v[116:117], v[111:112]
	v_mul_f64 v[111:112], v[114:115], v[111:112]
	s_waitcnt lgkmcnt(1)
	v_mul_f64 v[185:186], v[120:121], v[5:6]
	s_waitcnt vmcnt(59) lgkmcnt(0)
	v_mul_f64 v[189:190], v[124:125], v[3:4]
	v_fma_f64 v[114:115], v[114:115], v[7:8], -v[178:179]
	v_mul_f64 v[178:179], v[118:119], v[5:6]
	v_fma_f64 v[111:112], v[116:117], v[7:8], v[111:112]
	s_waitcnt vmcnt(57)
	v_fma_f64 v[118:119], v[118:119], v[1:2], -v[185:186]
	ds_read_b128 v[5:8], v113 offset:1200
	v_mul_f64 v[116:117], v[122:123], v[3:4]
	s_waitcnt vmcnt(51)
	v_fma_f64 v[122:123], v[122:123], v[132:133], -v[189:190]
	v_add_f64 v[114:115], v[114:115], 0
	v_fma_f64 v[120:121], v[120:121], v[1:2], v[178:179]
	v_add_f64 v[111:112], v[111:112], 0
	s_clause 0x4
	buffer_load_dword v179, off, s[0:3], 0 offset:636
	buffer_load_dword v191, off, s[0:3], 0 offset:648
	;; [unrolled: 1-line block ×5, first 2 shown]
	s_waitcnt lgkmcnt(0)
	v_mul_f64 v[194:195], v[5:6], v[126:127]
	v_mul_f64 v[126:127], v[7:8], v[126:127]
	ds_read_b128 v[1:4], v113 offset:1216
	v_fma_f64 v[124:125], v[124:125], v[132:133], v[116:117]
	v_add_f64 v[118:119], v[114:115], v[118:119]
	v_add_f64 v[111:112], v[111:112], v[120:121]
	s_clause 0x2
	buffer_load_dword v192, off, s[0:3], 0 offset:652
	buffer_load_dword v121, off, s[0:3], 0 offset:628
	;; [unrolled: 1-line block ×3, first 2 shown]
	s_waitcnt vmcnt(58) lgkmcnt(0)
	v_mul_f64 v[132:133], v[1:2], v[128:129]
	v_mul_f64 v[128:129], v[3:4], v[128:129]
	s_waitcnt vmcnt(56)
	v_fma_f64 v[126:127], v[5:6], v[134:135], -v[126:127]
	ds_read_b128 v[114:117], v113 offset:1232
	v_add_f64 v[118:119], v[118:119], v[122:123]
	v_fma_f64 v[122:123], v[7:8], v[134:135], v[194:195]
	v_add_f64 v[111:112], v[111:112], v[124:125]
	s_clause 0x4
	buffer_load_dword v125, off, s[0:3], 0 offset:668
	buffer_load_dword v134, off, s[0:3], 0 offset:680
	buffer_load_dword v189, off, s[0:3], 0 offset:672
	buffer_load_dword v124, off, s[0:3], 0 offset:664
	buffer_load_dword v194, off, s[0:3], 0 offset:644
	ds_read_b128 v[5:8], v113 offset:1248
	s_waitcnt vmcnt(57) lgkmcnt(1)
	v_mul_f64 v[195:196], v[114:115], v[136:137]
	v_mul_f64 v[136:137], v[116:117], v[136:137]
	s_waitcnt vmcnt(56)
	v_fma_f64 v[128:129], v[1:2], v[130:131], -v[128:129]
	v_add_f64 v[118:119], v[118:119], v[126:127]
	v_fma_f64 v[126:127], v[3:4], v[130:131], v[132:133]
	v_add_f64 v[111:112], v[111:112], v[122:123]
	s_clause 0x2
	buffer_load_dword v135, off, s[0:3], 0 offset:684
	buffer_load_dword v123, off, s[0:3], 0 offset:660
	;; [unrolled: 1-line block ×3, first 2 shown]
	s_waitcnt vmcnt(58) lgkmcnt(0)
	v_mul_f64 v[132:133], v[7:8], v[138:139]
	ds_read_b128 v[1:4], v113 offset:1264
	s_waitcnt vmcnt(56)
	v_fma_f64 v[136:137], v[114:115], v[142:143], -v[136:137]
	v_mul_f64 v[130:131], v[5:6], v[138:139]
	v_add_f64 v[118:119], v[118:119], v[128:129]
	v_fma_f64 v[128:129], v[116:117], v[142:143], v[195:196]
	v_add_f64 v[111:112], v[111:112], v[126:127]
	s_clause 0x4
	buffer_load_dword v127, off, s[0:3], 0 offset:700
	buffer_load_dword v138, off, s[0:3], 0 offset:712
	buffer_load_dword v142, off, s[0:3], 0 offset:704
	buffer_load_dword v126, off, s[0:3], 0 offset:696
	buffer_load_dword v190, off, s[0:3], 0 offset:676
	s_waitcnt vmcnt(57) lgkmcnt(0)
	v_mul_f64 v[195:196], v[1:2], v[144:145]
	v_mul_f64 v[143:144], v[3:4], v[144:145]
	s_waitcnt vmcnt(56)
	v_fma_f64 v[132:133], v[5:6], v[140:141], -v[132:133]
	ds_read_b128 v[114:117], v113 offset:1280
	v_fma_f64 v[130:131], v[7:8], v[140:141], v[130:131]
	v_add_f64 v[118:119], v[118:119], v[136:137]
	v_add_f64 v[111:112], v[111:112], v[128:129]
	s_clause 0x2
	buffer_load_dword v139, off, s[0:3], 0 offset:716
	buffer_load_dword v129, off, s[0:3], 0 offset:692
	buffer_load_dword v128, off, s[0:3], 0 offset:688
	ds_read_b128 v[5:8], v113 offset:1296
	s_waitcnt vmcnt(58) lgkmcnt(1)
	v_mul_f64 v[140:141], v[116:117], v[146:147]
	s_waitcnt vmcnt(56)
	v_fma_f64 v[144:145], v[1:2], v[150:151], -v[143:144]
	v_mul_f64 v[136:137], v[114:115], v[146:147]
	v_add_f64 v[118:119], v[118:119], v[132:133]
	v_fma_f64 v[132:133], v[3:4], v[150:151], v[195:196]
	v_add_f64 v[111:112], v[111:112], v[130:131]
	s_clause 0x4
	buffer_load_dword v131, off, s[0:3], 0 offset:732
	buffer_load_dword v146, off, s[0:3], 0 offset:744
	buffer_load_dword v150, off, s[0:3], 0 offset:736
	buffer_load_dword v130, off, s[0:3], 0 offset:728
	buffer_load_dword v143, off, s[0:3], 0 offset:708
	s_waitcnt vmcnt(57) lgkmcnt(0)
	v_mul_f64 v[195:196], v[5:6], v[152:153]
	v_mul_f64 v[151:152], v[7:8], v[152:153]
	s_waitcnt vmcnt(56)
	v_fma_f64 v[140:141], v[114:115], v[148:149], -v[140:141]
	ds_read_b128 v[1:4], v113 offset:1312
	v_fma_f64 v[136:137], v[116:117], v[148:149], v[136:137]
	v_add_f64 v[118:119], v[118:119], v[144:145]
	v_add_f64 v[111:112], v[111:112], v[132:133]
	s_clause 0x2
	buffer_load_dword v147, off, s[0:3], 0 offset:748
	buffer_load_dword v133, off, s[0:3], 0 offset:724
	buffer_load_dword v132, off, s[0:3], 0 offset:720
	ds_read_b128 v[114:117], v113 offset:1328
	s_waitcnt vmcnt(58) lgkmcnt(1)
	v_mul_f64 v[148:149], v[3:4], v[154:155]
	;; [unrolled: 28-line block ×4, first 2 shown]
	s_waitcnt vmcnt(56)
	v_fma_f64 v[168:169], v[1:2], v[176:177], -v[167:168]
	v_mul_f64 v[160:161], v[114:115], v[172:173]
	v_add_f64 v[118:119], v[118:119], v[156:157]
	v_fma_f64 v[156:157], v[3:4], v[176:177], v[195:196]
	v_add_f64 v[111:112], v[111:112], v[152:153]
	s_clause 0x2
	buffer_load_dword v153, off, s[0:3], 0 offset:828
	buffer_load_dword v152, off, s[0:3], 0 offset:824
	buffer_load_dword v167, off, s[0:3], 0 offset:804
	s_waitcnt vmcnt(55) lgkmcnt(0)
	v_mul_f64 v[176:177], v[7:8], v[180:181]
	s_waitcnt vmcnt(54)
	v_fma_f64 v[164:165], v[114:115], v[174:175], -v[164:165]
	ds_read_b128 v[1:4], v113 offset:1408
	v_mul_f64 v[172:173], v[5:6], v[180:181]
	v_fma_f64 v[160:161], v[116:117], v[174:175], v[160:161]
	v_add_f64 v[118:119], v[118:119], v[168:169]
	v_add_f64 v[111:112], v[111:112], v[156:157]
	s_clause 0x1
	buffer_load_dword v157, off, s[0:3], 0 offset:820
	buffer_load_dword v156, off, s[0:3], 0 offset:816
	s_waitcnt vmcnt(55) lgkmcnt(0)
	v_mul_f64 v[174:175], v[3:4], v[182:183]
	s_waitcnt vmcnt(53)
	v_fma_f64 v[176:177], v[5:6], v[187:188], -v[176:177]
	ds_read_b128 v[114:117], v113 offset:1424
	v_mul_f64 v[168:169], v[1:2], v[182:183]
	v_add_f64 v[118:119], v[118:119], v[164:165]
	v_fma_f64 v[164:165], v[7:8], v[187:188], v[172:173]
	v_add_f64 v[111:112], v[111:112], v[160:161]
	ds_read_b128 v[5:8], v113 offset:1440
	s_waitcnt vmcnt(49) lgkmcnt(1)
	v_mul_f64 v[172:173], v[116:117], v[178:179]
	s_waitcnt vmcnt(48)
	v_fma_f64 v[174:175], v[1:2], v[184:185], -v[174:175]
	v_mul_f64 v[160:161], v[114:115], v[178:179]
	v_fma_f64 v[168:169], v[3:4], v[184:185], v[168:169]
	v_add_f64 v[118:119], v[118:119], v[176:177]
	v_add_f64 v[111:112], v[111:112], v[164:165]
	s_clause 0x3
	buffer_load_dword v164, off, s[0:3], 0 offset:336
	buffer_load_dword v165, off, s[0:3], 0 offset:340
	;; [unrolled: 1-line block ×4, first 2 shown]
	ds_read_b128 v[1:4], v113 offset:1456
	s_waitcnt vmcnt(51) lgkmcnt(1)
	v_mul_f64 v[180:181], v[7:8], v[191:192]
	v_mul_f64 v[178:179], v[5:6], v[191:192]
	s_waitcnt vmcnt(49)
	v_fma_f64 v[172:173], v[114:115], v[120:121], -v[172:173]
	v_fma_f64 v[120:121], v[116:117], v[120:121], v[160:161]
	ds_read_b128 v[114:117], v113 offset:1472
	v_add_f64 v[118:119], v[118:119], v[174:175]
	v_add_f64 v[111:112], v[111:112], v[168:169]
	s_waitcnt vmcnt(45) lgkmcnt(1)
	v_mul_f64 v[160:161], v[1:2], v[124:125]
	v_mul_f64 v[124:125], v[3:4], v[124:125]
	s_waitcnt vmcnt(44)
	v_fma_f64 v[168:169], v[5:6], v[193:194], -v[180:181]
	v_add_f64 v[118:119], v[118:119], v[172:173]
	v_fma_f64 v[172:173], v[7:8], v[193:194], v[178:179]
	v_add_f64 v[111:112], v[111:112], v[120:121]
	ds_read_b128 v[5:8], v113 offset:1488
	s_waitcnt vmcnt(43) lgkmcnt(1)
	v_mul_f64 v[120:121], v[114:115], v[134:135]
	v_mul_f64 v[134:135], v[116:117], v[134:135]
	s_waitcnt vmcnt(41)
	v_fma_f64 v[124:125], v[1:2], v[122:123], -v[124:125]
	v_fma_f64 v[122:123], v[3:4], v[122:123], v[160:161]
	ds_read_b128 v[1:4], v113 offset:1504
	v_add_f64 v[118:119], v[118:119], v[168:169]
	v_add_f64 v[111:112], v[111:112], v[172:173]
	s_waitcnt vmcnt(37) lgkmcnt(1)
	v_mul_f64 v[160:161], v[5:6], v[126:127]
	v_mul_f64 v[126:127], v[7:8], v[126:127]
	s_waitcnt vmcnt(36)
	v_fma_f64 v[134:135], v[114:115], v[189:190], -v[134:135]
	v_fma_f64 v[120:121], v[116:117], v[189:190], v[120:121]
	ds_read_b128 v[114:117], v113 offset:1520
	v_add_f64 v[118:119], v[118:119], v[124:125]
	v_add_f64 v[111:112], v[111:112], v[122:123]
	;; [unrolled: 9-line block ×5, first 2 shown]
	s_waitcnt vmcnt(21) lgkmcnt(1)
	v_mul_f64 v[124:125], v[3:4], v[136:137]
	s_waitcnt vmcnt(20)
	v_fma_f64 v[128:129], v[5:6], v[150:151], -v[128:129]
	v_mul_f64 v[122:123], v[1:2], v[136:137]
	v_fma_f64 v[126:127], v[7:8], v[150:151], v[126:127]
	ds_read_b128 v[5:8], v113 offset:1584
	v_add_f64 v[118:119], v[118:119], v[130:131]
	v_add_f64 v[111:112], v[111:112], v[120:121]
	s_waitcnt vmcnt(19) lgkmcnt(1)
	v_mul_f64 v[130:131], v[116:117], v[154:155]
	v_mul_f64 v[120:121], v[114:115], v[154:155]
	s_waitcnt vmcnt(17)
	v_fma_f64 v[124:125], v[1:2], v[140:141], -v[124:125]
	v_fma_f64 v[122:123], v[3:4], v[140:141], v[122:123]
	ds_read_b128 v[1:4], v113 offset:1600
	v_add_f64 v[118:119], v[118:119], v[128:129]
	v_add_f64 v[111:112], v[111:112], v[126:127]
	s_waitcnt vmcnt(13) lgkmcnt(1)
	v_mul_f64 v[128:129], v[7:8], v[144:145]
	s_waitcnt vmcnt(12)
	v_fma_f64 v[130:131], v[114:115], v[158:159], -v[130:131]
	v_mul_f64 v[126:127], v[5:6], v[144:145]
	v_fma_f64 v[115:116], v[116:117], v[158:159], v[120:121]
	v_add_f64 v[118:119], v[118:119], v[124:125]
	v_add_f64 v[120:121], v[111:112], v[122:123]
	ds_read_b128 v[111:114], v113 offset:1616
	s_waitcnt vmcnt(11) lgkmcnt(1)
	v_mul_f64 v[124:125], v[3:4], v[162:163]
	v_mul_f64 v[122:123], v[1:2], v[162:163]
	s_waitcnt vmcnt(9)
	v_fma_f64 v[5:6], v[5:6], v[148:149], -v[128:129]
	v_fma_f64 v[7:8], v[7:8], v[148:149], v[126:127]
	v_add_f64 v[117:118], v[118:119], v[130:131]
	v_add_f64 v[115:116], v[120:121], v[115:116]
	s_waitcnt vmcnt(7) lgkmcnt(0)
	v_mul_f64 v[126:127], v[113:114], v[152:153]
	s_waitcnt vmcnt(6)
	v_fma_f64 v[1:2], v[1:2], v[166:167], -v[124:125]
	v_mul_f64 v[119:120], v[111:112], v[152:153]
	v_fma_f64 v[3:4], v[3:4], v[166:167], v[122:123]
	v_add_f64 v[5:6], v[117:118], v[5:6]
	v_add_f64 v[7:8], v[115:116], v[7:8]
	s_waitcnt vmcnt(4)
	v_fma_f64 v[111:112], v[111:112], v[156:157], -v[126:127]
	v_add_f64 v[1:2], v[5:6], v[1:2]
	v_fma_f64 v[5:6], v[113:114], v[156:157], v[119:120]
	v_add_f64 v[3:4], v[7:8], v[3:4]
	v_add_f64 v[1:2], v[1:2], v[111:112]
	;; [unrolled: 1-line block ×3, first 2 shown]
	s_waitcnt vmcnt(2)
	v_add_f64 v[1:2], v[164:165], -v[1:2]
	s_waitcnt vmcnt(0)
	v_add_f64 v[3:4], v[176:177], -v[3:4]
	buffer_store_dword v2, off, s[0:3], 0 offset:340
	buffer_store_dword v1, off, s[0:3], 0 offset:336
	;; [unrolled: 1-line block ×4, first 2 shown]
	v_cmpx_lt_u32_e32 19, v0
	s_cbranch_execz .LBB114_281
; %bb.280:
	v_mov_b32_e32 v4, s44
	v_mov_b32_e32 v5, 0
	s_clause 0x3
	buffer_load_dword v1, v4, s[0:3], 0 offen
	buffer_load_dword v2, v4, s[0:3], 0 offen offset:4
	buffer_load_dword v3, v4, s[0:3], 0 offen offset:8
	;; [unrolled: 1-line block ×3, first 2 shown]
	buffer_store_dword v5, off, s[0:3], 0 offset:320
	buffer_store_dword v5, off, s[0:3], 0 offset:324
	;; [unrolled: 1-line block ×4, first 2 shown]
	s_waitcnt vmcnt(0)
	ds_write_b128 v171, v[1:4]
.LBB114_281:
	s_or_b32 exec_lo, exec_lo, s4
	s_waitcnt lgkmcnt(0)
	s_waitcnt_vscnt null, 0x0
	s_barrier
	buffer_gl0_inv
	s_clause 0x37
	buffer_load_dword v111, off, s[0:3], 0 offset:344
	buffer_load_dword v112, off, s[0:3], 0 offset:348
	;; [unrolled: 1-line block ×56, first 2 shown]
	v_mov_b32_e32 v131, 0
	s_mov_b32 s4, exec_lo
	ds_read_b128 v[119:122], v131 offset:1136
	s_clause 0x2
	buffer_load_dword v173, off, s[0:3], 0 offset:572
	buffer_load_dword v177, off, s[0:3], 0 offset:548
	buffer_load_dword v176, off, s[0:3], 0 offset:544
	ds_read_b128 v[123:126], v131 offset:1152
	s_clause 0x4
	buffer_load_dword v181, off, s[0:3], 0 offset:588
	buffer_load_dword v182, off, s[0:3], 0 offset:600
	;; [unrolled: 1-line block ×5, first 2 shown]
	ds_read_b128 v[127:130], v131 offset:1168
	s_clause 0x2
	buffer_load_dword v183, off, s[0:3], 0 offset:604
	buffer_load_dword v188, off, s[0:3], 0 offset:580
	buffer_load_dword v187, off, s[0:3], 0 offset:576
	s_waitcnt vmcnt(62) lgkmcnt(2)
	v_mul_f64 v[178:179], v[121:122], v[111:112]
	v_mul_f64 v[111:112], v[119:120], v[111:112]
	s_waitcnt lgkmcnt(1)
	v_mul_f64 v[185:186], v[125:126], v[5:6]
	s_waitcnt vmcnt(59) lgkmcnt(0)
	v_mul_f64 v[189:190], v[129:130], v[3:4]
	v_fma_f64 v[119:120], v[119:120], v[7:8], -v[178:179]
	v_mul_f64 v[178:179], v[123:124], v[5:6]
	v_fma_f64 v[111:112], v[121:122], v[7:8], v[111:112]
	s_waitcnt vmcnt(57)
	v_fma_f64 v[123:124], v[123:124], v[1:2], -v[185:186]
	ds_read_b128 v[5:8], v131 offset:1184
	v_mul_f64 v[121:122], v[127:128], v[3:4]
	s_waitcnt vmcnt(51)
	v_fma_f64 v[127:128], v[127:128], v[134:135], -v[189:190]
	v_add_f64 v[119:120], v[119:120], 0
	v_fma_f64 v[125:126], v[125:126], v[1:2], v[178:179]
	v_add_f64 v[111:112], v[111:112], 0
	s_clause 0x4
	buffer_load_dword v179, off, s[0:3], 0 offset:620
	buffer_load_dword v191, off, s[0:3], 0 offset:632
	;; [unrolled: 1-line block ×5, first 2 shown]
	s_waitcnt lgkmcnt(0)
	v_mul_f64 v[194:195], v[5:6], v[115:116]
	v_mul_f64 v[115:116], v[7:8], v[115:116]
	ds_read_b128 v[1:4], v131 offset:1200
	v_fma_f64 v[129:130], v[129:130], v[134:135], v[121:122]
	v_add_f64 v[123:124], v[119:120], v[123:124]
	v_add_f64 v[111:112], v[111:112], v[125:126]
	s_clause 0x2
	buffer_load_dword v192, off, s[0:3], 0 offset:636
	buffer_load_dword v126, off, s[0:3], 0 offset:612
	;; [unrolled: 1-line block ×3, first 2 shown]
	s_waitcnt vmcnt(58) lgkmcnt(0)
	v_mul_f64 v[134:135], v[1:2], v[132:133]
	v_mul_f64 v[132:133], v[3:4], v[132:133]
	s_waitcnt vmcnt(56)
	v_fma_f64 v[115:116], v[5:6], v[136:137], -v[115:116]
	ds_read_b128 v[119:122], v131 offset:1216
	v_add_f64 v[123:124], v[123:124], v[127:128]
	v_fma_f64 v[127:128], v[7:8], v[136:137], v[194:195]
	v_add_f64 v[111:112], v[111:112], v[129:130]
	s_clause 0x4
	buffer_load_dword v130, off, s[0:3], 0 offset:652
	buffer_load_dword v136, off, s[0:3], 0 offset:664
	;; [unrolled: 1-line block ×5, first 2 shown]
	ds_read_b128 v[5:8], v131 offset:1232
	s_waitcnt vmcnt(57) lgkmcnt(1)
	v_mul_f64 v[195:196], v[119:120], v[138:139]
	v_mul_f64 v[138:139], v[121:122], v[138:139]
	s_waitcnt vmcnt(56)
	v_fma_f64 v[132:133], v[1:2], v[113:114], -v[132:133]
	v_fma_f64 v[113:114], v[3:4], v[113:114], v[134:135]
	v_add_f64 v[115:116], v[123:124], v[115:116]
	s_clause 0x2
	buffer_load_dword v137, off, s[0:3], 0 offset:668
	buffer_load_dword v124, off, s[0:3], 0 offset:644
	;; [unrolled: 1-line block ×3, first 2 shown]
	v_add_f64 v[111:112], v[111:112], v[127:128]
	s_waitcnt vmcnt(58) lgkmcnt(0)
	v_mul_f64 v[134:135], v[7:8], v[140:141]
	ds_read_b128 v[1:4], v131 offset:1248
	v_mul_f64 v[127:128], v[5:6], v[140:141]
	s_waitcnt vmcnt(56)
	v_fma_f64 v[119:120], v[119:120], v[142:143], -v[138:139]
	v_fma_f64 v[121:122], v[121:122], v[142:143], v[195:196]
	s_clause 0x4
	buffer_load_dword v139, off, s[0:3], 0 offset:684
	buffer_load_dword v140, off, s[0:3], 0 offset:696
	buffer_load_dword v142, off, s[0:3], 0 offset:688
	buffer_load_dword v138, off, s[0:3], 0 offset:680
	buffer_load_dword v190, off, s[0:3], 0 offset:660
	v_add_f64 v[115:116], v[115:116], v[132:133]
	v_add_f64 v[132:133], v[111:112], v[113:114]
	s_waitcnt vmcnt(57) lgkmcnt(0)
	v_mul_f64 v[195:196], v[1:2], v[144:145]
	v_mul_f64 v[143:144], v[3:4], v[144:145]
	s_waitcnt vmcnt(56)
	v_fma_f64 v[134:135], v[5:6], v[117:118], -v[134:135]
	ds_read_b128 v[111:114], v131 offset:1264
	v_fma_f64 v[117:118], v[7:8], v[117:118], v[127:128]
	v_add_f64 v[115:116], v[115:116], v[119:120]
	v_add_f64 v[119:120], v[132:133], v[121:122]
	s_clause 0x2
	buffer_load_dword v141, off, s[0:3], 0 offset:700
	buffer_load_dword v122, off, s[0:3], 0 offset:676
	;; [unrolled: 1-line block ×3, first 2 shown]
	s_waitcnt vmcnt(58) lgkmcnt(0)
	v_mul_f64 v[132:133], v[113:114], v[146:147]
	s_waitcnt vmcnt(56)
	v_fma_f64 v[144:145], v[1:2], v[150:151], -v[143:144]
	ds_read_b128 v[5:8], v131 offset:1280
	v_mul_f64 v[127:128], v[111:112], v[146:147]
	v_add_f64 v[115:116], v[115:116], v[134:135]
	v_fma_f64 v[134:135], v[3:4], v[150:151], v[195:196]
	v_add_f64 v[117:118], v[119:120], v[117:118]
	s_clause 0x4
	buffer_load_dword v120, off, s[0:3], 0 offset:716
	buffer_load_dword v146, off, s[0:3], 0 offset:728
	buffer_load_dword v150, off, s[0:3], 0 offset:720
	buffer_load_dword v119, off, s[0:3], 0 offset:712
	buffer_load_dword v143, off, s[0:3], 0 offset:692
	s_waitcnt vmcnt(57) lgkmcnt(0)
	v_mul_f64 v[195:196], v[5:6], v[152:153]
	v_mul_f64 v[151:152], v[7:8], v[152:153]
	s_waitcnt vmcnt(56)
	v_fma_f64 v[132:133], v[111:112], v[148:149], -v[132:133]
	ds_read_b128 v[1:4], v131 offset:1296
	v_fma_f64 v[127:128], v[113:114], v[148:149], v[127:128]
	v_add_f64 v[115:116], v[115:116], v[144:145]
	v_add_f64 v[117:118], v[117:118], v[134:135]
	s_clause 0x2
	buffer_load_dword v147, off, s[0:3], 0 offset:732
	buffer_load_dword v135, off, s[0:3], 0 offset:708
	buffer_load_dword v134, off, s[0:3], 0 offset:704
	ds_read_b128 v[111:114], v131 offset:1312
	s_waitcnt vmcnt(58) lgkmcnt(1)
	v_mul_f64 v[148:149], v[3:4], v[154:155]
	s_waitcnt vmcnt(56)
	v_fma_f64 v[152:153], v[5:6], v[158:159], -v[151:152]
	v_mul_f64 v[144:145], v[1:2], v[154:155]
	v_add_f64 v[115:116], v[115:116], v[132:133]
	v_fma_f64 v[132:133], v[7:8], v[158:159], v[195:196]
	v_add_f64 v[117:118], v[117:118], v[127:128]
	s_clause 0x4
	buffer_load_dword v128, off, s[0:3], 0 offset:748
	buffer_load_dword v154, off, s[0:3], 0 offset:760
	buffer_load_dword v158, off, s[0:3], 0 offset:752
	buffer_load_dword v127, off, s[0:3], 0 offset:744
	buffer_load_dword v151, off, s[0:3], 0 offset:724
	s_waitcnt vmcnt(57) lgkmcnt(0)
	v_mul_f64 v[195:196], v[111:112], v[160:161]
	v_mul_f64 v[159:160], v[113:114], v[160:161]
	s_waitcnt vmcnt(56)
	v_fma_f64 v[148:149], v[1:2], v[156:157], -v[148:149]
	ds_read_b128 v[5:8], v131 offset:1328
	v_fma_f64 v[144:145], v[3:4], v[156:157], v[144:145]
	v_add_f64 v[115:116], v[115:116], v[152:153]
	v_add_f64 v[117:118], v[117:118], v[132:133]
	s_clause 0x2
	buffer_load_dword v155, off, s[0:3], 0 offset:764
	buffer_load_dword v133, off, s[0:3], 0 offset:740
	buffer_load_dword v132, off, s[0:3], 0 offset:736
	ds_read_b128 v[1:4], v131 offset:1344
	s_waitcnt vmcnt(58) lgkmcnt(1)
	v_mul_f64 v[156:157], v[7:8], v[162:163]
	s_waitcnt vmcnt(56)
	v_fma_f64 v[160:161], v[111:112], v[166:167], -v[159:160]
	;; [unrolled: 28-line block ×4, first 2 shown]
	v_mul_f64 v[168:169], v[1:2], v[182:183]
	buffer_load_dword v177, off, s[0:3], 0 offset:820
	v_add_f64 v[115:116], v[115:116], v[164:165]
	v_fma_f64 v[164:165], v[7:8], v[187:188], v[195:196]
	v_add_f64 v[117:118], v[117:118], v[160:161]
	ds_read_b128 v[5:8], v131 offset:1424
	s_waitcnt vmcnt(53) lgkmcnt(1)
	v_mul_f64 v[160:161], v[111:112], v[178:179]
	v_mul_f64 v[178:179], v[113:114], v[178:179]
	s_waitcnt vmcnt(52)
	v_fma_f64 v[174:175], v[1:2], v[184:185], -v[174:175]
	v_fma_f64 v[168:169], v[3:4], v[184:185], v[168:169]
	ds_read_b128 v[1:4], v131 offset:1440
	v_add_f64 v[115:116], v[115:116], v[180:181]
	v_add_f64 v[117:118], v[117:118], v[164:165]
	s_waitcnt vmcnt(51) lgkmcnt(1)
	v_mul_f64 v[180:181], v[7:8], v[191:192]
	v_mul_f64 v[164:165], v[5:6], v[191:192]
	s_waitcnt vmcnt(49)
	v_fma_f64 v[178:179], v[111:112], v[125:126], -v[178:179]
	v_fma_f64 v[125:126], v[113:114], v[125:126], v[160:161]
	v_add_f64 v[115:116], v[115:116], v[174:175]
	v_add_f64 v[117:118], v[117:118], v[168:169]
	s_clause 0x3
	buffer_load_dword v160, off, s[0:3], 0 offset:320
	buffer_load_dword v161, off, s[0:3], 0 offset:324
	;; [unrolled: 1-line block ×4, first 2 shown]
	ds_read_b128 v[111:114], v131 offset:1456
	s_waitcnt vmcnt(49) lgkmcnt(1)
	v_mul_f64 v[174:175], v[1:2], v[129:130]
	v_mul_f64 v[129:130], v[3:4], v[129:130]
	s_waitcnt vmcnt(48)
	v_fma_f64 v[180:181], v[5:6], v[193:194], -v[180:181]
	v_fma_f64 v[164:165], v[7:8], v[193:194], v[164:165]
	ds_read_b128 v[5:8], v131 offset:1472
	v_add_f64 v[115:116], v[115:116], v[178:179]
	v_add_f64 v[117:118], v[117:118], v[125:126]
	s_waitcnt vmcnt(47) lgkmcnt(1)
	v_mul_f64 v[125:126], v[111:112], v[136:137]
	v_mul_f64 v[136:137], v[113:114], v[136:137]
	s_waitcnt vmcnt(45)
	v_fma_f64 v[129:130], v[1:2], v[123:124], -v[129:130]
	v_fma_f64 v[123:124], v[3:4], v[123:124], v[174:175]
	ds_read_b128 v[1:4], v131 offset:1488
	v_add_f64 v[115:116], v[115:116], v[180:181]
	v_add_f64 v[117:118], v[117:118], v[164:165]
	s_waitcnt vmcnt(41) lgkmcnt(1)
	v_mul_f64 v[164:165], v[5:6], v[138:139]
	v_mul_f64 v[138:139], v[7:8], v[138:139]
	s_waitcnt vmcnt(40)
	v_fma_f64 v[125:126], v[113:114], v[189:190], v[125:126]
	v_fma_f64 v[136:137], v[111:112], v[189:190], -v[136:137]
	ds_read_b128 v[111:114], v131 offset:1504
	v_add_f64 v[115:116], v[115:116], v[129:130]
	v_add_f64 v[117:118], v[117:118], v[123:124]
	s_waitcnt vmcnt(39) lgkmcnt(1)
	v_mul_f64 v[129:130], v[3:4], v[140:141]
	v_mul_f64 v[123:124], v[1:2], v[140:141]
	s_waitcnt vmcnt(37)
	v_fma_f64 v[138:139], v[5:6], v[121:122], -v[138:139]
	v_fma_f64 v[121:122], v[7:8], v[121:122], v[164:165]
	ds_read_b128 v[5:8], v131 offset:1520
	v_add_f64 v[115:116], v[115:116], v[136:137]
	v_add_f64 v[117:118], v[117:118], v[125:126]
	s_waitcnt vmcnt(33) lgkmcnt(1)
	v_mul_f64 v[125:126], v[111:112], v[119:120]
	v_mul_f64 v[119:120], v[113:114], v[119:120]
	s_waitcnt vmcnt(32)
	v_fma_f64 v[129:130], v[1:2], v[142:143], -v[129:130]
	v_fma_f64 v[123:124], v[3:4], v[142:143], v[123:124]
	;; [unrolled: 9-line block ×3, first 2 shown]
	ds_read_b128 v[111:114], v131 offset:1552
	v_add_f64 v[115:116], v[115:116], v[129:130]
	v_add_f64 v[117:118], v[117:118], v[123:124]
	s_waitcnt vmcnt(25) lgkmcnt(1)
	v_mul_f64 v[123:124], v[1:2], v[127:128]
	v_mul_f64 v[127:128], v[3:4], v[127:128]
	s_waitcnt vmcnt(24)
	v_fma_f64 v[129:130], v[5:6], v[150:151], -v[136:137]
	v_add_f64 v[115:116], v[115:116], v[119:120]
	v_fma_f64 v[119:120], v[7:8], v[150:151], v[121:122]
	v_add_f64 v[117:118], v[117:118], v[125:126]
	ds_read_b128 v[5:8], v131 offset:1568
	s_waitcnt vmcnt(23) lgkmcnt(1)
	v_mul_f64 v[125:126], v[113:114], v[154:155]
	v_mul_f64 v[121:122], v[111:112], v[154:155]
	s_waitcnt vmcnt(21)
	v_fma_f64 v[127:128], v[1:2], v[132:133], -v[127:128]
	v_fma_f64 v[123:124], v[3:4], v[132:133], v[123:124]
	ds_read_b128 v[1:4], v131 offset:1584
	v_add_f64 v[115:116], v[115:116], v[129:130]
	v_add_f64 v[117:118], v[117:118], v[119:120]
	s_waitcnt vmcnt(17) lgkmcnt(1)
	v_mul_f64 v[129:130], v[7:8], v[144:145]
	s_waitcnt vmcnt(16)
	v_fma_f64 v[125:126], v[111:112], v[158:159], -v[125:126]
	v_mul_f64 v[119:120], v[5:6], v[144:145]
	v_fma_f64 v[121:122], v[113:114], v[158:159], v[121:122]
	ds_read_b128 v[111:114], v131 offset:1600
	v_add_f64 v[115:116], v[115:116], v[127:128]
	v_add_f64 v[117:118], v[117:118], v[123:124]
	s_waitcnt vmcnt(15) lgkmcnt(1)
	v_mul_f64 v[127:128], v[3:4], v[162:163]
	v_mul_f64 v[123:124], v[1:2], v[162:163]
	s_waitcnt vmcnt(13)
	v_fma_f64 v[129:130], v[5:6], v[148:149], -v[129:130]
	v_fma_f64 v[119:120], v[7:8], v[148:149], v[119:120]
	ds_read_b128 v[5:8], v131 offset:1616
	v_add_f64 v[115:116], v[115:116], v[125:126]
	v_add_f64 v[117:118], v[117:118], v[121:122]
	s_waitcnt vmcnt(9) lgkmcnt(1)
	v_mul_f64 v[125:126], v[113:114], v[152:153]
	s_waitcnt vmcnt(8)
	v_fma_f64 v[1:2], v[1:2], v[166:167], -v[127:128]
	v_mul_f64 v[121:122], v[111:112], v[152:153]
	v_fma_f64 v[3:4], v[3:4], v[166:167], v[123:124]
	v_add_f64 v[115:116], v[115:116], v[129:130]
	v_add_f64 v[117:118], v[117:118], v[119:120]
	s_waitcnt vmcnt(7) lgkmcnt(0)
	v_mul_f64 v[123:124], v[7:8], v[172:173]
	v_mul_f64 v[119:120], v[5:6], v[172:173]
	s_waitcnt vmcnt(5)
	v_fma_f64 v[111:112], v[111:112], v[156:157], -v[125:126]
	v_fma_f64 v[113:114], v[113:114], v[156:157], v[121:122]
	v_add_f64 v[1:2], v[115:116], v[1:2]
	v_add_f64 v[3:4], v[117:118], v[3:4]
	s_waitcnt vmcnt(4)
	v_fma_f64 v[5:6], v[5:6], v[176:177], -v[123:124]
	v_fma_f64 v[7:8], v[7:8], v[176:177], v[119:120]
	v_add_f64 v[1:2], v[1:2], v[111:112]
	v_add_f64 v[3:4], v[3:4], v[113:114]
	;; [unrolled: 1-line block ×4, first 2 shown]
	s_waitcnt vmcnt(2)
	v_add_f64 v[1:2], v[160:161], -v[1:2]
	s_waitcnt vmcnt(0)
	v_add_f64 v[3:4], v[168:169], -v[3:4]
	buffer_store_dword v2, off, s[0:3], 0 offset:324
	buffer_store_dword v1, off, s[0:3], 0 offset:320
	;; [unrolled: 1-line block ×4, first 2 shown]
	v_cmpx_lt_u32_e32 18, v0
	s_cbranch_execz .LBB114_283
; %bb.282:
	v_mov_b32_e32 v4, s45
	s_clause 0x3
	buffer_load_dword v1, v4, s[0:3], 0 offen
	buffer_load_dword v2, v4, s[0:3], 0 offen offset:4
	buffer_load_dword v3, v4, s[0:3], 0 offen offset:8
	;; [unrolled: 1-line block ×3, first 2 shown]
	buffer_store_dword v131, off, s[0:3], 0 offset:304
	buffer_store_dword v131, off, s[0:3], 0 offset:308
	;; [unrolled: 1-line block ×4, first 2 shown]
	s_waitcnt vmcnt(0)
	ds_write_b128 v171, v[1:4]
.LBB114_283:
	s_or_b32 exec_lo, exec_lo, s4
	s_waitcnt lgkmcnt(0)
	s_waitcnt_vscnt null, 0x0
	s_barrier
	buffer_gl0_inv
	s_clause 0x37
	buffer_load_dword v111, off, s[0:3], 0 offset:328
	buffer_load_dword v112, off, s[0:3], 0 offset:332
	;; [unrolled: 1-line block ×56, first 2 shown]
	ds_read_b128 v[132:135], v131 offset:1120
	s_clause 0x2
	buffer_load_dword v173, off, s[0:3], 0 offset:556
	buffer_load_dword v177, off, s[0:3], 0 offset:532
	;; [unrolled: 1-line block ×3, first 2 shown]
	ds_read_b128 v[136:139], v131 offset:1136
	s_clause 0x4
	buffer_load_dword v181, off, s[0:3], 0 offset:572
	buffer_load_dword v182, off, s[0:3], 0 offset:584
	;; [unrolled: 1-line block ×5, first 2 shown]
	ds_read_b128 v[140:143], v131 offset:1152
	s_clause 0x2
	buffer_load_dword v183, off, s[0:3], 0 offset:588
	buffer_load_dword v188, off, s[0:3], 0 offset:564
	;; [unrolled: 1-line block ×3, first 2 shown]
	s_mov_b32 s4, exec_lo
	s_waitcnt vmcnt(62) lgkmcnt(2)
	v_mul_f64 v[178:179], v[134:135], v[111:112]
	v_mul_f64 v[111:112], v[132:133], v[111:112]
	s_waitcnt lgkmcnt(1)
	v_mul_f64 v[185:186], v[138:139], v[5:6]
	s_waitcnt vmcnt(59) lgkmcnt(0)
	v_mul_f64 v[189:190], v[142:143], v[3:4]
	v_fma_f64 v[132:133], v[132:133], v[7:8], -v[178:179]
	v_mul_f64 v[178:179], v[136:137], v[5:6]
	v_fma_f64 v[111:112], v[134:135], v[7:8], v[111:112]
	s_waitcnt vmcnt(57)
	v_fma_f64 v[136:137], v[136:137], v[1:2], -v[185:186]
	ds_read_b128 v[5:8], v131 offset:1168
	v_mul_f64 v[134:135], v[140:141], v[3:4]
	s_waitcnt vmcnt(51)
	v_fma_f64 v[140:141], v[140:141], v[127:128], -v[189:190]
	v_add_f64 v[132:133], v[132:133], 0
	v_fma_f64 v[138:139], v[138:139], v[1:2], v[178:179]
	v_add_f64 v[111:112], v[111:112], 0
	s_clause 0x4
	buffer_load_dword v179, off, s[0:3], 0 offset:604
	buffer_load_dword v191, off, s[0:3], 0 offset:616
	;; [unrolled: 1-line block ×5, first 2 shown]
	s_waitcnt lgkmcnt(0)
	v_mul_f64 v[194:195], v[5:6], v[115:116]
	v_mul_f64 v[115:116], v[7:8], v[115:116]
	ds_read_b128 v[1:4], v131 offset:1184
	v_fma_f64 v[127:128], v[142:143], v[127:128], v[134:135]
	v_add_f64 v[136:137], v[132:133], v[136:137]
	v_add_f64 v[111:112], v[111:112], v[138:139]
	s_clause 0x2
	buffer_load_dword v192, off, s[0:3], 0 offset:620
	buffer_load_dword v139, off, s[0:3], 0 offset:596
	;; [unrolled: 1-line block ×3, first 2 shown]
	s_waitcnt vmcnt(58) lgkmcnt(0)
	v_mul_f64 v[142:143], v[1:2], v[119:120]
	v_mul_f64 v[119:120], v[3:4], v[119:120]
	s_waitcnt vmcnt(56)
	v_fma_f64 v[115:116], v[5:6], v[121:122], -v[115:116]
	ds_read_b128 v[132:135], v131 offset:1200
	v_fma_f64 v[121:122], v[7:8], v[121:122], v[194:195]
	v_add_f64 v[136:137], v[136:137], v[140:141]
	v_add_f64 v[111:112], v[111:112], v[127:128]
	s_clause 0x4
	buffer_load_dword v128, off, s[0:3], 0 offset:636
	buffer_load_dword v140, off, s[0:3], 0 offset:648
	;; [unrolled: 1-line block ×5, first 2 shown]
	ds_read_b128 v[5:8], v131 offset:1216
	s_waitcnt vmcnt(57) lgkmcnt(1)
	v_mul_f64 v[195:196], v[132:133], v[123:124]
	v_mul_f64 v[123:124], v[134:135], v[123:124]
	s_waitcnt vmcnt(56)
	v_fma_f64 v[119:120], v[1:2], v[113:114], -v[119:120]
	v_fma_f64 v[113:114], v[3:4], v[113:114], v[142:143]
	v_add_f64 v[115:116], v[136:137], v[115:116]
	v_add_f64 v[111:112], v[111:112], v[121:122]
	s_clause 0x2
	buffer_load_dword v141, off, s[0:3], 0 offset:652
	buffer_load_dword v122, off, s[0:3], 0 offset:628
	;; [unrolled: 1-line block ×3, first 2 shown]
	s_waitcnt vmcnt(58) lgkmcnt(0)
	v_mul_f64 v[136:137], v[5:6], v[129:130]
	v_mul_f64 v[129:130], v[7:8], v[129:130]
	s_waitcnt vmcnt(56)
	v_fma_f64 v[123:124], v[132:133], v[144:145], -v[123:124]
	ds_read_b128 v[1:4], v131 offset:1232
	v_add_f64 v[115:116], v[115:116], v[119:120]
	v_fma_f64 v[119:120], v[134:135], v[144:145], v[195:196]
	v_add_f64 v[132:133], v[111:112], v[113:114]
	s_clause 0x4
	buffer_load_dword v135, off, s[0:3], 0 offset:668
	buffer_load_dword v142, off, s[0:3], 0 offset:680
	;; [unrolled: 1-line block ×5, first 2 shown]
	ds_read_b128 v[111:114], v131 offset:1248
	s_waitcnt vmcnt(57) lgkmcnt(1)
	v_mul_f64 v[195:196], v[1:2], v[146:147]
	v_mul_f64 v[145:146], v[3:4], v[146:147]
	s_waitcnt vmcnt(56)
	v_fma_f64 v[129:130], v[5:6], v[117:118], -v[129:130]
	v_fma_f64 v[117:118], v[7:8], v[117:118], v[136:137]
	v_add_f64 v[115:116], v[115:116], v[123:124]
	s_clause 0x2
	buffer_load_dword v143, off, s[0:3], 0 offset:684
	buffer_load_dword v124, off, s[0:3], 0 offset:660
	;; [unrolled: 1-line block ×3, first 2 shown]
	v_add_f64 v[119:120], v[132:133], v[119:120]
	s_waitcnt vmcnt(58) lgkmcnt(0)
	v_mul_f64 v[136:137], v[113:114], v[148:149]
	ds_read_b128 v[5:8], v131 offset:1264
	v_mul_f64 v[132:133], v[111:112], v[148:149]
	s_waitcnt vmcnt(56)
	v_fma_f64 v[146:147], v[1:2], v[150:151], -v[145:146]
	v_add_f64 v[115:116], v[115:116], v[129:130]
	v_fma_f64 v[129:130], v[3:4], v[150:151], v[195:196]
	v_add_f64 v[117:118], v[119:120], v[117:118]
	s_clause 0x4
	buffer_load_dword v120, off, s[0:3], 0 offset:700
	buffer_load_dword v148, off, s[0:3], 0 offset:712
	buffer_load_dword v150, off, s[0:3], 0 offset:704
	buffer_load_dword v119, off, s[0:3], 0 offset:696
	buffer_load_dword v145, off, s[0:3], 0 offset:676
	s_waitcnt vmcnt(57) lgkmcnt(0)
	v_mul_f64 v[195:196], v[5:6], v[152:153]
	v_mul_f64 v[151:152], v[7:8], v[152:153]
	s_waitcnt vmcnt(56)
	v_fma_f64 v[136:137], v[111:112], v[125:126], -v[136:137]
	ds_read_b128 v[1:4], v131 offset:1280
	v_fma_f64 v[125:126], v[113:114], v[125:126], v[132:133]
	v_add_f64 v[115:116], v[115:116], v[146:147]
	v_add_f64 v[117:118], v[117:118], v[129:130]
	s_clause 0x2
	buffer_load_dword v149, off, s[0:3], 0 offset:716
	buffer_load_dword v130, off, s[0:3], 0 offset:692
	buffer_load_dword v129, off, s[0:3], 0 offset:688
	ds_read_b128 v[111:114], v131 offset:1296
	s_waitcnt vmcnt(58) lgkmcnt(1)
	v_mul_f64 v[146:147], v[3:4], v[154:155]
	s_waitcnt vmcnt(56)
	v_fma_f64 v[152:153], v[5:6], v[158:159], -v[151:152]
	v_mul_f64 v[132:133], v[1:2], v[154:155]
	v_add_f64 v[115:116], v[115:116], v[136:137]
	v_fma_f64 v[136:137], v[7:8], v[158:159], v[195:196]
	v_add_f64 v[117:118], v[117:118], v[125:126]
	s_clause 0x4
	buffer_load_dword v126, off, s[0:3], 0 offset:732
	buffer_load_dword v154, off, s[0:3], 0 offset:744
	buffer_load_dword v158, off, s[0:3], 0 offset:736
	buffer_load_dword v125, off, s[0:3], 0 offset:728
	buffer_load_dword v151, off, s[0:3], 0 offset:708
	s_waitcnt vmcnt(57) lgkmcnt(0)
	v_mul_f64 v[195:196], v[111:112], v[160:161]
	v_mul_f64 v[159:160], v[113:114], v[160:161]
	s_waitcnt vmcnt(56)
	v_fma_f64 v[146:147], v[1:2], v[156:157], -v[146:147]
	ds_read_b128 v[5:8], v131 offset:1312
	v_fma_f64 v[132:133], v[3:4], v[156:157], v[132:133]
	v_add_f64 v[115:116], v[115:116], v[152:153]
	v_add_f64 v[117:118], v[117:118], v[136:137]
	s_clause 0x2
	buffer_load_dword v155, off, s[0:3], 0 offset:748
	buffer_load_dword v137, off, s[0:3], 0 offset:724
	buffer_load_dword v136, off, s[0:3], 0 offset:720
	ds_read_b128 v[1:4], v131 offset:1328
	s_waitcnt vmcnt(58) lgkmcnt(1)
	v_mul_f64 v[156:157], v[7:8], v[162:163]
	s_waitcnt vmcnt(56)
	v_fma_f64 v[160:161], v[111:112], v[166:167], -v[159:160]
	v_mul_f64 v[152:153], v[5:6], v[162:163]
	;; [unrolled: 28-line block ×4, first 2 shown]
	v_add_f64 v[115:116], v[115:116], v[164:165]
	v_fma_f64 v[164:165], v[7:8], v[187:188], v[195:196]
	v_add_f64 v[117:118], v[117:118], v[160:161]
	s_clause 0x2
	buffer_load_dword v161, off, s[0:3], 0 offset:828
	buffer_load_dword v160, off, s[0:3], 0 offset:824
	;; [unrolled: 1-line block ×3, first 2 shown]
	ds_read_b128 v[5:8], v131 offset:1408
	s_waitcnt vmcnt(55) lgkmcnt(1)
	v_mul_f64 v[182:183], v[111:112], v[178:179]
	v_mul_f64 v[178:179], v[113:114], v[178:179]
	s_waitcnt vmcnt(54)
	v_fma_f64 v[174:175], v[1:2], v[184:185], -v[174:175]
	v_fma_f64 v[168:169], v[3:4], v[184:185], v[168:169]
	v_add_f64 v[115:116], v[115:116], v[180:181]
	v_add_f64 v[117:118], v[117:118], v[164:165]
	s_clause 0x1
	buffer_load_dword v165, off, s[0:3], 0 offset:820
	buffer_load_dword v164, off, s[0:3], 0 offset:816
	ds_read_b128 v[1:4], v131 offset:1424
	s_waitcnt vmcnt(55) lgkmcnt(1)
	v_mul_f64 v[184:185], v[7:8], v[191:192]
	v_mul_f64 v[180:181], v[5:6], v[191:192]
	s_waitcnt vmcnt(53)
	v_fma_f64 v[178:179], v[111:112], v[138:139], -v[178:179]
	v_fma_f64 v[138:139], v[113:114], v[138:139], v[182:183]
	ds_read_b128 v[111:114], v131 offset:1440
	v_add_f64 v[115:116], v[115:116], v[174:175]
	v_add_f64 v[117:118], v[117:118], v[168:169]
	s_waitcnt vmcnt(49) lgkmcnt(1)
	v_mul_f64 v[168:169], v[1:2], v[127:128]
	v_mul_f64 v[127:128], v[3:4], v[127:128]
	s_waitcnt vmcnt(48)
	v_fma_f64 v[174:175], v[5:6], v[193:194], -v[184:185]
	v_add_f64 v[115:116], v[115:116], v[178:179]
	v_fma_f64 v[178:179], v[7:8], v[193:194], v[180:181]
	v_add_f64 v[117:118], v[117:118], v[138:139]
	s_clause 0x3
	buffer_load_dword v138, off, s[0:3], 0 offset:304
	buffer_load_dword v139, off, s[0:3], 0 offset:308
	;; [unrolled: 1-line block ×4, first 2 shown]
	ds_read_b128 v[5:8], v131 offset:1456
	s_waitcnt vmcnt(51) lgkmcnt(1)
	v_mul_f64 v[182:183], v[111:112], v[140:141]
	v_mul_f64 v[140:141], v[113:114], v[140:141]
	s_waitcnt vmcnt(49)
	v_fma_f64 v[127:128], v[1:2], v[121:122], -v[127:128]
	v_fma_f64 v[121:122], v[3:4], v[121:122], v[168:169]
	ds_read_b128 v[1:4], v131 offset:1472
	v_add_f64 v[115:116], v[115:116], v[174:175]
	v_add_f64 v[117:118], v[117:118], v[178:179]
	s_waitcnt vmcnt(45) lgkmcnt(1)
	v_mul_f64 v[168:169], v[5:6], v[134:135]
	v_mul_f64 v[134:135], v[7:8], v[134:135]
	s_waitcnt vmcnt(44)
	v_fma_f64 v[140:141], v[111:112], v[189:190], -v[140:141]
	v_add_f64 v[115:116], v[115:116], v[127:128]
	v_fma_f64 v[127:128], v[113:114], v[189:190], v[182:183]
	v_add_f64 v[117:118], v[117:118], v[121:122]
	ds_read_b128 v[111:114], v131 offset:1488
	s_waitcnt vmcnt(43) lgkmcnt(1)
	v_mul_f64 v[121:122], v[1:2], v[142:143]
	v_mul_f64 v[142:143], v[3:4], v[142:143]
	s_waitcnt vmcnt(41)
	v_fma_f64 v[134:135], v[5:6], v[123:124], -v[134:135]
	v_fma_f64 v[123:124], v[7:8], v[123:124], v[168:169]
	ds_read_b128 v[5:8], v131 offset:1504
	v_add_f64 v[115:116], v[115:116], v[140:141]
	v_add_f64 v[117:118], v[117:118], v[127:128]
	s_waitcnt vmcnt(37) lgkmcnt(1)
	v_mul_f64 v[127:128], v[111:112], v[119:120]
	v_mul_f64 v[119:120], v[113:114], v[119:120]
	s_waitcnt vmcnt(36)
	v_fma_f64 v[140:141], v[1:2], v[144:145], -v[142:143]
	v_fma_f64 v[121:122], v[3:4], v[144:145], v[121:122]
	ds_read_b128 v[1:4], v131 offset:1520
	v_add_f64 v[115:116], v[115:116], v[134:135]
	v_add_f64 v[117:118], v[117:118], v[123:124]
	;; [unrolled: 9-line block ×3, first 2 shown]
	s_waitcnt vmcnt(29) lgkmcnt(1)
	v_mul_f64 v[121:122], v[1:2], v[125:126]
	v_mul_f64 v[125:126], v[3:4], v[125:126]
	s_waitcnt vmcnt(28)
	v_fma_f64 v[129:130], v[5:6], v[150:151], -v[134:135]
	v_add_f64 v[115:116], v[115:116], v[119:120]
	v_fma_f64 v[119:120], v[7:8], v[150:151], v[123:124]
	v_add_f64 v[117:118], v[117:118], v[127:128]
	ds_read_b128 v[5:8], v131 offset:1552
	s_waitcnt vmcnt(27) lgkmcnt(1)
	v_mul_f64 v[127:128], v[113:114], v[154:155]
	v_mul_f64 v[123:124], v[111:112], v[154:155]
	s_waitcnt vmcnt(25)
	v_fma_f64 v[125:126], v[1:2], v[136:137], -v[125:126]
	v_fma_f64 v[121:122], v[3:4], v[136:137], v[121:122]
	ds_read_b128 v[1:4], v131 offset:1568
	v_add_f64 v[115:116], v[115:116], v[129:130]
	v_add_f64 v[117:118], v[117:118], v[119:120]
	s_waitcnt vmcnt(21) lgkmcnt(1)
	v_mul_f64 v[129:130], v[7:8], v[132:133]
	s_waitcnt vmcnt(20)
	v_fma_f64 v[127:128], v[111:112], v[158:159], -v[127:128]
	v_mul_f64 v[119:120], v[5:6], v[132:133]
	v_fma_f64 v[123:124], v[113:114], v[158:159], v[123:124]
	ds_read_b128 v[111:114], v131 offset:1584
	v_add_f64 v[115:116], v[115:116], v[125:126]
	v_add_f64 v[117:118], v[117:118], v[121:122]
	s_waitcnt vmcnt(19) lgkmcnt(1)
	v_mul_f64 v[125:126], v[3:4], v[162:163]
	v_mul_f64 v[121:122], v[1:2], v[162:163]
	s_waitcnt vmcnt(17)
	v_fma_f64 v[129:130], v[5:6], v[146:147], -v[129:130]
	v_fma_f64 v[119:120], v[7:8], v[146:147], v[119:120]
	ds_read_b128 v[5:8], v131 offset:1600
	v_add_f64 v[115:116], v[115:116], v[127:128]
	v_add_f64 v[117:118], v[117:118], v[123:124]
	s_waitcnt vmcnt(13) lgkmcnt(1)
	v_mul_f64 v[127:128], v[113:114], v[152:153]
	s_waitcnt vmcnt(12)
	v_fma_f64 v[125:126], v[1:2], v[166:167], -v[125:126]
	v_mul_f64 v[123:124], v[111:112], v[152:153]
	v_fma_f64 v[121:122], v[3:4], v[166:167], v[121:122]
	ds_read_b128 v[1:4], v131 offset:1616
	v_add_f64 v[115:116], v[115:116], v[129:130]
	v_add_f64 v[117:118], v[117:118], v[119:120]
	s_waitcnt vmcnt(11) lgkmcnt(1)
	v_mul_f64 v[129:130], v[7:8], v[172:173]
	v_mul_f64 v[119:120], v[5:6], v[172:173]
	s_waitcnt vmcnt(9)
	v_fma_f64 v[111:112], v[111:112], v[156:157], -v[127:128]
	v_fma_f64 v[113:114], v[113:114], v[156:157], v[123:124]
	v_add_f64 v[115:116], v[115:116], v[125:126]
	v_add_f64 v[117:118], v[117:118], v[121:122]
	s_waitcnt vmcnt(7) lgkmcnt(0)
	v_mul_f64 v[123:124], v[3:4], v[160:161]
	s_waitcnt vmcnt(6)
	v_fma_f64 v[5:6], v[5:6], v[176:177], -v[129:130]
	v_mul_f64 v[121:122], v[1:2], v[160:161]
	v_fma_f64 v[7:8], v[7:8], v[176:177], v[119:120]
	v_add_f64 v[111:112], v[115:116], v[111:112]
	v_add_f64 v[113:114], v[117:118], v[113:114]
	s_waitcnt vmcnt(4)
	v_fma_f64 v[1:2], v[1:2], v[164:165], -v[123:124]
	v_fma_f64 v[3:4], v[3:4], v[164:165], v[121:122]
	v_add_f64 v[5:6], v[111:112], v[5:6]
	v_add_f64 v[7:8], v[113:114], v[7:8]
	;; [unrolled: 1-line block ×4, first 2 shown]
	s_waitcnt vmcnt(2)
	v_add_f64 v[1:2], v[138:139], -v[1:2]
	s_waitcnt vmcnt(0)
	v_add_f64 v[3:4], v[180:181], -v[3:4]
	buffer_store_dword v2, off, s[0:3], 0 offset:308
	buffer_store_dword v1, off, s[0:3], 0 offset:304
	;; [unrolled: 1-line block ×4, first 2 shown]
	v_cmpx_lt_u32_e32 17, v0
	s_cbranch_execz .LBB114_285
; %bb.284:
	v_mov_b32_e32 v4, s46
	v_mov_b32_e32 v5, 0
	s_clause 0x3
	buffer_load_dword v1, v4, s[0:3], 0 offen
	buffer_load_dword v2, v4, s[0:3], 0 offen offset:4
	buffer_load_dword v3, v4, s[0:3], 0 offen offset:8
	;; [unrolled: 1-line block ×3, first 2 shown]
	buffer_store_dword v5, off, s[0:3], 0 offset:288
	buffer_store_dword v5, off, s[0:3], 0 offset:292
	;; [unrolled: 1-line block ×4, first 2 shown]
	s_waitcnt vmcnt(0)
	ds_write_b128 v171, v[1:4]
.LBB114_285:
	s_or_b32 exec_lo, exec_lo, s4
	s_waitcnt lgkmcnt(0)
	s_waitcnt_vscnt null, 0x0
	s_barrier
	buffer_gl0_inv
	s_clause 0x37
	buffer_load_dword v111, off, s[0:3], 0 offset:312
	buffer_load_dword v112, off, s[0:3], 0 offset:316
	;; [unrolled: 1-line block ×56, first 2 shown]
	v_mov_b32_e32 v153, 0
	s_mov_b32 s4, exec_lo
	ds_read_b128 v[141:144], v153 offset:1104
	s_clause 0x2
	buffer_load_dword v173, off, s[0:3], 0 offset:540
	buffer_load_dword v177, off, s[0:3], 0 offset:516
	;; [unrolled: 1-line block ×3, first 2 shown]
	ds_read_b128 v[145:148], v153 offset:1120
	s_clause 0x4
	buffer_load_dword v181, off, s[0:3], 0 offset:556
	buffer_load_dword v182, off, s[0:3], 0 offset:568
	;; [unrolled: 1-line block ×5, first 2 shown]
	ds_read_b128 v[149:152], v153 offset:1136
	s_clause 0x2
	buffer_load_dword v183, off, s[0:3], 0 offset:572
	buffer_load_dword v188, off, s[0:3], 0 offset:548
	;; [unrolled: 1-line block ×3, first 2 shown]
	s_waitcnt vmcnt(62) lgkmcnt(2)
	v_mul_f64 v[178:179], v[143:144], v[111:112]
	v_mul_f64 v[111:112], v[141:142], v[111:112]
	s_waitcnt lgkmcnt(1)
	v_mul_f64 v[185:186], v[147:148], v[5:6]
	s_waitcnt vmcnt(59) lgkmcnt(0)
	v_mul_f64 v[189:190], v[151:152], v[3:4]
	v_fma_f64 v[141:142], v[141:142], v[7:8], -v[178:179]
	v_mul_f64 v[178:179], v[145:146], v[5:6]
	v_fma_f64 v[111:112], v[143:144], v[7:8], v[111:112]
	s_waitcnt vmcnt(57)
	v_fma_f64 v[145:146], v[145:146], v[1:2], -v[185:186]
	ds_read_b128 v[5:8], v153 offset:1152
	v_mul_f64 v[143:144], v[149:150], v[3:4]
	s_waitcnt vmcnt(51)
	v_fma_f64 v[149:150], v[149:150], v[127:128], -v[189:190]
	v_add_f64 v[141:142], v[141:142], 0
	v_fma_f64 v[147:148], v[147:148], v[1:2], v[178:179]
	v_add_f64 v[111:112], v[111:112], 0
	s_clause 0x4
	buffer_load_dword v179, off, s[0:3], 0 offset:588
	buffer_load_dword v191, off, s[0:3], 0 offset:600
	;; [unrolled: 1-line block ×5, first 2 shown]
	s_waitcnt lgkmcnt(0)
	v_mul_f64 v[194:195], v[5:6], v[115:116]
	v_mul_f64 v[115:116], v[7:8], v[115:116]
	ds_read_b128 v[1:4], v153 offset:1168
	v_fma_f64 v[127:128], v[151:152], v[127:128], v[143:144]
	v_add_f64 v[145:146], v[141:142], v[145:146]
	v_add_f64 v[111:112], v[111:112], v[147:148]
	s_clause 0x2
	buffer_load_dword v192, off, s[0:3], 0 offset:604
	buffer_load_dword v148, off, s[0:3], 0 offset:580
	;; [unrolled: 1-line block ×3, first 2 shown]
	s_waitcnt vmcnt(58) lgkmcnt(0)
	v_mul_f64 v[151:152], v[1:2], v[119:120]
	v_mul_f64 v[119:120], v[3:4], v[119:120]
	s_waitcnt vmcnt(56)
	v_fma_f64 v[115:116], v[5:6], v[121:122], -v[115:116]
	ds_read_b128 v[141:144], v153 offset:1184
	v_fma_f64 v[121:122], v[7:8], v[121:122], v[194:195]
	v_add_f64 v[145:146], v[145:146], v[149:150]
	v_add_f64 v[111:112], v[111:112], v[127:128]
	s_clause 0x4
	buffer_load_dword v128, off, s[0:3], 0 offset:620
	buffer_load_dword v149, off, s[0:3], 0 offset:632
	;; [unrolled: 1-line block ×5, first 2 shown]
	ds_read_b128 v[5:8], v153 offset:1200
	s_waitcnt vmcnt(57) lgkmcnt(1)
	v_mul_f64 v[195:196], v[141:142], v[123:124]
	v_mul_f64 v[123:124], v[143:144], v[123:124]
	s_waitcnt vmcnt(56)
	v_fma_f64 v[119:120], v[1:2], v[113:114], -v[119:120]
	v_fma_f64 v[113:114], v[3:4], v[113:114], v[151:152]
	v_add_f64 v[115:116], v[145:146], v[115:116]
	v_add_f64 v[111:112], v[111:112], v[121:122]
	s_clause 0x2
	buffer_load_dword v150, off, s[0:3], 0 offset:636
	buffer_load_dword v122, off, s[0:3], 0 offset:612
	;; [unrolled: 1-line block ×3, first 2 shown]
	s_waitcnt vmcnt(58) lgkmcnt(0)
	v_mul_f64 v[145:146], v[5:6], v[129:130]
	v_mul_f64 v[129:130], v[7:8], v[129:130]
	s_waitcnt vmcnt(56)
	v_fma_f64 v[123:124], v[141:142], v[131:132], -v[123:124]
	ds_read_b128 v[1:4], v153 offset:1216
	v_add_f64 v[115:116], v[115:116], v[119:120]
	v_fma_f64 v[119:120], v[143:144], v[131:132], v[195:196]
	v_add_f64 v[131:132], v[111:112], v[113:114]
	s_clause 0x4
	buffer_load_dword v142, off, s[0:3], 0 offset:652
	buffer_load_dword v143, off, s[0:3], 0 offset:664
	;; [unrolled: 1-line block ×5, first 2 shown]
	ds_read_b128 v[111:114], v153 offset:1232
	s_waitcnt vmcnt(57) lgkmcnt(1)
	v_mul_f64 v[195:196], v[1:2], v[133:134]
	v_mul_f64 v[133:134], v[3:4], v[133:134]
	s_waitcnt vmcnt(56)
	v_fma_f64 v[129:130], v[5:6], v[117:118], -v[129:130]
	v_fma_f64 v[117:118], v[7:8], v[117:118], v[145:146]
	v_add_f64 v[115:116], v[115:116], v[123:124]
	s_clause 0x2
	buffer_load_dword v144, off, s[0:3], 0 offset:668
	buffer_load_dword v124, off, s[0:3], 0 offset:644
	;; [unrolled: 1-line block ×3, first 2 shown]
	v_add_f64 v[119:120], v[131:132], v[119:120]
	s_waitcnt vmcnt(58) lgkmcnt(0)
	v_mul_f64 v[131:132], v[111:112], v[137:138]
	v_mul_f64 v[137:138], v[113:114], v[137:138]
	ds_read_b128 v[5:8], v153 offset:1248
	s_waitcnt vmcnt(56)
	v_fma_f64 v[133:134], v[1:2], v[139:140], -v[133:134]
	v_add_f64 v[115:116], v[115:116], v[129:130]
	v_fma_f64 v[129:130], v[3:4], v[139:140], v[195:196]
	v_add_f64 v[117:118], v[119:120], v[117:118]
	s_clause 0x4
	buffer_load_dword v120, off, s[0:3], 0 offset:684
	buffer_load_dword v139, off, s[0:3], 0 offset:696
	buffer_load_dword v145, off, s[0:3], 0 offset:688
	buffer_load_dword v119, off, s[0:3], 0 offset:680
	buffer_load_dword v152, off, s[0:3], 0 offset:660
	s_waitcnt vmcnt(57) lgkmcnt(0)
	v_mul_f64 v[195:196], v[5:6], v[154:155]
	v_mul_f64 v[154:155], v[7:8], v[154:155]
	s_waitcnt vmcnt(56)
	v_fma_f64 v[137:138], v[111:112], v[125:126], -v[137:138]
	ds_read_b128 v[1:4], v153 offset:1264
	v_fma_f64 v[125:126], v[113:114], v[125:126], v[131:132]
	v_add_f64 v[115:116], v[115:116], v[133:134]
	v_add_f64 v[117:118], v[117:118], v[129:130]
	s_clause 0x2
	buffer_load_dword v140, off, s[0:3], 0 offset:700
	buffer_load_dword v130, off, s[0:3], 0 offset:676
	;; [unrolled: 1-line block ×3, first 2 shown]
	ds_read_b128 v[111:114], v153 offset:1280
	s_waitcnt vmcnt(58) lgkmcnt(1)
	v_mul_f64 v[133:134], v[3:4], v[156:157]
	s_waitcnt vmcnt(56)
	v_fma_f64 v[154:155], v[5:6], v[158:159], -v[154:155]
	v_mul_f64 v[131:132], v[1:2], v[156:157]
	v_add_f64 v[115:116], v[115:116], v[137:138]
	v_fma_f64 v[137:138], v[7:8], v[158:159], v[195:196]
	v_add_f64 v[117:118], v[117:118], v[125:126]
	s_clause 0x4
	buffer_load_dword v126, off, s[0:3], 0 offset:716
	buffer_load_dword v156, off, s[0:3], 0 offset:728
	;; [unrolled: 1-line block ×5, first 2 shown]
	s_waitcnt vmcnt(57) lgkmcnt(0)
	v_mul_f64 v[195:196], v[111:112], v[160:161]
	v_mul_f64 v[159:160], v[113:114], v[160:161]
	s_waitcnt vmcnt(56)
	v_fma_f64 v[133:134], v[1:2], v[135:136], -v[133:134]
	ds_read_b128 v[5:8], v153 offset:1296
	v_fma_f64 v[131:132], v[3:4], v[135:136], v[131:132]
	s_clause 0x2
	buffer_load_dword v157, off, s[0:3], 0 offset:732
	buffer_load_dword v136, off, s[0:3], 0 offset:708
	;; [unrolled: 1-line block ×3, first 2 shown]
	ds_read_b128 v[1:4], v153 offset:1312
	v_add_f64 v[115:116], v[115:116], v[154:155]
	v_add_f64 v[117:118], v[117:118], v[137:138]
	s_waitcnt vmcnt(58) lgkmcnt(1)
	v_mul_f64 v[154:155], v[7:8], v[162:163]
	s_waitcnt vmcnt(56)
	v_fma_f64 v[160:161], v[111:112], v[166:167], -v[159:160]
	v_mul_f64 v[137:138], v[5:6], v[162:163]
	v_add_f64 v[115:116], v[115:116], v[133:134]
	v_fma_f64 v[133:134], v[113:114], v[166:167], v[195:196]
	v_add_f64 v[117:118], v[117:118], v[131:132]
	s_clause 0x4
	buffer_load_dword v132, off, s[0:3], 0 offset:748
	buffer_load_dword v162, off, s[0:3], 0 offset:760
	;; [unrolled: 1-line block ×5, first 2 shown]
	s_waitcnt vmcnt(57) lgkmcnt(0)
	v_mul_f64 v[195:196], v[1:2], v[168:169]
	v_mul_f64 v[167:168], v[3:4], v[168:169]
	s_waitcnt vmcnt(56)
	v_fma_f64 v[154:155], v[5:6], v[164:165], -v[154:155]
	ds_read_b128 v[111:114], v153 offset:1328
	v_fma_f64 v[137:138], v[7:8], v[164:165], v[137:138]
	v_add_f64 v[115:116], v[115:116], v[160:161]
	v_add_f64 v[117:118], v[117:118], v[133:134]
	s_clause 0x2
	buffer_load_dword v163, off, s[0:3], 0 offset:764
	buffer_load_dword v134, off, s[0:3], 0 offset:740
	buffer_load_dword v133, off, s[0:3], 0 offset:736
	ds_read_b128 v[5:8], v153 offset:1344
	s_waitcnt vmcnt(58) lgkmcnt(1)
	v_mul_f64 v[164:165], v[113:114], v[172:173]
	s_waitcnt vmcnt(56)
	v_fma_f64 v[168:169], v[1:2], v[176:177], -v[167:168]
	v_mul_f64 v[160:161], v[111:112], v[172:173]
	v_add_f64 v[115:116], v[115:116], v[154:155]
	v_fma_f64 v[154:155], v[3:4], v[176:177], v[195:196]
	v_add_f64 v[117:118], v[117:118], v[137:138]
	s_clause 0x4
	buffer_load_dword v138, off, s[0:3], 0 offset:780
	buffer_load_dword v172, off, s[0:3], 0 offset:792
	;; [unrolled: 1-line block ×5, first 2 shown]
	s_waitcnt vmcnt(57) lgkmcnt(0)
	v_mul_f64 v[195:196], v[5:6], v[180:181]
	v_mul_f64 v[180:181], v[7:8], v[180:181]
	s_waitcnt vmcnt(56)
	v_fma_f64 v[164:165], v[111:112], v[174:175], -v[164:165]
	ds_read_b128 v[1:4], v153 offset:1360
	v_fma_f64 v[160:161], v[113:114], v[174:175], v[160:161]
	v_add_f64 v[115:116], v[115:116], v[168:169]
	v_add_f64 v[117:118], v[117:118], v[154:155]
	s_clause 0x2
	buffer_load_dword v173, off, s[0:3], 0 offset:796
	buffer_load_dword v155, off, s[0:3], 0 offset:772
	;; [unrolled: 1-line block ×3, first 2 shown]
	ds_read_b128 v[111:114], v153 offset:1376
	s_waitcnt vmcnt(58) lgkmcnt(1)
	v_mul_f64 v[174:175], v[3:4], v[182:183]
	s_waitcnt vmcnt(56)
	v_fma_f64 v[180:181], v[5:6], v[187:188], -v[180:181]
	v_mul_f64 v[168:169], v[1:2], v[182:183]
	v_add_f64 v[115:116], v[115:116], v[164:165]
	v_fma_f64 v[164:165], v[7:8], v[187:188], v[195:196]
	v_add_f64 v[117:118], v[117:118], v[160:161]
	s_clause 0x4
	buffer_load_dword v161, off, s[0:3], 0 offset:812
	buffer_load_dword v182, off, s[0:3], 0 offset:824
	;; [unrolled: 1-line block ×5, first 2 shown]
	ds_read_b128 v[5:8], v153 offset:1392
	s_waitcnt vmcnt(57) lgkmcnt(1)
	v_mul_f64 v[187:188], v[111:112], v[178:179]
	v_mul_f64 v[178:179], v[113:114], v[178:179]
	s_waitcnt vmcnt(56)
	v_fma_f64 v[174:175], v[1:2], v[184:185], -v[174:175]
	v_fma_f64 v[168:169], v[3:4], v[184:185], v[168:169]
	v_add_f64 v[115:116], v[115:116], v[180:181]
	v_add_f64 v[117:118], v[117:118], v[164:165]
	s_clause 0x2
	buffer_load_dword v183, off, s[0:3], 0 offset:828
	buffer_load_dword v165, off, s[0:3], 0 offset:804
	;; [unrolled: 1-line block ×3, first 2 shown]
	ds_read_b128 v[1:4], v153 offset:1408
	s_waitcnt vmcnt(58) lgkmcnt(1)
	v_mul_f64 v[184:185], v[7:8], v[191:192]
	v_mul_f64 v[180:181], v[5:6], v[191:192]
	s_waitcnt vmcnt(56)
	v_fma_f64 v[178:179], v[111:112], v[147:148], -v[178:179]
	v_fma_f64 v[147:148], v[113:114], v[147:148], v[187:188]
	buffer_load_dword v187, off, s[0:3], 0 offset:820
	ds_read_b128 v[111:114], v153 offset:1424
	v_add_f64 v[115:116], v[115:116], v[174:175]
	v_add_f64 v[117:118], v[117:118], v[168:169]
	s_waitcnt vmcnt(53) lgkmcnt(1)
	v_mul_f64 v[168:169], v[1:2], v[127:128]
	v_mul_f64 v[127:128], v[3:4], v[127:128]
	s_waitcnt vmcnt(52)
	v_fma_f64 v[174:175], v[5:6], v[193:194], -v[184:185]
	v_add_f64 v[115:116], v[115:116], v[178:179]
	v_fma_f64 v[178:179], v[7:8], v[193:194], v[180:181]
	v_add_f64 v[117:118], v[117:118], v[147:148]
	ds_read_b128 v[5:8], v153 offset:1440
	s_waitcnt vmcnt(51) lgkmcnt(1)
	v_mul_f64 v[147:148], v[111:112], v[149:150]
	v_mul_f64 v[149:150], v[113:114], v[149:150]
	s_waitcnt vmcnt(49)
	v_fma_f64 v[127:128], v[1:2], v[121:122], -v[127:128]
	v_fma_f64 v[121:122], v[3:4], v[121:122], v[168:169]
	v_add_f64 v[115:116], v[115:116], v[174:175]
	s_clause 0x3
	buffer_load_dword v168, off, s[0:3], 0 offset:288
	buffer_load_dword v169, off, s[0:3], 0 offset:292
	;; [unrolled: 1-line block ×4, first 2 shown]
	v_add_f64 v[117:118], v[117:118], v[178:179]
	ds_read_b128 v[1:4], v153 offset:1456
	s_waitcnt vmcnt(49) lgkmcnt(1)
	v_mul_f64 v[178:179], v[5:6], v[141:142]
	v_mul_f64 v[141:142], v[7:8], v[141:142]
	s_waitcnt vmcnt(48)
	v_fma_f64 v[149:150], v[111:112], v[189:190], -v[149:150]
	v_add_f64 v[115:116], v[115:116], v[127:128]
	v_fma_f64 v[127:128], v[113:114], v[189:190], v[147:148]
	v_add_f64 v[117:118], v[117:118], v[121:122]
	ds_read_b128 v[111:114], v153 offset:1472
	s_waitcnt vmcnt(47) lgkmcnt(1)
	v_mul_f64 v[121:122], v[1:2], v[143:144]
	v_mul_f64 v[143:144], v[3:4], v[143:144]
	s_waitcnt vmcnt(45)
	v_fma_f64 v[141:142], v[5:6], v[123:124], -v[141:142]
	v_fma_f64 v[123:124], v[7:8], v[123:124], v[178:179]
	ds_read_b128 v[5:8], v153 offset:1488
	v_add_f64 v[115:116], v[115:116], v[149:150]
	v_add_f64 v[117:118], v[117:118], v[127:128]
	s_waitcnt vmcnt(41) lgkmcnt(1)
	v_mul_f64 v[127:128], v[111:112], v[119:120]
	v_mul_f64 v[119:120], v[113:114], v[119:120]
	s_waitcnt vmcnt(40)
	v_fma_f64 v[143:144], v[1:2], v[151:152], -v[143:144]
	v_fma_f64 v[121:122], v[3:4], v[151:152], v[121:122]
	ds_read_b128 v[1:4], v153 offset:1504
	v_add_f64 v[115:116], v[115:116], v[141:142]
	v_add_f64 v[117:118], v[117:118], v[123:124]
	;; [unrolled: 9-line block ×3, first 2 shown]
	s_waitcnt vmcnt(33) lgkmcnt(1)
	v_mul_f64 v[121:122], v[1:2], v[125:126]
	v_mul_f64 v[125:126], v[3:4], v[125:126]
	s_waitcnt vmcnt(32)
	v_fma_f64 v[129:130], v[5:6], v[145:146], -v[139:140]
	v_add_f64 v[115:116], v[115:116], v[119:120]
	v_fma_f64 v[119:120], v[7:8], v[145:146], v[123:124]
	v_add_f64 v[117:118], v[117:118], v[127:128]
	ds_read_b128 v[5:8], v153 offset:1536
	s_waitcnt vmcnt(31) lgkmcnt(1)
	v_mul_f64 v[127:128], v[113:114], v[156:157]
	v_mul_f64 v[123:124], v[111:112], v[156:157]
	s_waitcnt vmcnt(29)
	v_fma_f64 v[121:122], v[3:4], v[135:136], v[121:122]
	v_fma_f64 v[125:126], v[1:2], v[135:136], -v[125:126]
	ds_read_b128 v[1:4], v153 offset:1552
	v_add_f64 v[115:116], v[115:116], v[129:130]
	v_add_f64 v[117:118], v[117:118], v[119:120]
	s_waitcnt vmcnt(25) lgkmcnt(1)
	v_mul_f64 v[129:130], v[7:8], v[131:132]
	s_waitcnt vmcnt(24)
	v_fma_f64 v[127:128], v[111:112], v[158:159], -v[127:128]
	v_mul_f64 v[119:120], v[5:6], v[131:132]
	v_fma_f64 v[123:124], v[113:114], v[158:159], v[123:124]
	ds_read_b128 v[111:114], v153 offset:1568
	v_add_f64 v[115:116], v[115:116], v[125:126]
	v_add_f64 v[117:118], v[117:118], v[121:122]
	s_waitcnt vmcnt(23) lgkmcnt(1)
	v_mul_f64 v[125:126], v[3:4], v[162:163]
	v_mul_f64 v[121:122], v[1:2], v[162:163]
	s_waitcnt vmcnt(21)
	v_fma_f64 v[129:130], v[5:6], v[133:134], -v[129:130]
	v_fma_f64 v[119:120], v[7:8], v[133:134], v[119:120]
	ds_read_b128 v[5:8], v153 offset:1584
	v_add_f64 v[115:116], v[115:116], v[127:128]
	v_add_f64 v[117:118], v[117:118], v[123:124]
	s_waitcnt vmcnt(17) lgkmcnt(1)
	v_mul_f64 v[127:128], v[113:114], v[137:138]
	s_waitcnt vmcnt(16)
	v_fma_f64 v[125:126], v[1:2], v[166:167], -v[125:126]
	v_mul_f64 v[123:124], v[111:112], v[137:138]
	v_fma_f64 v[121:122], v[3:4], v[166:167], v[121:122]
	ds_read_b128 v[1:4], v153 offset:1600
	v_add_f64 v[115:116], v[115:116], v[129:130]
	v_add_f64 v[117:118], v[117:118], v[119:120]
	s_waitcnt vmcnt(15) lgkmcnt(1)
	v_mul_f64 v[129:130], v[7:8], v[172:173]
	v_mul_f64 v[119:120], v[5:6], v[172:173]
	s_waitcnt vmcnt(13)
	v_fma_f64 v[127:128], v[111:112], v[154:155], -v[127:128]
	v_fma_f64 v[123:124], v[113:114], v[154:155], v[123:124]
	ds_read_b128 v[111:114], v153 offset:1616
	v_add_f64 v[115:116], v[115:116], v[125:126]
	v_add_f64 v[117:118], v[117:118], v[121:122]
	s_waitcnt vmcnt(9) lgkmcnt(1)
	v_mul_f64 v[125:126], v[3:4], v[160:161]
	s_waitcnt vmcnt(8)
	v_fma_f64 v[5:6], v[5:6], v[176:177], -v[129:130]
	v_mul_f64 v[121:122], v[1:2], v[160:161]
	v_fma_f64 v[7:8], v[7:8], v[176:177], v[119:120]
	v_add_f64 v[115:116], v[115:116], v[127:128]
	v_add_f64 v[117:118], v[117:118], v[123:124]
	s_waitcnt vmcnt(7) lgkmcnt(0)
	v_mul_f64 v[123:124], v[113:114], v[182:183]
	v_mul_f64 v[119:120], v[111:112], v[182:183]
	s_waitcnt vmcnt(5)
	v_fma_f64 v[1:2], v[1:2], v[164:165], -v[125:126]
	v_fma_f64 v[3:4], v[3:4], v[164:165], v[121:122]
	v_add_f64 v[5:6], v[115:116], v[5:6]
	v_add_f64 v[7:8], v[117:118], v[7:8]
	s_waitcnt vmcnt(4)
	v_fma_f64 v[111:112], v[111:112], v[186:187], -v[123:124]
	v_add_f64 v[1:2], v[5:6], v[1:2]
	v_fma_f64 v[5:6], v[113:114], v[186:187], v[119:120]
	v_add_f64 v[3:4], v[7:8], v[3:4]
	v_add_f64 v[1:2], v[1:2], v[111:112]
	;; [unrolled: 1-line block ×3, first 2 shown]
	s_waitcnt vmcnt(2)
	v_add_f64 v[1:2], v[168:169], -v[1:2]
	s_waitcnt vmcnt(0)
	v_add_f64 v[3:4], v[174:175], -v[3:4]
	buffer_store_dword v2, off, s[0:3], 0 offset:292
	buffer_store_dword v1, off, s[0:3], 0 offset:288
	buffer_store_dword v4, off, s[0:3], 0 offset:300
	buffer_store_dword v3, off, s[0:3], 0 offset:296
	v_cmpx_lt_u32_e32 16, v0
	s_cbranch_execz .LBB114_287
; %bb.286:
	v_mov_b32_e32 v4, s47
	s_clause 0x3
	buffer_load_dword v1, v4, s[0:3], 0 offen
	buffer_load_dword v2, v4, s[0:3], 0 offen offset:4
	buffer_load_dword v3, v4, s[0:3], 0 offen offset:8
	;; [unrolled: 1-line block ×3, first 2 shown]
	buffer_store_dword v153, off, s[0:3], 0 offset:272
	buffer_store_dword v153, off, s[0:3], 0 offset:276
	;; [unrolled: 1-line block ×4, first 2 shown]
	s_waitcnt vmcnt(0)
	ds_write_b128 v171, v[1:4]
.LBB114_287:
	s_or_b32 exec_lo, exec_lo, s4
	s_waitcnt lgkmcnt(0)
	s_waitcnt_vscnt null, 0x0
	s_barrier
	buffer_gl0_inv
	s_clause 0x37
	buffer_load_dword v111, off, s[0:3], 0 offset:296
	buffer_load_dword v112, off, s[0:3], 0 offset:300
	;; [unrolled: 1-line block ×56, first 2 shown]
	ds_read_b128 v[154:157], v153 offset:1088
	s_clause 0x2
	buffer_load_dword v175, off, s[0:3], 0 offset:524
	buffer_load_dword v177, off, s[0:3], 0 offset:500
	;; [unrolled: 1-line block ×3, first 2 shown]
	ds_read_b128 v[158:161], v153 offset:1104
	s_clause 0x4
	buffer_load_dword v181, off, s[0:3], 0 offset:540
	buffer_load_dword v182, off, s[0:3], 0 offset:552
	buffer_load_dword v184, off, s[0:3], 0 offset:544
	buffer_load_dword v180, off, s[0:3], 0 offset:536
	buffer_load_dword v152, off, s[0:3], 0 offset:516
	ds_read_b128 v[162:165], v153 offset:1120
	s_clause 0x2
	buffer_load_dword v183, off, s[0:3], 0 offset:556
	buffer_load_dword v188, off, s[0:3], 0 offset:532
	;; [unrolled: 1-line block ×3, first 2 shown]
	s_mov_b32 s4, exec_lo
	s_waitcnt vmcnt(62) lgkmcnt(2)
	v_mul_f64 v[178:179], v[156:157], v[111:112]
	v_mul_f64 v[111:112], v[154:155], v[111:112]
	s_waitcnt lgkmcnt(1)
	v_mul_f64 v[185:186], v[160:161], v[5:6]
	s_waitcnt vmcnt(59) lgkmcnt(0)
	v_mul_f64 v[189:190], v[164:165], v[3:4]
	v_fma_f64 v[154:155], v[154:155], v[7:8], -v[178:179]
	v_mul_f64 v[178:179], v[158:159], v[5:6]
	v_fma_f64 v[111:112], v[156:157], v[7:8], v[111:112]
	s_waitcnt vmcnt(57)
	v_fma_f64 v[158:159], v[158:159], v[1:2], -v[185:186]
	ds_read_b128 v[5:8], v153 offset:1136
	v_mul_f64 v[156:157], v[162:163], v[3:4]
	s_waitcnt vmcnt(51)
	v_fma_f64 v[162:163], v[162:163], v[127:128], -v[189:190]
	v_add_f64 v[154:155], v[154:155], 0
	v_fma_f64 v[160:161], v[160:161], v[1:2], v[178:179]
	v_add_f64 v[111:112], v[111:112], 0
	s_clause 0x4
	buffer_load_dword v179, off, s[0:3], 0 offset:572
	buffer_load_dword v191, off, s[0:3], 0 offset:584
	;; [unrolled: 1-line block ×5, first 2 shown]
	s_waitcnt lgkmcnt(0)
	v_mul_f64 v[194:195], v[5:6], v[115:116]
	v_mul_f64 v[115:116], v[7:8], v[115:116]
	ds_read_b128 v[1:4], v153 offset:1152
	v_fma_f64 v[127:128], v[164:165], v[127:128], v[156:157]
	v_add_f64 v[158:159], v[154:155], v[158:159]
	v_add_f64 v[111:112], v[111:112], v[160:161]
	s_clause 0x2
	buffer_load_dword v192, off, s[0:3], 0 offset:588
	buffer_load_dword v161, off, s[0:3], 0 offset:564
	;; [unrolled: 1-line block ×3, first 2 shown]
	s_waitcnt vmcnt(58) lgkmcnt(0)
	v_mul_f64 v[164:165], v[1:2], v[119:120]
	v_mul_f64 v[119:120], v[3:4], v[119:120]
	s_waitcnt vmcnt(56)
	v_fma_f64 v[115:116], v[5:6], v[121:122], -v[115:116]
	ds_read_b128 v[154:157], v153 offset:1168
	v_fma_f64 v[121:122], v[7:8], v[121:122], v[194:195]
	v_add_f64 v[158:159], v[158:159], v[162:163]
	v_add_f64 v[111:112], v[111:112], v[127:128]
	s_clause 0x4
	buffer_load_dword v128, off, s[0:3], 0 offset:604
	buffer_load_dword v162, off, s[0:3], 0 offset:616
	;; [unrolled: 1-line block ×5, first 2 shown]
	ds_read_b128 v[5:8], v153 offset:1184
	s_waitcnt vmcnt(57) lgkmcnt(1)
	v_mul_f64 v[195:196], v[154:155], v[123:124]
	v_mul_f64 v[123:124], v[156:157], v[123:124]
	s_waitcnt vmcnt(56)
	v_fma_f64 v[119:120], v[1:2], v[113:114], -v[119:120]
	v_fma_f64 v[113:114], v[3:4], v[113:114], v[164:165]
	v_add_f64 v[115:116], v[158:159], v[115:116]
	v_add_f64 v[111:112], v[111:112], v[121:122]
	s_clause 0x2
	buffer_load_dword v163, off, s[0:3], 0 offset:620
	buffer_load_dword v122, off, s[0:3], 0 offset:596
	;; [unrolled: 1-line block ×3, first 2 shown]
	s_waitcnt vmcnt(58) lgkmcnt(0)
	v_mul_f64 v[158:159], v[5:6], v[129:130]
	v_mul_f64 v[129:130], v[7:8], v[129:130]
	s_waitcnt vmcnt(56)
	v_fma_f64 v[123:124], v[154:155], v[131:132], -v[123:124]
	ds_read_b128 v[1:4], v153 offset:1200
	v_add_f64 v[115:116], v[115:116], v[119:120]
	v_fma_f64 v[119:120], v[156:157], v[131:132], v[195:196]
	v_add_f64 v[131:132], v[111:112], v[113:114]
	s_clause 0x4
	buffer_load_dword v155, off, s[0:3], 0 offset:636
	buffer_load_dword v156, off, s[0:3], 0 offset:648
	;; [unrolled: 1-line block ×5, first 2 shown]
	ds_read_b128 v[111:114], v153 offset:1216
	s_waitcnt vmcnt(57) lgkmcnt(1)
	v_mul_f64 v[195:196], v[1:2], v[133:134]
	v_mul_f64 v[133:134], v[3:4], v[133:134]
	s_waitcnt vmcnt(56)
	v_fma_f64 v[129:130], v[5:6], v[117:118], -v[129:130]
	v_fma_f64 v[117:118], v[7:8], v[117:118], v[158:159]
	v_add_f64 v[115:116], v[115:116], v[123:124]
	s_clause 0x2
	buffer_load_dword v157, off, s[0:3], 0 offset:652
	buffer_load_dword v124, off, s[0:3], 0 offset:628
	;; [unrolled: 1-line block ×3, first 2 shown]
	v_add_f64 v[119:120], v[131:132], v[119:120]
	s_waitcnt vmcnt(58) lgkmcnt(0)
	v_mul_f64 v[131:132], v[111:112], v[137:138]
	v_mul_f64 v[137:138], v[113:114], v[137:138]
	ds_read_b128 v[5:8], v153 offset:1232
	s_waitcnt vmcnt(56)
	v_fma_f64 v[133:134], v[1:2], v[139:140], -v[133:134]
	v_add_f64 v[115:116], v[115:116], v[129:130]
	v_fma_f64 v[129:130], v[3:4], v[139:140], v[195:196]
	v_add_f64 v[117:118], v[119:120], v[117:118]
	s_clause 0x4
	buffer_load_dword v120, off, s[0:3], 0 offset:668
	buffer_load_dword v139, off, s[0:3], 0 offset:680
	;; [unrolled: 1-line block ×5, first 2 shown]
	s_waitcnt vmcnt(57) lgkmcnt(0)
	v_mul_f64 v[195:196], v[5:6], v[141:142]
	v_mul_f64 v[141:142], v[7:8], v[141:142]
	s_waitcnt vmcnt(56)
	v_fma_f64 v[137:138], v[111:112], v[125:126], -v[137:138]
	ds_read_b128 v[1:4], v153 offset:1248
	v_fma_f64 v[125:126], v[113:114], v[125:126], v[131:132]
	v_add_f64 v[115:116], v[115:116], v[133:134]
	v_add_f64 v[117:118], v[117:118], v[129:130]
	s_clause 0x2
	buffer_load_dword v140, off, s[0:3], 0 offset:684
	buffer_load_dword v130, off, s[0:3], 0 offset:660
	buffer_load_dword v129, off, s[0:3], 0 offset:656
	ds_read_b128 v[111:114], v153 offset:1264
	s_waitcnt vmcnt(58) lgkmcnt(1)
	v_mul_f64 v[133:134], v[3:4], v[145:146]
	s_waitcnt vmcnt(56)
	v_fma_f64 v[141:142], v[5:6], v[147:148], -v[141:142]
	v_mul_f64 v[131:132], v[1:2], v[145:146]
	v_add_f64 v[115:116], v[115:116], v[137:138]
	v_fma_f64 v[137:138], v[7:8], v[147:148], v[195:196]
	v_add_f64 v[117:118], v[117:118], v[125:126]
	s_clause 0x4
	buffer_load_dword v126, off, s[0:3], 0 offset:700
	buffer_load_dword v145, off, s[0:3], 0 offset:712
	;; [unrolled: 1-line block ×5, first 2 shown]
	s_waitcnt vmcnt(57) lgkmcnt(0)
	v_mul_f64 v[195:196], v[111:112], v[149:150]
	v_mul_f64 v[148:149], v[113:114], v[149:150]
	s_waitcnt vmcnt(56)
	v_fma_f64 v[133:134], v[1:2], v[135:136], -v[133:134]
	ds_read_b128 v[5:8], v153 offset:1280
	v_fma_f64 v[131:132], v[3:4], v[135:136], v[131:132]
	s_clause 0x2
	buffer_load_dword v146, off, s[0:3], 0 offset:716
	buffer_load_dword v136, off, s[0:3], 0 offset:692
	;; [unrolled: 1-line block ×3, first 2 shown]
	ds_read_b128 v[1:4], v153 offset:1296
	v_add_f64 v[115:116], v[115:116], v[141:142]
	v_add_f64 v[117:118], v[117:118], v[137:138]
	s_waitcnt vmcnt(58) lgkmcnt(1)
	v_mul_f64 v[141:142], v[7:8], v[166:167]
	s_waitcnt vmcnt(56)
	v_fma_f64 v[149:150], v[111:112], v[168:169], -v[148:149]
	v_mul_f64 v[137:138], v[5:6], v[166:167]
	v_add_f64 v[115:116], v[115:116], v[133:134]
	v_fma_f64 v[133:134], v[113:114], v[168:169], v[195:196]
	v_add_f64 v[117:118], v[117:118], v[131:132]
	s_clause 0x4
	buffer_load_dword v132, off, s[0:3], 0 offset:732
	buffer_load_dword v166, off, s[0:3], 0 offset:744
	;; [unrolled: 1-line block ×5, first 2 shown]
	s_waitcnt vmcnt(57) lgkmcnt(0)
	v_mul_f64 v[169:170], v[1:2], v[172:173]
	v_mul_f64 v[172:173], v[3:4], v[172:173]
	s_waitcnt vmcnt(56)
	v_fma_f64 v[141:142], v[5:6], v[143:144], -v[141:142]
	ds_read_b128 v[111:114], v153 offset:1312
	v_fma_f64 v[137:138], v[7:8], v[143:144], v[137:138]
	v_add_f64 v[115:116], v[115:116], v[149:150]
	v_add_f64 v[117:118], v[117:118], v[133:134]
	s_clause 0x2
	buffer_load_dword v167, off, s[0:3], 0 offset:748
	buffer_load_dword v134, off, s[0:3], 0 offset:724
	;; [unrolled: 1-line block ×3, first 2 shown]
	ds_read_b128 v[5:8], v153 offset:1328
	s_waitcnt vmcnt(58) lgkmcnt(1)
	v_mul_f64 v[149:150], v[113:114], v[174:175]
	s_waitcnt vmcnt(56)
	v_fma_f64 v[172:173], v[1:2], v[176:177], -v[172:173]
	v_mul_f64 v[143:144], v[111:112], v[174:175]
	v_add_f64 v[115:116], v[115:116], v[141:142]
	v_fma_f64 v[141:142], v[3:4], v[176:177], v[169:170]
	v_add_f64 v[117:118], v[117:118], v[137:138]
	s_clause 0x4
	buffer_load_dword v138, off, s[0:3], 0 offset:764
	buffer_load_dword v174, off, s[0:3], 0 offset:776
	;; [unrolled: 1-line block ×5, first 2 shown]
	s_waitcnt vmcnt(57) lgkmcnt(0)
	v_mul_f64 v[195:196], v[5:6], v[180:181]
	v_mul_f64 v[180:181], v[7:8], v[180:181]
	s_waitcnt vmcnt(56)
	v_fma_f64 v[149:150], v[111:112], v[151:152], -v[149:150]
	ds_read_b128 v[1:4], v153 offset:1344
	v_fma_f64 v[143:144], v[113:114], v[151:152], v[143:144]
	v_add_f64 v[115:116], v[115:116], v[172:173]
	v_add_f64 v[117:118], v[117:118], v[141:142]
	s_clause 0x2
	buffer_load_dword v175, off, s[0:3], 0 offset:780
	buffer_load_dword v142, off, s[0:3], 0 offset:756
	;; [unrolled: 1-line block ×3, first 2 shown]
	ds_read_b128 v[111:114], v153 offset:1360
	s_waitcnt vmcnt(58) lgkmcnt(1)
	v_mul_f64 v[172:173], v[3:4], v[182:183]
	s_waitcnt vmcnt(56)
	v_fma_f64 v[180:181], v[5:6], v[187:188], -v[180:181]
	v_mul_f64 v[151:152], v[1:2], v[182:183]
	v_add_f64 v[115:116], v[115:116], v[149:150]
	v_fma_f64 v[149:150], v[7:8], v[187:188], v[195:196]
	v_add_f64 v[117:118], v[117:118], v[143:144]
	s_clause 0x4
	buffer_load_dword v144, off, s[0:3], 0 offset:796
	buffer_load_dword v182, off, s[0:3], 0 offset:808
	;; [unrolled: 1-line block ×5, first 2 shown]
	ds_read_b128 v[5:8], v153 offset:1376
	s_waitcnt vmcnt(57) lgkmcnt(1)
	v_mul_f64 v[187:188], v[111:112], v[178:179]
	v_mul_f64 v[178:179], v[113:114], v[178:179]
	s_waitcnt vmcnt(56)
	v_fma_f64 v[172:173], v[1:2], v[184:185], -v[172:173]
	v_fma_f64 v[151:152], v[3:4], v[184:185], v[151:152]
	v_add_f64 v[115:116], v[115:116], v[180:181]
	v_add_f64 v[117:118], v[117:118], v[149:150]
	s_clause 0x2
	buffer_load_dword v183, off, s[0:3], 0 offset:812
	buffer_load_dword v150, off, s[0:3], 0 offset:788
	;; [unrolled: 1-line block ×3, first 2 shown]
	ds_read_b128 v[1:4], v153 offset:1392
	s_waitcnt vmcnt(58) lgkmcnt(1)
	v_mul_f64 v[184:185], v[7:8], v[191:192]
	v_mul_f64 v[180:181], v[5:6], v[191:192]
	s_waitcnt vmcnt(56)
	v_fma_f64 v[178:179], v[111:112], v[160:161], -v[178:179]
	v_fma_f64 v[160:161], v[113:114], v[160:161], v[187:188]
	v_add_f64 v[115:116], v[115:116], v[172:173]
	v_add_f64 v[117:118], v[117:118], v[151:152]
	s_clause 0x2
	buffer_load_dword v152, off, s[0:3], 0 offset:828
	buffer_load_dword v151, off, s[0:3], 0 offset:824
	;; [unrolled: 1-line block ×3, first 2 shown]
	ds_read_b128 v[111:114], v153 offset:1408
	s_waitcnt vmcnt(55) lgkmcnt(1)
	v_mul_f64 v[172:173], v[1:2], v[127:128]
	v_mul_f64 v[127:128], v[3:4], v[127:128]
	s_waitcnt vmcnt(54)
	v_fma_f64 v[184:185], v[5:6], v[193:194], -v[184:185]
	v_add_f64 v[115:116], v[115:116], v[178:179]
	v_fma_f64 v[178:179], v[7:8], v[193:194], v[180:181]
	v_add_f64 v[117:118], v[117:118], v[160:161]
	s_clause 0x1
	buffer_load_dword v161, off, s[0:3], 0 offset:820
	buffer_load_dword v160, off, s[0:3], 0 offset:816
	ds_read_b128 v[5:8], v153 offset:1424
	s_waitcnt vmcnt(55) lgkmcnt(1)
	v_mul_f64 v[180:181], v[111:112], v[162:163]
	v_mul_f64 v[162:163], v[113:114], v[162:163]
	s_waitcnt vmcnt(53)
	v_fma_f64 v[127:128], v[1:2], v[121:122], -v[127:128]
	v_fma_f64 v[121:122], v[3:4], v[121:122], v[172:173]
	ds_read_b128 v[1:4], v153 offset:1440
	v_add_f64 v[115:116], v[115:116], v[184:185]
	v_add_f64 v[117:118], v[117:118], v[178:179]
	s_waitcnt vmcnt(49) lgkmcnt(1)
	v_mul_f64 v[172:173], v[5:6], v[154:155]
	v_mul_f64 v[154:155], v[7:8], v[154:155]
	s_waitcnt vmcnt(48)
	v_fma_f64 v[162:163], v[111:112], v[189:190], -v[162:163]
	v_add_f64 v[115:116], v[115:116], v[127:128]
	v_fma_f64 v[127:128], v[113:114], v[189:190], v[180:181]
	v_add_f64 v[117:118], v[117:118], v[121:122]
	s_clause 0x3
	buffer_load_dword v121, off, s[0:3], 0 offset:272
	buffer_load_dword v122, off, s[0:3], 0 offset:276
	;; [unrolled: 1-line block ×4, first 2 shown]
	ds_read_b128 v[111:114], v153 offset:1456
	s_waitcnt vmcnt(51) lgkmcnt(1)
	v_mul_f64 v[180:181], v[1:2], v[156:157]
	v_mul_f64 v[156:157], v[3:4], v[156:157]
	s_waitcnt vmcnt(49)
	v_fma_f64 v[154:155], v[5:6], v[123:124], -v[154:155]
	v_fma_f64 v[123:124], v[7:8], v[123:124], v[172:173]
	ds_read_b128 v[5:8], v153 offset:1472
	v_add_f64 v[115:116], v[115:116], v[162:163]
	v_add_f64 v[117:118], v[117:118], v[127:128]
	s_waitcnt vmcnt(45) lgkmcnt(1)
	v_mul_f64 v[127:128], v[111:112], v[119:120]
	v_mul_f64 v[119:120], v[113:114], v[119:120]
	s_waitcnt vmcnt(44)
	v_fma_f64 v[156:157], v[1:2], v[164:165], -v[156:157]
	v_add_f64 v[115:116], v[115:116], v[154:155]
	v_fma_f64 v[154:155], v[3:4], v[164:165], v[180:181]
	v_add_f64 v[117:118], v[117:118], v[123:124]
	ds_read_b128 v[1:4], v153 offset:1488
	s_waitcnt vmcnt(43) lgkmcnt(1)
	v_mul_f64 v[123:124], v[5:6], v[139:140]
	v_mul_f64 v[139:140], v[7:8], v[139:140]
	s_waitcnt vmcnt(41)
	v_fma_f64 v[119:120], v[111:112], v[129:130], -v[119:120]
	v_fma_f64 v[127:128], v[113:114], v[129:130], v[127:128]
	ds_read_b128 v[111:114], v153 offset:1504
	v_add_f64 v[115:116], v[115:116], v[156:157]
	v_add_f64 v[117:118], v[117:118], v[154:155]
	s_waitcnt vmcnt(37) lgkmcnt(1)
	v_mul_f64 v[129:130], v[1:2], v[125:126]
	v_mul_f64 v[125:126], v[3:4], v[125:126]
	s_waitcnt vmcnt(36)
	v_fma_f64 v[139:140], v[5:6], v[158:159], -v[139:140]
	v_add_f64 v[115:116], v[115:116], v[119:120]
	v_fma_f64 v[119:120], v[7:8], v[158:159], v[123:124]
	v_add_f64 v[117:118], v[117:118], v[127:128]
	s_waitcnt vmcnt(35) lgkmcnt(0)
	v_mul_f64 v[127:128], v[113:114], v[145:146]
	ds_read_b128 v[5:8], v153 offset:1520
	v_mul_f64 v[123:124], v[111:112], v[145:146]
	s_waitcnt vmcnt(33)
	v_fma_f64 v[129:130], v[3:4], v[135:136], v[129:130]
	v_fma_f64 v[125:126], v[1:2], v[135:136], -v[125:126]
	ds_read_b128 v[1:4], v153 offset:1536
	v_add_f64 v[115:116], v[115:116], v[139:140]
	v_add_f64 v[117:118], v[117:118], v[119:120]
	s_waitcnt vmcnt(29) lgkmcnt(1)
	v_mul_f64 v[119:120], v[5:6], v[131:132]
	v_mul_f64 v[131:132], v[7:8], v[131:132]
	s_waitcnt vmcnt(28)
	v_fma_f64 v[127:128], v[111:112], v[147:148], -v[127:128]
	v_fma_f64 v[123:124], v[113:114], v[147:148], v[123:124]
	ds_read_b128 v[111:114], v153 offset:1552
	v_add_f64 v[115:116], v[115:116], v[125:126]
	v_add_f64 v[117:118], v[117:118], v[129:130]
	s_waitcnt vmcnt(27) lgkmcnt(1)
	v_mul_f64 v[129:130], v[3:4], v[166:167]
	v_mul_f64 v[125:126], v[1:2], v[166:167]
	s_waitcnt vmcnt(25)
	v_fma_f64 v[131:132], v[5:6], v[133:134], -v[131:132]
	v_fma_f64 v[119:120], v[7:8], v[133:134], v[119:120]
	ds_read_b128 v[5:8], v153 offset:1568
	v_add_f64 v[115:116], v[115:116], v[127:128]
	v_add_f64 v[117:118], v[117:118], v[123:124]
	s_waitcnt vmcnt(21) lgkmcnt(1)
	v_mul_f64 v[127:128], v[113:114], v[137:138]
	s_waitcnt vmcnt(20)
	v_fma_f64 v[129:130], v[1:2], v[168:169], -v[129:130]
	v_mul_f64 v[123:124], v[111:112], v[137:138]
	v_fma_f64 v[125:126], v[3:4], v[168:169], v[125:126]
	ds_read_b128 v[1:4], v153 offset:1584
	v_add_f64 v[115:116], v[115:116], v[131:132]
	v_add_f64 v[117:118], v[117:118], v[119:120]
	s_waitcnt vmcnt(19) lgkmcnt(1)
	v_mul_f64 v[131:132], v[7:8], v[174:175]
	v_mul_f64 v[119:120], v[5:6], v[174:175]
	s_waitcnt vmcnt(17)
	v_fma_f64 v[127:128], v[111:112], v[141:142], -v[127:128]
	v_fma_f64 v[123:124], v[113:114], v[141:142], v[123:124]
	ds_read_b128 v[111:114], v153 offset:1600
	v_add_f64 v[115:116], v[115:116], v[129:130]
	v_add_f64 v[117:118], v[117:118], v[125:126]
	s_waitcnt vmcnt(13) lgkmcnt(1)
	v_mul_f64 v[129:130], v[3:4], v[143:144]
	s_waitcnt vmcnt(12)
	v_fma_f64 v[131:132], v[5:6], v[176:177], -v[131:132]
	v_mul_f64 v[125:126], v[1:2], v[143:144]
	v_fma_f64 v[119:120], v[7:8], v[176:177], v[119:120]
	ds_read_b128 v[5:8], v153 offset:1616
	v_add_f64 v[115:116], v[115:116], v[127:128]
	v_add_f64 v[117:118], v[117:118], v[123:124]
	s_waitcnt vmcnt(11) lgkmcnt(1)
	v_mul_f64 v[127:128], v[113:114], v[182:183]
	v_mul_f64 v[123:124], v[111:112], v[182:183]
	s_waitcnt vmcnt(9)
	v_fma_f64 v[1:2], v[1:2], v[149:150], -v[129:130]
	v_fma_f64 v[3:4], v[3:4], v[149:150], v[125:126]
	v_add_f64 v[115:116], v[115:116], v[131:132]
	v_add_f64 v[117:118], v[117:118], v[119:120]
	s_waitcnt vmcnt(7) lgkmcnt(0)
	v_mul_f64 v[125:126], v[7:8], v[151:152]
	s_waitcnt vmcnt(6)
	v_fma_f64 v[111:112], v[111:112], v[186:187], -v[127:128]
	v_mul_f64 v[119:120], v[5:6], v[151:152]
	v_fma_f64 v[113:114], v[113:114], v[186:187], v[123:124]
	v_add_f64 v[1:2], v[115:116], v[1:2]
	v_add_f64 v[3:4], v[117:118], v[3:4]
	s_waitcnt vmcnt(4)
	v_fma_f64 v[5:6], v[5:6], v[160:161], -v[125:126]
	v_fma_f64 v[7:8], v[7:8], v[160:161], v[119:120]
	v_add_f64 v[1:2], v[1:2], v[111:112]
	v_add_f64 v[3:4], v[3:4], v[113:114]
	v_add_f64 v[1:2], v[1:2], v[5:6]
	v_add_f64 v[3:4], v[3:4], v[7:8]
	s_waitcnt vmcnt(2)
	v_add_f64 v[1:2], v[121:122], -v[1:2]
	s_waitcnt vmcnt(0)
	v_add_f64 v[3:4], v[178:179], -v[3:4]
	buffer_store_dword v2, off, s[0:3], 0 offset:276
	buffer_store_dword v1, off, s[0:3], 0 offset:272
	;; [unrolled: 1-line block ×4, first 2 shown]
	v_cmpx_lt_u32_e32 15, v0
	s_cbranch_execz .LBB114_289
; %bb.288:
	v_mov_b32_e32 v4, s48
	v_mov_b32_e32 v5, 0
	s_clause 0x3
	buffer_load_dword v1, v4, s[0:3], 0 offen
	buffer_load_dword v2, v4, s[0:3], 0 offen offset:4
	buffer_load_dword v3, v4, s[0:3], 0 offen offset:8
	buffer_load_dword v4, v4, s[0:3], 0 offen offset:12
	buffer_store_dword v5, off, s[0:3], 0 offset:256
	buffer_store_dword v5, off, s[0:3], 0 offset:260
	;; [unrolled: 1-line block ×4, first 2 shown]
	s_waitcnt vmcnt(0)
	ds_write_b128 v171, v[1:4]
.LBB114_289:
	s_or_b32 exec_lo, exec_lo, s4
	s_waitcnt lgkmcnt(0)
	s_waitcnt_vscnt null, 0x0
	s_barrier
	buffer_gl0_inv
	s_clause 0x37
	buffer_load_dword v111, off, s[0:3], 0 offset:280
	buffer_load_dword v112, off, s[0:3], 0 offset:284
	;; [unrolled: 1-line block ×56, first 2 shown]
	v_mov_b32_e32 v163, 0
	s_mov_b32 s4, exec_lo
	ds_read_b128 v[164:167], v163 offset:1072
	s_clause 0x2
	buffer_load_dword v160, off, s[0:3], 0 offset:508
	buffer_load_dword v162, off, s[0:3], 0 offset:484
	;; [unrolled: 1-line block ×3, first 2 shown]
	ds_read_b128 v[172:175], v163 offset:1088
	s_clause 0x4
	buffer_load_dword v181, off, s[0:3], 0 offset:524
	buffer_load_dword v182, off, s[0:3], 0 offset:536
	;; [unrolled: 1-line block ×5, first 2 shown]
	ds_read_b128 v[176:179], v163 offset:1104
	s_clause 0x2
	buffer_load_dword v183, off, s[0:3], 0 offset:540
	buffer_load_dword v188, off, s[0:3], 0 offset:516
	;; [unrolled: 1-line block ×3, first 2 shown]
	s_waitcnt vmcnt(62) lgkmcnt(2)
	v_mul_f64 v[168:169], v[166:167], v[111:112]
	v_mul_f64 v[111:112], v[164:165], v[111:112]
	s_waitcnt lgkmcnt(1)
	v_mul_f64 v[185:186], v[174:175], v[5:6]
	s_waitcnt vmcnt(59) lgkmcnt(0)
	v_mul_f64 v[189:190], v[178:179], v[3:4]
	v_fma_f64 v[164:165], v[164:165], v[7:8], -v[168:169]
	v_mul_f64 v[168:169], v[172:173], v[5:6]
	v_fma_f64 v[111:112], v[166:167], v[7:8], v[111:112]
	s_waitcnt vmcnt(57)
	v_fma_f64 v[172:173], v[172:173], v[1:2], -v[185:186]
	ds_read_b128 v[5:8], v163 offset:1120
	v_mul_f64 v[166:167], v[176:177], v[3:4]
	s_waitcnt vmcnt(51)
	v_fma_f64 v[176:177], v[176:177], v[127:128], -v[189:190]
	v_add_f64 v[164:165], v[164:165], 0
	v_fma_f64 v[168:169], v[174:175], v[1:2], v[168:169]
	v_add_f64 v[111:112], v[111:112], 0
	s_clause 0x4
	buffer_load_dword v175, off, s[0:3], 0 offset:556
	buffer_load_dword v191, off, s[0:3], 0 offset:568
	;; [unrolled: 1-line block ×5, first 2 shown]
	s_waitcnt lgkmcnt(0)
	v_mul_f64 v[194:195], v[5:6], v[115:116]
	v_mul_f64 v[115:116], v[7:8], v[115:116]
	ds_read_b128 v[1:4], v163 offset:1136
	v_fma_f64 v[127:128], v[178:179], v[127:128], v[166:167]
	v_add_f64 v[172:173], v[164:165], v[172:173]
	v_add_f64 v[111:112], v[111:112], v[168:169]
	s_clause 0x2
	buffer_load_dword v192, off, s[0:3], 0 offset:572
	buffer_load_dword v169, off, s[0:3], 0 offset:548
	;; [unrolled: 1-line block ×3, first 2 shown]
	s_waitcnt vmcnt(58) lgkmcnt(0)
	v_mul_f64 v[178:179], v[1:2], v[119:120]
	v_mul_f64 v[119:120], v[3:4], v[119:120]
	s_waitcnt vmcnt(56)
	v_fma_f64 v[115:116], v[5:6], v[121:122], -v[115:116]
	ds_read_b128 v[164:167], v163 offset:1152
	v_fma_f64 v[121:122], v[7:8], v[121:122], v[194:195]
	v_add_f64 v[172:173], v[172:173], v[176:177]
	v_add_f64 v[111:112], v[111:112], v[127:128]
	s_clause 0x4
	buffer_load_dword v128, off, s[0:3], 0 offset:588
	buffer_load_dword v176, off, s[0:3], 0 offset:600
	;; [unrolled: 1-line block ×5, first 2 shown]
	ds_read_b128 v[5:8], v163 offset:1168
	s_waitcnt vmcnt(57) lgkmcnt(1)
	v_mul_f64 v[195:196], v[164:165], v[123:124]
	v_mul_f64 v[123:124], v[166:167], v[123:124]
	s_waitcnt vmcnt(56)
	v_fma_f64 v[119:120], v[1:2], v[113:114], -v[119:120]
	v_fma_f64 v[113:114], v[3:4], v[113:114], v[178:179]
	v_add_f64 v[115:116], v[172:173], v[115:116]
	v_add_f64 v[111:112], v[111:112], v[121:122]
	s_clause 0x2
	buffer_load_dword v177, off, s[0:3], 0 offset:604
	buffer_load_dword v122, off, s[0:3], 0 offset:580
	;; [unrolled: 1-line block ×3, first 2 shown]
	s_waitcnt vmcnt(58) lgkmcnt(0)
	v_mul_f64 v[172:173], v[5:6], v[129:130]
	v_mul_f64 v[129:130], v[7:8], v[129:130]
	s_waitcnt vmcnt(56)
	v_fma_f64 v[123:124], v[164:165], v[131:132], -v[123:124]
	ds_read_b128 v[1:4], v163 offset:1184
	v_add_f64 v[115:116], v[115:116], v[119:120]
	v_fma_f64 v[119:120], v[166:167], v[131:132], v[195:196]
	v_add_f64 v[131:132], v[111:112], v[113:114]
	s_clause 0x4
	buffer_load_dword v165, off, s[0:3], 0 offset:620
	buffer_load_dword v166, off, s[0:3], 0 offset:632
	;; [unrolled: 1-line block ×5, first 2 shown]
	ds_read_b128 v[111:114], v163 offset:1200
	s_waitcnt vmcnt(57) lgkmcnt(1)
	v_mul_f64 v[195:196], v[1:2], v[133:134]
	v_mul_f64 v[133:134], v[3:4], v[133:134]
	s_waitcnt vmcnt(56)
	v_fma_f64 v[129:130], v[5:6], v[117:118], -v[129:130]
	v_fma_f64 v[117:118], v[7:8], v[117:118], v[172:173]
	v_add_f64 v[115:116], v[115:116], v[123:124]
	s_clause 0x2
	buffer_load_dword v167, off, s[0:3], 0 offset:636
	buffer_load_dword v124, off, s[0:3], 0 offset:612
	;; [unrolled: 1-line block ×3, first 2 shown]
	v_add_f64 v[119:120], v[131:132], v[119:120]
	s_waitcnt vmcnt(58) lgkmcnt(0)
	v_mul_f64 v[131:132], v[111:112], v[137:138]
	v_mul_f64 v[137:138], v[113:114], v[137:138]
	ds_read_b128 v[5:8], v163 offset:1216
	s_waitcnt vmcnt(56)
	v_fma_f64 v[133:134], v[1:2], v[139:140], -v[133:134]
	v_add_f64 v[115:116], v[115:116], v[129:130]
	v_fma_f64 v[129:130], v[3:4], v[139:140], v[195:196]
	v_add_f64 v[117:118], v[119:120], v[117:118]
	s_clause 0x4
	buffer_load_dword v120, off, s[0:3], 0 offset:652
	buffer_load_dword v139, off, s[0:3], 0 offset:664
	;; [unrolled: 1-line block ×5, first 2 shown]
	s_waitcnt vmcnt(57) lgkmcnt(0)
	v_mul_f64 v[195:196], v[5:6], v[141:142]
	v_mul_f64 v[141:142], v[7:8], v[141:142]
	s_waitcnt vmcnt(56)
	v_fma_f64 v[137:138], v[111:112], v[125:126], -v[137:138]
	ds_read_b128 v[1:4], v163 offset:1232
	v_fma_f64 v[125:126], v[113:114], v[125:126], v[131:132]
	v_add_f64 v[115:116], v[115:116], v[133:134]
	v_add_f64 v[117:118], v[117:118], v[129:130]
	s_clause 0x2
	buffer_load_dword v140, off, s[0:3], 0 offset:668
	buffer_load_dword v130, off, s[0:3], 0 offset:644
	;; [unrolled: 1-line block ×3, first 2 shown]
	ds_read_b128 v[111:114], v163 offset:1248
	s_waitcnt vmcnt(58) lgkmcnt(1)
	v_mul_f64 v[133:134], v[3:4], v[145:146]
	s_waitcnt vmcnt(56)
	v_fma_f64 v[141:142], v[5:6], v[147:148], -v[141:142]
	v_mul_f64 v[131:132], v[1:2], v[145:146]
	v_add_f64 v[115:116], v[115:116], v[137:138]
	v_fma_f64 v[137:138], v[7:8], v[147:148], v[195:196]
	v_add_f64 v[117:118], v[117:118], v[125:126]
	s_clause 0x4
	buffer_load_dword v126, off, s[0:3], 0 offset:684
	buffer_load_dword v145, off, s[0:3], 0 offset:696
	;; [unrolled: 1-line block ×5, first 2 shown]
	s_waitcnt vmcnt(57) lgkmcnt(0)
	v_mul_f64 v[195:196], v[111:112], v[149:150]
	v_mul_f64 v[148:149], v[113:114], v[149:150]
	s_waitcnt vmcnt(56)
	v_fma_f64 v[133:134], v[1:2], v[135:136], -v[133:134]
	ds_read_b128 v[5:8], v163 offset:1264
	v_fma_f64 v[131:132], v[3:4], v[135:136], v[131:132]
	s_clause 0x2
	buffer_load_dword v146, off, s[0:3], 0 offset:700
	buffer_load_dword v136, off, s[0:3], 0 offset:676
	;; [unrolled: 1-line block ×3, first 2 shown]
	ds_read_b128 v[1:4], v163 offset:1280
	v_add_f64 v[115:116], v[115:116], v[141:142]
	v_add_f64 v[117:118], v[117:118], v[137:138]
	s_waitcnt vmcnt(58) lgkmcnt(1)
	v_mul_f64 v[141:142], v[7:8], v[153:154]
	s_waitcnt vmcnt(56)
	v_fma_f64 v[149:150], v[111:112], v[155:156], -v[148:149]
	v_mul_f64 v[137:138], v[5:6], v[153:154]
	v_add_f64 v[115:116], v[115:116], v[133:134]
	v_fma_f64 v[133:134], v[113:114], v[155:156], v[195:196]
	v_add_f64 v[117:118], v[117:118], v[131:132]
	s_clause 0x4
	buffer_load_dword v132, off, s[0:3], 0 offset:716
	buffer_load_dword v153, off, s[0:3], 0 offset:728
	;; [unrolled: 1-line block ×5, first 2 shown]
	s_waitcnt vmcnt(57) lgkmcnt(0)
	v_mul_f64 v[195:196], v[1:2], v[157:158]
	v_mul_f64 v[156:157], v[3:4], v[157:158]
	s_waitcnt vmcnt(56)
	v_fma_f64 v[141:142], v[5:6], v[143:144], -v[141:142]
	ds_read_b128 v[111:114], v163 offset:1296
	v_fma_f64 v[137:138], v[7:8], v[143:144], v[137:138]
	v_add_f64 v[115:116], v[115:116], v[149:150]
	v_add_f64 v[117:118], v[117:118], v[133:134]
	s_clause 0x2
	buffer_load_dword v154, off, s[0:3], 0 offset:732
	buffer_load_dword v134, off, s[0:3], 0 offset:708
	;; [unrolled: 1-line block ×3, first 2 shown]
	ds_read_b128 v[5:8], v163 offset:1312
	s_waitcnt vmcnt(58) lgkmcnt(1)
	v_mul_f64 v[149:150], v[113:114], v[159:160]
	s_waitcnt vmcnt(56)
	v_fma_f64 v[157:158], v[1:2], v[161:162], -v[156:157]
	v_mul_f64 v[143:144], v[111:112], v[159:160]
	v_add_f64 v[115:116], v[115:116], v[141:142]
	v_fma_f64 v[141:142], v[3:4], v[161:162], v[195:196]
	v_add_f64 v[117:118], v[117:118], v[137:138]
	s_clause 0x4
	buffer_load_dword v138, off, s[0:3], 0 offset:748
	buffer_load_dword v159, off, s[0:3], 0 offset:760
	;; [unrolled: 1-line block ×5, first 2 shown]
	s_waitcnt vmcnt(57) lgkmcnt(0)
	v_mul_f64 v[195:196], v[5:6], v[180:181]
	v_mul_f64 v[180:181], v[7:8], v[180:181]
	s_waitcnt vmcnt(56)
	v_fma_f64 v[149:150], v[111:112], v[151:152], -v[149:150]
	ds_read_b128 v[1:4], v163 offset:1328
	v_fma_f64 v[143:144], v[113:114], v[151:152], v[143:144]
	v_add_f64 v[115:116], v[115:116], v[157:158]
	v_add_f64 v[117:118], v[117:118], v[141:142]
	s_clause 0x2
	buffer_load_dword v160, off, s[0:3], 0 offset:764
	buffer_load_dword v142, off, s[0:3], 0 offset:740
	;; [unrolled: 1-line block ×3, first 2 shown]
	ds_read_b128 v[111:114], v163 offset:1344
	s_waitcnt vmcnt(58) lgkmcnt(1)
	v_mul_f64 v[157:158], v[3:4], v[182:183]
	s_waitcnt vmcnt(56)
	v_fma_f64 v[180:181], v[5:6], v[187:188], -v[180:181]
	v_mul_f64 v[151:152], v[1:2], v[182:183]
	v_add_f64 v[115:116], v[115:116], v[149:150]
	v_fma_f64 v[149:150], v[7:8], v[187:188], v[195:196]
	v_add_f64 v[117:118], v[117:118], v[143:144]
	s_clause 0x4
	buffer_load_dword v144, off, s[0:3], 0 offset:780
	buffer_load_dword v182, off, s[0:3], 0 offset:792
	;; [unrolled: 1-line block ×5, first 2 shown]
	ds_read_b128 v[5:8], v163 offset:1360
	s_waitcnt vmcnt(57) lgkmcnt(1)
	v_mul_f64 v[187:188], v[111:112], v[174:175]
	v_mul_f64 v[174:175], v[113:114], v[174:175]
	s_waitcnt vmcnt(56)
	v_fma_f64 v[157:158], v[1:2], v[184:185], -v[157:158]
	v_fma_f64 v[151:152], v[3:4], v[184:185], v[151:152]
	v_add_f64 v[115:116], v[115:116], v[180:181]
	v_add_f64 v[117:118], v[117:118], v[149:150]
	s_clause 0x2
	buffer_load_dword v183, off, s[0:3], 0 offset:796
	buffer_load_dword v150, off, s[0:3], 0 offset:772
	;; [unrolled: 1-line block ×3, first 2 shown]
	ds_read_b128 v[1:4], v163 offset:1376
	s_waitcnt vmcnt(58) lgkmcnt(1)
	v_mul_f64 v[184:185], v[7:8], v[191:192]
	v_mul_f64 v[180:181], v[5:6], v[191:192]
	s_waitcnt vmcnt(56)
	v_fma_f64 v[174:175], v[111:112], v[168:169], -v[174:175]
	v_add_f64 v[115:116], v[115:116], v[157:158]
	v_fma_f64 v[157:158], v[113:114], v[168:169], v[187:188]
	v_add_f64 v[117:118], v[117:118], v[151:152]
	s_clause 0x4
	buffer_load_dword v152, off, s[0:3], 0 offset:812
	buffer_load_dword v168, off, s[0:3], 0 offset:824
	;; [unrolled: 1-line block ×5, first 2 shown]
	ds_read_b128 v[111:114], v163 offset:1392
	s_waitcnt vmcnt(57) lgkmcnt(1)
	v_mul_f64 v[195:196], v[1:2], v[127:128]
	v_mul_f64 v[127:128], v[3:4], v[127:128]
	s_waitcnt vmcnt(56)
	v_fma_f64 v[184:185], v[5:6], v[193:194], -v[184:185]
	v_add_f64 v[115:116], v[115:116], v[174:175]
	v_fma_f64 v[174:175], v[7:8], v[193:194], v[180:181]
	v_add_f64 v[117:118], v[117:118], v[157:158]
	s_clause 0x2
	buffer_load_dword v169, off, s[0:3], 0 offset:828
	buffer_load_dword v158, off, s[0:3], 0 offset:804
	;; [unrolled: 1-line block ×3, first 2 shown]
	ds_read_b128 v[5:8], v163 offset:1408
	buffer_load_dword v192, off, s[0:3], 0 offset:820
	s_waitcnt vmcnt(59) lgkmcnt(1)
	v_mul_f64 v[180:181], v[111:112], v[176:177]
	v_mul_f64 v[176:177], v[113:114], v[176:177]
	s_waitcnt vmcnt(57)
	v_fma_f64 v[127:128], v[1:2], v[121:122], -v[127:128]
	v_fma_f64 v[121:122], v[3:4], v[121:122], v[195:196]
	ds_read_b128 v[1:4], v163 offset:1424
	v_add_f64 v[115:116], v[115:116], v[184:185]
	v_add_f64 v[117:118], v[117:118], v[174:175]
	s_waitcnt vmcnt(53) lgkmcnt(1)
	v_mul_f64 v[174:175], v[5:6], v[164:165]
	v_mul_f64 v[164:165], v[7:8], v[164:165]
	s_waitcnt vmcnt(52)
	v_fma_f64 v[176:177], v[111:112], v[189:190], -v[176:177]
	v_add_f64 v[115:116], v[115:116], v[127:128]
	v_fma_f64 v[127:128], v[113:114], v[189:190], v[180:181]
	v_add_f64 v[117:118], v[117:118], v[121:122]
	ds_read_b128 v[111:114], v163 offset:1440
	s_waitcnt vmcnt(51) lgkmcnt(1)
	v_mul_f64 v[121:122], v[1:2], v[166:167]
	v_mul_f64 v[166:167], v[3:4], v[166:167]
	s_waitcnt vmcnt(49)
	v_fma_f64 v[164:165], v[5:6], v[123:124], -v[164:165]
	v_fma_f64 v[123:124], v[7:8], v[123:124], v[174:175]
	v_add_f64 v[115:116], v[115:116], v[176:177]
	v_add_f64 v[117:118], v[117:118], v[127:128]
	s_clause 0x3
	buffer_load_dword v127, off, s[0:3], 0 offset:256
	buffer_load_dword v128, off, s[0:3], 0 offset:260
	buffer_load_dword v174, off, s[0:3], 0 offset:264
	buffer_load_dword v175, off, s[0:3], 0 offset:268
	ds_read_b128 v[5:8], v163 offset:1456
	s_waitcnt vmcnt(49) lgkmcnt(1)
	v_mul_f64 v[176:177], v[111:112], v[119:120]
	v_mul_f64 v[119:120], v[113:114], v[119:120]
	s_waitcnt vmcnt(48)
	v_fma_f64 v[166:167], v[1:2], v[178:179], -v[166:167]
	v_fma_f64 v[121:122], v[3:4], v[178:179], v[121:122]
	ds_read_b128 v[1:4], v163 offset:1472
	v_add_f64 v[115:116], v[115:116], v[164:165]
	v_add_f64 v[117:118], v[117:118], v[123:124]
	s_waitcnt vmcnt(47) lgkmcnt(1)
	v_mul_f64 v[123:124], v[5:6], v[139:140]
	v_mul_f64 v[139:140], v[7:8], v[139:140]
	s_waitcnt vmcnt(45)
	v_fma_f64 v[119:120], v[111:112], v[129:130], -v[119:120]
	v_fma_f64 v[129:130], v[113:114], v[129:130], v[176:177]
	ds_read_b128 v[111:114], v163 offset:1488
	v_add_f64 v[115:116], v[115:116], v[166:167]
	v_add_f64 v[117:118], v[117:118], v[121:122]
	s_waitcnt vmcnt(41) lgkmcnt(1)
	v_mul_f64 v[121:122], v[1:2], v[125:126]
	v_mul_f64 v[125:126], v[3:4], v[125:126]
	s_waitcnt vmcnt(40)
	v_fma_f64 v[139:140], v[5:6], v[172:173], -v[139:140]
	v_add_f64 v[115:116], v[115:116], v[119:120]
	v_fma_f64 v[119:120], v[7:8], v[172:173], v[123:124]
	v_add_f64 v[117:118], v[117:118], v[129:130]
	ds_read_b128 v[5:8], v163 offset:1504
	s_waitcnt vmcnt(39) lgkmcnt(1)
	v_mul_f64 v[129:130], v[113:114], v[145:146]
	v_mul_f64 v[123:124], v[111:112], v[145:146]
	s_waitcnt vmcnt(37)
	v_fma_f64 v[121:122], v[3:4], v[135:136], v[121:122]
	v_fma_f64 v[125:126], v[1:2], v[135:136], -v[125:126]
	ds_read_b128 v[1:4], v163 offset:1520
	v_add_f64 v[115:116], v[115:116], v[139:140]
	v_add_f64 v[117:118], v[117:118], v[119:120]
	s_waitcnt vmcnt(33) lgkmcnt(1)
	v_mul_f64 v[119:120], v[5:6], v[131:132]
	v_mul_f64 v[131:132], v[7:8], v[131:132]
	s_waitcnt vmcnt(32)
	v_fma_f64 v[129:130], v[111:112], v[147:148], -v[129:130]
	v_fma_f64 v[123:124], v[113:114], v[147:148], v[123:124]
	ds_read_b128 v[111:114], v163 offset:1536
	v_add_f64 v[115:116], v[115:116], v[125:126]
	v_add_f64 v[117:118], v[117:118], v[121:122]
	s_waitcnt vmcnt(31) lgkmcnt(1)
	v_mul_f64 v[125:126], v[3:4], v[153:154]
	v_mul_f64 v[121:122], v[1:2], v[153:154]
	s_waitcnt vmcnt(29)
	v_fma_f64 v[131:132], v[5:6], v[133:134], -v[131:132]
	v_fma_f64 v[119:120], v[7:8], v[133:134], v[119:120]
	ds_read_b128 v[5:8], v163 offset:1552
	v_add_f64 v[115:116], v[115:116], v[129:130]
	v_add_f64 v[117:118], v[117:118], v[123:124]
	s_waitcnt vmcnt(25) lgkmcnt(1)
	v_mul_f64 v[129:130], v[113:114], v[137:138]
	s_waitcnt vmcnt(24)
	v_fma_f64 v[125:126], v[1:2], v[155:156], -v[125:126]
	v_mul_f64 v[123:124], v[111:112], v[137:138]
	v_fma_f64 v[121:122], v[3:4], v[155:156], v[121:122]
	ds_read_b128 v[1:4], v163 offset:1568
	v_add_f64 v[115:116], v[115:116], v[131:132]
	v_add_f64 v[117:118], v[117:118], v[119:120]
	s_waitcnt vmcnt(23) lgkmcnt(1)
	v_mul_f64 v[131:132], v[7:8], v[159:160]
	v_mul_f64 v[119:120], v[5:6], v[159:160]
	s_waitcnt vmcnt(21)
	v_fma_f64 v[129:130], v[111:112], v[141:142], -v[129:130]
	v_fma_f64 v[123:124], v[113:114], v[141:142], v[123:124]
	ds_read_b128 v[111:114], v163 offset:1584
	v_add_f64 v[115:116], v[115:116], v[125:126]
	v_add_f64 v[117:118], v[117:118], v[121:122]
	s_waitcnt vmcnt(17) lgkmcnt(1)
	v_mul_f64 v[125:126], v[3:4], v[143:144]
	s_waitcnt vmcnt(16)
	v_fma_f64 v[131:132], v[5:6], v[161:162], -v[131:132]
	v_mul_f64 v[121:122], v[1:2], v[143:144]
	;; [unrolled: 18-line block ×3, first 2 shown]
	v_fma_f64 v[113:114], v[113:114], v[186:187], v[123:124]
	v_add_f64 v[115:116], v[115:116], v[125:126]
	v_add_f64 v[117:118], v[117:118], v[121:122]
	s_waitcnt vmcnt(7) lgkmcnt(0)
	v_mul_f64 v[123:124], v[3:4], v[168:169]
	v_mul_f64 v[121:122], v[1:2], v[168:169]
	s_waitcnt vmcnt(5)
	v_fma_f64 v[5:6], v[5:6], v[157:158], -v[131:132]
	v_fma_f64 v[7:8], v[7:8], v[157:158], v[119:120]
	v_add_f64 v[111:112], v[115:116], v[111:112]
	v_add_f64 v[113:114], v[117:118], v[113:114]
	s_waitcnt vmcnt(4)
	v_fma_f64 v[1:2], v[1:2], v[191:192], -v[123:124]
	v_fma_f64 v[3:4], v[3:4], v[191:192], v[121:122]
	v_add_f64 v[5:6], v[111:112], v[5:6]
	v_add_f64 v[7:8], v[113:114], v[7:8]
	;; [unrolled: 1-line block ×4, first 2 shown]
	s_waitcnt vmcnt(2)
	v_add_f64 v[1:2], v[127:128], -v[1:2]
	s_waitcnt vmcnt(0)
	v_add_f64 v[3:4], v[174:175], -v[3:4]
	buffer_store_dword v2, off, s[0:3], 0 offset:260
	buffer_store_dword v1, off, s[0:3], 0 offset:256
	;; [unrolled: 1-line block ×4, first 2 shown]
	v_cmpx_lt_u32_e32 14, v0
	s_cbranch_execz .LBB114_291
; %bb.290:
	v_mov_b32_e32 v4, s49
	s_clause 0x3
	buffer_load_dword v1, v4, s[0:3], 0 offen
	buffer_load_dword v2, v4, s[0:3], 0 offen offset:4
	buffer_load_dword v3, v4, s[0:3], 0 offen offset:8
	;; [unrolled: 1-line block ×3, first 2 shown]
	buffer_store_dword v163, off, s[0:3], 0 offset:240
	buffer_store_dword v163, off, s[0:3], 0 offset:244
	;; [unrolled: 1-line block ×4, first 2 shown]
	s_waitcnt vmcnt(0)
	ds_write_b128 v171, v[1:4]
.LBB114_291:
	s_or_b32 exec_lo, exec_lo, s4
	s_waitcnt lgkmcnt(0)
	s_waitcnt_vscnt null, 0x0
	s_barrier
	buffer_gl0_inv
	s_clause 0x37
	buffer_load_dword v111, off, s[0:3], 0 offset:264
	buffer_load_dword v112, off, s[0:3], 0 offset:268
	;; [unrolled: 1-line block ×56, first 2 shown]
	ds_read_b128 v[164:167], v163 offset:1056
	s_clause 0x2
	buffer_load_dword v160, off, s[0:3], 0 offset:492
	buffer_load_dword v162, off, s[0:3], 0 offset:468
	;; [unrolled: 1-line block ×3, first 2 shown]
	ds_read_b128 v[172:175], v163 offset:1072
	s_clause 0x4
	buffer_load_dword v181, off, s[0:3], 0 offset:508
	buffer_load_dword v182, off, s[0:3], 0 offset:520
	;; [unrolled: 1-line block ×5, first 2 shown]
	ds_read_b128 v[176:179], v163 offset:1088
	s_clause 0x2
	buffer_load_dword v183, off, s[0:3], 0 offset:524
	buffer_load_dword v188, off, s[0:3], 0 offset:500
	;; [unrolled: 1-line block ×3, first 2 shown]
	s_mov_b32 s4, exec_lo
	s_waitcnt vmcnt(62) lgkmcnt(2)
	v_mul_f64 v[168:169], v[166:167], v[111:112]
	v_mul_f64 v[111:112], v[164:165], v[111:112]
	s_waitcnt lgkmcnt(1)
	v_mul_f64 v[185:186], v[174:175], v[5:6]
	s_waitcnt vmcnt(59) lgkmcnt(0)
	v_mul_f64 v[189:190], v[178:179], v[3:4]
	v_fma_f64 v[164:165], v[164:165], v[7:8], -v[168:169]
	v_mul_f64 v[168:169], v[172:173], v[5:6]
	v_fma_f64 v[111:112], v[166:167], v[7:8], v[111:112]
	s_waitcnt vmcnt(57)
	v_fma_f64 v[172:173], v[172:173], v[1:2], -v[185:186]
	ds_read_b128 v[5:8], v163 offset:1104
	v_mul_f64 v[166:167], v[176:177], v[3:4]
	s_waitcnt vmcnt(51)
	v_fma_f64 v[176:177], v[176:177], v[127:128], -v[189:190]
	v_add_f64 v[164:165], v[164:165], 0
	v_fma_f64 v[168:169], v[174:175], v[1:2], v[168:169]
	v_add_f64 v[111:112], v[111:112], 0
	s_clause 0x4
	buffer_load_dword v175, off, s[0:3], 0 offset:540
	buffer_load_dword v191, off, s[0:3], 0 offset:552
	;; [unrolled: 1-line block ×5, first 2 shown]
	s_waitcnt lgkmcnt(0)
	v_mul_f64 v[194:195], v[5:6], v[115:116]
	v_mul_f64 v[115:116], v[7:8], v[115:116]
	ds_read_b128 v[1:4], v163 offset:1120
	v_fma_f64 v[127:128], v[178:179], v[127:128], v[166:167]
	v_add_f64 v[172:173], v[164:165], v[172:173]
	v_add_f64 v[111:112], v[111:112], v[168:169]
	s_clause 0x2
	buffer_load_dword v192, off, s[0:3], 0 offset:556
	buffer_load_dword v169, off, s[0:3], 0 offset:532
	;; [unrolled: 1-line block ×3, first 2 shown]
	s_waitcnt vmcnt(58) lgkmcnt(0)
	v_mul_f64 v[178:179], v[1:2], v[119:120]
	v_mul_f64 v[119:120], v[3:4], v[119:120]
	s_waitcnt vmcnt(56)
	v_fma_f64 v[115:116], v[5:6], v[121:122], -v[115:116]
	ds_read_b128 v[164:167], v163 offset:1136
	v_fma_f64 v[121:122], v[7:8], v[121:122], v[194:195]
	v_add_f64 v[172:173], v[172:173], v[176:177]
	v_add_f64 v[111:112], v[111:112], v[127:128]
	s_clause 0x4
	buffer_load_dword v128, off, s[0:3], 0 offset:572
	buffer_load_dword v176, off, s[0:3], 0 offset:584
	;; [unrolled: 1-line block ×5, first 2 shown]
	ds_read_b128 v[5:8], v163 offset:1152
	s_waitcnt vmcnt(57) lgkmcnt(1)
	v_mul_f64 v[195:196], v[164:165], v[123:124]
	v_mul_f64 v[123:124], v[166:167], v[123:124]
	s_waitcnt vmcnt(56)
	v_fma_f64 v[119:120], v[1:2], v[113:114], -v[119:120]
	v_fma_f64 v[113:114], v[3:4], v[113:114], v[178:179]
	v_add_f64 v[115:116], v[172:173], v[115:116]
	v_add_f64 v[111:112], v[111:112], v[121:122]
	s_clause 0x2
	buffer_load_dword v177, off, s[0:3], 0 offset:588
	buffer_load_dword v122, off, s[0:3], 0 offset:564
	;; [unrolled: 1-line block ×3, first 2 shown]
	s_waitcnt vmcnt(58) lgkmcnt(0)
	v_mul_f64 v[172:173], v[5:6], v[129:130]
	v_mul_f64 v[129:130], v[7:8], v[129:130]
	s_waitcnt vmcnt(56)
	v_fma_f64 v[123:124], v[164:165], v[131:132], -v[123:124]
	ds_read_b128 v[1:4], v163 offset:1168
	v_add_f64 v[115:116], v[115:116], v[119:120]
	v_fma_f64 v[119:120], v[166:167], v[131:132], v[195:196]
	v_add_f64 v[131:132], v[111:112], v[113:114]
	s_clause 0x4
	buffer_load_dword v165, off, s[0:3], 0 offset:604
	buffer_load_dword v166, off, s[0:3], 0 offset:616
	;; [unrolled: 1-line block ×5, first 2 shown]
	ds_read_b128 v[111:114], v163 offset:1184
	s_waitcnt vmcnt(57) lgkmcnt(1)
	v_mul_f64 v[195:196], v[1:2], v[133:134]
	v_mul_f64 v[133:134], v[3:4], v[133:134]
	s_waitcnt vmcnt(56)
	v_fma_f64 v[129:130], v[5:6], v[117:118], -v[129:130]
	v_fma_f64 v[117:118], v[7:8], v[117:118], v[172:173]
	v_add_f64 v[115:116], v[115:116], v[123:124]
	s_clause 0x2
	buffer_load_dword v167, off, s[0:3], 0 offset:620
	buffer_load_dword v124, off, s[0:3], 0 offset:596
	;; [unrolled: 1-line block ×3, first 2 shown]
	v_add_f64 v[119:120], v[131:132], v[119:120]
	s_waitcnt vmcnt(58) lgkmcnt(0)
	v_mul_f64 v[131:132], v[111:112], v[137:138]
	v_mul_f64 v[137:138], v[113:114], v[137:138]
	ds_read_b128 v[5:8], v163 offset:1200
	s_waitcnt vmcnt(56)
	v_fma_f64 v[133:134], v[1:2], v[139:140], -v[133:134]
	v_add_f64 v[115:116], v[115:116], v[129:130]
	v_fma_f64 v[129:130], v[3:4], v[139:140], v[195:196]
	v_add_f64 v[117:118], v[119:120], v[117:118]
	s_clause 0x4
	buffer_load_dword v120, off, s[0:3], 0 offset:636
	buffer_load_dword v139, off, s[0:3], 0 offset:648
	;; [unrolled: 1-line block ×5, first 2 shown]
	s_waitcnt vmcnt(57) lgkmcnt(0)
	v_mul_f64 v[195:196], v[5:6], v[141:142]
	v_mul_f64 v[141:142], v[7:8], v[141:142]
	s_waitcnt vmcnt(56)
	v_fma_f64 v[137:138], v[111:112], v[125:126], -v[137:138]
	ds_read_b128 v[1:4], v163 offset:1216
	v_fma_f64 v[125:126], v[113:114], v[125:126], v[131:132]
	v_add_f64 v[115:116], v[115:116], v[133:134]
	v_add_f64 v[117:118], v[117:118], v[129:130]
	s_clause 0x2
	buffer_load_dword v140, off, s[0:3], 0 offset:652
	buffer_load_dword v130, off, s[0:3], 0 offset:628
	buffer_load_dword v129, off, s[0:3], 0 offset:624
	ds_read_b128 v[111:114], v163 offset:1232
	s_waitcnt vmcnt(58) lgkmcnt(1)
	v_mul_f64 v[133:134], v[3:4], v[145:146]
	s_waitcnt vmcnt(56)
	v_fma_f64 v[141:142], v[5:6], v[147:148], -v[141:142]
	v_mul_f64 v[131:132], v[1:2], v[145:146]
	v_add_f64 v[115:116], v[115:116], v[137:138]
	v_fma_f64 v[137:138], v[7:8], v[147:148], v[195:196]
	v_add_f64 v[117:118], v[117:118], v[125:126]
	s_clause 0x4
	buffer_load_dword v126, off, s[0:3], 0 offset:668
	buffer_load_dword v145, off, s[0:3], 0 offset:680
	;; [unrolled: 1-line block ×5, first 2 shown]
	s_waitcnt vmcnt(57) lgkmcnt(0)
	v_mul_f64 v[195:196], v[111:112], v[149:150]
	v_mul_f64 v[148:149], v[113:114], v[149:150]
	s_waitcnt vmcnt(56)
	v_fma_f64 v[133:134], v[1:2], v[135:136], -v[133:134]
	ds_read_b128 v[5:8], v163 offset:1248
	v_fma_f64 v[131:132], v[3:4], v[135:136], v[131:132]
	s_clause 0x2
	buffer_load_dword v146, off, s[0:3], 0 offset:684
	buffer_load_dword v136, off, s[0:3], 0 offset:660
	;; [unrolled: 1-line block ×3, first 2 shown]
	ds_read_b128 v[1:4], v163 offset:1264
	v_add_f64 v[115:116], v[115:116], v[141:142]
	v_add_f64 v[117:118], v[117:118], v[137:138]
	s_waitcnt vmcnt(58) lgkmcnt(1)
	v_mul_f64 v[141:142], v[7:8], v[153:154]
	s_waitcnt vmcnt(56)
	v_fma_f64 v[149:150], v[111:112], v[155:156], -v[148:149]
	v_mul_f64 v[137:138], v[5:6], v[153:154]
	v_add_f64 v[115:116], v[115:116], v[133:134]
	v_fma_f64 v[133:134], v[113:114], v[155:156], v[195:196]
	v_add_f64 v[117:118], v[117:118], v[131:132]
	s_clause 0x4
	buffer_load_dword v132, off, s[0:3], 0 offset:700
	buffer_load_dword v153, off, s[0:3], 0 offset:712
	;; [unrolled: 1-line block ×5, first 2 shown]
	s_waitcnt vmcnt(57) lgkmcnt(0)
	v_mul_f64 v[195:196], v[1:2], v[157:158]
	v_mul_f64 v[156:157], v[3:4], v[157:158]
	s_waitcnt vmcnt(56)
	v_fma_f64 v[141:142], v[5:6], v[143:144], -v[141:142]
	ds_read_b128 v[111:114], v163 offset:1280
	v_fma_f64 v[137:138], v[7:8], v[143:144], v[137:138]
	v_add_f64 v[115:116], v[115:116], v[149:150]
	v_add_f64 v[117:118], v[117:118], v[133:134]
	s_clause 0x2
	buffer_load_dword v154, off, s[0:3], 0 offset:716
	buffer_load_dword v134, off, s[0:3], 0 offset:692
	;; [unrolled: 1-line block ×3, first 2 shown]
	ds_read_b128 v[5:8], v163 offset:1296
	s_waitcnt vmcnt(58) lgkmcnt(1)
	v_mul_f64 v[149:150], v[113:114], v[159:160]
	s_waitcnt vmcnt(56)
	v_fma_f64 v[157:158], v[1:2], v[161:162], -v[156:157]
	v_mul_f64 v[143:144], v[111:112], v[159:160]
	v_add_f64 v[115:116], v[115:116], v[141:142]
	v_fma_f64 v[141:142], v[3:4], v[161:162], v[195:196]
	v_add_f64 v[117:118], v[117:118], v[137:138]
	s_clause 0x4
	buffer_load_dword v138, off, s[0:3], 0 offset:732
	buffer_load_dword v159, off, s[0:3], 0 offset:744
	buffer_load_dword v161, off, s[0:3], 0 offset:736
	buffer_load_dword v137, off, s[0:3], 0 offset:728
	buffer_load_dword v156, off, s[0:3], 0 offset:708
	s_waitcnt vmcnt(57) lgkmcnt(0)
	v_mul_f64 v[195:196], v[5:6], v[180:181]
	v_mul_f64 v[180:181], v[7:8], v[180:181]
	s_waitcnt vmcnt(56)
	v_fma_f64 v[149:150], v[111:112], v[151:152], -v[149:150]
	ds_read_b128 v[1:4], v163 offset:1312
	v_fma_f64 v[143:144], v[113:114], v[151:152], v[143:144]
	v_add_f64 v[115:116], v[115:116], v[157:158]
	v_add_f64 v[117:118], v[117:118], v[141:142]
	s_clause 0x2
	buffer_load_dword v160, off, s[0:3], 0 offset:748
	buffer_load_dword v142, off, s[0:3], 0 offset:724
	;; [unrolled: 1-line block ×3, first 2 shown]
	ds_read_b128 v[111:114], v163 offset:1328
	s_waitcnt vmcnt(58) lgkmcnt(1)
	v_mul_f64 v[157:158], v[3:4], v[182:183]
	s_waitcnt vmcnt(56)
	v_fma_f64 v[180:181], v[5:6], v[187:188], -v[180:181]
	v_mul_f64 v[151:152], v[1:2], v[182:183]
	v_add_f64 v[115:116], v[115:116], v[149:150]
	v_fma_f64 v[149:150], v[7:8], v[187:188], v[195:196]
	v_add_f64 v[117:118], v[117:118], v[143:144]
	s_clause 0x4
	buffer_load_dword v144, off, s[0:3], 0 offset:764
	buffer_load_dword v182, off, s[0:3], 0 offset:776
	;; [unrolled: 1-line block ×5, first 2 shown]
	ds_read_b128 v[5:8], v163 offset:1344
	s_waitcnt vmcnt(57) lgkmcnt(1)
	v_mul_f64 v[187:188], v[111:112], v[174:175]
	v_mul_f64 v[174:175], v[113:114], v[174:175]
	s_waitcnt vmcnt(56)
	v_fma_f64 v[157:158], v[1:2], v[184:185], -v[157:158]
	v_fma_f64 v[151:152], v[3:4], v[184:185], v[151:152]
	v_add_f64 v[115:116], v[115:116], v[180:181]
	v_add_f64 v[117:118], v[117:118], v[149:150]
	s_clause 0x2
	buffer_load_dword v183, off, s[0:3], 0 offset:780
	buffer_load_dword v150, off, s[0:3], 0 offset:756
	;; [unrolled: 1-line block ×3, first 2 shown]
	ds_read_b128 v[1:4], v163 offset:1360
	s_waitcnt vmcnt(58) lgkmcnt(1)
	v_mul_f64 v[184:185], v[7:8], v[191:192]
	v_mul_f64 v[180:181], v[5:6], v[191:192]
	s_waitcnt vmcnt(56)
	v_fma_f64 v[174:175], v[111:112], v[168:169], -v[174:175]
	v_add_f64 v[115:116], v[115:116], v[157:158]
	v_fma_f64 v[157:158], v[113:114], v[168:169], v[187:188]
	v_add_f64 v[117:118], v[117:118], v[151:152]
	s_clause 0x4
	buffer_load_dword v152, off, s[0:3], 0 offset:796
	buffer_load_dword v168, off, s[0:3], 0 offset:808
	;; [unrolled: 1-line block ×5, first 2 shown]
	ds_read_b128 v[111:114], v163 offset:1376
	s_waitcnt vmcnt(57) lgkmcnt(1)
	v_mul_f64 v[195:196], v[1:2], v[127:128]
	v_mul_f64 v[127:128], v[3:4], v[127:128]
	s_waitcnt vmcnt(56)
	v_fma_f64 v[184:185], v[5:6], v[193:194], -v[184:185]
	v_add_f64 v[115:116], v[115:116], v[174:175]
	v_fma_f64 v[174:175], v[7:8], v[193:194], v[180:181]
	v_add_f64 v[117:118], v[117:118], v[157:158]
	s_clause 0x2
	buffer_load_dword v169, off, s[0:3], 0 offset:812
	buffer_load_dword v158, off, s[0:3], 0 offset:788
	;; [unrolled: 1-line block ×3, first 2 shown]
	ds_read_b128 v[5:8], v163 offset:1392
	s_waitcnt vmcnt(58) lgkmcnt(1)
	v_mul_f64 v[180:181], v[111:112], v[176:177]
	v_mul_f64 v[176:177], v[113:114], v[176:177]
	s_waitcnt vmcnt(56)
	v_fma_f64 v[127:128], v[1:2], v[121:122], -v[127:128]
	v_fma_f64 v[121:122], v[3:4], v[121:122], v[195:196]
	v_add_f64 v[115:116], v[115:116], v[184:185]
	v_add_f64 v[117:118], v[117:118], v[174:175]
	s_clause 0x2
	buffer_load_dword v175, off, s[0:3], 0 offset:828
	buffer_load_dword v174, off, s[0:3], 0 offset:824
	;; [unrolled: 1-line block ×3, first 2 shown]
	ds_read_b128 v[1:4], v163 offset:1408
	s_waitcnt vmcnt(55) lgkmcnt(1)
	v_mul_f64 v[184:185], v[5:6], v[164:165]
	v_mul_f64 v[164:165], v[7:8], v[164:165]
	s_waitcnt vmcnt(54)
	v_fma_f64 v[176:177], v[111:112], v[189:190], -v[176:177]
	v_add_f64 v[115:116], v[115:116], v[127:128]
	v_fma_f64 v[127:128], v[113:114], v[189:190], v[180:181]
	v_add_f64 v[117:118], v[117:118], v[121:122]
	s_clause 0x1
	buffer_load_dword v122, off, s[0:3], 0 offset:820
	buffer_load_dword v121, off, s[0:3], 0 offset:816
	ds_read_b128 v[111:114], v163 offset:1424
	s_waitcnt vmcnt(55) lgkmcnt(1)
	v_mul_f64 v[180:181], v[1:2], v[166:167]
	v_mul_f64 v[166:167], v[3:4], v[166:167]
	s_waitcnt vmcnt(53)
	v_fma_f64 v[164:165], v[5:6], v[123:124], -v[164:165]
	v_fma_f64 v[123:124], v[7:8], v[123:124], v[184:185]
	ds_read_b128 v[5:8], v163 offset:1440
	v_add_f64 v[115:116], v[115:116], v[176:177]
	v_add_f64 v[117:118], v[117:118], v[127:128]
	s_waitcnt vmcnt(49) lgkmcnt(1)
	v_mul_f64 v[127:128], v[111:112], v[119:120]
	v_mul_f64 v[119:120], v[113:114], v[119:120]
	s_waitcnt vmcnt(48)
	v_fma_f64 v[166:167], v[1:2], v[178:179], -v[166:167]
	v_add_f64 v[115:116], v[115:116], v[164:165]
	v_fma_f64 v[164:165], v[3:4], v[178:179], v[180:181]
	v_add_f64 v[117:118], v[117:118], v[123:124]
	s_clause 0x3
	buffer_load_dword v123, off, s[0:3], 0 offset:240
	buffer_load_dword v124, off, s[0:3], 0 offset:244
	buffer_load_dword v176, off, s[0:3], 0 offset:248
	buffer_load_dword v177, off, s[0:3], 0 offset:252
	ds_read_b128 v[1:4], v163 offset:1456
	s_waitcnt vmcnt(51) lgkmcnt(1)
	v_mul_f64 v[178:179], v[5:6], v[139:140]
	v_mul_f64 v[139:140], v[7:8], v[139:140]
	s_waitcnt vmcnt(49)
	v_fma_f64 v[119:120], v[111:112], v[129:130], -v[119:120]
	v_fma_f64 v[127:128], v[113:114], v[129:130], v[127:128]
	ds_read_b128 v[111:114], v163 offset:1472
	v_add_f64 v[115:116], v[115:116], v[166:167]
	v_add_f64 v[117:118], v[117:118], v[164:165]
	s_waitcnt vmcnt(45) lgkmcnt(1)
	v_mul_f64 v[129:130], v[1:2], v[125:126]
	v_mul_f64 v[125:126], v[3:4], v[125:126]
	s_waitcnt vmcnt(44)
	v_fma_f64 v[139:140], v[5:6], v[172:173], -v[139:140]
	v_add_f64 v[115:116], v[115:116], v[119:120]
	v_fma_f64 v[119:120], v[7:8], v[172:173], v[178:179]
	v_add_f64 v[117:118], v[117:118], v[127:128]
	s_waitcnt vmcnt(43) lgkmcnt(0)
	v_mul_f64 v[127:128], v[111:112], v[145:146]
	v_mul_f64 v[145:146], v[113:114], v[145:146]
	ds_read_b128 v[5:8], v163 offset:1488
	s_waitcnt vmcnt(41)
	v_fma_f64 v[129:130], v[3:4], v[135:136], v[129:130]
	v_fma_f64 v[125:126], v[1:2], v[135:136], -v[125:126]
	ds_read_b128 v[1:4], v163 offset:1504
	v_add_f64 v[115:116], v[115:116], v[139:140]
	v_add_f64 v[117:118], v[117:118], v[119:120]
	s_waitcnt vmcnt(37) lgkmcnt(1)
	v_mul_f64 v[119:120], v[5:6], v[131:132]
	v_mul_f64 v[131:132], v[7:8], v[131:132]
	s_waitcnt vmcnt(36)
	v_fma_f64 v[135:136], v[111:112], v[147:148], -v[145:146]
	v_add_f64 v[115:116], v[115:116], v[125:126]
	v_fma_f64 v[125:126], v[113:114], v[147:148], v[127:128]
	v_add_f64 v[117:118], v[117:118], v[129:130]
	ds_read_b128 v[111:114], v163 offset:1520
	s_waitcnt vmcnt(35) lgkmcnt(1)
	v_mul_f64 v[129:130], v[3:4], v[153:154]
	v_mul_f64 v[127:128], v[1:2], v[153:154]
	s_waitcnt vmcnt(33)
	v_fma_f64 v[131:132], v[5:6], v[133:134], -v[131:132]
	v_fma_f64 v[119:120], v[7:8], v[133:134], v[119:120]
	ds_read_b128 v[5:8], v163 offset:1536
	v_add_f64 v[115:116], v[115:116], v[135:136]
	v_add_f64 v[117:118], v[117:118], v[125:126]
	s_waitcnt vmcnt(29) lgkmcnt(1)
	v_mul_f64 v[133:134], v[113:114], v[137:138]
	s_waitcnt vmcnt(28)
	v_fma_f64 v[129:130], v[1:2], v[155:156], -v[129:130]
	v_mul_f64 v[125:126], v[111:112], v[137:138]
	v_fma_f64 v[127:128], v[3:4], v[155:156], v[127:128]
	ds_read_b128 v[1:4], v163 offset:1552
	v_add_f64 v[115:116], v[115:116], v[131:132]
	v_add_f64 v[117:118], v[117:118], v[119:120]
	s_waitcnt vmcnt(27) lgkmcnt(1)
	v_mul_f64 v[131:132], v[7:8], v[159:160]
	v_mul_f64 v[119:120], v[5:6], v[159:160]
	s_waitcnt vmcnt(25)
	v_fma_f64 v[133:134], v[111:112], v[141:142], -v[133:134]
	v_fma_f64 v[125:126], v[113:114], v[141:142], v[125:126]
	ds_read_b128 v[111:114], v163 offset:1568
	v_add_f64 v[115:116], v[115:116], v[129:130]
	v_add_f64 v[117:118], v[117:118], v[127:128]
	s_waitcnt vmcnt(21) lgkmcnt(1)
	v_mul_f64 v[129:130], v[3:4], v[143:144]
	s_waitcnt vmcnt(20)
	v_fma_f64 v[131:132], v[5:6], v[161:162], -v[131:132]
	v_mul_f64 v[127:128], v[1:2], v[143:144]
	v_fma_f64 v[119:120], v[7:8], v[161:162], v[119:120]
	ds_read_b128 v[5:8], v163 offset:1584
	v_add_f64 v[115:116], v[115:116], v[133:134]
	v_add_f64 v[117:118], v[117:118], v[125:126]
	;; [unrolled: 18-line block ×3, first 2 shown]
	s_waitcnt vmcnt(11) lgkmcnt(1)
	v_mul_f64 v[129:130], v[3:4], v[168:169]
	v_mul_f64 v[127:128], v[1:2], v[168:169]
	s_waitcnt vmcnt(9)
	v_fma_f64 v[5:6], v[5:6], v[157:158], -v[131:132]
	v_fma_f64 v[7:8], v[7:8], v[157:158], v[119:120]
	v_add_f64 v[115:116], v[115:116], v[133:134]
	v_add_f64 v[117:118], v[117:118], v[125:126]
	s_waitcnt vmcnt(7) lgkmcnt(0)
	v_mul_f64 v[125:126], v[113:114], v[174:175]
	s_waitcnt vmcnt(6)
	v_fma_f64 v[1:2], v[1:2], v[191:192], -v[129:130]
	v_mul_f64 v[119:120], v[111:112], v[174:175]
	v_fma_f64 v[3:4], v[3:4], v[191:192], v[127:128]
	v_add_f64 v[5:6], v[115:116], v[5:6]
	v_add_f64 v[7:8], v[117:118], v[7:8]
	s_waitcnt vmcnt(4)
	v_fma_f64 v[111:112], v[111:112], v[121:122], -v[125:126]
	v_add_f64 v[1:2], v[5:6], v[1:2]
	v_fma_f64 v[5:6], v[113:114], v[121:122], v[119:120]
	v_add_f64 v[3:4], v[7:8], v[3:4]
	v_add_f64 v[1:2], v[1:2], v[111:112]
	;; [unrolled: 1-line block ×3, first 2 shown]
	s_waitcnt vmcnt(2)
	v_add_f64 v[1:2], v[123:124], -v[1:2]
	s_waitcnt vmcnt(0)
	v_add_f64 v[3:4], v[176:177], -v[3:4]
	buffer_store_dword v2, off, s[0:3], 0 offset:244
	buffer_store_dword v1, off, s[0:3], 0 offset:240
	;; [unrolled: 1-line block ×4, first 2 shown]
	v_cmpx_lt_u32_e32 13, v0
	s_cbranch_execz .LBB114_293
; %bb.292:
	v_mov_b32_e32 v4, s50
	v_mov_b32_e32 v5, 0
	s_clause 0x3
	buffer_load_dword v1, v4, s[0:3], 0 offen
	buffer_load_dword v2, v4, s[0:3], 0 offen offset:4
	buffer_load_dword v3, v4, s[0:3], 0 offen offset:8
	buffer_load_dword v4, v4, s[0:3], 0 offen offset:12
	buffer_store_dword v5, off, s[0:3], 0 offset:224
	buffer_store_dword v5, off, s[0:3], 0 offset:228
	;; [unrolled: 1-line block ×4, first 2 shown]
	s_waitcnt vmcnt(0)
	ds_write_b128 v171, v[1:4]
.LBB114_293:
	s_or_b32 exec_lo, exec_lo, s4
	s_waitcnt lgkmcnt(0)
	s_waitcnt_vscnt null, 0x0
	s_barrier
	buffer_gl0_inv
	s_clause 0x37
	buffer_load_dword v111, off, s[0:3], 0 offset:248
	buffer_load_dword v112, off, s[0:3], 0 offset:252
	;; [unrolled: 1-line block ×56, first 2 shown]
	v_mov_b32_e32 v163, 0
	s_mov_b32 s4, exec_lo
	ds_read_b128 v[164:167], v163 offset:1040
	s_clause 0x2
	buffer_load_dword v160, off, s[0:3], 0 offset:476
	buffer_load_dword v162, off, s[0:3], 0 offset:452
	;; [unrolled: 1-line block ×3, first 2 shown]
	ds_read_b128 v[172:175], v163 offset:1056
	s_clause 0x4
	buffer_load_dword v181, off, s[0:3], 0 offset:492
	buffer_load_dword v182, off, s[0:3], 0 offset:504
	;; [unrolled: 1-line block ×5, first 2 shown]
	ds_read_b128 v[176:179], v163 offset:1072
	s_clause 0x2
	buffer_load_dword v183, off, s[0:3], 0 offset:508
	buffer_load_dword v188, off, s[0:3], 0 offset:484
	;; [unrolled: 1-line block ×3, first 2 shown]
	s_waitcnt vmcnt(62) lgkmcnt(2)
	v_mul_f64 v[168:169], v[166:167], v[111:112]
	v_mul_f64 v[111:112], v[164:165], v[111:112]
	s_waitcnt lgkmcnt(1)
	v_mul_f64 v[185:186], v[174:175], v[5:6]
	s_waitcnt vmcnt(59) lgkmcnt(0)
	v_mul_f64 v[189:190], v[178:179], v[3:4]
	v_fma_f64 v[164:165], v[164:165], v[7:8], -v[168:169]
	v_mul_f64 v[168:169], v[172:173], v[5:6]
	v_fma_f64 v[111:112], v[166:167], v[7:8], v[111:112]
	s_waitcnt vmcnt(57)
	v_fma_f64 v[172:173], v[172:173], v[1:2], -v[185:186]
	ds_read_b128 v[5:8], v163 offset:1088
	v_mul_f64 v[166:167], v[176:177], v[3:4]
	s_waitcnt vmcnt(51)
	v_fma_f64 v[176:177], v[176:177], v[127:128], -v[189:190]
	v_add_f64 v[164:165], v[164:165], 0
	v_fma_f64 v[168:169], v[174:175], v[1:2], v[168:169]
	v_add_f64 v[111:112], v[111:112], 0
	s_clause 0x4
	buffer_load_dword v175, off, s[0:3], 0 offset:524
	buffer_load_dword v191, off, s[0:3], 0 offset:536
	;; [unrolled: 1-line block ×5, first 2 shown]
	s_waitcnt lgkmcnt(0)
	v_mul_f64 v[194:195], v[5:6], v[115:116]
	v_mul_f64 v[115:116], v[7:8], v[115:116]
	ds_read_b128 v[1:4], v163 offset:1104
	v_fma_f64 v[127:128], v[178:179], v[127:128], v[166:167]
	v_add_f64 v[172:173], v[164:165], v[172:173]
	v_add_f64 v[111:112], v[111:112], v[168:169]
	s_clause 0x2
	buffer_load_dword v192, off, s[0:3], 0 offset:540
	buffer_load_dword v169, off, s[0:3], 0 offset:516
	buffer_load_dword v168, off, s[0:3], 0 offset:512
	s_waitcnt vmcnt(58) lgkmcnt(0)
	v_mul_f64 v[178:179], v[1:2], v[119:120]
	v_mul_f64 v[119:120], v[3:4], v[119:120]
	s_waitcnt vmcnt(56)
	v_fma_f64 v[115:116], v[5:6], v[121:122], -v[115:116]
	ds_read_b128 v[164:167], v163 offset:1120
	v_fma_f64 v[121:122], v[7:8], v[121:122], v[194:195]
	v_add_f64 v[172:173], v[172:173], v[176:177]
	v_add_f64 v[111:112], v[111:112], v[127:128]
	s_clause 0x4
	buffer_load_dword v128, off, s[0:3], 0 offset:556
	buffer_load_dword v176, off, s[0:3], 0 offset:568
	;; [unrolled: 1-line block ×5, first 2 shown]
	ds_read_b128 v[5:8], v163 offset:1136
	s_waitcnt vmcnt(57) lgkmcnt(1)
	v_mul_f64 v[195:196], v[164:165], v[123:124]
	v_mul_f64 v[123:124], v[166:167], v[123:124]
	s_waitcnt vmcnt(56)
	v_fma_f64 v[119:120], v[1:2], v[113:114], -v[119:120]
	v_fma_f64 v[113:114], v[3:4], v[113:114], v[178:179]
	v_add_f64 v[115:116], v[172:173], v[115:116]
	v_add_f64 v[111:112], v[111:112], v[121:122]
	s_clause 0x2
	buffer_load_dword v177, off, s[0:3], 0 offset:572
	buffer_load_dword v122, off, s[0:3], 0 offset:548
	;; [unrolled: 1-line block ×3, first 2 shown]
	s_waitcnt vmcnt(58) lgkmcnt(0)
	v_mul_f64 v[172:173], v[5:6], v[129:130]
	v_mul_f64 v[129:130], v[7:8], v[129:130]
	s_waitcnt vmcnt(56)
	v_fma_f64 v[123:124], v[164:165], v[131:132], -v[123:124]
	ds_read_b128 v[1:4], v163 offset:1152
	v_add_f64 v[115:116], v[115:116], v[119:120]
	v_fma_f64 v[119:120], v[166:167], v[131:132], v[195:196]
	v_add_f64 v[131:132], v[111:112], v[113:114]
	s_clause 0x4
	buffer_load_dword v165, off, s[0:3], 0 offset:588
	buffer_load_dword v166, off, s[0:3], 0 offset:600
	;; [unrolled: 1-line block ×5, first 2 shown]
	ds_read_b128 v[111:114], v163 offset:1168
	s_waitcnt vmcnt(57) lgkmcnt(1)
	v_mul_f64 v[195:196], v[1:2], v[133:134]
	v_mul_f64 v[133:134], v[3:4], v[133:134]
	s_waitcnt vmcnt(56)
	v_fma_f64 v[129:130], v[5:6], v[117:118], -v[129:130]
	v_fma_f64 v[117:118], v[7:8], v[117:118], v[172:173]
	v_add_f64 v[115:116], v[115:116], v[123:124]
	s_clause 0x2
	buffer_load_dword v167, off, s[0:3], 0 offset:604
	buffer_load_dword v124, off, s[0:3], 0 offset:580
	;; [unrolled: 1-line block ×3, first 2 shown]
	v_add_f64 v[119:120], v[131:132], v[119:120]
	s_waitcnt vmcnt(58) lgkmcnt(0)
	v_mul_f64 v[131:132], v[111:112], v[137:138]
	v_mul_f64 v[137:138], v[113:114], v[137:138]
	ds_read_b128 v[5:8], v163 offset:1184
	s_waitcnt vmcnt(56)
	v_fma_f64 v[133:134], v[1:2], v[139:140], -v[133:134]
	v_add_f64 v[115:116], v[115:116], v[129:130]
	v_fma_f64 v[129:130], v[3:4], v[139:140], v[195:196]
	v_add_f64 v[117:118], v[119:120], v[117:118]
	s_clause 0x4
	buffer_load_dword v120, off, s[0:3], 0 offset:620
	buffer_load_dword v139, off, s[0:3], 0 offset:632
	;; [unrolled: 1-line block ×5, first 2 shown]
	s_waitcnt vmcnt(57) lgkmcnt(0)
	v_mul_f64 v[195:196], v[5:6], v[141:142]
	v_mul_f64 v[141:142], v[7:8], v[141:142]
	s_waitcnt vmcnt(56)
	v_fma_f64 v[137:138], v[111:112], v[125:126], -v[137:138]
	ds_read_b128 v[1:4], v163 offset:1200
	v_fma_f64 v[125:126], v[113:114], v[125:126], v[131:132]
	v_add_f64 v[115:116], v[115:116], v[133:134]
	v_add_f64 v[117:118], v[117:118], v[129:130]
	s_clause 0x2
	buffer_load_dword v140, off, s[0:3], 0 offset:636
	buffer_load_dword v130, off, s[0:3], 0 offset:612
	;; [unrolled: 1-line block ×3, first 2 shown]
	ds_read_b128 v[111:114], v163 offset:1216
	s_waitcnt vmcnt(58) lgkmcnt(1)
	v_mul_f64 v[133:134], v[3:4], v[145:146]
	s_waitcnt vmcnt(56)
	v_fma_f64 v[141:142], v[5:6], v[147:148], -v[141:142]
	v_mul_f64 v[131:132], v[1:2], v[145:146]
	v_add_f64 v[115:116], v[115:116], v[137:138]
	v_fma_f64 v[137:138], v[7:8], v[147:148], v[195:196]
	v_add_f64 v[117:118], v[117:118], v[125:126]
	s_clause 0x4
	buffer_load_dword v126, off, s[0:3], 0 offset:652
	buffer_load_dword v145, off, s[0:3], 0 offset:664
	;; [unrolled: 1-line block ×5, first 2 shown]
	s_waitcnt vmcnt(57) lgkmcnt(0)
	v_mul_f64 v[195:196], v[111:112], v[149:150]
	v_mul_f64 v[148:149], v[113:114], v[149:150]
	s_waitcnt vmcnt(56)
	v_fma_f64 v[133:134], v[1:2], v[135:136], -v[133:134]
	ds_read_b128 v[5:8], v163 offset:1232
	v_fma_f64 v[131:132], v[3:4], v[135:136], v[131:132]
	s_clause 0x2
	buffer_load_dword v146, off, s[0:3], 0 offset:668
	buffer_load_dword v136, off, s[0:3], 0 offset:644
	;; [unrolled: 1-line block ×3, first 2 shown]
	ds_read_b128 v[1:4], v163 offset:1248
	v_add_f64 v[115:116], v[115:116], v[141:142]
	v_add_f64 v[117:118], v[117:118], v[137:138]
	s_waitcnt vmcnt(58) lgkmcnt(1)
	v_mul_f64 v[141:142], v[7:8], v[153:154]
	s_waitcnt vmcnt(56)
	v_fma_f64 v[149:150], v[111:112], v[155:156], -v[148:149]
	v_mul_f64 v[137:138], v[5:6], v[153:154]
	v_add_f64 v[115:116], v[115:116], v[133:134]
	v_fma_f64 v[133:134], v[113:114], v[155:156], v[195:196]
	v_add_f64 v[117:118], v[117:118], v[131:132]
	s_clause 0x4
	buffer_load_dword v132, off, s[0:3], 0 offset:684
	buffer_load_dword v153, off, s[0:3], 0 offset:696
	;; [unrolled: 1-line block ×5, first 2 shown]
	s_waitcnt vmcnt(57) lgkmcnt(0)
	v_mul_f64 v[195:196], v[1:2], v[157:158]
	v_mul_f64 v[156:157], v[3:4], v[157:158]
	s_waitcnt vmcnt(56)
	v_fma_f64 v[141:142], v[5:6], v[143:144], -v[141:142]
	ds_read_b128 v[111:114], v163 offset:1264
	v_fma_f64 v[137:138], v[7:8], v[143:144], v[137:138]
	v_add_f64 v[115:116], v[115:116], v[149:150]
	v_add_f64 v[117:118], v[117:118], v[133:134]
	s_clause 0x2
	buffer_load_dword v154, off, s[0:3], 0 offset:700
	buffer_load_dword v134, off, s[0:3], 0 offset:676
	buffer_load_dword v133, off, s[0:3], 0 offset:672
	ds_read_b128 v[5:8], v163 offset:1280
	s_waitcnt vmcnt(58) lgkmcnt(1)
	v_mul_f64 v[149:150], v[113:114], v[159:160]
	s_waitcnt vmcnt(56)
	v_fma_f64 v[157:158], v[1:2], v[161:162], -v[156:157]
	v_mul_f64 v[143:144], v[111:112], v[159:160]
	v_add_f64 v[115:116], v[115:116], v[141:142]
	v_fma_f64 v[141:142], v[3:4], v[161:162], v[195:196]
	v_add_f64 v[117:118], v[117:118], v[137:138]
	s_clause 0x4
	buffer_load_dword v138, off, s[0:3], 0 offset:716
	buffer_load_dword v159, off, s[0:3], 0 offset:728
	;; [unrolled: 1-line block ×5, first 2 shown]
	s_waitcnt vmcnt(57) lgkmcnt(0)
	v_mul_f64 v[195:196], v[5:6], v[180:181]
	v_mul_f64 v[180:181], v[7:8], v[180:181]
	s_waitcnt vmcnt(56)
	v_fma_f64 v[149:150], v[111:112], v[151:152], -v[149:150]
	ds_read_b128 v[1:4], v163 offset:1296
	v_fma_f64 v[143:144], v[113:114], v[151:152], v[143:144]
	v_add_f64 v[115:116], v[115:116], v[157:158]
	v_add_f64 v[117:118], v[117:118], v[141:142]
	s_clause 0x2
	buffer_load_dword v160, off, s[0:3], 0 offset:732
	buffer_load_dword v142, off, s[0:3], 0 offset:708
	;; [unrolled: 1-line block ×3, first 2 shown]
	ds_read_b128 v[111:114], v163 offset:1312
	s_waitcnt vmcnt(58) lgkmcnt(1)
	v_mul_f64 v[157:158], v[3:4], v[182:183]
	s_waitcnt vmcnt(56)
	v_fma_f64 v[180:181], v[5:6], v[187:188], -v[180:181]
	v_mul_f64 v[151:152], v[1:2], v[182:183]
	v_add_f64 v[115:116], v[115:116], v[149:150]
	v_fma_f64 v[149:150], v[7:8], v[187:188], v[195:196]
	v_add_f64 v[117:118], v[117:118], v[143:144]
	s_clause 0x4
	buffer_load_dword v144, off, s[0:3], 0 offset:748
	buffer_load_dword v182, off, s[0:3], 0 offset:760
	buffer_load_dword v186, off, s[0:3], 0 offset:752
	buffer_load_dword v143, off, s[0:3], 0 offset:744
	buffer_load_dword v162, off, s[0:3], 0 offset:724
	ds_read_b128 v[5:8], v163 offset:1328
	s_waitcnt vmcnt(57) lgkmcnt(1)
	v_mul_f64 v[187:188], v[111:112], v[174:175]
	v_mul_f64 v[174:175], v[113:114], v[174:175]
	s_waitcnt vmcnt(56)
	v_fma_f64 v[157:158], v[1:2], v[184:185], -v[157:158]
	v_fma_f64 v[151:152], v[3:4], v[184:185], v[151:152]
	v_add_f64 v[115:116], v[115:116], v[180:181]
	v_add_f64 v[117:118], v[117:118], v[149:150]
	s_clause 0x2
	buffer_load_dword v183, off, s[0:3], 0 offset:764
	buffer_load_dword v150, off, s[0:3], 0 offset:740
	;; [unrolled: 1-line block ×3, first 2 shown]
	ds_read_b128 v[1:4], v163 offset:1344
	s_waitcnt vmcnt(58) lgkmcnt(1)
	v_mul_f64 v[184:185], v[7:8], v[191:192]
	v_mul_f64 v[180:181], v[5:6], v[191:192]
	s_waitcnt vmcnt(56)
	v_fma_f64 v[174:175], v[111:112], v[168:169], -v[174:175]
	v_add_f64 v[115:116], v[115:116], v[157:158]
	v_fma_f64 v[157:158], v[113:114], v[168:169], v[187:188]
	v_add_f64 v[117:118], v[117:118], v[151:152]
	s_clause 0x4
	buffer_load_dword v152, off, s[0:3], 0 offset:780
	buffer_load_dword v168, off, s[0:3], 0 offset:792
	;; [unrolled: 1-line block ×5, first 2 shown]
	ds_read_b128 v[111:114], v163 offset:1360
	s_waitcnt vmcnt(57) lgkmcnt(1)
	v_mul_f64 v[195:196], v[1:2], v[127:128]
	v_mul_f64 v[127:128], v[3:4], v[127:128]
	s_waitcnt vmcnt(56)
	v_fma_f64 v[184:185], v[5:6], v[193:194], -v[184:185]
	v_add_f64 v[115:116], v[115:116], v[174:175]
	v_fma_f64 v[174:175], v[7:8], v[193:194], v[180:181]
	v_add_f64 v[117:118], v[117:118], v[157:158]
	s_clause 0x2
	buffer_load_dword v169, off, s[0:3], 0 offset:796
	buffer_load_dword v158, off, s[0:3], 0 offset:772
	;; [unrolled: 1-line block ×3, first 2 shown]
	ds_read_b128 v[5:8], v163 offset:1376
	s_waitcnt vmcnt(58) lgkmcnt(1)
	v_mul_f64 v[180:181], v[111:112], v[176:177]
	v_mul_f64 v[176:177], v[113:114], v[176:177]
	s_waitcnt vmcnt(56)
	v_fma_f64 v[127:128], v[1:2], v[121:122], -v[127:128]
	v_fma_f64 v[121:122], v[3:4], v[121:122], v[195:196]
	v_add_f64 v[115:116], v[115:116], v[184:185]
	v_add_f64 v[117:118], v[117:118], v[174:175]
	s_clause 0x4
	buffer_load_dword v175, off, s[0:3], 0 offset:812
	buffer_load_dword v184, off, s[0:3], 0 offset:824
	buffer_load_dword v188, off, s[0:3], 0 offset:816
	buffer_load_dword v174, off, s[0:3], 0 offset:808
	buffer_load_dword v192, off, s[0:3], 0 offset:788
	ds_read_b128 v[1:4], v163 offset:1392
	s_waitcnt vmcnt(57) lgkmcnt(1)
	v_mul_f64 v[193:194], v[5:6], v[164:165]
	v_mul_f64 v[164:165], v[7:8], v[164:165]
	s_waitcnt vmcnt(56)
	v_fma_f64 v[176:177], v[111:112], v[189:190], -v[176:177]
	v_add_f64 v[115:116], v[115:116], v[127:128]
	v_fma_f64 v[127:128], v[113:114], v[189:190], v[180:181]
	v_add_f64 v[117:118], v[117:118], v[121:122]
	s_clause 0x2
	buffer_load_dword v185, off, s[0:3], 0 offset:828
	buffer_load_dword v122, off, s[0:3], 0 offset:804
	;; [unrolled: 1-line block ×3, first 2 shown]
	ds_read_b128 v[111:114], v163 offset:1408
	buffer_load_dword v189, off, s[0:3], 0 offset:820
	s_waitcnt vmcnt(59) lgkmcnt(1)
	v_mul_f64 v[180:181], v[1:2], v[166:167]
	v_mul_f64 v[166:167], v[3:4], v[166:167]
	s_waitcnt vmcnt(57)
	v_fma_f64 v[164:165], v[5:6], v[123:124], -v[164:165]
	v_fma_f64 v[123:124], v[7:8], v[123:124], v[193:194]
	ds_read_b128 v[5:8], v163 offset:1424
	v_add_f64 v[115:116], v[115:116], v[176:177]
	v_add_f64 v[117:118], v[117:118], v[127:128]
	s_waitcnt vmcnt(53) lgkmcnt(1)
	v_mul_f64 v[127:128], v[111:112], v[119:120]
	v_mul_f64 v[119:120], v[113:114], v[119:120]
	s_waitcnt vmcnt(52)
	v_fma_f64 v[166:167], v[1:2], v[178:179], -v[166:167]
	v_add_f64 v[115:116], v[115:116], v[164:165]
	v_fma_f64 v[164:165], v[3:4], v[178:179], v[180:181]
	v_add_f64 v[117:118], v[117:118], v[123:124]
	ds_read_b128 v[1:4], v163 offset:1440
	s_waitcnt vmcnt(51) lgkmcnt(1)
	v_mul_f64 v[123:124], v[5:6], v[139:140]
	v_mul_f64 v[139:140], v[7:8], v[139:140]
	s_waitcnt vmcnt(49)
	v_fma_f64 v[119:120], v[111:112], v[129:130], -v[119:120]
	v_fma_f64 v[127:128], v[113:114], v[129:130], v[127:128]
	v_add_f64 v[115:116], v[115:116], v[166:167]
	v_add_f64 v[117:118], v[117:118], v[164:165]
	s_clause 0x3
	buffer_load_dword v129, off, s[0:3], 0 offset:224
	buffer_load_dword v130, off, s[0:3], 0 offset:228
	;; [unrolled: 1-line block ×4, first 2 shown]
	ds_read_b128 v[111:114], v163 offset:1456
	s_waitcnt vmcnt(49) lgkmcnt(1)
	v_mul_f64 v[166:167], v[1:2], v[125:126]
	v_mul_f64 v[125:126], v[3:4], v[125:126]
	s_waitcnt vmcnt(48)
	v_fma_f64 v[139:140], v[5:6], v[172:173], -v[139:140]
	v_add_f64 v[115:116], v[115:116], v[119:120]
	v_fma_f64 v[119:120], v[7:8], v[172:173], v[123:124]
	v_add_f64 v[117:118], v[117:118], v[127:128]
	ds_read_b128 v[5:8], v163 offset:1472
	s_waitcnt vmcnt(47) lgkmcnt(1)
	v_mul_f64 v[127:128], v[113:114], v[145:146]
	v_mul_f64 v[123:124], v[111:112], v[145:146]
	s_waitcnt vmcnt(45)
	v_fma_f64 v[125:126], v[1:2], v[135:136], -v[125:126]
	v_fma_f64 v[135:136], v[3:4], v[135:136], v[166:167]
	ds_read_b128 v[1:4], v163 offset:1488
	v_add_f64 v[115:116], v[115:116], v[139:140]
	v_add_f64 v[117:118], v[117:118], v[119:120]
	s_waitcnt vmcnt(41) lgkmcnt(1)
	v_mul_f64 v[119:120], v[5:6], v[131:132]
	v_mul_f64 v[131:132], v[7:8], v[131:132]
	s_waitcnt vmcnt(40)
	v_fma_f64 v[127:128], v[111:112], v[147:148], -v[127:128]
	v_fma_f64 v[123:124], v[113:114], v[147:148], v[123:124]
	ds_read_b128 v[111:114], v163 offset:1504
	v_add_f64 v[115:116], v[115:116], v[125:126]
	v_add_f64 v[117:118], v[117:118], v[135:136]
	;; [unrolled: 9-line block ×3, first 2 shown]
	s_waitcnt vmcnt(33) lgkmcnt(1)
	v_mul_f64 v[127:128], v[113:114], v[137:138]
	s_waitcnt vmcnt(32)
	v_fma_f64 v[133:134], v[1:2], v[155:156], -v[135:136]
	v_mul_f64 v[123:124], v[111:112], v[137:138]
	v_fma_f64 v[125:126], v[3:4], v[155:156], v[125:126]
	ds_read_b128 v[1:4], v163 offset:1536
	v_add_f64 v[115:116], v[115:116], v[131:132]
	v_add_f64 v[117:118], v[117:118], v[119:120]
	s_waitcnt vmcnt(31) lgkmcnt(1)
	v_mul_f64 v[131:132], v[7:8], v[159:160]
	v_mul_f64 v[119:120], v[5:6], v[159:160]
	s_waitcnt vmcnt(29)
	v_fma_f64 v[127:128], v[111:112], v[141:142], -v[127:128]
	v_fma_f64 v[123:124], v[113:114], v[141:142], v[123:124]
	ds_read_b128 v[111:114], v163 offset:1552
	v_add_f64 v[115:116], v[115:116], v[133:134]
	v_add_f64 v[117:118], v[117:118], v[125:126]
	s_waitcnt vmcnt(25) lgkmcnt(1)
	v_mul_f64 v[133:134], v[3:4], v[143:144]
	s_waitcnt vmcnt(24)
	v_fma_f64 v[131:132], v[5:6], v[161:162], -v[131:132]
	v_mul_f64 v[125:126], v[1:2], v[143:144]
	v_fma_f64 v[119:120], v[7:8], v[161:162], v[119:120]
	ds_read_b128 v[5:8], v163 offset:1568
	v_add_f64 v[115:116], v[115:116], v[127:128]
	v_add_f64 v[117:118], v[117:118], v[123:124]
	s_waitcnt vmcnt(23) lgkmcnt(1)
	v_mul_f64 v[127:128], v[113:114], v[182:183]
	v_mul_f64 v[123:124], v[111:112], v[182:183]
	s_waitcnt vmcnt(21)
	v_fma_f64 v[133:134], v[1:2], v[149:150], -v[133:134]
	v_fma_f64 v[125:126], v[3:4], v[149:150], v[125:126]
	ds_read_b128 v[1:4], v163 offset:1584
	v_add_f64 v[115:116], v[115:116], v[131:132]
	v_add_f64 v[117:118], v[117:118], v[119:120]
	;; [unrolled: 18-line block ×3, first 2 shown]
	s_waitcnt vmcnt(9) lgkmcnt(1)
	v_mul_f64 v[127:128], v[113:114], v[174:175]
	s_waitcnt vmcnt(8)
	v_fma_f64 v[1:2], v[1:2], v[191:192], -v[133:134]
	v_mul_f64 v[123:124], v[111:112], v[174:175]
	v_fma_f64 v[3:4], v[3:4], v[191:192], v[125:126]
	v_add_f64 v[115:116], v[115:116], v[131:132]
	v_add_f64 v[117:118], v[117:118], v[119:120]
	s_waitcnt vmcnt(7) lgkmcnt(0)
	v_mul_f64 v[125:126], v[7:8], v[184:185]
	v_mul_f64 v[119:120], v[5:6], v[184:185]
	s_waitcnt vmcnt(5)
	v_fma_f64 v[111:112], v[111:112], v[121:122], -v[127:128]
	v_fma_f64 v[113:114], v[113:114], v[121:122], v[123:124]
	v_add_f64 v[1:2], v[115:116], v[1:2]
	v_add_f64 v[3:4], v[117:118], v[3:4]
	s_waitcnt vmcnt(4)
	v_fma_f64 v[5:6], v[5:6], v[188:189], -v[125:126]
	v_fma_f64 v[7:8], v[7:8], v[188:189], v[119:120]
	v_add_f64 v[1:2], v[1:2], v[111:112]
	v_add_f64 v[3:4], v[3:4], v[113:114]
	;; [unrolled: 1-line block ×4, first 2 shown]
	s_waitcnt vmcnt(2)
	v_add_f64 v[1:2], v[129:130], -v[1:2]
	s_waitcnt vmcnt(0)
	v_add_f64 v[3:4], v[164:165], -v[3:4]
	buffer_store_dword v2, off, s[0:3], 0 offset:228
	buffer_store_dword v1, off, s[0:3], 0 offset:224
	;; [unrolled: 1-line block ×4, first 2 shown]
	v_cmpx_lt_u32_e32 12, v0
	s_cbranch_execz .LBB114_295
; %bb.294:
	v_mov_b32_e32 v4, s51
	s_clause 0x3
	buffer_load_dword v1, v4, s[0:3], 0 offen
	buffer_load_dword v2, v4, s[0:3], 0 offen offset:4
	buffer_load_dword v3, v4, s[0:3], 0 offen offset:8
	;; [unrolled: 1-line block ×3, first 2 shown]
	buffer_store_dword v163, off, s[0:3], 0 offset:208
	buffer_store_dword v163, off, s[0:3], 0 offset:212
	;; [unrolled: 1-line block ×4, first 2 shown]
	s_waitcnt vmcnt(0)
	ds_write_b128 v171, v[1:4]
.LBB114_295:
	s_or_b32 exec_lo, exec_lo, s4
	s_waitcnt lgkmcnt(0)
	s_waitcnt_vscnt null, 0x0
	s_barrier
	buffer_gl0_inv
	s_clause 0x37
	buffer_load_dword v111, off, s[0:3], 0 offset:232
	buffer_load_dword v112, off, s[0:3], 0 offset:236
	;; [unrolled: 1-line block ×56, first 2 shown]
	ds_read_b128 v[164:167], v163 offset:1024
	s_clause 0x2
	buffer_load_dword v160, off, s[0:3], 0 offset:460
	buffer_load_dword v162, off, s[0:3], 0 offset:436
	;; [unrolled: 1-line block ×3, first 2 shown]
	ds_read_b128 v[172:175], v163 offset:1040
	s_clause 0x4
	buffer_load_dword v181, off, s[0:3], 0 offset:476
	buffer_load_dword v182, off, s[0:3], 0 offset:488
	;; [unrolled: 1-line block ×5, first 2 shown]
	ds_read_b128 v[176:179], v163 offset:1056
	s_clause 0x2
	buffer_load_dword v183, off, s[0:3], 0 offset:492
	buffer_load_dword v188, off, s[0:3], 0 offset:468
	;; [unrolled: 1-line block ×3, first 2 shown]
	s_mov_b32 s4, exec_lo
	s_waitcnt vmcnt(62) lgkmcnt(2)
	v_mul_f64 v[168:169], v[166:167], v[111:112]
	v_mul_f64 v[111:112], v[164:165], v[111:112]
	s_waitcnt lgkmcnt(1)
	v_mul_f64 v[185:186], v[174:175], v[5:6]
	s_waitcnt vmcnt(59) lgkmcnt(0)
	v_mul_f64 v[189:190], v[178:179], v[3:4]
	v_fma_f64 v[164:165], v[164:165], v[7:8], -v[168:169]
	v_mul_f64 v[168:169], v[172:173], v[5:6]
	v_fma_f64 v[111:112], v[166:167], v[7:8], v[111:112]
	s_waitcnt vmcnt(57)
	v_fma_f64 v[172:173], v[172:173], v[1:2], -v[185:186]
	ds_read_b128 v[5:8], v163 offset:1072
	v_mul_f64 v[166:167], v[176:177], v[3:4]
	s_waitcnt vmcnt(51)
	v_fma_f64 v[176:177], v[176:177], v[127:128], -v[189:190]
	v_add_f64 v[164:165], v[164:165], 0
	v_fma_f64 v[168:169], v[174:175], v[1:2], v[168:169]
	v_add_f64 v[111:112], v[111:112], 0
	s_clause 0x4
	buffer_load_dword v175, off, s[0:3], 0 offset:508
	buffer_load_dword v191, off, s[0:3], 0 offset:520
	buffer_load_dword v193, off, s[0:3], 0 offset:512
	buffer_load_dword v174, off, s[0:3], 0 offset:504
	buffer_load_dword v185, off, s[0:3], 0 offset:484
	s_waitcnt lgkmcnt(0)
	v_mul_f64 v[194:195], v[5:6], v[115:116]
	v_mul_f64 v[115:116], v[7:8], v[115:116]
	ds_read_b128 v[1:4], v163 offset:1088
	v_fma_f64 v[127:128], v[178:179], v[127:128], v[166:167]
	v_add_f64 v[172:173], v[164:165], v[172:173]
	v_add_f64 v[111:112], v[111:112], v[168:169]
	s_clause 0x2
	buffer_load_dword v192, off, s[0:3], 0 offset:524
	buffer_load_dword v169, off, s[0:3], 0 offset:500
	;; [unrolled: 1-line block ×3, first 2 shown]
	s_waitcnt vmcnt(58) lgkmcnt(0)
	v_mul_f64 v[178:179], v[1:2], v[119:120]
	v_mul_f64 v[119:120], v[3:4], v[119:120]
	s_waitcnt vmcnt(56)
	v_fma_f64 v[115:116], v[5:6], v[121:122], -v[115:116]
	ds_read_b128 v[164:167], v163 offset:1104
	v_fma_f64 v[121:122], v[7:8], v[121:122], v[194:195]
	v_add_f64 v[172:173], v[172:173], v[176:177]
	v_add_f64 v[111:112], v[111:112], v[127:128]
	s_clause 0x4
	buffer_load_dword v128, off, s[0:3], 0 offset:540
	buffer_load_dword v176, off, s[0:3], 0 offset:552
	;; [unrolled: 1-line block ×5, first 2 shown]
	ds_read_b128 v[5:8], v163 offset:1120
	s_waitcnt vmcnt(57) lgkmcnt(1)
	v_mul_f64 v[195:196], v[164:165], v[123:124]
	v_mul_f64 v[123:124], v[166:167], v[123:124]
	s_waitcnt vmcnt(56)
	v_fma_f64 v[119:120], v[1:2], v[113:114], -v[119:120]
	v_fma_f64 v[113:114], v[3:4], v[113:114], v[178:179]
	v_add_f64 v[115:116], v[172:173], v[115:116]
	v_add_f64 v[111:112], v[111:112], v[121:122]
	s_clause 0x2
	buffer_load_dword v177, off, s[0:3], 0 offset:556
	buffer_load_dword v122, off, s[0:3], 0 offset:532
	;; [unrolled: 1-line block ×3, first 2 shown]
	s_waitcnt vmcnt(58) lgkmcnt(0)
	v_mul_f64 v[172:173], v[5:6], v[129:130]
	v_mul_f64 v[129:130], v[7:8], v[129:130]
	s_waitcnt vmcnt(56)
	v_fma_f64 v[123:124], v[164:165], v[131:132], -v[123:124]
	ds_read_b128 v[1:4], v163 offset:1136
	v_add_f64 v[115:116], v[115:116], v[119:120]
	v_fma_f64 v[119:120], v[166:167], v[131:132], v[195:196]
	v_add_f64 v[131:132], v[111:112], v[113:114]
	s_clause 0x4
	buffer_load_dword v165, off, s[0:3], 0 offset:572
	buffer_load_dword v166, off, s[0:3], 0 offset:584
	;; [unrolled: 1-line block ×5, first 2 shown]
	ds_read_b128 v[111:114], v163 offset:1152
	s_waitcnt vmcnt(57) lgkmcnt(1)
	v_mul_f64 v[195:196], v[1:2], v[133:134]
	v_mul_f64 v[133:134], v[3:4], v[133:134]
	s_waitcnt vmcnt(56)
	v_fma_f64 v[129:130], v[5:6], v[117:118], -v[129:130]
	v_fma_f64 v[117:118], v[7:8], v[117:118], v[172:173]
	v_add_f64 v[115:116], v[115:116], v[123:124]
	s_clause 0x2
	buffer_load_dword v167, off, s[0:3], 0 offset:588
	buffer_load_dword v124, off, s[0:3], 0 offset:564
	;; [unrolled: 1-line block ×3, first 2 shown]
	v_add_f64 v[119:120], v[131:132], v[119:120]
	s_waitcnt vmcnt(58) lgkmcnt(0)
	v_mul_f64 v[131:132], v[111:112], v[137:138]
	v_mul_f64 v[137:138], v[113:114], v[137:138]
	ds_read_b128 v[5:8], v163 offset:1168
	s_waitcnt vmcnt(56)
	v_fma_f64 v[133:134], v[1:2], v[139:140], -v[133:134]
	v_add_f64 v[115:116], v[115:116], v[129:130]
	v_fma_f64 v[129:130], v[3:4], v[139:140], v[195:196]
	v_add_f64 v[117:118], v[119:120], v[117:118]
	s_clause 0x4
	buffer_load_dword v120, off, s[0:3], 0 offset:604
	buffer_load_dword v139, off, s[0:3], 0 offset:616
	;; [unrolled: 1-line block ×5, first 2 shown]
	s_waitcnt vmcnt(57) lgkmcnt(0)
	v_mul_f64 v[195:196], v[5:6], v[141:142]
	v_mul_f64 v[141:142], v[7:8], v[141:142]
	s_waitcnt vmcnt(56)
	v_fma_f64 v[137:138], v[111:112], v[125:126], -v[137:138]
	ds_read_b128 v[1:4], v163 offset:1184
	v_fma_f64 v[125:126], v[113:114], v[125:126], v[131:132]
	v_add_f64 v[115:116], v[115:116], v[133:134]
	v_add_f64 v[117:118], v[117:118], v[129:130]
	s_clause 0x2
	buffer_load_dword v140, off, s[0:3], 0 offset:620
	buffer_load_dword v130, off, s[0:3], 0 offset:596
	;; [unrolled: 1-line block ×3, first 2 shown]
	ds_read_b128 v[111:114], v163 offset:1200
	s_waitcnt vmcnt(58) lgkmcnt(1)
	v_mul_f64 v[133:134], v[3:4], v[145:146]
	s_waitcnt vmcnt(56)
	v_fma_f64 v[141:142], v[5:6], v[147:148], -v[141:142]
	v_mul_f64 v[131:132], v[1:2], v[145:146]
	v_add_f64 v[115:116], v[115:116], v[137:138]
	v_fma_f64 v[137:138], v[7:8], v[147:148], v[195:196]
	v_add_f64 v[117:118], v[117:118], v[125:126]
	s_clause 0x4
	buffer_load_dword v126, off, s[0:3], 0 offset:636
	buffer_load_dword v145, off, s[0:3], 0 offset:648
	;; [unrolled: 1-line block ×5, first 2 shown]
	s_waitcnt vmcnt(57) lgkmcnt(0)
	v_mul_f64 v[195:196], v[111:112], v[149:150]
	v_mul_f64 v[148:149], v[113:114], v[149:150]
	s_waitcnt vmcnt(56)
	v_fma_f64 v[133:134], v[1:2], v[135:136], -v[133:134]
	ds_read_b128 v[5:8], v163 offset:1216
	v_fma_f64 v[131:132], v[3:4], v[135:136], v[131:132]
	s_clause 0x2
	buffer_load_dword v146, off, s[0:3], 0 offset:652
	buffer_load_dword v136, off, s[0:3], 0 offset:628
	;; [unrolled: 1-line block ×3, first 2 shown]
	ds_read_b128 v[1:4], v163 offset:1232
	v_add_f64 v[115:116], v[115:116], v[141:142]
	v_add_f64 v[117:118], v[117:118], v[137:138]
	s_waitcnt vmcnt(58) lgkmcnt(1)
	v_mul_f64 v[141:142], v[7:8], v[153:154]
	s_waitcnt vmcnt(56)
	v_fma_f64 v[149:150], v[111:112], v[155:156], -v[148:149]
	v_mul_f64 v[137:138], v[5:6], v[153:154]
	v_add_f64 v[115:116], v[115:116], v[133:134]
	v_fma_f64 v[133:134], v[113:114], v[155:156], v[195:196]
	v_add_f64 v[117:118], v[117:118], v[131:132]
	s_clause 0x4
	buffer_load_dword v132, off, s[0:3], 0 offset:668
	buffer_load_dword v153, off, s[0:3], 0 offset:680
	;; [unrolled: 1-line block ×5, first 2 shown]
	s_waitcnt vmcnt(57) lgkmcnt(0)
	v_mul_f64 v[195:196], v[1:2], v[157:158]
	v_mul_f64 v[156:157], v[3:4], v[157:158]
	s_waitcnt vmcnt(56)
	v_fma_f64 v[141:142], v[5:6], v[143:144], -v[141:142]
	ds_read_b128 v[111:114], v163 offset:1248
	v_fma_f64 v[137:138], v[7:8], v[143:144], v[137:138]
	v_add_f64 v[115:116], v[115:116], v[149:150]
	v_add_f64 v[117:118], v[117:118], v[133:134]
	s_clause 0x2
	buffer_load_dword v154, off, s[0:3], 0 offset:684
	buffer_load_dword v134, off, s[0:3], 0 offset:660
	;; [unrolled: 1-line block ×3, first 2 shown]
	ds_read_b128 v[5:8], v163 offset:1264
	s_waitcnt vmcnt(58) lgkmcnt(1)
	v_mul_f64 v[149:150], v[113:114], v[159:160]
	s_waitcnt vmcnt(56)
	v_fma_f64 v[157:158], v[1:2], v[161:162], -v[156:157]
	v_mul_f64 v[143:144], v[111:112], v[159:160]
	v_add_f64 v[115:116], v[115:116], v[141:142]
	v_fma_f64 v[141:142], v[3:4], v[161:162], v[195:196]
	v_add_f64 v[117:118], v[117:118], v[137:138]
	s_clause 0x4
	buffer_load_dword v138, off, s[0:3], 0 offset:700
	buffer_load_dword v159, off, s[0:3], 0 offset:712
	;; [unrolled: 1-line block ×5, first 2 shown]
	s_waitcnt vmcnt(57) lgkmcnt(0)
	v_mul_f64 v[195:196], v[5:6], v[180:181]
	v_mul_f64 v[180:181], v[7:8], v[180:181]
	s_waitcnt vmcnt(56)
	v_fma_f64 v[149:150], v[111:112], v[151:152], -v[149:150]
	ds_read_b128 v[1:4], v163 offset:1280
	v_fma_f64 v[143:144], v[113:114], v[151:152], v[143:144]
	v_add_f64 v[115:116], v[115:116], v[157:158]
	v_add_f64 v[117:118], v[117:118], v[141:142]
	s_clause 0x2
	buffer_load_dword v160, off, s[0:3], 0 offset:716
	buffer_load_dword v142, off, s[0:3], 0 offset:692
	;; [unrolled: 1-line block ×3, first 2 shown]
	ds_read_b128 v[111:114], v163 offset:1296
	s_waitcnt vmcnt(58) lgkmcnt(1)
	v_mul_f64 v[157:158], v[3:4], v[182:183]
	s_waitcnt vmcnt(56)
	v_fma_f64 v[180:181], v[5:6], v[187:188], -v[180:181]
	v_mul_f64 v[151:152], v[1:2], v[182:183]
	v_add_f64 v[115:116], v[115:116], v[149:150]
	v_fma_f64 v[149:150], v[7:8], v[187:188], v[195:196]
	v_add_f64 v[117:118], v[117:118], v[143:144]
	s_clause 0x4
	buffer_load_dword v144, off, s[0:3], 0 offset:732
	buffer_load_dword v182, off, s[0:3], 0 offset:744
	;; [unrolled: 1-line block ×5, first 2 shown]
	ds_read_b128 v[5:8], v163 offset:1312
	s_waitcnt vmcnt(57) lgkmcnt(1)
	v_mul_f64 v[187:188], v[111:112], v[174:175]
	v_mul_f64 v[174:175], v[113:114], v[174:175]
	s_waitcnt vmcnt(56)
	v_fma_f64 v[157:158], v[1:2], v[184:185], -v[157:158]
	v_fma_f64 v[151:152], v[3:4], v[184:185], v[151:152]
	v_add_f64 v[115:116], v[115:116], v[180:181]
	v_add_f64 v[117:118], v[117:118], v[149:150]
	s_clause 0x2
	buffer_load_dword v183, off, s[0:3], 0 offset:748
	buffer_load_dword v150, off, s[0:3], 0 offset:724
	;; [unrolled: 1-line block ×3, first 2 shown]
	ds_read_b128 v[1:4], v163 offset:1328
	s_waitcnt vmcnt(58) lgkmcnt(1)
	v_mul_f64 v[184:185], v[7:8], v[191:192]
	v_mul_f64 v[180:181], v[5:6], v[191:192]
	s_waitcnt vmcnt(56)
	v_fma_f64 v[174:175], v[111:112], v[168:169], -v[174:175]
	v_add_f64 v[115:116], v[115:116], v[157:158]
	v_fma_f64 v[157:158], v[113:114], v[168:169], v[187:188]
	v_add_f64 v[117:118], v[117:118], v[151:152]
	s_clause 0x4
	buffer_load_dword v152, off, s[0:3], 0 offset:764
	buffer_load_dword v168, off, s[0:3], 0 offset:776
	;; [unrolled: 1-line block ×5, first 2 shown]
	ds_read_b128 v[111:114], v163 offset:1344
	s_waitcnt vmcnt(57) lgkmcnt(1)
	v_mul_f64 v[195:196], v[1:2], v[127:128]
	v_mul_f64 v[127:128], v[3:4], v[127:128]
	s_waitcnt vmcnt(56)
	v_fma_f64 v[184:185], v[5:6], v[193:194], -v[184:185]
	v_add_f64 v[115:116], v[115:116], v[174:175]
	v_fma_f64 v[174:175], v[7:8], v[193:194], v[180:181]
	v_add_f64 v[117:118], v[117:118], v[157:158]
	s_clause 0x2
	buffer_load_dword v169, off, s[0:3], 0 offset:780
	buffer_load_dword v158, off, s[0:3], 0 offset:756
	;; [unrolled: 1-line block ×3, first 2 shown]
	ds_read_b128 v[5:8], v163 offset:1360
	s_waitcnt vmcnt(58) lgkmcnt(1)
	v_mul_f64 v[180:181], v[111:112], v[176:177]
	v_mul_f64 v[176:177], v[113:114], v[176:177]
	s_waitcnt vmcnt(56)
	v_fma_f64 v[127:128], v[1:2], v[121:122], -v[127:128]
	v_fma_f64 v[121:122], v[3:4], v[121:122], v[195:196]
	v_add_f64 v[115:116], v[115:116], v[184:185]
	v_add_f64 v[117:118], v[117:118], v[174:175]
	s_clause 0x4
	buffer_load_dword v175, off, s[0:3], 0 offset:796
	buffer_load_dword v184, off, s[0:3], 0 offset:808
	;; [unrolled: 1-line block ×5, first 2 shown]
	ds_read_b128 v[1:4], v163 offset:1376
	s_waitcnt vmcnt(57) lgkmcnt(1)
	v_mul_f64 v[193:194], v[5:6], v[164:165]
	v_mul_f64 v[164:165], v[7:8], v[164:165]
	s_waitcnt vmcnt(56)
	v_fma_f64 v[176:177], v[111:112], v[189:190], -v[176:177]
	v_add_f64 v[115:116], v[115:116], v[127:128]
	v_fma_f64 v[127:128], v[113:114], v[189:190], v[180:181]
	v_add_f64 v[117:118], v[117:118], v[121:122]
	s_clause 0x2
	buffer_load_dword v185, off, s[0:3], 0 offset:812
	buffer_load_dword v122, off, s[0:3], 0 offset:788
	;; [unrolled: 1-line block ×3, first 2 shown]
	ds_read_b128 v[111:114], v163 offset:1392
	s_waitcnt vmcnt(58) lgkmcnt(1)
	v_mul_f64 v[180:181], v[1:2], v[166:167]
	v_mul_f64 v[166:167], v[3:4], v[166:167]
	s_waitcnt vmcnt(56)
	v_fma_f64 v[164:165], v[5:6], v[123:124], -v[164:165]
	v_fma_f64 v[123:124], v[7:8], v[123:124], v[193:194]
	v_add_f64 v[115:116], v[115:116], v[176:177]
	v_add_f64 v[117:118], v[117:118], v[127:128]
	s_clause 0x2
	buffer_load_dword v128, off, s[0:3], 0 offset:828
	buffer_load_dword v127, off, s[0:3], 0 offset:824
	;; [unrolled: 1-line block ×3, first 2 shown]
	ds_read_b128 v[5:8], v163 offset:1408
	s_waitcnt vmcnt(55) lgkmcnt(1)
	v_mul_f64 v[176:177], v[111:112], v[119:120]
	v_mul_f64 v[119:120], v[113:114], v[119:120]
	s_waitcnt vmcnt(54)
	v_fma_f64 v[166:167], v[1:2], v[178:179], -v[166:167]
	v_add_f64 v[115:116], v[115:116], v[164:165]
	v_fma_f64 v[164:165], v[3:4], v[178:179], v[180:181]
	v_add_f64 v[117:118], v[117:118], v[123:124]
	s_clause 0x1
	buffer_load_dword v124, off, s[0:3], 0 offset:820
	buffer_load_dword v123, off, s[0:3], 0 offset:816
	ds_read_b128 v[1:4], v163 offset:1424
	s_waitcnt vmcnt(55) lgkmcnt(1)
	v_mul_f64 v[178:179], v[5:6], v[139:140]
	v_mul_f64 v[139:140], v[7:8], v[139:140]
	s_waitcnt vmcnt(53)
	v_fma_f64 v[119:120], v[111:112], v[129:130], -v[119:120]
	v_fma_f64 v[129:130], v[113:114], v[129:130], v[176:177]
	ds_read_b128 v[111:114], v163 offset:1440
	v_add_f64 v[115:116], v[115:116], v[166:167]
	v_add_f64 v[117:118], v[117:118], v[164:165]
	s_waitcnt vmcnt(49) lgkmcnt(1)
	v_mul_f64 v[164:165], v[1:2], v[125:126]
	v_mul_f64 v[125:126], v[3:4], v[125:126]
	s_waitcnt vmcnt(48)
	v_fma_f64 v[139:140], v[5:6], v[172:173], -v[139:140]
	v_add_f64 v[115:116], v[115:116], v[119:120]
	v_fma_f64 v[119:120], v[7:8], v[172:173], v[178:179]
	v_add_f64 v[117:118], v[117:118], v[129:130]
	s_clause 0x3
	buffer_load_dword v129, off, s[0:3], 0 offset:208
	buffer_load_dword v130, off, s[0:3], 0 offset:212
	buffer_load_dword v166, off, s[0:3], 0 offset:216
	buffer_load_dword v167, off, s[0:3], 0 offset:220
	s_waitcnt vmcnt(51) lgkmcnt(0)
	v_mul_f64 v[172:173], v[111:112], v[145:146]
	v_mul_f64 v[145:146], v[113:114], v[145:146]
	ds_read_b128 v[5:8], v163 offset:1456
	s_waitcnt vmcnt(49)
	v_fma_f64 v[125:126], v[1:2], v[135:136], -v[125:126]
	v_fma_f64 v[135:136], v[3:4], v[135:136], v[164:165]
	ds_read_b128 v[1:4], v163 offset:1472
	v_add_f64 v[115:116], v[115:116], v[139:140]
	v_add_f64 v[117:118], v[117:118], v[119:120]
	s_waitcnt vmcnt(45) lgkmcnt(1)
	v_mul_f64 v[119:120], v[5:6], v[131:132]
	v_mul_f64 v[131:132], v[7:8], v[131:132]
	s_waitcnt vmcnt(44)
	v_fma_f64 v[139:140], v[111:112], v[147:148], -v[145:146]
	v_add_f64 v[115:116], v[115:116], v[125:126]
	v_fma_f64 v[125:126], v[113:114], v[147:148], v[172:173]
	v_add_f64 v[117:118], v[117:118], v[135:136]
	ds_read_b128 v[111:114], v163 offset:1488
	s_waitcnt vmcnt(43) lgkmcnt(1)
	v_mul_f64 v[145:146], v[3:4], v[153:154]
	v_mul_f64 v[135:136], v[1:2], v[153:154]
	s_waitcnt vmcnt(41)
	v_fma_f64 v[131:132], v[5:6], v[133:134], -v[131:132]
	v_fma_f64 v[119:120], v[7:8], v[133:134], v[119:120]
	ds_read_b128 v[5:8], v163 offset:1504
	v_add_f64 v[115:116], v[115:116], v[139:140]
	v_add_f64 v[117:118], v[117:118], v[125:126]
	s_waitcnt vmcnt(37) lgkmcnt(1)
	v_mul_f64 v[125:126], v[111:112], v[137:138]
	v_mul_f64 v[133:134], v[113:114], v[137:138]
	s_waitcnt vmcnt(36)
	v_fma_f64 v[137:138], v[1:2], v[155:156], -v[145:146]
	v_add_f64 v[115:116], v[115:116], v[131:132]
	v_fma_f64 v[131:132], v[3:4], v[155:156], v[135:136]
	v_add_f64 v[117:118], v[117:118], v[119:120]
	ds_read_b128 v[1:4], v163 offset:1520
	s_waitcnt vmcnt(35) lgkmcnt(1)
	v_mul_f64 v[135:136], v[7:8], v[159:160]
	v_mul_f64 v[119:120], v[5:6], v[159:160]
	s_waitcnt vmcnt(33)
	v_fma_f64 v[133:134], v[111:112], v[141:142], -v[133:134]
	v_fma_f64 v[125:126], v[113:114], v[141:142], v[125:126]
	ds_read_b128 v[111:114], v163 offset:1536
	v_add_f64 v[115:116], v[115:116], v[137:138]
	v_add_f64 v[117:118], v[117:118], v[131:132]
	s_waitcnt vmcnt(29) lgkmcnt(1)
	v_mul_f64 v[137:138], v[3:4], v[143:144]
	s_waitcnt vmcnt(28)
	v_fma_f64 v[135:136], v[5:6], v[161:162], -v[135:136]
	v_mul_f64 v[131:132], v[1:2], v[143:144]
	v_fma_f64 v[119:120], v[7:8], v[161:162], v[119:120]
	ds_read_b128 v[5:8], v163 offset:1552
	v_add_f64 v[115:116], v[115:116], v[133:134]
	v_add_f64 v[117:118], v[117:118], v[125:126]
	s_waitcnt vmcnt(27) lgkmcnt(1)
	v_mul_f64 v[133:134], v[113:114], v[182:183]
	v_mul_f64 v[125:126], v[111:112], v[182:183]
	s_waitcnt vmcnt(25)
	v_fma_f64 v[137:138], v[1:2], v[149:150], -v[137:138]
	v_fma_f64 v[131:132], v[3:4], v[149:150], v[131:132]
	ds_read_b128 v[1:4], v163 offset:1568
	v_add_f64 v[115:116], v[115:116], v[135:136]
	v_add_f64 v[117:118], v[117:118], v[119:120]
	s_waitcnt vmcnt(21) lgkmcnt(1)
	v_mul_f64 v[135:136], v[7:8], v[151:152]
	s_waitcnt vmcnt(20)
	v_fma_f64 v[133:134], v[111:112], v[186:187], -v[133:134]
	v_mul_f64 v[119:120], v[5:6], v[151:152]
	v_fma_f64 v[125:126], v[113:114], v[186:187], v[125:126]
	ds_read_b128 v[111:114], v163 offset:1584
	v_add_f64 v[115:116], v[115:116], v[137:138]
	v_add_f64 v[117:118], v[117:118], v[131:132]
	s_waitcnt vmcnt(19) lgkmcnt(1)
	v_mul_f64 v[137:138], v[3:4], v[168:169]
	v_mul_f64 v[131:132], v[1:2], v[168:169]
	s_waitcnt vmcnt(17)
	v_fma_f64 v[135:136], v[5:6], v[157:158], -v[135:136]
	v_fma_f64 v[119:120], v[7:8], v[157:158], v[119:120]
	ds_read_b128 v[5:8], v163 offset:1600
	v_add_f64 v[115:116], v[115:116], v[133:134]
	v_add_f64 v[117:118], v[117:118], v[125:126]
	s_waitcnt vmcnt(13) lgkmcnt(1)
	v_mul_f64 v[133:134], v[113:114], v[174:175]
	s_waitcnt vmcnt(12)
	v_fma_f64 v[137:138], v[1:2], v[191:192], -v[137:138]
	v_mul_f64 v[125:126], v[111:112], v[174:175]
	v_fma_f64 v[131:132], v[3:4], v[191:192], v[131:132]
	ds_read_b128 v[1:4], v163 offset:1616
	v_add_f64 v[115:116], v[115:116], v[135:136]
	v_add_f64 v[117:118], v[117:118], v[119:120]
	s_waitcnt vmcnt(11) lgkmcnt(1)
	v_mul_f64 v[135:136], v[7:8], v[184:185]
	v_mul_f64 v[119:120], v[5:6], v[184:185]
	s_waitcnt vmcnt(9)
	v_fma_f64 v[111:112], v[111:112], v[121:122], -v[133:134]
	v_fma_f64 v[113:114], v[113:114], v[121:122], v[125:126]
	v_add_f64 v[115:116], v[115:116], v[137:138]
	v_add_f64 v[117:118], v[117:118], v[131:132]
	s_waitcnt vmcnt(7) lgkmcnt(0)
	v_mul_f64 v[125:126], v[3:4], v[127:128]
	s_waitcnt vmcnt(6)
	v_fma_f64 v[5:6], v[5:6], v[188:189], -v[135:136]
	v_mul_f64 v[121:122], v[1:2], v[127:128]
	v_fma_f64 v[7:8], v[7:8], v[188:189], v[119:120]
	v_add_f64 v[111:112], v[115:116], v[111:112]
	v_add_f64 v[113:114], v[117:118], v[113:114]
	s_waitcnt vmcnt(4)
	v_fma_f64 v[1:2], v[1:2], v[123:124], -v[125:126]
	v_fma_f64 v[3:4], v[3:4], v[123:124], v[121:122]
	v_add_f64 v[5:6], v[111:112], v[5:6]
	v_add_f64 v[7:8], v[113:114], v[7:8]
	;; [unrolled: 1-line block ×4, first 2 shown]
	s_waitcnt vmcnt(2)
	v_add_f64 v[1:2], v[129:130], -v[1:2]
	s_waitcnt vmcnt(0)
	v_add_f64 v[3:4], v[166:167], -v[3:4]
	buffer_store_dword v2, off, s[0:3], 0 offset:212
	buffer_store_dword v1, off, s[0:3], 0 offset:208
	;; [unrolled: 1-line block ×4, first 2 shown]
	v_cmpx_lt_u32_e32 11, v0
	s_cbranch_execz .LBB114_297
; %bb.296:
	v_mov_b32_e32 v4, s52
	v_mov_b32_e32 v5, 0
	s_clause 0x3
	buffer_load_dword v1, v4, s[0:3], 0 offen
	buffer_load_dword v2, v4, s[0:3], 0 offen offset:4
	buffer_load_dword v3, v4, s[0:3], 0 offen offset:8
	;; [unrolled: 1-line block ×3, first 2 shown]
	buffer_store_dword v5, off, s[0:3], 0 offset:192
	buffer_store_dword v5, off, s[0:3], 0 offset:196
	buffer_store_dword v5, off, s[0:3], 0 offset:200
	buffer_store_dword v5, off, s[0:3], 0 offset:204
	s_waitcnt vmcnt(0)
	ds_write_b128 v171, v[1:4]
.LBB114_297:
	s_or_b32 exec_lo, exec_lo, s4
	s_waitcnt lgkmcnt(0)
	s_waitcnt_vscnt null, 0x0
	s_barrier
	buffer_gl0_inv
	s_clause 0x37
	buffer_load_dword v111, off, s[0:3], 0 offset:216
	buffer_load_dword v112, off, s[0:3], 0 offset:220
	;; [unrolled: 1-line block ×56, first 2 shown]
	v_mov_b32_e32 v163, 0
	s_mov_b32 s4, exec_lo
	ds_read_b128 v[164:167], v163 offset:1008
	s_clause 0x2
	buffer_load_dword v160, off, s[0:3], 0 offset:444
	buffer_load_dword v162, off, s[0:3], 0 offset:420
	;; [unrolled: 1-line block ×3, first 2 shown]
	ds_read_b128 v[172:175], v163 offset:1024
	s_clause 0x4
	buffer_load_dword v181, off, s[0:3], 0 offset:460
	buffer_load_dword v182, off, s[0:3], 0 offset:472
	;; [unrolled: 1-line block ×5, first 2 shown]
	ds_read_b128 v[176:179], v163 offset:1040
	s_clause 0x2
	buffer_load_dword v183, off, s[0:3], 0 offset:476
	buffer_load_dword v188, off, s[0:3], 0 offset:452
	buffer_load_dword v187, off, s[0:3], 0 offset:448
	s_waitcnt vmcnt(62) lgkmcnt(2)
	v_mul_f64 v[168:169], v[166:167], v[111:112]
	v_mul_f64 v[111:112], v[164:165], v[111:112]
	s_waitcnt lgkmcnt(1)
	v_mul_f64 v[185:186], v[174:175], v[5:6]
	s_waitcnt vmcnt(59) lgkmcnt(0)
	v_mul_f64 v[189:190], v[178:179], v[3:4]
	v_fma_f64 v[164:165], v[164:165], v[7:8], -v[168:169]
	v_mul_f64 v[168:169], v[172:173], v[5:6]
	v_fma_f64 v[111:112], v[166:167], v[7:8], v[111:112]
	s_waitcnt vmcnt(57)
	v_fma_f64 v[172:173], v[172:173], v[1:2], -v[185:186]
	ds_read_b128 v[5:8], v163 offset:1056
	v_mul_f64 v[166:167], v[176:177], v[3:4]
	s_waitcnt vmcnt(51)
	v_fma_f64 v[176:177], v[176:177], v[127:128], -v[189:190]
	v_add_f64 v[164:165], v[164:165], 0
	v_fma_f64 v[168:169], v[174:175], v[1:2], v[168:169]
	v_add_f64 v[111:112], v[111:112], 0
	s_clause 0x4
	buffer_load_dword v175, off, s[0:3], 0 offset:492
	buffer_load_dword v191, off, s[0:3], 0 offset:504
	;; [unrolled: 1-line block ×5, first 2 shown]
	s_waitcnt lgkmcnt(0)
	v_mul_f64 v[194:195], v[5:6], v[115:116]
	v_mul_f64 v[115:116], v[7:8], v[115:116]
	ds_read_b128 v[1:4], v163 offset:1072
	v_fma_f64 v[127:128], v[178:179], v[127:128], v[166:167]
	v_add_f64 v[172:173], v[164:165], v[172:173]
	v_add_f64 v[111:112], v[111:112], v[168:169]
	s_clause 0x2
	buffer_load_dword v192, off, s[0:3], 0 offset:508
	buffer_load_dword v169, off, s[0:3], 0 offset:484
	buffer_load_dword v168, off, s[0:3], 0 offset:480
	s_waitcnt vmcnt(58) lgkmcnt(0)
	v_mul_f64 v[178:179], v[1:2], v[119:120]
	v_mul_f64 v[119:120], v[3:4], v[119:120]
	s_waitcnt vmcnt(56)
	v_fma_f64 v[115:116], v[5:6], v[121:122], -v[115:116]
	ds_read_b128 v[164:167], v163 offset:1088
	v_fma_f64 v[121:122], v[7:8], v[121:122], v[194:195]
	v_add_f64 v[172:173], v[172:173], v[176:177]
	v_add_f64 v[111:112], v[111:112], v[127:128]
	s_clause 0x4
	buffer_load_dword v128, off, s[0:3], 0 offset:524
	buffer_load_dword v176, off, s[0:3], 0 offset:536
	;; [unrolled: 1-line block ×5, first 2 shown]
	ds_read_b128 v[5:8], v163 offset:1104
	s_waitcnt vmcnt(57) lgkmcnt(1)
	v_mul_f64 v[195:196], v[164:165], v[123:124]
	v_mul_f64 v[123:124], v[166:167], v[123:124]
	s_waitcnt vmcnt(56)
	v_fma_f64 v[119:120], v[1:2], v[113:114], -v[119:120]
	v_fma_f64 v[113:114], v[3:4], v[113:114], v[178:179]
	v_add_f64 v[115:116], v[172:173], v[115:116]
	v_add_f64 v[111:112], v[111:112], v[121:122]
	s_clause 0x2
	buffer_load_dword v177, off, s[0:3], 0 offset:540
	buffer_load_dword v122, off, s[0:3], 0 offset:516
	;; [unrolled: 1-line block ×3, first 2 shown]
	s_waitcnt vmcnt(58) lgkmcnt(0)
	v_mul_f64 v[172:173], v[5:6], v[129:130]
	v_mul_f64 v[129:130], v[7:8], v[129:130]
	s_waitcnt vmcnt(56)
	v_fma_f64 v[123:124], v[164:165], v[131:132], -v[123:124]
	ds_read_b128 v[1:4], v163 offset:1120
	v_add_f64 v[115:116], v[115:116], v[119:120]
	v_fma_f64 v[119:120], v[166:167], v[131:132], v[195:196]
	v_add_f64 v[131:132], v[111:112], v[113:114]
	s_clause 0x4
	buffer_load_dword v165, off, s[0:3], 0 offset:556
	buffer_load_dword v166, off, s[0:3], 0 offset:568
	;; [unrolled: 1-line block ×5, first 2 shown]
	ds_read_b128 v[111:114], v163 offset:1136
	s_waitcnt vmcnt(57) lgkmcnt(1)
	v_mul_f64 v[195:196], v[1:2], v[133:134]
	v_mul_f64 v[133:134], v[3:4], v[133:134]
	s_waitcnt vmcnt(56)
	v_fma_f64 v[129:130], v[5:6], v[117:118], -v[129:130]
	v_fma_f64 v[117:118], v[7:8], v[117:118], v[172:173]
	v_add_f64 v[115:116], v[115:116], v[123:124]
	s_clause 0x2
	buffer_load_dword v167, off, s[0:3], 0 offset:572
	buffer_load_dword v124, off, s[0:3], 0 offset:548
	;; [unrolled: 1-line block ×3, first 2 shown]
	v_add_f64 v[119:120], v[131:132], v[119:120]
	s_waitcnt vmcnt(58) lgkmcnt(0)
	v_mul_f64 v[131:132], v[111:112], v[137:138]
	v_mul_f64 v[137:138], v[113:114], v[137:138]
	ds_read_b128 v[5:8], v163 offset:1152
	s_waitcnt vmcnt(56)
	v_fma_f64 v[133:134], v[1:2], v[139:140], -v[133:134]
	v_add_f64 v[115:116], v[115:116], v[129:130]
	v_fma_f64 v[129:130], v[3:4], v[139:140], v[195:196]
	v_add_f64 v[117:118], v[119:120], v[117:118]
	s_clause 0x4
	buffer_load_dword v120, off, s[0:3], 0 offset:588
	buffer_load_dword v139, off, s[0:3], 0 offset:600
	;; [unrolled: 1-line block ×5, first 2 shown]
	s_waitcnt vmcnt(57) lgkmcnt(0)
	v_mul_f64 v[195:196], v[5:6], v[141:142]
	v_mul_f64 v[141:142], v[7:8], v[141:142]
	s_waitcnt vmcnt(56)
	v_fma_f64 v[137:138], v[111:112], v[125:126], -v[137:138]
	ds_read_b128 v[1:4], v163 offset:1168
	v_fma_f64 v[125:126], v[113:114], v[125:126], v[131:132]
	v_add_f64 v[115:116], v[115:116], v[133:134]
	v_add_f64 v[117:118], v[117:118], v[129:130]
	s_clause 0x2
	buffer_load_dword v140, off, s[0:3], 0 offset:604
	buffer_load_dword v130, off, s[0:3], 0 offset:580
	;; [unrolled: 1-line block ×3, first 2 shown]
	ds_read_b128 v[111:114], v163 offset:1184
	s_waitcnt vmcnt(58) lgkmcnt(1)
	v_mul_f64 v[133:134], v[3:4], v[145:146]
	s_waitcnt vmcnt(56)
	v_fma_f64 v[141:142], v[5:6], v[147:148], -v[141:142]
	v_mul_f64 v[131:132], v[1:2], v[145:146]
	v_add_f64 v[115:116], v[115:116], v[137:138]
	v_fma_f64 v[137:138], v[7:8], v[147:148], v[195:196]
	v_add_f64 v[117:118], v[117:118], v[125:126]
	s_clause 0x4
	buffer_load_dword v126, off, s[0:3], 0 offset:620
	buffer_load_dword v145, off, s[0:3], 0 offset:632
	;; [unrolled: 1-line block ×5, first 2 shown]
	s_waitcnt vmcnt(57) lgkmcnt(0)
	v_mul_f64 v[195:196], v[111:112], v[149:150]
	v_mul_f64 v[148:149], v[113:114], v[149:150]
	s_waitcnt vmcnt(56)
	v_fma_f64 v[133:134], v[1:2], v[135:136], -v[133:134]
	ds_read_b128 v[5:8], v163 offset:1200
	v_fma_f64 v[131:132], v[3:4], v[135:136], v[131:132]
	s_clause 0x2
	buffer_load_dword v146, off, s[0:3], 0 offset:636
	buffer_load_dword v136, off, s[0:3], 0 offset:612
	;; [unrolled: 1-line block ×3, first 2 shown]
	ds_read_b128 v[1:4], v163 offset:1216
	v_add_f64 v[115:116], v[115:116], v[141:142]
	v_add_f64 v[117:118], v[117:118], v[137:138]
	s_waitcnt vmcnt(58) lgkmcnt(1)
	v_mul_f64 v[141:142], v[7:8], v[153:154]
	s_waitcnt vmcnt(56)
	v_fma_f64 v[149:150], v[111:112], v[155:156], -v[148:149]
	v_mul_f64 v[137:138], v[5:6], v[153:154]
	v_add_f64 v[115:116], v[115:116], v[133:134]
	v_fma_f64 v[133:134], v[113:114], v[155:156], v[195:196]
	v_add_f64 v[117:118], v[117:118], v[131:132]
	s_clause 0x4
	buffer_load_dword v132, off, s[0:3], 0 offset:652
	buffer_load_dword v153, off, s[0:3], 0 offset:664
	;; [unrolled: 1-line block ×5, first 2 shown]
	s_waitcnt vmcnt(57) lgkmcnt(0)
	v_mul_f64 v[195:196], v[1:2], v[157:158]
	v_mul_f64 v[156:157], v[3:4], v[157:158]
	s_waitcnt vmcnt(56)
	v_fma_f64 v[141:142], v[5:6], v[143:144], -v[141:142]
	ds_read_b128 v[111:114], v163 offset:1232
	v_fma_f64 v[137:138], v[7:8], v[143:144], v[137:138]
	v_add_f64 v[115:116], v[115:116], v[149:150]
	v_add_f64 v[117:118], v[117:118], v[133:134]
	s_clause 0x2
	buffer_load_dword v154, off, s[0:3], 0 offset:668
	buffer_load_dword v134, off, s[0:3], 0 offset:644
	;; [unrolled: 1-line block ×3, first 2 shown]
	ds_read_b128 v[5:8], v163 offset:1248
	s_waitcnt vmcnt(58) lgkmcnt(1)
	v_mul_f64 v[149:150], v[113:114], v[159:160]
	s_waitcnt vmcnt(56)
	v_fma_f64 v[157:158], v[1:2], v[161:162], -v[156:157]
	v_mul_f64 v[143:144], v[111:112], v[159:160]
	v_add_f64 v[115:116], v[115:116], v[141:142]
	v_fma_f64 v[141:142], v[3:4], v[161:162], v[195:196]
	v_add_f64 v[117:118], v[117:118], v[137:138]
	s_clause 0x4
	buffer_load_dword v138, off, s[0:3], 0 offset:684
	buffer_load_dword v159, off, s[0:3], 0 offset:696
	;; [unrolled: 1-line block ×5, first 2 shown]
	s_waitcnt vmcnt(57) lgkmcnt(0)
	v_mul_f64 v[195:196], v[5:6], v[180:181]
	v_mul_f64 v[180:181], v[7:8], v[180:181]
	s_waitcnt vmcnt(56)
	v_fma_f64 v[149:150], v[111:112], v[151:152], -v[149:150]
	ds_read_b128 v[1:4], v163 offset:1264
	v_fma_f64 v[143:144], v[113:114], v[151:152], v[143:144]
	v_add_f64 v[115:116], v[115:116], v[157:158]
	v_add_f64 v[117:118], v[117:118], v[141:142]
	s_clause 0x2
	buffer_load_dword v160, off, s[0:3], 0 offset:700
	buffer_load_dword v142, off, s[0:3], 0 offset:676
	buffer_load_dword v141, off, s[0:3], 0 offset:672
	ds_read_b128 v[111:114], v163 offset:1280
	s_waitcnt vmcnt(58) lgkmcnt(1)
	v_mul_f64 v[157:158], v[3:4], v[182:183]
	s_waitcnt vmcnt(56)
	v_fma_f64 v[180:181], v[5:6], v[187:188], -v[180:181]
	v_mul_f64 v[151:152], v[1:2], v[182:183]
	v_add_f64 v[115:116], v[115:116], v[149:150]
	v_fma_f64 v[149:150], v[7:8], v[187:188], v[195:196]
	v_add_f64 v[117:118], v[117:118], v[143:144]
	s_clause 0x4
	buffer_load_dword v144, off, s[0:3], 0 offset:716
	buffer_load_dword v182, off, s[0:3], 0 offset:728
	;; [unrolled: 1-line block ×5, first 2 shown]
	ds_read_b128 v[5:8], v163 offset:1296
	s_waitcnt vmcnt(57) lgkmcnt(1)
	v_mul_f64 v[187:188], v[111:112], v[174:175]
	v_mul_f64 v[174:175], v[113:114], v[174:175]
	s_waitcnt vmcnt(56)
	v_fma_f64 v[157:158], v[1:2], v[184:185], -v[157:158]
	v_fma_f64 v[151:152], v[3:4], v[184:185], v[151:152]
	v_add_f64 v[115:116], v[115:116], v[180:181]
	v_add_f64 v[117:118], v[117:118], v[149:150]
	s_clause 0x2
	buffer_load_dword v183, off, s[0:3], 0 offset:732
	buffer_load_dword v150, off, s[0:3], 0 offset:708
	;; [unrolled: 1-line block ×3, first 2 shown]
	ds_read_b128 v[1:4], v163 offset:1312
	s_waitcnt vmcnt(58) lgkmcnt(1)
	v_mul_f64 v[184:185], v[7:8], v[191:192]
	v_mul_f64 v[180:181], v[5:6], v[191:192]
	s_waitcnt vmcnt(56)
	v_fma_f64 v[174:175], v[111:112], v[168:169], -v[174:175]
	v_add_f64 v[115:116], v[115:116], v[157:158]
	v_fma_f64 v[157:158], v[113:114], v[168:169], v[187:188]
	v_add_f64 v[117:118], v[117:118], v[151:152]
	s_clause 0x4
	buffer_load_dword v152, off, s[0:3], 0 offset:748
	buffer_load_dword v168, off, s[0:3], 0 offset:760
	;; [unrolled: 1-line block ×5, first 2 shown]
	ds_read_b128 v[111:114], v163 offset:1328
	s_waitcnt vmcnt(57) lgkmcnt(1)
	v_mul_f64 v[195:196], v[1:2], v[127:128]
	v_mul_f64 v[127:128], v[3:4], v[127:128]
	s_waitcnt vmcnt(56)
	v_fma_f64 v[184:185], v[5:6], v[193:194], -v[184:185]
	v_add_f64 v[115:116], v[115:116], v[174:175]
	v_fma_f64 v[174:175], v[7:8], v[193:194], v[180:181]
	v_add_f64 v[117:118], v[117:118], v[157:158]
	s_clause 0x2
	buffer_load_dword v169, off, s[0:3], 0 offset:764
	buffer_load_dword v158, off, s[0:3], 0 offset:740
	;; [unrolled: 1-line block ×3, first 2 shown]
	ds_read_b128 v[5:8], v163 offset:1344
	s_waitcnt vmcnt(58) lgkmcnt(1)
	v_mul_f64 v[180:181], v[111:112], v[176:177]
	v_mul_f64 v[176:177], v[113:114], v[176:177]
	s_waitcnt vmcnt(56)
	v_fma_f64 v[127:128], v[1:2], v[121:122], -v[127:128]
	v_fma_f64 v[121:122], v[3:4], v[121:122], v[195:196]
	v_add_f64 v[115:116], v[115:116], v[184:185]
	v_add_f64 v[117:118], v[117:118], v[174:175]
	s_clause 0x4
	buffer_load_dword v175, off, s[0:3], 0 offset:780
	buffer_load_dword v184, off, s[0:3], 0 offset:792
	;; [unrolled: 1-line block ×5, first 2 shown]
	ds_read_b128 v[1:4], v163 offset:1360
	s_waitcnt vmcnt(57) lgkmcnt(1)
	v_mul_f64 v[193:194], v[5:6], v[164:165]
	v_mul_f64 v[164:165], v[7:8], v[164:165]
	s_waitcnt vmcnt(56)
	v_fma_f64 v[176:177], v[111:112], v[189:190], -v[176:177]
	v_add_f64 v[115:116], v[115:116], v[127:128]
	v_fma_f64 v[127:128], v[113:114], v[189:190], v[180:181]
	v_add_f64 v[117:118], v[117:118], v[121:122]
	s_clause 0x2
	buffer_load_dword v185, off, s[0:3], 0 offset:796
	buffer_load_dword v122, off, s[0:3], 0 offset:772
	;; [unrolled: 1-line block ×3, first 2 shown]
	ds_read_b128 v[111:114], v163 offset:1376
	s_waitcnt vmcnt(58) lgkmcnt(1)
	v_mul_f64 v[180:181], v[1:2], v[166:167]
	v_mul_f64 v[166:167], v[3:4], v[166:167]
	s_waitcnt vmcnt(56)
	v_fma_f64 v[164:165], v[5:6], v[123:124], -v[164:165]
	v_fma_f64 v[123:124], v[7:8], v[123:124], v[193:194]
	v_add_f64 v[115:116], v[115:116], v[176:177]
	v_add_f64 v[117:118], v[117:118], v[127:128]
	s_clause 0x4
	buffer_load_dword v128, off, s[0:3], 0 offset:812
	buffer_load_dword v176, off, s[0:3], 0 offset:824
	;; [unrolled: 1-line block ×5, first 2 shown]
	ds_read_b128 v[5:8], v163 offset:1392
	s_waitcnt vmcnt(57) lgkmcnt(1)
	v_mul_f64 v[194:195], v[111:112], v[119:120]
	v_mul_f64 v[119:120], v[113:114], v[119:120]
	s_waitcnt vmcnt(56)
	v_fma_f64 v[166:167], v[1:2], v[178:179], -v[166:167]
	v_add_f64 v[115:116], v[115:116], v[164:165]
	v_fma_f64 v[164:165], v[3:4], v[178:179], v[180:181]
	v_add_f64 v[117:118], v[117:118], v[123:124]
	s_clause 0x2
	buffer_load_dword v177, off, s[0:3], 0 offset:828
	buffer_load_dword v124, off, s[0:3], 0 offset:804
	;; [unrolled: 1-line block ×3, first 2 shown]
	ds_read_b128 v[1:4], v163 offset:1408
	s_waitcnt vmcnt(58) lgkmcnt(1)
	v_mul_f64 v[178:179], v[5:6], v[139:140]
	v_mul_f64 v[139:140], v[7:8], v[139:140]
	s_waitcnt vmcnt(56)
	v_fma_f64 v[119:120], v[111:112], v[129:130], -v[119:120]
	v_fma_f64 v[129:130], v[113:114], v[129:130], v[194:195]
	buffer_load_dword v194, off, s[0:3], 0 offset:820
	ds_read_b128 v[111:114], v163 offset:1424
	v_add_f64 v[115:116], v[115:116], v[166:167]
	v_add_f64 v[117:118], v[117:118], v[164:165]
	s_waitcnt vmcnt(53) lgkmcnt(1)
	v_mul_f64 v[164:165], v[1:2], v[125:126]
	v_mul_f64 v[125:126], v[3:4], v[125:126]
	s_waitcnt vmcnt(52)
	v_fma_f64 v[139:140], v[5:6], v[172:173], -v[139:140]
	v_add_f64 v[115:116], v[115:116], v[119:120]
	v_fma_f64 v[119:120], v[7:8], v[172:173], v[178:179]
	v_add_f64 v[117:118], v[117:118], v[129:130]
	s_waitcnt vmcnt(51) lgkmcnt(0)
	v_mul_f64 v[129:130], v[111:112], v[145:146]
	v_mul_f64 v[145:146], v[113:114], v[145:146]
	ds_read_b128 v[5:8], v163 offset:1440
	s_waitcnt vmcnt(49)
	v_fma_f64 v[125:126], v[1:2], v[135:136], -v[125:126]
	v_fma_f64 v[135:136], v[3:4], v[135:136], v[164:165]
	v_add_f64 v[115:116], v[115:116], v[139:140]
	v_add_f64 v[117:118], v[117:118], v[119:120]
	s_clause 0x3
	buffer_load_dword v119, off, s[0:3], 0 offset:192
	buffer_load_dword v120, off, s[0:3], 0 offset:196
	;; [unrolled: 1-line block ×4, first 2 shown]
	ds_read_b128 v[1:4], v163 offset:1456
	s_waitcnt vmcnt(49) lgkmcnt(1)
	v_mul_f64 v[164:165], v[5:6], v[131:132]
	v_mul_f64 v[131:132], v[7:8], v[131:132]
	s_waitcnt vmcnt(48)
	v_fma_f64 v[145:146], v[111:112], v[147:148], -v[145:146]
	v_add_f64 v[115:116], v[115:116], v[125:126]
	v_fma_f64 v[125:126], v[113:114], v[147:148], v[129:130]
	v_add_f64 v[117:118], v[117:118], v[135:136]
	ds_read_b128 v[111:114], v163 offset:1472
	s_waitcnt vmcnt(47) lgkmcnt(1)
	v_mul_f64 v[135:136], v[3:4], v[153:154]
	v_mul_f64 v[129:130], v[1:2], v[153:154]
	s_waitcnt vmcnt(45)
	v_fma_f64 v[131:132], v[5:6], v[133:134], -v[131:132]
	v_fma_f64 v[133:134], v[7:8], v[133:134], v[164:165]
	ds_read_b128 v[5:8], v163 offset:1488
	v_add_f64 v[115:116], v[115:116], v[145:146]
	v_add_f64 v[117:118], v[117:118], v[125:126]
	s_waitcnt vmcnt(41) lgkmcnt(1)
	v_mul_f64 v[125:126], v[111:112], v[137:138]
	v_mul_f64 v[137:138], v[113:114], v[137:138]
	s_waitcnt vmcnt(40)
	v_fma_f64 v[135:136], v[1:2], v[155:156], -v[135:136]
	v_fma_f64 v[129:130], v[3:4], v[155:156], v[129:130]
	ds_read_b128 v[1:4], v163 offset:1504
	v_add_f64 v[115:116], v[115:116], v[131:132]
	v_add_f64 v[117:118], v[117:118], v[133:134]
	;; [unrolled: 9-line block ×3, first 2 shown]
	s_waitcnt vmcnt(33) lgkmcnt(1)
	v_mul_f64 v[135:136], v[3:4], v[143:144]
	s_waitcnt vmcnt(32)
	v_fma_f64 v[133:134], v[5:6], v[161:162], -v[133:134]
	v_mul_f64 v[129:130], v[1:2], v[143:144]
	v_fma_f64 v[131:132], v[7:8], v[161:162], v[131:132]
	ds_read_b128 v[5:8], v163 offset:1536
	v_add_f64 v[115:116], v[115:116], v[137:138]
	v_add_f64 v[117:118], v[117:118], v[125:126]
	s_waitcnt vmcnt(31) lgkmcnt(1)
	v_mul_f64 v[137:138], v[113:114], v[182:183]
	v_mul_f64 v[125:126], v[111:112], v[182:183]
	s_waitcnt vmcnt(29)
	v_fma_f64 v[135:136], v[1:2], v[149:150], -v[135:136]
	v_fma_f64 v[129:130], v[3:4], v[149:150], v[129:130]
	ds_read_b128 v[1:4], v163 offset:1552
	v_add_f64 v[115:116], v[115:116], v[133:134]
	v_add_f64 v[117:118], v[117:118], v[131:132]
	s_waitcnt vmcnt(25) lgkmcnt(1)
	v_mul_f64 v[133:134], v[7:8], v[151:152]
	s_waitcnt vmcnt(24)
	v_fma_f64 v[137:138], v[111:112], v[186:187], -v[137:138]
	v_mul_f64 v[131:132], v[5:6], v[151:152]
	v_fma_f64 v[125:126], v[113:114], v[186:187], v[125:126]
	ds_read_b128 v[111:114], v163 offset:1568
	v_add_f64 v[115:116], v[115:116], v[135:136]
	v_add_f64 v[117:118], v[117:118], v[129:130]
	s_waitcnt vmcnt(23) lgkmcnt(1)
	v_mul_f64 v[135:136], v[3:4], v[168:169]
	v_mul_f64 v[129:130], v[1:2], v[168:169]
	s_waitcnt vmcnt(21)
	v_fma_f64 v[133:134], v[5:6], v[157:158], -v[133:134]
	v_fma_f64 v[131:132], v[7:8], v[157:158], v[131:132]
	ds_read_b128 v[5:8], v163 offset:1584
	v_add_f64 v[115:116], v[115:116], v[137:138]
	v_add_f64 v[117:118], v[117:118], v[125:126]
	;; [unrolled: 18-line block ×3, first 2 shown]
	s_waitcnt vmcnt(9) lgkmcnt(1)
	v_mul_f64 v[125:126], v[1:2], v[127:128]
	v_mul_f64 v[127:128], v[3:4], v[127:128]
	s_waitcnt vmcnt(8)
	v_fma_f64 v[5:6], v[5:6], v[188:189], -v[133:134]
	v_fma_f64 v[7:8], v[7:8], v[188:189], v[131:132]
	v_add_f64 v[115:116], v[115:116], v[137:138]
	v_add_f64 v[117:118], v[117:118], v[121:122]
	s_waitcnt vmcnt(7) lgkmcnt(0)
	v_mul_f64 v[129:130], v[113:114], v[176:177]
	v_mul_f64 v[121:122], v[111:112], v[176:177]
	s_waitcnt vmcnt(5)
	v_fma_f64 v[1:2], v[1:2], v[123:124], -v[127:128]
	v_fma_f64 v[3:4], v[3:4], v[123:124], v[125:126]
	v_add_f64 v[5:6], v[115:116], v[5:6]
	v_add_f64 v[7:8], v[117:118], v[7:8]
	s_waitcnt vmcnt(4)
	v_fma_f64 v[111:112], v[111:112], v[193:194], -v[129:130]
	v_add_f64 v[1:2], v[5:6], v[1:2]
	v_fma_f64 v[5:6], v[113:114], v[193:194], v[121:122]
	v_add_f64 v[3:4], v[7:8], v[3:4]
	v_add_f64 v[1:2], v[1:2], v[111:112]
	v_add_f64 v[3:4], v[3:4], v[5:6]
	s_waitcnt vmcnt(2)
	v_add_f64 v[1:2], v[119:120], -v[1:2]
	s_waitcnt vmcnt(0)
	v_add_f64 v[3:4], v[139:140], -v[3:4]
	buffer_store_dword v2, off, s[0:3], 0 offset:196
	buffer_store_dword v1, off, s[0:3], 0 offset:192
	;; [unrolled: 1-line block ×4, first 2 shown]
	v_cmpx_lt_u32_e32 10, v0
	s_cbranch_execz .LBB114_299
; %bb.298:
	v_mov_b32_e32 v4, s53
	s_clause 0x3
	buffer_load_dword v1, v4, s[0:3], 0 offen
	buffer_load_dword v2, v4, s[0:3], 0 offen offset:4
	buffer_load_dword v3, v4, s[0:3], 0 offen offset:8
	;; [unrolled: 1-line block ×3, first 2 shown]
	buffer_store_dword v163, off, s[0:3], 0 offset:176
	buffer_store_dword v163, off, s[0:3], 0 offset:180
	;; [unrolled: 1-line block ×4, first 2 shown]
	s_waitcnt vmcnt(0)
	ds_write_b128 v171, v[1:4]
.LBB114_299:
	s_or_b32 exec_lo, exec_lo, s4
	s_waitcnt lgkmcnt(0)
	s_waitcnt_vscnt null, 0x0
	s_barrier
	buffer_gl0_inv
	s_clause 0x37
	buffer_load_dword v111, off, s[0:3], 0 offset:200
	buffer_load_dword v112, off, s[0:3], 0 offset:204
	;; [unrolled: 1-line block ×56, first 2 shown]
	ds_read_b128 v[164:167], v163 offset:992
	s_clause 0x2
	buffer_load_dword v160, off, s[0:3], 0 offset:428
	buffer_load_dword v162, off, s[0:3], 0 offset:404
	;; [unrolled: 1-line block ×3, first 2 shown]
	ds_read_b128 v[172:175], v163 offset:1008
	s_clause 0x4
	buffer_load_dword v181, off, s[0:3], 0 offset:444
	buffer_load_dword v182, off, s[0:3], 0 offset:456
	;; [unrolled: 1-line block ×5, first 2 shown]
	ds_read_b128 v[176:179], v163 offset:1024
	s_clause 0x2
	buffer_load_dword v183, off, s[0:3], 0 offset:460
	buffer_load_dword v188, off, s[0:3], 0 offset:436
	;; [unrolled: 1-line block ×3, first 2 shown]
	s_mov_b32 s4, exec_lo
	s_waitcnt vmcnt(62) lgkmcnt(2)
	v_mul_f64 v[168:169], v[166:167], v[111:112]
	v_mul_f64 v[111:112], v[164:165], v[111:112]
	s_waitcnt lgkmcnt(1)
	v_mul_f64 v[185:186], v[174:175], v[5:6]
	s_waitcnt vmcnt(59) lgkmcnt(0)
	v_mul_f64 v[189:190], v[178:179], v[3:4]
	v_fma_f64 v[164:165], v[164:165], v[7:8], -v[168:169]
	v_mul_f64 v[168:169], v[172:173], v[5:6]
	v_fma_f64 v[111:112], v[166:167], v[7:8], v[111:112]
	s_waitcnt vmcnt(57)
	v_fma_f64 v[172:173], v[172:173], v[1:2], -v[185:186]
	ds_read_b128 v[5:8], v163 offset:1040
	v_mul_f64 v[166:167], v[176:177], v[3:4]
	s_waitcnt vmcnt(51)
	v_fma_f64 v[176:177], v[176:177], v[127:128], -v[189:190]
	v_add_f64 v[164:165], v[164:165], 0
	v_fma_f64 v[168:169], v[174:175], v[1:2], v[168:169]
	v_add_f64 v[111:112], v[111:112], 0
	s_clause 0x4
	buffer_load_dword v175, off, s[0:3], 0 offset:476
	buffer_load_dword v191, off, s[0:3], 0 offset:488
	;; [unrolled: 1-line block ×5, first 2 shown]
	s_waitcnt lgkmcnt(0)
	v_mul_f64 v[194:195], v[5:6], v[115:116]
	v_mul_f64 v[115:116], v[7:8], v[115:116]
	ds_read_b128 v[1:4], v163 offset:1056
	v_fma_f64 v[127:128], v[178:179], v[127:128], v[166:167]
	v_add_f64 v[172:173], v[164:165], v[172:173]
	v_add_f64 v[111:112], v[111:112], v[168:169]
	s_clause 0x2
	buffer_load_dword v192, off, s[0:3], 0 offset:492
	buffer_load_dword v169, off, s[0:3], 0 offset:468
	;; [unrolled: 1-line block ×3, first 2 shown]
	s_waitcnt vmcnt(58) lgkmcnt(0)
	v_mul_f64 v[178:179], v[1:2], v[119:120]
	v_mul_f64 v[119:120], v[3:4], v[119:120]
	s_waitcnt vmcnt(56)
	v_fma_f64 v[115:116], v[5:6], v[121:122], -v[115:116]
	ds_read_b128 v[164:167], v163 offset:1072
	v_fma_f64 v[121:122], v[7:8], v[121:122], v[194:195]
	v_add_f64 v[172:173], v[172:173], v[176:177]
	v_add_f64 v[111:112], v[111:112], v[127:128]
	s_clause 0x4
	buffer_load_dword v128, off, s[0:3], 0 offset:508
	buffer_load_dword v176, off, s[0:3], 0 offset:520
	;; [unrolled: 1-line block ×5, first 2 shown]
	ds_read_b128 v[5:8], v163 offset:1088
	s_waitcnt vmcnt(57) lgkmcnt(1)
	v_mul_f64 v[195:196], v[164:165], v[123:124]
	v_mul_f64 v[123:124], v[166:167], v[123:124]
	s_waitcnt vmcnt(56)
	v_fma_f64 v[119:120], v[1:2], v[113:114], -v[119:120]
	v_fma_f64 v[113:114], v[3:4], v[113:114], v[178:179]
	v_add_f64 v[115:116], v[172:173], v[115:116]
	v_add_f64 v[111:112], v[111:112], v[121:122]
	s_clause 0x2
	buffer_load_dword v177, off, s[0:3], 0 offset:524
	buffer_load_dword v122, off, s[0:3], 0 offset:500
	;; [unrolled: 1-line block ×3, first 2 shown]
	s_waitcnt vmcnt(58) lgkmcnt(0)
	v_mul_f64 v[172:173], v[5:6], v[129:130]
	v_mul_f64 v[129:130], v[7:8], v[129:130]
	s_waitcnt vmcnt(56)
	v_fma_f64 v[123:124], v[164:165], v[131:132], -v[123:124]
	ds_read_b128 v[1:4], v163 offset:1104
	v_add_f64 v[115:116], v[115:116], v[119:120]
	v_fma_f64 v[119:120], v[166:167], v[131:132], v[195:196]
	v_add_f64 v[131:132], v[111:112], v[113:114]
	s_clause 0x4
	buffer_load_dword v165, off, s[0:3], 0 offset:540
	buffer_load_dword v166, off, s[0:3], 0 offset:552
	;; [unrolled: 1-line block ×5, first 2 shown]
	ds_read_b128 v[111:114], v163 offset:1120
	s_waitcnt vmcnt(57) lgkmcnt(1)
	v_mul_f64 v[195:196], v[1:2], v[133:134]
	v_mul_f64 v[133:134], v[3:4], v[133:134]
	s_waitcnt vmcnt(56)
	v_fma_f64 v[129:130], v[5:6], v[117:118], -v[129:130]
	v_fma_f64 v[117:118], v[7:8], v[117:118], v[172:173]
	v_add_f64 v[115:116], v[115:116], v[123:124]
	s_clause 0x2
	buffer_load_dword v167, off, s[0:3], 0 offset:556
	buffer_load_dword v124, off, s[0:3], 0 offset:532
	buffer_load_dword v123, off, s[0:3], 0 offset:528
	v_add_f64 v[119:120], v[131:132], v[119:120]
	s_waitcnt vmcnt(58) lgkmcnt(0)
	v_mul_f64 v[131:132], v[111:112], v[137:138]
	v_mul_f64 v[137:138], v[113:114], v[137:138]
	ds_read_b128 v[5:8], v163 offset:1136
	s_waitcnt vmcnt(56)
	v_fma_f64 v[133:134], v[1:2], v[139:140], -v[133:134]
	v_add_f64 v[115:116], v[115:116], v[129:130]
	v_fma_f64 v[129:130], v[3:4], v[139:140], v[195:196]
	v_add_f64 v[117:118], v[119:120], v[117:118]
	s_clause 0x4
	buffer_load_dword v120, off, s[0:3], 0 offset:572
	buffer_load_dword v139, off, s[0:3], 0 offset:584
	;; [unrolled: 1-line block ×5, first 2 shown]
	s_waitcnt vmcnt(57) lgkmcnt(0)
	v_mul_f64 v[195:196], v[5:6], v[141:142]
	v_mul_f64 v[141:142], v[7:8], v[141:142]
	s_waitcnt vmcnt(56)
	v_fma_f64 v[137:138], v[111:112], v[125:126], -v[137:138]
	ds_read_b128 v[1:4], v163 offset:1152
	v_fma_f64 v[125:126], v[113:114], v[125:126], v[131:132]
	v_add_f64 v[115:116], v[115:116], v[133:134]
	v_add_f64 v[117:118], v[117:118], v[129:130]
	s_clause 0x2
	buffer_load_dword v140, off, s[0:3], 0 offset:588
	buffer_load_dword v130, off, s[0:3], 0 offset:564
	;; [unrolled: 1-line block ×3, first 2 shown]
	ds_read_b128 v[111:114], v163 offset:1168
	s_waitcnt vmcnt(58) lgkmcnt(1)
	v_mul_f64 v[133:134], v[3:4], v[145:146]
	s_waitcnt vmcnt(56)
	v_fma_f64 v[141:142], v[5:6], v[147:148], -v[141:142]
	v_mul_f64 v[131:132], v[1:2], v[145:146]
	v_add_f64 v[115:116], v[115:116], v[137:138]
	v_fma_f64 v[137:138], v[7:8], v[147:148], v[195:196]
	v_add_f64 v[117:118], v[117:118], v[125:126]
	s_clause 0x4
	buffer_load_dword v126, off, s[0:3], 0 offset:604
	buffer_load_dword v145, off, s[0:3], 0 offset:616
	;; [unrolled: 1-line block ×5, first 2 shown]
	s_waitcnt vmcnt(57) lgkmcnt(0)
	v_mul_f64 v[195:196], v[111:112], v[149:150]
	v_mul_f64 v[148:149], v[113:114], v[149:150]
	s_waitcnt vmcnt(56)
	v_fma_f64 v[133:134], v[1:2], v[135:136], -v[133:134]
	ds_read_b128 v[5:8], v163 offset:1184
	v_fma_f64 v[131:132], v[3:4], v[135:136], v[131:132]
	s_clause 0x2
	buffer_load_dword v146, off, s[0:3], 0 offset:620
	buffer_load_dword v136, off, s[0:3], 0 offset:596
	;; [unrolled: 1-line block ×3, first 2 shown]
	ds_read_b128 v[1:4], v163 offset:1200
	v_add_f64 v[115:116], v[115:116], v[141:142]
	v_add_f64 v[117:118], v[117:118], v[137:138]
	s_waitcnt vmcnt(58) lgkmcnt(1)
	v_mul_f64 v[141:142], v[7:8], v[153:154]
	s_waitcnt vmcnt(56)
	v_fma_f64 v[149:150], v[111:112], v[155:156], -v[148:149]
	v_mul_f64 v[137:138], v[5:6], v[153:154]
	v_add_f64 v[115:116], v[115:116], v[133:134]
	v_fma_f64 v[133:134], v[113:114], v[155:156], v[195:196]
	v_add_f64 v[117:118], v[117:118], v[131:132]
	s_clause 0x4
	buffer_load_dword v132, off, s[0:3], 0 offset:636
	buffer_load_dword v153, off, s[0:3], 0 offset:648
	;; [unrolled: 1-line block ×5, first 2 shown]
	s_waitcnt vmcnt(57) lgkmcnt(0)
	v_mul_f64 v[195:196], v[1:2], v[157:158]
	v_mul_f64 v[156:157], v[3:4], v[157:158]
	s_waitcnt vmcnt(56)
	v_fma_f64 v[141:142], v[5:6], v[143:144], -v[141:142]
	ds_read_b128 v[111:114], v163 offset:1216
	v_fma_f64 v[137:138], v[7:8], v[143:144], v[137:138]
	v_add_f64 v[115:116], v[115:116], v[149:150]
	v_add_f64 v[117:118], v[117:118], v[133:134]
	s_clause 0x2
	buffer_load_dword v154, off, s[0:3], 0 offset:652
	buffer_load_dword v134, off, s[0:3], 0 offset:628
	;; [unrolled: 1-line block ×3, first 2 shown]
	ds_read_b128 v[5:8], v163 offset:1232
	s_waitcnt vmcnt(58) lgkmcnt(1)
	v_mul_f64 v[149:150], v[113:114], v[159:160]
	s_waitcnt vmcnt(56)
	v_fma_f64 v[157:158], v[1:2], v[161:162], -v[156:157]
	v_mul_f64 v[143:144], v[111:112], v[159:160]
	v_add_f64 v[115:116], v[115:116], v[141:142]
	v_fma_f64 v[141:142], v[3:4], v[161:162], v[195:196]
	v_add_f64 v[117:118], v[117:118], v[137:138]
	s_clause 0x4
	buffer_load_dword v138, off, s[0:3], 0 offset:668
	buffer_load_dword v159, off, s[0:3], 0 offset:680
	;; [unrolled: 1-line block ×5, first 2 shown]
	s_waitcnt vmcnt(57) lgkmcnt(0)
	v_mul_f64 v[195:196], v[5:6], v[180:181]
	v_mul_f64 v[180:181], v[7:8], v[180:181]
	s_waitcnt vmcnt(56)
	v_fma_f64 v[149:150], v[111:112], v[151:152], -v[149:150]
	ds_read_b128 v[1:4], v163 offset:1248
	v_fma_f64 v[143:144], v[113:114], v[151:152], v[143:144]
	v_add_f64 v[115:116], v[115:116], v[157:158]
	v_add_f64 v[117:118], v[117:118], v[141:142]
	s_clause 0x2
	buffer_load_dword v160, off, s[0:3], 0 offset:684
	buffer_load_dword v142, off, s[0:3], 0 offset:660
	;; [unrolled: 1-line block ×3, first 2 shown]
	ds_read_b128 v[111:114], v163 offset:1264
	s_waitcnt vmcnt(58) lgkmcnt(1)
	v_mul_f64 v[157:158], v[3:4], v[182:183]
	s_waitcnt vmcnt(56)
	v_fma_f64 v[180:181], v[5:6], v[187:188], -v[180:181]
	v_mul_f64 v[151:152], v[1:2], v[182:183]
	v_add_f64 v[115:116], v[115:116], v[149:150]
	v_fma_f64 v[149:150], v[7:8], v[187:188], v[195:196]
	v_add_f64 v[117:118], v[117:118], v[143:144]
	s_clause 0x4
	buffer_load_dword v144, off, s[0:3], 0 offset:700
	buffer_load_dword v182, off, s[0:3], 0 offset:712
	;; [unrolled: 1-line block ×5, first 2 shown]
	ds_read_b128 v[5:8], v163 offset:1280
	s_waitcnt vmcnt(57) lgkmcnt(1)
	v_mul_f64 v[187:188], v[111:112], v[174:175]
	v_mul_f64 v[174:175], v[113:114], v[174:175]
	s_waitcnt vmcnt(56)
	v_fma_f64 v[157:158], v[1:2], v[184:185], -v[157:158]
	v_fma_f64 v[151:152], v[3:4], v[184:185], v[151:152]
	v_add_f64 v[115:116], v[115:116], v[180:181]
	v_add_f64 v[117:118], v[117:118], v[149:150]
	s_clause 0x2
	buffer_load_dword v183, off, s[0:3], 0 offset:716
	buffer_load_dword v150, off, s[0:3], 0 offset:692
	;; [unrolled: 1-line block ×3, first 2 shown]
	ds_read_b128 v[1:4], v163 offset:1296
	s_waitcnt vmcnt(58) lgkmcnt(1)
	v_mul_f64 v[184:185], v[7:8], v[191:192]
	v_mul_f64 v[180:181], v[5:6], v[191:192]
	s_waitcnt vmcnt(56)
	v_fma_f64 v[174:175], v[111:112], v[168:169], -v[174:175]
	v_add_f64 v[115:116], v[115:116], v[157:158]
	v_fma_f64 v[157:158], v[113:114], v[168:169], v[187:188]
	v_add_f64 v[117:118], v[117:118], v[151:152]
	s_clause 0x4
	buffer_load_dword v152, off, s[0:3], 0 offset:732
	buffer_load_dword v168, off, s[0:3], 0 offset:744
	buffer_load_dword v191, off, s[0:3], 0 offset:736
	buffer_load_dword v151, off, s[0:3], 0 offset:728
	buffer_load_dword v187, off, s[0:3], 0 offset:708
	ds_read_b128 v[111:114], v163 offset:1312
	s_waitcnt vmcnt(57) lgkmcnt(1)
	v_mul_f64 v[195:196], v[1:2], v[127:128]
	v_mul_f64 v[127:128], v[3:4], v[127:128]
	s_waitcnt vmcnt(56)
	v_fma_f64 v[184:185], v[5:6], v[193:194], -v[184:185]
	v_add_f64 v[115:116], v[115:116], v[174:175]
	v_fma_f64 v[174:175], v[7:8], v[193:194], v[180:181]
	v_add_f64 v[117:118], v[117:118], v[157:158]
	s_clause 0x2
	buffer_load_dword v169, off, s[0:3], 0 offset:748
	buffer_load_dword v158, off, s[0:3], 0 offset:724
	buffer_load_dword v157, off, s[0:3], 0 offset:720
	ds_read_b128 v[5:8], v163 offset:1328
	s_waitcnt vmcnt(58) lgkmcnt(1)
	v_mul_f64 v[180:181], v[111:112], v[176:177]
	v_mul_f64 v[176:177], v[113:114], v[176:177]
	s_waitcnt vmcnt(56)
	v_fma_f64 v[127:128], v[1:2], v[121:122], -v[127:128]
	v_fma_f64 v[121:122], v[3:4], v[121:122], v[195:196]
	v_add_f64 v[115:116], v[115:116], v[184:185]
	v_add_f64 v[117:118], v[117:118], v[174:175]
	s_clause 0x4
	buffer_load_dword v175, off, s[0:3], 0 offset:764
	buffer_load_dword v184, off, s[0:3], 0 offset:776
	buffer_load_dword v188, off, s[0:3], 0 offset:768
	buffer_load_dword v174, off, s[0:3], 0 offset:760
	buffer_load_dword v192, off, s[0:3], 0 offset:740
	ds_read_b128 v[1:4], v163 offset:1344
	s_waitcnt vmcnt(57) lgkmcnt(1)
	v_mul_f64 v[193:194], v[5:6], v[164:165]
	v_mul_f64 v[164:165], v[7:8], v[164:165]
	s_waitcnt vmcnt(56)
	v_fma_f64 v[176:177], v[111:112], v[189:190], -v[176:177]
	v_add_f64 v[115:116], v[115:116], v[127:128]
	v_fma_f64 v[127:128], v[113:114], v[189:190], v[180:181]
	v_add_f64 v[117:118], v[117:118], v[121:122]
	s_clause 0x2
	buffer_load_dword v185, off, s[0:3], 0 offset:780
	buffer_load_dword v122, off, s[0:3], 0 offset:756
	buffer_load_dword v121, off, s[0:3], 0 offset:752
	ds_read_b128 v[111:114], v163 offset:1360
	s_waitcnt vmcnt(58) lgkmcnt(1)
	v_mul_f64 v[180:181], v[1:2], v[166:167]
	v_mul_f64 v[166:167], v[3:4], v[166:167]
	s_waitcnt vmcnt(56)
	v_fma_f64 v[164:165], v[5:6], v[123:124], -v[164:165]
	v_fma_f64 v[123:124], v[7:8], v[123:124], v[193:194]
	v_add_f64 v[115:116], v[115:116], v[176:177]
	;; [unrolled: 28-line block ×3, first 2 shown]
	v_add_f64 v[117:118], v[117:118], v[164:165]
	s_clause 0x2
	buffer_load_dword v165, off, s[0:3], 0 offset:828
	buffer_load_dword v164, off, s[0:3], 0 offset:824
	;; [unrolled: 1-line block ×3, first 2 shown]
	ds_read_b128 v[111:114], v163 offset:1408
	s_waitcnt vmcnt(55) lgkmcnt(1)
	v_mul_f64 v[166:167], v[1:2], v[125:126]
	v_mul_f64 v[125:126], v[3:4], v[125:126]
	s_waitcnt vmcnt(54)
	v_fma_f64 v[139:140], v[5:6], v[172:173], -v[139:140]
	v_add_f64 v[115:116], v[115:116], v[119:120]
	v_fma_f64 v[119:120], v[7:8], v[172:173], v[178:179]
	v_add_f64 v[117:118], v[117:118], v[129:130]
	s_clause 0x1
	buffer_load_dword v130, off, s[0:3], 0 offset:820
	buffer_load_dword v129, off, s[0:3], 0 offset:816
	s_waitcnt vmcnt(55) lgkmcnt(0)
	v_mul_f64 v[172:173], v[111:112], v[145:146]
	v_mul_f64 v[145:146], v[113:114], v[145:146]
	ds_read_b128 v[5:8], v163 offset:1424
	s_waitcnt vmcnt(53)
	v_fma_f64 v[125:126], v[1:2], v[135:136], -v[125:126]
	v_fma_f64 v[135:136], v[3:4], v[135:136], v[166:167]
	ds_read_b128 v[1:4], v163 offset:1440
	v_add_f64 v[115:116], v[115:116], v[139:140]
	v_add_f64 v[117:118], v[117:118], v[119:120]
	s_waitcnt vmcnt(49) lgkmcnt(1)
	v_mul_f64 v[119:120], v[5:6], v[131:132]
	v_mul_f64 v[131:132], v[7:8], v[131:132]
	s_waitcnt vmcnt(48)
	v_fma_f64 v[139:140], v[111:112], v[147:148], -v[145:146]
	v_add_f64 v[115:116], v[115:116], v[125:126]
	v_fma_f64 v[125:126], v[113:114], v[147:148], v[172:173]
	v_add_f64 v[117:118], v[117:118], v[135:136]
	s_clause 0x3
	buffer_load_dword v135, off, s[0:3], 0 offset:176
	buffer_load_dword v136, off, s[0:3], 0 offset:180
	;; [unrolled: 1-line block ×4, first 2 shown]
	ds_read_b128 v[111:114], v163 offset:1456
	s_waitcnt vmcnt(51) lgkmcnt(1)
	v_mul_f64 v[147:148], v[1:2], v[153:154]
	v_mul_f64 v[153:154], v[3:4], v[153:154]
	s_waitcnt vmcnt(49)
	v_fma_f64 v[131:132], v[5:6], v[133:134], -v[131:132]
	v_fma_f64 v[119:120], v[7:8], v[133:134], v[119:120]
	ds_read_b128 v[5:8], v163 offset:1472
	v_add_f64 v[115:116], v[115:116], v[139:140]
	v_add_f64 v[117:118], v[117:118], v[125:126]
	s_waitcnt vmcnt(45) lgkmcnt(1)
	v_mul_f64 v[125:126], v[111:112], v[137:138]
	v_mul_f64 v[133:134], v[113:114], v[137:138]
	s_waitcnt vmcnt(44)
	v_fma_f64 v[137:138], v[1:2], v[155:156], -v[153:154]
	v_add_f64 v[115:116], v[115:116], v[131:132]
	v_fma_f64 v[131:132], v[3:4], v[155:156], v[147:148]
	v_add_f64 v[117:118], v[117:118], v[119:120]
	ds_read_b128 v[1:4], v163 offset:1488
	s_waitcnt vmcnt(43) lgkmcnt(1)
	v_mul_f64 v[139:140], v[7:8], v[159:160]
	v_mul_f64 v[119:120], v[5:6], v[159:160]
	s_waitcnt vmcnt(41)
	v_fma_f64 v[133:134], v[111:112], v[141:142], -v[133:134]
	v_fma_f64 v[125:126], v[113:114], v[141:142], v[125:126]
	ds_read_b128 v[111:114], v163 offset:1504
	v_add_f64 v[115:116], v[115:116], v[137:138]
	v_add_f64 v[117:118], v[117:118], v[131:132]
	s_waitcnt vmcnt(37) lgkmcnt(1)
	v_mul_f64 v[137:138], v[3:4], v[143:144]
	s_waitcnt vmcnt(36)
	v_fma_f64 v[139:140], v[5:6], v[161:162], -v[139:140]
	v_mul_f64 v[131:132], v[1:2], v[143:144]
	v_fma_f64 v[119:120], v[7:8], v[161:162], v[119:120]
	ds_read_b128 v[5:8], v163 offset:1520
	v_add_f64 v[115:116], v[115:116], v[133:134]
	v_add_f64 v[117:118], v[117:118], v[125:126]
	s_waitcnt vmcnt(35) lgkmcnt(1)
	v_mul_f64 v[133:134], v[113:114], v[182:183]
	v_mul_f64 v[125:126], v[111:112], v[182:183]
	s_waitcnt vmcnt(33)
	v_fma_f64 v[137:138], v[1:2], v[149:150], -v[137:138]
	v_fma_f64 v[131:132], v[3:4], v[149:150], v[131:132]
	ds_read_b128 v[1:4], v163 offset:1536
	v_add_f64 v[115:116], v[115:116], v[139:140]
	v_add_f64 v[117:118], v[117:118], v[119:120]
	s_waitcnt vmcnt(29) lgkmcnt(1)
	v_mul_f64 v[139:140], v[7:8], v[151:152]
	s_waitcnt vmcnt(28)
	v_fma_f64 v[133:134], v[111:112], v[186:187], -v[133:134]
	v_mul_f64 v[119:120], v[5:6], v[151:152]
	v_fma_f64 v[125:126], v[113:114], v[186:187], v[125:126]
	ds_read_b128 v[111:114], v163 offset:1552
	v_add_f64 v[115:116], v[115:116], v[137:138]
	v_add_f64 v[117:118], v[117:118], v[131:132]
	;; [unrolled: 18-line block ×3, first 2 shown]
	s_waitcnt vmcnt(19) lgkmcnt(1)
	v_mul_f64 v[139:140], v[7:8], v[184:185]
	v_mul_f64 v[119:120], v[5:6], v[184:185]
	s_waitcnt vmcnt(17)
	v_fma_f64 v[133:134], v[111:112], v[121:122], -v[133:134]
	v_fma_f64 v[121:122], v[113:114], v[121:122], v[125:126]
	ds_read_b128 v[111:114], v163 offset:1600
	v_add_f64 v[115:116], v[115:116], v[137:138]
	v_add_f64 v[117:118], v[117:118], v[131:132]
	s_waitcnt vmcnt(13) lgkmcnt(1)
	v_mul_f64 v[125:126], v[1:2], v[127:128]
	v_mul_f64 v[127:128], v[3:4], v[127:128]
	s_waitcnt vmcnt(12)
	v_fma_f64 v[131:132], v[5:6], v[188:189], -v[139:140]
	v_fma_f64 v[119:120], v[7:8], v[188:189], v[119:120]
	ds_read_b128 v[5:8], v163 offset:1616
	v_add_f64 v[115:116], v[115:116], v[133:134]
	v_add_f64 v[117:118], v[117:118], v[121:122]
	s_waitcnt vmcnt(11) lgkmcnt(1)
	v_mul_f64 v[133:134], v[113:114], v[176:177]
	v_mul_f64 v[121:122], v[111:112], v[176:177]
	s_waitcnt vmcnt(9)
	v_fma_f64 v[1:2], v[1:2], v[123:124], -v[127:128]
	v_fma_f64 v[3:4], v[3:4], v[123:124], v[125:126]
	v_add_f64 v[115:116], v[115:116], v[131:132]
	v_add_f64 v[117:118], v[117:118], v[119:120]
	s_waitcnt vmcnt(7) lgkmcnt(0)
	v_mul_f64 v[123:124], v[7:8], v[164:165]
	s_waitcnt vmcnt(6)
	v_fma_f64 v[111:112], v[111:112], v[193:194], -v[133:134]
	v_mul_f64 v[119:120], v[5:6], v[164:165]
	v_fma_f64 v[113:114], v[113:114], v[193:194], v[121:122]
	v_add_f64 v[1:2], v[115:116], v[1:2]
	v_add_f64 v[3:4], v[117:118], v[3:4]
	s_waitcnt vmcnt(4)
	v_fma_f64 v[5:6], v[5:6], v[129:130], -v[123:124]
	v_fma_f64 v[7:8], v[7:8], v[129:130], v[119:120]
	v_add_f64 v[1:2], v[1:2], v[111:112]
	v_add_f64 v[3:4], v[3:4], v[113:114]
	;; [unrolled: 1-line block ×4, first 2 shown]
	s_waitcnt vmcnt(2)
	v_add_f64 v[1:2], v[135:136], -v[1:2]
	s_waitcnt vmcnt(0)
	v_add_f64 v[3:4], v[145:146], -v[3:4]
	buffer_store_dword v2, off, s[0:3], 0 offset:180
	buffer_store_dword v1, off, s[0:3], 0 offset:176
	;; [unrolled: 1-line block ×4, first 2 shown]
	v_cmpx_lt_u32_e32 9, v0
	s_cbranch_execz .LBB114_301
; %bb.300:
	v_mov_b32_e32 v4, s54
	v_mov_b32_e32 v5, 0
	s_clause 0x3
	buffer_load_dword v1, v4, s[0:3], 0 offen
	buffer_load_dword v2, v4, s[0:3], 0 offen offset:4
	buffer_load_dword v3, v4, s[0:3], 0 offen offset:8
	;; [unrolled: 1-line block ×3, first 2 shown]
	buffer_store_dword v5, off, s[0:3], 0 offset:160
	buffer_store_dword v5, off, s[0:3], 0 offset:164
	;; [unrolled: 1-line block ×4, first 2 shown]
	s_waitcnt vmcnt(0)
	ds_write_b128 v171, v[1:4]
.LBB114_301:
	s_or_b32 exec_lo, exec_lo, s4
	s_waitcnt lgkmcnt(0)
	s_waitcnt_vscnt null, 0x0
	s_barrier
	buffer_gl0_inv
	s_clause 0x37
	buffer_load_dword v111, off, s[0:3], 0 offset:184
	buffer_load_dword v112, off, s[0:3], 0 offset:188
	;; [unrolled: 1-line block ×56, first 2 shown]
	v_mov_b32_e32 v163, 0
	s_mov_b32 s4, exec_lo
	ds_read_b128 v[164:167], v163 offset:976
	s_clause 0x2
	buffer_load_dword v160, off, s[0:3], 0 offset:412
	buffer_load_dword v162, off, s[0:3], 0 offset:388
	;; [unrolled: 1-line block ×3, first 2 shown]
	ds_read_b128 v[172:175], v163 offset:992
	s_clause 0x4
	buffer_load_dword v181, off, s[0:3], 0 offset:428
	buffer_load_dword v182, off, s[0:3], 0 offset:440
	buffer_load_dword v184, off, s[0:3], 0 offset:432
	buffer_load_dword v180, off, s[0:3], 0 offset:424
	buffer_load_dword v152, off, s[0:3], 0 offset:404
	ds_read_b128 v[176:179], v163 offset:1008
	s_clause 0x2
	buffer_load_dword v183, off, s[0:3], 0 offset:444
	buffer_load_dword v188, off, s[0:3], 0 offset:420
	;; [unrolled: 1-line block ×3, first 2 shown]
	s_waitcnt vmcnt(62) lgkmcnt(2)
	v_mul_f64 v[168:169], v[166:167], v[111:112]
	v_mul_f64 v[111:112], v[164:165], v[111:112]
	s_waitcnt lgkmcnt(1)
	v_mul_f64 v[185:186], v[174:175], v[5:6]
	s_waitcnt vmcnt(59) lgkmcnt(0)
	v_mul_f64 v[189:190], v[178:179], v[3:4]
	v_fma_f64 v[164:165], v[164:165], v[7:8], -v[168:169]
	v_mul_f64 v[168:169], v[172:173], v[5:6]
	v_fma_f64 v[111:112], v[166:167], v[7:8], v[111:112]
	s_waitcnt vmcnt(57)
	v_fma_f64 v[172:173], v[172:173], v[1:2], -v[185:186]
	ds_read_b128 v[5:8], v163 offset:1024
	v_mul_f64 v[166:167], v[176:177], v[3:4]
	s_waitcnt vmcnt(51)
	v_fma_f64 v[176:177], v[176:177], v[127:128], -v[189:190]
	v_add_f64 v[164:165], v[164:165], 0
	v_fma_f64 v[168:169], v[174:175], v[1:2], v[168:169]
	v_add_f64 v[111:112], v[111:112], 0
	s_clause 0x4
	buffer_load_dword v175, off, s[0:3], 0 offset:460
	buffer_load_dword v191, off, s[0:3], 0 offset:472
	;; [unrolled: 1-line block ×5, first 2 shown]
	s_waitcnt lgkmcnt(0)
	v_mul_f64 v[194:195], v[5:6], v[115:116]
	v_mul_f64 v[115:116], v[7:8], v[115:116]
	ds_read_b128 v[1:4], v163 offset:1040
	v_fma_f64 v[127:128], v[178:179], v[127:128], v[166:167]
	v_add_f64 v[172:173], v[164:165], v[172:173]
	v_add_f64 v[111:112], v[111:112], v[168:169]
	s_clause 0x2
	buffer_load_dword v192, off, s[0:3], 0 offset:476
	buffer_load_dword v169, off, s[0:3], 0 offset:452
	;; [unrolled: 1-line block ×3, first 2 shown]
	s_waitcnt vmcnt(58) lgkmcnt(0)
	v_mul_f64 v[178:179], v[1:2], v[119:120]
	v_mul_f64 v[119:120], v[3:4], v[119:120]
	s_waitcnt vmcnt(56)
	v_fma_f64 v[115:116], v[5:6], v[121:122], -v[115:116]
	ds_read_b128 v[164:167], v163 offset:1056
	v_fma_f64 v[121:122], v[7:8], v[121:122], v[194:195]
	v_add_f64 v[172:173], v[172:173], v[176:177]
	v_add_f64 v[111:112], v[111:112], v[127:128]
	s_clause 0x4
	buffer_load_dword v128, off, s[0:3], 0 offset:492
	buffer_load_dword v176, off, s[0:3], 0 offset:504
	;; [unrolled: 1-line block ×5, first 2 shown]
	ds_read_b128 v[5:8], v163 offset:1072
	s_waitcnt vmcnt(57) lgkmcnt(1)
	v_mul_f64 v[195:196], v[164:165], v[123:124]
	v_mul_f64 v[123:124], v[166:167], v[123:124]
	s_waitcnt vmcnt(56)
	v_fma_f64 v[119:120], v[1:2], v[113:114], -v[119:120]
	v_fma_f64 v[113:114], v[3:4], v[113:114], v[178:179]
	v_add_f64 v[115:116], v[172:173], v[115:116]
	v_add_f64 v[111:112], v[111:112], v[121:122]
	s_clause 0x2
	buffer_load_dword v177, off, s[0:3], 0 offset:508
	buffer_load_dword v122, off, s[0:3], 0 offset:484
	;; [unrolled: 1-line block ×3, first 2 shown]
	s_waitcnt vmcnt(58) lgkmcnt(0)
	v_mul_f64 v[172:173], v[5:6], v[129:130]
	v_mul_f64 v[129:130], v[7:8], v[129:130]
	s_waitcnt vmcnt(56)
	v_fma_f64 v[123:124], v[164:165], v[131:132], -v[123:124]
	ds_read_b128 v[1:4], v163 offset:1088
	v_add_f64 v[115:116], v[115:116], v[119:120]
	v_fma_f64 v[119:120], v[166:167], v[131:132], v[195:196]
	v_add_f64 v[131:132], v[111:112], v[113:114]
	s_clause 0x4
	buffer_load_dword v165, off, s[0:3], 0 offset:524
	buffer_load_dword v166, off, s[0:3], 0 offset:536
	;; [unrolled: 1-line block ×5, first 2 shown]
	ds_read_b128 v[111:114], v163 offset:1104
	s_waitcnt vmcnt(57) lgkmcnt(1)
	v_mul_f64 v[195:196], v[1:2], v[133:134]
	v_mul_f64 v[133:134], v[3:4], v[133:134]
	s_waitcnt vmcnt(56)
	v_fma_f64 v[129:130], v[5:6], v[117:118], -v[129:130]
	v_fma_f64 v[117:118], v[7:8], v[117:118], v[172:173]
	v_add_f64 v[115:116], v[115:116], v[123:124]
	s_clause 0x2
	buffer_load_dword v167, off, s[0:3], 0 offset:540
	buffer_load_dword v124, off, s[0:3], 0 offset:516
	;; [unrolled: 1-line block ×3, first 2 shown]
	v_add_f64 v[119:120], v[131:132], v[119:120]
	s_waitcnt vmcnt(58) lgkmcnt(0)
	v_mul_f64 v[131:132], v[111:112], v[137:138]
	v_mul_f64 v[137:138], v[113:114], v[137:138]
	ds_read_b128 v[5:8], v163 offset:1120
	s_waitcnt vmcnt(56)
	v_fma_f64 v[133:134], v[1:2], v[139:140], -v[133:134]
	v_add_f64 v[115:116], v[115:116], v[129:130]
	v_fma_f64 v[129:130], v[3:4], v[139:140], v[195:196]
	v_add_f64 v[117:118], v[119:120], v[117:118]
	s_clause 0x4
	buffer_load_dword v120, off, s[0:3], 0 offset:556
	buffer_load_dword v139, off, s[0:3], 0 offset:568
	;; [unrolled: 1-line block ×5, first 2 shown]
	s_waitcnt vmcnt(57) lgkmcnt(0)
	v_mul_f64 v[195:196], v[5:6], v[141:142]
	v_mul_f64 v[141:142], v[7:8], v[141:142]
	s_waitcnt vmcnt(56)
	v_fma_f64 v[137:138], v[111:112], v[125:126], -v[137:138]
	ds_read_b128 v[1:4], v163 offset:1136
	v_fma_f64 v[125:126], v[113:114], v[125:126], v[131:132]
	v_add_f64 v[115:116], v[115:116], v[133:134]
	v_add_f64 v[117:118], v[117:118], v[129:130]
	s_clause 0x2
	buffer_load_dword v140, off, s[0:3], 0 offset:572
	buffer_load_dword v130, off, s[0:3], 0 offset:548
	;; [unrolled: 1-line block ×3, first 2 shown]
	ds_read_b128 v[111:114], v163 offset:1152
	s_waitcnt vmcnt(58) lgkmcnt(1)
	v_mul_f64 v[133:134], v[3:4], v[145:146]
	s_waitcnt vmcnt(56)
	v_fma_f64 v[141:142], v[5:6], v[147:148], -v[141:142]
	v_mul_f64 v[131:132], v[1:2], v[145:146]
	v_add_f64 v[115:116], v[115:116], v[137:138]
	v_fma_f64 v[137:138], v[7:8], v[147:148], v[195:196]
	v_add_f64 v[117:118], v[117:118], v[125:126]
	s_clause 0x4
	buffer_load_dword v126, off, s[0:3], 0 offset:588
	buffer_load_dword v145, off, s[0:3], 0 offset:600
	;; [unrolled: 1-line block ×5, first 2 shown]
	s_waitcnt vmcnt(57) lgkmcnt(0)
	v_mul_f64 v[195:196], v[111:112], v[149:150]
	v_mul_f64 v[148:149], v[113:114], v[149:150]
	s_waitcnt vmcnt(56)
	v_fma_f64 v[133:134], v[1:2], v[135:136], -v[133:134]
	ds_read_b128 v[5:8], v163 offset:1168
	v_fma_f64 v[131:132], v[3:4], v[135:136], v[131:132]
	s_clause 0x2
	buffer_load_dword v146, off, s[0:3], 0 offset:604
	buffer_load_dword v136, off, s[0:3], 0 offset:580
	;; [unrolled: 1-line block ×3, first 2 shown]
	ds_read_b128 v[1:4], v163 offset:1184
	v_add_f64 v[115:116], v[115:116], v[141:142]
	v_add_f64 v[117:118], v[117:118], v[137:138]
	s_waitcnt vmcnt(58) lgkmcnt(1)
	v_mul_f64 v[141:142], v[7:8], v[153:154]
	s_waitcnt vmcnt(56)
	v_fma_f64 v[149:150], v[111:112], v[155:156], -v[148:149]
	v_mul_f64 v[137:138], v[5:6], v[153:154]
	v_add_f64 v[115:116], v[115:116], v[133:134]
	v_fma_f64 v[133:134], v[113:114], v[155:156], v[195:196]
	v_add_f64 v[117:118], v[117:118], v[131:132]
	s_clause 0x4
	buffer_load_dword v132, off, s[0:3], 0 offset:620
	buffer_load_dword v153, off, s[0:3], 0 offset:632
	;; [unrolled: 1-line block ×5, first 2 shown]
	s_waitcnt vmcnt(57) lgkmcnt(0)
	v_mul_f64 v[195:196], v[1:2], v[157:158]
	v_mul_f64 v[156:157], v[3:4], v[157:158]
	s_waitcnt vmcnt(56)
	v_fma_f64 v[141:142], v[5:6], v[143:144], -v[141:142]
	ds_read_b128 v[111:114], v163 offset:1200
	v_fma_f64 v[137:138], v[7:8], v[143:144], v[137:138]
	v_add_f64 v[115:116], v[115:116], v[149:150]
	v_add_f64 v[117:118], v[117:118], v[133:134]
	s_clause 0x2
	buffer_load_dword v154, off, s[0:3], 0 offset:636
	buffer_load_dword v134, off, s[0:3], 0 offset:612
	;; [unrolled: 1-line block ×3, first 2 shown]
	ds_read_b128 v[5:8], v163 offset:1216
	s_waitcnt vmcnt(58) lgkmcnt(1)
	v_mul_f64 v[149:150], v[113:114], v[159:160]
	s_waitcnt vmcnt(56)
	v_fma_f64 v[157:158], v[1:2], v[161:162], -v[156:157]
	v_mul_f64 v[143:144], v[111:112], v[159:160]
	v_add_f64 v[115:116], v[115:116], v[141:142]
	v_fma_f64 v[141:142], v[3:4], v[161:162], v[195:196]
	v_add_f64 v[117:118], v[117:118], v[137:138]
	s_clause 0x4
	buffer_load_dword v138, off, s[0:3], 0 offset:652
	buffer_load_dword v159, off, s[0:3], 0 offset:664
	;; [unrolled: 1-line block ×5, first 2 shown]
	s_waitcnt vmcnt(57) lgkmcnt(0)
	v_mul_f64 v[195:196], v[5:6], v[180:181]
	v_mul_f64 v[180:181], v[7:8], v[180:181]
	s_waitcnt vmcnt(56)
	v_fma_f64 v[149:150], v[111:112], v[151:152], -v[149:150]
	ds_read_b128 v[1:4], v163 offset:1232
	v_fma_f64 v[143:144], v[113:114], v[151:152], v[143:144]
	v_add_f64 v[115:116], v[115:116], v[157:158]
	v_add_f64 v[117:118], v[117:118], v[141:142]
	s_clause 0x2
	buffer_load_dword v160, off, s[0:3], 0 offset:668
	buffer_load_dword v142, off, s[0:3], 0 offset:644
	;; [unrolled: 1-line block ×3, first 2 shown]
	ds_read_b128 v[111:114], v163 offset:1248
	s_waitcnt vmcnt(58) lgkmcnt(1)
	v_mul_f64 v[157:158], v[3:4], v[182:183]
	s_waitcnt vmcnt(56)
	v_fma_f64 v[180:181], v[5:6], v[187:188], -v[180:181]
	v_mul_f64 v[151:152], v[1:2], v[182:183]
	v_add_f64 v[115:116], v[115:116], v[149:150]
	v_fma_f64 v[149:150], v[7:8], v[187:188], v[195:196]
	v_add_f64 v[117:118], v[117:118], v[143:144]
	s_clause 0x4
	buffer_load_dword v144, off, s[0:3], 0 offset:684
	buffer_load_dword v182, off, s[0:3], 0 offset:696
	;; [unrolled: 1-line block ×5, first 2 shown]
	ds_read_b128 v[5:8], v163 offset:1264
	s_waitcnt vmcnt(57) lgkmcnt(1)
	v_mul_f64 v[187:188], v[111:112], v[174:175]
	v_mul_f64 v[174:175], v[113:114], v[174:175]
	s_waitcnt vmcnt(56)
	v_fma_f64 v[157:158], v[1:2], v[184:185], -v[157:158]
	v_fma_f64 v[151:152], v[3:4], v[184:185], v[151:152]
	v_add_f64 v[115:116], v[115:116], v[180:181]
	v_add_f64 v[117:118], v[117:118], v[149:150]
	s_clause 0x2
	buffer_load_dword v183, off, s[0:3], 0 offset:700
	buffer_load_dword v150, off, s[0:3], 0 offset:676
	;; [unrolled: 1-line block ×3, first 2 shown]
	ds_read_b128 v[1:4], v163 offset:1280
	s_waitcnt vmcnt(58) lgkmcnt(1)
	v_mul_f64 v[184:185], v[7:8], v[191:192]
	v_mul_f64 v[180:181], v[5:6], v[191:192]
	s_waitcnt vmcnt(56)
	v_fma_f64 v[174:175], v[111:112], v[168:169], -v[174:175]
	v_add_f64 v[115:116], v[115:116], v[157:158]
	v_fma_f64 v[157:158], v[113:114], v[168:169], v[187:188]
	v_add_f64 v[117:118], v[117:118], v[151:152]
	s_clause 0x4
	buffer_load_dword v152, off, s[0:3], 0 offset:716
	buffer_load_dword v168, off, s[0:3], 0 offset:728
	buffer_load_dword v191, off, s[0:3], 0 offset:720
	buffer_load_dword v151, off, s[0:3], 0 offset:712
	buffer_load_dword v187, off, s[0:3], 0 offset:692
	ds_read_b128 v[111:114], v163 offset:1296
	s_waitcnt vmcnt(57) lgkmcnt(1)
	v_mul_f64 v[195:196], v[1:2], v[127:128]
	v_mul_f64 v[127:128], v[3:4], v[127:128]
	s_waitcnt vmcnt(56)
	v_fma_f64 v[184:185], v[5:6], v[193:194], -v[184:185]
	v_add_f64 v[115:116], v[115:116], v[174:175]
	v_fma_f64 v[174:175], v[7:8], v[193:194], v[180:181]
	v_add_f64 v[117:118], v[117:118], v[157:158]
	s_clause 0x2
	buffer_load_dword v169, off, s[0:3], 0 offset:732
	buffer_load_dword v158, off, s[0:3], 0 offset:708
	buffer_load_dword v157, off, s[0:3], 0 offset:704
	ds_read_b128 v[5:8], v163 offset:1312
	s_waitcnt vmcnt(58) lgkmcnt(1)
	v_mul_f64 v[180:181], v[111:112], v[176:177]
	v_mul_f64 v[176:177], v[113:114], v[176:177]
	s_waitcnt vmcnt(56)
	v_fma_f64 v[127:128], v[1:2], v[121:122], -v[127:128]
	v_fma_f64 v[121:122], v[3:4], v[121:122], v[195:196]
	v_add_f64 v[115:116], v[115:116], v[184:185]
	v_add_f64 v[117:118], v[117:118], v[174:175]
	s_clause 0x4
	buffer_load_dword v175, off, s[0:3], 0 offset:748
	buffer_load_dword v184, off, s[0:3], 0 offset:760
	buffer_load_dword v188, off, s[0:3], 0 offset:752
	buffer_load_dword v174, off, s[0:3], 0 offset:744
	buffer_load_dword v192, off, s[0:3], 0 offset:724
	ds_read_b128 v[1:4], v163 offset:1328
	s_waitcnt vmcnt(57) lgkmcnt(1)
	v_mul_f64 v[193:194], v[5:6], v[164:165]
	v_mul_f64 v[164:165], v[7:8], v[164:165]
	s_waitcnt vmcnt(56)
	v_fma_f64 v[176:177], v[111:112], v[189:190], -v[176:177]
	v_add_f64 v[115:116], v[115:116], v[127:128]
	v_fma_f64 v[127:128], v[113:114], v[189:190], v[180:181]
	v_add_f64 v[117:118], v[117:118], v[121:122]
	s_clause 0x2
	buffer_load_dword v185, off, s[0:3], 0 offset:764
	buffer_load_dword v122, off, s[0:3], 0 offset:740
	buffer_load_dword v121, off, s[0:3], 0 offset:736
	ds_read_b128 v[111:114], v163 offset:1344
	s_waitcnt vmcnt(58) lgkmcnt(1)
	v_mul_f64 v[180:181], v[1:2], v[166:167]
	v_mul_f64 v[166:167], v[3:4], v[166:167]
	s_waitcnt vmcnt(56)
	v_fma_f64 v[164:165], v[5:6], v[123:124], -v[164:165]
	v_fma_f64 v[123:124], v[7:8], v[123:124], v[193:194]
	v_add_f64 v[115:116], v[115:116], v[176:177]
	;; [unrolled: 28-line block ×3, first 2 shown]
	v_add_f64 v[117:118], v[117:118], v[164:165]
	s_clause 0x4
	buffer_load_dword v165, off, s[0:3], 0 offset:812
	buffer_load_dword v166, off, s[0:3], 0 offset:824
	;; [unrolled: 1-line block ×5, first 2 shown]
	ds_read_b128 v[111:114], v163 offset:1392
	s_waitcnt vmcnt(57) lgkmcnt(1)
	v_mul_f64 v[195:196], v[1:2], v[125:126]
	v_mul_f64 v[125:126], v[3:4], v[125:126]
	s_waitcnt vmcnt(56)
	v_fma_f64 v[139:140], v[5:6], v[172:173], -v[139:140]
	v_add_f64 v[115:116], v[115:116], v[119:120]
	v_fma_f64 v[119:120], v[7:8], v[172:173], v[178:179]
	v_add_f64 v[117:118], v[117:118], v[129:130]
	s_clause 0x2
	buffer_load_dword v167, off, s[0:3], 0 offset:828
	buffer_load_dword v130, off, s[0:3], 0 offset:804
	buffer_load_dword v129, off, s[0:3], 0 offset:800
	s_waitcnt vmcnt(58) lgkmcnt(0)
	v_mul_f64 v[172:173], v[111:112], v[145:146]
	v_mul_f64 v[145:146], v[113:114], v[145:146]
	ds_read_b128 v[5:8], v163 offset:1408
	buffer_load_dword v181, off, s[0:3], 0 offset:820
	s_waitcnt vmcnt(57)
	v_fma_f64 v[125:126], v[1:2], v[135:136], -v[125:126]
	v_fma_f64 v[135:136], v[3:4], v[135:136], v[195:196]
	ds_read_b128 v[1:4], v163 offset:1424
	v_add_f64 v[115:116], v[115:116], v[139:140]
	v_add_f64 v[117:118], v[117:118], v[119:120]
	s_waitcnt vmcnt(53) lgkmcnt(1)
	v_mul_f64 v[119:120], v[5:6], v[131:132]
	v_mul_f64 v[131:132], v[7:8], v[131:132]
	s_waitcnt vmcnt(52)
	v_fma_f64 v[139:140], v[111:112], v[147:148], -v[145:146]
	v_add_f64 v[115:116], v[115:116], v[125:126]
	v_fma_f64 v[125:126], v[113:114], v[147:148], v[172:173]
	v_add_f64 v[117:118], v[117:118], v[135:136]
	ds_read_b128 v[111:114], v163 offset:1440
	s_waitcnt vmcnt(51) lgkmcnt(1)
	v_mul_f64 v[145:146], v[3:4], v[153:154]
	v_mul_f64 v[135:136], v[1:2], v[153:154]
	s_waitcnt vmcnt(49)
	v_fma_f64 v[131:132], v[5:6], v[133:134], -v[131:132]
	v_fma_f64 v[119:120], v[7:8], v[133:134], v[119:120]
	v_add_f64 v[115:116], v[115:116], v[139:140]
	v_add_f64 v[117:118], v[117:118], v[125:126]
	s_clause 0x3
	buffer_load_dword v125, off, s[0:3], 0 offset:160
	buffer_load_dword v126, off, s[0:3], 0 offset:164
	;; [unrolled: 1-line block ×4, first 2 shown]
	ds_read_b128 v[5:8], v163 offset:1456
	s_waitcnt vmcnt(49) lgkmcnt(1)
	v_mul_f64 v[139:140], v[111:112], v[137:138]
	v_mul_f64 v[137:138], v[113:114], v[137:138]
	s_waitcnt vmcnt(48)
	v_fma_f64 v[145:146], v[1:2], v[155:156], -v[145:146]
	v_add_f64 v[115:116], v[115:116], v[131:132]
	v_fma_f64 v[131:132], v[3:4], v[155:156], v[135:136]
	v_add_f64 v[117:118], v[117:118], v[119:120]
	ds_read_b128 v[1:4], v163 offset:1472
	s_waitcnt vmcnt(47) lgkmcnt(1)
	v_mul_f64 v[135:136], v[7:8], v[159:160]
	v_mul_f64 v[119:120], v[5:6], v[159:160]
	s_waitcnt vmcnt(45)
	v_fma_f64 v[137:138], v[111:112], v[141:142], -v[137:138]
	v_fma_f64 v[139:140], v[113:114], v[141:142], v[139:140]
	ds_read_b128 v[111:114], v163 offset:1488
	v_add_f64 v[115:116], v[115:116], v[145:146]
	v_add_f64 v[117:118], v[117:118], v[131:132]
	s_waitcnt vmcnt(41) lgkmcnt(1)
	v_mul_f64 v[141:142], v[3:4], v[143:144]
	s_waitcnt vmcnt(40)
	v_fma_f64 v[135:136], v[5:6], v[161:162], -v[135:136]
	v_mul_f64 v[131:132], v[1:2], v[143:144]
	v_fma_f64 v[119:120], v[7:8], v[161:162], v[119:120]
	ds_read_b128 v[5:8], v163 offset:1504
	v_add_f64 v[115:116], v[115:116], v[137:138]
	v_add_f64 v[117:118], v[117:118], v[139:140]
	s_waitcnt vmcnt(39) lgkmcnt(1)
	v_mul_f64 v[139:140], v[113:114], v[182:183]
	v_mul_f64 v[137:138], v[111:112], v[182:183]
	s_waitcnt vmcnt(37)
	v_fma_f64 v[141:142], v[1:2], v[149:150], -v[141:142]
	v_fma_f64 v[131:132], v[3:4], v[149:150], v[131:132]
	ds_read_b128 v[1:4], v163 offset:1520
	v_add_f64 v[115:116], v[115:116], v[135:136]
	v_add_f64 v[117:118], v[117:118], v[119:120]
	s_waitcnt vmcnt(33) lgkmcnt(1)
	v_mul_f64 v[135:136], v[7:8], v[151:152]
	s_waitcnt vmcnt(32)
	v_fma_f64 v[139:140], v[111:112], v[186:187], -v[139:140]
	v_mul_f64 v[119:120], v[5:6], v[151:152]
	v_fma_f64 v[137:138], v[113:114], v[186:187], v[137:138]
	ds_read_b128 v[111:114], v163 offset:1536
	v_add_f64 v[115:116], v[115:116], v[141:142]
	v_add_f64 v[117:118], v[117:118], v[131:132]
	;; [unrolled: 18-line block ×3, first 2 shown]
	s_waitcnt vmcnt(23) lgkmcnt(1)
	v_mul_f64 v[135:136], v[7:8], v[184:185]
	v_mul_f64 v[119:120], v[5:6], v[184:185]
	s_waitcnt vmcnt(21)
	v_fma_f64 v[139:140], v[111:112], v[121:122], -v[139:140]
	v_fma_f64 v[121:122], v[113:114], v[121:122], v[137:138]
	ds_read_b128 v[111:114], v163 offset:1584
	v_add_f64 v[115:116], v[115:116], v[141:142]
	v_add_f64 v[117:118], v[117:118], v[131:132]
	s_waitcnt vmcnt(17) lgkmcnt(1)
	v_mul_f64 v[131:132], v[1:2], v[127:128]
	v_mul_f64 v[127:128], v[3:4], v[127:128]
	s_waitcnt vmcnt(16)
	v_fma_f64 v[135:136], v[5:6], v[188:189], -v[135:136]
	v_fma_f64 v[119:120], v[7:8], v[188:189], v[119:120]
	ds_read_b128 v[5:8], v163 offset:1600
	v_add_f64 v[115:116], v[115:116], v[139:140]
	v_add_f64 v[117:118], v[117:118], v[121:122]
	;; [unrolled: 9-line block ×3, first 2 shown]
	s_waitcnt vmcnt(9) lgkmcnt(1)
	v_mul_f64 v[131:132], v[7:8], v[164:165]
	s_waitcnt vmcnt(8)
	v_fma_f64 v[111:112], v[111:112], v[193:194], -v[137:138]
	v_mul_f64 v[119:120], v[5:6], v[164:165]
	v_fma_f64 v[113:114], v[113:114], v[193:194], v[121:122]
	v_add_f64 v[115:116], v[115:116], v[127:128]
	v_add_f64 v[117:118], v[117:118], v[123:124]
	s_waitcnt vmcnt(7) lgkmcnt(0)
	v_mul_f64 v[123:124], v[3:4], v[166:167]
	v_mul_f64 v[121:122], v[1:2], v[166:167]
	s_waitcnt vmcnt(5)
	v_fma_f64 v[5:6], v[5:6], v[129:130], -v[131:132]
	v_fma_f64 v[7:8], v[7:8], v[129:130], v[119:120]
	v_add_f64 v[111:112], v[115:116], v[111:112]
	v_add_f64 v[113:114], v[117:118], v[113:114]
	s_waitcnt vmcnt(4)
	v_fma_f64 v[1:2], v[1:2], v[180:181], -v[123:124]
	v_fma_f64 v[3:4], v[3:4], v[180:181], v[121:122]
	v_add_f64 v[5:6], v[111:112], v[5:6]
	v_add_f64 v[7:8], v[113:114], v[7:8]
	;; [unrolled: 1-line block ×4, first 2 shown]
	s_waitcnt vmcnt(2)
	v_add_f64 v[1:2], v[125:126], -v[1:2]
	s_waitcnt vmcnt(0)
	v_add_f64 v[3:4], v[133:134], -v[3:4]
	buffer_store_dword v2, off, s[0:3], 0 offset:164
	buffer_store_dword v1, off, s[0:3], 0 offset:160
	;; [unrolled: 1-line block ×4, first 2 shown]
	v_cmpx_lt_u32_e32 8, v0
	s_cbranch_execz .LBB114_303
; %bb.302:
	v_mov_b32_e32 v4, s55
	s_clause 0x3
	buffer_load_dword v1, v4, s[0:3], 0 offen
	buffer_load_dword v2, v4, s[0:3], 0 offen offset:4
	buffer_load_dword v3, v4, s[0:3], 0 offen offset:8
	;; [unrolled: 1-line block ×3, first 2 shown]
	buffer_store_dword v163, off, s[0:3], 0 offset:144
	buffer_store_dword v163, off, s[0:3], 0 offset:148
	;; [unrolled: 1-line block ×4, first 2 shown]
	s_waitcnt vmcnt(0)
	ds_write_b128 v171, v[1:4]
.LBB114_303:
	s_or_b32 exec_lo, exec_lo, s4
	s_waitcnt lgkmcnt(0)
	s_waitcnt_vscnt null, 0x0
	s_barrier
	buffer_gl0_inv
	s_clause 0x37
	buffer_load_dword v111, off, s[0:3], 0 offset:168
	buffer_load_dword v112, off, s[0:3], 0 offset:172
	;; [unrolled: 1-line block ×56, first 2 shown]
	ds_read_b128 v[164:167], v163 offset:960
	s_clause 0x2
	buffer_load_dword v160, off, s[0:3], 0 offset:396
	buffer_load_dword v162, off, s[0:3], 0 offset:372
	;; [unrolled: 1-line block ×3, first 2 shown]
	ds_read_b128 v[172:175], v163 offset:976
	s_clause 0x4
	buffer_load_dword v181, off, s[0:3], 0 offset:412
	buffer_load_dword v182, off, s[0:3], 0 offset:424
	;; [unrolled: 1-line block ×5, first 2 shown]
	ds_read_b128 v[176:179], v163 offset:992
	s_clause 0x2
	buffer_load_dword v183, off, s[0:3], 0 offset:428
	buffer_load_dword v188, off, s[0:3], 0 offset:404
	;; [unrolled: 1-line block ×3, first 2 shown]
	s_mov_b32 s4, exec_lo
	s_waitcnt vmcnt(62) lgkmcnt(2)
	v_mul_f64 v[168:169], v[166:167], v[111:112]
	v_mul_f64 v[111:112], v[164:165], v[111:112]
	s_waitcnt lgkmcnt(1)
	v_mul_f64 v[185:186], v[174:175], v[5:6]
	s_waitcnt vmcnt(59) lgkmcnt(0)
	v_mul_f64 v[189:190], v[178:179], v[3:4]
	v_fma_f64 v[164:165], v[164:165], v[7:8], -v[168:169]
	v_mul_f64 v[168:169], v[172:173], v[5:6]
	v_fma_f64 v[111:112], v[166:167], v[7:8], v[111:112]
	s_waitcnt vmcnt(57)
	v_fma_f64 v[172:173], v[172:173], v[1:2], -v[185:186]
	ds_read_b128 v[5:8], v163 offset:1008
	v_mul_f64 v[166:167], v[176:177], v[3:4]
	s_waitcnt vmcnt(51)
	v_fma_f64 v[176:177], v[176:177], v[127:128], -v[189:190]
	v_add_f64 v[164:165], v[164:165], 0
	v_fma_f64 v[168:169], v[174:175], v[1:2], v[168:169]
	v_add_f64 v[111:112], v[111:112], 0
	s_clause 0x4
	buffer_load_dword v175, off, s[0:3], 0 offset:444
	buffer_load_dword v191, off, s[0:3], 0 offset:456
	;; [unrolled: 1-line block ×5, first 2 shown]
	s_waitcnt lgkmcnt(0)
	v_mul_f64 v[194:195], v[5:6], v[115:116]
	v_mul_f64 v[115:116], v[7:8], v[115:116]
	ds_read_b128 v[1:4], v163 offset:1024
	v_fma_f64 v[127:128], v[178:179], v[127:128], v[166:167]
	v_add_f64 v[172:173], v[164:165], v[172:173]
	v_add_f64 v[111:112], v[111:112], v[168:169]
	s_clause 0x2
	buffer_load_dword v192, off, s[0:3], 0 offset:460
	buffer_load_dword v169, off, s[0:3], 0 offset:436
	;; [unrolled: 1-line block ×3, first 2 shown]
	s_waitcnt vmcnt(58) lgkmcnt(0)
	v_mul_f64 v[178:179], v[1:2], v[119:120]
	v_mul_f64 v[119:120], v[3:4], v[119:120]
	s_waitcnt vmcnt(56)
	v_fma_f64 v[115:116], v[5:6], v[121:122], -v[115:116]
	ds_read_b128 v[164:167], v163 offset:1040
	v_fma_f64 v[121:122], v[7:8], v[121:122], v[194:195]
	v_add_f64 v[172:173], v[172:173], v[176:177]
	v_add_f64 v[111:112], v[111:112], v[127:128]
	s_clause 0x4
	buffer_load_dword v128, off, s[0:3], 0 offset:476
	buffer_load_dword v176, off, s[0:3], 0 offset:488
	;; [unrolled: 1-line block ×5, first 2 shown]
	ds_read_b128 v[5:8], v163 offset:1056
	s_waitcnt vmcnt(57) lgkmcnt(1)
	v_mul_f64 v[195:196], v[164:165], v[123:124]
	v_mul_f64 v[123:124], v[166:167], v[123:124]
	s_waitcnt vmcnt(56)
	v_fma_f64 v[119:120], v[1:2], v[113:114], -v[119:120]
	v_fma_f64 v[113:114], v[3:4], v[113:114], v[178:179]
	v_add_f64 v[115:116], v[172:173], v[115:116]
	v_add_f64 v[111:112], v[111:112], v[121:122]
	s_clause 0x2
	buffer_load_dword v177, off, s[0:3], 0 offset:492
	buffer_load_dword v122, off, s[0:3], 0 offset:468
	;; [unrolled: 1-line block ×3, first 2 shown]
	s_waitcnt vmcnt(58) lgkmcnt(0)
	v_mul_f64 v[172:173], v[5:6], v[129:130]
	v_mul_f64 v[129:130], v[7:8], v[129:130]
	s_waitcnt vmcnt(56)
	v_fma_f64 v[123:124], v[164:165], v[131:132], -v[123:124]
	ds_read_b128 v[1:4], v163 offset:1072
	v_add_f64 v[115:116], v[115:116], v[119:120]
	v_fma_f64 v[119:120], v[166:167], v[131:132], v[195:196]
	v_add_f64 v[131:132], v[111:112], v[113:114]
	s_clause 0x4
	buffer_load_dword v165, off, s[0:3], 0 offset:508
	buffer_load_dword v166, off, s[0:3], 0 offset:520
	;; [unrolled: 1-line block ×5, first 2 shown]
	ds_read_b128 v[111:114], v163 offset:1088
	s_waitcnt vmcnt(57) lgkmcnt(1)
	v_mul_f64 v[195:196], v[1:2], v[133:134]
	v_mul_f64 v[133:134], v[3:4], v[133:134]
	s_waitcnt vmcnt(56)
	v_fma_f64 v[129:130], v[5:6], v[117:118], -v[129:130]
	v_fma_f64 v[117:118], v[7:8], v[117:118], v[172:173]
	v_add_f64 v[115:116], v[115:116], v[123:124]
	s_clause 0x2
	buffer_load_dword v167, off, s[0:3], 0 offset:524
	buffer_load_dword v124, off, s[0:3], 0 offset:500
	;; [unrolled: 1-line block ×3, first 2 shown]
	v_add_f64 v[119:120], v[131:132], v[119:120]
	s_waitcnt vmcnt(58) lgkmcnt(0)
	v_mul_f64 v[131:132], v[111:112], v[137:138]
	v_mul_f64 v[137:138], v[113:114], v[137:138]
	ds_read_b128 v[5:8], v163 offset:1104
	s_waitcnt vmcnt(56)
	v_fma_f64 v[133:134], v[1:2], v[139:140], -v[133:134]
	v_add_f64 v[115:116], v[115:116], v[129:130]
	v_fma_f64 v[129:130], v[3:4], v[139:140], v[195:196]
	v_add_f64 v[117:118], v[119:120], v[117:118]
	s_clause 0x4
	buffer_load_dword v120, off, s[0:3], 0 offset:540
	buffer_load_dword v139, off, s[0:3], 0 offset:552
	;; [unrolled: 1-line block ×5, first 2 shown]
	s_waitcnt vmcnt(57) lgkmcnt(0)
	v_mul_f64 v[195:196], v[5:6], v[141:142]
	v_mul_f64 v[141:142], v[7:8], v[141:142]
	s_waitcnt vmcnt(56)
	v_fma_f64 v[137:138], v[111:112], v[125:126], -v[137:138]
	ds_read_b128 v[1:4], v163 offset:1120
	v_fma_f64 v[125:126], v[113:114], v[125:126], v[131:132]
	v_add_f64 v[115:116], v[115:116], v[133:134]
	v_add_f64 v[117:118], v[117:118], v[129:130]
	s_clause 0x2
	buffer_load_dword v140, off, s[0:3], 0 offset:556
	buffer_load_dword v130, off, s[0:3], 0 offset:532
	;; [unrolled: 1-line block ×3, first 2 shown]
	ds_read_b128 v[111:114], v163 offset:1136
	s_waitcnt vmcnt(58) lgkmcnt(1)
	v_mul_f64 v[133:134], v[3:4], v[145:146]
	s_waitcnt vmcnt(56)
	v_fma_f64 v[141:142], v[5:6], v[147:148], -v[141:142]
	v_mul_f64 v[131:132], v[1:2], v[145:146]
	v_add_f64 v[115:116], v[115:116], v[137:138]
	v_fma_f64 v[137:138], v[7:8], v[147:148], v[195:196]
	v_add_f64 v[117:118], v[117:118], v[125:126]
	s_clause 0x4
	buffer_load_dword v126, off, s[0:3], 0 offset:572
	buffer_load_dword v145, off, s[0:3], 0 offset:584
	;; [unrolled: 1-line block ×5, first 2 shown]
	s_waitcnt vmcnt(57) lgkmcnt(0)
	v_mul_f64 v[195:196], v[111:112], v[149:150]
	v_mul_f64 v[148:149], v[113:114], v[149:150]
	s_waitcnt vmcnt(56)
	v_fma_f64 v[133:134], v[1:2], v[135:136], -v[133:134]
	ds_read_b128 v[5:8], v163 offset:1152
	v_fma_f64 v[131:132], v[3:4], v[135:136], v[131:132]
	s_clause 0x2
	buffer_load_dword v146, off, s[0:3], 0 offset:588
	buffer_load_dword v136, off, s[0:3], 0 offset:564
	;; [unrolled: 1-line block ×3, first 2 shown]
	ds_read_b128 v[1:4], v163 offset:1168
	v_add_f64 v[115:116], v[115:116], v[141:142]
	v_add_f64 v[117:118], v[117:118], v[137:138]
	s_waitcnt vmcnt(58) lgkmcnt(1)
	v_mul_f64 v[141:142], v[7:8], v[153:154]
	s_waitcnt vmcnt(56)
	v_fma_f64 v[149:150], v[111:112], v[155:156], -v[148:149]
	v_mul_f64 v[137:138], v[5:6], v[153:154]
	v_add_f64 v[115:116], v[115:116], v[133:134]
	v_fma_f64 v[133:134], v[113:114], v[155:156], v[195:196]
	v_add_f64 v[117:118], v[117:118], v[131:132]
	s_clause 0x4
	buffer_load_dword v132, off, s[0:3], 0 offset:604
	buffer_load_dword v153, off, s[0:3], 0 offset:616
	;; [unrolled: 1-line block ×5, first 2 shown]
	s_waitcnt vmcnt(57) lgkmcnt(0)
	v_mul_f64 v[195:196], v[1:2], v[157:158]
	v_mul_f64 v[156:157], v[3:4], v[157:158]
	s_waitcnt vmcnt(56)
	v_fma_f64 v[141:142], v[5:6], v[143:144], -v[141:142]
	ds_read_b128 v[111:114], v163 offset:1184
	v_fma_f64 v[137:138], v[7:8], v[143:144], v[137:138]
	v_add_f64 v[115:116], v[115:116], v[149:150]
	v_add_f64 v[117:118], v[117:118], v[133:134]
	s_clause 0x2
	buffer_load_dword v154, off, s[0:3], 0 offset:620
	buffer_load_dword v134, off, s[0:3], 0 offset:596
	;; [unrolled: 1-line block ×3, first 2 shown]
	ds_read_b128 v[5:8], v163 offset:1200
	s_waitcnt vmcnt(58) lgkmcnt(1)
	v_mul_f64 v[149:150], v[113:114], v[159:160]
	s_waitcnt vmcnt(56)
	v_fma_f64 v[157:158], v[1:2], v[161:162], -v[156:157]
	v_mul_f64 v[143:144], v[111:112], v[159:160]
	v_add_f64 v[115:116], v[115:116], v[141:142]
	v_fma_f64 v[141:142], v[3:4], v[161:162], v[195:196]
	v_add_f64 v[117:118], v[117:118], v[137:138]
	s_clause 0x4
	buffer_load_dword v138, off, s[0:3], 0 offset:636
	buffer_load_dword v159, off, s[0:3], 0 offset:648
	;; [unrolled: 1-line block ×5, first 2 shown]
	s_waitcnt vmcnt(57) lgkmcnt(0)
	v_mul_f64 v[195:196], v[5:6], v[180:181]
	v_mul_f64 v[180:181], v[7:8], v[180:181]
	s_waitcnt vmcnt(56)
	v_fma_f64 v[149:150], v[111:112], v[151:152], -v[149:150]
	ds_read_b128 v[1:4], v163 offset:1216
	v_fma_f64 v[143:144], v[113:114], v[151:152], v[143:144]
	v_add_f64 v[115:116], v[115:116], v[157:158]
	v_add_f64 v[117:118], v[117:118], v[141:142]
	s_clause 0x2
	buffer_load_dword v160, off, s[0:3], 0 offset:652
	buffer_load_dword v142, off, s[0:3], 0 offset:628
	buffer_load_dword v141, off, s[0:3], 0 offset:624
	ds_read_b128 v[111:114], v163 offset:1232
	s_waitcnt vmcnt(58) lgkmcnt(1)
	v_mul_f64 v[157:158], v[3:4], v[182:183]
	s_waitcnt vmcnt(56)
	v_fma_f64 v[180:181], v[5:6], v[187:188], -v[180:181]
	v_mul_f64 v[151:152], v[1:2], v[182:183]
	v_add_f64 v[115:116], v[115:116], v[149:150]
	v_fma_f64 v[149:150], v[7:8], v[187:188], v[195:196]
	v_add_f64 v[117:118], v[117:118], v[143:144]
	s_clause 0x4
	buffer_load_dword v144, off, s[0:3], 0 offset:668
	buffer_load_dword v182, off, s[0:3], 0 offset:680
	;; [unrolled: 1-line block ×5, first 2 shown]
	ds_read_b128 v[5:8], v163 offset:1248
	s_waitcnt vmcnt(57) lgkmcnt(1)
	v_mul_f64 v[187:188], v[111:112], v[174:175]
	v_mul_f64 v[174:175], v[113:114], v[174:175]
	s_waitcnt vmcnt(56)
	v_fma_f64 v[157:158], v[1:2], v[184:185], -v[157:158]
	v_fma_f64 v[151:152], v[3:4], v[184:185], v[151:152]
	v_add_f64 v[115:116], v[115:116], v[180:181]
	v_add_f64 v[117:118], v[117:118], v[149:150]
	s_clause 0x2
	buffer_load_dword v183, off, s[0:3], 0 offset:684
	buffer_load_dword v150, off, s[0:3], 0 offset:660
	;; [unrolled: 1-line block ×3, first 2 shown]
	ds_read_b128 v[1:4], v163 offset:1264
	s_waitcnt vmcnt(58) lgkmcnt(1)
	v_mul_f64 v[184:185], v[7:8], v[191:192]
	v_mul_f64 v[180:181], v[5:6], v[191:192]
	s_waitcnt vmcnt(56)
	v_fma_f64 v[174:175], v[111:112], v[168:169], -v[174:175]
	v_add_f64 v[115:116], v[115:116], v[157:158]
	v_fma_f64 v[157:158], v[113:114], v[168:169], v[187:188]
	v_add_f64 v[117:118], v[117:118], v[151:152]
	s_clause 0x4
	buffer_load_dword v152, off, s[0:3], 0 offset:700
	buffer_load_dword v168, off, s[0:3], 0 offset:712
	buffer_load_dword v191, off, s[0:3], 0 offset:704
	buffer_load_dword v151, off, s[0:3], 0 offset:696
	buffer_load_dword v187, off, s[0:3], 0 offset:676
	ds_read_b128 v[111:114], v163 offset:1280
	s_waitcnt vmcnt(57) lgkmcnt(1)
	v_mul_f64 v[195:196], v[1:2], v[127:128]
	v_mul_f64 v[127:128], v[3:4], v[127:128]
	s_waitcnt vmcnt(56)
	v_fma_f64 v[184:185], v[5:6], v[193:194], -v[184:185]
	v_add_f64 v[115:116], v[115:116], v[174:175]
	v_fma_f64 v[174:175], v[7:8], v[193:194], v[180:181]
	v_add_f64 v[117:118], v[117:118], v[157:158]
	s_clause 0x2
	buffer_load_dword v169, off, s[0:3], 0 offset:716
	buffer_load_dword v158, off, s[0:3], 0 offset:692
	buffer_load_dword v157, off, s[0:3], 0 offset:688
	ds_read_b128 v[5:8], v163 offset:1296
	s_waitcnt vmcnt(58) lgkmcnt(1)
	v_mul_f64 v[180:181], v[111:112], v[176:177]
	v_mul_f64 v[176:177], v[113:114], v[176:177]
	s_waitcnt vmcnt(56)
	v_fma_f64 v[127:128], v[1:2], v[121:122], -v[127:128]
	v_fma_f64 v[121:122], v[3:4], v[121:122], v[195:196]
	v_add_f64 v[115:116], v[115:116], v[184:185]
	v_add_f64 v[117:118], v[117:118], v[174:175]
	s_clause 0x4
	buffer_load_dword v175, off, s[0:3], 0 offset:732
	buffer_load_dword v184, off, s[0:3], 0 offset:744
	buffer_load_dword v188, off, s[0:3], 0 offset:736
	buffer_load_dword v174, off, s[0:3], 0 offset:728
	buffer_load_dword v192, off, s[0:3], 0 offset:708
	ds_read_b128 v[1:4], v163 offset:1312
	s_waitcnt vmcnt(57) lgkmcnt(1)
	v_mul_f64 v[193:194], v[5:6], v[164:165]
	v_mul_f64 v[164:165], v[7:8], v[164:165]
	s_waitcnt vmcnt(56)
	v_fma_f64 v[176:177], v[111:112], v[189:190], -v[176:177]
	v_add_f64 v[115:116], v[115:116], v[127:128]
	v_fma_f64 v[127:128], v[113:114], v[189:190], v[180:181]
	v_add_f64 v[117:118], v[117:118], v[121:122]
	s_clause 0x2
	buffer_load_dword v185, off, s[0:3], 0 offset:748
	buffer_load_dword v122, off, s[0:3], 0 offset:724
	buffer_load_dword v121, off, s[0:3], 0 offset:720
	ds_read_b128 v[111:114], v163 offset:1328
	s_waitcnt vmcnt(58) lgkmcnt(1)
	v_mul_f64 v[180:181], v[1:2], v[166:167]
	v_mul_f64 v[166:167], v[3:4], v[166:167]
	s_waitcnt vmcnt(56)
	v_fma_f64 v[164:165], v[5:6], v[123:124], -v[164:165]
	v_fma_f64 v[123:124], v[7:8], v[123:124], v[193:194]
	v_add_f64 v[115:116], v[115:116], v[176:177]
	;; [unrolled: 28-line block ×3, first 2 shown]
	v_add_f64 v[117:118], v[117:118], v[164:165]
	s_clause 0x4
	buffer_load_dword v165, off, s[0:3], 0 offset:796
	buffer_load_dword v166, off, s[0:3], 0 offset:808
	;; [unrolled: 1-line block ×5, first 2 shown]
	ds_read_b128 v[111:114], v163 offset:1376
	s_waitcnt vmcnt(57) lgkmcnt(1)
	v_mul_f64 v[195:196], v[1:2], v[125:126]
	v_mul_f64 v[125:126], v[3:4], v[125:126]
	s_waitcnt vmcnt(56)
	v_fma_f64 v[139:140], v[5:6], v[172:173], -v[139:140]
	v_add_f64 v[115:116], v[115:116], v[119:120]
	v_fma_f64 v[119:120], v[7:8], v[172:173], v[178:179]
	v_add_f64 v[117:118], v[117:118], v[129:130]
	s_clause 0x2
	buffer_load_dword v167, off, s[0:3], 0 offset:812
	buffer_load_dword v130, off, s[0:3], 0 offset:788
	;; [unrolled: 1-line block ×3, first 2 shown]
	s_waitcnt vmcnt(58) lgkmcnt(0)
	v_mul_f64 v[172:173], v[111:112], v[145:146]
	v_mul_f64 v[145:146], v[113:114], v[145:146]
	ds_read_b128 v[5:8], v163 offset:1392
	s_waitcnt vmcnt(56)
	v_fma_f64 v[125:126], v[1:2], v[135:136], -v[125:126]
	v_fma_f64 v[135:136], v[3:4], v[135:136], v[195:196]
	v_add_f64 v[115:116], v[115:116], v[139:140]
	v_add_f64 v[117:118], v[117:118], v[119:120]
	s_clause 0x2
	buffer_load_dword v120, off, s[0:3], 0 offset:828
	buffer_load_dword v119, off, s[0:3], 0 offset:824
	buffer_load_dword v181, off, s[0:3], 0 offset:804
	ds_read_b128 v[1:4], v163 offset:1408
	s_waitcnt vmcnt(55) lgkmcnt(1)
	v_mul_f64 v[139:140], v[5:6], v[131:132]
	v_mul_f64 v[131:132], v[7:8], v[131:132]
	s_waitcnt vmcnt(54)
	v_fma_f64 v[145:146], v[111:112], v[147:148], -v[145:146]
	v_add_f64 v[115:116], v[115:116], v[125:126]
	v_fma_f64 v[125:126], v[113:114], v[147:148], v[172:173]
	v_add_f64 v[117:118], v[117:118], v[135:136]
	s_clause 0x1
	buffer_load_dword v136, off, s[0:3], 0 offset:820
	buffer_load_dword v135, off, s[0:3], 0 offset:816
	ds_read_b128 v[111:114], v163 offset:1424
	s_waitcnt vmcnt(55) lgkmcnt(1)
	v_mul_f64 v[147:148], v[1:2], v[153:154]
	v_mul_f64 v[153:154], v[3:4], v[153:154]
	s_waitcnt vmcnt(53)
	v_fma_f64 v[131:132], v[5:6], v[133:134], -v[131:132]
	v_fma_f64 v[133:134], v[7:8], v[133:134], v[139:140]
	ds_read_b128 v[5:8], v163 offset:1440
	v_add_f64 v[115:116], v[115:116], v[145:146]
	v_add_f64 v[117:118], v[117:118], v[125:126]
	s_waitcnt vmcnt(49) lgkmcnt(1)
	v_mul_f64 v[125:126], v[111:112], v[137:138]
	v_mul_f64 v[137:138], v[113:114], v[137:138]
	s_waitcnt vmcnt(48)
	v_fma_f64 v[139:140], v[1:2], v[155:156], -v[153:154]
	v_add_f64 v[115:116], v[115:116], v[131:132]
	v_fma_f64 v[131:132], v[3:4], v[155:156], v[147:148]
	v_add_f64 v[117:118], v[117:118], v[133:134]
	s_clause 0x3
	buffer_load_dword v133, off, s[0:3], 0 offset:144
	buffer_load_dword v134, off, s[0:3], 0 offset:148
	;; [unrolled: 1-line block ×4, first 2 shown]
	ds_read_b128 v[1:4], v163 offset:1456
	s_waitcnt vmcnt(51) lgkmcnt(1)
	v_mul_f64 v[153:154], v[7:8], v[159:160]
	v_mul_f64 v[147:148], v[5:6], v[159:160]
	s_waitcnt vmcnt(49)
	v_fma_f64 v[137:138], v[111:112], v[141:142], -v[137:138]
	v_fma_f64 v[125:126], v[113:114], v[141:142], v[125:126]
	ds_read_b128 v[111:114], v163 offset:1472
	v_add_f64 v[115:116], v[115:116], v[139:140]
	v_add_f64 v[117:118], v[117:118], v[131:132]
	s_waitcnt vmcnt(45) lgkmcnt(1)
	v_mul_f64 v[139:140], v[3:4], v[143:144]
	s_waitcnt vmcnt(44)
	v_fma_f64 v[141:142], v[5:6], v[161:162], -v[153:154]
	v_mul_f64 v[131:132], v[1:2], v[143:144]
	v_add_f64 v[115:116], v[115:116], v[137:138]
	v_fma_f64 v[137:138], v[7:8], v[161:162], v[147:148]
	v_add_f64 v[117:118], v[117:118], v[125:126]
	ds_read_b128 v[5:8], v163 offset:1488
	s_waitcnt vmcnt(43) lgkmcnt(1)
	v_mul_f64 v[143:144], v[113:114], v[182:183]
	v_mul_f64 v[125:126], v[111:112], v[182:183]
	s_waitcnt vmcnt(41)
	v_fma_f64 v[139:140], v[1:2], v[149:150], -v[139:140]
	v_fma_f64 v[131:132], v[3:4], v[149:150], v[131:132]
	ds_read_b128 v[1:4], v163 offset:1504
	v_add_f64 v[115:116], v[115:116], v[141:142]
	v_add_f64 v[117:118], v[117:118], v[137:138]
	s_waitcnt vmcnt(37) lgkmcnt(1)
	v_mul_f64 v[141:142], v[7:8], v[151:152]
	s_waitcnt vmcnt(36)
	v_fma_f64 v[143:144], v[111:112], v[186:187], -v[143:144]
	v_mul_f64 v[137:138], v[5:6], v[151:152]
	v_fma_f64 v[125:126], v[113:114], v[186:187], v[125:126]
	ds_read_b128 v[111:114], v163 offset:1520
	v_add_f64 v[115:116], v[115:116], v[139:140]
	v_add_f64 v[117:118], v[117:118], v[131:132]
	s_waitcnt vmcnt(35) lgkmcnt(1)
	v_mul_f64 v[139:140], v[3:4], v[168:169]
	v_mul_f64 v[131:132], v[1:2], v[168:169]
	s_waitcnt vmcnt(33)
	v_fma_f64 v[141:142], v[5:6], v[157:158], -v[141:142]
	v_fma_f64 v[137:138], v[7:8], v[157:158], v[137:138]
	ds_read_b128 v[5:8], v163 offset:1536
	v_add_f64 v[115:116], v[115:116], v[143:144]
	v_add_f64 v[117:118], v[117:118], v[125:126]
	s_waitcnt vmcnt(29) lgkmcnt(1)
	v_mul_f64 v[143:144], v[113:114], v[174:175]
	s_waitcnt vmcnt(28)
	v_fma_f64 v[139:140], v[1:2], v[191:192], -v[139:140]
	v_mul_f64 v[125:126], v[111:112], v[174:175]
	v_fma_f64 v[131:132], v[3:4], v[191:192], v[131:132]
	ds_read_b128 v[1:4], v163 offset:1552
	v_add_f64 v[115:116], v[115:116], v[141:142]
	v_add_f64 v[117:118], v[117:118], v[137:138]
	s_waitcnt vmcnt(27) lgkmcnt(1)
	v_mul_f64 v[141:142], v[7:8], v[184:185]
	v_mul_f64 v[137:138], v[5:6], v[184:185]
	s_waitcnt vmcnt(25)
	v_fma_f64 v[143:144], v[111:112], v[121:122], -v[143:144]
	v_fma_f64 v[121:122], v[113:114], v[121:122], v[125:126]
	ds_read_b128 v[111:114], v163 offset:1568
	v_add_f64 v[115:116], v[115:116], v[139:140]
	v_add_f64 v[117:118], v[117:118], v[131:132]
	s_waitcnt vmcnt(21) lgkmcnt(1)
	v_mul_f64 v[125:126], v[1:2], v[127:128]
	v_mul_f64 v[127:128], v[3:4], v[127:128]
	s_waitcnt vmcnt(20)
	v_fma_f64 v[131:132], v[5:6], v[188:189], -v[141:142]
	;; [unrolled: 9-line block ×3, first 2 shown]
	v_fma_f64 v[123:124], v[3:4], v[123:124], v[125:126]
	ds_read_b128 v[1:4], v163 offset:1600
	v_add_f64 v[115:116], v[115:116], v[131:132]
	v_add_f64 v[117:118], v[117:118], v[137:138]
	s_waitcnt vmcnt(13) lgkmcnt(1)
	v_mul_f64 v[131:132], v[7:8], v[164:165]
	s_waitcnt vmcnt(12)
	v_fma_f64 v[137:138], v[111:112], v[193:194], -v[139:140]
	v_mul_f64 v[125:126], v[5:6], v[164:165]
	v_fma_f64 v[121:122], v[113:114], v[193:194], v[121:122]
	ds_read_b128 v[111:114], v163 offset:1616
	v_add_f64 v[115:116], v[115:116], v[127:128]
	v_add_f64 v[117:118], v[117:118], v[123:124]
	s_waitcnt vmcnt(11) lgkmcnt(1)
	v_mul_f64 v[127:128], v[3:4], v[166:167]
	v_mul_f64 v[123:124], v[1:2], v[166:167]
	s_waitcnt vmcnt(9)
	v_fma_f64 v[5:6], v[5:6], v[129:130], -v[131:132]
	v_fma_f64 v[7:8], v[7:8], v[129:130], v[125:126]
	v_add_f64 v[115:116], v[115:116], v[137:138]
	v_add_f64 v[117:118], v[117:118], v[121:122]
	s_waitcnt vmcnt(7) lgkmcnt(0)
	v_mul_f64 v[121:122], v[111:112], v[119:120]
	v_mul_f64 v[119:120], v[113:114], v[119:120]
	s_waitcnt vmcnt(6)
	v_fma_f64 v[1:2], v[1:2], v[180:181], -v[127:128]
	v_fma_f64 v[3:4], v[3:4], v[180:181], v[123:124]
	v_add_f64 v[5:6], v[115:116], v[5:6]
	v_add_f64 v[7:8], v[117:118], v[7:8]
	s_waitcnt vmcnt(4)
	v_fma_f64 v[111:112], v[111:112], v[135:136], -v[119:120]
	v_add_f64 v[1:2], v[5:6], v[1:2]
	v_fma_f64 v[5:6], v[113:114], v[135:136], v[121:122]
	v_add_f64 v[3:4], v[7:8], v[3:4]
	v_add_f64 v[1:2], v[1:2], v[111:112]
	;; [unrolled: 1-line block ×3, first 2 shown]
	s_waitcnt vmcnt(2)
	v_add_f64 v[1:2], v[133:134], -v[1:2]
	s_waitcnt vmcnt(0)
	v_add_f64 v[3:4], v[145:146], -v[3:4]
	buffer_store_dword v2, off, s[0:3], 0 offset:148
	buffer_store_dword v1, off, s[0:3], 0 offset:144
	;; [unrolled: 1-line block ×4, first 2 shown]
	v_cmpx_lt_u32_e32 7, v0
	s_cbranch_execz .LBB114_305
; %bb.304:
	v_mov_b32_e32 v4, s56
	v_mov_b32_e32 v5, 0
	s_clause 0x3
	buffer_load_dword v1, v4, s[0:3], 0 offen
	buffer_load_dword v2, v4, s[0:3], 0 offen offset:4
	buffer_load_dword v3, v4, s[0:3], 0 offen offset:8
	;; [unrolled: 1-line block ×3, first 2 shown]
	buffer_store_dword v5, off, s[0:3], 0 offset:128
	buffer_store_dword v5, off, s[0:3], 0 offset:132
	;; [unrolled: 1-line block ×4, first 2 shown]
	s_waitcnt vmcnt(0)
	ds_write_b128 v171, v[1:4]
.LBB114_305:
	s_or_b32 exec_lo, exec_lo, s4
	s_waitcnt lgkmcnt(0)
	s_waitcnt_vscnt null, 0x0
	s_barrier
	buffer_gl0_inv
	s_clause 0x37
	buffer_load_dword v111, off, s[0:3], 0 offset:152
	buffer_load_dword v112, off, s[0:3], 0 offset:156
	;; [unrolled: 1-line block ×56, first 2 shown]
	v_mov_b32_e32 v163, 0
	s_mov_b32 s4, exec_lo
	ds_read_b128 v[164:167], v163 offset:944
	s_clause 0x2
	buffer_load_dword v160, off, s[0:3], 0 offset:380
	buffer_load_dword v162, off, s[0:3], 0 offset:356
	;; [unrolled: 1-line block ×3, first 2 shown]
	ds_read_b128 v[172:175], v163 offset:960
	s_clause 0x4
	buffer_load_dword v181, off, s[0:3], 0 offset:396
	buffer_load_dword v182, off, s[0:3], 0 offset:408
	;; [unrolled: 1-line block ×5, first 2 shown]
	ds_read_b128 v[176:179], v163 offset:976
	s_clause 0x2
	buffer_load_dword v183, off, s[0:3], 0 offset:412
	buffer_load_dword v188, off, s[0:3], 0 offset:388
	;; [unrolled: 1-line block ×3, first 2 shown]
	s_waitcnt vmcnt(62) lgkmcnt(2)
	v_mul_f64 v[168:169], v[166:167], v[111:112]
	v_mul_f64 v[111:112], v[164:165], v[111:112]
	s_waitcnt lgkmcnt(1)
	v_mul_f64 v[185:186], v[174:175], v[5:6]
	s_waitcnt vmcnt(59) lgkmcnt(0)
	v_mul_f64 v[189:190], v[178:179], v[3:4]
	v_fma_f64 v[164:165], v[164:165], v[7:8], -v[168:169]
	v_mul_f64 v[168:169], v[172:173], v[5:6]
	v_fma_f64 v[111:112], v[166:167], v[7:8], v[111:112]
	s_waitcnt vmcnt(57)
	v_fma_f64 v[172:173], v[172:173], v[1:2], -v[185:186]
	ds_read_b128 v[5:8], v163 offset:992
	v_mul_f64 v[166:167], v[176:177], v[3:4]
	s_waitcnt vmcnt(51)
	v_fma_f64 v[176:177], v[176:177], v[127:128], -v[189:190]
	v_add_f64 v[164:165], v[164:165], 0
	v_fma_f64 v[168:169], v[174:175], v[1:2], v[168:169]
	v_add_f64 v[111:112], v[111:112], 0
	s_clause 0x4
	buffer_load_dword v175, off, s[0:3], 0 offset:428
	buffer_load_dword v191, off, s[0:3], 0 offset:440
	;; [unrolled: 1-line block ×5, first 2 shown]
	s_waitcnt lgkmcnt(0)
	v_mul_f64 v[194:195], v[5:6], v[115:116]
	v_mul_f64 v[115:116], v[7:8], v[115:116]
	ds_read_b128 v[1:4], v163 offset:1008
	v_fma_f64 v[127:128], v[178:179], v[127:128], v[166:167]
	v_add_f64 v[172:173], v[164:165], v[172:173]
	v_add_f64 v[111:112], v[111:112], v[168:169]
	s_clause 0x2
	buffer_load_dword v192, off, s[0:3], 0 offset:444
	buffer_load_dword v169, off, s[0:3], 0 offset:420
	;; [unrolled: 1-line block ×3, first 2 shown]
	s_waitcnt vmcnt(58) lgkmcnt(0)
	v_mul_f64 v[178:179], v[1:2], v[119:120]
	v_mul_f64 v[119:120], v[3:4], v[119:120]
	s_waitcnt vmcnt(56)
	v_fma_f64 v[115:116], v[5:6], v[121:122], -v[115:116]
	ds_read_b128 v[164:167], v163 offset:1024
	v_fma_f64 v[121:122], v[7:8], v[121:122], v[194:195]
	v_add_f64 v[172:173], v[172:173], v[176:177]
	v_add_f64 v[111:112], v[111:112], v[127:128]
	s_clause 0x4
	buffer_load_dword v128, off, s[0:3], 0 offset:460
	buffer_load_dword v176, off, s[0:3], 0 offset:472
	;; [unrolled: 1-line block ×5, first 2 shown]
	ds_read_b128 v[5:8], v163 offset:1040
	s_waitcnt vmcnt(57) lgkmcnt(1)
	v_mul_f64 v[195:196], v[164:165], v[123:124]
	v_mul_f64 v[123:124], v[166:167], v[123:124]
	s_waitcnt vmcnt(56)
	v_fma_f64 v[119:120], v[1:2], v[113:114], -v[119:120]
	v_fma_f64 v[113:114], v[3:4], v[113:114], v[178:179]
	v_add_f64 v[115:116], v[172:173], v[115:116]
	v_add_f64 v[111:112], v[111:112], v[121:122]
	s_clause 0x2
	buffer_load_dword v177, off, s[0:3], 0 offset:476
	buffer_load_dword v122, off, s[0:3], 0 offset:452
	;; [unrolled: 1-line block ×3, first 2 shown]
	s_waitcnt vmcnt(58) lgkmcnt(0)
	v_mul_f64 v[172:173], v[5:6], v[129:130]
	v_mul_f64 v[129:130], v[7:8], v[129:130]
	s_waitcnt vmcnt(56)
	v_fma_f64 v[123:124], v[164:165], v[131:132], -v[123:124]
	ds_read_b128 v[1:4], v163 offset:1056
	v_add_f64 v[115:116], v[115:116], v[119:120]
	v_fma_f64 v[119:120], v[166:167], v[131:132], v[195:196]
	v_add_f64 v[131:132], v[111:112], v[113:114]
	s_clause 0x4
	buffer_load_dword v165, off, s[0:3], 0 offset:492
	buffer_load_dword v166, off, s[0:3], 0 offset:504
	buffer_load_dword v178, off, s[0:3], 0 offset:496
	buffer_load_dword v164, off, s[0:3], 0 offset:488
	buffer_load_dword v190, off, s[0:3], 0 offset:468
	ds_read_b128 v[111:114], v163 offset:1072
	s_waitcnt vmcnt(57) lgkmcnt(1)
	v_mul_f64 v[195:196], v[1:2], v[133:134]
	v_mul_f64 v[133:134], v[3:4], v[133:134]
	s_waitcnt vmcnt(56)
	v_fma_f64 v[129:130], v[5:6], v[117:118], -v[129:130]
	v_fma_f64 v[117:118], v[7:8], v[117:118], v[172:173]
	v_add_f64 v[115:116], v[115:116], v[123:124]
	s_clause 0x2
	buffer_load_dword v167, off, s[0:3], 0 offset:508
	buffer_load_dword v124, off, s[0:3], 0 offset:484
	;; [unrolled: 1-line block ×3, first 2 shown]
	v_add_f64 v[119:120], v[131:132], v[119:120]
	s_waitcnt vmcnt(58) lgkmcnt(0)
	v_mul_f64 v[131:132], v[111:112], v[137:138]
	v_mul_f64 v[137:138], v[113:114], v[137:138]
	ds_read_b128 v[5:8], v163 offset:1088
	s_waitcnt vmcnt(56)
	v_fma_f64 v[133:134], v[1:2], v[139:140], -v[133:134]
	v_add_f64 v[115:116], v[115:116], v[129:130]
	v_fma_f64 v[129:130], v[3:4], v[139:140], v[195:196]
	v_add_f64 v[117:118], v[119:120], v[117:118]
	s_clause 0x4
	buffer_load_dword v120, off, s[0:3], 0 offset:524
	buffer_load_dword v139, off, s[0:3], 0 offset:536
	;; [unrolled: 1-line block ×5, first 2 shown]
	s_waitcnt vmcnt(57) lgkmcnt(0)
	v_mul_f64 v[195:196], v[5:6], v[141:142]
	v_mul_f64 v[141:142], v[7:8], v[141:142]
	s_waitcnt vmcnt(56)
	v_fma_f64 v[137:138], v[111:112], v[125:126], -v[137:138]
	ds_read_b128 v[1:4], v163 offset:1104
	v_fma_f64 v[125:126], v[113:114], v[125:126], v[131:132]
	v_add_f64 v[115:116], v[115:116], v[133:134]
	v_add_f64 v[117:118], v[117:118], v[129:130]
	s_clause 0x2
	buffer_load_dword v140, off, s[0:3], 0 offset:540
	buffer_load_dword v130, off, s[0:3], 0 offset:516
	;; [unrolled: 1-line block ×3, first 2 shown]
	ds_read_b128 v[111:114], v163 offset:1120
	s_waitcnt vmcnt(58) lgkmcnt(1)
	v_mul_f64 v[133:134], v[3:4], v[145:146]
	s_waitcnt vmcnt(56)
	v_fma_f64 v[141:142], v[5:6], v[147:148], -v[141:142]
	v_mul_f64 v[131:132], v[1:2], v[145:146]
	v_add_f64 v[115:116], v[115:116], v[137:138]
	v_fma_f64 v[137:138], v[7:8], v[147:148], v[195:196]
	v_add_f64 v[117:118], v[117:118], v[125:126]
	s_clause 0x4
	buffer_load_dword v126, off, s[0:3], 0 offset:556
	buffer_load_dword v145, off, s[0:3], 0 offset:568
	;; [unrolled: 1-line block ×5, first 2 shown]
	s_waitcnt vmcnt(57) lgkmcnt(0)
	v_mul_f64 v[195:196], v[111:112], v[149:150]
	v_mul_f64 v[148:149], v[113:114], v[149:150]
	s_waitcnt vmcnt(56)
	v_fma_f64 v[133:134], v[1:2], v[135:136], -v[133:134]
	ds_read_b128 v[5:8], v163 offset:1136
	v_fma_f64 v[131:132], v[3:4], v[135:136], v[131:132]
	s_clause 0x2
	buffer_load_dword v146, off, s[0:3], 0 offset:572
	buffer_load_dword v136, off, s[0:3], 0 offset:548
	;; [unrolled: 1-line block ×3, first 2 shown]
	ds_read_b128 v[1:4], v163 offset:1152
	v_add_f64 v[115:116], v[115:116], v[141:142]
	v_add_f64 v[117:118], v[117:118], v[137:138]
	s_waitcnt vmcnt(58) lgkmcnt(1)
	v_mul_f64 v[141:142], v[7:8], v[153:154]
	s_waitcnt vmcnt(56)
	v_fma_f64 v[149:150], v[111:112], v[155:156], -v[148:149]
	v_mul_f64 v[137:138], v[5:6], v[153:154]
	v_add_f64 v[115:116], v[115:116], v[133:134]
	v_fma_f64 v[133:134], v[113:114], v[155:156], v[195:196]
	v_add_f64 v[117:118], v[117:118], v[131:132]
	s_clause 0x4
	buffer_load_dword v132, off, s[0:3], 0 offset:588
	buffer_load_dword v153, off, s[0:3], 0 offset:600
	;; [unrolled: 1-line block ×5, first 2 shown]
	s_waitcnt vmcnt(57) lgkmcnt(0)
	v_mul_f64 v[195:196], v[1:2], v[157:158]
	v_mul_f64 v[156:157], v[3:4], v[157:158]
	s_waitcnt vmcnt(56)
	v_fma_f64 v[141:142], v[5:6], v[143:144], -v[141:142]
	ds_read_b128 v[111:114], v163 offset:1168
	v_fma_f64 v[137:138], v[7:8], v[143:144], v[137:138]
	v_add_f64 v[115:116], v[115:116], v[149:150]
	v_add_f64 v[117:118], v[117:118], v[133:134]
	s_clause 0x2
	buffer_load_dword v154, off, s[0:3], 0 offset:604
	buffer_load_dword v134, off, s[0:3], 0 offset:580
	;; [unrolled: 1-line block ×3, first 2 shown]
	ds_read_b128 v[5:8], v163 offset:1184
	s_waitcnt vmcnt(58) lgkmcnt(1)
	v_mul_f64 v[149:150], v[113:114], v[159:160]
	s_waitcnt vmcnt(56)
	v_fma_f64 v[157:158], v[1:2], v[161:162], -v[156:157]
	v_mul_f64 v[143:144], v[111:112], v[159:160]
	v_add_f64 v[115:116], v[115:116], v[141:142]
	v_fma_f64 v[141:142], v[3:4], v[161:162], v[195:196]
	v_add_f64 v[117:118], v[117:118], v[137:138]
	s_clause 0x4
	buffer_load_dword v138, off, s[0:3], 0 offset:620
	buffer_load_dword v159, off, s[0:3], 0 offset:632
	;; [unrolled: 1-line block ×5, first 2 shown]
	s_waitcnt vmcnt(57) lgkmcnt(0)
	v_mul_f64 v[195:196], v[5:6], v[180:181]
	v_mul_f64 v[180:181], v[7:8], v[180:181]
	s_waitcnt vmcnt(56)
	v_fma_f64 v[149:150], v[111:112], v[151:152], -v[149:150]
	ds_read_b128 v[1:4], v163 offset:1200
	v_fma_f64 v[143:144], v[113:114], v[151:152], v[143:144]
	v_add_f64 v[115:116], v[115:116], v[157:158]
	v_add_f64 v[117:118], v[117:118], v[141:142]
	s_clause 0x2
	buffer_load_dword v160, off, s[0:3], 0 offset:636
	buffer_load_dword v142, off, s[0:3], 0 offset:612
	;; [unrolled: 1-line block ×3, first 2 shown]
	ds_read_b128 v[111:114], v163 offset:1216
	s_waitcnt vmcnt(58) lgkmcnt(1)
	v_mul_f64 v[157:158], v[3:4], v[182:183]
	s_waitcnt vmcnt(56)
	v_fma_f64 v[180:181], v[5:6], v[187:188], -v[180:181]
	v_mul_f64 v[151:152], v[1:2], v[182:183]
	v_add_f64 v[115:116], v[115:116], v[149:150]
	v_fma_f64 v[149:150], v[7:8], v[187:188], v[195:196]
	v_add_f64 v[117:118], v[117:118], v[143:144]
	s_clause 0x4
	buffer_load_dword v144, off, s[0:3], 0 offset:652
	buffer_load_dword v182, off, s[0:3], 0 offset:664
	;; [unrolled: 1-line block ×5, first 2 shown]
	ds_read_b128 v[5:8], v163 offset:1232
	s_waitcnt vmcnt(57) lgkmcnt(1)
	v_mul_f64 v[187:188], v[111:112], v[174:175]
	v_mul_f64 v[174:175], v[113:114], v[174:175]
	s_waitcnt vmcnt(56)
	v_fma_f64 v[157:158], v[1:2], v[184:185], -v[157:158]
	v_fma_f64 v[151:152], v[3:4], v[184:185], v[151:152]
	v_add_f64 v[115:116], v[115:116], v[180:181]
	v_add_f64 v[117:118], v[117:118], v[149:150]
	s_clause 0x2
	buffer_load_dword v183, off, s[0:3], 0 offset:668
	buffer_load_dword v150, off, s[0:3], 0 offset:644
	;; [unrolled: 1-line block ×3, first 2 shown]
	ds_read_b128 v[1:4], v163 offset:1248
	s_waitcnt vmcnt(58) lgkmcnt(1)
	v_mul_f64 v[184:185], v[7:8], v[191:192]
	v_mul_f64 v[180:181], v[5:6], v[191:192]
	s_waitcnt vmcnt(56)
	v_fma_f64 v[174:175], v[111:112], v[168:169], -v[174:175]
	v_add_f64 v[115:116], v[115:116], v[157:158]
	v_fma_f64 v[157:158], v[113:114], v[168:169], v[187:188]
	v_add_f64 v[117:118], v[117:118], v[151:152]
	s_clause 0x4
	buffer_load_dword v152, off, s[0:3], 0 offset:684
	buffer_load_dword v168, off, s[0:3], 0 offset:696
	buffer_load_dword v191, off, s[0:3], 0 offset:688
	buffer_load_dword v151, off, s[0:3], 0 offset:680
	buffer_load_dword v187, off, s[0:3], 0 offset:660
	ds_read_b128 v[111:114], v163 offset:1264
	s_waitcnt vmcnt(57) lgkmcnt(1)
	v_mul_f64 v[195:196], v[1:2], v[127:128]
	v_mul_f64 v[127:128], v[3:4], v[127:128]
	s_waitcnt vmcnt(56)
	v_fma_f64 v[184:185], v[5:6], v[193:194], -v[184:185]
	v_add_f64 v[115:116], v[115:116], v[174:175]
	v_fma_f64 v[174:175], v[7:8], v[193:194], v[180:181]
	v_add_f64 v[117:118], v[117:118], v[157:158]
	s_clause 0x2
	buffer_load_dword v169, off, s[0:3], 0 offset:700
	buffer_load_dword v158, off, s[0:3], 0 offset:676
	buffer_load_dword v157, off, s[0:3], 0 offset:672
	ds_read_b128 v[5:8], v163 offset:1280
	s_waitcnt vmcnt(58) lgkmcnt(1)
	v_mul_f64 v[180:181], v[111:112], v[176:177]
	v_mul_f64 v[176:177], v[113:114], v[176:177]
	s_waitcnt vmcnt(56)
	v_fma_f64 v[127:128], v[1:2], v[121:122], -v[127:128]
	v_fma_f64 v[121:122], v[3:4], v[121:122], v[195:196]
	v_add_f64 v[115:116], v[115:116], v[184:185]
	v_add_f64 v[117:118], v[117:118], v[174:175]
	s_clause 0x4
	buffer_load_dword v175, off, s[0:3], 0 offset:716
	buffer_load_dword v184, off, s[0:3], 0 offset:728
	buffer_load_dword v188, off, s[0:3], 0 offset:720
	buffer_load_dword v174, off, s[0:3], 0 offset:712
	buffer_load_dword v192, off, s[0:3], 0 offset:692
	ds_read_b128 v[1:4], v163 offset:1296
	s_waitcnt vmcnt(57) lgkmcnt(1)
	v_mul_f64 v[193:194], v[5:6], v[164:165]
	v_mul_f64 v[164:165], v[7:8], v[164:165]
	s_waitcnt vmcnt(56)
	v_fma_f64 v[176:177], v[111:112], v[189:190], -v[176:177]
	v_add_f64 v[115:116], v[115:116], v[127:128]
	v_fma_f64 v[127:128], v[113:114], v[189:190], v[180:181]
	v_add_f64 v[117:118], v[117:118], v[121:122]
	s_clause 0x2
	buffer_load_dword v185, off, s[0:3], 0 offset:732
	buffer_load_dword v122, off, s[0:3], 0 offset:708
	buffer_load_dword v121, off, s[0:3], 0 offset:704
	ds_read_b128 v[111:114], v163 offset:1312
	s_waitcnt vmcnt(58) lgkmcnt(1)
	v_mul_f64 v[180:181], v[1:2], v[166:167]
	v_mul_f64 v[166:167], v[3:4], v[166:167]
	s_waitcnt vmcnt(56)
	v_fma_f64 v[164:165], v[5:6], v[123:124], -v[164:165]
	v_fma_f64 v[123:124], v[7:8], v[123:124], v[193:194]
	v_add_f64 v[115:116], v[115:116], v[176:177]
	;; [unrolled: 28-line block ×3, first 2 shown]
	v_add_f64 v[117:118], v[117:118], v[164:165]
	s_clause 0x4
	buffer_load_dword v165, off, s[0:3], 0 offset:780
	buffer_load_dword v166, off, s[0:3], 0 offset:792
	;; [unrolled: 1-line block ×5, first 2 shown]
	ds_read_b128 v[111:114], v163 offset:1360
	s_waitcnt vmcnt(57) lgkmcnt(1)
	v_mul_f64 v[195:196], v[1:2], v[125:126]
	v_mul_f64 v[125:126], v[3:4], v[125:126]
	s_waitcnt vmcnt(56)
	v_fma_f64 v[139:140], v[5:6], v[172:173], -v[139:140]
	v_add_f64 v[115:116], v[115:116], v[119:120]
	v_fma_f64 v[119:120], v[7:8], v[172:173], v[178:179]
	v_add_f64 v[117:118], v[117:118], v[129:130]
	s_clause 0x2
	buffer_load_dword v167, off, s[0:3], 0 offset:796
	buffer_load_dword v130, off, s[0:3], 0 offset:772
	;; [unrolled: 1-line block ×3, first 2 shown]
	s_waitcnt vmcnt(58) lgkmcnt(0)
	v_mul_f64 v[172:173], v[111:112], v[145:146]
	v_mul_f64 v[145:146], v[113:114], v[145:146]
	ds_read_b128 v[5:8], v163 offset:1376
	s_waitcnt vmcnt(56)
	v_fma_f64 v[125:126], v[1:2], v[135:136], -v[125:126]
	v_fma_f64 v[135:136], v[3:4], v[135:136], v[195:196]
	v_add_f64 v[115:116], v[115:116], v[139:140]
	v_add_f64 v[117:118], v[117:118], v[119:120]
	s_clause 0x4
	buffer_load_dword v120, off, s[0:3], 0 offset:812
	buffer_load_dword v139, off, s[0:3], 0 offset:824
	;; [unrolled: 1-line block ×5, first 2 shown]
	ds_read_b128 v[1:4], v163 offset:1392
	s_waitcnt vmcnt(57) lgkmcnt(1)
	v_mul_f64 v[195:196], v[5:6], v[131:132]
	v_mul_f64 v[131:132], v[7:8], v[131:132]
	s_waitcnt vmcnt(56)
	v_fma_f64 v[145:146], v[111:112], v[147:148], -v[145:146]
	v_add_f64 v[115:116], v[115:116], v[125:126]
	v_fma_f64 v[125:126], v[113:114], v[147:148], v[172:173]
	v_add_f64 v[117:118], v[117:118], v[135:136]
	s_clause 0x2
	buffer_load_dword v140, off, s[0:3], 0 offset:828
	buffer_load_dword v136, off, s[0:3], 0 offset:804
	;; [unrolled: 1-line block ×3, first 2 shown]
	ds_read_b128 v[111:114], v163 offset:1408
	buffer_load_dword v179, off, s[0:3], 0 offset:820
	s_waitcnt vmcnt(59) lgkmcnt(1)
	v_mul_f64 v[147:148], v[1:2], v[153:154]
	v_mul_f64 v[153:154], v[3:4], v[153:154]
	s_waitcnt vmcnt(57)
	v_fma_f64 v[131:132], v[5:6], v[133:134], -v[131:132]
	v_fma_f64 v[133:134], v[7:8], v[133:134], v[195:196]
	ds_read_b128 v[5:8], v163 offset:1424
	v_add_f64 v[115:116], v[115:116], v[145:146]
	v_add_f64 v[117:118], v[117:118], v[125:126]
	s_waitcnt vmcnt(53) lgkmcnt(1)
	v_mul_f64 v[125:126], v[111:112], v[137:138]
	v_mul_f64 v[137:138], v[113:114], v[137:138]
	s_waitcnt vmcnt(52)
	v_fma_f64 v[145:146], v[1:2], v[155:156], -v[153:154]
	v_add_f64 v[115:116], v[115:116], v[131:132]
	v_fma_f64 v[131:132], v[3:4], v[155:156], v[147:148]
	v_add_f64 v[117:118], v[117:118], v[133:134]
	ds_read_b128 v[1:4], v163 offset:1440
	s_waitcnt vmcnt(51) lgkmcnt(1)
	v_mul_f64 v[147:148], v[7:8], v[159:160]
	v_mul_f64 v[133:134], v[5:6], v[159:160]
	s_waitcnt vmcnt(49)
	v_fma_f64 v[137:138], v[111:112], v[141:142], -v[137:138]
	v_fma_f64 v[125:126], v[113:114], v[141:142], v[125:126]
	v_add_f64 v[115:116], v[115:116], v[145:146]
	v_add_f64 v[117:118], v[117:118], v[131:132]
	s_clause 0x3
	buffer_load_dword v131, off, s[0:3], 0 offset:128
	buffer_load_dword v132, off, s[0:3], 0 offset:132
	;; [unrolled: 1-line block ×4, first 2 shown]
	ds_read_b128 v[111:114], v163 offset:1456
	s_waitcnt vmcnt(49) lgkmcnt(1)
	v_mul_f64 v[145:146], v[1:2], v[143:144]
	v_mul_f64 v[143:144], v[3:4], v[143:144]
	s_waitcnt vmcnt(48)
	v_fma_f64 v[147:148], v[5:6], v[161:162], -v[147:148]
	v_fma_f64 v[133:134], v[7:8], v[161:162], v[133:134]
	ds_read_b128 v[5:8], v163 offset:1472
	v_add_f64 v[115:116], v[115:116], v[137:138]
	v_add_f64 v[117:118], v[117:118], v[125:126]
	s_waitcnt vmcnt(47) lgkmcnt(1)
	v_mul_f64 v[137:138], v[113:114], v[182:183]
	v_mul_f64 v[125:126], v[111:112], v[182:183]
	s_waitcnt vmcnt(45)
	v_fma_f64 v[143:144], v[1:2], v[149:150], -v[143:144]
	v_fma_f64 v[145:146], v[3:4], v[149:150], v[145:146]
	ds_read_b128 v[1:4], v163 offset:1488
	v_add_f64 v[115:116], v[115:116], v[147:148]
	v_add_f64 v[117:118], v[117:118], v[133:134]
	s_waitcnt vmcnt(41) lgkmcnt(1)
	v_mul_f64 v[147:148], v[7:8], v[151:152]
	s_waitcnt vmcnt(40)
	v_fma_f64 v[137:138], v[111:112], v[186:187], -v[137:138]
	v_mul_f64 v[133:134], v[5:6], v[151:152]
	v_fma_f64 v[125:126], v[113:114], v[186:187], v[125:126]
	ds_read_b128 v[111:114], v163 offset:1504
	v_add_f64 v[115:116], v[115:116], v[143:144]
	v_add_f64 v[117:118], v[117:118], v[145:146]
	s_waitcnt vmcnt(39) lgkmcnt(1)
	v_mul_f64 v[145:146], v[3:4], v[168:169]
	v_mul_f64 v[143:144], v[1:2], v[168:169]
	s_waitcnt vmcnt(37)
	v_fma_f64 v[147:148], v[5:6], v[157:158], -v[147:148]
	v_fma_f64 v[133:134], v[7:8], v[157:158], v[133:134]
	ds_read_b128 v[5:8], v163 offset:1520
	v_add_f64 v[115:116], v[115:116], v[137:138]
	v_add_f64 v[117:118], v[117:118], v[125:126]
	s_waitcnt vmcnt(33) lgkmcnt(1)
	v_mul_f64 v[137:138], v[113:114], v[174:175]
	s_waitcnt vmcnt(32)
	v_fma_f64 v[145:146], v[1:2], v[191:192], -v[145:146]
	v_mul_f64 v[125:126], v[111:112], v[174:175]
	v_fma_f64 v[143:144], v[3:4], v[191:192], v[143:144]
	ds_read_b128 v[1:4], v163 offset:1536
	v_add_f64 v[115:116], v[115:116], v[147:148]
	v_add_f64 v[117:118], v[117:118], v[133:134]
	s_waitcnt vmcnt(31) lgkmcnt(1)
	v_mul_f64 v[147:148], v[7:8], v[184:185]
	v_mul_f64 v[133:134], v[5:6], v[184:185]
	s_waitcnt vmcnt(29)
	v_fma_f64 v[137:138], v[111:112], v[121:122], -v[137:138]
	v_fma_f64 v[121:122], v[113:114], v[121:122], v[125:126]
	ds_read_b128 v[111:114], v163 offset:1552
	v_add_f64 v[115:116], v[115:116], v[145:146]
	v_add_f64 v[117:118], v[117:118], v[143:144]
	s_waitcnt vmcnt(25) lgkmcnt(1)
	v_mul_f64 v[125:126], v[1:2], v[127:128]
	v_mul_f64 v[127:128], v[3:4], v[127:128]
	s_waitcnt vmcnt(24)
	v_fma_f64 v[143:144], v[5:6], v[188:189], -v[147:148]
	;; [unrolled: 9-line block ×3, first 2 shown]
	v_fma_f64 v[123:124], v[3:4], v[123:124], v[125:126]
	ds_read_b128 v[1:4], v163 offset:1584
	v_add_f64 v[115:116], v[115:116], v[143:144]
	v_add_f64 v[117:118], v[117:118], v[133:134]
	s_waitcnt vmcnt(17) lgkmcnt(1)
	v_mul_f64 v[133:134], v[7:8], v[164:165]
	s_waitcnt vmcnt(16)
	v_fma_f64 v[137:138], v[111:112], v[193:194], -v[137:138]
	v_mul_f64 v[125:126], v[5:6], v[164:165]
	v_fma_f64 v[121:122], v[113:114], v[193:194], v[121:122]
	ds_read_b128 v[111:114], v163 offset:1600
	v_add_f64 v[115:116], v[115:116], v[127:128]
	v_add_f64 v[117:118], v[117:118], v[123:124]
	s_waitcnt vmcnt(15) lgkmcnt(1)
	v_mul_f64 v[127:128], v[3:4], v[166:167]
	v_mul_f64 v[123:124], v[1:2], v[166:167]
	s_waitcnt vmcnt(13)
	v_fma_f64 v[133:134], v[5:6], v[129:130], -v[133:134]
	v_fma_f64 v[125:126], v[7:8], v[129:130], v[125:126]
	ds_read_b128 v[5:8], v163 offset:1616
	v_add_f64 v[115:116], v[115:116], v[137:138]
	v_add_f64 v[117:118], v[117:118], v[121:122]
	s_waitcnt vmcnt(9) lgkmcnt(1)
	v_mul_f64 v[121:122], v[111:112], v[119:120]
	v_mul_f64 v[119:120], v[113:114], v[119:120]
	s_waitcnt vmcnt(8)
	v_fma_f64 v[1:2], v[1:2], v[180:181], -v[127:128]
	v_fma_f64 v[3:4], v[3:4], v[180:181], v[123:124]
	v_add_f64 v[115:116], v[115:116], v[133:134]
	v_add_f64 v[117:118], v[117:118], v[125:126]
	s_waitcnt vmcnt(7) lgkmcnt(0)
	v_mul_f64 v[125:126], v[7:8], v[139:140]
	v_mul_f64 v[123:124], v[5:6], v[139:140]
	s_waitcnt vmcnt(5)
	v_fma_f64 v[111:112], v[111:112], v[135:136], -v[119:120]
	v_fma_f64 v[113:114], v[113:114], v[135:136], v[121:122]
	v_add_f64 v[1:2], v[115:116], v[1:2]
	v_add_f64 v[3:4], v[117:118], v[3:4]
	s_waitcnt vmcnt(4)
	v_fma_f64 v[5:6], v[5:6], v[178:179], -v[125:126]
	v_fma_f64 v[7:8], v[7:8], v[178:179], v[123:124]
	v_add_f64 v[1:2], v[1:2], v[111:112]
	v_add_f64 v[3:4], v[3:4], v[113:114]
	;; [unrolled: 1-line block ×4, first 2 shown]
	s_waitcnt vmcnt(2)
	v_add_f64 v[1:2], v[131:132], -v[1:2]
	s_waitcnt vmcnt(0)
	v_add_f64 v[3:4], v[141:142], -v[3:4]
	buffer_store_dword v2, off, s[0:3], 0 offset:132
	buffer_store_dword v1, off, s[0:3], 0 offset:128
	;; [unrolled: 1-line block ×4, first 2 shown]
	v_cmpx_lt_u32_e32 6, v0
	s_cbranch_execz .LBB114_307
; %bb.306:
	v_mov_b32_e32 v4, s57
	s_clause 0x3
	buffer_load_dword v1, v4, s[0:3], 0 offen
	buffer_load_dword v2, v4, s[0:3], 0 offen offset:4
	buffer_load_dword v3, v4, s[0:3], 0 offen offset:8
	;; [unrolled: 1-line block ×3, first 2 shown]
	buffer_store_dword v163, off, s[0:3], 0 offset:112
	buffer_store_dword v163, off, s[0:3], 0 offset:116
	;; [unrolled: 1-line block ×4, first 2 shown]
	s_waitcnt vmcnt(0)
	ds_write_b128 v171, v[1:4]
.LBB114_307:
	s_or_b32 exec_lo, exec_lo, s4
	s_waitcnt lgkmcnt(0)
	s_waitcnt_vscnt null, 0x0
	s_barrier
	buffer_gl0_inv
	s_clause 0x37
	buffer_load_dword v111, off, s[0:3], 0 offset:136
	buffer_load_dword v112, off, s[0:3], 0 offset:140
	;; [unrolled: 1-line block ×56, first 2 shown]
	ds_read_b128 v[164:167], v163 offset:928
	s_clause 0x2
	buffer_load_dword v160, off, s[0:3], 0 offset:364
	buffer_load_dword v162, off, s[0:3], 0 offset:340
	buffer_load_dword v161, off, s[0:3], 0 offset:336
	ds_read_b128 v[172:175], v163 offset:944
	s_clause 0x4
	buffer_load_dword v181, off, s[0:3], 0 offset:380
	buffer_load_dword v182, off, s[0:3], 0 offset:392
	;; [unrolled: 1-line block ×5, first 2 shown]
	ds_read_b128 v[176:179], v163 offset:960
	s_clause 0x2
	buffer_load_dword v183, off, s[0:3], 0 offset:396
	buffer_load_dword v188, off, s[0:3], 0 offset:372
	;; [unrolled: 1-line block ×3, first 2 shown]
	s_mov_b32 s4, exec_lo
	s_waitcnt vmcnt(62) lgkmcnt(2)
	v_mul_f64 v[168:169], v[166:167], v[111:112]
	v_mul_f64 v[111:112], v[164:165], v[111:112]
	s_waitcnt lgkmcnt(1)
	v_mul_f64 v[185:186], v[174:175], v[5:6]
	s_waitcnt vmcnt(59) lgkmcnt(0)
	v_mul_f64 v[189:190], v[178:179], v[3:4]
	v_fma_f64 v[164:165], v[164:165], v[7:8], -v[168:169]
	v_mul_f64 v[168:169], v[172:173], v[5:6]
	v_fma_f64 v[111:112], v[166:167], v[7:8], v[111:112]
	s_waitcnt vmcnt(57)
	v_fma_f64 v[172:173], v[172:173], v[1:2], -v[185:186]
	ds_read_b128 v[5:8], v163 offset:976
	v_mul_f64 v[166:167], v[176:177], v[3:4]
	s_waitcnt vmcnt(51)
	v_fma_f64 v[176:177], v[176:177], v[127:128], -v[189:190]
	v_add_f64 v[164:165], v[164:165], 0
	v_fma_f64 v[168:169], v[174:175], v[1:2], v[168:169]
	v_add_f64 v[111:112], v[111:112], 0
	s_clause 0x4
	buffer_load_dword v175, off, s[0:3], 0 offset:412
	buffer_load_dword v191, off, s[0:3], 0 offset:424
	;; [unrolled: 1-line block ×5, first 2 shown]
	s_waitcnt lgkmcnt(0)
	v_mul_f64 v[194:195], v[5:6], v[115:116]
	v_mul_f64 v[115:116], v[7:8], v[115:116]
	ds_read_b128 v[1:4], v163 offset:992
	v_fma_f64 v[127:128], v[178:179], v[127:128], v[166:167]
	v_add_f64 v[172:173], v[164:165], v[172:173]
	v_add_f64 v[111:112], v[111:112], v[168:169]
	s_clause 0x2
	buffer_load_dword v192, off, s[0:3], 0 offset:428
	buffer_load_dword v169, off, s[0:3], 0 offset:404
	;; [unrolled: 1-line block ×3, first 2 shown]
	s_waitcnt vmcnt(58) lgkmcnt(0)
	v_mul_f64 v[178:179], v[1:2], v[119:120]
	v_mul_f64 v[119:120], v[3:4], v[119:120]
	s_waitcnt vmcnt(56)
	v_fma_f64 v[115:116], v[5:6], v[121:122], -v[115:116]
	ds_read_b128 v[164:167], v163 offset:1008
	v_fma_f64 v[121:122], v[7:8], v[121:122], v[194:195]
	v_add_f64 v[172:173], v[172:173], v[176:177]
	v_add_f64 v[111:112], v[111:112], v[127:128]
	s_clause 0x4
	buffer_load_dword v128, off, s[0:3], 0 offset:444
	buffer_load_dword v176, off, s[0:3], 0 offset:456
	;; [unrolled: 1-line block ×5, first 2 shown]
	ds_read_b128 v[5:8], v163 offset:1024
	s_waitcnt vmcnt(57) lgkmcnt(1)
	v_mul_f64 v[195:196], v[164:165], v[123:124]
	v_mul_f64 v[123:124], v[166:167], v[123:124]
	s_waitcnt vmcnt(56)
	v_fma_f64 v[119:120], v[1:2], v[113:114], -v[119:120]
	v_fma_f64 v[113:114], v[3:4], v[113:114], v[178:179]
	v_add_f64 v[115:116], v[172:173], v[115:116]
	v_add_f64 v[111:112], v[111:112], v[121:122]
	s_clause 0x2
	buffer_load_dword v177, off, s[0:3], 0 offset:460
	buffer_load_dword v122, off, s[0:3], 0 offset:436
	;; [unrolled: 1-line block ×3, first 2 shown]
	s_waitcnt vmcnt(58) lgkmcnt(0)
	v_mul_f64 v[172:173], v[5:6], v[129:130]
	v_mul_f64 v[129:130], v[7:8], v[129:130]
	s_waitcnt vmcnt(56)
	v_fma_f64 v[123:124], v[164:165], v[131:132], -v[123:124]
	ds_read_b128 v[1:4], v163 offset:1040
	v_add_f64 v[115:116], v[115:116], v[119:120]
	v_fma_f64 v[119:120], v[166:167], v[131:132], v[195:196]
	v_add_f64 v[131:132], v[111:112], v[113:114]
	s_clause 0x4
	buffer_load_dword v165, off, s[0:3], 0 offset:476
	buffer_load_dword v166, off, s[0:3], 0 offset:488
	;; [unrolled: 1-line block ×5, first 2 shown]
	ds_read_b128 v[111:114], v163 offset:1056
	s_waitcnt vmcnt(57) lgkmcnt(1)
	v_mul_f64 v[195:196], v[1:2], v[133:134]
	v_mul_f64 v[133:134], v[3:4], v[133:134]
	s_waitcnt vmcnt(56)
	v_fma_f64 v[129:130], v[5:6], v[117:118], -v[129:130]
	v_fma_f64 v[117:118], v[7:8], v[117:118], v[172:173]
	v_add_f64 v[115:116], v[115:116], v[123:124]
	s_clause 0x2
	buffer_load_dword v167, off, s[0:3], 0 offset:492
	buffer_load_dword v124, off, s[0:3], 0 offset:468
	;; [unrolled: 1-line block ×3, first 2 shown]
	v_add_f64 v[119:120], v[131:132], v[119:120]
	s_waitcnt vmcnt(58) lgkmcnt(0)
	v_mul_f64 v[131:132], v[111:112], v[137:138]
	v_mul_f64 v[137:138], v[113:114], v[137:138]
	ds_read_b128 v[5:8], v163 offset:1072
	s_waitcnt vmcnt(56)
	v_fma_f64 v[133:134], v[1:2], v[139:140], -v[133:134]
	v_add_f64 v[115:116], v[115:116], v[129:130]
	v_fma_f64 v[129:130], v[3:4], v[139:140], v[195:196]
	v_add_f64 v[117:118], v[119:120], v[117:118]
	s_clause 0x4
	buffer_load_dword v120, off, s[0:3], 0 offset:508
	buffer_load_dword v139, off, s[0:3], 0 offset:520
	buffer_load_dword v172, off, s[0:3], 0 offset:512
	buffer_load_dword v119, off, s[0:3], 0 offset:504
	buffer_load_dword v179, off, s[0:3], 0 offset:484
	s_waitcnt vmcnt(57) lgkmcnt(0)
	v_mul_f64 v[195:196], v[5:6], v[141:142]
	v_mul_f64 v[141:142], v[7:8], v[141:142]
	s_waitcnt vmcnt(56)
	v_fma_f64 v[137:138], v[111:112], v[125:126], -v[137:138]
	ds_read_b128 v[1:4], v163 offset:1088
	v_fma_f64 v[125:126], v[113:114], v[125:126], v[131:132]
	v_add_f64 v[115:116], v[115:116], v[133:134]
	v_add_f64 v[117:118], v[117:118], v[129:130]
	s_clause 0x2
	buffer_load_dword v140, off, s[0:3], 0 offset:524
	buffer_load_dword v130, off, s[0:3], 0 offset:500
	;; [unrolled: 1-line block ×3, first 2 shown]
	ds_read_b128 v[111:114], v163 offset:1104
	s_waitcnt vmcnt(58) lgkmcnt(1)
	v_mul_f64 v[133:134], v[3:4], v[145:146]
	s_waitcnt vmcnt(56)
	v_fma_f64 v[141:142], v[5:6], v[147:148], -v[141:142]
	v_mul_f64 v[131:132], v[1:2], v[145:146]
	v_add_f64 v[115:116], v[115:116], v[137:138]
	v_fma_f64 v[137:138], v[7:8], v[147:148], v[195:196]
	v_add_f64 v[117:118], v[117:118], v[125:126]
	s_clause 0x4
	buffer_load_dword v126, off, s[0:3], 0 offset:540
	buffer_load_dword v145, off, s[0:3], 0 offset:552
	;; [unrolled: 1-line block ×5, first 2 shown]
	s_waitcnt vmcnt(57) lgkmcnt(0)
	v_mul_f64 v[195:196], v[111:112], v[149:150]
	v_mul_f64 v[148:149], v[113:114], v[149:150]
	s_waitcnt vmcnt(56)
	v_fma_f64 v[133:134], v[1:2], v[135:136], -v[133:134]
	ds_read_b128 v[5:8], v163 offset:1120
	v_fma_f64 v[131:132], v[3:4], v[135:136], v[131:132]
	s_clause 0x2
	buffer_load_dword v146, off, s[0:3], 0 offset:556
	buffer_load_dword v136, off, s[0:3], 0 offset:532
	;; [unrolled: 1-line block ×3, first 2 shown]
	ds_read_b128 v[1:4], v163 offset:1136
	v_add_f64 v[115:116], v[115:116], v[141:142]
	v_add_f64 v[117:118], v[117:118], v[137:138]
	s_waitcnt vmcnt(58) lgkmcnt(1)
	v_mul_f64 v[141:142], v[7:8], v[153:154]
	s_waitcnt vmcnt(56)
	v_fma_f64 v[149:150], v[111:112], v[155:156], -v[148:149]
	v_mul_f64 v[137:138], v[5:6], v[153:154]
	v_add_f64 v[115:116], v[115:116], v[133:134]
	v_fma_f64 v[133:134], v[113:114], v[155:156], v[195:196]
	v_add_f64 v[117:118], v[117:118], v[131:132]
	s_clause 0x4
	buffer_load_dword v132, off, s[0:3], 0 offset:572
	buffer_load_dword v153, off, s[0:3], 0 offset:584
	;; [unrolled: 1-line block ×5, first 2 shown]
	s_waitcnt vmcnt(57) lgkmcnt(0)
	v_mul_f64 v[195:196], v[1:2], v[157:158]
	v_mul_f64 v[156:157], v[3:4], v[157:158]
	s_waitcnt vmcnt(56)
	v_fma_f64 v[141:142], v[5:6], v[143:144], -v[141:142]
	ds_read_b128 v[111:114], v163 offset:1152
	v_fma_f64 v[137:138], v[7:8], v[143:144], v[137:138]
	v_add_f64 v[115:116], v[115:116], v[149:150]
	v_add_f64 v[117:118], v[117:118], v[133:134]
	s_clause 0x2
	buffer_load_dword v154, off, s[0:3], 0 offset:588
	buffer_load_dword v134, off, s[0:3], 0 offset:564
	;; [unrolled: 1-line block ×3, first 2 shown]
	ds_read_b128 v[5:8], v163 offset:1168
	s_waitcnt vmcnt(58) lgkmcnt(1)
	v_mul_f64 v[149:150], v[113:114], v[159:160]
	s_waitcnt vmcnt(56)
	v_fma_f64 v[157:158], v[1:2], v[161:162], -v[156:157]
	v_mul_f64 v[143:144], v[111:112], v[159:160]
	v_add_f64 v[115:116], v[115:116], v[141:142]
	v_fma_f64 v[141:142], v[3:4], v[161:162], v[195:196]
	v_add_f64 v[117:118], v[117:118], v[137:138]
	s_clause 0x4
	buffer_load_dword v138, off, s[0:3], 0 offset:604
	buffer_load_dword v159, off, s[0:3], 0 offset:616
	buffer_load_dword v161, off, s[0:3], 0 offset:608
	buffer_load_dword v137, off, s[0:3], 0 offset:600
	buffer_load_dword v156, off, s[0:3], 0 offset:580
	s_waitcnt vmcnt(57) lgkmcnt(0)
	v_mul_f64 v[195:196], v[5:6], v[180:181]
	v_mul_f64 v[180:181], v[7:8], v[180:181]
	s_waitcnt vmcnt(56)
	v_fma_f64 v[149:150], v[111:112], v[151:152], -v[149:150]
	ds_read_b128 v[1:4], v163 offset:1184
	v_fma_f64 v[143:144], v[113:114], v[151:152], v[143:144]
	v_add_f64 v[115:116], v[115:116], v[157:158]
	v_add_f64 v[117:118], v[117:118], v[141:142]
	s_clause 0x2
	buffer_load_dword v160, off, s[0:3], 0 offset:620
	buffer_load_dword v142, off, s[0:3], 0 offset:596
	buffer_load_dword v141, off, s[0:3], 0 offset:592
	ds_read_b128 v[111:114], v163 offset:1200
	s_waitcnt vmcnt(58) lgkmcnt(1)
	v_mul_f64 v[157:158], v[3:4], v[182:183]
	s_waitcnt vmcnt(56)
	v_fma_f64 v[180:181], v[5:6], v[187:188], -v[180:181]
	v_mul_f64 v[151:152], v[1:2], v[182:183]
	v_add_f64 v[115:116], v[115:116], v[149:150]
	v_fma_f64 v[149:150], v[7:8], v[187:188], v[195:196]
	v_add_f64 v[117:118], v[117:118], v[143:144]
	s_clause 0x4
	buffer_load_dword v144, off, s[0:3], 0 offset:636
	buffer_load_dword v182, off, s[0:3], 0 offset:648
	;; [unrolled: 1-line block ×5, first 2 shown]
	ds_read_b128 v[5:8], v163 offset:1216
	s_waitcnt vmcnt(57) lgkmcnt(1)
	v_mul_f64 v[187:188], v[111:112], v[174:175]
	v_mul_f64 v[174:175], v[113:114], v[174:175]
	s_waitcnt vmcnt(56)
	v_fma_f64 v[157:158], v[1:2], v[184:185], -v[157:158]
	v_fma_f64 v[151:152], v[3:4], v[184:185], v[151:152]
	v_add_f64 v[115:116], v[115:116], v[180:181]
	v_add_f64 v[117:118], v[117:118], v[149:150]
	s_clause 0x2
	buffer_load_dword v183, off, s[0:3], 0 offset:652
	buffer_load_dword v150, off, s[0:3], 0 offset:628
	;; [unrolled: 1-line block ×3, first 2 shown]
	ds_read_b128 v[1:4], v163 offset:1232
	s_waitcnt vmcnt(58) lgkmcnt(1)
	v_mul_f64 v[184:185], v[7:8], v[191:192]
	v_mul_f64 v[180:181], v[5:6], v[191:192]
	s_waitcnt vmcnt(56)
	v_fma_f64 v[174:175], v[111:112], v[168:169], -v[174:175]
	v_add_f64 v[115:116], v[115:116], v[157:158]
	v_fma_f64 v[157:158], v[113:114], v[168:169], v[187:188]
	v_add_f64 v[117:118], v[117:118], v[151:152]
	s_clause 0x4
	buffer_load_dword v152, off, s[0:3], 0 offset:668
	buffer_load_dword v168, off, s[0:3], 0 offset:680
	buffer_load_dword v191, off, s[0:3], 0 offset:672
	buffer_load_dword v151, off, s[0:3], 0 offset:664
	buffer_load_dword v187, off, s[0:3], 0 offset:644
	ds_read_b128 v[111:114], v163 offset:1248
	s_waitcnt vmcnt(57) lgkmcnt(1)
	v_mul_f64 v[195:196], v[1:2], v[127:128]
	v_mul_f64 v[127:128], v[3:4], v[127:128]
	s_waitcnt vmcnt(56)
	v_fma_f64 v[184:185], v[5:6], v[193:194], -v[184:185]
	v_add_f64 v[115:116], v[115:116], v[174:175]
	v_fma_f64 v[174:175], v[7:8], v[193:194], v[180:181]
	v_add_f64 v[117:118], v[117:118], v[157:158]
	s_clause 0x2
	buffer_load_dword v169, off, s[0:3], 0 offset:684
	buffer_load_dword v158, off, s[0:3], 0 offset:660
	buffer_load_dword v157, off, s[0:3], 0 offset:656
	ds_read_b128 v[5:8], v163 offset:1264
	s_waitcnt vmcnt(58) lgkmcnt(1)
	v_mul_f64 v[180:181], v[111:112], v[176:177]
	v_mul_f64 v[176:177], v[113:114], v[176:177]
	s_waitcnt vmcnt(56)
	v_fma_f64 v[127:128], v[1:2], v[121:122], -v[127:128]
	v_fma_f64 v[121:122], v[3:4], v[121:122], v[195:196]
	v_add_f64 v[115:116], v[115:116], v[184:185]
	v_add_f64 v[117:118], v[117:118], v[174:175]
	s_clause 0x4
	buffer_load_dword v175, off, s[0:3], 0 offset:700
	buffer_load_dword v184, off, s[0:3], 0 offset:712
	buffer_load_dword v188, off, s[0:3], 0 offset:704
	buffer_load_dword v174, off, s[0:3], 0 offset:696
	buffer_load_dword v192, off, s[0:3], 0 offset:676
	ds_read_b128 v[1:4], v163 offset:1280
	s_waitcnt vmcnt(57) lgkmcnt(1)
	v_mul_f64 v[193:194], v[5:6], v[164:165]
	v_mul_f64 v[164:165], v[7:8], v[164:165]
	s_waitcnt vmcnt(56)
	v_fma_f64 v[176:177], v[111:112], v[189:190], -v[176:177]
	v_add_f64 v[115:116], v[115:116], v[127:128]
	v_fma_f64 v[127:128], v[113:114], v[189:190], v[180:181]
	v_add_f64 v[117:118], v[117:118], v[121:122]
	s_clause 0x2
	buffer_load_dword v185, off, s[0:3], 0 offset:716
	buffer_load_dword v122, off, s[0:3], 0 offset:692
	buffer_load_dword v121, off, s[0:3], 0 offset:688
	ds_read_b128 v[111:114], v163 offset:1296
	s_waitcnt vmcnt(58) lgkmcnt(1)
	v_mul_f64 v[180:181], v[1:2], v[166:167]
	v_mul_f64 v[166:167], v[3:4], v[166:167]
	s_waitcnt vmcnt(56)
	v_fma_f64 v[164:165], v[5:6], v[123:124], -v[164:165]
	v_fma_f64 v[123:124], v[7:8], v[123:124], v[193:194]
	v_add_f64 v[115:116], v[115:116], v[176:177]
	;; [unrolled: 28-line block ×3, first 2 shown]
	v_add_f64 v[117:118], v[117:118], v[164:165]
	s_clause 0x4
	buffer_load_dword v165, off, s[0:3], 0 offset:764
	buffer_load_dword v166, off, s[0:3], 0 offset:776
	;; [unrolled: 1-line block ×5, first 2 shown]
	ds_read_b128 v[111:114], v163 offset:1344
	s_waitcnt vmcnt(57) lgkmcnt(1)
	v_mul_f64 v[195:196], v[1:2], v[125:126]
	v_mul_f64 v[125:126], v[3:4], v[125:126]
	s_waitcnt vmcnt(56)
	v_fma_f64 v[139:140], v[5:6], v[172:173], -v[139:140]
	v_add_f64 v[115:116], v[115:116], v[119:120]
	v_fma_f64 v[119:120], v[7:8], v[172:173], v[178:179]
	v_add_f64 v[117:118], v[117:118], v[129:130]
	s_clause 0x2
	buffer_load_dword v167, off, s[0:3], 0 offset:780
	buffer_load_dword v130, off, s[0:3], 0 offset:756
	;; [unrolled: 1-line block ×3, first 2 shown]
	s_waitcnt vmcnt(58) lgkmcnt(0)
	v_mul_f64 v[172:173], v[111:112], v[145:146]
	v_mul_f64 v[145:146], v[113:114], v[145:146]
	ds_read_b128 v[5:8], v163 offset:1360
	s_waitcnt vmcnt(56)
	v_fma_f64 v[125:126], v[1:2], v[135:136], -v[125:126]
	v_fma_f64 v[135:136], v[3:4], v[135:136], v[195:196]
	v_add_f64 v[115:116], v[115:116], v[139:140]
	v_add_f64 v[117:118], v[117:118], v[119:120]
	s_clause 0x4
	buffer_load_dword v120, off, s[0:3], 0 offset:796
	buffer_load_dword v139, off, s[0:3], 0 offset:808
	;; [unrolled: 1-line block ×5, first 2 shown]
	ds_read_b128 v[1:4], v163 offset:1376
	s_waitcnt vmcnt(57) lgkmcnt(1)
	v_mul_f64 v[195:196], v[5:6], v[131:132]
	v_mul_f64 v[131:132], v[7:8], v[131:132]
	s_waitcnt vmcnt(56)
	v_fma_f64 v[145:146], v[111:112], v[147:148], -v[145:146]
	v_add_f64 v[115:116], v[115:116], v[125:126]
	v_fma_f64 v[125:126], v[113:114], v[147:148], v[172:173]
	v_add_f64 v[117:118], v[117:118], v[135:136]
	s_clause 0x2
	buffer_load_dword v140, off, s[0:3], 0 offset:812
	buffer_load_dword v136, off, s[0:3], 0 offset:788
	;; [unrolled: 1-line block ×3, first 2 shown]
	ds_read_b128 v[111:114], v163 offset:1392
	s_waitcnt vmcnt(58) lgkmcnt(1)
	v_mul_f64 v[147:148], v[1:2], v[153:154]
	v_mul_f64 v[153:154], v[3:4], v[153:154]
	s_waitcnt vmcnt(56)
	v_fma_f64 v[131:132], v[5:6], v[133:134], -v[131:132]
	v_fma_f64 v[133:134], v[7:8], v[133:134], v[195:196]
	v_add_f64 v[115:116], v[115:116], v[145:146]
	v_add_f64 v[117:118], v[117:118], v[125:126]
	s_clause 0x2
	buffer_load_dword v126, off, s[0:3], 0 offset:828
	buffer_load_dword v125, off, s[0:3], 0 offset:824
	;; [unrolled: 1-line block ×3, first 2 shown]
	ds_read_b128 v[5:8], v163 offset:1408
	s_waitcnt vmcnt(55) lgkmcnt(1)
	v_mul_f64 v[145:146], v[111:112], v[137:138]
	v_mul_f64 v[137:138], v[113:114], v[137:138]
	s_waitcnt vmcnt(54)
	v_fma_f64 v[153:154], v[1:2], v[155:156], -v[153:154]
	v_add_f64 v[115:116], v[115:116], v[131:132]
	v_fma_f64 v[131:132], v[3:4], v[155:156], v[147:148]
	v_add_f64 v[117:118], v[117:118], v[133:134]
	s_clause 0x1
	buffer_load_dword v134, off, s[0:3], 0 offset:820
	buffer_load_dword v133, off, s[0:3], 0 offset:816
	ds_read_b128 v[1:4], v163 offset:1424
	s_waitcnt vmcnt(55) lgkmcnt(1)
	v_mul_f64 v[155:156], v[7:8], v[159:160]
	v_mul_f64 v[147:148], v[5:6], v[159:160]
	s_waitcnt vmcnt(53)
	v_fma_f64 v[137:138], v[111:112], v[141:142], -v[137:138]
	v_fma_f64 v[141:142], v[113:114], v[141:142], v[145:146]
	ds_read_b128 v[111:114], v163 offset:1440
	v_add_f64 v[115:116], v[115:116], v[153:154]
	v_add_f64 v[117:118], v[117:118], v[131:132]
	s_waitcnt vmcnt(49) lgkmcnt(1)
	v_mul_f64 v[131:132], v[1:2], v[143:144]
	v_mul_f64 v[143:144], v[3:4], v[143:144]
	s_waitcnt vmcnt(48)
	v_fma_f64 v[145:146], v[5:6], v[161:162], -v[155:156]
	v_add_f64 v[115:116], v[115:116], v[137:138]
	v_fma_f64 v[137:138], v[7:8], v[161:162], v[147:148]
	v_add_f64 v[117:118], v[117:118], v[141:142]
	s_clause 0x3
	buffer_load_dword v141, off, s[0:3], 0 offset:112
	buffer_load_dword v142, off, s[0:3], 0 offset:116
	;; [unrolled: 1-line block ×4, first 2 shown]
	ds_read_b128 v[5:8], v163 offset:1456
	s_waitcnt vmcnt(51) lgkmcnt(1)
	v_mul_f64 v[155:156], v[113:114], v[182:183]
	v_mul_f64 v[153:154], v[111:112], v[182:183]
	s_waitcnt vmcnt(49)
	v_fma_f64 v[143:144], v[1:2], v[149:150], -v[143:144]
	v_fma_f64 v[131:132], v[3:4], v[149:150], v[131:132]
	ds_read_b128 v[1:4], v163 offset:1472
	v_add_f64 v[115:116], v[115:116], v[145:146]
	v_add_f64 v[117:118], v[117:118], v[137:138]
	s_waitcnt vmcnt(45) lgkmcnt(1)
	v_mul_f64 v[145:146], v[7:8], v[151:152]
	s_waitcnt vmcnt(44)
	v_fma_f64 v[149:150], v[111:112], v[186:187], -v[155:156]
	v_mul_f64 v[137:138], v[5:6], v[151:152]
	v_add_f64 v[115:116], v[115:116], v[143:144]
	v_fma_f64 v[143:144], v[113:114], v[186:187], v[153:154]
	v_add_f64 v[117:118], v[117:118], v[131:132]
	ds_read_b128 v[111:114], v163 offset:1488
	s_waitcnt vmcnt(43) lgkmcnt(1)
	v_mul_f64 v[151:152], v[3:4], v[168:169]
	v_mul_f64 v[131:132], v[1:2], v[168:169]
	s_waitcnt vmcnt(41)
	v_fma_f64 v[145:146], v[5:6], v[157:158], -v[145:146]
	v_fma_f64 v[137:138], v[7:8], v[157:158], v[137:138]
	ds_read_b128 v[5:8], v163 offset:1504
	v_add_f64 v[115:116], v[115:116], v[149:150]
	v_add_f64 v[117:118], v[117:118], v[143:144]
	s_waitcnt vmcnt(37) lgkmcnt(1)
	v_mul_f64 v[149:150], v[113:114], v[174:175]
	s_waitcnt vmcnt(36)
	v_fma_f64 v[151:152], v[1:2], v[191:192], -v[151:152]
	v_mul_f64 v[143:144], v[111:112], v[174:175]
	v_fma_f64 v[131:132], v[3:4], v[191:192], v[131:132]
	ds_read_b128 v[1:4], v163 offset:1520
	v_add_f64 v[115:116], v[115:116], v[145:146]
	v_add_f64 v[117:118], v[117:118], v[137:138]
	s_waitcnt vmcnt(35) lgkmcnt(1)
	v_mul_f64 v[145:146], v[7:8], v[184:185]
	v_mul_f64 v[137:138], v[5:6], v[184:185]
	s_waitcnt vmcnt(33)
	v_fma_f64 v[149:150], v[111:112], v[121:122], -v[149:150]
	v_fma_f64 v[121:122], v[113:114], v[121:122], v[143:144]
	ds_read_b128 v[111:114], v163 offset:1536
	v_add_f64 v[115:116], v[115:116], v[151:152]
	v_add_f64 v[117:118], v[117:118], v[131:132]
	s_waitcnt vmcnt(29) lgkmcnt(1)
	v_mul_f64 v[131:132], v[1:2], v[127:128]
	v_mul_f64 v[127:128], v[3:4], v[127:128]
	s_waitcnt vmcnt(28)
	v_fma_f64 v[143:144], v[5:6], v[188:189], -v[145:146]
	;; [unrolled: 9-line block ×3, first 2 shown]
	v_fma_f64 v[123:124], v[3:4], v[123:124], v[131:132]
	ds_read_b128 v[1:4], v163 offset:1568
	v_add_f64 v[115:116], v[115:116], v[143:144]
	v_add_f64 v[117:118], v[117:118], v[137:138]
	s_waitcnt vmcnt(21) lgkmcnt(1)
	v_mul_f64 v[137:138], v[7:8], v[164:165]
	s_waitcnt vmcnt(20)
	v_fma_f64 v[143:144], v[111:112], v[193:194], -v[145:146]
	v_mul_f64 v[131:132], v[5:6], v[164:165]
	v_fma_f64 v[121:122], v[113:114], v[193:194], v[121:122]
	ds_read_b128 v[111:114], v163 offset:1584
	v_add_f64 v[115:116], v[115:116], v[127:128]
	v_add_f64 v[117:118], v[117:118], v[123:124]
	s_waitcnt vmcnt(19) lgkmcnt(1)
	v_mul_f64 v[127:128], v[3:4], v[166:167]
	v_mul_f64 v[123:124], v[1:2], v[166:167]
	s_waitcnt vmcnt(17)
	v_fma_f64 v[137:138], v[5:6], v[129:130], -v[137:138]
	v_fma_f64 v[129:130], v[7:8], v[129:130], v[131:132]
	ds_read_b128 v[5:8], v163 offset:1600
	v_add_f64 v[115:116], v[115:116], v[143:144]
	v_add_f64 v[117:118], v[117:118], v[121:122]
	s_waitcnt vmcnt(13) lgkmcnt(1)
	v_mul_f64 v[121:122], v[111:112], v[119:120]
	v_mul_f64 v[119:120], v[113:114], v[119:120]
	s_waitcnt vmcnt(12)
	v_fma_f64 v[127:128], v[1:2], v[180:181], -v[127:128]
	;; [unrolled: 9-line block ×3, first 2 shown]
	v_fma_f64 v[113:114], v[113:114], v[135:136], v[121:122]
	v_add_f64 v[115:116], v[115:116], v[127:128]
	v_add_f64 v[117:118], v[117:118], v[123:124]
	s_waitcnt vmcnt(7) lgkmcnt(0)
	v_mul_f64 v[121:122], v[3:4], v[125:126]
	s_waitcnt vmcnt(6)
	v_fma_f64 v[5:6], v[5:6], v[178:179], -v[131:132]
	v_mul_f64 v[119:120], v[1:2], v[125:126]
	v_fma_f64 v[7:8], v[7:8], v[178:179], v[129:130]
	v_add_f64 v[111:112], v[115:116], v[111:112]
	v_add_f64 v[113:114], v[117:118], v[113:114]
	s_waitcnt vmcnt(4)
	v_fma_f64 v[1:2], v[1:2], v[133:134], -v[121:122]
	v_fma_f64 v[3:4], v[3:4], v[133:134], v[119:120]
	v_add_f64 v[5:6], v[111:112], v[5:6]
	v_add_f64 v[7:8], v[113:114], v[7:8]
	;; [unrolled: 1-line block ×4, first 2 shown]
	s_waitcnt vmcnt(2)
	v_add_f64 v[1:2], v[141:142], -v[1:2]
	s_waitcnt vmcnt(0)
	v_add_f64 v[3:4], v[147:148], -v[3:4]
	buffer_store_dword v2, off, s[0:3], 0 offset:116
	buffer_store_dword v1, off, s[0:3], 0 offset:112
	;; [unrolled: 1-line block ×4, first 2 shown]
	v_cmpx_lt_u32_e32 5, v0
	s_cbranch_execz .LBB114_309
; %bb.308:
	v_mov_b32_e32 v4, s58
	v_mov_b32_e32 v5, 0
	s_clause 0x3
	buffer_load_dword v1, v4, s[0:3], 0 offen
	buffer_load_dword v2, v4, s[0:3], 0 offen offset:4
	buffer_load_dword v3, v4, s[0:3], 0 offen offset:8
	buffer_load_dword v4, v4, s[0:3], 0 offen offset:12
	buffer_store_dword v5, off, s[0:3], 0 offset:96
	buffer_store_dword v5, off, s[0:3], 0 offset:100
	buffer_store_dword v5, off, s[0:3], 0 offset:104
	buffer_store_dword v5, off, s[0:3], 0 offset:108
	s_waitcnt vmcnt(0)
	ds_write_b128 v171, v[1:4]
.LBB114_309:
	s_or_b32 exec_lo, exec_lo, s4
	s_waitcnt lgkmcnt(0)
	s_waitcnt_vscnt null, 0x0
	s_barrier
	buffer_gl0_inv
	s_clause 0x37
	buffer_load_dword v115, off, s[0:3], 0 offset:120
	buffer_load_dword v116, off, s[0:3], 0 offset:124
	buffer_load_dword v111, off, s[0:3], 0 offset:136
	buffer_load_dword v112, off, s[0:3], 0 offset:140
	buffer_load_dword v113, off, s[0:3], 0 offset:112
	buffer_load_dword v114, off, s[0:3], 0 offset:116
	buffer_load_dword v7, off, s[0:3], 0 offset:152
	buffer_load_dword v8, off, s[0:3], 0 offset:156
	buffer_load_dword v5, off, s[0:3], 0 offset:128
	buffer_load_dword v6, off, s[0:3], 0 offset:132
	buffer_load_dword v120, off, s[0:3], 0 offset:172
	buffer_load_dword v123, off, s[0:3], 0 offset:184
	buffer_load_dword v117, off, s[0:3], 0 offset:176
	buffer_load_dword v119, off, s[0:3], 0 offset:168
	buffer_load_dword v131, off, s[0:3], 0 offset:144
	buffer_load_dword v132, off, s[0:3], 0 offset:148
	buffer_load_dword v124, off, s[0:3], 0 offset:188
	buffer_load_dword v126, off, s[0:3], 0 offset:164
	buffer_load_dword v125, off, s[0:3], 0 offset:160
	buffer_load_dword v128, off, s[0:3], 0 offset:204
	buffer_load_dword v133, off, s[0:3], 0 offset:216
	buffer_load_dword v121, off, s[0:3], 0 offset:208
	buffer_load_dword v127, off, s[0:3], 0 offset:200
	buffer_load_dword v118, off, s[0:3], 0 offset:180
	buffer_load_dword v134, off, s[0:3], 0 offset:220
	buffer_load_dword v136, off, s[0:3], 0 offset:196
	buffer_load_dword v135, off, s[0:3], 0 offset:192
	buffer_load_dword v138, off, s[0:3], 0 offset:236
	buffer_load_dword v141, off, s[0:3], 0 offset:248
	buffer_load_dword v129, off, s[0:3], 0 offset:240
	buffer_load_dword v137, off, s[0:3], 0 offset:232
	buffer_load_dword v122, off, s[0:3], 0 offset:212
	buffer_load_dword v142, off, s[0:3], 0 offset:252
	buffer_load_dword v144, off, s[0:3], 0 offset:228
	buffer_load_dword v143, off, s[0:3], 0 offset:224
	buffer_load_dword v146, off, s[0:3], 0 offset:268
	buffer_load_dword v149, off, s[0:3], 0 offset:280
	buffer_load_dword v139, off, s[0:3], 0 offset:272
	buffer_load_dword v145, off, s[0:3], 0 offset:264
	buffer_load_dword v130, off, s[0:3], 0 offset:244
	buffer_load_dword v150, off, s[0:3], 0 offset:284
	buffer_load_dword v152, off, s[0:3], 0 offset:260
	buffer_load_dword v151, off, s[0:3], 0 offset:256
	buffer_load_dword v154, off, s[0:3], 0 offset:300
	buffer_load_dword v157, off, s[0:3], 0 offset:312
	buffer_load_dword v147, off, s[0:3], 0 offset:304
	buffer_load_dword v153, off, s[0:3], 0 offset:296
	buffer_load_dword v140, off, s[0:3], 0 offset:276
	buffer_load_dword v158, off, s[0:3], 0 offset:316
	buffer_load_dword v160, off, s[0:3], 0 offset:292
	buffer_load_dword v159, off, s[0:3], 0 offset:288
	buffer_load_dword v162, off, s[0:3], 0 offset:332
	buffer_load_dword v163, off, s[0:3], 0 offset:344
	buffer_load_dword v155, off, s[0:3], 0 offset:336
	buffer_load_dword v161, off, s[0:3], 0 offset:328
	buffer_load_dword v148, off, s[0:3], 0 offset:308
	v_mov_b32_e32 v172, 0
	s_mov_b32 s4, exec_lo
	ds_read_b128 v[167:170], v172 offset:912
	s_clause 0x2
	buffer_load_dword v164, off, s[0:3], 0 offset:348
	buffer_load_dword v166, off, s[0:3], 0 offset:324
	;; [unrolled: 1-line block ×3, first 2 shown]
	ds_read_b128 v[1:4], v172 offset:928
	s_clause 0x4
	buffer_load_dword v180, off, s[0:3], 0 offset:364
	buffer_load_dword v181, off, s[0:3], 0 offset:376
	;; [unrolled: 1-line block ×5, first 2 shown]
	ds_read_b128 v[173:176], v172 offset:944
	s_waitcnt vmcnt(62) lgkmcnt(2)
	v_mul_f64 v[177:178], v[169:170], v[115:116]
	v_mul_f64 v[115:116], v[167:168], v[115:116]
	s_waitcnt vmcnt(60) lgkmcnt(1)
	v_mul_f64 v[184:185], v[3:4], v[111:112]
	s_waitcnt vmcnt(56) lgkmcnt(0)
	v_mul_f64 v[186:187], v[173:174], v[7:8]
	v_mul_f64 v[7:8], v[175:176], v[7:8]
	v_fma_f64 v[167:168], v[167:168], v[113:114], -v[177:178]
	v_mul_f64 v[177:178], v[1:2], v[111:112]
	v_fma_f64 v[115:116], v[169:170], v[113:114], v[115:116]
	s_clause 0x2
	buffer_load_dword v182, off, s[0:3], 0 offset:380
	buffer_load_dword v170, off, s[0:3], 0 offset:356
	;; [unrolled: 1-line block ×3, first 2 shown]
	s_waitcnt vmcnt(57)
	v_fma_f64 v[188:189], v[1:2], v[5:6], -v[184:185]
	ds_read_b128 v[111:114], v172 offset:960
	s_waitcnt vmcnt(51)
	v_fma_f64 v[173:174], v[173:174], v[131:132], -v[7:8]
	v_fma_f64 v[131:132], v[175:176], v[131:132], v[186:187]
	v_add_f64 v[167:168], v[167:168], 0
	v_fma_f64 v[5:6], v[3:4], v[5:6], v[177:178]
	v_add_f64 v[115:116], v[115:116], 0
	s_clause 0x4
	buffer_load_dword v178, off, s[0:3], 0 offset:396
	buffer_load_dword v185, off, s[0:3], 0 offset:408
	buffer_load_dword v190, off, s[0:3], 0 offset:400
	buffer_load_dword v177, off, s[0:3], 0 offset:392
	buffer_load_dword v184, off, s[0:3], 0 offset:372
	s_waitcnt lgkmcnt(0)
	v_mul_f64 v[191:192], v[111:112], v[119:120]
	v_mul_f64 v[119:120], v[113:114], v[119:120]
	ds_read_b128 v[1:4], v172 offset:976
	s_clause 0x2
	buffer_load_dword v186, off, s[0:3], 0 offset:412
	buffer_load_dword v176, off, s[0:3], 0 offset:388
	;; [unrolled: 1-line block ×3, first 2 shown]
	v_add_f64 v[167:168], v[167:168], v[188:189]
	v_add_f64 v[115:116], v[115:116], v[5:6]
	ds_read_b128 v[5:8], v172 offset:992
	s_waitcnt vmcnt(58) lgkmcnt(1)
	v_mul_f64 v[187:188], v[1:2], v[123:124]
	v_mul_f64 v[123:124], v[3:4], v[123:124]
	s_waitcnt vmcnt(56)
	v_fma_f64 v[119:120], v[111:112], v[125:126], -v[119:120]
	v_fma_f64 v[125:126], v[113:114], v[125:126], v[191:192]
	v_add_f64 v[167:168], v[167:168], v[173:174]
	s_waitcnt vmcnt(52) lgkmcnt(0)
	v_mul_f64 v[193:194], v[5:6], v[127:128]
	v_add_f64 v[115:116], v[115:116], v[131:132]
	s_clause 0x4
	buffer_load_dword v132, off, s[0:3], 0 offset:428
	buffer_load_dword v173, off, s[0:3], 0 offset:440
	;; [unrolled: 1-line block ×5, first 2 shown]
	v_mul_f64 v[127:128], v[7:8], v[127:128]
	s_waitcnt vmcnt(56)
	v_fma_f64 v[123:124], v[1:2], v[117:118], -v[123:124]
	ds_read_b128 v[111:114], v172 offset:1008
	v_fma_f64 v[117:118], v[3:4], v[117:118], v[187:188]
	v_add_f64 v[119:120], v[167:168], v[119:120]
	v_add_f64 v[115:116], v[115:116], v[125:126]
	s_clause 0x2
	buffer_load_dword v174, off, s[0:3], 0 offset:444
	buffer_load_dword v126, off, s[0:3], 0 offset:420
	;; [unrolled: 1-line block ×3, first 2 shown]
	s_waitcnt vmcnt(58) lgkmcnt(0)
	v_mul_f64 v[167:168], v[111:112], v[133:134]
	v_mul_f64 v[133:134], v[113:114], v[133:134]
	s_waitcnt vmcnt(56)
	v_fma_f64 v[127:128], v[5:6], v[135:136], -v[127:128]
	ds_read_b128 v[1:4], v172 offset:1024
	v_add_f64 v[119:120], v[119:120], v[123:124]
	v_fma_f64 v[123:124], v[7:8], v[135:136], v[193:194]
	v_add_f64 v[115:116], v[115:116], v[117:118]
	s_clause 0x4
	buffer_load_dword v118, off, s[0:3], 0 offset:460
	buffer_load_dword v135, off, s[0:3], 0 offset:472
	buffer_load_dword v187, off, s[0:3], 0 offset:464
	buffer_load_dword v117, off, s[0:3], 0 offset:456
	buffer_load_dword v193, off, s[0:3], 0 offset:436
	ds_read_b128 v[5:8], v172 offset:1040
	s_waitcnt vmcnt(57) lgkmcnt(1)
	v_mul_f64 v[188:189], v[1:2], v[137:138]
	v_mul_f64 v[137:138], v[3:4], v[137:138]
	s_waitcnt vmcnt(56)
	v_fma_f64 v[133:134], v[111:112], v[121:122], -v[133:134]
	v_fma_f64 v[121:122], v[113:114], v[121:122], v[167:168]
	v_add_f64 v[119:120], v[119:120], v[127:128]
	v_add_f64 v[115:116], v[115:116], v[123:124]
	s_clause 0x2
	buffer_load_dword v136, off, s[0:3], 0 offset:476
	buffer_load_dword v124, off, s[0:3], 0 offset:452
	;; [unrolled: 1-line block ×3, first 2 shown]
	s_waitcnt vmcnt(58) lgkmcnt(0)
	v_mul_f64 v[127:128], v[5:6], v[141:142]
	v_mul_f64 v[141:142], v[7:8], v[141:142]
	s_waitcnt vmcnt(56)
	v_fma_f64 v[137:138], v[1:2], v[143:144], -v[137:138]
	ds_read_b128 v[111:114], v172 offset:1056
	v_add_f64 v[119:120], v[119:120], v[133:134]
	v_fma_f64 v[133:134], v[3:4], v[143:144], v[188:189]
	v_add_f64 v[115:116], v[115:116], v[121:122]
	s_clause 0x4
	buffer_load_dword v122, off, s[0:3], 0 offset:492
	buffer_load_dword v143, off, s[0:3], 0 offset:504
	;; [unrolled: 1-line block ×5, first 2 shown]
	ds_read_b128 v[1:4], v172 offset:1072
	s_waitcnt vmcnt(57) lgkmcnt(1)
	v_mul_f64 v[194:195], v[111:112], v[145:146]
	v_mul_f64 v[145:146], v[113:114], v[145:146]
	s_waitcnt vmcnt(56)
	v_fma_f64 v[141:142], v[5:6], v[129:130], -v[141:142]
	v_fma_f64 v[127:128], v[7:8], v[129:130], v[127:128]
	s_clause 0x2
	buffer_load_dword v144, off, s[0:3], 0 offset:508
	buffer_load_dword v130, off, s[0:3], 0 offset:484
	;; [unrolled: 1-line block ×3, first 2 shown]
	ds_read_b128 v[5:8], v172 offset:1088
	v_add_f64 v[119:120], v[119:120], v[137:138]
	v_add_f64 v[115:116], v[115:116], v[133:134]
	s_waitcnt vmcnt(58) lgkmcnt(1)
	v_mul_f64 v[137:138], v[3:4], v[149:150]
	v_mul_f64 v[133:134], v[1:2], v[149:150]
	s_waitcnt vmcnt(56)
	v_fma_f64 v[145:146], v[111:112], v[151:152], -v[145:146]
	v_add_f64 v[119:120], v[119:120], v[141:142]
	v_fma_f64 v[141:142], v[113:114], v[151:152], v[194:195]
	v_add_f64 v[115:116], v[115:116], v[127:128]
	s_clause 0x4
	buffer_load_dword v128, off, s[0:3], 0 offset:524
	buffer_load_dword v149, off, s[0:3], 0 offset:536
	;; [unrolled: 1-line block ×5, first 2 shown]
	s_waitcnt vmcnt(57) lgkmcnt(0)
	v_mul_f64 v[194:195], v[5:6], v[153:154]
	v_mul_f64 v[152:153], v[7:8], v[153:154]
	s_waitcnt vmcnt(56)
	v_fma_f64 v[137:138], v[1:2], v[139:140], -v[137:138]
	ds_read_b128 v[111:114], v172 offset:1104
	v_fma_f64 v[133:134], v[3:4], v[139:140], v[133:134]
	s_clause 0x2
	buffer_load_dword v150, off, s[0:3], 0 offset:540
	buffer_load_dword v140, off, s[0:3], 0 offset:516
	;; [unrolled: 1-line block ×3, first 2 shown]
	ds_read_b128 v[1:4], v172 offset:1120
	v_add_f64 v[119:120], v[119:120], v[145:146]
	v_add_f64 v[115:116], v[115:116], v[141:142]
	s_waitcnt vmcnt(58) lgkmcnt(1)
	v_mul_f64 v[145:146], v[113:114], v[157:158]
	s_waitcnt vmcnt(56)
	v_fma_f64 v[153:154], v[5:6], v[159:160], -v[152:153]
	v_mul_f64 v[141:142], v[111:112], v[157:158]
	v_add_f64 v[119:120], v[119:120], v[137:138]
	v_fma_f64 v[137:138], v[7:8], v[159:160], v[194:195]
	v_add_f64 v[115:116], v[115:116], v[133:134]
	s_clause 0x4
	buffer_load_dword v134, off, s[0:3], 0 offset:556
	buffer_load_dword v157, off, s[0:3], 0 offset:568
	;; [unrolled: 1-line block ×5, first 2 shown]
	s_waitcnt vmcnt(57) lgkmcnt(0)
	v_mul_f64 v[194:195], v[1:2], v[161:162]
	v_mul_f64 v[160:161], v[3:4], v[161:162]
	s_waitcnt vmcnt(56)
	v_fma_f64 v[145:146], v[111:112], v[147:148], -v[145:146]
	ds_read_b128 v[5:8], v172 offset:1136
	v_fma_f64 v[141:142], v[113:114], v[147:148], v[141:142]
	v_add_f64 v[119:120], v[119:120], v[153:154]
	v_add_f64 v[115:116], v[115:116], v[137:138]
	s_clause 0x2
	buffer_load_dword v158, off, s[0:3], 0 offset:572
	buffer_load_dword v138, off, s[0:3], 0 offset:548
	;; [unrolled: 1-line block ×3, first 2 shown]
	ds_read_b128 v[111:114], v172 offset:1152
	s_waitcnt vmcnt(58) lgkmcnt(1)
	v_mul_f64 v[153:154], v[7:8], v[163:164]
	s_waitcnt vmcnt(56)
	v_fma_f64 v[161:162], v[1:2], v[165:166], -v[160:161]
	v_mul_f64 v[147:148], v[5:6], v[163:164]
	v_add_f64 v[119:120], v[119:120], v[145:146]
	v_fma_f64 v[145:146], v[3:4], v[165:166], v[194:195]
	v_add_f64 v[115:116], v[115:116], v[141:142]
	s_clause 0x4
	buffer_load_dword v142, off, s[0:3], 0 offset:588
	buffer_load_dword v163, off, s[0:3], 0 offset:600
	;; [unrolled: 1-line block ×5, first 2 shown]
	s_waitcnt vmcnt(57) lgkmcnt(0)
	v_mul_f64 v[194:195], v[111:112], v[179:180]
	v_mul_f64 v[179:180], v[113:114], v[179:180]
	s_waitcnt vmcnt(56)
	v_fma_f64 v[153:154], v[5:6], v[155:156], -v[153:154]
	ds_read_b128 v[1:4], v172 offset:1168
	v_fma_f64 v[147:148], v[7:8], v[155:156], v[147:148]
	v_add_f64 v[119:120], v[119:120], v[161:162]
	v_add_f64 v[115:116], v[115:116], v[145:146]
	s_clause 0x2
	buffer_load_dword v164, off, s[0:3], 0 offset:604
	buffer_load_dword v146, off, s[0:3], 0 offset:580
	;; [unrolled: 1-line block ×3, first 2 shown]
	ds_read_b128 v[5:8], v172 offset:1184
	s_waitcnt vmcnt(58) lgkmcnt(1)
	v_mul_f64 v[161:162], v[3:4], v[181:182]
	v_mul_f64 v[155:156], v[1:2], v[181:182]
	s_waitcnt vmcnt(56)
	v_fma_f64 v[179:180], v[111:112], v[169:170], -v[179:180]
	v_add_f64 v[119:120], v[119:120], v[153:154]
	v_fma_f64 v[153:154], v[113:114], v[169:170], v[194:195]
	v_add_f64 v[115:116], v[115:116], v[147:148]
	s_clause 0x4
	buffer_load_dword v148, off, s[0:3], 0 offset:620
	buffer_load_dword v169, off, s[0:3], 0 offset:632
	;; [unrolled: 1-line block ×5, first 2 shown]
	ds_read_b128 v[111:114], v172 offset:1200
	s_waitcnt vmcnt(57) lgkmcnt(1)
	v_mul_f64 v[194:195], v[5:6], v[177:178]
	v_mul_f64 v[177:178], v[7:8], v[177:178]
	s_waitcnt vmcnt(56)
	v_fma_f64 v[161:162], v[1:2], v[183:184], -v[161:162]
	v_fma_f64 v[155:156], v[3:4], v[183:184], v[155:156]
	v_add_f64 v[119:120], v[119:120], v[179:180]
	v_add_f64 v[115:116], v[115:116], v[153:154]
	s_clause 0x2
	buffer_load_dword v170, off, s[0:3], 0 offset:636
	buffer_load_dword v154, off, s[0:3], 0 offset:612
	;; [unrolled: 1-line block ×3, first 2 shown]
	s_waitcnt vmcnt(58) lgkmcnt(0)
	v_mul_f64 v[183:184], v[113:114], v[185:186]
	ds_read_b128 v[1:4], v172 offset:1216
	v_mul_f64 v[179:180], v[111:112], v[185:186]
	s_waitcnt vmcnt(56)
	v_fma_f64 v[177:178], v[5:6], v[175:176], -v[177:178]
	v_add_f64 v[119:120], v[119:120], v[161:162]
	v_fma_f64 v[161:162], v[7:8], v[175:176], v[194:195]
	v_add_f64 v[115:116], v[115:116], v[155:156]
	s_clause 0x4
	buffer_load_dword v156, off, s[0:3], 0 offset:652
	buffer_load_dword v175, off, s[0:3], 0 offset:664
	;; [unrolled: 1-line block ×5, first 2 shown]
	ds_read_b128 v[5:8], v172 offset:1232
	s_waitcnt vmcnt(57) lgkmcnt(1)
	v_mul_f64 v[194:195], v[1:2], v[131:132]
	v_mul_f64 v[131:132], v[3:4], v[131:132]
	s_waitcnt vmcnt(56)
	v_fma_f64 v[183:184], v[111:112], v[190:191], -v[183:184]
	v_add_f64 v[119:120], v[119:120], v[177:178]
	v_fma_f64 v[177:178], v[113:114], v[190:191], v[179:180]
	v_add_f64 v[115:116], v[115:116], v[161:162]
	s_clause 0x2
	buffer_load_dword v176, off, s[0:3], 0 offset:668
	buffer_load_dword v162, off, s[0:3], 0 offset:644
	;; [unrolled: 1-line block ×3, first 2 shown]
	ds_read_b128 v[111:114], v172 offset:1248
	s_waitcnt vmcnt(58) lgkmcnt(1)
	v_mul_f64 v[179:180], v[5:6], v[173:174]
	v_mul_f64 v[173:174], v[7:8], v[173:174]
	s_waitcnt vmcnt(56)
	v_fma_f64 v[131:132], v[1:2], v[125:126], -v[131:132]
	v_fma_f64 v[125:126], v[3:4], v[125:126], v[194:195]
	v_add_f64 v[119:120], v[119:120], v[183:184]
	v_add_f64 v[115:116], v[115:116], v[177:178]
	s_clause 0x4
	buffer_load_dword v178, off, s[0:3], 0 offset:684
	buffer_load_dword v183, off, s[0:3], 0 offset:696
	buffer_load_dword v189, off, s[0:3], 0 offset:688
	buffer_load_dword v177, off, s[0:3], 0 offset:680
	buffer_load_dword v186, off, s[0:3], 0 offset:660
	ds_read_b128 v[1:4], v172 offset:1264
	s_waitcnt vmcnt(57) lgkmcnt(1)
	v_mul_f64 v[190:191], v[111:112], v[117:118]
	v_mul_f64 v[117:118], v[113:114], v[117:118]
	s_waitcnt vmcnt(56)
	v_fma_f64 v[173:174], v[5:6], v[192:193], -v[173:174]
	v_add_f64 v[119:120], v[119:120], v[131:132]
	v_fma_f64 v[131:132], v[7:8], v[192:193], v[179:180]
	v_add_f64 v[115:116], v[115:116], v[125:126]
	s_clause 0x2
	buffer_load_dword v184, off, s[0:3], 0 offset:700
	buffer_load_dword v126, off, s[0:3], 0 offset:676
	;; [unrolled: 1-line block ×3, first 2 shown]
	ds_read_b128 v[5:8], v172 offset:1280
	s_waitcnt vmcnt(58) lgkmcnt(1)
	v_mul_f64 v[179:180], v[1:2], v[135:136]
	v_mul_f64 v[135:136], v[3:4], v[135:136]
	s_waitcnt vmcnt(56)
	v_fma_f64 v[117:118], v[111:112], v[123:124], -v[117:118]
	v_fma_f64 v[123:124], v[113:114], v[123:124], v[190:191]
	v_add_f64 v[119:120], v[119:120], v[173:174]
	v_add_f64 v[115:116], v[115:116], v[131:132]
	s_clause 0x4
	buffer_load_dword v132, off, s[0:3], 0 offset:716
	buffer_load_dword v173, off, s[0:3], 0 offset:728
	;; [unrolled: 1-line block ×5, first 2 shown]
	ds_read_b128 v[111:114], v172 offset:1296
	s_waitcnt vmcnt(57) lgkmcnt(1)
	v_mul_f64 v[192:193], v[5:6], v[121:122]
	v_mul_f64 v[121:122], v[7:8], v[121:122]
	s_waitcnt vmcnt(56)
	v_fma_f64 v[135:136], v[1:2], v[187:188], -v[135:136]
	v_add_f64 v[117:118], v[119:120], v[117:118]
	v_fma_f64 v[119:120], v[3:4], v[187:188], v[179:180]
	v_add_f64 v[115:116], v[115:116], v[123:124]
	s_clause 0x2
	buffer_load_dword v174, off, s[0:3], 0 offset:732
	buffer_load_dword v124, off, s[0:3], 0 offset:708
	;; [unrolled: 1-line block ×3, first 2 shown]
	s_waitcnt vmcnt(58) lgkmcnt(0)
	v_mul_f64 v[179:180], v[111:112], v[143:144]
	v_mul_f64 v[143:144], v[113:114], v[143:144]
	ds_read_b128 v[1:4], v172 offset:1312
	s_waitcnt vmcnt(56)
	v_fma_f64 v[121:122], v[5:6], v[129:130], -v[121:122]
	v_fma_f64 v[129:130], v[7:8], v[129:130], v[192:193]
	v_add_f64 v[117:118], v[117:118], v[135:136]
	v_add_f64 v[115:116], v[115:116], v[119:120]
	s_clause 0x4
	buffer_load_dword v120, off, s[0:3], 0 offset:748
	buffer_load_dword v135, off, s[0:3], 0 offset:760
	;; [unrolled: 1-line block ×5, first 2 shown]
	ds_read_b128 v[5:8], v172 offset:1328
	s_waitcnt vmcnt(57) lgkmcnt(1)
	v_mul_f64 v[193:194], v[1:2], v[127:128]
	v_mul_f64 v[127:128], v[3:4], v[127:128]
	s_waitcnt vmcnt(56)
	v_fma_f64 v[143:144], v[111:112], v[167:168], -v[143:144]
	v_add_f64 v[117:118], v[117:118], v[121:122]
	v_fma_f64 v[121:122], v[113:114], v[167:168], v[179:180]
	v_add_f64 v[115:116], v[115:116], v[129:130]
	s_clause 0x2
	buffer_load_dword v136, off, s[0:3], 0 offset:764
	buffer_load_dword v130, off, s[0:3], 0 offset:740
	;; [unrolled: 1-line block ×3, first 2 shown]
	s_waitcnt vmcnt(58) lgkmcnt(0)
	v_mul_f64 v[167:168], v[5:6], v[149:150]
	v_mul_f64 v[149:150], v[7:8], v[149:150]
	ds_read_b128 v[111:114], v172 offset:1344
	s_waitcnt vmcnt(56)
	v_fma_f64 v[127:128], v[1:2], v[139:140], -v[127:128]
	v_fma_f64 v[139:140], v[3:4], v[139:140], v[193:194]
	v_add_f64 v[117:118], v[117:118], v[143:144]
	v_add_f64 v[115:116], v[115:116], v[121:122]
	s_clause 0x4
	buffer_load_dword v122, off, s[0:3], 0 offset:780
	buffer_load_dword v143, off, s[0:3], 0 offset:792
	;; [unrolled: 1-line block ×5, first 2 shown]
	ds_read_b128 v[1:4], v172 offset:1360
	s_waitcnt vmcnt(57) lgkmcnt(1)
	v_mul_f64 v[193:194], v[111:112], v[133:134]
	v_mul_f64 v[133:134], v[113:114], v[133:134]
	s_waitcnt vmcnt(56)
	v_fma_f64 v[149:150], v[5:6], v[151:152], -v[149:150]
	v_add_f64 v[117:118], v[117:118], v[127:128]
	v_fma_f64 v[127:128], v[7:8], v[151:152], v[167:168]
	v_add_f64 v[115:116], v[115:116], v[139:140]
	s_clause 0x2
	buffer_load_dword v144, off, s[0:3], 0 offset:796
	buffer_load_dword v140, off, s[0:3], 0 offset:772
	;; [unrolled: 1-line block ×3, first 2 shown]
	ds_read_b128 v[5:8], v172 offset:1376
	s_waitcnt vmcnt(58) lgkmcnt(1)
	v_mul_f64 v[151:152], v[1:2], v[157:158]
	v_mul_f64 v[157:158], v[3:4], v[157:158]
	s_waitcnt vmcnt(56)
	v_fma_f64 v[133:134], v[111:112], v[137:138], -v[133:134]
	v_fma_f64 v[137:138], v[113:114], v[137:138], v[193:194]
	v_add_f64 v[117:118], v[117:118], v[149:150]
	v_add_f64 v[115:116], v[115:116], v[127:128]
	s_clause 0x4
	buffer_load_dword v128, off, s[0:3], 0 offset:812
	buffer_load_dword v149, off, s[0:3], 0 offset:824
	;; [unrolled: 1-line block ×5, first 2 shown]
	ds_read_b128 v[111:114], v172 offset:1392
	s_waitcnt vmcnt(57) lgkmcnt(1)
	v_mul_f64 v[193:194], v[5:6], v[141:142]
	v_mul_f64 v[141:142], v[7:8], v[141:142]
	s_waitcnt vmcnt(56)
	v_fma_f64 v[157:158], v[1:2], v[159:160], -v[157:158]
	v_add_f64 v[117:118], v[117:118], v[133:134]
	v_fma_f64 v[133:134], v[3:4], v[159:160], v[151:152]
	v_add_f64 v[115:116], v[115:116], v[137:138]
	s_clause 0x2
	buffer_load_dword v150, off, s[0:3], 0 offset:828
	buffer_load_dword v138, off, s[0:3], 0 offset:804
	;; [unrolled: 1-line block ×3, first 2 shown]
	ds_read_b128 v[1:4], v172 offset:1408
	buffer_load_dword v168, off, s[0:3], 0 offset:820
	s_waitcnt vmcnt(59) lgkmcnt(1)
	v_mul_f64 v[159:160], v[113:114], v[163:164]
	v_mul_f64 v[151:152], v[111:112], v[163:164]
	s_waitcnt vmcnt(57)
	v_fma_f64 v[141:142], v[5:6], v[145:146], -v[141:142]
	v_fma_f64 v[145:146], v[7:8], v[145:146], v[193:194]
	ds_read_b128 v[5:8], v172 offset:1424
	v_add_f64 v[117:118], v[117:118], v[157:158]
	v_add_f64 v[115:116], v[115:116], v[133:134]
	s_waitcnt vmcnt(53) lgkmcnt(1)
	v_mul_f64 v[133:134], v[1:2], v[147:148]
	v_mul_f64 v[147:148], v[3:4], v[147:148]
	s_waitcnt vmcnt(52)
	v_fma_f64 v[157:158], v[111:112], v[165:166], -v[159:160]
	v_add_f64 v[117:118], v[117:118], v[141:142]
	v_fma_f64 v[141:142], v[113:114], v[165:166], v[151:152]
	v_add_f64 v[115:116], v[115:116], v[145:146]
	ds_read_b128 v[111:114], v172 offset:1440
	s_waitcnt vmcnt(51) lgkmcnt(1)
	v_mul_f64 v[151:152], v[7:8], v[169:170]
	v_mul_f64 v[145:146], v[5:6], v[169:170]
	s_waitcnt vmcnt(49)
	v_fma_f64 v[147:148], v[1:2], v[153:154], -v[147:148]
	v_fma_f64 v[133:134], v[3:4], v[153:154], v[133:134]
	v_add_f64 v[117:118], v[117:118], v[157:158]
	v_add_f64 v[115:116], v[115:116], v[141:142]
	s_clause 0x3
	buffer_load_dword v141, off, s[0:3], 0 offset:96
	buffer_load_dword v142, off, s[0:3], 0 offset:100
	;; [unrolled: 1-line block ×4, first 2 shown]
	ds_read_b128 v[1:4], v172 offset:1456
	s_waitcnt vmcnt(49) lgkmcnt(1)
	v_mul_f64 v[157:158], v[111:112], v[155:156]
	v_mul_f64 v[155:156], v[113:114], v[155:156]
	s_waitcnt vmcnt(48)
	v_fma_f64 v[151:152], v[5:6], v[181:182], -v[151:152]
	v_fma_f64 v[145:146], v[7:8], v[181:182], v[145:146]
	ds_read_b128 v[5:8], v172 offset:1472
	v_add_f64 v[117:118], v[117:118], v[147:148]
	v_add_f64 v[115:116], v[115:116], v[133:134]
	s_waitcnt vmcnt(47) lgkmcnt(1)
	v_mul_f64 v[147:148], v[3:4], v[175:176]
	v_mul_f64 v[133:134], v[1:2], v[175:176]
	s_waitcnt vmcnt(45)
	v_fma_f64 v[155:156], v[111:112], v[161:162], -v[155:156]
	v_add_f64 v[117:118], v[117:118], v[151:152]
	v_fma_f64 v[151:152], v[113:114], v[161:162], v[157:158]
	v_add_f64 v[115:116], v[115:116], v[145:146]
	ds_read_b128 v[111:114], v172 offset:1488
	s_waitcnt vmcnt(41) lgkmcnt(1)
	v_mul_f64 v[157:158], v[7:8], v[177:178]
	s_waitcnt vmcnt(40)
	v_fma_f64 v[147:148], v[1:2], v[185:186], -v[147:148]
	v_mul_f64 v[145:146], v[5:6], v[177:178]
	v_fma_f64 v[133:134], v[3:4], v[185:186], v[133:134]
	ds_read_b128 v[1:4], v172 offset:1504
	v_add_f64 v[117:118], v[117:118], v[155:156]
	v_add_f64 v[115:116], v[115:116], v[151:152]
	s_waitcnt vmcnt(39) lgkmcnt(1)
	v_mul_f64 v[155:156], v[113:114], v[183:184]
	v_mul_f64 v[151:152], v[111:112], v[183:184]
	s_waitcnt vmcnt(37)
	v_fma_f64 v[157:158], v[5:6], v[125:126], -v[157:158]
	v_fma_f64 v[125:126], v[7:8], v[125:126], v[145:146]
	ds_read_b128 v[5:8], v172 offset:1520
	v_add_f64 v[117:118], v[117:118], v[147:148]
	v_add_f64 v[115:116], v[115:116], v[133:134]
	s_waitcnt vmcnt(33) lgkmcnt(1)
	v_mul_f64 v[133:134], v[1:2], v[131:132]
	v_mul_f64 v[131:132], v[3:4], v[131:132]
	s_waitcnt vmcnt(32)
	v_fma_f64 v[145:146], v[111:112], v[189:190], -v[155:156]
	;; [unrolled: 9-line block ×6, first 2 shown]
	v_add_f64 v[117:118], v[117:118], v[119:120]
	v_fma_f64 v[119:120], v[3:4], v[187:188], v[123:124]
	v_add_f64 v[115:116], v[115:116], v[129:130]
	ds_read_b128 v[1:4], v172 offset:1600
	s_waitcnt vmcnt(15) lgkmcnt(1)
	v_mul_f64 v[129:130], v[113:114], v[143:144]
	v_mul_f64 v[123:124], v[111:112], v[143:144]
	s_waitcnt vmcnt(13)
	v_fma_f64 v[121:122], v[5:6], v[139:140], -v[121:122]
	v_fma_f64 v[125:126], v[7:8], v[139:140], v[125:126]
	ds_read_b128 v[5:8], v172 offset:1616
	v_add_f64 v[117:118], v[117:118], v[131:132]
	v_add_f64 v[115:116], v[115:116], v[119:120]
	s_waitcnt vmcnt(9) lgkmcnt(1)
	v_mul_f64 v[119:120], v[1:2], v[127:128]
	v_mul_f64 v[127:128], v[3:4], v[127:128]
	s_waitcnt vmcnt(8)
	v_fma_f64 v[111:112], v[111:112], v[179:180], -v[129:130]
	v_fma_f64 v[113:114], v[113:114], v[179:180], v[123:124]
	v_add_f64 v[117:118], v[117:118], v[121:122]
	v_add_f64 v[115:116], v[115:116], v[125:126]
	s_waitcnt vmcnt(7) lgkmcnt(0)
	v_mul_f64 v[123:124], v[7:8], v[149:150]
	v_mul_f64 v[121:122], v[5:6], v[149:150]
	s_waitcnt vmcnt(5)
	v_fma_f64 v[1:2], v[1:2], v[137:138], -v[127:128]
	v_fma_f64 v[3:4], v[3:4], v[137:138], v[119:120]
	v_add_f64 v[111:112], v[117:118], v[111:112]
	v_add_f64 v[113:114], v[115:116], v[113:114]
	s_waitcnt vmcnt(4)
	v_fma_f64 v[5:6], v[5:6], v[167:168], -v[123:124]
	v_fma_f64 v[7:8], v[7:8], v[167:168], v[121:122]
	v_add_f64 v[1:2], v[111:112], v[1:2]
	v_add_f64 v[3:4], v[113:114], v[3:4]
	;; [unrolled: 1-line block ×4, first 2 shown]
	s_waitcnt vmcnt(2)
	v_add_f64 v[1:2], v[141:142], -v[1:2]
	s_waitcnt vmcnt(0)
	v_add_f64 v[3:4], v[153:154], -v[3:4]
	buffer_store_dword v2, off, s[0:3], 0 offset:100
	buffer_store_dword v1, off, s[0:3], 0 offset:96
	;; [unrolled: 1-line block ×4, first 2 shown]
	v_cmpx_lt_u32_e32 4, v0
	s_cbranch_execz .LBB114_311
; %bb.310:
	v_mov_b32_e32 v4, s59
	s_clause 0x3
	buffer_load_dword v1, v4, s[0:3], 0 offen
	buffer_load_dword v2, v4, s[0:3], 0 offen offset:4
	buffer_load_dword v3, v4, s[0:3], 0 offen offset:8
	;; [unrolled: 1-line block ×3, first 2 shown]
	buffer_store_dword v172, off, s[0:3], 0 offset:80
	buffer_store_dword v172, off, s[0:3], 0 offset:84
	;; [unrolled: 1-line block ×4, first 2 shown]
	s_waitcnt vmcnt(0)
	ds_write_b128 v171, v[1:4]
.LBB114_311:
	s_or_b32 exec_lo, exec_lo, s4
	s_waitcnt lgkmcnt(0)
	s_waitcnt_vscnt null, 0x0
	s_barrier
	buffer_gl0_inv
	s_clause 0x37
	buffer_load_dword v119, off, s[0:3], 0 offset:104
	buffer_load_dword v120, off, s[0:3], 0 offset:108
	;; [unrolled: 1-line block ×56, first 2 shown]
	ds_read_b128 v[5:8], v172 offset:896
	s_clause 0x2
	buffer_load_dword v168, off, s[0:3], 0 offset:332
	buffer_load_dword v170, off, s[0:3], 0 offset:308
	;; [unrolled: 1-line block ×3, first 2 shown]
	ds_read_b128 v[1:4], v172 offset:912
	s_clause 0x4
	buffer_load_dword v180, off, s[0:3], 0 offset:348
	buffer_load_dword v181, off, s[0:3], 0 offset:360
	;; [unrolled: 1-line block ×5, first 2 shown]
	ds_read_b128 v[173:176], v172 offset:928
	s_mov_b32 s4, exec_lo
	s_waitcnt vmcnt(62) lgkmcnt(2)
	v_mul_f64 v[177:178], v[7:8], v[119:120]
	v_mul_f64 v[119:120], v[5:6], v[119:120]
	s_waitcnt vmcnt(60) lgkmcnt(1)
	v_mul_f64 v[184:185], v[3:4], v[115:116]
	v_mul_f64 v[115:116], v[1:2], v[115:116]
	;; [unrolled: 3-line block ×3, first 2 shown]
	v_fma_f64 v[177:178], v[5:6], v[117:118], -v[177:178]
	v_fma_f64 v[117:118], v[7:8], v[117:118], v[119:120]
	s_clause 0x2
	buffer_load_dword v182, off, s[0:3], 0 offset:364
	buffer_load_dword v120, off, s[0:3], 0 offset:340
	;; [unrolled: 1-line block ×3, first 2 shown]
	s_waitcnt vmcnt(57)
	v_fma_f64 v[188:189], v[1:2], v[111:112], -v[184:185]
	ds_read_b128 v[5:8], v172 offset:944
	v_fma_f64 v[111:112], v[3:4], v[111:112], v[115:116]
	s_waitcnt vmcnt(51)
	v_fma_f64 v[173:174], v[173:174], v[135:136], -v[113:114]
	v_fma_f64 v[135:136], v[175:176], v[135:136], v[186:187]
	v_add_f64 v[177:178], v[177:178], 0
	v_add_f64 v[115:116], v[117:118], 0
	s_clause 0x4
	buffer_load_dword v118, off, s[0:3], 0 offset:380
	buffer_load_dword v185, off, s[0:3], 0 offset:392
	;; [unrolled: 1-line block ×5, first 2 shown]
	s_waitcnt lgkmcnt(0)
	v_mul_f64 v[191:192], v[5:6], v[123:124]
	v_mul_f64 v[123:124], v[7:8], v[123:124]
	ds_read_b128 v[1:4], v172 offset:960
	s_clause 0x2
	buffer_load_dword v186, off, s[0:3], 0 offset:396
	buffer_load_dword v176, off, s[0:3], 0 offset:372
	;; [unrolled: 1-line block ×3, first 2 shown]
	v_add_f64 v[177:178], v[177:178], v[188:189]
	v_add_f64 v[115:116], v[115:116], v[111:112]
	ds_read_b128 v[111:114], v172 offset:976
	s_waitcnt vmcnt(58) lgkmcnt(1)
	v_mul_f64 v[187:188], v[1:2], v[127:128]
	v_mul_f64 v[127:128], v[3:4], v[127:128]
	s_waitcnt vmcnt(56)
	v_fma_f64 v[123:124], v[5:6], v[129:130], -v[123:124]
	v_fma_f64 v[129:130], v[7:8], v[129:130], v[191:192]
	s_waitcnt vmcnt(52) lgkmcnt(0)
	v_mul_f64 v[193:194], v[111:112], v[131:132]
	v_add_f64 v[173:174], v[177:178], v[173:174]
	v_add_f64 v[115:116], v[115:116], v[135:136]
	s_clause 0x4
	buffer_load_dword v136, off, s[0:3], 0 offset:412
	buffer_load_dword v177, off, s[0:3], 0 offset:424
	;; [unrolled: 1-line block ×5, first 2 shown]
	v_mul_f64 v[131:132], v[113:114], v[131:132]
	s_waitcnt vmcnt(56)
	v_fma_f64 v[127:128], v[1:2], v[121:122], -v[127:128]
	ds_read_b128 v[5:8], v172 offset:992
	v_fma_f64 v[121:122], v[3:4], v[121:122], v[187:188]
	v_add_f64 v[123:124], v[173:174], v[123:124]
	v_add_f64 v[115:116], v[115:116], v[129:130]
	s_clause 0x2
	buffer_load_dword v178, off, s[0:3], 0 offset:428
	buffer_load_dword v130, off, s[0:3], 0 offset:404
	;; [unrolled: 1-line block ×3, first 2 shown]
	s_waitcnt vmcnt(58) lgkmcnt(0)
	v_mul_f64 v[173:174], v[5:6], v[137:138]
	v_mul_f64 v[137:138], v[7:8], v[137:138]
	s_waitcnt vmcnt(56)
	v_fma_f64 v[131:132], v[111:112], v[139:140], -v[131:132]
	ds_read_b128 v[1:4], v172 offset:1008
	v_add_f64 v[123:124], v[123:124], v[127:128]
	v_fma_f64 v[127:128], v[113:114], v[139:140], v[193:194]
	v_add_f64 v[115:116], v[115:116], v[121:122]
	s_clause 0x4
	buffer_load_dword v122, off, s[0:3], 0 offset:444
	buffer_load_dword v139, off, s[0:3], 0 offset:456
	;; [unrolled: 1-line block ×5, first 2 shown]
	s_waitcnt vmcnt(57) lgkmcnt(0)
	v_mul_f64 v[188:189], v[1:2], v[141:142]
	v_mul_f64 v[141:142], v[3:4], v[141:142]
	s_waitcnt vmcnt(56)
	v_fma_f64 v[137:138], v[5:6], v[125:126], -v[137:138]
	ds_read_b128 v[111:114], v172 offset:1024
	v_fma_f64 v[125:126], v[7:8], v[125:126], v[173:174]
	v_add_f64 v[123:124], v[123:124], v[131:132]
	v_add_f64 v[115:116], v[115:116], v[127:128]
	s_clause 0x2
	buffer_load_dword v140, off, s[0:3], 0 offset:460
	buffer_load_dword v128, off, s[0:3], 0 offset:436
	;; [unrolled: 1-line block ×3, first 2 shown]
	ds_read_b128 v[5:8], v172 offset:1040
	s_waitcnt vmcnt(58) lgkmcnt(1)
	v_mul_f64 v[131:132], v[111:112], v[145:146]
	v_mul_f64 v[145:146], v[113:114], v[145:146]
	s_waitcnt vmcnt(56)
	v_fma_f64 v[141:142], v[1:2], v[147:148], -v[141:142]
	v_add_f64 v[123:124], v[123:124], v[137:138]
	v_fma_f64 v[137:138], v[3:4], v[147:148], v[188:189]
	v_add_f64 v[115:116], v[115:116], v[125:126]
	s_clause 0x4
	buffer_load_dword v126, off, s[0:3], 0 offset:476
	buffer_load_dword v147, off, s[0:3], 0 offset:488
	;; [unrolled: 1-line block ×5, first 2 shown]
	s_waitcnt vmcnt(57) lgkmcnt(0)
	v_mul_f64 v[194:195], v[5:6], v[149:150]
	v_mul_f64 v[149:150], v[7:8], v[149:150]
	s_waitcnt vmcnt(56)
	v_fma_f64 v[145:146], v[111:112], v[133:134], -v[145:146]
	ds_read_b128 v[1:4], v172 offset:1056
	v_fma_f64 v[131:132], v[113:114], v[133:134], v[131:132]
	s_clause 0x2
	buffer_load_dword v148, off, s[0:3], 0 offset:492
	buffer_load_dword v134, off, s[0:3], 0 offset:468
	;; [unrolled: 1-line block ×3, first 2 shown]
	ds_read_b128 v[111:114], v172 offset:1072
	v_add_f64 v[123:124], v[123:124], v[141:142]
	v_add_f64 v[115:116], v[115:116], v[137:138]
	s_waitcnt vmcnt(58) lgkmcnt(1)
	v_mul_f64 v[141:142], v[3:4], v[153:154]
	s_waitcnt vmcnt(56)
	v_fma_f64 v[149:150], v[5:6], v[155:156], -v[149:150]
	v_mul_f64 v[137:138], v[1:2], v[153:154]
	v_add_f64 v[123:124], v[123:124], v[145:146]
	v_fma_f64 v[145:146], v[7:8], v[155:156], v[194:195]
	v_add_f64 v[115:116], v[115:116], v[131:132]
	s_clause 0x4
	buffer_load_dword v132, off, s[0:3], 0 offset:508
	buffer_load_dword v153, off, s[0:3], 0 offset:520
	;; [unrolled: 1-line block ×5, first 2 shown]
	s_waitcnt vmcnt(57) lgkmcnt(0)
	v_mul_f64 v[194:195], v[111:112], v[157:158]
	v_mul_f64 v[156:157], v[113:114], v[157:158]
	s_waitcnt vmcnt(56)
	v_fma_f64 v[141:142], v[1:2], v[143:144], -v[141:142]
	ds_read_b128 v[5:8], v172 offset:1088
	v_fma_f64 v[137:138], v[3:4], v[143:144], v[137:138]
	s_clause 0x2
	buffer_load_dword v154, off, s[0:3], 0 offset:524
	buffer_load_dword v144, off, s[0:3], 0 offset:500
	buffer_load_dword v143, off, s[0:3], 0 offset:496
	ds_read_b128 v[1:4], v172 offset:1104
	v_add_f64 v[123:124], v[123:124], v[149:150]
	v_add_f64 v[115:116], v[115:116], v[145:146]
	s_waitcnt vmcnt(58) lgkmcnt(1)
	v_mul_f64 v[149:150], v[7:8], v[161:162]
	s_waitcnt vmcnt(56)
	v_fma_f64 v[157:158], v[111:112], v[163:164], -v[156:157]
	v_mul_f64 v[145:146], v[5:6], v[161:162]
	v_add_f64 v[123:124], v[123:124], v[141:142]
	v_fma_f64 v[141:142], v[113:114], v[163:164], v[194:195]
	v_add_f64 v[115:116], v[115:116], v[137:138]
	s_clause 0x4
	buffer_load_dword v138, off, s[0:3], 0 offset:540
	buffer_load_dword v161, off, s[0:3], 0 offset:552
	buffer_load_dword v163, off, s[0:3], 0 offset:544
	buffer_load_dword v137, off, s[0:3], 0 offset:536
	buffer_load_dword v156, off, s[0:3], 0 offset:516
	s_waitcnt vmcnt(57) lgkmcnt(0)
	v_mul_f64 v[194:195], v[1:2], v[165:166]
	v_mul_f64 v[164:165], v[3:4], v[165:166]
	s_waitcnt vmcnt(56)
	v_fma_f64 v[149:150], v[5:6], v[151:152], -v[149:150]
	ds_read_b128 v[111:114], v172 offset:1120
	v_fma_f64 v[145:146], v[7:8], v[151:152], v[145:146]
	v_add_f64 v[123:124], v[123:124], v[157:158]
	v_add_f64 v[115:116], v[115:116], v[141:142]
	s_clause 0x2
	buffer_load_dword v162, off, s[0:3], 0 offset:556
	buffer_load_dword v142, off, s[0:3], 0 offset:532
	;; [unrolled: 1-line block ×3, first 2 shown]
	ds_read_b128 v[5:8], v172 offset:1136
	s_waitcnt vmcnt(58) lgkmcnt(1)
	v_mul_f64 v[157:158], v[113:114], v[167:168]
	s_waitcnt vmcnt(56)
	v_fma_f64 v[165:166], v[1:2], v[169:170], -v[164:165]
	v_mul_f64 v[151:152], v[111:112], v[167:168]
	v_add_f64 v[123:124], v[123:124], v[149:150]
	v_fma_f64 v[149:150], v[3:4], v[169:170], v[194:195]
	v_add_f64 v[115:116], v[115:116], v[145:146]
	s_clause 0x4
	buffer_load_dword v146, off, s[0:3], 0 offset:572
	buffer_load_dword v167, off, s[0:3], 0 offset:584
	;; [unrolled: 1-line block ×5, first 2 shown]
	s_waitcnt vmcnt(57) lgkmcnt(0)
	v_mul_f64 v[194:195], v[5:6], v[179:180]
	v_mul_f64 v[179:180], v[7:8], v[179:180]
	s_waitcnt vmcnt(56)
	v_fma_f64 v[157:158], v[111:112], v[159:160], -v[157:158]
	ds_read_b128 v[1:4], v172 offset:1152
	v_fma_f64 v[151:152], v[113:114], v[159:160], v[151:152]
	v_add_f64 v[123:124], v[123:124], v[165:166]
	v_add_f64 v[115:116], v[115:116], v[149:150]
	s_clause 0x2
	buffer_load_dword v168, off, s[0:3], 0 offset:588
	buffer_load_dword v150, off, s[0:3], 0 offset:564
	;; [unrolled: 1-line block ×3, first 2 shown]
	ds_read_b128 v[111:114], v172 offset:1168
	s_waitcnt vmcnt(58) lgkmcnt(1)
	v_mul_f64 v[165:166], v[3:4], v[181:182]
	v_mul_f64 v[159:160], v[1:2], v[181:182]
	s_waitcnt vmcnt(56)
	v_fma_f64 v[179:180], v[5:6], v[119:120], -v[179:180]
	v_fma_f64 v[119:120], v[7:8], v[119:120], v[194:195]
	v_add_f64 v[123:124], v[123:124], v[157:158]
	v_add_f64 v[115:116], v[115:116], v[151:152]
	s_clause 0x4
	buffer_load_dword v152, off, s[0:3], 0 offset:604
	buffer_load_dword v157, off, s[0:3], 0 offset:616
	;; [unrolled: 1-line block ×5, first 2 shown]
	ds_read_b128 v[5:8], v172 offset:1184
	s_waitcnt vmcnt(57) lgkmcnt(1)
	v_mul_f64 v[194:195], v[111:112], v[117:118]
	v_mul_f64 v[117:118], v[113:114], v[117:118]
	s_waitcnt vmcnt(56)
	v_fma_f64 v[165:166], v[1:2], v[183:184], -v[165:166]
	v_fma_f64 v[159:160], v[3:4], v[183:184], v[159:160]
	v_add_f64 v[123:124], v[123:124], v[179:180]
	v_add_f64 v[115:116], v[115:116], v[119:120]
	s_clause 0x2
	buffer_load_dword v158, off, s[0:3], 0 offset:620
	buffer_load_dword v120, off, s[0:3], 0 offset:596
	;; [unrolled: 1-line block ×3, first 2 shown]
	s_waitcnt vmcnt(58) lgkmcnt(0)
	v_mul_f64 v[183:184], v[7:8], v[185:186]
	ds_read_b128 v[1:4], v172 offset:1200
	v_mul_f64 v[179:180], v[5:6], v[185:186]
	s_waitcnt vmcnt(56)
	v_fma_f64 v[117:118], v[111:112], v[175:176], -v[117:118]
	v_add_f64 v[123:124], v[123:124], v[165:166]
	v_fma_f64 v[165:166], v[113:114], v[175:176], v[194:195]
	v_add_f64 v[115:116], v[115:116], v[159:160]
	s_clause 0x4
	buffer_load_dword v160, off, s[0:3], 0 offset:636
	buffer_load_dword v175, off, s[0:3], 0 offset:648
	;; [unrolled: 1-line block ×5, first 2 shown]
	ds_read_b128 v[111:114], v172 offset:1216
	s_waitcnt vmcnt(57) lgkmcnt(1)
	v_mul_f64 v[194:195], v[1:2], v[135:136]
	v_mul_f64 v[135:136], v[3:4], v[135:136]
	s_waitcnt vmcnt(56)
	v_fma_f64 v[183:184], v[5:6], v[190:191], -v[183:184]
	v_add_f64 v[117:118], v[123:124], v[117:118]
	v_fma_f64 v[123:124], v[7:8], v[190:191], v[179:180]
	v_add_f64 v[115:116], v[115:116], v[165:166]
	s_clause 0x2
	buffer_load_dword v176, off, s[0:3], 0 offset:652
	buffer_load_dword v166, off, s[0:3], 0 offset:628
	;; [unrolled: 1-line block ×3, first 2 shown]
	ds_read_b128 v[5:8], v172 offset:1232
	s_waitcnt vmcnt(58) lgkmcnt(1)
	v_mul_f64 v[179:180], v[111:112], v[177:178]
	v_mul_f64 v[177:178], v[113:114], v[177:178]
	s_waitcnt vmcnt(56)
	v_fma_f64 v[135:136], v[1:2], v[129:130], -v[135:136]
	v_fma_f64 v[129:130], v[3:4], v[129:130], v[194:195]
	v_add_f64 v[117:118], v[117:118], v[183:184]
	v_add_f64 v[115:116], v[115:116], v[123:124]
	s_clause 0x4
	buffer_load_dword v124, off, s[0:3], 0 offset:668
	buffer_load_dword v183, off, s[0:3], 0 offset:680
	;; [unrolled: 1-line block ×5, first 2 shown]
	ds_read_b128 v[1:4], v172 offset:1248
	s_waitcnt vmcnt(57) lgkmcnt(1)
	v_mul_f64 v[190:191], v[5:6], v[121:122]
	v_mul_f64 v[121:122], v[7:8], v[121:122]
	s_waitcnt vmcnt(56)
	v_fma_f64 v[177:178], v[111:112], v[192:193], -v[177:178]
	v_add_f64 v[117:118], v[117:118], v[135:136]
	v_fma_f64 v[135:136], v[113:114], v[192:193], v[179:180]
	v_add_f64 v[115:116], v[115:116], v[129:130]
	s_clause 0x2
	buffer_load_dword v184, off, s[0:3], 0 offset:684
	buffer_load_dword v130, off, s[0:3], 0 offset:660
	;; [unrolled: 1-line block ×3, first 2 shown]
	ds_read_b128 v[111:114], v172 offset:1264
	s_waitcnt vmcnt(58) lgkmcnt(1)
	v_mul_f64 v[179:180], v[1:2], v[139:140]
	v_mul_f64 v[139:140], v[3:4], v[139:140]
	s_waitcnt vmcnt(56)
	v_fma_f64 v[121:122], v[5:6], v[127:128], -v[121:122]
	v_fma_f64 v[127:128], v[7:8], v[127:128], v[190:191]
	v_add_f64 v[117:118], v[117:118], v[177:178]
	v_add_f64 v[115:116], v[115:116], v[135:136]
	s_clause 0x4
	buffer_load_dword v136, off, s[0:3], 0 offset:700
	buffer_load_dword v177, off, s[0:3], 0 offset:712
	buffer_load_dword v191, off, s[0:3], 0 offset:704
	buffer_load_dword v135, off, s[0:3], 0 offset:696
	buffer_load_dword v190, off, s[0:3], 0 offset:676
	ds_read_b128 v[5:8], v172 offset:1280
	s_waitcnt vmcnt(57) lgkmcnt(1)
	v_mul_f64 v[192:193], v[111:112], v[125:126]
	v_mul_f64 v[125:126], v[113:114], v[125:126]
	s_waitcnt vmcnt(56)
	v_fma_f64 v[139:140], v[1:2], v[187:188], -v[139:140]
	v_add_f64 v[117:118], v[117:118], v[121:122]
	v_fma_f64 v[121:122], v[3:4], v[187:188], v[179:180]
	v_add_f64 v[115:116], v[115:116], v[127:128]
	s_clause 0x2
	buffer_load_dword v178, off, s[0:3], 0 offset:716
	buffer_load_dword v128, off, s[0:3], 0 offset:692
	;; [unrolled: 1-line block ×3, first 2 shown]
	s_waitcnt vmcnt(58) lgkmcnt(0)
	v_mul_f64 v[179:180], v[5:6], v[147:148]
	v_mul_f64 v[147:148], v[7:8], v[147:148]
	ds_read_b128 v[1:4], v172 offset:1296
	s_waitcnt vmcnt(56)
	v_fma_f64 v[125:126], v[111:112], v[133:134], -v[125:126]
	v_fma_f64 v[133:134], v[113:114], v[133:134], v[192:193]
	v_add_f64 v[117:118], v[117:118], v[139:140]
	v_add_f64 v[115:116], v[115:116], v[121:122]
	s_clause 0x4
	buffer_load_dword v122, off, s[0:3], 0 offset:732
	buffer_load_dword v139, off, s[0:3], 0 offset:744
	;; [unrolled: 1-line block ×5, first 2 shown]
	ds_read_b128 v[111:114], v172 offset:1312
	s_waitcnt vmcnt(57) lgkmcnt(1)
	v_mul_f64 v[193:194], v[1:2], v[131:132]
	v_mul_f64 v[131:132], v[3:4], v[131:132]
	s_waitcnt vmcnt(56)
	v_fma_f64 v[147:148], v[5:6], v[173:174], -v[147:148]
	v_add_f64 v[117:118], v[117:118], v[125:126]
	v_fma_f64 v[125:126], v[7:8], v[173:174], v[179:180]
	v_add_f64 v[115:116], v[115:116], v[133:134]
	s_clause 0x2
	buffer_load_dword v140, off, s[0:3], 0 offset:748
	buffer_load_dword v134, off, s[0:3], 0 offset:724
	;; [unrolled: 1-line block ×3, first 2 shown]
	s_waitcnt vmcnt(58) lgkmcnt(0)
	v_mul_f64 v[173:174], v[111:112], v[153:154]
	v_mul_f64 v[153:154], v[113:114], v[153:154]
	ds_read_b128 v[5:8], v172 offset:1328
	s_waitcnt vmcnt(56)
	v_fma_f64 v[131:132], v[1:2], v[143:144], -v[131:132]
	v_fma_f64 v[143:144], v[3:4], v[143:144], v[193:194]
	v_add_f64 v[117:118], v[117:118], v[147:148]
	v_add_f64 v[115:116], v[115:116], v[125:126]
	s_clause 0x4
	buffer_load_dword v126, off, s[0:3], 0 offset:764
	buffer_load_dword v147, off, s[0:3], 0 offset:776
	;; [unrolled: 1-line block ×5, first 2 shown]
	ds_read_b128 v[1:4], v172 offset:1344
	s_waitcnt vmcnt(57) lgkmcnt(1)
	v_mul_f64 v[193:194], v[5:6], v[137:138]
	v_mul_f64 v[137:138], v[7:8], v[137:138]
	s_waitcnt vmcnt(56)
	v_fma_f64 v[153:154], v[111:112], v[155:156], -v[153:154]
	v_add_f64 v[117:118], v[117:118], v[131:132]
	v_fma_f64 v[131:132], v[113:114], v[155:156], v[173:174]
	v_add_f64 v[115:116], v[115:116], v[143:144]
	s_clause 0x2
	buffer_load_dword v148, off, s[0:3], 0 offset:780
	buffer_load_dword v144, off, s[0:3], 0 offset:756
	;; [unrolled: 1-line block ×3, first 2 shown]
	ds_read_b128 v[111:114], v172 offset:1360
	s_waitcnt vmcnt(58) lgkmcnt(1)
	v_mul_f64 v[155:156], v[1:2], v[161:162]
	v_mul_f64 v[161:162], v[3:4], v[161:162]
	s_waitcnt vmcnt(56)
	v_fma_f64 v[137:138], v[5:6], v[141:142], -v[137:138]
	v_fma_f64 v[141:142], v[7:8], v[141:142], v[193:194]
	v_add_f64 v[117:118], v[117:118], v[153:154]
	v_add_f64 v[115:116], v[115:116], v[131:132]
	s_clause 0x4
	buffer_load_dword v132, off, s[0:3], 0 offset:796
	buffer_load_dword v153, off, s[0:3], 0 offset:808
	;; [unrolled: 1-line block ×5, first 2 shown]
	ds_read_b128 v[5:8], v172 offset:1376
	s_waitcnt vmcnt(57) lgkmcnt(1)
	v_mul_f64 v[193:194], v[111:112], v[145:146]
	v_mul_f64 v[145:146], v[113:114], v[145:146]
	s_waitcnt vmcnt(56)
	v_fma_f64 v[161:162], v[1:2], v[163:164], -v[161:162]
	v_add_f64 v[117:118], v[117:118], v[137:138]
	v_fma_f64 v[137:138], v[3:4], v[163:164], v[155:156]
	v_add_f64 v[115:116], v[115:116], v[141:142]
	s_clause 0x2
	buffer_load_dword v154, off, s[0:3], 0 offset:812
	buffer_load_dword v142, off, s[0:3], 0 offset:788
	;; [unrolled: 1-line block ×3, first 2 shown]
	ds_read_b128 v[1:4], v172 offset:1392
	s_waitcnt vmcnt(58) lgkmcnt(1)
	v_mul_f64 v[163:164], v[7:8], v[167:168]
	v_mul_f64 v[155:156], v[5:6], v[167:168]
	s_waitcnt vmcnt(56)
	v_fma_f64 v[145:146], v[111:112], v[149:150], -v[145:146]
	v_fma_f64 v[149:150], v[113:114], v[149:150], v[193:194]
	v_add_f64 v[117:118], v[117:118], v[161:162]
	v_add_f64 v[115:116], v[115:116], v[137:138]
	s_clause 0x2
	buffer_load_dword v138, off, s[0:3], 0 offset:828
	buffer_load_dword v137, off, s[0:3], 0 offset:824
	;; [unrolled: 1-line block ×3, first 2 shown]
	ds_read_b128 v[111:114], v172 offset:1408
	s_waitcnt vmcnt(55) lgkmcnt(1)
	v_mul_f64 v[161:162], v[1:2], v[151:152]
	v_mul_f64 v[151:152], v[3:4], v[151:152]
	s_waitcnt vmcnt(54)
	v_fma_f64 v[163:164], v[5:6], v[169:170], -v[163:164]
	v_add_f64 v[117:118], v[117:118], v[145:146]
	v_fma_f64 v[145:146], v[7:8], v[169:170], v[155:156]
	v_add_f64 v[115:116], v[115:116], v[149:150]
	s_clause 0x1
	buffer_load_dword v150, off, s[0:3], 0 offset:820
	buffer_load_dword v149, off, s[0:3], 0 offset:816
	ds_read_b128 v[5:8], v172 offset:1424
	s_waitcnt vmcnt(55) lgkmcnt(1)
	v_mul_f64 v[155:156], v[111:112], v[157:158]
	v_mul_f64 v[157:158], v[113:114], v[157:158]
	s_waitcnt vmcnt(53)
	v_fma_f64 v[151:152], v[1:2], v[119:120], -v[151:152]
	v_fma_f64 v[119:120], v[3:4], v[119:120], v[161:162]
	ds_read_b128 v[1:4], v172 offset:1440
	v_add_f64 v[117:118], v[117:118], v[163:164]
	v_add_f64 v[115:116], v[115:116], v[145:146]
	s_waitcnt vmcnt(49) lgkmcnt(1)
	v_mul_f64 v[145:146], v[5:6], v[159:160]
	v_mul_f64 v[159:160], v[7:8], v[159:160]
	s_waitcnt vmcnt(48)
	v_fma_f64 v[157:158], v[111:112], v[181:182], -v[157:158]
	v_add_f64 v[117:118], v[117:118], v[151:152]
	v_fma_f64 v[151:152], v[113:114], v[181:182], v[155:156]
	v_add_f64 v[115:116], v[115:116], v[119:120]
	s_clause 0x3
	buffer_load_dword v119, off, s[0:3], 0 offset:80
	buffer_load_dword v120, off, s[0:3], 0 offset:84
	;; [unrolled: 1-line block ×4, first 2 shown]
	ds_read_b128 v[111:114], v172 offset:1456
	s_waitcnt vmcnt(51) lgkmcnt(1)
	v_mul_f64 v[163:164], v[3:4], v[175:176]
	v_mul_f64 v[161:162], v[1:2], v[175:176]
	s_waitcnt vmcnt(49)
	v_fma_f64 v[159:160], v[5:6], v[165:166], -v[159:160]
	v_fma_f64 v[145:146], v[7:8], v[165:166], v[145:146]
	ds_read_b128 v[5:8], v172 offset:1472
	v_add_f64 v[117:118], v[117:118], v[157:158]
	v_add_f64 v[115:116], v[115:116], v[151:152]
	s_waitcnt vmcnt(45) lgkmcnt(1)
	v_mul_f64 v[151:152], v[111:112], v[123:124]
	v_mul_f64 v[123:124], v[113:114], v[123:124]
	s_waitcnt vmcnt(44)
	v_fma_f64 v[157:158], v[1:2], v[185:186], -v[163:164]
	v_add_f64 v[117:118], v[117:118], v[159:160]
	v_fma_f64 v[159:160], v[3:4], v[185:186], v[161:162]
	v_add_f64 v[115:116], v[115:116], v[145:146]
	ds_read_b128 v[1:4], v172 offset:1488
	s_waitcnt vmcnt(43) lgkmcnt(1)
	v_mul_f64 v[161:162], v[7:8], v[183:184]
	v_mul_f64 v[145:146], v[5:6], v[183:184]
	s_waitcnt vmcnt(41)
	v_fma_f64 v[123:124], v[111:112], v[129:130], -v[123:124]
	v_fma_f64 v[129:130], v[113:114], v[129:130], v[151:152]
	ds_read_b128 v[111:114], v172 offset:1504
	v_add_f64 v[117:118], v[117:118], v[157:158]
	v_add_f64 v[115:116], v[115:116], v[159:160]
	s_waitcnt vmcnt(37) lgkmcnt(1)
	v_mul_f64 v[151:152], v[1:2], v[135:136]
	v_mul_f64 v[135:136], v[3:4], v[135:136]
	s_waitcnt vmcnt(36)
	v_fma_f64 v[157:158], v[5:6], v[189:190], -v[161:162]
	v_add_f64 v[117:118], v[117:118], v[123:124]
	v_fma_f64 v[123:124], v[7:8], v[189:190], v[145:146]
	v_add_f64 v[115:116], v[115:116], v[129:130]
	ds_read_b128 v[5:8], v172 offset:1520
	s_waitcnt vmcnt(35) lgkmcnt(1)
	v_mul_f64 v[145:146], v[113:114], v[177:178]
	v_mul_f64 v[129:130], v[111:112], v[177:178]
	s_waitcnt vmcnt(33)
	v_fma_f64 v[135:136], v[1:2], v[127:128], -v[135:136]
	v_fma_f64 v[127:128], v[3:4], v[127:128], v[151:152]
	ds_read_b128 v[1:4], v172 offset:1536
	v_add_f64 v[117:118], v[117:118], v[157:158]
	v_add_f64 v[115:116], v[115:116], v[123:124]
	s_waitcnt vmcnt(29) lgkmcnt(1)
	v_mul_f64 v[123:124], v[5:6], v[121:122]
	v_mul_f64 v[121:122], v[7:8], v[121:122]
	s_waitcnt vmcnt(28)
	v_fma_f64 v[145:146], v[111:112], v[191:192], -v[145:146]
	v_fma_f64 v[129:130], v[113:114], v[191:192], v[129:130]
	ds_read_b128 v[111:114], v172 offset:1552
	v_add_f64 v[117:118], v[117:118], v[135:136]
	v_add_f64 v[115:116], v[115:116], v[127:128]
	s_waitcnt vmcnt(27) lgkmcnt(1)
	v_mul_f64 v[135:136], v[3:4], v[139:140]
	v_mul_f64 v[127:128], v[1:2], v[139:140]
	s_waitcnt vmcnt(25)
	v_fma_f64 v[121:122], v[5:6], v[133:134], -v[121:122]
	v_fma_f64 v[123:124], v[7:8], v[133:134], v[123:124]
	ds_read_b128 v[5:8], v172 offset:1568
	v_add_f64 v[117:118], v[117:118], v[145:146]
	v_add_f64 v[115:116], v[115:116], v[129:130]
	s_waitcnt vmcnt(21) lgkmcnt(1)
	v_mul_f64 v[129:130], v[111:112], v[125:126]
	v_mul_f64 v[125:126], v[113:114], v[125:126]
	s_waitcnt vmcnt(20)
	v_fma_f64 v[133:134], v[1:2], v[187:188], -v[135:136]
	v_add_f64 v[117:118], v[117:118], v[121:122]
	v_fma_f64 v[121:122], v[3:4], v[187:188], v[127:128]
	v_add_f64 v[115:116], v[115:116], v[123:124]
	ds_read_b128 v[1:4], v172 offset:1584
	s_waitcnt vmcnt(19) lgkmcnt(1)
	v_mul_f64 v[127:128], v[7:8], v[147:148]
	v_mul_f64 v[123:124], v[5:6], v[147:148]
	s_waitcnt vmcnt(17)
	v_fma_f64 v[125:126], v[111:112], v[143:144], -v[125:126]
	v_fma_f64 v[129:130], v[113:114], v[143:144], v[129:130]
	ds_read_b128 v[111:114], v172 offset:1600
	v_add_f64 v[117:118], v[117:118], v[133:134]
	v_add_f64 v[115:116], v[115:116], v[121:122]
	s_waitcnt vmcnt(13) lgkmcnt(1)
	v_mul_f64 v[121:122], v[1:2], v[131:132]
	v_mul_f64 v[131:132], v[3:4], v[131:132]
	s_waitcnt vmcnt(12)
	v_fma_f64 v[127:128], v[5:6], v[179:180], -v[127:128]
	v_fma_f64 v[123:124], v[7:8], v[179:180], v[123:124]
	ds_read_b128 v[5:8], v172 offset:1616
	v_add_f64 v[117:118], v[117:118], v[125:126]
	v_add_f64 v[115:116], v[115:116], v[129:130]
	s_waitcnt vmcnt(11) lgkmcnt(1)
	v_mul_f64 v[129:130], v[113:114], v[153:154]
	v_mul_f64 v[125:126], v[111:112], v[153:154]
	s_waitcnt vmcnt(9)
	v_fma_f64 v[1:2], v[1:2], v[141:142], -v[131:132]
	v_fma_f64 v[3:4], v[3:4], v[141:142], v[121:122]
	v_add_f64 v[117:118], v[117:118], v[127:128]
	v_add_f64 v[115:116], v[115:116], v[123:124]
	s_waitcnt vmcnt(7) lgkmcnt(0)
	v_mul_f64 v[123:124], v[7:8], v[137:138]
	s_waitcnt vmcnt(6)
	v_fma_f64 v[111:112], v[111:112], v[173:174], -v[129:130]
	v_mul_f64 v[121:122], v[5:6], v[137:138]
	v_fma_f64 v[113:114], v[113:114], v[173:174], v[125:126]
	v_add_f64 v[1:2], v[117:118], v[1:2]
	v_add_f64 v[3:4], v[115:116], v[3:4]
	s_waitcnt vmcnt(4)
	v_fma_f64 v[5:6], v[5:6], v[149:150], -v[123:124]
	v_fma_f64 v[7:8], v[7:8], v[149:150], v[121:122]
	v_add_f64 v[1:2], v[1:2], v[111:112]
	v_add_f64 v[3:4], v[3:4], v[113:114]
	;; [unrolled: 1-line block ×4, first 2 shown]
	s_waitcnt vmcnt(2)
	v_add_f64 v[1:2], v[119:120], -v[1:2]
	s_waitcnt vmcnt(0)
	v_add_f64 v[3:4], v[155:156], -v[3:4]
	buffer_store_dword v2, off, s[0:3], 0 offset:84
	buffer_store_dword v1, off, s[0:3], 0 offset:80
	;; [unrolled: 1-line block ×4, first 2 shown]
	v_cmpx_lt_u32_e32 3, v0
	s_cbranch_execz .LBB114_313
; %bb.312:
	v_mov_b32_e32 v4, s60
	v_mov_b32_e32 v5, 0
	s_clause 0x3
	buffer_load_dword v1, v4, s[0:3], 0 offen
	buffer_load_dword v2, v4, s[0:3], 0 offen offset:4
	buffer_load_dword v3, v4, s[0:3], 0 offen offset:8
	;; [unrolled: 1-line block ×3, first 2 shown]
	buffer_store_dword v5, off, s[0:3], 0 offset:64
	buffer_store_dword v5, off, s[0:3], 0 offset:68
	;; [unrolled: 1-line block ×4, first 2 shown]
	s_waitcnt vmcnt(0)
	ds_write_b128 v171, v[1:4]
.LBB114_313:
	s_or_b32 exec_lo, exec_lo, s4
	s_waitcnt lgkmcnt(0)
	s_waitcnt_vscnt null, 0x0
	s_barrier
	buffer_gl0_inv
	s_clause 0x37
	buffer_load_dword v119, off, s[0:3], 0 offset:88
	buffer_load_dword v120, off, s[0:3], 0 offset:92
	;; [unrolled: 1-line block ×56, first 2 shown]
	v_mov_b32_e32 v172, 0
	s_mov_b32 s4, exec_lo
	ds_read_b128 v[5:8], v172 offset:880
	s_clause 0x2
	buffer_load_dword v168, off, s[0:3], 0 offset:316
	buffer_load_dword v170, off, s[0:3], 0 offset:292
	;; [unrolled: 1-line block ×3, first 2 shown]
	ds_read_b128 v[1:4], v172 offset:896
	s_clause 0x4
	buffer_load_dword v180, off, s[0:3], 0 offset:332
	buffer_load_dword v181, off, s[0:3], 0 offset:344
	buffer_load_dword v183, off, s[0:3], 0 offset:336
	buffer_load_dword v179, off, s[0:3], 0 offset:328
	buffer_load_dword v160, off, s[0:3], 0 offset:308
	ds_read_b128 v[173:176], v172 offset:912
	s_waitcnt vmcnt(62) lgkmcnt(2)
	v_mul_f64 v[177:178], v[7:8], v[119:120]
	v_mul_f64 v[119:120], v[5:6], v[119:120]
	s_waitcnt vmcnt(60) lgkmcnt(1)
	v_mul_f64 v[184:185], v[3:4], v[115:116]
	v_mul_f64 v[115:116], v[1:2], v[115:116]
	;; [unrolled: 3-line block ×3, first 2 shown]
	v_fma_f64 v[177:178], v[5:6], v[117:118], -v[177:178]
	v_fma_f64 v[117:118], v[7:8], v[117:118], v[119:120]
	s_clause 0x2
	buffer_load_dword v182, off, s[0:3], 0 offset:348
	buffer_load_dword v120, off, s[0:3], 0 offset:324
	;; [unrolled: 1-line block ×3, first 2 shown]
	s_waitcnt vmcnt(57)
	v_fma_f64 v[188:189], v[1:2], v[111:112], -v[184:185]
	ds_read_b128 v[5:8], v172 offset:928
	v_fma_f64 v[111:112], v[3:4], v[111:112], v[115:116]
	s_waitcnt vmcnt(51)
	v_fma_f64 v[173:174], v[173:174], v[135:136], -v[113:114]
	v_fma_f64 v[135:136], v[175:176], v[135:136], v[186:187]
	v_add_f64 v[177:178], v[177:178], 0
	v_add_f64 v[115:116], v[117:118], 0
	s_clause 0x4
	buffer_load_dword v118, off, s[0:3], 0 offset:364
	buffer_load_dword v185, off, s[0:3], 0 offset:376
	;; [unrolled: 1-line block ×5, first 2 shown]
	s_waitcnt lgkmcnt(0)
	v_mul_f64 v[191:192], v[5:6], v[123:124]
	v_mul_f64 v[123:124], v[7:8], v[123:124]
	ds_read_b128 v[1:4], v172 offset:944
	s_clause 0x2
	buffer_load_dword v186, off, s[0:3], 0 offset:380
	buffer_load_dword v176, off, s[0:3], 0 offset:356
	;; [unrolled: 1-line block ×3, first 2 shown]
	v_add_f64 v[177:178], v[177:178], v[188:189]
	v_add_f64 v[115:116], v[115:116], v[111:112]
	ds_read_b128 v[111:114], v172 offset:960
	s_waitcnt vmcnt(58) lgkmcnt(1)
	v_mul_f64 v[187:188], v[1:2], v[127:128]
	v_mul_f64 v[127:128], v[3:4], v[127:128]
	s_waitcnt vmcnt(56)
	v_fma_f64 v[123:124], v[5:6], v[129:130], -v[123:124]
	v_fma_f64 v[129:130], v[7:8], v[129:130], v[191:192]
	s_waitcnt vmcnt(52) lgkmcnt(0)
	v_mul_f64 v[193:194], v[111:112], v[131:132]
	v_add_f64 v[173:174], v[177:178], v[173:174]
	v_add_f64 v[115:116], v[115:116], v[135:136]
	s_clause 0x4
	buffer_load_dword v136, off, s[0:3], 0 offset:396
	buffer_load_dword v177, off, s[0:3], 0 offset:408
	;; [unrolled: 1-line block ×5, first 2 shown]
	v_mul_f64 v[131:132], v[113:114], v[131:132]
	s_waitcnt vmcnt(56)
	v_fma_f64 v[127:128], v[1:2], v[121:122], -v[127:128]
	ds_read_b128 v[5:8], v172 offset:976
	v_fma_f64 v[121:122], v[3:4], v[121:122], v[187:188]
	v_add_f64 v[123:124], v[173:174], v[123:124]
	v_add_f64 v[115:116], v[115:116], v[129:130]
	s_clause 0x2
	buffer_load_dword v178, off, s[0:3], 0 offset:412
	buffer_load_dword v130, off, s[0:3], 0 offset:388
	;; [unrolled: 1-line block ×3, first 2 shown]
	s_waitcnt vmcnt(58) lgkmcnt(0)
	v_mul_f64 v[173:174], v[5:6], v[137:138]
	v_mul_f64 v[137:138], v[7:8], v[137:138]
	s_waitcnt vmcnt(56)
	v_fma_f64 v[131:132], v[111:112], v[139:140], -v[131:132]
	ds_read_b128 v[1:4], v172 offset:992
	v_add_f64 v[123:124], v[123:124], v[127:128]
	v_fma_f64 v[127:128], v[113:114], v[139:140], v[193:194]
	v_add_f64 v[115:116], v[115:116], v[121:122]
	s_clause 0x4
	buffer_load_dword v122, off, s[0:3], 0 offset:428
	buffer_load_dword v139, off, s[0:3], 0 offset:440
	;; [unrolled: 1-line block ×5, first 2 shown]
	s_waitcnt vmcnt(57) lgkmcnt(0)
	v_mul_f64 v[188:189], v[1:2], v[141:142]
	v_mul_f64 v[141:142], v[3:4], v[141:142]
	s_waitcnt vmcnt(56)
	v_fma_f64 v[137:138], v[5:6], v[125:126], -v[137:138]
	ds_read_b128 v[111:114], v172 offset:1008
	v_fma_f64 v[125:126], v[7:8], v[125:126], v[173:174]
	v_add_f64 v[123:124], v[123:124], v[131:132]
	v_add_f64 v[115:116], v[115:116], v[127:128]
	s_clause 0x2
	buffer_load_dword v140, off, s[0:3], 0 offset:444
	buffer_load_dword v128, off, s[0:3], 0 offset:420
	;; [unrolled: 1-line block ×3, first 2 shown]
	ds_read_b128 v[5:8], v172 offset:1024
	s_waitcnt vmcnt(58) lgkmcnt(1)
	v_mul_f64 v[131:132], v[111:112], v[145:146]
	v_mul_f64 v[145:146], v[113:114], v[145:146]
	s_waitcnt vmcnt(56)
	v_fma_f64 v[141:142], v[1:2], v[147:148], -v[141:142]
	v_add_f64 v[123:124], v[123:124], v[137:138]
	v_fma_f64 v[137:138], v[3:4], v[147:148], v[188:189]
	v_add_f64 v[115:116], v[115:116], v[125:126]
	s_clause 0x4
	buffer_load_dword v126, off, s[0:3], 0 offset:460
	buffer_load_dword v147, off, s[0:3], 0 offset:472
	buffer_load_dword v173, off, s[0:3], 0 offset:464
	buffer_load_dword v125, off, s[0:3], 0 offset:456
	buffer_load_dword v188, off, s[0:3], 0 offset:436
	s_waitcnt vmcnt(57) lgkmcnt(0)
	v_mul_f64 v[194:195], v[5:6], v[149:150]
	v_mul_f64 v[149:150], v[7:8], v[149:150]
	s_waitcnt vmcnt(56)
	v_fma_f64 v[145:146], v[111:112], v[133:134], -v[145:146]
	ds_read_b128 v[1:4], v172 offset:1040
	v_fma_f64 v[131:132], v[113:114], v[133:134], v[131:132]
	s_clause 0x2
	buffer_load_dword v148, off, s[0:3], 0 offset:476
	buffer_load_dword v134, off, s[0:3], 0 offset:452
	;; [unrolled: 1-line block ×3, first 2 shown]
	ds_read_b128 v[111:114], v172 offset:1056
	v_add_f64 v[123:124], v[123:124], v[141:142]
	v_add_f64 v[115:116], v[115:116], v[137:138]
	s_waitcnt vmcnt(58) lgkmcnt(1)
	v_mul_f64 v[141:142], v[3:4], v[153:154]
	s_waitcnt vmcnt(56)
	v_fma_f64 v[149:150], v[5:6], v[155:156], -v[149:150]
	v_mul_f64 v[137:138], v[1:2], v[153:154]
	v_add_f64 v[123:124], v[123:124], v[145:146]
	v_fma_f64 v[145:146], v[7:8], v[155:156], v[194:195]
	v_add_f64 v[115:116], v[115:116], v[131:132]
	s_clause 0x4
	buffer_load_dword v132, off, s[0:3], 0 offset:492
	buffer_load_dword v153, off, s[0:3], 0 offset:504
	;; [unrolled: 1-line block ×5, first 2 shown]
	s_waitcnt vmcnt(57) lgkmcnt(0)
	v_mul_f64 v[194:195], v[111:112], v[157:158]
	v_mul_f64 v[156:157], v[113:114], v[157:158]
	s_waitcnt vmcnt(56)
	v_fma_f64 v[141:142], v[1:2], v[143:144], -v[141:142]
	ds_read_b128 v[5:8], v172 offset:1072
	v_fma_f64 v[137:138], v[3:4], v[143:144], v[137:138]
	s_clause 0x2
	buffer_load_dword v154, off, s[0:3], 0 offset:508
	buffer_load_dword v144, off, s[0:3], 0 offset:484
	;; [unrolled: 1-line block ×3, first 2 shown]
	ds_read_b128 v[1:4], v172 offset:1088
	v_add_f64 v[123:124], v[123:124], v[149:150]
	v_add_f64 v[115:116], v[115:116], v[145:146]
	s_waitcnt vmcnt(58) lgkmcnt(1)
	v_mul_f64 v[149:150], v[7:8], v[161:162]
	s_waitcnt vmcnt(56)
	v_fma_f64 v[157:158], v[111:112], v[163:164], -v[156:157]
	v_mul_f64 v[145:146], v[5:6], v[161:162]
	v_add_f64 v[123:124], v[123:124], v[141:142]
	v_fma_f64 v[141:142], v[113:114], v[163:164], v[194:195]
	v_add_f64 v[115:116], v[115:116], v[137:138]
	s_clause 0x4
	buffer_load_dword v138, off, s[0:3], 0 offset:524
	buffer_load_dword v161, off, s[0:3], 0 offset:536
	;; [unrolled: 1-line block ×5, first 2 shown]
	s_waitcnt vmcnt(57) lgkmcnt(0)
	v_mul_f64 v[194:195], v[1:2], v[165:166]
	v_mul_f64 v[164:165], v[3:4], v[165:166]
	s_waitcnt vmcnt(56)
	v_fma_f64 v[149:150], v[5:6], v[151:152], -v[149:150]
	ds_read_b128 v[111:114], v172 offset:1104
	v_fma_f64 v[145:146], v[7:8], v[151:152], v[145:146]
	v_add_f64 v[123:124], v[123:124], v[157:158]
	v_add_f64 v[115:116], v[115:116], v[141:142]
	s_clause 0x2
	buffer_load_dword v162, off, s[0:3], 0 offset:540
	buffer_load_dword v142, off, s[0:3], 0 offset:516
	;; [unrolled: 1-line block ×3, first 2 shown]
	ds_read_b128 v[5:8], v172 offset:1120
	s_waitcnt vmcnt(58) lgkmcnt(1)
	v_mul_f64 v[157:158], v[113:114], v[167:168]
	s_waitcnt vmcnt(56)
	v_fma_f64 v[165:166], v[1:2], v[169:170], -v[164:165]
	v_mul_f64 v[151:152], v[111:112], v[167:168]
	v_add_f64 v[123:124], v[123:124], v[149:150]
	v_fma_f64 v[149:150], v[3:4], v[169:170], v[194:195]
	v_add_f64 v[115:116], v[115:116], v[145:146]
	s_clause 0x4
	buffer_load_dword v146, off, s[0:3], 0 offset:556
	buffer_load_dword v167, off, s[0:3], 0 offset:568
	;; [unrolled: 1-line block ×5, first 2 shown]
	s_waitcnt vmcnt(57) lgkmcnt(0)
	v_mul_f64 v[194:195], v[5:6], v[179:180]
	v_mul_f64 v[179:180], v[7:8], v[179:180]
	s_waitcnt vmcnt(56)
	v_fma_f64 v[157:158], v[111:112], v[159:160], -v[157:158]
	ds_read_b128 v[1:4], v172 offset:1136
	v_fma_f64 v[151:152], v[113:114], v[159:160], v[151:152]
	v_add_f64 v[123:124], v[123:124], v[165:166]
	v_add_f64 v[115:116], v[115:116], v[149:150]
	s_clause 0x2
	buffer_load_dword v168, off, s[0:3], 0 offset:572
	buffer_load_dword v150, off, s[0:3], 0 offset:548
	;; [unrolled: 1-line block ×3, first 2 shown]
	ds_read_b128 v[111:114], v172 offset:1152
	s_waitcnt vmcnt(58) lgkmcnt(1)
	v_mul_f64 v[165:166], v[3:4], v[181:182]
	v_mul_f64 v[159:160], v[1:2], v[181:182]
	s_waitcnt vmcnt(56)
	v_fma_f64 v[179:180], v[5:6], v[119:120], -v[179:180]
	v_fma_f64 v[119:120], v[7:8], v[119:120], v[194:195]
	v_add_f64 v[123:124], v[123:124], v[157:158]
	v_add_f64 v[115:116], v[115:116], v[151:152]
	s_clause 0x4
	buffer_load_dword v152, off, s[0:3], 0 offset:588
	buffer_load_dword v157, off, s[0:3], 0 offset:600
	buffer_load_dword v181, off, s[0:3], 0 offset:592
	buffer_load_dword v151, off, s[0:3], 0 offset:584
	buffer_load_dword v170, off, s[0:3], 0 offset:564
	ds_read_b128 v[5:8], v172 offset:1168
	s_waitcnt vmcnt(57) lgkmcnt(1)
	v_mul_f64 v[194:195], v[111:112], v[117:118]
	v_mul_f64 v[117:118], v[113:114], v[117:118]
	s_waitcnt vmcnt(56)
	v_fma_f64 v[165:166], v[1:2], v[183:184], -v[165:166]
	v_fma_f64 v[159:160], v[3:4], v[183:184], v[159:160]
	v_add_f64 v[123:124], v[123:124], v[179:180]
	v_add_f64 v[115:116], v[115:116], v[119:120]
	s_clause 0x2
	buffer_load_dword v158, off, s[0:3], 0 offset:604
	buffer_load_dword v120, off, s[0:3], 0 offset:580
	buffer_load_dword v119, off, s[0:3], 0 offset:576
	s_waitcnt vmcnt(58) lgkmcnt(0)
	v_mul_f64 v[183:184], v[7:8], v[185:186]
	ds_read_b128 v[1:4], v172 offset:1184
	v_mul_f64 v[179:180], v[5:6], v[185:186]
	s_waitcnt vmcnt(56)
	v_fma_f64 v[117:118], v[111:112], v[175:176], -v[117:118]
	v_add_f64 v[123:124], v[123:124], v[165:166]
	v_fma_f64 v[165:166], v[113:114], v[175:176], v[194:195]
	v_add_f64 v[115:116], v[115:116], v[159:160]
	s_clause 0x4
	buffer_load_dword v160, off, s[0:3], 0 offset:620
	buffer_load_dword v175, off, s[0:3], 0 offset:632
	;; [unrolled: 1-line block ×5, first 2 shown]
	ds_read_b128 v[111:114], v172 offset:1200
	s_waitcnt vmcnt(57) lgkmcnt(1)
	v_mul_f64 v[194:195], v[1:2], v[135:136]
	v_mul_f64 v[135:136], v[3:4], v[135:136]
	s_waitcnt vmcnt(56)
	v_fma_f64 v[183:184], v[5:6], v[190:191], -v[183:184]
	v_add_f64 v[117:118], v[123:124], v[117:118]
	v_fma_f64 v[123:124], v[7:8], v[190:191], v[179:180]
	v_add_f64 v[115:116], v[115:116], v[165:166]
	s_clause 0x2
	buffer_load_dword v176, off, s[0:3], 0 offset:636
	buffer_load_dword v166, off, s[0:3], 0 offset:612
	;; [unrolled: 1-line block ×3, first 2 shown]
	ds_read_b128 v[5:8], v172 offset:1216
	s_waitcnt vmcnt(58) lgkmcnt(1)
	v_mul_f64 v[179:180], v[111:112], v[177:178]
	v_mul_f64 v[177:178], v[113:114], v[177:178]
	s_waitcnt vmcnt(56)
	v_fma_f64 v[135:136], v[1:2], v[129:130], -v[135:136]
	v_fma_f64 v[129:130], v[3:4], v[129:130], v[194:195]
	v_add_f64 v[117:118], v[117:118], v[183:184]
	v_add_f64 v[115:116], v[115:116], v[123:124]
	s_clause 0x4
	buffer_load_dword v124, off, s[0:3], 0 offset:652
	buffer_load_dword v183, off, s[0:3], 0 offset:664
	;; [unrolled: 1-line block ×5, first 2 shown]
	ds_read_b128 v[1:4], v172 offset:1232
	s_waitcnt vmcnt(57) lgkmcnt(1)
	v_mul_f64 v[190:191], v[5:6], v[121:122]
	v_mul_f64 v[121:122], v[7:8], v[121:122]
	s_waitcnt vmcnt(56)
	v_fma_f64 v[177:178], v[111:112], v[192:193], -v[177:178]
	v_add_f64 v[117:118], v[117:118], v[135:136]
	v_fma_f64 v[135:136], v[113:114], v[192:193], v[179:180]
	v_add_f64 v[115:116], v[115:116], v[129:130]
	s_clause 0x2
	buffer_load_dword v184, off, s[0:3], 0 offset:668
	buffer_load_dword v130, off, s[0:3], 0 offset:644
	;; [unrolled: 1-line block ×3, first 2 shown]
	ds_read_b128 v[111:114], v172 offset:1248
	s_waitcnt vmcnt(58) lgkmcnt(1)
	v_mul_f64 v[179:180], v[1:2], v[139:140]
	v_mul_f64 v[139:140], v[3:4], v[139:140]
	s_waitcnt vmcnt(56)
	v_fma_f64 v[121:122], v[5:6], v[127:128], -v[121:122]
	v_fma_f64 v[127:128], v[7:8], v[127:128], v[190:191]
	v_add_f64 v[117:118], v[117:118], v[177:178]
	v_add_f64 v[115:116], v[115:116], v[135:136]
	s_clause 0x4
	buffer_load_dword v136, off, s[0:3], 0 offset:684
	buffer_load_dword v177, off, s[0:3], 0 offset:696
	;; [unrolled: 1-line block ×5, first 2 shown]
	ds_read_b128 v[5:8], v172 offset:1264
	s_waitcnt vmcnt(57) lgkmcnt(1)
	v_mul_f64 v[192:193], v[111:112], v[125:126]
	v_mul_f64 v[125:126], v[113:114], v[125:126]
	s_waitcnt vmcnt(56)
	v_fma_f64 v[139:140], v[1:2], v[187:188], -v[139:140]
	v_add_f64 v[117:118], v[117:118], v[121:122]
	v_fma_f64 v[121:122], v[3:4], v[187:188], v[179:180]
	v_add_f64 v[115:116], v[115:116], v[127:128]
	s_clause 0x2
	buffer_load_dword v178, off, s[0:3], 0 offset:700
	buffer_load_dword v128, off, s[0:3], 0 offset:676
	;; [unrolled: 1-line block ×3, first 2 shown]
	s_waitcnt vmcnt(58) lgkmcnt(0)
	v_mul_f64 v[179:180], v[5:6], v[147:148]
	v_mul_f64 v[147:148], v[7:8], v[147:148]
	ds_read_b128 v[1:4], v172 offset:1280
	s_waitcnt vmcnt(56)
	v_fma_f64 v[125:126], v[111:112], v[133:134], -v[125:126]
	v_fma_f64 v[133:134], v[113:114], v[133:134], v[192:193]
	v_add_f64 v[117:118], v[117:118], v[139:140]
	v_add_f64 v[115:116], v[115:116], v[121:122]
	s_clause 0x4
	buffer_load_dword v122, off, s[0:3], 0 offset:716
	buffer_load_dword v139, off, s[0:3], 0 offset:728
	;; [unrolled: 1-line block ×5, first 2 shown]
	ds_read_b128 v[111:114], v172 offset:1296
	s_waitcnt vmcnt(57) lgkmcnt(1)
	v_mul_f64 v[193:194], v[1:2], v[131:132]
	v_mul_f64 v[131:132], v[3:4], v[131:132]
	s_waitcnt vmcnt(56)
	v_fma_f64 v[147:148], v[5:6], v[173:174], -v[147:148]
	v_add_f64 v[117:118], v[117:118], v[125:126]
	v_fma_f64 v[125:126], v[7:8], v[173:174], v[179:180]
	v_add_f64 v[115:116], v[115:116], v[133:134]
	s_clause 0x2
	buffer_load_dword v140, off, s[0:3], 0 offset:732
	buffer_load_dword v134, off, s[0:3], 0 offset:708
	;; [unrolled: 1-line block ×3, first 2 shown]
	s_waitcnt vmcnt(58) lgkmcnt(0)
	v_mul_f64 v[173:174], v[111:112], v[153:154]
	v_mul_f64 v[153:154], v[113:114], v[153:154]
	ds_read_b128 v[5:8], v172 offset:1312
	s_waitcnt vmcnt(56)
	v_fma_f64 v[131:132], v[1:2], v[143:144], -v[131:132]
	v_fma_f64 v[143:144], v[3:4], v[143:144], v[193:194]
	v_add_f64 v[117:118], v[117:118], v[147:148]
	v_add_f64 v[115:116], v[115:116], v[125:126]
	s_clause 0x4
	buffer_load_dword v126, off, s[0:3], 0 offset:748
	buffer_load_dword v147, off, s[0:3], 0 offset:760
	buffer_load_dword v179, off, s[0:3], 0 offset:752
	buffer_load_dword v125, off, s[0:3], 0 offset:744
	buffer_load_dword v188, off, s[0:3], 0 offset:724
	ds_read_b128 v[1:4], v172 offset:1328
	s_waitcnt vmcnt(57) lgkmcnt(1)
	v_mul_f64 v[193:194], v[5:6], v[137:138]
	v_mul_f64 v[137:138], v[7:8], v[137:138]
	s_waitcnt vmcnt(56)
	v_fma_f64 v[153:154], v[111:112], v[155:156], -v[153:154]
	v_add_f64 v[117:118], v[117:118], v[131:132]
	v_fma_f64 v[131:132], v[113:114], v[155:156], v[173:174]
	v_add_f64 v[115:116], v[115:116], v[143:144]
	s_clause 0x2
	buffer_load_dword v148, off, s[0:3], 0 offset:764
	buffer_load_dword v144, off, s[0:3], 0 offset:740
	;; [unrolled: 1-line block ×3, first 2 shown]
	ds_read_b128 v[111:114], v172 offset:1344
	s_waitcnt vmcnt(58) lgkmcnt(1)
	v_mul_f64 v[155:156], v[1:2], v[161:162]
	v_mul_f64 v[161:162], v[3:4], v[161:162]
	s_waitcnt vmcnt(56)
	v_fma_f64 v[137:138], v[5:6], v[141:142], -v[137:138]
	v_fma_f64 v[141:142], v[7:8], v[141:142], v[193:194]
	v_add_f64 v[117:118], v[117:118], v[153:154]
	v_add_f64 v[115:116], v[115:116], v[131:132]
	s_clause 0x4
	buffer_load_dword v132, off, s[0:3], 0 offset:780
	buffer_load_dword v153, off, s[0:3], 0 offset:792
	;; [unrolled: 1-line block ×5, first 2 shown]
	ds_read_b128 v[5:8], v172 offset:1360
	s_waitcnt vmcnt(57) lgkmcnt(1)
	v_mul_f64 v[193:194], v[111:112], v[145:146]
	v_mul_f64 v[145:146], v[113:114], v[145:146]
	s_waitcnt vmcnt(56)
	v_fma_f64 v[161:162], v[1:2], v[163:164], -v[161:162]
	v_add_f64 v[117:118], v[117:118], v[137:138]
	v_fma_f64 v[137:138], v[3:4], v[163:164], v[155:156]
	v_add_f64 v[115:116], v[115:116], v[141:142]
	s_clause 0x2
	buffer_load_dword v154, off, s[0:3], 0 offset:796
	buffer_load_dword v142, off, s[0:3], 0 offset:772
	;; [unrolled: 1-line block ×3, first 2 shown]
	ds_read_b128 v[1:4], v172 offset:1376
	s_waitcnt vmcnt(58) lgkmcnt(1)
	v_mul_f64 v[163:164], v[7:8], v[167:168]
	v_mul_f64 v[155:156], v[5:6], v[167:168]
	s_waitcnt vmcnt(56)
	v_fma_f64 v[145:146], v[111:112], v[149:150], -v[145:146]
	v_fma_f64 v[149:150], v[113:114], v[149:150], v[193:194]
	v_add_f64 v[117:118], v[117:118], v[161:162]
	v_add_f64 v[115:116], v[115:116], v[137:138]
	s_clause 0x4
	buffer_load_dword v138, off, s[0:3], 0 offset:812
	buffer_load_dword v161, off, s[0:3], 0 offset:824
	;; [unrolled: 1-line block ×5, first 2 shown]
	ds_read_b128 v[111:114], v172 offset:1392
	s_waitcnt vmcnt(57) lgkmcnt(1)
	v_mul_f64 v[193:194], v[1:2], v[151:152]
	v_mul_f64 v[151:152], v[3:4], v[151:152]
	s_waitcnt vmcnt(56)
	v_fma_f64 v[163:164], v[5:6], v[169:170], -v[163:164]
	v_add_f64 v[117:118], v[117:118], v[145:146]
	v_fma_f64 v[145:146], v[7:8], v[169:170], v[155:156]
	v_add_f64 v[115:116], v[115:116], v[149:150]
	s_clause 0x2
	buffer_load_dword v162, off, s[0:3], 0 offset:828
	buffer_load_dword v150, off, s[0:3], 0 offset:804
	;; [unrolled: 1-line block ×3, first 2 shown]
	ds_read_b128 v[5:8], v172 offset:1408
	buffer_load_dword v168, off, s[0:3], 0 offset:820
	s_waitcnt vmcnt(59) lgkmcnt(1)
	v_mul_f64 v[155:156], v[111:112], v[157:158]
	v_mul_f64 v[157:158], v[113:114], v[157:158]
	s_waitcnt vmcnt(57)
	v_fma_f64 v[151:152], v[1:2], v[119:120], -v[151:152]
	v_fma_f64 v[119:120], v[3:4], v[119:120], v[193:194]
	ds_read_b128 v[1:4], v172 offset:1424
	v_add_f64 v[117:118], v[117:118], v[163:164]
	v_add_f64 v[115:116], v[115:116], v[145:146]
	s_waitcnt vmcnt(53) lgkmcnt(1)
	v_mul_f64 v[145:146], v[5:6], v[159:160]
	v_mul_f64 v[159:160], v[7:8], v[159:160]
	s_waitcnt vmcnt(52)
	v_fma_f64 v[157:158], v[111:112], v[181:182], -v[157:158]
	v_add_f64 v[117:118], v[117:118], v[151:152]
	v_fma_f64 v[151:152], v[113:114], v[181:182], v[155:156]
	v_add_f64 v[115:116], v[115:116], v[119:120]
	ds_read_b128 v[111:114], v172 offset:1440
	s_waitcnt vmcnt(51) lgkmcnt(1)
	v_mul_f64 v[155:156], v[3:4], v[175:176]
	v_mul_f64 v[119:120], v[1:2], v[175:176]
	s_waitcnt vmcnt(49)
	v_fma_f64 v[159:160], v[5:6], v[165:166], -v[159:160]
	v_fma_f64 v[145:146], v[7:8], v[165:166], v[145:146]
	v_add_f64 v[117:118], v[117:118], v[157:158]
	v_add_f64 v[115:116], v[115:116], v[151:152]
	s_clause 0x3
	buffer_load_dword v151, off, s[0:3], 0 offset:64
	buffer_load_dword v152, off, s[0:3], 0 offset:68
	;; [unrolled: 1-line block ×4, first 2 shown]
	ds_read_b128 v[5:8], v172 offset:1456
	s_waitcnt vmcnt(49) lgkmcnt(1)
	v_mul_f64 v[163:164], v[111:112], v[123:124]
	v_mul_f64 v[123:124], v[113:114], v[123:124]
	s_waitcnt vmcnt(48)
	v_fma_f64 v[155:156], v[1:2], v[185:186], -v[155:156]
	v_fma_f64 v[119:120], v[3:4], v[185:186], v[119:120]
	ds_read_b128 v[1:4], v172 offset:1472
	v_add_f64 v[117:118], v[117:118], v[159:160]
	v_add_f64 v[115:116], v[115:116], v[145:146]
	s_waitcnt vmcnt(47) lgkmcnt(1)
	v_mul_f64 v[159:160], v[7:8], v[183:184]
	v_mul_f64 v[145:146], v[5:6], v[183:184]
	s_waitcnt vmcnt(45)
	v_fma_f64 v[123:124], v[111:112], v[129:130], -v[123:124]
	v_fma_f64 v[129:130], v[113:114], v[129:130], v[163:164]
	ds_read_b128 v[111:114], v172 offset:1488
	v_add_f64 v[117:118], v[117:118], v[155:156]
	v_add_f64 v[115:116], v[115:116], v[119:120]
	s_waitcnt vmcnt(41) lgkmcnt(1)
	v_mul_f64 v[119:120], v[1:2], v[135:136]
	v_mul_f64 v[135:136], v[3:4], v[135:136]
	s_waitcnt vmcnt(40)
	v_fma_f64 v[155:156], v[5:6], v[189:190], -v[159:160]
	v_add_f64 v[117:118], v[117:118], v[123:124]
	v_fma_f64 v[123:124], v[7:8], v[189:190], v[145:146]
	v_add_f64 v[115:116], v[115:116], v[129:130]
	ds_read_b128 v[5:8], v172 offset:1504
	s_waitcnt vmcnt(39) lgkmcnt(1)
	v_mul_f64 v[145:146], v[113:114], v[177:178]
	v_mul_f64 v[129:130], v[111:112], v[177:178]
	s_waitcnt vmcnt(37)
	v_fma_f64 v[135:136], v[1:2], v[127:128], -v[135:136]
	v_fma_f64 v[119:120], v[3:4], v[127:128], v[119:120]
	ds_read_b128 v[1:4], v172 offset:1520
	v_add_f64 v[117:118], v[117:118], v[155:156]
	v_add_f64 v[115:116], v[115:116], v[123:124]
	s_waitcnt vmcnt(33) lgkmcnt(1)
	v_mul_f64 v[123:124], v[5:6], v[121:122]
	v_mul_f64 v[121:122], v[7:8], v[121:122]
	s_waitcnt vmcnt(32)
	v_fma_f64 v[127:128], v[111:112], v[191:192], -v[145:146]
	v_fma_f64 v[129:130], v[113:114], v[191:192], v[129:130]
	ds_read_b128 v[111:114], v172 offset:1536
	v_add_f64 v[117:118], v[117:118], v[135:136]
	v_add_f64 v[115:116], v[115:116], v[119:120]
	;; [unrolled: 9-line block ×5, first 2 shown]
	s_waitcnt vmcnt(17) lgkmcnt(1)
	v_mul_f64 v[129:130], v[3:4], v[131:132]
	s_waitcnt vmcnt(16)
	v_fma_f64 v[123:124], v[5:6], v[179:180], -v[123:124]
	v_mul_f64 v[119:120], v[1:2], v[131:132]
	v_fma_f64 v[121:122], v[7:8], v[179:180], v[121:122]
	ds_read_b128 v[5:8], v172 offset:1600
	v_add_f64 v[117:118], v[117:118], v[125:126]
	v_add_f64 v[115:116], v[115:116], v[127:128]
	s_waitcnt vmcnt(15) lgkmcnt(1)
	v_mul_f64 v[127:128], v[113:114], v[153:154]
	v_mul_f64 v[125:126], v[111:112], v[153:154]
	s_waitcnt vmcnt(13)
	v_fma_f64 v[129:130], v[1:2], v[141:142], -v[129:130]
	v_fma_f64 v[119:120], v[3:4], v[141:142], v[119:120]
	ds_read_b128 v[1:4], v172 offset:1616
	v_add_f64 v[117:118], v[117:118], v[123:124]
	v_add_f64 v[115:116], v[115:116], v[121:122]
	s_waitcnt vmcnt(9) lgkmcnt(1)
	v_mul_f64 v[123:124], v[7:8], v[137:138]
	s_waitcnt vmcnt(8)
	v_fma_f64 v[111:112], v[111:112], v[173:174], -v[127:128]
	v_mul_f64 v[121:122], v[5:6], v[137:138]
	v_fma_f64 v[113:114], v[113:114], v[173:174], v[125:126]
	v_add_f64 v[117:118], v[117:118], v[129:130]
	v_add_f64 v[115:116], v[115:116], v[119:120]
	s_waitcnt vmcnt(7) lgkmcnt(0)
	v_mul_f64 v[125:126], v[3:4], v[161:162]
	v_mul_f64 v[119:120], v[1:2], v[161:162]
	s_waitcnt vmcnt(5)
	v_fma_f64 v[5:6], v[5:6], v[149:150], -v[123:124]
	v_fma_f64 v[7:8], v[7:8], v[149:150], v[121:122]
	v_add_f64 v[111:112], v[117:118], v[111:112]
	v_add_f64 v[113:114], v[115:116], v[113:114]
	s_waitcnt vmcnt(4)
	v_fma_f64 v[1:2], v[1:2], v[167:168], -v[125:126]
	v_fma_f64 v[3:4], v[3:4], v[167:168], v[119:120]
	v_add_f64 v[5:6], v[111:112], v[5:6]
	v_add_f64 v[7:8], v[113:114], v[7:8]
	;; [unrolled: 1-line block ×4, first 2 shown]
	s_waitcnt vmcnt(2)
	v_add_f64 v[1:2], v[151:152], -v[1:2]
	s_waitcnt vmcnt(0)
	v_add_f64 v[3:4], v[157:158], -v[3:4]
	buffer_store_dword v2, off, s[0:3], 0 offset:68
	buffer_store_dword v1, off, s[0:3], 0 offset:64
	buffer_store_dword v4, off, s[0:3], 0 offset:76
	buffer_store_dword v3, off, s[0:3], 0 offset:72
	v_cmpx_lt_u32_e32 2, v0
	s_cbranch_execz .LBB114_315
; %bb.314:
	v_mov_b32_e32 v4, s61
	s_clause 0x3
	buffer_load_dword v1, v4, s[0:3], 0 offen
	buffer_load_dword v2, v4, s[0:3], 0 offen offset:4
	buffer_load_dword v3, v4, s[0:3], 0 offen offset:8
	;; [unrolled: 1-line block ×3, first 2 shown]
	buffer_store_dword v172, off, s[0:3], 0 offset:48
	buffer_store_dword v172, off, s[0:3], 0 offset:52
	buffer_store_dword v172, off, s[0:3], 0 offset:56
	buffer_store_dword v172, off, s[0:3], 0 offset:60
	s_waitcnt vmcnt(0)
	ds_write_b128 v171, v[1:4]
.LBB114_315:
	s_or_b32 exec_lo, exec_lo, s4
	s_waitcnt lgkmcnt(0)
	s_waitcnt_vscnt null, 0x0
	s_barrier
	buffer_gl0_inv
	s_clause 0x37
	buffer_load_dword v119, off, s[0:3], 0 offset:72
	buffer_load_dword v120, off, s[0:3], 0 offset:76
	;; [unrolled: 1-line block ×56, first 2 shown]
	ds_read_b128 v[5:8], v172 offset:864
	s_clause 0x2
	buffer_load_dword v168, off, s[0:3], 0 offset:300
	buffer_load_dword v170, off, s[0:3], 0 offset:276
	;; [unrolled: 1-line block ×3, first 2 shown]
	ds_read_b128 v[1:4], v172 offset:880
	s_clause 0x4
	buffer_load_dword v180, off, s[0:3], 0 offset:316
	buffer_load_dword v181, off, s[0:3], 0 offset:328
	;; [unrolled: 1-line block ×5, first 2 shown]
	ds_read_b128 v[173:176], v172 offset:896
	s_mov_b32 s4, exec_lo
	s_waitcnt vmcnt(62) lgkmcnt(2)
	v_mul_f64 v[177:178], v[7:8], v[119:120]
	v_mul_f64 v[119:120], v[5:6], v[119:120]
	s_waitcnt vmcnt(60) lgkmcnt(1)
	v_mul_f64 v[184:185], v[3:4], v[115:116]
	v_mul_f64 v[115:116], v[1:2], v[115:116]
	;; [unrolled: 3-line block ×3, first 2 shown]
	v_fma_f64 v[177:178], v[5:6], v[117:118], -v[177:178]
	v_fma_f64 v[117:118], v[7:8], v[117:118], v[119:120]
	s_clause 0x2
	buffer_load_dword v182, off, s[0:3], 0 offset:332
	buffer_load_dword v120, off, s[0:3], 0 offset:308
	;; [unrolled: 1-line block ×3, first 2 shown]
	s_waitcnt vmcnt(57)
	v_fma_f64 v[188:189], v[1:2], v[111:112], -v[184:185]
	ds_read_b128 v[5:8], v172 offset:912
	v_fma_f64 v[111:112], v[3:4], v[111:112], v[115:116]
	s_waitcnt vmcnt(51)
	v_fma_f64 v[173:174], v[173:174], v[135:136], -v[113:114]
	v_fma_f64 v[135:136], v[175:176], v[135:136], v[186:187]
	v_add_f64 v[177:178], v[177:178], 0
	v_add_f64 v[115:116], v[117:118], 0
	s_clause 0x4
	buffer_load_dword v118, off, s[0:3], 0 offset:348
	buffer_load_dword v185, off, s[0:3], 0 offset:360
	;; [unrolled: 1-line block ×5, first 2 shown]
	s_waitcnt lgkmcnt(0)
	v_mul_f64 v[191:192], v[5:6], v[123:124]
	v_mul_f64 v[123:124], v[7:8], v[123:124]
	ds_read_b128 v[1:4], v172 offset:928
	s_clause 0x2
	buffer_load_dword v186, off, s[0:3], 0 offset:364
	buffer_load_dword v176, off, s[0:3], 0 offset:340
	buffer_load_dword v175, off, s[0:3], 0 offset:336
	v_add_f64 v[177:178], v[177:178], v[188:189]
	v_add_f64 v[115:116], v[115:116], v[111:112]
	ds_read_b128 v[111:114], v172 offset:944
	s_waitcnt vmcnt(58) lgkmcnt(1)
	v_mul_f64 v[187:188], v[1:2], v[127:128]
	v_mul_f64 v[127:128], v[3:4], v[127:128]
	s_waitcnt vmcnt(56)
	v_fma_f64 v[123:124], v[5:6], v[129:130], -v[123:124]
	v_fma_f64 v[129:130], v[7:8], v[129:130], v[191:192]
	s_waitcnt vmcnt(52) lgkmcnt(0)
	v_mul_f64 v[193:194], v[111:112], v[131:132]
	v_add_f64 v[173:174], v[177:178], v[173:174]
	v_add_f64 v[115:116], v[115:116], v[135:136]
	s_clause 0x4
	buffer_load_dword v136, off, s[0:3], 0 offset:380
	buffer_load_dword v177, off, s[0:3], 0 offset:392
	;; [unrolled: 1-line block ×5, first 2 shown]
	v_mul_f64 v[131:132], v[113:114], v[131:132]
	s_waitcnt vmcnt(56)
	v_fma_f64 v[127:128], v[1:2], v[121:122], -v[127:128]
	ds_read_b128 v[5:8], v172 offset:960
	v_fma_f64 v[121:122], v[3:4], v[121:122], v[187:188]
	v_add_f64 v[123:124], v[173:174], v[123:124]
	v_add_f64 v[115:116], v[115:116], v[129:130]
	s_clause 0x2
	buffer_load_dword v178, off, s[0:3], 0 offset:396
	buffer_load_dword v130, off, s[0:3], 0 offset:372
	;; [unrolled: 1-line block ×3, first 2 shown]
	s_waitcnt vmcnt(58) lgkmcnt(0)
	v_mul_f64 v[173:174], v[5:6], v[137:138]
	v_mul_f64 v[137:138], v[7:8], v[137:138]
	s_waitcnt vmcnt(56)
	v_fma_f64 v[131:132], v[111:112], v[139:140], -v[131:132]
	ds_read_b128 v[1:4], v172 offset:976
	v_add_f64 v[123:124], v[123:124], v[127:128]
	v_fma_f64 v[127:128], v[113:114], v[139:140], v[193:194]
	v_add_f64 v[115:116], v[115:116], v[121:122]
	s_clause 0x4
	buffer_load_dword v122, off, s[0:3], 0 offset:412
	buffer_load_dword v139, off, s[0:3], 0 offset:424
	;; [unrolled: 1-line block ×5, first 2 shown]
	s_waitcnt vmcnt(57) lgkmcnt(0)
	v_mul_f64 v[188:189], v[1:2], v[141:142]
	v_mul_f64 v[141:142], v[3:4], v[141:142]
	s_waitcnt vmcnt(56)
	v_fma_f64 v[137:138], v[5:6], v[125:126], -v[137:138]
	ds_read_b128 v[111:114], v172 offset:992
	v_fma_f64 v[125:126], v[7:8], v[125:126], v[173:174]
	v_add_f64 v[123:124], v[123:124], v[131:132]
	v_add_f64 v[115:116], v[115:116], v[127:128]
	s_clause 0x2
	buffer_load_dword v140, off, s[0:3], 0 offset:428
	buffer_load_dword v128, off, s[0:3], 0 offset:404
	;; [unrolled: 1-line block ×3, first 2 shown]
	ds_read_b128 v[5:8], v172 offset:1008
	s_waitcnt vmcnt(58) lgkmcnt(1)
	v_mul_f64 v[131:132], v[111:112], v[145:146]
	v_mul_f64 v[145:146], v[113:114], v[145:146]
	s_waitcnt vmcnt(56)
	v_fma_f64 v[141:142], v[1:2], v[147:148], -v[141:142]
	v_add_f64 v[123:124], v[123:124], v[137:138]
	v_fma_f64 v[137:138], v[3:4], v[147:148], v[188:189]
	v_add_f64 v[115:116], v[115:116], v[125:126]
	s_clause 0x4
	buffer_load_dword v126, off, s[0:3], 0 offset:444
	buffer_load_dword v147, off, s[0:3], 0 offset:456
	;; [unrolled: 1-line block ×5, first 2 shown]
	s_waitcnt vmcnt(57) lgkmcnt(0)
	v_mul_f64 v[194:195], v[5:6], v[149:150]
	v_mul_f64 v[149:150], v[7:8], v[149:150]
	s_waitcnt vmcnt(56)
	v_fma_f64 v[145:146], v[111:112], v[133:134], -v[145:146]
	ds_read_b128 v[1:4], v172 offset:1024
	v_fma_f64 v[131:132], v[113:114], v[133:134], v[131:132]
	s_clause 0x2
	buffer_load_dword v148, off, s[0:3], 0 offset:460
	buffer_load_dword v134, off, s[0:3], 0 offset:436
	;; [unrolled: 1-line block ×3, first 2 shown]
	ds_read_b128 v[111:114], v172 offset:1040
	v_add_f64 v[123:124], v[123:124], v[141:142]
	v_add_f64 v[115:116], v[115:116], v[137:138]
	s_waitcnt vmcnt(58) lgkmcnt(1)
	v_mul_f64 v[141:142], v[3:4], v[153:154]
	s_waitcnt vmcnt(56)
	v_fma_f64 v[149:150], v[5:6], v[155:156], -v[149:150]
	v_mul_f64 v[137:138], v[1:2], v[153:154]
	v_add_f64 v[123:124], v[123:124], v[145:146]
	v_fma_f64 v[145:146], v[7:8], v[155:156], v[194:195]
	v_add_f64 v[115:116], v[115:116], v[131:132]
	s_clause 0x4
	buffer_load_dword v132, off, s[0:3], 0 offset:476
	buffer_load_dword v153, off, s[0:3], 0 offset:488
	;; [unrolled: 1-line block ×5, first 2 shown]
	s_waitcnt vmcnt(57) lgkmcnt(0)
	v_mul_f64 v[194:195], v[111:112], v[157:158]
	v_mul_f64 v[156:157], v[113:114], v[157:158]
	s_waitcnt vmcnt(56)
	v_fma_f64 v[141:142], v[1:2], v[143:144], -v[141:142]
	ds_read_b128 v[5:8], v172 offset:1056
	v_fma_f64 v[137:138], v[3:4], v[143:144], v[137:138]
	s_clause 0x2
	buffer_load_dword v154, off, s[0:3], 0 offset:492
	buffer_load_dword v144, off, s[0:3], 0 offset:468
	;; [unrolled: 1-line block ×3, first 2 shown]
	ds_read_b128 v[1:4], v172 offset:1072
	v_add_f64 v[123:124], v[123:124], v[149:150]
	v_add_f64 v[115:116], v[115:116], v[145:146]
	s_waitcnt vmcnt(58) lgkmcnt(1)
	v_mul_f64 v[149:150], v[7:8], v[161:162]
	s_waitcnt vmcnt(56)
	v_fma_f64 v[157:158], v[111:112], v[163:164], -v[156:157]
	v_mul_f64 v[145:146], v[5:6], v[161:162]
	v_add_f64 v[123:124], v[123:124], v[141:142]
	v_fma_f64 v[141:142], v[113:114], v[163:164], v[194:195]
	v_add_f64 v[115:116], v[115:116], v[137:138]
	s_clause 0x4
	buffer_load_dword v138, off, s[0:3], 0 offset:508
	buffer_load_dword v161, off, s[0:3], 0 offset:520
	;; [unrolled: 1-line block ×5, first 2 shown]
	s_waitcnt vmcnt(57) lgkmcnt(0)
	v_mul_f64 v[194:195], v[1:2], v[165:166]
	v_mul_f64 v[164:165], v[3:4], v[165:166]
	s_waitcnt vmcnt(56)
	v_fma_f64 v[149:150], v[5:6], v[151:152], -v[149:150]
	ds_read_b128 v[111:114], v172 offset:1088
	v_fma_f64 v[145:146], v[7:8], v[151:152], v[145:146]
	v_add_f64 v[123:124], v[123:124], v[157:158]
	v_add_f64 v[115:116], v[115:116], v[141:142]
	s_clause 0x2
	buffer_load_dword v162, off, s[0:3], 0 offset:524
	buffer_load_dword v142, off, s[0:3], 0 offset:500
	;; [unrolled: 1-line block ×3, first 2 shown]
	ds_read_b128 v[5:8], v172 offset:1104
	s_waitcnt vmcnt(58) lgkmcnt(1)
	v_mul_f64 v[157:158], v[113:114], v[167:168]
	s_waitcnt vmcnt(56)
	v_fma_f64 v[165:166], v[1:2], v[169:170], -v[164:165]
	v_mul_f64 v[151:152], v[111:112], v[167:168]
	v_add_f64 v[123:124], v[123:124], v[149:150]
	v_fma_f64 v[149:150], v[3:4], v[169:170], v[194:195]
	v_add_f64 v[115:116], v[115:116], v[145:146]
	s_clause 0x4
	buffer_load_dword v146, off, s[0:3], 0 offset:540
	buffer_load_dword v167, off, s[0:3], 0 offset:552
	;; [unrolled: 1-line block ×5, first 2 shown]
	s_waitcnt vmcnt(57) lgkmcnt(0)
	v_mul_f64 v[194:195], v[5:6], v[179:180]
	v_mul_f64 v[179:180], v[7:8], v[179:180]
	s_waitcnt vmcnt(56)
	v_fma_f64 v[157:158], v[111:112], v[159:160], -v[157:158]
	ds_read_b128 v[1:4], v172 offset:1120
	v_fma_f64 v[151:152], v[113:114], v[159:160], v[151:152]
	v_add_f64 v[123:124], v[123:124], v[165:166]
	v_add_f64 v[115:116], v[115:116], v[149:150]
	s_clause 0x2
	buffer_load_dword v168, off, s[0:3], 0 offset:556
	buffer_load_dword v150, off, s[0:3], 0 offset:532
	buffer_load_dword v149, off, s[0:3], 0 offset:528
	ds_read_b128 v[111:114], v172 offset:1136
	s_waitcnt vmcnt(58) lgkmcnt(1)
	v_mul_f64 v[165:166], v[3:4], v[181:182]
	v_mul_f64 v[159:160], v[1:2], v[181:182]
	s_waitcnt vmcnt(56)
	v_fma_f64 v[179:180], v[5:6], v[119:120], -v[179:180]
	v_fma_f64 v[119:120], v[7:8], v[119:120], v[194:195]
	v_add_f64 v[123:124], v[123:124], v[157:158]
	v_add_f64 v[115:116], v[115:116], v[151:152]
	s_clause 0x4
	buffer_load_dword v152, off, s[0:3], 0 offset:572
	buffer_load_dword v157, off, s[0:3], 0 offset:584
	;; [unrolled: 1-line block ×5, first 2 shown]
	ds_read_b128 v[5:8], v172 offset:1152
	s_waitcnt vmcnt(57) lgkmcnt(1)
	v_mul_f64 v[194:195], v[111:112], v[117:118]
	v_mul_f64 v[117:118], v[113:114], v[117:118]
	s_waitcnt vmcnt(56)
	v_fma_f64 v[165:166], v[1:2], v[183:184], -v[165:166]
	v_fma_f64 v[159:160], v[3:4], v[183:184], v[159:160]
	v_add_f64 v[123:124], v[123:124], v[179:180]
	v_add_f64 v[115:116], v[115:116], v[119:120]
	s_clause 0x2
	buffer_load_dword v158, off, s[0:3], 0 offset:588
	buffer_load_dword v120, off, s[0:3], 0 offset:564
	;; [unrolled: 1-line block ×3, first 2 shown]
	s_waitcnt vmcnt(58) lgkmcnt(0)
	v_mul_f64 v[183:184], v[7:8], v[185:186]
	ds_read_b128 v[1:4], v172 offset:1168
	v_mul_f64 v[179:180], v[5:6], v[185:186]
	s_waitcnt vmcnt(56)
	v_fma_f64 v[117:118], v[111:112], v[175:176], -v[117:118]
	v_add_f64 v[123:124], v[123:124], v[165:166]
	v_fma_f64 v[165:166], v[113:114], v[175:176], v[194:195]
	v_add_f64 v[115:116], v[115:116], v[159:160]
	s_clause 0x4
	buffer_load_dword v160, off, s[0:3], 0 offset:604
	buffer_load_dword v175, off, s[0:3], 0 offset:616
	;; [unrolled: 1-line block ×5, first 2 shown]
	ds_read_b128 v[111:114], v172 offset:1184
	s_waitcnt vmcnt(57) lgkmcnt(1)
	v_mul_f64 v[194:195], v[1:2], v[135:136]
	v_mul_f64 v[135:136], v[3:4], v[135:136]
	s_waitcnt vmcnt(56)
	v_fma_f64 v[183:184], v[5:6], v[190:191], -v[183:184]
	v_add_f64 v[117:118], v[123:124], v[117:118]
	v_fma_f64 v[123:124], v[7:8], v[190:191], v[179:180]
	v_add_f64 v[115:116], v[115:116], v[165:166]
	s_clause 0x2
	buffer_load_dword v176, off, s[0:3], 0 offset:620
	buffer_load_dword v166, off, s[0:3], 0 offset:596
	buffer_load_dword v165, off, s[0:3], 0 offset:592
	ds_read_b128 v[5:8], v172 offset:1200
	s_waitcnt vmcnt(58) lgkmcnt(1)
	v_mul_f64 v[179:180], v[111:112], v[177:178]
	v_mul_f64 v[177:178], v[113:114], v[177:178]
	s_waitcnt vmcnt(56)
	v_fma_f64 v[135:136], v[1:2], v[129:130], -v[135:136]
	v_fma_f64 v[129:130], v[3:4], v[129:130], v[194:195]
	v_add_f64 v[117:118], v[117:118], v[183:184]
	v_add_f64 v[115:116], v[115:116], v[123:124]
	s_clause 0x4
	buffer_load_dword v124, off, s[0:3], 0 offset:636
	buffer_load_dword v183, off, s[0:3], 0 offset:648
	;; [unrolled: 1-line block ×5, first 2 shown]
	ds_read_b128 v[1:4], v172 offset:1216
	s_waitcnt vmcnt(57) lgkmcnt(1)
	v_mul_f64 v[190:191], v[5:6], v[121:122]
	v_mul_f64 v[121:122], v[7:8], v[121:122]
	s_waitcnt vmcnt(56)
	v_fma_f64 v[177:178], v[111:112], v[192:193], -v[177:178]
	v_add_f64 v[117:118], v[117:118], v[135:136]
	v_fma_f64 v[135:136], v[113:114], v[192:193], v[179:180]
	v_add_f64 v[115:116], v[115:116], v[129:130]
	s_clause 0x2
	buffer_load_dword v184, off, s[0:3], 0 offset:652
	buffer_load_dword v130, off, s[0:3], 0 offset:628
	;; [unrolled: 1-line block ×3, first 2 shown]
	ds_read_b128 v[111:114], v172 offset:1232
	s_waitcnt vmcnt(58) lgkmcnt(1)
	v_mul_f64 v[179:180], v[1:2], v[139:140]
	v_mul_f64 v[139:140], v[3:4], v[139:140]
	s_waitcnt vmcnt(56)
	v_fma_f64 v[121:122], v[5:6], v[127:128], -v[121:122]
	v_fma_f64 v[127:128], v[7:8], v[127:128], v[190:191]
	v_add_f64 v[117:118], v[117:118], v[177:178]
	v_add_f64 v[115:116], v[115:116], v[135:136]
	s_clause 0x4
	buffer_load_dword v136, off, s[0:3], 0 offset:668
	buffer_load_dword v177, off, s[0:3], 0 offset:680
	buffer_load_dword v191, off, s[0:3], 0 offset:672
	buffer_load_dword v135, off, s[0:3], 0 offset:664
	buffer_load_dword v190, off, s[0:3], 0 offset:644
	ds_read_b128 v[5:8], v172 offset:1248
	s_waitcnt vmcnt(57) lgkmcnt(1)
	v_mul_f64 v[192:193], v[111:112], v[125:126]
	v_mul_f64 v[125:126], v[113:114], v[125:126]
	s_waitcnt vmcnt(56)
	v_fma_f64 v[139:140], v[1:2], v[187:188], -v[139:140]
	v_add_f64 v[117:118], v[117:118], v[121:122]
	v_fma_f64 v[121:122], v[3:4], v[187:188], v[179:180]
	v_add_f64 v[115:116], v[115:116], v[127:128]
	s_clause 0x2
	buffer_load_dword v178, off, s[0:3], 0 offset:684
	buffer_load_dword v128, off, s[0:3], 0 offset:660
	;; [unrolled: 1-line block ×3, first 2 shown]
	s_waitcnt vmcnt(58) lgkmcnt(0)
	v_mul_f64 v[179:180], v[5:6], v[147:148]
	v_mul_f64 v[147:148], v[7:8], v[147:148]
	ds_read_b128 v[1:4], v172 offset:1264
	s_waitcnt vmcnt(56)
	v_fma_f64 v[125:126], v[111:112], v[133:134], -v[125:126]
	v_fma_f64 v[133:134], v[113:114], v[133:134], v[192:193]
	v_add_f64 v[117:118], v[117:118], v[139:140]
	v_add_f64 v[115:116], v[115:116], v[121:122]
	s_clause 0x4
	buffer_load_dword v122, off, s[0:3], 0 offset:700
	buffer_load_dword v139, off, s[0:3], 0 offset:712
	;; [unrolled: 1-line block ×5, first 2 shown]
	ds_read_b128 v[111:114], v172 offset:1280
	s_waitcnt vmcnt(57) lgkmcnt(1)
	v_mul_f64 v[193:194], v[1:2], v[131:132]
	v_mul_f64 v[131:132], v[3:4], v[131:132]
	s_waitcnt vmcnt(56)
	v_fma_f64 v[147:148], v[5:6], v[173:174], -v[147:148]
	v_add_f64 v[117:118], v[117:118], v[125:126]
	v_fma_f64 v[125:126], v[7:8], v[173:174], v[179:180]
	v_add_f64 v[115:116], v[115:116], v[133:134]
	s_clause 0x2
	buffer_load_dword v140, off, s[0:3], 0 offset:716
	buffer_load_dword v134, off, s[0:3], 0 offset:692
	;; [unrolled: 1-line block ×3, first 2 shown]
	s_waitcnt vmcnt(58) lgkmcnt(0)
	v_mul_f64 v[173:174], v[111:112], v[153:154]
	v_mul_f64 v[153:154], v[113:114], v[153:154]
	ds_read_b128 v[5:8], v172 offset:1296
	s_waitcnt vmcnt(56)
	v_fma_f64 v[131:132], v[1:2], v[143:144], -v[131:132]
	v_fma_f64 v[143:144], v[3:4], v[143:144], v[193:194]
	v_add_f64 v[117:118], v[117:118], v[147:148]
	v_add_f64 v[115:116], v[115:116], v[125:126]
	s_clause 0x4
	buffer_load_dword v126, off, s[0:3], 0 offset:732
	buffer_load_dword v147, off, s[0:3], 0 offset:744
	buffer_load_dword v179, off, s[0:3], 0 offset:736
	buffer_load_dword v125, off, s[0:3], 0 offset:728
	buffer_load_dword v188, off, s[0:3], 0 offset:708
	ds_read_b128 v[1:4], v172 offset:1312
	s_waitcnt vmcnt(57) lgkmcnt(1)
	v_mul_f64 v[193:194], v[5:6], v[137:138]
	v_mul_f64 v[137:138], v[7:8], v[137:138]
	s_waitcnt vmcnt(56)
	v_fma_f64 v[153:154], v[111:112], v[155:156], -v[153:154]
	v_add_f64 v[117:118], v[117:118], v[131:132]
	v_fma_f64 v[131:132], v[113:114], v[155:156], v[173:174]
	v_add_f64 v[115:116], v[115:116], v[143:144]
	s_clause 0x2
	buffer_load_dword v148, off, s[0:3], 0 offset:748
	buffer_load_dword v144, off, s[0:3], 0 offset:724
	buffer_load_dword v143, off, s[0:3], 0 offset:720
	ds_read_b128 v[111:114], v172 offset:1328
	s_waitcnt vmcnt(58) lgkmcnt(1)
	v_mul_f64 v[155:156], v[1:2], v[161:162]
	v_mul_f64 v[161:162], v[3:4], v[161:162]
	s_waitcnt vmcnt(56)
	v_fma_f64 v[137:138], v[5:6], v[141:142], -v[137:138]
	v_fma_f64 v[141:142], v[7:8], v[141:142], v[193:194]
	v_add_f64 v[117:118], v[117:118], v[153:154]
	v_add_f64 v[115:116], v[115:116], v[131:132]
	s_clause 0x4
	buffer_load_dword v132, off, s[0:3], 0 offset:764
	buffer_load_dword v153, off, s[0:3], 0 offset:776
	buffer_load_dword v173, off, s[0:3], 0 offset:768
	buffer_load_dword v131, off, s[0:3], 0 offset:760
	buffer_load_dword v180, off, s[0:3], 0 offset:740
	ds_read_b128 v[5:8], v172 offset:1344
	s_waitcnt vmcnt(57) lgkmcnt(1)
	v_mul_f64 v[193:194], v[111:112], v[145:146]
	v_mul_f64 v[145:146], v[113:114], v[145:146]
	s_waitcnt vmcnt(56)
	v_fma_f64 v[161:162], v[1:2], v[163:164], -v[161:162]
	v_add_f64 v[117:118], v[117:118], v[137:138]
	v_fma_f64 v[137:138], v[3:4], v[163:164], v[155:156]
	v_add_f64 v[115:116], v[115:116], v[141:142]
	s_clause 0x2
	buffer_load_dword v154, off, s[0:3], 0 offset:780
	buffer_load_dword v142, off, s[0:3], 0 offset:756
	buffer_load_dword v141, off, s[0:3], 0 offset:752
	ds_read_b128 v[1:4], v172 offset:1360
	s_waitcnt vmcnt(58) lgkmcnt(1)
	v_mul_f64 v[163:164], v[7:8], v[167:168]
	v_mul_f64 v[155:156], v[5:6], v[167:168]
	;; [unrolled: 28-line block ×3, first 2 shown]
	s_waitcnt vmcnt(56)
	v_fma_f64 v[151:152], v[1:2], v[119:120], -v[151:152]
	v_fma_f64 v[119:120], v[3:4], v[119:120], v[193:194]
	v_add_f64 v[117:118], v[117:118], v[163:164]
	v_add_f64 v[115:116], v[115:116], v[145:146]
	s_clause 0x2
	buffer_load_dword v146, off, s[0:3], 0 offset:828
	buffer_load_dword v145, off, s[0:3], 0 offset:824
	;; [unrolled: 1-line block ×3, first 2 shown]
	ds_read_b128 v[1:4], v172 offset:1408
	s_waitcnt vmcnt(55) lgkmcnt(1)
	v_mul_f64 v[163:164], v[5:6], v[159:160]
	v_mul_f64 v[159:160], v[7:8], v[159:160]
	s_waitcnt vmcnt(54)
	v_fma_f64 v[157:158], v[111:112], v[181:182], -v[157:158]
	v_add_f64 v[117:118], v[117:118], v[151:152]
	v_fma_f64 v[151:152], v[113:114], v[181:182], v[155:156]
	v_add_f64 v[115:116], v[115:116], v[119:120]
	s_clause 0x1
	buffer_load_dword v120, off, s[0:3], 0 offset:820
	buffer_load_dword v119, off, s[0:3], 0 offset:816
	ds_read_b128 v[111:114], v172 offset:1424
	s_waitcnt vmcnt(55) lgkmcnt(1)
	v_mul_f64 v[169:170], v[3:4], v[175:176]
	v_mul_f64 v[155:156], v[1:2], v[175:176]
	s_waitcnt vmcnt(53)
	v_fma_f64 v[159:160], v[5:6], v[165:166], -v[159:160]
	v_add_f64 v[117:118], v[117:118], v[157:158]
	v_fma_f64 v[157:158], v[7:8], v[165:166], v[163:164]
	v_add_f64 v[115:116], v[115:116], v[151:152]
	ds_read_b128 v[5:8], v172 offset:1440
	s_waitcnt vmcnt(49) lgkmcnt(1)
	v_mul_f64 v[151:152], v[111:112], v[123:124]
	v_mul_f64 v[123:124], v[113:114], v[123:124]
	s_waitcnt vmcnt(48)
	v_fma_f64 v[163:164], v[1:2], v[185:186], -v[169:170]
	v_fma_f64 v[155:156], v[3:4], v[185:186], v[155:156]
	v_add_f64 v[117:118], v[117:118], v[159:160]
	v_add_f64 v[115:116], v[115:116], v[157:158]
	s_clause 0x3
	buffer_load_dword v157, off, s[0:3], 0 offset:48
	buffer_load_dword v158, off, s[0:3], 0 offset:52
	;; [unrolled: 1-line block ×4, first 2 shown]
	ds_read_b128 v[1:4], v172 offset:1456
	s_waitcnt vmcnt(51) lgkmcnt(1)
	v_mul_f64 v[169:170], v[7:8], v[183:184]
	v_mul_f64 v[165:166], v[5:6], v[183:184]
	s_waitcnt vmcnt(49)
	v_fma_f64 v[123:124], v[111:112], v[129:130], -v[123:124]
	v_fma_f64 v[129:130], v[113:114], v[129:130], v[151:152]
	ds_read_b128 v[111:114], v172 offset:1472
	v_add_f64 v[117:118], v[117:118], v[163:164]
	v_add_f64 v[115:116], v[115:116], v[155:156]
	s_waitcnt vmcnt(45) lgkmcnt(1)
	v_mul_f64 v[151:152], v[1:2], v[135:136]
	v_mul_f64 v[135:136], v[3:4], v[135:136]
	s_waitcnt vmcnt(44)
	v_fma_f64 v[155:156], v[5:6], v[189:190], -v[169:170]
	v_add_f64 v[117:118], v[117:118], v[123:124]
	v_fma_f64 v[123:124], v[7:8], v[189:190], v[165:166]
	v_add_f64 v[115:116], v[115:116], v[129:130]
	ds_read_b128 v[5:8], v172 offset:1488
	s_waitcnt vmcnt(43) lgkmcnt(1)
	v_mul_f64 v[163:164], v[113:114], v[177:178]
	v_mul_f64 v[129:130], v[111:112], v[177:178]
	s_waitcnt vmcnt(41)
	v_fma_f64 v[135:136], v[1:2], v[127:128], -v[135:136]
	v_fma_f64 v[127:128], v[3:4], v[127:128], v[151:152]
	ds_read_b128 v[1:4], v172 offset:1504
	v_add_f64 v[117:118], v[117:118], v[155:156]
	v_add_f64 v[115:116], v[115:116], v[123:124]
	s_waitcnt vmcnt(37) lgkmcnt(1)
	v_mul_f64 v[123:124], v[5:6], v[121:122]
	v_mul_f64 v[121:122], v[7:8], v[121:122]
	s_waitcnt vmcnt(36)
	v_fma_f64 v[151:152], v[111:112], v[191:192], -v[163:164]
	v_fma_f64 v[129:130], v[113:114], v[191:192], v[129:130]
	ds_read_b128 v[111:114], v172 offset:1520
	v_add_f64 v[117:118], v[117:118], v[135:136]
	v_add_f64 v[115:116], v[115:116], v[127:128]
	s_waitcnt vmcnt(35) lgkmcnt(1)
	v_mul_f64 v[135:136], v[3:4], v[139:140]
	v_mul_f64 v[127:128], v[1:2], v[139:140]
	s_waitcnt vmcnt(33)
	v_fma_f64 v[121:122], v[5:6], v[133:134], -v[121:122]
	v_fma_f64 v[123:124], v[7:8], v[133:134], v[123:124]
	ds_read_b128 v[5:8], v172 offset:1536
	v_add_f64 v[117:118], v[117:118], v[151:152]
	v_add_f64 v[115:116], v[115:116], v[129:130]
	s_waitcnt vmcnt(29) lgkmcnt(1)
	v_mul_f64 v[129:130], v[111:112], v[125:126]
	v_mul_f64 v[125:126], v[113:114], v[125:126]
	s_waitcnt vmcnt(28)
	v_fma_f64 v[133:134], v[1:2], v[187:188], -v[135:136]
	v_add_f64 v[117:118], v[117:118], v[121:122]
	v_fma_f64 v[121:122], v[3:4], v[187:188], v[127:128]
	v_add_f64 v[115:116], v[115:116], v[123:124]
	ds_read_b128 v[1:4], v172 offset:1552
	s_waitcnt vmcnt(27) lgkmcnt(1)
	v_mul_f64 v[127:128], v[7:8], v[147:148]
	v_mul_f64 v[123:124], v[5:6], v[147:148]
	s_waitcnt vmcnt(25)
	v_fma_f64 v[125:126], v[111:112], v[143:144], -v[125:126]
	v_fma_f64 v[129:130], v[113:114], v[143:144], v[129:130]
	ds_read_b128 v[111:114], v172 offset:1568
	v_add_f64 v[117:118], v[117:118], v[133:134]
	v_add_f64 v[115:116], v[115:116], v[121:122]
	s_waitcnt vmcnt(21) lgkmcnt(1)
	v_mul_f64 v[121:122], v[1:2], v[131:132]
	v_mul_f64 v[131:132], v[3:4], v[131:132]
	s_waitcnt vmcnt(20)
	v_fma_f64 v[127:128], v[5:6], v[179:180], -v[127:128]
	v_fma_f64 v[123:124], v[7:8], v[179:180], v[123:124]
	ds_read_b128 v[5:8], v172 offset:1584
	v_add_f64 v[117:118], v[117:118], v[125:126]
	v_add_f64 v[115:116], v[115:116], v[129:130]
	;; [unrolled: 9-line block ×3, first 2 shown]
	s_waitcnt vmcnt(13) lgkmcnt(1)
	v_mul_f64 v[127:128], v[7:8], v[137:138]
	s_waitcnt vmcnt(12)
	v_fma_f64 v[129:130], v[111:112], v[173:174], -v[129:130]
	v_mul_f64 v[123:124], v[5:6], v[137:138]
	v_fma_f64 v[125:126], v[113:114], v[173:174], v[125:126]
	ds_read_b128 v[111:114], v172 offset:1616
	v_add_f64 v[117:118], v[117:118], v[131:132]
	v_add_f64 v[115:116], v[115:116], v[121:122]
	s_waitcnt vmcnt(11) lgkmcnt(1)
	v_mul_f64 v[131:132], v[3:4], v[161:162]
	v_mul_f64 v[121:122], v[1:2], v[161:162]
	s_waitcnt vmcnt(9)
	v_fma_f64 v[5:6], v[5:6], v[149:150], -v[127:128]
	v_fma_f64 v[7:8], v[7:8], v[149:150], v[123:124]
	v_add_f64 v[117:118], v[117:118], v[129:130]
	v_add_f64 v[115:116], v[115:116], v[125:126]
	s_waitcnt vmcnt(7) lgkmcnt(0)
	v_mul_f64 v[125:126], v[113:114], v[145:146]
	s_waitcnt vmcnt(6)
	v_fma_f64 v[1:2], v[1:2], v[167:168], -v[131:132]
	v_mul_f64 v[123:124], v[111:112], v[145:146]
	v_fma_f64 v[3:4], v[3:4], v[167:168], v[121:122]
	v_add_f64 v[5:6], v[117:118], v[5:6]
	v_add_f64 v[7:8], v[115:116], v[7:8]
	s_waitcnt vmcnt(4)
	v_fma_f64 v[111:112], v[111:112], v[119:120], -v[125:126]
	v_add_f64 v[1:2], v[5:6], v[1:2]
	v_fma_f64 v[5:6], v[113:114], v[119:120], v[123:124]
	v_add_f64 v[3:4], v[7:8], v[3:4]
	v_add_f64 v[1:2], v[1:2], v[111:112]
	;; [unrolled: 1-line block ×3, first 2 shown]
	s_waitcnt vmcnt(2)
	v_add_f64 v[1:2], v[157:158], -v[1:2]
	s_waitcnt vmcnt(0)
	v_add_f64 v[3:4], v[159:160], -v[3:4]
	buffer_store_dword v2, off, s[0:3], 0 offset:52
	buffer_store_dword v1, off, s[0:3], 0 offset:48
	;; [unrolled: 1-line block ×4, first 2 shown]
	v_cmpx_lt_u32_e32 1, v0
	s_cbranch_execz .LBB114_317
; %bb.316:
	v_mov_b32_e32 v4, s62
	v_mov_b32_e32 v5, 0
	s_clause 0x3
	buffer_load_dword v1, v4, s[0:3], 0 offen
	buffer_load_dword v2, v4, s[0:3], 0 offen offset:4
	buffer_load_dword v3, v4, s[0:3], 0 offen offset:8
	buffer_load_dword v4, v4, s[0:3], 0 offen offset:12
	buffer_store_dword v5, off, s[0:3], 0 offset:32
	buffer_store_dword v5, off, s[0:3], 0 offset:36
	;; [unrolled: 1-line block ×4, first 2 shown]
	s_waitcnt vmcnt(0)
	ds_write_b128 v171, v[1:4]
.LBB114_317:
	s_or_b32 exec_lo, exec_lo, s4
	s_waitcnt lgkmcnt(0)
	s_waitcnt_vscnt null, 0x0
	s_barrier
	buffer_gl0_inv
	s_clause 0x37
	buffer_load_dword v119, off, s[0:3], 0 offset:56
	buffer_load_dword v120, off, s[0:3], 0 offset:60
	;; [unrolled: 1-line block ×56, first 2 shown]
	v_mov_b32_e32 v172, 0
	s_mov_b32 s4, exec_lo
	ds_read_b128 v[5:8], v172 offset:848
	s_clause 0x2
	buffer_load_dword v168, off, s[0:3], 0 offset:284
	buffer_load_dword v170, off, s[0:3], 0 offset:260
	;; [unrolled: 1-line block ×3, first 2 shown]
	ds_read_b128 v[1:4], v172 offset:864
	s_clause 0x4
	buffer_load_dword v180, off, s[0:3], 0 offset:300
	buffer_load_dword v181, off, s[0:3], 0 offset:312
	;; [unrolled: 1-line block ×5, first 2 shown]
	ds_read_b128 v[173:176], v172 offset:880
	s_waitcnt vmcnt(62) lgkmcnt(2)
	v_mul_f64 v[177:178], v[7:8], v[119:120]
	v_mul_f64 v[119:120], v[5:6], v[119:120]
	s_waitcnt vmcnt(60) lgkmcnt(1)
	v_mul_f64 v[184:185], v[3:4], v[115:116]
	v_mul_f64 v[115:116], v[1:2], v[115:116]
	;; [unrolled: 3-line block ×3, first 2 shown]
	v_fma_f64 v[177:178], v[5:6], v[117:118], -v[177:178]
	v_fma_f64 v[117:118], v[7:8], v[117:118], v[119:120]
	s_clause 0x2
	buffer_load_dword v182, off, s[0:3], 0 offset:316
	buffer_load_dword v120, off, s[0:3], 0 offset:292
	;; [unrolled: 1-line block ×3, first 2 shown]
	s_waitcnt vmcnt(57)
	v_fma_f64 v[188:189], v[1:2], v[111:112], -v[184:185]
	ds_read_b128 v[5:8], v172 offset:896
	v_fma_f64 v[111:112], v[3:4], v[111:112], v[115:116]
	s_waitcnt vmcnt(51)
	v_fma_f64 v[173:174], v[173:174], v[135:136], -v[113:114]
	v_fma_f64 v[135:136], v[175:176], v[135:136], v[186:187]
	v_add_f64 v[177:178], v[177:178], 0
	v_add_f64 v[115:116], v[117:118], 0
	s_clause 0x4
	buffer_load_dword v118, off, s[0:3], 0 offset:332
	buffer_load_dword v185, off, s[0:3], 0 offset:344
	;; [unrolled: 1-line block ×5, first 2 shown]
	s_waitcnt lgkmcnt(0)
	v_mul_f64 v[191:192], v[5:6], v[123:124]
	v_mul_f64 v[123:124], v[7:8], v[123:124]
	ds_read_b128 v[1:4], v172 offset:912
	s_clause 0x2
	buffer_load_dword v186, off, s[0:3], 0 offset:348
	buffer_load_dword v176, off, s[0:3], 0 offset:324
	;; [unrolled: 1-line block ×3, first 2 shown]
	v_add_f64 v[177:178], v[177:178], v[188:189]
	v_add_f64 v[115:116], v[115:116], v[111:112]
	ds_read_b128 v[111:114], v172 offset:928
	s_waitcnt vmcnt(58) lgkmcnt(1)
	v_mul_f64 v[187:188], v[1:2], v[127:128]
	v_mul_f64 v[127:128], v[3:4], v[127:128]
	s_waitcnt vmcnt(56)
	v_fma_f64 v[123:124], v[5:6], v[129:130], -v[123:124]
	v_fma_f64 v[129:130], v[7:8], v[129:130], v[191:192]
	s_waitcnt vmcnt(52) lgkmcnt(0)
	v_mul_f64 v[193:194], v[111:112], v[131:132]
	v_add_f64 v[173:174], v[177:178], v[173:174]
	v_add_f64 v[115:116], v[115:116], v[135:136]
	s_clause 0x4
	buffer_load_dword v136, off, s[0:3], 0 offset:364
	buffer_load_dword v177, off, s[0:3], 0 offset:376
	;; [unrolled: 1-line block ×5, first 2 shown]
	v_mul_f64 v[131:132], v[113:114], v[131:132]
	s_waitcnt vmcnt(56)
	v_fma_f64 v[127:128], v[1:2], v[121:122], -v[127:128]
	ds_read_b128 v[5:8], v172 offset:944
	v_fma_f64 v[121:122], v[3:4], v[121:122], v[187:188]
	v_add_f64 v[123:124], v[173:174], v[123:124]
	v_add_f64 v[115:116], v[115:116], v[129:130]
	s_clause 0x2
	buffer_load_dword v178, off, s[0:3], 0 offset:380
	buffer_load_dword v130, off, s[0:3], 0 offset:356
	;; [unrolled: 1-line block ×3, first 2 shown]
	s_waitcnt vmcnt(58) lgkmcnt(0)
	v_mul_f64 v[173:174], v[5:6], v[137:138]
	v_mul_f64 v[137:138], v[7:8], v[137:138]
	s_waitcnt vmcnt(56)
	v_fma_f64 v[131:132], v[111:112], v[139:140], -v[131:132]
	ds_read_b128 v[1:4], v172 offset:960
	v_add_f64 v[123:124], v[123:124], v[127:128]
	v_fma_f64 v[127:128], v[113:114], v[139:140], v[193:194]
	v_add_f64 v[115:116], v[115:116], v[121:122]
	s_clause 0x4
	buffer_load_dword v122, off, s[0:3], 0 offset:396
	buffer_load_dword v139, off, s[0:3], 0 offset:408
	;; [unrolled: 1-line block ×5, first 2 shown]
	s_waitcnt vmcnt(57) lgkmcnt(0)
	v_mul_f64 v[188:189], v[1:2], v[141:142]
	v_mul_f64 v[141:142], v[3:4], v[141:142]
	s_waitcnt vmcnt(56)
	v_fma_f64 v[137:138], v[5:6], v[125:126], -v[137:138]
	ds_read_b128 v[111:114], v172 offset:976
	v_fma_f64 v[125:126], v[7:8], v[125:126], v[173:174]
	v_add_f64 v[123:124], v[123:124], v[131:132]
	v_add_f64 v[115:116], v[115:116], v[127:128]
	s_clause 0x2
	buffer_load_dword v140, off, s[0:3], 0 offset:412
	buffer_load_dword v128, off, s[0:3], 0 offset:388
	;; [unrolled: 1-line block ×3, first 2 shown]
	ds_read_b128 v[5:8], v172 offset:992
	s_waitcnt vmcnt(58) lgkmcnt(1)
	v_mul_f64 v[131:132], v[111:112], v[145:146]
	v_mul_f64 v[145:146], v[113:114], v[145:146]
	s_waitcnt vmcnt(56)
	v_fma_f64 v[141:142], v[1:2], v[147:148], -v[141:142]
	v_add_f64 v[123:124], v[123:124], v[137:138]
	v_fma_f64 v[137:138], v[3:4], v[147:148], v[188:189]
	v_add_f64 v[115:116], v[115:116], v[125:126]
	s_clause 0x4
	buffer_load_dword v126, off, s[0:3], 0 offset:428
	buffer_load_dword v147, off, s[0:3], 0 offset:440
	;; [unrolled: 1-line block ×5, first 2 shown]
	s_waitcnt vmcnt(57) lgkmcnt(0)
	v_mul_f64 v[194:195], v[5:6], v[149:150]
	v_mul_f64 v[149:150], v[7:8], v[149:150]
	s_waitcnt vmcnt(56)
	v_fma_f64 v[145:146], v[111:112], v[133:134], -v[145:146]
	ds_read_b128 v[1:4], v172 offset:1008
	v_fma_f64 v[131:132], v[113:114], v[133:134], v[131:132]
	s_clause 0x2
	buffer_load_dword v148, off, s[0:3], 0 offset:444
	buffer_load_dword v134, off, s[0:3], 0 offset:420
	;; [unrolled: 1-line block ×3, first 2 shown]
	ds_read_b128 v[111:114], v172 offset:1024
	v_add_f64 v[123:124], v[123:124], v[141:142]
	v_add_f64 v[115:116], v[115:116], v[137:138]
	s_waitcnt vmcnt(58) lgkmcnt(1)
	v_mul_f64 v[141:142], v[3:4], v[153:154]
	s_waitcnt vmcnt(56)
	v_fma_f64 v[149:150], v[5:6], v[155:156], -v[149:150]
	v_mul_f64 v[137:138], v[1:2], v[153:154]
	v_add_f64 v[123:124], v[123:124], v[145:146]
	v_fma_f64 v[145:146], v[7:8], v[155:156], v[194:195]
	v_add_f64 v[115:116], v[115:116], v[131:132]
	s_clause 0x4
	buffer_load_dword v132, off, s[0:3], 0 offset:460
	buffer_load_dword v153, off, s[0:3], 0 offset:472
	;; [unrolled: 1-line block ×5, first 2 shown]
	s_waitcnt vmcnt(57) lgkmcnt(0)
	v_mul_f64 v[194:195], v[111:112], v[157:158]
	v_mul_f64 v[156:157], v[113:114], v[157:158]
	s_waitcnt vmcnt(56)
	v_fma_f64 v[141:142], v[1:2], v[143:144], -v[141:142]
	ds_read_b128 v[5:8], v172 offset:1040
	v_fma_f64 v[137:138], v[3:4], v[143:144], v[137:138]
	s_clause 0x2
	buffer_load_dword v154, off, s[0:3], 0 offset:476
	buffer_load_dword v144, off, s[0:3], 0 offset:452
	;; [unrolled: 1-line block ×3, first 2 shown]
	ds_read_b128 v[1:4], v172 offset:1056
	v_add_f64 v[123:124], v[123:124], v[149:150]
	v_add_f64 v[115:116], v[115:116], v[145:146]
	s_waitcnt vmcnt(58) lgkmcnt(1)
	v_mul_f64 v[149:150], v[7:8], v[161:162]
	s_waitcnt vmcnt(56)
	v_fma_f64 v[157:158], v[111:112], v[163:164], -v[156:157]
	v_mul_f64 v[145:146], v[5:6], v[161:162]
	v_add_f64 v[123:124], v[123:124], v[141:142]
	v_fma_f64 v[141:142], v[113:114], v[163:164], v[194:195]
	v_add_f64 v[115:116], v[115:116], v[137:138]
	s_clause 0x4
	buffer_load_dword v138, off, s[0:3], 0 offset:492
	buffer_load_dword v161, off, s[0:3], 0 offset:504
	;; [unrolled: 1-line block ×5, first 2 shown]
	s_waitcnt vmcnt(57) lgkmcnt(0)
	v_mul_f64 v[194:195], v[1:2], v[165:166]
	v_mul_f64 v[164:165], v[3:4], v[165:166]
	s_waitcnt vmcnt(56)
	v_fma_f64 v[149:150], v[5:6], v[151:152], -v[149:150]
	ds_read_b128 v[111:114], v172 offset:1072
	v_fma_f64 v[145:146], v[7:8], v[151:152], v[145:146]
	v_add_f64 v[123:124], v[123:124], v[157:158]
	v_add_f64 v[115:116], v[115:116], v[141:142]
	s_clause 0x2
	buffer_load_dword v162, off, s[0:3], 0 offset:508
	buffer_load_dword v142, off, s[0:3], 0 offset:484
	buffer_load_dword v141, off, s[0:3], 0 offset:480
	ds_read_b128 v[5:8], v172 offset:1088
	s_waitcnt vmcnt(58) lgkmcnt(1)
	v_mul_f64 v[157:158], v[113:114], v[167:168]
	s_waitcnt vmcnt(56)
	v_fma_f64 v[165:166], v[1:2], v[169:170], -v[164:165]
	v_mul_f64 v[151:152], v[111:112], v[167:168]
	v_add_f64 v[123:124], v[123:124], v[149:150]
	v_fma_f64 v[149:150], v[3:4], v[169:170], v[194:195]
	v_add_f64 v[115:116], v[115:116], v[145:146]
	s_clause 0x4
	buffer_load_dword v146, off, s[0:3], 0 offset:524
	buffer_load_dword v167, off, s[0:3], 0 offset:536
	;; [unrolled: 1-line block ×5, first 2 shown]
	s_waitcnt vmcnt(57) lgkmcnt(0)
	v_mul_f64 v[194:195], v[5:6], v[179:180]
	v_mul_f64 v[179:180], v[7:8], v[179:180]
	s_waitcnt vmcnt(56)
	v_fma_f64 v[157:158], v[111:112], v[159:160], -v[157:158]
	ds_read_b128 v[1:4], v172 offset:1104
	v_fma_f64 v[151:152], v[113:114], v[159:160], v[151:152]
	v_add_f64 v[123:124], v[123:124], v[165:166]
	v_add_f64 v[115:116], v[115:116], v[149:150]
	s_clause 0x2
	buffer_load_dword v168, off, s[0:3], 0 offset:540
	buffer_load_dword v150, off, s[0:3], 0 offset:516
	;; [unrolled: 1-line block ×3, first 2 shown]
	ds_read_b128 v[111:114], v172 offset:1120
	s_waitcnt vmcnt(58) lgkmcnt(1)
	v_mul_f64 v[165:166], v[3:4], v[181:182]
	v_mul_f64 v[159:160], v[1:2], v[181:182]
	s_waitcnt vmcnt(56)
	v_fma_f64 v[179:180], v[5:6], v[119:120], -v[179:180]
	v_fma_f64 v[119:120], v[7:8], v[119:120], v[194:195]
	v_add_f64 v[123:124], v[123:124], v[157:158]
	v_add_f64 v[115:116], v[115:116], v[151:152]
	s_clause 0x4
	buffer_load_dword v152, off, s[0:3], 0 offset:556
	buffer_load_dword v157, off, s[0:3], 0 offset:568
	;; [unrolled: 1-line block ×5, first 2 shown]
	ds_read_b128 v[5:8], v172 offset:1136
	s_waitcnt vmcnt(57) lgkmcnt(1)
	v_mul_f64 v[194:195], v[111:112], v[117:118]
	v_mul_f64 v[117:118], v[113:114], v[117:118]
	s_waitcnt vmcnt(56)
	v_fma_f64 v[165:166], v[1:2], v[183:184], -v[165:166]
	v_fma_f64 v[159:160], v[3:4], v[183:184], v[159:160]
	v_add_f64 v[123:124], v[123:124], v[179:180]
	v_add_f64 v[115:116], v[115:116], v[119:120]
	s_clause 0x2
	buffer_load_dword v158, off, s[0:3], 0 offset:572
	buffer_load_dword v120, off, s[0:3], 0 offset:548
	;; [unrolled: 1-line block ×3, first 2 shown]
	s_waitcnt vmcnt(58) lgkmcnt(0)
	v_mul_f64 v[183:184], v[7:8], v[185:186]
	ds_read_b128 v[1:4], v172 offset:1152
	v_mul_f64 v[179:180], v[5:6], v[185:186]
	s_waitcnt vmcnt(56)
	v_fma_f64 v[117:118], v[111:112], v[175:176], -v[117:118]
	v_add_f64 v[123:124], v[123:124], v[165:166]
	v_fma_f64 v[165:166], v[113:114], v[175:176], v[194:195]
	v_add_f64 v[115:116], v[115:116], v[159:160]
	s_clause 0x4
	buffer_load_dword v160, off, s[0:3], 0 offset:588
	buffer_load_dword v175, off, s[0:3], 0 offset:600
	;; [unrolled: 1-line block ×5, first 2 shown]
	ds_read_b128 v[111:114], v172 offset:1168
	s_waitcnt vmcnt(57) lgkmcnt(1)
	v_mul_f64 v[194:195], v[1:2], v[135:136]
	v_mul_f64 v[135:136], v[3:4], v[135:136]
	s_waitcnt vmcnt(56)
	v_fma_f64 v[183:184], v[5:6], v[190:191], -v[183:184]
	v_add_f64 v[117:118], v[123:124], v[117:118]
	v_fma_f64 v[123:124], v[7:8], v[190:191], v[179:180]
	v_add_f64 v[115:116], v[115:116], v[165:166]
	s_clause 0x2
	buffer_load_dword v176, off, s[0:3], 0 offset:604
	buffer_load_dword v166, off, s[0:3], 0 offset:580
	;; [unrolled: 1-line block ×3, first 2 shown]
	ds_read_b128 v[5:8], v172 offset:1184
	s_waitcnt vmcnt(58) lgkmcnt(1)
	v_mul_f64 v[179:180], v[111:112], v[177:178]
	v_mul_f64 v[177:178], v[113:114], v[177:178]
	s_waitcnt vmcnt(56)
	v_fma_f64 v[135:136], v[1:2], v[129:130], -v[135:136]
	v_fma_f64 v[129:130], v[3:4], v[129:130], v[194:195]
	v_add_f64 v[117:118], v[117:118], v[183:184]
	v_add_f64 v[115:116], v[115:116], v[123:124]
	s_clause 0x4
	buffer_load_dword v124, off, s[0:3], 0 offset:620
	buffer_load_dword v183, off, s[0:3], 0 offset:632
	;; [unrolled: 1-line block ×5, first 2 shown]
	ds_read_b128 v[1:4], v172 offset:1200
	s_waitcnt vmcnt(57) lgkmcnt(1)
	v_mul_f64 v[190:191], v[5:6], v[121:122]
	v_mul_f64 v[121:122], v[7:8], v[121:122]
	s_waitcnt vmcnt(56)
	v_fma_f64 v[177:178], v[111:112], v[192:193], -v[177:178]
	v_add_f64 v[117:118], v[117:118], v[135:136]
	v_fma_f64 v[135:136], v[113:114], v[192:193], v[179:180]
	v_add_f64 v[115:116], v[115:116], v[129:130]
	s_clause 0x2
	buffer_load_dword v184, off, s[0:3], 0 offset:636
	buffer_load_dword v130, off, s[0:3], 0 offset:612
	;; [unrolled: 1-line block ×3, first 2 shown]
	ds_read_b128 v[111:114], v172 offset:1216
	s_waitcnt vmcnt(58) lgkmcnt(1)
	v_mul_f64 v[179:180], v[1:2], v[139:140]
	v_mul_f64 v[139:140], v[3:4], v[139:140]
	s_waitcnt vmcnt(56)
	v_fma_f64 v[121:122], v[5:6], v[127:128], -v[121:122]
	v_fma_f64 v[127:128], v[7:8], v[127:128], v[190:191]
	v_add_f64 v[117:118], v[117:118], v[177:178]
	v_add_f64 v[115:116], v[115:116], v[135:136]
	s_clause 0x4
	buffer_load_dword v136, off, s[0:3], 0 offset:652
	buffer_load_dword v177, off, s[0:3], 0 offset:664
	;; [unrolled: 1-line block ×5, first 2 shown]
	ds_read_b128 v[5:8], v172 offset:1232
	s_waitcnt vmcnt(57) lgkmcnt(1)
	v_mul_f64 v[192:193], v[111:112], v[125:126]
	v_mul_f64 v[125:126], v[113:114], v[125:126]
	s_waitcnt vmcnt(56)
	v_fma_f64 v[139:140], v[1:2], v[187:188], -v[139:140]
	v_add_f64 v[117:118], v[117:118], v[121:122]
	v_fma_f64 v[121:122], v[3:4], v[187:188], v[179:180]
	v_add_f64 v[115:116], v[115:116], v[127:128]
	s_clause 0x2
	buffer_load_dword v178, off, s[0:3], 0 offset:668
	buffer_load_dword v128, off, s[0:3], 0 offset:644
	;; [unrolled: 1-line block ×3, first 2 shown]
	s_waitcnt vmcnt(58) lgkmcnt(0)
	v_mul_f64 v[179:180], v[5:6], v[147:148]
	v_mul_f64 v[147:148], v[7:8], v[147:148]
	ds_read_b128 v[1:4], v172 offset:1248
	s_waitcnt vmcnt(56)
	v_fma_f64 v[125:126], v[111:112], v[133:134], -v[125:126]
	v_fma_f64 v[133:134], v[113:114], v[133:134], v[192:193]
	v_add_f64 v[117:118], v[117:118], v[139:140]
	v_add_f64 v[115:116], v[115:116], v[121:122]
	s_clause 0x4
	buffer_load_dword v122, off, s[0:3], 0 offset:684
	buffer_load_dword v139, off, s[0:3], 0 offset:696
	;; [unrolled: 1-line block ×5, first 2 shown]
	ds_read_b128 v[111:114], v172 offset:1264
	s_waitcnt vmcnt(57) lgkmcnt(1)
	v_mul_f64 v[193:194], v[1:2], v[131:132]
	v_mul_f64 v[131:132], v[3:4], v[131:132]
	s_waitcnt vmcnt(56)
	v_fma_f64 v[147:148], v[5:6], v[173:174], -v[147:148]
	v_add_f64 v[117:118], v[117:118], v[125:126]
	v_fma_f64 v[125:126], v[7:8], v[173:174], v[179:180]
	v_add_f64 v[115:116], v[115:116], v[133:134]
	s_clause 0x2
	buffer_load_dword v140, off, s[0:3], 0 offset:700
	buffer_load_dword v134, off, s[0:3], 0 offset:676
	;; [unrolled: 1-line block ×3, first 2 shown]
	s_waitcnt vmcnt(58) lgkmcnt(0)
	v_mul_f64 v[173:174], v[111:112], v[153:154]
	v_mul_f64 v[153:154], v[113:114], v[153:154]
	ds_read_b128 v[5:8], v172 offset:1280
	s_waitcnt vmcnt(56)
	v_fma_f64 v[131:132], v[1:2], v[143:144], -v[131:132]
	v_fma_f64 v[143:144], v[3:4], v[143:144], v[193:194]
	v_add_f64 v[117:118], v[117:118], v[147:148]
	v_add_f64 v[115:116], v[115:116], v[125:126]
	s_clause 0x4
	buffer_load_dword v126, off, s[0:3], 0 offset:716
	buffer_load_dword v147, off, s[0:3], 0 offset:728
	buffer_load_dword v179, off, s[0:3], 0 offset:720
	buffer_load_dword v125, off, s[0:3], 0 offset:712
	buffer_load_dword v188, off, s[0:3], 0 offset:692
	ds_read_b128 v[1:4], v172 offset:1296
	s_waitcnt vmcnt(57) lgkmcnt(1)
	v_mul_f64 v[193:194], v[5:6], v[137:138]
	v_mul_f64 v[137:138], v[7:8], v[137:138]
	s_waitcnt vmcnt(56)
	v_fma_f64 v[153:154], v[111:112], v[155:156], -v[153:154]
	v_add_f64 v[117:118], v[117:118], v[131:132]
	v_fma_f64 v[131:132], v[113:114], v[155:156], v[173:174]
	v_add_f64 v[115:116], v[115:116], v[143:144]
	s_clause 0x2
	buffer_load_dword v148, off, s[0:3], 0 offset:732
	buffer_load_dword v144, off, s[0:3], 0 offset:708
	buffer_load_dword v143, off, s[0:3], 0 offset:704
	ds_read_b128 v[111:114], v172 offset:1312
	s_waitcnt vmcnt(58) lgkmcnt(1)
	v_mul_f64 v[155:156], v[1:2], v[161:162]
	v_mul_f64 v[161:162], v[3:4], v[161:162]
	s_waitcnt vmcnt(56)
	v_fma_f64 v[137:138], v[5:6], v[141:142], -v[137:138]
	v_fma_f64 v[141:142], v[7:8], v[141:142], v[193:194]
	v_add_f64 v[117:118], v[117:118], v[153:154]
	v_add_f64 v[115:116], v[115:116], v[131:132]
	s_clause 0x4
	buffer_load_dword v132, off, s[0:3], 0 offset:748
	buffer_load_dword v153, off, s[0:3], 0 offset:760
	buffer_load_dword v173, off, s[0:3], 0 offset:752
	buffer_load_dword v131, off, s[0:3], 0 offset:744
	buffer_load_dword v180, off, s[0:3], 0 offset:724
	ds_read_b128 v[5:8], v172 offset:1328
	s_waitcnt vmcnt(57) lgkmcnt(1)
	v_mul_f64 v[193:194], v[111:112], v[145:146]
	v_mul_f64 v[145:146], v[113:114], v[145:146]
	s_waitcnt vmcnt(56)
	v_fma_f64 v[161:162], v[1:2], v[163:164], -v[161:162]
	v_add_f64 v[117:118], v[117:118], v[137:138]
	v_fma_f64 v[137:138], v[3:4], v[163:164], v[155:156]
	v_add_f64 v[115:116], v[115:116], v[141:142]
	s_clause 0x2
	buffer_load_dword v154, off, s[0:3], 0 offset:764
	buffer_load_dword v142, off, s[0:3], 0 offset:740
	buffer_load_dword v141, off, s[0:3], 0 offset:736
	ds_read_b128 v[1:4], v172 offset:1344
	s_waitcnt vmcnt(58) lgkmcnt(1)
	v_mul_f64 v[163:164], v[7:8], v[167:168]
	v_mul_f64 v[155:156], v[5:6], v[167:168]
	s_waitcnt vmcnt(56)
	v_fma_f64 v[145:146], v[111:112], v[149:150], -v[145:146]
	v_fma_f64 v[149:150], v[113:114], v[149:150], v[193:194]
	v_add_f64 v[117:118], v[117:118], v[161:162]
	v_add_f64 v[115:116], v[115:116], v[137:138]
	s_clause 0x4
	buffer_load_dword v138, off, s[0:3], 0 offset:780
	buffer_load_dword v161, off, s[0:3], 0 offset:792
	buffer_load_dword v167, off, s[0:3], 0 offset:784
	buffer_load_dword v137, off, s[0:3], 0 offset:776
	buffer_load_dword v174, off, s[0:3], 0 offset:756
	ds_read_b128 v[111:114], v172 offset:1360
	s_waitcnt vmcnt(57) lgkmcnt(1)
	v_mul_f64 v[193:194], v[1:2], v[151:152]
	v_mul_f64 v[151:152], v[3:4], v[151:152]
	s_waitcnt vmcnt(56)
	v_fma_f64 v[163:164], v[5:6], v[169:170], -v[163:164]
	v_add_f64 v[117:118], v[117:118], v[145:146]
	v_fma_f64 v[145:146], v[7:8], v[169:170], v[155:156]
	v_add_f64 v[115:116], v[115:116], v[149:150]
	s_clause 0x2
	buffer_load_dword v162, off, s[0:3], 0 offset:796
	buffer_load_dword v150, off, s[0:3], 0 offset:772
	buffer_load_dword v149, off, s[0:3], 0 offset:768
	ds_read_b128 v[5:8], v172 offset:1376
	s_waitcnt vmcnt(58) lgkmcnt(1)
	v_mul_f64 v[155:156], v[111:112], v[157:158]
	v_mul_f64 v[157:158], v[113:114], v[157:158]
	s_waitcnt vmcnt(56)
	v_fma_f64 v[151:152], v[1:2], v[119:120], -v[151:152]
	v_fma_f64 v[119:120], v[3:4], v[119:120], v[193:194]
	v_add_f64 v[117:118], v[117:118], v[163:164]
	v_add_f64 v[115:116], v[115:116], v[145:146]
	s_clause 0x4
	buffer_load_dword v146, off, s[0:3], 0 offset:812
	buffer_load_dword v163, off, s[0:3], 0 offset:824
	buffer_load_dword v169, off, s[0:3], 0 offset:816
	buffer_load_dword v145, off, s[0:3], 0 offset:808
	buffer_load_dword v168, off, s[0:3], 0 offset:788
	ds_read_b128 v[1:4], v172 offset:1392
	s_waitcnt vmcnt(57) lgkmcnt(1)
	v_mul_f64 v[193:194], v[5:6], v[159:160]
	v_mul_f64 v[159:160], v[7:8], v[159:160]
	s_waitcnt vmcnt(56)
	v_fma_f64 v[157:158], v[111:112], v[181:182], -v[157:158]
	v_add_f64 v[117:118], v[117:118], v[151:152]
	v_fma_f64 v[151:152], v[113:114], v[181:182], v[155:156]
	v_add_f64 v[115:116], v[115:116], v[119:120]
	s_clause 0x2
	buffer_load_dword v164, off, s[0:3], 0 offset:828
	buffer_load_dword v120, off, s[0:3], 0 offset:804
	;; [unrolled: 1-line block ×3, first 2 shown]
	ds_read_b128 v[111:114], v172 offset:1408
	buffer_load_dword v170, off, s[0:3], 0 offset:820
	s_waitcnt vmcnt(59) lgkmcnt(1)
	v_mul_f64 v[155:156], v[1:2], v[175:176]
	v_mul_f64 v[175:176], v[3:4], v[175:176]
	s_waitcnt vmcnt(57)
	v_fma_f64 v[159:160], v[5:6], v[165:166], -v[159:160]
	v_add_f64 v[117:118], v[117:118], v[157:158]
	v_fma_f64 v[157:158], v[7:8], v[165:166], v[193:194]
	v_add_f64 v[115:116], v[115:116], v[151:152]
	ds_read_b128 v[5:8], v172 offset:1424
	s_waitcnt vmcnt(53) lgkmcnt(1)
	v_mul_f64 v[151:152], v[111:112], v[123:124]
	v_mul_f64 v[123:124], v[113:114], v[123:124]
	s_waitcnt vmcnt(52)
	v_fma_f64 v[165:166], v[1:2], v[185:186], -v[175:176]
	v_fma_f64 v[155:156], v[3:4], v[185:186], v[155:156]
	ds_read_b128 v[1:4], v172 offset:1440
	v_add_f64 v[117:118], v[117:118], v[159:160]
	v_add_f64 v[115:116], v[115:116], v[157:158]
	s_waitcnt vmcnt(51) lgkmcnt(1)
	v_mul_f64 v[159:160], v[7:8], v[183:184]
	v_mul_f64 v[157:158], v[5:6], v[183:184]
	s_waitcnt vmcnt(49)
	v_fma_f64 v[123:124], v[111:112], v[129:130], -v[123:124]
	v_fma_f64 v[129:130], v[113:114], v[129:130], v[151:152]
	v_add_f64 v[117:118], v[117:118], v[165:166]
	v_add_f64 v[115:116], v[115:116], v[155:156]
	s_clause 0x3
	buffer_load_dword v151, off, s[0:3], 0 offset:32
	buffer_load_dword v152, off, s[0:3], 0 offset:36
	;; [unrolled: 1-line block ×4, first 2 shown]
	ds_read_b128 v[111:114], v172 offset:1456
	s_waitcnt vmcnt(49) lgkmcnt(1)
	v_mul_f64 v[165:166], v[1:2], v[135:136]
	v_mul_f64 v[135:136], v[3:4], v[135:136]
	s_waitcnt vmcnt(48)
	v_fma_f64 v[159:160], v[5:6], v[189:190], -v[159:160]
	v_add_f64 v[117:118], v[117:118], v[123:124]
	v_fma_f64 v[123:124], v[7:8], v[189:190], v[157:158]
	v_add_f64 v[115:116], v[115:116], v[129:130]
	ds_read_b128 v[5:8], v172 offset:1472
	s_waitcnt vmcnt(47) lgkmcnt(1)
	v_mul_f64 v[157:158], v[113:114], v[177:178]
	v_mul_f64 v[129:130], v[111:112], v[177:178]
	s_waitcnt vmcnt(45)
	v_fma_f64 v[135:136], v[1:2], v[127:128], -v[135:136]
	v_fma_f64 v[127:128], v[3:4], v[127:128], v[165:166]
	ds_read_b128 v[1:4], v172 offset:1488
	v_add_f64 v[117:118], v[117:118], v[159:160]
	v_add_f64 v[115:116], v[115:116], v[123:124]
	s_waitcnt vmcnt(41) lgkmcnt(1)
	v_mul_f64 v[123:124], v[5:6], v[121:122]
	v_mul_f64 v[121:122], v[7:8], v[121:122]
	s_waitcnt vmcnt(40)
	v_fma_f64 v[157:158], v[111:112], v[191:192], -v[157:158]
	v_fma_f64 v[129:130], v[113:114], v[191:192], v[129:130]
	ds_read_b128 v[111:114], v172 offset:1504
	v_add_f64 v[117:118], v[117:118], v[135:136]
	v_add_f64 v[115:116], v[115:116], v[127:128]
	;; [unrolled: 9-line block ×3, first 2 shown]
	s_waitcnt vmcnt(33) lgkmcnt(1)
	v_mul_f64 v[129:130], v[111:112], v[125:126]
	v_mul_f64 v[125:126], v[113:114], v[125:126]
	s_waitcnt vmcnt(32)
	v_fma_f64 v[133:134], v[1:2], v[187:188], -v[135:136]
	v_add_f64 v[117:118], v[117:118], v[121:122]
	v_fma_f64 v[121:122], v[3:4], v[187:188], v[127:128]
	v_add_f64 v[115:116], v[115:116], v[123:124]
	ds_read_b128 v[1:4], v172 offset:1536
	s_waitcnt vmcnt(31) lgkmcnt(1)
	v_mul_f64 v[127:128], v[7:8], v[147:148]
	v_mul_f64 v[123:124], v[5:6], v[147:148]
	s_waitcnt vmcnt(29)
	v_fma_f64 v[125:126], v[111:112], v[143:144], -v[125:126]
	v_fma_f64 v[129:130], v[113:114], v[143:144], v[129:130]
	ds_read_b128 v[111:114], v172 offset:1552
	v_add_f64 v[117:118], v[117:118], v[133:134]
	v_add_f64 v[115:116], v[115:116], v[121:122]
	s_waitcnt vmcnt(25) lgkmcnt(1)
	v_mul_f64 v[121:122], v[1:2], v[131:132]
	v_mul_f64 v[131:132], v[3:4], v[131:132]
	s_waitcnt vmcnt(24)
	v_fma_f64 v[127:128], v[5:6], v[179:180], -v[127:128]
	v_fma_f64 v[123:124], v[7:8], v[179:180], v[123:124]
	ds_read_b128 v[5:8], v172 offset:1568
	v_add_f64 v[117:118], v[117:118], v[125:126]
	v_add_f64 v[115:116], v[115:116], v[129:130]
	;; [unrolled: 9-line block ×3, first 2 shown]
	s_waitcnt vmcnt(17) lgkmcnt(1)
	v_mul_f64 v[127:128], v[7:8], v[137:138]
	s_waitcnt vmcnt(16)
	v_fma_f64 v[129:130], v[111:112], v[173:174], -v[129:130]
	v_mul_f64 v[123:124], v[5:6], v[137:138]
	v_fma_f64 v[125:126], v[113:114], v[173:174], v[125:126]
	ds_read_b128 v[111:114], v172 offset:1600
	v_add_f64 v[117:118], v[117:118], v[131:132]
	v_add_f64 v[115:116], v[115:116], v[121:122]
	s_waitcnt vmcnt(15) lgkmcnt(1)
	v_mul_f64 v[131:132], v[3:4], v[161:162]
	v_mul_f64 v[121:122], v[1:2], v[161:162]
	s_waitcnt vmcnt(13)
	v_fma_f64 v[127:128], v[5:6], v[149:150], -v[127:128]
	v_fma_f64 v[123:124], v[7:8], v[149:150], v[123:124]
	ds_read_b128 v[5:8], v172 offset:1616
	v_add_f64 v[117:118], v[117:118], v[129:130]
	v_add_f64 v[115:116], v[115:116], v[125:126]
	s_waitcnt vmcnt(9) lgkmcnt(1)
	v_mul_f64 v[129:130], v[113:114], v[145:146]
	s_waitcnt vmcnt(8)
	v_fma_f64 v[1:2], v[1:2], v[167:168], -v[131:132]
	v_mul_f64 v[125:126], v[111:112], v[145:146]
	v_fma_f64 v[3:4], v[3:4], v[167:168], v[121:122]
	v_add_f64 v[117:118], v[117:118], v[127:128]
	v_add_f64 v[115:116], v[115:116], v[123:124]
	s_waitcnt vmcnt(7) lgkmcnt(0)
	v_mul_f64 v[123:124], v[7:8], v[163:164]
	v_mul_f64 v[121:122], v[5:6], v[163:164]
	s_waitcnt vmcnt(5)
	v_fma_f64 v[111:112], v[111:112], v[119:120], -v[129:130]
	v_fma_f64 v[113:114], v[113:114], v[119:120], v[125:126]
	v_add_f64 v[1:2], v[117:118], v[1:2]
	v_add_f64 v[3:4], v[115:116], v[3:4]
	s_waitcnt vmcnt(4)
	v_fma_f64 v[5:6], v[5:6], v[169:170], -v[123:124]
	v_fma_f64 v[7:8], v[7:8], v[169:170], v[121:122]
	v_add_f64 v[1:2], v[1:2], v[111:112]
	v_add_f64 v[3:4], v[3:4], v[113:114]
	;; [unrolled: 1-line block ×4, first 2 shown]
	s_waitcnt vmcnt(2)
	v_add_f64 v[1:2], v[151:152], -v[1:2]
	s_waitcnt vmcnt(0)
	v_add_f64 v[3:4], v[155:156], -v[3:4]
	buffer_store_dword v2, off, s[0:3], 0 offset:36
	buffer_store_dword v1, off, s[0:3], 0 offset:32
	buffer_store_dword v4, off, s[0:3], 0 offset:44
	buffer_store_dword v3, off, s[0:3], 0 offset:40
	v_cmpx_ne_u32_e32 0, v0
	s_cbranch_execz .LBB114_319
; %bb.318:
	s_clause 0x3
	buffer_load_dword v0, off, s[0:3], 0 offset:16
	buffer_load_dword v1, off, s[0:3], 0 offset:20
	;; [unrolled: 1-line block ×4, first 2 shown]
	buffer_store_dword v172, off, s[0:3], 0 offset:16
	buffer_store_dword v172, off, s[0:3], 0 offset:20
	;; [unrolled: 1-line block ×4, first 2 shown]
	s_waitcnt vmcnt(0)
	ds_write_b128 v171, v[0:3]
.LBB114_319:
	s_or_b32 exec_lo, exec_lo, s4
	s_waitcnt lgkmcnt(0)
	s_waitcnt_vscnt null, 0x0
	s_barrier
	buffer_gl0_inv
	s_clause 0x37
	buffer_load_dword v119, off, s[0:3], 0 offset:40
	buffer_load_dword v120, off, s[0:3], 0 offset:44
	;; [unrolled: 1-line block ×56, first 2 shown]
	ds_read_b128 v[4:7], v172 offset:832
	s_clause 0x2
	buffer_load_dword v168, off, s[0:3], 0 offset:268
	buffer_load_dword v170, off, s[0:3], 0 offset:244
	buffer_load_dword v169, off, s[0:3], 0 offset:240
	ds_read_b128 v[0:3], v172 offset:848
	s_clause 0x4
	buffer_load_dword v180, off, s[0:3], 0 offset:284
	buffer_load_dword v181, off, s[0:3], 0 offset:296
	;; [unrolled: 1-line block ×5, first 2 shown]
	ds_read_b128 v[173:176], v172 offset:864
	s_and_b32 vcc_lo, exec_lo, s63
	s_waitcnt vmcnt(62) lgkmcnt(2)
	v_mul_f64 v[177:178], v[6:7], v[119:120]
	v_mul_f64 v[119:120], v[4:5], v[119:120]
	s_waitcnt vmcnt(60) lgkmcnt(1)
	v_mul_f64 v[184:185], v[2:3], v[115:116]
	v_mul_f64 v[115:116], v[0:1], v[115:116]
	;; [unrolled: 3-line block ×3, first 2 shown]
	v_fma_f64 v[177:178], v[4:5], v[117:118], -v[177:178]
	v_fma_f64 v[117:118], v[6:7], v[117:118], v[119:120]
	s_clause 0x2
	buffer_load_dword v182, off, s[0:3], 0 offset:300
	buffer_load_dword v120, off, s[0:3], 0 offset:276
	;; [unrolled: 1-line block ×3, first 2 shown]
	s_waitcnt vmcnt(57)
	v_fma_f64 v[188:189], v[0:1], v[111:112], -v[184:185]
	ds_read_b128 v[4:7], v172 offset:880
	v_fma_f64 v[111:112], v[2:3], v[111:112], v[115:116]
	s_waitcnt vmcnt(51)
	v_fma_f64 v[173:174], v[173:174], v[135:136], -v[113:114]
	v_fma_f64 v[135:136], v[175:176], v[135:136], v[186:187]
	v_add_f64 v[177:178], v[177:178], 0
	v_add_f64 v[115:116], v[117:118], 0
	s_clause 0x4
	buffer_load_dword v118, off, s[0:3], 0 offset:316
	buffer_load_dword v185, off, s[0:3], 0 offset:328
	;; [unrolled: 1-line block ×5, first 2 shown]
	s_waitcnt lgkmcnt(0)
	v_mul_f64 v[191:192], v[4:5], v[123:124]
	v_mul_f64 v[123:124], v[6:7], v[123:124]
	ds_read_b128 v[0:3], v172 offset:896
	s_clause 0x2
	buffer_load_dword v186, off, s[0:3], 0 offset:332
	buffer_load_dword v176, off, s[0:3], 0 offset:308
	;; [unrolled: 1-line block ×3, first 2 shown]
	v_add_f64 v[177:178], v[177:178], v[188:189]
	v_add_f64 v[115:116], v[115:116], v[111:112]
	ds_read_b128 v[111:114], v172 offset:912
	s_waitcnt vmcnt(58) lgkmcnt(1)
	v_mul_f64 v[187:188], v[0:1], v[127:128]
	v_mul_f64 v[127:128], v[2:3], v[127:128]
	s_waitcnt vmcnt(56)
	v_fma_f64 v[123:124], v[4:5], v[129:130], -v[123:124]
	v_fma_f64 v[129:130], v[6:7], v[129:130], v[191:192]
	s_waitcnt vmcnt(52) lgkmcnt(0)
	v_mul_f64 v[193:194], v[111:112], v[131:132]
	v_add_f64 v[173:174], v[177:178], v[173:174]
	v_add_f64 v[115:116], v[115:116], v[135:136]
	s_clause 0x4
	buffer_load_dword v136, off, s[0:3], 0 offset:348
	buffer_load_dword v177, off, s[0:3], 0 offset:360
	buffer_load_dword v192, off, s[0:3], 0 offset:352
	buffer_load_dword v135, off, s[0:3], 0 offset:344
	buffer_load_dword v191, off, s[0:3], 0 offset:324
	v_mul_f64 v[131:132], v[113:114], v[131:132]
	s_waitcnt vmcnt(56)
	v_fma_f64 v[127:128], v[0:1], v[121:122], -v[127:128]
	ds_read_b128 v[4:7], v172 offset:928
	v_fma_f64 v[121:122], v[2:3], v[121:122], v[187:188]
	v_add_f64 v[123:124], v[173:174], v[123:124]
	v_add_f64 v[115:116], v[115:116], v[129:130]
	s_clause 0x2
	buffer_load_dword v178, off, s[0:3], 0 offset:364
	buffer_load_dword v130, off, s[0:3], 0 offset:340
	;; [unrolled: 1-line block ×3, first 2 shown]
	s_waitcnt vmcnt(58) lgkmcnt(0)
	v_mul_f64 v[173:174], v[4:5], v[137:138]
	v_mul_f64 v[137:138], v[6:7], v[137:138]
	s_waitcnt vmcnt(56)
	v_fma_f64 v[131:132], v[111:112], v[139:140], -v[131:132]
	ds_read_b128 v[0:3], v172 offset:944
	v_add_f64 v[123:124], v[123:124], v[127:128]
	v_fma_f64 v[127:128], v[113:114], v[139:140], v[193:194]
	v_add_f64 v[115:116], v[115:116], v[121:122]
	s_clause 0x4
	buffer_load_dword v122, off, s[0:3], 0 offset:380
	buffer_load_dword v139, off, s[0:3], 0 offset:392
	;; [unrolled: 1-line block ×5, first 2 shown]
	s_waitcnt vmcnt(57) lgkmcnt(0)
	v_mul_f64 v[188:189], v[0:1], v[141:142]
	v_mul_f64 v[141:142], v[2:3], v[141:142]
	s_waitcnt vmcnt(56)
	v_fma_f64 v[137:138], v[4:5], v[125:126], -v[137:138]
	ds_read_b128 v[111:114], v172 offset:960
	v_fma_f64 v[125:126], v[6:7], v[125:126], v[173:174]
	v_add_f64 v[123:124], v[123:124], v[131:132]
	v_add_f64 v[115:116], v[115:116], v[127:128]
	s_clause 0x2
	buffer_load_dword v140, off, s[0:3], 0 offset:396
	buffer_load_dword v128, off, s[0:3], 0 offset:372
	buffer_load_dword v127, off, s[0:3], 0 offset:368
	ds_read_b128 v[4:7], v172 offset:976
	s_waitcnt vmcnt(58) lgkmcnt(1)
	v_mul_f64 v[131:132], v[111:112], v[145:146]
	v_mul_f64 v[145:146], v[113:114], v[145:146]
	s_waitcnt vmcnt(56)
	v_fma_f64 v[141:142], v[0:1], v[147:148], -v[141:142]
	v_add_f64 v[123:124], v[123:124], v[137:138]
	v_fma_f64 v[137:138], v[2:3], v[147:148], v[188:189]
	v_add_f64 v[115:116], v[115:116], v[125:126]
	s_clause 0x4
	buffer_load_dword v126, off, s[0:3], 0 offset:412
	buffer_load_dword v147, off, s[0:3], 0 offset:424
	;; [unrolled: 1-line block ×5, first 2 shown]
	s_waitcnt vmcnt(57) lgkmcnt(0)
	v_mul_f64 v[194:195], v[4:5], v[149:150]
	v_mul_f64 v[149:150], v[6:7], v[149:150]
	s_waitcnt vmcnt(56)
	v_fma_f64 v[145:146], v[111:112], v[133:134], -v[145:146]
	ds_read_b128 v[0:3], v172 offset:992
	v_fma_f64 v[131:132], v[113:114], v[133:134], v[131:132]
	s_clause 0x2
	buffer_load_dword v148, off, s[0:3], 0 offset:428
	buffer_load_dword v134, off, s[0:3], 0 offset:404
	;; [unrolled: 1-line block ×3, first 2 shown]
	ds_read_b128 v[111:114], v172 offset:1008
	v_add_f64 v[123:124], v[123:124], v[141:142]
	v_add_f64 v[115:116], v[115:116], v[137:138]
	s_waitcnt vmcnt(58) lgkmcnt(1)
	v_mul_f64 v[141:142], v[2:3], v[153:154]
	s_waitcnt vmcnt(56)
	v_fma_f64 v[149:150], v[4:5], v[155:156], -v[149:150]
	v_mul_f64 v[137:138], v[0:1], v[153:154]
	v_add_f64 v[123:124], v[123:124], v[145:146]
	v_fma_f64 v[145:146], v[6:7], v[155:156], v[194:195]
	v_add_f64 v[115:116], v[115:116], v[131:132]
	s_clause 0x4
	buffer_load_dword v132, off, s[0:3], 0 offset:444
	buffer_load_dword v153, off, s[0:3], 0 offset:456
	;; [unrolled: 1-line block ×5, first 2 shown]
	s_waitcnt vmcnt(57) lgkmcnt(0)
	v_mul_f64 v[194:195], v[111:112], v[157:158]
	v_mul_f64 v[156:157], v[113:114], v[157:158]
	s_waitcnt vmcnt(56)
	v_fma_f64 v[141:142], v[0:1], v[143:144], -v[141:142]
	ds_read_b128 v[4:7], v172 offset:1024
	v_fma_f64 v[137:138], v[2:3], v[143:144], v[137:138]
	s_clause 0x2
	buffer_load_dword v154, off, s[0:3], 0 offset:460
	buffer_load_dword v144, off, s[0:3], 0 offset:436
	;; [unrolled: 1-line block ×3, first 2 shown]
	ds_read_b128 v[0:3], v172 offset:1040
	v_add_f64 v[123:124], v[123:124], v[149:150]
	v_add_f64 v[115:116], v[115:116], v[145:146]
	s_waitcnt vmcnt(58) lgkmcnt(1)
	v_mul_f64 v[149:150], v[6:7], v[161:162]
	s_waitcnt vmcnt(56)
	v_fma_f64 v[157:158], v[111:112], v[163:164], -v[156:157]
	v_mul_f64 v[145:146], v[4:5], v[161:162]
	v_add_f64 v[123:124], v[123:124], v[141:142]
	v_fma_f64 v[141:142], v[113:114], v[163:164], v[194:195]
	v_add_f64 v[115:116], v[115:116], v[137:138]
	s_clause 0x4
	buffer_load_dword v138, off, s[0:3], 0 offset:476
	buffer_load_dword v161, off, s[0:3], 0 offset:488
	;; [unrolled: 1-line block ×5, first 2 shown]
	s_waitcnt vmcnt(57) lgkmcnt(0)
	v_mul_f64 v[194:195], v[0:1], v[165:166]
	v_mul_f64 v[164:165], v[2:3], v[165:166]
	s_waitcnt vmcnt(56)
	v_fma_f64 v[149:150], v[4:5], v[151:152], -v[149:150]
	ds_read_b128 v[111:114], v172 offset:1056
	v_fma_f64 v[145:146], v[6:7], v[151:152], v[145:146]
	v_add_f64 v[123:124], v[123:124], v[157:158]
	v_add_f64 v[115:116], v[115:116], v[141:142]
	s_clause 0x2
	buffer_load_dword v162, off, s[0:3], 0 offset:492
	buffer_load_dword v142, off, s[0:3], 0 offset:468
	;; [unrolled: 1-line block ×3, first 2 shown]
	ds_read_b128 v[4:7], v172 offset:1072
	s_waitcnt vmcnt(58) lgkmcnt(1)
	v_mul_f64 v[157:158], v[113:114], v[167:168]
	s_waitcnt vmcnt(56)
	v_fma_f64 v[165:166], v[0:1], v[169:170], -v[164:165]
	v_mul_f64 v[151:152], v[111:112], v[167:168]
	v_add_f64 v[123:124], v[123:124], v[149:150]
	v_fma_f64 v[149:150], v[2:3], v[169:170], v[194:195]
	v_add_f64 v[115:116], v[115:116], v[145:146]
	s_clause 0x4
	buffer_load_dword v146, off, s[0:3], 0 offset:508
	buffer_load_dword v167, off, s[0:3], 0 offset:520
	buffer_load_dword v169, off, s[0:3], 0 offset:512
	buffer_load_dword v145, off, s[0:3], 0 offset:504
	buffer_load_dword v164, off, s[0:3], 0 offset:484
	s_waitcnt vmcnt(57) lgkmcnt(0)
	v_mul_f64 v[170:171], v[4:5], v[179:180]
	v_mul_f64 v[179:180], v[6:7], v[179:180]
	s_waitcnt vmcnt(56)
	v_fma_f64 v[157:158], v[111:112], v[159:160], -v[157:158]
	ds_read_b128 v[0:3], v172 offset:1088
	v_fma_f64 v[151:152], v[113:114], v[159:160], v[151:152]
	v_add_f64 v[123:124], v[123:124], v[165:166]
	v_add_f64 v[115:116], v[115:116], v[149:150]
	s_clause 0x2
	buffer_load_dword v168, off, s[0:3], 0 offset:524
	buffer_load_dword v150, off, s[0:3], 0 offset:500
	;; [unrolled: 1-line block ×3, first 2 shown]
	ds_read_b128 v[111:114], v172 offset:1104
	s_waitcnt vmcnt(58) lgkmcnt(1)
	v_mul_f64 v[165:166], v[2:3], v[181:182]
	v_mul_f64 v[159:160], v[0:1], v[181:182]
	s_waitcnt vmcnt(56)
	v_fma_f64 v[179:180], v[4:5], v[119:120], -v[179:180]
	v_fma_f64 v[119:120], v[6:7], v[119:120], v[170:171]
	v_add_f64 v[123:124], v[123:124], v[157:158]
	v_add_f64 v[115:116], v[115:116], v[151:152]
	s_clause 0x4
	buffer_load_dword v152, off, s[0:3], 0 offset:540
	buffer_load_dword v157, off, s[0:3], 0 offset:552
	;; [unrolled: 1-line block ×5, first 2 shown]
	ds_read_b128 v[4:7], v172 offset:1120
	s_waitcnt vmcnt(57) lgkmcnt(1)
	v_mul_f64 v[194:195], v[111:112], v[117:118]
	v_mul_f64 v[117:118], v[113:114], v[117:118]
	s_waitcnt vmcnt(56)
	v_fma_f64 v[165:166], v[0:1], v[183:184], -v[165:166]
	v_fma_f64 v[159:160], v[2:3], v[183:184], v[159:160]
	v_add_f64 v[123:124], v[123:124], v[179:180]
	v_add_f64 v[115:116], v[115:116], v[119:120]
	s_clause 0x2
	buffer_load_dword v158, off, s[0:3], 0 offset:556
	buffer_load_dword v120, off, s[0:3], 0 offset:532
	;; [unrolled: 1-line block ×3, first 2 shown]
	s_waitcnt vmcnt(58) lgkmcnt(0)
	v_mul_f64 v[183:184], v[6:7], v[185:186]
	ds_read_b128 v[0:3], v172 offset:1136
	v_mul_f64 v[179:180], v[4:5], v[185:186]
	s_waitcnt vmcnt(56)
	v_fma_f64 v[117:118], v[111:112], v[175:176], -v[117:118]
	v_add_f64 v[123:124], v[123:124], v[165:166]
	v_fma_f64 v[165:166], v[113:114], v[175:176], v[194:195]
	v_add_f64 v[115:116], v[115:116], v[159:160]
	s_clause 0x4
	buffer_load_dword v160, off, s[0:3], 0 offset:572
	buffer_load_dword v175, off, s[0:3], 0 offset:584
	;; [unrolled: 1-line block ×5, first 2 shown]
	ds_read_b128 v[111:114], v172 offset:1152
	s_waitcnt vmcnt(57) lgkmcnt(1)
	v_mul_f64 v[194:195], v[0:1], v[135:136]
	v_mul_f64 v[135:136], v[2:3], v[135:136]
	s_waitcnt vmcnt(56)
	v_fma_f64 v[183:184], v[4:5], v[190:191], -v[183:184]
	v_add_f64 v[117:118], v[123:124], v[117:118]
	v_fma_f64 v[123:124], v[6:7], v[190:191], v[179:180]
	v_add_f64 v[115:116], v[115:116], v[165:166]
	s_clause 0x2
	buffer_load_dword v176, off, s[0:3], 0 offset:588
	buffer_load_dword v166, off, s[0:3], 0 offset:564
	;; [unrolled: 1-line block ×3, first 2 shown]
	ds_read_b128 v[4:7], v172 offset:1168
	s_waitcnt vmcnt(58) lgkmcnt(1)
	v_mul_f64 v[179:180], v[111:112], v[177:178]
	v_mul_f64 v[177:178], v[113:114], v[177:178]
	s_waitcnt vmcnt(56)
	v_fma_f64 v[135:136], v[0:1], v[129:130], -v[135:136]
	v_fma_f64 v[129:130], v[2:3], v[129:130], v[194:195]
	v_add_f64 v[117:118], v[117:118], v[183:184]
	v_add_f64 v[115:116], v[115:116], v[123:124]
	s_clause 0x4
	buffer_load_dword v124, off, s[0:3], 0 offset:604
	buffer_load_dword v183, off, s[0:3], 0 offset:616
	;; [unrolled: 1-line block ×5, first 2 shown]
	ds_read_b128 v[0:3], v172 offset:1184
	s_waitcnt vmcnt(57) lgkmcnt(1)
	v_mul_f64 v[190:191], v[4:5], v[121:122]
	v_mul_f64 v[121:122], v[6:7], v[121:122]
	s_waitcnt vmcnt(56)
	v_fma_f64 v[177:178], v[111:112], v[192:193], -v[177:178]
	v_add_f64 v[117:118], v[117:118], v[135:136]
	v_fma_f64 v[135:136], v[113:114], v[192:193], v[179:180]
	v_add_f64 v[115:116], v[115:116], v[129:130]
	s_clause 0x2
	buffer_load_dword v184, off, s[0:3], 0 offset:620
	buffer_load_dword v130, off, s[0:3], 0 offset:596
	;; [unrolled: 1-line block ×3, first 2 shown]
	ds_read_b128 v[111:114], v172 offset:1200
	s_waitcnt vmcnt(58) lgkmcnt(1)
	v_mul_f64 v[179:180], v[0:1], v[139:140]
	v_mul_f64 v[139:140], v[2:3], v[139:140]
	s_waitcnt vmcnt(56)
	v_fma_f64 v[121:122], v[4:5], v[127:128], -v[121:122]
	v_fma_f64 v[127:128], v[6:7], v[127:128], v[190:191]
	v_add_f64 v[117:118], v[117:118], v[177:178]
	v_add_f64 v[115:116], v[115:116], v[135:136]
	s_clause 0x4
	buffer_load_dword v136, off, s[0:3], 0 offset:636
	buffer_load_dword v177, off, s[0:3], 0 offset:648
	;; [unrolled: 1-line block ×5, first 2 shown]
	ds_read_b128 v[4:7], v172 offset:1216
	s_waitcnt vmcnt(57) lgkmcnt(1)
	v_mul_f64 v[192:193], v[111:112], v[125:126]
	v_mul_f64 v[125:126], v[113:114], v[125:126]
	s_waitcnt vmcnt(56)
	v_fma_f64 v[139:140], v[0:1], v[187:188], -v[139:140]
	v_add_f64 v[117:118], v[117:118], v[121:122]
	v_fma_f64 v[121:122], v[2:3], v[187:188], v[179:180]
	v_add_f64 v[115:116], v[115:116], v[127:128]
	s_clause 0x2
	buffer_load_dword v178, off, s[0:3], 0 offset:652
	buffer_load_dword v128, off, s[0:3], 0 offset:628
	;; [unrolled: 1-line block ×3, first 2 shown]
	s_waitcnt vmcnt(58) lgkmcnt(0)
	v_mul_f64 v[179:180], v[4:5], v[147:148]
	v_mul_f64 v[147:148], v[6:7], v[147:148]
	ds_read_b128 v[0:3], v172 offset:1232
	s_waitcnt vmcnt(56)
	v_fma_f64 v[125:126], v[111:112], v[133:134], -v[125:126]
	v_fma_f64 v[133:134], v[113:114], v[133:134], v[192:193]
	v_add_f64 v[117:118], v[117:118], v[139:140]
	v_add_f64 v[115:116], v[115:116], v[121:122]
	s_clause 0x4
	buffer_load_dword v122, off, s[0:3], 0 offset:668
	buffer_load_dword v139, off, s[0:3], 0 offset:680
	;; [unrolled: 1-line block ×5, first 2 shown]
	ds_read_b128 v[111:114], v172 offset:1248
	s_waitcnt vmcnt(57) lgkmcnt(1)
	v_mul_f64 v[193:194], v[0:1], v[131:132]
	v_mul_f64 v[131:132], v[2:3], v[131:132]
	s_waitcnt vmcnt(56)
	v_fma_f64 v[147:148], v[4:5], v[173:174], -v[147:148]
	v_add_f64 v[117:118], v[117:118], v[125:126]
	v_fma_f64 v[125:126], v[6:7], v[173:174], v[179:180]
	v_add_f64 v[115:116], v[115:116], v[133:134]
	s_clause 0x2
	buffer_load_dword v140, off, s[0:3], 0 offset:684
	buffer_load_dword v134, off, s[0:3], 0 offset:660
	;; [unrolled: 1-line block ×3, first 2 shown]
	s_waitcnt vmcnt(58) lgkmcnt(0)
	v_mul_f64 v[173:174], v[111:112], v[153:154]
	v_mul_f64 v[153:154], v[113:114], v[153:154]
	ds_read_b128 v[4:7], v172 offset:1264
	s_waitcnt vmcnt(56)
	v_fma_f64 v[131:132], v[0:1], v[143:144], -v[131:132]
	v_fma_f64 v[143:144], v[2:3], v[143:144], v[193:194]
	v_add_f64 v[117:118], v[117:118], v[147:148]
	v_add_f64 v[115:116], v[115:116], v[125:126]
	s_clause 0x4
	buffer_load_dword v126, off, s[0:3], 0 offset:700
	buffer_load_dword v147, off, s[0:3], 0 offset:712
	buffer_load_dword v179, off, s[0:3], 0 offset:704
	buffer_load_dword v125, off, s[0:3], 0 offset:696
	buffer_load_dword v188, off, s[0:3], 0 offset:676
	ds_read_b128 v[0:3], v172 offset:1280
	s_waitcnt vmcnt(57) lgkmcnt(1)
	v_mul_f64 v[193:194], v[4:5], v[137:138]
	v_mul_f64 v[137:138], v[6:7], v[137:138]
	s_waitcnt vmcnt(56)
	v_fma_f64 v[153:154], v[111:112], v[155:156], -v[153:154]
	v_add_f64 v[117:118], v[117:118], v[131:132]
	v_fma_f64 v[131:132], v[113:114], v[155:156], v[173:174]
	v_add_f64 v[115:116], v[115:116], v[143:144]
	s_clause 0x2
	buffer_load_dword v148, off, s[0:3], 0 offset:716
	buffer_load_dword v144, off, s[0:3], 0 offset:692
	buffer_load_dword v143, off, s[0:3], 0 offset:688
	ds_read_b128 v[111:114], v172 offset:1296
	s_waitcnt vmcnt(58) lgkmcnt(1)
	v_mul_f64 v[155:156], v[0:1], v[161:162]
	v_mul_f64 v[161:162], v[2:3], v[161:162]
	s_waitcnt vmcnt(56)
	v_fma_f64 v[137:138], v[4:5], v[141:142], -v[137:138]
	v_fma_f64 v[141:142], v[6:7], v[141:142], v[193:194]
	v_add_f64 v[117:118], v[117:118], v[153:154]
	v_add_f64 v[115:116], v[115:116], v[131:132]
	s_clause 0x4
	buffer_load_dword v132, off, s[0:3], 0 offset:732
	buffer_load_dword v153, off, s[0:3], 0 offset:744
	buffer_load_dword v173, off, s[0:3], 0 offset:736
	buffer_load_dword v131, off, s[0:3], 0 offset:728
	buffer_load_dword v180, off, s[0:3], 0 offset:708
	ds_read_b128 v[4:7], v172 offset:1312
	s_waitcnt vmcnt(57) lgkmcnt(1)
	v_mul_f64 v[193:194], v[111:112], v[145:146]
	v_mul_f64 v[145:146], v[113:114], v[145:146]
	s_waitcnt vmcnt(56)
	v_fma_f64 v[161:162], v[0:1], v[163:164], -v[161:162]
	v_add_f64 v[117:118], v[117:118], v[137:138]
	v_fma_f64 v[137:138], v[2:3], v[163:164], v[155:156]
	v_add_f64 v[115:116], v[115:116], v[141:142]
	s_clause 0x2
	buffer_load_dword v154, off, s[0:3], 0 offset:748
	buffer_load_dword v142, off, s[0:3], 0 offset:724
	buffer_load_dword v141, off, s[0:3], 0 offset:720
	ds_read_b128 v[0:3], v172 offset:1328
	s_waitcnt vmcnt(58) lgkmcnt(1)
	v_mul_f64 v[163:164], v[6:7], v[167:168]
	v_mul_f64 v[155:156], v[4:5], v[167:168]
	;; [unrolled: 28-line block ×4, first 2 shown]
	s_waitcnt vmcnt(56)
	v_fma_f64 v[159:160], v[4:5], v[165:166], -v[159:160]
	v_add_f64 v[117:118], v[117:118], v[157:158]
	v_fma_f64 v[157:158], v[6:7], v[165:166], v[170:171]
	v_add_f64 v[115:116], v[115:116], v[151:152]
	s_clause 0x2
	buffer_load_dword v152, off, s[0:3], 0 offset:828
	buffer_load_dword v151, off, s[0:3], 0 offset:824
	;; [unrolled: 1-line block ×3, first 2 shown]
	ds_read_b128 v[4:7], v172 offset:1408
	s_waitcnt vmcnt(55) lgkmcnt(1)
	v_mul_f64 v[165:166], v[111:112], v[123:124]
	v_mul_f64 v[123:124], v[113:114], v[123:124]
	s_waitcnt vmcnt(54)
	v_fma_f64 v[175:176], v[0:1], v[185:186], -v[175:176]
	v_fma_f64 v[155:156], v[2:3], v[185:186], v[155:156]
	v_add_f64 v[117:118], v[117:118], v[159:160]
	v_add_f64 v[115:116], v[115:116], v[157:158]
	s_clause 0x1
	buffer_load_dword v158, off, s[0:3], 0 offset:820
	buffer_load_dword v157, off, s[0:3], 0 offset:816
	ds_read_b128 v[0:3], v172 offset:1424
	s_waitcnt vmcnt(55) lgkmcnt(1)
	v_mul_f64 v[181:182], v[6:7], v[183:184]
	v_mul_f64 v[159:160], v[4:5], v[183:184]
	s_waitcnt vmcnt(53)
	v_fma_f64 v[123:124], v[111:112], v[129:130], -v[123:124]
	v_fma_f64 v[129:130], v[113:114], v[129:130], v[165:166]
	ds_read_b128 v[111:114], v172 offset:1440
	v_add_f64 v[117:118], v[117:118], v[175:176]
	v_add_f64 v[115:116], v[115:116], v[155:156]
	s_waitcnt vmcnt(49) lgkmcnt(1)
	v_mul_f64 v[155:156], v[0:1], v[135:136]
	v_mul_f64 v[135:136], v[2:3], v[135:136]
	s_waitcnt vmcnt(48)
	v_fma_f64 v[165:166], v[4:5], v[189:190], -v[181:182]
	v_add_f64 v[117:118], v[117:118], v[123:124]
	v_fma_f64 v[123:124], v[6:7], v[189:190], v[159:160]
	v_add_f64 v[115:116], v[115:116], v[129:130]
	s_clause 0x3
	buffer_load_dword v129, off, s[0:3], 0 offset:16
	buffer_load_dword v130, off, s[0:3], 0 offset:20
	;; [unrolled: 1-line block ×4, first 2 shown]
	ds_read_b128 v[4:7], v172 offset:1456
	s_waitcnt vmcnt(51) lgkmcnt(1)
	v_mul_f64 v[175:176], v[111:112], v[177:178]
	v_mul_f64 v[177:178], v[113:114], v[177:178]
	s_waitcnt vmcnt(49)
	v_fma_f64 v[135:136], v[0:1], v[127:128], -v[135:136]
	v_fma_f64 v[127:128], v[2:3], v[127:128], v[155:156]
	ds_read_b128 v[0:3], v172 offset:1472
	v_add_f64 v[117:118], v[117:118], v[165:166]
	v_add_f64 v[115:116], v[115:116], v[123:124]
	s_waitcnt vmcnt(45) lgkmcnt(1)
	v_mul_f64 v[123:124], v[4:5], v[121:122]
	v_mul_f64 v[121:122], v[6:7], v[121:122]
	s_waitcnt vmcnt(44)
	v_fma_f64 v[155:156], v[111:112], v[191:192], -v[177:178]
	v_add_f64 v[117:118], v[117:118], v[135:136]
	v_fma_f64 v[135:136], v[113:114], v[191:192], v[175:176]
	v_add_f64 v[115:116], v[115:116], v[127:128]
	ds_read_b128 v[111:114], v172 offset:1488
	s_waitcnt vmcnt(43) lgkmcnt(1)
	v_mul_f64 v[127:128], v[0:1], v[139:140]
	v_mul_f64 v[139:140], v[2:3], v[139:140]
	s_waitcnt vmcnt(41)
	v_fma_f64 v[121:122], v[4:5], v[133:134], -v[121:122]
	v_fma_f64 v[123:124], v[6:7], v[133:134], v[123:124]
	ds_read_b128 v[4:7], v172 offset:1504
	v_add_f64 v[117:118], v[117:118], v[155:156]
	v_add_f64 v[115:116], v[115:116], v[135:136]
	s_waitcnt vmcnt(37) lgkmcnt(1)
	v_mul_f64 v[133:134], v[111:112], v[125:126]
	v_mul_f64 v[125:126], v[113:114], v[125:126]
	s_waitcnt vmcnt(36)
	v_fma_f64 v[135:136], v[0:1], v[187:188], -v[139:140]
	v_add_f64 v[117:118], v[117:118], v[121:122]
	v_fma_f64 v[121:122], v[2:3], v[187:188], v[127:128]
	v_add_f64 v[115:116], v[115:116], v[123:124]
	ds_read_b128 v[0:3], v172 offset:1520
	s_waitcnt vmcnt(35) lgkmcnt(1)
	v_mul_f64 v[127:128], v[6:7], v[147:148]
	v_mul_f64 v[123:124], v[4:5], v[147:148]
	s_waitcnt vmcnt(33)
	v_fma_f64 v[125:126], v[111:112], v[143:144], -v[125:126]
	v_fma_f64 v[133:134], v[113:114], v[143:144], v[133:134]
	ds_read_b128 v[111:114], v172 offset:1536
	v_add_f64 v[117:118], v[117:118], v[135:136]
	v_add_f64 v[115:116], v[115:116], v[121:122]
	s_waitcnt vmcnt(29) lgkmcnt(1)
	v_mul_f64 v[121:122], v[0:1], v[131:132]
	v_mul_f64 v[131:132], v[2:3], v[131:132]
	s_waitcnt vmcnt(28)
	v_fma_f64 v[127:128], v[4:5], v[179:180], -v[127:128]
	v_fma_f64 v[123:124], v[6:7], v[179:180], v[123:124]
	ds_read_b128 v[4:7], v172 offset:1552
	v_add_f64 v[117:118], v[117:118], v[125:126]
	v_add_f64 v[115:116], v[115:116], v[133:134]
	s_waitcnt vmcnt(27) lgkmcnt(1)
	v_mul_f64 v[133:134], v[113:114], v[153:154]
	v_mul_f64 v[125:126], v[111:112], v[153:154]
	s_waitcnt vmcnt(25)
	v_fma_f64 v[131:132], v[0:1], v[141:142], -v[131:132]
	v_fma_f64 v[121:122], v[2:3], v[141:142], v[121:122]
	ds_read_b128 v[0:3], v172 offset:1568
	v_add_f64 v[117:118], v[117:118], v[127:128]
	v_add_f64 v[115:116], v[115:116], v[123:124]
	s_waitcnt vmcnt(21) lgkmcnt(1)
	v_mul_f64 v[127:128], v[6:7], v[137:138]
	s_waitcnt vmcnt(20)
	v_fma_f64 v[133:134], v[111:112], v[173:174], -v[133:134]
	v_mul_f64 v[123:124], v[4:5], v[137:138]
	v_fma_f64 v[125:126], v[113:114], v[173:174], v[125:126]
	ds_read_b128 v[111:114], v172 offset:1584
	v_add_f64 v[117:118], v[117:118], v[131:132]
	v_add_f64 v[115:116], v[115:116], v[121:122]
	s_waitcnt vmcnt(19) lgkmcnt(1)
	v_mul_f64 v[131:132], v[2:3], v[161:162]
	v_mul_f64 v[121:122], v[0:1], v[161:162]
	s_waitcnt vmcnt(17)
	v_fma_f64 v[127:128], v[4:5], v[149:150], -v[127:128]
	v_fma_f64 v[123:124], v[6:7], v[149:150], v[123:124]
	ds_read_b128 v[4:7], v172 offset:1600
	v_add_f64 v[117:118], v[117:118], v[133:134]
	v_add_f64 v[115:116], v[115:116], v[125:126]
	s_waitcnt vmcnt(13) lgkmcnt(1)
	v_mul_f64 v[133:134], v[113:114], v[145:146]
	s_waitcnt vmcnt(12)
	v_fma_f64 v[131:132], v[0:1], v[167:168], -v[131:132]
	v_mul_f64 v[125:126], v[111:112], v[145:146]
	v_fma_f64 v[121:122], v[2:3], v[167:168], v[121:122]
	ds_read_b128 v[0:3], v172 offset:1616
	v_add_f64 v[117:118], v[117:118], v[127:128]
	v_add_f64 v[115:116], v[115:116], v[123:124]
	s_waitcnt vmcnt(11) lgkmcnt(1)
	v_mul_f64 v[127:128], v[6:7], v[163:164]
	v_mul_f64 v[123:124], v[4:5], v[163:164]
	s_waitcnt vmcnt(9)
	v_fma_f64 v[111:112], v[111:112], v[119:120], -v[133:134]
	v_fma_f64 v[113:114], v[113:114], v[119:120], v[125:126]
	v_add_f64 v[117:118], v[117:118], v[131:132]
	v_add_f64 v[115:116], v[115:116], v[121:122]
	s_waitcnt vmcnt(7) lgkmcnt(0)
	v_mul_f64 v[121:122], v[2:3], v[151:152]
	s_waitcnt vmcnt(6)
	v_fma_f64 v[4:5], v[4:5], v[169:170], -v[127:128]
	v_mul_f64 v[119:120], v[0:1], v[151:152]
	v_fma_f64 v[6:7], v[6:7], v[169:170], v[123:124]
	v_add_f64 v[111:112], v[117:118], v[111:112]
	v_add_f64 v[113:114], v[115:116], v[113:114]
	s_waitcnt vmcnt(4)
	v_fma_f64 v[0:1], v[0:1], v[157:158], -v[121:122]
	v_fma_f64 v[2:3], v[2:3], v[157:158], v[119:120]
	v_add_f64 v[4:5], v[111:112], v[4:5]
	v_add_f64 v[6:7], v[113:114], v[6:7]
	;; [unrolled: 1-line block ×4, first 2 shown]
	s_waitcnt vmcnt(2)
	v_add_f64 v[0:1], v[129:130], -v[0:1]
	s_waitcnt vmcnt(0)
	v_add_f64 v[2:3], v[159:160], -v[2:3]
	buffer_store_dword v1, off, s[0:3], 0 offset:20
	buffer_store_dword v0, off, s[0:3], 0 offset:16
	buffer_store_dword v3, off, s[0:3], 0 offset:28
	buffer_store_dword v2, off, s[0:3], 0 offset:24
	s_cbranch_vccz .LBB114_420
; %bb.320:
	v_mov_b32_e32 v0, 0
	global_load_dword v1, v0, s[12:13] offset:196
	s_waitcnt vmcnt(0)
	v_add_nc_u32_e32 v1, -1, v1
	v_cmp_ne_u32_e32 vcc_lo, 49, v1
	s_cbranch_vccz .LBB114_322
; %bb.321:
	v_lshlrev_b32_e32 v1, 4, v1
	v_mov_b32_e32 v2, s9
	v_add_nc_u32_e32 v1, 16, v1
	s_clause 0x7
	buffer_load_dword v3, v1, s[0:3], 0 offen
	buffer_load_dword v4, v1, s[0:3], 0 offen offset:4
	buffer_load_dword v5, v1, s[0:3], 0 offen offset:8
	buffer_load_dword v6, v1, s[0:3], 0 offen offset:12
	buffer_load_dword v7, v2, s[0:3], 0 offen offset:12
	buffer_load_dword v8, v2, s[0:3], 0 offen offset:8
	buffer_load_dword v111, v2, s[0:3], 0 offen offset:4
	buffer_load_dword v112, v2, s[0:3], 0 offen
	s_waitcnt vmcnt(7)
	buffer_store_dword v3, v2, s[0:3], 0 offen
	s_waitcnt vmcnt(6)
	buffer_store_dword v4, v2, s[0:3], 0 offen offset:4
	s_waitcnt vmcnt(5)
	buffer_store_dword v5, v2, s[0:3], 0 offen offset:8
	;; [unrolled: 2-line block ×6, first 2 shown]
	s_waitcnt vmcnt(0)
	buffer_store_dword v112, v1, s[0:3], 0 offen
.LBB114_322:
	global_load_dword v0, v0, s[12:13] offset:192
	s_waitcnt vmcnt(0)
	v_add_nc_u32_e32 v0, -1, v0
	v_cmp_eq_u32_e32 vcc_lo, 48, v0
	s_cbranch_vccnz .LBB114_324
; %bb.323:
	v_lshlrev_b32_e32 v0, 4, v0
	v_mov_b32_e32 v1, s14
	v_add_nc_u32_e32 v0, 16, v0
	s_clause 0x7
	buffer_load_dword v2, v0, s[0:3], 0 offen
	buffer_load_dword v3, v0, s[0:3], 0 offen offset:4
	buffer_load_dword v4, v0, s[0:3], 0 offen offset:8
	;; [unrolled: 1-line block ×6, first 2 shown]
	buffer_load_dword v111, v1, s[0:3], 0 offen
	s_waitcnt vmcnt(7)
	buffer_store_dword v2, v1, s[0:3], 0 offen
	s_waitcnt vmcnt(6)
	buffer_store_dword v3, v1, s[0:3], 0 offen offset:4
	s_waitcnt vmcnt(5)
	buffer_store_dword v4, v1, s[0:3], 0 offen offset:8
	;; [unrolled: 2-line block ×6, first 2 shown]
	s_waitcnt vmcnt(0)
	buffer_store_dword v111, v0, s[0:3], 0 offen
.LBB114_324:
	v_mov_b32_e32 v0, 0
	global_load_dword v1, v0, s[12:13] offset:188
	s_waitcnt vmcnt(0)
	v_add_nc_u32_e32 v1, -1, v1
	v_cmp_eq_u32_e32 vcc_lo, 47, v1
	s_cbranch_vccnz .LBB114_326
; %bb.325:
	v_lshlrev_b32_e32 v1, 4, v1
	v_mov_b32_e32 v2, s15
	v_add_nc_u32_e32 v1, 16, v1
	s_clause 0x7
	buffer_load_dword v3, v1, s[0:3], 0 offen
	buffer_load_dword v4, v1, s[0:3], 0 offen offset:4
	buffer_load_dword v5, v1, s[0:3], 0 offen offset:8
	;; [unrolled: 1-line block ×6, first 2 shown]
	buffer_load_dword v112, v2, s[0:3], 0 offen
	s_waitcnt vmcnt(7)
	buffer_store_dword v3, v2, s[0:3], 0 offen
	s_waitcnt vmcnt(6)
	buffer_store_dword v4, v2, s[0:3], 0 offen offset:4
	s_waitcnt vmcnt(5)
	buffer_store_dword v5, v2, s[0:3], 0 offen offset:8
	;; [unrolled: 2-line block ×6, first 2 shown]
	s_waitcnt vmcnt(0)
	buffer_store_dword v112, v1, s[0:3], 0 offen
.LBB114_326:
	global_load_dword v0, v0, s[12:13] offset:184
	s_waitcnt vmcnt(0)
	v_add_nc_u32_e32 v0, -1, v0
	v_cmp_eq_u32_e32 vcc_lo, 46, v0
	s_cbranch_vccnz .LBB114_328
; %bb.327:
	v_lshlrev_b32_e32 v0, 4, v0
	v_mov_b32_e32 v1, s16
	v_add_nc_u32_e32 v0, 16, v0
	s_clause 0x7
	buffer_load_dword v2, v0, s[0:3], 0 offen
	buffer_load_dword v3, v0, s[0:3], 0 offen offset:4
	buffer_load_dword v4, v0, s[0:3], 0 offen offset:8
	;; [unrolled: 1-line block ×6, first 2 shown]
	buffer_load_dword v111, v1, s[0:3], 0 offen
	s_waitcnt vmcnt(7)
	buffer_store_dword v2, v1, s[0:3], 0 offen
	s_waitcnt vmcnt(6)
	buffer_store_dword v3, v1, s[0:3], 0 offen offset:4
	s_waitcnt vmcnt(5)
	buffer_store_dword v4, v1, s[0:3], 0 offen offset:8
	;; [unrolled: 2-line block ×6, first 2 shown]
	s_waitcnt vmcnt(0)
	buffer_store_dword v111, v0, s[0:3], 0 offen
.LBB114_328:
	v_mov_b32_e32 v0, 0
	global_load_dword v1, v0, s[12:13] offset:180
	s_waitcnt vmcnt(0)
	v_add_nc_u32_e32 v1, -1, v1
	v_cmp_eq_u32_e32 vcc_lo, 45, v1
	s_cbranch_vccnz .LBB114_330
; %bb.329:
	v_lshlrev_b32_e32 v1, 4, v1
	v_mov_b32_e32 v2, s17
	v_add_nc_u32_e32 v1, 16, v1
	s_clause 0x7
	buffer_load_dword v3, v1, s[0:3], 0 offen
	buffer_load_dword v4, v1, s[0:3], 0 offen offset:4
	buffer_load_dword v5, v1, s[0:3], 0 offen offset:8
	;; [unrolled: 1-line block ×6, first 2 shown]
	buffer_load_dword v112, v2, s[0:3], 0 offen
	s_waitcnt vmcnt(7)
	buffer_store_dword v3, v2, s[0:3], 0 offen
	s_waitcnt vmcnt(6)
	buffer_store_dword v4, v2, s[0:3], 0 offen offset:4
	s_waitcnt vmcnt(5)
	buffer_store_dword v5, v2, s[0:3], 0 offen offset:8
	;; [unrolled: 2-line block ×6, first 2 shown]
	s_waitcnt vmcnt(0)
	buffer_store_dword v112, v1, s[0:3], 0 offen
.LBB114_330:
	global_load_dword v0, v0, s[12:13] offset:176
	s_waitcnt vmcnt(0)
	v_add_nc_u32_e32 v0, -1, v0
	v_cmp_eq_u32_e32 vcc_lo, 44, v0
	s_cbranch_vccnz .LBB114_332
; %bb.331:
	v_lshlrev_b32_e32 v0, 4, v0
	v_mov_b32_e32 v1, s18
	v_add_nc_u32_e32 v0, 16, v0
	s_clause 0x7
	buffer_load_dword v2, v0, s[0:3], 0 offen
	buffer_load_dword v3, v0, s[0:3], 0 offen offset:4
	buffer_load_dword v4, v0, s[0:3], 0 offen offset:8
	;; [unrolled: 1-line block ×6, first 2 shown]
	buffer_load_dword v111, v1, s[0:3], 0 offen
	s_waitcnt vmcnt(7)
	buffer_store_dword v2, v1, s[0:3], 0 offen
	s_waitcnt vmcnt(6)
	buffer_store_dword v3, v1, s[0:3], 0 offen offset:4
	s_waitcnt vmcnt(5)
	buffer_store_dword v4, v1, s[0:3], 0 offen offset:8
	;; [unrolled: 2-line block ×6, first 2 shown]
	s_waitcnt vmcnt(0)
	buffer_store_dword v111, v0, s[0:3], 0 offen
.LBB114_332:
	v_mov_b32_e32 v0, 0
	global_load_dword v1, v0, s[12:13] offset:172
	s_waitcnt vmcnt(0)
	v_add_nc_u32_e32 v1, -1, v1
	v_cmp_eq_u32_e32 vcc_lo, 43, v1
	s_cbranch_vccnz .LBB114_334
; %bb.333:
	v_lshlrev_b32_e32 v1, 4, v1
	v_mov_b32_e32 v2, s19
	v_add_nc_u32_e32 v1, 16, v1
	s_clause 0x7
	buffer_load_dword v3, v1, s[0:3], 0 offen
	buffer_load_dword v4, v1, s[0:3], 0 offen offset:4
	buffer_load_dword v5, v1, s[0:3], 0 offen offset:8
	;; [unrolled: 1-line block ×6, first 2 shown]
	buffer_load_dword v112, v2, s[0:3], 0 offen
	s_waitcnt vmcnt(7)
	buffer_store_dword v3, v2, s[0:3], 0 offen
	s_waitcnt vmcnt(6)
	buffer_store_dword v4, v2, s[0:3], 0 offen offset:4
	s_waitcnt vmcnt(5)
	buffer_store_dword v5, v2, s[0:3], 0 offen offset:8
	;; [unrolled: 2-line block ×6, first 2 shown]
	s_waitcnt vmcnt(0)
	buffer_store_dword v112, v1, s[0:3], 0 offen
.LBB114_334:
	global_load_dword v0, v0, s[12:13] offset:168
	s_waitcnt vmcnt(0)
	v_add_nc_u32_e32 v0, -1, v0
	v_cmp_eq_u32_e32 vcc_lo, 42, v0
	s_cbranch_vccnz .LBB114_336
; %bb.335:
	v_lshlrev_b32_e32 v0, 4, v0
	v_mov_b32_e32 v1, s20
	v_add_nc_u32_e32 v0, 16, v0
	s_clause 0x7
	buffer_load_dword v2, v0, s[0:3], 0 offen
	buffer_load_dword v3, v0, s[0:3], 0 offen offset:4
	buffer_load_dword v4, v0, s[0:3], 0 offen offset:8
	;; [unrolled: 1-line block ×6, first 2 shown]
	buffer_load_dword v111, v1, s[0:3], 0 offen
	s_waitcnt vmcnt(7)
	buffer_store_dword v2, v1, s[0:3], 0 offen
	s_waitcnt vmcnt(6)
	buffer_store_dword v3, v1, s[0:3], 0 offen offset:4
	s_waitcnt vmcnt(5)
	buffer_store_dword v4, v1, s[0:3], 0 offen offset:8
	;; [unrolled: 2-line block ×6, first 2 shown]
	s_waitcnt vmcnt(0)
	buffer_store_dword v111, v0, s[0:3], 0 offen
.LBB114_336:
	v_mov_b32_e32 v0, 0
	global_load_dword v1, v0, s[12:13] offset:164
	s_waitcnt vmcnt(0)
	v_add_nc_u32_e32 v1, -1, v1
	v_cmp_eq_u32_e32 vcc_lo, 41, v1
	s_cbranch_vccnz .LBB114_338
; %bb.337:
	v_lshlrev_b32_e32 v1, 4, v1
	v_mov_b32_e32 v2, s21
	v_add_nc_u32_e32 v1, 16, v1
	s_clause 0x7
	buffer_load_dword v3, v1, s[0:3], 0 offen
	buffer_load_dword v4, v1, s[0:3], 0 offen offset:4
	buffer_load_dword v5, v1, s[0:3], 0 offen offset:8
	;; [unrolled: 1-line block ×6, first 2 shown]
	buffer_load_dword v112, v2, s[0:3], 0 offen
	s_waitcnt vmcnt(7)
	buffer_store_dword v3, v2, s[0:3], 0 offen
	s_waitcnt vmcnt(6)
	buffer_store_dword v4, v2, s[0:3], 0 offen offset:4
	s_waitcnt vmcnt(5)
	buffer_store_dword v5, v2, s[0:3], 0 offen offset:8
	;; [unrolled: 2-line block ×6, first 2 shown]
	s_waitcnt vmcnt(0)
	buffer_store_dword v112, v1, s[0:3], 0 offen
.LBB114_338:
	global_load_dword v0, v0, s[12:13] offset:160
	s_waitcnt vmcnt(0)
	v_add_nc_u32_e32 v0, -1, v0
	v_cmp_eq_u32_e32 vcc_lo, 40, v0
	s_cbranch_vccnz .LBB114_340
; %bb.339:
	v_lshlrev_b32_e32 v0, 4, v0
	v_mov_b32_e32 v1, s22
	v_add_nc_u32_e32 v0, 16, v0
	s_clause 0x7
	buffer_load_dword v2, v0, s[0:3], 0 offen
	buffer_load_dword v3, v0, s[0:3], 0 offen offset:4
	buffer_load_dword v4, v0, s[0:3], 0 offen offset:8
	;; [unrolled: 1-line block ×6, first 2 shown]
	buffer_load_dword v111, v1, s[0:3], 0 offen
	s_waitcnt vmcnt(7)
	buffer_store_dword v2, v1, s[0:3], 0 offen
	s_waitcnt vmcnt(6)
	buffer_store_dword v3, v1, s[0:3], 0 offen offset:4
	s_waitcnt vmcnt(5)
	buffer_store_dword v4, v1, s[0:3], 0 offen offset:8
	;; [unrolled: 2-line block ×6, first 2 shown]
	s_waitcnt vmcnt(0)
	buffer_store_dword v111, v0, s[0:3], 0 offen
.LBB114_340:
	v_mov_b32_e32 v0, 0
	global_load_dword v1, v0, s[12:13] offset:156
	s_waitcnt vmcnt(0)
	v_add_nc_u32_e32 v1, -1, v1
	v_cmp_eq_u32_e32 vcc_lo, 39, v1
	s_cbranch_vccnz .LBB114_342
; %bb.341:
	v_lshlrev_b32_e32 v1, 4, v1
	v_mov_b32_e32 v2, s23
	v_add_nc_u32_e32 v1, 16, v1
	s_clause 0x7
	buffer_load_dword v3, v1, s[0:3], 0 offen
	buffer_load_dword v4, v1, s[0:3], 0 offen offset:4
	buffer_load_dword v5, v1, s[0:3], 0 offen offset:8
	;; [unrolled: 1-line block ×6, first 2 shown]
	buffer_load_dword v112, v2, s[0:3], 0 offen
	s_waitcnt vmcnt(7)
	buffer_store_dword v3, v2, s[0:3], 0 offen
	s_waitcnt vmcnt(6)
	buffer_store_dword v4, v2, s[0:3], 0 offen offset:4
	s_waitcnt vmcnt(5)
	buffer_store_dword v5, v2, s[0:3], 0 offen offset:8
	;; [unrolled: 2-line block ×6, first 2 shown]
	s_waitcnt vmcnt(0)
	buffer_store_dword v112, v1, s[0:3], 0 offen
.LBB114_342:
	global_load_dword v0, v0, s[12:13] offset:152
	s_waitcnt vmcnt(0)
	v_add_nc_u32_e32 v0, -1, v0
	v_cmp_eq_u32_e32 vcc_lo, 38, v0
	s_cbranch_vccnz .LBB114_344
; %bb.343:
	v_lshlrev_b32_e32 v0, 4, v0
	v_mov_b32_e32 v1, s24
	v_add_nc_u32_e32 v0, 16, v0
	s_clause 0x7
	buffer_load_dword v2, v0, s[0:3], 0 offen
	buffer_load_dword v3, v0, s[0:3], 0 offen offset:4
	buffer_load_dword v4, v0, s[0:3], 0 offen offset:8
	buffer_load_dword v5, v0, s[0:3], 0 offen offset:12
	buffer_load_dword v6, v1, s[0:3], 0 offen offset:12
	buffer_load_dword v7, v1, s[0:3], 0 offen offset:8
	buffer_load_dword v8, v1, s[0:3], 0 offen offset:4
	buffer_load_dword v111, v1, s[0:3], 0 offen
	s_waitcnt vmcnt(7)
	buffer_store_dword v2, v1, s[0:3], 0 offen
	s_waitcnt vmcnt(6)
	buffer_store_dword v3, v1, s[0:3], 0 offen offset:4
	s_waitcnt vmcnt(5)
	buffer_store_dword v4, v1, s[0:3], 0 offen offset:8
	;; [unrolled: 2-line block ×6, first 2 shown]
	s_waitcnt vmcnt(0)
	buffer_store_dword v111, v0, s[0:3], 0 offen
.LBB114_344:
	v_mov_b32_e32 v0, 0
	global_load_dword v1, v0, s[12:13] offset:148
	s_waitcnt vmcnt(0)
	v_add_nc_u32_e32 v1, -1, v1
	v_cmp_eq_u32_e32 vcc_lo, 37, v1
	s_cbranch_vccnz .LBB114_346
; %bb.345:
	v_lshlrev_b32_e32 v1, 4, v1
	v_mov_b32_e32 v2, s25
	v_add_nc_u32_e32 v1, 16, v1
	s_clause 0x7
	buffer_load_dword v3, v1, s[0:3], 0 offen
	buffer_load_dword v4, v1, s[0:3], 0 offen offset:4
	buffer_load_dword v5, v1, s[0:3], 0 offen offset:8
	;; [unrolled: 1-line block ×6, first 2 shown]
	buffer_load_dword v112, v2, s[0:3], 0 offen
	s_waitcnt vmcnt(7)
	buffer_store_dword v3, v2, s[0:3], 0 offen
	s_waitcnt vmcnt(6)
	buffer_store_dword v4, v2, s[0:3], 0 offen offset:4
	s_waitcnt vmcnt(5)
	buffer_store_dword v5, v2, s[0:3], 0 offen offset:8
	;; [unrolled: 2-line block ×6, first 2 shown]
	s_waitcnt vmcnt(0)
	buffer_store_dword v112, v1, s[0:3], 0 offen
.LBB114_346:
	global_load_dword v0, v0, s[12:13] offset:144
	s_waitcnt vmcnt(0)
	v_add_nc_u32_e32 v0, -1, v0
	v_cmp_eq_u32_e32 vcc_lo, 36, v0
	s_cbranch_vccnz .LBB114_348
; %bb.347:
	v_lshlrev_b32_e32 v0, 4, v0
	v_mov_b32_e32 v1, s26
	v_add_nc_u32_e32 v0, 16, v0
	s_clause 0x7
	buffer_load_dword v2, v0, s[0:3], 0 offen
	buffer_load_dword v3, v0, s[0:3], 0 offen offset:4
	buffer_load_dword v4, v0, s[0:3], 0 offen offset:8
	;; [unrolled: 1-line block ×6, first 2 shown]
	buffer_load_dword v111, v1, s[0:3], 0 offen
	s_waitcnt vmcnt(7)
	buffer_store_dword v2, v1, s[0:3], 0 offen
	s_waitcnt vmcnt(6)
	buffer_store_dword v3, v1, s[0:3], 0 offen offset:4
	s_waitcnt vmcnt(5)
	buffer_store_dword v4, v1, s[0:3], 0 offen offset:8
	;; [unrolled: 2-line block ×6, first 2 shown]
	s_waitcnt vmcnt(0)
	buffer_store_dword v111, v0, s[0:3], 0 offen
.LBB114_348:
	v_mov_b32_e32 v0, 0
	global_load_dword v1, v0, s[12:13] offset:140
	s_waitcnt vmcnt(0)
	v_add_nc_u32_e32 v1, -1, v1
	v_cmp_eq_u32_e32 vcc_lo, 35, v1
	s_cbranch_vccnz .LBB114_350
; %bb.349:
	v_lshlrev_b32_e32 v1, 4, v1
	v_mov_b32_e32 v2, s27
	v_add_nc_u32_e32 v1, 16, v1
	s_clause 0x7
	buffer_load_dword v3, v1, s[0:3], 0 offen
	buffer_load_dword v4, v1, s[0:3], 0 offen offset:4
	buffer_load_dword v5, v1, s[0:3], 0 offen offset:8
	;; [unrolled: 1-line block ×6, first 2 shown]
	buffer_load_dword v112, v2, s[0:3], 0 offen
	s_waitcnt vmcnt(7)
	buffer_store_dword v3, v2, s[0:3], 0 offen
	s_waitcnt vmcnt(6)
	buffer_store_dword v4, v2, s[0:3], 0 offen offset:4
	s_waitcnt vmcnt(5)
	buffer_store_dword v5, v2, s[0:3], 0 offen offset:8
	;; [unrolled: 2-line block ×6, first 2 shown]
	s_waitcnt vmcnt(0)
	buffer_store_dword v112, v1, s[0:3], 0 offen
.LBB114_350:
	global_load_dword v0, v0, s[12:13] offset:136
	s_waitcnt vmcnt(0)
	v_add_nc_u32_e32 v0, -1, v0
	v_cmp_eq_u32_e32 vcc_lo, 34, v0
	s_cbranch_vccnz .LBB114_352
; %bb.351:
	v_lshlrev_b32_e32 v0, 4, v0
	v_mov_b32_e32 v1, s28
	v_add_nc_u32_e32 v0, 16, v0
	s_clause 0x7
	buffer_load_dword v2, v0, s[0:3], 0 offen
	buffer_load_dword v3, v0, s[0:3], 0 offen offset:4
	buffer_load_dword v4, v0, s[0:3], 0 offen offset:8
	;; [unrolled: 1-line block ×6, first 2 shown]
	buffer_load_dword v111, v1, s[0:3], 0 offen
	s_waitcnt vmcnt(7)
	buffer_store_dword v2, v1, s[0:3], 0 offen
	s_waitcnt vmcnt(6)
	buffer_store_dword v3, v1, s[0:3], 0 offen offset:4
	s_waitcnt vmcnt(5)
	buffer_store_dword v4, v1, s[0:3], 0 offen offset:8
	;; [unrolled: 2-line block ×6, first 2 shown]
	s_waitcnt vmcnt(0)
	buffer_store_dword v111, v0, s[0:3], 0 offen
.LBB114_352:
	v_mov_b32_e32 v0, 0
	global_load_dword v1, v0, s[12:13] offset:132
	s_waitcnt vmcnt(0)
	v_add_nc_u32_e32 v1, -1, v1
	v_cmp_eq_u32_e32 vcc_lo, 33, v1
	s_cbranch_vccnz .LBB114_354
; %bb.353:
	v_lshlrev_b32_e32 v1, 4, v1
	v_mov_b32_e32 v2, s29
	v_add_nc_u32_e32 v1, 16, v1
	s_clause 0x7
	buffer_load_dword v3, v1, s[0:3], 0 offen
	buffer_load_dword v4, v1, s[0:3], 0 offen offset:4
	buffer_load_dword v5, v1, s[0:3], 0 offen offset:8
	;; [unrolled: 1-line block ×6, first 2 shown]
	buffer_load_dword v112, v2, s[0:3], 0 offen
	s_waitcnt vmcnt(7)
	buffer_store_dword v3, v2, s[0:3], 0 offen
	s_waitcnt vmcnt(6)
	buffer_store_dword v4, v2, s[0:3], 0 offen offset:4
	s_waitcnt vmcnt(5)
	buffer_store_dword v5, v2, s[0:3], 0 offen offset:8
	;; [unrolled: 2-line block ×6, first 2 shown]
	s_waitcnt vmcnt(0)
	buffer_store_dword v112, v1, s[0:3], 0 offen
.LBB114_354:
	global_load_dword v0, v0, s[12:13] offset:128
	s_waitcnt vmcnt(0)
	v_add_nc_u32_e32 v0, -1, v0
	v_cmp_eq_u32_e32 vcc_lo, 32, v0
	s_cbranch_vccnz .LBB114_356
; %bb.355:
	v_lshlrev_b32_e32 v0, 4, v0
	v_mov_b32_e32 v1, s30
	v_add_nc_u32_e32 v0, 16, v0
	s_clause 0x7
	buffer_load_dword v2, v0, s[0:3], 0 offen
	buffer_load_dword v3, v0, s[0:3], 0 offen offset:4
	buffer_load_dword v4, v0, s[0:3], 0 offen offset:8
	;; [unrolled: 1-line block ×6, first 2 shown]
	buffer_load_dword v111, v1, s[0:3], 0 offen
	s_waitcnt vmcnt(7)
	buffer_store_dword v2, v1, s[0:3], 0 offen
	s_waitcnt vmcnt(6)
	buffer_store_dword v3, v1, s[0:3], 0 offen offset:4
	s_waitcnt vmcnt(5)
	buffer_store_dword v4, v1, s[0:3], 0 offen offset:8
	;; [unrolled: 2-line block ×6, first 2 shown]
	s_waitcnt vmcnt(0)
	buffer_store_dword v111, v0, s[0:3], 0 offen
.LBB114_356:
	v_mov_b32_e32 v0, 0
	global_load_dword v1, v0, s[12:13] offset:124
	s_waitcnt vmcnt(0)
	v_add_nc_u32_e32 v1, -1, v1
	v_cmp_eq_u32_e32 vcc_lo, 31, v1
	s_cbranch_vccnz .LBB114_358
; %bb.357:
	v_lshlrev_b32_e32 v1, 4, v1
	v_mov_b32_e32 v2, s31
	v_add_nc_u32_e32 v1, 16, v1
	s_clause 0x7
	buffer_load_dword v3, v1, s[0:3], 0 offen
	buffer_load_dword v4, v1, s[0:3], 0 offen offset:4
	buffer_load_dword v5, v1, s[0:3], 0 offen offset:8
	;; [unrolled: 1-line block ×6, first 2 shown]
	buffer_load_dword v112, v2, s[0:3], 0 offen
	s_waitcnt vmcnt(7)
	buffer_store_dword v3, v2, s[0:3], 0 offen
	s_waitcnt vmcnt(6)
	buffer_store_dword v4, v2, s[0:3], 0 offen offset:4
	s_waitcnt vmcnt(5)
	buffer_store_dword v5, v2, s[0:3], 0 offen offset:8
	;; [unrolled: 2-line block ×6, first 2 shown]
	s_waitcnt vmcnt(0)
	buffer_store_dword v112, v1, s[0:3], 0 offen
.LBB114_358:
	global_load_dword v0, v0, s[12:13] offset:120
	s_waitcnt vmcnt(0)
	v_add_nc_u32_e32 v0, -1, v0
	v_cmp_eq_u32_e32 vcc_lo, 30, v0
	s_cbranch_vccnz .LBB114_360
; %bb.359:
	v_lshlrev_b32_e32 v0, 4, v0
	v_mov_b32_e32 v1, s33
	v_add_nc_u32_e32 v0, 16, v0
	s_clause 0x7
	buffer_load_dword v2, v0, s[0:3], 0 offen
	buffer_load_dword v3, v0, s[0:3], 0 offen offset:4
	buffer_load_dword v4, v0, s[0:3], 0 offen offset:8
	;; [unrolled: 1-line block ×6, first 2 shown]
	buffer_load_dword v111, v1, s[0:3], 0 offen
	s_waitcnt vmcnt(7)
	buffer_store_dword v2, v1, s[0:3], 0 offen
	s_waitcnt vmcnt(6)
	buffer_store_dword v3, v1, s[0:3], 0 offen offset:4
	s_waitcnt vmcnt(5)
	buffer_store_dword v4, v1, s[0:3], 0 offen offset:8
	;; [unrolled: 2-line block ×6, first 2 shown]
	s_waitcnt vmcnt(0)
	buffer_store_dword v111, v0, s[0:3], 0 offen
.LBB114_360:
	v_mov_b32_e32 v0, 0
	global_load_dword v1, v0, s[12:13] offset:116
	s_waitcnt vmcnt(0)
	v_add_nc_u32_e32 v1, -1, v1
	v_cmp_eq_u32_e32 vcc_lo, 29, v1
	s_cbranch_vccnz .LBB114_362
; %bb.361:
	v_lshlrev_b32_e32 v1, 4, v1
	v_mov_b32_e32 v2, s34
	v_add_nc_u32_e32 v1, 16, v1
	s_clause 0x7
	buffer_load_dword v3, v1, s[0:3], 0 offen
	buffer_load_dword v4, v1, s[0:3], 0 offen offset:4
	buffer_load_dword v5, v1, s[0:3], 0 offen offset:8
	;; [unrolled: 1-line block ×6, first 2 shown]
	buffer_load_dword v112, v2, s[0:3], 0 offen
	s_waitcnt vmcnt(7)
	buffer_store_dword v3, v2, s[0:3], 0 offen
	s_waitcnt vmcnt(6)
	buffer_store_dword v4, v2, s[0:3], 0 offen offset:4
	s_waitcnt vmcnt(5)
	buffer_store_dword v5, v2, s[0:3], 0 offen offset:8
	;; [unrolled: 2-line block ×6, first 2 shown]
	s_waitcnt vmcnt(0)
	buffer_store_dword v112, v1, s[0:3], 0 offen
.LBB114_362:
	global_load_dword v0, v0, s[12:13] offset:112
	s_waitcnt vmcnt(0)
	v_add_nc_u32_e32 v0, -1, v0
	v_cmp_eq_u32_e32 vcc_lo, 28, v0
	s_cbranch_vccnz .LBB114_364
; %bb.363:
	v_lshlrev_b32_e32 v0, 4, v0
	v_mov_b32_e32 v1, s35
	v_add_nc_u32_e32 v0, 16, v0
	s_clause 0x7
	buffer_load_dword v2, v0, s[0:3], 0 offen
	buffer_load_dword v3, v0, s[0:3], 0 offen offset:4
	buffer_load_dword v4, v0, s[0:3], 0 offen offset:8
	;; [unrolled: 1-line block ×6, first 2 shown]
	buffer_load_dword v111, v1, s[0:3], 0 offen
	s_waitcnt vmcnt(7)
	buffer_store_dword v2, v1, s[0:3], 0 offen
	s_waitcnt vmcnt(6)
	buffer_store_dword v3, v1, s[0:3], 0 offen offset:4
	s_waitcnt vmcnt(5)
	buffer_store_dword v4, v1, s[0:3], 0 offen offset:8
	;; [unrolled: 2-line block ×6, first 2 shown]
	s_waitcnt vmcnt(0)
	buffer_store_dword v111, v0, s[0:3], 0 offen
.LBB114_364:
	v_mov_b32_e32 v0, 0
	global_load_dword v1, v0, s[12:13] offset:108
	s_waitcnt vmcnt(0)
	v_add_nc_u32_e32 v1, -1, v1
	v_cmp_eq_u32_e32 vcc_lo, 27, v1
	s_cbranch_vccnz .LBB114_366
; %bb.365:
	v_lshlrev_b32_e32 v1, 4, v1
	v_mov_b32_e32 v2, s36
	v_add_nc_u32_e32 v1, 16, v1
	s_clause 0x7
	buffer_load_dword v3, v1, s[0:3], 0 offen
	buffer_load_dword v4, v1, s[0:3], 0 offen offset:4
	buffer_load_dword v5, v1, s[0:3], 0 offen offset:8
	;; [unrolled: 1-line block ×6, first 2 shown]
	buffer_load_dword v112, v2, s[0:3], 0 offen
	s_waitcnt vmcnt(7)
	buffer_store_dword v3, v2, s[0:3], 0 offen
	s_waitcnt vmcnt(6)
	buffer_store_dword v4, v2, s[0:3], 0 offen offset:4
	s_waitcnt vmcnt(5)
	buffer_store_dword v5, v2, s[0:3], 0 offen offset:8
	;; [unrolled: 2-line block ×6, first 2 shown]
	s_waitcnt vmcnt(0)
	buffer_store_dword v112, v1, s[0:3], 0 offen
.LBB114_366:
	global_load_dword v0, v0, s[12:13] offset:104
	s_waitcnt vmcnt(0)
	v_add_nc_u32_e32 v0, -1, v0
	v_cmp_eq_u32_e32 vcc_lo, 26, v0
	s_cbranch_vccnz .LBB114_368
; %bb.367:
	v_lshlrev_b32_e32 v0, 4, v0
	v_mov_b32_e32 v1, s37
	v_add_nc_u32_e32 v0, 16, v0
	s_clause 0x7
	buffer_load_dword v2, v0, s[0:3], 0 offen
	buffer_load_dword v3, v0, s[0:3], 0 offen offset:4
	buffer_load_dword v4, v0, s[0:3], 0 offen offset:8
	;; [unrolled: 1-line block ×6, first 2 shown]
	buffer_load_dword v111, v1, s[0:3], 0 offen
	s_waitcnt vmcnt(7)
	buffer_store_dword v2, v1, s[0:3], 0 offen
	s_waitcnt vmcnt(6)
	buffer_store_dword v3, v1, s[0:3], 0 offen offset:4
	s_waitcnt vmcnt(5)
	buffer_store_dword v4, v1, s[0:3], 0 offen offset:8
	;; [unrolled: 2-line block ×6, first 2 shown]
	s_waitcnt vmcnt(0)
	buffer_store_dword v111, v0, s[0:3], 0 offen
.LBB114_368:
	v_mov_b32_e32 v0, 0
	global_load_dword v1, v0, s[12:13] offset:100
	s_waitcnt vmcnt(0)
	v_add_nc_u32_e32 v1, -1, v1
	v_cmp_eq_u32_e32 vcc_lo, 25, v1
	s_cbranch_vccnz .LBB114_370
; %bb.369:
	v_lshlrev_b32_e32 v1, 4, v1
	v_mov_b32_e32 v2, s38
	v_add_nc_u32_e32 v1, 16, v1
	s_clause 0x7
	buffer_load_dword v3, v1, s[0:3], 0 offen
	buffer_load_dword v4, v1, s[0:3], 0 offen offset:4
	buffer_load_dword v5, v1, s[0:3], 0 offen offset:8
	;; [unrolled: 1-line block ×6, first 2 shown]
	buffer_load_dword v112, v2, s[0:3], 0 offen
	s_waitcnt vmcnt(7)
	buffer_store_dword v3, v2, s[0:3], 0 offen
	s_waitcnt vmcnt(6)
	buffer_store_dword v4, v2, s[0:3], 0 offen offset:4
	s_waitcnt vmcnt(5)
	buffer_store_dword v5, v2, s[0:3], 0 offen offset:8
	;; [unrolled: 2-line block ×6, first 2 shown]
	s_waitcnt vmcnt(0)
	buffer_store_dword v112, v1, s[0:3], 0 offen
.LBB114_370:
	global_load_dword v0, v0, s[12:13] offset:96
	s_waitcnt vmcnt(0)
	v_add_nc_u32_e32 v0, -1, v0
	v_cmp_eq_u32_e32 vcc_lo, 24, v0
	s_cbranch_vccnz .LBB114_372
; %bb.371:
	v_lshlrev_b32_e32 v0, 4, v0
	v_mov_b32_e32 v1, s39
	v_add_nc_u32_e32 v0, 16, v0
	s_clause 0x7
	buffer_load_dword v2, v0, s[0:3], 0 offen
	buffer_load_dword v3, v0, s[0:3], 0 offen offset:4
	buffer_load_dword v4, v0, s[0:3], 0 offen offset:8
	;; [unrolled: 1-line block ×6, first 2 shown]
	buffer_load_dword v111, v1, s[0:3], 0 offen
	s_waitcnt vmcnt(7)
	buffer_store_dword v2, v1, s[0:3], 0 offen
	s_waitcnt vmcnt(6)
	buffer_store_dword v3, v1, s[0:3], 0 offen offset:4
	s_waitcnt vmcnt(5)
	buffer_store_dword v4, v1, s[0:3], 0 offen offset:8
	;; [unrolled: 2-line block ×6, first 2 shown]
	s_waitcnt vmcnt(0)
	buffer_store_dword v111, v0, s[0:3], 0 offen
.LBB114_372:
	v_mov_b32_e32 v0, 0
	global_load_dword v1, v0, s[12:13] offset:92
	s_waitcnt vmcnt(0)
	v_add_nc_u32_e32 v1, -1, v1
	v_cmp_eq_u32_e32 vcc_lo, 23, v1
	s_cbranch_vccnz .LBB114_374
; %bb.373:
	v_lshlrev_b32_e32 v1, 4, v1
	v_mov_b32_e32 v2, s40
	v_add_nc_u32_e32 v1, 16, v1
	s_clause 0x7
	buffer_load_dword v3, v1, s[0:3], 0 offen
	buffer_load_dword v4, v1, s[0:3], 0 offen offset:4
	buffer_load_dword v5, v1, s[0:3], 0 offen offset:8
	;; [unrolled: 1-line block ×6, first 2 shown]
	buffer_load_dword v112, v2, s[0:3], 0 offen
	s_waitcnt vmcnt(7)
	buffer_store_dword v3, v2, s[0:3], 0 offen
	s_waitcnt vmcnt(6)
	buffer_store_dword v4, v2, s[0:3], 0 offen offset:4
	s_waitcnt vmcnt(5)
	buffer_store_dword v5, v2, s[0:3], 0 offen offset:8
	;; [unrolled: 2-line block ×6, first 2 shown]
	s_waitcnt vmcnt(0)
	buffer_store_dword v112, v1, s[0:3], 0 offen
.LBB114_374:
	global_load_dword v0, v0, s[12:13] offset:88
	s_waitcnt vmcnt(0)
	v_add_nc_u32_e32 v0, -1, v0
	v_cmp_eq_u32_e32 vcc_lo, 22, v0
	s_cbranch_vccnz .LBB114_376
; %bb.375:
	v_lshlrev_b32_e32 v0, 4, v0
	v_mov_b32_e32 v1, s41
	v_add_nc_u32_e32 v0, 16, v0
	s_clause 0x7
	buffer_load_dword v2, v0, s[0:3], 0 offen
	buffer_load_dword v3, v0, s[0:3], 0 offen offset:4
	buffer_load_dword v4, v0, s[0:3], 0 offen offset:8
	;; [unrolled: 1-line block ×6, first 2 shown]
	buffer_load_dword v111, v1, s[0:3], 0 offen
	s_waitcnt vmcnt(7)
	buffer_store_dword v2, v1, s[0:3], 0 offen
	s_waitcnt vmcnt(6)
	buffer_store_dword v3, v1, s[0:3], 0 offen offset:4
	s_waitcnt vmcnt(5)
	buffer_store_dword v4, v1, s[0:3], 0 offen offset:8
	;; [unrolled: 2-line block ×6, first 2 shown]
	s_waitcnt vmcnt(0)
	buffer_store_dword v111, v0, s[0:3], 0 offen
.LBB114_376:
	v_mov_b32_e32 v0, 0
	global_load_dword v1, v0, s[12:13] offset:84
	s_waitcnt vmcnt(0)
	v_add_nc_u32_e32 v1, -1, v1
	v_cmp_eq_u32_e32 vcc_lo, 21, v1
	s_cbranch_vccnz .LBB114_378
; %bb.377:
	v_lshlrev_b32_e32 v1, 4, v1
	v_mov_b32_e32 v2, s42
	v_add_nc_u32_e32 v1, 16, v1
	s_clause 0x7
	buffer_load_dword v3, v1, s[0:3], 0 offen
	buffer_load_dword v4, v1, s[0:3], 0 offen offset:4
	buffer_load_dword v5, v1, s[0:3], 0 offen offset:8
	;; [unrolled: 1-line block ×6, first 2 shown]
	buffer_load_dword v112, v2, s[0:3], 0 offen
	s_waitcnt vmcnt(7)
	buffer_store_dword v3, v2, s[0:3], 0 offen
	s_waitcnt vmcnt(6)
	buffer_store_dword v4, v2, s[0:3], 0 offen offset:4
	s_waitcnt vmcnt(5)
	buffer_store_dword v5, v2, s[0:3], 0 offen offset:8
	s_waitcnt vmcnt(4)
	buffer_store_dword v6, v2, s[0:3], 0 offen offset:12
	s_waitcnt vmcnt(3)
	buffer_store_dword v7, v1, s[0:3], 0 offen offset:12
	s_waitcnt vmcnt(2)
	buffer_store_dword v8, v1, s[0:3], 0 offen offset:8
	s_waitcnt vmcnt(1)
	buffer_store_dword v111, v1, s[0:3], 0 offen offset:4
	s_waitcnt vmcnt(0)
	buffer_store_dword v112, v1, s[0:3], 0 offen
.LBB114_378:
	global_load_dword v0, v0, s[12:13] offset:80
	s_waitcnt vmcnt(0)
	v_add_nc_u32_e32 v0, -1, v0
	v_cmp_eq_u32_e32 vcc_lo, 20, v0
	s_cbranch_vccnz .LBB114_380
; %bb.379:
	v_lshlrev_b32_e32 v0, 4, v0
	v_mov_b32_e32 v1, s43
	v_add_nc_u32_e32 v0, 16, v0
	s_clause 0x7
	buffer_load_dword v2, v0, s[0:3], 0 offen
	buffer_load_dword v3, v0, s[0:3], 0 offen offset:4
	buffer_load_dword v4, v0, s[0:3], 0 offen offset:8
	;; [unrolled: 1-line block ×6, first 2 shown]
	buffer_load_dword v111, v1, s[0:3], 0 offen
	s_waitcnt vmcnt(7)
	buffer_store_dword v2, v1, s[0:3], 0 offen
	s_waitcnt vmcnt(6)
	buffer_store_dword v3, v1, s[0:3], 0 offen offset:4
	s_waitcnt vmcnt(5)
	buffer_store_dword v4, v1, s[0:3], 0 offen offset:8
	s_waitcnt vmcnt(4)
	buffer_store_dword v5, v1, s[0:3], 0 offen offset:12
	s_waitcnt vmcnt(3)
	buffer_store_dword v6, v0, s[0:3], 0 offen offset:12
	s_waitcnt vmcnt(2)
	buffer_store_dword v7, v0, s[0:3], 0 offen offset:8
	s_waitcnt vmcnt(1)
	buffer_store_dword v8, v0, s[0:3], 0 offen offset:4
	s_waitcnt vmcnt(0)
	buffer_store_dword v111, v0, s[0:3], 0 offen
.LBB114_380:
	v_mov_b32_e32 v0, 0
	global_load_dword v1, v0, s[12:13] offset:76
	s_waitcnt vmcnt(0)
	v_add_nc_u32_e32 v1, -1, v1
	v_cmp_eq_u32_e32 vcc_lo, 19, v1
	s_cbranch_vccnz .LBB114_382
; %bb.381:
	v_lshlrev_b32_e32 v1, 4, v1
	v_mov_b32_e32 v2, s44
	v_add_nc_u32_e32 v1, 16, v1
	s_clause 0x7
	buffer_load_dword v3, v1, s[0:3], 0 offen
	buffer_load_dword v4, v1, s[0:3], 0 offen offset:4
	buffer_load_dword v5, v1, s[0:3], 0 offen offset:8
	;; [unrolled: 1-line block ×6, first 2 shown]
	buffer_load_dword v112, v2, s[0:3], 0 offen
	s_waitcnt vmcnt(7)
	buffer_store_dword v3, v2, s[0:3], 0 offen
	s_waitcnt vmcnt(6)
	buffer_store_dword v4, v2, s[0:3], 0 offen offset:4
	s_waitcnt vmcnt(5)
	buffer_store_dword v5, v2, s[0:3], 0 offen offset:8
	;; [unrolled: 2-line block ×6, first 2 shown]
	s_waitcnt vmcnt(0)
	buffer_store_dword v112, v1, s[0:3], 0 offen
.LBB114_382:
	global_load_dword v0, v0, s[12:13] offset:72
	s_waitcnt vmcnt(0)
	v_add_nc_u32_e32 v0, -1, v0
	v_cmp_eq_u32_e32 vcc_lo, 18, v0
	s_cbranch_vccnz .LBB114_384
; %bb.383:
	v_lshlrev_b32_e32 v0, 4, v0
	v_mov_b32_e32 v1, s45
	v_add_nc_u32_e32 v0, 16, v0
	s_clause 0x7
	buffer_load_dword v2, v0, s[0:3], 0 offen
	buffer_load_dword v3, v0, s[0:3], 0 offen offset:4
	buffer_load_dword v4, v0, s[0:3], 0 offen offset:8
	;; [unrolled: 1-line block ×6, first 2 shown]
	buffer_load_dword v111, v1, s[0:3], 0 offen
	s_waitcnt vmcnt(7)
	buffer_store_dword v2, v1, s[0:3], 0 offen
	s_waitcnt vmcnt(6)
	buffer_store_dword v3, v1, s[0:3], 0 offen offset:4
	s_waitcnt vmcnt(5)
	buffer_store_dword v4, v1, s[0:3], 0 offen offset:8
	;; [unrolled: 2-line block ×6, first 2 shown]
	s_waitcnt vmcnt(0)
	buffer_store_dword v111, v0, s[0:3], 0 offen
.LBB114_384:
	v_mov_b32_e32 v0, 0
	global_load_dword v1, v0, s[12:13] offset:68
	s_waitcnt vmcnt(0)
	v_add_nc_u32_e32 v1, -1, v1
	v_cmp_eq_u32_e32 vcc_lo, 17, v1
	s_cbranch_vccnz .LBB114_386
; %bb.385:
	v_lshlrev_b32_e32 v1, 4, v1
	v_mov_b32_e32 v2, s46
	v_add_nc_u32_e32 v1, 16, v1
	s_clause 0x7
	buffer_load_dword v3, v1, s[0:3], 0 offen
	buffer_load_dword v4, v1, s[0:3], 0 offen offset:4
	buffer_load_dword v5, v1, s[0:3], 0 offen offset:8
	;; [unrolled: 1-line block ×6, first 2 shown]
	buffer_load_dword v112, v2, s[0:3], 0 offen
	s_waitcnt vmcnt(7)
	buffer_store_dword v3, v2, s[0:3], 0 offen
	s_waitcnt vmcnt(6)
	buffer_store_dword v4, v2, s[0:3], 0 offen offset:4
	s_waitcnt vmcnt(5)
	buffer_store_dword v5, v2, s[0:3], 0 offen offset:8
	;; [unrolled: 2-line block ×6, first 2 shown]
	s_waitcnt vmcnt(0)
	buffer_store_dword v112, v1, s[0:3], 0 offen
.LBB114_386:
	global_load_dword v0, v0, s[12:13] offset:64
	s_waitcnt vmcnt(0)
	v_add_nc_u32_e32 v0, -1, v0
	v_cmp_eq_u32_e32 vcc_lo, 16, v0
	s_cbranch_vccnz .LBB114_388
; %bb.387:
	v_lshlrev_b32_e32 v0, 4, v0
	v_mov_b32_e32 v1, s47
	v_add_nc_u32_e32 v0, 16, v0
	s_clause 0x7
	buffer_load_dword v2, v0, s[0:3], 0 offen
	buffer_load_dword v3, v0, s[0:3], 0 offen offset:4
	buffer_load_dword v4, v0, s[0:3], 0 offen offset:8
	;; [unrolled: 1-line block ×6, first 2 shown]
	buffer_load_dword v111, v1, s[0:3], 0 offen
	s_waitcnt vmcnt(7)
	buffer_store_dword v2, v1, s[0:3], 0 offen
	s_waitcnt vmcnt(6)
	buffer_store_dword v3, v1, s[0:3], 0 offen offset:4
	s_waitcnt vmcnt(5)
	buffer_store_dword v4, v1, s[0:3], 0 offen offset:8
	;; [unrolled: 2-line block ×6, first 2 shown]
	s_waitcnt vmcnt(0)
	buffer_store_dword v111, v0, s[0:3], 0 offen
.LBB114_388:
	v_mov_b32_e32 v0, 0
	global_load_dword v1, v0, s[12:13] offset:60
	s_waitcnt vmcnt(0)
	v_add_nc_u32_e32 v1, -1, v1
	v_cmp_eq_u32_e32 vcc_lo, 15, v1
	s_cbranch_vccnz .LBB114_390
; %bb.389:
	v_lshlrev_b32_e32 v1, 4, v1
	v_mov_b32_e32 v2, s48
	v_add_nc_u32_e32 v1, 16, v1
	s_clause 0x7
	buffer_load_dword v3, v1, s[0:3], 0 offen
	buffer_load_dword v4, v1, s[0:3], 0 offen offset:4
	buffer_load_dword v5, v1, s[0:3], 0 offen offset:8
	;; [unrolled: 1-line block ×6, first 2 shown]
	buffer_load_dword v112, v2, s[0:3], 0 offen
	s_waitcnt vmcnt(7)
	buffer_store_dword v3, v2, s[0:3], 0 offen
	s_waitcnt vmcnt(6)
	buffer_store_dword v4, v2, s[0:3], 0 offen offset:4
	s_waitcnt vmcnt(5)
	buffer_store_dword v5, v2, s[0:3], 0 offen offset:8
	;; [unrolled: 2-line block ×6, first 2 shown]
	s_waitcnt vmcnt(0)
	buffer_store_dword v112, v1, s[0:3], 0 offen
.LBB114_390:
	global_load_dword v0, v0, s[12:13] offset:56
	s_waitcnt vmcnt(0)
	v_add_nc_u32_e32 v0, -1, v0
	v_cmp_eq_u32_e32 vcc_lo, 14, v0
	s_cbranch_vccnz .LBB114_392
; %bb.391:
	v_lshlrev_b32_e32 v0, 4, v0
	v_mov_b32_e32 v1, s49
	v_add_nc_u32_e32 v0, 16, v0
	s_clause 0x7
	buffer_load_dword v2, v0, s[0:3], 0 offen
	buffer_load_dword v3, v0, s[0:3], 0 offen offset:4
	buffer_load_dword v4, v0, s[0:3], 0 offen offset:8
	;; [unrolled: 1-line block ×6, first 2 shown]
	buffer_load_dword v111, v1, s[0:3], 0 offen
	s_waitcnt vmcnt(7)
	buffer_store_dword v2, v1, s[0:3], 0 offen
	s_waitcnt vmcnt(6)
	buffer_store_dword v3, v1, s[0:3], 0 offen offset:4
	s_waitcnt vmcnt(5)
	buffer_store_dword v4, v1, s[0:3], 0 offen offset:8
	;; [unrolled: 2-line block ×6, first 2 shown]
	s_waitcnt vmcnt(0)
	buffer_store_dword v111, v0, s[0:3], 0 offen
.LBB114_392:
	v_mov_b32_e32 v0, 0
	global_load_dword v1, v0, s[12:13] offset:52
	s_waitcnt vmcnt(0)
	v_add_nc_u32_e32 v1, -1, v1
	v_cmp_eq_u32_e32 vcc_lo, 13, v1
	s_cbranch_vccnz .LBB114_394
; %bb.393:
	v_lshlrev_b32_e32 v1, 4, v1
	v_mov_b32_e32 v2, s50
	v_add_nc_u32_e32 v1, 16, v1
	s_clause 0x7
	buffer_load_dword v3, v1, s[0:3], 0 offen
	buffer_load_dword v4, v1, s[0:3], 0 offen offset:4
	buffer_load_dword v5, v1, s[0:3], 0 offen offset:8
	;; [unrolled: 1-line block ×6, first 2 shown]
	buffer_load_dword v112, v2, s[0:3], 0 offen
	s_waitcnt vmcnt(7)
	buffer_store_dword v3, v2, s[0:3], 0 offen
	s_waitcnt vmcnt(6)
	buffer_store_dword v4, v2, s[0:3], 0 offen offset:4
	s_waitcnt vmcnt(5)
	buffer_store_dword v5, v2, s[0:3], 0 offen offset:8
	;; [unrolled: 2-line block ×6, first 2 shown]
	s_waitcnt vmcnt(0)
	buffer_store_dword v112, v1, s[0:3], 0 offen
.LBB114_394:
	global_load_dword v0, v0, s[12:13] offset:48
	s_waitcnt vmcnt(0)
	v_add_nc_u32_e32 v0, -1, v0
	v_cmp_eq_u32_e32 vcc_lo, 12, v0
	s_cbranch_vccnz .LBB114_396
; %bb.395:
	v_lshlrev_b32_e32 v0, 4, v0
	v_mov_b32_e32 v1, s51
	v_add_nc_u32_e32 v0, 16, v0
	s_clause 0x7
	buffer_load_dword v2, v0, s[0:3], 0 offen
	buffer_load_dword v3, v0, s[0:3], 0 offen offset:4
	buffer_load_dword v4, v0, s[0:3], 0 offen offset:8
	buffer_load_dword v5, v0, s[0:3], 0 offen offset:12
	buffer_load_dword v6, v1, s[0:3], 0 offen offset:12
	buffer_load_dword v7, v1, s[0:3], 0 offen offset:8
	buffer_load_dword v8, v1, s[0:3], 0 offen offset:4
	buffer_load_dword v111, v1, s[0:3], 0 offen
	s_waitcnt vmcnt(7)
	buffer_store_dword v2, v1, s[0:3], 0 offen
	s_waitcnt vmcnt(6)
	buffer_store_dword v3, v1, s[0:3], 0 offen offset:4
	s_waitcnt vmcnt(5)
	buffer_store_dword v4, v1, s[0:3], 0 offen offset:8
	;; [unrolled: 2-line block ×6, first 2 shown]
	s_waitcnt vmcnt(0)
	buffer_store_dword v111, v0, s[0:3], 0 offen
.LBB114_396:
	v_mov_b32_e32 v0, 0
	global_load_dword v1, v0, s[12:13] offset:44
	s_waitcnt vmcnt(0)
	v_add_nc_u32_e32 v1, -1, v1
	v_cmp_eq_u32_e32 vcc_lo, 11, v1
	s_cbranch_vccnz .LBB114_398
; %bb.397:
	v_lshlrev_b32_e32 v1, 4, v1
	v_mov_b32_e32 v2, s52
	v_add_nc_u32_e32 v1, 16, v1
	s_clause 0x7
	buffer_load_dword v3, v1, s[0:3], 0 offen
	buffer_load_dword v4, v1, s[0:3], 0 offen offset:4
	buffer_load_dword v5, v1, s[0:3], 0 offen offset:8
	;; [unrolled: 1-line block ×6, first 2 shown]
	buffer_load_dword v112, v2, s[0:3], 0 offen
	s_waitcnt vmcnt(7)
	buffer_store_dword v3, v2, s[0:3], 0 offen
	s_waitcnt vmcnt(6)
	buffer_store_dword v4, v2, s[0:3], 0 offen offset:4
	s_waitcnt vmcnt(5)
	buffer_store_dword v5, v2, s[0:3], 0 offen offset:8
	;; [unrolled: 2-line block ×6, first 2 shown]
	s_waitcnt vmcnt(0)
	buffer_store_dword v112, v1, s[0:3], 0 offen
.LBB114_398:
	global_load_dword v0, v0, s[12:13] offset:40
	s_waitcnt vmcnt(0)
	v_add_nc_u32_e32 v0, -1, v0
	v_cmp_eq_u32_e32 vcc_lo, 10, v0
	s_cbranch_vccnz .LBB114_400
; %bb.399:
	v_lshlrev_b32_e32 v0, 4, v0
	v_mov_b32_e32 v1, s53
	v_add_nc_u32_e32 v0, 16, v0
	s_clause 0x7
	buffer_load_dword v2, v0, s[0:3], 0 offen
	buffer_load_dword v3, v0, s[0:3], 0 offen offset:4
	buffer_load_dword v4, v0, s[0:3], 0 offen offset:8
	;; [unrolled: 1-line block ×6, first 2 shown]
	buffer_load_dword v111, v1, s[0:3], 0 offen
	s_waitcnt vmcnt(7)
	buffer_store_dword v2, v1, s[0:3], 0 offen
	s_waitcnt vmcnt(6)
	buffer_store_dword v3, v1, s[0:3], 0 offen offset:4
	s_waitcnt vmcnt(5)
	buffer_store_dword v4, v1, s[0:3], 0 offen offset:8
	;; [unrolled: 2-line block ×6, first 2 shown]
	s_waitcnt vmcnt(0)
	buffer_store_dword v111, v0, s[0:3], 0 offen
.LBB114_400:
	v_mov_b32_e32 v0, 0
	global_load_dword v1, v0, s[12:13] offset:36
	s_waitcnt vmcnt(0)
	v_add_nc_u32_e32 v1, -1, v1
	v_cmp_eq_u32_e32 vcc_lo, 9, v1
	s_cbranch_vccnz .LBB114_402
; %bb.401:
	v_lshlrev_b32_e32 v1, 4, v1
	v_mov_b32_e32 v2, s54
	v_add_nc_u32_e32 v1, 16, v1
	s_clause 0x7
	buffer_load_dword v3, v1, s[0:3], 0 offen
	buffer_load_dword v4, v1, s[0:3], 0 offen offset:4
	buffer_load_dword v5, v1, s[0:3], 0 offen offset:8
	;; [unrolled: 1-line block ×6, first 2 shown]
	buffer_load_dword v112, v2, s[0:3], 0 offen
	s_waitcnt vmcnt(7)
	buffer_store_dword v3, v2, s[0:3], 0 offen
	s_waitcnt vmcnt(6)
	buffer_store_dword v4, v2, s[0:3], 0 offen offset:4
	s_waitcnt vmcnt(5)
	buffer_store_dword v5, v2, s[0:3], 0 offen offset:8
	;; [unrolled: 2-line block ×6, first 2 shown]
	s_waitcnt vmcnt(0)
	buffer_store_dword v112, v1, s[0:3], 0 offen
.LBB114_402:
	global_load_dword v0, v0, s[12:13] offset:32
	s_waitcnt vmcnt(0)
	v_add_nc_u32_e32 v0, -1, v0
	v_cmp_eq_u32_e32 vcc_lo, 8, v0
	s_cbranch_vccnz .LBB114_404
; %bb.403:
	v_lshlrev_b32_e32 v0, 4, v0
	v_mov_b32_e32 v1, s55
	v_add_nc_u32_e32 v0, 16, v0
	s_clause 0x7
	buffer_load_dword v2, v0, s[0:3], 0 offen
	buffer_load_dword v3, v0, s[0:3], 0 offen offset:4
	buffer_load_dword v4, v0, s[0:3], 0 offen offset:8
	;; [unrolled: 1-line block ×6, first 2 shown]
	buffer_load_dword v111, v1, s[0:3], 0 offen
	s_waitcnt vmcnt(7)
	buffer_store_dword v2, v1, s[0:3], 0 offen
	s_waitcnt vmcnt(6)
	buffer_store_dword v3, v1, s[0:3], 0 offen offset:4
	s_waitcnt vmcnt(5)
	buffer_store_dword v4, v1, s[0:3], 0 offen offset:8
	;; [unrolled: 2-line block ×6, first 2 shown]
	s_waitcnt vmcnt(0)
	buffer_store_dword v111, v0, s[0:3], 0 offen
.LBB114_404:
	v_mov_b32_e32 v0, 0
	global_load_dword v1, v0, s[12:13] offset:28
	s_waitcnt vmcnt(0)
	v_add_nc_u32_e32 v1, -1, v1
	v_cmp_eq_u32_e32 vcc_lo, 7, v1
	s_cbranch_vccnz .LBB114_406
; %bb.405:
	v_lshlrev_b32_e32 v1, 4, v1
	v_mov_b32_e32 v2, s56
	v_add_nc_u32_e32 v1, 16, v1
	s_clause 0x7
	buffer_load_dword v3, v1, s[0:3], 0 offen
	buffer_load_dword v4, v1, s[0:3], 0 offen offset:4
	buffer_load_dword v5, v1, s[0:3], 0 offen offset:8
	;; [unrolled: 1-line block ×6, first 2 shown]
	buffer_load_dword v112, v2, s[0:3], 0 offen
	s_waitcnt vmcnt(7)
	buffer_store_dword v3, v2, s[0:3], 0 offen
	s_waitcnt vmcnt(6)
	buffer_store_dword v4, v2, s[0:3], 0 offen offset:4
	s_waitcnt vmcnt(5)
	buffer_store_dword v5, v2, s[0:3], 0 offen offset:8
	;; [unrolled: 2-line block ×6, first 2 shown]
	s_waitcnt vmcnt(0)
	buffer_store_dword v112, v1, s[0:3], 0 offen
.LBB114_406:
	global_load_dword v0, v0, s[12:13] offset:24
	s_waitcnt vmcnt(0)
	v_add_nc_u32_e32 v0, -1, v0
	v_cmp_eq_u32_e32 vcc_lo, 6, v0
	s_cbranch_vccnz .LBB114_408
; %bb.407:
	v_lshlrev_b32_e32 v0, 4, v0
	v_mov_b32_e32 v1, s57
	v_add_nc_u32_e32 v0, 16, v0
	s_clause 0x7
	buffer_load_dword v2, v0, s[0:3], 0 offen
	buffer_load_dword v3, v0, s[0:3], 0 offen offset:4
	buffer_load_dword v4, v0, s[0:3], 0 offen offset:8
	;; [unrolled: 1-line block ×6, first 2 shown]
	buffer_load_dword v111, v1, s[0:3], 0 offen
	s_waitcnt vmcnt(7)
	buffer_store_dword v2, v1, s[0:3], 0 offen
	s_waitcnt vmcnt(6)
	buffer_store_dword v3, v1, s[0:3], 0 offen offset:4
	s_waitcnt vmcnt(5)
	buffer_store_dword v4, v1, s[0:3], 0 offen offset:8
	s_waitcnt vmcnt(4)
	buffer_store_dword v5, v1, s[0:3], 0 offen offset:12
	s_waitcnt vmcnt(3)
	buffer_store_dword v6, v0, s[0:3], 0 offen offset:12
	s_waitcnt vmcnt(2)
	buffer_store_dword v7, v0, s[0:3], 0 offen offset:8
	s_waitcnt vmcnt(1)
	buffer_store_dword v8, v0, s[0:3], 0 offen offset:4
	s_waitcnt vmcnt(0)
	buffer_store_dword v111, v0, s[0:3], 0 offen
.LBB114_408:
	v_mov_b32_e32 v0, 0
	global_load_dword v1, v0, s[12:13] offset:20
	s_waitcnt vmcnt(0)
	v_add_nc_u32_e32 v1, -1, v1
	v_cmp_eq_u32_e32 vcc_lo, 5, v1
	s_cbranch_vccnz .LBB114_410
; %bb.409:
	v_lshlrev_b32_e32 v1, 4, v1
	v_mov_b32_e32 v2, s58
	v_add_nc_u32_e32 v1, 16, v1
	s_clause 0x7
	buffer_load_dword v3, v1, s[0:3], 0 offen
	buffer_load_dword v4, v1, s[0:3], 0 offen offset:4
	buffer_load_dword v5, v1, s[0:3], 0 offen offset:8
	;; [unrolled: 1-line block ×6, first 2 shown]
	buffer_load_dword v112, v2, s[0:3], 0 offen
	s_waitcnt vmcnt(7)
	buffer_store_dword v3, v2, s[0:3], 0 offen
	s_waitcnt vmcnt(6)
	buffer_store_dword v4, v2, s[0:3], 0 offen offset:4
	s_waitcnt vmcnt(5)
	buffer_store_dword v5, v2, s[0:3], 0 offen offset:8
	;; [unrolled: 2-line block ×6, first 2 shown]
	s_waitcnt vmcnt(0)
	buffer_store_dword v112, v1, s[0:3], 0 offen
.LBB114_410:
	global_load_dword v0, v0, s[12:13] offset:16
	s_waitcnt vmcnt(0)
	v_add_nc_u32_e32 v0, -1, v0
	v_cmp_eq_u32_e32 vcc_lo, 4, v0
	s_cbranch_vccnz .LBB114_412
; %bb.411:
	v_lshlrev_b32_e32 v0, 4, v0
	v_mov_b32_e32 v1, s59
	v_add_nc_u32_e32 v0, 16, v0
	s_clause 0x7
	buffer_load_dword v2, v0, s[0:3], 0 offen
	buffer_load_dword v3, v0, s[0:3], 0 offen offset:4
	buffer_load_dword v4, v0, s[0:3], 0 offen offset:8
	buffer_load_dword v5, v0, s[0:3], 0 offen offset:12
	buffer_load_dword v6, v1, s[0:3], 0 offen offset:12
	buffer_load_dword v7, v1, s[0:3], 0 offen offset:8
	buffer_load_dword v8, v1, s[0:3], 0 offen offset:4
	buffer_load_dword v111, v1, s[0:3], 0 offen
	s_waitcnt vmcnt(7)
	buffer_store_dword v2, v1, s[0:3], 0 offen
	s_waitcnt vmcnt(6)
	buffer_store_dword v3, v1, s[0:3], 0 offen offset:4
	s_waitcnt vmcnt(5)
	buffer_store_dword v4, v1, s[0:3], 0 offen offset:8
	s_waitcnt vmcnt(4)
	buffer_store_dword v5, v1, s[0:3], 0 offen offset:12
	s_waitcnt vmcnt(3)
	buffer_store_dword v6, v0, s[0:3], 0 offen offset:12
	s_waitcnt vmcnt(2)
	buffer_store_dword v7, v0, s[0:3], 0 offen offset:8
	s_waitcnt vmcnt(1)
	buffer_store_dword v8, v0, s[0:3], 0 offen offset:4
	s_waitcnt vmcnt(0)
	buffer_store_dword v111, v0, s[0:3], 0 offen
.LBB114_412:
	v_mov_b32_e32 v0, 0
	global_load_dword v1, v0, s[12:13] offset:12
	s_waitcnt vmcnt(0)
	v_add_nc_u32_e32 v1, -1, v1
	v_cmp_eq_u32_e32 vcc_lo, 3, v1
	s_cbranch_vccnz .LBB114_414
; %bb.413:
	v_lshlrev_b32_e32 v1, 4, v1
	v_mov_b32_e32 v2, s60
	v_add_nc_u32_e32 v1, 16, v1
	s_clause 0x7
	buffer_load_dword v3, v1, s[0:3], 0 offen
	buffer_load_dword v4, v1, s[0:3], 0 offen offset:4
	buffer_load_dword v5, v1, s[0:3], 0 offen offset:8
	;; [unrolled: 1-line block ×6, first 2 shown]
	buffer_load_dword v112, v2, s[0:3], 0 offen
	s_waitcnt vmcnt(7)
	buffer_store_dword v3, v2, s[0:3], 0 offen
	s_waitcnt vmcnt(6)
	buffer_store_dword v4, v2, s[0:3], 0 offen offset:4
	s_waitcnt vmcnt(5)
	buffer_store_dword v5, v2, s[0:3], 0 offen offset:8
	;; [unrolled: 2-line block ×6, first 2 shown]
	s_waitcnt vmcnt(0)
	buffer_store_dword v112, v1, s[0:3], 0 offen
.LBB114_414:
	global_load_dword v0, v0, s[12:13] offset:8
	s_waitcnt vmcnt(0)
	v_add_nc_u32_e32 v0, -1, v0
	v_cmp_eq_u32_e32 vcc_lo, 2, v0
	s_cbranch_vccnz .LBB114_416
; %bb.415:
	v_lshlrev_b32_e32 v0, 4, v0
	v_mov_b32_e32 v1, s61
	v_add_nc_u32_e32 v0, 16, v0
	s_clause 0x7
	buffer_load_dword v2, v0, s[0:3], 0 offen
	buffer_load_dword v3, v0, s[0:3], 0 offen offset:4
	buffer_load_dword v4, v0, s[0:3], 0 offen offset:8
	;; [unrolled: 1-line block ×6, first 2 shown]
	buffer_load_dword v111, v1, s[0:3], 0 offen
	s_waitcnt vmcnt(7)
	buffer_store_dword v2, v1, s[0:3], 0 offen
	s_waitcnt vmcnt(6)
	buffer_store_dword v3, v1, s[0:3], 0 offen offset:4
	s_waitcnt vmcnt(5)
	buffer_store_dword v4, v1, s[0:3], 0 offen offset:8
	;; [unrolled: 2-line block ×6, first 2 shown]
	s_waitcnt vmcnt(0)
	buffer_store_dword v111, v0, s[0:3], 0 offen
.LBB114_416:
	v_mov_b32_e32 v0, 0
	global_load_dword v1, v0, s[12:13] offset:4
	s_waitcnt vmcnt(0)
	v_add_nc_u32_e32 v1, -1, v1
	v_cmp_eq_u32_e32 vcc_lo, 1, v1
	s_cbranch_vccnz .LBB114_418
; %bb.417:
	v_lshlrev_b32_e32 v1, 4, v1
	v_mov_b32_e32 v2, s62
	v_add_nc_u32_e32 v1, 16, v1
	s_clause 0x7
	buffer_load_dword v3, v1, s[0:3], 0 offen
	buffer_load_dword v4, v1, s[0:3], 0 offen offset:4
	buffer_load_dword v5, v1, s[0:3], 0 offen offset:8
	buffer_load_dword v6, v1, s[0:3], 0 offen offset:12
	buffer_load_dword v7, v2, s[0:3], 0 offen offset:12
	buffer_load_dword v8, v2, s[0:3], 0 offen offset:8
	buffer_load_dword v111, v2, s[0:3], 0 offen offset:4
	buffer_load_dword v112, v2, s[0:3], 0 offen
	s_waitcnt vmcnt(7)
	buffer_store_dword v3, v2, s[0:3], 0 offen
	s_waitcnt vmcnt(6)
	buffer_store_dword v4, v2, s[0:3], 0 offen offset:4
	s_waitcnt vmcnt(5)
	buffer_store_dword v5, v2, s[0:3], 0 offen offset:8
	;; [unrolled: 2-line block ×6, first 2 shown]
	s_waitcnt vmcnt(0)
	buffer_store_dword v112, v1, s[0:3], 0 offen
.LBB114_418:
	global_load_dword v0, v0, s[12:13]
	s_waitcnt vmcnt(0)
	v_add_nc_u32_e32 v0, -1, v0
	v_cmp_eq_u32_e32 vcc_lo, 0, v0
	s_cbranch_vccnz .LBB114_420
; %bb.419:
	v_lshlrev_b32_e32 v0, 4, v0
	v_add_nc_u32_e32 v0, 16, v0
	s_clause 0x7
	buffer_load_dword v1, v0, s[0:3], 0 offen
	buffer_load_dword v2, v0, s[0:3], 0 offen offset:4
	buffer_load_dword v3, v0, s[0:3], 0 offen offset:8
	;; [unrolled: 1-line block ×3, first 2 shown]
	buffer_load_dword v5, off, s[0:3], 0 offset:28
	buffer_load_dword v6, off, s[0:3], 0 offset:24
	;; [unrolled: 1-line block ×4, first 2 shown]
	s_waitcnt vmcnt(7)
	buffer_store_dword v1, off, s[0:3], 0 offset:16
	s_waitcnt vmcnt(6)
	buffer_store_dword v2, off, s[0:3], 0 offset:20
	;; [unrolled: 2-line block ×4, first 2 shown]
	s_waitcnt vmcnt(3)
	buffer_store_dword v5, v0, s[0:3], 0 offen offset:12
	s_waitcnt vmcnt(2)
	buffer_store_dword v6, v0, s[0:3], 0 offen offset:8
	;; [unrolled: 2-line block ×3, first 2 shown]
	s_waitcnt vmcnt(0)
	buffer_store_dword v8, v0, s[0:3], 0 offen
.LBB114_420:
	s_clause 0x3
	buffer_load_dword v0, off, s[0:3], 0 offset:16
	buffer_load_dword v1, off, s[0:3], 0 offset:20
	;; [unrolled: 1-line block ×4, first 2 shown]
	v_mov_b32_e32 v4, s62
	s_waitcnt vmcnt(0)
	flat_store_dwordx4 v[9:10], v[0:3]
	s_clause 0x3
	buffer_load_dword v0, v4, s[0:3], 0 offen
	buffer_load_dword v1, v4, s[0:3], 0 offen offset:4
	buffer_load_dword v2, v4, s[0:3], 0 offen offset:8
	buffer_load_dword v3, v4, s[0:3], 0 offen offset:12
	v_mov_b32_e32 v4, s61
	s_waitcnt vmcnt(0)
	flat_store_dwordx4 v[63:64], v[0:3]
	s_clause 0x3
	buffer_load_dword v0, v4, s[0:3], 0 offen
	buffer_load_dword v1, v4, s[0:3], 0 offen offset:4
	buffer_load_dword v2, v4, s[0:3], 0 offen offset:8
	buffer_load_dword v3, v4, s[0:3], 0 offen offset:12
	;; [unrolled: 8-line block ×50, first 2 shown]
	s_waitcnt vmcnt(0)
	flat_store_dwordx4 v[109:110], v[0:3]
	s_endpgm
	.section	.rodata,"a",@progbits
	.p2align	6, 0x0
	.amdhsa_kernel _ZN9rocsolver6v33100L18getri_kernel_smallILi51E19rocblas_complex_numIdEPKPS3_EEvT1_iilPiilS8_bb
		.amdhsa_group_segment_fixed_size 1640
		.amdhsa_private_segment_fixed_size 848
		.amdhsa_kernarg_size 60
		.amdhsa_user_sgpr_count 6
		.amdhsa_user_sgpr_private_segment_buffer 1
		.amdhsa_user_sgpr_dispatch_ptr 0
		.amdhsa_user_sgpr_queue_ptr 0
		.amdhsa_user_sgpr_kernarg_segment_ptr 1
		.amdhsa_user_sgpr_dispatch_id 0
		.amdhsa_user_sgpr_flat_scratch_init 0
		.amdhsa_user_sgpr_private_segment_size 0
		.amdhsa_wavefront_size32 1
		.amdhsa_uses_dynamic_stack 0
		.amdhsa_system_sgpr_private_segment_wavefront_offset 1
		.amdhsa_system_sgpr_workgroup_id_x 1
		.amdhsa_system_sgpr_workgroup_id_y 0
		.amdhsa_system_sgpr_workgroup_id_z 0
		.amdhsa_system_sgpr_workgroup_info 0
		.amdhsa_system_vgpr_workitem_id 0
		.amdhsa_next_free_vgpr 197
		.amdhsa_next_free_sgpr 87
		.amdhsa_reserve_vcc 1
		.amdhsa_reserve_flat_scratch 0
		.amdhsa_float_round_mode_32 0
		.amdhsa_float_round_mode_16_64 0
		.amdhsa_float_denorm_mode_32 3
		.amdhsa_float_denorm_mode_16_64 3
		.amdhsa_dx10_clamp 1
		.amdhsa_ieee_mode 1
		.amdhsa_fp16_overflow 0
		.amdhsa_workgroup_processor_mode 1
		.amdhsa_memory_ordered 1
		.amdhsa_forward_progress 1
		.amdhsa_shared_vgpr_count 0
		.amdhsa_exception_fp_ieee_invalid_op 0
		.amdhsa_exception_fp_denorm_src 0
		.amdhsa_exception_fp_ieee_div_zero 0
		.amdhsa_exception_fp_ieee_overflow 0
		.amdhsa_exception_fp_ieee_underflow 0
		.amdhsa_exception_fp_ieee_inexact 0
		.amdhsa_exception_int_div_zero 0
	.end_amdhsa_kernel
	.section	.text._ZN9rocsolver6v33100L18getri_kernel_smallILi51E19rocblas_complex_numIdEPKPS3_EEvT1_iilPiilS8_bb,"axG",@progbits,_ZN9rocsolver6v33100L18getri_kernel_smallILi51E19rocblas_complex_numIdEPKPS3_EEvT1_iilPiilS8_bb,comdat
.Lfunc_end114:
	.size	_ZN9rocsolver6v33100L18getri_kernel_smallILi51E19rocblas_complex_numIdEPKPS3_EEvT1_iilPiilS8_bb, .Lfunc_end114-_ZN9rocsolver6v33100L18getri_kernel_smallILi51E19rocblas_complex_numIdEPKPS3_EEvT1_iilPiilS8_bb
                                        ; -- End function
	.set _ZN9rocsolver6v33100L18getri_kernel_smallILi51E19rocblas_complex_numIdEPKPS3_EEvT1_iilPiilS8_bb.num_vgpr, 197
	.set _ZN9rocsolver6v33100L18getri_kernel_smallILi51E19rocblas_complex_numIdEPKPS3_EEvT1_iilPiilS8_bb.num_agpr, 0
	.set _ZN9rocsolver6v33100L18getri_kernel_smallILi51E19rocblas_complex_numIdEPKPS3_EEvT1_iilPiilS8_bb.numbered_sgpr, 87
	.set _ZN9rocsolver6v33100L18getri_kernel_smallILi51E19rocblas_complex_numIdEPKPS3_EEvT1_iilPiilS8_bb.num_named_barrier, 0
	.set _ZN9rocsolver6v33100L18getri_kernel_smallILi51E19rocblas_complex_numIdEPKPS3_EEvT1_iilPiilS8_bb.private_seg_size, 848
	.set _ZN9rocsolver6v33100L18getri_kernel_smallILi51E19rocblas_complex_numIdEPKPS3_EEvT1_iilPiilS8_bb.uses_vcc, 1
	.set _ZN9rocsolver6v33100L18getri_kernel_smallILi51E19rocblas_complex_numIdEPKPS3_EEvT1_iilPiilS8_bb.uses_flat_scratch, 0
	.set _ZN9rocsolver6v33100L18getri_kernel_smallILi51E19rocblas_complex_numIdEPKPS3_EEvT1_iilPiilS8_bb.has_dyn_sized_stack, 0
	.set _ZN9rocsolver6v33100L18getri_kernel_smallILi51E19rocblas_complex_numIdEPKPS3_EEvT1_iilPiilS8_bb.has_recursion, 0
	.set _ZN9rocsolver6v33100L18getri_kernel_smallILi51E19rocblas_complex_numIdEPKPS3_EEvT1_iilPiilS8_bb.has_indirect_call, 0
	.section	.AMDGPU.csdata,"",@progbits
; Kernel info:
; codeLenInByte = 173192
; TotalNumSgprs: 89
; NumVgprs: 197
; ScratchSize: 848
; MemoryBound: 0
; FloatMode: 240
; IeeeMode: 1
; LDSByteSize: 1640 bytes/workgroup (compile time only)
; SGPRBlocks: 0
; VGPRBlocks: 24
; NumSGPRsForWavesPerEU: 89
; NumVGPRsForWavesPerEU: 197
; Occupancy: 4
; WaveLimiterHint : 1
; COMPUTE_PGM_RSRC2:SCRATCH_EN: 1
; COMPUTE_PGM_RSRC2:USER_SGPR: 6
; COMPUTE_PGM_RSRC2:TRAP_HANDLER: 0
; COMPUTE_PGM_RSRC2:TGID_X_EN: 1
; COMPUTE_PGM_RSRC2:TGID_Y_EN: 0
; COMPUTE_PGM_RSRC2:TGID_Z_EN: 0
; COMPUTE_PGM_RSRC2:TIDIG_COMP_CNT: 0
	.section	.text._ZN9rocsolver6v33100L18getri_kernel_smallILi52E19rocblas_complex_numIdEPKPS3_EEvT1_iilPiilS8_bb,"axG",@progbits,_ZN9rocsolver6v33100L18getri_kernel_smallILi52E19rocblas_complex_numIdEPKPS3_EEvT1_iilPiilS8_bb,comdat
	.globl	_ZN9rocsolver6v33100L18getri_kernel_smallILi52E19rocblas_complex_numIdEPKPS3_EEvT1_iilPiilS8_bb ; -- Begin function _ZN9rocsolver6v33100L18getri_kernel_smallILi52E19rocblas_complex_numIdEPKPS3_EEvT1_iilPiilS8_bb
	.p2align	8
	.type	_ZN9rocsolver6v33100L18getri_kernel_smallILi52E19rocblas_complex_numIdEPKPS3_EEvT1_iilPiilS8_bb,@function
_ZN9rocsolver6v33100L18getri_kernel_smallILi52E19rocblas_complex_numIdEPKPS3_EEvT1_iilPiilS8_bb: ; @_ZN9rocsolver6v33100L18getri_kernel_smallILi52E19rocblas_complex_numIdEPKPS3_EEvT1_iilPiilS8_bb
; %bb.0:
	s_add_u32 s0, s0, s7
	s_addc_u32 s1, s1, 0
	s_mov_b32 s7, exec_lo
	v_cmpx_gt_u32_e32 52, v0
	s_cbranch_execz .LBB115_222
; %bb.1:
	s_clause 0x2
	s_load_dword s16, s[4:5], 0x38
	s_load_dwordx2 s[12:13], s[4:5], 0x0
	s_load_dwordx4 s[8:11], s[4:5], 0x28
	s_waitcnt lgkmcnt(0)
	s_bitcmp1_b32 s16, 8
	s_cselect_b32 s64, -1, 0
	s_ashr_i32 s7, s6, 31
	s_lshl_b64 s[14:15], s[6:7], 3
	s_add_u32 s12, s12, s14
	s_addc_u32 s13, s13, s15
	s_load_dwordx2 s[14:15], s[12:13], 0x0
	s_bfe_u32 s12, s16, 0x10008
	s_cmp_eq_u32 s12, 0
                                        ; implicit-def: $sgpr12_sgpr13
	s_cbranch_scc1 .LBB115_3
; %bb.2:
	s_clause 0x1
	s_load_dword s12, s[4:5], 0x20
	s_load_dwordx2 s[16:17], s[4:5], 0x18
	s_mul_i32 s13, s8, s7
	s_mul_hi_u32 s18, s8, s6
	s_mul_i32 s9, s9, s6
	s_add_i32 s13, s18, s13
	s_mul_i32 s8, s8, s6
	s_add_i32 s9, s13, s9
	s_lshl_b64 s[8:9], s[8:9], 2
	s_waitcnt lgkmcnt(0)
	s_ashr_i32 s13, s12, 31
	s_add_u32 s16, s16, s8
	s_addc_u32 s17, s17, s9
	s_lshl_b64 s[8:9], s[12:13], 2
	s_add_u32 s12, s16, s8
	s_addc_u32 s13, s17, s9
.LBB115_3:
	s_clause 0x1
	s_load_dwordx2 s[8:9], s[4:5], 0x8
	s_load_dword s65, s[4:5], 0x38
	v_lshlrev_b32_e32 v115, 4, v0
	s_movk_i32 s16, 0xa0
	s_movk_i32 s17, 0xb0
	;; [unrolled: 1-line block ×17, first 2 shown]
	s_waitcnt lgkmcnt(0)
	s_ashr_i32 s5, s8, 31
	s_mov_b32 s4, s8
	v_add3_u32 v5, s9, s9, v0
	s_lshl_b64 s[4:5], s[4:5], 4
	s_movk_i32 s34, 0x1b0
	s_add_u32 s8, s14, s4
	s_addc_u32 s14, s15, s5
	v_add_co_u32 v9, s4, s8, v115
	v_add_co_ci_u32_e64 v10, null, s14, 0, s4
	s_mov_b32 s4, s9
	s_ashr_i32 s5, s9, 31
	v_ashrrev_i32_e32 v6, 31, v5
	flat_load_dwordx4 v[1:4], v[9:10]
	s_lshl_b64 s[4:5], s[4:5], 4
	s_movk_i32 s15, 0x90
	v_add_co_u32 v63, vcc_lo, v9, s4
	v_add_co_ci_u32_e64 v64, null, s5, v10, vcc_lo
	v_lshlrev_b64 v[6:7], 4, v[5:6]
	v_add_nc_u32_e32 v5, s9, v5
	s_movk_i32 s4, 0x50
	s_movk_i32 s35, 0x1c0
	s_movk_i32 s66, 0x1d0
	s_movk_i32 s67, 0x1e0
	v_add_co_u32 v61, vcc_lo, s8, v6
	v_add_co_ci_u32_e64 v62, null, s14, v7, vcc_lo
	v_ashrrev_i32_e32 v6, 31, v5
	s_movk_i32 s68, 0x1f0
	s_movk_i32 s69, 0x200
	s_movk_i32 s70, 0x210
	s_movk_i32 s71, 0x220
	v_lshlrev_b64 v[6:7], 4, v[5:6]
	v_add_nc_u32_e32 v5, s9, v5
	s_movk_i32 s72, 0x230
	s_movk_i32 s73, 0x240
	s_movk_i32 s74, 0x250
	s_movk_i32 s75, 0x260
	v_add_co_u32 v57, vcc_lo, s8, v6
	v_add_co_ci_u32_e64 v58, null, s14, v7, vcc_lo
	v_ashrrev_i32_e32 v6, 31, v5
	s_movk_i32 s76, 0x270
	s_movk_i32 s77, 0x280
	s_movk_i32 s78, 0x290
	s_movk_i32 s79, 0x2a0
	;; [unrolled: 13-line block ×3, first 2 shown]
	v_lshlrev_b64 v[6:7], 4, v[5:6]
	v_add_nc_u32_e32 v5, s9, v5
	s_movk_i32 s88, 0x330
	s_add_i32 s59, s4, 16
	s_add_i32 s55, s15, 16
	s_add_i32 s54, s16, 16
	v_add_co_u32 v53, vcc_lo, s8, v6
	v_add_co_ci_u32_e64 v54, null, s14, v7, vcc_lo
	v_ashrrev_i32_e32 v6, 31, v5
	s_add_i32 s53, s17, 16
	s_add_i32 s52, s18, 16
	s_add_i32 s51, s19, 16
	s_add_i32 s50, s20, 16
	v_lshlrev_b64 v[6:7], 4, v[5:6]
	v_add_nc_u32_e32 v5, s9, v5
	s_add_i32 s49, s21, 16
	s_add_i32 s48, s22, 16
	s_add_i32 s47, s23, 16
	s_add_i32 s46, s24, 16
	v_add_co_u32 v51, vcc_lo, s8, v6
	v_add_co_ci_u32_e64 v52, null, s14, v7, vcc_lo
	v_ashrrev_i32_e32 v6, 31, v5
	s_add_i32 s45, s25, 16
	s_add_i32 s44, s26, 16
	s_add_i32 s43, s27, 16
	s_add_i32 s42, s28, 16
	v_lshlrev_b64 v[6:7], 4, v[5:6]
	v_add_nc_u32_e32 v5, s9, v5
	s_add_i32 s41, s29, 16
	;; [unrolled: 13-line block ×5, first 2 shown]
	s_add_i32 s15, s85, 16
	s_mov_b32 s5, -1
	s_mov_b32 s63, 32
	v_add_co_u32 v43, vcc_lo, s8, v6
	v_add_co_ci_u32_e64 v44, null, s14, v7, vcc_lo
	v_ashrrev_i32_e32 v6, 31, v5
	s_mov_b32 s62, 48
	s_mov_b32 s61, 64
	s_movk_i32 s60, 0x50
	s_waitcnt vmcnt(0) lgkmcnt(0)
	buffer_store_dword v4, off, s[0:3], 0 offset:28
	buffer_store_dword v3, off, s[0:3], 0 offset:24
	buffer_store_dword v2, off, s[0:3], 0 offset:20
	buffer_store_dword v1, off, s[0:3], 0 offset:16
	flat_load_dwordx4 v[1:4], v[63:64]
	v_lshlrev_b64 v[6:7], 4, v[5:6]
	v_add_nc_u32_e32 v5, s9, v5
	s_waitcnt vmcnt(0) lgkmcnt(0)
	buffer_store_dword v4, off, s[0:3], 0 offset:44
	buffer_store_dword v3, off, s[0:3], 0 offset:40
	buffer_store_dword v2, off, s[0:3], 0 offset:36
	buffer_store_dword v1, off, s[0:3], 0 offset:32
	flat_load_dwordx4 v[1:4], v[61:62]
	v_add_co_u32 v41, vcc_lo, s8, v6
	v_add_co_ci_u32_e64 v42, null, s14, v7, vcc_lo
	v_ashrrev_i32_e32 v6, 31, v5
	s_waitcnt vmcnt(0) lgkmcnt(0)
	buffer_store_dword v4, off, s[0:3], 0 offset:60
	buffer_store_dword v3, off, s[0:3], 0 offset:56
	buffer_store_dword v2, off, s[0:3], 0 offset:52
	buffer_store_dword v1, off, s[0:3], 0 offset:48
	flat_load_dwordx4 v[1:4], v[57:58]
	v_lshlrev_b64 v[6:7], 4, v[5:6]
	v_add_nc_u32_e32 v5, s9, v5
	s_waitcnt vmcnt(0) lgkmcnt(0)
	buffer_store_dword v4, off, s[0:3], 0 offset:76
	buffer_store_dword v3, off, s[0:3], 0 offset:72
	buffer_store_dword v2, off, s[0:3], 0 offset:68
	buffer_store_dword v1, off, s[0:3], 0 offset:64
	flat_load_dwordx4 v[1:4], v[55:56]
	v_add_co_u32 v37, vcc_lo, s8, v6
	v_add_co_ci_u32_e64 v38, null, s14, v7, vcc_lo
	v_ashrrev_i32_e32 v6, 31, v5
	;; [unrolled: 17-line block ×9, first 2 shown]
	s_waitcnt vmcnt(0) lgkmcnt(0)
	buffer_store_dword v4, off, s[0:3], 0 offset:316
	buffer_store_dword v3, off, s[0:3], 0 offset:312
	;; [unrolled: 1-line block ×4, first 2 shown]
	flat_load_dwordx4 v[1:4], v[23:24]
	v_lshlrev_b64 v[6:7], 4, v[5:6]
	v_add_nc_u32_e32 v5, s9, v5
	s_waitcnt vmcnt(0) lgkmcnt(0)
	buffer_store_dword v4, off, s[0:3], 0 offset:332
	buffer_store_dword v3, off, s[0:3], 0 offset:328
	;; [unrolled: 1-line block ×4, first 2 shown]
	v_add_co_u32 v21, vcc_lo, s8, v6
	v_add_co_ci_u32_e64 v22, null, s14, v7, vcc_lo
	v_ashrrev_i32_e32 v6, 31, v5
	flat_load_dwordx4 v[1:4], v[21:22]
	s_waitcnt vmcnt(0) lgkmcnt(0)
	buffer_store_dword v4, off, s[0:3], 0 offset:348
	buffer_store_dword v3, off, s[0:3], 0 offset:344
	buffer_store_dword v2, off, s[0:3], 0 offset:340
	buffer_store_dword v1, off, s[0:3], 0 offset:336
	v_lshlrev_b64 v[6:7], 4, v[5:6]
	v_add_nc_u32_e32 v5, s9, v5
	v_add_co_u32 v19, vcc_lo, s8, v6
	v_add_co_ci_u32_e64 v20, null, s14, v7, vcc_lo
	v_ashrrev_i32_e32 v6, 31, v5
	flat_load_dwordx4 v[1:4], v[19:20]
	s_waitcnt vmcnt(0) lgkmcnt(0)
	buffer_store_dword v4, off, s[0:3], 0 offset:364
	buffer_store_dword v3, off, s[0:3], 0 offset:360
	buffer_store_dword v2, off, s[0:3], 0 offset:356
	buffer_store_dword v1, off, s[0:3], 0 offset:352
	v_lshlrev_b64 v[6:7], 4, v[5:6]
	v_add_nc_u32_e32 v5, s9, v5
	v_add_co_u32 v17, vcc_lo, s8, v6
	v_add_co_ci_u32_e64 v18, null, s14, v7, vcc_lo
	v_ashrrev_i32_e32 v6, 31, v5
	flat_load_dwordx4 v[1:4], v[17:18]
	s_waitcnt vmcnt(0) lgkmcnt(0)
	buffer_store_dword v4, off, s[0:3], 0 offset:380
	buffer_store_dword v3, off, s[0:3], 0 offset:376
	buffer_store_dword v2, off, s[0:3], 0 offset:372
	buffer_store_dword v1, off, s[0:3], 0 offset:368
	v_lshlrev_b64 v[6:7], 4, v[5:6]
	v_add_nc_u32_e32 v5, s9, v5
	v_add_co_u32 v15, vcc_lo, s8, v6
	v_add_co_ci_u32_e64 v16, null, s14, v7, vcc_lo
	v_ashrrev_i32_e32 v6, 31, v5
	flat_load_dwordx4 v[1:4], v[15:16]
	s_waitcnt vmcnt(0) lgkmcnt(0)
	buffer_store_dword v4, off, s[0:3], 0 offset:396
	buffer_store_dword v3, off, s[0:3], 0 offset:392
	buffer_store_dword v2, off, s[0:3], 0 offset:388
	buffer_store_dword v1, off, s[0:3], 0 offset:384
	v_lshlrev_b64 v[6:7], 4, v[5:6]
	v_add_nc_u32_e32 v5, s9, v5
	v_add_co_u32 v13, vcc_lo, s8, v6
	v_add_co_ci_u32_e64 v14, null, s14, v7, vcc_lo
	v_ashrrev_i32_e32 v6, 31, v5
	flat_load_dwordx4 v[1:4], v[13:14]
	s_waitcnt vmcnt(0) lgkmcnt(0)
	buffer_store_dword v4, off, s[0:3], 0 offset:412
	buffer_store_dword v3, off, s[0:3], 0 offset:408
	buffer_store_dword v2, off, s[0:3], 0 offset:404
	buffer_store_dword v1, off, s[0:3], 0 offset:400
	v_lshlrev_b64 v[6:7], 4, v[5:6]
	v_add_nc_u32_e32 v5, s9, v5
	v_add_co_u32 v11, vcc_lo, s8, v6
	v_add_co_ci_u32_e64 v12, null, s14, v7, vcc_lo
	v_ashrrev_i32_e32 v6, 31, v5
	flat_load_dwordx4 v[1:4], v[11:12]
	s_waitcnt vmcnt(0) lgkmcnt(0)
	buffer_store_dword v4, off, s[0:3], 0 offset:428
	buffer_store_dword v3, off, s[0:3], 0 offset:424
	buffer_store_dword v2, off, s[0:3], 0 offset:420
	buffer_store_dword v1, off, s[0:3], 0 offset:416
	v_lshlrev_b64 v[6:7], 4, v[5:6]
	v_add_nc_u32_e32 v5, s9, v5
	v_add_co_u32 v39, vcc_lo, s8, v6
	v_add_co_ci_u32_e64 v40, null, s14, v7, vcc_lo
	v_ashrrev_i32_e32 v6, 31, v5
	flat_load_dwordx4 v[1:4], v[39:40]
	s_waitcnt vmcnt(0) lgkmcnt(0)
	buffer_store_dword v4, off, s[0:3], 0 offset:444
	buffer_store_dword v3, off, s[0:3], 0 offset:440
	buffer_store_dword v2, off, s[0:3], 0 offset:436
	buffer_store_dword v1, off, s[0:3], 0 offset:432
	v_lshlrev_b64 v[6:7], 4, v[5:6]
	v_add_nc_u32_e32 v5, s9, v5
	v_add_co_u32 v59, vcc_lo, s8, v6
	v_add_co_ci_u32_e64 v60, null, s14, v7, vcc_lo
	v_ashrrev_i32_e32 v6, 31, v5
	flat_load_dwordx4 v[1:4], v[59:60]
	s_waitcnt vmcnt(0) lgkmcnt(0)
	buffer_store_dword v4, off, s[0:3], 0 offset:460
	buffer_store_dword v3, off, s[0:3], 0 offset:456
	buffer_store_dword v2, off, s[0:3], 0 offset:452
	buffer_store_dword v1, off, s[0:3], 0 offset:448
	v_lshlrev_b64 v[6:7], 4, v[5:6]
	v_add_nc_u32_e32 v5, s9, v5
	v_add_co_u32 v65, vcc_lo, s8, v6
	v_add_co_ci_u32_e64 v66, null, s14, v7, vcc_lo
	v_ashrrev_i32_e32 v6, 31, v5
	flat_load_dwordx4 v[1:4], v[65:66]
	s_waitcnt vmcnt(0) lgkmcnt(0)
	buffer_store_dword v4, off, s[0:3], 0 offset:476
	buffer_store_dword v3, off, s[0:3], 0 offset:472
	buffer_store_dword v2, off, s[0:3], 0 offset:468
	buffer_store_dword v1, off, s[0:3], 0 offset:464
	v_lshlrev_b64 v[6:7], 4, v[5:6]
	v_add_nc_u32_e32 v5, s9, v5
	v_add_co_u32 v67, vcc_lo, s8, v6
	v_add_co_ci_u32_e64 v68, null, s14, v7, vcc_lo
	v_ashrrev_i32_e32 v6, 31, v5
	flat_load_dwordx4 v[1:4], v[67:68]
	s_waitcnt vmcnt(0) lgkmcnt(0)
	buffer_store_dword v4, off, s[0:3], 0 offset:492
	buffer_store_dword v3, off, s[0:3], 0 offset:488
	buffer_store_dword v2, off, s[0:3], 0 offset:484
	buffer_store_dword v1, off, s[0:3], 0 offset:480
	v_lshlrev_b64 v[6:7], 4, v[5:6]
	v_add_nc_u32_e32 v5, s9, v5
	v_add_co_u32 v69, vcc_lo, s8, v6
	v_add_co_ci_u32_e64 v70, null, s14, v7, vcc_lo
	v_ashrrev_i32_e32 v6, 31, v5
	flat_load_dwordx4 v[1:4], v[69:70]
	s_waitcnt vmcnt(0) lgkmcnt(0)
	buffer_store_dword v4, off, s[0:3], 0 offset:508
	buffer_store_dword v3, off, s[0:3], 0 offset:504
	buffer_store_dword v2, off, s[0:3], 0 offset:500
	buffer_store_dword v1, off, s[0:3], 0 offset:496
	v_lshlrev_b64 v[6:7], 4, v[5:6]
	v_add_nc_u32_e32 v5, s9, v5
	v_add_co_u32 v71, vcc_lo, s8, v6
	v_add_co_ci_u32_e64 v72, null, s14, v7, vcc_lo
	v_ashrrev_i32_e32 v6, 31, v5
	flat_load_dwordx4 v[1:4], v[71:72]
	s_waitcnt vmcnt(0) lgkmcnt(0)
	buffer_store_dword v4, off, s[0:3], 0 offset:524
	buffer_store_dword v3, off, s[0:3], 0 offset:520
	buffer_store_dword v2, off, s[0:3], 0 offset:516
	buffer_store_dword v1, off, s[0:3], 0 offset:512
	v_lshlrev_b64 v[6:7], 4, v[5:6]
	v_add_nc_u32_e32 v5, s9, v5
	v_add_co_u32 v73, vcc_lo, s8, v6
	v_add_co_ci_u32_e64 v74, null, s14, v7, vcc_lo
	v_ashrrev_i32_e32 v6, 31, v5
	flat_load_dwordx4 v[1:4], v[73:74]
	s_waitcnt vmcnt(0) lgkmcnt(0)
	buffer_store_dword v4, off, s[0:3], 0 offset:540
	buffer_store_dword v3, off, s[0:3], 0 offset:536
	buffer_store_dword v2, off, s[0:3], 0 offset:532
	buffer_store_dword v1, off, s[0:3], 0 offset:528
	v_lshlrev_b64 v[6:7], 4, v[5:6]
	v_add_nc_u32_e32 v5, s9, v5
	v_add_co_u32 v75, vcc_lo, s8, v6
	v_add_co_ci_u32_e64 v76, null, s14, v7, vcc_lo
	v_ashrrev_i32_e32 v6, 31, v5
	flat_load_dwordx4 v[1:4], v[75:76]
	s_waitcnt vmcnt(0) lgkmcnt(0)
	buffer_store_dword v4, off, s[0:3], 0 offset:556
	buffer_store_dword v3, off, s[0:3], 0 offset:552
	buffer_store_dword v2, off, s[0:3], 0 offset:548
	buffer_store_dword v1, off, s[0:3], 0 offset:544
	v_lshlrev_b64 v[6:7], 4, v[5:6]
	v_add_nc_u32_e32 v5, s9, v5
	v_add_co_u32 v77, vcc_lo, s8, v6
	v_add_co_ci_u32_e64 v78, null, s14, v7, vcc_lo
	v_ashrrev_i32_e32 v6, 31, v5
	flat_load_dwordx4 v[1:4], v[77:78]
	s_waitcnt vmcnt(0) lgkmcnt(0)
	buffer_store_dword v4, off, s[0:3], 0 offset:572
	buffer_store_dword v3, off, s[0:3], 0 offset:568
	buffer_store_dword v2, off, s[0:3], 0 offset:564
	buffer_store_dword v1, off, s[0:3], 0 offset:560
	v_lshlrev_b64 v[6:7], 4, v[5:6]
	v_add_nc_u32_e32 v5, s9, v5
	v_add_co_u32 v79, vcc_lo, s8, v6
	v_add_co_ci_u32_e64 v80, null, s14, v7, vcc_lo
	v_ashrrev_i32_e32 v6, 31, v5
	flat_load_dwordx4 v[1:4], v[79:80]
	s_waitcnt vmcnt(0) lgkmcnt(0)
	buffer_store_dword v4, off, s[0:3], 0 offset:588
	buffer_store_dword v3, off, s[0:3], 0 offset:584
	buffer_store_dword v2, off, s[0:3], 0 offset:580
	buffer_store_dword v1, off, s[0:3], 0 offset:576
	v_lshlrev_b64 v[6:7], 4, v[5:6]
	v_add_nc_u32_e32 v5, s9, v5
	v_add_co_u32 v81, vcc_lo, s8, v6
	v_add_co_ci_u32_e64 v82, null, s14, v7, vcc_lo
	v_ashrrev_i32_e32 v6, 31, v5
	flat_load_dwordx4 v[1:4], v[81:82]
	s_waitcnt vmcnt(0) lgkmcnt(0)
	buffer_store_dword v4, off, s[0:3], 0 offset:604
	buffer_store_dword v3, off, s[0:3], 0 offset:600
	buffer_store_dword v2, off, s[0:3], 0 offset:596
	buffer_store_dword v1, off, s[0:3], 0 offset:592
	v_lshlrev_b64 v[6:7], 4, v[5:6]
	v_add_nc_u32_e32 v5, s9, v5
	v_add_co_u32 v83, vcc_lo, s8, v6
	v_add_co_ci_u32_e64 v84, null, s14, v7, vcc_lo
	v_ashrrev_i32_e32 v6, 31, v5
	flat_load_dwordx4 v[1:4], v[83:84]
	s_waitcnt vmcnt(0) lgkmcnt(0)
	buffer_store_dword v4, off, s[0:3], 0 offset:620
	buffer_store_dword v3, off, s[0:3], 0 offset:616
	buffer_store_dword v2, off, s[0:3], 0 offset:612
	buffer_store_dword v1, off, s[0:3], 0 offset:608
	v_lshlrev_b64 v[6:7], 4, v[5:6]
	v_add_nc_u32_e32 v5, s9, v5
	v_add_co_u32 v85, vcc_lo, s8, v6
	v_add_co_ci_u32_e64 v86, null, s14, v7, vcc_lo
	v_ashrrev_i32_e32 v6, 31, v5
	flat_load_dwordx4 v[1:4], v[85:86]
	s_waitcnt vmcnt(0) lgkmcnt(0)
	buffer_store_dword v4, off, s[0:3], 0 offset:636
	buffer_store_dword v3, off, s[0:3], 0 offset:632
	buffer_store_dword v2, off, s[0:3], 0 offset:628
	buffer_store_dword v1, off, s[0:3], 0 offset:624
	v_lshlrev_b64 v[6:7], 4, v[5:6]
	v_add_nc_u32_e32 v5, s9, v5
	v_add_co_u32 v87, vcc_lo, s8, v6
	v_add_co_ci_u32_e64 v88, null, s14, v7, vcc_lo
	v_ashrrev_i32_e32 v6, 31, v5
	flat_load_dwordx4 v[1:4], v[87:88]
	s_waitcnt vmcnt(0) lgkmcnt(0)
	buffer_store_dword v4, off, s[0:3], 0 offset:652
	buffer_store_dword v3, off, s[0:3], 0 offset:648
	buffer_store_dword v2, off, s[0:3], 0 offset:644
	buffer_store_dword v1, off, s[0:3], 0 offset:640
	v_lshlrev_b64 v[6:7], 4, v[5:6]
	v_add_nc_u32_e32 v5, s9, v5
	v_add_co_u32 v89, vcc_lo, s8, v6
	v_add_co_ci_u32_e64 v90, null, s14, v7, vcc_lo
	v_ashrrev_i32_e32 v6, 31, v5
	flat_load_dwordx4 v[1:4], v[89:90]
	s_waitcnt vmcnt(0) lgkmcnt(0)
	buffer_store_dword v4, off, s[0:3], 0 offset:668
	buffer_store_dword v3, off, s[0:3], 0 offset:664
	buffer_store_dword v2, off, s[0:3], 0 offset:660
	buffer_store_dword v1, off, s[0:3], 0 offset:656
	v_lshlrev_b64 v[6:7], 4, v[5:6]
	v_add_nc_u32_e32 v5, s9, v5
	v_add_co_u32 v91, vcc_lo, s8, v6
	v_add_co_ci_u32_e64 v92, null, s14, v7, vcc_lo
	v_ashrrev_i32_e32 v6, 31, v5
	flat_load_dwordx4 v[1:4], v[91:92]
	s_waitcnt vmcnt(0) lgkmcnt(0)
	buffer_store_dword v4, off, s[0:3], 0 offset:684
	buffer_store_dword v3, off, s[0:3], 0 offset:680
	buffer_store_dword v2, off, s[0:3], 0 offset:676
	buffer_store_dword v1, off, s[0:3], 0 offset:672
	v_lshlrev_b64 v[6:7], 4, v[5:6]
	v_add_nc_u32_e32 v5, s9, v5
	v_add_co_u32 v93, vcc_lo, s8, v6
	v_add_co_ci_u32_e64 v94, null, s14, v7, vcc_lo
	v_ashrrev_i32_e32 v6, 31, v5
	flat_load_dwordx4 v[1:4], v[93:94]
	s_waitcnt vmcnt(0) lgkmcnt(0)
	buffer_store_dword v4, off, s[0:3], 0 offset:700
	buffer_store_dword v3, off, s[0:3], 0 offset:696
	buffer_store_dword v2, off, s[0:3], 0 offset:692
	buffer_store_dword v1, off, s[0:3], 0 offset:688
	v_lshlrev_b64 v[6:7], 4, v[5:6]
	v_add_nc_u32_e32 v5, s9, v5
	v_add_co_u32 v95, vcc_lo, s8, v6
	v_add_co_ci_u32_e64 v96, null, s14, v7, vcc_lo
	v_ashrrev_i32_e32 v6, 31, v5
	flat_load_dwordx4 v[1:4], v[95:96]
	s_waitcnt vmcnt(0) lgkmcnt(0)
	buffer_store_dword v4, off, s[0:3], 0 offset:716
	buffer_store_dword v3, off, s[0:3], 0 offset:712
	buffer_store_dword v2, off, s[0:3], 0 offset:708
	buffer_store_dword v1, off, s[0:3], 0 offset:704
	v_lshlrev_b64 v[6:7], 4, v[5:6]
	v_add_nc_u32_e32 v5, s9, v5
	v_add_co_u32 v97, vcc_lo, s8, v6
	v_add_co_ci_u32_e64 v98, null, s14, v7, vcc_lo
	v_ashrrev_i32_e32 v6, 31, v5
	flat_load_dwordx4 v[1:4], v[97:98]
	s_waitcnt vmcnt(0) lgkmcnt(0)
	buffer_store_dword v4, off, s[0:3], 0 offset:732
	buffer_store_dword v3, off, s[0:3], 0 offset:728
	buffer_store_dword v2, off, s[0:3], 0 offset:724
	buffer_store_dword v1, off, s[0:3], 0 offset:720
	v_lshlrev_b64 v[6:7], 4, v[5:6]
	v_add_nc_u32_e32 v5, s9, v5
	v_add_co_u32 v99, vcc_lo, s8, v6
	v_add_co_ci_u32_e64 v100, null, s14, v7, vcc_lo
	v_ashrrev_i32_e32 v6, 31, v5
	flat_load_dwordx4 v[1:4], v[99:100]
	s_waitcnt vmcnt(0) lgkmcnt(0)
	buffer_store_dword v4, off, s[0:3], 0 offset:748
	buffer_store_dword v3, off, s[0:3], 0 offset:744
	buffer_store_dword v2, off, s[0:3], 0 offset:740
	buffer_store_dword v1, off, s[0:3], 0 offset:736
	v_lshlrev_b64 v[6:7], 4, v[5:6]
	v_add_nc_u32_e32 v5, s9, v5
	v_add_co_u32 v101, vcc_lo, s8, v6
	v_add_co_ci_u32_e64 v102, null, s14, v7, vcc_lo
	v_ashrrev_i32_e32 v6, 31, v5
	flat_load_dwordx4 v[1:4], v[101:102]
	s_waitcnt vmcnt(0) lgkmcnt(0)
	buffer_store_dword v4, off, s[0:3], 0 offset:764
	buffer_store_dword v3, off, s[0:3], 0 offset:760
	buffer_store_dword v2, off, s[0:3], 0 offset:756
	buffer_store_dword v1, off, s[0:3], 0 offset:752
	v_lshlrev_b64 v[6:7], 4, v[5:6]
	v_add_nc_u32_e32 v5, s9, v5
	v_add_co_u32 v103, vcc_lo, s8, v6
	v_add_co_ci_u32_e64 v104, null, s14, v7, vcc_lo
	v_ashrrev_i32_e32 v6, 31, v5
	flat_load_dwordx4 v[1:4], v[103:104]
	s_waitcnt vmcnt(0) lgkmcnt(0)
	buffer_store_dword v4, off, s[0:3], 0 offset:780
	buffer_store_dword v3, off, s[0:3], 0 offset:776
	buffer_store_dword v2, off, s[0:3], 0 offset:772
	buffer_store_dword v1, off, s[0:3], 0 offset:768
	v_lshlrev_b64 v[6:7], 4, v[5:6]
	v_add_nc_u32_e32 v5, s9, v5
	v_add_co_u32 v105, vcc_lo, s8, v6
	v_add_co_ci_u32_e64 v106, null, s14, v7, vcc_lo
	v_ashrrev_i32_e32 v6, 31, v5
	flat_load_dwordx4 v[1:4], v[105:106]
	s_waitcnt vmcnt(0) lgkmcnt(0)
	buffer_store_dword v4, off, s[0:3], 0 offset:796
	buffer_store_dword v3, off, s[0:3], 0 offset:792
	buffer_store_dword v2, off, s[0:3], 0 offset:788
	buffer_store_dword v1, off, s[0:3], 0 offset:784
	v_lshlrev_b64 v[6:7], 4, v[5:6]
	v_add_nc_u32_e32 v5, s9, v5
	v_add_co_u32 v107, vcc_lo, s8, v6
	v_add_co_ci_u32_e64 v108, null, s14, v7, vcc_lo
	v_ashrrev_i32_e32 v6, 31, v5
	flat_load_dwordx4 v[1:4], v[107:108]
	s_waitcnt vmcnt(0) lgkmcnt(0)
	buffer_store_dword v4, off, s[0:3], 0 offset:812
	buffer_store_dword v3, off, s[0:3], 0 offset:808
	buffer_store_dword v2, off, s[0:3], 0 offset:804
	buffer_store_dword v1, off, s[0:3], 0 offset:800
	v_lshlrev_b64 v[6:7], 4, v[5:6]
	v_add_nc_u32_e32 v5, s9, v5
	s_movk_i32 s9, 0x70
	s_add_i32 s57, s9, 16
	s_add_i32 s9, s87, 16
	v_add_co_u32 v109, vcc_lo, s8, v6
	v_add_co_ci_u32_e64 v110, null, s14, v7, vcc_lo
	v_ashrrev_i32_e32 v6, 31, v5
	flat_load_dwordx4 v[1:4], v[109:110]
	s_waitcnt vmcnt(0) lgkmcnt(0)
	buffer_store_dword v4, off, s[0:3], 0 offset:828
	buffer_store_dword v3, off, s[0:3], 0 offset:824
	;; [unrolled: 1-line block ×4, first 2 shown]
	v_lshlrev_b64 v[5:6], 4, v[5:6]
	v_add_co_u32 v111, vcc_lo, s8, v5
	v_add_co_ci_u32_e64 v112, null, s14, v6, vcc_lo
	s_movk_i32 s8, 0x60
	s_movk_i32 s14, 0x80
	s_add_i32 s58, s8, 16
	flat_load_dwordx4 v[1:4], v[111:112]
	s_add_i32 s56, s14, 16
	s_add_i32 s14, s86, 16
	;; [unrolled: 1-line block ×3, first 2 shown]
	s_bitcmp0_b32 s65, 0
	s_waitcnt vmcnt(0) lgkmcnt(0)
	buffer_store_dword v4, off, s[0:3], 0 offset:844
	buffer_store_dword v3, off, s[0:3], 0 offset:840
	buffer_store_dword v2, off, s[0:3], 0 offset:836
	buffer_store_dword v1, off, s[0:3], 0 offset:832
	s_cbranch_scc1 .LBB115_220
; %bb.4:
	v_cmp_eq_u32_e64 s4, 0, v0
	s_and_saveexec_b32 s5, s4
; %bb.5:
	v_mov_b32_e32 v1, 0
	ds_write_b32 v1, v1 offset:1664
; %bb.6:
	s_or_b32 exec_lo, exec_lo, s5
	v_lshl_add_u32 v116, v0, 4, 16
	s_waitcnt lgkmcnt(0)
	s_waitcnt_vscnt null, 0x0
	s_barrier
	buffer_gl0_inv
	s_clause 0x3
	buffer_load_dword v1, v116, s[0:3], 0 offen
	buffer_load_dword v2, v116, s[0:3], 0 offen offset:4
	buffer_load_dword v3, v116, s[0:3], 0 offen offset:8
	;; [unrolled: 1-line block ×3, first 2 shown]
	s_waitcnt vmcnt(2)
	v_cmp_eq_f64_e32 vcc_lo, 0, v[1:2]
	s_waitcnt vmcnt(0)
	v_cmp_eq_f64_e64 s5, 0, v[3:4]
	s_and_b32 s5, vcc_lo, s5
	s_and_saveexec_b32 s65, s5
	s_cbranch_execz .LBB115_10
; %bb.7:
	v_mov_b32_e32 v1, 0
	s_mov_b32 s66, 0
	ds_read_b32 v2, v1 offset:1664
	s_waitcnt lgkmcnt(0)
	v_readfirstlane_b32 s5, v2
	v_add_nc_u32_e32 v2, 1, v0
	s_cmp_eq_u32 s5, 0
	v_cmp_gt_i32_e32 vcc_lo, s5, v2
	s_cselect_b32 s67, -1, 0
	s_or_b32 s67, s67, vcc_lo
	s_and_b32 exec_lo, exec_lo, s67
	s_cbranch_execz .LBB115_10
; %bb.8:
	v_mov_b32_e32 v3, s5
.LBB115_9:                              ; =>This Inner Loop Header: Depth=1
	ds_cmpst_rtn_b32 v3, v1, v3, v2 offset:1664
	s_waitcnt lgkmcnt(0)
	v_cmp_ne_u32_e32 vcc_lo, 0, v3
	v_cmp_le_i32_e64 s5, v3, v2
	s_and_b32 s5, vcc_lo, s5
	s_and_b32 s5, exec_lo, s5
	s_or_b32 s66, s5, s66
	s_andn2_b32 exec_lo, exec_lo, s66
	s_cbranch_execnz .LBB115_9
.LBB115_10:
	s_or_b32 exec_lo, exec_lo, s65
	v_mov_b32_e32 v1, 0
	s_barrier
	buffer_gl0_inv
	ds_read_b32 v2, v1 offset:1664
	s_and_saveexec_b32 s5, s4
	s_cbranch_execz .LBB115_12
; %bb.11:
	s_lshl_b64 s[66:67], s[6:7], 2
	s_add_u32 s66, s10, s66
	s_addc_u32 s67, s11, s67
	s_waitcnt lgkmcnt(0)
	global_store_dword v1, v2, s[66:67]
.LBB115_12:
	s_or_b32 exec_lo, exec_lo, s5
	s_waitcnt lgkmcnt(0)
	v_cmp_ne_u32_e32 vcc_lo, 0, v2
	s_mov_b32 s5, 0
	s_cbranch_vccnz .LBB115_220
; %bb.13:
	s_clause 0x3
	buffer_load_dword v7, v116, s[0:3], 0 offen
	buffer_load_dword v8, v116, s[0:3], 0 offen offset:4
	buffer_load_dword v113, v116, s[0:3], 0 offen offset:8
	;; [unrolled: 1-line block ×3, first 2 shown]
                                        ; implicit-def: $vgpr5_vgpr6
                                        ; implicit-def: $vgpr3_vgpr4
	s_waitcnt vmcnt(0)
	v_cmp_ngt_f64_e64 s5, |v[7:8]|, |v[113:114]|
	s_and_saveexec_b32 s65, s5
	s_xor_b32 s5, exec_lo, s65
	s_cbranch_execz .LBB115_15
; %bb.14:
	v_div_scale_f64 v[1:2], null, v[113:114], v[113:114], v[7:8]
	v_div_scale_f64 v[117:118], vcc_lo, v[7:8], v[113:114], v[7:8]
	v_rcp_f64_e32 v[3:4], v[1:2]
	v_fma_f64 v[5:6], -v[1:2], v[3:4], 1.0
	v_fma_f64 v[3:4], v[3:4], v[5:6], v[3:4]
	v_fma_f64 v[5:6], -v[1:2], v[3:4], 1.0
	v_fma_f64 v[3:4], v[3:4], v[5:6], v[3:4]
	v_mul_f64 v[5:6], v[117:118], v[3:4]
	v_fma_f64 v[1:2], -v[1:2], v[5:6], v[117:118]
	v_div_fmas_f64 v[1:2], v[1:2], v[3:4], v[5:6]
	v_div_fixup_f64 v[1:2], v[1:2], v[113:114], v[7:8]
	v_fma_f64 v[3:4], v[7:8], v[1:2], v[113:114]
	v_div_scale_f64 v[5:6], null, v[3:4], v[3:4], 1.0
	v_div_scale_f64 v[117:118], vcc_lo, 1.0, v[3:4], 1.0
	v_rcp_f64_e32 v[7:8], v[5:6]
	v_fma_f64 v[113:114], -v[5:6], v[7:8], 1.0
	v_fma_f64 v[7:8], v[7:8], v[113:114], v[7:8]
	v_fma_f64 v[113:114], -v[5:6], v[7:8], 1.0
	v_fma_f64 v[7:8], v[7:8], v[113:114], v[7:8]
	v_mul_f64 v[113:114], v[117:118], v[7:8]
	v_fma_f64 v[5:6], -v[5:6], v[113:114], v[117:118]
	v_div_fmas_f64 v[5:6], v[5:6], v[7:8], v[113:114]
                                        ; implicit-def: $vgpr7_vgpr8
                                        ; implicit-def: $vgpr113_vgpr114
	v_div_fixup_f64 v[3:4], v[5:6], v[3:4], 1.0
	v_mul_f64 v[5:6], v[1:2], v[3:4]
	v_xor_b32_e32 v4, 0x80000000, v4
	v_xor_b32_e32 v2, 0x80000000, v6
	v_mov_b32_e32 v1, v5
.LBB115_15:
	s_andn2_saveexec_b32 s5, s5
	s_cbranch_execz .LBB115_17
; %bb.16:
	v_div_scale_f64 v[1:2], null, v[7:8], v[7:8], v[113:114]
	v_div_scale_f64 v[117:118], vcc_lo, v[113:114], v[7:8], v[113:114]
	v_rcp_f64_e32 v[3:4], v[1:2]
	v_fma_f64 v[5:6], -v[1:2], v[3:4], 1.0
	v_fma_f64 v[3:4], v[3:4], v[5:6], v[3:4]
	v_fma_f64 v[5:6], -v[1:2], v[3:4], 1.0
	v_fma_f64 v[3:4], v[3:4], v[5:6], v[3:4]
	v_mul_f64 v[5:6], v[117:118], v[3:4]
	v_fma_f64 v[1:2], -v[1:2], v[5:6], v[117:118]
	v_div_fmas_f64 v[1:2], v[1:2], v[3:4], v[5:6]
	v_div_fixup_f64 v[1:2], v[1:2], v[7:8], v[113:114]
	v_fma_f64 v[3:4], v[113:114], v[1:2], v[7:8]
	v_div_scale_f64 v[5:6], null, v[3:4], v[3:4], 1.0
	v_rcp_f64_e32 v[7:8], v[5:6]
	v_fma_f64 v[113:114], -v[5:6], v[7:8], 1.0
	v_fma_f64 v[7:8], v[7:8], v[113:114], v[7:8]
	v_fma_f64 v[113:114], -v[5:6], v[7:8], 1.0
	v_fma_f64 v[7:8], v[7:8], v[113:114], v[7:8]
	v_div_scale_f64 v[113:114], vcc_lo, 1.0, v[3:4], 1.0
	v_mul_f64 v[117:118], v[113:114], v[7:8]
	v_fma_f64 v[5:6], -v[5:6], v[117:118], v[113:114]
	v_div_fmas_f64 v[5:6], v[5:6], v[7:8], v[117:118]
	v_div_fixup_f64 v[5:6], v[5:6], v[3:4], 1.0
	v_mul_f64 v[3:4], v[1:2], -v[5:6]
	v_xor_b32_e32 v2, 0x80000000, v6
	v_mov_b32_e32 v1, v5
.LBB115_17:
	s_or_b32 exec_lo, exec_lo, s5
	v_mov_b32_e32 v7, s63
	buffer_store_dword v6, v116, s[0:3], 0 offen offset:4
	buffer_store_dword v5, v116, s[0:3], 0 offen
	buffer_store_dword v4, v116, s[0:3], 0 offen offset:12
	buffer_store_dword v3, v116, s[0:3], 0 offen offset:8
	v_xor_b32_e32 v4, 0x80000000, v4
	v_add_nc_u32_e32 v5, 0x340, v115
	s_clause 0x3
	buffer_load_dword v120, v7, s[0:3], 0 offen offset:12
	buffer_load_dword v119, v7, s[0:3], 0 offen offset:8
	;; [unrolled: 1-line block ×3, first 2 shown]
	buffer_load_dword v117, v7, s[0:3], 0 offen
	ds_write_b128 v115, v[1:4]
	s_waitcnt vmcnt(0)
	ds_write_b128 v115, v[117:120] offset:832
	s_waitcnt lgkmcnt(0)
	s_waitcnt_vscnt null, 0x0
	s_barrier
	buffer_gl0_inv
	s_and_saveexec_b32 s5, s4
	s_cbranch_execz .LBB115_19
; %bb.18:
	s_clause 0x3
	buffer_load_dword v6, v116, s[0:3], 0 offen offset:8
	buffer_load_dword v7, v116, s[0:3], 0 offen offset:12
	buffer_load_dword v113, v116, s[0:3], 0 offen
	buffer_load_dword v114, v116, s[0:3], 0 offen offset:4
	ds_read_b128 v[1:4], v5
	v_mov_b32_e32 v8, 0
	ds_read_b128 v[117:120], v8 offset:16
	s_waitcnt vmcnt(2) lgkmcnt(1)
	v_mul_f64 v[121:122], v[1:2], v[6:7]
	v_mul_f64 v[6:7], v[3:4], v[6:7]
	s_waitcnt vmcnt(0)
	v_fma_f64 v[3:4], v[3:4], v[113:114], v[121:122]
	v_fma_f64 v[1:2], v[1:2], v[113:114], -v[6:7]
	v_add_f64 v[3:4], v[3:4], 0
	v_add_f64 v[1:2], v[1:2], 0
	s_waitcnt lgkmcnt(0)
	v_mul_f64 v[6:7], v[3:4], v[119:120]
	v_mul_f64 v[113:114], v[1:2], v[119:120]
	v_fma_f64 v[1:2], v[1:2], v[117:118], -v[6:7]
	v_fma_f64 v[3:4], v[3:4], v[117:118], v[113:114]
	buffer_store_dword v1, off, s[0:3], 0 offset:32
	buffer_store_dword v2, off, s[0:3], 0 offset:36
	;; [unrolled: 1-line block ×4, first 2 shown]
.LBB115_19:
	s_or_b32 exec_lo, exec_lo, s5
	v_mov_b32_e32 v4, s62
	s_waitcnt_vscnt null, 0x0
	s_barrier
	buffer_gl0_inv
	s_mov_b32 s5, exec_lo
	s_clause 0x3
	buffer_load_dword v1, v4, s[0:3], 0 offen
	buffer_load_dword v2, v4, s[0:3], 0 offen offset:4
	buffer_load_dword v3, v4, s[0:3], 0 offen offset:8
	;; [unrolled: 1-line block ×3, first 2 shown]
	s_waitcnt vmcnt(0)
	ds_write_b128 v5, v[1:4]
	s_waitcnt lgkmcnt(0)
	s_barrier
	buffer_gl0_inv
	v_cmpx_gt_u32_e32 2, v0
	s_cbranch_execz .LBB115_23
; %bb.20:
	s_clause 0x3
	buffer_load_dword v6, v116, s[0:3], 0 offen offset:8
	buffer_load_dword v7, v116, s[0:3], 0 offen offset:12
	buffer_load_dword v113, v116, s[0:3], 0 offen
	buffer_load_dword v114, v116, s[0:3], 0 offen offset:4
	ds_read_b128 v[1:4], v5
	s_waitcnt vmcnt(2) lgkmcnt(0)
	v_mul_f64 v[116:117], v[3:4], v[6:7]
	v_mul_f64 v[6:7], v[1:2], v[6:7]
	s_waitcnt vmcnt(0)
	v_fma_f64 v[1:2], v[1:2], v[113:114], -v[116:117]
	v_fma_f64 v[3:4], v[3:4], v[113:114], v[6:7]
	v_add_f64 v[1:2], v[1:2], 0
	v_add_f64 v[3:4], v[3:4], 0
	s_and_saveexec_b32 s65, s4
	s_cbranch_execz .LBB115_22
; %bb.21:
	s_clause 0x3
	buffer_load_dword v6, off, s[0:3], 0 offset:40
	buffer_load_dword v7, off, s[0:3], 0 offset:44
	;; [unrolled: 1-line block ×4, first 2 shown]
	v_mov_b32_e32 v8, 0
	ds_read_b128 v[116:119], v8 offset:848
	s_waitcnt vmcnt(2) lgkmcnt(0)
	v_mul_f64 v[120:121], v[116:117], v[6:7]
	v_mul_f64 v[6:7], v[118:119], v[6:7]
	s_waitcnt vmcnt(0)
	v_fma_f64 v[118:119], v[118:119], v[113:114], v[120:121]
	v_fma_f64 v[6:7], v[116:117], v[113:114], -v[6:7]
	v_add_f64 v[3:4], v[3:4], v[118:119]
	v_add_f64 v[1:2], v[1:2], v[6:7]
.LBB115_22:
	s_or_b32 exec_lo, exec_lo, s65
	v_mov_b32_e32 v6, 0
	ds_read_b128 v[116:119], v6 offset:32
	s_waitcnt lgkmcnt(0)
	v_mul_f64 v[6:7], v[3:4], v[118:119]
	v_mul_f64 v[113:114], v[1:2], v[118:119]
	v_fma_f64 v[1:2], v[1:2], v[116:117], -v[6:7]
	v_fma_f64 v[3:4], v[3:4], v[116:117], v[113:114]
	buffer_store_dword v2, off, s[0:3], 0 offset:52
	buffer_store_dword v1, off, s[0:3], 0 offset:48
	;; [unrolled: 1-line block ×4, first 2 shown]
.LBB115_23:
	s_or_b32 exec_lo, exec_lo, s5
	v_mov_b32_e32 v4, s61
	s_waitcnt_vscnt null, 0x0
	s_barrier
	buffer_gl0_inv
	v_add_nc_u32_e32 v6, -1, v0
	s_clause 0x3
	buffer_load_dword v1, v4, s[0:3], 0 offen
	buffer_load_dword v2, v4, s[0:3], 0 offen offset:4
	buffer_load_dword v3, v4, s[0:3], 0 offen offset:8
	;; [unrolled: 1-line block ×3, first 2 shown]
	s_mov_b32 s4, exec_lo
	s_waitcnt vmcnt(0)
	ds_write_b128 v5, v[1:4]
	s_waitcnt lgkmcnt(0)
	s_barrier
	buffer_gl0_inv
	v_cmpx_gt_u32_e32 3, v0
	s_cbranch_execz .LBB115_27
; %bb.24:
	v_mov_b32_e32 v1, 0
	v_mov_b32_e32 v3, 0
	v_add_nc_u32_e32 v7, -1, v0
	v_add_nc_u32_e32 v8, 0x340, v115
	v_mov_b32_e32 v2, 0
	v_mov_b32_e32 v4, 0
	v_add_nc_u32_e32 v113, 16, v115
	s_mov_b32 s5, 0
	.p2align	6
.LBB115_25:                             ; =>This Inner Loop Header: Depth=1
	s_clause 0x3
	buffer_load_dword v120, v113, s[0:3], 0 offen offset:8
	buffer_load_dword v121, v113, s[0:3], 0 offen offset:12
	buffer_load_dword v122, v113, s[0:3], 0 offen
	buffer_load_dword v123, v113, s[0:3], 0 offen offset:4
	ds_read_b128 v[116:119], v8
	v_add_nc_u32_e32 v7, 1, v7
	v_add_nc_u32_e32 v8, 16, v8
	v_add_nc_u32_e32 v113, 16, v113
	v_cmp_lt_u32_e32 vcc_lo, 1, v7
	s_or_b32 s5, vcc_lo, s5
	s_waitcnt vmcnt(2) lgkmcnt(0)
	v_mul_f64 v[124:125], v[118:119], v[120:121]
	v_mul_f64 v[120:121], v[116:117], v[120:121]
	s_waitcnt vmcnt(0)
	v_fma_f64 v[116:117], v[116:117], v[122:123], -v[124:125]
	v_fma_f64 v[118:119], v[118:119], v[122:123], v[120:121]
	v_add_f64 v[3:4], v[3:4], v[116:117]
	v_add_f64 v[1:2], v[1:2], v[118:119]
	s_andn2_b32 exec_lo, exec_lo, s5
	s_cbranch_execnz .LBB115_25
; %bb.26:
	s_or_b32 exec_lo, exec_lo, s5
	v_mov_b32_e32 v7, 0
	ds_read_b128 v[116:119], v7 offset:48
	s_waitcnt lgkmcnt(0)
	v_mul_f64 v[7:8], v[1:2], v[118:119]
	v_mul_f64 v[113:114], v[3:4], v[118:119]
	v_fma_f64 v[3:4], v[3:4], v[116:117], -v[7:8]
	v_fma_f64 v[1:2], v[1:2], v[116:117], v[113:114]
	buffer_store_dword v4, off, s[0:3], 0 offset:68
	buffer_store_dword v3, off, s[0:3], 0 offset:64
	;; [unrolled: 1-line block ×4, first 2 shown]
.LBB115_27:
	s_or_b32 exec_lo, exec_lo, s4
	v_mov_b32_e32 v4, s60
	s_waitcnt_vscnt null, 0x0
	s_barrier
	buffer_gl0_inv
	s_mov_b32 s4, exec_lo
	s_clause 0x3
	buffer_load_dword v1, v4, s[0:3], 0 offen
	buffer_load_dword v2, v4, s[0:3], 0 offen offset:4
	buffer_load_dword v3, v4, s[0:3], 0 offen offset:8
	buffer_load_dword v4, v4, s[0:3], 0 offen offset:12
	s_waitcnt vmcnt(0)
	ds_write_b128 v5, v[1:4]
	s_waitcnt lgkmcnt(0)
	s_barrier
	buffer_gl0_inv
	v_cmpx_gt_u32_e32 4, v0
	s_cbranch_execz .LBB115_31
; %bb.28:
	v_mov_b32_e32 v1, 0
	v_mov_b32_e32 v3, 0
	v_add_nc_u32_e32 v7, -1, v0
	v_add_nc_u32_e32 v8, 0x340, v115
	v_mov_b32_e32 v2, 0
	v_mov_b32_e32 v4, 0
	v_add_nc_u32_e32 v113, 16, v115
	s_mov_b32 s5, 0
	.p2align	6
.LBB115_29:                             ; =>This Inner Loop Header: Depth=1
	s_clause 0x3
	buffer_load_dword v120, v113, s[0:3], 0 offen offset:8
	buffer_load_dword v121, v113, s[0:3], 0 offen offset:12
	buffer_load_dword v122, v113, s[0:3], 0 offen
	buffer_load_dword v123, v113, s[0:3], 0 offen offset:4
	ds_read_b128 v[116:119], v8
	v_add_nc_u32_e32 v7, 1, v7
	v_add_nc_u32_e32 v8, 16, v8
	;; [unrolled: 1-line block ×3, first 2 shown]
	v_cmp_lt_u32_e32 vcc_lo, 2, v7
	s_or_b32 s5, vcc_lo, s5
	s_waitcnt vmcnt(2) lgkmcnt(0)
	v_mul_f64 v[124:125], v[118:119], v[120:121]
	v_mul_f64 v[120:121], v[116:117], v[120:121]
	s_waitcnt vmcnt(0)
	v_fma_f64 v[116:117], v[116:117], v[122:123], -v[124:125]
	v_fma_f64 v[118:119], v[118:119], v[122:123], v[120:121]
	v_add_f64 v[3:4], v[3:4], v[116:117]
	v_add_f64 v[1:2], v[1:2], v[118:119]
	s_andn2_b32 exec_lo, exec_lo, s5
	s_cbranch_execnz .LBB115_29
; %bb.30:
	s_or_b32 exec_lo, exec_lo, s5
	v_mov_b32_e32 v7, 0
	ds_read_b128 v[116:119], v7 offset:64
	s_waitcnt lgkmcnt(0)
	v_mul_f64 v[7:8], v[1:2], v[118:119]
	v_mul_f64 v[113:114], v[3:4], v[118:119]
	v_fma_f64 v[3:4], v[3:4], v[116:117], -v[7:8]
	v_fma_f64 v[1:2], v[1:2], v[116:117], v[113:114]
	buffer_store_dword v4, off, s[0:3], 0 offset:84
	buffer_store_dword v3, off, s[0:3], 0 offset:80
	;; [unrolled: 1-line block ×4, first 2 shown]
.LBB115_31:
	s_or_b32 exec_lo, exec_lo, s4
	v_mov_b32_e32 v4, s59
	s_waitcnt_vscnt null, 0x0
	s_barrier
	buffer_gl0_inv
	s_mov_b32 s4, exec_lo
	s_clause 0x3
	buffer_load_dword v1, v4, s[0:3], 0 offen
	buffer_load_dword v2, v4, s[0:3], 0 offen offset:4
	buffer_load_dword v3, v4, s[0:3], 0 offen offset:8
	;; [unrolled: 1-line block ×3, first 2 shown]
	s_waitcnt vmcnt(0)
	ds_write_b128 v5, v[1:4]
	s_waitcnt lgkmcnt(0)
	s_barrier
	buffer_gl0_inv
	v_cmpx_gt_u32_e32 5, v0
	s_cbranch_execz .LBB115_35
; %bb.32:
	v_mov_b32_e32 v1, 0
	v_mov_b32_e32 v3, 0
	v_add_nc_u32_e32 v7, -1, v0
	v_add_nc_u32_e32 v8, 0x340, v115
	v_mov_b32_e32 v2, 0
	v_mov_b32_e32 v4, 0
	v_add_nc_u32_e32 v113, 16, v115
	s_mov_b32 s5, 0
	.p2align	6
.LBB115_33:                             ; =>This Inner Loop Header: Depth=1
	s_clause 0x3
	buffer_load_dword v120, v113, s[0:3], 0 offen offset:8
	buffer_load_dword v121, v113, s[0:3], 0 offen offset:12
	buffer_load_dword v122, v113, s[0:3], 0 offen
	buffer_load_dword v123, v113, s[0:3], 0 offen offset:4
	ds_read_b128 v[116:119], v8
	v_add_nc_u32_e32 v7, 1, v7
	v_add_nc_u32_e32 v8, 16, v8
	;; [unrolled: 1-line block ×3, first 2 shown]
	v_cmp_lt_u32_e32 vcc_lo, 3, v7
	s_or_b32 s5, vcc_lo, s5
	s_waitcnt vmcnt(2) lgkmcnt(0)
	v_mul_f64 v[124:125], v[118:119], v[120:121]
	v_mul_f64 v[120:121], v[116:117], v[120:121]
	s_waitcnt vmcnt(0)
	v_fma_f64 v[116:117], v[116:117], v[122:123], -v[124:125]
	v_fma_f64 v[118:119], v[118:119], v[122:123], v[120:121]
	v_add_f64 v[3:4], v[3:4], v[116:117]
	v_add_f64 v[1:2], v[1:2], v[118:119]
	s_andn2_b32 exec_lo, exec_lo, s5
	s_cbranch_execnz .LBB115_33
; %bb.34:
	s_or_b32 exec_lo, exec_lo, s5
	v_mov_b32_e32 v7, 0
	ds_read_b128 v[116:119], v7 offset:80
	s_waitcnt lgkmcnt(0)
	v_mul_f64 v[7:8], v[1:2], v[118:119]
	v_mul_f64 v[113:114], v[3:4], v[118:119]
	v_fma_f64 v[3:4], v[3:4], v[116:117], -v[7:8]
	v_fma_f64 v[1:2], v[1:2], v[116:117], v[113:114]
	buffer_store_dword v4, off, s[0:3], 0 offset:100
	buffer_store_dword v3, off, s[0:3], 0 offset:96
	buffer_store_dword v2, off, s[0:3], 0 offset:108
	buffer_store_dword v1, off, s[0:3], 0 offset:104
.LBB115_35:
	s_or_b32 exec_lo, exec_lo, s4
	v_mov_b32_e32 v4, s58
	s_waitcnt_vscnt null, 0x0
	s_barrier
	buffer_gl0_inv
	s_mov_b32 s4, exec_lo
	s_clause 0x3
	buffer_load_dword v1, v4, s[0:3], 0 offen
	buffer_load_dword v2, v4, s[0:3], 0 offen offset:4
	buffer_load_dword v3, v4, s[0:3], 0 offen offset:8
	;; [unrolled: 1-line block ×3, first 2 shown]
	s_waitcnt vmcnt(0)
	ds_write_b128 v5, v[1:4]
	s_waitcnt lgkmcnt(0)
	s_barrier
	buffer_gl0_inv
	v_cmpx_gt_u32_e32 6, v0
	s_cbranch_execz .LBB115_39
; %bb.36:
	v_mov_b32_e32 v1, 0
	v_mov_b32_e32 v3, 0
	v_add_nc_u32_e32 v7, -1, v0
	v_add_nc_u32_e32 v8, 0x340, v115
	v_mov_b32_e32 v2, 0
	v_mov_b32_e32 v4, 0
	v_add_nc_u32_e32 v113, 16, v115
	s_mov_b32 s5, 0
	.p2align	6
.LBB115_37:                             ; =>This Inner Loop Header: Depth=1
	s_clause 0x3
	buffer_load_dword v120, v113, s[0:3], 0 offen offset:8
	buffer_load_dword v121, v113, s[0:3], 0 offen offset:12
	buffer_load_dword v122, v113, s[0:3], 0 offen
	buffer_load_dword v123, v113, s[0:3], 0 offen offset:4
	ds_read_b128 v[116:119], v8
	v_add_nc_u32_e32 v7, 1, v7
	v_add_nc_u32_e32 v8, 16, v8
	;; [unrolled: 1-line block ×3, first 2 shown]
	v_cmp_lt_u32_e32 vcc_lo, 4, v7
	s_or_b32 s5, vcc_lo, s5
	s_waitcnt vmcnt(2) lgkmcnt(0)
	v_mul_f64 v[124:125], v[118:119], v[120:121]
	v_mul_f64 v[120:121], v[116:117], v[120:121]
	s_waitcnt vmcnt(0)
	v_fma_f64 v[116:117], v[116:117], v[122:123], -v[124:125]
	v_fma_f64 v[118:119], v[118:119], v[122:123], v[120:121]
	v_add_f64 v[3:4], v[3:4], v[116:117]
	v_add_f64 v[1:2], v[1:2], v[118:119]
	s_andn2_b32 exec_lo, exec_lo, s5
	s_cbranch_execnz .LBB115_37
; %bb.38:
	s_or_b32 exec_lo, exec_lo, s5
	v_mov_b32_e32 v7, 0
	ds_read_b128 v[116:119], v7 offset:96
	s_waitcnt lgkmcnt(0)
	v_mul_f64 v[7:8], v[1:2], v[118:119]
	v_mul_f64 v[113:114], v[3:4], v[118:119]
	v_fma_f64 v[3:4], v[3:4], v[116:117], -v[7:8]
	v_fma_f64 v[1:2], v[1:2], v[116:117], v[113:114]
	buffer_store_dword v4, off, s[0:3], 0 offset:116
	buffer_store_dword v3, off, s[0:3], 0 offset:112
	;; [unrolled: 1-line block ×4, first 2 shown]
.LBB115_39:
	s_or_b32 exec_lo, exec_lo, s4
	v_mov_b32_e32 v4, s57
	s_waitcnt_vscnt null, 0x0
	s_barrier
	buffer_gl0_inv
	s_mov_b32 s4, exec_lo
	s_clause 0x3
	buffer_load_dword v1, v4, s[0:3], 0 offen
	buffer_load_dword v2, v4, s[0:3], 0 offen offset:4
	buffer_load_dword v3, v4, s[0:3], 0 offen offset:8
	buffer_load_dword v4, v4, s[0:3], 0 offen offset:12
	s_waitcnt vmcnt(0)
	ds_write_b128 v5, v[1:4]
	s_waitcnt lgkmcnt(0)
	s_barrier
	buffer_gl0_inv
	v_cmpx_gt_u32_e32 7, v0
	s_cbranch_execz .LBB115_43
; %bb.40:
	v_mov_b32_e32 v1, 0
	v_mov_b32_e32 v3, 0
	v_add_nc_u32_e32 v7, -1, v0
	v_add_nc_u32_e32 v8, 0x340, v115
	v_mov_b32_e32 v2, 0
	v_mov_b32_e32 v4, 0
	v_add_nc_u32_e32 v113, 16, v115
	s_mov_b32 s5, 0
	.p2align	6
.LBB115_41:                             ; =>This Inner Loop Header: Depth=1
	s_clause 0x3
	buffer_load_dword v120, v113, s[0:3], 0 offen offset:8
	buffer_load_dword v121, v113, s[0:3], 0 offen offset:12
	buffer_load_dword v122, v113, s[0:3], 0 offen
	buffer_load_dword v123, v113, s[0:3], 0 offen offset:4
	ds_read_b128 v[116:119], v8
	v_add_nc_u32_e32 v7, 1, v7
	v_add_nc_u32_e32 v8, 16, v8
	v_add_nc_u32_e32 v113, 16, v113
	v_cmp_lt_u32_e32 vcc_lo, 5, v7
	s_or_b32 s5, vcc_lo, s5
	s_waitcnt vmcnt(2) lgkmcnt(0)
	v_mul_f64 v[124:125], v[118:119], v[120:121]
	v_mul_f64 v[120:121], v[116:117], v[120:121]
	s_waitcnt vmcnt(0)
	v_fma_f64 v[116:117], v[116:117], v[122:123], -v[124:125]
	v_fma_f64 v[118:119], v[118:119], v[122:123], v[120:121]
	v_add_f64 v[3:4], v[3:4], v[116:117]
	v_add_f64 v[1:2], v[1:2], v[118:119]
	s_andn2_b32 exec_lo, exec_lo, s5
	s_cbranch_execnz .LBB115_41
; %bb.42:
	s_or_b32 exec_lo, exec_lo, s5
	v_mov_b32_e32 v7, 0
	ds_read_b128 v[116:119], v7 offset:112
	s_waitcnt lgkmcnt(0)
	v_mul_f64 v[7:8], v[1:2], v[118:119]
	v_mul_f64 v[113:114], v[3:4], v[118:119]
	v_fma_f64 v[3:4], v[3:4], v[116:117], -v[7:8]
	v_fma_f64 v[1:2], v[1:2], v[116:117], v[113:114]
	buffer_store_dword v4, off, s[0:3], 0 offset:132
	buffer_store_dword v3, off, s[0:3], 0 offset:128
	;; [unrolled: 1-line block ×4, first 2 shown]
.LBB115_43:
	s_or_b32 exec_lo, exec_lo, s4
	v_mov_b32_e32 v4, s56
	s_waitcnt_vscnt null, 0x0
	s_barrier
	buffer_gl0_inv
	s_mov_b32 s4, exec_lo
	s_clause 0x3
	buffer_load_dword v1, v4, s[0:3], 0 offen
	buffer_load_dword v2, v4, s[0:3], 0 offen offset:4
	buffer_load_dword v3, v4, s[0:3], 0 offen offset:8
	;; [unrolled: 1-line block ×3, first 2 shown]
	s_waitcnt vmcnt(0)
	ds_write_b128 v5, v[1:4]
	s_waitcnt lgkmcnt(0)
	s_barrier
	buffer_gl0_inv
	v_cmpx_gt_u32_e32 8, v0
	s_cbranch_execz .LBB115_47
; %bb.44:
	v_mov_b32_e32 v1, 0
	v_mov_b32_e32 v3, 0
	v_add_nc_u32_e32 v7, -1, v0
	v_add_nc_u32_e32 v8, 0x340, v115
	v_mov_b32_e32 v2, 0
	v_mov_b32_e32 v4, 0
	v_add_nc_u32_e32 v113, 16, v115
	s_mov_b32 s5, 0
	.p2align	6
.LBB115_45:                             ; =>This Inner Loop Header: Depth=1
	s_clause 0x3
	buffer_load_dword v120, v113, s[0:3], 0 offen offset:8
	buffer_load_dword v121, v113, s[0:3], 0 offen offset:12
	buffer_load_dword v122, v113, s[0:3], 0 offen
	buffer_load_dword v123, v113, s[0:3], 0 offen offset:4
	ds_read_b128 v[116:119], v8
	v_add_nc_u32_e32 v7, 1, v7
	v_add_nc_u32_e32 v8, 16, v8
	;; [unrolled: 1-line block ×3, first 2 shown]
	v_cmp_lt_u32_e32 vcc_lo, 6, v7
	s_or_b32 s5, vcc_lo, s5
	s_waitcnt vmcnt(2) lgkmcnt(0)
	v_mul_f64 v[124:125], v[118:119], v[120:121]
	v_mul_f64 v[120:121], v[116:117], v[120:121]
	s_waitcnt vmcnt(0)
	v_fma_f64 v[116:117], v[116:117], v[122:123], -v[124:125]
	v_fma_f64 v[118:119], v[118:119], v[122:123], v[120:121]
	v_add_f64 v[3:4], v[3:4], v[116:117]
	v_add_f64 v[1:2], v[1:2], v[118:119]
	s_andn2_b32 exec_lo, exec_lo, s5
	s_cbranch_execnz .LBB115_45
; %bb.46:
	s_or_b32 exec_lo, exec_lo, s5
	v_mov_b32_e32 v7, 0
	ds_read_b128 v[116:119], v7 offset:128
	s_waitcnt lgkmcnt(0)
	v_mul_f64 v[7:8], v[1:2], v[118:119]
	v_mul_f64 v[113:114], v[3:4], v[118:119]
	v_fma_f64 v[3:4], v[3:4], v[116:117], -v[7:8]
	v_fma_f64 v[1:2], v[1:2], v[116:117], v[113:114]
	buffer_store_dword v4, off, s[0:3], 0 offset:148
	buffer_store_dword v3, off, s[0:3], 0 offset:144
	;; [unrolled: 1-line block ×4, first 2 shown]
.LBB115_47:
	s_or_b32 exec_lo, exec_lo, s4
	v_mov_b32_e32 v4, s55
	s_waitcnt_vscnt null, 0x0
	s_barrier
	buffer_gl0_inv
	s_mov_b32 s4, exec_lo
	s_clause 0x3
	buffer_load_dword v1, v4, s[0:3], 0 offen
	buffer_load_dword v2, v4, s[0:3], 0 offen offset:4
	buffer_load_dword v3, v4, s[0:3], 0 offen offset:8
	;; [unrolled: 1-line block ×3, first 2 shown]
	s_waitcnt vmcnt(0)
	ds_write_b128 v5, v[1:4]
	s_waitcnt lgkmcnt(0)
	s_barrier
	buffer_gl0_inv
	v_cmpx_gt_u32_e32 9, v0
	s_cbranch_execz .LBB115_51
; %bb.48:
	v_mov_b32_e32 v1, 0
	v_mov_b32_e32 v3, 0
	v_add_nc_u32_e32 v7, -1, v0
	v_add_nc_u32_e32 v8, 0x340, v115
	v_mov_b32_e32 v2, 0
	v_mov_b32_e32 v4, 0
	v_add_nc_u32_e32 v113, 16, v115
	s_mov_b32 s5, 0
	.p2align	6
.LBB115_49:                             ; =>This Inner Loop Header: Depth=1
	s_clause 0x3
	buffer_load_dword v120, v113, s[0:3], 0 offen offset:8
	buffer_load_dword v121, v113, s[0:3], 0 offen offset:12
	buffer_load_dword v122, v113, s[0:3], 0 offen
	buffer_load_dword v123, v113, s[0:3], 0 offen offset:4
	ds_read_b128 v[116:119], v8
	v_add_nc_u32_e32 v7, 1, v7
	v_add_nc_u32_e32 v8, 16, v8
	;; [unrolled: 1-line block ×3, first 2 shown]
	v_cmp_lt_u32_e32 vcc_lo, 7, v7
	s_or_b32 s5, vcc_lo, s5
	s_waitcnt vmcnt(2) lgkmcnt(0)
	v_mul_f64 v[124:125], v[118:119], v[120:121]
	v_mul_f64 v[120:121], v[116:117], v[120:121]
	s_waitcnt vmcnt(0)
	v_fma_f64 v[116:117], v[116:117], v[122:123], -v[124:125]
	v_fma_f64 v[118:119], v[118:119], v[122:123], v[120:121]
	v_add_f64 v[3:4], v[3:4], v[116:117]
	v_add_f64 v[1:2], v[1:2], v[118:119]
	s_andn2_b32 exec_lo, exec_lo, s5
	s_cbranch_execnz .LBB115_49
; %bb.50:
	s_or_b32 exec_lo, exec_lo, s5
	v_mov_b32_e32 v7, 0
	ds_read_b128 v[116:119], v7 offset:144
	s_waitcnt lgkmcnt(0)
	v_mul_f64 v[7:8], v[1:2], v[118:119]
	v_mul_f64 v[113:114], v[3:4], v[118:119]
	v_fma_f64 v[3:4], v[3:4], v[116:117], -v[7:8]
	v_fma_f64 v[1:2], v[1:2], v[116:117], v[113:114]
	buffer_store_dword v4, off, s[0:3], 0 offset:164
	buffer_store_dword v3, off, s[0:3], 0 offset:160
	;; [unrolled: 1-line block ×4, first 2 shown]
.LBB115_51:
	s_or_b32 exec_lo, exec_lo, s4
	v_mov_b32_e32 v4, s54
	s_waitcnt_vscnt null, 0x0
	s_barrier
	buffer_gl0_inv
	s_mov_b32 s4, exec_lo
	s_clause 0x3
	buffer_load_dword v1, v4, s[0:3], 0 offen
	buffer_load_dword v2, v4, s[0:3], 0 offen offset:4
	buffer_load_dword v3, v4, s[0:3], 0 offen offset:8
	;; [unrolled: 1-line block ×3, first 2 shown]
	s_waitcnt vmcnt(0)
	ds_write_b128 v5, v[1:4]
	s_waitcnt lgkmcnt(0)
	s_barrier
	buffer_gl0_inv
	v_cmpx_gt_u32_e32 10, v0
	s_cbranch_execz .LBB115_55
; %bb.52:
	v_mov_b32_e32 v1, 0
	v_mov_b32_e32 v3, 0
	v_add_nc_u32_e32 v7, -1, v0
	v_add_nc_u32_e32 v8, 0x340, v115
	v_mov_b32_e32 v2, 0
	v_mov_b32_e32 v4, 0
	v_add_nc_u32_e32 v113, 16, v115
	s_mov_b32 s5, 0
	.p2align	6
.LBB115_53:                             ; =>This Inner Loop Header: Depth=1
	s_clause 0x3
	buffer_load_dword v120, v113, s[0:3], 0 offen offset:8
	buffer_load_dword v121, v113, s[0:3], 0 offen offset:12
	buffer_load_dword v122, v113, s[0:3], 0 offen
	buffer_load_dword v123, v113, s[0:3], 0 offen offset:4
	ds_read_b128 v[116:119], v8
	v_add_nc_u32_e32 v7, 1, v7
	v_add_nc_u32_e32 v8, 16, v8
	;; [unrolled: 1-line block ×3, first 2 shown]
	v_cmp_lt_u32_e32 vcc_lo, 8, v7
	s_or_b32 s5, vcc_lo, s5
	s_waitcnt vmcnt(2) lgkmcnt(0)
	v_mul_f64 v[124:125], v[118:119], v[120:121]
	v_mul_f64 v[120:121], v[116:117], v[120:121]
	s_waitcnt vmcnt(0)
	v_fma_f64 v[116:117], v[116:117], v[122:123], -v[124:125]
	v_fma_f64 v[118:119], v[118:119], v[122:123], v[120:121]
	v_add_f64 v[3:4], v[3:4], v[116:117]
	v_add_f64 v[1:2], v[1:2], v[118:119]
	s_andn2_b32 exec_lo, exec_lo, s5
	s_cbranch_execnz .LBB115_53
; %bb.54:
	s_or_b32 exec_lo, exec_lo, s5
	v_mov_b32_e32 v7, 0
	ds_read_b128 v[116:119], v7 offset:160
	s_waitcnt lgkmcnt(0)
	v_mul_f64 v[7:8], v[1:2], v[118:119]
	v_mul_f64 v[113:114], v[3:4], v[118:119]
	v_fma_f64 v[3:4], v[3:4], v[116:117], -v[7:8]
	v_fma_f64 v[1:2], v[1:2], v[116:117], v[113:114]
	buffer_store_dword v4, off, s[0:3], 0 offset:180
	buffer_store_dword v3, off, s[0:3], 0 offset:176
	;; [unrolled: 1-line block ×4, first 2 shown]
.LBB115_55:
	s_or_b32 exec_lo, exec_lo, s4
	v_mov_b32_e32 v4, s53
	s_waitcnt_vscnt null, 0x0
	s_barrier
	buffer_gl0_inv
	s_mov_b32 s4, exec_lo
	s_clause 0x3
	buffer_load_dword v1, v4, s[0:3], 0 offen
	buffer_load_dword v2, v4, s[0:3], 0 offen offset:4
	buffer_load_dword v3, v4, s[0:3], 0 offen offset:8
	buffer_load_dword v4, v4, s[0:3], 0 offen offset:12
	s_waitcnt vmcnt(0)
	ds_write_b128 v5, v[1:4]
	s_waitcnt lgkmcnt(0)
	s_barrier
	buffer_gl0_inv
	v_cmpx_gt_u32_e32 11, v0
	s_cbranch_execz .LBB115_59
; %bb.56:
	v_mov_b32_e32 v1, 0
	v_mov_b32_e32 v3, 0
	v_add_nc_u32_e32 v7, -1, v0
	v_add_nc_u32_e32 v8, 0x340, v115
	v_mov_b32_e32 v2, 0
	v_mov_b32_e32 v4, 0
	v_add_nc_u32_e32 v113, 16, v115
	s_mov_b32 s5, 0
	.p2align	6
.LBB115_57:                             ; =>This Inner Loop Header: Depth=1
	s_clause 0x3
	buffer_load_dword v120, v113, s[0:3], 0 offen offset:8
	buffer_load_dword v121, v113, s[0:3], 0 offen offset:12
	buffer_load_dword v122, v113, s[0:3], 0 offen
	buffer_load_dword v123, v113, s[0:3], 0 offen offset:4
	ds_read_b128 v[116:119], v8
	v_add_nc_u32_e32 v7, 1, v7
	v_add_nc_u32_e32 v8, 16, v8
	;; [unrolled: 1-line block ×3, first 2 shown]
	v_cmp_lt_u32_e32 vcc_lo, 9, v7
	s_or_b32 s5, vcc_lo, s5
	s_waitcnt vmcnt(2) lgkmcnt(0)
	v_mul_f64 v[124:125], v[118:119], v[120:121]
	v_mul_f64 v[120:121], v[116:117], v[120:121]
	s_waitcnt vmcnt(0)
	v_fma_f64 v[116:117], v[116:117], v[122:123], -v[124:125]
	v_fma_f64 v[118:119], v[118:119], v[122:123], v[120:121]
	v_add_f64 v[3:4], v[3:4], v[116:117]
	v_add_f64 v[1:2], v[1:2], v[118:119]
	s_andn2_b32 exec_lo, exec_lo, s5
	s_cbranch_execnz .LBB115_57
; %bb.58:
	s_or_b32 exec_lo, exec_lo, s5
	v_mov_b32_e32 v7, 0
	ds_read_b128 v[116:119], v7 offset:176
	s_waitcnt lgkmcnt(0)
	v_mul_f64 v[7:8], v[1:2], v[118:119]
	v_mul_f64 v[113:114], v[3:4], v[118:119]
	v_fma_f64 v[3:4], v[3:4], v[116:117], -v[7:8]
	v_fma_f64 v[1:2], v[1:2], v[116:117], v[113:114]
	buffer_store_dword v4, off, s[0:3], 0 offset:196
	buffer_store_dword v3, off, s[0:3], 0 offset:192
	buffer_store_dword v2, off, s[0:3], 0 offset:204
	buffer_store_dword v1, off, s[0:3], 0 offset:200
.LBB115_59:
	s_or_b32 exec_lo, exec_lo, s4
	v_mov_b32_e32 v4, s52
	s_waitcnt_vscnt null, 0x0
	s_barrier
	buffer_gl0_inv
	s_mov_b32 s4, exec_lo
	s_clause 0x3
	buffer_load_dword v1, v4, s[0:3], 0 offen
	buffer_load_dword v2, v4, s[0:3], 0 offen offset:4
	buffer_load_dword v3, v4, s[0:3], 0 offen offset:8
	;; [unrolled: 1-line block ×3, first 2 shown]
	s_waitcnt vmcnt(0)
	ds_write_b128 v5, v[1:4]
	s_waitcnt lgkmcnt(0)
	s_barrier
	buffer_gl0_inv
	v_cmpx_gt_u32_e32 12, v0
	s_cbranch_execz .LBB115_63
; %bb.60:
	v_mov_b32_e32 v1, 0
	v_mov_b32_e32 v3, 0
	v_add_nc_u32_e32 v7, -1, v0
	v_add_nc_u32_e32 v8, 0x340, v115
	v_mov_b32_e32 v2, 0
	v_mov_b32_e32 v4, 0
	v_add_nc_u32_e32 v113, 16, v115
	s_mov_b32 s5, 0
	.p2align	6
.LBB115_61:                             ; =>This Inner Loop Header: Depth=1
	s_clause 0x3
	buffer_load_dword v120, v113, s[0:3], 0 offen offset:8
	buffer_load_dword v121, v113, s[0:3], 0 offen offset:12
	buffer_load_dword v122, v113, s[0:3], 0 offen
	buffer_load_dword v123, v113, s[0:3], 0 offen offset:4
	ds_read_b128 v[116:119], v8
	v_add_nc_u32_e32 v7, 1, v7
	v_add_nc_u32_e32 v8, 16, v8
	;; [unrolled: 1-line block ×3, first 2 shown]
	v_cmp_lt_u32_e32 vcc_lo, 10, v7
	s_or_b32 s5, vcc_lo, s5
	s_waitcnt vmcnt(2) lgkmcnt(0)
	v_mul_f64 v[124:125], v[118:119], v[120:121]
	v_mul_f64 v[120:121], v[116:117], v[120:121]
	s_waitcnt vmcnt(0)
	v_fma_f64 v[116:117], v[116:117], v[122:123], -v[124:125]
	v_fma_f64 v[118:119], v[118:119], v[122:123], v[120:121]
	v_add_f64 v[3:4], v[3:4], v[116:117]
	v_add_f64 v[1:2], v[1:2], v[118:119]
	s_andn2_b32 exec_lo, exec_lo, s5
	s_cbranch_execnz .LBB115_61
; %bb.62:
	s_or_b32 exec_lo, exec_lo, s5
	v_mov_b32_e32 v7, 0
	ds_read_b128 v[116:119], v7 offset:192
	s_waitcnt lgkmcnt(0)
	v_mul_f64 v[7:8], v[1:2], v[118:119]
	v_mul_f64 v[113:114], v[3:4], v[118:119]
	v_fma_f64 v[3:4], v[3:4], v[116:117], -v[7:8]
	v_fma_f64 v[1:2], v[1:2], v[116:117], v[113:114]
	buffer_store_dword v4, off, s[0:3], 0 offset:212
	buffer_store_dword v3, off, s[0:3], 0 offset:208
	;; [unrolled: 1-line block ×4, first 2 shown]
.LBB115_63:
	s_or_b32 exec_lo, exec_lo, s4
	v_mov_b32_e32 v4, s51
	s_waitcnt_vscnt null, 0x0
	s_barrier
	buffer_gl0_inv
	s_mov_b32 s4, exec_lo
	s_clause 0x3
	buffer_load_dword v1, v4, s[0:3], 0 offen
	buffer_load_dword v2, v4, s[0:3], 0 offen offset:4
	buffer_load_dword v3, v4, s[0:3], 0 offen offset:8
	;; [unrolled: 1-line block ×3, first 2 shown]
	s_waitcnt vmcnt(0)
	ds_write_b128 v5, v[1:4]
	s_waitcnt lgkmcnt(0)
	s_barrier
	buffer_gl0_inv
	v_cmpx_gt_u32_e32 13, v0
	s_cbranch_execz .LBB115_67
; %bb.64:
	v_mov_b32_e32 v1, 0
	v_mov_b32_e32 v3, 0
	v_add_nc_u32_e32 v7, -1, v0
	v_add_nc_u32_e32 v8, 0x340, v115
	v_mov_b32_e32 v2, 0
	v_mov_b32_e32 v4, 0
	v_add_nc_u32_e32 v113, 16, v115
	s_mov_b32 s5, 0
	.p2align	6
.LBB115_65:                             ; =>This Inner Loop Header: Depth=1
	s_clause 0x3
	buffer_load_dword v120, v113, s[0:3], 0 offen offset:8
	buffer_load_dword v121, v113, s[0:3], 0 offen offset:12
	buffer_load_dword v122, v113, s[0:3], 0 offen
	buffer_load_dword v123, v113, s[0:3], 0 offen offset:4
	ds_read_b128 v[116:119], v8
	v_add_nc_u32_e32 v7, 1, v7
	v_add_nc_u32_e32 v8, 16, v8
	;; [unrolled: 1-line block ×3, first 2 shown]
	v_cmp_lt_u32_e32 vcc_lo, 11, v7
	s_or_b32 s5, vcc_lo, s5
	s_waitcnt vmcnt(2) lgkmcnt(0)
	v_mul_f64 v[124:125], v[118:119], v[120:121]
	v_mul_f64 v[120:121], v[116:117], v[120:121]
	s_waitcnt vmcnt(0)
	v_fma_f64 v[116:117], v[116:117], v[122:123], -v[124:125]
	v_fma_f64 v[118:119], v[118:119], v[122:123], v[120:121]
	v_add_f64 v[3:4], v[3:4], v[116:117]
	v_add_f64 v[1:2], v[1:2], v[118:119]
	s_andn2_b32 exec_lo, exec_lo, s5
	s_cbranch_execnz .LBB115_65
; %bb.66:
	s_or_b32 exec_lo, exec_lo, s5
	v_mov_b32_e32 v7, 0
	ds_read_b128 v[116:119], v7 offset:208
	s_waitcnt lgkmcnt(0)
	v_mul_f64 v[7:8], v[1:2], v[118:119]
	v_mul_f64 v[113:114], v[3:4], v[118:119]
	v_fma_f64 v[3:4], v[3:4], v[116:117], -v[7:8]
	v_fma_f64 v[1:2], v[1:2], v[116:117], v[113:114]
	buffer_store_dword v4, off, s[0:3], 0 offset:228
	buffer_store_dword v3, off, s[0:3], 0 offset:224
	;; [unrolled: 1-line block ×4, first 2 shown]
.LBB115_67:
	s_or_b32 exec_lo, exec_lo, s4
	v_mov_b32_e32 v4, s50
	s_waitcnt_vscnt null, 0x0
	s_barrier
	buffer_gl0_inv
	s_mov_b32 s4, exec_lo
	s_clause 0x3
	buffer_load_dword v1, v4, s[0:3], 0 offen
	buffer_load_dword v2, v4, s[0:3], 0 offen offset:4
	buffer_load_dword v3, v4, s[0:3], 0 offen offset:8
	;; [unrolled: 1-line block ×3, first 2 shown]
	s_waitcnt vmcnt(0)
	ds_write_b128 v5, v[1:4]
	s_waitcnt lgkmcnt(0)
	s_barrier
	buffer_gl0_inv
	v_cmpx_gt_u32_e32 14, v0
	s_cbranch_execz .LBB115_71
; %bb.68:
	v_mov_b32_e32 v1, 0
	v_mov_b32_e32 v3, 0
	v_add_nc_u32_e32 v7, -1, v0
	v_add_nc_u32_e32 v8, 0x340, v115
	v_mov_b32_e32 v2, 0
	v_mov_b32_e32 v4, 0
	v_add_nc_u32_e32 v113, 16, v115
	s_mov_b32 s5, 0
	.p2align	6
.LBB115_69:                             ; =>This Inner Loop Header: Depth=1
	s_clause 0x3
	buffer_load_dword v120, v113, s[0:3], 0 offen offset:8
	buffer_load_dword v121, v113, s[0:3], 0 offen offset:12
	buffer_load_dword v122, v113, s[0:3], 0 offen
	buffer_load_dword v123, v113, s[0:3], 0 offen offset:4
	ds_read_b128 v[116:119], v8
	v_add_nc_u32_e32 v7, 1, v7
	v_add_nc_u32_e32 v8, 16, v8
	;; [unrolled: 1-line block ×3, first 2 shown]
	v_cmp_lt_u32_e32 vcc_lo, 12, v7
	s_or_b32 s5, vcc_lo, s5
	s_waitcnt vmcnt(2) lgkmcnt(0)
	v_mul_f64 v[124:125], v[118:119], v[120:121]
	v_mul_f64 v[120:121], v[116:117], v[120:121]
	s_waitcnt vmcnt(0)
	v_fma_f64 v[116:117], v[116:117], v[122:123], -v[124:125]
	v_fma_f64 v[118:119], v[118:119], v[122:123], v[120:121]
	v_add_f64 v[3:4], v[3:4], v[116:117]
	v_add_f64 v[1:2], v[1:2], v[118:119]
	s_andn2_b32 exec_lo, exec_lo, s5
	s_cbranch_execnz .LBB115_69
; %bb.70:
	s_or_b32 exec_lo, exec_lo, s5
	v_mov_b32_e32 v7, 0
	ds_read_b128 v[116:119], v7 offset:224
	s_waitcnt lgkmcnt(0)
	v_mul_f64 v[7:8], v[1:2], v[118:119]
	v_mul_f64 v[113:114], v[3:4], v[118:119]
	v_fma_f64 v[3:4], v[3:4], v[116:117], -v[7:8]
	v_fma_f64 v[1:2], v[1:2], v[116:117], v[113:114]
	buffer_store_dword v4, off, s[0:3], 0 offset:244
	buffer_store_dword v3, off, s[0:3], 0 offset:240
	buffer_store_dword v2, off, s[0:3], 0 offset:252
	buffer_store_dword v1, off, s[0:3], 0 offset:248
.LBB115_71:
	s_or_b32 exec_lo, exec_lo, s4
	v_mov_b32_e32 v4, s49
	s_waitcnt_vscnt null, 0x0
	s_barrier
	buffer_gl0_inv
	s_mov_b32 s4, exec_lo
	s_clause 0x3
	buffer_load_dword v1, v4, s[0:3], 0 offen
	buffer_load_dword v2, v4, s[0:3], 0 offen offset:4
	buffer_load_dword v3, v4, s[0:3], 0 offen offset:8
	;; [unrolled: 1-line block ×3, first 2 shown]
	s_waitcnt vmcnt(0)
	ds_write_b128 v5, v[1:4]
	s_waitcnt lgkmcnt(0)
	s_barrier
	buffer_gl0_inv
	v_cmpx_gt_u32_e32 15, v0
	s_cbranch_execz .LBB115_75
; %bb.72:
	v_mov_b32_e32 v1, 0
	v_mov_b32_e32 v3, 0
	v_add_nc_u32_e32 v7, -1, v0
	v_add_nc_u32_e32 v8, 0x340, v115
	v_mov_b32_e32 v2, 0
	v_mov_b32_e32 v4, 0
	v_add_nc_u32_e32 v113, 16, v115
	s_mov_b32 s5, 0
	.p2align	6
.LBB115_73:                             ; =>This Inner Loop Header: Depth=1
	s_clause 0x3
	buffer_load_dword v120, v113, s[0:3], 0 offen offset:8
	buffer_load_dword v121, v113, s[0:3], 0 offen offset:12
	buffer_load_dword v122, v113, s[0:3], 0 offen
	buffer_load_dword v123, v113, s[0:3], 0 offen offset:4
	ds_read_b128 v[116:119], v8
	v_add_nc_u32_e32 v7, 1, v7
	v_add_nc_u32_e32 v8, 16, v8
	;; [unrolled: 1-line block ×3, first 2 shown]
	v_cmp_lt_u32_e32 vcc_lo, 13, v7
	s_or_b32 s5, vcc_lo, s5
	s_waitcnt vmcnt(2) lgkmcnt(0)
	v_mul_f64 v[124:125], v[118:119], v[120:121]
	v_mul_f64 v[120:121], v[116:117], v[120:121]
	s_waitcnt vmcnt(0)
	v_fma_f64 v[116:117], v[116:117], v[122:123], -v[124:125]
	v_fma_f64 v[118:119], v[118:119], v[122:123], v[120:121]
	v_add_f64 v[3:4], v[3:4], v[116:117]
	v_add_f64 v[1:2], v[1:2], v[118:119]
	s_andn2_b32 exec_lo, exec_lo, s5
	s_cbranch_execnz .LBB115_73
; %bb.74:
	s_or_b32 exec_lo, exec_lo, s5
	v_mov_b32_e32 v7, 0
	ds_read_b128 v[116:119], v7 offset:240
	s_waitcnt lgkmcnt(0)
	v_mul_f64 v[7:8], v[1:2], v[118:119]
	v_mul_f64 v[113:114], v[3:4], v[118:119]
	v_fma_f64 v[3:4], v[3:4], v[116:117], -v[7:8]
	v_fma_f64 v[1:2], v[1:2], v[116:117], v[113:114]
	buffer_store_dword v4, off, s[0:3], 0 offset:260
	buffer_store_dword v3, off, s[0:3], 0 offset:256
	;; [unrolled: 1-line block ×4, first 2 shown]
.LBB115_75:
	s_or_b32 exec_lo, exec_lo, s4
	v_mov_b32_e32 v4, s48
	s_waitcnt_vscnt null, 0x0
	s_barrier
	buffer_gl0_inv
	s_mov_b32 s4, exec_lo
	s_clause 0x3
	buffer_load_dword v1, v4, s[0:3], 0 offen
	buffer_load_dword v2, v4, s[0:3], 0 offen offset:4
	buffer_load_dword v3, v4, s[0:3], 0 offen offset:8
	;; [unrolled: 1-line block ×3, first 2 shown]
	s_waitcnt vmcnt(0)
	ds_write_b128 v5, v[1:4]
	s_waitcnt lgkmcnt(0)
	s_barrier
	buffer_gl0_inv
	v_cmpx_gt_u32_e32 16, v0
	s_cbranch_execz .LBB115_79
; %bb.76:
	v_mov_b32_e32 v1, 0
	v_mov_b32_e32 v3, 0
	v_add_nc_u32_e32 v7, -1, v0
	v_add_nc_u32_e32 v8, 0x340, v115
	v_mov_b32_e32 v2, 0
	v_mov_b32_e32 v4, 0
	v_add_nc_u32_e32 v113, 16, v115
	s_mov_b32 s5, 0
	.p2align	6
.LBB115_77:                             ; =>This Inner Loop Header: Depth=1
	s_clause 0x3
	buffer_load_dword v120, v113, s[0:3], 0 offen offset:8
	buffer_load_dword v121, v113, s[0:3], 0 offen offset:12
	buffer_load_dword v122, v113, s[0:3], 0 offen
	buffer_load_dword v123, v113, s[0:3], 0 offen offset:4
	ds_read_b128 v[116:119], v8
	v_add_nc_u32_e32 v7, 1, v7
	v_add_nc_u32_e32 v8, 16, v8
	;; [unrolled: 1-line block ×3, first 2 shown]
	v_cmp_lt_u32_e32 vcc_lo, 14, v7
	s_or_b32 s5, vcc_lo, s5
	s_waitcnt vmcnt(2) lgkmcnt(0)
	v_mul_f64 v[124:125], v[118:119], v[120:121]
	v_mul_f64 v[120:121], v[116:117], v[120:121]
	s_waitcnt vmcnt(0)
	v_fma_f64 v[116:117], v[116:117], v[122:123], -v[124:125]
	v_fma_f64 v[118:119], v[118:119], v[122:123], v[120:121]
	v_add_f64 v[3:4], v[3:4], v[116:117]
	v_add_f64 v[1:2], v[1:2], v[118:119]
	s_andn2_b32 exec_lo, exec_lo, s5
	s_cbranch_execnz .LBB115_77
; %bb.78:
	s_or_b32 exec_lo, exec_lo, s5
	v_mov_b32_e32 v7, 0
	ds_read_b128 v[116:119], v7 offset:256
	s_waitcnt lgkmcnt(0)
	v_mul_f64 v[7:8], v[1:2], v[118:119]
	v_mul_f64 v[113:114], v[3:4], v[118:119]
	v_fma_f64 v[3:4], v[3:4], v[116:117], -v[7:8]
	v_fma_f64 v[1:2], v[1:2], v[116:117], v[113:114]
	buffer_store_dword v4, off, s[0:3], 0 offset:276
	buffer_store_dword v3, off, s[0:3], 0 offset:272
	;; [unrolled: 1-line block ×4, first 2 shown]
.LBB115_79:
	s_or_b32 exec_lo, exec_lo, s4
	v_mov_b32_e32 v4, s47
	s_waitcnt_vscnt null, 0x0
	s_barrier
	buffer_gl0_inv
	s_mov_b32 s4, exec_lo
	s_clause 0x3
	buffer_load_dword v1, v4, s[0:3], 0 offen
	buffer_load_dword v2, v4, s[0:3], 0 offen offset:4
	buffer_load_dword v3, v4, s[0:3], 0 offen offset:8
	;; [unrolled: 1-line block ×3, first 2 shown]
	s_waitcnt vmcnt(0)
	ds_write_b128 v5, v[1:4]
	s_waitcnt lgkmcnt(0)
	s_barrier
	buffer_gl0_inv
	v_cmpx_gt_u32_e32 17, v0
	s_cbranch_execz .LBB115_83
; %bb.80:
	v_mov_b32_e32 v1, 0
	v_mov_b32_e32 v3, 0
	v_add_nc_u32_e32 v7, -1, v0
	v_add_nc_u32_e32 v8, 0x340, v115
	v_mov_b32_e32 v2, 0
	v_mov_b32_e32 v4, 0
	v_add_nc_u32_e32 v113, 16, v115
	s_mov_b32 s5, 0
	.p2align	6
.LBB115_81:                             ; =>This Inner Loop Header: Depth=1
	s_clause 0x3
	buffer_load_dword v120, v113, s[0:3], 0 offen offset:8
	buffer_load_dword v121, v113, s[0:3], 0 offen offset:12
	buffer_load_dword v122, v113, s[0:3], 0 offen
	buffer_load_dword v123, v113, s[0:3], 0 offen offset:4
	ds_read_b128 v[116:119], v8
	v_add_nc_u32_e32 v7, 1, v7
	v_add_nc_u32_e32 v8, 16, v8
	;; [unrolled: 1-line block ×3, first 2 shown]
	v_cmp_lt_u32_e32 vcc_lo, 15, v7
	s_or_b32 s5, vcc_lo, s5
	s_waitcnt vmcnt(2) lgkmcnt(0)
	v_mul_f64 v[124:125], v[118:119], v[120:121]
	v_mul_f64 v[120:121], v[116:117], v[120:121]
	s_waitcnt vmcnt(0)
	v_fma_f64 v[116:117], v[116:117], v[122:123], -v[124:125]
	v_fma_f64 v[118:119], v[118:119], v[122:123], v[120:121]
	v_add_f64 v[3:4], v[3:4], v[116:117]
	v_add_f64 v[1:2], v[1:2], v[118:119]
	s_andn2_b32 exec_lo, exec_lo, s5
	s_cbranch_execnz .LBB115_81
; %bb.82:
	s_or_b32 exec_lo, exec_lo, s5
	v_mov_b32_e32 v7, 0
	ds_read_b128 v[116:119], v7 offset:272
	s_waitcnt lgkmcnt(0)
	v_mul_f64 v[7:8], v[1:2], v[118:119]
	v_mul_f64 v[113:114], v[3:4], v[118:119]
	v_fma_f64 v[3:4], v[3:4], v[116:117], -v[7:8]
	v_fma_f64 v[1:2], v[1:2], v[116:117], v[113:114]
	buffer_store_dword v4, off, s[0:3], 0 offset:292
	buffer_store_dword v3, off, s[0:3], 0 offset:288
	;; [unrolled: 1-line block ×4, first 2 shown]
.LBB115_83:
	s_or_b32 exec_lo, exec_lo, s4
	v_mov_b32_e32 v4, s46
	s_waitcnt_vscnt null, 0x0
	s_barrier
	buffer_gl0_inv
	s_mov_b32 s4, exec_lo
	s_clause 0x3
	buffer_load_dword v1, v4, s[0:3], 0 offen
	buffer_load_dword v2, v4, s[0:3], 0 offen offset:4
	buffer_load_dword v3, v4, s[0:3], 0 offen offset:8
	;; [unrolled: 1-line block ×3, first 2 shown]
	s_waitcnt vmcnt(0)
	ds_write_b128 v5, v[1:4]
	s_waitcnt lgkmcnt(0)
	s_barrier
	buffer_gl0_inv
	v_cmpx_gt_u32_e32 18, v0
	s_cbranch_execz .LBB115_87
; %bb.84:
	v_mov_b32_e32 v1, 0
	v_mov_b32_e32 v3, 0
	v_add_nc_u32_e32 v7, -1, v0
	v_add_nc_u32_e32 v8, 0x340, v115
	v_mov_b32_e32 v2, 0
	v_mov_b32_e32 v4, 0
	v_add_nc_u32_e32 v113, 16, v115
	s_mov_b32 s5, 0
	.p2align	6
.LBB115_85:                             ; =>This Inner Loop Header: Depth=1
	s_clause 0x3
	buffer_load_dword v120, v113, s[0:3], 0 offen offset:8
	buffer_load_dword v121, v113, s[0:3], 0 offen offset:12
	buffer_load_dword v122, v113, s[0:3], 0 offen
	buffer_load_dword v123, v113, s[0:3], 0 offen offset:4
	ds_read_b128 v[116:119], v8
	v_add_nc_u32_e32 v7, 1, v7
	v_add_nc_u32_e32 v8, 16, v8
	;; [unrolled: 1-line block ×3, first 2 shown]
	v_cmp_lt_u32_e32 vcc_lo, 16, v7
	s_or_b32 s5, vcc_lo, s5
	s_waitcnt vmcnt(2) lgkmcnt(0)
	v_mul_f64 v[124:125], v[118:119], v[120:121]
	v_mul_f64 v[120:121], v[116:117], v[120:121]
	s_waitcnt vmcnt(0)
	v_fma_f64 v[116:117], v[116:117], v[122:123], -v[124:125]
	v_fma_f64 v[118:119], v[118:119], v[122:123], v[120:121]
	v_add_f64 v[3:4], v[3:4], v[116:117]
	v_add_f64 v[1:2], v[1:2], v[118:119]
	s_andn2_b32 exec_lo, exec_lo, s5
	s_cbranch_execnz .LBB115_85
; %bb.86:
	s_or_b32 exec_lo, exec_lo, s5
	v_mov_b32_e32 v7, 0
	ds_read_b128 v[116:119], v7 offset:288
	s_waitcnt lgkmcnt(0)
	v_mul_f64 v[7:8], v[1:2], v[118:119]
	v_mul_f64 v[113:114], v[3:4], v[118:119]
	v_fma_f64 v[3:4], v[3:4], v[116:117], -v[7:8]
	v_fma_f64 v[1:2], v[1:2], v[116:117], v[113:114]
	buffer_store_dword v4, off, s[0:3], 0 offset:308
	buffer_store_dword v3, off, s[0:3], 0 offset:304
	;; [unrolled: 1-line block ×4, first 2 shown]
.LBB115_87:
	s_or_b32 exec_lo, exec_lo, s4
	v_mov_b32_e32 v4, s45
	s_waitcnt_vscnt null, 0x0
	s_barrier
	buffer_gl0_inv
	s_mov_b32 s4, exec_lo
	s_clause 0x3
	buffer_load_dword v1, v4, s[0:3], 0 offen
	buffer_load_dword v2, v4, s[0:3], 0 offen offset:4
	buffer_load_dword v3, v4, s[0:3], 0 offen offset:8
	;; [unrolled: 1-line block ×3, first 2 shown]
	s_waitcnt vmcnt(0)
	ds_write_b128 v5, v[1:4]
	s_waitcnt lgkmcnt(0)
	s_barrier
	buffer_gl0_inv
	v_cmpx_gt_u32_e32 19, v0
	s_cbranch_execz .LBB115_91
; %bb.88:
	v_mov_b32_e32 v1, 0
	v_mov_b32_e32 v3, 0
	v_add_nc_u32_e32 v7, -1, v0
	v_add_nc_u32_e32 v8, 0x340, v115
	v_mov_b32_e32 v2, 0
	v_mov_b32_e32 v4, 0
	v_add_nc_u32_e32 v113, 16, v115
	s_mov_b32 s5, 0
	.p2align	6
.LBB115_89:                             ; =>This Inner Loop Header: Depth=1
	s_clause 0x3
	buffer_load_dword v120, v113, s[0:3], 0 offen offset:8
	buffer_load_dword v121, v113, s[0:3], 0 offen offset:12
	buffer_load_dword v122, v113, s[0:3], 0 offen
	buffer_load_dword v123, v113, s[0:3], 0 offen offset:4
	ds_read_b128 v[116:119], v8
	v_add_nc_u32_e32 v7, 1, v7
	v_add_nc_u32_e32 v8, 16, v8
	;; [unrolled: 1-line block ×3, first 2 shown]
	v_cmp_lt_u32_e32 vcc_lo, 17, v7
	s_or_b32 s5, vcc_lo, s5
	s_waitcnt vmcnt(2) lgkmcnt(0)
	v_mul_f64 v[124:125], v[118:119], v[120:121]
	v_mul_f64 v[120:121], v[116:117], v[120:121]
	s_waitcnt vmcnt(0)
	v_fma_f64 v[116:117], v[116:117], v[122:123], -v[124:125]
	v_fma_f64 v[118:119], v[118:119], v[122:123], v[120:121]
	v_add_f64 v[3:4], v[3:4], v[116:117]
	v_add_f64 v[1:2], v[1:2], v[118:119]
	s_andn2_b32 exec_lo, exec_lo, s5
	s_cbranch_execnz .LBB115_89
; %bb.90:
	s_or_b32 exec_lo, exec_lo, s5
	v_mov_b32_e32 v7, 0
	ds_read_b128 v[116:119], v7 offset:304
	s_waitcnt lgkmcnt(0)
	v_mul_f64 v[7:8], v[1:2], v[118:119]
	v_mul_f64 v[113:114], v[3:4], v[118:119]
	v_fma_f64 v[3:4], v[3:4], v[116:117], -v[7:8]
	v_fma_f64 v[1:2], v[1:2], v[116:117], v[113:114]
	buffer_store_dword v4, off, s[0:3], 0 offset:324
	buffer_store_dword v3, off, s[0:3], 0 offset:320
	;; [unrolled: 1-line block ×4, first 2 shown]
.LBB115_91:
	s_or_b32 exec_lo, exec_lo, s4
	v_mov_b32_e32 v4, s44
	s_waitcnt_vscnt null, 0x0
	s_barrier
	buffer_gl0_inv
	s_mov_b32 s4, exec_lo
	s_clause 0x3
	buffer_load_dword v1, v4, s[0:3], 0 offen
	buffer_load_dword v2, v4, s[0:3], 0 offen offset:4
	buffer_load_dword v3, v4, s[0:3], 0 offen offset:8
	;; [unrolled: 1-line block ×3, first 2 shown]
	s_waitcnt vmcnt(0)
	ds_write_b128 v5, v[1:4]
	s_waitcnt lgkmcnt(0)
	s_barrier
	buffer_gl0_inv
	v_cmpx_gt_u32_e32 20, v0
	s_cbranch_execz .LBB115_95
; %bb.92:
	v_mov_b32_e32 v1, 0
	v_mov_b32_e32 v3, 0
	v_add_nc_u32_e32 v7, -1, v0
	v_add_nc_u32_e32 v8, 0x340, v115
	v_mov_b32_e32 v2, 0
	v_mov_b32_e32 v4, 0
	v_add_nc_u32_e32 v113, 16, v115
	s_mov_b32 s5, 0
	.p2align	6
.LBB115_93:                             ; =>This Inner Loop Header: Depth=1
	s_clause 0x3
	buffer_load_dword v120, v113, s[0:3], 0 offen offset:8
	buffer_load_dword v121, v113, s[0:3], 0 offen offset:12
	buffer_load_dword v122, v113, s[0:3], 0 offen
	buffer_load_dword v123, v113, s[0:3], 0 offen offset:4
	ds_read_b128 v[116:119], v8
	v_add_nc_u32_e32 v7, 1, v7
	v_add_nc_u32_e32 v8, 16, v8
	;; [unrolled: 1-line block ×3, first 2 shown]
	v_cmp_lt_u32_e32 vcc_lo, 18, v7
	s_or_b32 s5, vcc_lo, s5
	s_waitcnt vmcnt(2) lgkmcnt(0)
	v_mul_f64 v[124:125], v[118:119], v[120:121]
	v_mul_f64 v[120:121], v[116:117], v[120:121]
	s_waitcnt vmcnt(0)
	v_fma_f64 v[116:117], v[116:117], v[122:123], -v[124:125]
	v_fma_f64 v[118:119], v[118:119], v[122:123], v[120:121]
	v_add_f64 v[3:4], v[3:4], v[116:117]
	v_add_f64 v[1:2], v[1:2], v[118:119]
	s_andn2_b32 exec_lo, exec_lo, s5
	s_cbranch_execnz .LBB115_93
; %bb.94:
	s_or_b32 exec_lo, exec_lo, s5
	v_mov_b32_e32 v7, 0
	ds_read_b128 v[116:119], v7 offset:320
	s_waitcnt lgkmcnt(0)
	v_mul_f64 v[7:8], v[1:2], v[118:119]
	v_mul_f64 v[113:114], v[3:4], v[118:119]
	v_fma_f64 v[3:4], v[3:4], v[116:117], -v[7:8]
	v_fma_f64 v[1:2], v[1:2], v[116:117], v[113:114]
	buffer_store_dword v4, off, s[0:3], 0 offset:340
	buffer_store_dword v3, off, s[0:3], 0 offset:336
	;; [unrolled: 1-line block ×4, first 2 shown]
.LBB115_95:
	s_or_b32 exec_lo, exec_lo, s4
	v_mov_b32_e32 v4, s43
	s_waitcnt_vscnt null, 0x0
	s_barrier
	buffer_gl0_inv
	s_mov_b32 s4, exec_lo
	s_clause 0x3
	buffer_load_dword v1, v4, s[0:3], 0 offen
	buffer_load_dword v2, v4, s[0:3], 0 offen offset:4
	buffer_load_dword v3, v4, s[0:3], 0 offen offset:8
	;; [unrolled: 1-line block ×3, first 2 shown]
	s_waitcnt vmcnt(0)
	ds_write_b128 v5, v[1:4]
	s_waitcnt lgkmcnt(0)
	s_barrier
	buffer_gl0_inv
	v_cmpx_gt_u32_e32 21, v0
	s_cbranch_execz .LBB115_99
; %bb.96:
	v_mov_b32_e32 v1, 0
	v_mov_b32_e32 v3, 0
	v_add_nc_u32_e32 v7, -1, v0
	v_add_nc_u32_e32 v8, 0x340, v115
	v_mov_b32_e32 v2, 0
	v_mov_b32_e32 v4, 0
	v_add_nc_u32_e32 v113, 16, v115
	s_mov_b32 s5, 0
	.p2align	6
.LBB115_97:                             ; =>This Inner Loop Header: Depth=1
	s_clause 0x3
	buffer_load_dword v120, v113, s[0:3], 0 offen offset:8
	buffer_load_dword v121, v113, s[0:3], 0 offen offset:12
	buffer_load_dword v122, v113, s[0:3], 0 offen
	buffer_load_dword v123, v113, s[0:3], 0 offen offset:4
	ds_read_b128 v[116:119], v8
	v_add_nc_u32_e32 v7, 1, v7
	v_add_nc_u32_e32 v8, 16, v8
	;; [unrolled: 1-line block ×3, first 2 shown]
	v_cmp_lt_u32_e32 vcc_lo, 19, v7
	s_or_b32 s5, vcc_lo, s5
	s_waitcnt vmcnt(2) lgkmcnt(0)
	v_mul_f64 v[124:125], v[118:119], v[120:121]
	v_mul_f64 v[120:121], v[116:117], v[120:121]
	s_waitcnt vmcnt(0)
	v_fma_f64 v[116:117], v[116:117], v[122:123], -v[124:125]
	v_fma_f64 v[118:119], v[118:119], v[122:123], v[120:121]
	v_add_f64 v[3:4], v[3:4], v[116:117]
	v_add_f64 v[1:2], v[1:2], v[118:119]
	s_andn2_b32 exec_lo, exec_lo, s5
	s_cbranch_execnz .LBB115_97
; %bb.98:
	s_or_b32 exec_lo, exec_lo, s5
	v_mov_b32_e32 v7, 0
	ds_read_b128 v[116:119], v7 offset:336
	s_waitcnt lgkmcnt(0)
	v_mul_f64 v[7:8], v[1:2], v[118:119]
	v_mul_f64 v[113:114], v[3:4], v[118:119]
	v_fma_f64 v[3:4], v[3:4], v[116:117], -v[7:8]
	v_fma_f64 v[1:2], v[1:2], v[116:117], v[113:114]
	buffer_store_dword v4, off, s[0:3], 0 offset:356
	buffer_store_dword v3, off, s[0:3], 0 offset:352
	;; [unrolled: 1-line block ×4, first 2 shown]
.LBB115_99:
	s_or_b32 exec_lo, exec_lo, s4
	v_mov_b32_e32 v4, s42
	s_waitcnt_vscnt null, 0x0
	s_barrier
	buffer_gl0_inv
	s_mov_b32 s4, exec_lo
	s_clause 0x3
	buffer_load_dword v1, v4, s[0:3], 0 offen
	buffer_load_dword v2, v4, s[0:3], 0 offen offset:4
	buffer_load_dword v3, v4, s[0:3], 0 offen offset:8
	;; [unrolled: 1-line block ×3, first 2 shown]
	s_waitcnt vmcnt(0)
	ds_write_b128 v5, v[1:4]
	s_waitcnt lgkmcnt(0)
	s_barrier
	buffer_gl0_inv
	v_cmpx_gt_u32_e32 22, v0
	s_cbranch_execz .LBB115_103
; %bb.100:
	v_mov_b32_e32 v1, 0
	v_mov_b32_e32 v3, 0
	v_add_nc_u32_e32 v7, -1, v0
	v_add_nc_u32_e32 v8, 0x340, v115
	v_mov_b32_e32 v2, 0
	v_mov_b32_e32 v4, 0
	v_add_nc_u32_e32 v113, 16, v115
	s_mov_b32 s5, 0
	.p2align	6
.LBB115_101:                            ; =>This Inner Loop Header: Depth=1
	s_clause 0x3
	buffer_load_dword v120, v113, s[0:3], 0 offen offset:8
	buffer_load_dword v121, v113, s[0:3], 0 offen offset:12
	buffer_load_dword v122, v113, s[0:3], 0 offen
	buffer_load_dword v123, v113, s[0:3], 0 offen offset:4
	ds_read_b128 v[116:119], v8
	v_add_nc_u32_e32 v7, 1, v7
	v_add_nc_u32_e32 v8, 16, v8
	;; [unrolled: 1-line block ×3, first 2 shown]
	v_cmp_lt_u32_e32 vcc_lo, 20, v7
	s_or_b32 s5, vcc_lo, s5
	s_waitcnt vmcnt(2) lgkmcnt(0)
	v_mul_f64 v[124:125], v[118:119], v[120:121]
	v_mul_f64 v[120:121], v[116:117], v[120:121]
	s_waitcnt vmcnt(0)
	v_fma_f64 v[116:117], v[116:117], v[122:123], -v[124:125]
	v_fma_f64 v[118:119], v[118:119], v[122:123], v[120:121]
	v_add_f64 v[3:4], v[3:4], v[116:117]
	v_add_f64 v[1:2], v[1:2], v[118:119]
	s_andn2_b32 exec_lo, exec_lo, s5
	s_cbranch_execnz .LBB115_101
; %bb.102:
	s_or_b32 exec_lo, exec_lo, s5
	v_mov_b32_e32 v7, 0
	ds_read_b128 v[116:119], v7 offset:352
	s_waitcnt lgkmcnt(0)
	v_mul_f64 v[7:8], v[1:2], v[118:119]
	v_mul_f64 v[113:114], v[3:4], v[118:119]
	v_fma_f64 v[3:4], v[3:4], v[116:117], -v[7:8]
	v_fma_f64 v[1:2], v[1:2], v[116:117], v[113:114]
	buffer_store_dword v4, off, s[0:3], 0 offset:372
	buffer_store_dword v3, off, s[0:3], 0 offset:368
	;; [unrolled: 1-line block ×4, first 2 shown]
.LBB115_103:
	s_or_b32 exec_lo, exec_lo, s4
	v_mov_b32_e32 v4, s41
	s_waitcnt_vscnt null, 0x0
	s_barrier
	buffer_gl0_inv
	s_mov_b32 s4, exec_lo
	s_clause 0x3
	buffer_load_dword v1, v4, s[0:3], 0 offen
	buffer_load_dword v2, v4, s[0:3], 0 offen offset:4
	buffer_load_dword v3, v4, s[0:3], 0 offen offset:8
	;; [unrolled: 1-line block ×3, first 2 shown]
	s_waitcnt vmcnt(0)
	ds_write_b128 v5, v[1:4]
	s_waitcnt lgkmcnt(0)
	s_barrier
	buffer_gl0_inv
	v_cmpx_gt_u32_e32 23, v0
	s_cbranch_execz .LBB115_107
; %bb.104:
	v_mov_b32_e32 v1, 0
	v_mov_b32_e32 v3, 0
	v_add_nc_u32_e32 v7, -1, v0
	v_add_nc_u32_e32 v8, 0x340, v115
	v_mov_b32_e32 v2, 0
	v_mov_b32_e32 v4, 0
	v_add_nc_u32_e32 v113, 16, v115
	s_mov_b32 s5, 0
	.p2align	6
.LBB115_105:                            ; =>This Inner Loop Header: Depth=1
	s_clause 0x3
	buffer_load_dword v120, v113, s[0:3], 0 offen offset:8
	buffer_load_dword v121, v113, s[0:3], 0 offen offset:12
	buffer_load_dword v122, v113, s[0:3], 0 offen
	buffer_load_dword v123, v113, s[0:3], 0 offen offset:4
	ds_read_b128 v[116:119], v8
	v_add_nc_u32_e32 v7, 1, v7
	v_add_nc_u32_e32 v8, 16, v8
	;; [unrolled: 1-line block ×3, first 2 shown]
	v_cmp_lt_u32_e32 vcc_lo, 21, v7
	s_or_b32 s5, vcc_lo, s5
	s_waitcnt vmcnt(2) lgkmcnt(0)
	v_mul_f64 v[124:125], v[118:119], v[120:121]
	v_mul_f64 v[120:121], v[116:117], v[120:121]
	s_waitcnt vmcnt(0)
	v_fma_f64 v[116:117], v[116:117], v[122:123], -v[124:125]
	v_fma_f64 v[118:119], v[118:119], v[122:123], v[120:121]
	v_add_f64 v[3:4], v[3:4], v[116:117]
	v_add_f64 v[1:2], v[1:2], v[118:119]
	s_andn2_b32 exec_lo, exec_lo, s5
	s_cbranch_execnz .LBB115_105
; %bb.106:
	s_or_b32 exec_lo, exec_lo, s5
	v_mov_b32_e32 v7, 0
	ds_read_b128 v[116:119], v7 offset:368
	s_waitcnt lgkmcnt(0)
	v_mul_f64 v[7:8], v[1:2], v[118:119]
	v_mul_f64 v[113:114], v[3:4], v[118:119]
	v_fma_f64 v[3:4], v[3:4], v[116:117], -v[7:8]
	v_fma_f64 v[1:2], v[1:2], v[116:117], v[113:114]
	buffer_store_dword v4, off, s[0:3], 0 offset:388
	buffer_store_dword v3, off, s[0:3], 0 offset:384
	;; [unrolled: 1-line block ×4, first 2 shown]
.LBB115_107:
	s_or_b32 exec_lo, exec_lo, s4
	v_mov_b32_e32 v4, s40
	s_waitcnt_vscnt null, 0x0
	s_barrier
	buffer_gl0_inv
	s_mov_b32 s4, exec_lo
	s_clause 0x3
	buffer_load_dword v1, v4, s[0:3], 0 offen
	buffer_load_dword v2, v4, s[0:3], 0 offen offset:4
	buffer_load_dword v3, v4, s[0:3], 0 offen offset:8
	;; [unrolled: 1-line block ×3, first 2 shown]
	s_waitcnt vmcnt(0)
	ds_write_b128 v5, v[1:4]
	s_waitcnt lgkmcnt(0)
	s_barrier
	buffer_gl0_inv
	v_cmpx_gt_u32_e32 24, v0
	s_cbranch_execz .LBB115_111
; %bb.108:
	v_mov_b32_e32 v1, 0
	v_mov_b32_e32 v3, 0
	v_add_nc_u32_e32 v7, -1, v0
	v_add_nc_u32_e32 v8, 0x340, v115
	v_mov_b32_e32 v2, 0
	v_mov_b32_e32 v4, 0
	v_add_nc_u32_e32 v113, 16, v115
	s_mov_b32 s5, 0
	.p2align	6
.LBB115_109:                            ; =>This Inner Loop Header: Depth=1
	s_clause 0x3
	buffer_load_dword v120, v113, s[0:3], 0 offen offset:8
	buffer_load_dword v121, v113, s[0:3], 0 offen offset:12
	buffer_load_dword v122, v113, s[0:3], 0 offen
	buffer_load_dword v123, v113, s[0:3], 0 offen offset:4
	ds_read_b128 v[116:119], v8
	v_add_nc_u32_e32 v7, 1, v7
	v_add_nc_u32_e32 v8, 16, v8
	;; [unrolled: 1-line block ×3, first 2 shown]
	v_cmp_lt_u32_e32 vcc_lo, 22, v7
	s_or_b32 s5, vcc_lo, s5
	s_waitcnt vmcnt(2) lgkmcnt(0)
	v_mul_f64 v[124:125], v[118:119], v[120:121]
	v_mul_f64 v[120:121], v[116:117], v[120:121]
	s_waitcnt vmcnt(0)
	v_fma_f64 v[116:117], v[116:117], v[122:123], -v[124:125]
	v_fma_f64 v[118:119], v[118:119], v[122:123], v[120:121]
	v_add_f64 v[3:4], v[3:4], v[116:117]
	v_add_f64 v[1:2], v[1:2], v[118:119]
	s_andn2_b32 exec_lo, exec_lo, s5
	s_cbranch_execnz .LBB115_109
; %bb.110:
	s_or_b32 exec_lo, exec_lo, s5
	v_mov_b32_e32 v7, 0
	ds_read_b128 v[116:119], v7 offset:384
	s_waitcnt lgkmcnt(0)
	v_mul_f64 v[7:8], v[1:2], v[118:119]
	v_mul_f64 v[113:114], v[3:4], v[118:119]
	v_fma_f64 v[3:4], v[3:4], v[116:117], -v[7:8]
	v_fma_f64 v[1:2], v[1:2], v[116:117], v[113:114]
	buffer_store_dword v4, off, s[0:3], 0 offset:404
	buffer_store_dword v3, off, s[0:3], 0 offset:400
	;; [unrolled: 1-line block ×4, first 2 shown]
.LBB115_111:
	s_or_b32 exec_lo, exec_lo, s4
	v_mov_b32_e32 v4, s39
	s_waitcnt_vscnt null, 0x0
	s_barrier
	buffer_gl0_inv
	s_mov_b32 s4, exec_lo
	s_clause 0x3
	buffer_load_dword v1, v4, s[0:3], 0 offen
	buffer_load_dword v2, v4, s[0:3], 0 offen offset:4
	buffer_load_dword v3, v4, s[0:3], 0 offen offset:8
	;; [unrolled: 1-line block ×3, first 2 shown]
	s_waitcnt vmcnt(0)
	ds_write_b128 v5, v[1:4]
	s_waitcnt lgkmcnt(0)
	s_barrier
	buffer_gl0_inv
	v_cmpx_gt_u32_e32 25, v0
	s_cbranch_execz .LBB115_115
; %bb.112:
	v_mov_b32_e32 v1, 0
	v_mov_b32_e32 v3, 0
	v_add_nc_u32_e32 v7, -1, v0
	v_add_nc_u32_e32 v8, 0x340, v115
	v_mov_b32_e32 v2, 0
	v_mov_b32_e32 v4, 0
	v_add_nc_u32_e32 v113, 16, v115
	s_mov_b32 s5, 0
	.p2align	6
.LBB115_113:                            ; =>This Inner Loop Header: Depth=1
	s_clause 0x3
	buffer_load_dword v120, v113, s[0:3], 0 offen offset:8
	buffer_load_dword v121, v113, s[0:3], 0 offen offset:12
	buffer_load_dword v122, v113, s[0:3], 0 offen
	buffer_load_dword v123, v113, s[0:3], 0 offen offset:4
	ds_read_b128 v[116:119], v8
	v_add_nc_u32_e32 v7, 1, v7
	v_add_nc_u32_e32 v8, 16, v8
	;; [unrolled: 1-line block ×3, first 2 shown]
	v_cmp_lt_u32_e32 vcc_lo, 23, v7
	s_or_b32 s5, vcc_lo, s5
	s_waitcnt vmcnt(2) lgkmcnt(0)
	v_mul_f64 v[124:125], v[118:119], v[120:121]
	v_mul_f64 v[120:121], v[116:117], v[120:121]
	s_waitcnt vmcnt(0)
	v_fma_f64 v[116:117], v[116:117], v[122:123], -v[124:125]
	v_fma_f64 v[118:119], v[118:119], v[122:123], v[120:121]
	v_add_f64 v[3:4], v[3:4], v[116:117]
	v_add_f64 v[1:2], v[1:2], v[118:119]
	s_andn2_b32 exec_lo, exec_lo, s5
	s_cbranch_execnz .LBB115_113
; %bb.114:
	s_or_b32 exec_lo, exec_lo, s5
	v_mov_b32_e32 v7, 0
	ds_read_b128 v[116:119], v7 offset:400
	s_waitcnt lgkmcnt(0)
	v_mul_f64 v[7:8], v[1:2], v[118:119]
	v_mul_f64 v[113:114], v[3:4], v[118:119]
	v_fma_f64 v[3:4], v[3:4], v[116:117], -v[7:8]
	v_fma_f64 v[1:2], v[1:2], v[116:117], v[113:114]
	buffer_store_dword v4, off, s[0:3], 0 offset:420
	buffer_store_dword v3, off, s[0:3], 0 offset:416
	;; [unrolled: 1-line block ×4, first 2 shown]
.LBB115_115:
	s_or_b32 exec_lo, exec_lo, s4
	v_mov_b32_e32 v4, s38
	s_waitcnt_vscnt null, 0x0
	s_barrier
	buffer_gl0_inv
	s_mov_b32 s4, exec_lo
	s_clause 0x3
	buffer_load_dword v1, v4, s[0:3], 0 offen
	buffer_load_dword v2, v4, s[0:3], 0 offen offset:4
	buffer_load_dword v3, v4, s[0:3], 0 offen offset:8
	;; [unrolled: 1-line block ×3, first 2 shown]
	s_waitcnt vmcnt(0)
	ds_write_b128 v5, v[1:4]
	s_waitcnt lgkmcnt(0)
	s_barrier
	buffer_gl0_inv
	v_cmpx_gt_u32_e32 26, v0
	s_cbranch_execz .LBB115_119
; %bb.116:
	v_mov_b32_e32 v1, 0
	v_mov_b32_e32 v3, 0
	v_add_nc_u32_e32 v7, -1, v0
	v_add_nc_u32_e32 v8, 0x340, v115
	v_mov_b32_e32 v2, 0
	v_mov_b32_e32 v4, 0
	v_add_nc_u32_e32 v113, 16, v115
	s_mov_b32 s5, 0
	.p2align	6
.LBB115_117:                            ; =>This Inner Loop Header: Depth=1
	s_clause 0x3
	buffer_load_dword v120, v113, s[0:3], 0 offen offset:8
	buffer_load_dword v121, v113, s[0:3], 0 offen offset:12
	buffer_load_dword v122, v113, s[0:3], 0 offen
	buffer_load_dword v123, v113, s[0:3], 0 offen offset:4
	ds_read_b128 v[116:119], v8
	v_add_nc_u32_e32 v7, 1, v7
	v_add_nc_u32_e32 v8, 16, v8
	;; [unrolled: 1-line block ×3, first 2 shown]
	v_cmp_lt_u32_e32 vcc_lo, 24, v7
	s_or_b32 s5, vcc_lo, s5
	s_waitcnt vmcnt(2) lgkmcnt(0)
	v_mul_f64 v[124:125], v[118:119], v[120:121]
	v_mul_f64 v[120:121], v[116:117], v[120:121]
	s_waitcnt vmcnt(0)
	v_fma_f64 v[116:117], v[116:117], v[122:123], -v[124:125]
	v_fma_f64 v[118:119], v[118:119], v[122:123], v[120:121]
	v_add_f64 v[3:4], v[3:4], v[116:117]
	v_add_f64 v[1:2], v[1:2], v[118:119]
	s_andn2_b32 exec_lo, exec_lo, s5
	s_cbranch_execnz .LBB115_117
; %bb.118:
	s_or_b32 exec_lo, exec_lo, s5
	v_mov_b32_e32 v7, 0
	ds_read_b128 v[116:119], v7 offset:416
	s_waitcnt lgkmcnt(0)
	v_mul_f64 v[7:8], v[1:2], v[118:119]
	v_mul_f64 v[113:114], v[3:4], v[118:119]
	v_fma_f64 v[3:4], v[3:4], v[116:117], -v[7:8]
	v_fma_f64 v[1:2], v[1:2], v[116:117], v[113:114]
	buffer_store_dword v4, off, s[0:3], 0 offset:436
	buffer_store_dword v3, off, s[0:3], 0 offset:432
	;; [unrolled: 1-line block ×4, first 2 shown]
.LBB115_119:
	s_or_b32 exec_lo, exec_lo, s4
	v_mov_b32_e32 v4, s37
	s_waitcnt_vscnt null, 0x0
	s_barrier
	buffer_gl0_inv
	s_mov_b32 s4, exec_lo
	s_clause 0x3
	buffer_load_dword v1, v4, s[0:3], 0 offen
	buffer_load_dword v2, v4, s[0:3], 0 offen offset:4
	buffer_load_dword v3, v4, s[0:3], 0 offen offset:8
	;; [unrolled: 1-line block ×3, first 2 shown]
	s_waitcnt vmcnt(0)
	ds_write_b128 v5, v[1:4]
	s_waitcnt lgkmcnt(0)
	s_barrier
	buffer_gl0_inv
	v_cmpx_gt_u32_e32 27, v0
	s_cbranch_execz .LBB115_123
; %bb.120:
	v_mov_b32_e32 v1, 0
	v_mov_b32_e32 v3, 0
	v_add_nc_u32_e32 v7, -1, v0
	v_add_nc_u32_e32 v8, 0x340, v115
	v_mov_b32_e32 v2, 0
	v_mov_b32_e32 v4, 0
	v_add_nc_u32_e32 v113, 16, v115
	s_mov_b32 s5, 0
	.p2align	6
.LBB115_121:                            ; =>This Inner Loop Header: Depth=1
	s_clause 0x3
	buffer_load_dword v120, v113, s[0:3], 0 offen offset:8
	buffer_load_dword v121, v113, s[0:3], 0 offen offset:12
	buffer_load_dword v122, v113, s[0:3], 0 offen
	buffer_load_dword v123, v113, s[0:3], 0 offen offset:4
	ds_read_b128 v[116:119], v8
	v_add_nc_u32_e32 v7, 1, v7
	v_add_nc_u32_e32 v8, 16, v8
	;; [unrolled: 1-line block ×3, first 2 shown]
	v_cmp_lt_u32_e32 vcc_lo, 25, v7
	s_or_b32 s5, vcc_lo, s5
	s_waitcnt vmcnt(2) lgkmcnt(0)
	v_mul_f64 v[124:125], v[118:119], v[120:121]
	v_mul_f64 v[120:121], v[116:117], v[120:121]
	s_waitcnt vmcnt(0)
	v_fma_f64 v[116:117], v[116:117], v[122:123], -v[124:125]
	v_fma_f64 v[118:119], v[118:119], v[122:123], v[120:121]
	v_add_f64 v[3:4], v[3:4], v[116:117]
	v_add_f64 v[1:2], v[1:2], v[118:119]
	s_andn2_b32 exec_lo, exec_lo, s5
	s_cbranch_execnz .LBB115_121
; %bb.122:
	s_or_b32 exec_lo, exec_lo, s5
	v_mov_b32_e32 v7, 0
	ds_read_b128 v[116:119], v7 offset:432
	s_waitcnt lgkmcnt(0)
	v_mul_f64 v[7:8], v[1:2], v[118:119]
	v_mul_f64 v[113:114], v[3:4], v[118:119]
	v_fma_f64 v[3:4], v[3:4], v[116:117], -v[7:8]
	v_fma_f64 v[1:2], v[1:2], v[116:117], v[113:114]
	buffer_store_dword v4, off, s[0:3], 0 offset:452
	buffer_store_dword v3, off, s[0:3], 0 offset:448
	;; [unrolled: 1-line block ×4, first 2 shown]
.LBB115_123:
	s_or_b32 exec_lo, exec_lo, s4
	v_mov_b32_e32 v4, s36
	s_waitcnt_vscnt null, 0x0
	s_barrier
	buffer_gl0_inv
	s_mov_b32 s4, exec_lo
	s_clause 0x3
	buffer_load_dword v1, v4, s[0:3], 0 offen
	buffer_load_dword v2, v4, s[0:3], 0 offen offset:4
	buffer_load_dword v3, v4, s[0:3], 0 offen offset:8
	;; [unrolled: 1-line block ×3, first 2 shown]
	s_waitcnt vmcnt(0)
	ds_write_b128 v5, v[1:4]
	s_waitcnt lgkmcnt(0)
	s_barrier
	buffer_gl0_inv
	v_cmpx_gt_u32_e32 28, v0
	s_cbranch_execz .LBB115_127
; %bb.124:
	v_mov_b32_e32 v1, 0
	v_mov_b32_e32 v3, 0
	v_add_nc_u32_e32 v7, -1, v0
	v_add_nc_u32_e32 v8, 0x340, v115
	v_mov_b32_e32 v2, 0
	v_mov_b32_e32 v4, 0
	v_add_nc_u32_e32 v113, 16, v115
	s_mov_b32 s5, 0
	.p2align	6
.LBB115_125:                            ; =>This Inner Loop Header: Depth=1
	s_clause 0x3
	buffer_load_dword v120, v113, s[0:3], 0 offen offset:8
	buffer_load_dword v121, v113, s[0:3], 0 offen offset:12
	buffer_load_dword v122, v113, s[0:3], 0 offen
	buffer_load_dword v123, v113, s[0:3], 0 offen offset:4
	ds_read_b128 v[116:119], v8
	v_add_nc_u32_e32 v7, 1, v7
	v_add_nc_u32_e32 v8, 16, v8
	;; [unrolled: 1-line block ×3, first 2 shown]
	v_cmp_lt_u32_e32 vcc_lo, 26, v7
	s_or_b32 s5, vcc_lo, s5
	s_waitcnt vmcnt(2) lgkmcnt(0)
	v_mul_f64 v[124:125], v[118:119], v[120:121]
	v_mul_f64 v[120:121], v[116:117], v[120:121]
	s_waitcnt vmcnt(0)
	v_fma_f64 v[116:117], v[116:117], v[122:123], -v[124:125]
	v_fma_f64 v[118:119], v[118:119], v[122:123], v[120:121]
	v_add_f64 v[3:4], v[3:4], v[116:117]
	v_add_f64 v[1:2], v[1:2], v[118:119]
	s_andn2_b32 exec_lo, exec_lo, s5
	s_cbranch_execnz .LBB115_125
; %bb.126:
	s_or_b32 exec_lo, exec_lo, s5
	v_mov_b32_e32 v7, 0
	ds_read_b128 v[116:119], v7 offset:448
	s_waitcnt lgkmcnt(0)
	v_mul_f64 v[7:8], v[1:2], v[118:119]
	v_mul_f64 v[113:114], v[3:4], v[118:119]
	v_fma_f64 v[3:4], v[3:4], v[116:117], -v[7:8]
	v_fma_f64 v[1:2], v[1:2], v[116:117], v[113:114]
	buffer_store_dword v4, off, s[0:3], 0 offset:468
	buffer_store_dword v3, off, s[0:3], 0 offset:464
	;; [unrolled: 1-line block ×4, first 2 shown]
.LBB115_127:
	s_or_b32 exec_lo, exec_lo, s4
	v_mov_b32_e32 v4, s35
	s_waitcnt_vscnt null, 0x0
	s_barrier
	buffer_gl0_inv
	s_mov_b32 s4, exec_lo
	s_clause 0x3
	buffer_load_dword v1, v4, s[0:3], 0 offen
	buffer_load_dword v2, v4, s[0:3], 0 offen offset:4
	buffer_load_dword v3, v4, s[0:3], 0 offen offset:8
	;; [unrolled: 1-line block ×3, first 2 shown]
	s_waitcnt vmcnt(0)
	ds_write_b128 v5, v[1:4]
	s_waitcnt lgkmcnt(0)
	s_barrier
	buffer_gl0_inv
	v_cmpx_gt_u32_e32 29, v0
	s_cbranch_execz .LBB115_131
; %bb.128:
	v_mov_b32_e32 v1, 0
	v_mov_b32_e32 v3, 0
	v_add_nc_u32_e32 v7, -1, v0
	v_add_nc_u32_e32 v8, 0x340, v115
	v_mov_b32_e32 v2, 0
	v_mov_b32_e32 v4, 0
	v_add_nc_u32_e32 v113, 16, v115
	s_mov_b32 s5, 0
	.p2align	6
.LBB115_129:                            ; =>This Inner Loop Header: Depth=1
	s_clause 0x3
	buffer_load_dword v120, v113, s[0:3], 0 offen offset:8
	buffer_load_dword v121, v113, s[0:3], 0 offen offset:12
	buffer_load_dword v122, v113, s[0:3], 0 offen
	buffer_load_dword v123, v113, s[0:3], 0 offen offset:4
	ds_read_b128 v[116:119], v8
	v_add_nc_u32_e32 v7, 1, v7
	v_add_nc_u32_e32 v8, 16, v8
	v_add_nc_u32_e32 v113, 16, v113
	v_cmp_lt_u32_e32 vcc_lo, 27, v7
	s_or_b32 s5, vcc_lo, s5
	s_waitcnt vmcnt(2) lgkmcnt(0)
	v_mul_f64 v[124:125], v[118:119], v[120:121]
	v_mul_f64 v[120:121], v[116:117], v[120:121]
	s_waitcnt vmcnt(0)
	v_fma_f64 v[116:117], v[116:117], v[122:123], -v[124:125]
	v_fma_f64 v[118:119], v[118:119], v[122:123], v[120:121]
	v_add_f64 v[3:4], v[3:4], v[116:117]
	v_add_f64 v[1:2], v[1:2], v[118:119]
	s_andn2_b32 exec_lo, exec_lo, s5
	s_cbranch_execnz .LBB115_129
; %bb.130:
	s_or_b32 exec_lo, exec_lo, s5
	v_mov_b32_e32 v7, 0
	ds_read_b128 v[116:119], v7 offset:464
	s_waitcnt lgkmcnt(0)
	v_mul_f64 v[7:8], v[1:2], v[118:119]
	v_mul_f64 v[113:114], v[3:4], v[118:119]
	v_fma_f64 v[3:4], v[3:4], v[116:117], -v[7:8]
	v_fma_f64 v[1:2], v[1:2], v[116:117], v[113:114]
	buffer_store_dword v4, off, s[0:3], 0 offset:484
	buffer_store_dword v3, off, s[0:3], 0 offset:480
	;; [unrolled: 1-line block ×4, first 2 shown]
.LBB115_131:
	s_or_b32 exec_lo, exec_lo, s4
	v_mov_b32_e32 v4, s34
	s_waitcnt_vscnt null, 0x0
	s_barrier
	buffer_gl0_inv
	s_mov_b32 s4, exec_lo
	s_clause 0x3
	buffer_load_dword v1, v4, s[0:3], 0 offen
	buffer_load_dword v2, v4, s[0:3], 0 offen offset:4
	buffer_load_dword v3, v4, s[0:3], 0 offen offset:8
	;; [unrolled: 1-line block ×3, first 2 shown]
	s_waitcnt vmcnt(0)
	ds_write_b128 v5, v[1:4]
	s_waitcnt lgkmcnt(0)
	s_barrier
	buffer_gl0_inv
	v_cmpx_gt_u32_e32 30, v0
	s_cbranch_execz .LBB115_135
; %bb.132:
	v_mov_b32_e32 v1, 0
	v_mov_b32_e32 v3, 0
	v_add_nc_u32_e32 v7, -1, v0
	v_add_nc_u32_e32 v8, 0x340, v115
	v_mov_b32_e32 v2, 0
	v_mov_b32_e32 v4, 0
	v_add_nc_u32_e32 v113, 16, v115
	s_mov_b32 s5, 0
	.p2align	6
.LBB115_133:                            ; =>This Inner Loop Header: Depth=1
	s_clause 0x3
	buffer_load_dword v120, v113, s[0:3], 0 offen offset:8
	buffer_load_dword v121, v113, s[0:3], 0 offen offset:12
	buffer_load_dword v122, v113, s[0:3], 0 offen
	buffer_load_dword v123, v113, s[0:3], 0 offen offset:4
	ds_read_b128 v[116:119], v8
	v_add_nc_u32_e32 v7, 1, v7
	v_add_nc_u32_e32 v8, 16, v8
	;; [unrolled: 1-line block ×3, first 2 shown]
	v_cmp_lt_u32_e32 vcc_lo, 28, v7
	s_or_b32 s5, vcc_lo, s5
	s_waitcnt vmcnt(2) lgkmcnt(0)
	v_mul_f64 v[124:125], v[118:119], v[120:121]
	v_mul_f64 v[120:121], v[116:117], v[120:121]
	s_waitcnt vmcnt(0)
	v_fma_f64 v[116:117], v[116:117], v[122:123], -v[124:125]
	v_fma_f64 v[118:119], v[118:119], v[122:123], v[120:121]
	v_add_f64 v[3:4], v[3:4], v[116:117]
	v_add_f64 v[1:2], v[1:2], v[118:119]
	s_andn2_b32 exec_lo, exec_lo, s5
	s_cbranch_execnz .LBB115_133
; %bb.134:
	s_or_b32 exec_lo, exec_lo, s5
	v_mov_b32_e32 v7, 0
	ds_read_b128 v[116:119], v7 offset:480
	s_waitcnt lgkmcnt(0)
	v_mul_f64 v[7:8], v[1:2], v[118:119]
	v_mul_f64 v[113:114], v[3:4], v[118:119]
	v_fma_f64 v[3:4], v[3:4], v[116:117], -v[7:8]
	v_fma_f64 v[1:2], v[1:2], v[116:117], v[113:114]
	buffer_store_dword v4, off, s[0:3], 0 offset:500
	buffer_store_dword v3, off, s[0:3], 0 offset:496
	;; [unrolled: 1-line block ×4, first 2 shown]
.LBB115_135:
	s_or_b32 exec_lo, exec_lo, s4
	v_mov_b32_e32 v4, s33
	s_waitcnt_vscnt null, 0x0
	s_barrier
	buffer_gl0_inv
	s_mov_b32 s4, exec_lo
	s_clause 0x3
	buffer_load_dword v1, v4, s[0:3], 0 offen
	buffer_load_dword v2, v4, s[0:3], 0 offen offset:4
	buffer_load_dword v3, v4, s[0:3], 0 offen offset:8
	;; [unrolled: 1-line block ×3, first 2 shown]
	s_waitcnt vmcnt(0)
	ds_write_b128 v5, v[1:4]
	s_waitcnt lgkmcnt(0)
	s_barrier
	buffer_gl0_inv
	v_cmpx_gt_u32_e32 31, v0
	s_cbranch_execz .LBB115_139
; %bb.136:
	v_mov_b32_e32 v1, 0
	v_mov_b32_e32 v3, 0
	v_add_nc_u32_e32 v7, -1, v0
	v_add_nc_u32_e32 v8, 0x340, v115
	v_mov_b32_e32 v2, 0
	v_mov_b32_e32 v4, 0
	v_add_nc_u32_e32 v113, 16, v115
	s_mov_b32 s5, 0
	.p2align	6
.LBB115_137:                            ; =>This Inner Loop Header: Depth=1
	s_clause 0x3
	buffer_load_dword v120, v113, s[0:3], 0 offen offset:8
	buffer_load_dword v121, v113, s[0:3], 0 offen offset:12
	buffer_load_dword v122, v113, s[0:3], 0 offen
	buffer_load_dword v123, v113, s[0:3], 0 offen offset:4
	ds_read_b128 v[116:119], v8
	v_add_nc_u32_e32 v7, 1, v7
	v_add_nc_u32_e32 v8, 16, v8
	;; [unrolled: 1-line block ×3, first 2 shown]
	v_cmp_lt_u32_e32 vcc_lo, 29, v7
	s_or_b32 s5, vcc_lo, s5
	s_waitcnt vmcnt(2) lgkmcnt(0)
	v_mul_f64 v[124:125], v[118:119], v[120:121]
	v_mul_f64 v[120:121], v[116:117], v[120:121]
	s_waitcnt vmcnt(0)
	v_fma_f64 v[116:117], v[116:117], v[122:123], -v[124:125]
	v_fma_f64 v[118:119], v[118:119], v[122:123], v[120:121]
	v_add_f64 v[3:4], v[3:4], v[116:117]
	v_add_f64 v[1:2], v[1:2], v[118:119]
	s_andn2_b32 exec_lo, exec_lo, s5
	s_cbranch_execnz .LBB115_137
; %bb.138:
	s_or_b32 exec_lo, exec_lo, s5
	v_mov_b32_e32 v7, 0
	ds_read_b128 v[116:119], v7 offset:496
	s_waitcnt lgkmcnt(0)
	v_mul_f64 v[7:8], v[1:2], v[118:119]
	v_mul_f64 v[113:114], v[3:4], v[118:119]
	v_fma_f64 v[3:4], v[3:4], v[116:117], -v[7:8]
	v_fma_f64 v[1:2], v[1:2], v[116:117], v[113:114]
	buffer_store_dword v4, off, s[0:3], 0 offset:516
	buffer_store_dword v3, off, s[0:3], 0 offset:512
	;; [unrolled: 1-line block ×4, first 2 shown]
.LBB115_139:
	s_or_b32 exec_lo, exec_lo, s4
	v_mov_b32_e32 v4, s31
	s_waitcnt_vscnt null, 0x0
	s_barrier
	buffer_gl0_inv
	s_mov_b32 s4, exec_lo
	s_clause 0x3
	buffer_load_dword v1, v4, s[0:3], 0 offen
	buffer_load_dword v2, v4, s[0:3], 0 offen offset:4
	buffer_load_dword v3, v4, s[0:3], 0 offen offset:8
	;; [unrolled: 1-line block ×3, first 2 shown]
	s_waitcnt vmcnt(0)
	ds_write_b128 v5, v[1:4]
	s_waitcnt lgkmcnt(0)
	s_barrier
	buffer_gl0_inv
	v_cmpx_gt_u32_e32 32, v0
	s_cbranch_execz .LBB115_143
; %bb.140:
	v_mov_b32_e32 v1, 0
	v_mov_b32_e32 v3, 0
	v_add_nc_u32_e32 v7, -1, v0
	v_add_nc_u32_e32 v8, 0x340, v115
	v_mov_b32_e32 v2, 0
	v_mov_b32_e32 v4, 0
	v_add_nc_u32_e32 v113, 16, v115
	s_mov_b32 s5, 0
	.p2align	6
.LBB115_141:                            ; =>This Inner Loop Header: Depth=1
	s_clause 0x3
	buffer_load_dword v120, v113, s[0:3], 0 offen offset:8
	buffer_load_dword v121, v113, s[0:3], 0 offen offset:12
	buffer_load_dword v122, v113, s[0:3], 0 offen
	buffer_load_dword v123, v113, s[0:3], 0 offen offset:4
	ds_read_b128 v[116:119], v8
	v_add_nc_u32_e32 v7, 1, v7
	v_add_nc_u32_e32 v8, 16, v8
	;; [unrolled: 1-line block ×3, first 2 shown]
	v_cmp_lt_u32_e32 vcc_lo, 30, v7
	s_or_b32 s5, vcc_lo, s5
	s_waitcnt vmcnt(2) lgkmcnt(0)
	v_mul_f64 v[124:125], v[118:119], v[120:121]
	v_mul_f64 v[120:121], v[116:117], v[120:121]
	s_waitcnt vmcnt(0)
	v_fma_f64 v[116:117], v[116:117], v[122:123], -v[124:125]
	v_fma_f64 v[118:119], v[118:119], v[122:123], v[120:121]
	v_add_f64 v[3:4], v[3:4], v[116:117]
	v_add_f64 v[1:2], v[1:2], v[118:119]
	s_andn2_b32 exec_lo, exec_lo, s5
	s_cbranch_execnz .LBB115_141
; %bb.142:
	s_or_b32 exec_lo, exec_lo, s5
	v_mov_b32_e32 v7, 0
	ds_read_b128 v[116:119], v7 offset:512
	s_waitcnt lgkmcnt(0)
	v_mul_f64 v[7:8], v[1:2], v[118:119]
	v_mul_f64 v[113:114], v[3:4], v[118:119]
	v_fma_f64 v[3:4], v[3:4], v[116:117], -v[7:8]
	v_fma_f64 v[1:2], v[1:2], v[116:117], v[113:114]
	buffer_store_dword v4, off, s[0:3], 0 offset:532
	buffer_store_dword v3, off, s[0:3], 0 offset:528
	;; [unrolled: 1-line block ×4, first 2 shown]
.LBB115_143:
	s_or_b32 exec_lo, exec_lo, s4
	v_mov_b32_e32 v4, s30
	s_waitcnt_vscnt null, 0x0
	s_barrier
	buffer_gl0_inv
	s_mov_b32 s4, exec_lo
	s_clause 0x3
	buffer_load_dword v1, v4, s[0:3], 0 offen
	buffer_load_dword v2, v4, s[0:3], 0 offen offset:4
	buffer_load_dword v3, v4, s[0:3], 0 offen offset:8
	;; [unrolled: 1-line block ×3, first 2 shown]
	s_waitcnt vmcnt(0)
	ds_write_b128 v5, v[1:4]
	s_waitcnt lgkmcnt(0)
	s_barrier
	buffer_gl0_inv
	v_cmpx_gt_u32_e32 33, v0
	s_cbranch_execz .LBB115_147
; %bb.144:
	v_mov_b32_e32 v1, 0
	v_mov_b32_e32 v3, 0
	v_add_nc_u32_e32 v7, -1, v0
	v_add_nc_u32_e32 v8, 0x340, v115
	v_mov_b32_e32 v2, 0
	v_mov_b32_e32 v4, 0
	v_add_nc_u32_e32 v113, 16, v115
	s_mov_b32 s5, 0
	.p2align	6
.LBB115_145:                            ; =>This Inner Loop Header: Depth=1
	s_clause 0x3
	buffer_load_dword v120, v113, s[0:3], 0 offen offset:8
	buffer_load_dword v121, v113, s[0:3], 0 offen offset:12
	buffer_load_dword v122, v113, s[0:3], 0 offen
	buffer_load_dword v123, v113, s[0:3], 0 offen offset:4
	ds_read_b128 v[116:119], v8
	v_add_nc_u32_e32 v7, 1, v7
	v_add_nc_u32_e32 v8, 16, v8
	;; [unrolled: 1-line block ×3, first 2 shown]
	v_cmp_lt_u32_e32 vcc_lo, 31, v7
	s_or_b32 s5, vcc_lo, s5
	s_waitcnt vmcnt(2) lgkmcnt(0)
	v_mul_f64 v[124:125], v[118:119], v[120:121]
	v_mul_f64 v[120:121], v[116:117], v[120:121]
	s_waitcnt vmcnt(0)
	v_fma_f64 v[116:117], v[116:117], v[122:123], -v[124:125]
	v_fma_f64 v[118:119], v[118:119], v[122:123], v[120:121]
	v_add_f64 v[3:4], v[3:4], v[116:117]
	v_add_f64 v[1:2], v[1:2], v[118:119]
	s_andn2_b32 exec_lo, exec_lo, s5
	s_cbranch_execnz .LBB115_145
; %bb.146:
	s_or_b32 exec_lo, exec_lo, s5
	v_mov_b32_e32 v7, 0
	ds_read_b128 v[116:119], v7 offset:528
	s_waitcnt lgkmcnt(0)
	v_mul_f64 v[7:8], v[1:2], v[118:119]
	v_mul_f64 v[113:114], v[3:4], v[118:119]
	v_fma_f64 v[3:4], v[3:4], v[116:117], -v[7:8]
	v_fma_f64 v[1:2], v[1:2], v[116:117], v[113:114]
	buffer_store_dword v4, off, s[0:3], 0 offset:548
	buffer_store_dword v3, off, s[0:3], 0 offset:544
	;; [unrolled: 1-line block ×4, first 2 shown]
.LBB115_147:
	s_or_b32 exec_lo, exec_lo, s4
	v_mov_b32_e32 v4, s29
	s_waitcnt_vscnt null, 0x0
	s_barrier
	buffer_gl0_inv
	s_mov_b32 s4, exec_lo
	s_clause 0x3
	buffer_load_dword v1, v4, s[0:3], 0 offen
	buffer_load_dword v2, v4, s[0:3], 0 offen offset:4
	buffer_load_dword v3, v4, s[0:3], 0 offen offset:8
	;; [unrolled: 1-line block ×3, first 2 shown]
	s_waitcnt vmcnt(0)
	ds_write_b128 v5, v[1:4]
	s_waitcnt lgkmcnt(0)
	s_barrier
	buffer_gl0_inv
	v_cmpx_gt_u32_e32 34, v0
	s_cbranch_execz .LBB115_151
; %bb.148:
	v_mov_b32_e32 v1, 0
	v_mov_b32_e32 v3, 0
	v_add_nc_u32_e32 v7, -1, v0
	v_add_nc_u32_e32 v8, 0x340, v115
	v_mov_b32_e32 v2, 0
	v_mov_b32_e32 v4, 0
	v_add_nc_u32_e32 v113, 16, v115
	s_mov_b32 s5, 0
	.p2align	6
.LBB115_149:                            ; =>This Inner Loop Header: Depth=1
	s_clause 0x3
	buffer_load_dword v120, v113, s[0:3], 0 offen offset:8
	buffer_load_dword v121, v113, s[0:3], 0 offen offset:12
	buffer_load_dword v122, v113, s[0:3], 0 offen
	buffer_load_dword v123, v113, s[0:3], 0 offen offset:4
	ds_read_b128 v[116:119], v8
	v_add_nc_u32_e32 v7, 1, v7
	v_add_nc_u32_e32 v8, 16, v8
	;; [unrolled: 1-line block ×3, first 2 shown]
	v_cmp_lt_u32_e32 vcc_lo, 32, v7
	s_or_b32 s5, vcc_lo, s5
	s_waitcnt vmcnt(2) lgkmcnt(0)
	v_mul_f64 v[124:125], v[118:119], v[120:121]
	v_mul_f64 v[120:121], v[116:117], v[120:121]
	s_waitcnt vmcnt(0)
	v_fma_f64 v[116:117], v[116:117], v[122:123], -v[124:125]
	v_fma_f64 v[118:119], v[118:119], v[122:123], v[120:121]
	v_add_f64 v[3:4], v[3:4], v[116:117]
	v_add_f64 v[1:2], v[1:2], v[118:119]
	s_andn2_b32 exec_lo, exec_lo, s5
	s_cbranch_execnz .LBB115_149
; %bb.150:
	s_or_b32 exec_lo, exec_lo, s5
	v_mov_b32_e32 v7, 0
	ds_read_b128 v[116:119], v7 offset:544
	s_waitcnt lgkmcnt(0)
	v_mul_f64 v[7:8], v[1:2], v[118:119]
	v_mul_f64 v[113:114], v[3:4], v[118:119]
	v_fma_f64 v[3:4], v[3:4], v[116:117], -v[7:8]
	v_fma_f64 v[1:2], v[1:2], v[116:117], v[113:114]
	buffer_store_dword v4, off, s[0:3], 0 offset:564
	buffer_store_dword v3, off, s[0:3], 0 offset:560
	;; [unrolled: 1-line block ×4, first 2 shown]
.LBB115_151:
	s_or_b32 exec_lo, exec_lo, s4
	v_mov_b32_e32 v4, s28
	s_waitcnt_vscnt null, 0x0
	s_barrier
	buffer_gl0_inv
	s_mov_b32 s4, exec_lo
	s_clause 0x3
	buffer_load_dword v1, v4, s[0:3], 0 offen
	buffer_load_dword v2, v4, s[0:3], 0 offen offset:4
	buffer_load_dword v3, v4, s[0:3], 0 offen offset:8
	;; [unrolled: 1-line block ×3, first 2 shown]
	s_waitcnt vmcnt(0)
	ds_write_b128 v5, v[1:4]
	s_waitcnt lgkmcnt(0)
	s_barrier
	buffer_gl0_inv
	v_cmpx_gt_u32_e32 35, v0
	s_cbranch_execz .LBB115_155
; %bb.152:
	v_mov_b32_e32 v1, 0
	v_mov_b32_e32 v3, 0
	v_add_nc_u32_e32 v7, -1, v0
	v_add_nc_u32_e32 v8, 0x340, v115
	v_mov_b32_e32 v2, 0
	v_mov_b32_e32 v4, 0
	v_add_nc_u32_e32 v113, 16, v115
	s_mov_b32 s5, 0
	.p2align	6
.LBB115_153:                            ; =>This Inner Loop Header: Depth=1
	s_clause 0x3
	buffer_load_dword v120, v113, s[0:3], 0 offen offset:8
	buffer_load_dword v121, v113, s[0:3], 0 offen offset:12
	buffer_load_dword v122, v113, s[0:3], 0 offen
	buffer_load_dword v123, v113, s[0:3], 0 offen offset:4
	ds_read_b128 v[116:119], v8
	v_add_nc_u32_e32 v7, 1, v7
	v_add_nc_u32_e32 v8, 16, v8
	;; [unrolled: 1-line block ×3, first 2 shown]
	v_cmp_lt_u32_e32 vcc_lo, 33, v7
	s_or_b32 s5, vcc_lo, s5
	s_waitcnt vmcnt(2) lgkmcnt(0)
	v_mul_f64 v[124:125], v[118:119], v[120:121]
	v_mul_f64 v[120:121], v[116:117], v[120:121]
	s_waitcnt vmcnt(0)
	v_fma_f64 v[116:117], v[116:117], v[122:123], -v[124:125]
	v_fma_f64 v[118:119], v[118:119], v[122:123], v[120:121]
	v_add_f64 v[3:4], v[3:4], v[116:117]
	v_add_f64 v[1:2], v[1:2], v[118:119]
	s_andn2_b32 exec_lo, exec_lo, s5
	s_cbranch_execnz .LBB115_153
; %bb.154:
	s_or_b32 exec_lo, exec_lo, s5
	v_mov_b32_e32 v7, 0
	ds_read_b128 v[116:119], v7 offset:560
	s_waitcnt lgkmcnt(0)
	v_mul_f64 v[7:8], v[1:2], v[118:119]
	v_mul_f64 v[113:114], v[3:4], v[118:119]
	v_fma_f64 v[3:4], v[3:4], v[116:117], -v[7:8]
	v_fma_f64 v[1:2], v[1:2], v[116:117], v[113:114]
	buffer_store_dword v4, off, s[0:3], 0 offset:580
	buffer_store_dword v3, off, s[0:3], 0 offset:576
	;; [unrolled: 1-line block ×4, first 2 shown]
.LBB115_155:
	s_or_b32 exec_lo, exec_lo, s4
	v_mov_b32_e32 v4, s27
	s_waitcnt_vscnt null, 0x0
	s_barrier
	buffer_gl0_inv
	s_mov_b32 s4, exec_lo
	s_clause 0x3
	buffer_load_dword v1, v4, s[0:3], 0 offen
	buffer_load_dword v2, v4, s[0:3], 0 offen offset:4
	buffer_load_dword v3, v4, s[0:3], 0 offen offset:8
	;; [unrolled: 1-line block ×3, first 2 shown]
	s_waitcnt vmcnt(0)
	ds_write_b128 v5, v[1:4]
	s_waitcnt lgkmcnt(0)
	s_barrier
	buffer_gl0_inv
	v_cmpx_gt_u32_e32 36, v0
	s_cbranch_execz .LBB115_159
; %bb.156:
	v_mov_b32_e32 v1, 0
	v_mov_b32_e32 v3, 0
	v_add_nc_u32_e32 v7, -1, v0
	v_add_nc_u32_e32 v8, 0x340, v115
	v_mov_b32_e32 v2, 0
	v_mov_b32_e32 v4, 0
	v_add_nc_u32_e32 v113, 16, v115
	s_mov_b32 s5, 0
	.p2align	6
.LBB115_157:                            ; =>This Inner Loop Header: Depth=1
	s_clause 0x3
	buffer_load_dword v120, v113, s[0:3], 0 offen offset:8
	buffer_load_dword v121, v113, s[0:3], 0 offen offset:12
	buffer_load_dword v122, v113, s[0:3], 0 offen
	buffer_load_dword v123, v113, s[0:3], 0 offen offset:4
	ds_read_b128 v[116:119], v8
	v_add_nc_u32_e32 v7, 1, v7
	v_add_nc_u32_e32 v8, 16, v8
	;; [unrolled: 1-line block ×3, first 2 shown]
	v_cmp_lt_u32_e32 vcc_lo, 34, v7
	s_or_b32 s5, vcc_lo, s5
	s_waitcnt vmcnt(2) lgkmcnt(0)
	v_mul_f64 v[124:125], v[118:119], v[120:121]
	v_mul_f64 v[120:121], v[116:117], v[120:121]
	s_waitcnt vmcnt(0)
	v_fma_f64 v[116:117], v[116:117], v[122:123], -v[124:125]
	v_fma_f64 v[118:119], v[118:119], v[122:123], v[120:121]
	v_add_f64 v[3:4], v[3:4], v[116:117]
	v_add_f64 v[1:2], v[1:2], v[118:119]
	s_andn2_b32 exec_lo, exec_lo, s5
	s_cbranch_execnz .LBB115_157
; %bb.158:
	s_or_b32 exec_lo, exec_lo, s5
	v_mov_b32_e32 v7, 0
	ds_read_b128 v[116:119], v7 offset:576
	s_waitcnt lgkmcnt(0)
	v_mul_f64 v[7:8], v[1:2], v[118:119]
	v_mul_f64 v[113:114], v[3:4], v[118:119]
	v_fma_f64 v[3:4], v[3:4], v[116:117], -v[7:8]
	v_fma_f64 v[1:2], v[1:2], v[116:117], v[113:114]
	buffer_store_dword v4, off, s[0:3], 0 offset:596
	buffer_store_dword v3, off, s[0:3], 0 offset:592
	;; [unrolled: 1-line block ×4, first 2 shown]
.LBB115_159:
	s_or_b32 exec_lo, exec_lo, s4
	v_mov_b32_e32 v4, s26
	s_waitcnt_vscnt null, 0x0
	s_barrier
	buffer_gl0_inv
	s_mov_b32 s4, exec_lo
	s_clause 0x3
	buffer_load_dword v1, v4, s[0:3], 0 offen
	buffer_load_dword v2, v4, s[0:3], 0 offen offset:4
	buffer_load_dword v3, v4, s[0:3], 0 offen offset:8
	;; [unrolled: 1-line block ×3, first 2 shown]
	s_waitcnt vmcnt(0)
	ds_write_b128 v5, v[1:4]
	s_waitcnt lgkmcnt(0)
	s_barrier
	buffer_gl0_inv
	v_cmpx_gt_u32_e32 37, v0
	s_cbranch_execz .LBB115_163
; %bb.160:
	v_mov_b32_e32 v1, 0
	v_mov_b32_e32 v3, 0
	v_add_nc_u32_e32 v7, -1, v0
	v_add_nc_u32_e32 v8, 0x340, v115
	v_mov_b32_e32 v2, 0
	v_mov_b32_e32 v4, 0
	v_add_nc_u32_e32 v113, 16, v115
	s_mov_b32 s5, 0
	.p2align	6
.LBB115_161:                            ; =>This Inner Loop Header: Depth=1
	s_clause 0x3
	buffer_load_dword v120, v113, s[0:3], 0 offen offset:8
	buffer_load_dword v121, v113, s[0:3], 0 offen offset:12
	buffer_load_dword v122, v113, s[0:3], 0 offen
	buffer_load_dword v123, v113, s[0:3], 0 offen offset:4
	ds_read_b128 v[116:119], v8
	v_add_nc_u32_e32 v7, 1, v7
	v_add_nc_u32_e32 v8, 16, v8
	;; [unrolled: 1-line block ×3, first 2 shown]
	v_cmp_lt_u32_e32 vcc_lo, 35, v7
	s_or_b32 s5, vcc_lo, s5
	s_waitcnt vmcnt(2) lgkmcnt(0)
	v_mul_f64 v[124:125], v[118:119], v[120:121]
	v_mul_f64 v[120:121], v[116:117], v[120:121]
	s_waitcnt vmcnt(0)
	v_fma_f64 v[116:117], v[116:117], v[122:123], -v[124:125]
	v_fma_f64 v[118:119], v[118:119], v[122:123], v[120:121]
	v_add_f64 v[3:4], v[3:4], v[116:117]
	v_add_f64 v[1:2], v[1:2], v[118:119]
	s_andn2_b32 exec_lo, exec_lo, s5
	s_cbranch_execnz .LBB115_161
; %bb.162:
	s_or_b32 exec_lo, exec_lo, s5
	v_mov_b32_e32 v7, 0
	ds_read_b128 v[116:119], v7 offset:592
	s_waitcnt lgkmcnt(0)
	v_mul_f64 v[7:8], v[1:2], v[118:119]
	v_mul_f64 v[113:114], v[3:4], v[118:119]
	v_fma_f64 v[3:4], v[3:4], v[116:117], -v[7:8]
	v_fma_f64 v[1:2], v[1:2], v[116:117], v[113:114]
	buffer_store_dword v4, off, s[0:3], 0 offset:612
	buffer_store_dword v3, off, s[0:3], 0 offset:608
	;; [unrolled: 1-line block ×4, first 2 shown]
.LBB115_163:
	s_or_b32 exec_lo, exec_lo, s4
	v_mov_b32_e32 v4, s25
	s_waitcnt_vscnt null, 0x0
	s_barrier
	buffer_gl0_inv
	s_mov_b32 s4, exec_lo
	s_clause 0x3
	buffer_load_dword v1, v4, s[0:3], 0 offen
	buffer_load_dword v2, v4, s[0:3], 0 offen offset:4
	buffer_load_dword v3, v4, s[0:3], 0 offen offset:8
	;; [unrolled: 1-line block ×3, first 2 shown]
	s_waitcnt vmcnt(0)
	ds_write_b128 v5, v[1:4]
	s_waitcnt lgkmcnt(0)
	s_barrier
	buffer_gl0_inv
	v_cmpx_gt_u32_e32 38, v0
	s_cbranch_execz .LBB115_167
; %bb.164:
	v_mov_b32_e32 v1, 0
	v_mov_b32_e32 v3, 0
	v_add_nc_u32_e32 v7, -1, v0
	v_add_nc_u32_e32 v8, 0x340, v115
	v_mov_b32_e32 v2, 0
	v_mov_b32_e32 v4, 0
	v_add_nc_u32_e32 v113, 16, v115
	s_mov_b32 s5, 0
	.p2align	6
.LBB115_165:                            ; =>This Inner Loop Header: Depth=1
	s_clause 0x3
	buffer_load_dword v120, v113, s[0:3], 0 offen offset:8
	buffer_load_dword v121, v113, s[0:3], 0 offen offset:12
	buffer_load_dword v122, v113, s[0:3], 0 offen
	buffer_load_dword v123, v113, s[0:3], 0 offen offset:4
	ds_read_b128 v[116:119], v8
	v_add_nc_u32_e32 v7, 1, v7
	v_add_nc_u32_e32 v8, 16, v8
	;; [unrolled: 1-line block ×3, first 2 shown]
	v_cmp_lt_u32_e32 vcc_lo, 36, v7
	s_or_b32 s5, vcc_lo, s5
	s_waitcnt vmcnt(2) lgkmcnt(0)
	v_mul_f64 v[124:125], v[118:119], v[120:121]
	v_mul_f64 v[120:121], v[116:117], v[120:121]
	s_waitcnt vmcnt(0)
	v_fma_f64 v[116:117], v[116:117], v[122:123], -v[124:125]
	v_fma_f64 v[118:119], v[118:119], v[122:123], v[120:121]
	v_add_f64 v[3:4], v[3:4], v[116:117]
	v_add_f64 v[1:2], v[1:2], v[118:119]
	s_andn2_b32 exec_lo, exec_lo, s5
	s_cbranch_execnz .LBB115_165
; %bb.166:
	s_or_b32 exec_lo, exec_lo, s5
	v_mov_b32_e32 v7, 0
	ds_read_b128 v[116:119], v7 offset:608
	s_waitcnt lgkmcnt(0)
	v_mul_f64 v[7:8], v[1:2], v[118:119]
	v_mul_f64 v[113:114], v[3:4], v[118:119]
	v_fma_f64 v[3:4], v[3:4], v[116:117], -v[7:8]
	v_fma_f64 v[1:2], v[1:2], v[116:117], v[113:114]
	buffer_store_dword v4, off, s[0:3], 0 offset:628
	buffer_store_dword v3, off, s[0:3], 0 offset:624
	;; [unrolled: 1-line block ×4, first 2 shown]
.LBB115_167:
	s_or_b32 exec_lo, exec_lo, s4
	v_mov_b32_e32 v4, s24
	s_waitcnt_vscnt null, 0x0
	s_barrier
	buffer_gl0_inv
	s_mov_b32 s4, exec_lo
	s_clause 0x3
	buffer_load_dword v1, v4, s[0:3], 0 offen
	buffer_load_dword v2, v4, s[0:3], 0 offen offset:4
	buffer_load_dword v3, v4, s[0:3], 0 offen offset:8
	;; [unrolled: 1-line block ×3, first 2 shown]
	s_waitcnt vmcnt(0)
	ds_write_b128 v5, v[1:4]
	s_waitcnt lgkmcnt(0)
	s_barrier
	buffer_gl0_inv
	v_cmpx_gt_u32_e32 39, v0
	s_cbranch_execz .LBB115_171
; %bb.168:
	v_mov_b32_e32 v1, 0
	v_mov_b32_e32 v3, 0
	v_add_nc_u32_e32 v7, -1, v0
	v_add_nc_u32_e32 v8, 0x340, v115
	v_mov_b32_e32 v2, 0
	v_mov_b32_e32 v4, 0
	v_add_nc_u32_e32 v113, 16, v115
	s_mov_b32 s5, 0
	.p2align	6
.LBB115_169:                            ; =>This Inner Loop Header: Depth=1
	s_clause 0x3
	buffer_load_dword v120, v113, s[0:3], 0 offen offset:8
	buffer_load_dword v121, v113, s[0:3], 0 offen offset:12
	buffer_load_dword v122, v113, s[0:3], 0 offen
	buffer_load_dword v123, v113, s[0:3], 0 offen offset:4
	ds_read_b128 v[116:119], v8
	v_add_nc_u32_e32 v7, 1, v7
	v_add_nc_u32_e32 v8, 16, v8
	;; [unrolled: 1-line block ×3, first 2 shown]
	v_cmp_lt_u32_e32 vcc_lo, 37, v7
	s_or_b32 s5, vcc_lo, s5
	s_waitcnt vmcnt(2) lgkmcnt(0)
	v_mul_f64 v[124:125], v[118:119], v[120:121]
	v_mul_f64 v[120:121], v[116:117], v[120:121]
	s_waitcnt vmcnt(0)
	v_fma_f64 v[116:117], v[116:117], v[122:123], -v[124:125]
	v_fma_f64 v[118:119], v[118:119], v[122:123], v[120:121]
	v_add_f64 v[3:4], v[3:4], v[116:117]
	v_add_f64 v[1:2], v[1:2], v[118:119]
	s_andn2_b32 exec_lo, exec_lo, s5
	s_cbranch_execnz .LBB115_169
; %bb.170:
	s_or_b32 exec_lo, exec_lo, s5
	v_mov_b32_e32 v7, 0
	ds_read_b128 v[116:119], v7 offset:624
	s_waitcnt lgkmcnt(0)
	v_mul_f64 v[7:8], v[1:2], v[118:119]
	v_mul_f64 v[113:114], v[3:4], v[118:119]
	v_fma_f64 v[3:4], v[3:4], v[116:117], -v[7:8]
	v_fma_f64 v[1:2], v[1:2], v[116:117], v[113:114]
	buffer_store_dword v4, off, s[0:3], 0 offset:644
	buffer_store_dword v3, off, s[0:3], 0 offset:640
	;; [unrolled: 1-line block ×4, first 2 shown]
.LBB115_171:
	s_or_b32 exec_lo, exec_lo, s4
	v_mov_b32_e32 v4, s23
	s_waitcnt_vscnt null, 0x0
	s_barrier
	buffer_gl0_inv
	s_mov_b32 s4, exec_lo
	s_clause 0x3
	buffer_load_dword v1, v4, s[0:3], 0 offen
	buffer_load_dword v2, v4, s[0:3], 0 offen offset:4
	buffer_load_dword v3, v4, s[0:3], 0 offen offset:8
	buffer_load_dword v4, v4, s[0:3], 0 offen offset:12
	s_waitcnt vmcnt(0)
	ds_write_b128 v5, v[1:4]
	s_waitcnt lgkmcnt(0)
	s_barrier
	buffer_gl0_inv
	v_cmpx_gt_u32_e32 40, v0
	s_cbranch_execz .LBB115_175
; %bb.172:
	v_mov_b32_e32 v1, 0
	v_mov_b32_e32 v3, 0
	v_add_nc_u32_e32 v7, -1, v0
	v_add_nc_u32_e32 v8, 0x340, v115
	v_mov_b32_e32 v2, 0
	v_mov_b32_e32 v4, 0
	v_add_nc_u32_e32 v113, 16, v115
	s_mov_b32 s5, 0
	.p2align	6
.LBB115_173:                            ; =>This Inner Loop Header: Depth=1
	s_clause 0x3
	buffer_load_dword v120, v113, s[0:3], 0 offen offset:8
	buffer_load_dword v121, v113, s[0:3], 0 offen offset:12
	buffer_load_dword v122, v113, s[0:3], 0 offen
	buffer_load_dword v123, v113, s[0:3], 0 offen offset:4
	ds_read_b128 v[116:119], v8
	v_add_nc_u32_e32 v7, 1, v7
	v_add_nc_u32_e32 v8, 16, v8
	;; [unrolled: 1-line block ×3, first 2 shown]
	v_cmp_lt_u32_e32 vcc_lo, 38, v7
	s_or_b32 s5, vcc_lo, s5
	s_waitcnt vmcnt(2) lgkmcnt(0)
	v_mul_f64 v[124:125], v[118:119], v[120:121]
	v_mul_f64 v[120:121], v[116:117], v[120:121]
	s_waitcnt vmcnt(0)
	v_fma_f64 v[116:117], v[116:117], v[122:123], -v[124:125]
	v_fma_f64 v[118:119], v[118:119], v[122:123], v[120:121]
	v_add_f64 v[3:4], v[3:4], v[116:117]
	v_add_f64 v[1:2], v[1:2], v[118:119]
	s_andn2_b32 exec_lo, exec_lo, s5
	s_cbranch_execnz .LBB115_173
; %bb.174:
	s_or_b32 exec_lo, exec_lo, s5
	v_mov_b32_e32 v7, 0
	ds_read_b128 v[116:119], v7 offset:640
	s_waitcnt lgkmcnt(0)
	v_mul_f64 v[7:8], v[1:2], v[118:119]
	v_mul_f64 v[113:114], v[3:4], v[118:119]
	v_fma_f64 v[3:4], v[3:4], v[116:117], -v[7:8]
	v_fma_f64 v[1:2], v[1:2], v[116:117], v[113:114]
	buffer_store_dword v4, off, s[0:3], 0 offset:660
	buffer_store_dword v3, off, s[0:3], 0 offset:656
	;; [unrolled: 1-line block ×4, first 2 shown]
.LBB115_175:
	s_or_b32 exec_lo, exec_lo, s4
	v_mov_b32_e32 v4, s22
	s_waitcnt_vscnt null, 0x0
	s_barrier
	buffer_gl0_inv
	s_mov_b32 s4, exec_lo
	s_clause 0x3
	buffer_load_dword v1, v4, s[0:3], 0 offen
	buffer_load_dword v2, v4, s[0:3], 0 offen offset:4
	buffer_load_dword v3, v4, s[0:3], 0 offen offset:8
	;; [unrolled: 1-line block ×3, first 2 shown]
	s_waitcnt vmcnt(0)
	ds_write_b128 v5, v[1:4]
	s_waitcnt lgkmcnt(0)
	s_barrier
	buffer_gl0_inv
	v_cmpx_gt_u32_e32 41, v0
	s_cbranch_execz .LBB115_179
; %bb.176:
	v_mov_b32_e32 v1, 0
	v_mov_b32_e32 v3, 0
	v_add_nc_u32_e32 v7, -1, v0
	v_add_nc_u32_e32 v8, 0x340, v115
	v_mov_b32_e32 v2, 0
	v_mov_b32_e32 v4, 0
	v_add_nc_u32_e32 v113, 16, v115
	s_mov_b32 s5, 0
	.p2align	6
.LBB115_177:                            ; =>This Inner Loop Header: Depth=1
	s_clause 0x3
	buffer_load_dword v120, v113, s[0:3], 0 offen offset:8
	buffer_load_dword v121, v113, s[0:3], 0 offen offset:12
	buffer_load_dword v122, v113, s[0:3], 0 offen
	buffer_load_dword v123, v113, s[0:3], 0 offen offset:4
	ds_read_b128 v[116:119], v8
	v_add_nc_u32_e32 v7, 1, v7
	v_add_nc_u32_e32 v8, 16, v8
	;; [unrolled: 1-line block ×3, first 2 shown]
	v_cmp_lt_u32_e32 vcc_lo, 39, v7
	s_or_b32 s5, vcc_lo, s5
	s_waitcnt vmcnt(2) lgkmcnt(0)
	v_mul_f64 v[124:125], v[118:119], v[120:121]
	v_mul_f64 v[120:121], v[116:117], v[120:121]
	s_waitcnt vmcnt(0)
	v_fma_f64 v[116:117], v[116:117], v[122:123], -v[124:125]
	v_fma_f64 v[118:119], v[118:119], v[122:123], v[120:121]
	v_add_f64 v[3:4], v[3:4], v[116:117]
	v_add_f64 v[1:2], v[1:2], v[118:119]
	s_andn2_b32 exec_lo, exec_lo, s5
	s_cbranch_execnz .LBB115_177
; %bb.178:
	s_or_b32 exec_lo, exec_lo, s5
	v_mov_b32_e32 v7, 0
	ds_read_b128 v[116:119], v7 offset:656
	s_waitcnt lgkmcnt(0)
	v_mul_f64 v[7:8], v[1:2], v[118:119]
	v_mul_f64 v[113:114], v[3:4], v[118:119]
	v_fma_f64 v[3:4], v[3:4], v[116:117], -v[7:8]
	v_fma_f64 v[1:2], v[1:2], v[116:117], v[113:114]
	buffer_store_dword v4, off, s[0:3], 0 offset:676
	buffer_store_dword v3, off, s[0:3], 0 offset:672
	;; [unrolled: 1-line block ×4, first 2 shown]
.LBB115_179:
	s_or_b32 exec_lo, exec_lo, s4
	v_mov_b32_e32 v4, s21
	s_waitcnt_vscnt null, 0x0
	s_barrier
	buffer_gl0_inv
	s_mov_b32 s4, exec_lo
	s_clause 0x3
	buffer_load_dword v1, v4, s[0:3], 0 offen
	buffer_load_dword v2, v4, s[0:3], 0 offen offset:4
	buffer_load_dword v3, v4, s[0:3], 0 offen offset:8
	buffer_load_dword v4, v4, s[0:3], 0 offen offset:12
	s_waitcnt vmcnt(0)
	ds_write_b128 v5, v[1:4]
	s_waitcnt lgkmcnt(0)
	s_barrier
	buffer_gl0_inv
	v_cmpx_gt_u32_e32 42, v0
	s_cbranch_execz .LBB115_183
; %bb.180:
	v_mov_b32_e32 v1, 0
	v_mov_b32_e32 v3, 0
	v_add_nc_u32_e32 v7, -1, v0
	v_add_nc_u32_e32 v8, 0x340, v115
	v_mov_b32_e32 v2, 0
	v_mov_b32_e32 v4, 0
	v_add_nc_u32_e32 v113, 16, v115
	s_mov_b32 s5, 0
	.p2align	6
.LBB115_181:                            ; =>This Inner Loop Header: Depth=1
	s_clause 0x3
	buffer_load_dword v120, v113, s[0:3], 0 offen offset:8
	buffer_load_dword v121, v113, s[0:3], 0 offen offset:12
	buffer_load_dword v122, v113, s[0:3], 0 offen
	buffer_load_dword v123, v113, s[0:3], 0 offen offset:4
	ds_read_b128 v[116:119], v8
	v_add_nc_u32_e32 v7, 1, v7
	v_add_nc_u32_e32 v8, 16, v8
	;; [unrolled: 1-line block ×3, first 2 shown]
	v_cmp_lt_u32_e32 vcc_lo, 40, v7
	s_or_b32 s5, vcc_lo, s5
	s_waitcnt vmcnt(2) lgkmcnt(0)
	v_mul_f64 v[124:125], v[118:119], v[120:121]
	v_mul_f64 v[120:121], v[116:117], v[120:121]
	s_waitcnt vmcnt(0)
	v_fma_f64 v[116:117], v[116:117], v[122:123], -v[124:125]
	v_fma_f64 v[118:119], v[118:119], v[122:123], v[120:121]
	v_add_f64 v[3:4], v[3:4], v[116:117]
	v_add_f64 v[1:2], v[1:2], v[118:119]
	s_andn2_b32 exec_lo, exec_lo, s5
	s_cbranch_execnz .LBB115_181
; %bb.182:
	s_or_b32 exec_lo, exec_lo, s5
	v_mov_b32_e32 v7, 0
	ds_read_b128 v[116:119], v7 offset:672
	s_waitcnt lgkmcnt(0)
	v_mul_f64 v[7:8], v[1:2], v[118:119]
	v_mul_f64 v[113:114], v[3:4], v[118:119]
	v_fma_f64 v[3:4], v[3:4], v[116:117], -v[7:8]
	v_fma_f64 v[1:2], v[1:2], v[116:117], v[113:114]
	buffer_store_dword v4, off, s[0:3], 0 offset:692
	buffer_store_dword v3, off, s[0:3], 0 offset:688
	;; [unrolled: 1-line block ×4, first 2 shown]
.LBB115_183:
	s_or_b32 exec_lo, exec_lo, s4
	v_mov_b32_e32 v4, s20
	s_waitcnt_vscnt null, 0x0
	s_barrier
	buffer_gl0_inv
	s_mov_b32 s4, exec_lo
	s_clause 0x3
	buffer_load_dword v1, v4, s[0:3], 0 offen
	buffer_load_dword v2, v4, s[0:3], 0 offen offset:4
	buffer_load_dword v3, v4, s[0:3], 0 offen offset:8
	;; [unrolled: 1-line block ×3, first 2 shown]
	s_waitcnt vmcnt(0)
	ds_write_b128 v5, v[1:4]
	s_waitcnt lgkmcnt(0)
	s_barrier
	buffer_gl0_inv
	v_cmpx_gt_u32_e32 43, v0
	s_cbranch_execz .LBB115_187
; %bb.184:
	v_mov_b32_e32 v1, 0
	v_mov_b32_e32 v3, 0
	v_add_nc_u32_e32 v7, -1, v0
	v_add_nc_u32_e32 v8, 0x340, v115
	v_mov_b32_e32 v2, 0
	v_mov_b32_e32 v4, 0
	v_add_nc_u32_e32 v113, 16, v115
	s_mov_b32 s5, 0
	.p2align	6
.LBB115_185:                            ; =>This Inner Loop Header: Depth=1
	s_clause 0x3
	buffer_load_dword v120, v113, s[0:3], 0 offen offset:8
	buffer_load_dword v121, v113, s[0:3], 0 offen offset:12
	buffer_load_dword v122, v113, s[0:3], 0 offen
	buffer_load_dword v123, v113, s[0:3], 0 offen offset:4
	ds_read_b128 v[116:119], v8
	v_add_nc_u32_e32 v7, 1, v7
	v_add_nc_u32_e32 v8, 16, v8
	;; [unrolled: 1-line block ×3, first 2 shown]
	v_cmp_lt_u32_e32 vcc_lo, 41, v7
	s_or_b32 s5, vcc_lo, s5
	s_waitcnt vmcnt(2) lgkmcnt(0)
	v_mul_f64 v[124:125], v[118:119], v[120:121]
	v_mul_f64 v[120:121], v[116:117], v[120:121]
	s_waitcnt vmcnt(0)
	v_fma_f64 v[116:117], v[116:117], v[122:123], -v[124:125]
	v_fma_f64 v[118:119], v[118:119], v[122:123], v[120:121]
	v_add_f64 v[3:4], v[3:4], v[116:117]
	v_add_f64 v[1:2], v[1:2], v[118:119]
	s_andn2_b32 exec_lo, exec_lo, s5
	s_cbranch_execnz .LBB115_185
; %bb.186:
	s_or_b32 exec_lo, exec_lo, s5
	v_mov_b32_e32 v7, 0
	ds_read_b128 v[116:119], v7 offset:688
	s_waitcnt lgkmcnt(0)
	v_mul_f64 v[7:8], v[1:2], v[118:119]
	v_mul_f64 v[113:114], v[3:4], v[118:119]
	v_fma_f64 v[3:4], v[3:4], v[116:117], -v[7:8]
	v_fma_f64 v[1:2], v[1:2], v[116:117], v[113:114]
	buffer_store_dword v4, off, s[0:3], 0 offset:708
	buffer_store_dword v3, off, s[0:3], 0 offset:704
	;; [unrolled: 1-line block ×4, first 2 shown]
.LBB115_187:
	s_or_b32 exec_lo, exec_lo, s4
	v_mov_b32_e32 v4, s19
	s_waitcnt_vscnt null, 0x0
	s_barrier
	buffer_gl0_inv
	s_mov_b32 s4, exec_lo
	s_clause 0x3
	buffer_load_dword v1, v4, s[0:3], 0 offen
	buffer_load_dword v2, v4, s[0:3], 0 offen offset:4
	buffer_load_dword v3, v4, s[0:3], 0 offen offset:8
	;; [unrolled: 1-line block ×3, first 2 shown]
	s_waitcnt vmcnt(0)
	ds_write_b128 v5, v[1:4]
	s_waitcnt lgkmcnt(0)
	s_barrier
	buffer_gl0_inv
	v_cmpx_gt_u32_e32 44, v0
	s_cbranch_execz .LBB115_191
; %bb.188:
	v_mov_b32_e32 v1, 0
	v_mov_b32_e32 v3, 0
	v_add_nc_u32_e32 v7, -1, v0
	v_add_nc_u32_e32 v8, 0x340, v115
	v_mov_b32_e32 v2, 0
	v_mov_b32_e32 v4, 0
	v_add_nc_u32_e32 v113, 16, v115
	s_mov_b32 s5, 0
	.p2align	6
.LBB115_189:                            ; =>This Inner Loop Header: Depth=1
	s_clause 0x3
	buffer_load_dword v120, v113, s[0:3], 0 offen offset:8
	buffer_load_dword v121, v113, s[0:3], 0 offen offset:12
	buffer_load_dword v122, v113, s[0:3], 0 offen
	buffer_load_dword v123, v113, s[0:3], 0 offen offset:4
	ds_read_b128 v[116:119], v8
	v_add_nc_u32_e32 v7, 1, v7
	v_add_nc_u32_e32 v8, 16, v8
	;; [unrolled: 1-line block ×3, first 2 shown]
	v_cmp_lt_u32_e32 vcc_lo, 42, v7
	s_or_b32 s5, vcc_lo, s5
	s_waitcnt vmcnt(2) lgkmcnt(0)
	v_mul_f64 v[124:125], v[118:119], v[120:121]
	v_mul_f64 v[120:121], v[116:117], v[120:121]
	s_waitcnt vmcnt(0)
	v_fma_f64 v[116:117], v[116:117], v[122:123], -v[124:125]
	v_fma_f64 v[118:119], v[118:119], v[122:123], v[120:121]
	v_add_f64 v[3:4], v[3:4], v[116:117]
	v_add_f64 v[1:2], v[1:2], v[118:119]
	s_andn2_b32 exec_lo, exec_lo, s5
	s_cbranch_execnz .LBB115_189
; %bb.190:
	s_or_b32 exec_lo, exec_lo, s5
	v_mov_b32_e32 v7, 0
	ds_read_b128 v[116:119], v7 offset:704
	s_waitcnt lgkmcnt(0)
	v_mul_f64 v[7:8], v[1:2], v[118:119]
	v_mul_f64 v[113:114], v[3:4], v[118:119]
	v_fma_f64 v[3:4], v[3:4], v[116:117], -v[7:8]
	v_fma_f64 v[1:2], v[1:2], v[116:117], v[113:114]
	buffer_store_dword v4, off, s[0:3], 0 offset:724
	buffer_store_dword v3, off, s[0:3], 0 offset:720
	;; [unrolled: 1-line block ×4, first 2 shown]
.LBB115_191:
	s_or_b32 exec_lo, exec_lo, s4
	v_mov_b32_e32 v4, s18
	s_waitcnt_vscnt null, 0x0
	s_barrier
	buffer_gl0_inv
	s_mov_b32 s4, exec_lo
	s_clause 0x3
	buffer_load_dword v1, v4, s[0:3], 0 offen
	buffer_load_dword v2, v4, s[0:3], 0 offen offset:4
	buffer_load_dword v3, v4, s[0:3], 0 offen offset:8
	;; [unrolled: 1-line block ×3, first 2 shown]
	s_waitcnt vmcnt(0)
	ds_write_b128 v5, v[1:4]
	s_waitcnt lgkmcnt(0)
	s_barrier
	buffer_gl0_inv
	v_cmpx_gt_u32_e32 45, v0
	s_cbranch_execz .LBB115_195
; %bb.192:
	v_mov_b32_e32 v1, 0
	v_mov_b32_e32 v3, 0
	v_add_nc_u32_e32 v7, -1, v0
	v_add_nc_u32_e32 v8, 0x340, v115
	v_mov_b32_e32 v2, 0
	v_mov_b32_e32 v4, 0
	v_add_nc_u32_e32 v113, 16, v115
	s_mov_b32 s5, 0
	.p2align	6
.LBB115_193:                            ; =>This Inner Loop Header: Depth=1
	s_clause 0x3
	buffer_load_dword v120, v113, s[0:3], 0 offen offset:8
	buffer_load_dword v121, v113, s[0:3], 0 offen offset:12
	buffer_load_dword v122, v113, s[0:3], 0 offen
	buffer_load_dword v123, v113, s[0:3], 0 offen offset:4
	ds_read_b128 v[116:119], v8
	v_add_nc_u32_e32 v7, 1, v7
	v_add_nc_u32_e32 v8, 16, v8
	;; [unrolled: 1-line block ×3, first 2 shown]
	v_cmp_lt_u32_e32 vcc_lo, 43, v7
	s_or_b32 s5, vcc_lo, s5
	s_waitcnt vmcnt(2) lgkmcnt(0)
	v_mul_f64 v[124:125], v[118:119], v[120:121]
	v_mul_f64 v[120:121], v[116:117], v[120:121]
	s_waitcnt vmcnt(0)
	v_fma_f64 v[116:117], v[116:117], v[122:123], -v[124:125]
	v_fma_f64 v[118:119], v[118:119], v[122:123], v[120:121]
	v_add_f64 v[3:4], v[3:4], v[116:117]
	v_add_f64 v[1:2], v[1:2], v[118:119]
	s_andn2_b32 exec_lo, exec_lo, s5
	s_cbranch_execnz .LBB115_193
; %bb.194:
	s_or_b32 exec_lo, exec_lo, s5
	v_mov_b32_e32 v7, 0
	ds_read_b128 v[116:119], v7 offset:720
	s_waitcnt lgkmcnt(0)
	v_mul_f64 v[7:8], v[1:2], v[118:119]
	v_mul_f64 v[113:114], v[3:4], v[118:119]
	v_fma_f64 v[3:4], v[3:4], v[116:117], -v[7:8]
	v_fma_f64 v[1:2], v[1:2], v[116:117], v[113:114]
	buffer_store_dword v4, off, s[0:3], 0 offset:740
	buffer_store_dword v3, off, s[0:3], 0 offset:736
	;; [unrolled: 1-line block ×4, first 2 shown]
.LBB115_195:
	s_or_b32 exec_lo, exec_lo, s4
	v_mov_b32_e32 v4, s17
	s_waitcnt_vscnt null, 0x0
	s_barrier
	buffer_gl0_inv
	s_mov_b32 s4, exec_lo
	s_clause 0x3
	buffer_load_dword v1, v4, s[0:3], 0 offen
	buffer_load_dword v2, v4, s[0:3], 0 offen offset:4
	buffer_load_dword v3, v4, s[0:3], 0 offen offset:8
	;; [unrolled: 1-line block ×3, first 2 shown]
	s_waitcnt vmcnt(0)
	ds_write_b128 v5, v[1:4]
	s_waitcnt lgkmcnt(0)
	s_barrier
	buffer_gl0_inv
	v_cmpx_gt_u32_e32 46, v0
	s_cbranch_execz .LBB115_199
; %bb.196:
	v_mov_b32_e32 v1, 0
	v_mov_b32_e32 v3, 0
	v_add_nc_u32_e32 v7, -1, v0
	v_add_nc_u32_e32 v8, 0x340, v115
	v_mov_b32_e32 v2, 0
	v_mov_b32_e32 v4, 0
	v_add_nc_u32_e32 v113, 16, v115
	s_mov_b32 s5, 0
	.p2align	6
.LBB115_197:                            ; =>This Inner Loop Header: Depth=1
	s_clause 0x3
	buffer_load_dword v120, v113, s[0:3], 0 offen offset:8
	buffer_load_dword v121, v113, s[0:3], 0 offen offset:12
	buffer_load_dword v122, v113, s[0:3], 0 offen
	buffer_load_dword v123, v113, s[0:3], 0 offen offset:4
	ds_read_b128 v[116:119], v8
	v_add_nc_u32_e32 v7, 1, v7
	v_add_nc_u32_e32 v8, 16, v8
	;; [unrolled: 1-line block ×3, first 2 shown]
	v_cmp_lt_u32_e32 vcc_lo, 44, v7
	s_or_b32 s5, vcc_lo, s5
	s_waitcnt vmcnt(2) lgkmcnt(0)
	v_mul_f64 v[124:125], v[118:119], v[120:121]
	v_mul_f64 v[120:121], v[116:117], v[120:121]
	s_waitcnt vmcnt(0)
	v_fma_f64 v[116:117], v[116:117], v[122:123], -v[124:125]
	v_fma_f64 v[118:119], v[118:119], v[122:123], v[120:121]
	v_add_f64 v[3:4], v[3:4], v[116:117]
	v_add_f64 v[1:2], v[1:2], v[118:119]
	s_andn2_b32 exec_lo, exec_lo, s5
	s_cbranch_execnz .LBB115_197
; %bb.198:
	s_or_b32 exec_lo, exec_lo, s5
	v_mov_b32_e32 v7, 0
	ds_read_b128 v[116:119], v7 offset:736
	s_waitcnt lgkmcnt(0)
	v_mul_f64 v[7:8], v[1:2], v[118:119]
	v_mul_f64 v[113:114], v[3:4], v[118:119]
	v_fma_f64 v[3:4], v[3:4], v[116:117], -v[7:8]
	v_fma_f64 v[1:2], v[1:2], v[116:117], v[113:114]
	buffer_store_dword v4, off, s[0:3], 0 offset:756
	buffer_store_dword v3, off, s[0:3], 0 offset:752
	;; [unrolled: 1-line block ×4, first 2 shown]
.LBB115_199:
	s_or_b32 exec_lo, exec_lo, s4
	v_mov_b32_e32 v4, s16
	s_waitcnt_vscnt null, 0x0
	s_barrier
	buffer_gl0_inv
	s_mov_b32 s4, exec_lo
	s_clause 0x3
	buffer_load_dword v1, v4, s[0:3], 0 offen
	buffer_load_dword v2, v4, s[0:3], 0 offen offset:4
	buffer_load_dword v3, v4, s[0:3], 0 offen offset:8
	;; [unrolled: 1-line block ×3, first 2 shown]
	s_waitcnt vmcnt(0)
	ds_write_b128 v5, v[1:4]
	s_waitcnt lgkmcnt(0)
	s_barrier
	buffer_gl0_inv
	v_cmpx_gt_u32_e32 47, v0
	s_cbranch_execz .LBB115_203
; %bb.200:
	v_mov_b32_e32 v1, 0
	v_mov_b32_e32 v3, 0
	v_add_nc_u32_e32 v7, -1, v0
	v_add_nc_u32_e32 v8, 0x340, v115
	v_mov_b32_e32 v2, 0
	v_mov_b32_e32 v4, 0
	v_add_nc_u32_e32 v113, 16, v115
	s_mov_b32 s5, 0
	.p2align	6
.LBB115_201:                            ; =>This Inner Loop Header: Depth=1
	s_clause 0x3
	buffer_load_dword v120, v113, s[0:3], 0 offen offset:8
	buffer_load_dword v121, v113, s[0:3], 0 offen offset:12
	buffer_load_dword v122, v113, s[0:3], 0 offen
	buffer_load_dword v123, v113, s[0:3], 0 offen offset:4
	ds_read_b128 v[116:119], v8
	v_add_nc_u32_e32 v7, 1, v7
	v_add_nc_u32_e32 v8, 16, v8
	;; [unrolled: 1-line block ×3, first 2 shown]
	v_cmp_lt_u32_e32 vcc_lo, 45, v7
	s_or_b32 s5, vcc_lo, s5
	s_waitcnt vmcnt(2) lgkmcnt(0)
	v_mul_f64 v[124:125], v[118:119], v[120:121]
	v_mul_f64 v[120:121], v[116:117], v[120:121]
	s_waitcnt vmcnt(0)
	v_fma_f64 v[116:117], v[116:117], v[122:123], -v[124:125]
	v_fma_f64 v[118:119], v[118:119], v[122:123], v[120:121]
	v_add_f64 v[3:4], v[3:4], v[116:117]
	v_add_f64 v[1:2], v[1:2], v[118:119]
	s_andn2_b32 exec_lo, exec_lo, s5
	s_cbranch_execnz .LBB115_201
; %bb.202:
	s_or_b32 exec_lo, exec_lo, s5
	v_mov_b32_e32 v7, 0
	ds_read_b128 v[116:119], v7 offset:752
	s_waitcnt lgkmcnt(0)
	v_mul_f64 v[7:8], v[1:2], v[118:119]
	v_mul_f64 v[113:114], v[3:4], v[118:119]
	v_fma_f64 v[3:4], v[3:4], v[116:117], -v[7:8]
	v_fma_f64 v[1:2], v[1:2], v[116:117], v[113:114]
	buffer_store_dword v4, off, s[0:3], 0 offset:772
	buffer_store_dword v3, off, s[0:3], 0 offset:768
	;; [unrolled: 1-line block ×4, first 2 shown]
.LBB115_203:
	s_or_b32 exec_lo, exec_lo, s4
	v_mov_b32_e32 v4, s15
	s_waitcnt_vscnt null, 0x0
	s_barrier
	buffer_gl0_inv
	s_mov_b32 s4, exec_lo
	s_clause 0x3
	buffer_load_dword v1, v4, s[0:3], 0 offen
	buffer_load_dword v2, v4, s[0:3], 0 offen offset:4
	buffer_load_dword v3, v4, s[0:3], 0 offen offset:8
	;; [unrolled: 1-line block ×3, first 2 shown]
	s_waitcnt vmcnt(0)
	ds_write_b128 v5, v[1:4]
	s_waitcnt lgkmcnt(0)
	s_barrier
	buffer_gl0_inv
	v_cmpx_gt_u32_e32 48, v0
	s_cbranch_execz .LBB115_207
; %bb.204:
	v_mov_b32_e32 v1, 0
	v_mov_b32_e32 v3, 0
	v_add_nc_u32_e32 v7, -1, v0
	v_add_nc_u32_e32 v8, 0x340, v115
	v_mov_b32_e32 v2, 0
	v_mov_b32_e32 v4, 0
	v_add_nc_u32_e32 v113, 16, v115
	s_mov_b32 s5, 0
	.p2align	6
.LBB115_205:                            ; =>This Inner Loop Header: Depth=1
	s_clause 0x3
	buffer_load_dword v120, v113, s[0:3], 0 offen offset:8
	buffer_load_dword v121, v113, s[0:3], 0 offen offset:12
	buffer_load_dword v122, v113, s[0:3], 0 offen
	buffer_load_dword v123, v113, s[0:3], 0 offen offset:4
	ds_read_b128 v[116:119], v8
	v_add_nc_u32_e32 v7, 1, v7
	v_add_nc_u32_e32 v8, 16, v8
	;; [unrolled: 1-line block ×3, first 2 shown]
	v_cmp_lt_u32_e32 vcc_lo, 46, v7
	s_or_b32 s5, vcc_lo, s5
	s_waitcnt vmcnt(2) lgkmcnt(0)
	v_mul_f64 v[124:125], v[118:119], v[120:121]
	v_mul_f64 v[120:121], v[116:117], v[120:121]
	s_waitcnt vmcnt(0)
	v_fma_f64 v[116:117], v[116:117], v[122:123], -v[124:125]
	v_fma_f64 v[118:119], v[118:119], v[122:123], v[120:121]
	v_add_f64 v[3:4], v[3:4], v[116:117]
	v_add_f64 v[1:2], v[1:2], v[118:119]
	s_andn2_b32 exec_lo, exec_lo, s5
	s_cbranch_execnz .LBB115_205
; %bb.206:
	s_or_b32 exec_lo, exec_lo, s5
	v_mov_b32_e32 v7, 0
	ds_read_b128 v[116:119], v7 offset:768
	s_waitcnt lgkmcnt(0)
	v_mul_f64 v[7:8], v[1:2], v[118:119]
	v_mul_f64 v[113:114], v[3:4], v[118:119]
	v_fma_f64 v[3:4], v[3:4], v[116:117], -v[7:8]
	v_fma_f64 v[1:2], v[1:2], v[116:117], v[113:114]
	buffer_store_dword v4, off, s[0:3], 0 offset:788
	buffer_store_dword v3, off, s[0:3], 0 offset:784
	;; [unrolled: 1-line block ×4, first 2 shown]
.LBB115_207:
	s_or_b32 exec_lo, exec_lo, s4
	v_mov_b32_e32 v4, s14
	s_waitcnt_vscnt null, 0x0
	s_barrier
	buffer_gl0_inv
	s_mov_b32 s4, exec_lo
	s_clause 0x3
	buffer_load_dword v1, v4, s[0:3], 0 offen
	buffer_load_dword v2, v4, s[0:3], 0 offen offset:4
	buffer_load_dword v3, v4, s[0:3], 0 offen offset:8
	buffer_load_dword v4, v4, s[0:3], 0 offen offset:12
	s_waitcnt vmcnt(0)
	ds_write_b128 v5, v[1:4]
	s_waitcnt lgkmcnt(0)
	s_barrier
	buffer_gl0_inv
	v_cmpx_gt_u32_e32 49, v0
	s_cbranch_execz .LBB115_211
; %bb.208:
	v_mov_b32_e32 v1, 0
	v_mov_b32_e32 v3, 0
	v_add_nc_u32_e32 v7, -1, v0
	v_add_nc_u32_e32 v8, 0x340, v115
	v_mov_b32_e32 v2, 0
	v_mov_b32_e32 v4, 0
	v_add_nc_u32_e32 v113, 16, v115
	s_mov_b32 s5, 0
	.p2align	6
.LBB115_209:                            ; =>This Inner Loop Header: Depth=1
	s_clause 0x3
	buffer_load_dword v120, v113, s[0:3], 0 offen offset:8
	buffer_load_dword v121, v113, s[0:3], 0 offen offset:12
	buffer_load_dword v122, v113, s[0:3], 0 offen
	buffer_load_dword v123, v113, s[0:3], 0 offen offset:4
	ds_read_b128 v[116:119], v8
	v_add_nc_u32_e32 v7, 1, v7
	v_add_nc_u32_e32 v8, 16, v8
	;; [unrolled: 1-line block ×3, first 2 shown]
	v_cmp_lt_u32_e32 vcc_lo, 47, v7
	s_or_b32 s5, vcc_lo, s5
	s_waitcnt vmcnt(2) lgkmcnt(0)
	v_mul_f64 v[124:125], v[118:119], v[120:121]
	v_mul_f64 v[120:121], v[116:117], v[120:121]
	s_waitcnt vmcnt(0)
	v_fma_f64 v[116:117], v[116:117], v[122:123], -v[124:125]
	v_fma_f64 v[118:119], v[118:119], v[122:123], v[120:121]
	v_add_f64 v[3:4], v[3:4], v[116:117]
	v_add_f64 v[1:2], v[1:2], v[118:119]
	s_andn2_b32 exec_lo, exec_lo, s5
	s_cbranch_execnz .LBB115_209
; %bb.210:
	s_or_b32 exec_lo, exec_lo, s5
	v_mov_b32_e32 v7, 0
	ds_read_b128 v[116:119], v7 offset:784
	s_waitcnt lgkmcnt(0)
	v_mul_f64 v[7:8], v[1:2], v[118:119]
	v_mul_f64 v[113:114], v[3:4], v[118:119]
	v_fma_f64 v[3:4], v[3:4], v[116:117], -v[7:8]
	v_fma_f64 v[1:2], v[1:2], v[116:117], v[113:114]
	buffer_store_dword v4, off, s[0:3], 0 offset:804
	buffer_store_dword v3, off, s[0:3], 0 offset:800
	;; [unrolled: 1-line block ×4, first 2 shown]
.LBB115_211:
	s_or_b32 exec_lo, exec_lo, s4
	v_mov_b32_e32 v4, s9
	s_waitcnt_vscnt null, 0x0
	s_barrier
	buffer_gl0_inv
	s_mov_b32 s4, exec_lo
	s_clause 0x3
	buffer_load_dword v1, v4, s[0:3], 0 offen
	buffer_load_dword v2, v4, s[0:3], 0 offen offset:4
	buffer_load_dword v3, v4, s[0:3], 0 offen offset:8
	;; [unrolled: 1-line block ×3, first 2 shown]
	s_waitcnt vmcnt(0)
	ds_write_b128 v5, v[1:4]
	s_waitcnt lgkmcnt(0)
	s_barrier
	buffer_gl0_inv
	v_cmpx_gt_u32_e32 50, v0
	s_cbranch_execz .LBB115_215
; %bb.212:
	v_mov_b32_e32 v1, 0
	v_mov_b32_e32 v3, 0
	v_add_nc_u32_e32 v7, -1, v0
	v_add_nc_u32_e32 v8, 0x340, v115
	v_mov_b32_e32 v2, 0
	v_mov_b32_e32 v4, 0
	v_add_nc_u32_e32 v113, 16, v115
	s_mov_b32 s5, 0
	.p2align	6
.LBB115_213:                            ; =>This Inner Loop Header: Depth=1
	s_clause 0x3
	buffer_load_dword v120, v113, s[0:3], 0 offen offset:8
	buffer_load_dword v121, v113, s[0:3], 0 offen offset:12
	buffer_load_dword v122, v113, s[0:3], 0 offen
	buffer_load_dword v123, v113, s[0:3], 0 offen offset:4
	ds_read_b128 v[116:119], v8
	v_add_nc_u32_e32 v7, 1, v7
	v_add_nc_u32_e32 v8, 16, v8
	;; [unrolled: 1-line block ×3, first 2 shown]
	v_cmp_lt_u32_e32 vcc_lo, 48, v7
	s_or_b32 s5, vcc_lo, s5
	s_waitcnt vmcnt(2) lgkmcnt(0)
	v_mul_f64 v[124:125], v[118:119], v[120:121]
	v_mul_f64 v[120:121], v[116:117], v[120:121]
	s_waitcnt vmcnt(0)
	v_fma_f64 v[116:117], v[116:117], v[122:123], -v[124:125]
	v_fma_f64 v[118:119], v[118:119], v[122:123], v[120:121]
	v_add_f64 v[3:4], v[3:4], v[116:117]
	v_add_f64 v[1:2], v[1:2], v[118:119]
	s_andn2_b32 exec_lo, exec_lo, s5
	s_cbranch_execnz .LBB115_213
; %bb.214:
	s_or_b32 exec_lo, exec_lo, s5
	v_mov_b32_e32 v7, 0
	ds_read_b128 v[116:119], v7 offset:800
	s_waitcnt lgkmcnt(0)
	v_mul_f64 v[7:8], v[1:2], v[118:119]
	v_mul_f64 v[113:114], v[3:4], v[118:119]
	v_fma_f64 v[3:4], v[3:4], v[116:117], -v[7:8]
	v_fma_f64 v[1:2], v[1:2], v[116:117], v[113:114]
	buffer_store_dword v4, off, s[0:3], 0 offset:820
	buffer_store_dword v3, off, s[0:3], 0 offset:816
	;; [unrolled: 1-line block ×4, first 2 shown]
.LBB115_215:
	s_or_b32 exec_lo, exec_lo, s4
	v_mov_b32_e32 v4, s8
	s_waitcnt_vscnt null, 0x0
	s_barrier
	buffer_gl0_inv
	s_mov_b32 s4, exec_lo
	s_clause 0x3
	buffer_load_dword v1, v4, s[0:3], 0 offen
	buffer_load_dword v2, v4, s[0:3], 0 offen offset:4
	buffer_load_dword v3, v4, s[0:3], 0 offen offset:8
	buffer_load_dword v4, v4, s[0:3], 0 offen offset:12
	s_waitcnt vmcnt(0)
	ds_write_b128 v5, v[1:4]
	s_waitcnt lgkmcnt(0)
	s_barrier
	buffer_gl0_inv
	v_cmpx_ne_u32_e32 51, v0
	s_cbranch_execz .LBB115_219
; %bb.216:
	v_mov_b32_e32 v1, 0
	v_mov_b32_e32 v3, 0
	;; [unrolled: 1-line block ×4, first 2 shown]
	v_add_nc_u32_e32 v7, 16, v115
	s_mov_b32 s5, 0
	.p2align	6
.LBB115_217:                            ; =>This Inner Loop Header: Depth=1
	s_clause 0x3
	buffer_load_dword v117, v7, s[0:3], 0 offen offset:8
	buffer_load_dword v118, v7, s[0:3], 0 offen offset:12
	buffer_load_dword v119, v7, s[0:3], 0 offen
	buffer_load_dword v120, v7, s[0:3], 0 offen offset:4
	ds_read_b128 v[113:116], v5
	v_add_nc_u32_e32 v6, 1, v6
	v_add_nc_u32_e32 v5, 16, v5
	;; [unrolled: 1-line block ×3, first 2 shown]
	v_cmp_lt_u32_e32 vcc_lo, 49, v6
	s_or_b32 s5, vcc_lo, s5
	s_waitcnt vmcnt(2) lgkmcnt(0)
	v_mul_f64 v[121:122], v[115:116], v[117:118]
	v_mul_f64 v[117:118], v[113:114], v[117:118]
	s_waitcnt vmcnt(0)
	v_fma_f64 v[113:114], v[113:114], v[119:120], -v[121:122]
	v_fma_f64 v[115:116], v[115:116], v[119:120], v[117:118]
	v_add_f64 v[3:4], v[3:4], v[113:114]
	v_add_f64 v[1:2], v[1:2], v[115:116]
	s_andn2_b32 exec_lo, exec_lo, s5
	s_cbranch_execnz .LBB115_217
; %bb.218:
	s_or_b32 exec_lo, exec_lo, s5
	v_mov_b32_e32 v5, 0
	ds_read_b128 v[5:8], v5 offset:816
	s_waitcnt lgkmcnt(0)
	v_mul_f64 v[113:114], v[1:2], v[7:8]
	v_mul_f64 v[7:8], v[3:4], v[7:8]
	v_fma_f64 v[3:4], v[3:4], v[5:6], -v[113:114]
	v_fma_f64 v[1:2], v[1:2], v[5:6], v[7:8]
	buffer_store_dword v4, off, s[0:3], 0 offset:836
	buffer_store_dword v3, off, s[0:3], 0 offset:832
	;; [unrolled: 1-line block ×4, first 2 shown]
.LBB115_219:
	s_or_b32 exec_lo, exec_lo, s4
	s_mov_b32 s5, -1
	s_waitcnt_vscnt null, 0x0
	s_barrier
	buffer_gl0_inv
.LBB115_220:
	s_and_b32 vcc_lo, exec_lo, s5
	s_cbranch_vccz .LBB115_222
; %bb.221:
	s_lshl_b64 s[4:5], s[6:7], 2
	v_mov_b32_e32 v1, 0
	s_add_u32 s4, s10, s4
	s_addc_u32 s5, s11, s5
	global_load_dword v1, v1, s[4:5]
	s_waitcnt vmcnt(0)
	v_cmp_ne_u32_e32 vcc_lo, 0, v1
	s_cbranch_vccz .LBB115_223
.LBB115_222:
	s_endpgm
.LBB115_223:
	v_lshl_add_u32 v173, v0, 4, 0x340
	s_mov_b32 s4, exec_lo
	v_cmpx_eq_u32_e32 51, v0
	s_cbranch_execz .LBB115_225
; %bb.224:
	v_mov_b32_e32 v4, s9
	v_mov_b32_e32 v5, 0
	s_clause 0x3
	buffer_load_dword v1, v4, s[0:3], 0 offen
	buffer_load_dword v2, v4, s[0:3], 0 offen offset:4
	buffer_load_dword v3, v4, s[0:3], 0 offen offset:8
	;; [unrolled: 1-line block ×3, first 2 shown]
	buffer_store_dword v5, off, s[0:3], 0 offset:816
	buffer_store_dword v5, off, s[0:3], 0 offset:820
	;; [unrolled: 1-line block ×4, first 2 shown]
	s_waitcnt vmcnt(0)
	ds_write_b128 v173, v[1:4]
.LBB115_225:
	s_or_b32 exec_lo, exec_lo, s4
	s_waitcnt lgkmcnt(0)
	s_waitcnt_vscnt null, 0x0
	s_barrier
	buffer_gl0_inv
	s_clause 0x7
	buffer_load_dword v6, off, s[0:3], 0 offset:840
	buffer_load_dword v7, off, s[0:3], 0 offset:844
	;; [unrolled: 1-line block ×8, first 2 shown]
	v_mov_b32_e32 v1, 0
	s_mov_b32 s4, exec_lo
	ds_read_b128 v[2:5], v1 offset:1648
	s_waitcnt vmcnt(6) lgkmcnt(0)
	v_mul_f64 v[119:120], v[4:5], v[6:7]
	v_mul_f64 v[6:7], v[2:3], v[6:7]
	s_waitcnt vmcnt(4)
	v_fma_f64 v[2:3], v[2:3], v[113:114], -v[119:120]
	v_fma_f64 v[4:5], v[4:5], v[113:114], v[6:7]
	v_add_f64 v[2:3], v[2:3], 0
	v_add_f64 v[4:5], v[4:5], 0
	s_waitcnt vmcnt(2)
	v_add_f64 v[2:3], v[115:116], -v[2:3]
	s_waitcnt vmcnt(0)
	v_add_f64 v[4:5], v[117:118], -v[4:5]
	buffer_store_dword v2, off, s[0:3], 0 offset:816
	buffer_store_dword v3, off, s[0:3], 0 offset:820
	;; [unrolled: 1-line block ×4, first 2 shown]
	v_cmpx_lt_u32_e32 49, v0
	s_cbranch_execz .LBB115_227
; %bb.226:
	v_mov_b32_e32 v5, s14
	s_clause 0x3
	buffer_load_dword v2, v5, s[0:3], 0 offen
	buffer_load_dword v3, v5, s[0:3], 0 offen offset:4
	buffer_load_dword v4, v5, s[0:3], 0 offen offset:8
	;; [unrolled: 1-line block ×3, first 2 shown]
	buffer_store_dword v1, off, s[0:3], 0 offset:800
	buffer_store_dword v1, off, s[0:3], 0 offset:804
	;; [unrolled: 1-line block ×4, first 2 shown]
	s_waitcnt vmcnt(0)
	ds_write_b128 v173, v[2:5]
.LBB115_227:
	s_or_b32 exec_lo, exec_lo, s4
	s_waitcnt lgkmcnt(0)
	s_waitcnt_vscnt null, 0x0
	s_barrier
	buffer_gl0_inv
	s_clause 0xb
	buffer_load_dword v6, off, s[0:3], 0 offset:824
	buffer_load_dword v7, off, s[0:3], 0 offset:828
	;; [unrolled: 1-line block ×12, first 2 shown]
	ds_read_b128 v[2:5], v1 offset:1632
	ds_read_b128 v[113:116], v1 offset:1648
	s_mov_b32 s4, exec_lo
	s_waitcnt vmcnt(10) lgkmcnt(1)
	v_mul_f64 v[127:128], v[4:5], v[6:7]
	v_mul_f64 v[6:7], v[2:3], v[6:7]
	s_waitcnt vmcnt(8) lgkmcnt(0)
	v_mul_f64 v[129:130], v[115:116], v[117:118]
	v_mul_f64 v[117:118], v[113:114], v[117:118]
	s_waitcnt vmcnt(6)
	v_fma_f64 v[1:2], v[2:3], v[119:120], -v[127:128]
	v_fma_f64 v[3:4], v[4:5], v[119:120], v[6:7]
	s_waitcnt vmcnt(4)
	v_fma_f64 v[5:6], v[113:114], v[121:122], -v[129:130]
	v_fma_f64 v[7:8], v[115:116], v[121:122], v[117:118]
	v_add_f64 v[1:2], v[1:2], 0
	v_add_f64 v[3:4], v[3:4], 0
	;; [unrolled: 1-line block ×4, first 2 shown]
	s_waitcnt vmcnt(2)
	v_add_f64 v[1:2], v[123:124], -v[1:2]
	s_waitcnt vmcnt(0)
	v_add_f64 v[3:4], v[125:126], -v[3:4]
	buffer_store_dword v1, off, s[0:3], 0 offset:800
	buffer_store_dword v2, off, s[0:3], 0 offset:804
	;; [unrolled: 1-line block ×4, first 2 shown]
	v_cmpx_lt_u32_e32 48, v0
	s_cbranch_execz .LBB115_229
; %bb.228:
	v_mov_b32_e32 v4, s15
	v_mov_b32_e32 v5, 0
	s_clause 0x3
	buffer_load_dword v1, v4, s[0:3], 0 offen
	buffer_load_dword v2, v4, s[0:3], 0 offen offset:4
	buffer_load_dword v3, v4, s[0:3], 0 offen offset:8
	;; [unrolled: 1-line block ×3, first 2 shown]
	buffer_store_dword v5, off, s[0:3], 0 offset:784
	buffer_store_dword v5, off, s[0:3], 0 offset:788
	;; [unrolled: 1-line block ×4, first 2 shown]
	s_waitcnt vmcnt(0)
	ds_write_b128 v173, v[1:4]
.LBB115_229:
	s_or_b32 exec_lo, exec_lo, s4
	s_waitcnt lgkmcnt(0)
	s_waitcnt_vscnt null, 0x0
	s_barrier
	buffer_gl0_inv
	s_clause 0xf
	buffer_load_dword v6, off, s[0:3], 0 offset:808
	buffer_load_dword v7, off, s[0:3], 0 offset:812
	;; [unrolled: 1-line block ×16, first 2 shown]
	v_mov_b32_e32 v1, 0
	ds_read_b128 v[2:5], v1 offset:1616
	ds_read_b128 v[113:116], v1 offset:1632
	;; [unrolled: 1-line block ×3, first 2 shown]
	s_mov_b32 s4, exec_lo
	s_waitcnt vmcnt(14) lgkmcnt(2)
	v_mul_f64 v[135:136], v[4:5], v[6:7]
	v_mul_f64 v[6:7], v[2:3], v[6:7]
	s_waitcnt vmcnt(12) lgkmcnt(1)
	v_mul_f64 v[137:138], v[115:116], v[121:122]
	v_mul_f64 v[121:122], v[113:114], v[121:122]
	s_waitcnt vmcnt(10)
	v_fma_f64 v[2:3], v[2:3], v[123:124], -v[135:136]
	v_fma_f64 v[4:5], v[4:5], v[123:124], v[6:7]
	s_waitcnt vmcnt(8) lgkmcnt(0)
	v_mul_f64 v[123:124], v[119:120], v[125:126]
	s_waitcnt vmcnt(6)
	v_fma_f64 v[113:114], v[113:114], v[127:128], -v[137:138]
	v_mul_f64 v[6:7], v[117:118], v[125:126]
	v_fma_f64 v[115:116], v[115:116], v[127:128], v[121:122]
	v_add_f64 v[2:3], v[2:3], 0
	v_add_f64 v[4:5], v[4:5], 0
	s_waitcnt vmcnt(4)
	v_fma_f64 v[117:118], v[117:118], v[129:130], -v[123:124]
	v_fma_f64 v[6:7], v[119:120], v[129:130], v[6:7]
	v_add_f64 v[2:3], v[2:3], v[113:114]
	v_add_f64 v[4:5], v[4:5], v[115:116]
	;; [unrolled: 1-line block ×4, first 2 shown]
	s_waitcnt vmcnt(2)
	v_add_f64 v[2:3], v[131:132], -v[2:3]
	s_waitcnt vmcnt(0)
	v_add_f64 v[4:5], v[133:134], -v[4:5]
	buffer_store_dword v2, off, s[0:3], 0 offset:784
	buffer_store_dword v3, off, s[0:3], 0 offset:788
	;; [unrolled: 1-line block ×4, first 2 shown]
	v_cmpx_lt_u32_e32 47, v0
	s_cbranch_execz .LBB115_231
; %bb.230:
	v_mov_b32_e32 v5, s16
	s_clause 0x3
	buffer_load_dword v2, v5, s[0:3], 0 offen
	buffer_load_dword v3, v5, s[0:3], 0 offen offset:4
	buffer_load_dword v4, v5, s[0:3], 0 offen offset:8
	;; [unrolled: 1-line block ×3, first 2 shown]
	buffer_store_dword v1, off, s[0:3], 0 offset:768
	buffer_store_dword v1, off, s[0:3], 0 offset:772
	;; [unrolled: 1-line block ×4, first 2 shown]
	s_waitcnt vmcnt(0)
	ds_write_b128 v173, v[2:5]
.LBB115_231:
	s_or_b32 exec_lo, exec_lo, s4
	s_waitcnt lgkmcnt(0)
	s_waitcnt_vscnt null, 0x0
	s_barrier
	buffer_gl0_inv
	s_clause 0x13
	buffer_load_dword v6, off, s[0:3], 0 offset:792
	buffer_load_dword v7, off, s[0:3], 0 offset:796
	;; [unrolled: 1-line block ×20, first 2 shown]
	ds_read_b128 v[2:5], v1 offset:1600
	ds_read_b128 v[113:116], v1 offset:1616
	;; [unrolled: 1-line block ×3, first 2 shown]
	s_mov_b32 s4, exec_lo
	s_waitcnt vmcnt(18) lgkmcnt(2)
	v_mul_f64 v[139:140], v[4:5], v[6:7]
	v_mul_f64 v[6:7], v[2:3], v[6:7]
	s_waitcnt vmcnt(16) lgkmcnt(1)
	v_mul_f64 v[141:142], v[115:116], v[121:122]
	v_mul_f64 v[121:122], v[113:114], v[121:122]
	s_waitcnt vmcnt(14)
	v_fma_f64 v[139:140], v[2:3], v[123:124], -v[139:140]
	v_fma_f64 v[5:6], v[4:5], v[123:124], v[6:7]
	s_waitcnt vmcnt(12) lgkmcnt(0)
	v_mul_f64 v[7:8], v[117:118], v[125:126]
	v_mul_f64 v[123:124], v[119:120], v[125:126]
	s_waitcnt vmcnt(10)
	v_fma_f64 v[113:114], v[113:114], v[127:128], -v[141:142]
	ds_read_b128 v[1:4], v1 offset:1648
	v_fma_f64 v[115:116], v[115:116], v[127:128], v[121:122]
	v_add_f64 v[125:126], v[139:140], 0
	v_add_f64 v[5:6], v[5:6], 0
	s_waitcnt vmcnt(6)
	v_fma_f64 v[7:8], v[119:120], v[131:132], v[7:8]
	s_waitcnt lgkmcnt(0)
	v_mul_f64 v[127:128], v[3:4], v[129:130]
	v_fma_f64 v[117:118], v[117:118], v[131:132], -v[123:124]
	v_mul_f64 v[121:122], v[1:2], v[129:130]
	v_add_f64 v[113:114], v[125:126], v[113:114]
	v_add_f64 v[5:6], v[5:6], v[115:116]
	s_waitcnt vmcnt(4)
	v_fma_f64 v[1:2], v[1:2], v[133:134], -v[127:128]
	v_fma_f64 v[3:4], v[3:4], v[133:134], v[121:122]
	v_add_f64 v[113:114], v[113:114], v[117:118]
	v_add_f64 v[5:6], v[5:6], v[7:8]
	;; [unrolled: 1-line block ×4, first 2 shown]
	s_waitcnt vmcnt(2)
	v_add_f64 v[1:2], v[135:136], -v[1:2]
	s_waitcnt vmcnt(0)
	v_add_f64 v[3:4], v[137:138], -v[3:4]
	buffer_store_dword v1, off, s[0:3], 0 offset:768
	buffer_store_dword v2, off, s[0:3], 0 offset:772
	;; [unrolled: 1-line block ×4, first 2 shown]
	v_cmpx_lt_u32_e32 46, v0
	s_cbranch_execz .LBB115_233
; %bb.232:
	v_mov_b32_e32 v4, s17
	v_mov_b32_e32 v5, 0
	s_clause 0x3
	buffer_load_dword v1, v4, s[0:3], 0 offen
	buffer_load_dword v2, v4, s[0:3], 0 offen offset:4
	buffer_load_dword v3, v4, s[0:3], 0 offen offset:8
	;; [unrolled: 1-line block ×3, first 2 shown]
	buffer_store_dword v5, off, s[0:3], 0 offset:752
	buffer_store_dword v5, off, s[0:3], 0 offset:756
	;; [unrolled: 1-line block ×4, first 2 shown]
	s_waitcnt vmcnt(0)
	ds_write_b128 v173, v[1:4]
.LBB115_233:
	s_or_b32 exec_lo, exec_lo, s4
	s_waitcnt lgkmcnt(0)
	s_waitcnt_vscnt null, 0x0
	s_barrier
	buffer_gl0_inv
	s_clause 0x17
	buffer_load_dword v6, off, s[0:3], 0 offset:776
	buffer_load_dword v7, off, s[0:3], 0 offset:780
	;; [unrolled: 1-line block ×24, first 2 shown]
	v_mov_b32_e32 v1, 0
	ds_read_b128 v[2:5], v1 offset:1584
	ds_read_b128 v[113:116], v1 offset:1600
	;; [unrolled: 1-line block ×3, first 2 shown]
	s_mov_b32 s4, exec_lo
	s_waitcnt vmcnt(22) lgkmcnt(2)
	v_mul_f64 v[143:144], v[4:5], v[6:7]
	v_mul_f64 v[6:7], v[2:3], v[6:7]
	s_waitcnt vmcnt(20) lgkmcnt(1)
	v_mul_f64 v[145:146], v[115:116], v[121:122]
	v_mul_f64 v[121:122], v[113:114], v[121:122]
	s_waitcnt vmcnt(18)
	v_fma_f64 v[143:144], v[2:3], v[123:124], -v[143:144]
	v_fma_f64 v[6:7], v[4:5], v[123:124], v[6:7]
	ds_read_b128 v[2:5], v1 offset:1632
	s_waitcnt vmcnt(16) lgkmcnt(1)
	v_mul_f64 v[123:124], v[117:118], v[125:126]
	v_mul_f64 v[125:126], v[119:120], v[125:126]
	s_waitcnt vmcnt(14)
	v_fma_f64 v[145:146], v[113:114], v[127:128], -v[145:146]
	v_fma_f64 v[121:122], v[115:116], v[127:128], v[121:122]
	ds_read_b128 v[113:116], v1 offset:1648
	s_waitcnt vmcnt(10) lgkmcnt(1)
	v_mul_f64 v[127:128], v[2:3], v[129:130]
	v_add_f64 v[143:144], v[143:144], 0
	v_add_f64 v[6:7], v[6:7], 0
	v_mul_f64 v[129:130], v[4:5], v[129:130]
	s_waitcnt vmcnt(8)
	v_fma_f64 v[117:118], v[117:118], v[135:136], -v[125:126]
	v_fma_f64 v[119:120], v[119:120], v[135:136], v[123:124]
	s_waitcnt vmcnt(7) lgkmcnt(0)
	v_mul_f64 v[123:124], v[115:116], v[131:132]
	s_waitcnt vmcnt(5)
	v_fma_f64 v[4:5], v[4:5], v[137:138], v[127:128]
	v_add_f64 v[125:126], v[143:144], v[145:146]
	v_add_f64 v[6:7], v[6:7], v[121:122]
	v_fma_f64 v[2:3], v[2:3], v[137:138], -v[129:130]
	v_mul_f64 v[121:122], v[113:114], v[131:132]
	s_waitcnt vmcnt(4)
	v_fma_f64 v[113:114], v[113:114], v[133:134], -v[123:124]
	v_add_f64 v[117:118], v[125:126], v[117:118]
	v_add_f64 v[6:7], v[6:7], v[119:120]
	v_fma_f64 v[115:116], v[115:116], v[133:134], v[121:122]
	v_add_f64 v[2:3], v[117:118], v[2:3]
	v_add_f64 v[4:5], v[6:7], v[4:5]
	;; [unrolled: 1-line block ×4, first 2 shown]
	s_waitcnt vmcnt(2)
	v_add_f64 v[2:3], v[139:140], -v[2:3]
	s_waitcnt vmcnt(0)
	v_add_f64 v[4:5], v[141:142], -v[4:5]
	buffer_store_dword v3, off, s[0:3], 0 offset:756
	buffer_store_dword v2, off, s[0:3], 0 offset:752
	;; [unrolled: 1-line block ×4, first 2 shown]
	v_cmpx_lt_u32_e32 45, v0
	s_cbranch_execz .LBB115_235
; %bb.234:
	v_mov_b32_e32 v5, s18
	s_clause 0x3
	buffer_load_dword v2, v5, s[0:3], 0 offen
	buffer_load_dword v3, v5, s[0:3], 0 offen offset:4
	buffer_load_dword v4, v5, s[0:3], 0 offen offset:8
	buffer_load_dword v5, v5, s[0:3], 0 offen offset:12
	buffer_store_dword v1, off, s[0:3], 0 offset:736
	buffer_store_dword v1, off, s[0:3], 0 offset:740
	;; [unrolled: 1-line block ×4, first 2 shown]
	s_waitcnt vmcnt(0)
	ds_write_b128 v173, v[2:5]
.LBB115_235:
	s_or_b32 exec_lo, exec_lo, s4
	s_waitcnt lgkmcnt(0)
	s_waitcnt_vscnt null, 0x0
	s_barrier
	buffer_gl0_inv
	s_clause 0x1b
	buffer_load_dword v6, off, s[0:3], 0 offset:760
	buffer_load_dword v7, off, s[0:3], 0 offset:764
	;; [unrolled: 1-line block ×28, first 2 shown]
	ds_read_b128 v[2:5], v1 offset:1568
	ds_read_b128 v[113:116], v1 offset:1584
	;; [unrolled: 1-line block ×3, first 2 shown]
	s_mov_b32 s4, exec_lo
	s_waitcnt vmcnt(26) lgkmcnt(2)
	v_mul_f64 v[147:148], v[4:5], v[6:7]
	v_mul_f64 v[6:7], v[2:3], v[6:7]
	s_waitcnt vmcnt(24) lgkmcnt(1)
	v_mul_f64 v[149:150], v[115:116], v[121:122]
	v_mul_f64 v[121:122], v[113:114], v[121:122]
	s_waitcnt vmcnt(22)
	v_fma_f64 v[147:148], v[2:3], v[123:124], -v[147:148]
	v_fma_f64 v[6:7], v[4:5], v[123:124], v[6:7]
	ds_read_b128 v[2:5], v1 offset:1616
	s_waitcnt vmcnt(20) lgkmcnt(1)
	v_mul_f64 v[123:124], v[117:118], v[125:126]
	v_mul_f64 v[125:126], v[119:120], v[125:126]
	s_waitcnt vmcnt(18)
	v_fma_f64 v[149:150], v[113:114], v[127:128], -v[149:150]
	v_fma_f64 v[121:122], v[115:116], v[127:128], v[121:122]
	ds_read_b128 v[113:116], v1 offset:1632
	s_waitcnt vmcnt(14) lgkmcnt(1)
	v_mul_f64 v[127:128], v[2:3], v[129:130]
	v_add_f64 v[147:148], v[147:148], 0
	v_add_f64 v[6:7], v[6:7], 0
	v_mul_f64 v[129:130], v[4:5], v[129:130]
	s_waitcnt vmcnt(12)
	v_fma_f64 v[125:126], v[117:118], v[135:136], -v[125:126]
	v_fma_f64 v[123:124], v[119:120], v[135:136], v[123:124]
	ds_read_b128 v[117:120], v1 offset:1648
	v_add_f64 v[147:148], v[147:148], v[149:150]
	v_add_f64 v[6:7], v[6:7], v[121:122]
	s_waitcnt vmcnt(11) lgkmcnt(1)
	v_mul_f64 v[121:122], v[113:114], v[131:132]
	v_mul_f64 v[131:132], v[115:116], v[131:132]
	s_waitcnt vmcnt(9)
	v_fma_f64 v[1:2], v[2:3], v[137:138], -v[129:130]
	v_fma_f64 v[3:4], v[4:5], v[137:138], v[127:128]
	v_add_f64 v[125:126], v[147:148], v[125:126]
	v_add_f64 v[5:6], v[6:7], v[123:124]
	s_waitcnt vmcnt(7) lgkmcnt(0)
	v_mul_f64 v[123:124], v[119:120], v[139:140]
	s_waitcnt vmcnt(6)
	v_fma_f64 v[113:114], v[113:114], v[133:134], -v[131:132]
	v_mul_f64 v[7:8], v[117:118], v[139:140]
	v_fma_f64 v[115:116], v[115:116], v[133:134], v[121:122]
	v_add_f64 v[1:2], v[125:126], v[1:2]
	v_add_f64 v[3:4], v[5:6], v[3:4]
	s_waitcnt vmcnt(4)
	v_fma_f64 v[5:6], v[117:118], v[141:142], -v[123:124]
	v_fma_f64 v[7:8], v[119:120], v[141:142], v[7:8]
	v_add_f64 v[1:2], v[1:2], v[113:114]
	v_add_f64 v[3:4], v[3:4], v[115:116]
	;; [unrolled: 1-line block ×4, first 2 shown]
	s_waitcnt vmcnt(2)
	v_add_f64 v[1:2], v[143:144], -v[1:2]
	s_waitcnt vmcnt(0)
	v_add_f64 v[3:4], v[145:146], -v[3:4]
	buffer_store_dword v2, off, s[0:3], 0 offset:740
	buffer_store_dword v1, off, s[0:3], 0 offset:736
	;; [unrolled: 1-line block ×4, first 2 shown]
	v_cmpx_lt_u32_e32 44, v0
	s_cbranch_execz .LBB115_237
; %bb.236:
	v_mov_b32_e32 v4, s19
	v_mov_b32_e32 v5, 0
	s_clause 0x3
	buffer_load_dword v1, v4, s[0:3], 0 offen
	buffer_load_dword v2, v4, s[0:3], 0 offen offset:4
	buffer_load_dword v3, v4, s[0:3], 0 offen offset:8
	;; [unrolled: 1-line block ×3, first 2 shown]
	buffer_store_dword v5, off, s[0:3], 0 offset:720
	buffer_store_dword v5, off, s[0:3], 0 offset:724
	;; [unrolled: 1-line block ×4, first 2 shown]
	s_waitcnt vmcnt(0)
	ds_write_b128 v173, v[1:4]
.LBB115_237:
	s_or_b32 exec_lo, exec_lo, s4
	s_waitcnt lgkmcnt(0)
	s_waitcnt_vscnt null, 0x0
	s_barrier
	buffer_gl0_inv
	s_clause 0x1f
	buffer_load_dword v6, off, s[0:3], 0 offset:744
	buffer_load_dword v7, off, s[0:3], 0 offset:748
	;; [unrolled: 1-line block ×32, first 2 shown]
	v_mov_b32_e32 v1, 0
	ds_read_b128 v[2:5], v1 offset:1552
	ds_read_b128 v[113:116], v1 offset:1568
	;; [unrolled: 1-line block ×3, first 2 shown]
	s_mov_b32 s4, exec_lo
	s_waitcnt vmcnt(30) lgkmcnt(2)
	v_mul_f64 v[151:152], v[4:5], v[6:7]
	v_mul_f64 v[6:7], v[2:3], v[6:7]
	s_waitcnt vmcnt(28) lgkmcnt(1)
	v_mul_f64 v[153:154], v[115:116], v[121:122]
	v_mul_f64 v[121:122], v[113:114], v[121:122]
	s_waitcnt vmcnt(26)
	v_fma_f64 v[151:152], v[2:3], v[123:124], -v[151:152]
	v_fma_f64 v[6:7], v[4:5], v[123:124], v[6:7]
	ds_read_b128 v[2:5], v1 offset:1600
	s_waitcnt vmcnt(24) lgkmcnt(1)
	v_mul_f64 v[123:124], v[117:118], v[125:126]
	v_mul_f64 v[125:126], v[119:120], v[125:126]
	s_waitcnt vmcnt(22)
	v_fma_f64 v[153:154], v[113:114], v[127:128], -v[153:154]
	v_fma_f64 v[121:122], v[115:116], v[127:128], v[121:122]
	ds_read_b128 v[113:116], v1 offset:1616
	s_waitcnt vmcnt(18) lgkmcnt(1)
	v_mul_f64 v[127:128], v[2:3], v[129:130]
	v_add_f64 v[151:152], v[151:152], 0
	v_add_f64 v[6:7], v[6:7], 0
	v_mul_f64 v[129:130], v[4:5], v[129:130]
	s_waitcnt vmcnt(16)
	v_fma_f64 v[125:126], v[117:118], v[135:136], -v[125:126]
	v_fma_f64 v[123:124], v[119:120], v[135:136], v[123:124]
	ds_read_b128 v[117:120], v1 offset:1632
	s_waitcnt vmcnt(13)
	v_fma_f64 v[127:128], v[4:5], v[137:138], v[127:128]
	v_add_f64 v[151:152], v[151:152], v[153:154]
	v_add_f64 v[6:7], v[6:7], v[121:122]
	s_waitcnt lgkmcnt(1)
	v_mul_f64 v[121:122], v[113:114], v[131:132]
	v_mul_f64 v[131:132], v[115:116], v[131:132]
	v_fma_f64 v[129:130], v[2:3], v[137:138], -v[129:130]
	s_waitcnt vmcnt(9) lgkmcnt(0)
	v_mul_f64 v[135:136], v[119:120], v[139:140]
	ds_read_b128 v[2:5], v1 offset:1648
	v_add_f64 v[125:126], v[151:152], v[125:126]
	v_add_f64 v[6:7], v[6:7], v[123:124]
	v_mul_f64 v[123:124], v[117:118], v[139:140]
	s_waitcnt vmcnt(8)
	v_fma_f64 v[113:114], v[113:114], v[133:134], -v[131:132]
	v_fma_f64 v[115:116], v[115:116], v[133:134], v[121:122]
	s_waitcnt vmcnt(5)
	v_fma_f64 v[117:118], v[117:118], v[145:146], -v[135:136]
	s_waitcnt lgkmcnt(0)
	v_mul_f64 v[121:122], v[2:3], v[141:142]
	v_add_f64 v[125:126], v[125:126], v[129:130]
	v_add_f64 v[6:7], v[6:7], v[127:128]
	v_mul_f64 v[127:128], v[4:5], v[141:142]
	v_fma_f64 v[119:120], v[119:120], v[145:146], v[123:124]
	s_waitcnt vmcnt(4)
	v_fma_f64 v[4:5], v[4:5], v[143:144], v[121:122]
	v_add_f64 v[113:114], v[125:126], v[113:114]
	v_add_f64 v[6:7], v[6:7], v[115:116]
	v_fma_f64 v[2:3], v[2:3], v[143:144], -v[127:128]
	v_add_f64 v[113:114], v[113:114], v[117:118]
	v_add_f64 v[6:7], v[6:7], v[119:120]
	;; [unrolled: 1-line block ×4, first 2 shown]
	s_waitcnt vmcnt(2)
	v_add_f64 v[2:3], v[147:148], -v[2:3]
	s_waitcnt vmcnt(0)
	v_add_f64 v[4:5], v[149:150], -v[4:5]
	buffer_store_dword v3, off, s[0:3], 0 offset:724
	buffer_store_dword v2, off, s[0:3], 0 offset:720
	;; [unrolled: 1-line block ×4, first 2 shown]
	v_cmpx_lt_u32_e32 43, v0
	s_cbranch_execz .LBB115_239
; %bb.238:
	v_mov_b32_e32 v5, s20
	s_clause 0x3
	buffer_load_dword v2, v5, s[0:3], 0 offen
	buffer_load_dword v3, v5, s[0:3], 0 offen offset:4
	buffer_load_dword v4, v5, s[0:3], 0 offen offset:8
	;; [unrolled: 1-line block ×3, first 2 shown]
	buffer_store_dword v1, off, s[0:3], 0 offset:704
	buffer_store_dword v1, off, s[0:3], 0 offset:708
	;; [unrolled: 1-line block ×4, first 2 shown]
	s_waitcnt vmcnt(0)
	ds_write_b128 v173, v[2:5]
.LBB115_239:
	s_or_b32 exec_lo, exec_lo, s4
	s_waitcnt lgkmcnt(0)
	s_waitcnt_vscnt null, 0x0
	s_barrier
	buffer_gl0_inv
	s_clause 0x23
	buffer_load_dword v6, off, s[0:3], 0 offset:728
	buffer_load_dword v7, off, s[0:3], 0 offset:732
	;; [unrolled: 1-line block ×36, first 2 shown]
	ds_read_b128 v[2:5], v1 offset:1536
	ds_read_b128 v[113:116], v1 offset:1552
	;; [unrolled: 1-line block ×3, first 2 shown]
	s_mov_b32 s4, exec_lo
	s_waitcnt vmcnt(34) lgkmcnt(2)
	v_mul_f64 v[155:156], v[4:5], v[6:7]
	v_mul_f64 v[6:7], v[2:3], v[6:7]
	s_waitcnt vmcnt(32) lgkmcnt(1)
	v_mul_f64 v[157:158], v[115:116], v[121:122]
	v_mul_f64 v[121:122], v[113:114], v[121:122]
	s_waitcnt vmcnt(30)
	v_fma_f64 v[155:156], v[2:3], v[123:124], -v[155:156]
	v_fma_f64 v[6:7], v[4:5], v[123:124], v[6:7]
	ds_read_b128 v[2:5], v1 offset:1584
	s_waitcnt vmcnt(28) lgkmcnt(1)
	v_mul_f64 v[123:124], v[117:118], v[125:126]
	v_mul_f64 v[125:126], v[119:120], v[125:126]
	s_waitcnt vmcnt(26)
	v_fma_f64 v[157:158], v[113:114], v[127:128], -v[157:158]
	v_fma_f64 v[121:122], v[115:116], v[127:128], v[121:122]
	ds_read_b128 v[113:116], v1 offset:1600
	s_waitcnt vmcnt(22) lgkmcnt(1)
	v_mul_f64 v[127:128], v[2:3], v[129:130]
	v_add_f64 v[155:156], v[155:156], 0
	v_add_f64 v[6:7], v[6:7], 0
	v_mul_f64 v[129:130], v[4:5], v[129:130]
	s_waitcnt vmcnt(20)
	v_fma_f64 v[125:126], v[117:118], v[135:136], -v[125:126]
	v_fma_f64 v[123:124], v[119:120], v[135:136], v[123:124]
	ds_read_b128 v[117:120], v1 offset:1616
	s_waitcnt vmcnt(17)
	v_fma_f64 v[127:128], v[4:5], v[137:138], v[127:128]
	v_add_f64 v[155:156], v[155:156], v[157:158]
	v_add_f64 v[6:7], v[6:7], v[121:122]
	s_waitcnt lgkmcnt(1)
	v_mul_f64 v[121:122], v[113:114], v[131:132]
	v_mul_f64 v[131:132], v[115:116], v[131:132]
	v_fma_f64 v[129:130], v[2:3], v[137:138], -v[129:130]
	s_waitcnt vmcnt(13) lgkmcnt(0)
	v_mul_f64 v[135:136], v[119:120], v[139:140]
	ds_read_b128 v[2:5], v1 offset:1632
	v_add_f64 v[125:126], v[155:156], v[125:126]
	v_add_f64 v[6:7], v[6:7], v[123:124]
	v_mul_f64 v[123:124], v[117:118], v[139:140]
	s_waitcnt vmcnt(12)
	v_fma_f64 v[131:132], v[113:114], v[133:134], -v[131:132]
	v_fma_f64 v[121:122], v[115:116], v[133:134], v[121:122]
	ds_read_b128 v[113:116], v1 offset:1648
	s_waitcnt vmcnt(9)
	v_fma_f64 v[117:118], v[117:118], v[145:146], -v[135:136]
	v_add_f64 v[125:126], v[125:126], v[129:130]
	v_add_f64 v[6:7], v[6:7], v[127:128]
	s_waitcnt lgkmcnt(1)
	v_mul_f64 v[129:130], v[4:5], v[141:142]
	v_mul_f64 v[127:128], v[2:3], v[141:142]
	v_fma_f64 v[119:120], v[119:120], v[145:146], v[123:124]
	s_waitcnt vmcnt(7) lgkmcnt(0)
	v_mul_f64 v[123:124], v[115:116], v[147:148]
	v_add_f64 v[125:126], v[125:126], v[131:132]
	v_add_f64 v[6:7], v[6:7], v[121:122]
	s_waitcnt vmcnt(6)
	v_fma_f64 v[1:2], v[2:3], v[143:144], -v[129:130]
	v_mul_f64 v[121:122], v[113:114], v[147:148]
	v_fma_f64 v[3:4], v[4:5], v[143:144], v[127:128]
	v_add_f64 v[117:118], v[125:126], v[117:118]
	v_add_f64 v[5:6], v[6:7], v[119:120]
	s_waitcnt vmcnt(4)
	v_fma_f64 v[7:8], v[113:114], v[149:150], -v[123:124]
	v_fma_f64 v[113:114], v[115:116], v[149:150], v[121:122]
	v_add_f64 v[1:2], v[117:118], v[1:2]
	v_add_f64 v[3:4], v[5:6], v[3:4]
	;; [unrolled: 1-line block ×4, first 2 shown]
	s_waitcnt vmcnt(2)
	v_add_f64 v[1:2], v[151:152], -v[1:2]
	s_waitcnt vmcnt(0)
	v_add_f64 v[3:4], v[153:154], -v[3:4]
	buffer_store_dword v2, off, s[0:3], 0 offset:708
	buffer_store_dword v1, off, s[0:3], 0 offset:704
	;; [unrolled: 1-line block ×4, first 2 shown]
	v_cmpx_lt_u32_e32 42, v0
	s_cbranch_execz .LBB115_241
; %bb.240:
	v_mov_b32_e32 v4, s21
	v_mov_b32_e32 v5, 0
	s_clause 0x3
	buffer_load_dword v1, v4, s[0:3], 0 offen
	buffer_load_dword v2, v4, s[0:3], 0 offen offset:4
	buffer_load_dword v3, v4, s[0:3], 0 offen offset:8
	;; [unrolled: 1-line block ×3, first 2 shown]
	buffer_store_dword v5, off, s[0:3], 0 offset:688
	buffer_store_dword v5, off, s[0:3], 0 offset:692
	;; [unrolled: 1-line block ×4, first 2 shown]
	s_waitcnt vmcnt(0)
	ds_write_b128 v173, v[1:4]
.LBB115_241:
	s_or_b32 exec_lo, exec_lo, s4
	s_waitcnt lgkmcnt(0)
	s_waitcnt_vscnt null, 0x0
	s_barrier
	buffer_gl0_inv
	s_clause 0x27
	buffer_load_dword v6, off, s[0:3], 0 offset:712
	buffer_load_dword v7, off, s[0:3], 0 offset:716
	;; [unrolled: 1-line block ×40, first 2 shown]
	v_mov_b32_e32 v1, 0
	ds_read_b128 v[2:5], v1 offset:1520
	ds_read_b128 v[113:116], v1 offset:1536
	;; [unrolled: 1-line block ×3, first 2 shown]
	s_mov_b32 s4, exec_lo
	s_waitcnt vmcnt(38) lgkmcnt(2)
	v_mul_f64 v[159:160], v[4:5], v[6:7]
	v_mul_f64 v[6:7], v[2:3], v[6:7]
	s_waitcnt vmcnt(36) lgkmcnt(1)
	v_mul_f64 v[161:162], v[115:116], v[121:122]
	v_mul_f64 v[121:122], v[113:114], v[121:122]
	s_waitcnt vmcnt(34)
	v_fma_f64 v[159:160], v[2:3], v[123:124], -v[159:160]
	v_fma_f64 v[6:7], v[4:5], v[123:124], v[6:7]
	ds_read_b128 v[2:5], v1 offset:1568
	s_waitcnt vmcnt(32) lgkmcnt(1)
	v_mul_f64 v[123:124], v[117:118], v[125:126]
	v_mul_f64 v[125:126], v[119:120], v[125:126]
	s_waitcnt vmcnt(30)
	v_fma_f64 v[161:162], v[113:114], v[127:128], -v[161:162]
	v_fma_f64 v[121:122], v[115:116], v[127:128], v[121:122]
	ds_read_b128 v[113:116], v1 offset:1584
	s_waitcnt vmcnt(26) lgkmcnt(1)
	v_mul_f64 v[127:128], v[2:3], v[129:130]
	v_add_f64 v[159:160], v[159:160], 0
	v_add_f64 v[6:7], v[6:7], 0
	v_mul_f64 v[129:130], v[4:5], v[129:130]
	s_waitcnt vmcnt(24)
	v_fma_f64 v[125:126], v[117:118], v[135:136], -v[125:126]
	v_fma_f64 v[123:124], v[119:120], v[135:136], v[123:124]
	ds_read_b128 v[117:120], v1 offset:1600
	s_waitcnt vmcnt(21)
	v_fma_f64 v[127:128], v[4:5], v[137:138], v[127:128]
	v_add_f64 v[159:160], v[159:160], v[161:162]
	v_add_f64 v[6:7], v[6:7], v[121:122]
	s_waitcnt lgkmcnt(1)
	v_mul_f64 v[121:122], v[113:114], v[131:132]
	v_mul_f64 v[131:132], v[115:116], v[131:132]
	v_fma_f64 v[129:130], v[2:3], v[137:138], -v[129:130]
	s_waitcnt vmcnt(17) lgkmcnt(0)
	v_mul_f64 v[135:136], v[119:120], v[139:140]
	ds_read_b128 v[2:5], v1 offset:1616
	v_add_f64 v[125:126], v[159:160], v[125:126]
	v_add_f64 v[6:7], v[6:7], v[123:124]
	v_mul_f64 v[123:124], v[117:118], v[139:140]
	s_waitcnt vmcnt(16)
	v_fma_f64 v[131:132], v[113:114], v[133:134], -v[131:132]
	v_fma_f64 v[121:122], v[115:116], v[133:134], v[121:122]
	ds_read_b128 v[113:116], v1 offset:1632
	s_waitcnt vmcnt(13)
	v_fma_f64 v[133:134], v[117:118], v[145:146], -v[135:136]
	v_add_f64 v[125:126], v[125:126], v[129:130]
	v_add_f64 v[6:7], v[6:7], v[127:128]
	s_waitcnt lgkmcnt(1)
	v_mul_f64 v[129:130], v[4:5], v[141:142]
	v_mul_f64 v[127:128], v[2:3], v[141:142]
	v_fma_f64 v[123:124], v[119:120], v[145:146], v[123:124]
	ds_read_b128 v[117:120], v1 offset:1648
	v_add_f64 v[125:126], v[125:126], v[131:132]
	v_add_f64 v[6:7], v[6:7], v[121:122]
	s_waitcnt vmcnt(9) lgkmcnt(1)
	v_mul_f64 v[131:132], v[115:116], v[147:148]
	s_waitcnt vmcnt(8)
	v_fma_f64 v[2:3], v[2:3], v[143:144], -v[129:130]
	v_mul_f64 v[121:122], v[113:114], v[147:148]
	v_fma_f64 v[4:5], v[4:5], v[143:144], v[127:128]
	s_waitcnt vmcnt(7) lgkmcnt(0)
	v_mul_f64 v[127:128], v[119:120], v[149:150]
	v_add_f64 v[125:126], v[125:126], v[133:134]
	v_add_f64 v[6:7], v[6:7], v[123:124]
	s_waitcnt vmcnt(5)
	v_fma_f64 v[113:114], v[113:114], v[153:154], -v[131:132]
	v_mul_f64 v[123:124], v[117:118], v[149:150]
	v_fma_f64 v[115:116], v[115:116], v[153:154], v[121:122]
	v_add_f64 v[2:3], v[125:126], v[2:3]
	v_add_f64 v[4:5], v[6:7], v[4:5]
	s_waitcnt vmcnt(4)
	v_fma_f64 v[6:7], v[117:118], v[151:152], -v[127:128]
	v_add_f64 v[2:3], v[2:3], v[113:114]
	v_fma_f64 v[113:114], v[119:120], v[151:152], v[123:124]
	v_add_f64 v[4:5], v[4:5], v[115:116]
	v_add_f64 v[2:3], v[2:3], v[6:7]
	;; [unrolled: 1-line block ×3, first 2 shown]
	s_waitcnt vmcnt(2)
	v_add_f64 v[2:3], v[155:156], -v[2:3]
	s_waitcnt vmcnt(0)
	v_add_f64 v[4:5], v[157:158], -v[4:5]
	buffer_store_dword v3, off, s[0:3], 0 offset:692
	buffer_store_dword v2, off, s[0:3], 0 offset:688
	;; [unrolled: 1-line block ×4, first 2 shown]
	v_cmpx_lt_u32_e32 41, v0
	s_cbranch_execz .LBB115_243
; %bb.242:
	v_mov_b32_e32 v5, s22
	s_clause 0x3
	buffer_load_dword v2, v5, s[0:3], 0 offen
	buffer_load_dword v3, v5, s[0:3], 0 offen offset:4
	buffer_load_dword v4, v5, s[0:3], 0 offen offset:8
	;; [unrolled: 1-line block ×3, first 2 shown]
	buffer_store_dword v1, off, s[0:3], 0 offset:672
	buffer_store_dword v1, off, s[0:3], 0 offset:676
	;; [unrolled: 1-line block ×4, first 2 shown]
	s_waitcnt vmcnt(0)
	ds_write_b128 v173, v[2:5]
.LBB115_243:
	s_or_b32 exec_lo, exec_lo, s4
	s_waitcnt lgkmcnt(0)
	s_waitcnt_vscnt null, 0x0
	s_barrier
	buffer_gl0_inv
	s_clause 0x2b
	buffer_load_dword v6, off, s[0:3], 0 offset:696
	buffer_load_dword v7, off, s[0:3], 0 offset:700
	;; [unrolled: 1-line block ×44, first 2 shown]
	ds_read_b128 v[2:5], v1 offset:1504
	ds_read_b128 v[113:116], v1 offset:1520
	;; [unrolled: 1-line block ×3, first 2 shown]
	s_mov_b32 s4, exec_lo
	s_waitcnt vmcnt(42) lgkmcnt(2)
	v_mul_f64 v[163:164], v[4:5], v[6:7]
	v_mul_f64 v[6:7], v[2:3], v[6:7]
	s_waitcnt vmcnt(40) lgkmcnt(1)
	v_mul_f64 v[165:166], v[115:116], v[121:122]
	v_mul_f64 v[121:122], v[113:114], v[121:122]
	s_waitcnt vmcnt(38)
	v_fma_f64 v[163:164], v[2:3], v[123:124], -v[163:164]
	v_fma_f64 v[6:7], v[4:5], v[123:124], v[6:7]
	ds_read_b128 v[2:5], v1 offset:1552
	s_waitcnt vmcnt(36) lgkmcnt(1)
	v_mul_f64 v[123:124], v[117:118], v[125:126]
	v_mul_f64 v[125:126], v[119:120], v[125:126]
	s_waitcnt vmcnt(34)
	v_fma_f64 v[165:166], v[113:114], v[127:128], -v[165:166]
	v_fma_f64 v[121:122], v[115:116], v[127:128], v[121:122]
	ds_read_b128 v[113:116], v1 offset:1568
	s_waitcnt vmcnt(30) lgkmcnt(1)
	v_mul_f64 v[127:128], v[2:3], v[129:130]
	v_add_f64 v[163:164], v[163:164], 0
	v_add_f64 v[6:7], v[6:7], 0
	v_mul_f64 v[129:130], v[4:5], v[129:130]
	s_waitcnt vmcnt(28)
	v_fma_f64 v[125:126], v[117:118], v[135:136], -v[125:126]
	v_fma_f64 v[123:124], v[119:120], v[135:136], v[123:124]
	ds_read_b128 v[117:120], v1 offset:1584
	s_waitcnt vmcnt(25)
	v_fma_f64 v[127:128], v[4:5], v[137:138], v[127:128]
	v_add_f64 v[163:164], v[163:164], v[165:166]
	v_add_f64 v[6:7], v[6:7], v[121:122]
	s_waitcnt lgkmcnt(1)
	v_mul_f64 v[121:122], v[113:114], v[131:132]
	v_mul_f64 v[131:132], v[115:116], v[131:132]
	v_fma_f64 v[129:130], v[2:3], v[137:138], -v[129:130]
	s_waitcnt vmcnt(21) lgkmcnt(0)
	v_mul_f64 v[135:136], v[119:120], v[139:140]
	ds_read_b128 v[2:5], v1 offset:1600
	v_add_f64 v[125:126], v[163:164], v[125:126]
	v_add_f64 v[6:7], v[6:7], v[123:124]
	v_mul_f64 v[123:124], v[117:118], v[139:140]
	s_waitcnt vmcnt(20)
	v_fma_f64 v[131:132], v[113:114], v[133:134], -v[131:132]
	v_fma_f64 v[121:122], v[115:116], v[133:134], v[121:122]
	ds_read_b128 v[113:116], v1 offset:1616
	s_waitcnt vmcnt(17)
	v_fma_f64 v[133:134], v[117:118], v[145:146], -v[135:136]
	v_add_f64 v[125:126], v[125:126], v[129:130]
	v_add_f64 v[6:7], v[6:7], v[127:128]
	s_waitcnt lgkmcnt(1)
	v_mul_f64 v[129:130], v[4:5], v[141:142]
	v_mul_f64 v[127:128], v[2:3], v[141:142]
	v_fma_f64 v[123:124], v[119:120], v[145:146], v[123:124]
	ds_read_b128 v[117:120], v1 offset:1632
	v_add_f64 v[125:126], v[125:126], v[131:132]
	v_add_f64 v[6:7], v[6:7], v[121:122]
	s_waitcnt vmcnt(13) lgkmcnt(1)
	v_mul_f64 v[131:132], v[115:116], v[147:148]
	s_waitcnt vmcnt(12)
	v_fma_f64 v[129:130], v[2:3], v[143:144], -v[129:130]
	v_mul_f64 v[121:122], v[113:114], v[147:148]
	v_fma_f64 v[127:128], v[4:5], v[143:144], v[127:128]
	ds_read_b128 v[1:4], v1 offset:1648
	v_add_f64 v[125:126], v[125:126], v[133:134]
	v_add_f64 v[5:6], v[6:7], v[123:124]
	s_waitcnt vmcnt(11) lgkmcnt(1)
	v_mul_f64 v[123:124], v[119:120], v[149:150]
	s_waitcnt vmcnt(9)
	v_fma_f64 v[113:114], v[113:114], v[153:154], -v[131:132]
	v_mul_f64 v[7:8], v[117:118], v[149:150]
	v_fma_f64 v[115:116], v[115:116], v[153:154], v[121:122]
	s_waitcnt vmcnt(7) lgkmcnt(0)
	v_mul_f64 v[121:122], v[1:2], v[155:156]
	v_add_f64 v[125:126], v[125:126], v[129:130]
	v_add_f64 v[5:6], v[5:6], v[127:128]
	v_mul_f64 v[127:128], v[3:4], v[155:156]
	s_waitcnt vmcnt(6)
	v_fma_f64 v[117:118], v[117:118], v[151:152], -v[123:124]
	v_fma_f64 v[7:8], v[119:120], v[151:152], v[7:8]
	s_waitcnt vmcnt(4)
	v_fma_f64 v[3:4], v[3:4], v[157:158], v[121:122]
	v_add_f64 v[113:114], v[125:126], v[113:114]
	v_add_f64 v[5:6], v[5:6], v[115:116]
	v_fma_f64 v[1:2], v[1:2], v[157:158], -v[127:128]
	v_add_f64 v[113:114], v[113:114], v[117:118]
	v_add_f64 v[5:6], v[5:6], v[7:8]
	;; [unrolled: 1-line block ×4, first 2 shown]
	s_waitcnt vmcnt(2)
	v_add_f64 v[1:2], v[159:160], -v[1:2]
	s_waitcnt vmcnt(0)
	v_add_f64 v[3:4], v[161:162], -v[3:4]
	buffer_store_dword v2, off, s[0:3], 0 offset:676
	buffer_store_dword v1, off, s[0:3], 0 offset:672
	;; [unrolled: 1-line block ×4, first 2 shown]
	v_cmpx_lt_u32_e32 40, v0
	s_cbranch_execz .LBB115_245
; %bb.244:
	v_mov_b32_e32 v4, s23
	v_mov_b32_e32 v5, 0
	s_clause 0x3
	buffer_load_dword v1, v4, s[0:3], 0 offen
	buffer_load_dword v2, v4, s[0:3], 0 offen offset:4
	buffer_load_dword v3, v4, s[0:3], 0 offen offset:8
	;; [unrolled: 1-line block ×3, first 2 shown]
	buffer_store_dword v5, off, s[0:3], 0 offset:656
	buffer_store_dword v5, off, s[0:3], 0 offset:660
	;; [unrolled: 1-line block ×4, first 2 shown]
	s_waitcnt vmcnt(0)
	ds_write_b128 v173, v[1:4]
.LBB115_245:
	s_or_b32 exec_lo, exec_lo, s4
	s_waitcnt lgkmcnt(0)
	s_waitcnt_vscnt null, 0x0
	s_barrier
	buffer_gl0_inv
	s_clause 0x2f
	buffer_load_dword v6, off, s[0:3], 0 offset:680
	buffer_load_dword v7, off, s[0:3], 0 offset:684
	;; [unrolled: 1-line block ×48, first 2 shown]
	v_mov_b32_e32 v1, 0
	ds_read_b128 v[2:5], v1 offset:1488
	ds_read_b128 v[113:116], v1 offset:1504
	;; [unrolled: 1-line block ×3, first 2 shown]
	s_mov_b32 s4, exec_lo
	s_waitcnt vmcnt(46) lgkmcnt(2)
	v_mul_f64 v[167:168], v[4:5], v[6:7]
	v_mul_f64 v[6:7], v[2:3], v[6:7]
	s_waitcnt vmcnt(44) lgkmcnt(1)
	v_mul_f64 v[169:170], v[115:116], v[121:122]
	v_mul_f64 v[121:122], v[113:114], v[121:122]
	s_waitcnt vmcnt(42)
	v_fma_f64 v[167:168], v[2:3], v[123:124], -v[167:168]
	v_fma_f64 v[6:7], v[4:5], v[123:124], v[6:7]
	ds_read_b128 v[2:5], v1 offset:1536
	s_waitcnt vmcnt(40) lgkmcnt(1)
	v_mul_f64 v[123:124], v[117:118], v[125:126]
	v_mul_f64 v[125:126], v[119:120], v[125:126]
	s_waitcnt vmcnt(38)
	v_fma_f64 v[169:170], v[113:114], v[127:128], -v[169:170]
	v_fma_f64 v[121:122], v[115:116], v[127:128], v[121:122]
	ds_read_b128 v[113:116], v1 offset:1552
	s_waitcnt vmcnt(34) lgkmcnt(1)
	v_mul_f64 v[127:128], v[2:3], v[129:130]
	v_add_f64 v[167:168], v[167:168], 0
	v_add_f64 v[6:7], v[6:7], 0
	v_mul_f64 v[129:130], v[4:5], v[129:130]
	s_waitcnt vmcnt(32)
	v_fma_f64 v[125:126], v[117:118], v[135:136], -v[125:126]
	v_fma_f64 v[123:124], v[119:120], v[135:136], v[123:124]
	ds_read_b128 v[117:120], v1 offset:1568
	s_waitcnt vmcnt(29)
	v_fma_f64 v[127:128], v[4:5], v[137:138], v[127:128]
	v_add_f64 v[167:168], v[167:168], v[169:170]
	v_add_f64 v[6:7], v[6:7], v[121:122]
	s_waitcnt lgkmcnt(1)
	v_mul_f64 v[121:122], v[113:114], v[131:132]
	v_mul_f64 v[131:132], v[115:116], v[131:132]
	v_fma_f64 v[129:130], v[2:3], v[137:138], -v[129:130]
	s_waitcnt vmcnt(25) lgkmcnt(0)
	v_mul_f64 v[135:136], v[119:120], v[139:140]
	ds_read_b128 v[2:5], v1 offset:1584
	v_add_f64 v[125:126], v[167:168], v[125:126]
	v_add_f64 v[6:7], v[6:7], v[123:124]
	v_mul_f64 v[123:124], v[117:118], v[139:140]
	s_waitcnt vmcnt(24)
	v_fma_f64 v[131:132], v[113:114], v[133:134], -v[131:132]
	v_fma_f64 v[121:122], v[115:116], v[133:134], v[121:122]
	ds_read_b128 v[113:116], v1 offset:1600
	s_waitcnt vmcnt(21)
	v_fma_f64 v[133:134], v[117:118], v[145:146], -v[135:136]
	v_add_f64 v[125:126], v[125:126], v[129:130]
	v_add_f64 v[6:7], v[6:7], v[127:128]
	s_waitcnt lgkmcnt(1)
	v_mul_f64 v[129:130], v[4:5], v[141:142]
	v_mul_f64 v[127:128], v[2:3], v[141:142]
	v_fma_f64 v[123:124], v[119:120], v[145:146], v[123:124]
	ds_read_b128 v[117:120], v1 offset:1616
	v_add_f64 v[125:126], v[125:126], v[131:132]
	v_add_f64 v[6:7], v[6:7], v[121:122]
	s_waitcnt vmcnt(17) lgkmcnt(1)
	v_mul_f64 v[131:132], v[115:116], v[147:148]
	s_waitcnt vmcnt(16)
	v_fma_f64 v[129:130], v[2:3], v[143:144], -v[129:130]
	v_mul_f64 v[121:122], v[113:114], v[147:148]
	v_fma_f64 v[127:128], v[4:5], v[143:144], v[127:128]
	ds_read_b128 v[2:5], v1 offset:1632
	v_add_f64 v[125:126], v[125:126], v[133:134]
	v_add_f64 v[6:7], v[6:7], v[123:124]
	s_waitcnt vmcnt(15) lgkmcnt(1)
	v_mul_f64 v[133:134], v[119:120], v[149:150]
	s_waitcnt vmcnt(13)
	v_fma_f64 v[131:132], v[113:114], v[153:154], -v[131:132]
	;; [unrolled: 9-line block ×3, first 2 shown]
	v_mul_f64 v[127:128], v[2:3], v[155:156]
	v_fma_f64 v[119:120], v[119:120], v[151:152], v[123:124]
	s_waitcnt vmcnt(7) lgkmcnt(0)
	v_mul_f64 v[123:124], v[115:116], v[157:158]
	v_add_f64 v[125:126], v[125:126], v[131:132]
	v_add_f64 v[6:7], v[6:7], v[121:122]
	s_waitcnt vmcnt(5)
	v_fma_f64 v[2:3], v[2:3], v[161:162], -v[129:130]
	v_mul_f64 v[121:122], v[113:114], v[157:158]
	v_fma_f64 v[4:5], v[4:5], v[161:162], v[127:128]
	s_waitcnt vmcnt(4)
	v_fma_f64 v[113:114], v[113:114], v[159:160], -v[123:124]
	v_add_f64 v[117:118], v[125:126], v[117:118]
	v_add_f64 v[6:7], v[6:7], v[119:120]
	v_fma_f64 v[115:116], v[115:116], v[159:160], v[121:122]
	v_add_f64 v[2:3], v[117:118], v[2:3]
	v_add_f64 v[4:5], v[6:7], v[4:5]
	;; [unrolled: 1-line block ×4, first 2 shown]
	s_waitcnt vmcnt(2)
	v_add_f64 v[2:3], v[163:164], -v[2:3]
	s_waitcnt vmcnt(0)
	v_add_f64 v[4:5], v[165:166], -v[4:5]
	buffer_store_dword v3, off, s[0:3], 0 offset:660
	buffer_store_dword v2, off, s[0:3], 0 offset:656
	buffer_store_dword v5, off, s[0:3], 0 offset:668
	buffer_store_dword v4, off, s[0:3], 0 offset:664
	v_cmpx_lt_u32_e32 39, v0
	s_cbranch_execz .LBB115_247
; %bb.246:
	v_mov_b32_e32 v5, s24
	s_clause 0x3
	buffer_load_dword v2, v5, s[0:3], 0 offen
	buffer_load_dword v3, v5, s[0:3], 0 offen offset:4
	buffer_load_dword v4, v5, s[0:3], 0 offen offset:8
	;; [unrolled: 1-line block ×3, first 2 shown]
	buffer_store_dword v1, off, s[0:3], 0 offset:640
	buffer_store_dword v1, off, s[0:3], 0 offset:644
	;; [unrolled: 1-line block ×4, first 2 shown]
	s_waitcnt vmcnt(0)
	ds_write_b128 v173, v[2:5]
.LBB115_247:
	s_or_b32 exec_lo, exec_lo, s4
	s_waitcnt lgkmcnt(0)
	s_waitcnt_vscnt null, 0x0
	s_barrier
	buffer_gl0_inv
	s_clause 0x2f
	buffer_load_dword v6, off, s[0:3], 0 offset:664
	buffer_load_dword v7, off, s[0:3], 0 offset:668
	;; [unrolled: 1-line block ×48, first 2 shown]
	ds_read_b128 v[2:5], v1 offset:1472
	s_clause 0x3
	buffer_load_dword v167, off, s[0:3], 0 offset:640
	buffer_load_dword v168, off, s[0:3], 0 offset:644
	;; [unrolled: 1-line block ×4, first 2 shown]
	ds_read_b128 v[113:116], v1 offset:1488
	ds_read_b128 v[117:120], v1 offset:1504
	s_mov_b32 s4, exec_lo
	s_waitcnt vmcnt(50) lgkmcnt(2)
	v_mul_f64 v[171:172], v[4:5], v[6:7]
	v_mul_f64 v[6:7], v[2:3], v[6:7]
	s_waitcnt vmcnt(48) lgkmcnt(1)
	v_mul_f64 v[174:175], v[115:116], v[121:122]
	v_mul_f64 v[121:122], v[113:114], v[121:122]
	s_waitcnt vmcnt(46)
	v_fma_f64 v[171:172], v[2:3], v[123:124], -v[171:172]
	v_fma_f64 v[6:7], v[4:5], v[123:124], v[6:7]
	s_waitcnt vmcnt(44) lgkmcnt(0)
	v_mul_f64 v[123:124], v[117:118], v[125:126]
	v_mul_f64 v[125:126], v[119:120], v[125:126]
	s_waitcnt vmcnt(42)
	v_fma_f64 v[174:175], v[113:114], v[127:128], -v[174:175]
	ds_read_b128 v[2:5], v1 offset:1520
	v_fma_f64 v[121:122], v[115:116], v[127:128], v[121:122]
	ds_read_b128 v[113:116], v1 offset:1536
	v_add_f64 v[171:172], v[171:172], 0
	v_add_f64 v[6:7], v[6:7], 0
	s_waitcnt vmcnt(36)
	v_fma_f64 v[123:124], v[119:120], v[135:136], v[123:124]
	s_waitcnt lgkmcnt(1)
	v_mul_f64 v[127:128], v[2:3], v[129:130]
	v_mul_f64 v[129:130], v[4:5], v[129:130]
	v_fma_f64 v[125:126], v[117:118], v[135:136], -v[125:126]
	ds_read_b128 v[117:120], v1 offset:1552
	v_add_f64 v[171:172], v[171:172], v[174:175]
	v_add_f64 v[6:7], v[6:7], v[121:122]
	s_waitcnt vmcnt(35) lgkmcnt(1)
	v_mul_f64 v[121:122], v[113:114], v[131:132]
	v_mul_f64 v[131:132], v[115:116], v[131:132]
	s_waitcnt vmcnt(33)
	v_fma_f64 v[129:130], v[2:3], v[137:138], -v[129:130]
	v_fma_f64 v[127:128], v[4:5], v[137:138], v[127:128]
	ds_read_b128 v[2:5], v1 offset:1568
	s_waitcnt vmcnt(29) lgkmcnt(1)
	v_mul_f64 v[135:136], v[119:120], v[139:140]
	v_add_f64 v[125:126], v[171:172], v[125:126]
	v_add_f64 v[6:7], v[6:7], v[123:124]
	v_mul_f64 v[123:124], v[117:118], v[139:140]
	s_waitcnt vmcnt(28)
	v_fma_f64 v[131:132], v[113:114], v[133:134], -v[131:132]
	v_fma_f64 v[121:122], v[115:116], v[133:134], v[121:122]
	ds_read_b128 v[113:116], v1 offset:1584
	s_waitcnt vmcnt(25)
	v_fma_f64 v[133:134], v[117:118], v[145:146], -v[135:136]
	v_add_f64 v[125:126], v[125:126], v[129:130]
	v_add_f64 v[6:7], v[6:7], v[127:128]
	s_waitcnt lgkmcnt(1)
	v_mul_f64 v[129:130], v[4:5], v[141:142]
	v_mul_f64 v[127:128], v[2:3], v[141:142]
	v_fma_f64 v[123:124], v[119:120], v[145:146], v[123:124]
	ds_read_b128 v[117:120], v1 offset:1600
	v_add_f64 v[125:126], v[125:126], v[131:132]
	v_add_f64 v[6:7], v[6:7], v[121:122]
	s_waitcnt vmcnt(21) lgkmcnt(1)
	v_mul_f64 v[131:132], v[115:116], v[147:148]
	s_waitcnt vmcnt(20)
	v_fma_f64 v[129:130], v[2:3], v[143:144], -v[129:130]
	v_mul_f64 v[121:122], v[113:114], v[147:148]
	v_fma_f64 v[127:128], v[4:5], v[143:144], v[127:128]
	ds_read_b128 v[2:5], v1 offset:1616
	v_add_f64 v[125:126], v[125:126], v[133:134]
	v_add_f64 v[6:7], v[6:7], v[123:124]
	s_waitcnt vmcnt(19) lgkmcnt(1)
	v_mul_f64 v[133:134], v[119:120], v[149:150]
	s_waitcnt vmcnt(17)
	v_fma_f64 v[131:132], v[113:114], v[153:154], -v[131:132]
	v_mul_f64 v[123:124], v[117:118], v[149:150]
	v_fma_f64 v[121:122], v[115:116], v[153:154], v[121:122]
	ds_read_b128 v[113:116], v1 offset:1632
	v_add_f64 v[125:126], v[125:126], v[129:130]
	v_add_f64 v[6:7], v[6:7], v[127:128]
	s_waitcnt vmcnt(13) lgkmcnt(1)
	v_mul_f64 v[129:130], v[4:5], v[155:156]
	s_waitcnt vmcnt(12)
	v_fma_f64 v[133:134], v[117:118], v[151:152], -v[133:134]
	v_mul_f64 v[127:128], v[2:3], v[155:156]
	v_fma_f64 v[123:124], v[119:120], v[151:152], v[123:124]
	ds_read_b128 v[117:120], v1 offset:1648
	v_add_f64 v[125:126], v[125:126], v[131:132]
	v_add_f64 v[6:7], v[6:7], v[121:122]
	s_waitcnt vmcnt(11) lgkmcnt(1)
	v_mul_f64 v[131:132], v[115:116], v[157:158]
	s_waitcnt vmcnt(9)
	v_fma_f64 v[1:2], v[2:3], v[161:162], -v[129:130]
	v_mul_f64 v[121:122], v[113:114], v[157:158]
	v_fma_f64 v[3:4], v[4:5], v[161:162], v[127:128]
	v_add_f64 v[125:126], v[125:126], v[133:134]
	v_add_f64 v[5:6], v[6:7], v[123:124]
	s_waitcnt vmcnt(7) lgkmcnt(0)
	v_mul_f64 v[123:124], v[119:120], v[163:164]
	s_waitcnt vmcnt(6)
	v_fma_f64 v[113:114], v[113:114], v[159:160], -v[131:132]
	v_mul_f64 v[7:8], v[117:118], v[163:164]
	v_fma_f64 v[115:116], v[115:116], v[159:160], v[121:122]
	v_add_f64 v[1:2], v[125:126], v[1:2]
	v_add_f64 v[3:4], v[5:6], v[3:4]
	s_waitcnt vmcnt(4)
	v_fma_f64 v[5:6], v[117:118], v[165:166], -v[123:124]
	v_fma_f64 v[7:8], v[119:120], v[165:166], v[7:8]
	v_add_f64 v[1:2], v[1:2], v[113:114]
	v_add_f64 v[3:4], v[3:4], v[115:116]
	;; [unrolled: 1-line block ×4, first 2 shown]
	s_waitcnt vmcnt(2)
	v_add_f64 v[1:2], v[167:168], -v[1:2]
	s_waitcnt vmcnt(0)
	v_add_f64 v[3:4], v[169:170], -v[3:4]
	buffer_store_dword v2, off, s[0:3], 0 offset:644
	buffer_store_dword v1, off, s[0:3], 0 offset:640
	;; [unrolled: 1-line block ×4, first 2 shown]
	v_cmpx_lt_u32_e32 38, v0
	s_cbranch_execz .LBB115_249
; %bb.248:
	v_mov_b32_e32 v4, s25
	v_mov_b32_e32 v5, 0
	s_clause 0x3
	buffer_load_dword v1, v4, s[0:3], 0 offen
	buffer_load_dword v2, v4, s[0:3], 0 offen offset:4
	buffer_load_dword v3, v4, s[0:3], 0 offen offset:8
	;; [unrolled: 1-line block ×3, first 2 shown]
	buffer_store_dword v5, off, s[0:3], 0 offset:624
	buffer_store_dword v5, off, s[0:3], 0 offset:628
	;; [unrolled: 1-line block ×4, first 2 shown]
	s_waitcnt vmcnt(0)
	ds_write_b128 v173, v[1:4]
.LBB115_249:
	s_or_b32 exec_lo, exec_lo, s4
	s_waitcnt lgkmcnt(0)
	s_waitcnt_vscnt null, 0x0
	s_barrier
	buffer_gl0_inv
	s_clause 0x33
	buffer_load_dword v6, off, s[0:3], 0 offset:648
	buffer_load_dword v7, off, s[0:3], 0 offset:652
	buffer_load_dword v121, off, s[0:3], 0 offset:664
	buffer_load_dword v122, off, s[0:3], 0 offset:668
	buffer_load_dword v123, off, s[0:3], 0 offset:640
	buffer_load_dword v124, off, s[0:3], 0 offset:644
	buffer_load_dword v125, off, s[0:3], 0 offset:680
	buffer_load_dword v126, off, s[0:3], 0 offset:684
	buffer_load_dword v127, off, s[0:3], 0 offset:656
	buffer_load_dword v128, off, s[0:3], 0 offset:660
	buffer_load_dword v130, off, s[0:3], 0 offset:700
	buffer_load_dword v131, off, s[0:3], 0 offset:712
	buffer_load_dword v133, off, s[0:3], 0 offset:704
	buffer_load_dword v129, off, s[0:3], 0 offset:696
	buffer_load_dword v135, off, s[0:3], 0 offset:672
	buffer_load_dword v136, off, s[0:3], 0 offset:676
	buffer_load_dword v132, off, s[0:3], 0 offset:716
	buffer_load_dword v138, off, s[0:3], 0 offset:692
	buffer_load_dword v137, off, s[0:3], 0 offset:688
	buffer_load_dword v140, off, s[0:3], 0 offset:732
	buffer_load_dword v141, off, s[0:3], 0 offset:744
	buffer_load_dword v143, off, s[0:3], 0 offset:736
	buffer_load_dword v139, off, s[0:3], 0 offset:728
	buffer_load_dword v134, off, s[0:3], 0 offset:708
	buffer_load_dword v142, off, s[0:3], 0 offset:748
	buffer_load_dword v146, off, s[0:3], 0 offset:724
	buffer_load_dword v145, off, s[0:3], 0 offset:720
	buffer_load_dword v148, off, s[0:3], 0 offset:764
	buffer_load_dword v149, off, s[0:3], 0 offset:776
	buffer_load_dword v151, off, s[0:3], 0 offset:768
	buffer_load_dword v147, off, s[0:3], 0 offset:760
	buffer_load_dword v144, off, s[0:3], 0 offset:740
	buffer_load_dword v150, off, s[0:3], 0 offset:780
	buffer_load_dword v154, off, s[0:3], 0 offset:756
	buffer_load_dword v153, off, s[0:3], 0 offset:752
	buffer_load_dword v156, off, s[0:3], 0 offset:796
	buffer_load_dword v157, off, s[0:3], 0 offset:808
	buffer_load_dword v159, off, s[0:3], 0 offset:800
	buffer_load_dword v155, off, s[0:3], 0 offset:792
	buffer_load_dword v152, off, s[0:3], 0 offset:772
	buffer_load_dword v158, off, s[0:3], 0 offset:812
	buffer_load_dword v162, off, s[0:3], 0 offset:788
	buffer_load_dword v161, off, s[0:3], 0 offset:784
	buffer_load_dword v164, off, s[0:3], 0 offset:828
	buffer_load_dword v165, off, s[0:3], 0 offset:840
	buffer_load_dword v167, off, s[0:3], 0 offset:832
	buffer_load_dword v163, off, s[0:3], 0 offset:824
	buffer_load_dword v160, off, s[0:3], 0 offset:804
	buffer_load_dword v166, off, s[0:3], 0 offset:844
	buffer_load_dword v170, off, s[0:3], 0 offset:820
	buffer_load_dword v169, off, s[0:3], 0 offset:816
	buffer_load_dword v168, off, s[0:3], 0 offset:836
	v_mov_b32_e32 v1, 0
	ds_read_b128 v[2:5], v1 offset:1456
	ds_read_b128 v[113:116], v1 offset:1472
	s_clause 0x3
	buffer_load_dword v174, off, s[0:3], 0 offset:624
	buffer_load_dword v175, off, s[0:3], 0 offset:628
	;; [unrolled: 1-line block ×4, first 2 shown]
	ds_read_b128 v[117:120], v1 offset:1488
	s_mov_b32 s4, exec_lo
	s_waitcnt vmcnt(54) lgkmcnt(2)
	v_mul_f64 v[171:172], v[4:5], v[6:7]
	v_mul_f64 v[6:7], v[2:3], v[6:7]
	s_waitcnt vmcnt(52) lgkmcnt(1)
	v_mul_f64 v[178:179], v[115:116], v[121:122]
	v_mul_f64 v[121:122], v[113:114], v[121:122]
	s_waitcnt vmcnt(50)
	v_fma_f64 v[171:172], v[2:3], v[123:124], -v[171:172]
	v_fma_f64 v[6:7], v[4:5], v[123:124], v[6:7]
	ds_read_b128 v[2:5], v1 offset:1504
	s_waitcnt vmcnt(48) lgkmcnt(1)
	v_mul_f64 v[123:124], v[117:118], v[125:126]
	v_mul_f64 v[125:126], v[119:120], v[125:126]
	s_waitcnt vmcnt(46)
	v_fma_f64 v[178:179], v[113:114], v[127:128], -v[178:179]
	v_fma_f64 v[121:122], v[115:116], v[127:128], v[121:122]
	ds_read_b128 v[113:116], v1 offset:1520
	s_waitcnt vmcnt(42) lgkmcnt(1)
	v_mul_f64 v[127:128], v[2:3], v[129:130]
	v_add_f64 v[171:172], v[171:172], 0
	v_add_f64 v[6:7], v[6:7], 0
	v_mul_f64 v[129:130], v[4:5], v[129:130]
	s_waitcnt vmcnt(40)
	v_fma_f64 v[125:126], v[117:118], v[135:136], -v[125:126]
	v_fma_f64 v[123:124], v[119:120], v[135:136], v[123:124]
	ds_read_b128 v[117:120], v1 offset:1536
	s_waitcnt vmcnt(37)
	v_fma_f64 v[127:128], v[4:5], v[137:138], v[127:128]
	v_add_f64 v[171:172], v[171:172], v[178:179]
	v_add_f64 v[6:7], v[6:7], v[121:122]
	s_waitcnt lgkmcnt(1)
	v_mul_f64 v[121:122], v[113:114], v[131:132]
	v_mul_f64 v[131:132], v[115:116], v[131:132]
	v_fma_f64 v[129:130], v[2:3], v[137:138], -v[129:130]
	s_waitcnt vmcnt(33) lgkmcnt(0)
	v_mul_f64 v[135:136], v[119:120], v[139:140]
	ds_read_b128 v[2:5], v1 offset:1552
	v_add_f64 v[125:126], v[171:172], v[125:126]
	v_add_f64 v[6:7], v[6:7], v[123:124]
	v_mul_f64 v[123:124], v[117:118], v[139:140]
	s_waitcnt vmcnt(32)
	v_fma_f64 v[131:132], v[113:114], v[133:134], -v[131:132]
	v_fma_f64 v[121:122], v[115:116], v[133:134], v[121:122]
	ds_read_b128 v[113:116], v1 offset:1568
	s_waitcnt vmcnt(29)
	v_fma_f64 v[133:134], v[117:118], v[145:146], -v[135:136]
	v_add_f64 v[125:126], v[125:126], v[129:130]
	v_add_f64 v[6:7], v[6:7], v[127:128]
	s_waitcnt lgkmcnt(1)
	v_mul_f64 v[129:130], v[4:5], v[141:142]
	v_mul_f64 v[127:128], v[2:3], v[141:142]
	v_fma_f64 v[123:124], v[119:120], v[145:146], v[123:124]
	ds_read_b128 v[117:120], v1 offset:1584
	v_add_f64 v[125:126], v[125:126], v[131:132]
	v_add_f64 v[6:7], v[6:7], v[121:122]
	s_waitcnt vmcnt(25) lgkmcnt(1)
	v_mul_f64 v[131:132], v[115:116], v[147:148]
	s_waitcnt vmcnt(24)
	v_fma_f64 v[129:130], v[2:3], v[143:144], -v[129:130]
	v_mul_f64 v[121:122], v[113:114], v[147:148]
	v_fma_f64 v[127:128], v[4:5], v[143:144], v[127:128]
	ds_read_b128 v[2:5], v1 offset:1600
	v_add_f64 v[125:126], v[125:126], v[133:134]
	v_add_f64 v[6:7], v[6:7], v[123:124]
	s_waitcnt vmcnt(23) lgkmcnt(1)
	v_mul_f64 v[133:134], v[119:120], v[149:150]
	s_waitcnt vmcnt(21)
	v_fma_f64 v[131:132], v[113:114], v[153:154], -v[131:132]
	;; [unrolled: 9-line block ×5, first 2 shown]
	v_mul_f64 v[123:124], v[117:118], v[163:164]
	v_fma_f64 v[115:116], v[115:116], v[159:160], v[121:122]
	s_waitcnt vmcnt(7) lgkmcnt(0)
	v_mul_f64 v[121:122], v[2:3], v[165:166]
	v_add_f64 v[125:126], v[125:126], v[129:130]
	v_add_f64 v[6:7], v[6:7], v[127:128]
	v_mul_f64 v[127:128], v[4:5], v[165:166]
	s_waitcnt vmcnt(5)
	v_fma_f64 v[117:118], v[117:118], v[169:170], -v[133:134]
	v_fma_f64 v[119:120], v[119:120], v[169:170], v[123:124]
	s_waitcnt vmcnt(4)
	v_fma_f64 v[4:5], v[4:5], v[167:168], v[121:122]
	v_add_f64 v[113:114], v[125:126], v[113:114]
	v_add_f64 v[6:7], v[6:7], v[115:116]
	v_fma_f64 v[2:3], v[2:3], v[167:168], -v[127:128]
	v_add_f64 v[113:114], v[113:114], v[117:118]
	v_add_f64 v[6:7], v[6:7], v[119:120]
	;; [unrolled: 1-line block ×4, first 2 shown]
	s_waitcnt vmcnt(2)
	v_add_f64 v[2:3], v[174:175], -v[2:3]
	s_waitcnt vmcnt(0)
	v_add_f64 v[4:5], v[176:177], -v[4:5]
	buffer_store_dword v3, off, s[0:3], 0 offset:628
	buffer_store_dword v2, off, s[0:3], 0 offset:624
	;; [unrolled: 1-line block ×4, first 2 shown]
	v_cmpx_lt_u32_e32 37, v0
	s_cbranch_execz .LBB115_251
; %bb.250:
	v_mov_b32_e32 v5, s26
	s_clause 0x3
	buffer_load_dword v2, v5, s[0:3], 0 offen
	buffer_load_dword v3, v5, s[0:3], 0 offen offset:4
	buffer_load_dword v4, v5, s[0:3], 0 offen offset:8
	buffer_load_dword v5, v5, s[0:3], 0 offen offset:12
	buffer_store_dword v1, off, s[0:3], 0 offset:608
	buffer_store_dword v1, off, s[0:3], 0 offset:612
	;; [unrolled: 1-line block ×4, first 2 shown]
	s_waitcnt vmcnt(0)
	ds_write_b128 v173, v[2:5]
.LBB115_251:
	s_or_b32 exec_lo, exec_lo, s4
	s_waitcnt lgkmcnt(0)
	s_waitcnt_vscnt null, 0x0
	s_barrier
	buffer_gl0_inv
	s_clause 0x35
	buffer_load_dword v6, off, s[0:3], 0 offset:632
	buffer_load_dword v7, off, s[0:3], 0 offset:636
	;; [unrolled: 1-line block ×54, first 2 shown]
	ds_read_b128 v[2:5], v1 offset:1440
	s_clause 0x1
	buffer_load_dword v175, off, s[0:3], 0 offset:836
	buffer_load_dword v174, off, s[0:3], 0 offset:832
	ds_read_b128 v[113:116], v1 offset:1456
	ds_read_b128 v[117:120], v1 offset:1472
	s_mov_b32 s4, exec_lo
	s_waitcnt vmcnt(54) lgkmcnt(2)
	v_mul_f64 v[176:177], v[4:5], v[6:7]
	v_mul_f64 v[6:7], v[2:3], v[6:7]
	s_waitcnt vmcnt(52) lgkmcnt(1)
	v_mul_f64 v[178:179], v[115:116], v[121:122]
	v_mul_f64 v[121:122], v[113:114], v[121:122]
	;; [unrolled: 3-line block ×3, first 2 shown]
	v_fma_f64 v[176:177], v[2:3], v[123:124], -v[176:177]
	v_fma_f64 v[6:7], v[4:5], v[123:124], v[6:7]
	s_clause 0x3
	buffer_load_dword v123, off, s[0:3], 0 offset:608
	buffer_load_dword v124, off, s[0:3], 0 offset:612
	;; [unrolled: 1-line block ×4, first 2 shown]
	s_waitcnt vmcnt(50)
	v_fma_f64 v[178:179], v[113:114], v[127:128], -v[178:179]
	ds_read_b128 v[2:5], v1 offset:1488
	v_fma_f64 v[121:122], v[115:116], v[127:128], v[121:122]
	ds_read_b128 v[113:116], v1 offset:1504
	s_waitcnt vmcnt(44)
	v_fma_f64 v[125:126], v[117:118], v[135:136], -v[125:126]
	v_fma_f64 v[135:136], v[119:120], v[135:136], v[182:183]
	ds_read_b128 v[117:120], v1 offset:1520
	v_add_f64 v[176:177], v[176:177], 0
	v_add_f64 v[6:7], v[6:7], 0
	s_waitcnt lgkmcnt(2)
	v_mul_f64 v[127:128], v[2:3], v[129:130]
	v_mul_f64 v[129:130], v[4:5], v[129:130]
	v_add_f64 v[176:177], v[176:177], v[178:179]
	v_add_f64 v[6:7], v[6:7], v[121:122]
	s_waitcnt vmcnt(43) lgkmcnt(1)
	v_mul_f64 v[121:122], v[113:114], v[131:132]
	v_mul_f64 v[131:132], v[115:116], v[131:132]
	s_waitcnt vmcnt(41)
	v_fma_f64 v[129:130], v[2:3], v[137:138], -v[129:130]
	v_fma_f64 v[127:128], v[4:5], v[137:138], v[127:128]
	ds_read_b128 v[2:5], v1 offset:1536
	s_waitcnt vmcnt(37) lgkmcnt(1)
	v_mul_f64 v[137:138], v[119:120], v[139:140]
	v_add_f64 v[125:126], v[176:177], v[125:126]
	v_add_f64 v[6:7], v[6:7], v[135:136]
	v_mul_f64 v[135:136], v[117:118], v[139:140]
	s_waitcnt vmcnt(36)
	v_fma_f64 v[131:132], v[113:114], v[133:134], -v[131:132]
	v_fma_f64 v[121:122], v[115:116], v[133:134], v[121:122]
	ds_read_b128 v[113:116], v1 offset:1552
	s_waitcnt vmcnt(33)
	v_fma_f64 v[133:134], v[117:118], v[145:146], -v[137:138]
	v_add_f64 v[125:126], v[125:126], v[129:130]
	v_add_f64 v[6:7], v[6:7], v[127:128]
	s_waitcnt lgkmcnt(1)
	v_mul_f64 v[129:130], v[4:5], v[141:142]
	v_mul_f64 v[127:128], v[2:3], v[141:142]
	v_add_f64 v[125:126], v[125:126], v[131:132]
	v_fma_f64 v[131:132], v[119:120], v[145:146], v[135:136]
	v_add_f64 v[6:7], v[6:7], v[121:122]
	ds_read_b128 v[117:120], v1 offset:1568
	s_waitcnt vmcnt(29) lgkmcnt(1)
	v_mul_f64 v[135:136], v[115:116], v[147:148]
	s_waitcnt vmcnt(28)
	v_fma_f64 v[129:130], v[2:3], v[143:144], -v[129:130]
	v_mul_f64 v[121:122], v[113:114], v[147:148]
	v_fma_f64 v[127:128], v[4:5], v[143:144], v[127:128]
	ds_read_b128 v[2:5], v1 offset:1584
	v_add_f64 v[125:126], v[125:126], v[133:134]
	s_waitcnt vmcnt(27) lgkmcnt(1)
	v_mul_f64 v[133:134], v[119:120], v[149:150]
	v_add_f64 v[6:7], v[6:7], v[131:132]
	v_mul_f64 v[131:132], v[117:118], v[149:150]
	s_waitcnt vmcnt(25)
	v_fma_f64 v[135:136], v[113:114], v[153:154], -v[135:136]
	v_fma_f64 v[121:122], v[115:116], v[153:154], v[121:122]
	ds_read_b128 v[113:116], v1 offset:1600
	v_add_f64 v[125:126], v[125:126], v[129:130]
	s_waitcnt vmcnt(21) lgkmcnt(1)
	v_mul_f64 v[129:130], v[4:5], v[155:156]
	v_add_f64 v[6:7], v[6:7], v[127:128]
	s_waitcnt vmcnt(20)
	v_fma_f64 v[133:134], v[117:118], v[151:152], -v[133:134]
	v_mul_f64 v[127:128], v[2:3], v[155:156]
	v_fma_f64 v[131:132], v[119:120], v[151:152], v[131:132]
	ds_read_b128 v[117:120], v1 offset:1616
	v_add_f64 v[125:126], v[125:126], v[135:136]
	s_waitcnt vmcnt(19) lgkmcnt(1)
	v_mul_f64 v[135:136], v[115:116], v[157:158]
	v_add_f64 v[6:7], v[6:7], v[121:122]
	s_waitcnt vmcnt(17)
	v_fma_f64 v[129:130], v[2:3], v[161:162], -v[129:130]
	v_mul_f64 v[121:122], v[113:114], v[157:158]
	v_fma_f64 v[127:128], v[4:5], v[161:162], v[127:128]
	ds_read_b128 v[2:5], v1 offset:1632
	v_add_f64 v[125:126], v[125:126], v[133:134]
	s_waitcnt vmcnt(13) lgkmcnt(1)
	v_mul_f64 v[133:134], v[119:120], v[163:164]
	v_add_f64 v[6:7], v[6:7], v[131:132]
	s_waitcnt vmcnt(12)
	v_fma_f64 v[135:136], v[113:114], v[159:160], -v[135:136]
	v_mul_f64 v[131:132], v[117:118], v[163:164]
	v_fma_f64 v[121:122], v[115:116], v[159:160], v[121:122]
	ds_read_b128 v[113:116], v1 offset:1648
	v_add_f64 v[125:126], v[125:126], v[129:130]
	s_waitcnt vmcnt(11) lgkmcnt(1)
	v_mul_f64 v[129:130], v[4:5], v[165:166]
	v_add_f64 v[6:7], v[6:7], v[127:128]
	s_waitcnt vmcnt(9)
	v_fma_f64 v[117:118], v[117:118], v[169:170], -v[133:134]
	v_mul_f64 v[127:128], v[2:3], v[165:166]
	v_fma_f64 v[119:120], v[119:120], v[169:170], v[131:132]
	s_waitcnt vmcnt(7) lgkmcnt(0)
	v_mul_f64 v[131:132], v[115:116], v[171:172]
	v_add_f64 v[125:126], v[125:126], v[135:136]
	s_waitcnt vmcnt(6)
	v_fma_f64 v[1:2], v[2:3], v[167:168], -v[129:130]
	v_add_f64 v[6:7], v[6:7], v[121:122]
	v_mul_f64 v[121:122], v[113:114], v[171:172]
	v_fma_f64 v[3:4], v[4:5], v[167:168], v[127:128]
	v_add_f64 v[117:118], v[125:126], v[117:118]
	v_add_f64 v[5:6], v[6:7], v[119:120]
	s_waitcnt vmcnt(4)
	v_fma_f64 v[7:8], v[113:114], v[174:175], -v[131:132]
	v_fma_f64 v[113:114], v[115:116], v[174:175], v[121:122]
	v_add_f64 v[1:2], v[117:118], v[1:2]
	v_add_f64 v[3:4], v[5:6], v[3:4]
	;; [unrolled: 1-line block ×4, first 2 shown]
	s_waitcnt vmcnt(2)
	v_add_f64 v[1:2], v[123:124], -v[1:2]
	s_waitcnt vmcnt(0)
	v_add_f64 v[3:4], v[180:181], -v[3:4]
	buffer_store_dword v2, off, s[0:3], 0 offset:612
	buffer_store_dword v1, off, s[0:3], 0 offset:608
	;; [unrolled: 1-line block ×4, first 2 shown]
	v_cmpx_lt_u32_e32 36, v0
	s_cbranch_execz .LBB115_253
; %bb.252:
	v_mov_b32_e32 v4, s27
	v_mov_b32_e32 v5, 0
	s_clause 0x3
	buffer_load_dword v1, v4, s[0:3], 0 offen
	buffer_load_dword v2, v4, s[0:3], 0 offen offset:4
	buffer_load_dword v3, v4, s[0:3], 0 offen offset:8
	buffer_load_dword v4, v4, s[0:3], 0 offen offset:12
	buffer_store_dword v5, off, s[0:3], 0 offset:592
	buffer_store_dword v5, off, s[0:3], 0 offset:596
	;; [unrolled: 1-line block ×4, first 2 shown]
	s_waitcnt vmcnt(0)
	ds_write_b128 v173, v[1:4]
.LBB115_253:
	s_or_b32 exec_lo, exec_lo, s4
	s_waitcnt lgkmcnt(0)
	s_waitcnt_vscnt null, 0x0
	s_barrier
	buffer_gl0_inv
	s_clause 0x37
	buffer_load_dword v6, off, s[0:3], 0 offset:616
	buffer_load_dword v7, off, s[0:3], 0 offset:620
	;; [unrolled: 1-line block ×56, first 2 shown]
	v_mov_b32_e32 v1, 0
	s_mov_b32 s4, exec_lo
	ds_read_b128 v[2:5], v1 offset:1424
	s_clause 0x2
	buffer_load_dword v175, off, s[0:3], 0 offset:844
	buffer_load_dword v179, off, s[0:3], 0 offset:820
	;; [unrolled: 1-line block ×3, first 2 shown]
	ds_read_b128 v[113:116], v1 offset:1440
	ds_read_b128 v[117:120], v1 offset:1456
	buffer_load_dword v177, off, s[0:3], 0 offset:836
	s_waitcnt vmcnt(58) lgkmcnt(2)
	v_mul_f64 v[180:181], v[4:5], v[6:7]
	v_mul_f64 v[6:7], v[2:3], v[6:7]
	s_waitcnt vmcnt(56) lgkmcnt(1)
	v_mul_f64 v[182:183], v[115:116], v[121:122]
	v_mul_f64 v[121:122], v[113:114], v[121:122]
	s_waitcnt vmcnt(54)
	v_fma_f64 v[180:181], v[2:3], v[123:124], -v[180:181]
	v_fma_f64 v[6:7], v[4:5], v[123:124], v[6:7]
	s_waitcnt vmcnt(52) lgkmcnt(0)
	v_mul_f64 v[123:124], v[117:118], v[125:126]
	v_mul_f64 v[125:126], v[119:120], v[125:126]
	s_waitcnt vmcnt(50)
	v_fma_f64 v[182:183], v[113:114], v[127:128], -v[182:183]
	ds_read_b128 v[2:5], v1 offset:1472
	v_fma_f64 v[121:122], v[115:116], v[127:128], v[121:122]
	s_clause 0x3
	buffer_load_dword v127, off, s[0:3], 0 offset:592
	buffer_load_dword v128, off, s[0:3], 0 offset:596
	;; [unrolled: 1-line block ×4, first 2 shown]
	ds_read_b128 v[113:116], v1 offset:1488
	v_add_f64 v[180:181], v[180:181], 0
	v_add_f64 v[6:7], v[6:7], 0
	s_waitcnt vmcnt(48)
	v_fma_f64 v[123:124], v[119:120], v[135:136], v[123:124]
	s_waitcnt lgkmcnt(1)
	v_mul_f64 v[186:187], v[2:3], v[129:130]
	v_mul_f64 v[129:130], v[4:5], v[129:130]
	v_fma_f64 v[125:126], v[117:118], v[135:136], -v[125:126]
	ds_read_b128 v[117:120], v1 offset:1504
	v_add_f64 v[180:181], v[180:181], v[182:183]
	v_add_f64 v[6:7], v[6:7], v[121:122]
	s_waitcnt vmcnt(47) lgkmcnt(1)
	v_mul_f64 v[121:122], v[113:114], v[131:132]
	v_mul_f64 v[131:132], v[115:116], v[131:132]
	s_waitcnt vmcnt(45)
	v_fma_f64 v[129:130], v[2:3], v[137:138], -v[129:130]
	v_fma_f64 v[135:136], v[4:5], v[137:138], v[186:187]
	s_waitcnt vmcnt(41) lgkmcnt(0)
	v_mul_f64 v[137:138], v[119:120], v[139:140]
	ds_read_b128 v[2:5], v1 offset:1520
	v_add_f64 v[125:126], v[180:181], v[125:126]
	v_add_f64 v[6:7], v[6:7], v[123:124]
	v_mul_f64 v[123:124], v[117:118], v[139:140]
	s_waitcnt vmcnt(40)
	v_fma_f64 v[131:132], v[113:114], v[133:134], -v[131:132]
	v_fma_f64 v[121:122], v[115:116], v[133:134], v[121:122]
	ds_read_b128 v[113:116], v1 offset:1536
	s_waitcnt vmcnt(39) lgkmcnt(1)
	v_mul_f64 v[133:134], v[4:5], v[141:142]
	v_add_f64 v[125:126], v[125:126], v[129:130]
	v_add_f64 v[6:7], v[6:7], v[135:136]
	s_waitcnt vmcnt(37)
	v_fma_f64 v[135:136], v[117:118], v[145:146], -v[137:138]
	v_mul_f64 v[129:130], v[2:3], v[141:142]
	v_fma_f64 v[123:124], v[119:120], v[145:146], v[123:124]
	ds_read_b128 v[117:120], v1 offset:1552
	s_waitcnt vmcnt(32)
	v_fma_f64 v[133:134], v[2:3], v[143:144], -v[133:134]
	v_add_f64 v[125:126], v[125:126], v[131:132]
	v_add_f64 v[6:7], v[6:7], v[121:122]
	s_waitcnt lgkmcnt(1)
	v_mul_f64 v[131:132], v[115:116], v[147:148]
	v_mul_f64 v[121:122], v[113:114], v[147:148]
	v_fma_f64 v[129:130], v[4:5], v[143:144], v[129:130]
	ds_read_b128 v[2:5], v1 offset:1568
	v_add_f64 v[125:126], v[125:126], v[135:136]
	v_add_f64 v[6:7], v[6:7], v[123:124]
	s_waitcnt vmcnt(31) lgkmcnt(1)
	v_mul_f64 v[135:136], v[119:120], v[149:150]
	s_waitcnt vmcnt(29)
	v_fma_f64 v[131:132], v[113:114], v[153:154], -v[131:132]
	v_mul_f64 v[123:124], v[117:118], v[149:150]
	v_fma_f64 v[121:122], v[115:116], v[153:154], v[121:122]
	ds_read_b128 v[113:116], v1 offset:1584
	v_add_f64 v[125:126], v[125:126], v[133:134]
	v_add_f64 v[6:7], v[6:7], v[129:130]
	s_waitcnt vmcnt(25) lgkmcnt(1)
	v_mul_f64 v[133:134], v[4:5], v[155:156]
	s_waitcnt vmcnt(24)
	v_fma_f64 v[135:136], v[117:118], v[151:152], -v[135:136]
	;; [unrolled: 9-line block ×6, first 2 shown]
	v_mul_f64 v[121:122], v[113:114], v[171:172]
	v_fma_f64 v[4:5], v[4:5], v[167:168], v[129:130]
	s_waitcnt vmcnt(7) lgkmcnt(0)
	v_mul_f64 v[129:130], v[119:120], v[174:175]
	v_add_f64 v[125:126], v[125:126], v[135:136]
	v_add_f64 v[6:7], v[6:7], v[123:124]
	s_waitcnt vmcnt(5)
	v_fma_f64 v[113:114], v[113:114], v[178:179], -v[131:132]
	v_mul_f64 v[123:124], v[117:118], v[174:175]
	v_fma_f64 v[115:116], v[115:116], v[178:179], v[121:122]
	v_add_f64 v[2:3], v[125:126], v[2:3]
	v_add_f64 v[4:5], v[6:7], v[4:5]
	s_waitcnt vmcnt(4)
	v_fma_f64 v[6:7], v[117:118], v[176:177], -v[129:130]
	v_add_f64 v[2:3], v[2:3], v[113:114]
	v_fma_f64 v[113:114], v[119:120], v[176:177], v[123:124]
	v_add_f64 v[4:5], v[4:5], v[115:116]
	v_add_f64 v[2:3], v[2:3], v[6:7]
	;; [unrolled: 1-line block ×3, first 2 shown]
	s_waitcnt vmcnt(2)
	v_add_f64 v[2:3], v[127:128], -v[2:3]
	s_waitcnt vmcnt(0)
	v_add_f64 v[4:5], v[184:185], -v[4:5]
	buffer_store_dword v3, off, s[0:3], 0 offset:596
	buffer_store_dword v2, off, s[0:3], 0 offset:592
	;; [unrolled: 1-line block ×4, first 2 shown]
	v_cmpx_lt_u32_e32 35, v0
	s_cbranch_execz .LBB115_255
; %bb.254:
	v_mov_b32_e32 v5, s28
	s_clause 0x3
	buffer_load_dword v2, v5, s[0:3], 0 offen
	buffer_load_dword v3, v5, s[0:3], 0 offen offset:4
	buffer_load_dword v4, v5, s[0:3], 0 offen offset:8
	;; [unrolled: 1-line block ×3, first 2 shown]
	buffer_store_dword v1, off, s[0:3], 0 offset:576
	buffer_store_dword v1, off, s[0:3], 0 offset:580
	;; [unrolled: 1-line block ×4, first 2 shown]
	s_waitcnt vmcnt(0)
	ds_write_b128 v173, v[2:5]
.LBB115_255:
	s_or_b32 exec_lo, exec_lo, s4
	s_waitcnt lgkmcnt(0)
	s_waitcnt_vscnt null, 0x0
	s_barrier
	buffer_gl0_inv
	s_clause 0x37
	buffer_load_dword v6, off, s[0:3], 0 offset:600
	buffer_load_dword v7, off, s[0:3], 0 offset:604
	;; [unrolled: 1-line block ×56, first 2 shown]
	ds_read_b128 v[2:5], v1 offset:1408
	s_clause 0x2
	buffer_load_dword v175, off, s[0:3], 0 offset:828
	buffer_load_dword v179, off, s[0:3], 0 offset:804
	;; [unrolled: 1-line block ×3, first 2 shown]
	ds_read_b128 v[113:116], v1 offset:1424
	s_clause 0x2
	buffer_load_dword v183, off, s[0:3], 0 offset:844
	buffer_load_dword v182, off, s[0:3], 0 offset:840
	;; [unrolled: 1-line block ×3, first 2 shown]
	ds_read_b128 v[117:120], v1 offset:1440
	s_mov_b32 s4, exec_lo
	s_waitcnt vmcnt(60) lgkmcnt(2)
	v_mul_f64 v[180:181], v[4:5], v[6:7]
	v_mul_f64 v[6:7], v[2:3], v[6:7]
	s_waitcnt vmcnt(58) lgkmcnt(1)
	v_mul_f64 v[184:185], v[115:116], v[121:122]
	v_mul_f64 v[121:122], v[113:114], v[121:122]
	;; [unrolled: 3-line block ×3, first 2 shown]
	v_fma_f64 v[180:181], v[2:3], v[123:124], -v[180:181]
	v_fma_f64 v[6:7], v[4:5], v[123:124], v[6:7]
	s_clause 0x1
	buffer_load_dword v124, off, s[0:3], 0 offset:836
	buffer_load_dword v123, off, s[0:3], 0 offset:832
	s_waitcnt vmcnt(54)
	v_fma_f64 v[184:185], v[113:114], v[127:128], -v[184:185]
	ds_read_b128 v[2:5], v1 offset:1456
	v_fma_f64 v[121:122], v[115:116], v[127:128], v[121:122]
	ds_read_b128 v[113:116], v1 offset:1472
	s_waitcnt vmcnt(48)
	v_fma_f64 v[125:126], v[117:118], v[135:136], -v[125:126]
	v_fma_f64 v[135:136], v[119:120], v[135:136], v[186:187]
	v_add_f64 v[180:181], v[180:181], 0
	v_add_f64 v[6:7], v[6:7], 0
	s_waitcnt lgkmcnt(1)
	v_mul_f64 v[127:128], v[2:3], v[129:130]
	v_mul_f64 v[129:130], v[4:5], v[129:130]
	s_waitcnt vmcnt(47) lgkmcnt(0)
	v_mul_f64 v[186:187], v[113:114], v[131:132]
	v_mul_f64 v[131:132], v[115:116], v[131:132]
	v_add_f64 v[180:181], v[180:181], v[184:185]
	v_add_f64 v[6:7], v[6:7], v[121:122]
	s_clause 0x3
	buffer_load_dword v121, off, s[0:3], 0 offset:576
	buffer_load_dword v122, off, s[0:3], 0 offset:580
	;; [unrolled: 1-line block ×4, first 2 shown]
	s_waitcnt vmcnt(49)
	v_fma_f64 v[129:130], v[2:3], v[137:138], -v[129:130]
	ds_read_b128 v[117:120], v1 offset:1488
	v_fma_f64 v[127:128], v[4:5], v[137:138], v[127:128]
	ds_read_b128 v[2:5], v1 offset:1504
	s_waitcnt vmcnt(44)
	v_fma_f64 v[131:132], v[113:114], v[133:134], -v[131:132]
	v_add_f64 v[125:126], v[180:181], v[125:126]
	v_add_f64 v[6:7], v[6:7], v[135:136]
	s_waitcnt lgkmcnt(1)
	v_mul_f64 v[137:138], v[119:120], v[139:140]
	v_mul_f64 v[135:136], v[117:118], v[139:140]
	v_add_f64 v[125:126], v[125:126], v[129:130]
	v_fma_f64 v[129:130], v[115:116], v[133:134], v[186:187]
	v_add_f64 v[6:7], v[6:7], v[127:128]
	s_waitcnt vmcnt(43) lgkmcnt(0)
	v_mul_f64 v[133:134], v[4:5], v[141:142]
	s_waitcnt vmcnt(41)
	v_fma_f64 v[137:138], v[117:118], v[145:146], -v[137:138]
	ds_read_b128 v[113:116], v1 offset:1520
	v_mul_f64 v[127:128], v[2:3], v[141:142]
	v_add_f64 v[125:126], v[125:126], v[131:132]
	v_fma_f64 v[131:132], v[119:120], v[145:146], v[135:136]
	v_add_f64 v[6:7], v[6:7], v[129:130]
	ds_read_b128 v[117:120], v1 offset:1536
	s_waitcnt vmcnt(37) lgkmcnt(1)
	v_mul_f64 v[135:136], v[115:116], v[147:148]
	s_waitcnt vmcnt(36)
	v_fma_f64 v[133:134], v[2:3], v[143:144], -v[133:134]
	v_mul_f64 v[129:130], v[113:114], v[147:148]
	v_fma_f64 v[127:128], v[4:5], v[143:144], v[127:128]
	ds_read_b128 v[2:5], v1 offset:1552
	v_add_f64 v[125:126], v[125:126], v[137:138]
	s_waitcnt vmcnt(35) lgkmcnt(1)
	v_mul_f64 v[137:138], v[119:120], v[149:150]
	v_add_f64 v[6:7], v[6:7], v[131:132]
	v_mul_f64 v[131:132], v[117:118], v[149:150]
	s_waitcnt vmcnt(33)
	v_fma_f64 v[135:136], v[113:114], v[153:154], -v[135:136]
	v_fma_f64 v[129:130], v[115:116], v[153:154], v[129:130]
	ds_read_b128 v[113:116], v1 offset:1568
	v_add_f64 v[125:126], v[125:126], v[133:134]
	s_waitcnt vmcnt(29) lgkmcnt(1)
	v_mul_f64 v[133:134], v[4:5], v[155:156]
	v_add_f64 v[6:7], v[6:7], v[127:128]
	s_waitcnt vmcnt(28)
	v_fma_f64 v[137:138], v[117:118], v[151:152], -v[137:138]
	v_mul_f64 v[127:128], v[2:3], v[155:156]
	v_fma_f64 v[131:132], v[119:120], v[151:152], v[131:132]
	ds_read_b128 v[117:120], v1 offset:1584
	v_add_f64 v[125:126], v[125:126], v[135:136]
	s_waitcnt vmcnt(27) lgkmcnt(1)
	v_mul_f64 v[135:136], v[115:116], v[157:158]
	v_add_f64 v[6:7], v[6:7], v[129:130]
	s_waitcnt vmcnt(25)
	v_fma_f64 v[133:134], v[2:3], v[161:162], -v[133:134]
	v_mul_f64 v[129:130], v[113:114], v[157:158]
	v_fma_f64 v[127:128], v[4:5], v[161:162], v[127:128]
	ds_read_b128 v[2:5], v1 offset:1600
	v_add_f64 v[125:126], v[125:126], v[137:138]
	s_waitcnt vmcnt(21) lgkmcnt(1)
	v_mul_f64 v[137:138], v[119:120], v[163:164]
	v_add_f64 v[6:7], v[6:7], v[131:132]
	s_waitcnt vmcnt(20)
	v_fma_f64 v[135:136], v[113:114], v[159:160], -v[135:136]
	v_mul_f64 v[131:132], v[117:118], v[163:164]
	v_fma_f64 v[129:130], v[115:116], v[159:160], v[129:130]
	ds_read_b128 v[113:116], v1 offset:1616
	v_add_f64 v[125:126], v[125:126], v[133:134]
	s_waitcnt vmcnt(19) lgkmcnt(1)
	v_mul_f64 v[133:134], v[4:5], v[165:166]
	v_add_f64 v[6:7], v[6:7], v[127:128]
	s_waitcnt vmcnt(17)
	v_fma_f64 v[137:138], v[117:118], v[169:170], -v[137:138]
	v_mul_f64 v[127:128], v[2:3], v[165:166]
	v_fma_f64 v[131:132], v[119:120], v[169:170], v[131:132]
	ds_read_b128 v[117:120], v1 offset:1632
	v_add_f64 v[125:126], v[125:126], v[135:136]
	s_waitcnt vmcnt(13) lgkmcnt(1)
	v_mul_f64 v[135:136], v[115:116], v[171:172]
	v_add_f64 v[6:7], v[6:7], v[129:130]
	s_waitcnt vmcnt(12)
	v_fma_f64 v[133:134], v[2:3], v[167:168], -v[133:134]
	v_mul_f64 v[129:130], v[113:114], v[171:172]
	v_fma_f64 v[127:128], v[4:5], v[167:168], v[127:128]
	ds_read_b128 v[1:4], v1 offset:1648
	v_add_f64 v[125:126], v[125:126], v[137:138]
	s_waitcnt vmcnt(9)
	v_fma_f64 v[113:114], v[113:114], v[178:179], -v[135:136]
	v_add_f64 v[5:6], v[6:7], v[131:132]
	s_waitcnt lgkmcnt(1)
	v_mul_f64 v[131:132], v[119:120], v[174:175]
	v_mul_f64 v[7:8], v[117:118], v[174:175]
	v_fma_f64 v[115:116], v[115:116], v[178:179], v[129:130]
	s_waitcnt vmcnt(7) lgkmcnt(0)
	v_mul_f64 v[129:130], v[3:4], v[182:183]
	v_add_f64 v[125:126], v[125:126], v[133:134]
	v_add_f64 v[5:6], v[5:6], v[127:128]
	s_waitcnt vmcnt(6)
	v_fma_f64 v[117:118], v[117:118], v[176:177], -v[131:132]
	v_mul_f64 v[127:128], v[1:2], v[182:183]
	v_fma_f64 v[7:8], v[119:120], v[176:177], v[7:8]
	v_add_f64 v[113:114], v[125:126], v[113:114]
	v_add_f64 v[5:6], v[5:6], v[115:116]
	s_waitcnt vmcnt(4)
	v_fma_f64 v[1:2], v[1:2], v[123:124], -v[129:130]
	v_fma_f64 v[3:4], v[3:4], v[123:124], v[127:128]
	v_add_f64 v[113:114], v[113:114], v[117:118]
	v_add_f64 v[5:6], v[5:6], v[7:8]
	;; [unrolled: 1-line block ×4, first 2 shown]
	s_waitcnt vmcnt(2)
	v_add_f64 v[1:2], v[121:122], -v[1:2]
	s_waitcnt vmcnt(0)
	v_add_f64 v[3:4], v[184:185], -v[3:4]
	buffer_store_dword v2, off, s[0:3], 0 offset:580
	buffer_store_dword v1, off, s[0:3], 0 offset:576
	;; [unrolled: 1-line block ×4, first 2 shown]
	v_cmpx_lt_u32_e32 34, v0
	s_cbranch_execz .LBB115_257
; %bb.256:
	v_mov_b32_e32 v4, s29
	v_mov_b32_e32 v5, 0
	s_clause 0x3
	buffer_load_dword v1, v4, s[0:3], 0 offen
	buffer_load_dword v2, v4, s[0:3], 0 offen offset:4
	buffer_load_dword v3, v4, s[0:3], 0 offen offset:8
	buffer_load_dword v4, v4, s[0:3], 0 offen offset:12
	buffer_store_dword v5, off, s[0:3], 0 offset:560
	buffer_store_dword v5, off, s[0:3], 0 offset:564
	;; [unrolled: 1-line block ×4, first 2 shown]
	s_waitcnt vmcnt(0)
	ds_write_b128 v173, v[1:4]
.LBB115_257:
	s_or_b32 exec_lo, exec_lo, s4
	s_waitcnt lgkmcnt(0)
	s_waitcnt_vscnt null, 0x0
	s_barrier
	buffer_gl0_inv
	s_clause 0x35
	buffer_load_dword v6, off, s[0:3], 0 offset:584
	buffer_load_dword v7, off, s[0:3], 0 offset:588
	buffer_load_dword v121, off, s[0:3], 0 offset:600
	buffer_load_dword v122, off, s[0:3], 0 offset:604
	buffer_load_dword v123, off, s[0:3], 0 offset:576
	buffer_load_dword v124, off, s[0:3], 0 offset:580
	buffer_load_dword v125, off, s[0:3], 0 offset:616
	buffer_load_dword v126, off, s[0:3], 0 offset:620
	buffer_load_dword v127, off, s[0:3], 0 offset:592
	buffer_load_dword v128, off, s[0:3], 0 offset:596
	buffer_load_dword v130, off, s[0:3], 0 offset:636
	buffer_load_dword v129, off, s[0:3], 0 offset:632
	buffer_load_dword v131, off, s[0:3], 0 offset:608
	buffer_load_dword v132, off, s[0:3], 0 offset:612
	buffer_load_dword v133, off, s[0:3], 0 offset:648
	buffer_load_dword v134, off, s[0:3], 0 offset:652
	buffer_load_dword v136, off, s[0:3], 0 offset:628
	buffer_load_dword v135, off, s[0:3], 0 offset:624
	buffer_load_dword v138, off, s[0:3], 0 offset:668
	buffer_load_dword v137, off, s[0:3], 0 offset:664
	buffer_load_dword v139, off, s[0:3], 0 offset:640
	buffer_load_dword v140, off, s[0:3], 0 offset:644
	buffer_load_dword v141, off, s[0:3], 0 offset:680
	buffer_load_dword v142, off, s[0:3], 0 offset:684
	buffer_load_dword v144, off, s[0:3], 0 offset:660
	buffer_load_dword v143, off, s[0:3], 0 offset:656
	buffer_load_dword v146, off, s[0:3], 0 offset:700
	buffer_load_dword v145, off, s[0:3], 0 offset:696
	buffer_load_dword v147, off, s[0:3], 0 offset:672
	buffer_load_dword v148, off, s[0:3], 0 offset:676
	buffer_load_dword v149, off, s[0:3], 0 offset:712
	buffer_load_dword v150, off, s[0:3], 0 offset:716
	buffer_load_dword v152, off, s[0:3], 0 offset:692
	buffer_load_dword v151, off, s[0:3], 0 offset:688
	buffer_load_dword v154, off, s[0:3], 0 offset:732
	buffer_load_dword v153, off, s[0:3], 0 offset:728
	buffer_load_dword v155, off, s[0:3], 0 offset:704
	buffer_load_dword v156, off, s[0:3], 0 offset:708
	buffer_load_dword v157, off, s[0:3], 0 offset:744
	buffer_load_dword v158, off, s[0:3], 0 offset:748
	buffer_load_dword v160, off, s[0:3], 0 offset:724
	buffer_load_dword v159, off, s[0:3], 0 offset:720
	buffer_load_dword v162, off, s[0:3], 0 offset:764
	buffer_load_dword v161, off, s[0:3], 0 offset:760
	buffer_load_dword v163, off, s[0:3], 0 offset:736
	buffer_load_dword v164, off, s[0:3], 0 offset:740
	buffer_load_dword v165, off, s[0:3], 0 offset:776
	buffer_load_dword v166, off, s[0:3], 0 offset:780
	buffer_load_dword v168, off, s[0:3], 0 offset:756
	buffer_load_dword v167, off, s[0:3], 0 offset:752
	buffer_load_dword v170, off, s[0:3], 0 offset:796
	buffer_load_dword v169, off, s[0:3], 0 offset:792
	buffer_load_dword v171, off, s[0:3], 0 offset:768
	buffer_load_dword v172, off, s[0:3], 0 offset:772
	v_mov_b32_e32 v1, 0
	s_mov_b32 s4, exec_lo
	ds_read_b128 v[2:5], v1 offset:1392
	s_clause 0x3
	buffer_load_dword v174, off, s[0:3], 0 offset:808
	buffer_load_dword v175, off, s[0:3], 0 offset:812
	;; [unrolled: 1-line block ×4, first 2 shown]
	ds_read_b128 v[113:116], v1 offset:1408
	s_clause 0x3
	buffer_load_dword v181, off, s[0:3], 0 offset:828
	buffer_load_dword v180, off, s[0:3], 0 offset:824
	;; [unrolled: 1-line block ×4, first 2 shown]
	ds_read_b128 v[117:120], v1 offset:1424
	s_waitcnt vmcnt(60) lgkmcnt(2)
	v_mul_f64 v[178:179], v[4:5], v[6:7]
	v_mul_f64 v[6:7], v[2:3], v[6:7]
	s_waitcnt vmcnt(58) lgkmcnt(1)
	v_mul_f64 v[184:185], v[115:116], v[121:122]
	v_mul_f64 v[121:122], v[113:114], v[121:122]
	s_waitcnt vmcnt(54) lgkmcnt(0)
	v_mul_f64 v[188:189], v[117:118], v[125:126]
	v_mul_f64 v[125:126], v[119:120], v[125:126]
	v_fma_f64 v[178:179], v[2:3], v[123:124], -v[178:179]
	v_fma_f64 v[6:7], v[4:5], v[123:124], v[6:7]
	s_clause 0x3
	buffer_load_dword v123, off, s[0:3], 0 offset:840
	buffer_load_dword v124, off, s[0:3], 0 offset:844
	;; [unrolled: 1-line block ×4, first 2 shown]
	s_waitcnt vmcnt(56)
	v_fma_f64 v[184:185], v[113:114], v[127:128], -v[184:185]
	ds_read_b128 v[2:5], v1 offset:1440
	v_fma_f64 v[121:122], v[115:116], v[127:128], v[121:122]
	s_clause 0x1
	buffer_load_dword v127, off, s[0:3], 0 offset:832
	buffer_load_dword v128, off, s[0:3], 0 offset:836
	s_waitcnt vmcnt(54)
	v_fma_f64 v[125:126], v[117:118], v[131:132], -v[125:126]
	ds_read_b128 v[113:116], v1 offset:1456
	v_fma_f64 v[131:132], v[119:120], v[131:132], v[188:189]
	ds_read_b128 v[117:120], v1 offset:1472
	v_add_f64 v[178:179], v[178:179], 0
	v_add_f64 v[6:7], v[6:7], 0
	s_waitcnt lgkmcnt(2)
	v_mul_f64 v[190:191], v[2:3], v[129:130]
	v_mul_f64 v[129:130], v[4:5], v[129:130]
	v_add_f64 v[178:179], v[178:179], v[184:185]
	v_add_f64 v[6:7], v[6:7], v[121:122]
	s_waitcnt vmcnt(52) lgkmcnt(1)
	v_mul_f64 v[121:122], v[113:114], v[133:134]
	v_mul_f64 v[133:134], v[115:116], v[133:134]
	s_waitcnt vmcnt(50)
	v_fma_f64 v[129:130], v[2:3], v[135:136], -v[129:130]
	v_fma_f64 v[135:136], v[4:5], v[135:136], v[190:191]
	s_waitcnt vmcnt(48) lgkmcnt(0)
	v_mul_f64 v[184:185], v[117:118], v[137:138]
	v_mul_f64 v[137:138], v[119:120], v[137:138]
	v_add_f64 v[125:126], v[178:179], v[125:126]
	v_add_f64 v[6:7], v[6:7], v[131:132]
	s_clause 0x3
	buffer_load_dword v131, off, s[0:3], 0 offset:560
	buffer_load_dword v132, off, s[0:3], 0 offset:564
	;; [unrolled: 1-line block ×4, first 2 shown]
	s_waitcnt vmcnt(50)
	v_fma_f64 v[133:134], v[113:114], v[139:140], -v[133:134]
	ds_read_b128 v[2:5], v1 offset:1488
	v_fma_f64 v[121:122], v[115:116], v[139:140], v[121:122]
	ds_read_b128 v[113:116], v1 offset:1504
	s_waitcnt vmcnt(46)
	v_fma_f64 v[137:138], v[117:118], v[143:144], -v[137:138]
	v_add_f64 v[125:126], v[125:126], v[129:130]
	v_add_f64 v[6:7], v[6:7], v[135:136]
	s_waitcnt lgkmcnt(1)
	v_mul_f64 v[135:136], v[4:5], v[141:142]
	v_mul_f64 v[129:130], v[2:3], v[141:142]
	s_waitcnt vmcnt(44) lgkmcnt(0)
	v_mul_f64 v[139:140], v[115:116], v[145:146]
	v_add_f64 v[125:126], v[125:126], v[133:134]
	v_fma_f64 v[133:134], v[119:120], v[143:144], v[184:185]
	v_add_f64 v[6:7], v[6:7], v[121:122]
	s_waitcnt vmcnt(42)
	v_fma_f64 v[135:136], v[2:3], v[147:148], -v[135:136]
	ds_read_b128 v[117:120], v1 offset:1520
	v_mul_f64 v[121:122], v[113:114], v[145:146]
	v_fma_f64 v[129:130], v[4:5], v[147:148], v[129:130]
	ds_read_b128 v[2:5], v1 offset:1536
	s_waitcnt vmcnt(38)
	v_fma_f64 v[139:140], v[113:114], v[151:152], -v[139:140]
	v_add_f64 v[125:126], v[125:126], v[137:138]
	v_add_f64 v[6:7], v[6:7], v[133:134]
	s_waitcnt lgkmcnt(1)
	v_mul_f64 v[137:138], v[119:120], v[149:150]
	v_mul_f64 v[133:134], v[117:118], v[149:150]
	v_fma_f64 v[121:122], v[115:116], v[151:152], v[121:122]
	ds_read_b128 v[113:116], v1 offset:1552
	v_add_f64 v[125:126], v[125:126], v[135:136]
	s_waitcnt vmcnt(36) lgkmcnt(1)
	v_mul_f64 v[135:136], v[4:5], v[153:154]
	v_add_f64 v[6:7], v[6:7], v[129:130]
	s_waitcnt vmcnt(34)
	v_fma_f64 v[137:138], v[117:118], v[155:156], -v[137:138]
	v_mul_f64 v[129:130], v[2:3], v[153:154]
	v_fma_f64 v[133:134], v[119:120], v[155:156], v[133:134]
	ds_read_b128 v[117:120], v1 offset:1568
	v_add_f64 v[125:126], v[125:126], v[139:140]
	s_waitcnt vmcnt(32) lgkmcnt(1)
	v_mul_f64 v[139:140], v[115:116], v[157:158]
	v_add_f64 v[6:7], v[6:7], v[121:122]
	s_waitcnt vmcnt(30)
	v_fma_f64 v[135:136], v[2:3], v[159:160], -v[135:136]
	;; [unrolled: 9-line block ×7, first 2 shown]
	v_mul_f64 v[129:130], v[2:3], v[180:181]
	v_fma_f64 v[119:120], v[119:120], v[182:183], v[133:134]
	v_add_f64 v[125:126], v[125:126], v[139:140]
	v_add_f64 v[6:7], v[6:7], v[121:122]
	s_waitcnt vmcnt(8) lgkmcnt(0)
	v_mul_f64 v[121:122], v[113:114], v[123:124]
	v_mul_f64 v[123:124], v[115:116], v[123:124]
	s_waitcnt vmcnt(6)
	v_fma_f64 v[2:3], v[2:3], v[186:187], -v[135:136]
	v_fma_f64 v[4:5], v[4:5], v[186:187], v[129:130]
	v_add_f64 v[117:118], v[125:126], v[117:118]
	v_add_f64 v[6:7], v[6:7], v[119:120]
	s_waitcnt vmcnt(4)
	v_fma_f64 v[115:116], v[115:116], v[127:128], v[121:122]
	v_fma_f64 v[113:114], v[113:114], v[127:128], -v[123:124]
	v_add_f64 v[2:3], v[117:118], v[2:3]
	v_add_f64 v[4:5], v[6:7], v[4:5]
	;; [unrolled: 1-line block ×4, first 2 shown]
	s_waitcnt vmcnt(2)
	v_add_f64 v[2:3], v[131:132], -v[2:3]
	s_waitcnt vmcnt(0)
	v_add_f64 v[4:5], v[178:179], -v[4:5]
	buffer_store_dword v3, off, s[0:3], 0 offset:564
	buffer_store_dword v2, off, s[0:3], 0 offset:560
	;; [unrolled: 1-line block ×4, first 2 shown]
	v_cmpx_lt_u32_e32 33, v0
	s_cbranch_execz .LBB115_259
; %bb.258:
	v_mov_b32_e32 v5, s30
	s_clause 0x3
	buffer_load_dword v2, v5, s[0:3], 0 offen
	buffer_load_dword v3, v5, s[0:3], 0 offen offset:4
	buffer_load_dword v4, v5, s[0:3], 0 offen offset:8
	;; [unrolled: 1-line block ×3, first 2 shown]
	buffer_store_dword v1, off, s[0:3], 0 offset:544
	buffer_store_dword v1, off, s[0:3], 0 offset:548
	;; [unrolled: 1-line block ×4, first 2 shown]
	s_waitcnt vmcnt(0)
	ds_write_b128 v173, v[2:5]
.LBB115_259:
	s_or_b32 exec_lo, exec_lo, s4
	s_waitcnt lgkmcnt(0)
	s_waitcnt_vscnt null, 0x0
	s_barrier
	buffer_gl0_inv
	s_clause 0x37
	buffer_load_dword v6, off, s[0:3], 0 offset:568
	buffer_load_dword v7, off, s[0:3], 0 offset:572
	;; [unrolled: 1-line block ×56, first 2 shown]
	ds_read_b128 v[2:5], v1 offset:1376
	s_clause 0x2
	buffer_load_dword v175, off, s[0:3], 0 offset:796
	buffer_load_dword v179, off, s[0:3], 0 offset:772
	;; [unrolled: 1-line block ×3, first 2 shown]
	ds_read_b128 v[113:116], v1 offset:1392
	s_clause 0x4
	buffer_load_dword v183, off, s[0:3], 0 offset:812
	buffer_load_dword v184, off, s[0:3], 0 offset:824
	buffer_load_dword v186, off, s[0:3], 0 offset:816
	buffer_load_dword v182, off, s[0:3], 0 offset:808
	buffer_load_dword v177, off, s[0:3], 0 offset:788
	ds_read_b128 v[117:120], v1 offset:1408
	s_mov_b32 s4, exec_lo
	s_waitcnt vmcnt(62) lgkmcnt(2)
	v_mul_f64 v[180:181], v[4:5], v[6:7]
	v_mul_f64 v[6:7], v[2:3], v[6:7]
	s_waitcnt vmcnt(60) lgkmcnt(1)
	v_mul_f64 v[187:188], v[115:116], v[121:122]
	v_mul_f64 v[121:122], v[113:114], v[121:122]
	;; [unrolled: 3-line block ×3, first 2 shown]
	v_fma_f64 v[180:181], v[2:3], v[123:124], -v[180:181]
	v_fma_f64 v[6:7], v[4:5], v[123:124], v[6:7]
	s_clause 0x2
	buffer_load_dword v185, off, s[0:3], 0 offset:828
	buffer_load_dword v124, off, s[0:3], 0 offset:804
	;; [unrolled: 1-line block ×3, first 2 shown]
	s_waitcnt vmcnt(57)
	v_fma_f64 v[191:192], v[113:114], v[127:128], -v[187:188]
	ds_read_b128 v[2:5], v1 offset:1424
	v_fma_f64 v[121:122], v[115:116], v[127:128], v[121:122]
	s_clause 0x2
	buffer_load_dword v128, off, s[0:3], 0 offset:844
	buffer_load_dword v127, off, s[0:3], 0 offset:840
	;; [unrolled: 1-line block ×3, first 2 shown]
	s_waitcnt vmcnt(54)
	v_fma_f64 v[125:126], v[117:118], v[135:136], -v[125:126]
	ds_read_b128 v[113:116], v1 offset:1440
	v_fma_f64 v[135:136], v[119:120], v[135:136], v[189:190]
	v_add_f64 v[180:181], v[180:181], 0
	v_add_f64 v[6:7], v[6:7], 0
	s_waitcnt lgkmcnt(1)
	v_mul_f64 v[193:194], v[2:3], v[129:130]
	v_mul_f64 v[129:130], v[4:5], v[129:130]
	s_waitcnt vmcnt(53) lgkmcnt(0)
	v_mul_f64 v[188:189], v[113:114], v[131:132]
	v_mul_f64 v[131:132], v[115:116], v[131:132]
	v_add_f64 v[180:181], v[180:181], v[191:192]
	v_add_f64 v[6:7], v[6:7], v[121:122]
	s_clause 0x1
	buffer_load_dword v122, off, s[0:3], 0 offset:836
	buffer_load_dword v121, off, s[0:3], 0 offset:832
	s_waitcnt vmcnt(53)
	v_fma_f64 v[129:130], v[2:3], v[137:138], -v[129:130]
	ds_read_b128 v[117:120], v1 offset:1456
	v_fma_f64 v[137:138], v[4:5], v[137:138], v[193:194]
	ds_read_b128 v[2:5], v1 offset:1472
	s_waitcnt vmcnt(48)
	v_fma_f64 v[131:132], v[113:114], v[133:134], -v[131:132]
	v_add_f64 v[125:126], v[180:181], v[125:126]
	v_add_f64 v[6:7], v[6:7], v[135:136]
	s_waitcnt lgkmcnt(1)
	v_mul_f64 v[135:136], v[117:118], v[139:140]
	v_mul_f64 v[139:140], v[119:120], v[139:140]
	s_waitcnt vmcnt(47) lgkmcnt(0)
	v_mul_f64 v[180:181], v[2:3], v[141:142]
	v_mul_f64 v[141:142], v[4:5], v[141:142]
	v_add_f64 v[125:126], v[125:126], v[129:130]
	v_fma_f64 v[129:130], v[115:116], v[133:134], v[188:189]
	v_add_f64 v[6:7], v[6:7], v[137:138]
	s_clause 0x3
	buffer_load_dword v133, off, s[0:3], 0 offset:544
	buffer_load_dword v134, off, s[0:3], 0 offset:548
	;; [unrolled: 1-line block ×4, first 2 shown]
	s_waitcnt vmcnt(49)
	v_fma_f64 v[139:140], v[117:118], v[145:146], -v[139:140]
	ds_read_b128 v[113:116], v1 offset:1488
	s_waitcnt vmcnt(44)
	v_fma_f64 v[141:142], v[2:3], v[143:144], -v[141:142]
	v_add_f64 v[125:126], v[125:126], v[131:132]
	v_fma_f64 v[131:132], v[119:120], v[145:146], v[135:136]
	v_add_f64 v[6:7], v[6:7], v[129:130]
	ds_read_b128 v[117:120], v1 offset:1504
	s_waitcnt lgkmcnt(1)
	v_mul_f64 v[135:136], v[115:116], v[147:148]
	v_mul_f64 v[129:130], v[113:114], v[147:148]
	v_add_f64 v[125:126], v[125:126], v[139:140]
	v_fma_f64 v[139:140], v[4:5], v[143:144], v[180:181]
	v_add_f64 v[6:7], v[6:7], v[131:132]
	s_waitcnt vmcnt(43) lgkmcnt(0)
	v_mul_f64 v[143:144], v[119:120], v[149:150]
	s_waitcnt vmcnt(41)
	v_fma_f64 v[135:136], v[113:114], v[153:154], -v[135:136]
	ds_read_b128 v[2:5], v1 offset:1520
	v_mul_f64 v[131:132], v[117:118], v[149:150]
	v_fma_f64 v[129:130], v[115:116], v[153:154], v[129:130]
	ds_read_b128 v[113:116], v1 offset:1536
	v_add_f64 v[125:126], v[125:126], v[141:142]
	v_add_f64 v[6:7], v[6:7], v[139:140]
	s_waitcnt vmcnt(37) lgkmcnt(1)
	v_mul_f64 v[141:142], v[4:5], v[155:156]
	s_waitcnt vmcnt(36)
	v_fma_f64 v[143:144], v[117:118], v[151:152], -v[143:144]
	v_mul_f64 v[139:140], v[2:3], v[155:156]
	v_fma_f64 v[131:132], v[119:120], v[151:152], v[131:132]
	ds_read_b128 v[117:120], v1 offset:1552
	v_add_f64 v[125:126], v[125:126], v[135:136]
	s_waitcnt vmcnt(35) lgkmcnt(1)
	v_mul_f64 v[135:136], v[115:116], v[157:158]
	v_add_f64 v[6:7], v[6:7], v[129:130]
	s_waitcnt vmcnt(33)
	v_fma_f64 v[141:142], v[2:3], v[161:162], -v[141:142]
	v_mul_f64 v[129:130], v[113:114], v[157:158]
	v_fma_f64 v[139:140], v[4:5], v[161:162], v[139:140]
	ds_read_b128 v[2:5], v1 offset:1568
	v_add_f64 v[125:126], v[125:126], v[143:144]
	s_waitcnt vmcnt(29) lgkmcnt(1)
	v_mul_f64 v[143:144], v[119:120], v[163:164]
	v_add_f64 v[6:7], v[6:7], v[131:132]
	;; [unrolled: 9-line block ×6, first 2 shown]
	s_waitcnt vmcnt(12)
	v_fma_f64 v[143:144], v[117:118], v[176:177], -v[143:144]
	v_mul_f64 v[139:140], v[2:3], v[182:183]
	v_fma_f64 v[131:132], v[119:120], v[176:177], v[131:132]
	ds_read_b128 v[117:120], v1 offset:1648
	v_add_f64 v[125:126], v[125:126], v[135:136]
	v_add_f64 v[6:7], v[6:7], v[129:130]
	s_waitcnt vmcnt(11) lgkmcnt(1)
	v_mul_f64 v[135:136], v[115:116], v[184:185]
	v_mul_f64 v[129:130], v[113:114], v[184:185]
	s_waitcnt vmcnt(9)
	v_fma_f64 v[1:2], v[2:3], v[123:124], -v[141:142]
	v_fma_f64 v[3:4], v[4:5], v[123:124], v[139:140]
	s_waitcnt vmcnt(7) lgkmcnt(0)
	v_mul_f64 v[123:124], v[119:120], v[127:128]
	v_add_f64 v[125:126], v[125:126], v[143:144]
	v_add_f64 v[5:6], v[6:7], v[131:132]
	v_mul_f64 v[7:8], v[117:118], v[127:128]
	s_waitcnt vmcnt(6)
	v_fma_f64 v[113:114], v[113:114], v[186:187], -v[135:136]
	v_fma_f64 v[115:116], v[115:116], v[186:187], v[129:130]
	v_add_f64 v[1:2], v[125:126], v[1:2]
	v_add_f64 v[3:4], v[5:6], v[3:4]
	s_waitcnt vmcnt(4)
	v_fma_f64 v[5:6], v[117:118], v[121:122], -v[123:124]
	v_fma_f64 v[7:8], v[119:120], v[121:122], v[7:8]
	v_add_f64 v[1:2], v[1:2], v[113:114]
	v_add_f64 v[3:4], v[3:4], v[115:116]
	;; [unrolled: 1-line block ×4, first 2 shown]
	s_waitcnt vmcnt(2)
	v_add_f64 v[1:2], v[133:134], -v[1:2]
	s_waitcnt vmcnt(0)
	v_add_f64 v[3:4], v[137:138], -v[3:4]
	buffer_store_dword v2, off, s[0:3], 0 offset:548
	buffer_store_dword v1, off, s[0:3], 0 offset:544
	;; [unrolled: 1-line block ×4, first 2 shown]
	v_cmpx_lt_u32_e32 32, v0
	s_cbranch_execz .LBB115_261
; %bb.260:
	v_mov_b32_e32 v4, s31
	v_mov_b32_e32 v5, 0
	s_clause 0x3
	buffer_load_dword v1, v4, s[0:3], 0 offen
	buffer_load_dword v2, v4, s[0:3], 0 offen offset:4
	buffer_load_dword v3, v4, s[0:3], 0 offen offset:8
	;; [unrolled: 1-line block ×3, first 2 shown]
	buffer_store_dword v5, off, s[0:3], 0 offset:528
	buffer_store_dword v5, off, s[0:3], 0 offset:532
	;; [unrolled: 1-line block ×4, first 2 shown]
	s_waitcnt vmcnt(0)
	ds_write_b128 v173, v[1:4]
.LBB115_261:
	s_or_b32 exec_lo, exec_lo, s4
	s_waitcnt lgkmcnt(0)
	s_waitcnt_vscnt null, 0x0
	s_barrier
	buffer_gl0_inv
	s_clause 0x37
	buffer_load_dword v6, off, s[0:3], 0 offset:552
	buffer_load_dword v7, off, s[0:3], 0 offset:556
	;; [unrolled: 1-line block ×56, first 2 shown]
	v_mov_b32_e32 v1, 0
	s_mov_b32 s4, exec_lo
	ds_read_b128 v[2:5], v1 offset:1360
	s_clause 0x2
	buffer_load_dword v175, off, s[0:3], 0 offset:780
	buffer_load_dword v179, off, s[0:3], 0 offset:756
	;; [unrolled: 1-line block ×3, first 2 shown]
	ds_read_b128 v[113:116], v1 offset:1376
	s_clause 0x4
	buffer_load_dword v183, off, s[0:3], 0 offset:796
	buffer_load_dword v184, off, s[0:3], 0 offset:808
	buffer_load_dword v186, off, s[0:3], 0 offset:800
	buffer_load_dword v182, off, s[0:3], 0 offset:792
	buffer_load_dword v177, off, s[0:3], 0 offset:772
	ds_read_b128 v[117:120], v1 offset:1392
	s_waitcnt vmcnt(62) lgkmcnt(2)
	v_mul_f64 v[180:181], v[4:5], v[6:7]
	v_mul_f64 v[6:7], v[2:3], v[6:7]
	s_waitcnt vmcnt(60) lgkmcnt(1)
	v_mul_f64 v[187:188], v[115:116], v[121:122]
	v_mul_f64 v[121:122], v[113:114], v[121:122]
	;; [unrolled: 3-line block ×3, first 2 shown]
	v_fma_f64 v[180:181], v[2:3], v[123:124], -v[180:181]
	v_fma_f64 v[6:7], v[4:5], v[123:124], v[6:7]
	s_clause 0x2
	buffer_load_dword v185, off, s[0:3], 0 offset:812
	buffer_load_dword v124, off, s[0:3], 0 offset:788
	;; [unrolled: 1-line block ×3, first 2 shown]
	s_waitcnt vmcnt(57)
	v_fma_f64 v[191:192], v[113:114], v[127:128], -v[187:188]
	ds_read_b128 v[2:5], v1 offset:1408
	v_fma_f64 v[121:122], v[115:116], v[127:128], v[121:122]
	s_clause 0x4
	buffer_load_dword v128, off, s[0:3], 0 offset:828
	buffer_load_dword v188, off, s[0:3], 0 offset:840
	;; [unrolled: 1-line block ×5, first 2 shown]
	s_waitcnt vmcnt(56)
	v_fma_f64 v[125:126], v[117:118], v[135:136], -v[125:126]
	ds_read_b128 v[113:116], v1 offset:1424
	v_fma_f64 v[135:136], v[119:120], v[135:136], v[189:190]
	v_add_f64 v[180:181], v[180:181], 0
	v_add_f64 v[6:7], v[6:7], 0
	s_waitcnt lgkmcnt(1)
	v_mul_f64 v[194:195], v[2:3], v[129:130]
	v_mul_f64 v[129:130], v[4:5], v[129:130]
	v_add_f64 v[180:181], v[180:181], v[191:192]
	v_add_f64 v[6:7], v[6:7], v[121:122]
	s_clause 0x2
	buffer_load_dword v189, off, s[0:3], 0 offset:844
	buffer_load_dword v122, off, s[0:3], 0 offset:820
	;; [unrolled: 1-line block ×3, first 2 shown]
	s_waitcnt vmcnt(58) lgkmcnt(0)
	v_mul_f64 v[190:191], v[113:114], v[131:132]
	v_mul_f64 v[131:132], v[115:116], v[131:132]
	s_waitcnt vmcnt(56)
	v_fma_f64 v[129:130], v[2:3], v[137:138], -v[129:130]
	ds_read_b128 v[117:120], v1 offset:1440
	v_fma_f64 v[137:138], v[4:5], v[137:138], v[194:195]
	buffer_load_dword v194, off, s[0:3], 0 offset:836
	ds_read_b128 v[2:5], v1 offset:1456
	v_add_f64 v[125:126], v[180:181], v[125:126]
	v_add_f64 v[6:7], v[6:7], v[135:136]
	s_waitcnt vmcnt(53) lgkmcnt(1)
	v_mul_f64 v[135:136], v[117:118], v[139:140]
	v_mul_f64 v[139:140], v[119:120], v[139:140]
	s_waitcnt vmcnt(52)
	v_fma_f64 v[131:132], v[113:114], v[133:134], -v[131:132]
	v_add_f64 v[125:126], v[125:126], v[129:130]
	v_fma_f64 v[129:130], v[115:116], v[133:134], v[190:191]
	v_add_f64 v[6:7], v[6:7], v[137:138]
	s_waitcnt vmcnt(51) lgkmcnt(0)
	v_mul_f64 v[137:138], v[4:5], v[141:142]
	ds_read_b128 v[113:116], v1 offset:1472
	s_waitcnt vmcnt(49)
	v_fma_f64 v[139:140], v[117:118], v[145:146], -v[139:140]
	v_mul_f64 v[133:134], v[2:3], v[141:142]
	v_add_f64 v[125:126], v[125:126], v[131:132]
	v_fma_f64 v[131:132], v[119:120], v[145:146], v[135:136]
	v_add_f64 v[6:7], v[6:7], v[129:130]
	s_clause 0x3
	buffer_load_dword v129, off, s[0:3], 0 offset:528
	buffer_load_dword v130, off, s[0:3], 0 offset:532
	;; [unrolled: 1-line block ×4, first 2 shown]
	s_waitcnt vmcnt(49) lgkmcnt(0)
	v_mul_f64 v[145:146], v[115:116], v[147:148]
	s_waitcnt vmcnt(48)
	v_fma_f64 v[137:138], v[2:3], v[143:144], -v[137:138]
	ds_read_b128 v[117:120], v1 offset:1488
	v_mul_f64 v[141:142], v[113:114], v[147:148]
	v_fma_f64 v[133:134], v[4:5], v[143:144], v[133:134]
	ds_read_b128 v[2:5], v1 offset:1504
	v_add_f64 v[125:126], v[125:126], v[139:140]
	v_add_f64 v[6:7], v[6:7], v[131:132]
	s_waitcnt vmcnt(47) lgkmcnt(1)
	v_mul_f64 v[139:140], v[119:120], v[149:150]
	s_waitcnt vmcnt(45)
	v_fma_f64 v[143:144], v[113:114], v[153:154], -v[145:146]
	v_mul_f64 v[131:132], v[117:118], v[149:150]
	v_add_f64 v[125:126], v[125:126], v[137:138]
	v_fma_f64 v[137:138], v[115:116], v[153:154], v[141:142]
	v_add_f64 v[6:7], v[6:7], v[133:134]
	s_waitcnt vmcnt(41) lgkmcnt(0)
	v_mul_f64 v[141:142], v[4:5], v[155:156]
	s_waitcnt vmcnt(40)
	v_fma_f64 v[139:140], v[117:118], v[151:152], -v[139:140]
	ds_read_b128 v[113:116], v1 offset:1520
	v_mul_f64 v[133:134], v[2:3], v[155:156]
	v_fma_f64 v[131:132], v[119:120], v[151:152], v[131:132]
	ds_read_b128 v[117:120], v1 offset:1536
	v_add_f64 v[125:126], v[125:126], v[143:144]
	v_add_f64 v[6:7], v[6:7], v[137:138]
	s_waitcnt vmcnt(39) lgkmcnt(1)
	v_mul_f64 v[143:144], v[115:116], v[157:158]
	s_waitcnt vmcnt(37)
	v_fma_f64 v[141:142], v[2:3], v[161:162], -v[141:142]
	v_mul_f64 v[137:138], v[113:114], v[157:158]
	v_fma_f64 v[133:134], v[4:5], v[161:162], v[133:134]
	ds_read_b128 v[2:5], v1 offset:1552
	v_add_f64 v[125:126], v[125:126], v[139:140]
	s_waitcnt vmcnt(33) lgkmcnt(1)
	v_mul_f64 v[139:140], v[119:120], v[163:164]
	v_add_f64 v[6:7], v[6:7], v[131:132]
	s_waitcnt vmcnt(32)
	v_fma_f64 v[143:144], v[113:114], v[159:160], -v[143:144]
	v_mul_f64 v[131:132], v[117:118], v[163:164]
	v_fma_f64 v[137:138], v[115:116], v[159:160], v[137:138]
	ds_read_b128 v[113:116], v1 offset:1568
	v_add_f64 v[125:126], v[125:126], v[141:142]
	s_waitcnt vmcnt(31) lgkmcnt(1)
	v_mul_f64 v[141:142], v[4:5], v[165:166]
	v_add_f64 v[6:7], v[6:7], v[133:134]
	;; [unrolled: 9-line block ×5, first 2 shown]
	s_waitcnt vmcnt(16)
	v_fma_f64 v[139:140], v[117:118], v[176:177], -v[139:140]
	v_mul_f64 v[133:134], v[2:3], v[182:183]
	v_fma_f64 v[131:132], v[119:120], v[176:177], v[131:132]
	ds_read_b128 v[117:120], v1 offset:1632
	v_add_f64 v[125:126], v[125:126], v[143:144]
	v_add_f64 v[6:7], v[6:7], v[137:138]
	s_waitcnt vmcnt(15) lgkmcnt(1)
	v_mul_f64 v[143:144], v[115:116], v[184:185]
	v_mul_f64 v[137:138], v[113:114], v[184:185]
	s_waitcnt vmcnt(13)
	v_fma_f64 v[141:142], v[2:3], v[123:124], -v[141:142]
	v_fma_f64 v[123:124], v[4:5], v[123:124], v[133:134]
	ds_read_b128 v[2:5], v1 offset:1648
	v_add_f64 v[125:126], v[125:126], v[139:140]
	v_add_f64 v[6:7], v[6:7], v[131:132]
	s_waitcnt vmcnt(9) lgkmcnt(1)
	v_mul_f64 v[131:132], v[117:118], v[127:128]
	v_mul_f64 v[127:128], v[119:120], v[127:128]
	s_waitcnt vmcnt(8)
	v_fma_f64 v[113:114], v[113:114], v[186:187], -v[143:144]
	v_fma_f64 v[115:116], v[115:116], v[186:187], v[137:138]
	v_add_f64 v[125:126], v[125:126], v[141:142]
	v_add_f64 v[6:7], v[6:7], v[123:124]
	s_waitcnt vmcnt(7) lgkmcnt(0)
	v_mul_f64 v[133:134], v[4:5], v[188:189]
	v_mul_f64 v[123:124], v[2:3], v[188:189]
	s_waitcnt vmcnt(5)
	v_fma_f64 v[117:118], v[117:118], v[121:122], -v[127:128]
	v_fma_f64 v[119:120], v[119:120], v[121:122], v[131:132]
	v_add_f64 v[113:114], v[125:126], v[113:114]
	v_add_f64 v[6:7], v[6:7], v[115:116]
	s_waitcnt vmcnt(4)
	v_fma_f64 v[2:3], v[2:3], v[193:194], -v[133:134]
	v_fma_f64 v[4:5], v[4:5], v[193:194], v[123:124]
	v_add_f64 v[113:114], v[113:114], v[117:118]
	v_add_f64 v[6:7], v[6:7], v[119:120]
	v_add_f64 v[2:3], v[113:114], v[2:3]
	v_add_f64 v[4:5], v[6:7], v[4:5]
	s_waitcnt vmcnt(2)
	v_add_f64 v[2:3], v[129:130], -v[2:3]
	s_waitcnt vmcnt(0)
	v_add_f64 v[4:5], v[135:136], -v[4:5]
	buffer_store_dword v3, off, s[0:3], 0 offset:532
	buffer_store_dword v2, off, s[0:3], 0 offset:528
	;; [unrolled: 1-line block ×4, first 2 shown]
	v_cmpx_lt_u32_e32 31, v0
	s_cbranch_execz .LBB115_263
; %bb.262:
	v_mov_b32_e32 v5, s33
	s_clause 0x3
	buffer_load_dword v2, v5, s[0:3], 0 offen
	buffer_load_dword v3, v5, s[0:3], 0 offen offset:4
	buffer_load_dword v4, v5, s[0:3], 0 offen offset:8
	;; [unrolled: 1-line block ×3, first 2 shown]
	buffer_store_dword v1, off, s[0:3], 0 offset:512
	buffer_store_dword v1, off, s[0:3], 0 offset:516
	;; [unrolled: 1-line block ×4, first 2 shown]
	s_waitcnt vmcnt(0)
	ds_write_b128 v173, v[2:5]
.LBB115_263:
	s_or_b32 exec_lo, exec_lo, s4
	s_waitcnt lgkmcnt(0)
	s_waitcnt_vscnt null, 0x0
	s_barrier
	buffer_gl0_inv
	s_clause 0x37
	buffer_load_dword v6, off, s[0:3], 0 offset:536
	buffer_load_dword v7, off, s[0:3], 0 offset:540
	;; [unrolled: 1-line block ×56, first 2 shown]
	ds_read_b128 v[2:5], v1 offset:1344
	s_clause 0x2
	buffer_load_dword v175, off, s[0:3], 0 offset:764
	buffer_load_dword v179, off, s[0:3], 0 offset:740
	;; [unrolled: 1-line block ×3, first 2 shown]
	ds_read_b128 v[113:116], v1 offset:1360
	s_clause 0x4
	buffer_load_dword v183, off, s[0:3], 0 offset:780
	buffer_load_dword v184, off, s[0:3], 0 offset:792
	buffer_load_dword v186, off, s[0:3], 0 offset:784
	buffer_load_dword v182, off, s[0:3], 0 offset:776
	buffer_load_dword v177, off, s[0:3], 0 offset:756
	ds_read_b128 v[117:120], v1 offset:1376
	s_mov_b32 s4, exec_lo
	s_waitcnt vmcnt(62) lgkmcnt(2)
	v_mul_f64 v[180:181], v[4:5], v[6:7]
	v_mul_f64 v[6:7], v[2:3], v[6:7]
	s_waitcnt vmcnt(60) lgkmcnt(1)
	v_mul_f64 v[187:188], v[115:116], v[121:122]
	v_mul_f64 v[121:122], v[113:114], v[121:122]
	;; [unrolled: 3-line block ×3, first 2 shown]
	v_fma_f64 v[180:181], v[2:3], v[123:124], -v[180:181]
	v_fma_f64 v[6:7], v[4:5], v[123:124], v[6:7]
	s_clause 0x2
	buffer_load_dword v185, off, s[0:3], 0 offset:796
	buffer_load_dword v124, off, s[0:3], 0 offset:772
	buffer_load_dword v123, off, s[0:3], 0 offset:768
	s_waitcnt vmcnt(57)
	v_fma_f64 v[191:192], v[113:114], v[127:128], -v[187:188]
	ds_read_b128 v[2:5], v1 offset:1392
	v_fma_f64 v[121:122], v[115:116], v[127:128], v[121:122]
	s_clause 0x4
	buffer_load_dword v128, off, s[0:3], 0 offset:812
	buffer_load_dword v188, off, s[0:3], 0 offset:824
	;; [unrolled: 1-line block ×5, first 2 shown]
	s_waitcnt vmcnt(56)
	v_fma_f64 v[125:126], v[117:118], v[135:136], -v[125:126]
	ds_read_b128 v[113:116], v1 offset:1408
	v_fma_f64 v[135:136], v[119:120], v[135:136], v[189:190]
	v_add_f64 v[180:181], v[180:181], 0
	v_add_f64 v[6:7], v[6:7], 0
	s_waitcnt lgkmcnt(1)
	v_mul_f64 v[194:195], v[2:3], v[129:130]
	v_mul_f64 v[129:130], v[4:5], v[129:130]
	v_add_f64 v[180:181], v[180:181], v[191:192]
	v_add_f64 v[6:7], v[6:7], v[121:122]
	s_clause 0x2
	buffer_load_dword v189, off, s[0:3], 0 offset:828
	buffer_load_dword v122, off, s[0:3], 0 offset:804
	;; [unrolled: 1-line block ×3, first 2 shown]
	s_waitcnt vmcnt(58) lgkmcnt(0)
	v_mul_f64 v[190:191], v[113:114], v[131:132]
	v_mul_f64 v[131:132], v[115:116], v[131:132]
	s_waitcnt vmcnt(56)
	v_fma_f64 v[129:130], v[2:3], v[137:138], -v[129:130]
	ds_read_b128 v[117:120], v1 offset:1424
	v_fma_f64 v[137:138], v[4:5], v[137:138], v[194:195]
	v_add_f64 v[125:126], v[180:181], v[125:126]
	v_add_f64 v[6:7], v[6:7], v[135:136]
	s_clause 0x2
	buffer_load_dword v136, off, s[0:3], 0 offset:844
	buffer_load_dword v135, off, s[0:3], 0 offset:840
	;; [unrolled: 1-line block ×3, first 2 shown]
	ds_read_b128 v[2:5], v1 offset:1440
	s_waitcnt vmcnt(55) lgkmcnt(1)
	v_mul_f64 v[180:181], v[117:118], v[139:140]
	v_mul_f64 v[139:140], v[119:120], v[139:140]
	s_waitcnt vmcnt(54)
	v_fma_f64 v[131:132], v[113:114], v[133:134], -v[131:132]
	v_add_f64 v[125:126], v[125:126], v[129:130]
	v_fma_f64 v[129:130], v[115:116], v[133:134], v[190:191]
	v_add_f64 v[6:7], v[6:7], v[137:138]
	s_clause 0x1
	buffer_load_dword v134, off, s[0:3], 0 offset:836
	buffer_load_dword v133, off, s[0:3], 0 offset:832
	s_waitcnt vmcnt(55) lgkmcnt(0)
	v_mul_f64 v[137:138], v[2:3], v[141:142]
	v_mul_f64 v[141:142], v[4:5], v[141:142]
	s_waitcnt vmcnt(53)
	v_fma_f64 v[139:140], v[117:118], v[145:146], -v[139:140]
	ds_read_b128 v[113:116], v1 offset:1456
	v_add_f64 v[125:126], v[125:126], v[131:132]
	v_fma_f64 v[131:132], v[119:120], v[145:146], v[180:181]
	v_add_f64 v[6:7], v[6:7], v[129:130]
	ds_read_b128 v[117:120], v1 offset:1472
	s_waitcnt vmcnt(48)
	v_fma_f64 v[137:138], v[4:5], v[143:144], v[137:138]
	s_waitcnt lgkmcnt(1)
	v_mul_f64 v[145:146], v[115:116], v[147:148]
	v_fma_f64 v[141:142], v[2:3], v[143:144], -v[141:142]
	v_mul_f64 v[129:130], v[113:114], v[147:148]
	v_add_f64 v[125:126], v[125:126], v[139:140]
	s_waitcnt vmcnt(47) lgkmcnt(0)
	v_mul_f64 v[147:148], v[119:120], v[149:150]
	v_add_f64 v[6:7], v[6:7], v[131:132]
	s_clause 0x3
	buffer_load_dword v131, off, s[0:3], 0 offset:512
	buffer_load_dword v132, off, s[0:3], 0 offset:516
	;; [unrolled: 1-line block ×4, first 2 shown]
	ds_read_b128 v[2:5], v1 offset:1488
	s_waitcnt vmcnt(49)
	v_fma_f64 v[145:146], v[113:114], v[153:154], -v[145:146]
	v_mul_f64 v[143:144], v[117:118], v[149:150]
	v_fma_f64 v[129:130], v[115:116], v[153:154], v[129:130]
	ds_read_b128 v[113:116], v1 offset:1504
	v_add_f64 v[125:126], v[125:126], v[141:142]
	s_waitcnt vmcnt(44)
	v_fma_f64 v[147:148], v[117:118], v[151:152], -v[147:148]
	v_add_f64 v[6:7], v[6:7], v[137:138]
	s_waitcnt lgkmcnt(1)
	v_mul_f64 v[141:142], v[4:5], v[155:156]
	v_mul_f64 v[137:138], v[2:3], v[155:156]
	v_fma_f64 v[143:144], v[119:120], v[151:152], v[143:144]
	ds_read_b128 v[117:120], v1 offset:1520
	v_add_f64 v[125:126], v[125:126], v[145:146]
	s_waitcnt vmcnt(43) lgkmcnt(1)
	v_mul_f64 v[145:146], v[115:116], v[157:158]
	v_add_f64 v[6:7], v[6:7], v[129:130]
	s_waitcnt vmcnt(41)
	v_fma_f64 v[141:142], v[2:3], v[161:162], -v[141:142]
	v_mul_f64 v[129:130], v[113:114], v[157:158]
	v_fma_f64 v[137:138], v[4:5], v[161:162], v[137:138]
	ds_read_b128 v[2:5], v1 offset:1536
	v_add_f64 v[125:126], v[125:126], v[147:148]
	s_waitcnt vmcnt(37) lgkmcnt(1)
	v_mul_f64 v[147:148], v[119:120], v[163:164]
	v_add_f64 v[6:7], v[6:7], v[143:144]
	s_waitcnt vmcnt(36)
	v_fma_f64 v[145:146], v[113:114], v[159:160], -v[145:146]
	;; [unrolled: 9-line block ×6, first 2 shown]
	v_mul_f64 v[137:138], v[2:3], v[182:183]
	v_fma_f64 v[143:144], v[119:120], v[176:177], v[143:144]
	ds_read_b128 v[117:120], v1 offset:1616
	v_add_f64 v[125:126], v[125:126], v[145:146]
	v_add_f64 v[6:7], v[6:7], v[129:130]
	s_waitcnt vmcnt(19) lgkmcnt(1)
	v_mul_f64 v[145:146], v[115:116], v[184:185]
	v_mul_f64 v[129:130], v[113:114], v[184:185]
	s_waitcnt vmcnt(17)
	v_fma_f64 v[141:142], v[2:3], v[123:124], -v[141:142]
	v_fma_f64 v[123:124], v[4:5], v[123:124], v[137:138]
	ds_read_b128 v[2:5], v1 offset:1632
	s_waitcnt vmcnt(13) lgkmcnt(1)
	v_mul_f64 v[137:138], v[117:118], v[127:128]
	v_mul_f64 v[127:128], v[119:120], v[127:128]
	v_add_f64 v[125:126], v[125:126], v[147:148]
	v_add_f64 v[6:7], v[6:7], v[143:144]
	s_waitcnt vmcnt(12)
	v_fma_f64 v[143:144], v[113:114], v[186:187], -v[145:146]
	v_fma_f64 v[129:130], v[115:116], v[186:187], v[129:130]
	ds_read_b128 v[113:116], v1 offset:1648
	v_add_f64 v[125:126], v[125:126], v[141:142]
	v_add_f64 v[6:7], v[6:7], v[123:124]
	s_waitcnt vmcnt(11) lgkmcnt(1)
	v_mul_f64 v[141:142], v[4:5], v[188:189]
	v_mul_f64 v[123:124], v[2:3], v[188:189]
	s_waitcnt vmcnt(9)
	v_fma_f64 v[117:118], v[117:118], v[121:122], -v[127:128]
	v_fma_f64 v[119:120], v[119:120], v[121:122], v[137:138]
	v_add_f64 v[125:126], v[125:126], v[143:144]
	v_add_f64 v[6:7], v[6:7], v[129:130]
	s_waitcnt vmcnt(7) lgkmcnt(0)
	v_mul_f64 v[127:128], v[115:116], v[135:136]
	s_waitcnt vmcnt(6)
	v_fma_f64 v[1:2], v[2:3], v[193:194], -v[141:142]
	v_mul_f64 v[121:122], v[113:114], v[135:136]
	v_fma_f64 v[3:4], v[4:5], v[193:194], v[123:124]
	v_add_f64 v[117:118], v[125:126], v[117:118]
	v_add_f64 v[5:6], v[6:7], v[119:120]
	s_waitcnt vmcnt(4)
	v_fma_f64 v[7:8], v[113:114], v[133:134], -v[127:128]
	v_fma_f64 v[113:114], v[115:116], v[133:134], v[121:122]
	v_add_f64 v[1:2], v[117:118], v[1:2]
	v_add_f64 v[3:4], v[5:6], v[3:4]
	;; [unrolled: 1-line block ×4, first 2 shown]
	s_waitcnt vmcnt(2)
	v_add_f64 v[1:2], v[131:132], -v[1:2]
	s_waitcnt vmcnt(0)
	v_add_f64 v[3:4], v[139:140], -v[3:4]
	buffer_store_dword v2, off, s[0:3], 0 offset:516
	buffer_store_dword v1, off, s[0:3], 0 offset:512
	;; [unrolled: 1-line block ×4, first 2 shown]
	v_cmpx_lt_u32_e32 30, v0
	s_cbranch_execz .LBB115_265
; %bb.264:
	v_mov_b32_e32 v4, s34
	v_mov_b32_e32 v5, 0
	s_clause 0x3
	buffer_load_dword v1, v4, s[0:3], 0 offen
	buffer_load_dword v2, v4, s[0:3], 0 offen offset:4
	buffer_load_dword v3, v4, s[0:3], 0 offen offset:8
	buffer_load_dword v4, v4, s[0:3], 0 offen offset:12
	buffer_store_dword v5, off, s[0:3], 0 offset:496
	buffer_store_dword v5, off, s[0:3], 0 offset:500
	;; [unrolled: 1-line block ×4, first 2 shown]
	s_waitcnt vmcnt(0)
	ds_write_b128 v173, v[1:4]
.LBB115_265:
	s_or_b32 exec_lo, exec_lo, s4
	s_waitcnt lgkmcnt(0)
	s_waitcnt_vscnt null, 0x0
	s_barrier
	buffer_gl0_inv
	s_clause 0x37
	buffer_load_dword v6, off, s[0:3], 0 offset:520
	buffer_load_dword v7, off, s[0:3], 0 offset:524
	;; [unrolled: 1-line block ×56, first 2 shown]
	v_mov_b32_e32 v1, 0
	s_mov_b32 s4, exec_lo
	ds_read_b128 v[2:5], v1 offset:1328
	s_clause 0x2
	buffer_load_dword v175, off, s[0:3], 0 offset:748
	buffer_load_dword v179, off, s[0:3], 0 offset:724
	buffer_load_dword v178, off, s[0:3], 0 offset:720
	ds_read_b128 v[113:116], v1 offset:1344
	s_clause 0x4
	buffer_load_dword v183, off, s[0:3], 0 offset:764
	buffer_load_dword v184, off, s[0:3], 0 offset:776
	buffer_load_dword v186, off, s[0:3], 0 offset:768
	buffer_load_dword v182, off, s[0:3], 0 offset:760
	buffer_load_dword v177, off, s[0:3], 0 offset:740
	ds_read_b128 v[117:120], v1 offset:1360
	s_waitcnt vmcnt(62) lgkmcnt(2)
	v_mul_f64 v[180:181], v[4:5], v[6:7]
	v_mul_f64 v[6:7], v[2:3], v[6:7]
	s_waitcnt vmcnt(60) lgkmcnt(1)
	v_mul_f64 v[187:188], v[115:116], v[121:122]
	v_mul_f64 v[121:122], v[113:114], v[121:122]
	;; [unrolled: 3-line block ×3, first 2 shown]
	v_fma_f64 v[180:181], v[2:3], v[123:124], -v[180:181]
	v_fma_f64 v[6:7], v[4:5], v[123:124], v[6:7]
	s_clause 0x2
	buffer_load_dword v185, off, s[0:3], 0 offset:780
	buffer_load_dword v124, off, s[0:3], 0 offset:756
	;; [unrolled: 1-line block ×3, first 2 shown]
	s_waitcnt vmcnt(57)
	v_fma_f64 v[191:192], v[113:114], v[127:128], -v[187:188]
	ds_read_b128 v[2:5], v1 offset:1376
	v_fma_f64 v[121:122], v[115:116], v[127:128], v[121:122]
	s_clause 0x4
	buffer_load_dword v128, off, s[0:3], 0 offset:796
	buffer_load_dword v188, off, s[0:3], 0 offset:808
	;; [unrolled: 1-line block ×5, first 2 shown]
	s_waitcnt vmcnt(56)
	v_fma_f64 v[125:126], v[117:118], v[135:136], -v[125:126]
	ds_read_b128 v[113:116], v1 offset:1392
	v_fma_f64 v[135:136], v[119:120], v[135:136], v[189:190]
	v_add_f64 v[180:181], v[180:181], 0
	v_add_f64 v[6:7], v[6:7], 0
	s_waitcnt lgkmcnt(1)
	v_mul_f64 v[194:195], v[2:3], v[129:130]
	v_mul_f64 v[129:130], v[4:5], v[129:130]
	v_add_f64 v[180:181], v[180:181], v[191:192]
	v_add_f64 v[6:7], v[6:7], v[121:122]
	s_clause 0x2
	buffer_load_dword v189, off, s[0:3], 0 offset:812
	buffer_load_dword v122, off, s[0:3], 0 offset:788
	;; [unrolled: 1-line block ×3, first 2 shown]
	s_waitcnt vmcnt(58) lgkmcnt(0)
	v_mul_f64 v[190:191], v[113:114], v[131:132]
	v_mul_f64 v[131:132], v[115:116], v[131:132]
	s_waitcnt vmcnt(56)
	v_fma_f64 v[129:130], v[2:3], v[137:138], -v[129:130]
	ds_read_b128 v[117:120], v1 offset:1408
	v_fma_f64 v[137:138], v[4:5], v[137:138], v[194:195]
	v_add_f64 v[125:126], v[180:181], v[125:126]
	v_add_f64 v[6:7], v[6:7], v[135:136]
	s_clause 0x4
	buffer_load_dword v136, off, s[0:3], 0 offset:828
	buffer_load_dword v180, off, s[0:3], 0 offset:840
	;; [unrolled: 1-line block ×5, first 2 shown]
	ds_read_b128 v[2:5], v1 offset:1424
	s_waitcnt vmcnt(57) lgkmcnt(1)
	v_mul_f64 v[196:197], v[117:118], v[139:140]
	v_mul_f64 v[139:140], v[119:120], v[139:140]
	s_waitcnt vmcnt(56)
	v_fma_f64 v[131:132], v[113:114], v[133:134], -v[131:132]
	v_add_f64 v[125:126], v[125:126], v[129:130]
	v_fma_f64 v[129:130], v[115:116], v[133:134], v[190:191]
	v_add_f64 v[6:7], v[6:7], v[137:138]
	s_clause 0x2
	buffer_load_dword v181, off, s[0:3], 0 offset:844
	buffer_load_dword v134, off, s[0:3], 0 offset:820
	;; [unrolled: 1-line block ×3, first 2 shown]
	s_waitcnt vmcnt(58) lgkmcnt(0)
	v_mul_f64 v[137:138], v[2:3], v[141:142]
	v_mul_f64 v[141:142], v[4:5], v[141:142]
	s_waitcnt vmcnt(56)
	v_fma_f64 v[139:140], v[117:118], v[145:146], -v[139:140]
	ds_read_b128 v[113:116], v1 offset:1440
	v_add_f64 v[125:126], v[125:126], v[131:132]
	v_fma_f64 v[131:132], v[119:120], v[145:146], v[196:197]
	v_add_f64 v[6:7], v[6:7], v[129:130]
	buffer_load_dword v196, off, s[0:3], 0 offset:836
	ds_read_b128 v[117:120], v1 offset:1456
	s_waitcnt vmcnt(53) lgkmcnt(1)
	v_mul_f64 v[145:146], v[115:116], v[147:148]
	s_waitcnt vmcnt(52)
	v_fma_f64 v[141:142], v[2:3], v[143:144], -v[141:142]
	v_mul_f64 v[129:130], v[113:114], v[147:148]
	v_fma_f64 v[137:138], v[4:5], v[143:144], v[137:138]
	ds_read_b128 v[2:5], v1 offset:1472
	v_add_f64 v[125:126], v[125:126], v[139:140]
	v_add_f64 v[6:7], v[6:7], v[131:132]
	s_waitcnt vmcnt(51) lgkmcnt(1)
	v_mul_f64 v[139:140], v[119:120], v[149:150]
	v_mul_f64 v[131:132], v[117:118], v[149:150]
	s_waitcnt vmcnt(49)
	v_fma_f64 v[143:144], v[113:114], v[153:154], -v[145:146]
	v_fma_f64 v[129:130], v[115:116], v[153:154], v[129:130]
	s_waitcnt vmcnt(45) lgkmcnt(0)
	v_mul_f64 v[147:148], v[4:5], v[155:156]
	v_mul_f64 v[145:146], v[2:3], v[155:156]
	v_add_f64 v[125:126], v[125:126], v[141:142]
	v_add_f64 v[6:7], v[6:7], v[137:138]
	s_clause 0x3
	buffer_load_dword v137, off, s[0:3], 0 offset:496
	buffer_load_dword v138, off, s[0:3], 0 offset:500
	;; [unrolled: 1-line block ×4, first 2 shown]
	s_waitcnt vmcnt(48)
	v_fma_f64 v[139:140], v[117:118], v[151:152], -v[139:140]
	ds_read_b128 v[113:116], v1 offset:1488
	v_fma_f64 v[131:132], v[119:120], v[151:152], v[131:132]
	ds_read_b128 v[117:120], v1 offset:1504
	s_waitcnt vmcnt(45)
	v_fma_f64 v[147:148], v[2:3], v[161:162], -v[147:148]
	v_add_f64 v[125:126], v[125:126], v[143:144]
	v_add_f64 v[6:7], v[6:7], v[129:130]
	s_waitcnt lgkmcnt(1)
	v_mul_f64 v[143:144], v[115:116], v[157:158]
	v_mul_f64 v[129:130], v[113:114], v[157:158]
	v_add_f64 v[125:126], v[125:126], v[139:140]
	v_fma_f64 v[139:140], v[4:5], v[161:162], v[145:146]
	v_add_f64 v[6:7], v[6:7], v[131:132]
	s_waitcnt vmcnt(41) lgkmcnt(0)
	v_mul_f64 v[145:146], v[119:120], v[163:164]
	s_waitcnt vmcnt(40)
	v_fma_f64 v[143:144], v[113:114], v[159:160], -v[143:144]
	ds_read_b128 v[2:5], v1 offset:1520
	v_mul_f64 v[131:132], v[117:118], v[163:164]
	v_fma_f64 v[129:130], v[115:116], v[159:160], v[129:130]
	ds_read_b128 v[113:116], v1 offset:1536
	v_add_f64 v[125:126], v[125:126], v[147:148]
	v_add_f64 v[6:7], v[6:7], v[139:140]
	s_waitcnt vmcnt(39) lgkmcnt(1)
	v_mul_f64 v[147:148], v[4:5], v[165:166]
	s_waitcnt vmcnt(37)
	v_fma_f64 v[145:146], v[117:118], v[169:170], -v[145:146]
	v_mul_f64 v[139:140], v[2:3], v[165:166]
	v_fma_f64 v[131:132], v[119:120], v[169:170], v[131:132]
	ds_read_b128 v[117:120], v1 offset:1552
	v_add_f64 v[125:126], v[125:126], v[143:144]
	s_waitcnt vmcnt(33) lgkmcnt(1)
	v_mul_f64 v[143:144], v[115:116], v[171:172]
	v_add_f64 v[6:7], v[6:7], v[129:130]
	s_waitcnt vmcnt(32)
	v_fma_f64 v[147:148], v[2:3], v[167:168], -v[147:148]
	v_mul_f64 v[129:130], v[113:114], v[171:172]
	v_fma_f64 v[139:140], v[4:5], v[167:168], v[139:140]
	ds_read_b128 v[2:5], v1 offset:1568
	v_add_f64 v[125:126], v[125:126], v[145:146]
	s_waitcnt vmcnt(31) lgkmcnt(1)
	v_mul_f64 v[145:146], v[119:120], v[174:175]
	v_add_f64 v[6:7], v[6:7], v[131:132]
	;; [unrolled: 9-line block ×3, first 2 shown]
	s_waitcnt vmcnt(24)
	v_fma_f64 v[145:146], v[117:118], v[176:177], -v[145:146]
	v_mul_f64 v[139:140], v[2:3], v[182:183]
	v_fma_f64 v[131:132], v[119:120], v[176:177], v[131:132]
	ds_read_b128 v[117:120], v1 offset:1600
	v_add_f64 v[125:126], v[125:126], v[143:144]
	v_add_f64 v[6:7], v[6:7], v[129:130]
	s_waitcnt vmcnt(23) lgkmcnt(1)
	v_mul_f64 v[143:144], v[115:116], v[184:185]
	v_mul_f64 v[129:130], v[113:114], v[184:185]
	s_waitcnt vmcnt(21)
	v_fma_f64 v[147:148], v[2:3], v[123:124], -v[147:148]
	v_fma_f64 v[123:124], v[4:5], v[123:124], v[139:140]
	ds_read_b128 v[2:5], v1 offset:1616
	v_add_f64 v[125:126], v[125:126], v[145:146]
	v_add_f64 v[6:7], v[6:7], v[131:132]
	s_waitcnt vmcnt(17) lgkmcnt(1)
	v_mul_f64 v[131:132], v[117:118], v[127:128]
	v_mul_f64 v[127:128], v[119:120], v[127:128]
	s_waitcnt vmcnt(16)
	v_fma_f64 v[139:140], v[113:114], v[186:187], -v[143:144]
	;; [unrolled: 9-line block ×3, first 2 shown]
	v_fma_f64 v[121:122], v[119:120], v[121:122], v[131:132]
	ds_read_b128 v[117:120], v1 offset:1648
	v_add_f64 v[125:126], v[125:126], v[139:140]
	v_add_f64 v[6:7], v[6:7], v[129:130]
	s_waitcnt vmcnt(9) lgkmcnt(1)
	v_mul_f64 v[131:132], v[115:116], v[135:136]
	s_waitcnt vmcnt(8)
	v_fma_f64 v[2:3], v[2:3], v[193:194], -v[143:144]
	v_mul_f64 v[129:130], v[113:114], v[135:136]
	v_fma_f64 v[4:5], v[4:5], v[193:194], v[123:124]
	v_add_f64 v[125:126], v[125:126], v[127:128]
	v_add_f64 v[6:7], v[6:7], v[121:122]
	s_waitcnt vmcnt(7) lgkmcnt(0)
	v_mul_f64 v[123:124], v[119:120], v[180:181]
	v_mul_f64 v[121:122], v[117:118], v[180:181]
	s_waitcnt vmcnt(5)
	v_fma_f64 v[113:114], v[113:114], v[133:134], -v[131:132]
	v_fma_f64 v[115:116], v[115:116], v[133:134], v[129:130]
	v_add_f64 v[2:3], v[125:126], v[2:3]
	v_add_f64 v[4:5], v[6:7], v[4:5]
	s_waitcnt vmcnt(4)
	v_fma_f64 v[6:7], v[117:118], v[195:196], -v[123:124]
	v_add_f64 v[2:3], v[2:3], v[113:114]
	v_fma_f64 v[113:114], v[119:120], v[195:196], v[121:122]
	v_add_f64 v[4:5], v[4:5], v[115:116]
	v_add_f64 v[2:3], v[2:3], v[6:7]
	;; [unrolled: 1-line block ×3, first 2 shown]
	s_waitcnt vmcnt(2)
	v_add_f64 v[2:3], v[137:138], -v[2:3]
	s_waitcnt vmcnt(0)
	v_add_f64 v[4:5], v[141:142], -v[4:5]
	buffer_store_dword v3, off, s[0:3], 0 offset:500
	buffer_store_dword v2, off, s[0:3], 0 offset:496
	;; [unrolled: 1-line block ×4, first 2 shown]
	v_cmpx_lt_u32_e32 29, v0
	s_cbranch_execz .LBB115_267
; %bb.266:
	v_mov_b32_e32 v5, s35
	s_clause 0x3
	buffer_load_dword v2, v5, s[0:3], 0 offen
	buffer_load_dword v3, v5, s[0:3], 0 offen offset:4
	buffer_load_dword v4, v5, s[0:3], 0 offen offset:8
	;; [unrolled: 1-line block ×3, first 2 shown]
	buffer_store_dword v1, off, s[0:3], 0 offset:480
	buffer_store_dword v1, off, s[0:3], 0 offset:484
	;; [unrolled: 1-line block ×4, first 2 shown]
	s_waitcnt vmcnt(0)
	ds_write_b128 v173, v[2:5]
.LBB115_267:
	s_or_b32 exec_lo, exec_lo, s4
	s_waitcnt lgkmcnt(0)
	s_waitcnt_vscnt null, 0x0
	s_barrier
	buffer_gl0_inv
	s_clause 0x37
	buffer_load_dword v6, off, s[0:3], 0 offset:504
	buffer_load_dword v7, off, s[0:3], 0 offset:508
	;; [unrolled: 1-line block ×56, first 2 shown]
	ds_read_b128 v[2:5], v1 offset:1312
	s_clause 0x2
	buffer_load_dword v175, off, s[0:3], 0 offset:732
	buffer_load_dword v179, off, s[0:3], 0 offset:708
	;; [unrolled: 1-line block ×3, first 2 shown]
	ds_read_b128 v[113:116], v1 offset:1328
	s_clause 0x4
	buffer_load_dword v183, off, s[0:3], 0 offset:748
	buffer_load_dword v184, off, s[0:3], 0 offset:760
	;; [unrolled: 1-line block ×5, first 2 shown]
	ds_read_b128 v[117:120], v1 offset:1344
	s_mov_b32 s4, exec_lo
	s_waitcnt vmcnt(62) lgkmcnt(2)
	v_mul_f64 v[180:181], v[4:5], v[6:7]
	v_mul_f64 v[6:7], v[2:3], v[6:7]
	s_waitcnt vmcnt(60) lgkmcnt(1)
	v_mul_f64 v[187:188], v[115:116], v[121:122]
	v_mul_f64 v[121:122], v[113:114], v[121:122]
	;; [unrolled: 3-line block ×3, first 2 shown]
	v_fma_f64 v[180:181], v[2:3], v[123:124], -v[180:181]
	v_fma_f64 v[6:7], v[4:5], v[123:124], v[6:7]
	s_clause 0x2
	buffer_load_dword v185, off, s[0:3], 0 offset:764
	buffer_load_dword v124, off, s[0:3], 0 offset:740
	;; [unrolled: 1-line block ×3, first 2 shown]
	s_waitcnt vmcnt(57)
	v_fma_f64 v[191:192], v[113:114], v[127:128], -v[187:188]
	ds_read_b128 v[2:5], v1 offset:1360
	v_fma_f64 v[121:122], v[115:116], v[127:128], v[121:122]
	s_clause 0x4
	buffer_load_dword v128, off, s[0:3], 0 offset:780
	buffer_load_dword v188, off, s[0:3], 0 offset:792
	;; [unrolled: 1-line block ×5, first 2 shown]
	s_waitcnt vmcnt(56)
	v_fma_f64 v[125:126], v[117:118], v[135:136], -v[125:126]
	ds_read_b128 v[113:116], v1 offset:1376
	v_fma_f64 v[135:136], v[119:120], v[135:136], v[189:190]
	v_add_f64 v[180:181], v[180:181], 0
	v_add_f64 v[6:7], v[6:7], 0
	s_waitcnt lgkmcnt(1)
	v_mul_f64 v[194:195], v[2:3], v[129:130]
	v_mul_f64 v[129:130], v[4:5], v[129:130]
	v_add_f64 v[180:181], v[180:181], v[191:192]
	v_add_f64 v[6:7], v[6:7], v[121:122]
	s_clause 0x2
	buffer_load_dword v189, off, s[0:3], 0 offset:796
	buffer_load_dword v122, off, s[0:3], 0 offset:772
	buffer_load_dword v121, off, s[0:3], 0 offset:768
	s_waitcnt vmcnt(58) lgkmcnt(0)
	v_mul_f64 v[190:191], v[113:114], v[131:132]
	v_mul_f64 v[131:132], v[115:116], v[131:132]
	s_waitcnt vmcnt(56)
	v_fma_f64 v[129:130], v[2:3], v[137:138], -v[129:130]
	ds_read_b128 v[117:120], v1 offset:1392
	v_fma_f64 v[137:138], v[4:5], v[137:138], v[194:195]
	v_add_f64 v[125:126], v[180:181], v[125:126]
	v_add_f64 v[6:7], v[6:7], v[135:136]
	s_clause 0x4
	buffer_load_dword v136, off, s[0:3], 0 offset:812
	buffer_load_dword v180, off, s[0:3], 0 offset:824
	;; [unrolled: 1-line block ×5, first 2 shown]
	ds_read_b128 v[2:5], v1 offset:1408
	s_waitcnt vmcnt(57) lgkmcnt(1)
	v_mul_f64 v[196:197], v[117:118], v[139:140]
	v_mul_f64 v[139:140], v[119:120], v[139:140]
	s_waitcnt vmcnt(56)
	v_fma_f64 v[131:132], v[113:114], v[133:134], -v[131:132]
	v_add_f64 v[125:126], v[125:126], v[129:130]
	v_fma_f64 v[129:130], v[115:116], v[133:134], v[190:191]
	v_add_f64 v[6:7], v[6:7], v[137:138]
	s_clause 0x2
	buffer_load_dword v181, off, s[0:3], 0 offset:828
	buffer_load_dword v134, off, s[0:3], 0 offset:804
	;; [unrolled: 1-line block ×3, first 2 shown]
	s_waitcnt vmcnt(58) lgkmcnt(0)
	v_mul_f64 v[137:138], v[2:3], v[141:142]
	v_mul_f64 v[141:142], v[4:5], v[141:142]
	s_waitcnt vmcnt(56)
	v_fma_f64 v[139:140], v[117:118], v[145:146], -v[139:140]
	ds_read_b128 v[113:116], v1 offset:1424
	v_add_f64 v[125:126], v[125:126], v[131:132]
	v_fma_f64 v[131:132], v[119:120], v[145:146], v[196:197]
	v_add_f64 v[6:7], v[6:7], v[129:130]
	s_clause 0x2
	buffer_load_dword v130, off, s[0:3], 0 offset:844
	buffer_load_dword v129, off, s[0:3], 0 offset:840
	buffer_load_dword v196, off, s[0:3], 0 offset:820
	ds_read_b128 v[117:120], v1 offset:1440
	s_waitcnt vmcnt(55) lgkmcnt(1)
	v_mul_f64 v[145:146], v[113:114], v[147:148]
	v_mul_f64 v[147:148], v[115:116], v[147:148]
	s_waitcnt vmcnt(54)
	v_fma_f64 v[141:142], v[2:3], v[143:144], -v[141:142]
	v_fma_f64 v[137:138], v[4:5], v[143:144], v[137:138]
	v_add_f64 v[125:126], v[125:126], v[139:140]
	v_add_f64 v[6:7], v[6:7], v[131:132]
	s_clause 0x1
	buffer_load_dword v132, off, s[0:3], 0 offset:836
	buffer_load_dword v131, off, s[0:3], 0 offset:832
	s_waitcnt vmcnt(55) lgkmcnt(0)
	v_mul_f64 v[143:144], v[119:120], v[149:150]
	ds_read_b128 v[2:5], v1 offset:1456
	s_waitcnt vmcnt(53)
	v_fma_f64 v[147:148], v[113:114], v[153:154], -v[147:148]
	v_mul_f64 v[139:140], v[117:118], v[149:150]
	v_add_f64 v[125:126], v[125:126], v[141:142]
	v_fma_f64 v[141:142], v[115:116], v[153:154], v[145:146]
	v_add_f64 v[6:7], v[6:7], v[137:138]
	ds_read_b128 v[113:116], v1 offset:1472
	s_waitcnt vmcnt(49) lgkmcnt(1)
	v_mul_f64 v[145:146], v[4:5], v[155:156]
	s_waitcnt vmcnt(48)
	v_fma_f64 v[143:144], v[117:118], v[151:152], -v[143:144]
	v_mul_f64 v[137:138], v[2:3], v[155:156]
	v_fma_f64 v[139:140], v[119:120], v[151:152], v[139:140]
	v_add_f64 v[125:126], v[125:126], v[147:148]
	s_waitcnt vmcnt(47) lgkmcnt(0)
	v_mul_f64 v[151:152], v[115:116], v[157:158]
	v_add_f64 v[6:7], v[6:7], v[141:142]
	s_clause 0x3
	buffer_load_dword v141, off, s[0:3], 0 offset:480
	buffer_load_dword v142, off, s[0:3], 0 offset:484
	;; [unrolled: 1-line block ×4, first 2 shown]
	s_waitcnt vmcnt(49)
	v_fma_f64 v[145:146], v[2:3], v[161:162], -v[145:146]
	ds_read_b128 v[117:120], v1 offset:1488
	v_mul_f64 v[149:150], v[113:114], v[157:158]
	v_fma_f64 v[137:138], v[4:5], v[161:162], v[137:138]
	ds_read_b128 v[2:5], v1 offset:1504
	v_add_f64 v[125:126], v[125:126], v[143:144]
	s_waitcnt vmcnt(44)
	v_fma_f64 v[151:152], v[113:114], v[159:160], -v[151:152]
	v_add_f64 v[6:7], v[6:7], v[139:140]
	s_waitcnt lgkmcnt(1)
	v_mul_f64 v[143:144], v[119:120], v[163:164]
	v_mul_f64 v[139:140], v[117:118], v[163:164]
	v_add_f64 v[125:126], v[125:126], v[145:146]
	v_fma_f64 v[145:146], v[115:116], v[159:160], v[149:150]
	v_add_f64 v[6:7], v[6:7], v[137:138]
	s_waitcnt vmcnt(43) lgkmcnt(0)
	v_mul_f64 v[149:150], v[4:5], v[165:166]
	s_waitcnt vmcnt(41)
	v_fma_f64 v[143:144], v[117:118], v[169:170], -v[143:144]
	ds_read_b128 v[113:116], v1 offset:1520
	v_mul_f64 v[137:138], v[2:3], v[165:166]
	v_fma_f64 v[139:140], v[119:120], v[169:170], v[139:140]
	ds_read_b128 v[117:120], v1 offset:1536
	v_add_f64 v[125:126], v[125:126], v[151:152]
	v_add_f64 v[6:7], v[6:7], v[145:146]
	s_waitcnt vmcnt(37) lgkmcnt(1)
	v_mul_f64 v[151:152], v[115:116], v[171:172]
	s_waitcnt vmcnt(36)
	v_fma_f64 v[149:150], v[2:3], v[167:168], -v[149:150]
	v_mul_f64 v[145:146], v[113:114], v[171:172]
	v_fma_f64 v[137:138], v[4:5], v[167:168], v[137:138]
	ds_read_b128 v[2:5], v1 offset:1552
	v_add_f64 v[125:126], v[125:126], v[143:144]
	s_waitcnt vmcnt(35) lgkmcnt(1)
	v_mul_f64 v[143:144], v[119:120], v[174:175]
	v_add_f64 v[6:7], v[6:7], v[139:140]
	s_waitcnt vmcnt(33)
	v_fma_f64 v[151:152], v[113:114], v[178:179], -v[151:152]
	v_mul_f64 v[139:140], v[117:118], v[174:175]
	v_fma_f64 v[145:146], v[115:116], v[178:179], v[145:146]
	ds_read_b128 v[113:116], v1 offset:1568
	v_add_f64 v[125:126], v[125:126], v[149:150]
	s_waitcnt vmcnt(29) lgkmcnt(1)
	v_mul_f64 v[149:150], v[4:5], v[182:183]
	v_add_f64 v[6:7], v[6:7], v[137:138]
	s_waitcnt vmcnt(28)
	v_fma_f64 v[143:144], v[117:118], v[176:177], -v[143:144]
	v_mul_f64 v[137:138], v[2:3], v[182:183]
	v_fma_f64 v[139:140], v[119:120], v[176:177], v[139:140]
	ds_read_b128 v[117:120], v1 offset:1584
	v_add_f64 v[125:126], v[125:126], v[151:152]
	v_add_f64 v[6:7], v[6:7], v[145:146]
	s_waitcnt vmcnt(27) lgkmcnt(1)
	v_mul_f64 v[151:152], v[115:116], v[184:185]
	v_mul_f64 v[145:146], v[113:114], v[184:185]
	s_waitcnt vmcnt(25)
	v_fma_f64 v[149:150], v[2:3], v[123:124], -v[149:150]
	v_fma_f64 v[123:124], v[4:5], v[123:124], v[137:138]
	ds_read_b128 v[2:5], v1 offset:1600
	s_waitcnt vmcnt(21) lgkmcnt(1)
	v_mul_f64 v[137:138], v[117:118], v[127:128]
	v_mul_f64 v[127:128], v[119:120], v[127:128]
	v_add_f64 v[125:126], v[125:126], v[143:144]
	v_add_f64 v[6:7], v[6:7], v[139:140]
	s_waitcnt vmcnt(20)
	v_fma_f64 v[139:140], v[113:114], v[186:187], -v[151:152]
	v_fma_f64 v[143:144], v[115:116], v[186:187], v[145:146]
	ds_read_b128 v[113:116], v1 offset:1616
	v_add_f64 v[125:126], v[125:126], v[149:150]
	v_add_f64 v[6:7], v[6:7], v[123:124]
	s_waitcnt vmcnt(19) lgkmcnt(1)
	v_mul_f64 v[145:146], v[4:5], v[188:189]
	v_mul_f64 v[123:124], v[2:3], v[188:189]
	s_waitcnt vmcnt(17)
	v_fma_f64 v[127:128], v[117:118], v[121:122], -v[127:128]
	v_fma_f64 v[121:122], v[119:120], v[121:122], v[137:138]
	ds_read_b128 v[117:120], v1 offset:1632
	v_add_f64 v[125:126], v[125:126], v[139:140]
	v_add_f64 v[6:7], v[6:7], v[143:144]
	s_waitcnt vmcnt(13) lgkmcnt(1)
	v_mul_f64 v[137:138], v[113:114], v[135:136]
	v_mul_f64 v[135:136], v[115:116], v[135:136]
	;; [unrolled: 9-line block ×3, first 2 shown]
	s_waitcnt vmcnt(9)
	v_fma_f64 v[113:114], v[113:114], v[133:134], -v[135:136]
	v_fma_f64 v[115:116], v[115:116], v[133:134], v[137:138]
	v_add_f64 v[125:126], v[125:126], v[139:140]
	v_add_f64 v[5:6], v[5:6], v[123:124]
	s_waitcnt vmcnt(7) lgkmcnt(0)
	v_mul_f64 v[127:128], v[3:4], v[129:130]
	s_waitcnt vmcnt(6)
	v_fma_f64 v[117:118], v[117:118], v[195:196], -v[121:122]
	v_mul_f64 v[123:124], v[1:2], v[129:130]
	v_fma_f64 v[7:8], v[119:120], v[195:196], v[7:8]
	v_add_f64 v[113:114], v[125:126], v[113:114]
	v_add_f64 v[5:6], v[5:6], v[115:116]
	s_waitcnt vmcnt(4)
	v_fma_f64 v[1:2], v[1:2], v[131:132], -v[127:128]
	v_fma_f64 v[3:4], v[3:4], v[131:132], v[123:124]
	v_add_f64 v[113:114], v[113:114], v[117:118]
	v_add_f64 v[5:6], v[5:6], v[7:8]
	;; [unrolled: 1-line block ×4, first 2 shown]
	s_waitcnt vmcnt(2)
	v_add_f64 v[1:2], v[141:142], -v[1:2]
	s_waitcnt vmcnt(0)
	v_add_f64 v[3:4], v[147:148], -v[3:4]
	buffer_store_dword v2, off, s[0:3], 0 offset:484
	buffer_store_dword v1, off, s[0:3], 0 offset:480
	;; [unrolled: 1-line block ×4, first 2 shown]
	v_cmpx_lt_u32_e32 28, v0
	s_cbranch_execz .LBB115_269
; %bb.268:
	v_mov_b32_e32 v4, s36
	v_mov_b32_e32 v5, 0
	s_clause 0x3
	buffer_load_dword v1, v4, s[0:3], 0 offen
	buffer_load_dword v2, v4, s[0:3], 0 offen offset:4
	buffer_load_dword v3, v4, s[0:3], 0 offen offset:8
	;; [unrolled: 1-line block ×3, first 2 shown]
	buffer_store_dword v5, off, s[0:3], 0 offset:464
	buffer_store_dword v5, off, s[0:3], 0 offset:468
	;; [unrolled: 1-line block ×4, first 2 shown]
	s_waitcnt vmcnt(0)
	ds_write_b128 v173, v[1:4]
.LBB115_269:
	s_or_b32 exec_lo, exec_lo, s4
	s_waitcnt lgkmcnt(0)
	s_waitcnt_vscnt null, 0x0
	s_barrier
	buffer_gl0_inv
	s_clause 0x37
	buffer_load_dword v6, off, s[0:3], 0 offset:488
	buffer_load_dword v7, off, s[0:3], 0 offset:492
	;; [unrolled: 1-line block ×56, first 2 shown]
	v_mov_b32_e32 v1, 0
	s_mov_b32 s4, exec_lo
	ds_read_b128 v[2:5], v1 offset:1296
	s_clause 0x2
	buffer_load_dword v175, off, s[0:3], 0 offset:716
	buffer_load_dword v179, off, s[0:3], 0 offset:692
	;; [unrolled: 1-line block ×3, first 2 shown]
	ds_read_b128 v[113:116], v1 offset:1312
	s_clause 0x4
	buffer_load_dword v183, off, s[0:3], 0 offset:732
	buffer_load_dword v184, off, s[0:3], 0 offset:744
	;; [unrolled: 1-line block ×5, first 2 shown]
	ds_read_b128 v[117:120], v1 offset:1328
	s_waitcnt vmcnt(62) lgkmcnt(2)
	v_mul_f64 v[180:181], v[4:5], v[6:7]
	v_mul_f64 v[6:7], v[2:3], v[6:7]
	s_waitcnt vmcnt(60) lgkmcnt(1)
	v_mul_f64 v[187:188], v[115:116], v[121:122]
	v_mul_f64 v[121:122], v[113:114], v[121:122]
	s_waitcnt vmcnt(56) lgkmcnt(0)
	v_mul_f64 v[189:190], v[117:118], v[125:126]
	v_mul_f64 v[125:126], v[119:120], v[125:126]
	v_fma_f64 v[180:181], v[2:3], v[123:124], -v[180:181]
	v_fma_f64 v[6:7], v[4:5], v[123:124], v[6:7]
	s_clause 0x2
	buffer_load_dword v185, off, s[0:3], 0 offset:748
	buffer_load_dword v124, off, s[0:3], 0 offset:724
	buffer_load_dword v123, off, s[0:3], 0 offset:720
	s_waitcnt vmcnt(57)
	v_fma_f64 v[191:192], v[113:114], v[127:128], -v[187:188]
	ds_read_b128 v[2:5], v1 offset:1344
	v_fma_f64 v[121:122], v[115:116], v[127:128], v[121:122]
	s_clause 0x4
	buffer_load_dword v128, off, s[0:3], 0 offset:764
	buffer_load_dword v188, off, s[0:3], 0 offset:776
	;; [unrolled: 1-line block ×5, first 2 shown]
	s_waitcnt vmcnt(56)
	v_fma_f64 v[125:126], v[117:118], v[135:136], -v[125:126]
	ds_read_b128 v[113:116], v1 offset:1360
	v_fma_f64 v[135:136], v[119:120], v[135:136], v[189:190]
	v_add_f64 v[180:181], v[180:181], 0
	v_add_f64 v[6:7], v[6:7], 0
	s_waitcnt lgkmcnt(1)
	v_mul_f64 v[194:195], v[2:3], v[129:130]
	v_mul_f64 v[129:130], v[4:5], v[129:130]
	v_add_f64 v[180:181], v[180:181], v[191:192]
	v_add_f64 v[6:7], v[6:7], v[121:122]
	s_clause 0x2
	buffer_load_dword v189, off, s[0:3], 0 offset:780
	buffer_load_dword v122, off, s[0:3], 0 offset:756
	;; [unrolled: 1-line block ×3, first 2 shown]
	s_waitcnt vmcnt(58) lgkmcnt(0)
	v_mul_f64 v[190:191], v[113:114], v[131:132]
	v_mul_f64 v[131:132], v[115:116], v[131:132]
	s_waitcnt vmcnt(56)
	v_fma_f64 v[129:130], v[2:3], v[137:138], -v[129:130]
	ds_read_b128 v[117:120], v1 offset:1376
	v_fma_f64 v[137:138], v[4:5], v[137:138], v[194:195]
	v_add_f64 v[125:126], v[180:181], v[125:126]
	v_add_f64 v[6:7], v[6:7], v[135:136]
	s_clause 0x4
	buffer_load_dword v136, off, s[0:3], 0 offset:796
	buffer_load_dword v180, off, s[0:3], 0 offset:808
	;; [unrolled: 1-line block ×5, first 2 shown]
	ds_read_b128 v[2:5], v1 offset:1392
	s_waitcnt vmcnt(57) lgkmcnt(1)
	v_mul_f64 v[196:197], v[117:118], v[139:140]
	v_mul_f64 v[139:140], v[119:120], v[139:140]
	s_waitcnt vmcnt(56)
	v_fma_f64 v[131:132], v[113:114], v[133:134], -v[131:132]
	v_add_f64 v[125:126], v[125:126], v[129:130]
	v_fma_f64 v[129:130], v[115:116], v[133:134], v[190:191]
	v_add_f64 v[6:7], v[6:7], v[137:138]
	s_clause 0x2
	buffer_load_dword v181, off, s[0:3], 0 offset:812
	buffer_load_dword v134, off, s[0:3], 0 offset:788
	;; [unrolled: 1-line block ×3, first 2 shown]
	s_waitcnt vmcnt(58) lgkmcnt(0)
	v_mul_f64 v[137:138], v[2:3], v[141:142]
	v_mul_f64 v[141:142], v[4:5], v[141:142]
	s_waitcnt vmcnt(56)
	v_fma_f64 v[139:140], v[117:118], v[145:146], -v[139:140]
	ds_read_b128 v[113:116], v1 offset:1408
	v_add_f64 v[125:126], v[125:126], v[131:132]
	v_fma_f64 v[131:132], v[119:120], v[145:146], v[196:197]
	v_add_f64 v[6:7], v[6:7], v[129:130]
	s_clause 0x4
	buffer_load_dword v130, off, s[0:3], 0 offset:828
	buffer_load_dword v145, off, s[0:3], 0 offset:840
	;; [unrolled: 1-line block ×5, first 2 shown]
	ds_read_b128 v[117:120], v1 offset:1424
	s_waitcnt vmcnt(57) lgkmcnt(1)
	v_mul_f64 v[191:192], v[113:114], v[147:148]
	v_mul_f64 v[147:148], v[115:116], v[147:148]
	s_waitcnt vmcnt(56)
	v_fma_f64 v[141:142], v[2:3], v[143:144], -v[141:142]
	v_fma_f64 v[137:138], v[4:5], v[143:144], v[137:138]
	v_add_f64 v[125:126], v[125:126], v[139:140]
	v_add_f64 v[6:7], v[6:7], v[131:132]
	s_clause 0x2
	buffer_load_dword v146, off, s[0:3], 0 offset:844
	buffer_load_dword v132, off, s[0:3], 0 offset:820
	;; [unrolled: 1-line block ×3, first 2 shown]
	s_waitcnt vmcnt(58) lgkmcnt(0)
	v_mul_f64 v[143:144], v[119:120], v[149:150]
	ds_read_b128 v[2:5], v1 offset:1440
	s_waitcnt vmcnt(56)
	v_fma_f64 v[147:148], v[113:114], v[153:154], -v[147:148]
	v_mul_f64 v[139:140], v[117:118], v[149:150]
	v_add_f64 v[125:126], v[125:126], v[141:142]
	v_fma_f64 v[141:142], v[115:116], v[153:154], v[191:192]
	v_add_f64 v[6:7], v[6:7], v[137:138]
	buffer_load_dword v191, off, s[0:3], 0 offset:836
	ds_read_b128 v[113:116], v1 offset:1456
	s_waitcnt vmcnt(53) lgkmcnt(1)
	v_mul_f64 v[149:150], v[4:5], v[155:156]
	s_waitcnt vmcnt(52)
	v_fma_f64 v[143:144], v[117:118], v[151:152], -v[143:144]
	v_mul_f64 v[137:138], v[2:3], v[155:156]
	v_fma_f64 v[139:140], v[119:120], v[151:152], v[139:140]
	ds_read_b128 v[117:120], v1 offset:1472
	v_add_f64 v[125:126], v[125:126], v[147:148]
	v_add_f64 v[6:7], v[6:7], v[141:142]
	s_waitcnt vmcnt(51) lgkmcnt(1)
	v_mul_f64 v[147:148], v[115:116], v[157:158]
	v_mul_f64 v[141:142], v[113:114], v[157:158]
	s_waitcnt vmcnt(49)
	v_fma_f64 v[149:150], v[2:3], v[161:162], -v[149:150]
	v_fma_f64 v[137:138], v[4:5], v[161:162], v[137:138]
	s_waitcnt vmcnt(45) lgkmcnt(0)
	v_mul_f64 v[153:154], v[119:120], v[163:164]
	v_mul_f64 v[151:152], v[117:118], v[163:164]
	v_add_f64 v[125:126], v[125:126], v[143:144]
	v_add_f64 v[6:7], v[6:7], v[139:140]
	s_clause 0x3
	buffer_load_dword v139, off, s[0:3], 0 offset:464
	buffer_load_dword v140, off, s[0:3], 0 offset:468
	;; [unrolled: 1-line block ×4, first 2 shown]
	s_waitcnt vmcnt(48)
	v_fma_f64 v[147:148], v[113:114], v[159:160], -v[147:148]
	ds_read_b128 v[2:5], v1 offset:1488
	v_fma_f64 v[141:142], v[115:116], v[159:160], v[141:142]
	ds_read_b128 v[113:116], v1 offset:1504
	s_waitcnt vmcnt(45)
	v_fma_f64 v[153:154], v[117:118], v[169:170], -v[153:154]
	v_add_f64 v[125:126], v[125:126], v[149:150]
	v_add_f64 v[6:7], v[6:7], v[137:138]
	s_waitcnt lgkmcnt(1)
	v_mul_f64 v[149:150], v[4:5], v[165:166]
	v_mul_f64 v[137:138], v[2:3], v[165:166]
	v_add_f64 v[125:126], v[125:126], v[147:148]
	v_fma_f64 v[147:148], v[119:120], v[169:170], v[151:152]
	v_add_f64 v[6:7], v[6:7], v[141:142]
	s_waitcnt vmcnt(41) lgkmcnt(0)
	v_mul_f64 v[151:152], v[115:116], v[171:172]
	s_waitcnt vmcnt(40)
	v_fma_f64 v[149:150], v[2:3], v[167:168], -v[149:150]
	ds_read_b128 v[117:120], v1 offset:1520
	v_mul_f64 v[141:142], v[113:114], v[171:172]
	v_fma_f64 v[137:138], v[4:5], v[167:168], v[137:138]
	ds_read_b128 v[2:5], v1 offset:1536
	v_add_f64 v[125:126], v[125:126], v[153:154]
	v_add_f64 v[6:7], v[6:7], v[147:148]
	s_waitcnt vmcnt(39) lgkmcnt(1)
	v_mul_f64 v[153:154], v[119:120], v[174:175]
	s_waitcnt vmcnt(37)
	v_fma_f64 v[151:152], v[113:114], v[178:179], -v[151:152]
	v_mul_f64 v[147:148], v[117:118], v[174:175]
	v_fma_f64 v[141:142], v[115:116], v[178:179], v[141:142]
	ds_read_b128 v[113:116], v1 offset:1552
	v_add_f64 v[125:126], v[125:126], v[149:150]
	s_waitcnt vmcnt(33) lgkmcnt(1)
	v_mul_f64 v[149:150], v[4:5], v[182:183]
	v_add_f64 v[6:7], v[6:7], v[137:138]
	s_waitcnt vmcnt(32)
	v_fma_f64 v[153:154], v[117:118], v[176:177], -v[153:154]
	v_mul_f64 v[137:138], v[2:3], v[182:183]
	v_fma_f64 v[147:148], v[119:120], v[176:177], v[147:148]
	ds_read_b128 v[117:120], v1 offset:1568
	v_add_f64 v[125:126], v[125:126], v[151:152]
	v_add_f64 v[6:7], v[6:7], v[141:142]
	s_waitcnt vmcnt(31) lgkmcnt(1)
	v_mul_f64 v[151:152], v[115:116], v[184:185]
	v_mul_f64 v[141:142], v[113:114], v[184:185]
	s_waitcnt vmcnt(29)
	v_fma_f64 v[149:150], v[2:3], v[123:124], -v[149:150]
	v_fma_f64 v[123:124], v[4:5], v[123:124], v[137:138]
	ds_read_b128 v[2:5], v1 offset:1584
	s_waitcnt vmcnt(25) lgkmcnt(1)
	v_mul_f64 v[137:138], v[117:118], v[127:128]
	v_mul_f64 v[127:128], v[119:120], v[127:128]
	v_add_f64 v[125:126], v[125:126], v[153:154]
	v_add_f64 v[6:7], v[6:7], v[147:148]
	s_waitcnt vmcnt(24)
	v_fma_f64 v[147:148], v[113:114], v[186:187], -v[151:152]
	v_fma_f64 v[141:142], v[115:116], v[186:187], v[141:142]
	ds_read_b128 v[113:116], v1 offset:1600
	v_add_f64 v[125:126], v[125:126], v[149:150]
	v_add_f64 v[6:7], v[6:7], v[123:124]
	s_waitcnt vmcnt(23) lgkmcnt(1)
	v_mul_f64 v[149:150], v[4:5], v[188:189]
	v_mul_f64 v[123:124], v[2:3], v[188:189]
	s_waitcnt vmcnt(21)
	v_fma_f64 v[127:128], v[117:118], v[121:122], -v[127:128]
	v_fma_f64 v[121:122], v[119:120], v[121:122], v[137:138]
	ds_read_b128 v[117:120], v1 offset:1616
	v_add_f64 v[125:126], v[125:126], v[147:148]
	v_add_f64 v[6:7], v[6:7], v[141:142]
	s_waitcnt vmcnt(17) lgkmcnt(1)
	v_mul_f64 v[137:138], v[113:114], v[135:136]
	v_mul_f64 v[135:136], v[115:116], v[135:136]
	;; [unrolled: 9-line block ×4, first 2 shown]
	s_waitcnt vmcnt(8)
	v_fma_f64 v[117:118], v[117:118], v[195:196], -v[127:128]
	v_fma_f64 v[119:120], v[119:120], v[195:196], v[121:122]
	v_add_f64 v[125:126], v[125:126], v[135:136]
	v_add_f64 v[6:7], v[6:7], v[133:134]
	s_waitcnt vmcnt(7) lgkmcnt(0)
	v_mul_f64 v[127:128], v[115:116], v[145:146]
	v_mul_f64 v[121:122], v[113:114], v[145:146]
	s_waitcnt vmcnt(5)
	v_fma_f64 v[2:3], v[2:3], v[131:132], -v[129:130]
	v_fma_f64 v[4:5], v[4:5], v[131:132], v[123:124]
	v_add_f64 v[117:118], v[125:126], v[117:118]
	v_add_f64 v[6:7], v[6:7], v[119:120]
	s_waitcnt vmcnt(4)
	v_fma_f64 v[113:114], v[113:114], v[190:191], -v[127:128]
	v_fma_f64 v[115:116], v[115:116], v[190:191], v[121:122]
	v_add_f64 v[2:3], v[117:118], v[2:3]
	v_add_f64 v[4:5], v[6:7], v[4:5]
	;; [unrolled: 1-line block ×4, first 2 shown]
	s_waitcnt vmcnt(2)
	v_add_f64 v[2:3], v[139:140], -v[2:3]
	s_waitcnt vmcnt(0)
	v_add_f64 v[4:5], v[143:144], -v[4:5]
	buffer_store_dword v3, off, s[0:3], 0 offset:468
	buffer_store_dword v2, off, s[0:3], 0 offset:464
	;; [unrolled: 1-line block ×4, first 2 shown]
	v_cmpx_lt_u32_e32 27, v0
	s_cbranch_execz .LBB115_271
; %bb.270:
	v_mov_b32_e32 v5, s37
	s_clause 0x3
	buffer_load_dword v2, v5, s[0:3], 0 offen
	buffer_load_dword v3, v5, s[0:3], 0 offen offset:4
	buffer_load_dword v4, v5, s[0:3], 0 offen offset:8
	;; [unrolled: 1-line block ×3, first 2 shown]
	buffer_store_dword v1, off, s[0:3], 0 offset:448
	buffer_store_dword v1, off, s[0:3], 0 offset:452
	;; [unrolled: 1-line block ×4, first 2 shown]
	s_waitcnt vmcnt(0)
	ds_write_b128 v173, v[2:5]
.LBB115_271:
	s_or_b32 exec_lo, exec_lo, s4
	s_waitcnt lgkmcnt(0)
	s_waitcnt_vscnt null, 0x0
	s_barrier
	buffer_gl0_inv
	s_clause 0x37
	buffer_load_dword v6, off, s[0:3], 0 offset:472
	buffer_load_dword v7, off, s[0:3], 0 offset:476
	;; [unrolled: 1-line block ×56, first 2 shown]
	ds_read_b128 v[2:5], v1 offset:1280
	s_clause 0x2
	buffer_load_dword v175, off, s[0:3], 0 offset:700
	buffer_load_dword v179, off, s[0:3], 0 offset:676
	;; [unrolled: 1-line block ×3, first 2 shown]
	ds_read_b128 v[113:116], v1 offset:1296
	s_clause 0x4
	buffer_load_dword v183, off, s[0:3], 0 offset:716
	buffer_load_dword v184, off, s[0:3], 0 offset:728
	;; [unrolled: 1-line block ×5, first 2 shown]
	ds_read_b128 v[117:120], v1 offset:1312
	s_mov_b32 s4, exec_lo
	s_waitcnt vmcnt(62) lgkmcnt(2)
	v_mul_f64 v[180:181], v[4:5], v[6:7]
	v_mul_f64 v[6:7], v[2:3], v[6:7]
	s_waitcnt vmcnt(60) lgkmcnt(1)
	v_mul_f64 v[187:188], v[115:116], v[121:122]
	v_mul_f64 v[121:122], v[113:114], v[121:122]
	;; [unrolled: 3-line block ×3, first 2 shown]
	v_fma_f64 v[180:181], v[2:3], v[123:124], -v[180:181]
	v_fma_f64 v[6:7], v[4:5], v[123:124], v[6:7]
	s_clause 0x2
	buffer_load_dword v185, off, s[0:3], 0 offset:732
	buffer_load_dword v124, off, s[0:3], 0 offset:708
	;; [unrolled: 1-line block ×3, first 2 shown]
	s_waitcnt vmcnt(57)
	v_fma_f64 v[191:192], v[113:114], v[127:128], -v[187:188]
	ds_read_b128 v[2:5], v1 offset:1328
	v_fma_f64 v[121:122], v[115:116], v[127:128], v[121:122]
	s_clause 0x4
	buffer_load_dword v128, off, s[0:3], 0 offset:748
	buffer_load_dword v188, off, s[0:3], 0 offset:760
	;; [unrolled: 1-line block ×5, first 2 shown]
	s_waitcnt vmcnt(56)
	v_fma_f64 v[125:126], v[117:118], v[135:136], -v[125:126]
	ds_read_b128 v[113:116], v1 offset:1344
	v_fma_f64 v[135:136], v[119:120], v[135:136], v[189:190]
	v_add_f64 v[180:181], v[180:181], 0
	v_add_f64 v[6:7], v[6:7], 0
	s_waitcnt lgkmcnt(1)
	v_mul_f64 v[194:195], v[2:3], v[129:130]
	v_mul_f64 v[129:130], v[4:5], v[129:130]
	v_add_f64 v[180:181], v[180:181], v[191:192]
	v_add_f64 v[6:7], v[6:7], v[121:122]
	s_clause 0x2
	buffer_load_dword v189, off, s[0:3], 0 offset:764
	buffer_load_dword v122, off, s[0:3], 0 offset:740
	;; [unrolled: 1-line block ×3, first 2 shown]
	s_waitcnt vmcnt(58) lgkmcnt(0)
	v_mul_f64 v[190:191], v[113:114], v[131:132]
	v_mul_f64 v[131:132], v[115:116], v[131:132]
	s_waitcnt vmcnt(56)
	v_fma_f64 v[129:130], v[2:3], v[137:138], -v[129:130]
	ds_read_b128 v[117:120], v1 offset:1360
	v_fma_f64 v[137:138], v[4:5], v[137:138], v[194:195]
	v_add_f64 v[125:126], v[180:181], v[125:126]
	v_add_f64 v[6:7], v[6:7], v[135:136]
	s_clause 0x4
	buffer_load_dword v136, off, s[0:3], 0 offset:780
	buffer_load_dword v180, off, s[0:3], 0 offset:792
	;; [unrolled: 1-line block ×5, first 2 shown]
	ds_read_b128 v[2:5], v1 offset:1376
	s_waitcnt vmcnt(57) lgkmcnt(1)
	v_mul_f64 v[196:197], v[117:118], v[139:140]
	v_mul_f64 v[139:140], v[119:120], v[139:140]
	s_waitcnt vmcnt(56)
	v_fma_f64 v[131:132], v[113:114], v[133:134], -v[131:132]
	v_add_f64 v[125:126], v[125:126], v[129:130]
	v_fma_f64 v[129:130], v[115:116], v[133:134], v[190:191]
	v_add_f64 v[6:7], v[6:7], v[137:138]
	s_clause 0x2
	buffer_load_dword v181, off, s[0:3], 0 offset:796
	buffer_load_dword v134, off, s[0:3], 0 offset:772
	;; [unrolled: 1-line block ×3, first 2 shown]
	s_waitcnt vmcnt(58) lgkmcnt(0)
	v_mul_f64 v[137:138], v[2:3], v[141:142]
	v_mul_f64 v[141:142], v[4:5], v[141:142]
	s_waitcnt vmcnt(56)
	v_fma_f64 v[139:140], v[117:118], v[145:146], -v[139:140]
	ds_read_b128 v[113:116], v1 offset:1392
	v_add_f64 v[125:126], v[125:126], v[131:132]
	v_fma_f64 v[131:132], v[119:120], v[145:146], v[196:197]
	v_add_f64 v[6:7], v[6:7], v[129:130]
	s_clause 0x4
	buffer_load_dword v130, off, s[0:3], 0 offset:812
	buffer_load_dword v145, off, s[0:3], 0 offset:824
	buffer_load_dword v190, off, s[0:3], 0 offset:816
	buffer_load_dword v129, off, s[0:3], 0 offset:808
	buffer_load_dword v196, off, s[0:3], 0 offset:788
	ds_read_b128 v[117:120], v1 offset:1408
	s_waitcnt vmcnt(57) lgkmcnt(1)
	v_mul_f64 v[191:192], v[113:114], v[147:148]
	v_mul_f64 v[147:148], v[115:116], v[147:148]
	s_waitcnt vmcnt(56)
	v_fma_f64 v[141:142], v[2:3], v[143:144], -v[141:142]
	v_fma_f64 v[137:138], v[4:5], v[143:144], v[137:138]
	v_add_f64 v[125:126], v[125:126], v[139:140]
	v_add_f64 v[6:7], v[6:7], v[131:132]
	s_clause 0x2
	buffer_load_dword v146, off, s[0:3], 0 offset:828
	buffer_load_dword v132, off, s[0:3], 0 offset:804
	;; [unrolled: 1-line block ×3, first 2 shown]
	s_waitcnt vmcnt(58) lgkmcnt(0)
	v_mul_f64 v[143:144], v[119:120], v[149:150]
	ds_read_b128 v[2:5], v1 offset:1424
	s_waitcnt vmcnt(56)
	v_fma_f64 v[147:148], v[113:114], v[153:154], -v[147:148]
	v_mul_f64 v[139:140], v[117:118], v[149:150]
	v_add_f64 v[125:126], v[125:126], v[141:142]
	v_fma_f64 v[141:142], v[115:116], v[153:154], v[191:192]
	v_add_f64 v[6:7], v[6:7], v[137:138]
	s_clause 0x2
	buffer_load_dword v138, off, s[0:3], 0 offset:844
	buffer_load_dword v137, off, s[0:3], 0 offset:840
	;; [unrolled: 1-line block ×3, first 2 shown]
	s_waitcnt vmcnt(55) lgkmcnt(0)
	v_mul_f64 v[153:154], v[4:5], v[155:156]
	s_waitcnt vmcnt(54)
	v_fma_f64 v[143:144], v[117:118], v[151:152], -v[143:144]
	ds_read_b128 v[113:116], v1 offset:1440
	v_mul_f64 v[149:150], v[2:3], v[155:156]
	v_fma_f64 v[139:140], v[119:120], v[151:152], v[139:140]
	v_add_f64 v[125:126], v[125:126], v[147:148]
	v_add_f64 v[6:7], v[6:7], v[141:142]
	s_clause 0x1
	buffer_load_dword v142, off, s[0:3], 0 offset:836
	buffer_load_dword v141, off, s[0:3], 0 offset:832
	s_waitcnt vmcnt(55) lgkmcnt(0)
	v_mul_f64 v[151:152], v[115:116], v[157:158]
	s_waitcnt vmcnt(53)
	v_fma_f64 v[153:154], v[2:3], v[161:162], -v[153:154]
	ds_read_b128 v[117:120], v1 offset:1456
	v_mul_f64 v[147:148], v[113:114], v[157:158]
	v_add_f64 v[125:126], v[125:126], v[143:144]
	v_fma_f64 v[143:144], v[4:5], v[161:162], v[149:150]
	v_add_f64 v[6:7], v[6:7], v[139:140]
	ds_read_b128 v[2:5], v1 offset:1472
	s_waitcnt vmcnt(49) lgkmcnt(1)
	v_mul_f64 v[149:150], v[119:120], v[163:164]
	s_waitcnt vmcnt(48)
	v_fma_f64 v[151:152], v[113:114], v[159:160], -v[151:152]
	v_mul_f64 v[139:140], v[117:118], v[163:164]
	v_fma_f64 v[147:148], v[115:116], v[159:160], v[147:148]
	v_add_f64 v[125:126], v[125:126], v[153:154]
	s_waitcnt vmcnt(47) lgkmcnt(0)
	v_mul_f64 v[157:158], v[4:5], v[165:166]
	v_add_f64 v[6:7], v[6:7], v[143:144]
	s_clause 0x3
	buffer_load_dword v143, off, s[0:3], 0 offset:448
	buffer_load_dword v144, off, s[0:3], 0 offset:452
	;; [unrolled: 1-line block ×4, first 2 shown]
	s_waitcnt vmcnt(49)
	v_fma_f64 v[149:150], v[117:118], v[169:170], -v[149:150]
	ds_read_b128 v[113:116], v1 offset:1488
	v_mul_f64 v[155:156], v[2:3], v[165:166]
	v_fma_f64 v[139:140], v[119:120], v[169:170], v[139:140]
	ds_read_b128 v[117:120], v1 offset:1504
	v_add_f64 v[125:126], v[125:126], v[151:152]
	s_waitcnt vmcnt(44)
	v_fma_f64 v[157:158], v[2:3], v[167:168], -v[157:158]
	v_add_f64 v[6:7], v[6:7], v[147:148]
	s_waitcnt lgkmcnt(1)
	v_mul_f64 v[151:152], v[115:116], v[171:172]
	v_mul_f64 v[147:148], v[113:114], v[171:172]
	v_add_f64 v[125:126], v[125:126], v[149:150]
	v_fma_f64 v[149:150], v[4:5], v[167:168], v[155:156]
	v_add_f64 v[6:7], v[6:7], v[139:140]
	s_waitcnt vmcnt(43) lgkmcnt(0)
	v_mul_f64 v[155:156], v[119:120], v[174:175]
	s_waitcnt vmcnt(41)
	v_fma_f64 v[151:152], v[113:114], v[178:179], -v[151:152]
	ds_read_b128 v[2:5], v1 offset:1520
	v_mul_f64 v[139:140], v[117:118], v[174:175]
	v_fma_f64 v[147:148], v[115:116], v[178:179], v[147:148]
	ds_read_b128 v[113:116], v1 offset:1536
	v_add_f64 v[125:126], v[125:126], v[157:158]
	v_add_f64 v[6:7], v[6:7], v[149:150]
	s_waitcnt vmcnt(37) lgkmcnt(1)
	v_mul_f64 v[157:158], v[4:5], v[182:183]
	s_waitcnt vmcnt(36)
	v_fma_f64 v[155:156], v[117:118], v[176:177], -v[155:156]
	v_mul_f64 v[149:150], v[2:3], v[182:183]
	v_fma_f64 v[139:140], v[119:120], v[176:177], v[139:140]
	ds_read_b128 v[117:120], v1 offset:1552
	v_add_f64 v[125:126], v[125:126], v[151:152]
	v_add_f64 v[6:7], v[6:7], v[147:148]
	s_waitcnt vmcnt(35) lgkmcnt(1)
	v_mul_f64 v[151:152], v[115:116], v[184:185]
	v_mul_f64 v[147:148], v[113:114], v[184:185]
	s_waitcnt vmcnt(33)
	v_fma_f64 v[157:158], v[2:3], v[123:124], -v[157:158]
	v_fma_f64 v[123:124], v[4:5], v[123:124], v[149:150]
	ds_read_b128 v[2:5], v1 offset:1568
	v_add_f64 v[125:126], v[125:126], v[155:156]
	v_add_f64 v[6:7], v[6:7], v[139:140]
	s_waitcnt vmcnt(29) lgkmcnt(1)
	v_mul_f64 v[139:140], v[117:118], v[127:128]
	v_mul_f64 v[127:128], v[119:120], v[127:128]
	s_waitcnt vmcnt(28)
	v_fma_f64 v[149:150], v[113:114], v[186:187], -v[151:152]
	;; [unrolled: 9-line block ×7, first 2 shown]
	v_fma_f64 v[3:4], v[4:5], v[131:132], v[123:124]
	v_add_f64 v[125:126], v[125:126], v[127:128]
	v_add_f64 v[5:6], v[6:7], v[121:122]
	s_waitcnt vmcnt(7) lgkmcnt(0)
	v_mul_f64 v[121:122], v[119:120], v[137:138]
	s_waitcnt vmcnt(6)
	v_fma_f64 v[113:114], v[113:114], v[190:191], -v[135:136]
	v_mul_f64 v[7:8], v[117:118], v[137:138]
	v_fma_f64 v[115:116], v[115:116], v[190:191], v[133:134]
	v_add_f64 v[1:2], v[125:126], v[1:2]
	v_add_f64 v[3:4], v[5:6], v[3:4]
	s_waitcnt vmcnt(4)
	v_fma_f64 v[5:6], v[117:118], v[141:142], -v[121:122]
	v_fma_f64 v[7:8], v[119:120], v[141:142], v[7:8]
	v_add_f64 v[1:2], v[1:2], v[113:114]
	v_add_f64 v[3:4], v[3:4], v[115:116]
	v_add_f64 v[1:2], v[1:2], v[5:6]
	v_add_f64 v[3:4], v[3:4], v[7:8]
	s_waitcnt vmcnt(2)
	v_add_f64 v[1:2], v[143:144], -v[1:2]
	s_waitcnt vmcnt(0)
	v_add_f64 v[3:4], v[153:154], -v[3:4]
	buffer_store_dword v2, off, s[0:3], 0 offset:452
	buffer_store_dword v1, off, s[0:3], 0 offset:448
	;; [unrolled: 1-line block ×4, first 2 shown]
	v_cmpx_lt_u32_e32 26, v0
	s_cbranch_execz .LBB115_273
; %bb.272:
	v_mov_b32_e32 v4, s38
	v_mov_b32_e32 v5, 0
	s_clause 0x3
	buffer_load_dword v1, v4, s[0:3], 0 offen
	buffer_load_dword v2, v4, s[0:3], 0 offen offset:4
	buffer_load_dword v3, v4, s[0:3], 0 offen offset:8
	;; [unrolled: 1-line block ×3, first 2 shown]
	buffer_store_dword v5, off, s[0:3], 0 offset:432
	buffer_store_dword v5, off, s[0:3], 0 offset:436
	;; [unrolled: 1-line block ×4, first 2 shown]
	s_waitcnt vmcnt(0)
	ds_write_b128 v173, v[1:4]
.LBB115_273:
	s_or_b32 exec_lo, exec_lo, s4
	s_waitcnt lgkmcnt(0)
	s_waitcnt_vscnt null, 0x0
	s_barrier
	buffer_gl0_inv
	s_clause 0x37
	buffer_load_dword v6, off, s[0:3], 0 offset:456
	buffer_load_dword v7, off, s[0:3], 0 offset:460
	;; [unrolled: 1-line block ×56, first 2 shown]
	v_mov_b32_e32 v1, 0
	s_mov_b32 s4, exec_lo
	ds_read_b128 v[2:5], v1 offset:1264
	s_clause 0x2
	buffer_load_dword v175, off, s[0:3], 0 offset:684
	buffer_load_dword v179, off, s[0:3], 0 offset:660
	;; [unrolled: 1-line block ×3, first 2 shown]
	ds_read_b128 v[113:116], v1 offset:1280
	s_clause 0x4
	buffer_load_dword v183, off, s[0:3], 0 offset:700
	buffer_load_dword v184, off, s[0:3], 0 offset:712
	;; [unrolled: 1-line block ×5, first 2 shown]
	ds_read_b128 v[117:120], v1 offset:1296
	s_waitcnt vmcnt(62) lgkmcnt(2)
	v_mul_f64 v[180:181], v[4:5], v[6:7]
	v_mul_f64 v[6:7], v[2:3], v[6:7]
	s_waitcnt vmcnt(60) lgkmcnt(1)
	v_mul_f64 v[187:188], v[115:116], v[121:122]
	v_mul_f64 v[121:122], v[113:114], v[121:122]
	;; [unrolled: 3-line block ×3, first 2 shown]
	v_fma_f64 v[180:181], v[2:3], v[123:124], -v[180:181]
	v_fma_f64 v[6:7], v[4:5], v[123:124], v[6:7]
	s_clause 0x2
	buffer_load_dword v185, off, s[0:3], 0 offset:716
	buffer_load_dword v124, off, s[0:3], 0 offset:692
	buffer_load_dword v123, off, s[0:3], 0 offset:688
	s_waitcnt vmcnt(57)
	v_fma_f64 v[191:192], v[113:114], v[127:128], -v[187:188]
	ds_read_b128 v[2:5], v1 offset:1312
	v_fma_f64 v[121:122], v[115:116], v[127:128], v[121:122]
	s_clause 0x4
	buffer_load_dword v128, off, s[0:3], 0 offset:732
	buffer_load_dword v188, off, s[0:3], 0 offset:744
	buffer_load_dword v193, off, s[0:3], 0 offset:736
	buffer_load_dword v127, off, s[0:3], 0 offset:728
	buffer_load_dword v187, off, s[0:3], 0 offset:708
	s_waitcnt vmcnt(56)
	v_fma_f64 v[125:126], v[117:118], v[135:136], -v[125:126]
	ds_read_b128 v[113:116], v1 offset:1328
	v_fma_f64 v[135:136], v[119:120], v[135:136], v[189:190]
	v_add_f64 v[180:181], v[180:181], 0
	v_add_f64 v[6:7], v[6:7], 0
	s_waitcnt lgkmcnt(1)
	v_mul_f64 v[194:195], v[2:3], v[129:130]
	v_mul_f64 v[129:130], v[4:5], v[129:130]
	v_add_f64 v[180:181], v[180:181], v[191:192]
	v_add_f64 v[6:7], v[6:7], v[121:122]
	s_clause 0x2
	buffer_load_dword v189, off, s[0:3], 0 offset:748
	buffer_load_dword v122, off, s[0:3], 0 offset:724
	;; [unrolled: 1-line block ×3, first 2 shown]
	s_waitcnt vmcnt(58) lgkmcnt(0)
	v_mul_f64 v[190:191], v[113:114], v[131:132]
	v_mul_f64 v[131:132], v[115:116], v[131:132]
	s_waitcnt vmcnt(56)
	v_fma_f64 v[129:130], v[2:3], v[137:138], -v[129:130]
	ds_read_b128 v[117:120], v1 offset:1344
	v_fma_f64 v[137:138], v[4:5], v[137:138], v[194:195]
	v_add_f64 v[125:126], v[180:181], v[125:126]
	v_add_f64 v[6:7], v[6:7], v[135:136]
	s_clause 0x4
	buffer_load_dword v136, off, s[0:3], 0 offset:764
	buffer_load_dword v180, off, s[0:3], 0 offset:776
	;; [unrolled: 1-line block ×5, first 2 shown]
	ds_read_b128 v[2:5], v1 offset:1360
	s_waitcnt vmcnt(57) lgkmcnt(1)
	v_mul_f64 v[196:197], v[117:118], v[139:140]
	v_mul_f64 v[139:140], v[119:120], v[139:140]
	s_waitcnt vmcnt(56)
	v_fma_f64 v[131:132], v[113:114], v[133:134], -v[131:132]
	v_add_f64 v[125:126], v[125:126], v[129:130]
	v_fma_f64 v[129:130], v[115:116], v[133:134], v[190:191]
	v_add_f64 v[6:7], v[6:7], v[137:138]
	s_clause 0x2
	buffer_load_dword v181, off, s[0:3], 0 offset:780
	buffer_load_dword v134, off, s[0:3], 0 offset:756
	;; [unrolled: 1-line block ×3, first 2 shown]
	s_waitcnt vmcnt(58) lgkmcnt(0)
	v_mul_f64 v[137:138], v[2:3], v[141:142]
	v_mul_f64 v[141:142], v[4:5], v[141:142]
	s_waitcnt vmcnt(56)
	v_fma_f64 v[139:140], v[117:118], v[145:146], -v[139:140]
	ds_read_b128 v[113:116], v1 offset:1376
	v_add_f64 v[125:126], v[125:126], v[131:132]
	v_fma_f64 v[131:132], v[119:120], v[145:146], v[196:197]
	v_add_f64 v[6:7], v[6:7], v[129:130]
	s_clause 0x4
	buffer_load_dword v130, off, s[0:3], 0 offset:796
	buffer_load_dword v145, off, s[0:3], 0 offset:808
	;; [unrolled: 1-line block ×5, first 2 shown]
	ds_read_b128 v[117:120], v1 offset:1392
	s_waitcnt vmcnt(57) lgkmcnt(1)
	v_mul_f64 v[191:192], v[113:114], v[147:148]
	v_mul_f64 v[147:148], v[115:116], v[147:148]
	s_waitcnt vmcnt(56)
	v_fma_f64 v[141:142], v[2:3], v[143:144], -v[141:142]
	v_fma_f64 v[137:138], v[4:5], v[143:144], v[137:138]
	v_add_f64 v[125:126], v[125:126], v[139:140]
	v_add_f64 v[6:7], v[6:7], v[131:132]
	s_clause 0x2
	buffer_load_dword v146, off, s[0:3], 0 offset:812
	buffer_load_dword v132, off, s[0:3], 0 offset:788
	;; [unrolled: 1-line block ×3, first 2 shown]
	s_waitcnt vmcnt(58) lgkmcnt(0)
	v_mul_f64 v[143:144], v[119:120], v[149:150]
	ds_read_b128 v[2:5], v1 offset:1408
	s_waitcnt vmcnt(56)
	v_fma_f64 v[147:148], v[113:114], v[153:154], -v[147:148]
	v_mul_f64 v[139:140], v[117:118], v[149:150]
	v_add_f64 v[125:126], v[125:126], v[141:142]
	v_fma_f64 v[141:142], v[115:116], v[153:154], v[191:192]
	v_add_f64 v[6:7], v[6:7], v[137:138]
	s_clause 0x4
	buffer_load_dword v138, off, s[0:3], 0 offset:828
	buffer_load_dword v149, off, s[0:3], 0 offset:840
	;; [unrolled: 1-line block ×5, first 2 shown]
	s_waitcnt vmcnt(57) lgkmcnt(0)
	v_mul_f64 v[197:198], v[2:3], v[155:156]
	v_mul_f64 v[154:155], v[4:5], v[155:156]
	s_waitcnt vmcnt(56)
	v_fma_f64 v[143:144], v[117:118], v[151:152], -v[143:144]
	ds_read_b128 v[113:116], v1 offset:1424
	v_fma_f64 v[139:140], v[119:120], v[151:152], v[139:140]
	v_add_f64 v[125:126], v[125:126], v[147:148]
	v_add_f64 v[6:7], v[6:7], v[141:142]
	s_clause 0x2
	buffer_load_dword v150, off, s[0:3], 0 offset:844
	buffer_load_dword v142, off, s[0:3], 0 offset:820
	buffer_load_dword v141, off, s[0:3], 0 offset:816
	ds_read_b128 v[117:120], v1 offset:1440
	s_waitcnt vmcnt(58) lgkmcnt(1)
	v_mul_f64 v[151:152], v[115:116], v[157:158]
	s_waitcnt vmcnt(56)
	v_fma_f64 v[155:156], v[2:3], v[161:162], -v[154:155]
	v_mul_f64 v[147:148], v[113:114], v[157:158]
	buffer_load_dword v154, off, s[0:3], 0 offset:836
	v_add_f64 v[125:126], v[125:126], v[143:144]
	v_fma_f64 v[143:144], v[4:5], v[161:162], v[197:198]
	v_add_f64 v[6:7], v[6:7], v[139:140]
	ds_read_b128 v[2:5], v1 offset:1456
	s_waitcnt vmcnt(53) lgkmcnt(1)
	v_mul_f64 v[157:158], v[119:120], v[163:164]
	s_waitcnt vmcnt(52)
	v_fma_f64 v[151:152], v[113:114], v[159:160], -v[151:152]
	v_mul_f64 v[139:140], v[117:118], v[163:164]
	v_fma_f64 v[147:148], v[115:116], v[159:160], v[147:148]
	ds_read_b128 v[113:116], v1 offset:1472
	v_add_f64 v[125:126], v[125:126], v[155:156]
	s_waitcnt vmcnt(51) lgkmcnt(1)
	v_mul_f64 v[155:156], v[4:5], v[165:166]
	v_add_f64 v[6:7], v[6:7], v[143:144]
	v_mul_f64 v[143:144], v[2:3], v[165:166]
	s_waitcnt vmcnt(49)
	v_fma_f64 v[157:158], v[117:118], v[169:170], -v[157:158]
	v_fma_f64 v[139:140], v[119:120], v[169:170], v[139:140]
	s_waitcnt vmcnt(45) lgkmcnt(0)
	v_mul_f64 v[161:162], v[115:116], v[171:172]
	v_mul_f64 v[159:160], v[113:114], v[171:172]
	v_add_f64 v[125:126], v[125:126], v[151:152]
	s_waitcnt vmcnt(44)
	v_fma_f64 v[155:156], v[2:3], v[167:168], -v[155:156]
	v_add_f64 v[6:7], v[6:7], v[147:148]
	s_clause 0x3
	buffer_load_dword v147, off, s[0:3], 0 offset:432
	buffer_load_dword v148, off, s[0:3], 0 offset:436
	;; [unrolled: 1-line block ×4, first 2 shown]
	ds_read_b128 v[117:120], v1 offset:1488
	v_fma_f64 v[143:144], v[4:5], v[167:168], v[143:144]
	ds_read_b128 v[2:5], v1 offset:1504
	s_waitcnt vmcnt(45)
	v_fma_f64 v[161:162], v[113:114], v[178:179], -v[161:162]
	v_add_f64 v[125:126], v[125:126], v[157:158]
	v_add_f64 v[6:7], v[6:7], v[139:140]
	s_waitcnt lgkmcnt(1)
	v_mul_f64 v[157:158], v[119:120], v[174:175]
	v_mul_f64 v[139:140], v[117:118], v[174:175]
	v_add_f64 v[125:126], v[125:126], v[155:156]
	v_fma_f64 v[155:156], v[115:116], v[178:179], v[159:160]
	v_add_f64 v[6:7], v[6:7], v[143:144]
	s_waitcnt vmcnt(41) lgkmcnt(0)
	v_mul_f64 v[159:160], v[4:5], v[182:183]
	s_waitcnt vmcnt(40)
	v_fma_f64 v[157:158], v[117:118], v[176:177], -v[157:158]
	ds_read_b128 v[113:116], v1 offset:1520
	v_mul_f64 v[143:144], v[2:3], v[182:183]
	v_fma_f64 v[139:140], v[119:120], v[176:177], v[139:140]
	ds_read_b128 v[117:120], v1 offset:1536
	v_add_f64 v[125:126], v[125:126], v[161:162]
	v_add_f64 v[6:7], v[6:7], v[155:156]
	s_waitcnt vmcnt(39) lgkmcnt(1)
	v_mul_f64 v[161:162], v[115:116], v[184:185]
	v_mul_f64 v[155:156], v[113:114], v[184:185]
	s_waitcnt vmcnt(37)
	v_fma_f64 v[159:160], v[2:3], v[123:124], -v[159:160]
	v_fma_f64 v[123:124], v[4:5], v[123:124], v[143:144]
	ds_read_b128 v[2:5], v1 offset:1552
	v_add_f64 v[125:126], v[125:126], v[157:158]
	v_add_f64 v[6:7], v[6:7], v[139:140]
	s_waitcnt vmcnt(33) lgkmcnt(1)
	v_mul_f64 v[139:140], v[117:118], v[127:128]
	v_mul_f64 v[127:128], v[119:120], v[127:128]
	s_waitcnt vmcnt(32)
	v_fma_f64 v[143:144], v[113:114], v[186:187], -v[161:162]
	;; [unrolled: 9-line block ×7, first 2 shown]
	v_fma_f64 v[123:124], v[4:5], v[131:132], v[123:124]
	ds_read_b128 v[2:5], v1 offset:1648
	v_add_f64 v[125:126], v[125:126], v[127:128]
	v_add_f64 v[6:7], v[6:7], v[121:122]
	s_waitcnt vmcnt(9) lgkmcnt(1)
	v_mul_f64 v[127:128], v[119:120], v[137:138]
	s_waitcnt vmcnt(8)
	v_fma_f64 v[113:114], v[113:114], v[190:191], -v[135:136]
	v_mul_f64 v[121:122], v[117:118], v[137:138]
	v_fma_f64 v[115:116], v[115:116], v[190:191], v[133:134]
	v_add_f64 v[125:126], v[125:126], v[129:130]
	v_add_f64 v[6:7], v[6:7], v[123:124]
	s_waitcnt vmcnt(7) lgkmcnt(0)
	v_mul_f64 v[129:130], v[4:5], v[149:150]
	v_mul_f64 v[123:124], v[2:3], v[149:150]
	s_waitcnt vmcnt(5)
	v_fma_f64 v[117:118], v[117:118], v[141:142], -v[127:128]
	v_fma_f64 v[119:120], v[119:120], v[141:142], v[121:122]
	v_add_f64 v[113:114], v[125:126], v[113:114]
	v_add_f64 v[6:7], v[6:7], v[115:116]
	s_waitcnt vmcnt(4)
	v_fma_f64 v[2:3], v[2:3], v[153:154], -v[129:130]
	v_fma_f64 v[4:5], v[4:5], v[153:154], v[123:124]
	v_add_f64 v[113:114], v[113:114], v[117:118]
	v_add_f64 v[6:7], v[6:7], v[119:120]
	;; [unrolled: 1-line block ×4, first 2 shown]
	s_waitcnt vmcnt(2)
	v_add_f64 v[2:3], v[147:148], -v[2:3]
	s_waitcnt vmcnt(0)
	v_add_f64 v[4:5], v[151:152], -v[4:5]
	buffer_store_dword v3, off, s[0:3], 0 offset:436
	buffer_store_dword v2, off, s[0:3], 0 offset:432
	;; [unrolled: 1-line block ×4, first 2 shown]
	v_cmpx_lt_u32_e32 25, v0
	s_cbranch_execz .LBB115_275
; %bb.274:
	v_mov_b32_e32 v5, s39
	s_clause 0x3
	buffer_load_dword v2, v5, s[0:3], 0 offen
	buffer_load_dword v3, v5, s[0:3], 0 offen offset:4
	buffer_load_dword v4, v5, s[0:3], 0 offen offset:8
	;; [unrolled: 1-line block ×3, first 2 shown]
	buffer_store_dword v1, off, s[0:3], 0 offset:416
	buffer_store_dword v1, off, s[0:3], 0 offset:420
	;; [unrolled: 1-line block ×4, first 2 shown]
	s_waitcnt vmcnt(0)
	ds_write_b128 v173, v[2:5]
.LBB115_275:
	s_or_b32 exec_lo, exec_lo, s4
	s_waitcnt lgkmcnt(0)
	s_waitcnt_vscnt null, 0x0
	s_barrier
	buffer_gl0_inv
	s_clause 0x37
	buffer_load_dword v6, off, s[0:3], 0 offset:440
	buffer_load_dword v7, off, s[0:3], 0 offset:444
	;; [unrolled: 1-line block ×56, first 2 shown]
	ds_read_b128 v[2:5], v1 offset:1248
	s_clause 0x2
	buffer_load_dword v175, off, s[0:3], 0 offset:668
	buffer_load_dword v179, off, s[0:3], 0 offset:644
	;; [unrolled: 1-line block ×3, first 2 shown]
	ds_read_b128 v[113:116], v1 offset:1264
	s_clause 0x4
	buffer_load_dword v183, off, s[0:3], 0 offset:684
	buffer_load_dword v184, off, s[0:3], 0 offset:696
	;; [unrolled: 1-line block ×5, first 2 shown]
	ds_read_b128 v[117:120], v1 offset:1280
	s_mov_b32 s4, exec_lo
	s_waitcnt vmcnt(62) lgkmcnt(2)
	v_mul_f64 v[180:181], v[4:5], v[6:7]
	v_mul_f64 v[6:7], v[2:3], v[6:7]
	s_waitcnt vmcnt(60) lgkmcnt(1)
	v_mul_f64 v[187:188], v[115:116], v[121:122]
	v_mul_f64 v[121:122], v[113:114], v[121:122]
	;; [unrolled: 3-line block ×3, first 2 shown]
	v_fma_f64 v[180:181], v[2:3], v[123:124], -v[180:181]
	v_fma_f64 v[6:7], v[4:5], v[123:124], v[6:7]
	s_clause 0x2
	buffer_load_dword v185, off, s[0:3], 0 offset:700
	buffer_load_dword v124, off, s[0:3], 0 offset:676
	;; [unrolled: 1-line block ×3, first 2 shown]
	s_waitcnt vmcnt(57)
	v_fma_f64 v[191:192], v[113:114], v[127:128], -v[187:188]
	ds_read_b128 v[2:5], v1 offset:1296
	v_fma_f64 v[121:122], v[115:116], v[127:128], v[121:122]
	s_clause 0x4
	buffer_load_dword v128, off, s[0:3], 0 offset:716
	buffer_load_dword v188, off, s[0:3], 0 offset:728
	;; [unrolled: 1-line block ×5, first 2 shown]
	s_waitcnt vmcnt(56)
	v_fma_f64 v[125:126], v[117:118], v[135:136], -v[125:126]
	ds_read_b128 v[113:116], v1 offset:1312
	v_fma_f64 v[135:136], v[119:120], v[135:136], v[189:190]
	v_add_f64 v[180:181], v[180:181], 0
	v_add_f64 v[6:7], v[6:7], 0
	s_waitcnt lgkmcnt(1)
	v_mul_f64 v[194:195], v[2:3], v[129:130]
	v_mul_f64 v[129:130], v[4:5], v[129:130]
	v_add_f64 v[180:181], v[180:181], v[191:192]
	v_add_f64 v[6:7], v[6:7], v[121:122]
	s_clause 0x2
	buffer_load_dword v189, off, s[0:3], 0 offset:732
	buffer_load_dword v122, off, s[0:3], 0 offset:708
	;; [unrolled: 1-line block ×3, first 2 shown]
	s_waitcnt vmcnt(58) lgkmcnt(0)
	v_mul_f64 v[190:191], v[113:114], v[131:132]
	v_mul_f64 v[131:132], v[115:116], v[131:132]
	s_waitcnt vmcnt(56)
	v_fma_f64 v[129:130], v[2:3], v[137:138], -v[129:130]
	ds_read_b128 v[117:120], v1 offset:1328
	v_fma_f64 v[137:138], v[4:5], v[137:138], v[194:195]
	v_add_f64 v[125:126], v[180:181], v[125:126]
	v_add_f64 v[6:7], v[6:7], v[135:136]
	s_clause 0x4
	buffer_load_dword v136, off, s[0:3], 0 offset:748
	buffer_load_dword v180, off, s[0:3], 0 offset:760
	;; [unrolled: 1-line block ×5, first 2 shown]
	ds_read_b128 v[2:5], v1 offset:1344
	s_waitcnt vmcnt(57) lgkmcnt(1)
	v_mul_f64 v[196:197], v[117:118], v[139:140]
	v_mul_f64 v[139:140], v[119:120], v[139:140]
	s_waitcnt vmcnt(56)
	v_fma_f64 v[131:132], v[113:114], v[133:134], -v[131:132]
	v_add_f64 v[125:126], v[125:126], v[129:130]
	v_fma_f64 v[129:130], v[115:116], v[133:134], v[190:191]
	v_add_f64 v[6:7], v[6:7], v[137:138]
	s_clause 0x2
	buffer_load_dword v181, off, s[0:3], 0 offset:764
	buffer_load_dword v134, off, s[0:3], 0 offset:740
	;; [unrolled: 1-line block ×3, first 2 shown]
	s_waitcnt vmcnt(58) lgkmcnt(0)
	v_mul_f64 v[137:138], v[2:3], v[141:142]
	v_mul_f64 v[141:142], v[4:5], v[141:142]
	s_waitcnt vmcnt(56)
	v_fma_f64 v[139:140], v[117:118], v[145:146], -v[139:140]
	ds_read_b128 v[113:116], v1 offset:1360
	v_add_f64 v[125:126], v[125:126], v[131:132]
	v_fma_f64 v[131:132], v[119:120], v[145:146], v[196:197]
	v_add_f64 v[6:7], v[6:7], v[129:130]
	s_clause 0x4
	buffer_load_dword v130, off, s[0:3], 0 offset:780
	buffer_load_dword v145, off, s[0:3], 0 offset:792
	buffer_load_dword v190, off, s[0:3], 0 offset:784
	buffer_load_dword v129, off, s[0:3], 0 offset:776
	buffer_load_dword v196, off, s[0:3], 0 offset:756
	ds_read_b128 v[117:120], v1 offset:1376
	s_waitcnt vmcnt(57) lgkmcnt(1)
	v_mul_f64 v[191:192], v[113:114], v[147:148]
	v_mul_f64 v[147:148], v[115:116], v[147:148]
	s_waitcnt vmcnt(56)
	v_fma_f64 v[141:142], v[2:3], v[143:144], -v[141:142]
	v_fma_f64 v[137:138], v[4:5], v[143:144], v[137:138]
	v_add_f64 v[125:126], v[125:126], v[139:140]
	v_add_f64 v[6:7], v[6:7], v[131:132]
	s_clause 0x2
	buffer_load_dword v146, off, s[0:3], 0 offset:796
	buffer_load_dword v132, off, s[0:3], 0 offset:772
	;; [unrolled: 1-line block ×3, first 2 shown]
	s_waitcnt vmcnt(58) lgkmcnt(0)
	v_mul_f64 v[143:144], v[119:120], v[149:150]
	ds_read_b128 v[2:5], v1 offset:1392
	s_waitcnt vmcnt(56)
	v_fma_f64 v[147:148], v[113:114], v[153:154], -v[147:148]
	v_mul_f64 v[139:140], v[117:118], v[149:150]
	v_add_f64 v[125:126], v[125:126], v[141:142]
	v_fma_f64 v[141:142], v[115:116], v[153:154], v[191:192]
	v_add_f64 v[6:7], v[6:7], v[137:138]
	s_clause 0x4
	buffer_load_dword v138, off, s[0:3], 0 offset:812
	buffer_load_dword v149, off, s[0:3], 0 offset:824
	;; [unrolled: 1-line block ×5, first 2 shown]
	s_waitcnt vmcnt(57) lgkmcnt(0)
	v_mul_f64 v[197:198], v[2:3], v[155:156]
	v_mul_f64 v[154:155], v[4:5], v[155:156]
	s_waitcnt vmcnt(56)
	v_fma_f64 v[143:144], v[117:118], v[151:152], -v[143:144]
	ds_read_b128 v[113:116], v1 offset:1408
	v_fma_f64 v[139:140], v[119:120], v[151:152], v[139:140]
	v_add_f64 v[125:126], v[125:126], v[147:148]
	v_add_f64 v[6:7], v[6:7], v[141:142]
	s_clause 0x2
	buffer_load_dword v150, off, s[0:3], 0 offset:828
	buffer_load_dword v142, off, s[0:3], 0 offset:804
	;; [unrolled: 1-line block ×3, first 2 shown]
	ds_read_b128 v[117:120], v1 offset:1424
	s_waitcnt vmcnt(58) lgkmcnt(1)
	v_mul_f64 v[151:152], v[115:116], v[157:158]
	s_waitcnt vmcnt(56)
	v_fma_f64 v[155:156], v[2:3], v[161:162], -v[154:155]
	v_mul_f64 v[147:148], v[113:114], v[157:158]
	v_add_f64 v[125:126], v[125:126], v[143:144]
	v_fma_f64 v[143:144], v[4:5], v[161:162], v[197:198]
	v_add_f64 v[6:7], v[6:7], v[139:140]
	s_clause 0x2
	buffer_load_dword v140, off, s[0:3], 0 offset:844
	buffer_load_dword v139, off, s[0:3], 0 offset:840
	;; [unrolled: 1-line block ×3, first 2 shown]
	s_waitcnt vmcnt(55) lgkmcnt(0)
	v_mul_f64 v[161:162], v[119:120], v[163:164]
	s_waitcnt vmcnt(54)
	v_fma_f64 v[151:152], v[113:114], v[159:160], -v[151:152]
	ds_read_b128 v[2:5], v1 offset:1440
	v_mul_f64 v[157:158], v[117:118], v[163:164]
	v_fma_f64 v[147:148], v[115:116], v[159:160], v[147:148]
	v_add_f64 v[125:126], v[125:126], v[155:156]
	v_add_f64 v[6:7], v[6:7], v[143:144]
	s_clause 0x1
	buffer_load_dword v144, off, s[0:3], 0 offset:836
	buffer_load_dword v143, off, s[0:3], 0 offset:832
	s_waitcnt vmcnt(55) lgkmcnt(0)
	v_mul_f64 v[159:160], v[4:5], v[165:166]
	s_waitcnt vmcnt(53)
	v_fma_f64 v[161:162], v[117:118], v[169:170], -v[161:162]
	ds_read_b128 v[113:116], v1 offset:1456
	v_mul_f64 v[155:156], v[2:3], v[165:166]
	v_add_f64 v[125:126], v[125:126], v[151:152]
	v_fma_f64 v[151:152], v[119:120], v[169:170], v[157:158]
	v_add_f64 v[6:7], v[6:7], v[147:148]
	ds_read_b128 v[117:120], v1 offset:1472
	s_waitcnt vmcnt(49) lgkmcnt(1)
	v_mul_f64 v[157:158], v[115:116], v[171:172]
	s_waitcnt vmcnt(48)
	v_fma_f64 v[159:160], v[2:3], v[167:168], -v[159:160]
	v_mul_f64 v[147:148], v[113:114], v[171:172]
	v_fma_f64 v[155:156], v[4:5], v[167:168], v[155:156]
	v_add_f64 v[125:126], v[125:126], v[161:162]
	s_waitcnt vmcnt(47) lgkmcnt(0)
	v_mul_f64 v[165:166], v[119:120], v[174:175]
	v_add_f64 v[6:7], v[6:7], v[151:152]
	s_clause 0x3
	buffer_load_dword v151, off, s[0:3], 0 offset:416
	buffer_load_dword v152, off, s[0:3], 0 offset:420
	;; [unrolled: 1-line block ×4, first 2 shown]
	s_waitcnt vmcnt(49)
	v_fma_f64 v[157:158], v[113:114], v[178:179], -v[157:158]
	ds_read_b128 v[2:5], v1 offset:1488
	v_mul_f64 v[163:164], v[117:118], v[174:175]
	v_fma_f64 v[147:148], v[115:116], v[178:179], v[147:148]
	ds_read_b128 v[113:116], v1 offset:1504
	v_add_f64 v[125:126], v[125:126], v[159:160]
	s_waitcnt vmcnt(44)
	v_fma_f64 v[165:166], v[117:118], v[176:177], -v[165:166]
	v_add_f64 v[6:7], v[6:7], v[155:156]
	s_waitcnt lgkmcnt(1)
	v_mul_f64 v[159:160], v[4:5], v[182:183]
	v_mul_f64 v[155:156], v[2:3], v[182:183]
	v_add_f64 v[125:126], v[125:126], v[157:158]
	v_fma_f64 v[157:158], v[119:120], v[176:177], v[163:164]
	v_add_f64 v[6:7], v[6:7], v[147:148]
	ds_read_b128 v[117:120], v1 offset:1520
	s_waitcnt vmcnt(43) lgkmcnt(1)
	v_mul_f64 v[163:164], v[115:116], v[184:185]
	v_mul_f64 v[147:148], v[113:114], v[184:185]
	s_waitcnt vmcnt(41)
	v_fma_f64 v[159:160], v[2:3], v[123:124], -v[159:160]
	v_fma_f64 v[123:124], v[4:5], v[123:124], v[155:156]
	ds_read_b128 v[2:5], v1 offset:1536
	v_add_f64 v[125:126], v[125:126], v[165:166]
	s_waitcnt vmcnt(37) lgkmcnt(1)
	v_mul_f64 v[155:156], v[117:118], v[127:128]
	v_add_f64 v[6:7], v[6:7], v[157:158]
	v_mul_f64 v[127:128], v[119:120], v[127:128]
	s_waitcnt vmcnt(36)
	v_fma_f64 v[157:158], v[113:114], v[186:187], -v[163:164]
	v_fma_f64 v[147:148], v[115:116], v[186:187], v[147:148]
	ds_read_b128 v[113:116], v1 offset:1552
	v_add_f64 v[125:126], v[125:126], v[159:160]
	v_add_f64 v[6:7], v[6:7], v[123:124]
	s_waitcnt vmcnt(35) lgkmcnt(1)
	v_mul_f64 v[159:160], v[4:5], v[188:189]
	v_mul_f64 v[123:124], v[2:3], v[188:189]
	s_waitcnt vmcnt(33)
	v_fma_f64 v[127:128], v[117:118], v[121:122], -v[127:128]
	v_fma_f64 v[121:122], v[119:120], v[121:122], v[155:156]
	ds_read_b128 v[117:120], v1 offset:1568
	v_add_f64 v[125:126], v[125:126], v[157:158]
	v_add_f64 v[6:7], v[6:7], v[147:148]
	s_waitcnt vmcnt(29) lgkmcnt(1)
	v_mul_f64 v[147:148], v[113:114], v[135:136]
	;; [unrolled: 9-line block ×6, first 2 shown]
	s_waitcnt vmcnt(12)
	v_fma_f64 v[131:132], v[113:114], v[190:191], -v[135:136]
	v_mul_f64 v[121:122], v[117:118], v[137:138]
	v_add_f64 v[125:126], v[125:126], v[129:130]
	v_fma_f64 v[129:130], v[115:116], v[190:191], v[133:134]
	v_add_f64 v[6:7], v[6:7], v[123:124]
	ds_read_b128 v[113:116], v1 offset:1648
	s_waitcnt vmcnt(11) lgkmcnt(1)
	v_mul_f64 v[133:134], v[4:5], v[149:150]
	v_mul_f64 v[123:124], v[2:3], v[149:150]
	s_waitcnt vmcnt(9)
	v_fma_f64 v[117:118], v[117:118], v[141:142], -v[127:128]
	v_fma_f64 v[119:120], v[119:120], v[141:142], v[121:122]
	v_add_f64 v[125:126], v[125:126], v[131:132]
	v_add_f64 v[6:7], v[6:7], v[129:130]
	s_waitcnt vmcnt(7) lgkmcnt(0)
	v_mul_f64 v[127:128], v[115:116], v[139:140]
	s_waitcnt vmcnt(6)
	v_fma_f64 v[1:2], v[2:3], v[153:154], -v[133:134]
	v_mul_f64 v[121:122], v[113:114], v[139:140]
	v_fma_f64 v[3:4], v[4:5], v[153:154], v[123:124]
	v_add_f64 v[117:118], v[125:126], v[117:118]
	v_add_f64 v[5:6], v[6:7], v[119:120]
	s_waitcnt vmcnt(4)
	v_fma_f64 v[7:8], v[113:114], v[143:144], -v[127:128]
	v_fma_f64 v[113:114], v[115:116], v[143:144], v[121:122]
	v_add_f64 v[1:2], v[117:118], v[1:2]
	v_add_f64 v[3:4], v[5:6], v[3:4]
	;; [unrolled: 1-line block ×4, first 2 shown]
	s_waitcnt vmcnt(2)
	v_add_f64 v[1:2], v[151:152], -v[1:2]
	s_waitcnt vmcnt(0)
	v_add_f64 v[3:4], v[161:162], -v[3:4]
	buffer_store_dword v2, off, s[0:3], 0 offset:420
	buffer_store_dword v1, off, s[0:3], 0 offset:416
	;; [unrolled: 1-line block ×4, first 2 shown]
	v_cmpx_lt_u32_e32 24, v0
	s_cbranch_execz .LBB115_277
; %bb.276:
	v_mov_b32_e32 v4, s40
	v_mov_b32_e32 v5, 0
	s_clause 0x3
	buffer_load_dword v1, v4, s[0:3], 0 offen
	buffer_load_dword v2, v4, s[0:3], 0 offen offset:4
	buffer_load_dword v3, v4, s[0:3], 0 offen offset:8
	;; [unrolled: 1-line block ×3, first 2 shown]
	buffer_store_dword v5, off, s[0:3], 0 offset:400
	buffer_store_dword v5, off, s[0:3], 0 offset:404
	;; [unrolled: 1-line block ×4, first 2 shown]
	s_waitcnt vmcnt(0)
	ds_write_b128 v173, v[1:4]
.LBB115_277:
	s_or_b32 exec_lo, exec_lo, s4
	s_waitcnt lgkmcnt(0)
	s_waitcnt_vscnt null, 0x0
	s_barrier
	buffer_gl0_inv
	s_clause 0x37
	buffer_load_dword v6, off, s[0:3], 0 offset:424
	buffer_load_dword v7, off, s[0:3], 0 offset:428
	;; [unrolled: 1-line block ×56, first 2 shown]
	v_mov_b32_e32 v1, 0
	s_mov_b32 s4, exec_lo
	ds_read_b128 v[2:5], v1 offset:1232
	s_clause 0x2
	buffer_load_dword v175, off, s[0:3], 0 offset:652
	buffer_load_dword v179, off, s[0:3], 0 offset:628
	;; [unrolled: 1-line block ×3, first 2 shown]
	ds_read_b128 v[113:116], v1 offset:1248
	s_clause 0x4
	buffer_load_dword v183, off, s[0:3], 0 offset:668
	buffer_load_dword v184, off, s[0:3], 0 offset:680
	;; [unrolled: 1-line block ×5, first 2 shown]
	ds_read_b128 v[117:120], v1 offset:1264
	s_waitcnt vmcnt(62) lgkmcnt(2)
	v_mul_f64 v[180:181], v[4:5], v[6:7]
	v_mul_f64 v[6:7], v[2:3], v[6:7]
	s_waitcnt vmcnt(60) lgkmcnt(1)
	v_mul_f64 v[187:188], v[115:116], v[121:122]
	v_mul_f64 v[121:122], v[113:114], v[121:122]
	;; [unrolled: 3-line block ×3, first 2 shown]
	v_fma_f64 v[180:181], v[2:3], v[123:124], -v[180:181]
	v_fma_f64 v[6:7], v[4:5], v[123:124], v[6:7]
	s_clause 0x2
	buffer_load_dword v185, off, s[0:3], 0 offset:684
	buffer_load_dword v124, off, s[0:3], 0 offset:660
	;; [unrolled: 1-line block ×3, first 2 shown]
	s_waitcnt vmcnt(57)
	v_fma_f64 v[191:192], v[113:114], v[127:128], -v[187:188]
	ds_read_b128 v[2:5], v1 offset:1280
	v_fma_f64 v[121:122], v[115:116], v[127:128], v[121:122]
	s_clause 0x4
	buffer_load_dword v128, off, s[0:3], 0 offset:700
	buffer_load_dword v188, off, s[0:3], 0 offset:712
	buffer_load_dword v193, off, s[0:3], 0 offset:704
	buffer_load_dword v127, off, s[0:3], 0 offset:696
	buffer_load_dword v187, off, s[0:3], 0 offset:676
	s_waitcnt vmcnt(56)
	v_fma_f64 v[125:126], v[117:118], v[135:136], -v[125:126]
	ds_read_b128 v[113:116], v1 offset:1296
	v_fma_f64 v[135:136], v[119:120], v[135:136], v[189:190]
	v_add_f64 v[180:181], v[180:181], 0
	v_add_f64 v[6:7], v[6:7], 0
	s_waitcnt lgkmcnt(1)
	v_mul_f64 v[194:195], v[2:3], v[129:130]
	v_mul_f64 v[129:130], v[4:5], v[129:130]
	v_add_f64 v[180:181], v[180:181], v[191:192]
	v_add_f64 v[6:7], v[6:7], v[121:122]
	s_clause 0x2
	buffer_load_dword v189, off, s[0:3], 0 offset:716
	buffer_load_dword v122, off, s[0:3], 0 offset:692
	;; [unrolled: 1-line block ×3, first 2 shown]
	s_waitcnt vmcnt(58) lgkmcnt(0)
	v_mul_f64 v[190:191], v[113:114], v[131:132]
	v_mul_f64 v[131:132], v[115:116], v[131:132]
	s_waitcnt vmcnt(56)
	v_fma_f64 v[129:130], v[2:3], v[137:138], -v[129:130]
	ds_read_b128 v[117:120], v1 offset:1312
	v_fma_f64 v[137:138], v[4:5], v[137:138], v[194:195]
	v_add_f64 v[125:126], v[180:181], v[125:126]
	v_add_f64 v[6:7], v[6:7], v[135:136]
	s_clause 0x4
	buffer_load_dword v136, off, s[0:3], 0 offset:732
	buffer_load_dword v180, off, s[0:3], 0 offset:744
	;; [unrolled: 1-line block ×5, first 2 shown]
	ds_read_b128 v[2:5], v1 offset:1328
	s_waitcnt vmcnt(57) lgkmcnt(1)
	v_mul_f64 v[196:197], v[117:118], v[139:140]
	v_mul_f64 v[139:140], v[119:120], v[139:140]
	s_waitcnt vmcnt(56)
	v_fma_f64 v[131:132], v[113:114], v[133:134], -v[131:132]
	v_add_f64 v[125:126], v[125:126], v[129:130]
	v_fma_f64 v[129:130], v[115:116], v[133:134], v[190:191]
	v_add_f64 v[6:7], v[6:7], v[137:138]
	s_clause 0x2
	buffer_load_dword v181, off, s[0:3], 0 offset:748
	buffer_load_dword v134, off, s[0:3], 0 offset:724
	;; [unrolled: 1-line block ×3, first 2 shown]
	s_waitcnt vmcnt(58) lgkmcnt(0)
	v_mul_f64 v[137:138], v[2:3], v[141:142]
	v_mul_f64 v[141:142], v[4:5], v[141:142]
	s_waitcnt vmcnt(56)
	v_fma_f64 v[139:140], v[117:118], v[145:146], -v[139:140]
	ds_read_b128 v[113:116], v1 offset:1344
	v_add_f64 v[125:126], v[125:126], v[131:132]
	v_fma_f64 v[131:132], v[119:120], v[145:146], v[196:197]
	v_add_f64 v[6:7], v[6:7], v[129:130]
	s_clause 0x4
	buffer_load_dword v130, off, s[0:3], 0 offset:764
	buffer_load_dword v145, off, s[0:3], 0 offset:776
	;; [unrolled: 1-line block ×5, first 2 shown]
	ds_read_b128 v[117:120], v1 offset:1360
	s_waitcnt vmcnt(57) lgkmcnt(1)
	v_mul_f64 v[191:192], v[113:114], v[147:148]
	v_mul_f64 v[147:148], v[115:116], v[147:148]
	s_waitcnt vmcnt(56)
	v_fma_f64 v[141:142], v[2:3], v[143:144], -v[141:142]
	v_fma_f64 v[137:138], v[4:5], v[143:144], v[137:138]
	v_add_f64 v[125:126], v[125:126], v[139:140]
	v_add_f64 v[6:7], v[6:7], v[131:132]
	s_clause 0x2
	buffer_load_dword v146, off, s[0:3], 0 offset:780
	buffer_load_dword v132, off, s[0:3], 0 offset:756
	;; [unrolled: 1-line block ×3, first 2 shown]
	s_waitcnt vmcnt(58) lgkmcnt(0)
	v_mul_f64 v[143:144], v[119:120], v[149:150]
	ds_read_b128 v[2:5], v1 offset:1376
	s_waitcnt vmcnt(56)
	v_fma_f64 v[147:148], v[113:114], v[153:154], -v[147:148]
	v_mul_f64 v[139:140], v[117:118], v[149:150]
	v_add_f64 v[125:126], v[125:126], v[141:142]
	v_fma_f64 v[141:142], v[115:116], v[153:154], v[191:192]
	v_add_f64 v[6:7], v[6:7], v[137:138]
	s_clause 0x4
	buffer_load_dword v138, off, s[0:3], 0 offset:796
	buffer_load_dword v149, off, s[0:3], 0 offset:808
	buffer_load_dword v153, off, s[0:3], 0 offset:800
	buffer_load_dword v137, off, s[0:3], 0 offset:792
	buffer_load_dword v191, off, s[0:3], 0 offset:772
	s_waitcnt vmcnt(57) lgkmcnt(0)
	v_mul_f64 v[197:198], v[2:3], v[155:156]
	v_mul_f64 v[154:155], v[4:5], v[155:156]
	s_waitcnt vmcnt(56)
	v_fma_f64 v[143:144], v[117:118], v[151:152], -v[143:144]
	ds_read_b128 v[113:116], v1 offset:1392
	v_fma_f64 v[139:140], v[119:120], v[151:152], v[139:140]
	v_add_f64 v[125:126], v[125:126], v[147:148]
	v_add_f64 v[6:7], v[6:7], v[141:142]
	s_clause 0x2
	buffer_load_dword v150, off, s[0:3], 0 offset:812
	buffer_load_dword v142, off, s[0:3], 0 offset:788
	;; [unrolled: 1-line block ×3, first 2 shown]
	ds_read_b128 v[117:120], v1 offset:1408
	s_waitcnt vmcnt(58) lgkmcnt(1)
	v_mul_f64 v[151:152], v[115:116], v[157:158]
	s_waitcnt vmcnt(56)
	v_fma_f64 v[155:156], v[2:3], v[161:162], -v[154:155]
	v_mul_f64 v[147:148], v[113:114], v[157:158]
	v_add_f64 v[125:126], v[125:126], v[143:144]
	v_fma_f64 v[143:144], v[4:5], v[161:162], v[197:198]
	v_add_f64 v[6:7], v[6:7], v[139:140]
	s_clause 0x4
	buffer_load_dword v140, off, s[0:3], 0 offset:828
	buffer_load_dword v157, off, s[0:3], 0 offset:840
	;; [unrolled: 1-line block ×5, first 2 shown]
	s_waitcnt vmcnt(57) lgkmcnt(0)
	v_mul_f64 v[197:198], v[117:118], v[163:164]
	v_mul_f64 v[162:163], v[119:120], v[163:164]
	s_waitcnt vmcnt(56)
	v_fma_f64 v[151:152], v[113:114], v[159:160], -v[151:152]
	ds_read_b128 v[2:5], v1 offset:1424
	v_fma_f64 v[147:148], v[115:116], v[159:160], v[147:148]
	v_add_f64 v[125:126], v[125:126], v[155:156]
	v_add_f64 v[6:7], v[6:7], v[143:144]
	s_clause 0x2
	buffer_load_dword v158, off, s[0:3], 0 offset:844
	buffer_load_dword v144, off, s[0:3], 0 offset:820
	;; [unrolled: 1-line block ×3, first 2 shown]
	ds_read_b128 v[113:116], v1 offset:1440
	s_waitcnt vmcnt(58) lgkmcnt(1)
	v_mul_f64 v[159:160], v[4:5], v[165:166]
	s_waitcnt vmcnt(56)
	v_fma_f64 v[163:164], v[117:118], v[169:170], -v[162:163]
	v_mul_f64 v[155:156], v[2:3], v[165:166]
	buffer_load_dword v162, off, s[0:3], 0 offset:836
	v_add_f64 v[125:126], v[125:126], v[151:152]
	v_fma_f64 v[151:152], v[119:120], v[169:170], v[197:198]
	v_add_f64 v[6:7], v[6:7], v[147:148]
	ds_read_b128 v[117:120], v1 offset:1456
	s_waitcnt vmcnt(53) lgkmcnt(1)
	v_mul_f64 v[165:166], v[115:116], v[171:172]
	s_waitcnt vmcnt(52)
	v_fma_f64 v[159:160], v[2:3], v[167:168], -v[159:160]
	v_mul_f64 v[147:148], v[113:114], v[171:172]
	v_fma_f64 v[155:156], v[4:5], v[167:168], v[155:156]
	ds_read_b128 v[2:5], v1 offset:1472
	v_add_f64 v[125:126], v[125:126], v[163:164]
	s_waitcnt vmcnt(51) lgkmcnt(1)
	v_mul_f64 v[163:164], v[119:120], v[174:175]
	v_add_f64 v[6:7], v[6:7], v[151:152]
	v_mul_f64 v[151:152], v[117:118], v[174:175]
	s_waitcnt vmcnt(49)
	v_fma_f64 v[165:166], v[113:114], v[178:179], -v[165:166]
	v_fma_f64 v[147:148], v[115:116], v[178:179], v[147:148]
	s_waitcnt vmcnt(45) lgkmcnt(0)
	v_mul_f64 v[169:170], v[4:5], v[182:183]
	v_mul_f64 v[167:168], v[2:3], v[182:183]
	v_add_f64 v[125:126], v[125:126], v[159:160]
	s_waitcnt vmcnt(44)
	v_fma_f64 v[163:164], v[117:118], v[176:177], -v[163:164]
	v_add_f64 v[6:7], v[6:7], v[155:156]
	s_clause 0x3
	buffer_load_dword v155, off, s[0:3], 0 offset:400
	buffer_load_dword v156, off, s[0:3], 0 offset:404
	;; [unrolled: 1-line block ×4, first 2 shown]
	ds_read_b128 v[113:116], v1 offset:1488
	v_fma_f64 v[151:152], v[119:120], v[176:177], v[151:152]
	ds_read_b128 v[117:120], v1 offset:1504
	v_add_f64 v[125:126], v[125:126], v[165:166]
	v_add_f64 v[6:7], v[6:7], v[147:148]
	s_waitcnt vmcnt(47) lgkmcnt(1)
	v_mul_f64 v[165:166], v[115:116], v[184:185]
	v_mul_f64 v[147:148], v[113:114], v[184:185]
	s_waitcnt vmcnt(45)
	v_fma_f64 v[169:170], v[2:3], v[123:124], -v[169:170]
	v_fma_f64 v[123:124], v[4:5], v[123:124], v[167:168]
	ds_read_b128 v[2:5], v1 offset:1520
	v_add_f64 v[125:126], v[125:126], v[163:164]
	v_add_f64 v[6:7], v[6:7], v[151:152]
	s_waitcnt vmcnt(41) lgkmcnt(1)
	v_mul_f64 v[151:152], v[117:118], v[127:128]
	v_mul_f64 v[127:128], v[119:120], v[127:128]
	s_waitcnt vmcnt(40)
	v_fma_f64 v[163:164], v[113:114], v[186:187], -v[165:166]
	;; [unrolled: 9-line block ×7, first 2 shown]
	v_fma_f64 v[123:124], v[4:5], v[131:132], v[123:124]
	ds_read_b128 v[2:5], v1 offset:1616
	v_add_f64 v[125:126], v[125:126], v[127:128]
	v_add_f64 v[6:7], v[6:7], v[121:122]
	s_waitcnt vmcnt(17) lgkmcnt(1)
	v_mul_f64 v[127:128], v[119:120], v[137:138]
	s_waitcnt vmcnt(16)
	v_fma_f64 v[131:132], v[113:114], v[190:191], -v[135:136]
	v_mul_f64 v[121:122], v[117:118], v[137:138]
	v_add_f64 v[125:126], v[125:126], v[129:130]
	v_fma_f64 v[129:130], v[115:116], v[190:191], v[133:134]
	v_add_f64 v[6:7], v[6:7], v[123:124]
	ds_read_b128 v[113:116], v1 offset:1632
	s_waitcnt vmcnt(15) lgkmcnt(1)
	v_mul_f64 v[133:134], v[4:5], v[149:150]
	v_mul_f64 v[123:124], v[2:3], v[149:150]
	s_waitcnt vmcnt(13)
	v_fma_f64 v[127:128], v[117:118], v[141:142], -v[127:128]
	v_fma_f64 v[121:122], v[119:120], v[141:142], v[121:122]
	ds_read_b128 v[117:120], v1 offset:1648
	v_add_f64 v[125:126], v[125:126], v[131:132]
	v_add_f64 v[6:7], v[6:7], v[129:130]
	s_waitcnt vmcnt(9) lgkmcnt(1)
	v_mul_f64 v[131:132], v[115:116], v[139:140]
	s_waitcnt vmcnt(8)
	v_fma_f64 v[2:3], v[2:3], v[153:154], -v[133:134]
	v_mul_f64 v[129:130], v[113:114], v[139:140]
	v_fma_f64 v[4:5], v[4:5], v[153:154], v[123:124]
	v_add_f64 v[125:126], v[125:126], v[127:128]
	v_add_f64 v[6:7], v[6:7], v[121:122]
	s_waitcnt vmcnt(7) lgkmcnt(0)
	v_mul_f64 v[123:124], v[119:120], v[157:158]
	v_mul_f64 v[121:122], v[117:118], v[157:158]
	s_waitcnt vmcnt(5)
	v_fma_f64 v[113:114], v[113:114], v[143:144], -v[131:132]
	v_fma_f64 v[115:116], v[115:116], v[143:144], v[129:130]
	v_add_f64 v[2:3], v[125:126], v[2:3]
	v_add_f64 v[4:5], v[6:7], v[4:5]
	s_waitcnt vmcnt(4)
	v_fma_f64 v[6:7], v[117:118], v[161:162], -v[123:124]
	v_add_f64 v[2:3], v[2:3], v[113:114]
	v_fma_f64 v[113:114], v[119:120], v[161:162], v[121:122]
	v_add_f64 v[4:5], v[4:5], v[115:116]
	v_add_f64 v[2:3], v[2:3], v[6:7]
	;; [unrolled: 1-line block ×3, first 2 shown]
	s_waitcnt vmcnt(2)
	v_add_f64 v[2:3], v[155:156], -v[2:3]
	s_waitcnt vmcnt(0)
	v_add_f64 v[4:5], v[159:160], -v[4:5]
	buffer_store_dword v3, off, s[0:3], 0 offset:404
	buffer_store_dword v2, off, s[0:3], 0 offset:400
	buffer_store_dword v5, off, s[0:3], 0 offset:412
	buffer_store_dword v4, off, s[0:3], 0 offset:408
	v_cmpx_lt_u32_e32 23, v0
	s_cbranch_execz .LBB115_279
; %bb.278:
	v_mov_b32_e32 v5, s41
	s_clause 0x3
	buffer_load_dword v2, v5, s[0:3], 0 offen
	buffer_load_dword v3, v5, s[0:3], 0 offen offset:4
	buffer_load_dword v4, v5, s[0:3], 0 offen offset:8
	;; [unrolled: 1-line block ×3, first 2 shown]
	buffer_store_dword v1, off, s[0:3], 0 offset:384
	buffer_store_dword v1, off, s[0:3], 0 offset:388
	;; [unrolled: 1-line block ×4, first 2 shown]
	s_waitcnt vmcnt(0)
	ds_write_b128 v173, v[2:5]
.LBB115_279:
	s_or_b32 exec_lo, exec_lo, s4
	s_waitcnt lgkmcnt(0)
	s_waitcnt_vscnt null, 0x0
	s_barrier
	buffer_gl0_inv
	s_clause 0x37
	buffer_load_dword v6, off, s[0:3], 0 offset:408
	buffer_load_dword v7, off, s[0:3], 0 offset:412
	;; [unrolled: 1-line block ×56, first 2 shown]
	ds_read_b128 v[2:5], v1 offset:1216
	s_clause 0x2
	buffer_load_dword v175, off, s[0:3], 0 offset:636
	buffer_load_dword v179, off, s[0:3], 0 offset:612
	;; [unrolled: 1-line block ×3, first 2 shown]
	ds_read_b128 v[113:116], v1 offset:1232
	s_clause 0x4
	buffer_load_dword v183, off, s[0:3], 0 offset:652
	buffer_load_dword v184, off, s[0:3], 0 offset:664
	;; [unrolled: 1-line block ×5, first 2 shown]
	ds_read_b128 v[117:120], v1 offset:1248
	s_mov_b32 s4, exec_lo
	s_waitcnt vmcnt(62) lgkmcnt(2)
	v_mul_f64 v[180:181], v[4:5], v[6:7]
	v_mul_f64 v[6:7], v[2:3], v[6:7]
	s_waitcnt vmcnt(60) lgkmcnt(1)
	v_mul_f64 v[187:188], v[115:116], v[121:122]
	v_mul_f64 v[121:122], v[113:114], v[121:122]
	;; [unrolled: 3-line block ×3, first 2 shown]
	v_fma_f64 v[180:181], v[2:3], v[123:124], -v[180:181]
	v_fma_f64 v[6:7], v[4:5], v[123:124], v[6:7]
	s_clause 0x2
	buffer_load_dword v185, off, s[0:3], 0 offset:668
	buffer_load_dword v124, off, s[0:3], 0 offset:644
	;; [unrolled: 1-line block ×3, first 2 shown]
	s_waitcnt vmcnt(57)
	v_fma_f64 v[191:192], v[113:114], v[127:128], -v[187:188]
	ds_read_b128 v[2:5], v1 offset:1264
	v_fma_f64 v[121:122], v[115:116], v[127:128], v[121:122]
	s_clause 0x4
	buffer_load_dword v128, off, s[0:3], 0 offset:684
	buffer_load_dword v188, off, s[0:3], 0 offset:696
	;; [unrolled: 1-line block ×5, first 2 shown]
	s_waitcnt vmcnt(56)
	v_fma_f64 v[125:126], v[117:118], v[135:136], -v[125:126]
	ds_read_b128 v[113:116], v1 offset:1280
	v_fma_f64 v[135:136], v[119:120], v[135:136], v[189:190]
	v_add_f64 v[180:181], v[180:181], 0
	v_add_f64 v[6:7], v[6:7], 0
	s_waitcnt lgkmcnt(1)
	v_mul_f64 v[194:195], v[2:3], v[129:130]
	v_mul_f64 v[129:130], v[4:5], v[129:130]
	v_add_f64 v[180:181], v[180:181], v[191:192]
	v_add_f64 v[6:7], v[6:7], v[121:122]
	s_clause 0x2
	buffer_load_dword v189, off, s[0:3], 0 offset:700
	buffer_load_dword v122, off, s[0:3], 0 offset:676
	;; [unrolled: 1-line block ×3, first 2 shown]
	s_waitcnt vmcnt(58) lgkmcnt(0)
	v_mul_f64 v[190:191], v[113:114], v[131:132]
	v_mul_f64 v[131:132], v[115:116], v[131:132]
	s_waitcnt vmcnt(56)
	v_fma_f64 v[129:130], v[2:3], v[137:138], -v[129:130]
	ds_read_b128 v[117:120], v1 offset:1296
	v_fma_f64 v[137:138], v[4:5], v[137:138], v[194:195]
	v_add_f64 v[125:126], v[180:181], v[125:126]
	v_add_f64 v[6:7], v[6:7], v[135:136]
	s_clause 0x4
	buffer_load_dword v136, off, s[0:3], 0 offset:716
	buffer_load_dword v180, off, s[0:3], 0 offset:728
	;; [unrolled: 1-line block ×5, first 2 shown]
	ds_read_b128 v[2:5], v1 offset:1312
	s_waitcnt vmcnt(57) lgkmcnt(1)
	v_mul_f64 v[196:197], v[117:118], v[139:140]
	v_mul_f64 v[139:140], v[119:120], v[139:140]
	s_waitcnt vmcnt(56)
	v_fma_f64 v[131:132], v[113:114], v[133:134], -v[131:132]
	v_add_f64 v[125:126], v[125:126], v[129:130]
	v_fma_f64 v[129:130], v[115:116], v[133:134], v[190:191]
	v_add_f64 v[6:7], v[6:7], v[137:138]
	s_clause 0x2
	buffer_load_dword v181, off, s[0:3], 0 offset:732
	buffer_load_dword v134, off, s[0:3], 0 offset:708
	buffer_load_dword v133, off, s[0:3], 0 offset:704
	s_waitcnt vmcnt(58) lgkmcnt(0)
	v_mul_f64 v[137:138], v[2:3], v[141:142]
	v_mul_f64 v[141:142], v[4:5], v[141:142]
	s_waitcnt vmcnt(56)
	v_fma_f64 v[139:140], v[117:118], v[145:146], -v[139:140]
	ds_read_b128 v[113:116], v1 offset:1328
	v_add_f64 v[125:126], v[125:126], v[131:132]
	v_fma_f64 v[131:132], v[119:120], v[145:146], v[196:197]
	v_add_f64 v[6:7], v[6:7], v[129:130]
	s_clause 0x4
	buffer_load_dword v130, off, s[0:3], 0 offset:748
	buffer_load_dword v145, off, s[0:3], 0 offset:760
	;; [unrolled: 1-line block ×5, first 2 shown]
	ds_read_b128 v[117:120], v1 offset:1344
	s_waitcnt vmcnt(57) lgkmcnt(1)
	v_mul_f64 v[191:192], v[113:114], v[147:148]
	v_mul_f64 v[147:148], v[115:116], v[147:148]
	s_waitcnt vmcnt(56)
	v_fma_f64 v[141:142], v[2:3], v[143:144], -v[141:142]
	v_fma_f64 v[137:138], v[4:5], v[143:144], v[137:138]
	v_add_f64 v[125:126], v[125:126], v[139:140]
	v_add_f64 v[6:7], v[6:7], v[131:132]
	s_clause 0x2
	buffer_load_dword v146, off, s[0:3], 0 offset:764
	buffer_load_dword v132, off, s[0:3], 0 offset:740
	;; [unrolled: 1-line block ×3, first 2 shown]
	s_waitcnt vmcnt(58) lgkmcnt(0)
	v_mul_f64 v[143:144], v[119:120], v[149:150]
	ds_read_b128 v[2:5], v1 offset:1360
	s_waitcnt vmcnt(56)
	v_fma_f64 v[147:148], v[113:114], v[153:154], -v[147:148]
	v_mul_f64 v[139:140], v[117:118], v[149:150]
	v_add_f64 v[125:126], v[125:126], v[141:142]
	v_fma_f64 v[141:142], v[115:116], v[153:154], v[191:192]
	v_add_f64 v[6:7], v[6:7], v[137:138]
	s_clause 0x4
	buffer_load_dword v138, off, s[0:3], 0 offset:780
	buffer_load_dword v149, off, s[0:3], 0 offset:792
	;; [unrolled: 1-line block ×5, first 2 shown]
	s_waitcnt vmcnt(57) lgkmcnt(0)
	v_mul_f64 v[197:198], v[2:3], v[155:156]
	v_mul_f64 v[154:155], v[4:5], v[155:156]
	s_waitcnt vmcnt(56)
	v_fma_f64 v[143:144], v[117:118], v[151:152], -v[143:144]
	ds_read_b128 v[113:116], v1 offset:1376
	v_fma_f64 v[139:140], v[119:120], v[151:152], v[139:140]
	v_add_f64 v[125:126], v[125:126], v[147:148]
	v_add_f64 v[6:7], v[6:7], v[141:142]
	s_clause 0x2
	buffer_load_dword v150, off, s[0:3], 0 offset:796
	buffer_load_dword v142, off, s[0:3], 0 offset:772
	;; [unrolled: 1-line block ×3, first 2 shown]
	ds_read_b128 v[117:120], v1 offset:1392
	s_waitcnt vmcnt(58) lgkmcnt(1)
	v_mul_f64 v[151:152], v[115:116], v[157:158]
	s_waitcnt vmcnt(56)
	v_fma_f64 v[155:156], v[2:3], v[161:162], -v[154:155]
	v_mul_f64 v[147:148], v[113:114], v[157:158]
	v_add_f64 v[125:126], v[125:126], v[143:144]
	v_fma_f64 v[143:144], v[4:5], v[161:162], v[197:198]
	v_add_f64 v[6:7], v[6:7], v[139:140]
	s_clause 0x4
	buffer_load_dword v140, off, s[0:3], 0 offset:812
	buffer_load_dword v157, off, s[0:3], 0 offset:824
	;; [unrolled: 1-line block ×5, first 2 shown]
	s_waitcnt vmcnt(57) lgkmcnt(0)
	v_mul_f64 v[197:198], v[117:118], v[163:164]
	v_mul_f64 v[162:163], v[119:120], v[163:164]
	s_waitcnt vmcnt(56)
	v_fma_f64 v[151:152], v[113:114], v[159:160], -v[151:152]
	ds_read_b128 v[2:5], v1 offset:1408
	v_fma_f64 v[147:148], v[115:116], v[159:160], v[147:148]
	v_add_f64 v[125:126], v[125:126], v[155:156]
	v_add_f64 v[6:7], v[6:7], v[143:144]
	s_clause 0x2
	buffer_load_dword v158, off, s[0:3], 0 offset:828
	buffer_load_dword v144, off, s[0:3], 0 offset:804
	;; [unrolled: 1-line block ×3, first 2 shown]
	ds_read_b128 v[113:116], v1 offset:1424
	s_waitcnt vmcnt(58) lgkmcnt(1)
	v_mul_f64 v[159:160], v[4:5], v[165:166]
	s_waitcnt vmcnt(56)
	v_fma_f64 v[163:164], v[117:118], v[169:170], -v[162:163]
	v_mul_f64 v[155:156], v[2:3], v[165:166]
	v_add_f64 v[125:126], v[125:126], v[151:152]
	v_fma_f64 v[151:152], v[119:120], v[169:170], v[197:198]
	v_add_f64 v[6:7], v[6:7], v[147:148]
	s_clause 0x2
	buffer_load_dword v148, off, s[0:3], 0 offset:844
	buffer_load_dword v147, off, s[0:3], 0 offset:840
	;; [unrolled: 1-line block ×3, first 2 shown]
	s_waitcnt vmcnt(55) lgkmcnt(0)
	v_mul_f64 v[169:170], v[115:116], v[171:172]
	s_waitcnt vmcnt(54)
	v_fma_f64 v[159:160], v[2:3], v[167:168], -v[159:160]
	ds_read_b128 v[117:120], v1 offset:1440
	v_mul_f64 v[165:166], v[113:114], v[171:172]
	v_fma_f64 v[155:156], v[4:5], v[167:168], v[155:156]
	v_add_f64 v[125:126], v[125:126], v[163:164]
	v_add_f64 v[6:7], v[6:7], v[151:152]
	s_clause 0x1
	buffer_load_dword v152, off, s[0:3], 0 offset:836
	buffer_load_dword v151, off, s[0:3], 0 offset:832
	s_waitcnt vmcnt(55) lgkmcnt(0)
	v_mul_f64 v[167:168], v[119:120], v[174:175]
	s_waitcnt vmcnt(53)
	v_fma_f64 v[169:170], v[113:114], v[178:179], -v[169:170]
	ds_read_b128 v[2:5], v1 offset:1456
	v_mul_f64 v[163:164], v[117:118], v[174:175]
	v_add_f64 v[125:126], v[125:126], v[159:160]
	v_fma_f64 v[159:160], v[115:116], v[178:179], v[165:166]
	v_add_f64 v[6:7], v[6:7], v[155:156]
	ds_read_b128 v[113:116], v1 offset:1472
	s_waitcnt vmcnt(49) lgkmcnt(1)
	v_mul_f64 v[165:166], v[4:5], v[182:183]
	s_waitcnt vmcnt(48)
	v_fma_f64 v[167:168], v[117:118], v[176:177], -v[167:168]
	v_mul_f64 v[155:156], v[2:3], v[182:183]
	v_fma_f64 v[163:164], v[119:120], v[176:177], v[163:164]
	v_add_f64 v[125:126], v[125:126], v[169:170]
	v_add_f64 v[6:7], v[6:7], v[159:160]
	s_clause 0x3
	buffer_load_dword v159, off, s[0:3], 0 offset:384
	buffer_load_dword v160, off, s[0:3], 0 offset:388
	buffer_load_dword v169, off, s[0:3], 0 offset:392
	buffer_load_dword v170, off, s[0:3], 0 offset:396
	ds_read_b128 v[117:120], v1 offset:1488
	s_waitcnt vmcnt(51) lgkmcnt(1)
	v_mul_f64 v[174:175], v[115:116], v[184:185]
	v_mul_f64 v[171:172], v[113:114], v[184:185]
	s_waitcnt vmcnt(49)
	v_fma_f64 v[165:166], v[2:3], v[123:124], -v[165:166]
	v_fma_f64 v[123:124], v[4:5], v[123:124], v[155:156]
	ds_read_b128 v[2:5], v1 offset:1504
	v_add_f64 v[125:126], v[125:126], v[167:168]
	v_add_f64 v[6:7], v[6:7], v[163:164]
	s_waitcnt vmcnt(45) lgkmcnt(1)
	v_mul_f64 v[155:156], v[117:118], v[127:128]
	v_mul_f64 v[127:128], v[119:120], v[127:128]
	s_waitcnt vmcnt(44)
	v_fma_f64 v[163:164], v[113:114], v[186:187], -v[174:175]
	v_add_f64 v[125:126], v[125:126], v[165:166]
	v_fma_f64 v[165:166], v[115:116], v[186:187], v[171:172]
	v_add_f64 v[6:7], v[6:7], v[123:124]
	ds_read_b128 v[113:116], v1 offset:1520
	s_waitcnt vmcnt(43) lgkmcnt(1)
	v_mul_f64 v[167:168], v[4:5], v[188:189]
	v_mul_f64 v[123:124], v[2:3], v[188:189]
	s_waitcnt vmcnt(41)
	v_fma_f64 v[127:128], v[117:118], v[121:122], -v[127:128]
	v_fma_f64 v[121:122], v[119:120], v[121:122], v[155:156]
	ds_read_b128 v[117:120], v1 offset:1536
	v_add_f64 v[125:126], v[125:126], v[163:164]
	v_add_f64 v[6:7], v[6:7], v[165:166]
	s_waitcnt vmcnt(37) lgkmcnt(1)
	v_mul_f64 v[155:156], v[113:114], v[135:136]
	v_mul_f64 v[135:136], v[115:116], v[135:136]
	s_waitcnt vmcnt(36)
	v_fma_f64 v[163:164], v[2:3], v[193:194], -v[167:168]
	v_fma_f64 v[123:124], v[4:5], v[193:194], v[123:124]
	ds_read_b128 v[2:5], v1 offset:1552
	v_add_f64 v[125:126], v[125:126], v[127:128]
	v_add_f64 v[6:7], v[6:7], v[121:122]
	;; [unrolled: 9-line block ×5, first 2 shown]
	s_waitcnt vmcnt(21) lgkmcnt(1)
	v_mul_f64 v[127:128], v[119:120], v[137:138]
	s_waitcnt vmcnt(20)
	v_fma_f64 v[131:132], v[113:114], v[190:191], -v[135:136]
	v_mul_f64 v[121:122], v[117:118], v[137:138]
	v_add_f64 v[125:126], v[125:126], v[129:130]
	v_fma_f64 v[129:130], v[115:116], v[190:191], v[133:134]
	v_add_f64 v[6:7], v[6:7], v[123:124]
	ds_read_b128 v[113:116], v1 offset:1616
	s_waitcnt vmcnt(19) lgkmcnt(1)
	v_mul_f64 v[133:134], v[4:5], v[149:150]
	v_mul_f64 v[123:124], v[2:3], v[149:150]
	s_waitcnt vmcnt(17)
	v_fma_f64 v[127:128], v[117:118], v[141:142], -v[127:128]
	v_fma_f64 v[121:122], v[119:120], v[141:142], v[121:122]
	ds_read_b128 v[117:120], v1 offset:1632
	v_add_f64 v[125:126], v[125:126], v[131:132]
	v_add_f64 v[6:7], v[6:7], v[129:130]
	s_waitcnt vmcnt(13) lgkmcnt(1)
	v_mul_f64 v[131:132], v[115:116], v[139:140]
	s_waitcnt vmcnt(12)
	v_fma_f64 v[133:134], v[2:3], v[153:154], -v[133:134]
	v_mul_f64 v[129:130], v[113:114], v[139:140]
	v_fma_f64 v[123:124], v[4:5], v[153:154], v[123:124]
	ds_read_b128 v[1:4], v1 offset:1648
	v_add_f64 v[125:126], v[125:126], v[127:128]
	v_add_f64 v[5:6], v[6:7], v[121:122]
	s_waitcnt vmcnt(11) lgkmcnt(1)
	v_mul_f64 v[121:122], v[119:120], v[157:158]
	v_mul_f64 v[7:8], v[117:118], v[157:158]
	s_waitcnt vmcnt(9)
	v_fma_f64 v[113:114], v[113:114], v[143:144], -v[131:132]
	v_fma_f64 v[115:116], v[115:116], v[143:144], v[129:130]
	v_add_f64 v[125:126], v[125:126], v[133:134]
	v_add_f64 v[5:6], v[5:6], v[123:124]
	s_waitcnt vmcnt(7) lgkmcnt(0)
	v_mul_f64 v[127:128], v[3:4], v[147:148]
	s_waitcnt vmcnt(6)
	v_fma_f64 v[117:118], v[117:118], v[161:162], -v[121:122]
	v_mul_f64 v[123:124], v[1:2], v[147:148]
	v_fma_f64 v[7:8], v[119:120], v[161:162], v[7:8]
	v_add_f64 v[113:114], v[125:126], v[113:114]
	v_add_f64 v[5:6], v[5:6], v[115:116]
	s_waitcnt vmcnt(4)
	v_fma_f64 v[1:2], v[1:2], v[151:152], -v[127:128]
	v_fma_f64 v[3:4], v[3:4], v[151:152], v[123:124]
	v_add_f64 v[113:114], v[113:114], v[117:118]
	v_add_f64 v[5:6], v[5:6], v[7:8]
	;; [unrolled: 1-line block ×4, first 2 shown]
	s_waitcnt vmcnt(2)
	v_add_f64 v[1:2], v[159:160], -v[1:2]
	s_waitcnt vmcnt(0)
	v_add_f64 v[3:4], v[169:170], -v[3:4]
	buffer_store_dword v2, off, s[0:3], 0 offset:388
	buffer_store_dword v1, off, s[0:3], 0 offset:384
	;; [unrolled: 1-line block ×4, first 2 shown]
	v_cmpx_lt_u32_e32 22, v0
	s_cbranch_execz .LBB115_281
; %bb.280:
	v_mov_b32_e32 v4, s42
	v_mov_b32_e32 v5, 0
	s_clause 0x3
	buffer_load_dword v1, v4, s[0:3], 0 offen
	buffer_load_dword v2, v4, s[0:3], 0 offen offset:4
	buffer_load_dword v3, v4, s[0:3], 0 offen offset:8
	;; [unrolled: 1-line block ×3, first 2 shown]
	buffer_store_dword v5, off, s[0:3], 0 offset:368
	buffer_store_dword v5, off, s[0:3], 0 offset:372
	;; [unrolled: 1-line block ×4, first 2 shown]
	s_waitcnt vmcnt(0)
	ds_write_b128 v173, v[1:4]
.LBB115_281:
	s_or_b32 exec_lo, exec_lo, s4
	s_waitcnt lgkmcnt(0)
	s_waitcnt_vscnt null, 0x0
	s_barrier
	buffer_gl0_inv
	s_clause 0x37
	buffer_load_dword v113, off, s[0:3], 0 offset:392
	buffer_load_dword v114, off, s[0:3], 0 offset:396
	buffer_load_dword v124, off, s[0:3], 0 offset:408
	buffer_load_dword v125, off, s[0:3], 0 offset:412
	buffer_load_dword v126, off, s[0:3], 0 offset:384
	buffer_load_dword v127, off, s[0:3], 0 offset:388
	buffer_load_dword v3, off, s[0:3], 0 offset:424
	buffer_load_dword v4, off, s[0:3], 0 offset:428
	buffer_load_dword v1, off, s[0:3], 0 offset:400
	buffer_load_dword v2, off, s[0:3], 0 offset:404
	buffer_load_dword v129, off, s[0:3], 0 offset:444
	buffer_load_dword v130, off, s[0:3], 0 offset:456
	buffer_load_dword v132, off, s[0:3], 0 offset:448
	buffer_load_dword v128, off, s[0:3], 0 offset:440
	buffer_load_dword v134, off, s[0:3], 0 offset:416
	buffer_load_dword v135, off, s[0:3], 0 offset:420
	buffer_load_dword v131, off, s[0:3], 0 offset:460
	buffer_load_dword v137, off, s[0:3], 0 offset:436
	buffer_load_dword v136, off, s[0:3], 0 offset:432
	buffer_load_dword v139, off, s[0:3], 0 offset:476
	buffer_load_dword v140, off, s[0:3], 0 offset:488
	buffer_load_dword v142, off, s[0:3], 0 offset:480
	buffer_load_dword v138, off, s[0:3], 0 offset:472
	buffer_load_dword v133, off, s[0:3], 0 offset:452
	buffer_load_dword v141, off, s[0:3], 0 offset:492
	buffer_load_dword v145, off, s[0:3], 0 offset:468
	buffer_load_dword v144, off, s[0:3], 0 offset:464
	buffer_load_dword v147, off, s[0:3], 0 offset:508
	buffer_load_dword v148, off, s[0:3], 0 offset:520
	buffer_load_dword v150, off, s[0:3], 0 offset:512
	buffer_load_dword v146, off, s[0:3], 0 offset:504
	buffer_load_dword v143, off, s[0:3], 0 offset:484
	buffer_load_dword v149, off, s[0:3], 0 offset:524
	buffer_load_dword v153, off, s[0:3], 0 offset:500
	buffer_load_dword v152, off, s[0:3], 0 offset:496
	buffer_load_dword v155, off, s[0:3], 0 offset:540
	buffer_load_dword v156, off, s[0:3], 0 offset:552
	buffer_load_dword v158, off, s[0:3], 0 offset:544
	buffer_load_dword v154, off, s[0:3], 0 offset:536
	buffer_load_dword v151, off, s[0:3], 0 offset:516
	buffer_load_dword v157, off, s[0:3], 0 offset:556
	buffer_load_dword v161, off, s[0:3], 0 offset:532
	buffer_load_dword v160, off, s[0:3], 0 offset:528
	buffer_load_dword v163, off, s[0:3], 0 offset:572
	buffer_load_dword v164, off, s[0:3], 0 offset:584
	buffer_load_dword v166, off, s[0:3], 0 offset:576
	buffer_load_dword v162, off, s[0:3], 0 offset:568
	buffer_load_dword v159, off, s[0:3], 0 offset:548
	buffer_load_dword v165, off, s[0:3], 0 offset:588
	buffer_load_dword v169, off, s[0:3], 0 offset:564
	buffer_load_dword v168, off, s[0:3], 0 offset:560
	buffer_load_dword v171, off, s[0:3], 0 offset:604
	buffer_load_dword v174, off, s[0:3], 0 offset:616
	buffer_load_dword v176, off, s[0:3], 0 offset:608
	buffer_load_dword v170, off, s[0:3], 0 offset:600
	buffer_load_dword v167, off, s[0:3], 0 offset:580
	v_mov_b32_e32 v115, 0
	s_mov_b32 s4, exec_lo
	ds_read_b128 v[5:8], v115 offset:1200
	s_clause 0x2
	buffer_load_dword v175, off, s[0:3], 0 offset:620
	buffer_load_dword v179, off, s[0:3], 0 offset:596
	;; [unrolled: 1-line block ×3, first 2 shown]
	ds_read_b128 v[116:119], v115 offset:1216
	s_clause 0x4
	buffer_load_dword v183, off, s[0:3], 0 offset:636
	buffer_load_dword v184, off, s[0:3], 0 offset:648
	;; [unrolled: 1-line block ×5, first 2 shown]
	ds_read_b128 v[120:123], v115 offset:1232
	s_waitcnt vmcnt(62) lgkmcnt(2)
	v_mul_f64 v[180:181], v[7:8], v[113:114]
	v_mul_f64 v[113:114], v[5:6], v[113:114]
	s_waitcnt vmcnt(60) lgkmcnt(1)
	v_mul_f64 v[187:188], v[118:119], v[124:125]
	v_mul_f64 v[124:125], v[116:117], v[124:125]
	;; [unrolled: 3-line block ×3, first 2 shown]
	v_fma_f64 v[180:181], v[5:6], v[126:127], -v[180:181]
	v_fma_f64 v[113:114], v[7:8], v[126:127], v[113:114]
	s_clause 0x2
	buffer_load_dword v185, off, s[0:3], 0 offset:652
	buffer_load_dword v127, off, s[0:3], 0 offset:628
	;; [unrolled: 1-line block ×3, first 2 shown]
	s_waitcnt vmcnt(57)
	v_fma_f64 v[116:117], v[116:117], v[1:2], -v[187:188]
	ds_read_b128 v[5:8], v115 offset:1248
	v_fma_f64 v[118:119], v[118:119], v[1:2], v[124:125]
	s_clause 0x4
	buffer_load_dword v125, off, s[0:3], 0 offset:668
	buffer_load_dword v188, off, s[0:3], 0 offset:680
	;; [unrolled: 1-line block ×5, first 2 shown]
	s_waitcnt vmcnt(56)
	v_fma_f64 v[120:121], v[120:121], v[134:135], -v[191:192]
	ds_read_b128 v[1:4], v115 offset:1264
	v_fma_f64 v[122:123], v[122:123], v[134:135], v[189:190]
	s_clause 0x2
	buffer_load_dword v189, off, s[0:3], 0 offset:684
	buffer_load_dword v135, off, s[0:3], 0 offset:660
	;; [unrolled: 1-line block ×3, first 2 shown]
	v_add_f64 v[180:181], v[180:181], 0
	v_add_f64 v[113:114], v[113:114], 0
	s_waitcnt lgkmcnt(1)
	v_mul_f64 v[194:195], v[5:6], v[128:129]
	v_mul_f64 v[128:129], v[7:8], v[128:129]
	s_waitcnt vmcnt(58) lgkmcnt(0)
	v_mul_f64 v[190:191], v[1:2], v[130:131]
	v_mul_f64 v[130:131], v[3:4], v[130:131]
	v_add_f64 v[180:181], v[180:181], v[116:117]
	v_add_f64 v[113:114], v[113:114], v[118:119]
	ds_read_b128 v[116:119], v115 offset:1280
	s_waitcnt vmcnt(56)
	v_fma_f64 v[128:129], v[5:6], v[136:137], -v[128:129]
	v_fma_f64 v[136:137], v[7:8], v[136:137], v[194:195]
	s_waitcnt vmcnt(51)
	v_fma_f64 v[130:131], v[1:2], v[132:133], -v[130:131]
	s_waitcnt lgkmcnt(0)
	v_mul_f64 v[196:197], v[116:117], v[138:139]
	v_add_f64 v[120:121], v[180:181], v[120:121]
	v_add_f64 v[113:114], v[113:114], v[122:123]
	s_clause 0x4
	buffer_load_dword v123, off, s[0:3], 0 offset:700
	buffer_load_dword v180, off, s[0:3], 0 offset:712
	buffer_load_dword v195, off, s[0:3], 0 offset:704
	buffer_load_dword v122, off, s[0:3], 0 offset:696
	buffer_load_dword v194, off, s[0:3], 0 offset:676
	v_mul_f64 v[138:139], v[118:119], v[138:139]
	ds_read_b128 v[5:8], v115 offset:1296
	v_add_f64 v[120:121], v[120:121], v[128:129]
	v_fma_f64 v[128:129], v[3:4], v[132:133], v[190:191]
	v_add_f64 v[113:114], v[113:114], v[136:137]
	s_clause 0x2
	buffer_load_dword v181, off, s[0:3], 0 offset:716
	buffer_load_dword v133, off, s[0:3], 0 offset:692
	;; [unrolled: 1-line block ×3, first 2 shown]
	s_waitcnt vmcnt(58) lgkmcnt(0)
	v_mul_f64 v[136:137], v[5:6], v[140:141]
	v_mul_f64 v[140:141], v[7:8], v[140:141]
	s_waitcnt vmcnt(56)
	v_fma_f64 v[138:139], v[116:117], v[144:145], -v[138:139]
	ds_read_b128 v[1:4], v115 offset:1312
	v_add_f64 v[120:121], v[120:121], v[130:131]
	v_fma_f64 v[130:131], v[118:119], v[144:145], v[196:197]
	v_add_f64 v[113:114], v[113:114], v[128:129]
	s_clause 0x4
	buffer_load_dword v129, off, s[0:3], 0 offset:732
	buffer_load_dword v144, off, s[0:3], 0 offset:744
	;; [unrolled: 1-line block ×5, first 2 shown]
	ds_read_b128 v[116:119], v115 offset:1328
	s_waitcnt vmcnt(57) lgkmcnt(1)
	v_mul_f64 v[191:192], v[1:2], v[146:147]
	v_mul_f64 v[146:147], v[3:4], v[146:147]
	s_waitcnt vmcnt(56)
	v_fma_f64 v[140:141], v[5:6], v[142:143], -v[140:141]
	v_fma_f64 v[136:137], v[7:8], v[142:143], v[136:137]
	v_add_f64 v[120:121], v[120:121], v[138:139]
	v_add_f64 v[113:114], v[113:114], v[130:131]
	s_clause 0x2
	buffer_load_dword v145, off, s[0:3], 0 offset:748
	buffer_load_dword v131, off, s[0:3], 0 offset:724
	;; [unrolled: 1-line block ×3, first 2 shown]
	s_waitcnt vmcnt(58) lgkmcnt(0)
	v_mul_f64 v[142:143], v[118:119], v[148:149]
	ds_read_b128 v[5:8], v115 offset:1344
	s_waitcnt vmcnt(56)
	v_fma_f64 v[146:147], v[1:2], v[152:153], -v[146:147]
	v_mul_f64 v[138:139], v[116:117], v[148:149]
	v_add_f64 v[120:121], v[120:121], v[140:141]
	v_fma_f64 v[140:141], v[3:4], v[152:153], v[191:192]
	v_add_f64 v[113:114], v[113:114], v[136:137]
	s_clause 0x4
	buffer_load_dword v137, off, s[0:3], 0 offset:764
	buffer_load_dword v148, off, s[0:3], 0 offset:776
	buffer_load_dword v152, off, s[0:3], 0 offset:768
	buffer_load_dword v136, off, s[0:3], 0 offset:760
	buffer_load_dword v191, off, s[0:3], 0 offset:740
	s_waitcnt vmcnt(57) lgkmcnt(0)
	v_mul_f64 v[197:198], v[5:6], v[154:155]
	v_mul_f64 v[153:154], v[7:8], v[154:155]
	s_waitcnt vmcnt(56)
	v_fma_f64 v[142:143], v[116:117], v[150:151], -v[142:143]
	ds_read_b128 v[1:4], v115 offset:1360
	v_fma_f64 v[138:139], v[118:119], v[150:151], v[138:139]
	v_add_f64 v[120:121], v[120:121], v[146:147]
	v_add_f64 v[113:114], v[113:114], v[140:141]
	s_clause 0x2
	buffer_load_dword v149, off, s[0:3], 0 offset:780
	buffer_load_dword v141, off, s[0:3], 0 offset:756
	buffer_load_dword v140, off, s[0:3], 0 offset:752
	ds_read_b128 v[116:119], v115 offset:1376
	s_waitcnt vmcnt(58) lgkmcnt(1)
	v_mul_f64 v[150:151], v[3:4], v[156:157]
	s_waitcnt vmcnt(56)
	v_fma_f64 v[154:155], v[5:6], v[160:161], -v[153:154]
	v_mul_f64 v[146:147], v[1:2], v[156:157]
	v_add_f64 v[120:121], v[120:121], v[142:143]
	v_fma_f64 v[142:143], v[7:8], v[160:161], v[197:198]
	v_add_f64 v[113:114], v[113:114], v[138:139]
	s_clause 0x4
	buffer_load_dword v139, off, s[0:3], 0 offset:796
	buffer_load_dword v156, off, s[0:3], 0 offset:808
	buffer_load_dword v160, off, s[0:3], 0 offset:800
	buffer_load_dword v138, off, s[0:3], 0 offset:792
	buffer_load_dword v153, off, s[0:3], 0 offset:772
	s_waitcnt vmcnt(57) lgkmcnt(0)
	v_mul_f64 v[197:198], v[116:117], v[162:163]
	v_mul_f64 v[161:162], v[118:119], v[162:163]
	s_waitcnt vmcnt(56)
	v_fma_f64 v[150:151], v[1:2], v[158:159], -v[150:151]
	ds_read_b128 v[5:8], v115 offset:1392
	v_fma_f64 v[146:147], v[3:4], v[158:159], v[146:147]
	v_add_f64 v[120:121], v[120:121], v[154:155]
	v_add_f64 v[113:114], v[113:114], v[142:143]
	s_clause 0x2
	buffer_load_dword v157, off, s[0:3], 0 offset:812
	buffer_load_dword v143, off, s[0:3], 0 offset:788
	buffer_load_dword v142, off, s[0:3], 0 offset:784
	ds_read_b128 v[1:4], v115 offset:1408
	s_waitcnt vmcnt(58) lgkmcnt(1)
	v_mul_f64 v[158:159], v[7:8], v[164:165]
	s_waitcnt vmcnt(56)
	v_fma_f64 v[162:163], v[116:117], v[168:169], -v[161:162]
	v_mul_f64 v[154:155], v[5:6], v[164:165]
	v_add_f64 v[120:121], v[120:121], v[150:151]
	v_fma_f64 v[150:151], v[118:119], v[168:169], v[197:198]
	v_add_f64 v[113:114], v[113:114], v[146:147]
	s_clause 0x4
	buffer_load_dword v147, off, s[0:3], 0 offset:828
	buffer_load_dword v164, off, s[0:3], 0 offset:840
	buffer_load_dword v168, off, s[0:3], 0 offset:832
	buffer_load_dword v146, off, s[0:3], 0 offset:824
	buffer_load_dword v161, off, s[0:3], 0 offset:804
	s_waitcnt vmcnt(57) lgkmcnt(0)
	v_mul_f64 v[197:198], v[1:2], v[170:171]
	v_mul_f64 v[169:170], v[3:4], v[170:171]
	s_waitcnt vmcnt(56)
	v_fma_f64 v[158:159], v[5:6], v[166:167], -v[158:159]
	ds_read_b128 v[116:119], v115 offset:1424
	v_fma_f64 v[154:155], v[7:8], v[166:167], v[154:155]
	v_add_f64 v[120:121], v[120:121], v[162:163]
	v_add_f64 v[113:114], v[113:114], v[150:151]
	s_clause 0x2
	buffer_load_dword v165, off, s[0:3], 0 offset:844
	buffer_load_dword v151, off, s[0:3], 0 offset:820
	buffer_load_dword v150, off, s[0:3], 0 offset:816
	ds_read_b128 v[5:8], v115 offset:1440
	s_waitcnt vmcnt(58) lgkmcnt(1)
	v_mul_f64 v[166:167], v[118:119], v[174:175]
	s_waitcnt vmcnt(56)
	v_fma_f64 v[170:171], v[1:2], v[178:179], -v[169:170]
	v_mul_f64 v[162:163], v[116:117], v[174:175]
	buffer_load_dword v169, off, s[0:3], 0 offset:836
	v_add_f64 v[120:121], v[120:121], v[158:159]
	v_fma_f64 v[158:159], v[3:4], v[178:179], v[197:198]
	v_add_f64 v[113:114], v[113:114], v[154:155]
	ds_read_b128 v[1:4], v115 offset:1456
	s_waitcnt vmcnt(53) lgkmcnt(1)
	v_mul_f64 v[174:175], v[7:8], v[182:183]
	s_waitcnt vmcnt(52)
	v_fma_f64 v[166:167], v[116:117], v[176:177], -v[166:167]
	v_mul_f64 v[154:155], v[5:6], v[182:183]
	v_fma_f64 v[162:163], v[118:119], v[176:177], v[162:163]
	ds_read_b128 v[116:119], v115 offset:1472
	v_add_f64 v[120:121], v[120:121], v[170:171]
	v_add_f64 v[113:114], v[113:114], v[158:159]
	s_waitcnt vmcnt(51) lgkmcnt(1)
	v_mul_f64 v[170:171], v[3:4], v[184:185]
	v_mul_f64 v[158:159], v[1:2], v[184:185]
	s_waitcnt vmcnt(49)
	v_fma_f64 v[174:175], v[5:6], v[126:127], -v[174:175]
	v_fma_f64 v[126:127], v[7:8], v[126:127], v[154:155]
	v_add_f64 v[120:121], v[120:121], v[166:167]
	s_waitcnt vmcnt(45) lgkmcnt(0)
	v_mul_f64 v[166:167], v[116:117], v[124:125]
	v_add_f64 v[113:114], v[113:114], v[162:163]
	s_clause 0x3
	buffer_load_dword v154, off, s[0:3], 0 offset:368
	buffer_load_dword v155, off, s[0:3], 0 offset:372
	;; [unrolled: 1-line block ×4, first 2 shown]
	v_mul_f64 v[124:125], v[118:119], v[124:125]
	ds_read_b128 v[5:8], v115 offset:1488
	s_waitcnt vmcnt(48)
	v_fma_f64 v[170:171], v[1:2], v[186:187], -v[170:171]
	v_fma_f64 v[158:159], v[3:4], v[186:187], v[158:159]
	ds_read_b128 v[1:4], v115 offset:1504
	v_add_f64 v[120:121], v[120:121], v[174:175]
	v_add_f64 v[113:114], v[113:114], v[126:127]
	s_waitcnt vmcnt(47) lgkmcnt(1)
	v_mul_f64 v[174:175], v[7:8], v[188:189]
	s_waitcnt vmcnt(45)
	v_fma_f64 v[124:125], v[116:117], v[134:135], -v[124:125]
	v_mul_f64 v[126:127], v[5:6], v[188:189]
	v_fma_f64 v[134:135], v[118:119], v[134:135], v[166:167]
	ds_read_b128 v[116:119], v115 offset:1520
	v_add_f64 v[120:121], v[120:121], v[170:171]
	v_add_f64 v[113:114], v[113:114], v[158:159]
	s_waitcnt vmcnt(41) lgkmcnt(1)
	v_mul_f64 v[158:159], v[1:2], v[122:123]
	v_mul_f64 v[122:123], v[3:4], v[122:123]
	s_waitcnt vmcnt(40)
	v_fma_f64 v[166:167], v[5:6], v[193:194], -v[174:175]
	v_add_f64 v[120:121], v[120:121], v[124:125]
	v_fma_f64 v[124:125], v[7:8], v[193:194], v[126:127]
	v_add_f64 v[113:114], v[113:114], v[134:135]
	ds_read_b128 v[5:8], v115 offset:1536
	s_waitcnt vmcnt(39) lgkmcnt(1)
	v_mul_f64 v[134:135], v[118:119], v[180:181]
	v_mul_f64 v[126:127], v[116:117], v[180:181]
	s_waitcnt vmcnt(37)
	v_fma_f64 v[122:123], v[1:2], v[132:133], -v[122:123]
	v_fma_f64 v[132:133], v[3:4], v[132:133], v[158:159]
	ds_read_b128 v[1:4], v115 offset:1552
	v_add_f64 v[120:121], v[120:121], v[166:167]
	v_add_f64 v[113:114], v[113:114], v[124:125]
	s_waitcnt vmcnt(33) lgkmcnt(1)
	v_mul_f64 v[124:125], v[5:6], v[128:129]
	v_mul_f64 v[128:129], v[7:8], v[128:129]
	s_waitcnt vmcnt(32)
	v_fma_f64 v[134:135], v[116:117], v[195:196], -v[134:135]
	v_add_f64 v[120:121], v[120:121], v[122:123]
	v_fma_f64 v[122:123], v[118:119], v[195:196], v[126:127]
	v_add_f64 v[113:114], v[113:114], v[132:133]
	ds_read_b128 v[116:119], v115 offset:1568
	s_waitcnt vmcnt(31) lgkmcnt(1)
	v_mul_f64 v[132:133], v[3:4], v[144:145]
	v_mul_f64 v[126:127], v[1:2], v[144:145]
	s_waitcnt vmcnt(29)
	v_fma_f64 v[128:129], v[5:6], v[130:131], -v[128:129]
	v_fma_f64 v[124:125], v[7:8], v[130:131], v[124:125]
	ds_read_b128 v[5:8], v115 offset:1584
	v_add_f64 v[120:121], v[120:121], v[134:135]
	v_add_f64 v[113:114], v[113:114], v[122:123]
	s_waitcnt vmcnt(25) lgkmcnt(1)
	v_mul_f64 v[130:131], v[118:119], v[136:137]
	s_waitcnt vmcnt(24)
	v_fma_f64 v[132:133], v[1:2], v[190:191], -v[132:133]
	v_mul_f64 v[122:123], v[116:117], v[136:137]
	v_fma_f64 v[126:127], v[3:4], v[190:191], v[126:127]
	ds_read_b128 v[1:4], v115 offset:1600
	v_add_f64 v[120:121], v[120:121], v[128:129]
	v_add_f64 v[113:114], v[113:114], v[124:125]
	s_waitcnt vmcnt(23) lgkmcnt(1)
	v_mul_f64 v[128:129], v[7:8], v[148:149]
	v_mul_f64 v[124:125], v[5:6], v[148:149]
	s_waitcnt vmcnt(21)
	v_fma_f64 v[130:131], v[116:117], v[140:141], -v[130:131]
	v_fma_f64 v[122:123], v[118:119], v[140:141], v[122:123]
	ds_read_b128 v[116:119], v115 offset:1616
	v_add_f64 v[120:121], v[120:121], v[132:133]
	v_add_f64 v[113:114], v[113:114], v[126:127]
	s_waitcnt vmcnt(17) lgkmcnt(1)
	v_mul_f64 v[132:133], v[3:4], v[138:139]
	s_waitcnt vmcnt(16)
	v_fma_f64 v[128:129], v[5:6], v[152:153], -v[128:129]
	v_mul_f64 v[126:127], v[1:2], v[138:139]
	v_fma_f64 v[124:125], v[7:8], v[152:153], v[124:125]
	ds_read_b128 v[5:8], v115 offset:1632
	v_add_f64 v[120:121], v[120:121], v[130:131]
	v_add_f64 v[113:114], v[113:114], v[122:123]
	s_waitcnt vmcnt(15) lgkmcnt(1)
	v_mul_f64 v[130:131], v[118:119], v[156:157]
	v_mul_f64 v[122:123], v[116:117], v[156:157]
	s_waitcnt vmcnt(13)
	v_fma_f64 v[132:133], v[1:2], v[142:143], -v[132:133]
	v_fma_f64 v[126:127], v[3:4], v[142:143], v[126:127]
	ds_read_b128 v[1:4], v115 offset:1648
	v_add_f64 v[120:121], v[120:121], v[128:129]
	v_add_f64 v[113:114], v[113:114], v[124:125]
	s_waitcnt vmcnt(9) lgkmcnt(1)
	v_mul_f64 v[128:129], v[7:8], v[146:147]
	s_waitcnt vmcnt(8)
	v_fma_f64 v[116:117], v[116:117], v[160:161], -v[130:131]
	v_mul_f64 v[124:125], v[5:6], v[146:147]
	v_fma_f64 v[118:119], v[118:119], v[160:161], v[122:123]
	v_add_f64 v[120:121], v[120:121], v[132:133]
	v_add_f64 v[113:114], v[113:114], v[126:127]
	s_waitcnt vmcnt(7) lgkmcnt(0)
	v_mul_f64 v[126:127], v[3:4], v[164:165]
	v_mul_f64 v[122:123], v[1:2], v[164:165]
	s_waitcnt vmcnt(5)
	v_fma_f64 v[5:6], v[5:6], v[150:151], -v[128:129]
	v_fma_f64 v[7:8], v[7:8], v[150:151], v[124:125]
	v_add_f64 v[116:117], v[120:121], v[116:117]
	v_add_f64 v[113:114], v[113:114], v[118:119]
	s_waitcnt vmcnt(4)
	v_fma_f64 v[1:2], v[1:2], v[168:169], -v[126:127]
	v_fma_f64 v[3:4], v[3:4], v[168:169], v[122:123]
	v_add_f64 v[5:6], v[116:117], v[5:6]
	v_add_f64 v[7:8], v[113:114], v[7:8]
	;; [unrolled: 1-line block ×4, first 2 shown]
	s_waitcnt vmcnt(2)
	v_add_f64 v[1:2], v[154:155], -v[1:2]
	s_waitcnt vmcnt(0)
	v_add_f64 v[3:4], v[162:163], -v[3:4]
	buffer_store_dword v2, off, s[0:3], 0 offset:372
	buffer_store_dword v1, off, s[0:3], 0 offset:368
	;; [unrolled: 1-line block ×4, first 2 shown]
	v_cmpx_lt_u32_e32 21, v0
	s_cbranch_execz .LBB115_283
; %bb.282:
	v_mov_b32_e32 v4, s43
	s_clause 0x3
	buffer_load_dword v1, v4, s[0:3], 0 offen
	buffer_load_dword v2, v4, s[0:3], 0 offen offset:4
	buffer_load_dword v3, v4, s[0:3], 0 offen offset:8
	;; [unrolled: 1-line block ×3, first 2 shown]
	buffer_store_dword v115, off, s[0:3], 0 offset:352
	buffer_store_dword v115, off, s[0:3], 0 offset:356
	;; [unrolled: 1-line block ×4, first 2 shown]
	s_waitcnt vmcnt(0)
	ds_write_b128 v173, v[1:4]
.LBB115_283:
	s_or_b32 exec_lo, exec_lo, s4
	s_waitcnt lgkmcnt(0)
	s_waitcnt_vscnt null, 0x0
	s_barrier
	buffer_gl0_inv
	s_clause 0x37
	buffer_load_dword v113, off, s[0:3], 0 offset:376
	buffer_load_dword v114, off, s[0:3], 0 offset:380
	;; [unrolled: 1-line block ×56, first 2 shown]
	ds_read_b128 v[116:119], v115 offset:1184
	s_clause 0x2
	buffer_load_dword v175, off, s[0:3], 0 offset:604
	buffer_load_dword v179, off, s[0:3], 0 offset:580
	;; [unrolled: 1-line block ×3, first 2 shown]
	ds_read_b128 v[120:123], v115 offset:1200
	s_clause 0x4
	buffer_load_dword v183, off, s[0:3], 0 offset:620
	buffer_load_dword v184, off, s[0:3], 0 offset:632
	;; [unrolled: 1-line block ×5, first 2 shown]
	ds_read_b128 v[124:127], v115 offset:1216
	s_clause 0x2
	buffer_load_dword v185, off, s[0:3], 0 offset:636
	buffer_load_dword v190, off, s[0:3], 0 offset:612
	buffer_load_dword v189, off, s[0:3], 0 offset:608
	s_mov_b32 s4, exec_lo
	s_waitcnt vmcnt(62) lgkmcnt(2)
	v_mul_f64 v[180:181], v[118:119], v[113:114]
	v_mul_f64 v[113:114], v[116:117], v[113:114]
	s_waitcnt lgkmcnt(1)
	v_mul_f64 v[187:188], v[122:123], v[5:6]
	s_waitcnt vmcnt(59) lgkmcnt(0)
	v_mul_f64 v[191:192], v[126:127], v[3:4]
	v_fma_f64 v[116:117], v[116:117], v[7:8], -v[180:181]
	v_mul_f64 v[180:181], v[120:121], v[5:6]
	v_fma_f64 v[113:114], v[118:119], v[7:8], v[113:114]
	s_waitcnt vmcnt(57)
	v_fma_f64 v[120:121], v[120:121], v[1:2], -v[187:188]
	ds_read_b128 v[5:8], v115 offset:1232
	v_mul_f64 v[118:119], v[124:125], v[3:4]
	s_waitcnt vmcnt(51)
	v_fma_f64 v[124:125], v[124:125], v[134:135], -v[191:192]
	v_add_f64 v[116:117], v[116:117], 0
	v_fma_f64 v[122:123], v[122:123], v[1:2], v[180:181]
	v_add_f64 v[113:114], v[113:114], 0
	s_clause 0x4
	buffer_load_dword v181, off, s[0:3], 0 offset:652
	buffer_load_dword v193, off, s[0:3], 0 offset:664
	;; [unrolled: 1-line block ×5, first 2 shown]
	s_waitcnt lgkmcnt(0)
	v_mul_f64 v[196:197], v[5:6], v[128:129]
	v_mul_f64 v[128:129], v[7:8], v[128:129]
	ds_read_b128 v[1:4], v115 offset:1248
	v_fma_f64 v[126:127], v[126:127], v[134:135], v[118:119]
	v_add_f64 v[120:121], v[116:117], v[120:121]
	v_add_f64 v[113:114], v[113:114], v[122:123]
	s_clause 0x2
	buffer_load_dword v194, off, s[0:3], 0 offset:668
	buffer_load_dword v123, off, s[0:3], 0 offset:644
	buffer_load_dword v122, off, s[0:3], 0 offset:640
	s_waitcnt vmcnt(58) lgkmcnt(0)
	v_mul_f64 v[134:135], v[1:2], v[130:131]
	v_mul_f64 v[130:131], v[3:4], v[130:131]
	s_waitcnt vmcnt(56)
	v_fma_f64 v[128:129], v[5:6], v[136:137], -v[128:129]
	ds_read_b128 v[116:119], v115 offset:1264
	v_add_f64 v[120:121], v[120:121], v[124:125]
	v_fma_f64 v[124:125], v[7:8], v[136:137], v[196:197]
	v_add_f64 v[113:114], v[113:114], v[126:127]
	s_clause 0x4
	buffer_load_dword v127, off, s[0:3], 0 offset:684
	buffer_load_dword v136, off, s[0:3], 0 offset:696
	;; [unrolled: 1-line block ×5, first 2 shown]
	ds_read_b128 v[5:8], v115 offset:1280
	s_waitcnt vmcnt(57) lgkmcnt(1)
	v_mul_f64 v[197:198], v[116:117], v[138:139]
	v_mul_f64 v[138:139], v[118:119], v[138:139]
	s_waitcnt vmcnt(56)
	v_fma_f64 v[130:131], v[1:2], v[132:133], -v[130:131]
	v_add_f64 v[120:121], v[120:121], v[128:129]
	v_fma_f64 v[128:129], v[3:4], v[132:133], v[134:135]
	v_add_f64 v[113:114], v[113:114], v[124:125]
	s_clause 0x2
	buffer_load_dword v137, off, s[0:3], 0 offset:700
	buffer_load_dword v125, off, s[0:3], 0 offset:676
	;; [unrolled: 1-line block ×3, first 2 shown]
	s_waitcnt vmcnt(58) lgkmcnt(0)
	v_mul_f64 v[134:135], v[7:8], v[140:141]
	ds_read_b128 v[1:4], v115 offset:1296
	s_waitcnt vmcnt(56)
	v_fma_f64 v[138:139], v[116:117], v[144:145], -v[138:139]
	v_mul_f64 v[132:133], v[5:6], v[140:141]
	v_add_f64 v[120:121], v[120:121], v[130:131]
	v_fma_f64 v[130:131], v[118:119], v[144:145], v[197:198]
	v_add_f64 v[113:114], v[113:114], v[128:129]
	s_clause 0x4
	buffer_load_dword v129, off, s[0:3], 0 offset:716
	buffer_load_dword v140, off, s[0:3], 0 offset:728
	buffer_load_dword v144, off, s[0:3], 0 offset:720
	buffer_load_dword v128, off, s[0:3], 0 offset:712
	buffer_load_dword v192, off, s[0:3], 0 offset:692
	s_waitcnt vmcnt(57) lgkmcnt(0)
	v_mul_f64 v[197:198], v[1:2], v[146:147]
	v_mul_f64 v[145:146], v[3:4], v[146:147]
	s_waitcnt vmcnt(56)
	v_fma_f64 v[134:135], v[5:6], v[142:143], -v[134:135]
	ds_read_b128 v[116:119], v115 offset:1312
	v_fma_f64 v[132:133], v[7:8], v[142:143], v[132:133]
	v_add_f64 v[120:121], v[120:121], v[138:139]
	v_add_f64 v[113:114], v[113:114], v[130:131]
	s_clause 0x2
	buffer_load_dword v141, off, s[0:3], 0 offset:732
	buffer_load_dword v131, off, s[0:3], 0 offset:708
	buffer_load_dword v130, off, s[0:3], 0 offset:704
	ds_read_b128 v[5:8], v115 offset:1328
	s_waitcnt vmcnt(58) lgkmcnt(1)
	v_mul_f64 v[142:143], v[118:119], v[148:149]
	s_waitcnt vmcnt(56)
	v_fma_f64 v[146:147], v[1:2], v[152:153], -v[145:146]
	v_mul_f64 v[138:139], v[116:117], v[148:149]
	v_add_f64 v[120:121], v[120:121], v[134:135]
	v_fma_f64 v[134:135], v[3:4], v[152:153], v[197:198]
	v_add_f64 v[113:114], v[113:114], v[132:133]
	s_clause 0x4
	buffer_load_dword v133, off, s[0:3], 0 offset:748
	buffer_load_dword v148, off, s[0:3], 0 offset:760
	buffer_load_dword v152, off, s[0:3], 0 offset:752
	buffer_load_dword v132, off, s[0:3], 0 offset:744
	buffer_load_dword v145, off, s[0:3], 0 offset:724
	s_waitcnt vmcnt(57) lgkmcnt(0)
	v_mul_f64 v[197:198], v[5:6], v[154:155]
	v_mul_f64 v[153:154], v[7:8], v[154:155]
	s_waitcnt vmcnt(56)
	v_fma_f64 v[142:143], v[116:117], v[150:151], -v[142:143]
	ds_read_b128 v[1:4], v115 offset:1344
	v_fma_f64 v[138:139], v[118:119], v[150:151], v[138:139]
	v_add_f64 v[120:121], v[120:121], v[146:147]
	v_add_f64 v[113:114], v[113:114], v[134:135]
	s_clause 0x2
	buffer_load_dword v149, off, s[0:3], 0 offset:764
	buffer_load_dword v135, off, s[0:3], 0 offset:740
	buffer_load_dword v134, off, s[0:3], 0 offset:736
	ds_read_b128 v[116:119], v115 offset:1360
	s_waitcnt vmcnt(58) lgkmcnt(1)
	v_mul_f64 v[150:151], v[3:4], v[156:157]
	s_waitcnt vmcnt(56)
	v_fma_f64 v[154:155], v[5:6], v[160:161], -v[153:154]
	v_mul_f64 v[146:147], v[1:2], v[156:157]
	v_add_f64 v[120:121], v[120:121], v[142:143]
	v_fma_f64 v[142:143], v[7:8], v[160:161], v[197:198]
	v_add_f64 v[113:114], v[113:114], v[138:139]
	s_clause 0x4
	buffer_load_dword v139, off, s[0:3], 0 offset:780
	buffer_load_dword v156, off, s[0:3], 0 offset:792
	buffer_load_dword v160, off, s[0:3], 0 offset:784
	buffer_load_dword v138, off, s[0:3], 0 offset:776
	buffer_load_dword v153, off, s[0:3], 0 offset:756
	s_waitcnt vmcnt(57) lgkmcnt(0)
	v_mul_f64 v[197:198], v[116:117], v[162:163]
	v_mul_f64 v[161:162], v[118:119], v[162:163]
	s_waitcnt vmcnt(56)
	v_fma_f64 v[150:151], v[1:2], v[158:159], -v[150:151]
	ds_read_b128 v[5:8], v115 offset:1376
	v_fma_f64 v[146:147], v[3:4], v[158:159], v[146:147]
	v_add_f64 v[120:121], v[120:121], v[154:155]
	v_add_f64 v[113:114], v[113:114], v[142:143]
	s_clause 0x2
	buffer_load_dword v157, off, s[0:3], 0 offset:796
	buffer_load_dword v143, off, s[0:3], 0 offset:772
	buffer_load_dword v142, off, s[0:3], 0 offset:768
	ds_read_b128 v[1:4], v115 offset:1392
	s_waitcnt vmcnt(58) lgkmcnt(1)
	v_mul_f64 v[158:159], v[7:8], v[164:165]
	s_waitcnt vmcnt(56)
	v_fma_f64 v[162:163], v[116:117], v[168:169], -v[161:162]
	v_mul_f64 v[154:155], v[5:6], v[164:165]
	v_add_f64 v[120:121], v[120:121], v[150:151]
	v_fma_f64 v[150:151], v[118:119], v[168:169], v[197:198]
	v_add_f64 v[113:114], v[113:114], v[146:147]
	s_clause 0x4
	buffer_load_dword v147, off, s[0:3], 0 offset:812
	buffer_load_dword v164, off, s[0:3], 0 offset:824
	buffer_load_dword v168, off, s[0:3], 0 offset:816
	buffer_load_dword v146, off, s[0:3], 0 offset:808
	buffer_load_dword v161, off, s[0:3], 0 offset:788
	s_waitcnt vmcnt(57) lgkmcnt(0)
	v_mul_f64 v[197:198], v[1:2], v[170:171]
	v_mul_f64 v[169:170], v[3:4], v[170:171]
	s_waitcnt vmcnt(56)
	v_fma_f64 v[158:159], v[5:6], v[166:167], -v[158:159]
	ds_read_b128 v[116:119], v115 offset:1408
	v_fma_f64 v[154:155], v[7:8], v[166:167], v[154:155]
	v_add_f64 v[120:121], v[120:121], v[162:163]
	v_add_f64 v[113:114], v[113:114], v[150:151]
	s_clause 0x2
	buffer_load_dword v165, off, s[0:3], 0 offset:828
	buffer_load_dword v151, off, s[0:3], 0 offset:804
	buffer_load_dword v150, off, s[0:3], 0 offset:800
	ds_read_b128 v[5:8], v115 offset:1424
	s_waitcnt vmcnt(58) lgkmcnt(1)
	v_mul_f64 v[166:167], v[118:119], v[174:175]
	s_waitcnt vmcnt(56)
	v_fma_f64 v[170:171], v[1:2], v[178:179], -v[169:170]
	v_mul_f64 v[162:163], v[116:117], v[174:175]
	v_add_f64 v[120:121], v[120:121], v[158:159]
	v_fma_f64 v[158:159], v[3:4], v[178:179], v[197:198]
	v_add_f64 v[113:114], v[113:114], v[154:155]
	s_clause 0x2
	buffer_load_dword v155, off, s[0:3], 0 offset:844
	buffer_load_dword v154, off, s[0:3], 0 offset:840
	;; [unrolled: 1-line block ×3, first 2 shown]
	s_waitcnt vmcnt(55) lgkmcnt(0)
	v_mul_f64 v[178:179], v[7:8], v[182:183]
	s_waitcnt vmcnt(54)
	v_fma_f64 v[166:167], v[116:117], v[176:177], -v[166:167]
	ds_read_b128 v[1:4], v115 offset:1440
	v_mul_f64 v[174:175], v[5:6], v[182:183]
	v_fma_f64 v[162:163], v[118:119], v[176:177], v[162:163]
	v_add_f64 v[120:121], v[120:121], v[170:171]
	v_add_f64 v[113:114], v[113:114], v[158:159]
	s_clause 0x1
	buffer_load_dword v159, off, s[0:3], 0 offset:836
	buffer_load_dword v158, off, s[0:3], 0 offset:832
	s_waitcnt vmcnt(55) lgkmcnt(0)
	v_mul_f64 v[176:177], v[3:4], v[184:185]
	s_waitcnt vmcnt(53)
	v_fma_f64 v[178:179], v[5:6], v[189:190], -v[178:179]
	ds_read_b128 v[116:119], v115 offset:1456
	v_mul_f64 v[170:171], v[1:2], v[184:185]
	v_add_f64 v[120:121], v[120:121], v[166:167]
	v_fma_f64 v[166:167], v[7:8], v[189:190], v[174:175]
	v_add_f64 v[113:114], v[113:114], v[162:163]
	ds_read_b128 v[5:8], v115 offset:1472
	s_waitcnt vmcnt(49) lgkmcnt(1)
	v_mul_f64 v[174:175], v[118:119], v[180:181]
	s_waitcnt vmcnt(48)
	v_fma_f64 v[176:177], v[1:2], v[186:187], -v[176:177]
	v_mul_f64 v[162:163], v[116:117], v[180:181]
	v_fma_f64 v[170:171], v[3:4], v[186:187], v[170:171]
	v_add_f64 v[120:121], v[120:121], v[178:179]
	v_add_f64 v[113:114], v[113:114], v[166:167]
	s_clause 0x3
	buffer_load_dword v166, off, s[0:3], 0 offset:352
	buffer_load_dword v167, off, s[0:3], 0 offset:356
	;; [unrolled: 1-line block ×4, first 2 shown]
	ds_read_b128 v[1:4], v115 offset:1488
	s_waitcnt vmcnt(51) lgkmcnt(1)
	v_mul_f64 v[182:183], v[7:8], v[193:194]
	v_mul_f64 v[180:181], v[5:6], v[193:194]
	s_waitcnt vmcnt(49)
	v_fma_f64 v[174:175], v[116:117], v[122:123], -v[174:175]
	v_fma_f64 v[122:123], v[118:119], v[122:123], v[162:163]
	ds_read_b128 v[116:119], v115 offset:1504
	v_add_f64 v[120:121], v[120:121], v[176:177]
	v_add_f64 v[113:114], v[113:114], v[170:171]
	s_waitcnt vmcnt(45) lgkmcnt(1)
	v_mul_f64 v[162:163], v[1:2], v[126:127]
	v_mul_f64 v[126:127], v[3:4], v[126:127]
	s_waitcnt vmcnt(44)
	v_fma_f64 v[170:171], v[5:6], v[195:196], -v[182:183]
	v_add_f64 v[120:121], v[120:121], v[174:175]
	v_fma_f64 v[174:175], v[7:8], v[195:196], v[180:181]
	v_add_f64 v[113:114], v[113:114], v[122:123]
	ds_read_b128 v[5:8], v115 offset:1520
	s_waitcnt vmcnt(43) lgkmcnt(1)
	v_mul_f64 v[122:123], v[116:117], v[136:137]
	v_mul_f64 v[136:137], v[118:119], v[136:137]
	s_waitcnt vmcnt(41)
	v_fma_f64 v[126:127], v[1:2], v[124:125], -v[126:127]
	v_fma_f64 v[124:125], v[3:4], v[124:125], v[162:163]
	ds_read_b128 v[1:4], v115 offset:1536
	v_add_f64 v[120:121], v[120:121], v[170:171]
	v_add_f64 v[113:114], v[113:114], v[174:175]
	s_waitcnt vmcnt(37) lgkmcnt(1)
	v_mul_f64 v[162:163], v[5:6], v[128:129]
	v_mul_f64 v[128:129], v[7:8], v[128:129]
	s_waitcnt vmcnt(36)
	v_fma_f64 v[136:137], v[116:117], v[191:192], -v[136:137]
	v_fma_f64 v[122:123], v[118:119], v[191:192], v[122:123]
	ds_read_b128 v[116:119], v115 offset:1552
	v_add_f64 v[120:121], v[120:121], v[126:127]
	v_add_f64 v[113:114], v[113:114], v[124:125]
	;; [unrolled: 9-line block ×5, first 2 shown]
	s_waitcnt vmcnt(21) lgkmcnt(1)
	v_mul_f64 v[126:127], v[3:4], v[138:139]
	s_waitcnt vmcnt(20)
	v_fma_f64 v[130:131], v[5:6], v[152:153], -v[130:131]
	v_mul_f64 v[124:125], v[1:2], v[138:139]
	v_fma_f64 v[128:129], v[7:8], v[152:153], v[128:129]
	ds_read_b128 v[5:8], v115 offset:1616
	v_add_f64 v[120:121], v[120:121], v[132:133]
	v_add_f64 v[113:114], v[113:114], v[122:123]
	s_waitcnt vmcnt(19) lgkmcnt(1)
	v_mul_f64 v[132:133], v[118:119], v[156:157]
	v_mul_f64 v[122:123], v[116:117], v[156:157]
	s_waitcnt vmcnt(17)
	v_fma_f64 v[126:127], v[1:2], v[142:143], -v[126:127]
	v_fma_f64 v[124:125], v[3:4], v[142:143], v[124:125]
	ds_read_b128 v[1:4], v115 offset:1632
	v_add_f64 v[120:121], v[120:121], v[130:131]
	v_add_f64 v[113:114], v[113:114], v[128:129]
	s_waitcnt vmcnt(13) lgkmcnt(1)
	v_mul_f64 v[130:131], v[7:8], v[146:147]
	s_waitcnt vmcnt(12)
	v_fma_f64 v[132:133], v[116:117], v[160:161], -v[132:133]
	v_mul_f64 v[128:129], v[5:6], v[146:147]
	v_fma_f64 v[117:118], v[118:119], v[160:161], v[122:123]
	v_add_f64 v[120:121], v[120:121], v[126:127]
	v_add_f64 v[122:123], v[113:114], v[124:125]
	ds_read_b128 v[113:116], v115 offset:1648
	s_waitcnt vmcnt(11) lgkmcnt(1)
	v_mul_f64 v[126:127], v[3:4], v[164:165]
	v_mul_f64 v[124:125], v[1:2], v[164:165]
	s_waitcnt vmcnt(9)
	v_fma_f64 v[5:6], v[5:6], v[150:151], -v[130:131]
	v_fma_f64 v[7:8], v[7:8], v[150:151], v[128:129]
	v_add_f64 v[119:120], v[120:121], v[132:133]
	v_add_f64 v[117:118], v[122:123], v[117:118]
	s_waitcnt vmcnt(7) lgkmcnt(0)
	v_mul_f64 v[128:129], v[115:116], v[154:155]
	s_waitcnt vmcnt(6)
	v_fma_f64 v[1:2], v[1:2], v[168:169], -v[126:127]
	v_mul_f64 v[121:122], v[113:114], v[154:155]
	v_fma_f64 v[3:4], v[3:4], v[168:169], v[124:125]
	v_add_f64 v[5:6], v[119:120], v[5:6]
	v_add_f64 v[7:8], v[117:118], v[7:8]
	s_waitcnt vmcnt(4)
	v_fma_f64 v[113:114], v[113:114], v[158:159], -v[128:129]
	v_add_f64 v[1:2], v[5:6], v[1:2]
	v_fma_f64 v[5:6], v[115:116], v[158:159], v[121:122]
	v_add_f64 v[3:4], v[7:8], v[3:4]
	v_add_f64 v[1:2], v[1:2], v[113:114]
	;; [unrolled: 1-line block ×3, first 2 shown]
	s_waitcnt vmcnt(2)
	v_add_f64 v[1:2], v[166:167], -v[1:2]
	s_waitcnt vmcnt(0)
	v_add_f64 v[3:4], v[178:179], -v[3:4]
	buffer_store_dword v2, off, s[0:3], 0 offset:356
	buffer_store_dword v1, off, s[0:3], 0 offset:352
	;; [unrolled: 1-line block ×4, first 2 shown]
	v_cmpx_lt_u32_e32 20, v0
	s_cbranch_execz .LBB115_285
; %bb.284:
	v_mov_b32_e32 v4, s44
	v_mov_b32_e32 v5, 0
	s_clause 0x3
	buffer_load_dword v1, v4, s[0:3], 0 offen
	buffer_load_dword v2, v4, s[0:3], 0 offen offset:4
	buffer_load_dword v3, v4, s[0:3], 0 offen offset:8
	;; [unrolled: 1-line block ×3, first 2 shown]
	buffer_store_dword v5, off, s[0:3], 0 offset:336
	buffer_store_dword v5, off, s[0:3], 0 offset:340
	;; [unrolled: 1-line block ×4, first 2 shown]
	s_waitcnt vmcnt(0)
	ds_write_b128 v173, v[1:4]
.LBB115_285:
	s_or_b32 exec_lo, exec_lo, s4
	s_waitcnt lgkmcnt(0)
	s_waitcnt_vscnt null, 0x0
	s_barrier
	buffer_gl0_inv
	s_clause 0x37
	buffer_load_dword v113, off, s[0:3], 0 offset:360
	buffer_load_dword v114, off, s[0:3], 0 offset:364
	;; [unrolled: 1-line block ×56, first 2 shown]
	v_mov_b32_e32 v133, 0
	s_mov_b32 s4, exec_lo
	ds_read_b128 v[121:124], v133 offset:1168
	s_clause 0x2
	buffer_load_dword v175, off, s[0:3], 0 offset:588
	buffer_load_dword v179, off, s[0:3], 0 offset:564
	;; [unrolled: 1-line block ×3, first 2 shown]
	ds_read_b128 v[125:128], v133 offset:1184
	s_clause 0x4
	buffer_load_dword v183, off, s[0:3], 0 offset:604
	buffer_load_dword v184, off, s[0:3], 0 offset:616
	;; [unrolled: 1-line block ×5, first 2 shown]
	ds_read_b128 v[129:132], v133 offset:1200
	s_clause 0x2
	buffer_load_dword v185, off, s[0:3], 0 offset:620
	buffer_load_dword v190, off, s[0:3], 0 offset:596
	buffer_load_dword v189, off, s[0:3], 0 offset:592
	s_waitcnt vmcnt(62) lgkmcnt(2)
	v_mul_f64 v[180:181], v[123:124], v[113:114]
	v_mul_f64 v[113:114], v[121:122], v[113:114]
	s_waitcnt lgkmcnt(1)
	v_mul_f64 v[187:188], v[127:128], v[5:6]
	s_waitcnt vmcnt(59) lgkmcnt(0)
	v_mul_f64 v[191:192], v[131:132], v[3:4]
	v_fma_f64 v[121:122], v[121:122], v[7:8], -v[180:181]
	v_mul_f64 v[180:181], v[125:126], v[5:6]
	v_fma_f64 v[113:114], v[123:124], v[7:8], v[113:114]
	s_waitcnt vmcnt(57)
	v_fma_f64 v[125:126], v[125:126], v[1:2], -v[187:188]
	ds_read_b128 v[5:8], v133 offset:1216
	v_mul_f64 v[123:124], v[129:130], v[3:4]
	s_waitcnt vmcnt(51)
	v_fma_f64 v[129:130], v[129:130], v[136:137], -v[191:192]
	v_add_f64 v[121:122], v[121:122], 0
	v_fma_f64 v[127:128], v[127:128], v[1:2], v[180:181]
	v_add_f64 v[113:114], v[113:114], 0
	s_clause 0x4
	buffer_load_dword v181, off, s[0:3], 0 offset:636
	buffer_load_dword v193, off, s[0:3], 0 offset:648
	;; [unrolled: 1-line block ×5, first 2 shown]
	s_waitcnt lgkmcnt(0)
	v_mul_f64 v[196:197], v[5:6], v[117:118]
	v_mul_f64 v[117:118], v[7:8], v[117:118]
	ds_read_b128 v[1:4], v133 offset:1232
	v_fma_f64 v[131:132], v[131:132], v[136:137], v[123:124]
	v_add_f64 v[125:126], v[121:122], v[125:126]
	v_add_f64 v[113:114], v[113:114], v[127:128]
	s_clause 0x2
	buffer_load_dword v194, off, s[0:3], 0 offset:652
	buffer_load_dword v128, off, s[0:3], 0 offset:628
	;; [unrolled: 1-line block ×3, first 2 shown]
	s_waitcnt vmcnt(58) lgkmcnt(0)
	v_mul_f64 v[136:137], v[1:2], v[134:135]
	v_mul_f64 v[134:135], v[3:4], v[134:135]
	s_waitcnt vmcnt(56)
	v_fma_f64 v[117:118], v[5:6], v[138:139], -v[117:118]
	ds_read_b128 v[121:124], v133 offset:1248
	v_add_f64 v[125:126], v[125:126], v[129:130]
	v_fma_f64 v[129:130], v[7:8], v[138:139], v[196:197]
	v_add_f64 v[113:114], v[113:114], v[131:132]
	s_clause 0x4
	buffer_load_dword v132, off, s[0:3], 0 offset:668
	buffer_load_dword v138, off, s[0:3], 0 offset:680
	;; [unrolled: 1-line block ×5, first 2 shown]
	ds_read_b128 v[5:8], v133 offset:1264
	s_waitcnt vmcnt(57) lgkmcnt(1)
	v_mul_f64 v[197:198], v[121:122], v[140:141]
	v_mul_f64 v[140:141], v[123:124], v[140:141]
	s_waitcnt vmcnt(56)
	v_fma_f64 v[134:135], v[1:2], v[115:116], -v[134:135]
	v_fma_f64 v[115:116], v[3:4], v[115:116], v[136:137]
	v_add_f64 v[117:118], v[125:126], v[117:118]
	s_clause 0x2
	buffer_load_dword v139, off, s[0:3], 0 offset:684
	buffer_load_dword v126, off, s[0:3], 0 offset:660
	;; [unrolled: 1-line block ×3, first 2 shown]
	v_add_f64 v[113:114], v[113:114], v[129:130]
	s_waitcnt vmcnt(58) lgkmcnt(0)
	v_mul_f64 v[136:137], v[7:8], v[142:143]
	ds_read_b128 v[1:4], v133 offset:1280
	v_mul_f64 v[129:130], v[5:6], v[142:143]
	s_waitcnt vmcnt(56)
	v_fma_f64 v[121:122], v[121:122], v[144:145], -v[140:141]
	v_fma_f64 v[123:124], v[123:124], v[144:145], v[197:198]
	s_clause 0x4
	buffer_load_dword v141, off, s[0:3], 0 offset:700
	buffer_load_dword v142, off, s[0:3], 0 offset:712
	;; [unrolled: 1-line block ×5, first 2 shown]
	v_add_f64 v[117:118], v[117:118], v[134:135]
	v_add_f64 v[134:135], v[113:114], v[115:116]
	s_waitcnt vmcnt(57) lgkmcnt(0)
	v_mul_f64 v[197:198], v[1:2], v[146:147]
	v_mul_f64 v[145:146], v[3:4], v[146:147]
	s_waitcnt vmcnt(56)
	v_fma_f64 v[136:137], v[5:6], v[119:120], -v[136:137]
	ds_read_b128 v[113:116], v133 offset:1296
	v_fma_f64 v[119:120], v[7:8], v[119:120], v[129:130]
	v_add_f64 v[117:118], v[117:118], v[121:122]
	v_add_f64 v[121:122], v[134:135], v[123:124]
	s_clause 0x2
	buffer_load_dword v143, off, s[0:3], 0 offset:716
	buffer_load_dword v124, off, s[0:3], 0 offset:692
	;; [unrolled: 1-line block ×3, first 2 shown]
	s_waitcnt vmcnt(58) lgkmcnt(0)
	v_mul_f64 v[134:135], v[115:116], v[148:149]
	s_waitcnt vmcnt(56)
	v_fma_f64 v[146:147], v[1:2], v[152:153], -v[145:146]
	ds_read_b128 v[5:8], v133 offset:1312
	v_mul_f64 v[129:130], v[113:114], v[148:149]
	v_add_f64 v[117:118], v[117:118], v[136:137]
	v_fma_f64 v[136:137], v[3:4], v[152:153], v[197:198]
	v_add_f64 v[119:120], v[121:122], v[119:120]
	s_clause 0x4
	buffer_load_dword v122, off, s[0:3], 0 offset:732
	buffer_load_dword v148, off, s[0:3], 0 offset:744
	buffer_load_dword v152, off, s[0:3], 0 offset:736
	buffer_load_dword v121, off, s[0:3], 0 offset:728
	buffer_load_dword v145, off, s[0:3], 0 offset:708
	s_waitcnt vmcnt(57) lgkmcnt(0)
	v_mul_f64 v[197:198], v[5:6], v[154:155]
	v_mul_f64 v[153:154], v[7:8], v[154:155]
	s_waitcnt vmcnt(56)
	v_fma_f64 v[134:135], v[113:114], v[150:151], -v[134:135]
	ds_read_b128 v[1:4], v133 offset:1328
	v_fma_f64 v[129:130], v[115:116], v[150:151], v[129:130]
	v_add_f64 v[117:118], v[117:118], v[146:147]
	v_add_f64 v[119:120], v[119:120], v[136:137]
	s_clause 0x2
	buffer_load_dword v149, off, s[0:3], 0 offset:748
	buffer_load_dword v137, off, s[0:3], 0 offset:724
	buffer_load_dword v136, off, s[0:3], 0 offset:720
	ds_read_b128 v[113:116], v133 offset:1344
	s_waitcnt vmcnt(58) lgkmcnt(1)
	v_mul_f64 v[150:151], v[3:4], v[156:157]
	s_waitcnt vmcnt(56)
	v_fma_f64 v[154:155], v[5:6], v[160:161], -v[153:154]
	v_mul_f64 v[146:147], v[1:2], v[156:157]
	v_add_f64 v[117:118], v[117:118], v[134:135]
	v_fma_f64 v[134:135], v[7:8], v[160:161], v[197:198]
	v_add_f64 v[119:120], v[119:120], v[129:130]
	s_clause 0x4
	buffer_load_dword v130, off, s[0:3], 0 offset:764
	buffer_load_dword v156, off, s[0:3], 0 offset:776
	buffer_load_dword v160, off, s[0:3], 0 offset:768
	buffer_load_dword v129, off, s[0:3], 0 offset:760
	buffer_load_dword v153, off, s[0:3], 0 offset:740
	s_waitcnt vmcnt(57) lgkmcnt(0)
	v_mul_f64 v[197:198], v[113:114], v[162:163]
	v_mul_f64 v[161:162], v[115:116], v[162:163]
	s_waitcnt vmcnt(56)
	v_fma_f64 v[150:151], v[1:2], v[158:159], -v[150:151]
	ds_read_b128 v[5:8], v133 offset:1360
	v_fma_f64 v[146:147], v[3:4], v[158:159], v[146:147]
	v_add_f64 v[117:118], v[117:118], v[154:155]
	v_add_f64 v[119:120], v[119:120], v[134:135]
	s_clause 0x2
	buffer_load_dword v157, off, s[0:3], 0 offset:780
	buffer_load_dword v135, off, s[0:3], 0 offset:756
	buffer_load_dword v134, off, s[0:3], 0 offset:752
	ds_read_b128 v[1:4], v133 offset:1376
	s_waitcnt vmcnt(58) lgkmcnt(1)
	v_mul_f64 v[158:159], v[7:8], v[164:165]
	s_waitcnt vmcnt(56)
	v_fma_f64 v[162:163], v[113:114], v[168:169], -v[161:162]
	;; [unrolled: 28-line block ×4, first 2 shown]
	v_mul_f64 v[170:171], v[1:2], v[184:185]
	buffer_load_dword v179, off, s[0:3], 0 offset:836
	v_add_f64 v[117:118], v[117:118], v[166:167]
	v_fma_f64 v[166:167], v[7:8], v[189:190], v[197:198]
	v_add_f64 v[119:120], v[119:120], v[162:163]
	ds_read_b128 v[5:8], v133 offset:1456
	s_waitcnt vmcnt(53) lgkmcnt(1)
	v_mul_f64 v[162:163], v[113:114], v[180:181]
	v_mul_f64 v[180:181], v[115:116], v[180:181]
	s_waitcnt vmcnt(52)
	v_fma_f64 v[176:177], v[1:2], v[186:187], -v[176:177]
	v_fma_f64 v[170:171], v[3:4], v[186:187], v[170:171]
	ds_read_b128 v[1:4], v133 offset:1472
	v_add_f64 v[117:118], v[117:118], v[182:183]
	v_add_f64 v[119:120], v[119:120], v[166:167]
	s_waitcnt vmcnt(51) lgkmcnt(1)
	v_mul_f64 v[182:183], v[7:8], v[193:194]
	v_mul_f64 v[166:167], v[5:6], v[193:194]
	s_waitcnt vmcnt(49)
	v_fma_f64 v[180:181], v[113:114], v[127:128], -v[180:181]
	v_fma_f64 v[127:128], v[115:116], v[127:128], v[162:163]
	v_add_f64 v[117:118], v[117:118], v[176:177]
	v_add_f64 v[119:120], v[119:120], v[170:171]
	s_clause 0x3
	buffer_load_dword v162, off, s[0:3], 0 offset:336
	buffer_load_dword v163, off, s[0:3], 0 offset:340
	;; [unrolled: 1-line block ×4, first 2 shown]
	ds_read_b128 v[113:116], v133 offset:1488
	s_waitcnt vmcnt(49) lgkmcnt(1)
	v_mul_f64 v[176:177], v[1:2], v[131:132]
	v_mul_f64 v[131:132], v[3:4], v[131:132]
	s_waitcnt vmcnt(48)
	v_fma_f64 v[182:183], v[5:6], v[195:196], -v[182:183]
	v_fma_f64 v[166:167], v[7:8], v[195:196], v[166:167]
	ds_read_b128 v[5:8], v133 offset:1504
	v_add_f64 v[117:118], v[117:118], v[180:181]
	v_add_f64 v[119:120], v[119:120], v[127:128]
	s_waitcnt vmcnt(47) lgkmcnt(1)
	v_mul_f64 v[127:128], v[113:114], v[138:139]
	v_mul_f64 v[138:139], v[115:116], v[138:139]
	s_waitcnt vmcnt(45)
	v_fma_f64 v[131:132], v[1:2], v[125:126], -v[131:132]
	v_fma_f64 v[125:126], v[3:4], v[125:126], v[176:177]
	ds_read_b128 v[1:4], v133 offset:1520
	v_add_f64 v[117:118], v[117:118], v[182:183]
	v_add_f64 v[119:120], v[119:120], v[166:167]
	s_waitcnt vmcnt(41) lgkmcnt(1)
	v_mul_f64 v[166:167], v[5:6], v[140:141]
	v_mul_f64 v[140:141], v[7:8], v[140:141]
	s_waitcnt vmcnt(40)
	v_fma_f64 v[127:128], v[115:116], v[191:192], v[127:128]
	v_fma_f64 v[138:139], v[113:114], v[191:192], -v[138:139]
	ds_read_b128 v[113:116], v133 offset:1536
	v_add_f64 v[117:118], v[117:118], v[131:132]
	v_add_f64 v[119:120], v[119:120], v[125:126]
	s_waitcnt vmcnt(39) lgkmcnt(1)
	v_mul_f64 v[131:132], v[3:4], v[142:143]
	v_mul_f64 v[125:126], v[1:2], v[142:143]
	s_waitcnt vmcnt(37)
	v_fma_f64 v[140:141], v[5:6], v[123:124], -v[140:141]
	v_fma_f64 v[123:124], v[7:8], v[123:124], v[166:167]
	ds_read_b128 v[5:8], v133 offset:1552
	v_add_f64 v[117:118], v[117:118], v[138:139]
	v_add_f64 v[119:120], v[119:120], v[127:128]
	s_waitcnt vmcnt(33) lgkmcnt(1)
	v_mul_f64 v[127:128], v[113:114], v[121:122]
	v_mul_f64 v[121:122], v[115:116], v[121:122]
	s_waitcnt vmcnt(32)
	v_fma_f64 v[131:132], v[1:2], v[144:145], -v[131:132]
	v_fma_f64 v[125:126], v[3:4], v[144:145], v[125:126]
	;; [unrolled: 9-line block ×3, first 2 shown]
	ds_read_b128 v[113:116], v133 offset:1584
	v_add_f64 v[117:118], v[117:118], v[131:132]
	v_add_f64 v[119:120], v[119:120], v[125:126]
	s_waitcnt vmcnt(25) lgkmcnt(1)
	v_mul_f64 v[125:126], v[1:2], v[129:130]
	v_mul_f64 v[129:130], v[3:4], v[129:130]
	s_waitcnt vmcnt(24)
	v_fma_f64 v[131:132], v[5:6], v[152:153], -v[138:139]
	v_add_f64 v[117:118], v[117:118], v[121:122]
	v_fma_f64 v[121:122], v[7:8], v[152:153], v[123:124]
	v_add_f64 v[119:120], v[119:120], v[127:128]
	ds_read_b128 v[5:8], v133 offset:1600
	s_waitcnt vmcnt(23) lgkmcnt(1)
	v_mul_f64 v[127:128], v[115:116], v[156:157]
	v_mul_f64 v[123:124], v[113:114], v[156:157]
	s_waitcnt vmcnt(21)
	v_fma_f64 v[129:130], v[1:2], v[134:135], -v[129:130]
	v_fma_f64 v[125:126], v[3:4], v[134:135], v[125:126]
	ds_read_b128 v[1:4], v133 offset:1616
	v_add_f64 v[117:118], v[117:118], v[131:132]
	v_add_f64 v[119:120], v[119:120], v[121:122]
	s_waitcnt vmcnt(17) lgkmcnt(1)
	v_mul_f64 v[131:132], v[7:8], v[146:147]
	s_waitcnt vmcnt(16)
	v_fma_f64 v[127:128], v[113:114], v[160:161], -v[127:128]
	v_mul_f64 v[121:122], v[5:6], v[146:147]
	v_fma_f64 v[123:124], v[115:116], v[160:161], v[123:124]
	ds_read_b128 v[113:116], v133 offset:1632
	v_add_f64 v[117:118], v[117:118], v[129:130]
	v_add_f64 v[119:120], v[119:120], v[125:126]
	s_waitcnt vmcnt(15) lgkmcnt(1)
	v_mul_f64 v[129:130], v[3:4], v[164:165]
	v_mul_f64 v[125:126], v[1:2], v[164:165]
	s_waitcnt vmcnt(13)
	v_fma_f64 v[131:132], v[5:6], v[150:151], -v[131:132]
	v_fma_f64 v[121:122], v[7:8], v[150:151], v[121:122]
	ds_read_b128 v[5:8], v133 offset:1648
	v_add_f64 v[117:118], v[117:118], v[127:128]
	v_add_f64 v[119:120], v[119:120], v[123:124]
	s_waitcnt vmcnt(9) lgkmcnt(1)
	v_mul_f64 v[127:128], v[115:116], v[154:155]
	s_waitcnt vmcnt(8)
	v_fma_f64 v[1:2], v[1:2], v[168:169], -v[129:130]
	v_mul_f64 v[123:124], v[113:114], v[154:155]
	v_fma_f64 v[3:4], v[3:4], v[168:169], v[125:126]
	v_add_f64 v[117:118], v[117:118], v[131:132]
	v_add_f64 v[119:120], v[119:120], v[121:122]
	s_waitcnt vmcnt(7) lgkmcnt(0)
	v_mul_f64 v[125:126], v[7:8], v[174:175]
	v_mul_f64 v[121:122], v[5:6], v[174:175]
	s_waitcnt vmcnt(5)
	v_fma_f64 v[113:114], v[113:114], v[158:159], -v[127:128]
	v_fma_f64 v[115:116], v[115:116], v[158:159], v[123:124]
	v_add_f64 v[1:2], v[117:118], v[1:2]
	v_add_f64 v[3:4], v[119:120], v[3:4]
	s_waitcnt vmcnt(4)
	v_fma_f64 v[5:6], v[5:6], v[178:179], -v[125:126]
	v_fma_f64 v[7:8], v[7:8], v[178:179], v[121:122]
	v_add_f64 v[1:2], v[1:2], v[113:114]
	v_add_f64 v[3:4], v[3:4], v[115:116]
	;; [unrolled: 1-line block ×4, first 2 shown]
	s_waitcnt vmcnt(2)
	v_add_f64 v[1:2], v[162:163], -v[1:2]
	s_waitcnt vmcnt(0)
	v_add_f64 v[3:4], v[170:171], -v[3:4]
	buffer_store_dword v2, off, s[0:3], 0 offset:340
	buffer_store_dword v1, off, s[0:3], 0 offset:336
	;; [unrolled: 1-line block ×4, first 2 shown]
	v_cmpx_lt_u32_e32 19, v0
	s_cbranch_execz .LBB115_287
; %bb.286:
	v_mov_b32_e32 v4, s45
	s_clause 0x3
	buffer_load_dword v1, v4, s[0:3], 0 offen
	buffer_load_dword v2, v4, s[0:3], 0 offen offset:4
	buffer_load_dword v3, v4, s[0:3], 0 offen offset:8
	;; [unrolled: 1-line block ×3, first 2 shown]
	buffer_store_dword v133, off, s[0:3], 0 offset:320
	buffer_store_dword v133, off, s[0:3], 0 offset:324
	;; [unrolled: 1-line block ×4, first 2 shown]
	s_waitcnt vmcnt(0)
	ds_write_b128 v173, v[1:4]
.LBB115_287:
	s_or_b32 exec_lo, exec_lo, s4
	s_waitcnt lgkmcnt(0)
	s_waitcnt_vscnt null, 0x0
	s_barrier
	buffer_gl0_inv
	s_clause 0x37
	buffer_load_dword v113, off, s[0:3], 0 offset:344
	buffer_load_dword v114, off, s[0:3], 0 offset:348
	;; [unrolled: 1-line block ×56, first 2 shown]
	ds_read_b128 v[134:137], v133 offset:1152
	s_clause 0x2
	buffer_load_dword v175, off, s[0:3], 0 offset:572
	buffer_load_dword v179, off, s[0:3], 0 offset:548
	;; [unrolled: 1-line block ×3, first 2 shown]
	ds_read_b128 v[138:141], v133 offset:1168
	s_clause 0x4
	buffer_load_dword v183, off, s[0:3], 0 offset:588
	buffer_load_dword v184, off, s[0:3], 0 offset:600
	;; [unrolled: 1-line block ×5, first 2 shown]
	ds_read_b128 v[142:145], v133 offset:1184
	s_clause 0x2
	buffer_load_dword v185, off, s[0:3], 0 offset:604
	buffer_load_dword v190, off, s[0:3], 0 offset:580
	;; [unrolled: 1-line block ×3, first 2 shown]
	s_mov_b32 s4, exec_lo
	s_waitcnt vmcnt(62) lgkmcnt(2)
	v_mul_f64 v[180:181], v[136:137], v[113:114]
	v_mul_f64 v[113:114], v[134:135], v[113:114]
	s_waitcnt lgkmcnt(1)
	v_mul_f64 v[187:188], v[140:141], v[5:6]
	s_waitcnt vmcnt(59) lgkmcnt(0)
	v_mul_f64 v[191:192], v[144:145], v[3:4]
	v_fma_f64 v[134:135], v[134:135], v[7:8], -v[180:181]
	v_mul_f64 v[180:181], v[138:139], v[5:6]
	v_fma_f64 v[113:114], v[136:137], v[7:8], v[113:114]
	s_waitcnt vmcnt(57)
	v_fma_f64 v[138:139], v[138:139], v[1:2], -v[187:188]
	ds_read_b128 v[5:8], v133 offset:1200
	v_mul_f64 v[136:137], v[142:143], v[3:4]
	s_waitcnt vmcnt(51)
	v_fma_f64 v[142:143], v[142:143], v[129:130], -v[191:192]
	v_add_f64 v[134:135], v[134:135], 0
	v_fma_f64 v[140:141], v[140:141], v[1:2], v[180:181]
	v_add_f64 v[113:114], v[113:114], 0
	s_clause 0x4
	buffer_load_dword v181, off, s[0:3], 0 offset:620
	buffer_load_dword v193, off, s[0:3], 0 offset:632
	;; [unrolled: 1-line block ×5, first 2 shown]
	s_waitcnt lgkmcnt(0)
	v_mul_f64 v[196:197], v[5:6], v[117:118]
	v_mul_f64 v[117:118], v[7:8], v[117:118]
	ds_read_b128 v[1:4], v133 offset:1216
	v_fma_f64 v[129:130], v[144:145], v[129:130], v[136:137]
	v_add_f64 v[138:139], v[134:135], v[138:139]
	v_add_f64 v[113:114], v[113:114], v[140:141]
	s_clause 0x2
	buffer_load_dword v194, off, s[0:3], 0 offset:636
	buffer_load_dword v141, off, s[0:3], 0 offset:612
	;; [unrolled: 1-line block ×3, first 2 shown]
	s_waitcnt vmcnt(58) lgkmcnt(0)
	v_mul_f64 v[144:145], v[1:2], v[121:122]
	v_mul_f64 v[121:122], v[3:4], v[121:122]
	s_waitcnt vmcnt(56)
	v_fma_f64 v[117:118], v[5:6], v[123:124], -v[117:118]
	ds_read_b128 v[134:137], v133 offset:1232
	v_fma_f64 v[123:124], v[7:8], v[123:124], v[196:197]
	v_add_f64 v[138:139], v[138:139], v[142:143]
	v_add_f64 v[113:114], v[113:114], v[129:130]
	s_clause 0x4
	buffer_load_dword v130, off, s[0:3], 0 offset:652
	buffer_load_dword v142, off, s[0:3], 0 offset:664
	;; [unrolled: 1-line block ×5, first 2 shown]
	ds_read_b128 v[5:8], v133 offset:1248
	s_waitcnt vmcnt(57) lgkmcnt(1)
	v_mul_f64 v[197:198], v[134:135], v[125:126]
	v_mul_f64 v[125:126], v[136:137], v[125:126]
	s_waitcnt vmcnt(56)
	v_fma_f64 v[121:122], v[1:2], v[115:116], -v[121:122]
	v_fma_f64 v[115:116], v[3:4], v[115:116], v[144:145]
	v_add_f64 v[117:118], v[138:139], v[117:118]
	v_add_f64 v[113:114], v[113:114], v[123:124]
	s_clause 0x2
	buffer_load_dword v143, off, s[0:3], 0 offset:668
	buffer_load_dword v124, off, s[0:3], 0 offset:644
	;; [unrolled: 1-line block ×3, first 2 shown]
	s_waitcnt vmcnt(58) lgkmcnt(0)
	v_mul_f64 v[138:139], v[5:6], v[131:132]
	v_mul_f64 v[131:132], v[7:8], v[131:132]
	s_waitcnt vmcnt(56)
	v_fma_f64 v[125:126], v[134:135], v[146:147], -v[125:126]
	ds_read_b128 v[1:4], v133 offset:1264
	v_add_f64 v[117:118], v[117:118], v[121:122]
	v_fma_f64 v[121:122], v[136:137], v[146:147], v[197:198]
	v_add_f64 v[134:135], v[113:114], v[115:116]
	s_clause 0x4
	buffer_load_dword v137, off, s[0:3], 0 offset:684
	buffer_load_dword v144, off, s[0:3], 0 offset:696
	;; [unrolled: 1-line block ×5, first 2 shown]
	ds_read_b128 v[113:116], v133 offset:1280
	s_waitcnt vmcnt(57) lgkmcnt(1)
	v_mul_f64 v[197:198], v[1:2], v[148:149]
	v_mul_f64 v[147:148], v[3:4], v[148:149]
	s_waitcnt vmcnt(56)
	v_fma_f64 v[131:132], v[5:6], v[119:120], -v[131:132]
	v_fma_f64 v[119:120], v[7:8], v[119:120], v[138:139]
	v_add_f64 v[117:118], v[117:118], v[125:126]
	s_clause 0x2
	buffer_load_dword v145, off, s[0:3], 0 offset:700
	buffer_load_dword v126, off, s[0:3], 0 offset:676
	;; [unrolled: 1-line block ×3, first 2 shown]
	v_add_f64 v[121:122], v[134:135], v[121:122]
	s_waitcnt vmcnt(58) lgkmcnt(0)
	v_mul_f64 v[138:139], v[115:116], v[150:151]
	ds_read_b128 v[5:8], v133 offset:1296
	v_mul_f64 v[134:135], v[113:114], v[150:151]
	s_waitcnt vmcnt(56)
	v_fma_f64 v[148:149], v[1:2], v[152:153], -v[147:148]
	v_add_f64 v[117:118], v[117:118], v[131:132]
	v_fma_f64 v[131:132], v[3:4], v[152:153], v[197:198]
	v_add_f64 v[119:120], v[121:122], v[119:120]
	s_clause 0x4
	buffer_load_dword v122, off, s[0:3], 0 offset:716
	buffer_load_dword v150, off, s[0:3], 0 offset:728
	buffer_load_dword v152, off, s[0:3], 0 offset:720
	buffer_load_dword v121, off, s[0:3], 0 offset:712
	buffer_load_dword v147, off, s[0:3], 0 offset:692
	s_waitcnt vmcnt(57) lgkmcnt(0)
	v_mul_f64 v[197:198], v[5:6], v[154:155]
	v_mul_f64 v[153:154], v[7:8], v[154:155]
	s_waitcnt vmcnt(56)
	v_fma_f64 v[138:139], v[113:114], v[127:128], -v[138:139]
	ds_read_b128 v[1:4], v133 offset:1312
	v_fma_f64 v[127:128], v[115:116], v[127:128], v[134:135]
	v_add_f64 v[117:118], v[117:118], v[148:149]
	v_add_f64 v[119:120], v[119:120], v[131:132]
	s_clause 0x2
	buffer_load_dword v151, off, s[0:3], 0 offset:732
	buffer_load_dword v132, off, s[0:3], 0 offset:708
	buffer_load_dword v131, off, s[0:3], 0 offset:704
	ds_read_b128 v[113:116], v133 offset:1328
	s_waitcnt vmcnt(58) lgkmcnt(1)
	v_mul_f64 v[148:149], v[3:4], v[156:157]
	s_waitcnt vmcnt(56)
	v_fma_f64 v[154:155], v[5:6], v[160:161], -v[153:154]
	v_mul_f64 v[134:135], v[1:2], v[156:157]
	v_add_f64 v[117:118], v[117:118], v[138:139]
	v_fma_f64 v[138:139], v[7:8], v[160:161], v[197:198]
	v_add_f64 v[119:120], v[119:120], v[127:128]
	s_clause 0x4
	buffer_load_dword v128, off, s[0:3], 0 offset:748
	buffer_load_dword v156, off, s[0:3], 0 offset:760
	buffer_load_dword v160, off, s[0:3], 0 offset:752
	buffer_load_dword v127, off, s[0:3], 0 offset:744
	buffer_load_dword v153, off, s[0:3], 0 offset:724
	s_waitcnt vmcnt(57) lgkmcnt(0)
	v_mul_f64 v[197:198], v[113:114], v[162:163]
	v_mul_f64 v[161:162], v[115:116], v[162:163]
	s_waitcnt vmcnt(56)
	v_fma_f64 v[148:149], v[1:2], v[158:159], -v[148:149]
	ds_read_b128 v[5:8], v133 offset:1344
	v_fma_f64 v[134:135], v[3:4], v[158:159], v[134:135]
	v_add_f64 v[117:118], v[117:118], v[154:155]
	v_add_f64 v[119:120], v[119:120], v[138:139]
	s_clause 0x2
	buffer_load_dword v157, off, s[0:3], 0 offset:764
	buffer_load_dword v139, off, s[0:3], 0 offset:740
	buffer_load_dword v138, off, s[0:3], 0 offset:736
	ds_read_b128 v[1:4], v133 offset:1360
	s_waitcnt vmcnt(58) lgkmcnt(1)
	v_mul_f64 v[158:159], v[7:8], v[164:165]
	s_waitcnt vmcnt(56)
	v_fma_f64 v[162:163], v[113:114], v[168:169], -v[161:162]
	v_mul_f64 v[154:155], v[5:6], v[164:165]
	;; [unrolled: 28-line block ×4, first 2 shown]
	v_add_f64 v[117:118], v[117:118], v[166:167]
	v_fma_f64 v[166:167], v[7:8], v[189:190], v[197:198]
	v_add_f64 v[119:120], v[119:120], v[162:163]
	s_clause 0x2
	buffer_load_dword v163, off, s[0:3], 0 offset:844
	buffer_load_dword v162, off, s[0:3], 0 offset:840
	;; [unrolled: 1-line block ×3, first 2 shown]
	ds_read_b128 v[5:8], v133 offset:1440
	s_waitcnt vmcnt(55) lgkmcnt(1)
	v_mul_f64 v[184:185], v[113:114], v[180:181]
	v_mul_f64 v[180:181], v[115:116], v[180:181]
	s_waitcnt vmcnt(54)
	v_fma_f64 v[176:177], v[1:2], v[186:187], -v[176:177]
	v_fma_f64 v[170:171], v[3:4], v[186:187], v[170:171]
	v_add_f64 v[117:118], v[117:118], v[182:183]
	v_add_f64 v[119:120], v[119:120], v[166:167]
	s_clause 0x1
	buffer_load_dword v167, off, s[0:3], 0 offset:836
	buffer_load_dword v166, off, s[0:3], 0 offset:832
	ds_read_b128 v[1:4], v133 offset:1456
	s_waitcnt vmcnt(55) lgkmcnt(1)
	v_mul_f64 v[186:187], v[7:8], v[193:194]
	v_mul_f64 v[182:183], v[5:6], v[193:194]
	s_waitcnt vmcnt(53)
	v_fma_f64 v[180:181], v[113:114], v[140:141], -v[180:181]
	v_fma_f64 v[140:141], v[115:116], v[140:141], v[184:185]
	ds_read_b128 v[113:116], v133 offset:1472
	v_add_f64 v[117:118], v[117:118], v[176:177]
	v_add_f64 v[119:120], v[119:120], v[170:171]
	s_waitcnt vmcnt(49) lgkmcnt(1)
	v_mul_f64 v[170:171], v[1:2], v[129:130]
	v_mul_f64 v[129:130], v[3:4], v[129:130]
	s_waitcnt vmcnt(48)
	v_fma_f64 v[176:177], v[5:6], v[195:196], -v[186:187]
	v_add_f64 v[117:118], v[117:118], v[180:181]
	v_fma_f64 v[180:181], v[7:8], v[195:196], v[182:183]
	v_add_f64 v[119:120], v[119:120], v[140:141]
	s_clause 0x3
	buffer_load_dword v140, off, s[0:3], 0 offset:320
	buffer_load_dword v141, off, s[0:3], 0 offset:324
	;; [unrolled: 1-line block ×4, first 2 shown]
	ds_read_b128 v[5:8], v133 offset:1488
	s_waitcnt vmcnt(51) lgkmcnt(1)
	v_mul_f64 v[184:185], v[113:114], v[142:143]
	v_mul_f64 v[142:143], v[115:116], v[142:143]
	s_waitcnt vmcnt(49)
	v_fma_f64 v[129:130], v[1:2], v[123:124], -v[129:130]
	v_fma_f64 v[123:124], v[3:4], v[123:124], v[170:171]
	ds_read_b128 v[1:4], v133 offset:1504
	v_add_f64 v[117:118], v[117:118], v[176:177]
	v_add_f64 v[119:120], v[119:120], v[180:181]
	s_waitcnt vmcnt(45) lgkmcnt(1)
	v_mul_f64 v[170:171], v[5:6], v[136:137]
	v_mul_f64 v[136:137], v[7:8], v[136:137]
	s_waitcnt vmcnt(44)
	v_fma_f64 v[142:143], v[113:114], v[191:192], -v[142:143]
	v_add_f64 v[117:118], v[117:118], v[129:130]
	v_fma_f64 v[129:130], v[115:116], v[191:192], v[184:185]
	v_add_f64 v[119:120], v[119:120], v[123:124]
	ds_read_b128 v[113:116], v133 offset:1520
	s_waitcnt vmcnt(43) lgkmcnt(1)
	v_mul_f64 v[123:124], v[1:2], v[144:145]
	v_mul_f64 v[144:145], v[3:4], v[144:145]
	s_waitcnt vmcnt(41)
	v_fma_f64 v[136:137], v[5:6], v[125:126], -v[136:137]
	v_fma_f64 v[125:126], v[7:8], v[125:126], v[170:171]
	ds_read_b128 v[5:8], v133 offset:1536
	v_add_f64 v[117:118], v[117:118], v[142:143]
	v_add_f64 v[119:120], v[119:120], v[129:130]
	s_waitcnt vmcnt(37) lgkmcnt(1)
	v_mul_f64 v[129:130], v[113:114], v[121:122]
	v_mul_f64 v[121:122], v[115:116], v[121:122]
	s_waitcnt vmcnt(36)
	v_fma_f64 v[142:143], v[1:2], v[146:147], -v[144:145]
	v_fma_f64 v[123:124], v[3:4], v[146:147], v[123:124]
	ds_read_b128 v[1:4], v133 offset:1552
	v_add_f64 v[117:118], v[117:118], v[136:137]
	v_add_f64 v[119:120], v[119:120], v[125:126]
	;; [unrolled: 9-line block ×3, first 2 shown]
	s_waitcnt vmcnt(29) lgkmcnt(1)
	v_mul_f64 v[123:124], v[1:2], v[127:128]
	v_mul_f64 v[127:128], v[3:4], v[127:128]
	s_waitcnt vmcnt(28)
	v_fma_f64 v[131:132], v[5:6], v[152:153], -v[136:137]
	v_add_f64 v[117:118], v[117:118], v[121:122]
	v_fma_f64 v[121:122], v[7:8], v[152:153], v[125:126]
	v_add_f64 v[119:120], v[119:120], v[129:130]
	ds_read_b128 v[5:8], v133 offset:1584
	s_waitcnt vmcnt(27) lgkmcnt(1)
	v_mul_f64 v[129:130], v[115:116], v[156:157]
	v_mul_f64 v[125:126], v[113:114], v[156:157]
	s_waitcnt vmcnt(25)
	v_fma_f64 v[127:128], v[1:2], v[138:139], -v[127:128]
	v_fma_f64 v[123:124], v[3:4], v[138:139], v[123:124]
	ds_read_b128 v[1:4], v133 offset:1600
	v_add_f64 v[117:118], v[117:118], v[131:132]
	v_add_f64 v[119:120], v[119:120], v[121:122]
	s_waitcnt vmcnt(21) lgkmcnt(1)
	v_mul_f64 v[131:132], v[7:8], v[134:135]
	s_waitcnt vmcnt(20)
	v_fma_f64 v[129:130], v[113:114], v[160:161], -v[129:130]
	v_mul_f64 v[121:122], v[5:6], v[134:135]
	v_fma_f64 v[125:126], v[115:116], v[160:161], v[125:126]
	ds_read_b128 v[113:116], v133 offset:1616
	v_add_f64 v[117:118], v[117:118], v[127:128]
	v_add_f64 v[119:120], v[119:120], v[123:124]
	s_waitcnt vmcnt(19) lgkmcnt(1)
	v_mul_f64 v[127:128], v[3:4], v[164:165]
	v_mul_f64 v[123:124], v[1:2], v[164:165]
	s_waitcnt vmcnt(17)
	v_fma_f64 v[131:132], v[5:6], v[148:149], -v[131:132]
	v_fma_f64 v[121:122], v[7:8], v[148:149], v[121:122]
	ds_read_b128 v[5:8], v133 offset:1632
	v_add_f64 v[117:118], v[117:118], v[129:130]
	v_add_f64 v[119:120], v[119:120], v[125:126]
	s_waitcnt vmcnt(13) lgkmcnt(1)
	v_mul_f64 v[129:130], v[115:116], v[154:155]
	s_waitcnt vmcnt(12)
	v_fma_f64 v[127:128], v[1:2], v[168:169], -v[127:128]
	v_mul_f64 v[125:126], v[113:114], v[154:155]
	v_fma_f64 v[123:124], v[3:4], v[168:169], v[123:124]
	ds_read_b128 v[1:4], v133 offset:1648
	v_add_f64 v[117:118], v[117:118], v[131:132]
	v_add_f64 v[119:120], v[119:120], v[121:122]
	s_waitcnt vmcnt(11) lgkmcnt(1)
	v_mul_f64 v[131:132], v[7:8], v[174:175]
	v_mul_f64 v[121:122], v[5:6], v[174:175]
	s_waitcnt vmcnt(9)
	v_fma_f64 v[113:114], v[113:114], v[158:159], -v[129:130]
	v_fma_f64 v[115:116], v[115:116], v[158:159], v[125:126]
	v_add_f64 v[117:118], v[117:118], v[127:128]
	v_add_f64 v[119:120], v[119:120], v[123:124]
	s_waitcnt vmcnt(7) lgkmcnt(0)
	v_mul_f64 v[125:126], v[3:4], v[162:163]
	s_waitcnt vmcnt(6)
	v_fma_f64 v[5:6], v[5:6], v[178:179], -v[131:132]
	v_mul_f64 v[123:124], v[1:2], v[162:163]
	v_fma_f64 v[7:8], v[7:8], v[178:179], v[121:122]
	v_add_f64 v[113:114], v[117:118], v[113:114]
	v_add_f64 v[115:116], v[119:120], v[115:116]
	s_waitcnt vmcnt(4)
	v_fma_f64 v[1:2], v[1:2], v[166:167], -v[125:126]
	v_fma_f64 v[3:4], v[3:4], v[166:167], v[123:124]
	v_add_f64 v[5:6], v[113:114], v[5:6]
	v_add_f64 v[7:8], v[115:116], v[7:8]
	;; [unrolled: 1-line block ×4, first 2 shown]
	s_waitcnt vmcnt(2)
	v_add_f64 v[1:2], v[140:141], -v[1:2]
	s_waitcnt vmcnt(0)
	v_add_f64 v[3:4], v[182:183], -v[3:4]
	buffer_store_dword v2, off, s[0:3], 0 offset:324
	buffer_store_dword v1, off, s[0:3], 0 offset:320
	;; [unrolled: 1-line block ×4, first 2 shown]
	v_cmpx_lt_u32_e32 18, v0
	s_cbranch_execz .LBB115_289
; %bb.288:
	v_mov_b32_e32 v4, s46
	v_mov_b32_e32 v5, 0
	s_clause 0x3
	buffer_load_dword v1, v4, s[0:3], 0 offen
	buffer_load_dword v2, v4, s[0:3], 0 offen offset:4
	buffer_load_dword v3, v4, s[0:3], 0 offen offset:8
	;; [unrolled: 1-line block ×3, first 2 shown]
	buffer_store_dword v5, off, s[0:3], 0 offset:304
	buffer_store_dword v5, off, s[0:3], 0 offset:308
	;; [unrolled: 1-line block ×4, first 2 shown]
	s_waitcnt vmcnt(0)
	ds_write_b128 v173, v[1:4]
.LBB115_289:
	s_or_b32 exec_lo, exec_lo, s4
	s_waitcnt lgkmcnt(0)
	s_waitcnt_vscnt null, 0x0
	s_barrier
	buffer_gl0_inv
	s_clause 0x37
	buffer_load_dword v113, off, s[0:3], 0 offset:328
	buffer_load_dword v114, off, s[0:3], 0 offset:332
	;; [unrolled: 1-line block ×56, first 2 shown]
	v_mov_b32_e32 v155, 0
	s_mov_b32 s4, exec_lo
	ds_read_b128 v[143:146], v155 offset:1136
	s_clause 0x2
	buffer_load_dword v175, off, s[0:3], 0 offset:556
	buffer_load_dword v179, off, s[0:3], 0 offset:532
	;; [unrolled: 1-line block ×3, first 2 shown]
	ds_read_b128 v[147:150], v155 offset:1152
	s_clause 0x4
	buffer_load_dword v183, off, s[0:3], 0 offset:572
	buffer_load_dword v184, off, s[0:3], 0 offset:584
	;; [unrolled: 1-line block ×5, first 2 shown]
	ds_read_b128 v[151:154], v155 offset:1168
	s_clause 0x2
	buffer_load_dword v185, off, s[0:3], 0 offset:588
	buffer_load_dword v190, off, s[0:3], 0 offset:564
	;; [unrolled: 1-line block ×3, first 2 shown]
	s_waitcnt vmcnt(62) lgkmcnt(2)
	v_mul_f64 v[180:181], v[145:146], v[113:114]
	v_mul_f64 v[113:114], v[143:144], v[113:114]
	s_waitcnt lgkmcnt(1)
	v_mul_f64 v[187:188], v[149:150], v[5:6]
	s_waitcnt vmcnt(59) lgkmcnt(0)
	v_mul_f64 v[191:192], v[153:154], v[3:4]
	v_fma_f64 v[143:144], v[143:144], v[7:8], -v[180:181]
	v_mul_f64 v[180:181], v[147:148], v[5:6]
	v_fma_f64 v[113:114], v[145:146], v[7:8], v[113:114]
	s_waitcnt vmcnt(57)
	v_fma_f64 v[147:148], v[147:148], v[1:2], -v[187:188]
	ds_read_b128 v[5:8], v155 offset:1184
	v_mul_f64 v[145:146], v[151:152], v[3:4]
	s_waitcnt vmcnt(51)
	v_fma_f64 v[151:152], v[151:152], v[129:130], -v[191:192]
	v_add_f64 v[143:144], v[143:144], 0
	v_fma_f64 v[149:150], v[149:150], v[1:2], v[180:181]
	v_add_f64 v[113:114], v[113:114], 0
	s_clause 0x4
	buffer_load_dword v181, off, s[0:3], 0 offset:604
	buffer_load_dword v193, off, s[0:3], 0 offset:616
	;; [unrolled: 1-line block ×5, first 2 shown]
	s_waitcnt lgkmcnt(0)
	v_mul_f64 v[196:197], v[5:6], v[117:118]
	v_mul_f64 v[117:118], v[7:8], v[117:118]
	ds_read_b128 v[1:4], v155 offset:1200
	v_fma_f64 v[129:130], v[153:154], v[129:130], v[145:146]
	v_add_f64 v[147:148], v[143:144], v[147:148]
	v_add_f64 v[113:114], v[113:114], v[149:150]
	s_clause 0x2
	buffer_load_dword v194, off, s[0:3], 0 offset:620
	buffer_load_dword v150, off, s[0:3], 0 offset:596
	buffer_load_dword v149, off, s[0:3], 0 offset:592
	s_waitcnt vmcnt(58) lgkmcnt(0)
	v_mul_f64 v[153:154], v[1:2], v[121:122]
	v_mul_f64 v[121:122], v[3:4], v[121:122]
	s_waitcnt vmcnt(56)
	v_fma_f64 v[117:118], v[5:6], v[123:124], -v[117:118]
	ds_read_b128 v[143:146], v155 offset:1216
	v_fma_f64 v[123:124], v[7:8], v[123:124], v[196:197]
	v_add_f64 v[147:148], v[147:148], v[151:152]
	v_add_f64 v[113:114], v[113:114], v[129:130]
	s_clause 0x4
	buffer_load_dword v130, off, s[0:3], 0 offset:636
	buffer_load_dword v151, off, s[0:3], 0 offset:648
	;; [unrolled: 1-line block ×5, first 2 shown]
	ds_read_b128 v[5:8], v155 offset:1232
	s_waitcnt vmcnt(57) lgkmcnt(1)
	v_mul_f64 v[197:198], v[143:144], v[125:126]
	v_mul_f64 v[125:126], v[145:146], v[125:126]
	s_waitcnt vmcnt(56)
	v_fma_f64 v[121:122], v[1:2], v[115:116], -v[121:122]
	v_fma_f64 v[115:116], v[3:4], v[115:116], v[153:154]
	v_add_f64 v[117:118], v[147:148], v[117:118]
	v_add_f64 v[113:114], v[113:114], v[123:124]
	s_clause 0x2
	buffer_load_dword v152, off, s[0:3], 0 offset:652
	buffer_load_dword v124, off, s[0:3], 0 offset:628
	;; [unrolled: 1-line block ×3, first 2 shown]
	s_waitcnt vmcnt(58) lgkmcnt(0)
	v_mul_f64 v[147:148], v[5:6], v[131:132]
	v_mul_f64 v[131:132], v[7:8], v[131:132]
	s_waitcnt vmcnt(56)
	v_fma_f64 v[125:126], v[143:144], v[133:134], -v[125:126]
	ds_read_b128 v[1:4], v155 offset:1248
	v_add_f64 v[117:118], v[117:118], v[121:122]
	v_fma_f64 v[121:122], v[145:146], v[133:134], v[197:198]
	v_add_f64 v[133:134], v[113:114], v[115:116]
	s_clause 0x4
	buffer_load_dword v144, off, s[0:3], 0 offset:668
	buffer_load_dword v145, off, s[0:3], 0 offset:680
	;; [unrolled: 1-line block ×5, first 2 shown]
	ds_read_b128 v[113:116], v155 offset:1264
	s_waitcnt vmcnt(57) lgkmcnt(1)
	v_mul_f64 v[197:198], v[1:2], v[135:136]
	v_mul_f64 v[135:136], v[3:4], v[135:136]
	s_waitcnt vmcnt(56)
	v_fma_f64 v[131:132], v[5:6], v[119:120], -v[131:132]
	v_fma_f64 v[119:120], v[7:8], v[119:120], v[147:148]
	v_add_f64 v[117:118], v[117:118], v[125:126]
	s_clause 0x2
	buffer_load_dword v146, off, s[0:3], 0 offset:684
	buffer_load_dword v126, off, s[0:3], 0 offset:660
	;; [unrolled: 1-line block ×3, first 2 shown]
	v_add_f64 v[121:122], v[133:134], v[121:122]
	s_waitcnt vmcnt(58) lgkmcnt(0)
	v_mul_f64 v[133:134], v[113:114], v[139:140]
	v_mul_f64 v[139:140], v[115:116], v[139:140]
	ds_read_b128 v[5:8], v155 offset:1280
	s_waitcnt vmcnt(56)
	v_fma_f64 v[135:136], v[1:2], v[141:142], -v[135:136]
	v_add_f64 v[117:118], v[117:118], v[131:132]
	v_fma_f64 v[131:132], v[3:4], v[141:142], v[197:198]
	v_add_f64 v[119:120], v[121:122], v[119:120]
	s_clause 0x4
	buffer_load_dword v122, off, s[0:3], 0 offset:700
	buffer_load_dword v141, off, s[0:3], 0 offset:712
	;; [unrolled: 1-line block ×5, first 2 shown]
	s_waitcnt vmcnt(57) lgkmcnt(0)
	v_mul_f64 v[197:198], v[5:6], v[156:157]
	v_mul_f64 v[156:157], v[7:8], v[156:157]
	s_waitcnt vmcnt(56)
	v_fma_f64 v[139:140], v[113:114], v[127:128], -v[139:140]
	ds_read_b128 v[1:4], v155 offset:1296
	v_fma_f64 v[127:128], v[115:116], v[127:128], v[133:134]
	v_add_f64 v[117:118], v[117:118], v[135:136]
	v_add_f64 v[119:120], v[119:120], v[131:132]
	s_clause 0x2
	buffer_load_dword v142, off, s[0:3], 0 offset:716
	buffer_load_dword v132, off, s[0:3], 0 offset:692
	;; [unrolled: 1-line block ×3, first 2 shown]
	ds_read_b128 v[113:116], v155 offset:1312
	s_waitcnt vmcnt(58) lgkmcnt(1)
	v_mul_f64 v[135:136], v[3:4], v[158:159]
	s_waitcnt vmcnt(56)
	v_fma_f64 v[156:157], v[5:6], v[160:161], -v[156:157]
	v_mul_f64 v[133:134], v[1:2], v[158:159]
	v_add_f64 v[117:118], v[117:118], v[139:140]
	v_fma_f64 v[139:140], v[7:8], v[160:161], v[197:198]
	v_add_f64 v[119:120], v[119:120], v[127:128]
	s_clause 0x4
	buffer_load_dword v128, off, s[0:3], 0 offset:732
	buffer_load_dword v158, off, s[0:3], 0 offset:744
	buffer_load_dword v160, off, s[0:3], 0 offset:736
	buffer_load_dword v127, off, s[0:3], 0 offset:728
	buffer_load_dword v148, off, s[0:3], 0 offset:708
	s_waitcnt vmcnt(57) lgkmcnt(0)
	v_mul_f64 v[197:198], v[113:114], v[162:163]
	v_mul_f64 v[161:162], v[115:116], v[162:163]
	s_waitcnt vmcnt(56)
	v_fma_f64 v[135:136], v[1:2], v[137:138], -v[135:136]
	ds_read_b128 v[5:8], v155 offset:1328
	v_fma_f64 v[133:134], v[3:4], v[137:138], v[133:134]
	s_clause 0x2
	buffer_load_dword v159, off, s[0:3], 0 offset:748
	buffer_load_dword v138, off, s[0:3], 0 offset:724
	;; [unrolled: 1-line block ×3, first 2 shown]
	ds_read_b128 v[1:4], v155 offset:1344
	v_add_f64 v[117:118], v[117:118], v[156:157]
	v_add_f64 v[119:120], v[119:120], v[139:140]
	s_waitcnt vmcnt(58) lgkmcnt(1)
	v_mul_f64 v[156:157], v[7:8], v[164:165]
	s_waitcnt vmcnt(56)
	v_fma_f64 v[162:163], v[113:114], v[168:169], -v[161:162]
	v_mul_f64 v[139:140], v[5:6], v[164:165]
	v_add_f64 v[117:118], v[117:118], v[135:136]
	v_fma_f64 v[135:136], v[115:116], v[168:169], v[197:198]
	v_add_f64 v[119:120], v[119:120], v[133:134]
	s_clause 0x4
	buffer_load_dword v134, off, s[0:3], 0 offset:764
	buffer_load_dword v164, off, s[0:3], 0 offset:776
	;; [unrolled: 1-line block ×5, first 2 shown]
	s_waitcnt vmcnt(57) lgkmcnt(0)
	v_mul_f64 v[197:198], v[1:2], v[170:171]
	v_mul_f64 v[169:170], v[3:4], v[170:171]
	s_waitcnt vmcnt(56)
	v_fma_f64 v[156:157], v[5:6], v[166:167], -v[156:157]
	ds_read_b128 v[113:116], v155 offset:1360
	v_fma_f64 v[139:140], v[7:8], v[166:167], v[139:140]
	v_add_f64 v[117:118], v[117:118], v[162:163]
	v_add_f64 v[119:120], v[119:120], v[135:136]
	s_clause 0x2
	buffer_load_dword v165, off, s[0:3], 0 offset:780
	buffer_load_dword v136, off, s[0:3], 0 offset:756
	;; [unrolled: 1-line block ×3, first 2 shown]
	ds_read_b128 v[5:8], v155 offset:1376
	s_waitcnt vmcnt(58) lgkmcnt(1)
	v_mul_f64 v[166:167], v[115:116], v[174:175]
	s_waitcnt vmcnt(56)
	v_fma_f64 v[170:171], v[1:2], v[178:179], -v[169:170]
	v_mul_f64 v[162:163], v[113:114], v[174:175]
	v_add_f64 v[117:118], v[117:118], v[156:157]
	v_fma_f64 v[156:157], v[3:4], v[178:179], v[197:198]
	v_add_f64 v[119:120], v[119:120], v[139:140]
	s_clause 0x4
	buffer_load_dword v140, off, s[0:3], 0 offset:796
	buffer_load_dword v174, off, s[0:3], 0 offset:808
	;; [unrolled: 1-line block ×5, first 2 shown]
	s_waitcnt vmcnt(57) lgkmcnt(0)
	v_mul_f64 v[197:198], v[5:6], v[182:183]
	v_mul_f64 v[182:183], v[7:8], v[182:183]
	s_waitcnt vmcnt(56)
	v_fma_f64 v[166:167], v[113:114], v[176:177], -v[166:167]
	ds_read_b128 v[1:4], v155 offset:1392
	v_fma_f64 v[162:163], v[115:116], v[176:177], v[162:163]
	v_add_f64 v[117:118], v[117:118], v[170:171]
	v_add_f64 v[119:120], v[119:120], v[156:157]
	s_clause 0x2
	buffer_load_dword v175, off, s[0:3], 0 offset:812
	buffer_load_dword v157, off, s[0:3], 0 offset:788
	;; [unrolled: 1-line block ×3, first 2 shown]
	ds_read_b128 v[113:116], v155 offset:1408
	s_waitcnt vmcnt(58) lgkmcnt(1)
	v_mul_f64 v[176:177], v[3:4], v[184:185]
	s_waitcnt vmcnt(56)
	v_fma_f64 v[182:183], v[5:6], v[189:190], -v[182:183]
	v_mul_f64 v[170:171], v[1:2], v[184:185]
	v_add_f64 v[117:118], v[117:118], v[166:167]
	v_fma_f64 v[166:167], v[7:8], v[189:190], v[197:198]
	v_add_f64 v[119:120], v[119:120], v[162:163]
	s_clause 0x4
	buffer_load_dword v163, off, s[0:3], 0 offset:828
	buffer_load_dword v184, off, s[0:3], 0 offset:840
	;; [unrolled: 1-line block ×5, first 2 shown]
	ds_read_b128 v[5:8], v155 offset:1424
	s_waitcnt vmcnt(57) lgkmcnt(1)
	v_mul_f64 v[189:190], v[113:114], v[180:181]
	v_mul_f64 v[180:181], v[115:116], v[180:181]
	s_waitcnt vmcnt(56)
	v_fma_f64 v[176:177], v[1:2], v[186:187], -v[176:177]
	v_fma_f64 v[170:171], v[3:4], v[186:187], v[170:171]
	v_add_f64 v[117:118], v[117:118], v[182:183]
	v_add_f64 v[119:120], v[119:120], v[166:167]
	s_clause 0x2
	buffer_load_dword v185, off, s[0:3], 0 offset:844
	buffer_load_dword v167, off, s[0:3], 0 offset:820
	;; [unrolled: 1-line block ×3, first 2 shown]
	ds_read_b128 v[1:4], v155 offset:1440
	s_waitcnt vmcnt(58) lgkmcnt(1)
	v_mul_f64 v[186:187], v[7:8], v[193:194]
	v_mul_f64 v[182:183], v[5:6], v[193:194]
	s_waitcnt vmcnt(56)
	v_fma_f64 v[180:181], v[113:114], v[149:150], -v[180:181]
	v_fma_f64 v[149:150], v[115:116], v[149:150], v[189:190]
	buffer_load_dword v189, off, s[0:3], 0 offset:836
	ds_read_b128 v[113:116], v155 offset:1456
	v_add_f64 v[117:118], v[117:118], v[176:177]
	v_add_f64 v[119:120], v[119:120], v[170:171]
	s_waitcnt vmcnt(53) lgkmcnt(1)
	v_mul_f64 v[170:171], v[1:2], v[129:130]
	v_mul_f64 v[129:130], v[3:4], v[129:130]
	s_waitcnt vmcnt(52)
	v_fma_f64 v[176:177], v[5:6], v[195:196], -v[186:187]
	v_add_f64 v[117:118], v[117:118], v[180:181]
	v_fma_f64 v[180:181], v[7:8], v[195:196], v[182:183]
	v_add_f64 v[119:120], v[119:120], v[149:150]
	ds_read_b128 v[5:8], v155 offset:1472
	s_waitcnt vmcnt(51) lgkmcnt(1)
	v_mul_f64 v[149:150], v[113:114], v[151:152]
	v_mul_f64 v[151:152], v[115:116], v[151:152]
	s_waitcnt vmcnt(49)
	v_fma_f64 v[129:130], v[1:2], v[123:124], -v[129:130]
	v_fma_f64 v[123:124], v[3:4], v[123:124], v[170:171]
	v_add_f64 v[117:118], v[117:118], v[176:177]
	s_clause 0x3
	buffer_load_dword v170, off, s[0:3], 0 offset:304
	buffer_load_dword v171, off, s[0:3], 0 offset:308
	;; [unrolled: 1-line block ×4, first 2 shown]
	v_add_f64 v[119:120], v[119:120], v[180:181]
	ds_read_b128 v[1:4], v155 offset:1488
	s_waitcnt vmcnt(49) lgkmcnt(1)
	v_mul_f64 v[180:181], v[5:6], v[143:144]
	v_mul_f64 v[143:144], v[7:8], v[143:144]
	s_waitcnt vmcnt(48)
	v_fma_f64 v[151:152], v[113:114], v[191:192], -v[151:152]
	v_add_f64 v[117:118], v[117:118], v[129:130]
	v_fma_f64 v[129:130], v[115:116], v[191:192], v[149:150]
	v_add_f64 v[119:120], v[119:120], v[123:124]
	ds_read_b128 v[113:116], v155 offset:1504
	s_waitcnt vmcnt(47) lgkmcnt(1)
	v_mul_f64 v[123:124], v[1:2], v[145:146]
	v_mul_f64 v[145:146], v[3:4], v[145:146]
	s_waitcnt vmcnt(45)
	v_fma_f64 v[143:144], v[5:6], v[125:126], -v[143:144]
	v_fma_f64 v[125:126], v[7:8], v[125:126], v[180:181]
	ds_read_b128 v[5:8], v155 offset:1520
	v_add_f64 v[117:118], v[117:118], v[151:152]
	v_add_f64 v[119:120], v[119:120], v[129:130]
	s_waitcnt vmcnt(41) lgkmcnt(1)
	v_mul_f64 v[129:130], v[113:114], v[121:122]
	v_mul_f64 v[121:122], v[115:116], v[121:122]
	s_waitcnt vmcnt(40)
	v_fma_f64 v[145:146], v[1:2], v[153:154], -v[145:146]
	v_fma_f64 v[123:124], v[3:4], v[153:154], v[123:124]
	ds_read_b128 v[1:4], v155 offset:1536
	v_add_f64 v[117:118], v[117:118], v[143:144]
	v_add_f64 v[119:120], v[119:120], v[125:126]
	;; [unrolled: 9-line block ×3, first 2 shown]
	s_waitcnt vmcnt(33) lgkmcnt(1)
	v_mul_f64 v[123:124], v[1:2], v[127:128]
	v_mul_f64 v[127:128], v[3:4], v[127:128]
	s_waitcnt vmcnt(32)
	v_fma_f64 v[131:132], v[5:6], v[147:148], -v[141:142]
	v_add_f64 v[117:118], v[117:118], v[121:122]
	v_fma_f64 v[121:122], v[7:8], v[147:148], v[125:126]
	v_add_f64 v[119:120], v[119:120], v[129:130]
	ds_read_b128 v[5:8], v155 offset:1568
	s_waitcnt vmcnt(31) lgkmcnt(1)
	v_mul_f64 v[129:130], v[115:116], v[158:159]
	v_mul_f64 v[125:126], v[113:114], v[158:159]
	s_waitcnt vmcnt(29)
	v_fma_f64 v[123:124], v[3:4], v[137:138], v[123:124]
	v_fma_f64 v[127:128], v[1:2], v[137:138], -v[127:128]
	ds_read_b128 v[1:4], v155 offset:1584
	v_add_f64 v[117:118], v[117:118], v[131:132]
	v_add_f64 v[119:120], v[119:120], v[121:122]
	s_waitcnt vmcnt(25) lgkmcnt(1)
	v_mul_f64 v[131:132], v[7:8], v[133:134]
	s_waitcnt vmcnt(24)
	v_fma_f64 v[129:130], v[113:114], v[160:161], -v[129:130]
	v_mul_f64 v[121:122], v[5:6], v[133:134]
	v_fma_f64 v[125:126], v[115:116], v[160:161], v[125:126]
	ds_read_b128 v[113:116], v155 offset:1600
	v_add_f64 v[117:118], v[117:118], v[127:128]
	v_add_f64 v[119:120], v[119:120], v[123:124]
	s_waitcnt vmcnt(23) lgkmcnt(1)
	v_mul_f64 v[127:128], v[3:4], v[164:165]
	v_mul_f64 v[123:124], v[1:2], v[164:165]
	s_waitcnt vmcnt(21)
	v_fma_f64 v[131:132], v[5:6], v[135:136], -v[131:132]
	v_fma_f64 v[121:122], v[7:8], v[135:136], v[121:122]
	ds_read_b128 v[5:8], v155 offset:1616
	v_add_f64 v[117:118], v[117:118], v[129:130]
	v_add_f64 v[119:120], v[119:120], v[125:126]
	s_waitcnt vmcnt(17) lgkmcnt(1)
	v_mul_f64 v[129:130], v[115:116], v[139:140]
	s_waitcnt vmcnt(16)
	v_fma_f64 v[127:128], v[1:2], v[168:169], -v[127:128]
	v_mul_f64 v[125:126], v[113:114], v[139:140]
	v_fma_f64 v[123:124], v[3:4], v[168:169], v[123:124]
	ds_read_b128 v[1:4], v155 offset:1632
	v_add_f64 v[117:118], v[117:118], v[131:132]
	v_add_f64 v[119:120], v[119:120], v[121:122]
	s_waitcnt vmcnt(15) lgkmcnt(1)
	v_mul_f64 v[131:132], v[7:8], v[174:175]
	v_mul_f64 v[121:122], v[5:6], v[174:175]
	s_waitcnt vmcnt(13)
	v_fma_f64 v[129:130], v[113:114], v[156:157], -v[129:130]
	v_fma_f64 v[125:126], v[115:116], v[156:157], v[125:126]
	ds_read_b128 v[113:116], v155 offset:1648
	v_add_f64 v[117:118], v[117:118], v[127:128]
	v_add_f64 v[119:120], v[119:120], v[123:124]
	s_waitcnt vmcnt(9) lgkmcnt(1)
	v_mul_f64 v[127:128], v[3:4], v[162:163]
	s_waitcnt vmcnt(8)
	v_fma_f64 v[5:6], v[5:6], v[178:179], -v[131:132]
	v_mul_f64 v[123:124], v[1:2], v[162:163]
	v_fma_f64 v[7:8], v[7:8], v[178:179], v[121:122]
	v_add_f64 v[117:118], v[117:118], v[129:130]
	v_add_f64 v[119:120], v[119:120], v[125:126]
	s_waitcnt vmcnt(7) lgkmcnt(0)
	v_mul_f64 v[125:126], v[115:116], v[184:185]
	v_mul_f64 v[121:122], v[113:114], v[184:185]
	s_waitcnt vmcnt(5)
	v_fma_f64 v[1:2], v[1:2], v[166:167], -v[127:128]
	v_fma_f64 v[3:4], v[3:4], v[166:167], v[123:124]
	v_add_f64 v[5:6], v[117:118], v[5:6]
	v_add_f64 v[7:8], v[119:120], v[7:8]
	s_waitcnt vmcnt(4)
	v_fma_f64 v[113:114], v[113:114], v[188:189], -v[125:126]
	v_add_f64 v[1:2], v[5:6], v[1:2]
	v_fma_f64 v[5:6], v[115:116], v[188:189], v[121:122]
	v_add_f64 v[3:4], v[7:8], v[3:4]
	v_add_f64 v[1:2], v[1:2], v[113:114]
	;; [unrolled: 1-line block ×3, first 2 shown]
	s_waitcnt vmcnt(2)
	v_add_f64 v[1:2], v[170:171], -v[1:2]
	s_waitcnt vmcnt(0)
	v_add_f64 v[3:4], v[176:177], -v[3:4]
	buffer_store_dword v2, off, s[0:3], 0 offset:308
	buffer_store_dword v1, off, s[0:3], 0 offset:304
	;; [unrolled: 1-line block ×4, first 2 shown]
	v_cmpx_lt_u32_e32 17, v0
	s_cbranch_execz .LBB115_291
; %bb.290:
	v_mov_b32_e32 v4, s47
	s_clause 0x3
	buffer_load_dword v1, v4, s[0:3], 0 offen
	buffer_load_dword v2, v4, s[0:3], 0 offen offset:4
	buffer_load_dword v3, v4, s[0:3], 0 offen offset:8
	;; [unrolled: 1-line block ×3, first 2 shown]
	buffer_store_dword v155, off, s[0:3], 0 offset:288
	buffer_store_dword v155, off, s[0:3], 0 offset:292
	;; [unrolled: 1-line block ×4, first 2 shown]
	s_waitcnt vmcnt(0)
	ds_write_b128 v173, v[1:4]
.LBB115_291:
	s_or_b32 exec_lo, exec_lo, s4
	s_waitcnt lgkmcnt(0)
	s_waitcnt_vscnt null, 0x0
	s_barrier
	buffer_gl0_inv
	s_clause 0x37
	buffer_load_dword v113, off, s[0:3], 0 offset:312
	buffer_load_dword v114, off, s[0:3], 0 offset:316
	;; [unrolled: 1-line block ×56, first 2 shown]
	ds_read_b128 v[156:159], v155 offset:1120
	s_clause 0x2
	buffer_load_dword v177, off, s[0:3], 0 offset:540
	buffer_load_dword v179, off, s[0:3], 0 offset:516
	;; [unrolled: 1-line block ×3, first 2 shown]
	ds_read_b128 v[160:163], v155 offset:1136
	s_clause 0x4
	buffer_load_dword v183, off, s[0:3], 0 offset:556
	buffer_load_dword v184, off, s[0:3], 0 offset:568
	;; [unrolled: 1-line block ×5, first 2 shown]
	ds_read_b128 v[164:167], v155 offset:1152
	s_clause 0x2
	buffer_load_dword v185, off, s[0:3], 0 offset:572
	buffer_load_dword v190, off, s[0:3], 0 offset:548
	;; [unrolled: 1-line block ×3, first 2 shown]
	s_mov_b32 s4, exec_lo
	s_waitcnt vmcnt(62) lgkmcnt(2)
	v_mul_f64 v[180:181], v[158:159], v[113:114]
	v_mul_f64 v[113:114], v[156:157], v[113:114]
	s_waitcnt lgkmcnt(1)
	v_mul_f64 v[187:188], v[162:163], v[5:6]
	s_waitcnt vmcnt(59) lgkmcnt(0)
	v_mul_f64 v[191:192], v[166:167], v[3:4]
	v_fma_f64 v[156:157], v[156:157], v[7:8], -v[180:181]
	v_mul_f64 v[180:181], v[160:161], v[5:6]
	v_fma_f64 v[113:114], v[158:159], v[7:8], v[113:114]
	s_waitcnt vmcnt(57)
	v_fma_f64 v[160:161], v[160:161], v[1:2], -v[187:188]
	ds_read_b128 v[5:8], v155 offset:1168
	v_mul_f64 v[158:159], v[164:165], v[3:4]
	s_waitcnt vmcnt(51)
	v_fma_f64 v[164:165], v[164:165], v[129:130], -v[191:192]
	v_add_f64 v[156:157], v[156:157], 0
	v_fma_f64 v[162:163], v[162:163], v[1:2], v[180:181]
	v_add_f64 v[113:114], v[113:114], 0
	s_clause 0x4
	buffer_load_dword v181, off, s[0:3], 0 offset:588
	buffer_load_dword v193, off, s[0:3], 0 offset:600
	;; [unrolled: 1-line block ×5, first 2 shown]
	s_waitcnt lgkmcnt(0)
	v_mul_f64 v[196:197], v[5:6], v[117:118]
	v_mul_f64 v[117:118], v[7:8], v[117:118]
	ds_read_b128 v[1:4], v155 offset:1184
	v_fma_f64 v[129:130], v[166:167], v[129:130], v[158:159]
	v_add_f64 v[160:161], v[156:157], v[160:161]
	v_add_f64 v[113:114], v[113:114], v[162:163]
	s_clause 0x2
	buffer_load_dword v194, off, s[0:3], 0 offset:604
	buffer_load_dword v163, off, s[0:3], 0 offset:580
	;; [unrolled: 1-line block ×3, first 2 shown]
	s_waitcnt vmcnt(58) lgkmcnt(0)
	v_mul_f64 v[166:167], v[1:2], v[121:122]
	v_mul_f64 v[121:122], v[3:4], v[121:122]
	s_waitcnt vmcnt(56)
	v_fma_f64 v[117:118], v[5:6], v[123:124], -v[117:118]
	ds_read_b128 v[156:159], v155 offset:1200
	v_fma_f64 v[123:124], v[7:8], v[123:124], v[196:197]
	v_add_f64 v[160:161], v[160:161], v[164:165]
	v_add_f64 v[113:114], v[113:114], v[129:130]
	s_clause 0x4
	buffer_load_dword v130, off, s[0:3], 0 offset:620
	buffer_load_dword v164, off, s[0:3], 0 offset:632
	;; [unrolled: 1-line block ×5, first 2 shown]
	ds_read_b128 v[5:8], v155 offset:1216
	s_waitcnt vmcnt(57) lgkmcnt(1)
	v_mul_f64 v[197:198], v[156:157], v[125:126]
	v_mul_f64 v[125:126], v[158:159], v[125:126]
	s_waitcnt vmcnt(56)
	v_fma_f64 v[121:122], v[1:2], v[115:116], -v[121:122]
	v_fma_f64 v[115:116], v[3:4], v[115:116], v[166:167]
	v_add_f64 v[117:118], v[160:161], v[117:118]
	v_add_f64 v[113:114], v[113:114], v[123:124]
	s_clause 0x2
	buffer_load_dword v165, off, s[0:3], 0 offset:636
	buffer_load_dword v124, off, s[0:3], 0 offset:612
	;; [unrolled: 1-line block ×3, first 2 shown]
	s_waitcnt vmcnt(58) lgkmcnt(0)
	v_mul_f64 v[160:161], v[5:6], v[131:132]
	v_mul_f64 v[131:132], v[7:8], v[131:132]
	s_waitcnt vmcnt(56)
	v_fma_f64 v[125:126], v[156:157], v[133:134], -v[125:126]
	ds_read_b128 v[1:4], v155 offset:1232
	v_add_f64 v[117:118], v[117:118], v[121:122]
	v_fma_f64 v[121:122], v[158:159], v[133:134], v[197:198]
	v_add_f64 v[133:134], v[113:114], v[115:116]
	s_clause 0x4
	buffer_load_dword v157, off, s[0:3], 0 offset:652
	buffer_load_dword v158, off, s[0:3], 0 offset:664
	;; [unrolled: 1-line block ×5, first 2 shown]
	ds_read_b128 v[113:116], v155 offset:1248
	s_waitcnt vmcnt(57) lgkmcnt(1)
	v_mul_f64 v[197:198], v[1:2], v[135:136]
	v_mul_f64 v[135:136], v[3:4], v[135:136]
	s_waitcnt vmcnt(56)
	v_fma_f64 v[131:132], v[5:6], v[119:120], -v[131:132]
	v_fma_f64 v[119:120], v[7:8], v[119:120], v[160:161]
	v_add_f64 v[117:118], v[117:118], v[125:126]
	s_clause 0x2
	buffer_load_dword v159, off, s[0:3], 0 offset:668
	buffer_load_dword v126, off, s[0:3], 0 offset:644
	;; [unrolled: 1-line block ×3, first 2 shown]
	v_add_f64 v[121:122], v[133:134], v[121:122]
	s_waitcnt vmcnt(58) lgkmcnt(0)
	v_mul_f64 v[133:134], v[113:114], v[139:140]
	v_mul_f64 v[139:140], v[115:116], v[139:140]
	ds_read_b128 v[5:8], v155 offset:1264
	s_waitcnt vmcnt(56)
	v_fma_f64 v[135:136], v[1:2], v[141:142], -v[135:136]
	v_add_f64 v[117:118], v[117:118], v[131:132]
	v_fma_f64 v[131:132], v[3:4], v[141:142], v[197:198]
	v_add_f64 v[119:120], v[121:122], v[119:120]
	s_clause 0x4
	buffer_load_dword v122, off, s[0:3], 0 offset:684
	buffer_load_dword v141, off, s[0:3], 0 offset:696
	;; [unrolled: 1-line block ×5, first 2 shown]
	s_waitcnt vmcnt(57) lgkmcnt(0)
	v_mul_f64 v[197:198], v[5:6], v[143:144]
	v_mul_f64 v[143:144], v[7:8], v[143:144]
	s_waitcnt vmcnt(56)
	v_fma_f64 v[139:140], v[113:114], v[127:128], -v[139:140]
	ds_read_b128 v[1:4], v155 offset:1280
	v_fma_f64 v[127:128], v[115:116], v[127:128], v[133:134]
	v_add_f64 v[117:118], v[117:118], v[135:136]
	v_add_f64 v[119:120], v[119:120], v[131:132]
	s_clause 0x2
	buffer_load_dword v142, off, s[0:3], 0 offset:700
	buffer_load_dword v132, off, s[0:3], 0 offset:676
	;; [unrolled: 1-line block ×3, first 2 shown]
	ds_read_b128 v[113:116], v155 offset:1296
	s_waitcnt vmcnt(58) lgkmcnt(1)
	v_mul_f64 v[135:136], v[3:4], v[147:148]
	s_waitcnt vmcnt(56)
	v_fma_f64 v[143:144], v[5:6], v[149:150], -v[143:144]
	v_mul_f64 v[133:134], v[1:2], v[147:148]
	v_add_f64 v[117:118], v[117:118], v[139:140]
	v_fma_f64 v[139:140], v[7:8], v[149:150], v[197:198]
	v_add_f64 v[119:120], v[119:120], v[127:128]
	s_clause 0x4
	buffer_load_dword v128, off, s[0:3], 0 offset:716
	buffer_load_dword v147, off, s[0:3], 0 offset:728
	;; [unrolled: 1-line block ×5, first 2 shown]
	s_waitcnt vmcnt(57) lgkmcnt(0)
	v_mul_f64 v[197:198], v[113:114], v[151:152]
	v_mul_f64 v[150:151], v[115:116], v[151:152]
	s_waitcnt vmcnt(56)
	v_fma_f64 v[135:136], v[1:2], v[137:138], -v[135:136]
	ds_read_b128 v[5:8], v155 offset:1312
	v_fma_f64 v[133:134], v[3:4], v[137:138], v[133:134]
	s_clause 0x2
	buffer_load_dword v148, off, s[0:3], 0 offset:732
	buffer_load_dword v138, off, s[0:3], 0 offset:708
	;; [unrolled: 1-line block ×3, first 2 shown]
	ds_read_b128 v[1:4], v155 offset:1328
	v_add_f64 v[117:118], v[117:118], v[143:144]
	v_add_f64 v[119:120], v[119:120], v[139:140]
	s_waitcnt vmcnt(58) lgkmcnt(1)
	v_mul_f64 v[143:144], v[7:8], v[168:169]
	s_waitcnt vmcnt(56)
	v_fma_f64 v[151:152], v[113:114], v[170:171], -v[150:151]
	v_mul_f64 v[139:140], v[5:6], v[168:169]
	v_add_f64 v[117:118], v[117:118], v[135:136]
	v_fma_f64 v[135:136], v[115:116], v[170:171], v[197:198]
	v_add_f64 v[119:120], v[119:120], v[133:134]
	s_clause 0x4
	buffer_load_dword v134, off, s[0:3], 0 offset:748
	buffer_load_dword v168, off, s[0:3], 0 offset:760
	;; [unrolled: 1-line block ×5, first 2 shown]
	s_waitcnt vmcnt(57) lgkmcnt(0)
	v_mul_f64 v[171:172], v[1:2], v[174:175]
	v_mul_f64 v[174:175], v[3:4], v[174:175]
	s_waitcnt vmcnt(56)
	v_fma_f64 v[143:144], v[5:6], v[145:146], -v[143:144]
	ds_read_b128 v[113:116], v155 offset:1344
	v_fma_f64 v[139:140], v[7:8], v[145:146], v[139:140]
	v_add_f64 v[117:118], v[117:118], v[151:152]
	v_add_f64 v[119:120], v[119:120], v[135:136]
	s_clause 0x2
	buffer_load_dword v169, off, s[0:3], 0 offset:764
	buffer_load_dword v136, off, s[0:3], 0 offset:740
	;; [unrolled: 1-line block ×3, first 2 shown]
	ds_read_b128 v[5:8], v155 offset:1360
	s_waitcnt vmcnt(58) lgkmcnt(1)
	v_mul_f64 v[151:152], v[115:116], v[176:177]
	s_waitcnt vmcnt(56)
	v_fma_f64 v[174:175], v[1:2], v[178:179], -v[174:175]
	v_mul_f64 v[145:146], v[113:114], v[176:177]
	v_add_f64 v[117:118], v[117:118], v[143:144]
	v_fma_f64 v[143:144], v[3:4], v[178:179], v[171:172]
	v_add_f64 v[119:120], v[119:120], v[139:140]
	s_clause 0x4
	buffer_load_dword v140, off, s[0:3], 0 offset:780
	buffer_load_dword v176, off, s[0:3], 0 offset:792
	;; [unrolled: 1-line block ×5, first 2 shown]
	s_waitcnt vmcnt(57) lgkmcnt(0)
	v_mul_f64 v[197:198], v[5:6], v[182:183]
	v_mul_f64 v[182:183], v[7:8], v[182:183]
	s_waitcnt vmcnt(56)
	v_fma_f64 v[151:152], v[113:114], v[153:154], -v[151:152]
	ds_read_b128 v[1:4], v155 offset:1376
	v_fma_f64 v[145:146], v[115:116], v[153:154], v[145:146]
	v_add_f64 v[117:118], v[117:118], v[174:175]
	v_add_f64 v[119:120], v[119:120], v[143:144]
	s_clause 0x2
	buffer_load_dword v177, off, s[0:3], 0 offset:796
	buffer_load_dword v144, off, s[0:3], 0 offset:772
	buffer_load_dword v143, off, s[0:3], 0 offset:768
	ds_read_b128 v[113:116], v155 offset:1392
	s_waitcnt vmcnt(58) lgkmcnt(1)
	v_mul_f64 v[174:175], v[3:4], v[184:185]
	s_waitcnt vmcnt(56)
	v_fma_f64 v[182:183], v[5:6], v[189:190], -v[182:183]
	v_mul_f64 v[153:154], v[1:2], v[184:185]
	v_add_f64 v[117:118], v[117:118], v[151:152]
	v_fma_f64 v[151:152], v[7:8], v[189:190], v[197:198]
	v_add_f64 v[119:120], v[119:120], v[145:146]
	s_clause 0x4
	buffer_load_dword v146, off, s[0:3], 0 offset:812
	buffer_load_dword v184, off, s[0:3], 0 offset:824
	;; [unrolled: 1-line block ×5, first 2 shown]
	ds_read_b128 v[5:8], v155 offset:1408
	s_waitcnt vmcnt(57) lgkmcnt(1)
	v_mul_f64 v[189:190], v[113:114], v[180:181]
	v_mul_f64 v[180:181], v[115:116], v[180:181]
	s_waitcnt vmcnt(56)
	v_fma_f64 v[174:175], v[1:2], v[186:187], -v[174:175]
	v_fma_f64 v[153:154], v[3:4], v[186:187], v[153:154]
	v_add_f64 v[117:118], v[117:118], v[182:183]
	v_add_f64 v[119:120], v[119:120], v[151:152]
	s_clause 0x2
	buffer_load_dword v185, off, s[0:3], 0 offset:828
	buffer_load_dword v152, off, s[0:3], 0 offset:804
	;; [unrolled: 1-line block ×3, first 2 shown]
	ds_read_b128 v[1:4], v155 offset:1424
	s_waitcnt vmcnt(58) lgkmcnt(1)
	v_mul_f64 v[186:187], v[7:8], v[193:194]
	v_mul_f64 v[182:183], v[5:6], v[193:194]
	s_waitcnt vmcnt(56)
	v_fma_f64 v[180:181], v[113:114], v[162:163], -v[180:181]
	v_fma_f64 v[162:163], v[115:116], v[162:163], v[189:190]
	v_add_f64 v[117:118], v[117:118], v[174:175]
	v_add_f64 v[119:120], v[119:120], v[153:154]
	s_clause 0x2
	buffer_load_dword v154, off, s[0:3], 0 offset:844
	buffer_load_dword v153, off, s[0:3], 0 offset:840
	;; [unrolled: 1-line block ×3, first 2 shown]
	ds_read_b128 v[113:116], v155 offset:1440
	s_waitcnt vmcnt(55) lgkmcnt(1)
	v_mul_f64 v[174:175], v[1:2], v[129:130]
	v_mul_f64 v[129:130], v[3:4], v[129:130]
	s_waitcnt vmcnt(54)
	v_fma_f64 v[186:187], v[5:6], v[195:196], -v[186:187]
	v_add_f64 v[117:118], v[117:118], v[180:181]
	v_fma_f64 v[180:181], v[7:8], v[195:196], v[182:183]
	v_add_f64 v[119:120], v[119:120], v[162:163]
	s_clause 0x1
	buffer_load_dword v163, off, s[0:3], 0 offset:836
	buffer_load_dword v162, off, s[0:3], 0 offset:832
	ds_read_b128 v[5:8], v155 offset:1456
	s_waitcnt vmcnt(55) lgkmcnt(1)
	v_mul_f64 v[182:183], v[113:114], v[164:165]
	v_mul_f64 v[164:165], v[115:116], v[164:165]
	s_waitcnt vmcnt(53)
	v_fma_f64 v[129:130], v[1:2], v[123:124], -v[129:130]
	v_fma_f64 v[123:124], v[3:4], v[123:124], v[174:175]
	ds_read_b128 v[1:4], v155 offset:1472
	v_add_f64 v[117:118], v[117:118], v[186:187]
	v_add_f64 v[119:120], v[119:120], v[180:181]
	s_waitcnt vmcnt(49) lgkmcnt(1)
	v_mul_f64 v[174:175], v[5:6], v[156:157]
	v_mul_f64 v[156:157], v[7:8], v[156:157]
	s_waitcnt vmcnt(48)
	v_fma_f64 v[164:165], v[113:114], v[191:192], -v[164:165]
	v_add_f64 v[117:118], v[117:118], v[129:130]
	v_fma_f64 v[129:130], v[115:116], v[191:192], v[182:183]
	v_add_f64 v[119:120], v[119:120], v[123:124]
	s_clause 0x3
	buffer_load_dword v123, off, s[0:3], 0 offset:288
	buffer_load_dword v124, off, s[0:3], 0 offset:292
	;; [unrolled: 1-line block ×4, first 2 shown]
	ds_read_b128 v[113:116], v155 offset:1488
	s_waitcnt vmcnt(51) lgkmcnt(1)
	v_mul_f64 v[182:183], v[1:2], v[158:159]
	v_mul_f64 v[158:159], v[3:4], v[158:159]
	s_waitcnt vmcnt(49)
	v_fma_f64 v[156:157], v[5:6], v[125:126], -v[156:157]
	v_fma_f64 v[125:126], v[7:8], v[125:126], v[174:175]
	ds_read_b128 v[5:8], v155 offset:1504
	v_add_f64 v[117:118], v[117:118], v[164:165]
	v_add_f64 v[119:120], v[119:120], v[129:130]
	s_waitcnt vmcnt(45) lgkmcnt(1)
	v_mul_f64 v[129:130], v[113:114], v[121:122]
	v_mul_f64 v[121:122], v[115:116], v[121:122]
	s_waitcnt vmcnt(44)
	v_fma_f64 v[158:159], v[1:2], v[166:167], -v[158:159]
	v_add_f64 v[117:118], v[117:118], v[156:157]
	v_fma_f64 v[156:157], v[3:4], v[166:167], v[182:183]
	v_add_f64 v[119:120], v[119:120], v[125:126]
	ds_read_b128 v[1:4], v155 offset:1520
	s_waitcnt vmcnt(43) lgkmcnt(1)
	v_mul_f64 v[125:126], v[5:6], v[141:142]
	v_mul_f64 v[141:142], v[7:8], v[141:142]
	s_waitcnt vmcnt(41)
	v_fma_f64 v[121:122], v[113:114], v[131:132], -v[121:122]
	v_fma_f64 v[129:130], v[115:116], v[131:132], v[129:130]
	ds_read_b128 v[113:116], v155 offset:1536
	v_add_f64 v[117:118], v[117:118], v[158:159]
	v_add_f64 v[119:120], v[119:120], v[156:157]
	s_waitcnt vmcnt(37) lgkmcnt(1)
	v_mul_f64 v[131:132], v[1:2], v[127:128]
	v_mul_f64 v[127:128], v[3:4], v[127:128]
	s_waitcnt vmcnt(36)
	v_fma_f64 v[141:142], v[5:6], v[160:161], -v[141:142]
	v_add_f64 v[117:118], v[117:118], v[121:122]
	v_fma_f64 v[121:122], v[7:8], v[160:161], v[125:126]
	v_add_f64 v[119:120], v[119:120], v[129:130]
	s_waitcnt vmcnt(35) lgkmcnt(0)
	v_mul_f64 v[129:130], v[115:116], v[147:148]
	ds_read_b128 v[5:8], v155 offset:1552
	v_mul_f64 v[125:126], v[113:114], v[147:148]
	s_waitcnt vmcnt(33)
	v_fma_f64 v[131:132], v[3:4], v[137:138], v[131:132]
	v_fma_f64 v[127:128], v[1:2], v[137:138], -v[127:128]
	ds_read_b128 v[1:4], v155 offset:1568
	v_add_f64 v[117:118], v[117:118], v[141:142]
	v_add_f64 v[119:120], v[119:120], v[121:122]
	s_waitcnt vmcnt(29) lgkmcnt(1)
	v_mul_f64 v[121:122], v[5:6], v[133:134]
	v_mul_f64 v[133:134], v[7:8], v[133:134]
	s_waitcnt vmcnt(28)
	v_fma_f64 v[129:130], v[113:114], v[149:150], -v[129:130]
	v_fma_f64 v[125:126], v[115:116], v[149:150], v[125:126]
	ds_read_b128 v[113:116], v155 offset:1584
	v_add_f64 v[117:118], v[117:118], v[127:128]
	v_add_f64 v[119:120], v[119:120], v[131:132]
	s_waitcnt vmcnt(27) lgkmcnt(1)
	v_mul_f64 v[131:132], v[3:4], v[168:169]
	v_mul_f64 v[127:128], v[1:2], v[168:169]
	s_waitcnt vmcnt(25)
	v_fma_f64 v[133:134], v[5:6], v[135:136], -v[133:134]
	v_fma_f64 v[121:122], v[7:8], v[135:136], v[121:122]
	ds_read_b128 v[5:8], v155 offset:1600
	v_add_f64 v[117:118], v[117:118], v[129:130]
	v_add_f64 v[119:120], v[119:120], v[125:126]
	s_waitcnt vmcnt(21) lgkmcnt(1)
	v_mul_f64 v[129:130], v[115:116], v[139:140]
	s_waitcnt vmcnt(20)
	v_fma_f64 v[131:132], v[1:2], v[170:171], -v[131:132]
	v_mul_f64 v[125:126], v[113:114], v[139:140]
	v_fma_f64 v[127:128], v[3:4], v[170:171], v[127:128]
	ds_read_b128 v[1:4], v155 offset:1616
	v_add_f64 v[117:118], v[117:118], v[133:134]
	v_add_f64 v[119:120], v[119:120], v[121:122]
	s_waitcnt vmcnt(19) lgkmcnt(1)
	v_mul_f64 v[133:134], v[7:8], v[176:177]
	v_mul_f64 v[121:122], v[5:6], v[176:177]
	s_waitcnt vmcnt(17)
	v_fma_f64 v[129:130], v[113:114], v[143:144], -v[129:130]
	v_fma_f64 v[125:126], v[115:116], v[143:144], v[125:126]
	ds_read_b128 v[113:116], v155 offset:1632
	v_add_f64 v[117:118], v[117:118], v[131:132]
	v_add_f64 v[119:120], v[119:120], v[127:128]
	s_waitcnt vmcnt(13) lgkmcnt(1)
	v_mul_f64 v[131:132], v[3:4], v[145:146]
	s_waitcnt vmcnt(12)
	v_fma_f64 v[133:134], v[5:6], v[178:179], -v[133:134]
	v_mul_f64 v[127:128], v[1:2], v[145:146]
	v_fma_f64 v[121:122], v[7:8], v[178:179], v[121:122]
	ds_read_b128 v[5:8], v155 offset:1648
	v_add_f64 v[117:118], v[117:118], v[129:130]
	v_add_f64 v[119:120], v[119:120], v[125:126]
	s_waitcnt vmcnt(11) lgkmcnt(1)
	v_mul_f64 v[129:130], v[115:116], v[184:185]
	v_mul_f64 v[125:126], v[113:114], v[184:185]
	s_waitcnt vmcnt(9)
	v_fma_f64 v[1:2], v[1:2], v[151:152], -v[131:132]
	v_fma_f64 v[3:4], v[3:4], v[151:152], v[127:128]
	v_add_f64 v[117:118], v[117:118], v[133:134]
	v_add_f64 v[119:120], v[119:120], v[121:122]
	s_waitcnt vmcnt(7) lgkmcnt(0)
	v_mul_f64 v[127:128], v[7:8], v[153:154]
	s_waitcnt vmcnt(6)
	v_fma_f64 v[113:114], v[113:114], v[188:189], -v[129:130]
	v_mul_f64 v[121:122], v[5:6], v[153:154]
	v_fma_f64 v[115:116], v[115:116], v[188:189], v[125:126]
	v_add_f64 v[1:2], v[117:118], v[1:2]
	v_add_f64 v[3:4], v[119:120], v[3:4]
	s_waitcnt vmcnt(4)
	v_fma_f64 v[5:6], v[5:6], v[162:163], -v[127:128]
	v_fma_f64 v[7:8], v[7:8], v[162:163], v[121:122]
	v_add_f64 v[1:2], v[1:2], v[113:114]
	v_add_f64 v[3:4], v[3:4], v[115:116]
	;; [unrolled: 1-line block ×4, first 2 shown]
	s_waitcnt vmcnt(2)
	v_add_f64 v[1:2], v[123:124], -v[1:2]
	s_waitcnt vmcnt(0)
	v_add_f64 v[3:4], v[180:181], -v[3:4]
	buffer_store_dword v2, off, s[0:3], 0 offset:292
	buffer_store_dword v1, off, s[0:3], 0 offset:288
	;; [unrolled: 1-line block ×4, first 2 shown]
	v_cmpx_lt_u32_e32 16, v0
	s_cbranch_execz .LBB115_293
; %bb.292:
	v_mov_b32_e32 v4, s48
	v_mov_b32_e32 v5, 0
	s_clause 0x3
	buffer_load_dword v1, v4, s[0:3], 0 offen
	buffer_load_dword v2, v4, s[0:3], 0 offen offset:4
	buffer_load_dword v3, v4, s[0:3], 0 offen offset:8
	;; [unrolled: 1-line block ×3, first 2 shown]
	buffer_store_dword v5, off, s[0:3], 0 offset:272
	buffer_store_dword v5, off, s[0:3], 0 offset:276
	;; [unrolled: 1-line block ×4, first 2 shown]
	s_waitcnt vmcnt(0)
	ds_write_b128 v173, v[1:4]
.LBB115_293:
	s_or_b32 exec_lo, exec_lo, s4
	s_waitcnt lgkmcnt(0)
	s_waitcnt_vscnt null, 0x0
	s_barrier
	buffer_gl0_inv
	s_clause 0x37
	buffer_load_dword v113, off, s[0:3], 0 offset:296
	buffer_load_dword v114, off, s[0:3], 0 offset:300
	;; [unrolled: 1-line block ×56, first 2 shown]
	v_mov_b32_e32 v165, 0
	s_mov_b32 s4, exec_lo
	ds_read_b128 v[166:169], v165 offset:1104
	s_clause 0x2
	buffer_load_dword v162, off, s[0:3], 0 offset:524
	buffer_load_dword v164, off, s[0:3], 0 offset:500
	;; [unrolled: 1-line block ×3, first 2 shown]
	ds_read_b128 v[174:177], v165 offset:1120
	s_clause 0x4
	buffer_load_dword v183, off, s[0:3], 0 offset:540
	buffer_load_dword v184, off, s[0:3], 0 offset:552
	;; [unrolled: 1-line block ×5, first 2 shown]
	ds_read_b128 v[178:181], v165 offset:1136
	s_clause 0x2
	buffer_load_dword v185, off, s[0:3], 0 offset:556
	buffer_load_dword v190, off, s[0:3], 0 offset:532
	;; [unrolled: 1-line block ×3, first 2 shown]
	s_waitcnt vmcnt(62) lgkmcnt(2)
	v_mul_f64 v[170:171], v[168:169], v[113:114]
	v_mul_f64 v[113:114], v[166:167], v[113:114]
	s_waitcnt lgkmcnt(1)
	v_mul_f64 v[187:188], v[176:177], v[5:6]
	s_waitcnt vmcnt(59) lgkmcnt(0)
	v_mul_f64 v[191:192], v[180:181], v[3:4]
	v_fma_f64 v[166:167], v[166:167], v[7:8], -v[170:171]
	v_mul_f64 v[170:171], v[174:175], v[5:6]
	v_fma_f64 v[113:114], v[168:169], v[7:8], v[113:114]
	s_waitcnt vmcnt(57)
	v_fma_f64 v[174:175], v[174:175], v[1:2], -v[187:188]
	ds_read_b128 v[5:8], v165 offset:1152
	v_mul_f64 v[168:169], v[178:179], v[3:4]
	s_waitcnt vmcnt(51)
	v_fma_f64 v[178:179], v[178:179], v[129:130], -v[191:192]
	v_add_f64 v[166:167], v[166:167], 0
	v_fma_f64 v[170:171], v[176:177], v[1:2], v[170:171]
	v_add_f64 v[113:114], v[113:114], 0
	s_clause 0x4
	buffer_load_dword v177, off, s[0:3], 0 offset:572
	buffer_load_dword v193, off, s[0:3], 0 offset:584
	;; [unrolled: 1-line block ×5, first 2 shown]
	s_waitcnt lgkmcnt(0)
	v_mul_f64 v[196:197], v[5:6], v[117:118]
	v_mul_f64 v[117:118], v[7:8], v[117:118]
	ds_read_b128 v[1:4], v165 offset:1168
	v_fma_f64 v[129:130], v[180:181], v[129:130], v[168:169]
	v_add_f64 v[174:175], v[166:167], v[174:175]
	v_add_f64 v[113:114], v[113:114], v[170:171]
	s_clause 0x2
	buffer_load_dword v194, off, s[0:3], 0 offset:588
	buffer_load_dword v171, off, s[0:3], 0 offset:564
	;; [unrolled: 1-line block ×3, first 2 shown]
	s_waitcnt vmcnt(58) lgkmcnt(0)
	v_mul_f64 v[180:181], v[1:2], v[121:122]
	v_mul_f64 v[121:122], v[3:4], v[121:122]
	s_waitcnt vmcnt(56)
	v_fma_f64 v[117:118], v[5:6], v[123:124], -v[117:118]
	ds_read_b128 v[166:169], v165 offset:1184
	v_fma_f64 v[123:124], v[7:8], v[123:124], v[196:197]
	v_add_f64 v[174:175], v[174:175], v[178:179]
	v_add_f64 v[113:114], v[113:114], v[129:130]
	s_clause 0x4
	buffer_load_dword v130, off, s[0:3], 0 offset:604
	buffer_load_dword v178, off, s[0:3], 0 offset:616
	;; [unrolled: 1-line block ×5, first 2 shown]
	ds_read_b128 v[5:8], v165 offset:1200
	s_waitcnt vmcnt(57) lgkmcnt(1)
	v_mul_f64 v[197:198], v[166:167], v[125:126]
	v_mul_f64 v[125:126], v[168:169], v[125:126]
	s_waitcnt vmcnt(56)
	v_fma_f64 v[121:122], v[1:2], v[115:116], -v[121:122]
	v_fma_f64 v[115:116], v[3:4], v[115:116], v[180:181]
	v_add_f64 v[117:118], v[174:175], v[117:118]
	v_add_f64 v[113:114], v[113:114], v[123:124]
	s_clause 0x2
	buffer_load_dword v179, off, s[0:3], 0 offset:620
	buffer_load_dword v124, off, s[0:3], 0 offset:596
	;; [unrolled: 1-line block ×3, first 2 shown]
	s_waitcnt vmcnt(58) lgkmcnt(0)
	v_mul_f64 v[174:175], v[5:6], v[131:132]
	v_mul_f64 v[131:132], v[7:8], v[131:132]
	s_waitcnt vmcnt(56)
	v_fma_f64 v[125:126], v[166:167], v[133:134], -v[125:126]
	ds_read_b128 v[1:4], v165 offset:1216
	v_add_f64 v[117:118], v[117:118], v[121:122]
	v_fma_f64 v[121:122], v[168:169], v[133:134], v[197:198]
	v_add_f64 v[133:134], v[113:114], v[115:116]
	s_clause 0x4
	buffer_load_dword v167, off, s[0:3], 0 offset:636
	buffer_load_dword v168, off, s[0:3], 0 offset:648
	;; [unrolled: 1-line block ×5, first 2 shown]
	ds_read_b128 v[113:116], v165 offset:1232
	s_waitcnt vmcnt(57) lgkmcnt(1)
	v_mul_f64 v[197:198], v[1:2], v[135:136]
	v_mul_f64 v[135:136], v[3:4], v[135:136]
	s_waitcnt vmcnt(56)
	v_fma_f64 v[131:132], v[5:6], v[119:120], -v[131:132]
	v_fma_f64 v[119:120], v[7:8], v[119:120], v[174:175]
	v_add_f64 v[117:118], v[117:118], v[125:126]
	s_clause 0x2
	buffer_load_dword v169, off, s[0:3], 0 offset:652
	buffer_load_dword v126, off, s[0:3], 0 offset:628
	;; [unrolled: 1-line block ×3, first 2 shown]
	v_add_f64 v[121:122], v[133:134], v[121:122]
	s_waitcnt vmcnt(58) lgkmcnt(0)
	v_mul_f64 v[133:134], v[113:114], v[139:140]
	v_mul_f64 v[139:140], v[115:116], v[139:140]
	ds_read_b128 v[5:8], v165 offset:1248
	s_waitcnt vmcnt(56)
	v_fma_f64 v[135:136], v[1:2], v[141:142], -v[135:136]
	v_add_f64 v[117:118], v[117:118], v[131:132]
	v_fma_f64 v[131:132], v[3:4], v[141:142], v[197:198]
	v_add_f64 v[119:120], v[121:122], v[119:120]
	s_clause 0x4
	buffer_load_dword v122, off, s[0:3], 0 offset:668
	buffer_load_dword v141, off, s[0:3], 0 offset:680
	;; [unrolled: 1-line block ×5, first 2 shown]
	s_waitcnt vmcnt(57) lgkmcnt(0)
	v_mul_f64 v[197:198], v[5:6], v[143:144]
	v_mul_f64 v[143:144], v[7:8], v[143:144]
	s_waitcnt vmcnt(56)
	v_fma_f64 v[139:140], v[113:114], v[127:128], -v[139:140]
	ds_read_b128 v[1:4], v165 offset:1264
	v_fma_f64 v[127:128], v[115:116], v[127:128], v[133:134]
	v_add_f64 v[117:118], v[117:118], v[135:136]
	v_add_f64 v[119:120], v[119:120], v[131:132]
	s_clause 0x2
	buffer_load_dword v142, off, s[0:3], 0 offset:684
	buffer_load_dword v132, off, s[0:3], 0 offset:660
	;; [unrolled: 1-line block ×3, first 2 shown]
	ds_read_b128 v[113:116], v165 offset:1280
	s_waitcnt vmcnt(58) lgkmcnt(1)
	v_mul_f64 v[135:136], v[3:4], v[147:148]
	s_waitcnt vmcnt(56)
	v_fma_f64 v[143:144], v[5:6], v[149:150], -v[143:144]
	v_mul_f64 v[133:134], v[1:2], v[147:148]
	v_add_f64 v[117:118], v[117:118], v[139:140]
	v_fma_f64 v[139:140], v[7:8], v[149:150], v[197:198]
	v_add_f64 v[119:120], v[119:120], v[127:128]
	s_clause 0x4
	buffer_load_dword v128, off, s[0:3], 0 offset:700
	buffer_load_dword v147, off, s[0:3], 0 offset:712
	;; [unrolled: 1-line block ×5, first 2 shown]
	s_waitcnt vmcnt(57) lgkmcnt(0)
	v_mul_f64 v[197:198], v[113:114], v[151:152]
	v_mul_f64 v[150:151], v[115:116], v[151:152]
	s_waitcnt vmcnt(56)
	v_fma_f64 v[135:136], v[1:2], v[137:138], -v[135:136]
	ds_read_b128 v[5:8], v165 offset:1296
	v_fma_f64 v[133:134], v[3:4], v[137:138], v[133:134]
	s_clause 0x2
	buffer_load_dword v148, off, s[0:3], 0 offset:716
	buffer_load_dword v138, off, s[0:3], 0 offset:692
	;; [unrolled: 1-line block ×3, first 2 shown]
	ds_read_b128 v[1:4], v165 offset:1312
	v_add_f64 v[117:118], v[117:118], v[143:144]
	v_add_f64 v[119:120], v[119:120], v[139:140]
	s_waitcnt vmcnt(58) lgkmcnt(1)
	v_mul_f64 v[143:144], v[7:8], v[155:156]
	s_waitcnt vmcnt(56)
	v_fma_f64 v[151:152], v[113:114], v[157:158], -v[150:151]
	v_mul_f64 v[139:140], v[5:6], v[155:156]
	v_add_f64 v[117:118], v[117:118], v[135:136]
	v_fma_f64 v[135:136], v[115:116], v[157:158], v[197:198]
	v_add_f64 v[119:120], v[119:120], v[133:134]
	s_clause 0x4
	buffer_load_dword v134, off, s[0:3], 0 offset:732
	buffer_load_dword v155, off, s[0:3], 0 offset:744
	;; [unrolled: 1-line block ×5, first 2 shown]
	s_waitcnt vmcnt(57) lgkmcnt(0)
	v_mul_f64 v[197:198], v[1:2], v[159:160]
	v_mul_f64 v[158:159], v[3:4], v[159:160]
	s_waitcnt vmcnt(56)
	v_fma_f64 v[143:144], v[5:6], v[145:146], -v[143:144]
	ds_read_b128 v[113:116], v165 offset:1328
	v_fma_f64 v[139:140], v[7:8], v[145:146], v[139:140]
	v_add_f64 v[117:118], v[117:118], v[151:152]
	v_add_f64 v[119:120], v[119:120], v[135:136]
	s_clause 0x2
	buffer_load_dword v156, off, s[0:3], 0 offset:748
	buffer_load_dword v136, off, s[0:3], 0 offset:724
	;; [unrolled: 1-line block ×3, first 2 shown]
	ds_read_b128 v[5:8], v165 offset:1344
	s_waitcnt vmcnt(58) lgkmcnt(1)
	v_mul_f64 v[151:152], v[115:116], v[161:162]
	s_waitcnt vmcnt(56)
	v_fma_f64 v[159:160], v[1:2], v[163:164], -v[158:159]
	v_mul_f64 v[145:146], v[113:114], v[161:162]
	v_add_f64 v[117:118], v[117:118], v[143:144]
	v_fma_f64 v[143:144], v[3:4], v[163:164], v[197:198]
	v_add_f64 v[119:120], v[119:120], v[139:140]
	s_clause 0x4
	buffer_load_dword v140, off, s[0:3], 0 offset:764
	buffer_load_dword v161, off, s[0:3], 0 offset:776
	;; [unrolled: 1-line block ×5, first 2 shown]
	s_waitcnt vmcnt(57) lgkmcnt(0)
	v_mul_f64 v[197:198], v[5:6], v[182:183]
	v_mul_f64 v[182:183], v[7:8], v[182:183]
	s_waitcnt vmcnt(56)
	v_fma_f64 v[151:152], v[113:114], v[153:154], -v[151:152]
	ds_read_b128 v[1:4], v165 offset:1360
	v_fma_f64 v[145:146], v[115:116], v[153:154], v[145:146]
	v_add_f64 v[117:118], v[117:118], v[159:160]
	v_add_f64 v[119:120], v[119:120], v[143:144]
	s_clause 0x2
	buffer_load_dword v162, off, s[0:3], 0 offset:780
	buffer_load_dword v144, off, s[0:3], 0 offset:756
	;; [unrolled: 1-line block ×3, first 2 shown]
	ds_read_b128 v[113:116], v165 offset:1376
	s_waitcnt vmcnt(58) lgkmcnt(1)
	v_mul_f64 v[159:160], v[3:4], v[184:185]
	s_waitcnt vmcnt(56)
	v_fma_f64 v[182:183], v[5:6], v[189:190], -v[182:183]
	v_mul_f64 v[153:154], v[1:2], v[184:185]
	v_add_f64 v[117:118], v[117:118], v[151:152]
	v_fma_f64 v[151:152], v[7:8], v[189:190], v[197:198]
	v_add_f64 v[119:120], v[119:120], v[145:146]
	s_clause 0x4
	buffer_load_dword v146, off, s[0:3], 0 offset:796
	buffer_load_dword v184, off, s[0:3], 0 offset:808
	;; [unrolled: 1-line block ×5, first 2 shown]
	ds_read_b128 v[5:8], v165 offset:1392
	s_waitcnt vmcnt(57) lgkmcnt(1)
	v_mul_f64 v[189:190], v[113:114], v[176:177]
	v_mul_f64 v[176:177], v[115:116], v[176:177]
	s_waitcnt vmcnt(56)
	v_fma_f64 v[159:160], v[1:2], v[186:187], -v[159:160]
	v_fma_f64 v[153:154], v[3:4], v[186:187], v[153:154]
	v_add_f64 v[117:118], v[117:118], v[182:183]
	v_add_f64 v[119:120], v[119:120], v[151:152]
	s_clause 0x2
	buffer_load_dword v185, off, s[0:3], 0 offset:812
	buffer_load_dword v152, off, s[0:3], 0 offset:788
	;; [unrolled: 1-line block ×3, first 2 shown]
	ds_read_b128 v[1:4], v165 offset:1408
	s_waitcnt vmcnt(58) lgkmcnt(1)
	v_mul_f64 v[186:187], v[7:8], v[193:194]
	v_mul_f64 v[182:183], v[5:6], v[193:194]
	s_waitcnt vmcnt(56)
	v_fma_f64 v[176:177], v[113:114], v[170:171], -v[176:177]
	v_add_f64 v[117:118], v[117:118], v[159:160]
	v_fma_f64 v[159:160], v[115:116], v[170:171], v[189:190]
	v_add_f64 v[119:120], v[119:120], v[153:154]
	s_clause 0x4
	buffer_load_dword v154, off, s[0:3], 0 offset:828
	buffer_load_dword v170, off, s[0:3], 0 offset:840
	;; [unrolled: 1-line block ×5, first 2 shown]
	ds_read_b128 v[113:116], v165 offset:1424
	s_waitcnt vmcnt(57) lgkmcnt(1)
	v_mul_f64 v[197:198], v[1:2], v[129:130]
	v_mul_f64 v[129:130], v[3:4], v[129:130]
	s_waitcnt vmcnt(56)
	v_fma_f64 v[186:187], v[5:6], v[195:196], -v[186:187]
	v_add_f64 v[117:118], v[117:118], v[176:177]
	v_fma_f64 v[176:177], v[7:8], v[195:196], v[182:183]
	v_add_f64 v[119:120], v[119:120], v[159:160]
	s_clause 0x2
	buffer_load_dword v171, off, s[0:3], 0 offset:844
	buffer_load_dword v160, off, s[0:3], 0 offset:820
	;; [unrolled: 1-line block ×3, first 2 shown]
	ds_read_b128 v[5:8], v165 offset:1440
	buffer_load_dword v194, off, s[0:3], 0 offset:836
	s_waitcnt vmcnt(59) lgkmcnt(1)
	v_mul_f64 v[182:183], v[113:114], v[178:179]
	v_mul_f64 v[178:179], v[115:116], v[178:179]
	s_waitcnt vmcnt(57)
	v_fma_f64 v[129:130], v[1:2], v[123:124], -v[129:130]
	v_fma_f64 v[123:124], v[3:4], v[123:124], v[197:198]
	ds_read_b128 v[1:4], v165 offset:1456
	v_add_f64 v[117:118], v[117:118], v[186:187]
	v_add_f64 v[119:120], v[119:120], v[176:177]
	s_waitcnt vmcnt(53) lgkmcnt(1)
	v_mul_f64 v[176:177], v[5:6], v[166:167]
	v_mul_f64 v[166:167], v[7:8], v[166:167]
	s_waitcnt vmcnt(52)
	v_fma_f64 v[178:179], v[113:114], v[191:192], -v[178:179]
	v_add_f64 v[117:118], v[117:118], v[129:130]
	v_fma_f64 v[129:130], v[115:116], v[191:192], v[182:183]
	v_add_f64 v[119:120], v[119:120], v[123:124]
	ds_read_b128 v[113:116], v165 offset:1472
	s_waitcnt vmcnt(51) lgkmcnt(1)
	v_mul_f64 v[123:124], v[1:2], v[168:169]
	v_mul_f64 v[168:169], v[3:4], v[168:169]
	s_waitcnt vmcnt(49)
	v_fma_f64 v[166:167], v[5:6], v[125:126], -v[166:167]
	v_fma_f64 v[125:126], v[7:8], v[125:126], v[176:177]
	v_add_f64 v[117:118], v[117:118], v[178:179]
	v_add_f64 v[119:120], v[119:120], v[129:130]
	s_clause 0x3
	buffer_load_dword v129, off, s[0:3], 0 offset:272
	buffer_load_dword v130, off, s[0:3], 0 offset:276
	;; [unrolled: 1-line block ×4, first 2 shown]
	ds_read_b128 v[5:8], v165 offset:1488
	s_waitcnt vmcnt(49) lgkmcnt(1)
	v_mul_f64 v[178:179], v[113:114], v[121:122]
	v_mul_f64 v[121:122], v[115:116], v[121:122]
	s_waitcnt vmcnt(48)
	v_fma_f64 v[168:169], v[1:2], v[180:181], -v[168:169]
	v_fma_f64 v[123:124], v[3:4], v[180:181], v[123:124]
	ds_read_b128 v[1:4], v165 offset:1504
	v_add_f64 v[117:118], v[117:118], v[166:167]
	v_add_f64 v[119:120], v[119:120], v[125:126]
	s_waitcnt vmcnt(47) lgkmcnt(1)
	v_mul_f64 v[125:126], v[5:6], v[141:142]
	v_mul_f64 v[141:142], v[7:8], v[141:142]
	s_waitcnt vmcnt(45)
	v_fma_f64 v[121:122], v[113:114], v[131:132], -v[121:122]
	v_fma_f64 v[131:132], v[115:116], v[131:132], v[178:179]
	ds_read_b128 v[113:116], v165 offset:1520
	v_add_f64 v[117:118], v[117:118], v[168:169]
	v_add_f64 v[119:120], v[119:120], v[123:124]
	s_waitcnt vmcnt(41) lgkmcnt(1)
	v_mul_f64 v[123:124], v[1:2], v[127:128]
	v_mul_f64 v[127:128], v[3:4], v[127:128]
	s_waitcnt vmcnt(40)
	v_fma_f64 v[141:142], v[5:6], v[174:175], -v[141:142]
	v_add_f64 v[117:118], v[117:118], v[121:122]
	v_fma_f64 v[121:122], v[7:8], v[174:175], v[125:126]
	v_add_f64 v[119:120], v[119:120], v[131:132]
	ds_read_b128 v[5:8], v165 offset:1536
	s_waitcnt vmcnt(39) lgkmcnt(1)
	v_mul_f64 v[131:132], v[115:116], v[147:148]
	v_mul_f64 v[125:126], v[113:114], v[147:148]
	s_waitcnt vmcnt(37)
	v_fma_f64 v[123:124], v[3:4], v[137:138], v[123:124]
	v_fma_f64 v[127:128], v[1:2], v[137:138], -v[127:128]
	ds_read_b128 v[1:4], v165 offset:1552
	v_add_f64 v[117:118], v[117:118], v[141:142]
	v_add_f64 v[119:120], v[119:120], v[121:122]
	s_waitcnt vmcnt(33) lgkmcnt(1)
	v_mul_f64 v[121:122], v[5:6], v[133:134]
	v_mul_f64 v[133:134], v[7:8], v[133:134]
	s_waitcnt vmcnt(32)
	v_fma_f64 v[131:132], v[113:114], v[149:150], -v[131:132]
	v_fma_f64 v[125:126], v[115:116], v[149:150], v[125:126]
	ds_read_b128 v[113:116], v165 offset:1568
	v_add_f64 v[117:118], v[117:118], v[127:128]
	v_add_f64 v[119:120], v[119:120], v[123:124]
	s_waitcnt vmcnt(31) lgkmcnt(1)
	v_mul_f64 v[127:128], v[3:4], v[155:156]
	v_mul_f64 v[123:124], v[1:2], v[155:156]
	s_waitcnt vmcnt(29)
	v_fma_f64 v[133:134], v[5:6], v[135:136], -v[133:134]
	v_fma_f64 v[121:122], v[7:8], v[135:136], v[121:122]
	ds_read_b128 v[5:8], v165 offset:1584
	v_add_f64 v[117:118], v[117:118], v[131:132]
	v_add_f64 v[119:120], v[119:120], v[125:126]
	s_waitcnt vmcnt(25) lgkmcnt(1)
	v_mul_f64 v[131:132], v[115:116], v[139:140]
	s_waitcnt vmcnt(24)
	v_fma_f64 v[127:128], v[1:2], v[157:158], -v[127:128]
	v_mul_f64 v[125:126], v[113:114], v[139:140]
	v_fma_f64 v[123:124], v[3:4], v[157:158], v[123:124]
	ds_read_b128 v[1:4], v165 offset:1600
	v_add_f64 v[117:118], v[117:118], v[133:134]
	v_add_f64 v[119:120], v[119:120], v[121:122]
	s_waitcnt vmcnt(23) lgkmcnt(1)
	v_mul_f64 v[133:134], v[7:8], v[161:162]
	v_mul_f64 v[121:122], v[5:6], v[161:162]
	s_waitcnt vmcnt(21)
	v_fma_f64 v[131:132], v[113:114], v[143:144], -v[131:132]
	v_fma_f64 v[125:126], v[115:116], v[143:144], v[125:126]
	ds_read_b128 v[113:116], v165 offset:1616
	v_add_f64 v[117:118], v[117:118], v[127:128]
	v_add_f64 v[119:120], v[119:120], v[123:124]
	s_waitcnt vmcnt(17) lgkmcnt(1)
	v_mul_f64 v[127:128], v[3:4], v[145:146]
	s_waitcnt vmcnt(16)
	v_fma_f64 v[133:134], v[5:6], v[163:164], -v[133:134]
	v_mul_f64 v[123:124], v[1:2], v[145:146]
	v_fma_f64 v[121:122], v[7:8], v[163:164], v[121:122]
	ds_read_b128 v[5:8], v165 offset:1632
	v_add_f64 v[117:118], v[117:118], v[131:132]
	v_add_f64 v[119:120], v[119:120], v[125:126]
	s_waitcnt vmcnt(15) lgkmcnt(1)
	v_mul_f64 v[131:132], v[115:116], v[184:185]
	v_mul_f64 v[125:126], v[113:114], v[184:185]
	s_waitcnt vmcnt(13)
	v_fma_f64 v[127:128], v[1:2], v[151:152], -v[127:128]
	v_fma_f64 v[123:124], v[3:4], v[151:152], v[123:124]
	ds_read_b128 v[1:4], v165 offset:1648
	v_add_f64 v[117:118], v[117:118], v[133:134]
	v_add_f64 v[119:120], v[119:120], v[121:122]
	s_waitcnt vmcnt(9) lgkmcnt(1)
	v_mul_f64 v[133:134], v[7:8], v[153:154]
	s_waitcnt vmcnt(8)
	v_fma_f64 v[113:114], v[113:114], v[188:189], -v[131:132]
	v_mul_f64 v[121:122], v[5:6], v[153:154]
	v_fma_f64 v[115:116], v[115:116], v[188:189], v[125:126]
	v_add_f64 v[117:118], v[117:118], v[127:128]
	v_add_f64 v[119:120], v[119:120], v[123:124]
	s_waitcnt vmcnt(7) lgkmcnt(0)
	v_mul_f64 v[125:126], v[3:4], v[170:171]
	v_mul_f64 v[123:124], v[1:2], v[170:171]
	s_waitcnt vmcnt(5)
	v_fma_f64 v[5:6], v[5:6], v[159:160], -v[133:134]
	v_fma_f64 v[7:8], v[7:8], v[159:160], v[121:122]
	v_add_f64 v[113:114], v[117:118], v[113:114]
	v_add_f64 v[115:116], v[119:120], v[115:116]
	s_waitcnt vmcnt(4)
	v_fma_f64 v[1:2], v[1:2], v[193:194], -v[125:126]
	v_fma_f64 v[3:4], v[3:4], v[193:194], v[123:124]
	v_add_f64 v[5:6], v[113:114], v[5:6]
	v_add_f64 v[7:8], v[115:116], v[7:8]
	;; [unrolled: 1-line block ×4, first 2 shown]
	s_waitcnt vmcnt(2)
	v_add_f64 v[1:2], v[129:130], -v[1:2]
	s_waitcnt vmcnt(0)
	v_add_f64 v[3:4], v[176:177], -v[3:4]
	buffer_store_dword v2, off, s[0:3], 0 offset:276
	buffer_store_dword v1, off, s[0:3], 0 offset:272
	;; [unrolled: 1-line block ×4, first 2 shown]
	v_cmpx_lt_u32_e32 15, v0
	s_cbranch_execz .LBB115_295
; %bb.294:
	v_mov_b32_e32 v4, s49
	s_clause 0x3
	buffer_load_dword v1, v4, s[0:3], 0 offen
	buffer_load_dword v2, v4, s[0:3], 0 offen offset:4
	buffer_load_dword v3, v4, s[0:3], 0 offen offset:8
	;; [unrolled: 1-line block ×3, first 2 shown]
	buffer_store_dword v165, off, s[0:3], 0 offset:256
	buffer_store_dword v165, off, s[0:3], 0 offset:260
	buffer_store_dword v165, off, s[0:3], 0 offset:264
	buffer_store_dword v165, off, s[0:3], 0 offset:268
	s_waitcnt vmcnt(0)
	ds_write_b128 v173, v[1:4]
.LBB115_295:
	s_or_b32 exec_lo, exec_lo, s4
	s_waitcnt lgkmcnt(0)
	s_waitcnt_vscnt null, 0x0
	s_barrier
	buffer_gl0_inv
	s_clause 0x37
	buffer_load_dword v113, off, s[0:3], 0 offset:280
	buffer_load_dword v114, off, s[0:3], 0 offset:284
	;; [unrolled: 1-line block ×56, first 2 shown]
	ds_read_b128 v[166:169], v165 offset:1088
	s_clause 0x2
	buffer_load_dword v162, off, s[0:3], 0 offset:508
	buffer_load_dword v164, off, s[0:3], 0 offset:484
	buffer_load_dword v163, off, s[0:3], 0 offset:480
	ds_read_b128 v[174:177], v165 offset:1104
	s_clause 0x4
	buffer_load_dword v183, off, s[0:3], 0 offset:524
	buffer_load_dword v184, off, s[0:3], 0 offset:536
	;; [unrolled: 1-line block ×5, first 2 shown]
	ds_read_b128 v[178:181], v165 offset:1120
	s_clause 0x2
	buffer_load_dword v185, off, s[0:3], 0 offset:540
	buffer_load_dword v190, off, s[0:3], 0 offset:516
	;; [unrolled: 1-line block ×3, first 2 shown]
	s_mov_b32 s4, exec_lo
	s_waitcnt vmcnt(62) lgkmcnt(2)
	v_mul_f64 v[170:171], v[168:169], v[113:114]
	v_mul_f64 v[113:114], v[166:167], v[113:114]
	s_waitcnt lgkmcnt(1)
	v_mul_f64 v[187:188], v[176:177], v[5:6]
	s_waitcnt vmcnt(59) lgkmcnt(0)
	v_mul_f64 v[191:192], v[180:181], v[3:4]
	v_fma_f64 v[166:167], v[166:167], v[7:8], -v[170:171]
	v_mul_f64 v[170:171], v[174:175], v[5:6]
	v_fma_f64 v[113:114], v[168:169], v[7:8], v[113:114]
	s_waitcnt vmcnt(57)
	v_fma_f64 v[174:175], v[174:175], v[1:2], -v[187:188]
	ds_read_b128 v[5:8], v165 offset:1136
	v_mul_f64 v[168:169], v[178:179], v[3:4]
	s_waitcnt vmcnt(51)
	v_fma_f64 v[178:179], v[178:179], v[129:130], -v[191:192]
	v_add_f64 v[166:167], v[166:167], 0
	v_fma_f64 v[170:171], v[176:177], v[1:2], v[170:171]
	v_add_f64 v[113:114], v[113:114], 0
	s_clause 0x4
	buffer_load_dword v177, off, s[0:3], 0 offset:556
	buffer_load_dword v193, off, s[0:3], 0 offset:568
	;; [unrolled: 1-line block ×5, first 2 shown]
	s_waitcnt lgkmcnt(0)
	v_mul_f64 v[196:197], v[5:6], v[117:118]
	v_mul_f64 v[117:118], v[7:8], v[117:118]
	ds_read_b128 v[1:4], v165 offset:1152
	v_fma_f64 v[129:130], v[180:181], v[129:130], v[168:169]
	v_add_f64 v[174:175], v[166:167], v[174:175]
	v_add_f64 v[113:114], v[113:114], v[170:171]
	s_clause 0x2
	buffer_load_dword v194, off, s[0:3], 0 offset:572
	buffer_load_dword v171, off, s[0:3], 0 offset:548
	;; [unrolled: 1-line block ×3, first 2 shown]
	s_waitcnt vmcnt(58) lgkmcnt(0)
	v_mul_f64 v[180:181], v[1:2], v[121:122]
	v_mul_f64 v[121:122], v[3:4], v[121:122]
	s_waitcnt vmcnt(56)
	v_fma_f64 v[117:118], v[5:6], v[123:124], -v[117:118]
	ds_read_b128 v[166:169], v165 offset:1168
	v_fma_f64 v[123:124], v[7:8], v[123:124], v[196:197]
	v_add_f64 v[174:175], v[174:175], v[178:179]
	v_add_f64 v[113:114], v[113:114], v[129:130]
	s_clause 0x4
	buffer_load_dword v130, off, s[0:3], 0 offset:588
	buffer_load_dword v178, off, s[0:3], 0 offset:600
	;; [unrolled: 1-line block ×5, first 2 shown]
	ds_read_b128 v[5:8], v165 offset:1184
	s_waitcnt vmcnt(57) lgkmcnt(1)
	v_mul_f64 v[197:198], v[166:167], v[125:126]
	v_mul_f64 v[125:126], v[168:169], v[125:126]
	s_waitcnt vmcnt(56)
	v_fma_f64 v[121:122], v[1:2], v[115:116], -v[121:122]
	v_fma_f64 v[115:116], v[3:4], v[115:116], v[180:181]
	v_add_f64 v[117:118], v[174:175], v[117:118]
	v_add_f64 v[113:114], v[113:114], v[123:124]
	s_clause 0x2
	buffer_load_dword v179, off, s[0:3], 0 offset:604
	buffer_load_dword v124, off, s[0:3], 0 offset:580
	;; [unrolled: 1-line block ×3, first 2 shown]
	s_waitcnt vmcnt(58) lgkmcnt(0)
	v_mul_f64 v[174:175], v[5:6], v[131:132]
	v_mul_f64 v[131:132], v[7:8], v[131:132]
	s_waitcnt vmcnt(56)
	v_fma_f64 v[125:126], v[166:167], v[133:134], -v[125:126]
	ds_read_b128 v[1:4], v165 offset:1200
	v_add_f64 v[117:118], v[117:118], v[121:122]
	v_fma_f64 v[121:122], v[168:169], v[133:134], v[197:198]
	v_add_f64 v[133:134], v[113:114], v[115:116]
	s_clause 0x4
	buffer_load_dword v167, off, s[0:3], 0 offset:620
	buffer_load_dword v168, off, s[0:3], 0 offset:632
	buffer_load_dword v180, off, s[0:3], 0 offset:624
	buffer_load_dword v166, off, s[0:3], 0 offset:616
	buffer_load_dword v192, off, s[0:3], 0 offset:596
	ds_read_b128 v[113:116], v165 offset:1216
	s_waitcnt vmcnt(57) lgkmcnt(1)
	v_mul_f64 v[197:198], v[1:2], v[135:136]
	v_mul_f64 v[135:136], v[3:4], v[135:136]
	s_waitcnt vmcnt(56)
	v_fma_f64 v[131:132], v[5:6], v[119:120], -v[131:132]
	v_fma_f64 v[119:120], v[7:8], v[119:120], v[174:175]
	v_add_f64 v[117:118], v[117:118], v[125:126]
	s_clause 0x2
	buffer_load_dword v169, off, s[0:3], 0 offset:636
	buffer_load_dword v126, off, s[0:3], 0 offset:612
	;; [unrolled: 1-line block ×3, first 2 shown]
	v_add_f64 v[121:122], v[133:134], v[121:122]
	s_waitcnt vmcnt(58) lgkmcnt(0)
	v_mul_f64 v[133:134], v[113:114], v[139:140]
	v_mul_f64 v[139:140], v[115:116], v[139:140]
	ds_read_b128 v[5:8], v165 offset:1232
	s_waitcnt vmcnt(56)
	v_fma_f64 v[135:136], v[1:2], v[141:142], -v[135:136]
	v_add_f64 v[117:118], v[117:118], v[131:132]
	v_fma_f64 v[131:132], v[3:4], v[141:142], v[197:198]
	v_add_f64 v[119:120], v[121:122], v[119:120]
	s_clause 0x4
	buffer_load_dword v122, off, s[0:3], 0 offset:652
	buffer_load_dword v141, off, s[0:3], 0 offset:664
	;; [unrolled: 1-line block ×5, first 2 shown]
	s_waitcnt vmcnt(57) lgkmcnt(0)
	v_mul_f64 v[197:198], v[5:6], v[143:144]
	v_mul_f64 v[143:144], v[7:8], v[143:144]
	s_waitcnt vmcnt(56)
	v_fma_f64 v[139:140], v[113:114], v[127:128], -v[139:140]
	ds_read_b128 v[1:4], v165 offset:1248
	v_fma_f64 v[127:128], v[115:116], v[127:128], v[133:134]
	v_add_f64 v[117:118], v[117:118], v[135:136]
	v_add_f64 v[119:120], v[119:120], v[131:132]
	s_clause 0x2
	buffer_load_dword v142, off, s[0:3], 0 offset:668
	buffer_load_dword v132, off, s[0:3], 0 offset:644
	buffer_load_dword v131, off, s[0:3], 0 offset:640
	ds_read_b128 v[113:116], v165 offset:1264
	s_waitcnt vmcnt(58) lgkmcnt(1)
	v_mul_f64 v[135:136], v[3:4], v[147:148]
	s_waitcnt vmcnt(56)
	v_fma_f64 v[143:144], v[5:6], v[149:150], -v[143:144]
	v_mul_f64 v[133:134], v[1:2], v[147:148]
	v_add_f64 v[117:118], v[117:118], v[139:140]
	v_fma_f64 v[139:140], v[7:8], v[149:150], v[197:198]
	v_add_f64 v[119:120], v[119:120], v[127:128]
	s_clause 0x4
	buffer_load_dword v128, off, s[0:3], 0 offset:684
	buffer_load_dword v147, off, s[0:3], 0 offset:696
	;; [unrolled: 1-line block ×5, first 2 shown]
	s_waitcnt vmcnt(57) lgkmcnt(0)
	v_mul_f64 v[197:198], v[113:114], v[151:152]
	v_mul_f64 v[150:151], v[115:116], v[151:152]
	s_waitcnt vmcnt(56)
	v_fma_f64 v[135:136], v[1:2], v[137:138], -v[135:136]
	ds_read_b128 v[5:8], v165 offset:1280
	v_fma_f64 v[133:134], v[3:4], v[137:138], v[133:134]
	s_clause 0x2
	buffer_load_dword v148, off, s[0:3], 0 offset:700
	buffer_load_dword v138, off, s[0:3], 0 offset:676
	;; [unrolled: 1-line block ×3, first 2 shown]
	ds_read_b128 v[1:4], v165 offset:1296
	v_add_f64 v[117:118], v[117:118], v[143:144]
	v_add_f64 v[119:120], v[119:120], v[139:140]
	s_waitcnt vmcnt(58) lgkmcnt(1)
	v_mul_f64 v[143:144], v[7:8], v[155:156]
	s_waitcnt vmcnt(56)
	v_fma_f64 v[151:152], v[113:114], v[157:158], -v[150:151]
	v_mul_f64 v[139:140], v[5:6], v[155:156]
	v_add_f64 v[117:118], v[117:118], v[135:136]
	v_fma_f64 v[135:136], v[115:116], v[157:158], v[197:198]
	v_add_f64 v[119:120], v[119:120], v[133:134]
	s_clause 0x4
	buffer_load_dword v134, off, s[0:3], 0 offset:716
	buffer_load_dword v155, off, s[0:3], 0 offset:728
	;; [unrolled: 1-line block ×5, first 2 shown]
	s_waitcnt vmcnt(57) lgkmcnt(0)
	v_mul_f64 v[197:198], v[1:2], v[159:160]
	v_mul_f64 v[158:159], v[3:4], v[159:160]
	s_waitcnt vmcnt(56)
	v_fma_f64 v[143:144], v[5:6], v[145:146], -v[143:144]
	ds_read_b128 v[113:116], v165 offset:1312
	v_fma_f64 v[139:140], v[7:8], v[145:146], v[139:140]
	v_add_f64 v[117:118], v[117:118], v[151:152]
	v_add_f64 v[119:120], v[119:120], v[135:136]
	s_clause 0x2
	buffer_load_dword v156, off, s[0:3], 0 offset:732
	buffer_load_dword v136, off, s[0:3], 0 offset:708
	;; [unrolled: 1-line block ×3, first 2 shown]
	ds_read_b128 v[5:8], v165 offset:1328
	s_waitcnt vmcnt(58) lgkmcnt(1)
	v_mul_f64 v[151:152], v[115:116], v[161:162]
	s_waitcnt vmcnt(56)
	v_fma_f64 v[159:160], v[1:2], v[163:164], -v[158:159]
	v_mul_f64 v[145:146], v[113:114], v[161:162]
	v_add_f64 v[117:118], v[117:118], v[143:144]
	v_fma_f64 v[143:144], v[3:4], v[163:164], v[197:198]
	v_add_f64 v[119:120], v[119:120], v[139:140]
	s_clause 0x4
	buffer_load_dword v140, off, s[0:3], 0 offset:748
	buffer_load_dword v161, off, s[0:3], 0 offset:760
	;; [unrolled: 1-line block ×5, first 2 shown]
	s_waitcnt vmcnt(57) lgkmcnt(0)
	v_mul_f64 v[197:198], v[5:6], v[182:183]
	v_mul_f64 v[182:183], v[7:8], v[182:183]
	s_waitcnt vmcnt(56)
	v_fma_f64 v[151:152], v[113:114], v[153:154], -v[151:152]
	ds_read_b128 v[1:4], v165 offset:1344
	v_fma_f64 v[145:146], v[115:116], v[153:154], v[145:146]
	v_add_f64 v[117:118], v[117:118], v[159:160]
	v_add_f64 v[119:120], v[119:120], v[143:144]
	s_clause 0x2
	buffer_load_dword v162, off, s[0:3], 0 offset:764
	buffer_load_dword v144, off, s[0:3], 0 offset:740
	;; [unrolled: 1-line block ×3, first 2 shown]
	ds_read_b128 v[113:116], v165 offset:1360
	s_waitcnt vmcnt(58) lgkmcnt(1)
	v_mul_f64 v[159:160], v[3:4], v[184:185]
	s_waitcnt vmcnt(56)
	v_fma_f64 v[182:183], v[5:6], v[189:190], -v[182:183]
	v_mul_f64 v[153:154], v[1:2], v[184:185]
	v_add_f64 v[117:118], v[117:118], v[151:152]
	v_fma_f64 v[151:152], v[7:8], v[189:190], v[197:198]
	v_add_f64 v[119:120], v[119:120], v[145:146]
	s_clause 0x4
	buffer_load_dword v146, off, s[0:3], 0 offset:780
	buffer_load_dword v184, off, s[0:3], 0 offset:792
	;; [unrolled: 1-line block ×5, first 2 shown]
	ds_read_b128 v[5:8], v165 offset:1376
	s_waitcnt vmcnt(57) lgkmcnt(1)
	v_mul_f64 v[189:190], v[113:114], v[176:177]
	v_mul_f64 v[176:177], v[115:116], v[176:177]
	s_waitcnt vmcnt(56)
	v_fma_f64 v[159:160], v[1:2], v[186:187], -v[159:160]
	v_fma_f64 v[153:154], v[3:4], v[186:187], v[153:154]
	v_add_f64 v[117:118], v[117:118], v[182:183]
	v_add_f64 v[119:120], v[119:120], v[151:152]
	s_clause 0x2
	buffer_load_dword v185, off, s[0:3], 0 offset:796
	buffer_load_dword v152, off, s[0:3], 0 offset:772
	;; [unrolled: 1-line block ×3, first 2 shown]
	ds_read_b128 v[1:4], v165 offset:1392
	s_waitcnt vmcnt(58) lgkmcnt(1)
	v_mul_f64 v[186:187], v[7:8], v[193:194]
	v_mul_f64 v[182:183], v[5:6], v[193:194]
	s_waitcnt vmcnt(56)
	v_fma_f64 v[176:177], v[113:114], v[170:171], -v[176:177]
	v_add_f64 v[117:118], v[117:118], v[159:160]
	v_fma_f64 v[159:160], v[115:116], v[170:171], v[189:190]
	v_add_f64 v[119:120], v[119:120], v[153:154]
	s_clause 0x4
	buffer_load_dword v154, off, s[0:3], 0 offset:812
	buffer_load_dword v170, off, s[0:3], 0 offset:824
	;; [unrolled: 1-line block ×5, first 2 shown]
	ds_read_b128 v[113:116], v165 offset:1408
	s_waitcnt vmcnt(57) lgkmcnt(1)
	v_mul_f64 v[197:198], v[1:2], v[129:130]
	v_mul_f64 v[129:130], v[3:4], v[129:130]
	s_waitcnt vmcnt(56)
	v_fma_f64 v[186:187], v[5:6], v[195:196], -v[186:187]
	v_add_f64 v[117:118], v[117:118], v[176:177]
	v_fma_f64 v[176:177], v[7:8], v[195:196], v[182:183]
	v_add_f64 v[119:120], v[119:120], v[159:160]
	s_clause 0x2
	buffer_load_dword v171, off, s[0:3], 0 offset:828
	buffer_load_dword v160, off, s[0:3], 0 offset:804
	;; [unrolled: 1-line block ×3, first 2 shown]
	ds_read_b128 v[5:8], v165 offset:1424
	s_waitcnt vmcnt(58) lgkmcnt(1)
	v_mul_f64 v[182:183], v[113:114], v[178:179]
	v_mul_f64 v[178:179], v[115:116], v[178:179]
	s_waitcnt vmcnt(56)
	v_fma_f64 v[129:130], v[1:2], v[123:124], -v[129:130]
	v_fma_f64 v[123:124], v[3:4], v[123:124], v[197:198]
	v_add_f64 v[117:118], v[117:118], v[186:187]
	v_add_f64 v[119:120], v[119:120], v[176:177]
	s_clause 0x2
	buffer_load_dword v177, off, s[0:3], 0 offset:844
	buffer_load_dword v176, off, s[0:3], 0 offset:840
	;; [unrolled: 1-line block ×3, first 2 shown]
	ds_read_b128 v[1:4], v165 offset:1440
	s_waitcnt vmcnt(55) lgkmcnt(1)
	v_mul_f64 v[186:187], v[5:6], v[166:167]
	v_mul_f64 v[166:167], v[7:8], v[166:167]
	s_waitcnt vmcnt(54)
	v_fma_f64 v[178:179], v[113:114], v[191:192], -v[178:179]
	v_add_f64 v[117:118], v[117:118], v[129:130]
	v_fma_f64 v[129:130], v[115:116], v[191:192], v[182:183]
	v_add_f64 v[119:120], v[119:120], v[123:124]
	s_clause 0x1
	buffer_load_dword v124, off, s[0:3], 0 offset:836
	buffer_load_dword v123, off, s[0:3], 0 offset:832
	ds_read_b128 v[113:116], v165 offset:1456
	s_waitcnt vmcnt(55) lgkmcnt(1)
	v_mul_f64 v[182:183], v[1:2], v[168:169]
	v_mul_f64 v[168:169], v[3:4], v[168:169]
	s_waitcnt vmcnt(53)
	v_fma_f64 v[166:167], v[5:6], v[125:126], -v[166:167]
	v_fma_f64 v[125:126], v[7:8], v[125:126], v[186:187]
	ds_read_b128 v[5:8], v165 offset:1472
	v_add_f64 v[117:118], v[117:118], v[178:179]
	v_add_f64 v[119:120], v[119:120], v[129:130]
	s_waitcnt vmcnt(49) lgkmcnt(1)
	v_mul_f64 v[129:130], v[113:114], v[121:122]
	v_mul_f64 v[121:122], v[115:116], v[121:122]
	s_waitcnt vmcnt(48)
	v_fma_f64 v[168:169], v[1:2], v[180:181], -v[168:169]
	v_add_f64 v[117:118], v[117:118], v[166:167]
	v_fma_f64 v[166:167], v[3:4], v[180:181], v[182:183]
	v_add_f64 v[119:120], v[119:120], v[125:126]
	s_clause 0x3
	buffer_load_dword v125, off, s[0:3], 0 offset:256
	buffer_load_dword v126, off, s[0:3], 0 offset:260
	buffer_load_dword v178, off, s[0:3], 0 offset:264
	buffer_load_dword v179, off, s[0:3], 0 offset:268
	ds_read_b128 v[1:4], v165 offset:1488
	s_waitcnt vmcnt(51) lgkmcnt(1)
	v_mul_f64 v[180:181], v[5:6], v[141:142]
	v_mul_f64 v[141:142], v[7:8], v[141:142]
	s_waitcnt vmcnt(49)
	v_fma_f64 v[121:122], v[113:114], v[131:132], -v[121:122]
	v_fma_f64 v[129:130], v[115:116], v[131:132], v[129:130]
	ds_read_b128 v[113:116], v165 offset:1504
	v_add_f64 v[117:118], v[117:118], v[168:169]
	v_add_f64 v[119:120], v[119:120], v[166:167]
	s_waitcnt vmcnt(45) lgkmcnt(1)
	v_mul_f64 v[131:132], v[1:2], v[127:128]
	v_mul_f64 v[127:128], v[3:4], v[127:128]
	s_waitcnt vmcnt(44)
	v_fma_f64 v[141:142], v[5:6], v[174:175], -v[141:142]
	v_add_f64 v[117:118], v[117:118], v[121:122]
	v_fma_f64 v[121:122], v[7:8], v[174:175], v[180:181]
	v_add_f64 v[119:120], v[119:120], v[129:130]
	s_waitcnt vmcnt(43) lgkmcnt(0)
	v_mul_f64 v[129:130], v[113:114], v[147:148]
	v_mul_f64 v[147:148], v[115:116], v[147:148]
	ds_read_b128 v[5:8], v165 offset:1520
	s_waitcnt vmcnt(41)
	v_fma_f64 v[131:132], v[3:4], v[137:138], v[131:132]
	v_fma_f64 v[127:128], v[1:2], v[137:138], -v[127:128]
	ds_read_b128 v[1:4], v165 offset:1536
	v_add_f64 v[117:118], v[117:118], v[141:142]
	v_add_f64 v[119:120], v[119:120], v[121:122]
	s_waitcnt vmcnt(37) lgkmcnt(1)
	v_mul_f64 v[121:122], v[5:6], v[133:134]
	v_mul_f64 v[133:134], v[7:8], v[133:134]
	s_waitcnt vmcnt(36)
	v_fma_f64 v[137:138], v[113:114], v[149:150], -v[147:148]
	v_add_f64 v[117:118], v[117:118], v[127:128]
	v_fma_f64 v[127:128], v[115:116], v[149:150], v[129:130]
	v_add_f64 v[119:120], v[119:120], v[131:132]
	ds_read_b128 v[113:116], v165 offset:1552
	s_waitcnt vmcnt(35) lgkmcnt(1)
	v_mul_f64 v[131:132], v[3:4], v[155:156]
	v_mul_f64 v[129:130], v[1:2], v[155:156]
	s_waitcnt vmcnt(33)
	v_fma_f64 v[133:134], v[5:6], v[135:136], -v[133:134]
	v_fma_f64 v[121:122], v[7:8], v[135:136], v[121:122]
	ds_read_b128 v[5:8], v165 offset:1568
	v_add_f64 v[117:118], v[117:118], v[137:138]
	v_add_f64 v[119:120], v[119:120], v[127:128]
	s_waitcnt vmcnt(29) lgkmcnt(1)
	v_mul_f64 v[135:136], v[115:116], v[139:140]
	s_waitcnt vmcnt(28)
	v_fma_f64 v[131:132], v[1:2], v[157:158], -v[131:132]
	v_mul_f64 v[127:128], v[113:114], v[139:140]
	v_fma_f64 v[129:130], v[3:4], v[157:158], v[129:130]
	ds_read_b128 v[1:4], v165 offset:1584
	v_add_f64 v[117:118], v[117:118], v[133:134]
	v_add_f64 v[119:120], v[119:120], v[121:122]
	s_waitcnt vmcnt(27) lgkmcnt(1)
	v_mul_f64 v[133:134], v[7:8], v[161:162]
	v_mul_f64 v[121:122], v[5:6], v[161:162]
	s_waitcnt vmcnt(25)
	v_fma_f64 v[135:136], v[113:114], v[143:144], -v[135:136]
	v_fma_f64 v[127:128], v[115:116], v[143:144], v[127:128]
	ds_read_b128 v[113:116], v165 offset:1600
	v_add_f64 v[117:118], v[117:118], v[131:132]
	v_add_f64 v[119:120], v[119:120], v[129:130]
	s_waitcnt vmcnt(21) lgkmcnt(1)
	v_mul_f64 v[131:132], v[3:4], v[145:146]
	s_waitcnt vmcnt(20)
	v_fma_f64 v[133:134], v[5:6], v[163:164], -v[133:134]
	v_mul_f64 v[129:130], v[1:2], v[145:146]
	v_fma_f64 v[121:122], v[7:8], v[163:164], v[121:122]
	ds_read_b128 v[5:8], v165 offset:1616
	v_add_f64 v[117:118], v[117:118], v[135:136]
	v_add_f64 v[119:120], v[119:120], v[127:128]
	;; [unrolled: 18-line block ×3, first 2 shown]
	s_waitcnt vmcnt(11) lgkmcnt(1)
	v_mul_f64 v[131:132], v[3:4], v[170:171]
	v_mul_f64 v[129:130], v[1:2], v[170:171]
	s_waitcnt vmcnt(9)
	v_fma_f64 v[5:6], v[5:6], v[159:160], -v[133:134]
	v_fma_f64 v[7:8], v[7:8], v[159:160], v[121:122]
	v_add_f64 v[117:118], v[117:118], v[135:136]
	v_add_f64 v[119:120], v[119:120], v[127:128]
	s_waitcnt vmcnt(7) lgkmcnt(0)
	v_mul_f64 v[127:128], v[115:116], v[176:177]
	s_waitcnt vmcnt(6)
	v_fma_f64 v[1:2], v[1:2], v[193:194], -v[131:132]
	v_mul_f64 v[121:122], v[113:114], v[176:177]
	v_fma_f64 v[3:4], v[3:4], v[193:194], v[129:130]
	v_add_f64 v[5:6], v[117:118], v[5:6]
	v_add_f64 v[7:8], v[119:120], v[7:8]
	s_waitcnt vmcnt(4)
	v_fma_f64 v[113:114], v[113:114], v[123:124], -v[127:128]
	v_add_f64 v[1:2], v[5:6], v[1:2]
	v_fma_f64 v[5:6], v[115:116], v[123:124], v[121:122]
	v_add_f64 v[3:4], v[7:8], v[3:4]
	v_add_f64 v[1:2], v[1:2], v[113:114]
	;; [unrolled: 1-line block ×3, first 2 shown]
	s_waitcnt vmcnt(2)
	v_add_f64 v[1:2], v[125:126], -v[1:2]
	s_waitcnt vmcnt(0)
	v_add_f64 v[3:4], v[178:179], -v[3:4]
	buffer_store_dword v2, off, s[0:3], 0 offset:260
	buffer_store_dword v1, off, s[0:3], 0 offset:256
	;; [unrolled: 1-line block ×4, first 2 shown]
	v_cmpx_lt_u32_e32 14, v0
	s_cbranch_execz .LBB115_297
; %bb.296:
	v_mov_b32_e32 v4, s50
	v_mov_b32_e32 v5, 0
	s_clause 0x3
	buffer_load_dword v1, v4, s[0:3], 0 offen
	buffer_load_dword v2, v4, s[0:3], 0 offen offset:4
	buffer_load_dword v3, v4, s[0:3], 0 offen offset:8
	;; [unrolled: 1-line block ×3, first 2 shown]
	buffer_store_dword v5, off, s[0:3], 0 offset:240
	buffer_store_dword v5, off, s[0:3], 0 offset:244
	;; [unrolled: 1-line block ×4, first 2 shown]
	s_waitcnt vmcnt(0)
	ds_write_b128 v173, v[1:4]
.LBB115_297:
	s_or_b32 exec_lo, exec_lo, s4
	s_waitcnt lgkmcnt(0)
	s_waitcnt_vscnt null, 0x0
	s_barrier
	buffer_gl0_inv
	s_clause 0x37
	buffer_load_dword v113, off, s[0:3], 0 offset:264
	buffer_load_dword v114, off, s[0:3], 0 offset:268
	;; [unrolled: 1-line block ×56, first 2 shown]
	v_mov_b32_e32 v165, 0
	s_mov_b32 s4, exec_lo
	ds_read_b128 v[166:169], v165 offset:1072
	s_clause 0x2
	buffer_load_dword v162, off, s[0:3], 0 offset:492
	buffer_load_dword v164, off, s[0:3], 0 offset:468
	buffer_load_dword v163, off, s[0:3], 0 offset:464
	ds_read_b128 v[174:177], v165 offset:1088
	s_clause 0x4
	buffer_load_dword v183, off, s[0:3], 0 offset:508
	buffer_load_dword v184, off, s[0:3], 0 offset:520
	;; [unrolled: 1-line block ×5, first 2 shown]
	ds_read_b128 v[178:181], v165 offset:1104
	s_clause 0x2
	buffer_load_dword v185, off, s[0:3], 0 offset:524
	buffer_load_dword v190, off, s[0:3], 0 offset:500
	;; [unrolled: 1-line block ×3, first 2 shown]
	s_waitcnt vmcnt(62) lgkmcnt(2)
	v_mul_f64 v[170:171], v[168:169], v[113:114]
	v_mul_f64 v[113:114], v[166:167], v[113:114]
	s_waitcnt lgkmcnt(1)
	v_mul_f64 v[187:188], v[176:177], v[5:6]
	s_waitcnt vmcnt(59) lgkmcnt(0)
	v_mul_f64 v[191:192], v[180:181], v[3:4]
	v_fma_f64 v[166:167], v[166:167], v[7:8], -v[170:171]
	v_mul_f64 v[170:171], v[174:175], v[5:6]
	v_fma_f64 v[113:114], v[168:169], v[7:8], v[113:114]
	s_waitcnt vmcnt(57)
	v_fma_f64 v[174:175], v[174:175], v[1:2], -v[187:188]
	ds_read_b128 v[5:8], v165 offset:1120
	v_mul_f64 v[168:169], v[178:179], v[3:4]
	s_waitcnt vmcnt(51)
	v_fma_f64 v[178:179], v[178:179], v[129:130], -v[191:192]
	v_add_f64 v[166:167], v[166:167], 0
	v_fma_f64 v[170:171], v[176:177], v[1:2], v[170:171]
	v_add_f64 v[113:114], v[113:114], 0
	s_clause 0x4
	buffer_load_dword v177, off, s[0:3], 0 offset:540
	buffer_load_dword v193, off, s[0:3], 0 offset:552
	;; [unrolled: 1-line block ×5, first 2 shown]
	s_waitcnt lgkmcnt(0)
	v_mul_f64 v[196:197], v[5:6], v[117:118]
	v_mul_f64 v[117:118], v[7:8], v[117:118]
	ds_read_b128 v[1:4], v165 offset:1136
	v_fma_f64 v[129:130], v[180:181], v[129:130], v[168:169]
	v_add_f64 v[174:175], v[166:167], v[174:175]
	v_add_f64 v[113:114], v[113:114], v[170:171]
	s_clause 0x2
	buffer_load_dword v194, off, s[0:3], 0 offset:556
	buffer_load_dword v171, off, s[0:3], 0 offset:532
	;; [unrolled: 1-line block ×3, first 2 shown]
	s_waitcnt vmcnt(58) lgkmcnt(0)
	v_mul_f64 v[180:181], v[1:2], v[121:122]
	v_mul_f64 v[121:122], v[3:4], v[121:122]
	s_waitcnt vmcnt(56)
	v_fma_f64 v[117:118], v[5:6], v[123:124], -v[117:118]
	ds_read_b128 v[166:169], v165 offset:1152
	v_fma_f64 v[123:124], v[7:8], v[123:124], v[196:197]
	v_add_f64 v[174:175], v[174:175], v[178:179]
	v_add_f64 v[113:114], v[113:114], v[129:130]
	s_clause 0x4
	buffer_load_dword v130, off, s[0:3], 0 offset:572
	buffer_load_dword v178, off, s[0:3], 0 offset:584
	;; [unrolled: 1-line block ×5, first 2 shown]
	ds_read_b128 v[5:8], v165 offset:1168
	s_waitcnt vmcnt(57) lgkmcnt(1)
	v_mul_f64 v[197:198], v[166:167], v[125:126]
	v_mul_f64 v[125:126], v[168:169], v[125:126]
	s_waitcnt vmcnt(56)
	v_fma_f64 v[121:122], v[1:2], v[115:116], -v[121:122]
	v_fma_f64 v[115:116], v[3:4], v[115:116], v[180:181]
	v_add_f64 v[117:118], v[174:175], v[117:118]
	v_add_f64 v[113:114], v[113:114], v[123:124]
	s_clause 0x2
	buffer_load_dword v179, off, s[0:3], 0 offset:588
	buffer_load_dword v124, off, s[0:3], 0 offset:564
	;; [unrolled: 1-line block ×3, first 2 shown]
	s_waitcnt vmcnt(58) lgkmcnt(0)
	v_mul_f64 v[174:175], v[5:6], v[131:132]
	v_mul_f64 v[131:132], v[7:8], v[131:132]
	s_waitcnt vmcnt(56)
	v_fma_f64 v[125:126], v[166:167], v[133:134], -v[125:126]
	ds_read_b128 v[1:4], v165 offset:1184
	v_add_f64 v[117:118], v[117:118], v[121:122]
	v_fma_f64 v[121:122], v[168:169], v[133:134], v[197:198]
	v_add_f64 v[133:134], v[113:114], v[115:116]
	s_clause 0x4
	buffer_load_dword v167, off, s[0:3], 0 offset:604
	buffer_load_dword v168, off, s[0:3], 0 offset:616
	;; [unrolled: 1-line block ×5, first 2 shown]
	ds_read_b128 v[113:116], v165 offset:1200
	s_waitcnt vmcnt(57) lgkmcnt(1)
	v_mul_f64 v[197:198], v[1:2], v[135:136]
	v_mul_f64 v[135:136], v[3:4], v[135:136]
	s_waitcnt vmcnt(56)
	v_fma_f64 v[131:132], v[5:6], v[119:120], -v[131:132]
	v_fma_f64 v[119:120], v[7:8], v[119:120], v[174:175]
	v_add_f64 v[117:118], v[117:118], v[125:126]
	s_clause 0x2
	buffer_load_dword v169, off, s[0:3], 0 offset:620
	buffer_load_dword v126, off, s[0:3], 0 offset:596
	;; [unrolled: 1-line block ×3, first 2 shown]
	v_add_f64 v[121:122], v[133:134], v[121:122]
	s_waitcnt vmcnt(58) lgkmcnt(0)
	v_mul_f64 v[133:134], v[113:114], v[139:140]
	v_mul_f64 v[139:140], v[115:116], v[139:140]
	ds_read_b128 v[5:8], v165 offset:1216
	s_waitcnt vmcnt(56)
	v_fma_f64 v[135:136], v[1:2], v[141:142], -v[135:136]
	v_add_f64 v[117:118], v[117:118], v[131:132]
	v_fma_f64 v[131:132], v[3:4], v[141:142], v[197:198]
	v_add_f64 v[119:120], v[121:122], v[119:120]
	s_clause 0x4
	buffer_load_dword v122, off, s[0:3], 0 offset:636
	buffer_load_dword v141, off, s[0:3], 0 offset:648
	;; [unrolled: 1-line block ×5, first 2 shown]
	s_waitcnt vmcnt(57) lgkmcnt(0)
	v_mul_f64 v[197:198], v[5:6], v[143:144]
	v_mul_f64 v[143:144], v[7:8], v[143:144]
	s_waitcnt vmcnt(56)
	v_fma_f64 v[139:140], v[113:114], v[127:128], -v[139:140]
	ds_read_b128 v[1:4], v165 offset:1232
	v_fma_f64 v[127:128], v[115:116], v[127:128], v[133:134]
	v_add_f64 v[117:118], v[117:118], v[135:136]
	v_add_f64 v[119:120], v[119:120], v[131:132]
	s_clause 0x2
	buffer_load_dword v142, off, s[0:3], 0 offset:652
	buffer_load_dword v132, off, s[0:3], 0 offset:628
	;; [unrolled: 1-line block ×3, first 2 shown]
	ds_read_b128 v[113:116], v165 offset:1248
	s_waitcnt vmcnt(58) lgkmcnt(1)
	v_mul_f64 v[135:136], v[3:4], v[147:148]
	s_waitcnt vmcnt(56)
	v_fma_f64 v[143:144], v[5:6], v[149:150], -v[143:144]
	v_mul_f64 v[133:134], v[1:2], v[147:148]
	v_add_f64 v[117:118], v[117:118], v[139:140]
	v_fma_f64 v[139:140], v[7:8], v[149:150], v[197:198]
	v_add_f64 v[119:120], v[119:120], v[127:128]
	s_clause 0x4
	buffer_load_dword v128, off, s[0:3], 0 offset:668
	buffer_load_dword v147, off, s[0:3], 0 offset:680
	buffer_load_dword v149, off, s[0:3], 0 offset:672
	buffer_load_dword v127, off, s[0:3], 0 offset:664
	buffer_load_dword v175, off, s[0:3], 0 offset:644
	s_waitcnt vmcnt(57) lgkmcnt(0)
	v_mul_f64 v[197:198], v[113:114], v[151:152]
	v_mul_f64 v[150:151], v[115:116], v[151:152]
	s_waitcnt vmcnt(56)
	v_fma_f64 v[135:136], v[1:2], v[137:138], -v[135:136]
	ds_read_b128 v[5:8], v165 offset:1264
	v_fma_f64 v[133:134], v[3:4], v[137:138], v[133:134]
	s_clause 0x2
	buffer_load_dword v148, off, s[0:3], 0 offset:684
	buffer_load_dword v138, off, s[0:3], 0 offset:660
	;; [unrolled: 1-line block ×3, first 2 shown]
	ds_read_b128 v[1:4], v165 offset:1280
	v_add_f64 v[117:118], v[117:118], v[143:144]
	v_add_f64 v[119:120], v[119:120], v[139:140]
	s_waitcnt vmcnt(58) lgkmcnt(1)
	v_mul_f64 v[143:144], v[7:8], v[155:156]
	s_waitcnt vmcnt(56)
	v_fma_f64 v[151:152], v[113:114], v[157:158], -v[150:151]
	v_mul_f64 v[139:140], v[5:6], v[155:156]
	v_add_f64 v[117:118], v[117:118], v[135:136]
	v_fma_f64 v[135:136], v[115:116], v[157:158], v[197:198]
	v_add_f64 v[119:120], v[119:120], v[133:134]
	s_clause 0x4
	buffer_load_dword v134, off, s[0:3], 0 offset:700
	buffer_load_dword v155, off, s[0:3], 0 offset:712
	;; [unrolled: 1-line block ×5, first 2 shown]
	s_waitcnt vmcnt(57) lgkmcnt(0)
	v_mul_f64 v[197:198], v[1:2], v[159:160]
	v_mul_f64 v[158:159], v[3:4], v[159:160]
	s_waitcnt vmcnt(56)
	v_fma_f64 v[143:144], v[5:6], v[145:146], -v[143:144]
	ds_read_b128 v[113:116], v165 offset:1296
	v_fma_f64 v[139:140], v[7:8], v[145:146], v[139:140]
	v_add_f64 v[117:118], v[117:118], v[151:152]
	v_add_f64 v[119:120], v[119:120], v[135:136]
	s_clause 0x2
	buffer_load_dword v156, off, s[0:3], 0 offset:716
	buffer_load_dword v136, off, s[0:3], 0 offset:692
	;; [unrolled: 1-line block ×3, first 2 shown]
	ds_read_b128 v[5:8], v165 offset:1312
	s_waitcnt vmcnt(58) lgkmcnt(1)
	v_mul_f64 v[151:152], v[115:116], v[161:162]
	s_waitcnt vmcnt(56)
	v_fma_f64 v[159:160], v[1:2], v[163:164], -v[158:159]
	v_mul_f64 v[145:146], v[113:114], v[161:162]
	v_add_f64 v[117:118], v[117:118], v[143:144]
	v_fma_f64 v[143:144], v[3:4], v[163:164], v[197:198]
	v_add_f64 v[119:120], v[119:120], v[139:140]
	s_clause 0x4
	buffer_load_dword v140, off, s[0:3], 0 offset:732
	buffer_load_dword v161, off, s[0:3], 0 offset:744
	;; [unrolled: 1-line block ×5, first 2 shown]
	s_waitcnt vmcnt(57) lgkmcnt(0)
	v_mul_f64 v[197:198], v[5:6], v[182:183]
	v_mul_f64 v[182:183], v[7:8], v[182:183]
	s_waitcnt vmcnt(56)
	v_fma_f64 v[151:152], v[113:114], v[153:154], -v[151:152]
	ds_read_b128 v[1:4], v165 offset:1328
	v_fma_f64 v[145:146], v[115:116], v[153:154], v[145:146]
	v_add_f64 v[117:118], v[117:118], v[159:160]
	v_add_f64 v[119:120], v[119:120], v[143:144]
	s_clause 0x2
	buffer_load_dword v162, off, s[0:3], 0 offset:748
	buffer_load_dword v144, off, s[0:3], 0 offset:724
	;; [unrolled: 1-line block ×3, first 2 shown]
	ds_read_b128 v[113:116], v165 offset:1344
	s_waitcnt vmcnt(58) lgkmcnt(1)
	v_mul_f64 v[159:160], v[3:4], v[184:185]
	s_waitcnt vmcnt(56)
	v_fma_f64 v[182:183], v[5:6], v[189:190], -v[182:183]
	v_mul_f64 v[153:154], v[1:2], v[184:185]
	v_add_f64 v[117:118], v[117:118], v[151:152]
	v_fma_f64 v[151:152], v[7:8], v[189:190], v[197:198]
	v_add_f64 v[119:120], v[119:120], v[145:146]
	s_clause 0x4
	buffer_load_dword v146, off, s[0:3], 0 offset:764
	buffer_load_dword v184, off, s[0:3], 0 offset:776
	;; [unrolled: 1-line block ×5, first 2 shown]
	ds_read_b128 v[5:8], v165 offset:1360
	s_waitcnt vmcnt(57) lgkmcnt(1)
	v_mul_f64 v[189:190], v[113:114], v[176:177]
	v_mul_f64 v[176:177], v[115:116], v[176:177]
	s_waitcnt vmcnt(56)
	v_fma_f64 v[159:160], v[1:2], v[186:187], -v[159:160]
	v_fma_f64 v[153:154], v[3:4], v[186:187], v[153:154]
	v_add_f64 v[117:118], v[117:118], v[182:183]
	v_add_f64 v[119:120], v[119:120], v[151:152]
	s_clause 0x2
	buffer_load_dword v185, off, s[0:3], 0 offset:780
	buffer_load_dword v152, off, s[0:3], 0 offset:756
	;; [unrolled: 1-line block ×3, first 2 shown]
	ds_read_b128 v[1:4], v165 offset:1376
	s_waitcnt vmcnt(58) lgkmcnt(1)
	v_mul_f64 v[186:187], v[7:8], v[193:194]
	v_mul_f64 v[182:183], v[5:6], v[193:194]
	s_waitcnt vmcnt(56)
	v_fma_f64 v[176:177], v[113:114], v[170:171], -v[176:177]
	v_add_f64 v[117:118], v[117:118], v[159:160]
	v_fma_f64 v[159:160], v[115:116], v[170:171], v[189:190]
	v_add_f64 v[119:120], v[119:120], v[153:154]
	s_clause 0x4
	buffer_load_dword v154, off, s[0:3], 0 offset:796
	buffer_load_dword v170, off, s[0:3], 0 offset:808
	buffer_load_dword v193, off, s[0:3], 0 offset:800
	buffer_load_dword v153, off, s[0:3], 0 offset:792
	buffer_load_dword v189, off, s[0:3], 0 offset:772
	ds_read_b128 v[113:116], v165 offset:1392
	s_waitcnt vmcnt(57) lgkmcnt(1)
	v_mul_f64 v[197:198], v[1:2], v[129:130]
	v_mul_f64 v[129:130], v[3:4], v[129:130]
	s_waitcnt vmcnt(56)
	v_fma_f64 v[186:187], v[5:6], v[195:196], -v[186:187]
	v_add_f64 v[117:118], v[117:118], v[176:177]
	v_fma_f64 v[176:177], v[7:8], v[195:196], v[182:183]
	v_add_f64 v[119:120], v[119:120], v[159:160]
	s_clause 0x2
	buffer_load_dword v171, off, s[0:3], 0 offset:812
	buffer_load_dword v160, off, s[0:3], 0 offset:788
	;; [unrolled: 1-line block ×3, first 2 shown]
	ds_read_b128 v[5:8], v165 offset:1408
	s_waitcnt vmcnt(58) lgkmcnt(1)
	v_mul_f64 v[182:183], v[113:114], v[178:179]
	v_mul_f64 v[178:179], v[115:116], v[178:179]
	s_waitcnt vmcnt(56)
	v_fma_f64 v[129:130], v[1:2], v[123:124], -v[129:130]
	v_fma_f64 v[123:124], v[3:4], v[123:124], v[197:198]
	v_add_f64 v[117:118], v[117:118], v[186:187]
	v_add_f64 v[119:120], v[119:120], v[176:177]
	s_clause 0x4
	buffer_load_dword v177, off, s[0:3], 0 offset:828
	buffer_load_dword v186, off, s[0:3], 0 offset:840
	;; [unrolled: 1-line block ×5, first 2 shown]
	ds_read_b128 v[1:4], v165 offset:1424
	s_waitcnt vmcnt(57) lgkmcnt(1)
	v_mul_f64 v[195:196], v[5:6], v[166:167]
	v_mul_f64 v[166:167], v[7:8], v[166:167]
	s_waitcnt vmcnt(56)
	v_fma_f64 v[178:179], v[113:114], v[191:192], -v[178:179]
	v_add_f64 v[117:118], v[117:118], v[129:130]
	v_fma_f64 v[129:130], v[115:116], v[191:192], v[182:183]
	v_add_f64 v[119:120], v[119:120], v[123:124]
	s_clause 0x2
	buffer_load_dword v187, off, s[0:3], 0 offset:844
	buffer_load_dword v124, off, s[0:3], 0 offset:820
	;; [unrolled: 1-line block ×3, first 2 shown]
	ds_read_b128 v[113:116], v165 offset:1440
	buffer_load_dword v191, off, s[0:3], 0 offset:836
	s_waitcnt vmcnt(59) lgkmcnt(1)
	v_mul_f64 v[182:183], v[1:2], v[168:169]
	v_mul_f64 v[168:169], v[3:4], v[168:169]
	s_waitcnt vmcnt(57)
	v_fma_f64 v[166:167], v[5:6], v[125:126], -v[166:167]
	v_fma_f64 v[125:126], v[7:8], v[125:126], v[195:196]
	ds_read_b128 v[5:8], v165 offset:1456
	v_add_f64 v[117:118], v[117:118], v[178:179]
	v_add_f64 v[119:120], v[119:120], v[129:130]
	s_waitcnt vmcnt(53) lgkmcnt(1)
	v_mul_f64 v[129:130], v[113:114], v[121:122]
	v_mul_f64 v[121:122], v[115:116], v[121:122]
	s_waitcnt vmcnt(52)
	v_fma_f64 v[168:169], v[1:2], v[180:181], -v[168:169]
	v_add_f64 v[117:118], v[117:118], v[166:167]
	v_fma_f64 v[166:167], v[3:4], v[180:181], v[182:183]
	v_add_f64 v[119:120], v[119:120], v[125:126]
	ds_read_b128 v[1:4], v165 offset:1472
	s_waitcnt vmcnt(51) lgkmcnt(1)
	v_mul_f64 v[125:126], v[5:6], v[141:142]
	v_mul_f64 v[141:142], v[7:8], v[141:142]
	s_waitcnt vmcnt(49)
	v_fma_f64 v[121:122], v[113:114], v[131:132], -v[121:122]
	v_fma_f64 v[129:130], v[115:116], v[131:132], v[129:130]
	v_add_f64 v[117:118], v[117:118], v[168:169]
	v_add_f64 v[119:120], v[119:120], v[166:167]
	s_clause 0x3
	buffer_load_dword v131, off, s[0:3], 0 offset:240
	buffer_load_dword v132, off, s[0:3], 0 offset:244
	;; [unrolled: 1-line block ×4, first 2 shown]
	ds_read_b128 v[113:116], v165 offset:1488
	s_waitcnt vmcnt(49) lgkmcnt(1)
	v_mul_f64 v[168:169], v[1:2], v[127:128]
	v_mul_f64 v[127:128], v[3:4], v[127:128]
	s_waitcnt vmcnt(48)
	v_fma_f64 v[141:142], v[5:6], v[174:175], -v[141:142]
	v_add_f64 v[117:118], v[117:118], v[121:122]
	v_fma_f64 v[121:122], v[7:8], v[174:175], v[125:126]
	v_add_f64 v[119:120], v[119:120], v[129:130]
	ds_read_b128 v[5:8], v165 offset:1504
	s_waitcnt vmcnt(47) lgkmcnt(1)
	v_mul_f64 v[129:130], v[115:116], v[147:148]
	v_mul_f64 v[125:126], v[113:114], v[147:148]
	s_waitcnt vmcnt(45)
	v_fma_f64 v[127:128], v[1:2], v[137:138], -v[127:128]
	v_fma_f64 v[137:138], v[3:4], v[137:138], v[168:169]
	ds_read_b128 v[1:4], v165 offset:1520
	v_add_f64 v[117:118], v[117:118], v[141:142]
	v_add_f64 v[119:120], v[119:120], v[121:122]
	s_waitcnt vmcnt(41) lgkmcnt(1)
	v_mul_f64 v[121:122], v[5:6], v[133:134]
	v_mul_f64 v[133:134], v[7:8], v[133:134]
	s_waitcnt vmcnt(40)
	v_fma_f64 v[129:130], v[113:114], v[149:150], -v[129:130]
	v_fma_f64 v[125:126], v[115:116], v[149:150], v[125:126]
	ds_read_b128 v[113:116], v165 offset:1536
	v_add_f64 v[117:118], v[117:118], v[127:128]
	v_add_f64 v[119:120], v[119:120], v[137:138]
	;; [unrolled: 9-line block ×3, first 2 shown]
	s_waitcnt vmcnt(33) lgkmcnt(1)
	v_mul_f64 v[129:130], v[115:116], v[139:140]
	s_waitcnt vmcnt(32)
	v_fma_f64 v[135:136], v[1:2], v[157:158], -v[137:138]
	v_mul_f64 v[125:126], v[113:114], v[139:140]
	v_fma_f64 v[127:128], v[3:4], v[157:158], v[127:128]
	ds_read_b128 v[1:4], v165 offset:1568
	v_add_f64 v[117:118], v[117:118], v[133:134]
	v_add_f64 v[119:120], v[119:120], v[121:122]
	s_waitcnt vmcnt(31) lgkmcnt(1)
	v_mul_f64 v[133:134], v[7:8], v[161:162]
	v_mul_f64 v[121:122], v[5:6], v[161:162]
	s_waitcnt vmcnt(29)
	v_fma_f64 v[129:130], v[113:114], v[143:144], -v[129:130]
	v_fma_f64 v[125:126], v[115:116], v[143:144], v[125:126]
	ds_read_b128 v[113:116], v165 offset:1584
	v_add_f64 v[117:118], v[117:118], v[135:136]
	v_add_f64 v[119:120], v[119:120], v[127:128]
	s_waitcnt vmcnt(25) lgkmcnt(1)
	v_mul_f64 v[135:136], v[3:4], v[145:146]
	s_waitcnt vmcnt(24)
	v_fma_f64 v[133:134], v[5:6], v[163:164], -v[133:134]
	v_mul_f64 v[127:128], v[1:2], v[145:146]
	v_fma_f64 v[121:122], v[7:8], v[163:164], v[121:122]
	ds_read_b128 v[5:8], v165 offset:1600
	v_add_f64 v[117:118], v[117:118], v[129:130]
	v_add_f64 v[119:120], v[119:120], v[125:126]
	s_waitcnt vmcnt(23) lgkmcnt(1)
	v_mul_f64 v[129:130], v[115:116], v[184:185]
	v_mul_f64 v[125:126], v[113:114], v[184:185]
	s_waitcnt vmcnt(21)
	v_fma_f64 v[135:136], v[1:2], v[151:152], -v[135:136]
	v_fma_f64 v[127:128], v[3:4], v[151:152], v[127:128]
	ds_read_b128 v[1:4], v165 offset:1616
	v_add_f64 v[117:118], v[117:118], v[133:134]
	v_add_f64 v[119:120], v[119:120], v[121:122]
	;; [unrolled: 18-line block ×3, first 2 shown]
	s_waitcnt vmcnt(9) lgkmcnt(1)
	v_mul_f64 v[129:130], v[115:116], v[176:177]
	s_waitcnt vmcnt(8)
	v_fma_f64 v[1:2], v[1:2], v[193:194], -v[135:136]
	v_mul_f64 v[125:126], v[113:114], v[176:177]
	v_fma_f64 v[3:4], v[3:4], v[193:194], v[127:128]
	v_add_f64 v[117:118], v[117:118], v[133:134]
	v_add_f64 v[119:120], v[119:120], v[121:122]
	s_waitcnt vmcnt(7) lgkmcnt(0)
	v_mul_f64 v[127:128], v[7:8], v[186:187]
	v_mul_f64 v[121:122], v[5:6], v[186:187]
	s_waitcnt vmcnt(5)
	v_fma_f64 v[113:114], v[113:114], v[123:124], -v[129:130]
	v_fma_f64 v[115:116], v[115:116], v[123:124], v[125:126]
	v_add_f64 v[1:2], v[117:118], v[1:2]
	v_add_f64 v[3:4], v[119:120], v[3:4]
	s_waitcnt vmcnt(4)
	v_fma_f64 v[5:6], v[5:6], v[190:191], -v[127:128]
	v_fma_f64 v[7:8], v[7:8], v[190:191], v[121:122]
	v_add_f64 v[1:2], v[1:2], v[113:114]
	v_add_f64 v[3:4], v[3:4], v[115:116]
	v_add_f64 v[1:2], v[1:2], v[5:6]
	v_add_f64 v[3:4], v[3:4], v[7:8]
	s_waitcnt vmcnt(2)
	v_add_f64 v[1:2], v[131:132], -v[1:2]
	s_waitcnt vmcnt(0)
	v_add_f64 v[3:4], v[166:167], -v[3:4]
	buffer_store_dword v2, off, s[0:3], 0 offset:244
	buffer_store_dword v1, off, s[0:3], 0 offset:240
	;; [unrolled: 1-line block ×4, first 2 shown]
	v_cmpx_lt_u32_e32 13, v0
	s_cbranch_execz .LBB115_299
; %bb.298:
	v_mov_b32_e32 v4, s51
	s_clause 0x3
	buffer_load_dword v1, v4, s[0:3], 0 offen
	buffer_load_dword v2, v4, s[0:3], 0 offen offset:4
	buffer_load_dword v3, v4, s[0:3], 0 offen offset:8
	;; [unrolled: 1-line block ×3, first 2 shown]
	buffer_store_dword v165, off, s[0:3], 0 offset:224
	buffer_store_dword v165, off, s[0:3], 0 offset:228
	;; [unrolled: 1-line block ×4, first 2 shown]
	s_waitcnt vmcnt(0)
	ds_write_b128 v173, v[1:4]
.LBB115_299:
	s_or_b32 exec_lo, exec_lo, s4
	s_waitcnt lgkmcnt(0)
	s_waitcnt_vscnt null, 0x0
	s_barrier
	buffer_gl0_inv
	s_clause 0x37
	buffer_load_dword v113, off, s[0:3], 0 offset:248
	buffer_load_dword v114, off, s[0:3], 0 offset:252
	;; [unrolled: 1-line block ×56, first 2 shown]
	ds_read_b128 v[166:169], v165 offset:1056
	s_clause 0x2
	buffer_load_dword v162, off, s[0:3], 0 offset:476
	buffer_load_dword v164, off, s[0:3], 0 offset:452
	;; [unrolled: 1-line block ×3, first 2 shown]
	ds_read_b128 v[174:177], v165 offset:1072
	s_clause 0x4
	buffer_load_dword v183, off, s[0:3], 0 offset:492
	buffer_load_dword v184, off, s[0:3], 0 offset:504
	;; [unrolled: 1-line block ×5, first 2 shown]
	ds_read_b128 v[178:181], v165 offset:1088
	s_clause 0x2
	buffer_load_dword v185, off, s[0:3], 0 offset:508
	buffer_load_dword v190, off, s[0:3], 0 offset:484
	;; [unrolled: 1-line block ×3, first 2 shown]
	s_mov_b32 s4, exec_lo
	s_waitcnt vmcnt(62) lgkmcnt(2)
	v_mul_f64 v[170:171], v[168:169], v[113:114]
	v_mul_f64 v[113:114], v[166:167], v[113:114]
	s_waitcnt lgkmcnt(1)
	v_mul_f64 v[187:188], v[176:177], v[5:6]
	s_waitcnt vmcnt(59) lgkmcnt(0)
	v_mul_f64 v[191:192], v[180:181], v[3:4]
	v_fma_f64 v[166:167], v[166:167], v[7:8], -v[170:171]
	v_mul_f64 v[170:171], v[174:175], v[5:6]
	v_fma_f64 v[113:114], v[168:169], v[7:8], v[113:114]
	s_waitcnt vmcnt(57)
	v_fma_f64 v[174:175], v[174:175], v[1:2], -v[187:188]
	ds_read_b128 v[5:8], v165 offset:1104
	v_mul_f64 v[168:169], v[178:179], v[3:4]
	s_waitcnt vmcnt(51)
	v_fma_f64 v[178:179], v[178:179], v[129:130], -v[191:192]
	v_add_f64 v[166:167], v[166:167], 0
	v_fma_f64 v[170:171], v[176:177], v[1:2], v[170:171]
	v_add_f64 v[113:114], v[113:114], 0
	s_clause 0x4
	buffer_load_dword v177, off, s[0:3], 0 offset:524
	buffer_load_dword v193, off, s[0:3], 0 offset:536
	;; [unrolled: 1-line block ×5, first 2 shown]
	s_waitcnt lgkmcnt(0)
	v_mul_f64 v[196:197], v[5:6], v[117:118]
	v_mul_f64 v[117:118], v[7:8], v[117:118]
	ds_read_b128 v[1:4], v165 offset:1120
	v_fma_f64 v[129:130], v[180:181], v[129:130], v[168:169]
	v_add_f64 v[174:175], v[166:167], v[174:175]
	v_add_f64 v[113:114], v[113:114], v[170:171]
	s_clause 0x2
	buffer_load_dword v194, off, s[0:3], 0 offset:540
	buffer_load_dword v171, off, s[0:3], 0 offset:516
	;; [unrolled: 1-line block ×3, first 2 shown]
	s_waitcnt vmcnt(58) lgkmcnt(0)
	v_mul_f64 v[180:181], v[1:2], v[121:122]
	v_mul_f64 v[121:122], v[3:4], v[121:122]
	s_waitcnt vmcnt(56)
	v_fma_f64 v[117:118], v[5:6], v[123:124], -v[117:118]
	ds_read_b128 v[166:169], v165 offset:1136
	v_fma_f64 v[123:124], v[7:8], v[123:124], v[196:197]
	v_add_f64 v[174:175], v[174:175], v[178:179]
	v_add_f64 v[113:114], v[113:114], v[129:130]
	s_clause 0x4
	buffer_load_dword v130, off, s[0:3], 0 offset:556
	buffer_load_dword v178, off, s[0:3], 0 offset:568
	;; [unrolled: 1-line block ×5, first 2 shown]
	ds_read_b128 v[5:8], v165 offset:1152
	s_waitcnt vmcnt(57) lgkmcnt(1)
	v_mul_f64 v[197:198], v[166:167], v[125:126]
	v_mul_f64 v[125:126], v[168:169], v[125:126]
	s_waitcnt vmcnt(56)
	v_fma_f64 v[121:122], v[1:2], v[115:116], -v[121:122]
	v_fma_f64 v[115:116], v[3:4], v[115:116], v[180:181]
	v_add_f64 v[117:118], v[174:175], v[117:118]
	v_add_f64 v[113:114], v[113:114], v[123:124]
	s_clause 0x2
	buffer_load_dword v179, off, s[0:3], 0 offset:572
	buffer_load_dword v124, off, s[0:3], 0 offset:548
	;; [unrolled: 1-line block ×3, first 2 shown]
	s_waitcnt vmcnt(58) lgkmcnt(0)
	v_mul_f64 v[174:175], v[5:6], v[131:132]
	v_mul_f64 v[131:132], v[7:8], v[131:132]
	s_waitcnt vmcnt(56)
	v_fma_f64 v[125:126], v[166:167], v[133:134], -v[125:126]
	ds_read_b128 v[1:4], v165 offset:1168
	v_add_f64 v[117:118], v[117:118], v[121:122]
	v_fma_f64 v[121:122], v[168:169], v[133:134], v[197:198]
	v_add_f64 v[133:134], v[113:114], v[115:116]
	s_clause 0x4
	buffer_load_dword v167, off, s[0:3], 0 offset:588
	buffer_load_dword v168, off, s[0:3], 0 offset:600
	;; [unrolled: 1-line block ×5, first 2 shown]
	ds_read_b128 v[113:116], v165 offset:1184
	s_waitcnt vmcnt(57) lgkmcnt(1)
	v_mul_f64 v[197:198], v[1:2], v[135:136]
	v_mul_f64 v[135:136], v[3:4], v[135:136]
	s_waitcnt vmcnt(56)
	v_fma_f64 v[131:132], v[5:6], v[119:120], -v[131:132]
	v_fma_f64 v[119:120], v[7:8], v[119:120], v[174:175]
	v_add_f64 v[117:118], v[117:118], v[125:126]
	s_clause 0x2
	buffer_load_dword v169, off, s[0:3], 0 offset:604
	buffer_load_dword v126, off, s[0:3], 0 offset:580
	;; [unrolled: 1-line block ×3, first 2 shown]
	v_add_f64 v[121:122], v[133:134], v[121:122]
	s_waitcnt vmcnt(58) lgkmcnt(0)
	v_mul_f64 v[133:134], v[113:114], v[139:140]
	v_mul_f64 v[139:140], v[115:116], v[139:140]
	ds_read_b128 v[5:8], v165 offset:1200
	s_waitcnt vmcnt(56)
	v_fma_f64 v[135:136], v[1:2], v[141:142], -v[135:136]
	v_add_f64 v[117:118], v[117:118], v[131:132]
	v_fma_f64 v[131:132], v[3:4], v[141:142], v[197:198]
	v_add_f64 v[119:120], v[121:122], v[119:120]
	s_clause 0x4
	buffer_load_dword v122, off, s[0:3], 0 offset:620
	buffer_load_dword v141, off, s[0:3], 0 offset:632
	;; [unrolled: 1-line block ×5, first 2 shown]
	s_waitcnt vmcnt(57) lgkmcnt(0)
	v_mul_f64 v[197:198], v[5:6], v[143:144]
	v_mul_f64 v[143:144], v[7:8], v[143:144]
	s_waitcnt vmcnt(56)
	v_fma_f64 v[139:140], v[113:114], v[127:128], -v[139:140]
	ds_read_b128 v[1:4], v165 offset:1216
	v_fma_f64 v[127:128], v[115:116], v[127:128], v[133:134]
	v_add_f64 v[117:118], v[117:118], v[135:136]
	v_add_f64 v[119:120], v[119:120], v[131:132]
	s_clause 0x2
	buffer_load_dword v142, off, s[0:3], 0 offset:636
	buffer_load_dword v132, off, s[0:3], 0 offset:612
	;; [unrolled: 1-line block ×3, first 2 shown]
	ds_read_b128 v[113:116], v165 offset:1232
	s_waitcnt vmcnt(58) lgkmcnt(1)
	v_mul_f64 v[135:136], v[3:4], v[147:148]
	s_waitcnt vmcnt(56)
	v_fma_f64 v[143:144], v[5:6], v[149:150], -v[143:144]
	v_mul_f64 v[133:134], v[1:2], v[147:148]
	v_add_f64 v[117:118], v[117:118], v[139:140]
	v_fma_f64 v[139:140], v[7:8], v[149:150], v[197:198]
	v_add_f64 v[119:120], v[119:120], v[127:128]
	s_clause 0x4
	buffer_load_dword v128, off, s[0:3], 0 offset:652
	buffer_load_dword v147, off, s[0:3], 0 offset:664
	;; [unrolled: 1-line block ×5, first 2 shown]
	s_waitcnt vmcnt(57) lgkmcnt(0)
	v_mul_f64 v[197:198], v[113:114], v[151:152]
	v_mul_f64 v[150:151], v[115:116], v[151:152]
	s_waitcnt vmcnt(56)
	v_fma_f64 v[135:136], v[1:2], v[137:138], -v[135:136]
	ds_read_b128 v[5:8], v165 offset:1248
	v_fma_f64 v[133:134], v[3:4], v[137:138], v[133:134]
	s_clause 0x2
	buffer_load_dword v148, off, s[0:3], 0 offset:668
	buffer_load_dword v138, off, s[0:3], 0 offset:644
	buffer_load_dword v137, off, s[0:3], 0 offset:640
	ds_read_b128 v[1:4], v165 offset:1264
	v_add_f64 v[117:118], v[117:118], v[143:144]
	v_add_f64 v[119:120], v[119:120], v[139:140]
	s_waitcnt vmcnt(58) lgkmcnt(1)
	v_mul_f64 v[143:144], v[7:8], v[155:156]
	s_waitcnt vmcnt(56)
	v_fma_f64 v[151:152], v[113:114], v[157:158], -v[150:151]
	v_mul_f64 v[139:140], v[5:6], v[155:156]
	v_add_f64 v[117:118], v[117:118], v[135:136]
	v_fma_f64 v[135:136], v[115:116], v[157:158], v[197:198]
	v_add_f64 v[119:120], v[119:120], v[133:134]
	s_clause 0x4
	buffer_load_dword v134, off, s[0:3], 0 offset:684
	buffer_load_dword v155, off, s[0:3], 0 offset:696
	;; [unrolled: 1-line block ×5, first 2 shown]
	s_waitcnt vmcnt(57) lgkmcnt(0)
	v_mul_f64 v[197:198], v[1:2], v[159:160]
	v_mul_f64 v[158:159], v[3:4], v[159:160]
	s_waitcnt vmcnt(56)
	v_fma_f64 v[143:144], v[5:6], v[145:146], -v[143:144]
	ds_read_b128 v[113:116], v165 offset:1280
	v_fma_f64 v[139:140], v[7:8], v[145:146], v[139:140]
	v_add_f64 v[117:118], v[117:118], v[151:152]
	v_add_f64 v[119:120], v[119:120], v[135:136]
	s_clause 0x2
	buffer_load_dword v156, off, s[0:3], 0 offset:700
	buffer_load_dword v136, off, s[0:3], 0 offset:676
	;; [unrolled: 1-line block ×3, first 2 shown]
	ds_read_b128 v[5:8], v165 offset:1296
	s_waitcnt vmcnt(58) lgkmcnt(1)
	v_mul_f64 v[151:152], v[115:116], v[161:162]
	s_waitcnt vmcnt(56)
	v_fma_f64 v[159:160], v[1:2], v[163:164], -v[158:159]
	v_mul_f64 v[145:146], v[113:114], v[161:162]
	v_add_f64 v[117:118], v[117:118], v[143:144]
	v_fma_f64 v[143:144], v[3:4], v[163:164], v[197:198]
	v_add_f64 v[119:120], v[119:120], v[139:140]
	s_clause 0x4
	buffer_load_dword v140, off, s[0:3], 0 offset:716
	buffer_load_dword v161, off, s[0:3], 0 offset:728
	;; [unrolled: 1-line block ×5, first 2 shown]
	s_waitcnt vmcnt(57) lgkmcnt(0)
	v_mul_f64 v[197:198], v[5:6], v[182:183]
	v_mul_f64 v[182:183], v[7:8], v[182:183]
	s_waitcnt vmcnt(56)
	v_fma_f64 v[151:152], v[113:114], v[153:154], -v[151:152]
	ds_read_b128 v[1:4], v165 offset:1312
	v_fma_f64 v[145:146], v[115:116], v[153:154], v[145:146]
	v_add_f64 v[117:118], v[117:118], v[159:160]
	v_add_f64 v[119:120], v[119:120], v[143:144]
	s_clause 0x2
	buffer_load_dword v162, off, s[0:3], 0 offset:732
	buffer_load_dword v144, off, s[0:3], 0 offset:708
	;; [unrolled: 1-line block ×3, first 2 shown]
	ds_read_b128 v[113:116], v165 offset:1328
	s_waitcnt vmcnt(58) lgkmcnt(1)
	v_mul_f64 v[159:160], v[3:4], v[184:185]
	s_waitcnt vmcnt(56)
	v_fma_f64 v[182:183], v[5:6], v[189:190], -v[182:183]
	v_mul_f64 v[153:154], v[1:2], v[184:185]
	v_add_f64 v[117:118], v[117:118], v[151:152]
	v_fma_f64 v[151:152], v[7:8], v[189:190], v[197:198]
	v_add_f64 v[119:120], v[119:120], v[145:146]
	s_clause 0x4
	buffer_load_dword v146, off, s[0:3], 0 offset:748
	buffer_load_dword v184, off, s[0:3], 0 offset:760
	;; [unrolled: 1-line block ×5, first 2 shown]
	ds_read_b128 v[5:8], v165 offset:1344
	s_waitcnt vmcnt(57) lgkmcnt(1)
	v_mul_f64 v[189:190], v[113:114], v[176:177]
	v_mul_f64 v[176:177], v[115:116], v[176:177]
	s_waitcnt vmcnt(56)
	v_fma_f64 v[159:160], v[1:2], v[186:187], -v[159:160]
	v_fma_f64 v[153:154], v[3:4], v[186:187], v[153:154]
	v_add_f64 v[117:118], v[117:118], v[182:183]
	v_add_f64 v[119:120], v[119:120], v[151:152]
	s_clause 0x2
	buffer_load_dword v185, off, s[0:3], 0 offset:764
	buffer_load_dword v152, off, s[0:3], 0 offset:740
	;; [unrolled: 1-line block ×3, first 2 shown]
	ds_read_b128 v[1:4], v165 offset:1360
	s_waitcnt vmcnt(58) lgkmcnt(1)
	v_mul_f64 v[186:187], v[7:8], v[193:194]
	v_mul_f64 v[182:183], v[5:6], v[193:194]
	s_waitcnt vmcnt(56)
	v_fma_f64 v[176:177], v[113:114], v[170:171], -v[176:177]
	v_add_f64 v[117:118], v[117:118], v[159:160]
	v_fma_f64 v[159:160], v[115:116], v[170:171], v[189:190]
	v_add_f64 v[119:120], v[119:120], v[153:154]
	s_clause 0x4
	buffer_load_dword v154, off, s[0:3], 0 offset:780
	buffer_load_dword v170, off, s[0:3], 0 offset:792
	;; [unrolled: 1-line block ×5, first 2 shown]
	ds_read_b128 v[113:116], v165 offset:1376
	s_waitcnt vmcnt(57) lgkmcnt(1)
	v_mul_f64 v[197:198], v[1:2], v[129:130]
	v_mul_f64 v[129:130], v[3:4], v[129:130]
	s_waitcnt vmcnt(56)
	v_fma_f64 v[186:187], v[5:6], v[195:196], -v[186:187]
	v_add_f64 v[117:118], v[117:118], v[176:177]
	v_fma_f64 v[176:177], v[7:8], v[195:196], v[182:183]
	v_add_f64 v[119:120], v[119:120], v[159:160]
	s_clause 0x2
	buffer_load_dword v171, off, s[0:3], 0 offset:796
	buffer_load_dword v160, off, s[0:3], 0 offset:772
	;; [unrolled: 1-line block ×3, first 2 shown]
	ds_read_b128 v[5:8], v165 offset:1392
	s_waitcnt vmcnt(58) lgkmcnt(1)
	v_mul_f64 v[182:183], v[113:114], v[178:179]
	v_mul_f64 v[178:179], v[115:116], v[178:179]
	s_waitcnt vmcnt(56)
	v_fma_f64 v[129:130], v[1:2], v[123:124], -v[129:130]
	v_fma_f64 v[123:124], v[3:4], v[123:124], v[197:198]
	v_add_f64 v[117:118], v[117:118], v[186:187]
	v_add_f64 v[119:120], v[119:120], v[176:177]
	s_clause 0x4
	buffer_load_dword v177, off, s[0:3], 0 offset:812
	buffer_load_dword v186, off, s[0:3], 0 offset:824
	;; [unrolled: 1-line block ×5, first 2 shown]
	ds_read_b128 v[1:4], v165 offset:1408
	s_waitcnt vmcnt(57) lgkmcnt(1)
	v_mul_f64 v[195:196], v[5:6], v[166:167]
	v_mul_f64 v[166:167], v[7:8], v[166:167]
	s_waitcnt vmcnt(56)
	v_fma_f64 v[178:179], v[113:114], v[191:192], -v[178:179]
	v_add_f64 v[117:118], v[117:118], v[129:130]
	v_fma_f64 v[129:130], v[115:116], v[191:192], v[182:183]
	v_add_f64 v[119:120], v[119:120], v[123:124]
	s_clause 0x2
	buffer_load_dword v187, off, s[0:3], 0 offset:828
	buffer_load_dword v124, off, s[0:3], 0 offset:804
	;; [unrolled: 1-line block ×3, first 2 shown]
	ds_read_b128 v[113:116], v165 offset:1424
	s_waitcnt vmcnt(58) lgkmcnt(1)
	v_mul_f64 v[182:183], v[1:2], v[168:169]
	v_mul_f64 v[168:169], v[3:4], v[168:169]
	s_waitcnt vmcnt(56)
	v_fma_f64 v[166:167], v[5:6], v[125:126], -v[166:167]
	v_fma_f64 v[125:126], v[7:8], v[125:126], v[195:196]
	v_add_f64 v[117:118], v[117:118], v[178:179]
	v_add_f64 v[119:120], v[119:120], v[129:130]
	s_clause 0x2
	buffer_load_dword v130, off, s[0:3], 0 offset:844
	buffer_load_dword v129, off, s[0:3], 0 offset:840
	buffer_load_dword v191, off, s[0:3], 0 offset:820
	ds_read_b128 v[5:8], v165 offset:1440
	s_waitcnt vmcnt(55) lgkmcnt(1)
	v_mul_f64 v[178:179], v[113:114], v[121:122]
	v_mul_f64 v[121:122], v[115:116], v[121:122]
	s_waitcnt vmcnt(54)
	v_fma_f64 v[168:169], v[1:2], v[180:181], -v[168:169]
	v_add_f64 v[117:118], v[117:118], v[166:167]
	v_fma_f64 v[166:167], v[3:4], v[180:181], v[182:183]
	v_add_f64 v[119:120], v[119:120], v[125:126]
	s_clause 0x1
	buffer_load_dword v126, off, s[0:3], 0 offset:836
	buffer_load_dword v125, off, s[0:3], 0 offset:832
	ds_read_b128 v[1:4], v165 offset:1456
	s_waitcnt vmcnt(55) lgkmcnt(1)
	v_mul_f64 v[180:181], v[5:6], v[141:142]
	v_mul_f64 v[141:142], v[7:8], v[141:142]
	s_waitcnt vmcnt(53)
	v_fma_f64 v[121:122], v[113:114], v[131:132], -v[121:122]
	v_fma_f64 v[131:132], v[115:116], v[131:132], v[178:179]
	ds_read_b128 v[113:116], v165 offset:1472
	v_add_f64 v[117:118], v[117:118], v[168:169]
	v_add_f64 v[119:120], v[119:120], v[166:167]
	s_waitcnt vmcnt(49) lgkmcnt(1)
	v_mul_f64 v[166:167], v[1:2], v[127:128]
	v_mul_f64 v[127:128], v[3:4], v[127:128]
	s_waitcnt vmcnt(48)
	v_fma_f64 v[141:142], v[5:6], v[174:175], -v[141:142]
	v_add_f64 v[117:118], v[117:118], v[121:122]
	v_fma_f64 v[121:122], v[7:8], v[174:175], v[180:181]
	v_add_f64 v[119:120], v[119:120], v[131:132]
	s_clause 0x3
	buffer_load_dword v131, off, s[0:3], 0 offset:224
	buffer_load_dword v132, off, s[0:3], 0 offset:228
	;; [unrolled: 1-line block ×4, first 2 shown]
	s_waitcnt vmcnt(51) lgkmcnt(0)
	v_mul_f64 v[174:175], v[113:114], v[147:148]
	v_mul_f64 v[147:148], v[115:116], v[147:148]
	ds_read_b128 v[5:8], v165 offset:1488
	s_waitcnt vmcnt(49)
	v_fma_f64 v[127:128], v[1:2], v[137:138], -v[127:128]
	v_fma_f64 v[137:138], v[3:4], v[137:138], v[166:167]
	ds_read_b128 v[1:4], v165 offset:1504
	v_add_f64 v[117:118], v[117:118], v[141:142]
	v_add_f64 v[119:120], v[119:120], v[121:122]
	s_waitcnt vmcnt(45) lgkmcnt(1)
	v_mul_f64 v[121:122], v[5:6], v[133:134]
	v_mul_f64 v[133:134], v[7:8], v[133:134]
	s_waitcnt vmcnt(44)
	v_fma_f64 v[141:142], v[113:114], v[149:150], -v[147:148]
	v_add_f64 v[117:118], v[117:118], v[127:128]
	v_fma_f64 v[127:128], v[115:116], v[149:150], v[174:175]
	v_add_f64 v[119:120], v[119:120], v[137:138]
	ds_read_b128 v[113:116], v165 offset:1520
	s_waitcnt vmcnt(43) lgkmcnt(1)
	v_mul_f64 v[147:148], v[3:4], v[155:156]
	v_mul_f64 v[137:138], v[1:2], v[155:156]
	s_waitcnt vmcnt(41)
	v_fma_f64 v[133:134], v[5:6], v[135:136], -v[133:134]
	v_fma_f64 v[121:122], v[7:8], v[135:136], v[121:122]
	ds_read_b128 v[5:8], v165 offset:1536
	v_add_f64 v[117:118], v[117:118], v[141:142]
	v_add_f64 v[119:120], v[119:120], v[127:128]
	s_waitcnt vmcnt(37) lgkmcnt(1)
	v_mul_f64 v[127:128], v[113:114], v[139:140]
	v_mul_f64 v[135:136], v[115:116], v[139:140]
	s_waitcnt vmcnt(36)
	v_fma_f64 v[139:140], v[1:2], v[157:158], -v[147:148]
	v_add_f64 v[117:118], v[117:118], v[133:134]
	v_fma_f64 v[133:134], v[3:4], v[157:158], v[137:138]
	v_add_f64 v[119:120], v[119:120], v[121:122]
	ds_read_b128 v[1:4], v165 offset:1552
	s_waitcnt vmcnt(35) lgkmcnt(1)
	v_mul_f64 v[137:138], v[7:8], v[161:162]
	v_mul_f64 v[121:122], v[5:6], v[161:162]
	s_waitcnt vmcnt(33)
	v_fma_f64 v[135:136], v[113:114], v[143:144], -v[135:136]
	v_fma_f64 v[127:128], v[115:116], v[143:144], v[127:128]
	ds_read_b128 v[113:116], v165 offset:1568
	v_add_f64 v[117:118], v[117:118], v[139:140]
	v_add_f64 v[119:120], v[119:120], v[133:134]
	s_waitcnt vmcnt(29) lgkmcnt(1)
	v_mul_f64 v[139:140], v[3:4], v[145:146]
	s_waitcnt vmcnt(28)
	v_fma_f64 v[137:138], v[5:6], v[163:164], -v[137:138]
	v_mul_f64 v[133:134], v[1:2], v[145:146]
	v_fma_f64 v[121:122], v[7:8], v[163:164], v[121:122]
	ds_read_b128 v[5:8], v165 offset:1584
	v_add_f64 v[117:118], v[117:118], v[135:136]
	v_add_f64 v[119:120], v[119:120], v[127:128]
	s_waitcnt vmcnt(27) lgkmcnt(1)
	v_mul_f64 v[135:136], v[115:116], v[184:185]
	v_mul_f64 v[127:128], v[113:114], v[184:185]
	s_waitcnt vmcnt(25)
	v_fma_f64 v[139:140], v[1:2], v[151:152], -v[139:140]
	v_fma_f64 v[133:134], v[3:4], v[151:152], v[133:134]
	ds_read_b128 v[1:4], v165 offset:1600
	v_add_f64 v[117:118], v[117:118], v[137:138]
	v_add_f64 v[119:120], v[119:120], v[121:122]
	s_waitcnt vmcnt(21) lgkmcnt(1)
	v_mul_f64 v[137:138], v[7:8], v[153:154]
	s_waitcnt vmcnt(20)
	v_fma_f64 v[135:136], v[113:114], v[188:189], -v[135:136]
	v_mul_f64 v[121:122], v[5:6], v[153:154]
	v_fma_f64 v[127:128], v[115:116], v[188:189], v[127:128]
	ds_read_b128 v[113:116], v165 offset:1616
	v_add_f64 v[117:118], v[117:118], v[139:140]
	v_add_f64 v[119:120], v[119:120], v[133:134]
	;; [unrolled: 18-line block ×3, first 2 shown]
	s_waitcnt vmcnt(11) lgkmcnt(1)
	v_mul_f64 v[137:138], v[7:8], v[186:187]
	v_mul_f64 v[121:122], v[5:6], v[186:187]
	s_waitcnt vmcnt(9)
	v_fma_f64 v[113:114], v[113:114], v[123:124], -v[135:136]
	v_fma_f64 v[115:116], v[115:116], v[123:124], v[127:128]
	v_add_f64 v[117:118], v[117:118], v[139:140]
	v_add_f64 v[119:120], v[119:120], v[133:134]
	s_waitcnt vmcnt(7) lgkmcnt(0)
	v_mul_f64 v[127:128], v[3:4], v[129:130]
	s_waitcnt vmcnt(6)
	v_fma_f64 v[5:6], v[5:6], v[190:191], -v[137:138]
	v_mul_f64 v[123:124], v[1:2], v[129:130]
	v_fma_f64 v[7:8], v[7:8], v[190:191], v[121:122]
	v_add_f64 v[113:114], v[117:118], v[113:114]
	v_add_f64 v[115:116], v[119:120], v[115:116]
	s_waitcnt vmcnt(4)
	v_fma_f64 v[1:2], v[1:2], v[125:126], -v[127:128]
	v_fma_f64 v[3:4], v[3:4], v[125:126], v[123:124]
	v_add_f64 v[5:6], v[113:114], v[5:6]
	v_add_f64 v[7:8], v[115:116], v[7:8]
	;; [unrolled: 1-line block ×4, first 2 shown]
	s_waitcnt vmcnt(2)
	v_add_f64 v[1:2], v[131:132], -v[1:2]
	s_waitcnt vmcnt(0)
	v_add_f64 v[3:4], v[168:169], -v[3:4]
	buffer_store_dword v2, off, s[0:3], 0 offset:228
	buffer_store_dword v1, off, s[0:3], 0 offset:224
	;; [unrolled: 1-line block ×4, first 2 shown]
	v_cmpx_lt_u32_e32 12, v0
	s_cbranch_execz .LBB115_301
; %bb.300:
	v_mov_b32_e32 v4, s52
	v_mov_b32_e32 v5, 0
	s_clause 0x3
	buffer_load_dword v1, v4, s[0:3], 0 offen
	buffer_load_dword v2, v4, s[0:3], 0 offen offset:4
	buffer_load_dword v3, v4, s[0:3], 0 offen offset:8
	;; [unrolled: 1-line block ×3, first 2 shown]
	buffer_store_dword v5, off, s[0:3], 0 offset:208
	buffer_store_dword v5, off, s[0:3], 0 offset:212
	;; [unrolled: 1-line block ×4, first 2 shown]
	s_waitcnt vmcnt(0)
	ds_write_b128 v173, v[1:4]
.LBB115_301:
	s_or_b32 exec_lo, exec_lo, s4
	s_waitcnt lgkmcnt(0)
	s_waitcnt_vscnt null, 0x0
	s_barrier
	buffer_gl0_inv
	s_clause 0x37
	buffer_load_dword v113, off, s[0:3], 0 offset:232
	buffer_load_dword v114, off, s[0:3], 0 offset:236
	;; [unrolled: 1-line block ×56, first 2 shown]
	v_mov_b32_e32 v165, 0
	s_mov_b32 s4, exec_lo
	ds_read_b128 v[166:169], v165 offset:1040
	s_clause 0x2
	buffer_load_dword v162, off, s[0:3], 0 offset:460
	buffer_load_dword v164, off, s[0:3], 0 offset:436
	;; [unrolled: 1-line block ×3, first 2 shown]
	ds_read_b128 v[174:177], v165 offset:1056
	s_clause 0x4
	buffer_load_dword v183, off, s[0:3], 0 offset:476
	buffer_load_dword v184, off, s[0:3], 0 offset:488
	;; [unrolled: 1-line block ×5, first 2 shown]
	ds_read_b128 v[178:181], v165 offset:1072
	s_clause 0x2
	buffer_load_dword v185, off, s[0:3], 0 offset:492
	buffer_load_dword v190, off, s[0:3], 0 offset:468
	;; [unrolled: 1-line block ×3, first 2 shown]
	s_waitcnt vmcnt(62) lgkmcnt(2)
	v_mul_f64 v[170:171], v[168:169], v[113:114]
	v_mul_f64 v[113:114], v[166:167], v[113:114]
	s_waitcnt lgkmcnt(1)
	v_mul_f64 v[187:188], v[176:177], v[5:6]
	s_waitcnt vmcnt(59) lgkmcnt(0)
	v_mul_f64 v[191:192], v[180:181], v[3:4]
	v_fma_f64 v[166:167], v[166:167], v[7:8], -v[170:171]
	v_mul_f64 v[170:171], v[174:175], v[5:6]
	v_fma_f64 v[113:114], v[168:169], v[7:8], v[113:114]
	s_waitcnt vmcnt(57)
	v_fma_f64 v[174:175], v[174:175], v[1:2], -v[187:188]
	ds_read_b128 v[5:8], v165 offset:1088
	v_mul_f64 v[168:169], v[178:179], v[3:4]
	s_waitcnt vmcnt(51)
	v_fma_f64 v[178:179], v[178:179], v[129:130], -v[191:192]
	v_add_f64 v[166:167], v[166:167], 0
	v_fma_f64 v[170:171], v[176:177], v[1:2], v[170:171]
	v_add_f64 v[113:114], v[113:114], 0
	s_clause 0x4
	buffer_load_dword v177, off, s[0:3], 0 offset:508
	buffer_load_dword v193, off, s[0:3], 0 offset:520
	;; [unrolled: 1-line block ×5, first 2 shown]
	s_waitcnt lgkmcnt(0)
	v_mul_f64 v[196:197], v[5:6], v[117:118]
	v_mul_f64 v[117:118], v[7:8], v[117:118]
	ds_read_b128 v[1:4], v165 offset:1104
	v_fma_f64 v[129:130], v[180:181], v[129:130], v[168:169]
	v_add_f64 v[174:175], v[166:167], v[174:175]
	v_add_f64 v[113:114], v[113:114], v[170:171]
	s_clause 0x2
	buffer_load_dword v194, off, s[0:3], 0 offset:524
	buffer_load_dword v171, off, s[0:3], 0 offset:500
	;; [unrolled: 1-line block ×3, first 2 shown]
	s_waitcnt vmcnt(58) lgkmcnt(0)
	v_mul_f64 v[180:181], v[1:2], v[121:122]
	v_mul_f64 v[121:122], v[3:4], v[121:122]
	s_waitcnt vmcnt(56)
	v_fma_f64 v[117:118], v[5:6], v[123:124], -v[117:118]
	ds_read_b128 v[166:169], v165 offset:1120
	v_fma_f64 v[123:124], v[7:8], v[123:124], v[196:197]
	v_add_f64 v[174:175], v[174:175], v[178:179]
	v_add_f64 v[113:114], v[113:114], v[129:130]
	s_clause 0x4
	buffer_load_dword v130, off, s[0:3], 0 offset:540
	buffer_load_dword v178, off, s[0:3], 0 offset:552
	;; [unrolled: 1-line block ×5, first 2 shown]
	ds_read_b128 v[5:8], v165 offset:1136
	s_waitcnt vmcnt(57) lgkmcnt(1)
	v_mul_f64 v[197:198], v[166:167], v[125:126]
	v_mul_f64 v[125:126], v[168:169], v[125:126]
	s_waitcnt vmcnt(56)
	v_fma_f64 v[121:122], v[1:2], v[115:116], -v[121:122]
	v_fma_f64 v[115:116], v[3:4], v[115:116], v[180:181]
	v_add_f64 v[117:118], v[174:175], v[117:118]
	v_add_f64 v[113:114], v[113:114], v[123:124]
	s_clause 0x2
	buffer_load_dword v179, off, s[0:3], 0 offset:556
	buffer_load_dword v124, off, s[0:3], 0 offset:532
	;; [unrolled: 1-line block ×3, first 2 shown]
	s_waitcnt vmcnt(58) lgkmcnt(0)
	v_mul_f64 v[174:175], v[5:6], v[131:132]
	v_mul_f64 v[131:132], v[7:8], v[131:132]
	s_waitcnt vmcnt(56)
	v_fma_f64 v[125:126], v[166:167], v[133:134], -v[125:126]
	ds_read_b128 v[1:4], v165 offset:1152
	v_add_f64 v[117:118], v[117:118], v[121:122]
	v_fma_f64 v[121:122], v[168:169], v[133:134], v[197:198]
	v_add_f64 v[133:134], v[113:114], v[115:116]
	s_clause 0x4
	buffer_load_dword v167, off, s[0:3], 0 offset:572
	buffer_load_dword v168, off, s[0:3], 0 offset:584
	;; [unrolled: 1-line block ×5, first 2 shown]
	ds_read_b128 v[113:116], v165 offset:1168
	s_waitcnt vmcnt(57) lgkmcnt(1)
	v_mul_f64 v[197:198], v[1:2], v[135:136]
	v_mul_f64 v[135:136], v[3:4], v[135:136]
	s_waitcnt vmcnt(56)
	v_fma_f64 v[131:132], v[5:6], v[119:120], -v[131:132]
	v_fma_f64 v[119:120], v[7:8], v[119:120], v[174:175]
	v_add_f64 v[117:118], v[117:118], v[125:126]
	s_clause 0x2
	buffer_load_dword v169, off, s[0:3], 0 offset:588
	buffer_load_dword v126, off, s[0:3], 0 offset:564
	;; [unrolled: 1-line block ×3, first 2 shown]
	v_add_f64 v[121:122], v[133:134], v[121:122]
	s_waitcnt vmcnt(58) lgkmcnt(0)
	v_mul_f64 v[133:134], v[113:114], v[139:140]
	v_mul_f64 v[139:140], v[115:116], v[139:140]
	ds_read_b128 v[5:8], v165 offset:1184
	s_waitcnt vmcnt(56)
	v_fma_f64 v[135:136], v[1:2], v[141:142], -v[135:136]
	v_add_f64 v[117:118], v[117:118], v[131:132]
	v_fma_f64 v[131:132], v[3:4], v[141:142], v[197:198]
	v_add_f64 v[119:120], v[121:122], v[119:120]
	s_clause 0x4
	buffer_load_dword v122, off, s[0:3], 0 offset:604
	buffer_load_dword v141, off, s[0:3], 0 offset:616
	buffer_load_dword v174, off, s[0:3], 0 offset:608
	buffer_load_dword v121, off, s[0:3], 0 offset:600
	buffer_load_dword v181, off, s[0:3], 0 offset:580
	s_waitcnt vmcnt(57) lgkmcnt(0)
	v_mul_f64 v[197:198], v[5:6], v[143:144]
	v_mul_f64 v[143:144], v[7:8], v[143:144]
	s_waitcnt vmcnt(56)
	v_fma_f64 v[139:140], v[113:114], v[127:128], -v[139:140]
	ds_read_b128 v[1:4], v165 offset:1200
	v_fma_f64 v[127:128], v[115:116], v[127:128], v[133:134]
	v_add_f64 v[117:118], v[117:118], v[135:136]
	v_add_f64 v[119:120], v[119:120], v[131:132]
	s_clause 0x2
	buffer_load_dword v142, off, s[0:3], 0 offset:620
	buffer_load_dword v132, off, s[0:3], 0 offset:596
	;; [unrolled: 1-line block ×3, first 2 shown]
	ds_read_b128 v[113:116], v165 offset:1216
	s_waitcnt vmcnt(58) lgkmcnt(1)
	v_mul_f64 v[135:136], v[3:4], v[147:148]
	s_waitcnt vmcnt(56)
	v_fma_f64 v[143:144], v[5:6], v[149:150], -v[143:144]
	v_mul_f64 v[133:134], v[1:2], v[147:148]
	v_add_f64 v[117:118], v[117:118], v[139:140]
	v_fma_f64 v[139:140], v[7:8], v[149:150], v[197:198]
	v_add_f64 v[119:120], v[119:120], v[127:128]
	s_clause 0x4
	buffer_load_dword v128, off, s[0:3], 0 offset:636
	buffer_load_dword v147, off, s[0:3], 0 offset:648
	;; [unrolled: 1-line block ×5, first 2 shown]
	s_waitcnt vmcnt(57) lgkmcnt(0)
	v_mul_f64 v[197:198], v[113:114], v[151:152]
	v_mul_f64 v[150:151], v[115:116], v[151:152]
	s_waitcnt vmcnt(56)
	v_fma_f64 v[135:136], v[1:2], v[137:138], -v[135:136]
	ds_read_b128 v[5:8], v165 offset:1232
	v_fma_f64 v[133:134], v[3:4], v[137:138], v[133:134]
	s_clause 0x2
	buffer_load_dword v148, off, s[0:3], 0 offset:652
	buffer_load_dword v138, off, s[0:3], 0 offset:628
	;; [unrolled: 1-line block ×3, first 2 shown]
	ds_read_b128 v[1:4], v165 offset:1248
	v_add_f64 v[117:118], v[117:118], v[143:144]
	v_add_f64 v[119:120], v[119:120], v[139:140]
	s_waitcnt vmcnt(58) lgkmcnt(1)
	v_mul_f64 v[143:144], v[7:8], v[155:156]
	s_waitcnt vmcnt(56)
	v_fma_f64 v[151:152], v[113:114], v[157:158], -v[150:151]
	v_mul_f64 v[139:140], v[5:6], v[155:156]
	v_add_f64 v[117:118], v[117:118], v[135:136]
	v_fma_f64 v[135:136], v[115:116], v[157:158], v[197:198]
	v_add_f64 v[119:120], v[119:120], v[133:134]
	s_clause 0x4
	buffer_load_dword v134, off, s[0:3], 0 offset:668
	buffer_load_dword v155, off, s[0:3], 0 offset:680
	;; [unrolled: 1-line block ×5, first 2 shown]
	s_waitcnt vmcnt(57) lgkmcnt(0)
	v_mul_f64 v[197:198], v[1:2], v[159:160]
	v_mul_f64 v[158:159], v[3:4], v[159:160]
	s_waitcnt vmcnt(56)
	v_fma_f64 v[143:144], v[5:6], v[145:146], -v[143:144]
	ds_read_b128 v[113:116], v165 offset:1264
	v_fma_f64 v[139:140], v[7:8], v[145:146], v[139:140]
	v_add_f64 v[117:118], v[117:118], v[151:152]
	v_add_f64 v[119:120], v[119:120], v[135:136]
	s_clause 0x2
	buffer_load_dword v156, off, s[0:3], 0 offset:684
	buffer_load_dword v136, off, s[0:3], 0 offset:660
	;; [unrolled: 1-line block ×3, first 2 shown]
	ds_read_b128 v[5:8], v165 offset:1280
	s_waitcnt vmcnt(58) lgkmcnt(1)
	v_mul_f64 v[151:152], v[115:116], v[161:162]
	s_waitcnt vmcnt(56)
	v_fma_f64 v[159:160], v[1:2], v[163:164], -v[158:159]
	v_mul_f64 v[145:146], v[113:114], v[161:162]
	v_add_f64 v[117:118], v[117:118], v[143:144]
	v_fma_f64 v[143:144], v[3:4], v[163:164], v[197:198]
	v_add_f64 v[119:120], v[119:120], v[139:140]
	s_clause 0x4
	buffer_load_dword v140, off, s[0:3], 0 offset:700
	buffer_load_dword v161, off, s[0:3], 0 offset:712
	;; [unrolled: 1-line block ×5, first 2 shown]
	s_waitcnt vmcnt(57) lgkmcnt(0)
	v_mul_f64 v[197:198], v[5:6], v[182:183]
	v_mul_f64 v[182:183], v[7:8], v[182:183]
	s_waitcnt vmcnt(56)
	v_fma_f64 v[151:152], v[113:114], v[153:154], -v[151:152]
	ds_read_b128 v[1:4], v165 offset:1296
	v_fma_f64 v[145:146], v[115:116], v[153:154], v[145:146]
	v_add_f64 v[117:118], v[117:118], v[159:160]
	v_add_f64 v[119:120], v[119:120], v[143:144]
	s_clause 0x2
	buffer_load_dword v162, off, s[0:3], 0 offset:716
	buffer_load_dword v144, off, s[0:3], 0 offset:692
	;; [unrolled: 1-line block ×3, first 2 shown]
	ds_read_b128 v[113:116], v165 offset:1312
	s_waitcnt vmcnt(58) lgkmcnt(1)
	v_mul_f64 v[159:160], v[3:4], v[184:185]
	s_waitcnt vmcnt(56)
	v_fma_f64 v[182:183], v[5:6], v[189:190], -v[182:183]
	v_mul_f64 v[153:154], v[1:2], v[184:185]
	v_add_f64 v[117:118], v[117:118], v[151:152]
	v_fma_f64 v[151:152], v[7:8], v[189:190], v[197:198]
	v_add_f64 v[119:120], v[119:120], v[145:146]
	s_clause 0x4
	buffer_load_dword v146, off, s[0:3], 0 offset:732
	buffer_load_dword v184, off, s[0:3], 0 offset:744
	;; [unrolled: 1-line block ×5, first 2 shown]
	ds_read_b128 v[5:8], v165 offset:1328
	s_waitcnt vmcnt(57) lgkmcnt(1)
	v_mul_f64 v[189:190], v[113:114], v[176:177]
	v_mul_f64 v[176:177], v[115:116], v[176:177]
	s_waitcnt vmcnt(56)
	v_fma_f64 v[159:160], v[1:2], v[186:187], -v[159:160]
	v_fma_f64 v[153:154], v[3:4], v[186:187], v[153:154]
	v_add_f64 v[117:118], v[117:118], v[182:183]
	v_add_f64 v[119:120], v[119:120], v[151:152]
	s_clause 0x2
	buffer_load_dword v185, off, s[0:3], 0 offset:748
	buffer_load_dword v152, off, s[0:3], 0 offset:724
	;; [unrolled: 1-line block ×3, first 2 shown]
	ds_read_b128 v[1:4], v165 offset:1344
	s_waitcnt vmcnt(58) lgkmcnt(1)
	v_mul_f64 v[186:187], v[7:8], v[193:194]
	v_mul_f64 v[182:183], v[5:6], v[193:194]
	s_waitcnt vmcnt(56)
	v_fma_f64 v[176:177], v[113:114], v[170:171], -v[176:177]
	v_add_f64 v[117:118], v[117:118], v[159:160]
	v_fma_f64 v[159:160], v[115:116], v[170:171], v[189:190]
	v_add_f64 v[119:120], v[119:120], v[153:154]
	s_clause 0x4
	buffer_load_dword v154, off, s[0:3], 0 offset:764
	buffer_load_dword v170, off, s[0:3], 0 offset:776
	buffer_load_dword v193, off, s[0:3], 0 offset:768
	buffer_load_dword v153, off, s[0:3], 0 offset:760
	buffer_load_dword v189, off, s[0:3], 0 offset:740
	ds_read_b128 v[113:116], v165 offset:1360
	s_waitcnt vmcnt(57) lgkmcnt(1)
	v_mul_f64 v[197:198], v[1:2], v[129:130]
	v_mul_f64 v[129:130], v[3:4], v[129:130]
	s_waitcnt vmcnt(56)
	v_fma_f64 v[186:187], v[5:6], v[195:196], -v[186:187]
	v_add_f64 v[117:118], v[117:118], v[176:177]
	v_fma_f64 v[176:177], v[7:8], v[195:196], v[182:183]
	v_add_f64 v[119:120], v[119:120], v[159:160]
	s_clause 0x2
	buffer_load_dword v171, off, s[0:3], 0 offset:780
	buffer_load_dword v160, off, s[0:3], 0 offset:756
	;; [unrolled: 1-line block ×3, first 2 shown]
	ds_read_b128 v[5:8], v165 offset:1376
	s_waitcnt vmcnt(58) lgkmcnt(1)
	v_mul_f64 v[182:183], v[113:114], v[178:179]
	v_mul_f64 v[178:179], v[115:116], v[178:179]
	s_waitcnt vmcnt(56)
	v_fma_f64 v[129:130], v[1:2], v[123:124], -v[129:130]
	v_fma_f64 v[123:124], v[3:4], v[123:124], v[197:198]
	v_add_f64 v[117:118], v[117:118], v[186:187]
	v_add_f64 v[119:120], v[119:120], v[176:177]
	s_clause 0x4
	buffer_load_dword v177, off, s[0:3], 0 offset:796
	buffer_load_dword v186, off, s[0:3], 0 offset:808
	;; [unrolled: 1-line block ×5, first 2 shown]
	ds_read_b128 v[1:4], v165 offset:1392
	s_waitcnt vmcnt(57) lgkmcnt(1)
	v_mul_f64 v[195:196], v[5:6], v[166:167]
	v_mul_f64 v[166:167], v[7:8], v[166:167]
	s_waitcnt vmcnt(56)
	v_fma_f64 v[178:179], v[113:114], v[191:192], -v[178:179]
	v_add_f64 v[117:118], v[117:118], v[129:130]
	v_fma_f64 v[129:130], v[115:116], v[191:192], v[182:183]
	v_add_f64 v[119:120], v[119:120], v[123:124]
	s_clause 0x2
	buffer_load_dword v187, off, s[0:3], 0 offset:812
	buffer_load_dword v124, off, s[0:3], 0 offset:788
	;; [unrolled: 1-line block ×3, first 2 shown]
	ds_read_b128 v[113:116], v165 offset:1408
	s_waitcnt vmcnt(58) lgkmcnt(1)
	v_mul_f64 v[182:183], v[1:2], v[168:169]
	v_mul_f64 v[168:169], v[3:4], v[168:169]
	s_waitcnt vmcnt(56)
	v_fma_f64 v[166:167], v[5:6], v[125:126], -v[166:167]
	v_fma_f64 v[125:126], v[7:8], v[125:126], v[195:196]
	v_add_f64 v[117:118], v[117:118], v[178:179]
	v_add_f64 v[119:120], v[119:120], v[129:130]
	s_clause 0x4
	buffer_load_dword v130, off, s[0:3], 0 offset:828
	buffer_load_dword v178, off, s[0:3], 0 offset:840
	buffer_load_dword v195, off, s[0:3], 0 offset:832
	buffer_load_dword v129, off, s[0:3], 0 offset:824
	buffer_load_dword v191, off, s[0:3], 0 offset:804
	ds_read_b128 v[5:8], v165 offset:1424
	s_waitcnt vmcnt(57) lgkmcnt(1)
	v_mul_f64 v[196:197], v[113:114], v[121:122]
	v_mul_f64 v[121:122], v[115:116], v[121:122]
	s_waitcnt vmcnt(56)
	v_fma_f64 v[168:169], v[1:2], v[180:181], -v[168:169]
	v_add_f64 v[117:118], v[117:118], v[166:167]
	v_fma_f64 v[166:167], v[3:4], v[180:181], v[182:183]
	v_add_f64 v[119:120], v[119:120], v[125:126]
	s_clause 0x2
	buffer_load_dword v179, off, s[0:3], 0 offset:844
	buffer_load_dword v126, off, s[0:3], 0 offset:820
	;; [unrolled: 1-line block ×3, first 2 shown]
	ds_read_b128 v[1:4], v165 offset:1440
	s_waitcnt vmcnt(58) lgkmcnt(1)
	v_mul_f64 v[180:181], v[5:6], v[141:142]
	v_mul_f64 v[141:142], v[7:8], v[141:142]
	s_waitcnt vmcnt(56)
	v_fma_f64 v[121:122], v[113:114], v[131:132], -v[121:122]
	v_fma_f64 v[131:132], v[115:116], v[131:132], v[196:197]
	buffer_load_dword v196, off, s[0:3], 0 offset:836
	ds_read_b128 v[113:116], v165 offset:1456
	v_add_f64 v[117:118], v[117:118], v[168:169]
	v_add_f64 v[119:120], v[119:120], v[166:167]
	s_waitcnt vmcnt(53) lgkmcnt(1)
	v_mul_f64 v[166:167], v[1:2], v[127:128]
	v_mul_f64 v[127:128], v[3:4], v[127:128]
	s_waitcnt vmcnt(52)
	v_fma_f64 v[141:142], v[5:6], v[174:175], -v[141:142]
	v_add_f64 v[117:118], v[117:118], v[121:122]
	v_fma_f64 v[121:122], v[7:8], v[174:175], v[180:181]
	v_add_f64 v[119:120], v[119:120], v[131:132]
	s_waitcnt vmcnt(51) lgkmcnt(0)
	v_mul_f64 v[131:132], v[113:114], v[147:148]
	v_mul_f64 v[147:148], v[115:116], v[147:148]
	ds_read_b128 v[5:8], v165 offset:1472
	s_waitcnt vmcnt(49)
	v_fma_f64 v[127:128], v[1:2], v[137:138], -v[127:128]
	v_fma_f64 v[137:138], v[3:4], v[137:138], v[166:167]
	v_add_f64 v[117:118], v[117:118], v[141:142]
	v_add_f64 v[119:120], v[119:120], v[121:122]
	s_clause 0x3
	buffer_load_dword v121, off, s[0:3], 0 offset:208
	buffer_load_dword v122, off, s[0:3], 0 offset:212
	buffer_load_dword v141, off, s[0:3], 0 offset:216
	buffer_load_dword v142, off, s[0:3], 0 offset:220
	ds_read_b128 v[1:4], v165 offset:1488
	s_waitcnt vmcnt(49) lgkmcnt(1)
	v_mul_f64 v[166:167], v[5:6], v[133:134]
	v_mul_f64 v[133:134], v[7:8], v[133:134]
	s_waitcnt vmcnt(48)
	v_fma_f64 v[147:148], v[113:114], v[149:150], -v[147:148]
	v_add_f64 v[117:118], v[117:118], v[127:128]
	v_fma_f64 v[127:128], v[115:116], v[149:150], v[131:132]
	v_add_f64 v[119:120], v[119:120], v[137:138]
	ds_read_b128 v[113:116], v165 offset:1504
	s_waitcnt vmcnt(47) lgkmcnt(1)
	v_mul_f64 v[137:138], v[3:4], v[155:156]
	v_mul_f64 v[131:132], v[1:2], v[155:156]
	s_waitcnt vmcnt(45)
	v_fma_f64 v[133:134], v[5:6], v[135:136], -v[133:134]
	v_fma_f64 v[135:136], v[7:8], v[135:136], v[166:167]
	ds_read_b128 v[5:8], v165 offset:1520
	v_add_f64 v[117:118], v[117:118], v[147:148]
	v_add_f64 v[119:120], v[119:120], v[127:128]
	s_waitcnt vmcnt(41) lgkmcnt(1)
	v_mul_f64 v[127:128], v[113:114], v[139:140]
	v_mul_f64 v[139:140], v[115:116], v[139:140]
	s_waitcnt vmcnt(40)
	v_fma_f64 v[137:138], v[1:2], v[157:158], -v[137:138]
	v_fma_f64 v[131:132], v[3:4], v[157:158], v[131:132]
	ds_read_b128 v[1:4], v165 offset:1536
	v_add_f64 v[117:118], v[117:118], v[133:134]
	v_add_f64 v[119:120], v[119:120], v[135:136]
	;; [unrolled: 9-line block ×3, first 2 shown]
	s_waitcnt vmcnt(33) lgkmcnt(1)
	v_mul_f64 v[137:138], v[3:4], v[145:146]
	s_waitcnt vmcnt(32)
	v_fma_f64 v[135:136], v[5:6], v[163:164], -v[135:136]
	v_mul_f64 v[131:132], v[1:2], v[145:146]
	v_fma_f64 v[133:134], v[7:8], v[163:164], v[133:134]
	ds_read_b128 v[5:8], v165 offset:1568
	v_add_f64 v[117:118], v[117:118], v[139:140]
	v_add_f64 v[119:120], v[119:120], v[127:128]
	s_waitcnt vmcnt(31) lgkmcnt(1)
	v_mul_f64 v[139:140], v[115:116], v[184:185]
	v_mul_f64 v[127:128], v[113:114], v[184:185]
	s_waitcnt vmcnt(29)
	v_fma_f64 v[137:138], v[1:2], v[151:152], -v[137:138]
	v_fma_f64 v[131:132], v[3:4], v[151:152], v[131:132]
	ds_read_b128 v[1:4], v165 offset:1584
	v_add_f64 v[117:118], v[117:118], v[135:136]
	v_add_f64 v[119:120], v[119:120], v[133:134]
	s_waitcnt vmcnt(25) lgkmcnt(1)
	v_mul_f64 v[135:136], v[7:8], v[153:154]
	s_waitcnt vmcnt(24)
	v_fma_f64 v[139:140], v[113:114], v[188:189], -v[139:140]
	v_mul_f64 v[133:134], v[5:6], v[153:154]
	v_fma_f64 v[127:128], v[115:116], v[188:189], v[127:128]
	ds_read_b128 v[113:116], v165 offset:1600
	v_add_f64 v[117:118], v[117:118], v[137:138]
	v_add_f64 v[119:120], v[119:120], v[131:132]
	s_waitcnt vmcnt(23) lgkmcnt(1)
	v_mul_f64 v[137:138], v[3:4], v[170:171]
	v_mul_f64 v[131:132], v[1:2], v[170:171]
	s_waitcnt vmcnt(21)
	v_fma_f64 v[135:136], v[5:6], v[159:160], -v[135:136]
	v_fma_f64 v[133:134], v[7:8], v[159:160], v[133:134]
	ds_read_b128 v[5:8], v165 offset:1616
	v_add_f64 v[117:118], v[117:118], v[139:140]
	v_add_f64 v[119:120], v[119:120], v[127:128]
	;; [unrolled: 18-line block ×3, first 2 shown]
	s_waitcnt vmcnt(9) lgkmcnt(1)
	v_mul_f64 v[127:128], v[1:2], v[129:130]
	v_mul_f64 v[129:130], v[3:4], v[129:130]
	s_waitcnt vmcnt(8)
	v_fma_f64 v[5:6], v[5:6], v[190:191], -v[135:136]
	v_fma_f64 v[7:8], v[7:8], v[190:191], v[133:134]
	v_add_f64 v[117:118], v[117:118], v[139:140]
	v_add_f64 v[119:120], v[119:120], v[123:124]
	s_waitcnt vmcnt(7) lgkmcnt(0)
	v_mul_f64 v[131:132], v[115:116], v[178:179]
	v_mul_f64 v[123:124], v[113:114], v[178:179]
	s_waitcnt vmcnt(5)
	v_fma_f64 v[1:2], v[1:2], v[125:126], -v[129:130]
	v_fma_f64 v[3:4], v[3:4], v[125:126], v[127:128]
	v_add_f64 v[5:6], v[117:118], v[5:6]
	v_add_f64 v[7:8], v[119:120], v[7:8]
	s_waitcnt vmcnt(4)
	v_fma_f64 v[113:114], v[113:114], v[195:196], -v[131:132]
	v_add_f64 v[1:2], v[5:6], v[1:2]
	v_fma_f64 v[5:6], v[115:116], v[195:196], v[123:124]
	v_add_f64 v[3:4], v[7:8], v[3:4]
	v_add_f64 v[1:2], v[1:2], v[113:114]
	;; [unrolled: 1-line block ×3, first 2 shown]
	s_waitcnt vmcnt(2)
	v_add_f64 v[1:2], v[121:122], -v[1:2]
	s_waitcnt vmcnt(0)
	v_add_f64 v[3:4], v[141:142], -v[3:4]
	buffer_store_dword v2, off, s[0:3], 0 offset:212
	buffer_store_dword v1, off, s[0:3], 0 offset:208
	;; [unrolled: 1-line block ×4, first 2 shown]
	v_cmpx_lt_u32_e32 11, v0
	s_cbranch_execz .LBB115_303
; %bb.302:
	v_mov_b32_e32 v4, s53
	s_clause 0x3
	buffer_load_dword v1, v4, s[0:3], 0 offen
	buffer_load_dword v2, v4, s[0:3], 0 offen offset:4
	buffer_load_dword v3, v4, s[0:3], 0 offen offset:8
	;; [unrolled: 1-line block ×3, first 2 shown]
	buffer_store_dword v165, off, s[0:3], 0 offset:192
	buffer_store_dword v165, off, s[0:3], 0 offset:196
	;; [unrolled: 1-line block ×4, first 2 shown]
	s_waitcnt vmcnt(0)
	ds_write_b128 v173, v[1:4]
.LBB115_303:
	s_or_b32 exec_lo, exec_lo, s4
	s_waitcnt lgkmcnt(0)
	s_waitcnt_vscnt null, 0x0
	s_barrier
	buffer_gl0_inv
	s_clause 0x37
	buffer_load_dword v113, off, s[0:3], 0 offset:216
	buffer_load_dword v114, off, s[0:3], 0 offset:220
	;; [unrolled: 1-line block ×56, first 2 shown]
	ds_read_b128 v[166:169], v165 offset:1024
	s_clause 0x2
	buffer_load_dword v162, off, s[0:3], 0 offset:444
	buffer_load_dword v164, off, s[0:3], 0 offset:420
	;; [unrolled: 1-line block ×3, first 2 shown]
	ds_read_b128 v[174:177], v165 offset:1040
	s_clause 0x4
	buffer_load_dword v183, off, s[0:3], 0 offset:460
	buffer_load_dword v184, off, s[0:3], 0 offset:472
	;; [unrolled: 1-line block ×5, first 2 shown]
	ds_read_b128 v[178:181], v165 offset:1056
	s_clause 0x2
	buffer_load_dword v185, off, s[0:3], 0 offset:476
	buffer_load_dword v190, off, s[0:3], 0 offset:452
	buffer_load_dword v189, off, s[0:3], 0 offset:448
	s_mov_b32 s4, exec_lo
	s_waitcnt vmcnt(62) lgkmcnt(2)
	v_mul_f64 v[170:171], v[168:169], v[113:114]
	v_mul_f64 v[113:114], v[166:167], v[113:114]
	s_waitcnt lgkmcnt(1)
	v_mul_f64 v[187:188], v[176:177], v[5:6]
	s_waitcnt vmcnt(59) lgkmcnt(0)
	v_mul_f64 v[191:192], v[180:181], v[3:4]
	v_fma_f64 v[166:167], v[166:167], v[7:8], -v[170:171]
	v_mul_f64 v[170:171], v[174:175], v[5:6]
	v_fma_f64 v[113:114], v[168:169], v[7:8], v[113:114]
	s_waitcnt vmcnt(57)
	v_fma_f64 v[174:175], v[174:175], v[1:2], -v[187:188]
	ds_read_b128 v[5:8], v165 offset:1072
	v_mul_f64 v[168:169], v[178:179], v[3:4]
	s_waitcnt vmcnt(51)
	v_fma_f64 v[178:179], v[178:179], v[129:130], -v[191:192]
	v_add_f64 v[166:167], v[166:167], 0
	v_fma_f64 v[170:171], v[176:177], v[1:2], v[170:171]
	v_add_f64 v[113:114], v[113:114], 0
	s_clause 0x4
	buffer_load_dword v177, off, s[0:3], 0 offset:492
	buffer_load_dword v193, off, s[0:3], 0 offset:504
	;; [unrolled: 1-line block ×5, first 2 shown]
	s_waitcnt lgkmcnt(0)
	v_mul_f64 v[196:197], v[5:6], v[117:118]
	v_mul_f64 v[117:118], v[7:8], v[117:118]
	ds_read_b128 v[1:4], v165 offset:1088
	v_fma_f64 v[129:130], v[180:181], v[129:130], v[168:169]
	v_add_f64 v[174:175], v[166:167], v[174:175]
	v_add_f64 v[113:114], v[113:114], v[170:171]
	s_clause 0x2
	buffer_load_dword v194, off, s[0:3], 0 offset:508
	buffer_load_dword v171, off, s[0:3], 0 offset:484
	;; [unrolled: 1-line block ×3, first 2 shown]
	s_waitcnt vmcnt(58) lgkmcnt(0)
	v_mul_f64 v[180:181], v[1:2], v[121:122]
	v_mul_f64 v[121:122], v[3:4], v[121:122]
	s_waitcnt vmcnt(56)
	v_fma_f64 v[117:118], v[5:6], v[123:124], -v[117:118]
	ds_read_b128 v[166:169], v165 offset:1104
	v_fma_f64 v[123:124], v[7:8], v[123:124], v[196:197]
	v_add_f64 v[174:175], v[174:175], v[178:179]
	v_add_f64 v[113:114], v[113:114], v[129:130]
	s_clause 0x4
	buffer_load_dword v130, off, s[0:3], 0 offset:524
	buffer_load_dword v178, off, s[0:3], 0 offset:536
	;; [unrolled: 1-line block ×5, first 2 shown]
	ds_read_b128 v[5:8], v165 offset:1120
	s_waitcnt vmcnt(57) lgkmcnt(1)
	v_mul_f64 v[197:198], v[166:167], v[125:126]
	v_mul_f64 v[125:126], v[168:169], v[125:126]
	s_waitcnt vmcnt(56)
	v_fma_f64 v[121:122], v[1:2], v[115:116], -v[121:122]
	v_fma_f64 v[115:116], v[3:4], v[115:116], v[180:181]
	v_add_f64 v[117:118], v[174:175], v[117:118]
	v_add_f64 v[113:114], v[113:114], v[123:124]
	s_clause 0x2
	buffer_load_dword v179, off, s[0:3], 0 offset:540
	buffer_load_dword v124, off, s[0:3], 0 offset:516
	;; [unrolled: 1-line block ×3, first 2 shown]
	s_waitcnt vmcnt(58) lgkmcnt(0)
	v_mul_f64 v[174:175], v[5:6], v[131:132]
	v_mul_f64 v[131:132], v[7:8], v[131:132]
	s_waitcnt vmcnt(56)
	v_fma_f64 v[125:126], v[166:167], v[133:134], -v[125:126]
	ds_read_b128 v[1:4], v165 offset:1136
	v_add_f64 v[117:118], v[117:118], v[121:122]
	v_fma_f64 v[121:122], v[168:169], v[133:134], v[197:198]
	v_add_f64 v[133:134], v[113:114], v[115:116]
	s_clause 0x4
	buffer_load_dword v167, off, s[0:3], 0 offset:556
	buffer_load_dword v168, off, s[0:3], 0 offset:568
	;; [unrolled: 1-line block ×5, first 2 shown]
	ds_read_b128 v[113:116], v165 offset:1152
	s_waitcnt vmcnt(57) lgkmcnt(1)
	v_mul_f64 v[197:198], v[1:2], v[135:136]
	v_mul_f64 v[135:136], v[3:4], v[135:136]
	s_waitcnt vmcnt(56)
	v_fma_f64 v[131:132], v[5:6], v[119:120], -v[131:132]
	v_fma_f64 v[119:120], v[7:8], v[119:120], v[174:175]
	v_add_f64 v[117:118], v[117:118], v[125:126]
	s_clause 0x2
	buffer_load_dword v169, off, s[0:3], 0 offset:572
	buffer_load_dword v126, off, s[0:3], 0 offset:548
	;; [unrolled: 1-line block ×3, first 2 shown]
	v_add_f64 v[121:122], v[133:134], v[121:122]
	s_waitcnt vmcnt(58) lgkmcnt(0)
	v_mul_f64 v[133:134], v[113:114], v[139:140]
	v_mul_f64 v[139:140], v[115:116], v[139:140]
	ds_read_b128 v[5:8], v165 offset:1168
	s_waitcnt vmcnt(56)
	v_fma_f64 v[135:136], v[1:2], v[141:142], -v[135:136]
	v_add_f64 v[117:118], v[117:118], v[131:132]
	v_fma_f64 v[131:132], v[3:4], v[141:142], v[197:198]
	v_add_f64 v[119:120], v[121:122], v[119:120]
	s_clause 0x4
	buffer_load_dword v122, off, s[0:3], 0 offset:588
	buffer_load_dword v141, off, s[0:3], 0 offset:600
	;; [unrolled: 1-line block ×5, first 2 shown]
	s_waitcnt vmcnt(57) lgkmcnt(0)
	v_mul_f64 v[197:198], v[5:6], v[143:144]
	v_mul_f64 v[143:144], v[7:8], v[143:144]
	s_waitcnt vmcnt(56)
	v_fma_f64 v[139:140], v[113:114], v[127:128], -v[139:140]
	ds_read_b128 v[1:4], v165 offset:1184
	v_fma_f64 v[127:128], v[115:116], v[127:128], v[133:134]
	v_add_f64 v[117:118], v[117:118], v[135:136]
	v_add_f64 v[119:120], v[119:120], v[131:132]
	s_clause 0x2
	buffer_load_dword v142, off, s[0:3], 0 offset:604
	buffer_load_dword v132, off, s[0:3], 0 offset:580
	;; [unrolled: 1-line block ×3, first 2 shown]
	ds_read_b128 v[113:116], v165 offset:1200
	s_waitcnt vmcnt(58) lgkmcnt(1)
	v_mul_f64 v[135:136], v[3:4], v[147:148]
	s_waitcnt vmcnt(56)
	v_fma_f64 v[143:144], v[5:6], v[149:150], -v[143:144]
	v_mul_f64 v[133:134], v[1:2], v[147:148]
	v_add_f64 v[117:118], v[117:118], v[139:140]
	v_fma_f64 v[139:140], v[7:8], v[149:150], v[197:198]
	v_add_f64 v[119:120], v[119:120], v[127:128]
	s_clause 0x4
	buffer_load_dword v128, off, s[0:3], 0 offset:620
	buffer_load_dword v147, off, s[0:3], 0 offset:632
	;; [unrolled: 1-line block ×5, first 2 shown]
	s_waitcnt vmcnt(57) lgkmcnt(0)
	v_mul_f64 v[197:198], v[113:114], v[151:152]
	v_mul_f64 v[150:151], v[115:116], v[151:152]
	s_waitcnt vmcnt(56)
	v_fma_f64 v[135:136], v[1:2], v[137:138], -v[135:136]
	ds_read_b128 v[5:8], v165 offset:1216
	v_fma_f64 v[133:134], v[3:4], v[137:138], v[133:134]
	s_clause 0x2
	buffer_load_dword v148, off, s[0:3], 0 offset:636
	buffer_load_dword v138, off, s[0:3], 0 offset:612
	;; [unrolled: 1-line block ×3, first 2 shown]
	ds_read_b128 v[1:4], v165 offset:1232
	v_add_f64 v[117:118], v[117:118], v[143:144]
	v_add_f64 v[119:120], v[119:120], v[139:140]
	s_waitcnt vmcnt(58) lgkmcnt(1)
	v_mul_f64 v[143:144], v[7:8], v[155:156]
	s_waitcnt vmcnt(56)
	v_fma_f64 v[151:152], v[113:114], v[157:158], -v[150:151]
	v_mul_f64 v[139:140], v[5:6], v[155:156]
	v_add_f64 v[117:118], v[117:118], v[135:136]
	v_fma_f64 v[135:136], v[115:116], v[157:158], v[197:198]
	v_add_f64 v[119:120], v[119:120], v[133:134]
	s_clause 0x4
	buffer_load_dword v134, off, s[0:3], 0 offset:652
	buffer_load_dword v155, off, s[0:3], 0 offset:664
	;; [unrolled: 1-line block ×5, first 2 shown]
	s_waitcnt vmcnt(57) lgkmcnt(0)
	v_mul_f64 v[197:198], v[1:2], v[159:160]
	v_mul_f64 v[158:159], v[3:4], v[159:160]
	s_waitcnt vmcnt(56)
	v_fma_f64 v[143:144], v[5:6], v[145:146], -v[143:144]
	ds_read_b128 v[113:116], v165 offset:1248
	v_fma_f64 v[139:140], v[7:8], v[145:146], v[139:140]
	v_add_f64 v[117:118], v[117:118], v[151:152]
	v_add_f64 v[119:120], v[119:120], v[135:136]
	s_clause 0x2
	buffer_load_dword v156, off, s[0:3], 0 offset:668
	buffer_load_dword v136, off, s[0:3], 0 offset:644
	;; [unrolled: 1-line block ×3, first 2 shown]
	ds_read_b128 v[5:8], v165 offset:1264
	s_waitcnt vmcnt(58) lgkmcnt(1)
	v_mul_f64 v[151:152], v[115:116], v[161:162]
	s_waitcnt vmcnt(56)
	v_fma_f64 v[159:160], v[1:2], v[163:164], -v[158:159]
	v_mul_f64 v[145:146], v[113:114], v[161:162]
	v_add_f64 v[117:118], v[117:118], v[143:144]
	v_fma_f64 v[143:144], v[3:4], v[163:164], v[197:198]
	v_add_f64 v[119:120], v[119:120], v[139:140]
	s_clause 0x4
	buffer_load_dword v140, off, s[0:3], 0 offset:684
	buffer_load_dword v161, off, s[0:3], 0 offset:696
	;; [unrolled: 1-line block ×5, first 2 shown]
	s_waitcnt vmcnt(57) lgkmcnt(0)
	v_mul_f64 v[197:198], v[5:6], v[182:183]
	v_mul_f64 v[182:183], v[7:8], v[182:183]
	s_waitcnt vmcnt(56)
	v_fma_f64 v[151:152], v[113:114], v[153:154], -v[151:152]
	ds_read_b128 v[1:4], v165 offset:1280
	v_fma_f64 v[145:146], v[115:116], v[153:154], v[145:146]
	v_add_f64 v[117:118], v[117:118], v[159:160]
	v_add_f64 v[119:120], v[119:120], v[143:144]
	s_clause 0x2
	buffer_load_dword v162, off, s[0:3], 0 offset:700
	buffer_load_dword v144, off, s[0:3], 0 offset:676
	;; [unrolled: 1-line block ×3, first 2 shown]
	ds_read_b128 v[113:116], v165 offset:1296
	s_waitcnt vmcnt(58) lgkmcnt(1)
	v_mul_f64 v[159:160], v[3:4], v[184:185]
	s_waitcnt vmcnt(56)
	v_fma_f64 v[182:183], v[5:6], v[189:190], -v[182:183]
	v_mul_f64 v[153:154], v[1:2], v[184:185]
	v_add_f64 v[117:118], v[117:118], v[151:152]
	v_fma_f64 v[151:152], v[7:8], v[189:190], v[197:198]
	v_add_f64 v[119:120], v[119:120], v[145:146]
	s_clause 0x4
	buffer_load_dword v146, off, s[0:3], 0 offset:716
	buffer_load_dword v184, off, s[0:3], 0 offset:728
	;; [unrolled: 1-line block ×5, first 2 shown]
	ds_read_b128 v[5:8], v165 offset:1312
	s_waitcnt vmcnt(57) lgkmcnt(1)
	v_mul_f64 v[189:190], v[113:114], v[176:177]
	v_mul_f64 v[176:177], v[115:116], v[176:177]
	s_waitcnt vmcnt(56)
	v_fma_f64 v[159:160], v[1:2], v[186:187], -v[159:160]
	v_fma_f64 v[153:154], v[3:4], v[186:187], v[153:154]
	v_add_f64 v[117:118], v[117:118], v[182:183]
	v_add_f64 v[119:120], v[119:120], v[151:152]
	s_clause 0x2
	buffer_load_dword v185, off, s[0:3], 0 offset:732
	buffer_load_dword v152, off, s[0:3], 0 offset:708
	;; [unrolled: 1-line block ×3, first 2 shown]
	ds_read_b128 v[1:4], v165 offset:1328
	s_waitcnt vmcnt(58) lgkmcnt(1)
	v_mul_f64 v[186:187], v[7:8], v[193:194]
	v_mul_f64 v[182:183], v[5:6], v[193:194]
	s_waitcnt vmcnt(56)
	v_fma_f64 v[176:177], v[113:114], v[170:171], -v[176:177]
	v_add_f64 v[117:118], v[117:118], v[159:160]
	v_fma_f64 v[159:160], v[115:116], v[170:171], v[189:190]
	v_add_f64 v[119:120], v[119:120], v[153:154]
	s_clause 0x4
	buffer_load_dword v154, off, s[0:3], 0 offset:748
	buffer_load_dword v170, off, s[0:3], 0 offset:760
	buffer_load_dword v193, off, s[0:3], 0 offset:752
	buffer_load_dword v153, off, s[0:3], 0 offset:744
	buffer_load_dword v189, off, s[0:3], 0 offset:724
	ds_read_b128 v[113:116], v165 offset:1344
	s_waitcnt vmcnt(57) lgkmcnt(1)
	v_mul_f64 v[197:198], v[1:2], v[129:130]
	v_mul_f64 v[129:130], v[3:4], v[129:130]
	s_waitcnt vmcnt(56)
	v_fma_f64 v[186:187], v[5:6], v[195:196], -v[186:187]
	v_add_f64 v[117:118], v[117:118], v[176:177]
	v_fma_f64 v[176:177], v[7:8], v[195:196], v[182:183]
	v_add_f64 v[119:120], v[119:120], v[159:160]
	s_clause 0x2
	buffer_load_dword v171, off, s[0:3], 0 offset:764
	buffer_load_dword v160, off, s[0:3], 0 offset:740
	buffer_load_dword v159, off, s[0:3], 0 offset:736
	ds_read_b128 v[5:8], v165 offset:1360
	s_waitcnt vmcnt(58) lgkmcnt(1)
	v_mul_f64 v[182:183], v[113:114], v[178:179]
	v_mul_f64 v[178:179], v[115:116], v[178:179]
	s_waitcnt vmcnt(56)
	v_fma_f64 v[129:130], v[1:2], v[123:124], -v[129:130]
	v_fma_f64 v[123:124], v[3:4], v[123:124], v[197:198]
	v_add_f64 v[117:118], v[117:118], v[186:187]
	v_add_f64 v[119:120], v[119:120], v[176:177]
	s_clause 0x4
	buffer_load_dword v177, off, s[0:3], 0 offset:780
	buffer_load_dword v186, off, s[0:3], 0 offset:792
	buffer_load_dword v190, off, s[0:3], 0 offset:784
	buffer_load_dword v176, off, s[0:3], 0 offset:776
	buffer_load_dword v194, off, s[0:3], 0 offset:756
	ds_read_b128 v[1:4], v165 offset:1376
	s_waitcnt vmcnt(57) lgkmcnt(1)
	v_mul_f64 v[195:196], v[5:6], v[166:167]
	v_mul_f64 v[166:167], v[7:8], v[166:167]
	s_waitcnt vmcnt(56)
	v_fma_f64 v[178:179], v[113:114], v[191:192], -v[178:179]
	v_add_f64 v[117:118], v[117:118], v[129:130]
	v_fma_f64 v[129:130], v[115:116], v[191:192], v[182:183]
	v_add_f64 v[119:120], v[119:120], v[123:124]
	s_clause 0x2
	buffer_load_dword v187, off, s[0:3], 0 offset:796
	buffer_load_dword v124, off, s[0:3], 0 offset:772
	buffer_load_dword v123, off, s[0:3], 0 offset:768
	ds_read_b128 v[113:116], v165 offset:1392
	s_waitcnt vmcnt(58) lgkmcnt(1)
	v_mul_f64 v[182:183], v[1:2], v[168:169]
	v_mul_f64 v[168:169], v[3:4], v[168:169]
	s_waitcnt vmcnt(56)
	v_fma_f64 v[166:167], v[5:6], v[125:126], -v[166:167]
	v_fma_f64 v[125:126], v[7:8], v[125:126], v[195:196]
	v_add_f64 v[117:118], v[117:118], v[178:179]
	;; [unrolled: 28-line block ×3, first 2 shown]
	v_add_f64 v[119:120], v[119:120], v[166:167]
	s_clause 0x2
	buffer_load_dword v167, off, s[0:3], 0 offset:844
	buffer_load_dword v166, off, s[0:3], 0 offset:840
	;; [unrolled: 1-line block ×3, first 2 shown]
	ds_read_b128 v[113:116], v165 offset:1440
	s_waitcnt vmcnt(55) lgkmcnt(1)
	v_mul_f64 v[168:169], v[1:2], v[127:128]
	v_mul_f64 v[127:128], v[3:4], v[127:128]
	s_waitcnt vmcnt(54)
	v_fma_f64 v[141:142], v[5:6], v[174:175], -v[141:142]
	v_add_f64 v[117:118], v[117:118], v[121:122]
	v_fma_f64 v[121:122], v[7:8], v[174:175], v[180:181]
	v_add_f64 v[119:120], v[119:120], v[131:132]
	s_clause 0x1
	buffer_load_dword v132, off, s[0:3], 0 offset:836
	buffer_load_dword v131, off, s[0:3], 0 offset:832
	s_waitcnt vmcnt(55) lgkmcnt(0)
	v_mul_f64 v[174:175], v[113:114], v[147:148]
	v_mul_f64 v[147:148], v[115:116], v[147:148]
	ds_read_b128 v[5:8], v165 offset:1456
	s_waitcnt vmcnt(53)
	v_fma_f64 v[127:128], v[1:2], v[137:138], -v[127:128]
	v_fma_f64 v[137:138], v[3:4], v[137:138], v[168:169]
	ds_read_b128 v[1:4], v165 offset:1472
	v_add_f64 v[117:118], v[117:118], v[141:142]
	v_add_f64 v[119:120], v[119:120], v[121:122]
	s_waitcnt vmcnt(49) lgkmcnt(1)
	v_mul_f64 v[121:122], v[5:6], v[133:134]
	v_mul_f64 v[133:134], v[7:8], v[133:134]
	s_waitcnt vmcnt(48)
	v_fma_f64 v[141:142], v[113:114], v[149:150], -v[147:148]
	v_add_f64 v[117:118], v[117:118], v[127:128]
	v_fma_f64 v[127:128], v[115:116], v[149:150], v[174:175]
	v_add_f64 v[119:120], v[119:120], v[137:138]
	s_clause 0x3
	buffer_load_dword v137, off, s[0:3], 0 offset:192
	buffer_load_dword v138, off, s[0:3], 0 offset:196
	buffer_load_dword v147, off, s[0:3], 0 offset:200
	buffer_load_dword v148, off, s[0:3], 0 offset:204
	ds_read_b128 v[113:116], v165 offset:1488
	s_waitcnt vmcnt(51) lgkmcnt(1)
	v_mul_f64 v[149:150], v[1:2], v[155:156]
	v_mul_f64 v[155:156], v[3:4], v[155:156]
	s_waitcnt vmcnt(49)
	v_fma_f64 v[133:134], v[5:6], v[135:136], -v[133:134]
	v_fma_f64 v[121:122], v[7:8], v[135:136], v[121:122]
	ds_read_b128 v[5:8], v165 offset:1504
	v_add_f64 v[117:118], v[117:118], v[141:142]
	v_add_f64 v[119:120], v[119:120], v[127:128]
	s_waitcnt vmcnt(45) lgkmcnt(1)
	v_mul_f64 v[127:128], v[113:114], v[139:140]
	v_mul_f64 v[135:136], v[115:116], v[139:140]
	s_waitcnt vmcnt(44)
	v_fma_f64 v[139:140], v[1:2], v[157:158], -v[155:156]
	v_add_f64 v[117:118], v[117:118], v[133:134]
	v_fma_f64 v[133:134], v[3:4], v[157:158], v[149:150]
	v_add_f64 v[119:120], v[119:120], v[121:122]
	ds_read_b128 v[1:4], v165 offset:1520
	s_waitcnt vmcnt(43) lgkmcnt(1)
	v_mul_f64 v[141:142], v[7:8], v[161:162]
	v_mul_f64 v[121:122], v[5:6], v[161:162]
	s_waitcnt vmcnt(41)
	v_fma_f64 v[135:136], v[113:114], v[143:144], -v[135:136]
	v_fma_f64 v[127:128], v[115:116], v[143:144], v[127:128]
	ds_read_b128 v[113:116], v165 offset:1536
	v_add_f64 v[117:118], v[117:118], v[139:140]
	v_add_f64 v[119:120], v[119:120], v[133:134]
	s_waitcnt vmcnt(37) lgkmcnt(1)
	v_mul_f64 v[139:140], v[3:4], v[145:146]
	s_waitcnt vmcnt(36)
	v_fma_f64 v[141:142], v[5:6], v[163:164], -v[141:142]
	v_mul_f64 v[133:134], v[1:2], v[145:146]
	v_fma_f64 v[121:122], v[7:8], v[163:164], v[121:122]
	ds_read_b128 v[5:8], v165 offset:1552
	v_add_f64 v[117:118], v[117:118], v[135:136]
	v_add_f64 v[119:120], v[119:120], v[127:128]
	s_waitcnt vmcnt(35) lgkmcnt(1)
	v_mul_f64 v[135:136], v[115:116], v[184:185]
	v_mul_f64 v[127:128], v[113:114], v[184:185]
	s_waitcnt vmcnt(33)
	v_fma_f64 v[139:140], v[1:2], v[151:152], -v[139:140]
	v_fma_f64 v[133:134], v[3:4], v[151:152], v[133:134]
	ds_read_b128 v[1:4], v165 offset:1568
	v_add_f64 v[117:118], v[117:118], v[141:142]
	v_add_f64 v[119:120], v[119:120], v[121:122]
	s_waitcnt vmcnt(29) lgkmcnt(1)
	v_mul_f64 v[141:142], v[7:8], v[153:154]
	s_waitcnt vmcnt(28)
	v_fma_f64 v[135:136], v[113:114], v[188:189], -v[135:136]
	v_mul_f64 v[121:122], v[5:6], v[153:154]
	v_fma_f64 v[127:128], v[115:116], v[188:189], v[127:128]
	ds_read_b128 v[113:116], v165 offset:1584
	v_add_f64 v[117:118], v[117:118], v[139:140]
	v_add_f64 v[119:120], v[119:120], v[133:134]
	;; [unrolled: 18-line block ×3, first 2 shown]
	s_waitcnt vmcnt(19) lgkmcnt(1)
	v_mul_f64 v[141:142], v[7:8], v[186:187]
	v_mul_f64 v[121:122], v[5:6], v[186:187]
	s_waitcnt vmcnt(17)
	v_fma_f64 v[135:136], v[113:114], v[123:124], -v[135:136]
	v_fma_f64 v[123:124], v[115:116], v[123:124], v[127:128]
	ds_read_b128 v[113:116], v165 offset:1632
	v_add_f64 v[117:118], v[117:118], v[139:140]
	v_add_f64 v[119:120], v[119:120], v[133:134]
	s_waitcnt vmcnt(13) lgkmcnt(1)
	v_mul_f64 v[127:128], v[1:2], v[129:130]
	v_mul_f64 v[129:130], v[3:4], v[129:130]
	s_waitcnt vmcnt(12)
	v_fma_f64 v[133:134], v[5:6], v[190:191], -v[141:142]
	v_fma_f64 v[121:122], v[7:8], v[190:191], v[121:122]
	ds_read_b128 v[5:8], v165 offset:1648
	v_add_f64 v[117:118], v[117:118], v[135:136]
	v_add_f64 v[119:120], v[119:120], v[123:124]
	s_waitcnt vmcnt(11) lgkmcnt(1)
	v_mul_f64 v[135:136], v[115:116], v[178:179]
	v_mul_f64 v[123:124], v[113:114], v[178:179]
	s_waitcnt vmcnt(9)
	v_fma_f64 v[1:2], v[1:2], v[125:126], -v[129:130]
	v_fma_f64 v[3:4], v[3:4], v[125:126], v[127:128]
	v_add_f64 v[117:118], v[117:118], v[133:134]
	v_add_f64 v[119:120], v[119:120], v[121:122]
	s_waitcnt vmcnt(7) lgkmcnt(0)
	v_mul_f64 v[125:126], v[7:8], v[166:167]
	s_waitcnt vmcnt(6)
	v_fma_f64 v[113:114], v[113:114], v[195:196], -v[135:136]
	v_mul_f64 v[121:122], v[5:6], v[166:167]
	v_fma_f64 v[115:116], v[115:116], v[195:196], v[123:124]
	v_add_f64 v[1:2], v[117:118], v[1:2]
	v_add_f64 v[3:4], v[119:120], v[3:4]
	s_waitcnt vmcnt(4)
	v_fma_f64 v[5:6], v[5:6], v[131:132], -v[125:126]
	v_fma_f64 v[7:8], v[7:8], v[131:132], v[121:122]
	v_add_f64 v[1:2], v[1:2], v[113:114]
	v_add_f64 v[3:4], v[3:4], v[115:116]
	;; [unrolled: 1-line block ×4, first 2 shown]
	s_waitcnt vmcnt(2)
	v_add_f64 v[1:2], v[137:138], -v[1:2]
	s_waitcnt vmcnt(0)
	v_add_f64 v[3:4], v[147:148], -v[3:4]
	buffer_store_dword v2, off, s[0:3], 0 offset:196
	buffer_store_dword v1, off, s[0:3], 0 offset:192
	;; [unrolled: 1-line block ×4, first 2 shown]
	v_cmpx_lt_u32_e32 10, v0
	s_cbranch_execz .LBB115_305
; %bb.304:
	v_mov_b32_e32 v4, s54
	v_mov_b32_e32 v5, 0
	s_clause 0x3
	buffer_load_dword v1, v4, s[0:3], 0 offen
	buffer_load_dword v2, v4, s[0:3], 0 offen offset:4
	buffer_load_dword v3, v4, s[0:3], 0 offen offset:8
	buffer_load_dword v4, v4, s[0:3], 0 offen offset:12
	buffer_store_dword v5, off, s[0:3], 0 offset:176
	buffer_store_dword v5, off, s[0:3], 0 offset:180
	;; [unrolled: 1-line block ×4, first 2 shown]
	s_waitcnt vmcnt(0)
	ds_write_b128 v173, v[1:4]
.LBB115_305:
	s_or_b32 exec_lo, exec_lo, s4
	s_waitcnt lgkmcnt(0)
	s_waitcnt_vscnt null, 0x0
	s_barrier
	buffer_gl0_inv
	s_clause 0x37
	buffer_load_dword v113, off, s[0:3], 0 offset:200
	buffer_load_dword v114, off, s[0:3], 0 offset:204
	;; [unrolled: 1-line block ×56, first 2 shown]
	v_mov_b32_e32 v165, 0
	s_mov_b32 s4, exec_lo
	ds_read_b128 v[166:169], v165 offset:1008
	s_clause 0x2
	buffer_load_dword v162, off, s[0:3], 0 offset:428
	buffer_load_dword v164, off, s[0:3], 0 offset:404
	;; [unrolled: 1-line block ×3, first 2 shown]
	ds_read_b128 v[174:177], v165 offset:1024
	s_clause 0x4
	buffer_load_dword v183, off, s[0:3], 0 offset:444
	buffer_load_dword v184, off, s[0:3], 0 offset:456
	;; [unrolled: 1-line block ×5, first 2 shown]
	ds_read_b128 v[178:181], v165 offset:1040
	s_clause 0x2
	buffer_load_dword v185, off, s[0:3], 0 offset:460
	buffer_load_dword v190, off, s[0:3], 0 offset:436
	;; [unrolled: 1-line block ×3, first 2 shown]
	s_waitcnt vmcnt(62) lgkmcnt(2)
	v_mul_f64 v[170:171], v[168:169], v[113:114]
	v_mul_f64 v[113:114], v[166:167], v[113:114]
	s_waitcnt lgkmcnt(1)
	v_mul_f64 v[187:188], v[176:177], v[5:6]
	s_waitcnt vmcnt(59) lgkmcnt(0)
	v_mul_f64 v[191:192], v[180:181], v[3:4]
	v_fma_f64 v[166:167], v[166:167], v[7:8], -v[170:171]
	v_mul_f64 v[170:171], v[174:175], v[5:6]
	v_fma_f64 v[113:114], v[168:169], v[7:8], v[113:114]
	s_waitcnt vmcnt(57)
	v_fma_f64 v[174:175], v[174:175], v[1:2], -v[187:188]
	ds_read_b128 v[5:8], v165 offset:1056
	v_mul_f64 v[168:169], v[178:179], v[3:4]
	s_waitcnt vmcnt(51)
	v_fma_f64 v[178:179], v[178:179], v[129:130], -v[191:192]
	v_add_f64 v[166:167], v[166:167], 0
	v_fma_f64 v[170:171], v[176:177], v[1:2], v[170:171]
	v_add_f64 v[113:114], v[113:114], 0
	s_clause 0x4
	buffer_load_dword v177, off, s[0:3], 0 offset:476
	buffer_load_dword v193, off, s[0:3], 0 offset:488
	;; [unrolled: 1-line block ×5, first 2 shown]
	s_waitcnt lgkmcnt(0)
	v_mul_f64 v[196:197], v[5:6], v[117:118]
	v_mul_f64 v[117:118], v[7:8], v[117:118]
	ds_read_b128 v[1:4], v165 offset:1072
	v_fma_f64 v[129:130], v[180:181], v[129:130], v[168:169]
	v_add_f64 v[174:175], v[166:167], v[174:175]
	v_add_f64 v[113:114], v[113:114], v[170:171]
	s_clause 0x2
	buffer_load_dword v194, off, s[0:3], 0 offset:492
	buffer_load_dword v171, off, s[0:3], 0 offset:468
	;; [unrolled: 1-line block ×3, first 2 shown]
	s_waitcnt vmcnt(58) lgkmcnt(0)
	v_mul_f64 v[180:181], v[1:2], v[121:122]
	v_mul_f64 v[121:122], v[3:4], v[121:122]
	s_waitcnt vmcnt(56)
	v_fma_f64 v[117:118], v[5:6], v[123:124], -v[117:118]
	ds_read_b128 v[166:169], v165 offset:1088
	v_fma_f64 v[123:124], v[7:8], v[123:124], v[196:197]
	v_add_f64 v[174:175], v[174:175], v[178:179]
	v_add_f64 v[113:114], v[113:114], v[129:130]
	s_clause 0x4
	buffer_load_dword v130, off, s[0:3], 0 offset:508
	buffer_load_dword v178, off, s[0:3], 0 offset:520
	;; [unrolled: 1-line block ×5, first 2 shown]
	ds_read_b128 v[5:8], v165 offset:1104
	s_waitcnt vmcnt(57) lgkmcnt(1)
	v_mul_f64 v[197:198], v[166:167], v[125:126]
	v_mul_f64 v[125:126], v[168:169], v[125:126]
	s_waitcnt vmcnt(56)
	v_fma_f64 v[121:122], v[1:2], v[115:116], -v[121:122]
	v_fma_f64 v[115:116], v[3:4], v[115:116], v[180:181]
	v_add_f64 v[117:118], v[174:175], v[117:118]
	v_add_f64 v[113:114], v[113:114], v[123:124]
	s_clause 0x2
	buffer_load_dword v179, off, s[0:3], 0 offset:524
	buffer_load_dword v124, off, s[0:3], 0 offset:500
	;; [unrolled: 1-line block ×3, first 2 shown]
	s_waitcnt vmcnt(58) lgkmcnt(0)
	v_mul_f64 v[174:175], v[5:6], v[131:132]
	v_mul_f64 v[131:132], v[7:8], v[131:132]
	s_waitcnt vmcnt(56)
	v_fma_f64 v[125:126], v[166:167], v[133:134], -v[125:126]
	ds_read_b128 v[1:4], v165 offset:1120
	v_add_f64 v[117:118], v[117:118], v[121:122]
	v_fma_f64 v[121:122], v[168:169], v[133:134], v[197:198]
	v_add_f64 v[133:134], v[113:114], v[115:116]
	s_clause 0x4
	buffer_load_dword v167, off, s[0:3], 0 offset:540
	buffer_load_dword v168, off, s[0:3], 0 offset:552
	;; [unrolled: 1-line block ×5, first 2 shown]
	ds_read_b128 v[113:116], v165 offset:1136
	s_waitcnt vmcnt(57) lgkmcnt(1)
	v_mul_f64 v[197:198], v[1:2], v[135:136]
	v_mul_f64 v[135:136], v[3:4], v[135:136]
	s_waitcnt vmcnt(56)
	v_fma_f64 v[131:132], v[5:6], v[119:120], -v[131:132]
	v_fma_f64 v[119:120], v[7:8], v[119:120], v[174:175]
	v_add_f64 v[117:118], v[117:118], v[125:126]
	s_clause 0x2
	buffer_load_dword v169, off, s[0:3], 0 offset:556
	buffer_load_dword v126, off, s[0:3], 0 offset:532
	;; [unrolled: 1-line block ×3, first 2 shown]
	v_add_f64 v[121:122], v[133:134], v[121:122]
	s_waitcnt vmcnt(58) lgkmcnt(0)
	v_mul_f64 v[133:134], v[113:114], v[139:140]
	v_mul_f64 v[139:140], v[115:116], v[139:140]
	ds_read_b128 v[5:8], v165 offset:1152
	s_waitcnt vmcnt(56)
	v_fma_f64 v[135:136], v[1:2], v[141:142], -v[135:136]
	v_add_f64 v[117:118], v[117:118], v[131:132]
	v_fma_f64 v[131:132], v[3:4], v[141:142], v[197:198]
	v_add_f64 v[119:120], v[121:122], v[119:120]
	s_clause 0x4
	buffer_load_dword v122, off, s[0:3], 0 offset:572
	buffer_load_dword v141, off, s[0:3], 0 offset:584
	;; [unrolled: 1-line block ×5, first 2 shown]
	s_waitcnt vmcnt(57) lgkmcnt(0)
	v_mul_f64 v[197:198], v[5:6], v[143:144]
	v_mul_f64 v[143:144], v[7:8], v[143:144]
	s_waitcnt vmcnt(56)
	v_fma_f64 v[139:140], v[113:114], v[127:128], -v[139:140]
	ds_read_b128 v[1:4], v165 offset:1168
	v_fma_f64 v[127:128], v[115:116], v[127:128], v[133:134]
	v_add_f64 v[117:118], v[117:118], v[135:136]
	v_add_f64 v[119:120], v[119:120], v[131:132]
	s_clause 0x2
	buffer_load_dword v142, off, s[0:3], 0 offset:588
	buffer_load_dword v132, off, s[0:3], 0 offset:564
	;; [unrolled: 1-line block ×3, first 2 shown]
	ds_read_b128 v[113:116], v165 offset:1184
	s_waitcnt vmcnt(58) lgkmcnt(1)
	v_mul_f64 v[135:136], v[3:4], v[147:148]
	s_waitcnt vmcnt(56)
	v_fma_f64 v[143:144], v[5:6], v[149:150], -v[143:144]
	v_mul_f64 v[133:134], v[1:2], v[147:148]
	v_add_f64 v[117:118], v[117:118], v[139:140]
	v_fma_f64 v[139:140], v[7:8], v[149:150], v[197:198]
	v_add_f64 v[119:120], v[119:120], v[127:128]
	s_clause 0x4
	buffer_load_dword v128, off, s[0:3], 0 offset:604
	buffer_load_dword v147, off, s[0:3], 0 offset:616
	;; [unrolled: 1-line block ×5, first 2 shown]
	s_waitcnt vmcnt(57) lgkmcnt(0)
	v_mul_f64 v[197:198], v[113:114], v[151:152]
	v_mul_f64 v[150:151], v[115:116], v[151:152]
	s_waitcnt vmcnt(56)
	v_fma_f64 v[135:136], v[1:2], v[137:138], -v[135:136]
	ds_read_b128 v[5:8], v165 offset:1200
	v_fma_f64 v[133:134], v[3:4], v[137:138], v[133:134]
	s_clause 0x2
	buffer_load_dword v148, off, s[0:3], 0 offset:620
	buffer_load_dword v138, off, s[0:3], 0 offset:596
	;; [unrolled: 1-line block ×3, first 2 shown]
	ds_read_b128 v[1:4], v165 offset:1216
	v_add_f64 v[117:118], v[117:118], v[143:144]
	v_add_f64 v[119:120], v[119:120], v[139:140]
	s_waitcnt vmcnt(58) lgkmcnt(1)
	v_mul_f64 v[143:144], v[7:8], v[155:156]
	s_waitcnt vmcnt(56)
	v_fma_f64 v[151:152], v[113:114], v[157:158], -v[150:151]
	v_mul_f64 v[139:140], v[5:6], v[155:156]
	v_add_f64 v[117:118], v[117:118], v[135:136]
	v_fma_f64 v[135:136], v[115:116], v[157:158], v[197:198]
	v_add_f64 v[119:120], v[119:120], v[133:134]
	s_clause 0x4
	buffer_load_dword v134, off, s[0:3], 0 offset:636
	buffer_load_dword v155, off, s[0:3], 0 offset:648
	;; [unrolled: 1-line block ×5, first 2 shown]
	s_waitcnt vmcnt(57) lgkmcnt(0)
	v_mul_f64 v[197:198], v[1:2], v[159:160]
	v_mul_f64 v[158:159], v[3:4], v[159:160]
	s_waitcnt vmcnt(56)
	v_fma_f64 v[143:144], v[5:6], v[145:146], -v[143:144]
	ds_read_b128 v[113:116], v165 offset:1232
	v_fma_f64 v[139:140], v[7:8], v[145:146], v[139:140]
	v_add_f64 v[117:118], v[117:118], v[151:152]
	v_add_f64 v[119:120], v[119:120], v[135:136]
	s_clause 0x2
	buffer_load_dword v156, off, s[0:3], 0 offset:652
	buffer_load_dword v136, off, s[0:3], 0 offset:628
	;; [unrolled: 1-line block ×3, first 2 shown]
	ds_read_b128 v[5:8], v165 offset:1248
	s_waitcnt vmcnt(58) lgkmcnt(1)
	v_mul_f64 v[151:152], v[115:116], v[161:162]
	s_waitcnt vmcnt(56)
	v_fma_f64 v[159:160], v[1:2], v[163:164], -v[158:159]
	v_mul_f64 v[145:146], v[113:114], v[161:162]
	v_add_f64 v[117:118], v[117:118], v[143:144]
	v_fma_f64 v[143:144], v[3:4], v[163:164], v[197:198]
	v_add_f64 v[119:120], v[119:120], v[139:140]
	s_clause 0x4
	buffer_load_dword v140, off, s[0:3], 0 offset:668
	buffer_load_dword v161, off, s[0:3], 0 offset:680
	;; [unrolled: 1-line block ×5, first 2 shown]
	s_waitcnt vmcnt(57) lgkmcnt(0)
	v_mul_f64 v[197:198], v[5:6], v[182:183]
	v_mul_f64 v[182:183], v[7:8], v[182:183]
	s_waitcnt vmcnt(56)
	v_fma_f64 v[151:152], v[113:114], v[153:154], -v[151:152]
	ds_read_b128 v[1:4], v165 offset:1264
	v_fma_f64 v[145:146], v[115:116], v[153:154], v[145:146]
	v_add_f64 v[117:118], v[117:118], v[159:160]
	v_add_f64 v[119:120], v[119:120], v[143:144]
	s_clause 0x2
	buffer_load_dword v162, off, s[0:3], 0 offset:684
	buffer_load_dword v144, off, s[0:3], 0 offset:660
	;; [unrolled: 1-line block ×3, first 2 shown]
	ds_read_b128 v[113:116], v165 offset:1280
	s_waitcnt vmcnt(58) lgkmcnt(1)
	v_mul_f64 v[159:160], v[3:4], v[184:185]
	s_waitcnt vmcnt(56)
	v_fma_f64 v[182:183], v[5:6], v[189:190], -v[182:183]
	v_mul_f64 v[153:154], v[1:2], v[184:185]
	v_add_f64 v[117:118], v[117:118], v[151:152]
	v_fma_f64 v[151:152], v[7:8], v[189:190], v[197:198]
	v_add_f64 v[119:120], v[119:120], v[145:146]
	s_clause 0x4
	buffer_load_dword v146, off, s[0:3], 0 offset:700
	buffer_load_dword v184, off, s[0:3], 0 offset:712
	buffer_load_dword v188, off, s[0:3], 0 offset:704
	buffer_load_dword v145, off, s[0:3], 0 offset:696
	buffer_load_dword v164, off, s[0:3], 0 offset:676
	ds_read_b128 v[5:8], v165 offset:1296
	s_waitcnt vmcnt(57) lgkmcnt(1)
	v_mul_f64 v[189:190], v[113:114], v[176:177]
	v_mul_f64 v[176:177], v[115:116], v[176:177]
	s_waitcnt vmcnt(56)
	v_fma_f64 v[159:160], v[1:2], v[186:187], -v[159:160]
	v_fma_f64 v[153:154], v[3:4], v[186:187], v[153:154]
	v_add_f64 v[117:118], v[117:118], v[182:183]
	v_add_f64 v[119:120], v[119:120], v[151:152]
	s_clause 0x2
	buffer_load_dword v185, off, s[0:3], 0 offset:716
	buffer_load_dword v152, off, s[0:3], 0 offset:692
	;; [unrolled: 1-line block ×3, first 2 shown]
	ds_read_b128 v[1:4], v165 offset:1312
	s_waitcnt vmcnt(58) lgkmcnt(1)
	v_mul_f64 v[186:187], v[7:8], v[193:194]
	v_mul_f64 v[182:183], v[5:6], v[193:194]
	s_waitcnt vmcnt(56)
	v_fma_f64 v[176:177], v[113:114], v[170:171], -v[176:177]
	v_add_f64 v[117:118], v[117:118], v[159:160]
	v_fma_f64 v[159:160], v[115:116], v[170:171], v[189:190]
	v_add_f64 v[119:120], v[119:120], v[153:154]
	s_clause 0x4
	buffer_load_dword v154, off, s[0:3], 0 offset:732
	buffer_load_dword v170, off, s[0:3], 0 offset:744
	buffer_load_dword v193, off, s[0:3], 0 offset:736
	buffer_load_dword v153, off, s[0:3], 0 offset:728
	buffer_load_dword v189, off, s[0:3], 0 offset:708
	ds_read_b128 v[113:116], v165 offset:1328
	s_waitcnt vmcnt(57) lgkmcnt(1)
	v_mul_f64 v[197:198], v[1:2], v[129:130]
	v_mul_f64 v[129:130], v[3:4], v[129:130]
	s_waitcnt vmcnt(56)
	v_fma_f64 v[186:187], v[5:6], v[195:196], -v[186:187]
	v_add_f64 v[117:118], v[117:118], v[176:177]
	v_fma_f64 v[176:177], v[7:8], v[195:196], v[182:183]
	v_add_f64 v[119:120], v[119:120], v[159:160]
	s_clause 0x2
	buffer_load_dword v171, off, s[0:3], 0 offset:748
	buffer_load_dword v160, off, s[0:3], 0 offset:724
	buffer_load_dword v159, off, s[0:3], 0 offset:720
	ds_read_b128 v[5:8], v165 offset:1344
	s_waitcnt vmcnt(58) lgkmcnt(1)
	v_mul_f64 v[182:183], v[113:114], v[178:179]
	v_mul_f64 v[178:179], v[115:116], v[178:179]
	s_waitcnt vmcnt(56)
	v_fma_f64 v[129:130], v[1:2], v[123:124], -v[129:130]
	v_fma_f64 v[123:124], v[3:4], v[123:124], v[197:198]
	v_add_f64 v[117:118], v[117:118], v[186:187]
	v_add_f64 v[119:120], v[119:120], v[176:177]
	s_clause 0x4
	buffer_load_dword v177, off, s[0:3], 0 offset:764
	buffer_load_dword v186, off, s[0:3], 0 offset:776
	buffer_load_dword v190, off, s[0:3], 0 offset:768
	buffer_load_dword v176, off, s[0:3], 0 offset:760
	buffer_load_dword v194, off, s[0:3], 0 offset:740
	ds_read_b128 v[1:4], v165 offset:1360
	s_waitcnt vmcnt(57) lgkmcnt(1)
	v_mul_f64 v[195:196], v[5:6], v[166:167]
	v_mul_f64 v[166:167], v[7:8], v[166:167]
	s_waitcnt vmcnt(56)
	v_fma_f64 v[178:179], v[113:114], v[191:192], -v[178:179]
	v_add_f64 v[117:118], v[117:118], v[129:130]
	v_fma_f64 v[129:130], v[115:116], v[191:192], v[182:183]
	v_add_f64 v[119:120], v[119:120], v[123:124]
	s_clause 0x2
	buffer_load_dword v187, off, s[0:3], 0 offset:780
	buffer_load_dword v124, off, s[0:3], 0 offset:756
	buffer_load_dword v123, off, s[0:3], 0 offset:752
	ds_read_b128 v[113:116], v165 offset:1376
	s_waitcnt vmcnt(58) lgkmcnt(1)
	v_mul_f64 v[182:183], v[1:2], v[168:169]
	v_mul_f64 v[168:169], v[3:4], v[168:169]
	s_waitcnt vmcnt(56)
	v_fma_f64 v[166:167], v[5:6], v[125:126], -v[166:167]
	v_fma_f64 v[125:126], v[7:8], v[125:126], v[195:196]
	v_add_f64 v[117:118], v[117:118], v[178:179]
	;; [unrolled: 28-line block ×3, first 2 shown]
	v_add_f64 v[119:120], v[119:120], v[166:167]
	s_clause 0x4
	buffer_load_dword v167, off, s[0:3], 0 offset:828
	buffer_load_dword v168, off, s[0:3], 0 offset:840
	;; [unrolled: 1-line block ×5, first 2 shown]
	ds_read_b128 v[113:116], v165 offset:1424
	s_waitcnt vmcnt(57) lgkmcnt(1)
	v_mul_f64 v[197:198], v[1:2], v[127:128]
	v_mul_f64 v[127:128], v[3:4], v[127:128]
	s_waitcnt vmcnt(56)
	v_fma_f64 v[141:142], v[5:6], v[174:175], -v[141:142]
	v_add_f64 v[117:118], v[117:118], v[121:122]
	v_fma_f64 v[121:122], v[7:8], v[174:175], v[180:181]
	v_add_f64 v[119:120], v[119:120], v[131:132]
	s_clause 0x2
	buffer_load_dword v169, off, s[0:3], 0 offset:844
	buffer_load_dword v132, off, s[0:3], 0 offset:820
	buffer_load_dword v131, off, s[0:3], 0 offset:816
	s_waitcnt vmcnt(58) lgkmcnt(0)
	v_mul_f64 v[174:175], v[113:114], v[147:148]
	v_mul_f64 v[147:148], v[115:116], v[147:148]
	ds_read_b128 v[5:8], v165 offset:1440
	buffer_load_dword v183, off, s[0:3], 0 offset:836
	s_waitcnt vmcnt(57)
	v_fma_f64 v[127:128], v[1:2], v[137:138], -v[127:128]
	v_fma_f64 v[137:138], v[3:4], v[137:138], v[197:198]
	ds_read_b128 v[1:4], v165 offset:1456
	v_add_f64 v[117:118], v[117:118], v[141:142]
	v_add_f64 v[119:120], v[119:120], v[121:122]
	s_waitcnt vmcnt(53) lgkmcnt(1)
	v_mul_f64 v[121:122], v[5:6], v[133:134]
	v_mul_f64 v[133:134], v[7:8], v[133:134]
	s_waitcnt vmcnt(52)
	v_fma_f64 v[141:142], v[113:114], v[149:150], -v[147:148]
	v_add_f64 v[117:118], v[117:118], v[127:128]
	v_fma_f64 v[127:128], v[115:116], v[149:150], v[174:175]
	v_add_f64 v[119:120], v[119:120], v[137:138]
	ds_read_b128 v[113:116], v165 offset:1472
	s_waitcnt vmcnt(51) lgkmcnt(1)
	v_mul_f64 v[147:148], v[3:4], v[155:156]
	v_mul_f64 v[137:138], v[1:2], v[155:156]
	s_waitcnt vmcnt(49)
	v_fma_f64 v[133:134], v[5:6], v[135:136], -v[133:134]
	v_fma_f64 v[121:122], v[7:8], v[135:136], v[121:122]
	v_add_f64 v[117:118], v[117:118], v[141:142]
	v_add_f64 v[119:120], v[119:120], v[127:128]
	s_clause 0x3
	buffer_load_dword v127, off, s[0:3], 0 offset:176
	buffer_load_dword v128, off, s[0:3], 0 offset:180
	;; [unrolled: 1-line block ×4, first 2 shown]
	ds_read_b128 v[5:8], v165 offset:1488
	s_waitcnt vmcnt(49) lgkmcnt(1)
	v_mul_f64 v[141:142], v[113:114], v[139:140]
	v_mul_f64 v[139:140], v[115:116], v[139:140]
	s_waitcnt vmcnt(48)
	v_fma_f64 v[147:148], v[1:2], v[157:158], -v[147:148]
	v_add_f64 v[117:118], v[117:118], v[133:134]
	v_fma_f64 v[133:134], v[3:4], v[157:158], v[137:138]
	v_add_f64 v[119:120], v[119:120], v[121:122]
	ds_read_b128 v[1:4], v165 offset:1504
	s_waitcnt vmcnt(47) lgkmcnt(1)
	v_mul_f64 v[137:138], v[7:8], v[161:162]
	v_mul_f64 v[121:122], v[5:6], v[161:162]
	s_waitcnt vmcnt(45)
	v_fma_f64 v[139:140], v[113:114], v[143:144], -v[139:140]
	v_fma_f64 v[141:142], v[115:116], v[143:144], v[141:142]
	ds_read_b128 v[113:116], v165 offset:1520
	v_add_f64 v[117:118], v[117:118], v[147:148]
	v_add_f64 v[119:120], v[119:120], v[133:134]
	s_waitcnt vmcnt(41) lgkmcnt(1)
	v_mul_f64 v[143:144], v[3:4], v[145:146]
	s_waitcnt vmcnt(40)
	v_fma_f64 v[137:138], v[5:6], v[163:164], -v[137:138]
	v_mul_f64 v[133:134], v[1:2], v[145:146]
	v_fma_f64 v[121:122], v[7:8], v[163:164], v[121:122]
	ds_read_b128 v[5:8], v165 offset:1536
	v_add_f64 v[117:118], v[117:118], v[139:140]
	v_add_f64 v[119:120], v[119:120], v[141:142]
	s_waitcnt vmcnt(39) lgkmcnt(1)
	v_mul_f64 v[141:142], v[115:116], v[184:185]
	v_mul_f64 v[139:140], v[113:114], v[184:185]
	s_waitcnt vmcnt(37)
	v_fma_f64 v[143:144], v[1:2], v[151:152], -v[143:144]
	v_fma_f64 v[133:134], v[3:4], v[151:152], v[133:134]
	ds_read_b128 v[1:4], v165 offset:1552
	v_add_f64 v[117:118], v[117:118], v[137:138]
	v_add_f64 v[119:120], v[119:120], v[121:122]
	s_waitcnt vmcnt(33) lgkmcnt(1)
	v_mul_f64 v[137:138], v[7:8], v[153:154]
	s_waitcnt vmcnt(32)
	v_fma_f64 v[141:142], v[113:114], v[188:189], -v[141:142]
	v_mul_f64 v[121:122], v[5:6], v[153:154]
	v_fma_f64 v[139:140], v[115:116], v[188:189], v[139:140]
	ds_read_b128 v[113:116], v165 offset:1568
	v_add_f64 v[117:118], v[117:118], v[143:144]
	v_add_f64 v[119:120], v[119:120], v[133:134]
	;; [unrolled: 18-line block ×3, first 2 shown]
	s_waitcnt vmcnt(23) lgkmcnt(1)
	v_mul_f64 v[137:138], v[7:8], v[186:187]
	v_mul_f64 v[121:122], v[5:6], v[186:187]
	s_waitcnt vmcnt(21)
	v_fma_f64 v[141:142], v[113:114], v[123:124], -v[141:142]
	v_fma_f64 v[123:124], v[115:116], v[123:124], v[139:140]
	ds_read_b128 v[113:116], v165 offset:1616
	v_add_f64 v[117:118], v[117:118], v[143:144]
	v_add_f64 v[119:120], v[119:120], v[133:134]
	s_waitcnt vmcnt(17) lgkmcnt(1)
	v_mul_f64 v[133:134], v[1:2], v[129:130]
	v_mul_f64 v[129:130], v[3:4], v[129:130]
	s_waitcnt vmcnt(16)
	v_fma_f64 v[137:138], v[5:6], v[190:191], -v[137:138]
	v_fma_f64 v[121:122], v[7:8], v[190:191], v[121:122]
	ds_read_b128 v[5:8], v165 offset:1632
	v_add_f64 v[117:118], v[117:118], v[141:142]
	v_add_f64 v[119:120], v[119:120], v[123:124]
	;; [unrolled: 9-line block ×3, first 2 shown]
	s_waitcnt vmcnt(9) lgkmcnt(1)
	v_mul_f64 v[133:134], v[7:8], v[166:167]
	s_waitcnt vmcnt(8)
	v_fma_f64 v[113:114], v[113:114], v[195:196], -v[139:140]
	v_mul_f64 v[121:122], v[5:6], v[166:167]
	v_fma_f64 v[115:116], v[115:116], v[195:196], v[123:124]
	v_add_f64 v[117:118], v[117:118], v[129:130]
	v_add_f64 v[119:120], v[119:120], v[125:126]
	s_waitcnt vmcnt(7) lgkmcnt(0)
	v_mul_f64 v[125:126], v[3:4], v[168:169]
	v_mul_f64 v[123:124], v[1:2], v[168:169]
	s_waitcnt vmcnt(5)
	v_fma_f64 v[5:6], v[5:6], v[131:132], -v[133:134]
	v_fma_f64 v[7:8], v[7:8], v[131:132], v[121:122]
	v_add_f64 v[113:114], v[117:118], v[113:114]
	v_add_f64 v[115:116], v[119:120], v[115:116]
	s_waitcnt vmcnt(4)
	v_fma_f64 v[1:2], v[1:2], v[182:183], -v[125:126]
	v_fma_f64 v[3:4], v[3:4], v[182:183], v[123:124]
	v_add_f64 v[5:6], v[113:114], v[5:6]
	v_add_f64 v[7:8], v[115:116], v[7:8]
	v_add_f64 v[1:2], v[5:6], v[1:2]
	v_add_f64 v[3:4], v[7:8], v[3:4]
	s_waitcnt vmcnt(2)
	v_add_f64 v[1:2], v[127:128], -v[1:2]
	s_waitcnt vmcnt(0)
	v_add_f64 v[3:4], v[135:136], -v[3:4]
	buffer_store_dword v2, off, s[0:3], 0 offset:180
	buffer_store_dword v1, off, s[0:3], 0 offset:176
	;; [unrolled: 1-line block ×4, first 2 shown]
	v_cmpx_lt_u32_e32 9, v0
	s_cbranch_execz .LBB115_307
; %bb.306:
	v_mov_b32_e32 v4, s55
	s_clause 0x3
	buffer_load_dword v1, v4, s[0:3], 0 offen
	buffer_load_dword v2, v4, s[0:3], 0 offen offset:4
	buffer_load_dword v3, v4, s[0:3], 0 offen offset:8
	;; [unrolled: 1-line block ×3, first 2 shown]
	buffer_store_dword v165, off, s[0:3], 0 offset:160
	buffer_store_dword v165, off, s[0:3], 0 offset:164
	;; [unrolled: 1-line block ×4, first 2 shown]
	s_waitcnt vmcnt(0)
	ds_write_b128 v173, v[1:4]
.LBB115_307:
	s_or_b32 exec_lo, exec_lo, s4
	s_waitcnt lgkmcnt(0)
	s_waitcnt_vscnt null, 0x0
	s_barrier
	buffer_gl0_inv
	s_clause 0x37
	buffer_load_dword v113, off, s[0:3], 0 offset:184
	buffer_load_dword v114, off, s[0:3], 0 offset:188
	;; [unrolled: 1-line block ×56, first 2 shown]
	ds_read_b128 v[166:169], v165 offset:992
	s_clause 0x2
	buffer_load_dword v162, off, s[0:3], 0 offset:412
	buffer_load_dword v164, off, s[0:3], 0 offset:388
	;; [unrolled: 1-line block ×3, first 2 shown]
	ds_read_b128 v[174:177], v165 offset:1008
	s_clause 0x4
	buffer_load_dword v183, off, s[0:3], 0 offset:428
	buffer_load_dword v184, off, s[0:3], 0 offset:440
	;; [unrolled: 1-line block ×5, first 2 shown]
	ds_read_b128 v[178:181], v165 offset:1024
	s_clause 0x2
	buffer_load_dword v185, off, s[0:3], 0 offset:444
	buffer_load_dword v190, off, s[0:3], 0 offset:420
	;; [unrolled: 1-line block ×3, first 2 shown]
	s_mov_b32 s4, exec_lo
	s_waitcnt vmcnt(62) lgkmcnt(2)
	v_mul_f64 v[170:171], v[168:169], v[113:114]
	v_mul_f64 v[113:114], v[166:167], v[113:114]
	s_waitcnt lgkmcnt(1)
	v_mul_f64 v[187:188], v[176:177], v[5:6]
	s_waitcnt vmcnt(59) lgkmcnt(0)
	v_mul_f64 v[191:192], v[180:181], v[3:4]
	v_fma_f64 v[166:167], v[166:167], v[7:8], -v[170:171]
	v_mul_f64 v[170:171], v[174:175], v[5:6]
	v_fma_f64 v[113:114], v[168:169], v[7:8], v[113:114]
	s_waitcnt vmcnt(57)
	v_fma_f64 v[174:175], v[174:175], v[1:2], -v[187:188]
	ds_read_b128 v[5:8], v165 offset:1040
	v_mul_f64 v[168:169], v[178:179], v[3:4]
	s_waitcnt vmcnt(51)
	v_fma_f64 v[178:179], v[178:179], v[129:130], -v[191:192]
	v_add_f64 v[166:167], v[166:167], 0
	v_fma_f64 v[170:171], v[176:177], v[1:2], v[170:171]
	v_add_f64 v[113:114], v[113:114], 0
	s_clause 0x4
	buffer_load_dword v177, off, s[0:3], 0 offset:460
	buffer_load_dword v193, off, s[0:3], 0 offset:472
	;; [unrolled: 1-line block ×5, first 2 shown]
	s_waitcnt lgkmcnt(0)
	v_mul_f64 v[196:197], v[5:6], v[117:118]
	v_mul_f64 v[117:118], v[7:8], v[117:118]
	ds_read_b128 v[1:4], v165 offset:1056
	v_fma_f64 v[129:130], v[180:181], v[129:130], v[168:169]
	v_add_f64 v[174:175], v[166:167], v[174:175]
	v_add_f64 v[113:114], v[113:114], v[170:171]
	s_clause 0x2
	buffer_load_dword v194, off, s[0:3], 0 offset:476
	buffer_load_dword v171, off, s[0:3], 0 offset:452
	;; [unrolled: 1-line block ×3, first 2 shown]
	s_waitcnt vmcnt(58) lgkmcnt(0)
	v_mul_f64 v[180:181], v[1:2], v[121:122]
	v_mul_f64 v[121:122], v[3:4], v[121:122]
	s_waitcnt vmcnt(56)
	v_fma_f64 v[117:118], v[5:6], v[123:124], -v[117:118]
	ds_read_b128 v[166:169], v165 offset:1072
	v_fma_f64 v[123:124], v[7:8], v[123:124], v[196:197]
	v_add_f64 v[174:175], v[174:175], v[178:179]
	v_add_f64 v[113:114], v[113:114], v[129:130]
	s_clause 0x4
	buffer_load_dword v130, off, s[0:3], 0 offset:492
	buffer_load_dword v178, off, s[0:3], 0 offset:504
	;; [unrolled: 1-line block ×5, first 2 shown]
	ds_read_b128 v[5:8], v165 offset:1088
	s_waitcnt vmcnt(57) lgkmcnt(1)
	v_mul_f64 v[197:198], v[166:167], v[125:126]
	v_mul_f64 v[125:126], v[168:169], v[125:126]
	s_waitcnt vmcnt(56)
	v_fma_f64 v[121:122], v[1:2], v[115:116], -v[121:122]
	v_fma_f64 v[115:116], v[3:4], v[115:116], v[180:181]
	v_add_f64 v[117:118], v[174:175], v[117:118]
	v_add_f64 v[113:114], v[113:114], v[123:124]
	s_clause 0x2
	buffer_load_dword v179, off, s[0:3], 0 offset:508
	buffer_load_dword v124, off, s[0:3], 0 offset:484
	;; [unrolled: 1-line block ×3, first 2 shown]
	s_waitcnt vmcnt(58) lgkmcnt(0)
	v_mul_f64 v[174:175], v[5:6], v[131:132]
	v_mul_f64 v[131:132], v[7:8], v[131:132]
	s_waitcnt vmcnt(56)
	v_fma_f64 v[125:126], v[166:167], v[133:134], -v[125:126]
	ds_read_b128 v[1:4], v165 offset:1104
	v_add_f64 v[117:118], v[117:118], v[121:122]
	v_fma_f64 v[121:122], v[168:169], v[133:134], v[197:198]
	v_add_f64 v[133:134], v[113:114], v[115:116]
	s_clause 0x4
	buffer_load_dword v167, off, s[0:3], 0 offset:524
	buffer_load_dword v168, off, s[0:3], 0 offset:536
	;; [unrolled: 1-line block ×5, first 2 shown]
	ds_read_b128 v[113:116], v165 offset:1120
	s_waitcnt vmcnt(57) lgkmcnt(1)
	v_mul_f64 v[197:198], v[1:2], v[135:136]
	v_mul_f64 v[135:136], v[3:4], v[135:136]
	s_waitcnt vmcnt(56)
	v_fma_f64 v[131:132], v[5:6], v[119:120], -v[131:132]
	v_fma_f64 v[119:120], v[7:8], v[119:120], v[174:175]
	v_add_f64 v[117:118], v[117:118], v[125:126]
	s_clause 0x2
	buffer_load_dword v169, off, s[0:3], 0 offset:540
	buffer_load_dword v126, off, s[0:3], 0 offset:516
	;; [unrolled: 1-line block ×3, first 2 shown]
	v_add_f64 v[121:122], v[133:134], v[121:122]
	s_waitcnt vmcnt(58) lgkmcnt(0)
	v_mul_f64 v[133:134], v[113:114], v[139:140]
	v_mul_f64 v[139:140], v[115:116], v[139:140]
	ds_read_b128 v[5:8], v165 offset:1136
	s_waitcnt vmcnt(56)
	v_fma_f64 v[135:136], v[1:2], v[141:142], -v[135:136]
	v_add_f64 v[117:118], v[117:118], v[131:132]
	v_fma_f64 v[131:132], v[3:4], v[141:142], v[197:198]
	v_add_f64 v[119:120], v[121:122], v[119:120]
	s_clause 0x4
	buffer_load_dword v122, off, s[0:3], 0 offset:556
	buffer_load_dword v141, off, s[0:3], 0 offset:568
	;; [unrolled: 1-line block ×5, first 2 shown]
	s_waitcnt vmcnt(57) lgkmcnt(0)
	v_mul_f64 v[197:198], v[5:6], v[143:144]
	v_mul_f64 v[143:144], v[7:8], v[143:144]
	s_waitcnt vmcnt(56)
	v_fma_f64 v[139:140], v[113:114], v[127:128], -v[139:140]
	ds_read_b128 v[1:4], v165 offset:1152
	v_fma_f64 v[127:128], v[115:116], v[127:128], v[133:134]
	v_add_f64 v[117:118], v[117:118], v[135:136]
	v_add_f64 v[119:120], v[119:120], v[131:132]
	s_clause 0x2
	buffer_load_dword v142, off, s[0:3], 0 offset:572
	buffer_load_dword v132, off, s[0:3], 0 offset:548
	;; [unrolled: 1-line block ×3, first 2 shown]
	ds_read_b128 v[113:116], v165 offset:1168
	s_waitcnt vmcnt(58) lgkmcnt(1)
	v_mul_f64 v[135:136], v[3:4], v[147:148]
	s_waitcnt vmcnt(56)
	v_fma_f64 v[143:144], v[5:6], v[149:150], -v[143:144]
	v_mul_f64 v[133:134], v[1:2], v[147:148]
	v_add_f64 v[117:118], v[117:118], v[139:140]
	v_fma_f64 v[139:140], v[7:8], v[149:150], v[197:198]
	v_add_f64 v[119:120], v[119:120], v[127:128]
	s_clause 0x4
	buffer_load_dword v128, off, s[0:3], 0 offset:588
	buffer_load_dword v147, off, s[0:3], 0 offset:600
	;; [unrolled: 1-line block ×5, first 2 shown]
	s_waitcnt vmcnt(57) lgkmcnt(0)
	v_mul_f64 v[197:198], v[113:114], v[151:152]
	v_mul_f64 v[150:151], v[115:116], v[151:152]
	s_waitcnt vmcnt(56)
	v_fma_f64 v[135:136], v[1:2], v[137:138], -v[135:136]
	ds_read_b128 v[5:8], v165 offset:1184
	v_fma_f64 v[133:134], v[3:4], v[137:138], v[133:134]
	s_clause 0x2
	buffer_load_dword v148, off, s[0:3], 0 offset:604
	buffer_load_dword v138, off, s[0:3], 0 offset:580
	;; [unrolled: 1-line block ×3, first 2 shown]
	ds_read_b128 v[1:4], v165 offset:1200
	v_add_f64 v[117:118], v[117:118], v[143:144]
	v_add_f64 v[119:120], v[119:120], v[139:140]
	s_waitcnt vmcnt(58) lgkmcnt(1)
	v_mul_f64 v[143:144], v[7:8], v[155:156]
	s_waitcnt vmcnt(56)
	v_fma_f64 v[151:152], v[113:114], v[157:158], -v[150:151]
	v_mul_f64 v[139:140], v[5:6], v[155:156]
	v_add_f64 v[117:118], v[117:118], v[135:136]
	v_fma_f64 v[135:136], v[115:116], v[157:158], v[197:198]
	v_add_f64 v[119:120], v[119:120], v[133:134]
	s_clause 0x4
	buffer_load_dword v134, off, s[0:3], 0 offset:620
	buffer_load_dword v155, off, s[0:3], 0 offset:632
	;; [unrolled: 1-line block ×5, first 2 shown]
	s_waitcnt vmcnt(57) lgkmcnt(0)
	v_mul_f64 v[197:198], v[1:2], v[159:160]
	v_mul_f64 v[158:159], v[3:4], v[159:160]
	s_waitcnt vmcnt(56)
	v_fma_f64 v[143:144], v[5:6], v[145:146], -v[143:144]
	ds_read_b128 v[113:116], v165 offset:1216
	v_fma_f64 v[139:140], v[7:8], v[145:146], v[139:140]
	v_add_f64 v[117:118], v[117:118], v[151:152]
	v_add_f64 v[119:120], v[119:120], v[135:136]
	s_clause 0x2
	buffer_load_dword v156, off, s[0:3], 0 offset:636
	buffer_load_dword v136, off, s[0:3], 0 offset:612
	;; [unrolled: 1-line block ×3, first 2 shown]
	ds_read_b128 v[5:8], v165 offset:1232
	s_waitcnt vmcnt(58) lgkmcnt(1)
	v_mul_f64 v[151:152], v[115:116], v[161:162]
	s_waitcnt vmcnt(56)
	v_fma_f64 v[159:160], v[1:2], v[163:164], -v[158:159]
	v_mul_f64 v[145:146], v[113:114], v[161:162]
	v_add_f64 v[117:118], v[117:118], v[143:144]
	v_fma_f64 v[143:144], v[3:4], v[163:164], v[197:198]
	v_add_f64 v[119:120], v[119:120], v[139:140]
	s_clause 0x4
	buffer_load_dword v140, off, s[0:3], 0 offset:652
	buffer_load_dword v161, off, s[0:3], 0 offset:664
	;; [unrolled: 1-line block ×5, first 2 shown]
	s_waitcnt vmcnt(57) lgkmcnt(0)
	v_mul_f64 v[197:198], v[5:6], v[182:183]
	v_mul_f64 v[182:183], v[7:8], v[182:183]
	s_waitcnt vmcnt(56)
	v_fma_f64 v[151:152], v[113:114], v[153:154], -v[151:152]
	ds_read_b128 v[1:4], v165 offset:1248
	v_fma_f64 v[145:146], v[115:116], v[153:154], v[145:146]
	v_add_f64 v[117:118], v[117:118], v[159:160]
	v_add_f64 v[119:120], v[119:120], v[143:144]
	s_clause 0x2
	buffer_load_dword v162, off, s[0:3], 0 offset:668
	buffer_load_dword v144, off, s[0:3], 0 offset:644
	;; [unrolled: 1-line block ×3, first 2 shown]
	ds_read_b128 v[113:116], v165 offset:1264
	s_waitcnt vmcnt(58) lgkmcnt(1)
	v_mul_f64 v[159:160], v[3:4], v[184:185]
	s_waitcnt vmcnt(56)
	v_fma_f64 v[182:183], v[5:6], v[189:190], -v[182:183]
	v_mul_f64 v[153:154], v[1:2], v[184:185]
	v_add_f64 v[117:118], v[117:118], v[151:152]
	v_fma_f64 v[151:152], v[7:8], v[189:190], v[197:198]
	v_add_f64 v[119:120], v[119:120], v[145:146]
	s_clause 0x4
	buffer_load_dword v146, off, s[0:3], 0 offset:684
	buffer_load_dword v184, off, s[0:3], 0 offset:696
	buffer_load_dword v188, off, s[0:3], 0 offset:688
	buffer_load_dword v145, off, s[0:3], 0 offset:680
	buffer_load_dword v164, off, s[0:3], 0 offset:660
	ds_read_b128 v[5:8], v165 offset:1280
	s_waitcnt vmcnt(57) lgkmcnt(1)
	v_mul_f64 v[189:190], v[113:114], v[176:177]
	v_mul_f64 v[176:177], v[115:116], v[176:177]
	s_waitcnt vmcnt(56)
	v_fma_f64 v[159:160], v[1:2], v[186:187], -v[159:160]
	v_fma_f64 v[153:154], v[3:4], v[186:187], v[153:154]
	v_add_f64 v[117:118], v[117:118], v[182:183]
	v_add_f64 v[119:120], v[119:120], v[151:152]
	s_clause 0x2
	buffer_load_dword v185, off, s[0:3], 0 offset:700
	buffer_load_dword v152, off, s[0:3], 0 offset:676
	;; [unrolled: 1-line block ×3, first 2 shown]
	ds_read_b128 v[1:4], v165 offset:1296
	s_waitcnt vmcnt(58) lgkmcnt(1)
	v_mul_f64 v[186:187], v[7:8], v[193:194]
	v_mul_f64 v[182:183], v[5:6], v[193:194]
	s_waitcnt vmcnt(56)
	v_fma_f64 v[176:177], v[113:114], v[170:171], -v[176:177]
	v_add_f64 v[117:118], v[117:118], v[159:160]
	v_fma_f64 v[159:160], v[115:116], v[170:171], v[189:190]
	v_add_f64 v[119:120], v[119:120], v[153:154]
	s_clause 0x4
	buffer_load_dword v154, off, s[0:3], 0 offset:716
	buffer_load_dword v170, off, s[0:3], 0 offset:728
	buffer_load_dword v193, off, s[0:3], 0 offset:720
	buffer_load_dword v153, off, s[0:3], 0 offset:712
	buffer_load_dword v189, off, s[0:3], 0 offset:692
	ds_read_b128 v[113:116], v165 offset:1312
	s_waitcnt vmcnt(57) lgkmcnt(1)
	v_mul_f64 v[197:198], v[1:2], v[129:130]
	v_mul_f64 v[129:130], v[3:4], v[129:130]
	s_waitcnt vmcnt(56)
	v_fma_f64 v[186:187], v[5:6], v[195:196], -v[186:187]
	v_add_f64 v[117:118], v[117:118], v[176:177]
	v_fma_f64 v[176:177], v[7:8], v[195:196], v[182:183]
	v_add_f64 v[119:120], v[119:120], v[159:160]
	s_clause 0x2
	buffer_load_dword v171, off, s[0:3], 0 offset:732
	buffer_load_dword v160, off, s[0:3], 0 offset:708
	buffer_load_dword v159, off, s[0:3], 0 offset:704
	ds_read_b128 v[5:8], v165 offset:1328
	s_waitcnt vmcnt(58) lgkmcnt(1)
	v_mul_f64 v[182:183], v[113:114], v[178:179]
	v_mul_f64 v[178:179], v[115:116], v[178:179]
	s_waitcnt vmcnt(56)
	v_fma_f64 v[129:130], v[1:2], v[123:124], -v[129:130]
	v_fma_f64 v[123:124], v[3:4], v[123:124], v[197:198]
	v_add_f64 v[117:118], v[117:118], v[186:187]
	v_add_f64 v[119:120], v[119:120], v[176:177]
	s_clause 0x4
	buffer_load_dword v177, off, s[0:3], 0 offset:748
	buffer_load_dword v186, off, s[0:3], 0 offset:760
	buffer_load_dword v190, off, s[0:3], 0 offset:752
	buffer_load_dword v176, off, s[0:3], 0 offset:744
	buffer_load_dword v194, off, s[0:3], 0 offset:724
	ds_read_b128 v[1:4], v165 offset:1344
	s_waitcnt vmcnt(57) lgkmcnt(1)
	v_mul_f64 v[195:196], v[5:6], v[166:167]
	v_mul_f64 v[166:167], v[7:8], v[166:167]
	s_waitcnt vmcnt(56)
	v_fma_f64 v[178:179], v[113:114], v[191:192], -v[178:179]
	v_add_f64 v[117:118], v[117:118], v[129:130]
	v_fma_f64 v[129:130], v[115:116], v[191:192], v[182:183]
	v_add_f64 v[119:120], v[119:120], v[123:124]
	s_clause 0x2
	buffer_load_dword v187, off, s[0:3], 0 offset:764
	buffer_load_dword v124, off, s[0:3], 0 offset:740
	buffer_load_dword v123, off, s[0:3], 0 offset:736
	ds_read_b128 v[113:116], v165 offset:1360
	s_waitcnt vmcnt(58) lgkmcnt(1)
	v_mul_f64 v[182:183], v[1:2], v[168:169]
	v_mul_f64 v[168:169], v[3:4], v[168:169]
	s_waitcnt vmcnt(56)
	v_fma_f64 v[166:167], v[5:6], v[125:126], -v[166:167]
	v_fma_f64 v[125:126], v[7:8], v[125:126], v[195:196]
	v_add_f64 v[117:118], v[117:118], v[178:179]
	;; [unrolled: 28-line block ×3, first 2 shown]
	v_add_f64 v[119:120], v[119:120], v[166:167]
	s_clause 0x4
	buffer_load_dword v167, off, s[0:3], 0 offset:812
	buffer_load_dword v168, off, s[0:3], 0 offset:824
	;; [unrolled: 1-line block ×5, first 2 shown]
	ds_read_b128 v[113:116], v165 offset:1408
	s_waitcnt vmcnt(57) lgkmcnt(1)
	v_mul_f64 v[197:198], v[1:2], v[127:128]
	v_mul_f64 v[127:128], v[3:4], v[127:128]
	s_waitcnt vmcnt(56)
	v_fma_f64 v[141:142], v[5:6], v[174:175], -v[141:142]
	v_add_f64 v[117:118], v[117:118], v[121:122]
	v_fma_f64 v[121:122], v[7:8], v[174:175], v[180:181]
	v_add_f64 v[119:120], v[119:120], v[131:132]
	s_clause 0x2
	buffer_load_dword v169, off, s[0:3], 0 offset:828
	buffer_load_dword v132, off, s[0:3], 0 offset:804
	;; [unrolled: 1-line block ×3, first 2 shown]
	s_waitcnt vmcnt(58) lgkmcnt(0)
	v_mul_f64 v[174:175], v[113:114], v[147:148]
	v_mul_f64 v[147:148], v[115:116], v[147:148]
	ds_read_b128 v[5:8], v165 offset:1424
	s_waitcnt vmcnt(56)
	v_fma_f64 v[127:128], v[1:2], v[137:138], -v[127:128]
	v_fma_f64 v[137:138], v[3:4], v[137:138], v[197:198]
	v_add_f64 v[117:118], v[117:118], v[141:142]
	v_add_f64 v[119:120], v[119:120], v[121:122]
	s_clause 0x2
	buffer_load_dword v122, off, s[0:3], 0 offset:844
	buffer_load_dword v121, off, s[0:3], 0 offset:840
	;; [unrolled: 1-line block ×3, first 2 shown]
	ds_read_b128 v[1:4], v165 offset:1440
	s_waitcnt vmcnt(55) lgkmcnt(1)
	v_mul_f64 v[141:142], v[5:6], v[133:134]
	v_mul_f64 v[133:134], v[7:8], v[133:134]
	s_waitcnt vmcnt(54)
	v_fma_f64 v[147:148], v[113:114], v[149:150], -v[147:148]
	v_add_f64 v[117:118], v[117:118], v[127:128]
	v_fma_f64 v[127:128], v[115:116], v[149:150], v[174:175]
	v_add_f64 v[119:120], v[119:120], v[137:138]
	s_clause 0x1
	buffer_load_dword v138, off, s[0:3], 0 offset:836
	buffer_load_dword v137, off, s[0:3], 0 offset:832
	ds_read_b128 v[113:116], v165 offset:1456
	s_waitcnt vmcnt(55) lgkmcnt(1)
	v_mul_f64 v[149:150], v[1:2], v[155:156]
	v_mul_f64 v[155:156], v[3:4], v[155:156]
	s_waitcnt vmcnt(53)
	v_fma_f64 v[133:134], v[5:6], v[135:136], -v[133:134]
	v_fma_f64 v[135:136], v[7:8], v[135:136], v[141:142]
	ds_read_b128 v[5:8], v165 offset:1472
	v_add_f64 v[117:118], v[117:118], v[147:148]
	v_add_f64 v[119:120], v[119:120], v[127:128]
	s_waitcnt vmcnt(49) lgkmcnt(1)
	v_mul_f64 v[127:128], v[113:114], v[139:140]
	v_mul_f64 v[139:140], v[115:116], v[139:140]
	s_waitcnt vmcnt(48)
	v_fma_f64 v[141:142], v[1:2], v[157:158], -v[155:156]
	v_add_f64 v[117:118], v[117:118], v[133:134]
	v_fma_f64 v[133:134], v[3:4], v[157:158], v[149:150]
	v_add_f64 v[119:120], v[119:120], v[135:136]
	s_clause 0x3
	buffer_load_dword v135, off, s[0:3], 0 offset:160
	buffer_load_dword v136, off, s[0:3], 0 offset:164
	buffer_load_dword v147, off, s[0:3], 0 offset:168
	buffer_load_dword v148, off, s[0:3], 0 offset:172
	ds_read_b128 v[1:4], v165 offset:1488
	s_waitcnt vmcnt(51) lgkmcnt(1)
	v_mul_f64 v[155:156], v[7:8], v[161:162]
	v_mul_f64 v[149:150], v[5:6], v[161:162]
	s_waitcnt vmcnt(49)
	v_fma_f64 v[139:140], v[113:114], v[143:144], -v[139:140]
	v_fma_f64 v[127:128], v[115:116], v[143:144], v[127:128]
	ds_read_b128 v[113:116], v165 offset:1504
	v_add_f64 v[117:118], v[117:118], v[141:142]
	v_add_f64 v[119:120], v[119:120], v[133:134]
	s_waitcnt vmcnt(45) lgkmcnt(1)
	v_mul_f64 v[141:142], v[3:4], v[145:146]
	s_waitcnt vmcnt(44)
	v_fma_f64 v[143:144], v[5:6], v[163:164], -v[155:156]
	v_mul_f64 v[133:134], v[1:2], v[145:146]
	v_add_f64 v[117:118], v[117:118], v[139:140]
	v_fma_f64 v[139:140], v[7:8], v[163:164], v[149:150]
	v_add_f64 v[119:120], v[119:120], v[127:128]
	ds_read_b128 v[5:8], v165 offset:1520
	s_waitcnt vmcnt(43) lgkmcnt(1)
	v_mul_f64 v[145:146], v[115:116], v[184:185]
	v_mul_f64 v[127:128], v[113:114], v[184:185]
	s_waitcnt vmcnt(41)
	v_fma_f64 v[141:142], v[1:2], v[151:152], -v[141:142]
	v_fma_f64 v[133:134], v[3:4], v[151:152], v[133:134]
	ds_read_b128 v[1:4], v165 offset:1536
	v_add_f64 v[117:118], v[117:118], v[143:144]
	v_add_f64 v[119:120], v[119:120], v[139:140]
	s_waitcnt vmcnt(37) lgkmcnt(1)
	v_mul_f64 v[143:144], v[7:8], v[153:154]
	s_waitcnt vmcnt(36)
	v_fma_f64 v[145:146], v[113:114], v[188:189], -v[145:146]
	v_mul_f64 v[139:140], v[5:6], v[153:154]
	v_fma_f64 v[127:128], v[115:116], v[188:189], v[127:128]
	ds_read_b128 v[113:116], v165 offset:1552
	v_add_f64 v[117:118], v[117:118], v[141:142]
	v_add_f64 v[119:120], v[119:120], v[133:134]
	s_waitcnt vmcnt(35) lgkmcnt(1)
	v_mul_f64 v[141:142], v[3:4], v[170:171]
	v_mul_f64 v[133:134], v[1:2], v[170:171]
	s_waitcnt vmcnt(33)
	v_fma_f64 v[143:144], v[5:6], v[159:160], -v[143:144]
	v_fma_f64 v[139:140], v[7:8], v[159:160], v[139:140]
	ds_read_b128 v[5:8], v165 offset:1568
	v_add_f64 v[117:118], v[117:118], v[145:146]
	v_add_f64 v[119:120], v[119:120], v[127:128]
	s_waitcnt vmcnt(29) lgkmcnt(1)
	v_mul_f64 v[145:146], v[115:116], v[176:177]
	s_waitcnt vmcnt(28)
	v_fma_f64 v[141:142], v[1:2], v[193:194], -v[141:142]
	v_mul_f64 v[127:128], v[113:114], v[176:177]
	v_fma_f64 v[133:134], v[3:4], v[193:194], v[133:134]
	ds_read_b128 v[1:4], v165 offset:1584
	v_add_f64 v[117:118], v[117:118], v[143:144]
	v_add_f64 v[119:120], v[119:120], v[139:140]
	s_waitcnt vmcnt(27) lgkmcnt(1)
	v_mul_f64 v[143:144], v[7:8], v[186:187]
	v_mul_f64 v[139:140], v[5:6], v[186:187]
	s_waitcnt vmcnt(25)
	v_fma_f64 v[145:146], v[113:114], v[123:124], -v[145:146]
	v_fma_f64 v[123:124], v[115:116], v[123:124], v[127:128]
	ds_read_b128 v[113:116], v165 offset:1600
	v_add_f64 v[117:118], v[117:118], v[141:142]
	v_add_f64 v[119:120], v[119:120], v[133:134]
	s_waitcnt vmcnt(21) lgkmcnt(1)
	v_mul_f64 v[127:128], v[1:2], v[129:130]
	v_mul_f64 v[129:130], v[3:4], v[129:130]
	s_waitcnt vmcnt(20)
	v_fma_f64 v[133:134], v[5:6], v[190:191], -v[143:144]
	;; [unrolled: 9-line block ×3, first 2 shown]
	v_fma_f64 v[125:126], v[3:4], v[125:126], v[127:128]
	ds_read_b128 v[1:4], v165 offset:1632
	v_add_f64 v[117:118], v[117:118], v[133:134]
	v_add_f64 v[119:120], v[119:120], v[139:140]
	s_waitcnt vmcnt(13) lgkmcnt(1)
	v_mul_f64 v[133:134], v[7:8], v[166:167]
	s_waitcnt vmcnt(12)
	v_fma_f64 v[139:140], v[113:114], v[195:196], -v[141:142]
	v_mul_f64 v[127:128], v[5:6], v[166:167]
	v_fma_f64 v[123:124], v[115:116], v[195:196], v[123:124]
	ds_read_b128 v[113:116], v165 offset:1648
	v_add_f64 v[117:118], v[117:118], v[129:130]
	v_add_f64 v[119:120], v[119:120], v[125:126]
	s_waitcnt vmcnt(11) lgkmcnt(1)
	v_mul_f64 v[129:130], v[3:4], v[168:169]
	v_mul_f64 v[125:126], v[1:2], v[168:169]
	s_waitcnt vmcnt(9)
	v_fma_f64 v[5:6], v[5:6], v[131:132], -v[133:134]
	v_fma_f64 v[7:8], v[7:8], v[131:132], v[127:128]
	v_add_f64 v[117:118], v[117:118], v[139:140]
	v_add_f64 v[119:120], v[119:120], v[123:124]
	s_waitcnt vmcnt(7) lgkmcnt(0)
	v_mul_f64 v[123:124], v[113:114], v[121:122]
	v_mul_f64 v[121:122], v[115:116], v[121:122]
	s_waitcnt vmcnt(6)
	v_fma_f64 v[1:2], v[1:2], v[182:183], -v[129:130]
	v_fma_f64 v[3:4], v[3:4], v[182:183], v[125:126]
	v_add_f64 v[5:6], v[117:118], v[5:6]
	v_add_f64 v[7:8], v[119:120], v[7:8]
	s_waitcnt vmcnt(4)
	v_fma_f64 v[113:114], v[113:114], v[137:138], -v[121:122]
	v_add_f64 v[1:2], v[5:6], v[1:2]
	v_fma_f64 v[5:6], v[115:116], v[137:138], v[123:124]
	v_add_f64 v[3:4], v[7:8], v[3:4]
	v_add_f64 v[1:2], v[1:2], v[113:114]
	;; [unrolled: 1-line block ×3, first 2 shown]
	s_waitcnt vmcnt(2)
	v_add_f64 v[1:2], v[135:136], -v[1:2]
	s_waitcnt vmcnt(0)
	v_add_f64 v[3:4], v[147:148], -v[3:4]
	buffer_store_dword v2, off, s[0:3], 0 offset:164
	buffer_store_dword v1, off, s[0:3], 0 offset:160
	;; [unrolled: 1-line block ×4, first 2 shown]
	v_cmpx_lt_u32_e32 8, v0
	s_cbranch_execz .LBB115_309
; %bb.308:
	v_mov_b32_e32 v4, s56
	v_mov_b32_e32 v5, 0
	s_clause 0x3
	buffer_load_dword v1, v4, s[0:3], 0 offen
	buffer_load_dword v2, v4, s[0:3], 0 offen offset:4
	buffer_load_dword v3, v4, s[0:3], 0 offen offset:8
	buffer_load_dword v4, v4, s[0:3], 0 offen offset:12
	buffer_store_dword v5, off, s[0:3], 0 offset:144
	buffer_store_dword v5, off, s[0:3], 0 offset:148
	;; [unrolled: 1-line block ×4, first 2 shown]
	s_waitcnt vmcnt(0)
	ds_write_b128 v173, v[1:4]
.LBB115_309:
	s_or_b32 exec_lo, exec_lo, s4
	s_waitcnt lgkmcnt(0)
	s_waitcnt_vscnt null, 0x0
	s_barrier
	buffer_gl0_inv
	s_clause 0x37
	buffer_load_dword v113, off, s[0:3], 0 offset:168
	buffer_load_dword v114, off, s[0:3], 0 offset:172
	;; [unrolled: 1-line block ×56, first 2 shown]
	v_mov_b32_e32 v165, 0
	s_mov_b32 s4, exec_lo
	ds_read_b128 v[166:169], v165 offset:976
	s_clause 0x2
	buffer_load_dword v162, off, s[0:3], 0 offset:396
	buffer_load_dword v164, off, s[0:3], 0 offset:372
	;; [unrolled: 1-line block ×3, first 2 shown]
	ds_read_b128 v[174:177], v165 offset:992
	s_clause 0x4
	buffer_load_dword v183, off, s[0:3], 0 offset:412
	buffer_load_dword v184, off, s[0:3], 0 offset:424
	;; [unrolled: 1-line block ×5, first 2 shown]
	ds_read_b128 v[178:181], v165 offset:1008
	s_clause 0x2
	buffer_load_dword v185, off, s[0:3], 0 offset:428
	buffer_load_dword v190, off, s[0:3], 0 offset:404
	;; [unrolled: 1-line block ×3, first 2 shown]
	s_waitcnt vmcnt(62) lgkmcnt(2)
	v_mul_f64 v[170:171], v[168:169], v[113:114]
	v_mul_f64 v[113:114], v[166:167], v[113:114]
	s_waitcnt lgkmcnt(1)
	v_mul_f64 v[187:188], v[176:177], v[5:6]
	s_waitcnt vmcnt(59) lgkmcnt(0)
	v_mul_f64 v[191:192], v[180:181], v[3:4]
	v_fma_f64 v[166:167], v[166:167], v[7:8], -v[170:171]
	v_mul_f64 v[170:171], v[174:175], v[5:6]
	v_fma_f64 v[113:114], v[168:169], v[7:8], v[113:114]
	s_waitcnt vmcnt(57)
	v_fma_f64 v[174:175], v[174:175], v[1:2], -v[187:188]
	ds_read_b128 v[5:8], v165 offset:1024
	v_mul_f64 v[168:169], v[178:179], v[3:4]
	s_waitcnt vmcnt(51)
	v_fma_f64 v[178:179], v[178:179], v[129:130], -v[191:192]
	v_add_f64 v[166:167], v[166:167], 0
	v_fma_f64 v[170:171], v[176:177], v[1:2], v[170:171]
	v_add_f64 v[113:114], v[113:114], 0
	s_clause 0x4
	buffer_load_dword v177, off, s[0:3], 0 offset:444
	buffer_load_dword v193, off, s[0:3], 0 offset:456
	;; [unrolled: 1-line block ×5, first 2 shown]
	s_waitcnt lgkmcnt(0)
	v_mul_f64 v[196:197], v[5:6], v[117:118]
	v_mul_f64 v[117:118], v[7:8], v[117:118]
	ds_read_b128 v[1:4], v165 offset:1040
	v_fma_f64 v[129:130], v[180:181], v[129:130], v[168:169]
	v_add_f64 v[174:175], v[166:167], v[174:175]
	v_add_f64 v[113:114], v[113:114], v[170:171]
	s_clause 0x2
	buffer_load_dword v194, off, s[0:3], 0 offset:460
	buffer_load_dword v171, off, s[0:3], 0 offset:436
	;; [unrolled: 1-line block ×3, first 2 shown]
	s_waitcnt vmcnt(58) lgkmcnt(0)
	v_mul_f64 v[180:181], v[1:2], v[121:122]
	v_mul_f64 v[121:122], v[3:4], v[121:122]
	s_waitcnt vmcnt(56)
	v_fma_f64 v[117:118], v[5:6], v[123:124], -v[117:118]
	ds_read_b128 v[166:169], v165 offset:1056
	v_fma_f64 v[123:124], v[7:8], v[123:124], v[196:197]
	v_add_f64 v[174:175], v[174:175], v[178:179]
	v_add_f64 v[113:114], v[113:114], v[129:130]
	s_clause 0x4
	buffer_load_dword v130, off, s[0:3], 0 offset:476
	buffer_load_dword v178, off, s[0:3], 0 offset:488
	;; [unrolled: 1-line block ×5, first 2 shown]
	ds_read_b128 v[5:8], v165 offset:1072
	s_waitcnt vmcnt(57) lgkmcnt(1)
	v_mul_f64 v[197:198], v[166:167], v[125:126]
	v_mul_f64 v[125:126], v[168:169], v[125:126]
	s_waitcnt vmcnt(56)
	v_fma_f64 v[121:122], v[1:2], v[115:116], -v[121:122]
	v_fma_f64 v[115:116], v[3:4], v[115:116], v[180:181]
	v_add_f64 v[117:118], v[174:175], v[117:118]
	v_add_f64 v[113:114], v[113:114], v[123:124]
	s_clause 0x2
	buffer_load_dword v179, off, s[0:3], 0 offset:492
	buffer_load_dword v124, off, s[0:3], 0 offset:468
	;; [unrolled: 1-line block ×3, first 2 shown]
	s_waitcnt vmcnt(58) lgkmcnt(0)
	v_mul_f64 v[174:175], v[5:6], v[131:132]
	v_mul_f64 v[131:132], v[7:8], v[131:132]
	s_waitcnt vmcnt(56)
	v_fma_f64 v[125:126], v[166:167], v[133:134], -v[125:126]
	ds_read_b128 v[1:4], v165 offset:1088
	v_add_f64 v[117:118], v[117:118], v[121:122]
	v_fma_f64 v[121:122], v[168:169], v[133:134], v[197:198]
	v_add_f64 v[133:134], v[113:114], v[115:116]
	s_clause 0x4
	buffer_load_dword v167, off, s[0:3], 0 offset:508
	buffer_load_dword v168, off, s[0:3], 0 offset:520
	;; [unrolled: 1-line block ×5, first 2 shown]
	ds_read_b128 v[113:116], v165 offset:1104
	s_waitcnt vmcnt(57) lgkmcnt(1)
	v_mul_f64 v[197:198], v[1:2], v[135:136]
	v_mul_f64 v[135:136], v[3:4], v[135:136]
	s_waitcnt vmcnt(56)
	v_fma_f64 v[131:132], v[5:6], v[119:120], -v[131:132]
	v_fma_f64 v[119:120], v[7:8], v[119:120], v[174:175]
	v_add_f64 v[117:118], v[117:118], v[125:126]
	s_clause 0x2
	buffer_load_dword v169, off, s[0:3], 0 offset:524
	buffer_load_dword v126, off, s[0:3], 0 offset:500
	;; [unrolled: 1-line block ×3, first 2 shown]
	v_add_f64 v[121:122], v[133:134], v[121:122]
	s_waitcnt vmcnt(58) lgkmcnt(0)
	v_mul_f64 v[133:134], v[113:114], v[139:140]
	v_mul_f64 v[139:140], v[115:116], v[139:140]
	ds_read_b128 v[5:8], v165 offset:1120
	s_waitcnt vmcnt(56)
	v_fma_f64 v[135:136], v[1:2], v[141:142], -v[135:136]
	v_add_f64 v[117:118], v[117:118], v[131:132]
	v_fma_f64 v[131:132], v[3:4], v[141:142], v[197:198]
	v_add_f64 v[119:120], v[121:122], v[119:120]
	s_clause 0x4
	buffer_load_dword v122, off, s[0:3], 0 offset:540
	buffer_load_dword v141, off, s[0:3], 0 offset:552
	;; [unrolled: 1-line block ×5, first 2 shown]
	s_waitcnt vmcnt(57) lgkmcnt(0)
	v_mul_f64 v[197:198], v[5:6], v[143:144]
	v_mul_f64 v[143:144], v[7:8], v[143:144]
	s_waitcnt vmcnt(56)
	v_fma_f64 v[139:140], v[113:114], v[127:128], -v[139:140]
	ds_read_b128 v[1:4], v165 offset:1136
	v_fma_f64 v[127:128], v[115:116], v[127:128], v[133:134]
	v_add_f64 v[117:118], v[117:118], v[135:136]
	v_add_f64 v[119:120], v[119:120], v[131:132]
	s_clause 0x2
	buffer_load_dword v142, off, s[0:3], 0 offset:556
	buffer_load_dword v132, off, s[0:3], 0 offset:532
	;; [unrolled: 1-line block ×3, first 2 shown]
	ds_read_b128 v[113:116], v165 offset:1152
	s_waitcnt vmcnt(58) lgkmcnt(1)
	v_mul_f64 v[135:136], v[3:4], v[147:148]
	s_waitcnt vmcnt(56)
	v_fma_f64 v[143:144], v[5:6], v[149:150], -v[143:144]
	v_mul_f64 v[133:134], v[1:2], v[147:148]
	v_add_f64 v[117:118], v[117:118], v[139:140]
	v_fma_f64 v[139:140], v[7:8], v[149:150], v[197:198]
	v_add_f64 v[119:120], v[119:120], v[127:128]
	s_clause 0x4
	buffer_load_dword v128, off, s[0:3], 0 offset:572
	buffer_load_dword v147, off, s[0:3], 0 offset:584
	buffer_load_dword v149, off, s[0:3], 0 offset:576
	buffer_load_dword v127, off, s[0:3], 0 offset:568
	buffer_load_dword v175, off, s[0:3], 0 offset:548
	s_waitcnt vmcnt(57) lgkmcnt(0)
	v_mul_f64 v[197:198], v[113:114], v[151:152]
	v_mul_f64 v[150:151], v[115:116], v[151:152]
	s_waitcnt vmcnt(56)
	v_fma_f64 v[135:136], v[1:2], v[137:138], -v[135:136]
	ds_read_b128 v[5:8], v165 offset:1168
	v_fma_f64 v[133:134], v[3:4], v[137:138], v[133:134]
	s_clause 0x2
	buffer_load_dword v148, off, s[0:3], 0 offset:588
	buffer_load_dword v138, off, s[0:3], 0 offset:564
	;; [unrolled: 1-line block ×3, first 2 shown]
	ds_read_b128 v[1:4], v165 offset:1184
	v_add_f64 v[117:118], v[117:118], v[143:144]
	v_add_f64 v[119:120], v[119:120], v[139:140]
	s_waitcnt vmcnt(58) lgkmcnt(1)
	v_mul_f64 v[143:144], v[7:8], v[155:156]
	s_waitcnt vmcnt(56)
	v_fma_f64 v[151:152], v[113:114], v[157:158], -v[150:151]
	v_mul_f64 v[139:140], v[5:6], v[155:156]
	v_add_f64 v[117:118], v[117:118], v[135:136]
	v_fma_f64 v[135:136], v[115:116], v[157:158], v[197:198]
	v_add_f64 v[119:120], v[119:120], v[133:134]
	s_clause 0x4
	buffer_load_dword v134, off, s[0:3], 0 offset:604
	buffer_load_dword v155, off, s[0:3], 0 offset:616
	;; [unrolled: 1-line block ×5, first 2 shown]
	s_waitcnt vmcnt(57) lgkmcnt(0)
	v_mul_f64 v[197:198], v[1:2], v[159:160]
	v_mul_f64 v[158:159], v[3:4], v[159:160]
	s_waitcnt vmcnt(56)
	v_fma_f64 v[143:144], v[5:6], v[145:146], -v[143:144]
	ds_read_b128 v[113:116], v165 offset:1200
	v_fma_f64 v[139:140], v[7:8], v[145:146], v[139:140]
	v_add_f64 v[117:118], v[117:118], v[151:152]
	v_add_f64 v[119:120], v[119:120], v[135:136]
	s_clause 0x2
	buffer_load_dword v156, off, s[0:3], 0 offset:620
	buffer_load_dword v136, off, s[0:3], 0 offset:596
	;; [unrolled: 1-line block ×3, first 2 shown]
	ds_read_b128 v[5:8], v165 offset:1216
	s_waitcnt vmcnt(58) lgkmcnt(1)
	v_mul_f64 v[151:152], v[115:116], v[161:162]
	s_waitcnt vmcnt(56)
	v_fma_f64 v[159:160], v[1:2], v[163:164], -v[158:159]
	v_mul_f64 v[145:146], v[113:114], v[161:162]
	v_add_f64 v[117:118], v[117:118], v[143:144]
	v_fma_f64 v[143:144], v[3:4], v[163:164], v[197:198]
	v_add_f64 v[119:120], v[119:120], v[139:140]
	s_clause 0x4
	buffer_load_dword v140, off, s[0:3], 0 offset:636
	buffer_load_dword v161, off, s[0:3], 0 offset:648
	;; [unrolled: 1-line block ×5, first 2 shown]
	s_waitcnt vmcnt(57) lgkmcnt(0)
	v_mul_f64 v[197:198], v[5:6], v[182:183]
	v_mul_f64 v[182:183], v[7:8], v[182:183]
	s_waitcnt vmcnt(56)
	v_fma_f64 v[151:152], v[113:114], v[153:154], -v[151:152]
	ds_read_b128 v[1:4], v165 offset:1232
	v_fma_f64 v[145:146], v[115:116], v[153:154], v[145:146]
	v_add_f64 v[117:118], v[117:118], v[159:160]
	v_add_f64 v[119:120], v[119:120], v[143:144]
	s_clause 0x2
	buffer_load_dword v162, off, s[0:3], 0 offset:652
	buffer_load_dword v144, off, s[0:3], 0 offset:628
	buffer_load_dword v143, off, s[0:3], 0 offset:624
	ds_read_b128 v[113:116], v165 offset:1248
	s_waitcnt vmcnt(58) lgkmcnt(1)
	v_mul_f64 v[159:160], v[3:4], v[184:185]
	s_waitcnt vmcnt(56)
	v_fma_f64 v[182:183], v[5:6], v[189:190], -v[182:183]
	v_mul_f64 v[153:154], v[1:2], v[184:185]
	v_add_f64 v[117:118], v[117:118], v[151:152]
	v_fma_f64 v[151:152], v[7:8], v[189:190], v[197:198]
	v_add_f64 v[119:120], v[119:120], v[145:146]
	s_clause 0x4
	buffer_load_dword v146, off, s[0:3], 0 offset:668
	buffer_load_dword v184, off, s[0:3], 0 offset:680
	;; [unrolled: 1-line block ×5, first 2 shown]
	ds_read_b128 v[5:8], v165 offset:1264
	s_waitcnt vmcnt(57) lgkmcnt(1)
	v_mul_f64 v[189:190], v[113:114], v[176:177]
	v_mul_f64 v[176:177], v[115:116], v[176:177]
	s_waitcnt vmcnt(56)
	v_fma_f64 v[159:160], v[1:2], v[186:187], -v[159:160]
	v_fma_f64 v[153:154], v[3:4], v[186:187], v[153:154]
	v_add_f64 v[117:118], v[117:118], v[182:183]
	v_add_f64 v[119:120], v[119:120], v[151:152]
	s_clause 0x2
	buffer_load_dword v185, off, s[0:3], 0 offset:684
	buffer_load_dword v152, off, s[0:3], 0 offset:660
	;; [unrolled: 1-line block ×3, first 2 shown]
	ds_read_b128 v[1:4], v165 offset:1280
	s_waitcnt vmcnt(58) lgkmcnt(1)
	v_mul_f64 v[186:187], v[7:8], v[193:194]
	v_mul_f64 v[182:183], v[5:6], v[193:194]
	s_waitcnt vmcnt(56)
	v_fma_f64 v[176:177], v[113:114], v[170:171], -v[176:177]
	v_add_f64 v[117:118], v[117:118], v[159:160]
	v_fma_f64 v[159:160], v[115:116], v[170:171], v[189:190]
	v_add_f64 v[119:120], v[119:120], v[153:154]
	s_clause 0x4
	buffer_load_dword v154, off, s[0:3], 0 offset:700
	buffer_load_dword v170, off, s[0:3], 0 offset:712
	buffer_load_dword v193, off, s[0:3], 0 offset:704
	buffer_load_dword v153, off, s[0:3], 0 offset:696
	buffer_load_dword v189, off, s[0:3], 0 offset:676
	ds_read_b128 v[113:116], v165 offset:1296
	s_waitcnt vmcnt(57) lgkmcnt(1)
	v_mul_f64 v[197:198], v[1:2], v[129:130]
	v_mul_f64 v[129:130], v[3:4], v[129:130]
	s_waitcnt vmcnt(56)
	v_fma_f64 v[186:187], v[5:6], v[195:196], -v[186:187]
	v_add_f64 v[117:118], v[117:118], v[176:177]
	v_fma_f64 v[176:177], v[7:8], v[195:196], v[182:183]
	v_add_f64 v[119:120], v[119:120], v[159:160]
	s_clause 0x2
	buffer_load_dword v171, off, s[0:3], 0 offset:716
	buffer_load_dword v160, off, s[0:3], 0 offset:692
	buffer_load_dword v159, off, s[0:3], 0 offset:688
	ds_read_b128 v[5:8], v165 offset:1312
	s_waitcnt vmcnt(58) lgkmcnt(1)
	v_mul_f64 v[182:183], v[113:114], v[178:179]
	v_mul_f64 v[178:179], v[115:116], v[178:179]
	s_waitcnt vmcnt(56)
	v_fma_f64 v[129:130], v[1:2], v[123:124], -v[129:130]
	v_fma_f64 v[123:124], v[3:4], v[123:124], v[197:198]
	v_add_f64 v[117:118], v[117:118], v[186:187]
	v_add_f64 v[119:120], v[119:120], v[176:177]
	s_clause 0x4
	buffer_load_dword v177, off, s[0:3], 0 offset:732
	buffer_load_dword v186, off, s[0:3], 0 offset:744
	buffer_load_dword v190, off, s[0:3], 0 offset:736
	buffer_load_dword v176, off, s[0:3], 0 offset:728
	buffer_load_dword v194, off, s[0:3], 0 offset:708
	ds_read_b128 v[1:4], v165 offset:1328
	s_waitcnt vmcnt(57) lgkmcnt(1)
	v_mul_f64 v[195:196], v[5:6], v[166:167]
	v_mul_f64 v[166:167], v[7:8], v[166:167]
	s_waitcnt vmcnt(56)
	v_fma_f64 v[178:179], v[113:114], v[191:192], -v[178:179]
	v_add_f64 v[117:118], v[117:118], v[129:130]
	v_fma_f64 v[129:130], v[115:116], v[191:192], v[182:183]
	v_add_f64 v[119:120], v[119:120], v[123:124]
	s_clause 0x2
	buffer_load_dword v187, off, s[0:3], 0 offset:748
	buffer_load_dword v124, off, s[0:3], 0 offset:724
	buffer_load_dword v123, off, s[0:3], 0 offset:720
	ds_read_b128 v[113:116], v165 offset:1344
	s_waitcnt vmcnt(58) lgkmcnt(1)
	v_mul_f64 v[182:183], v[1:2], v[168:169]
	v_mul_f64 v[168:169], v[3:4], v[168:169]
	s_waitcnt vmcnt(56)
	v_fma_f64 v[166:167], v[5:6], v[125:126], -v[166:167]
	v_fma_f64 v[125:126], v[7:8], v[125:126], v[195:196]
	v_add_f64 v[117:118], v[117:118], v[178:179]
	;; [unrolled: 28-line block ×3, first 2 shown]
	v_add_f64 v[119:120], v[119:120], v[166:167]
	s_clause 0x4
	buffer_load_dword v167, off, s[0:3], 0 offset:796
	buffer_load_dword v168, off, s[0:3], 0 offset:808
	;; [unrolled: 1-line block ×5, first 2 shown]
	ds_read_b128 v[113:116], v165 offset:1392
	s_waitcnt vmcnt(57) lgkmcnt(1)
	v_mul_f64 v[197:198], v[1:2], v[127:128]
	v_mul_f64 v[127:128], v[3:4], v[127:128]
	s_waitcnt vmcnt(56)
	v_fma_f64 v[141:142], v[5:6], v[174:175], -v[141:142]
	v_add_f64 v[117:118], v[117:118], v[121:122]
	v_fma_f64 v[121:122], v[7:8], v[174:175], v[180:181]
	v_add_f64 v[119:120], v[119:120], v[131:132]
	s_clause 0x2
	buffer_load_dword v169, off, s[0:3], 0 offset:812
	buffer_load_dword v132, off, s[0:3], 0 offset:788
	;; [unrolled: 1-line block ×3, first 2 shown]
	s_waitcnt vmcnt(58) lgkmcnt(0)
	v_mul_f64 v[174:175], v[113:114], v[147:148]
	v_mul_f64 v[147:148], v[115:116], v[147:148]
	ds_read_b128 v[5:8], v165 offset:1408
	s_waitcnt vmcnt(56)
	v_fma_f64 v[127:128], v[1:2], v[137:138], -v[127:128]
	v_fma_f64 v[137:138], v[3:4], v[137:138], v[197:198]
	v_add_f64 v[117:118], v[117:118], v[141:142]
	v_add_f64 v[119:120], v[119:120], v[121:122]
	s_clause 0x4
	buffer_load_dword v122, off, s[0:3], 0 offset:828
	buffer_load_dword v141, off, s[0:3], 0 offset:840
	buffer_load_dword v180, off, s[0:3], 0 offset:832
	buffer_load_dword v121, off, s[0:3], 0 offset:824
	buffer_load_dword v183, off, s[0:3], 0 offset:804
	ds_read_b128 v[1:4], v165 offset:1424
	s_waitcnt vmcnt(57) lgkmcnt(1)
	v_mul_f64 v[197:198], v[5:6], v[133:134]
	v_mul_f64 v[133:134], v[7:8], v[133:134]
	s_waitcnt vmcnt(56)
	v_fma_f64 v[147:148], v[113:114], v[149:150], -v[147:148]
	v_add_f64 v[117:118], v[117:118], v[127:128]
	v_fma_f64 v[127:128], v[115:116], v[149:150], v[174:175]
	v_add_f64 v[119:120], v[119:120], v[137:138]
	s_clause 0x2
	buffer_load_dword v142, off, s[0:3], 0 offset:844
	buffer_load_dword v138, off, s[0:3], 0 offset:820
	;; [unrolled: 1-line block ×3, first 2 shown]
	ds_read_b128 v[113:116], v165 offset:1440
	buffer_load_dword v181, off, s[0:3], 0 offset:836
	s_waitcnt vmcnt(59) lgkmcnt(1)
	v_mul_f64 v[149:150], v[1:2], v[155:156]
	v_mul_f64 v[155:156], v[3:4], v[155:156]
	s_waitcnt vmcnt(57)
	v_fma_f64 v[133:134], v[5:6], v[135:136], -v[133:134]
	v_fma_f64 v[135:136], v[7:8], v[135:136], v[197:198]
	ds_read_b128 v[5:8], v165 offset:1456
	v_add_f64 v[117:118], v[117:118], v[147:148]
	v_add_f64 v[119:120], v[119:120], v[127:128]
	s_waitcnt vmcnt(53) lgkmcnt(1)
	v_mul_f64 v[127:128], v[113:114], v[139:140]
	v_mul_f64 v[139:140], v[115:116], v[139:140]
	s_waitcnt vmcnt(52)
	v_fma_f64 v[147:148], v[1:2], v[157:158], -v[155:156]
	v_add_f64 v[117:118], v[117:118], v[133:134]
	v_fma_f64 v[133:134], v[3:4], v[157:158], v[149:150]
	v_add_f64 v[119:120], v[119:120], v[135:136]
	ds_read_b128 v[1:4], v165 offset:1472
	s_waitcnt vmcnt(51) lgkmcnt(1)
	v_mul_f64 v[149:150], v[7:8], v[161:162]
	v_mul_f64 v[135:136], v[5:6], v[161:162]
	s_waitcnt vmcnt(49)
	v_fma_f64 v[139:140], v[113:114], v[143:144], -v[139:140]
	v_fma_f64 v[127:128], v[115:116], v[143:144], v[127:128]
	v_add_f64 v[117:118], v[117:118], v[147:148]
	v_add_f64 v[119:120], v[119:120], v[133:134]
	s_clause 0x3
	buffer_load_dword v133, off, s[0:3], 0 offset:144
	buffer_load_dword v134, off, s[0:3], 0 offset:148
	;; [unrolled: 1-line block ×4, first 2 shown]
	ds_read_b128 v[113:116], v165 offset:1488
	s_waitcnt vmcnt(49) lgkmcnt(1)
	v_mul_f64 v[147:148], v[1:2], v[145:146]
	v_mul_f64 v[145:146], v[3:4], v[145:146]
	s_waitcnt vmcnt(48)
	v_fma_f64 v[149:150], v[5:6], v[163:164], -v[149:150]
	v_fma_f64 v[135:136], v[7:8], v[163:164], v[135:136]
	ds_read_b128 v[5:8], v165 offset:1504
	v_add_f64 v[117:118], v[117:118], v[139:140]
	v_add_f64 v[119:120], v[119:120], v[127:128]
	s_waitcnt vmcnt(47) lgkmcnt(1)
	v_mul_f64 v[139:140], v[115:116], v[184:185]
	v_mul_f64 v[127:128], v[113:114], v[184:185]
	s_waitcnt vmcnt(45)
	v_fma_f64 v[145:146], v[1:2], v[151:152], -v[145:146]
	v_fma_f64 v[147:148], v[3:4], v[151:152], v[147:148]
	ds_read_b128 v[1:4], v165 offset:1520
	v_add_f64 v[117:118], v[117:118], v[149:150]
	v_add_f64 v[119:120], v[119:120], v[135:136]
	s_waitcnt vmcnt(41) lgkmcnt(1)
	v_mul_f64 v[149:150], v[7:8], v[153:154]
	s_waitcnt vmcnt(40)
	v_fma_f64 v[139:140], v[113:114], v[188:189], -v[139:140]
	v_mul_f64 v[135:136], v[5:6], v[153:154]
	v_fma_f64 v[127:128], v[115:116], v[188:189], v[127:128]
	ds_read_b128 v[113:116], v165 offset:1536
	v_add_f64 v[117:118], v[117:118], v[145:146]
	v_add_f64 v[119:120], v[119:120], v[147:148]
	s_waitcnt vmcnt(39) lgkmcnt(1)
	v_mul_f64 v[147:148], v[3:4], v[170:171]
	v_mul_f64 v[145:146], v[1:2], v[170:171]
	s_waitcnt vmcnt(37)
	v_fma_f64 v[149:150], v[5:6], v[159:160], -v[149:150]
	v_fma_f64 v[135:136], v[7:8], v[159:160], v[135:136]
	ds_read_b128 v[5:8], v165 offset:1552
	v_add_f64 v[117:118], v[117:118], v[139:140]
	v_add_f64 v[119:120], v[119:120], v[127:128]
	s_waitcnt vmcnt(33) lgkmcnt(1)
	v_mul_f64 v[139:140], v[115:116], v[176:177]
	s_waitcnt vmcnt(32)
	v_fma_f64 v[147:148], v[1:2], v[193:194], -v[147:148]
	v_mul_f64 v[127:128], v[113:114], v[176:177]
	v_fma_f64 v[145:146], v[3:4], v[193:194], v[145:146]
	ds_read_b128 v[1:4], v165 offset:1568
	v_add_f64 v[117:118], v[117:118], v[149:150]
	v_add_f64 v[119:120], v[119:120], v[135:136]
	s_waitcnt vmcnt(31) lgkmcnt(1)
	v_mul_f64 v[149:150], v[7:8], v[186:187]
	v_mul_f64 v[135:136], v[5:6], v[186:187]
	s_waitcnt vmcnt(29)
	v_fma_f64 v[139:140], v[113:114], v[123:124], -v[139:140]
	v_fma_f64 v[123:124], v[115:116], v[123:124], v[127:128]
	ds_read_b128 v[113:116], v165 offset:1584
	v_add_f64 v[117:118], v[117:118], v[147:148]
	v_add_f64 v[119:120], v[119:120], v[145:146]
	s_waitcnt vmcnt(25) lgkmcnt(1)
	v_mul_f64 v[127:128], v[1:2], v[129:130]
	v_mul_f64 v[129:130], v[3:4], v[129:130]
	s_waitcnt vmcnt(24)
	v_fma_f64 v[145:146], v[5:6], v[190:191], -v[149:150]
	v_fma_f64 v[135:136], v[7:8], v[190:191], v[135:136]
	ds_read_b128 v[5:8], v165 offset:1600
	v_add_f64 v[117:118], v[117:118], v[139:140]
	v_add_f64 v[119:120], v[119:120], v[123:124]
	s_waitcnt vmcnt(23) lgkmcnt(1)
	v_mul_f64 v[139:140], v[115:116], v[178:179]
	v_mul_f64 v[123:124], v[113:114], v[178:179]
	s_waitcnt vmcnt(21)
	v_fma_f64 v[129:130], v[1:2], v[125:126], -v[129:130]
	v_fma_f64 v[125:126], v[3:4], v[125:126], v[127:128]
	ds_read_b128 v[1:4], v165 offset:1616
	v_add_f64 v[117:118], v[117:118], v[145:146]
	v_add_f64 v[119:120], v[119:120], v[135:136]
	s_waitcnt vmcnt(17) lgkmcnt(1)
	v_mul_f64 v[135:136], v[7:8], v[166:167]
	s_waitcnt vmcnt(16)
	v_fma_f64 v[139:140], v[113:114], v[195:196], -v[139:140]
	v_mul_f64 v[127:128], v[5:6], v[166:167]
	v_fma_f64 v[123:124], v[115:116], v[195:196], v[123:124]
	ds_read_b128 v[113:116], v165 offset:1632
	v_add_f64 v[117:118], v[117:118], v[129:130]
	v_add_f64 v[119:120], v[119:120], v[125:126]
	s_waitcnt vmcnt(15) lgkmcnt(1)
	v_mul_f64 v[129:130], v[3:4], v[168:169]
	v_mul_f64 v[125:126], v[1:2], v[168:169]
	s_waitcnt vmcnt(13)
	v_fma_f64 v[135:136], v[5:6], v[131:132], -v[135:136]
	v_fma_f64 v[127:128], v[7:8], v[131:132], v[127:128]
	ds_read_b128 v[5:8], v165 offset:1648
	v_add_f64 v[117:118], v[117:118], v[139:140]
	v_add_f64 v[119:120], v[119:120], v[123:124]
	s_waitcnt vmcnt(9) lgkmcnt(1)
	v_mul_f64 v[123:124], v[113:114], v[121:122]
	v_mul_f64 v[121:122], v[115:116], v[121:122]
	s_waitcnt vmcnt(8)
	v_fma_f64 v[1:2], v[1:2], v[182:183], -v[129:130]
	v_fma_f64 v[3:4], v[3:4], v[182:183], v[125:126]
	v_add_f64 v[117:118], v[117:118], v[135:136]
	v_add_f64 v[119:120], v[119:120], v[127:128]
	s_waitcnt vmcnt(7) lgkmcnt(0)
	v_mul_f64 v[127:128], v[7:8], v[141:142]
	v_mul_f64 v[125:126], v[5:6], v[141:142]
	s_waitcnt vmcnt(5)
	v_fma_f64 v[113:114], v[113:114], v[137:138], -v[121:122]
	v_fma_f64 v[115:116], v[115:116], v[137:138], v[123:124]
	v_add_f64 v[1:2], v[117:118], v[1:2]
	v_add_f64 v[3:4], v[119:120], v[3:4]
	s_waitcnt vmcnt(4)
	v_fma_f64 v[5:6], v[5:6], v[180:181], -v[127:128]
	v_fma_f64 v[7:8], v[7:8], v[180:181], v[125:126]
	v_add_f64 v[1:2], v[1:2], v[113:114]
	v_add_f64 v[3:4], v[3:4], v[115:116]
	;; [unrolled: 1-line block ×4, first 2 shown]
	s_waitcnt vmcnt(2)
	v_add_f64 v[1:2], v[133:134], -v[1:2]
	s_waitcnt vmcnt(0)
	v_add_f64 v[3:4], v[143:144], -v[3:4]
	buffer_store_dword v2, off, s[0:3], 0 offset:148
	buffer_store_dword v1, off, s[0:3], 0 offset:144
	;; [unrolled: 1-line block ×4, first 2 shown]
	v_cmpx_lt_u32_e32 7, v0
	s_cbranch_execz .LBB115_311
; %bb.310:
	v_mov_b32_e32 v4, s57
	s_clause 0x3
	buffer_load_dword v1, v4, s[0:3], 0 offen
	buffer_load_dword v2, v4, s[0:3], 0 offen offset:4
	buffer_load_dword v3, v4, s[0:3], 0 offen offset:8
	buffer_load_dword v4, v4, s[0:3], 0 offen offset:12
	buffer_store_dword v165, off, s[0:3], 0 offset:128
	buffer_store_dword v165, off, s[0:3], 0 offset:132
	;; [unrolled: 1-line block ×4, first 2 shown]
	s_waitcnt vmcnt(0)
	ds_write_b128 v173, v[1:4]
.LBB115_311:
	s_or_b32 exec_lo, exec_lo, s4
	s_waitcnt lgkmcnt(0)
	s_waitcnt_vscnt null, 0x0
	s_barrier
	buffer_gl0_inv
	s_clause 0x37
	buffer_load_dword v113, off, s[0:3], 0 offset:152
	buffer_load_dword v114, off, s[0:3], 0 offset:156
	;; [unrolled: 1-line block ×56, first 2 shown]
	ds_read_b128 v[166:169], v165 offset:960
	s_clause 0x2
	buffer_load_dword v162, off, s[0:3], 0 offset:380
	buffer_load_dword v164, off, s[0:3], 0 offset:356
	buffer_load_dword v163, off, s[0:3], 0 offset:352
	ds_read_b128 v[174:177], v165 offset:976
	s_clause 0x4
	buffer_load_dword v183, off, s[0:3], 0 offset:396
	buffer_load_dword v184, off, s[0:3], 0 offset:408
	;; [unrolled: 1-line block ×5, first 2 shown]
	ds_read_b128 v[178:181], v165 offset:992
	s_clause 0x2
	buffer_load_dword v185, off, s[0:3], 0 offset:412
	buffer_load_dword v190, off, s[0:3], 0 offset:388
	;; [unrolled: 1-line block ×3, first 2 shown]
	s_mov_b32 s4, exec_lo
	s_waitcnt vmcnt(62) lgkmcnt(2)
	v_mul_f64 v[170:171], v[168:169], v[113:114]
	v_mul_f64 v[113:114], v[166:167], v[113:114]
	s_waitcnt lgkmcnt(1)
	v_mul_f64 v[187:188], v[176:177], v[5:6]
	s_waitcnt vmcnt(59) lgkmcnt(0)
	v_mul_f64 v[191:192], v[180:181], v[3:4]
	v_fma_f64 v[166:167], v[166:167], v[7:8], -v[170:171]
	v_mul_f64 v[170:171], v[174:175], v[5:6]
	v_fma_f64 v[113:114], v[168:169], v[7:8], v[113:114]
	s_waitcnt vmcnt(57)
	v_fma_f64 v[174:175], v[174:175], v[1:2], -v[187:188]
	ds_read_b128 v[5:8], v165 offset:1008
	v_mul_f64 v[168:169], v[178:179], v[3:4]
	s_waitcnt vmcnt(51)
	v_fma_f64 v[178:179], v[178:179], v[129:130], -v[191:192]
	v_add_f64 v[166:167], v[166:167], 0
	v_fma_f64 v[170:171], v[176:177], v[1:2], v[170:171]
	v_add_f64 v[113:114], v[113:114], 0
	s_clause 0x4
	buffer_load_dword v177, off, s[0:3], 0 offset:428
	buffer_load_dword v193, off, s[0:3], 0 offset:440
	;; [unrolled: 1-line block ×5, first 2 shown]
	s_waitcnt lgkmcnt(0)
	v_mul_f64 v[196:197], v[5:6], v[117:118]
	v_mul_f64 v[117:118], v[7:8], v[117:118]
	ds_read_b128 v[1:4], v165 offset:1024
	v_fma_f64 v[129:130], v[180:181], v[129:130], v[168:169]
	v_add_f64 v[174:175], v[166:167], v[174:175]
	v_add_f64 v[113:114], v[113:114], v[170:171]
	s_clause 0x2
	buffer_load_dword v194, off, s[0:3], 0 offset:444
	buffer_load_dword v171, off, s[0:3], 0 offset:420
	;; [unrolled: 1-line block ×3, first 2 shown]
	s_waitcnt vmcnt(58) lgkmcnt(0)
	v_mul_f64 v[180:181], v[1:2], v[121:122]
	v_mul_f64 v[121:122], v[3:4], v[121:122]
	s_waitcnt vmcnt(56)
	v_fma_f64 v[117:118], v[5:6], v[123:124], -v[117:118]
	ds_read_b128 v[166:169], v165 offset:1040
	v_fma_f64 v[123:124], v[7:8], v[123:124], v[196:197]
	v_add_f64 v[174:175], v[174:175], v[178:179]
	v_add_f64 v[113:114], v[113:114], v[129:130]
	s_clause 0x4
	buffer_load_dword v130, off, s[0:3], 0 offset:460
	buffer_load_dword v178, off, s[0:3], 0 offset:472
	;; [unrolled: 1-line block ×5, first 2 shown]
	ds_read_b128 v[5:8], v165 offset:1056
	s_waitcnt vmcnt(57) lgkmcnt(1)
	v_mul_f64 v[197:198], v[166:167], v[125:126]
	v_mul_f64 v[125:126], v[168:169], v[125:126]
	s_waitcnt vmcnt(56)
	v_fma_f64 v[121:122], v[1:2], v[115:116], -v[121:122]
	v_fma_f64 v[115:116], v[3:4], v[115:116], v[180:181]
	v_add_f64 v[117:118], v[174:175], v[117:118]
	v_add_f64 v[113:114], v[113:114], v[123:124]
	s_clause 0x2
	buffer_load_dword v179, off, s[0:3], 0 offset:476
	buffer_load_dword v124, off, s[0:3], 0 offset:452
	;; [unrolled: 1-line block ×3, first 2 shown]
	s_waitcnt vmcnt(58) lgkmcnt(0)
	v_mul_f64 v[174:175], v[5:6], v[131:132]
	v_mul_f64 v[131:132], v[7:8], v[131:132]
	s_waitcnt vmcnt(56)
	v_fma_f64 v[125:126], v[166:167], v[133:134], -v[125:126]
	ds_read_b128 v[1:4], v165 offset:1072
	v_add_f64 v[117:118], v[117:118], v[121:122]
	v_fma_f64 v[121:122], v[168:169], v[133:134], v[197:198]
	v_add_f64 v[133:134], v[113:114], v[115:116]
	s_clause 0x4
	buffer_load_dword v167, off, s[0:3], 0 offset:492
	buffer_load_dword v168, off, s[0:3], 0 offset:504
	;; [unrolled: 1-line block ×5, first 2 shown]
	ds_read_b128 v[113:116], v165 offset:1088
	s_waitcnt vmcnt(57) lgkmcnt(1)
	v_mul_f64 v[197:198], v[1:2], v[135:136]
	v_mul_f64 v[135:136], v[3:4], v[135:136]
	s_waitcnt vmcnt(56)
	v_fma_f64 v[131:132], v[5:6], v[119:120], -v[131:132]
	v_fma_f64 v[119:120], v[7:8], v[119:120], v[174:175]
	v_add_f64 v[117:118], v[117:118], v[125:126]
	s_clause 0x2
	buffer_load_dword v169, off, s[0:3], 0 offset:508
	buffer_load_dword v126, off, s[0:3], 0 offset:484
	;; [unrolled: 1-line block ×3, first 2 shown]
	v_add_f64 v[121:122], v[133:134], v[121:122]
	s_waitcnt vmcnt(58) lgkmcnt(0)
	v_mul_f64 v[133:134], v[113:114], v[139:140]
	v_mul_f64 v[139:140], v[115:116], v[139:140]
	ds_read_b128 v[5:8], v165 offset:1104
	s_waitcnt vmcnt(56)
	v_fma_f64 v[135:136], v[1:2], v[141:142], -v[135:136]
	v_add_f64 v[117:118], v[117:118], v[131:132]
	v_fma_f64 v[131:132], v[3:4], v[141:142], v[197:198]
	v_add_f64 v[119:120], v[121:122], v[119:120]
	s_clause 0x4
	buffer_load_dword v122, off, s[0:3], 0 offset:524
	buffer_load_dword v141, off, s[0:3], 0 offset:536
	;; [unrolled: 1-line block ×5, first 2 shown]
	s_waitcnt vmcnt(57) lgkmcnt(0)
	v_mul_f64 v[197:198], v[5:6], v[143:144]
	v_mul_f64 v[143:144], v[7:8], v[143:144]
	s_waitcnt vmcnt(56)
	v_fma_f64 v[139:140], v[113:114], v[127:128], -v[139:140]
	ds_read_b128 v[1:4], v165 offset:1120
	v_fma_f64 v[127:128], v[115:116], v[127:128], v[133:134]
	v_add_f64 v[117:118], v[117:118], v[135:136]
	v_add_f64 v[119:120], v[119:120], v[131:132]
	s_clause 0x2
	buffer_load_dword v142, off, s[0:3], 0 offset:540
	buffer_load_dword v132, off, s[0:3], 0 offset:516
	;; [unrolled: 1-line block ×3, first 2 shown]
	ds_read_b128 v[113:116], v165 offset:1136
	s_waitcnt vmcnt(58) lgkmcnt(1)
	v_mul_f64 v[135:136], v[3:4], v[147:148]
	s_waitcnt vmcnt(56)
	v_fma_f64 v[143:144], v[5:6], v[149:150], -v[143:144]
	v_mul_f64 v[133:134], v[1:2], v[147:148]
	v_add_f64 v[117:118], v[117:118], v[139:140]
	v_fma_f64 v[139:140], v[7:8], v[149:150], v[197:198]
	v_add_f64 v[119:120], v[119:120], v[127:128]
	s_clause 0x4
	buffer_load_dword v128, off, s[0:3], 0 offset:556
	buffer_load_dword v147, off, s[0:3], 0 offset:568
	;; [unrolled: 1-line block ×5, first 2 shown]
	s_waitcnt vmcnt(57) lgkmcnt(0)
	v_mul_f64 v[197:198], v[113:114], v[151:152]
	v_mul_f64 v[150:151], v[115:116], v[151:152]
	s_waitcnt vmcnt(56)
	v_fma_f64 v[135:136], v[1:2], v[137:138], -v[135:136]
	ds_read_b128 v[5:8], v165 offset:1152
	v_fma_f64 v[133:134], v[3:4], v[137:138], v[133:134]
	s_clause 0x2
	buffer_load_dword v148, off, s[0:3], 0 offset:572
	buffer_load_dword v138, off, s[0:3], 0 offset:548
	;; [unrolled: 1-line block ×3, first 2 shown]
	ds_read_b128 v[1:4], v165 offset:1168
	v_add_f64 v[117:118], v[117:118], v[143:144]
	v_add_f64 v[119:120], v[119:120], v[139:140]
	s_waitcnt vmcnt(58) lgkmcnt(1)
	v_mul_f64 v[143:144], v[7:8], v[155:156]
	s_waitcnt vmcnt(56)
	v_fma_f64 v[151:152], v[113:114], v[157:158], -v[150:151]
	v_mul_f64 v[139:140], v[5:6], v[155:156]
	v_add_f64 v[117:118], v[117:118], v[135:136]
	v_fma_f64 v[135:136], v[115:116], v[157:158], v[197:198]
	v_add_f64 v[119:120], v[119:120], v[133:134]
	s_clause 0x4
	buffer_load_dword v134, off, s[0:3], 0 offset:588
	buffer_load_dword v155, off, s[0:3], 0 offset:600
	;; [unrolled: 1-line block ×5, first 2 shown]
	s_waitcnt vmcnt(57) lgkmcnt(0)
	v_mul_f64 v[197:198], v[1:2], v[159:160]
	v_mul_f64 v[158:159], v[3:4], v[159:160]
	s_waitcnt vmcnt(56)
	v_fma_f64 v[143:144], v[5:6], v[145:146], -v[143:144]
	ds_read_b128 v[113:116], v165 offset:1184
	v_fma_f64 v[139:140], v[7:8], v[145:146], v[139:140]
	v_add_f64 v[117:118], v[117:118], v[151:152]
	v_add_f64 v[119:120], v[119:120], v[135:136]
	s_clause 0x2
	buffer_load_dword v156, off, s[0:3], 0 offset:604
	buffer_load_dword v136, off, s[0:3], 0 offset:580
	;; [unrolled: 1-line block ×3, first 2 shown]
	ds_read_b128 v[5:8], v165 offset:1200
	s_waitcnt vmcnt(58) lgkmcnt(1)
	v_mul_f64 v[151:152], v[115:116], v[161:162]
	s_waitcnt vmcnt(56)
	v_fma_f64 v[159:160], v[1:2], v[163:164], -v[158:159]
	v_mul_f64 v[145:146], v[113:114], v[161:162]
	v_add_f64 v[117:118], v[117:118], v[143:144]
	v_fma_f64 v[143:144], v[3:4], v[163:164], v[197:198]
	v_add_f64 v[119:120], v[119:120], v[139:140]
	s_clause 0x4
	buffer_load_dword v140, off, s[0:3], 0 offset:620
	buffer_load_dword v161, off, s[0:3], 0 offset:632
	;; [unrolled: 1-line block ×5, first 2 shown]
	s_waitcnt vmcnt(57) lgkmcnt(0)
	v_mul_f64 v[197:198], v[5:6], v[182:183]
	v_mul_f64 v[182:183], v[7:8], v[182:183]
	s_waitcnt vmcnt(56)
	v_fma_f64 v[151:152], v[113:114], v[153:154], -v[151:152]
	ds_read_b128 v[1:4], v165 offset:1216
	v_fma_f64 v[145:146], v[115:116], v[153:154], v[145:146]
	v_add_f64 v[117:118], v[117:118], v[159:160]
	v_add_f64 v[119:120], v[119:120], v[143:144]
	s_clause 0x2
	buffer_load_dword v162, off, s[0:3], 0 offset:636
	buffer_load_dword v144, off, s[0:3], 0 offset:612
	buffer_load_dword v143, off, s[0:3], 0 offset:608
	ds_read_b128 v[113:116], v165 offset:1232
	s_waitcnt vmcnt(58) lgkmcnt(1)
	v_mul_f64 v[159:160], v[3:4], v[184:185]
	s_waitcnt vmcnt(56)
	v_fma_f64 v[182:183], v[5:6], v[189:190], -v[182:183]
	v_mul_f64 v[153:154], v[1:2], v[184:185]
	v_add_f64 v[117:118], v[117:118], v[151:152]
	v_fma_f64 v[151:152], v[7:8], v[189:190], v[197:198]
	v_add_f64 v[119:120], v[119:120], v[145:146]
	s_clause 0x4
	buffer_load_dword v146, off, s[0:3], 0 offset:652
	buffer_load_dword v184, off, s[0:3], 0 offset:664
	;; [unrolled: 1-line block ×5, first 2 shown]
	ds_read_b128 v[5:8], v165 offset:1248
	s_waitcnt vmcnt(57) lgkmcnt(1)
	v_mul_f64 v[189:190], v[113:114], v[176:177]
	v_mul_f64 v[176:177], v[115:116], v[176:177]
	s_waitcnt vmcnt(56)
	v_fma_f64 v[159:160], v[1:2], v[186:187], -v[159:160]
	v_fma_f64 v[153:154], v[3:4], v[186:187], v[153:154]
	v_add_f64 v[117:118], v[117:118], v[182:183]
	v_add_f64 v[119:120], v[119:120], v[151:152]
	s_clause 0x2
	buffer_load_dword v185, off, s[0:3], 0 offset:668
	buffer_load_dword v152, off, s[0:3], 0 offset:644
	;; [unrolled: 1-line block ×3, first 2 shown]
	ds_read_b128 v[1:4], v165 offset:1264
	s_waitcnt vmcnt(58) lgkmcnt(1)
	v_mul_f64 v[186:187], v[7:8], v[193:194]
	v_mul_f64 v[182:183], v[5:6], v[193:194]
	s_waitcnt vmcnt(56)
	v_fma_f64 v[176:177], v[113:114], v[170:171], -v[176:177]
	v_add_f64 v[117:118], v[117:118], v[159:160]
	v_fma_f64 v[159:160], v[115:116], v[170:171], v[189:190]
	v_add_f64 v[119:120], v[119:120], v[153:154]
	s_clause 0x4
	buffer_load_dword v154, off, s[0:3], 0 offset:684
	buffer_load_dword v170, off, s[0:3], 0 offset:696
	buffer_load_dword v193, off, s[0:3], 0 offset:688
	buffer_load_dword v153, off, s[0:3], 0 offset:680
	buffer_load_dword v189, off, s[0:3], 0 offset:660
	ds_read_b128 v[113:116], v165 offset:1280
	s_waitcnt vmcnt(57) lgkmcnt(1)
	v_mul_f64 v[197:198], v[1:2], v[129:130]
	v_mul_f64 v[129:130], v[3:4], v[129:130]
	s_waitcnt vmcnt(56)
	v_fma_f64 v[186:187], v[5:6], v[195:196], -v[186:187]
	v_add_f64 v[117:118], v[117:118], v[176:177]
	v_fma_f64 v[176:177], v[7:8], v[195:196], v[182:183]
	v_add_f64 v[119:120], v[119:120], v[159:160]
	s_clause 0x2
	buffer_load_dword v171, off, s[0:3], 0 offset:700
	buffer_load_dword v160, off, s[0:3], 0 offset:676
	buffer_load_dword v159, off, s[0:3], 0 offset:672
	ds_read_b128 v[5:8], v165 offset:1296
	s_waitcnt vmcnt(58) lgkmcnt(1)
	v_mul_f64 v[182:183], v[113:114], v[178:179]
	v_mul_f64 v[178:179], v[115:116], v[178:179]
	s_waitcnt vmcnt(56)
	v_fma_f64 v[129:130], v[1:2], v[123:124], -v[129:130]
	v_fma_f64 v[123:124], v[3:4], v[123:124], v[197:198]
	v_add_f64 v[117:118], v[117:118], v[186:187]
	v_add_f64 v[119:120], v[119:120], v[176:177]
	s_clause 0x4
	buffer_load_dword v177, off, s[0:3], 0 offset:716
	buffer_load_dword v186, off, s[0:3], 0 offset:728
	buffer_load_dword v190, off, s[0:3], 0 offset:720
	buffer_load_dword v176, off, s[0:3], 0 offset:712
	buffer_load_dword v194, off, s[0:3], 0 offset:692
	ds_read_b128 v[1:4], v165 offset:1312
	s_waitcnt vmcnt(57) lgkmcnt(1)
	v_mul_f64 v[195:196], v[5:6], v[166:167]
	v_mul_f64 v[166:167], v[7:8], v[166:167]
	s_waitcnt vmcnt(56)
	v_fma_f64 v[178:179], v[113:114], v[191:192], -v[178:179]
	v_add_f64 v[117:118], v[117:118], v[129:130]
	v_fma_f64 v[129:130], v[115:116], v[191:192], v[182:183]
	v_add_f64 v[119:120], v[119:120], v[123:124]
	s_clause 0x2
	buffer_load_dword v187, off, s[0:3], 0 offset:732
	buffer_load_dword v124, off, s[0:3], 0 offset:708
	buffer_load_dword v123, off, s[0:3], 0 offset:704
	ds_read_b128 v[113:116], v165 offset:1328
	s_waitcnt vmcnt(58) lgkmcnt(1)
	v_mul_f64 v[182:183], v[1:2], v[168:169]
	v_mul_f64 v[168:169], v[3:4], v[168:169]
	s_waitcnt vmcnt(56)
	v_fma_f64 v[166:167], v[5:6], v[125:126], -v[166:167]
	v_fma_f64 v[125:126], v[7:8], v[125:126], v[195:196]
	v_add_f64 v[117:118], v[117:118], v[178:179]
	;; [unrolled: 28-line block ×3, first 2 shown]
	v_add_f64 v[119:120], v[119:120], v[166:167]
	s_clause 0x4
	buffer_load_dword v167, off, s[0:3], 0 offset:780
	buffer_load_dword v168, off, s[0:3], 0 offset:792
	;; [unrolled: 1-line block ×5, first 2 shown]
	ds_read_b128 v[113:116], v165 offset:1376
	s_waitcnt vmcnt(57) lgkmcnt(1)
	v_mul_f64 v[197:198], v[1:2], v[127:128]
	v_mul_f64 v[127:128], v[3:4], v[127:128]
	s_waitcnt vmcnt(56)
	v_fma_f64 v[141:142], v[5:6], v[174:175], -v[141:142]
	v_add_f64 v[117:118], v[117:118], v[121:122]
	v_fma_f64 v[121:122], v[7:8], v[174:175], v[180:181]
	v_add_f64 v[119:120], v[119:120], v[131:132]
	s_clause 0x2
	buffer_load_dword v169, off, s[0:3], 0 offset:796
	buffer_load_dword v132, off, s[0:3], 0 offset:772
	;; [unrolled: 1-line block ×3, first 2 shown]
	s_waitcnt vmcnt(58) lgkmcnt(0)
	v_mul_f64 v[174:175], v[113:114], v[147:148]
	v_mul_f64 v[147:148], v[115:116], v[147:148]
	ds_read_b128 v[5:8], v165 offset:1392
	s_waitcnt vmcnt(56)
	v_fma_f64 v[127:128], v[1:2], v[137:138], -v[127:128]
	v_fma_f64 v[137:138], v[3:4], v[137:138], v[197:198]
	v_add_f64 v[117:118], v[117:118], v[141:142]
	v_add_f64 v[119:120], v[119:120], v[121:122]
	s_clause 0x4
	buffer_load_dword v122, off, s[0:3], 0 offset:812
	buffer_load_dword v141, off, s[0:3], 0 offset:824
	;; [unrolled: 1-line block ×5, first 2 shown]
	ds_read_b128 v[1:4], v165 offset:1408
	s_waitcnt vmcnt(57) lgkmcnt(1)
	v_mul_f64 v[197:198], v[5:6], v[133:134]
	v_mul_f64 v[133:134], v[7:8], v[133:134]
	s_waitcnt vmcnt(56)
	v_fma_f64 v[147:148], v[113:114], v[149:150], -v[147:148]
	v_add_f64 v[117:118], v[117:118], v[127:128]
	v_fma_f64 v[127:128], v[115:116], v[149:150], v[174:175]
	v_add_f64 v[119:120], v[119:120], v[137:138]
	s_clause 0x2
	buffer_load_dword v142, off, s[0:3], 0 offset:828
	buffer_load_dword v138, off, s[0:3], 0 offset:804
	;; [unrolled: 1-line block ×3, first 2 shown]
	ds_read_b128 v[113:116], v165 offset:1424
	s_waitcnt vmcnt(58) lgkmcnt(1)
	v_mul_f64 v[149:150], v[1:2], v[155:156]
	v_mul_f64 v[155:156], v[3:4], v[155:156]
	s_waitcnt vmcnt(56)
	v_fma_f64 v[133:134], v[5:6], v[135:136], -v[133:134]
	v_fma_f64 v[135:136], v[7:8], v[135:136], v[197:198]
	v_add_f64 v[117:118], v[117:118], v[147:148]
	v_add_f64 v[119:120], v[119:120], v[127:128]
	s_clause 0x2
	buffer_load_dword v128, off, s[0:3], 0 offset:844
	buffer_load_dword v127, off, s[0:3], 0 offset:840
	buffer_load_dword v181, off, s[0:3], 0 offset:820
	ds_read_b128 v[5:8], v165 offset:1440
	s_waitcnt vmcnt(55) lgkmcnt(1)
	v_mul_f64 v[147:148], v[113:114], v[139:140]
	v_mul_f64 v[139:140], v[115:116], v[139:140]
	s_waitcnt vmcnt(54)
	v_fma_f64 v[155:156], v[1:2], v[157:158], -v[155:156]
	v_add_f64 v[117:118], v[117:118], v[133:134]
	v_fma_f64 v[133:134], v[3:4], v[157:158], v[149:150]
	v_add_f64 v[119:120], v[119:120], v[135:136]
	s_clause 0x1
	buffer_load_dword v136, off, s[0:3], 0 offset:836
	buffer_load_dword v135, off, s[0:3], 0 offset:832
	ds_read_b128 v[1:4], v165 offset:1456
	s_waitcnt vmcnt(55) lgkmcnt(1)
	v_mul_f64 v[157:158], v[7:8], v[161:162]
	v_mul_f64 v[149:150], v[5:6], v[161:162]
	s_waitcnt vmcnt(53)
	v_fma_f64 v[139:140], v[113:114], v[143:144], -v[139:140]
	v_fma_f64 v[143:144], v[115:116], v[143:144], v[147:148]
	ds_read_b128 v[113:116], v165 offset:1472
	v_add_f64 v[117:118], v[117:118], v[155:156]
	v_add_f64 v[119:120], v[119:120], v[133:134]
	s_waitcnt vmcnt(49) lgkmcnt(1)
	v_mul_f64 v[133:134], v[1:2], v[145:146]
	v_mul_f64 v[145:146], v[3:4], v[145:146]
	s_waitcnt vmcnt(48)
	v_fma_f64 v[147:148], v[5:6], v[163:164], -v[157:158]
	v_add_f64 v[117:118], v[117:118], v[139:140]
	v_fma_f64 v[139:140], v[7:8], v[163:164], v[149:150]
	v_add_f64 v[119:120], v[119:120], v[143:144]
	s_clause 0x3
	buffer_load_dword v143, off, s[0:3], 0 offset:128
	buffer_load_dword v144, off, s[0:3], 0 offset:132
	;; [unrolled: 1-line block ×4, first 2 shown]
	ds_read_b128 v[5:8], v165 offset:1488
	s_waitcnt vmcnt(51) lgkmcnt(1)
	v_mul_f64 v[157:158], v[115:116], v[184:185]
	v_mul_f64 v[155:156], v[113:114], v[184:185]
	s_waitcnt vmcnt(49)
	v_fma_f64 v[145:146], v[1:2], v[151:152], -v[145:146]
	v_fma_f64 v[133:134], v[3:4], v[151:152], v[133:134]
	ds_read_b128 v[1:4], v165 offset:1504
	v_add_f64 v[117:118], v[117:118], v[147:148]
	v_add_f64 v[119:120], v[119:120], v[139:140]
	s_waitcnt vmcnt(45) lgkmcnt(1)
	v_mul_f64 v[147:148], v[7:8], v[153:154]
	s_waitcnt vmcnt(44)
	v_fma_f64 v[151:152], v[113:114], v[188:189], -v[157:158]
	v_mul_f64 v[139:140], v[5:6], v[153:154]
	v_add_f64 v[117:118], v[117:118], v[145:146]
	v_fma_f64 v[145:146], v[115:116], v[188:189], v[155:156]
	v_add_f64 v[119:120], v[119:120], v[133:134]
	ds_read_b128 v[113:116], v165 offset:1520
	s_waitcnt vmcnt(43) lgkmcnt(1)
	v_mul_f64 v[153:154], v[3:4], v[170:171]
	v_mul_f64 v[133:134], v[1:2], v[170:171]
	s_waitcnt vmcnt(41)
	v_fma_f64 v[147:148], v[5:6], v[159:160], -v[147:148]
	v_fma_f64 v[139:140], v[7:8], v[159:160], v[139:140]
	ds_read_b128 v[5:8], v165 offset:1536
	v_add_f64 v[117:118], v[117:118], v[151:152]
	v_add_f64 v[119:120], v[119:120], v[145:146]
	s_waitcnt vmcnt(37) lgkmcnt(1)
	v_mul_f64 v[151:152], v[115:116], v[176:177]
	s_waitcnt vmcnt(36)
	v_fma_f64 v[153:154], v[1:2], v[193:194], -v[153:154]
	v_mul_f64 v[145:146], v[113:114], v[176:177]
	v_fma_f64 v[133:134], v[3:4], v[193:194], v[133:134]
	ds_read_b128 v[1:4], v165 offset:1552
	v_add_f64 v[117:118], v[117:118], v[147:148]
	v_add_f64 v[119:120], v[119:120], v[139:140]
	s_waitcnt vmcnt(35) lgkmcnt(1)
	v_mul_f64 v[147:148], v[7:8], v[186:187]
	v_mul_f64 v[139:140], v[5:6], v[186:187]
	s_waitcnt vmcnt(33)
	v_fma_f64 v[151:152], v[113:114], v[123:124], -v[151:152]
	v_fma_f64 v[123:124], v[115:116], v[123:124], v[145:146]
	ds_read_b128 v[113:116], v165 offset:1568
	v_add_f64 v[117:118], v[117:118], v[153:154]
	v_add_f64 v[119:120], v[119:120], v[133:134]
	s_waitcnt vmcnt(29) lgkmcnt(1)
	v_mul_f64 v[133:134], v[1:2], v[129:130]
	v_mul_f64 v[129:130], v[3:4], v[129:130]
	s_waitcnt vmcnt(28)
	v_fma_f64 v[145:146], v[5:6], v[190:191], -v[147:148]
	;; [unrolled: 9-line block ×3, first 2 shown]
	v_fma_f64 v[125:126], v[3:4], v[125:126], v[133:134]
	ds_read_b128 v[1:4], v165 offset:1600
	v_add_f64 v[117:118], v[117:118], v[145:146]
	v_add_f64 v[119:120], v[119:120], v[139:140]
	s_waitcnt vmcnt(21) lgkmcnt(1)
	v_mul_f64 v[139:140], v[7:8], v[166:167]
	s_waitcnt vmcnt(20)
	v_fma_f64 v[145:146], v[113:114], v[195:196], -v[147:148]
	v_mul_f64 v[133:134], v[5:6], v[166:167]
	v_fma_f64 v[123:124], v[115:116], v[195:196], v[123:124]
	ds_read_b128 v[113:116], v165 offset:1616
	v_add_f64 v[117:118], v[117:118], v[129:130]
	v_add_f64 v[119:120], v[119:120], v[125:126]
	s_waitcnt vmcnt(19) lgkmcnt(1)
	v_mul_f64 v[129:130], v[3:4], v[168:169]
	v_mul_f64 v[125:126], v[1:2], v[168:169]
	s_waitcnt vmcnt(17)
	v_fma_f64 v[139:140], v[5:6], v[131:132], -v[139:140]
	v_fma_f64 v[131:132], v[7:8], v[131:132], v[133:134]
	ds_read_b128 v[5:8], v165 offset:1632
	v_add_f64 v[117:118], v[117:118], v[145:146]
	v_add_f64 v[119:120], v[119:120], v[123:124]
	s_waitcnt vmcnt(13) lgkmcnt(1)
	v_mul_f64 v[123:124], v[113:114], v[121:122]
	v_mul_f64 v[121:122], v[115:116], v[121:122]
	s_waitcnt vmcnt(12)
	v_fma_f64 v[129:130], v[1:2], v[182:183], -v[129:130]
	;; [unrolled: 9-line block ×3, first 2 shown]
	v_fma_f64 v[115:116], v[115:116], v[137:138], v[123:124]
	v_add_f64 v[117:118], v[117:118], v[129:130]
	v_add_f64 v[119:120], v[119:120], v[125:126]
	s_waitcnt vmcnt(7) lgkmcnt(0)
	v_mul_f64 v[123:124], v[3:4], v[127:128]
	s_waitcnt vmcnt(6)
	v_fma_f64 v[5:6], v[5:6], v[180:181], -v[133:134]
	v_mul_f64 v[121:122], v[1:2], v[127:128]
	v_fma_f64 v[7:8], v[7:8], v[180:181], v[131:132]
	v_add_f64 v[113:114], v[117:118], v[113:114]
	v_add_f64 v[115:116], v[119:120], v[115:116]
	s_waitcnt vmcnt(4)
	v_fma_f64 v[1:2], v[1:2], v[135:136], -v[123:124]
	v_fma_f64 v[3:4], v[3:4], v[135:136], v[121:122]
	v_add_f64 v[5:6], v[113:114], v[5:6]
	v_add_f64 v[7:8], v[115:116], v[7:8]
	;; [unrolled: 1-line block ×4, first 2 shown]
	s_waitcnt vmcnt(2)
	v_add_f64 v[1:2], v[143:144], -v[1:2]
	s_waitcnt vmcnt(0)
	v_add_f64 v[3:4], v[149:150], -v[3:4]
	buffer_store_dword v2, off, s[0:3], 0 offset:132
	buffer_store_dword v1, off, s[0:3], 0 offset:128
	;; [unrolled: 1-line block ×4, first 2 shown]
	v_cmpx_lt_u32_e32 6, v0
	s_cbranch_execz .LBB115_313
; %bb.312:
	v_mov_b32_e32 v4, s58
	v_mov_b32_e32 v5, 0
	s_clause 0x3
	buffer_load_dword v1, v4, s[0:3], 0 offen
	buffer_load_dword v2, v4, s[0:3], 0 offen offset:4
	buffer_load_dword v3, v4, s[0:3], 0 offen offset:8
	;; [unrolled: 1-line block ×3, first 2 shown]
	buffer_store_dword v5, off, s[0:3], 0 offset:112
	buffer_store_dword v5, off, s[0:3], 0 offset:116
	;; [unrolled: 1-line block ×4, first 2 shown]
	s_waitcnt vmcnt(0)
	ds_write_b128 v173, v[1:4]
.LBB115_313:
	s_or_b32 exec_lo, exec_lo, s4
	s_waitcnt lgkmcnt(0)
	s_waitcnt_vscnt null, 0x0
	s_barrier
	buffer_gl0_inv
	s_clause 0x37
	buffer_load_dword v117, off, s[0:3], 0 offset:136
	buffer_load_dword v118, off, s[0:3], 0 offset:140
	;; [unrolled: 1-line block ×56, first 2 shown]
	v_mov_b32_e32 v174, 0
	s_mov_b32 s4, exec_lo
	ds_read_b128 v[169:172], v174 offset:944
	s_clause 0x2
	buffer_load_dword v166, off, s[0:3], 0 offset:364
	buffer_load_dword v168, off, s[0:3], 0 offset:340
	buffer_load_dword v167, off, s[0:3], 0 offset:336
	ds_read_b128 v[1:4], v174 offset:960
	s_clause 0x4
	buffer_load_dword v182, off, s[0:3], 0 offset:380
	buffer_load_dword v183, off, s[0:3], 0 offset:392
	;; [unrolled: 1-line block ×5, first 2 shown]
	ds_read_b128 v[175:178], v174 offset:976
	s_waitcnt vmcnt(62) lgkmcnt(2)
	v_mul_f64 v[179:180], v[171:172], v[117:118]
	v_mul_f64 v[117:118], v[169:170], v[117:118]
	s_waitcnt vmcnt(60) lgkmcnt(1)
	v_mul_f64 v[186:187], v[3:4], v[113:114]
	s_waitcnt vmcnt(56) lgkmcnt(0)
	v_mul_f64 v[188:189], v[175:176], v[7:8]
	v_mul_f64 v[7:8], v[177:178], v[7:8]
	v_fma_f64 v[169:170], v[169:170], v[115:116], -v[179:180]
	v_mul_f64 v[179:180], v[1:2], v[113:114]
	v_fma_f64 v[117:118], v[171:172], v[115:116], v[117:118]
	s_clause 0x2
	buffer_load_dword v184, off, s[0:3], 0 offset:396
	buffer_load_dword v172, off, s[0:3], 0 offset:372
	;; [unrolled: 1-line block ×3, first 2 shown]
	s_waitcnt vmcnt(57)
	v_fma_f64 v[190:191], v[1:2], v[5:6], -v[186:187]
	ds_read_b128 v[113:116], v174 offset:992
	s_waitcnt vmcnt(51)
	v_fma_f64 v[175:176], v[175:176], v[133:134], -v[7:8]
	v_fma_f64 v[133:134], v[177:178], v[133:134], v[188:189]
	v_add_f64 v[169:170], v[169:170], 0
	v_fma_f64 v[5:6], v[3:4], v[5:6], v[179:180]
	v_add_f64 v[117:118], v[117:118], 0
	s_clause 0x4
	buffer_load_dword v180, off, s[0:3], 0 offset:412
	buffer_load_dword v187, off, s[0:3], 0 offset:424
	;; [unrolled: 1-line block ×5, first 2 shown]
	s_waitcnt lgkmcnt(0)
	v_mul_f64 v[193:194], v[113:114], v[121:122]
	v_mul_f64 v[121:122], v[115:116], v[121:122]
	ds_read_b128 v[1:4], v174 offset:1008
	s_clause 0x2
	buffer_load_dword v188, off, s[0:3], 0 offset:428
	buffer_load_dword v178, off, s[0:3], 0 offset:404
	;; [unrolled: 1-line block ×3, first 2 shown]
	v_add_f64 v[169:170], v[169:170], v[190:191]
	v_add_f64 v[117:118], v[117:118], v[5:6]
	ds_read_b128 v[5:8], v174 offset:1024
	s_waitcnt vmcnt(58) lgkmcnt(1)
	v_mul_f64 v[189:190], v[1:2], v[125:126]
	v_mul_f64 v[125:126], v[3:4], v[125:126]
	s_waitcnt vmcnt(56)
	v_fma_f64 v[121:122], v[113:114], v[127:128], -v[121:122]
	v_fma_f64 v[127:128], v[115:116], v[127:128], v[193:194]
	v_add_f64 v[169:170], v[169:170], v[175:176]
	s_waitcnt vmcnt(52) lgkmcnt(0)
	v_mul_f64 v[195:196], v[5:6], v[129:130]
	v_add_f64 v[117:118], v[117:118], v[133:134]
	s_clause 0x4
	buffer_load_dword v134, off, s[0:3], 0 offset:444
	buffer_load_dword v175, off, s[0:3], 0 offset:456
	;; [unrolled: 1-line block ×5, first 2 shown]
	v_mul_f64 v[129:130], v[7:8], v[129:130]
	s_waitcnt vmcnt(56)
	v_fma_f64 v[125:126], v[1:2], v[119:120], -v[125:126]
	ds_read_b128 v[113:116], v174 offset:1040
	v_fma_f64 v[119:120], v[3:4], v[119:120], v[189:190]
	v_add_f64 v[121:122], v[169:170], v[121:122]
	v_add_f64 v[117:118], v[117:118], v[127:128]
	s_clause 0x2
	buffer_load_dword v176, off, s[0:3], 0 offset:460
	buffer_load_dword v128, off, s[0:3], 0 offset:436
	;; [unrolled: 1-line block ×3, first 2 shown]
	s_waitcnt vmcnt(58) lgkmcnt(0)
	v_mul_f64 v[169:170], v[113:114], v[135:136]
	v_mul_f64 v[135:136], v[115:116], v[135:136]
	s_waitcnt vmcnt(56)
	v_fma_f64 v[129:130], v[5:6], v[137:138], -v[129:130]
	ds_read_b128 v[1:4], v174 offset:1056
	v_add_f64 v[121:122], v[121:122], v[125:126]
	v_fma_f64 v[125:126], v[7:8], v[137:138], v[195:196]
	v_add_f64 v[117:118], v[117:118], v[119:120]
	s_clause 0x4
	buffer_load_dword v120, off, s[0:3], 0 offset:476
	buffer_load_dword v137, off, s[0:3], 0 offset:488
	;; [unrolled: 1-line block ×5, first 2 shown]
	ds_read_b128 v[5:8], v174 offset:1072
	s_waitcnt vmcnt(57) lgkmcnt(1)
	v_mul_f64 v[190:191], v[1:2], v[139:140]
	v_mul_f64 v[139:140], v[3:4], v[139:140]
	s_waitcnt vmcnt(56)
	v_fma_f64 v[135:136], v[113:114], v[123:124], -v[135:136]
	v_fma_f64 v[123:124], v[115:116], v[123:124], v[169:170]
	v_add_f64 v[121:122], v[121:122], v[129:130]
	v_add_f64 v[117:118], v[117:118], v[125:126]
	s_clause 0x2
	buffer_load_dword v138, off, s[0:3], 0 offset:492
	buffer_load_dword v126, off, s[0:3], 0 offset:468
	;; [unrolled: 1-line block ×3, first 2 shown]
	s_waitcnt vmcnt(58) lgkmcnt(0)
	v_mul_f64 v[129:130], v[5:6], v[143:144]
	v_mul_f64 v[143:144], v[7:8], v[143:144]
	s_waitcnt vmcnt(56)
	v_fma_f64 v[139:140], v[1:2], v[145:146], -v[139:140]
	ds_read_b128 v[113:116], v174 offset:1088
	v_add_f64 v[121:122], v[121:122], v[135:136]
	v_fma_f64 v[135:136], v[3:4], v[145:146], v[190:191]
	v_add_f64 v[117:118], v[117:118], v[123:124]
	s_clause 0x4
	buffer_load_dword v124, off, s[0:3], 0 offset:508
	buffer_load_dword v145, off, s[0:3], 0 offset:520
	;; [unrolled: 1-line block ×5, first 2 shown]
	ds_read_b128 v[1:4], v174 offset:1104
	s_waitcnt vmcnt(57) lgkmcnt(1)
	v_mul_f64 v[196:197], v[113:114], v[147:148]
	v_mul_f64 v[147:148], v[115:116], v[147:148]
	s_waitcnt vmcnt(56)
	v_fma_f64 v[143:144], v[5:6], v[131:132], -v[143:144]
	v_fma_f64 v[129:130], v[7:8], v[131:132], v[129:130]
	s_clause 0x2
	buffer_load_dword v146, off, s[0:3], 0 offset:524
	buffer_load_dword v132, off, s[0:3], 0 offset:500
	;; [unrolled: 1-line block ×3, first 2 shown]
	ds_read_b128 v[5:8], v174 offset:1120
	v_add_f64 v[121:122], v[121:122], v[139:140]
	v_add_f64 v[117:118], v[117:118], v[135:136]
	s_waitcnt vmcnt(58) lgkmcnt(1)
	v_mul_f64 v[139:140], v[3:4], v[151:152]
	v_mul_f64 v[135:136], v[1:2], v[151:152]
	s_waitcnt vmcnt(56)
	v_fma_f64 v[147:148], v[113:114], v[153:154], -v[147:148]
	v_add_f64 v[121:122], v[121:122], v[143:144]
	v_fma_f64 v[143:144], v[115:116], v[153:154], v[196:197]
	v_add_f64 v[117:118], v[117:118], v[129:130]
	s_clause 0x4
	buffer_load_dword v130, off, s[0:3], 0 offset:540
	buffer_load_dword v151, off, s[0:3], 0 offset:552
	;; [unrolled: 1-line block ×5, first 2 shown]
	s_waitcnt vmcnt(57) lgkmcnt(0)
	v_mul_f64 v[196:197], v[5:6], v[155:156]
	v_mul_f64 v[154:155], v[7:8], v[155:156]
	s_waitcnt vmcnt(56)
	v_fma_f64 v[139:140], v[1:2], v[141:142], -v[139:140]
	ds_read_b128 v[113:116], v174 offset:1136
	v_fma_f64 v[135:136], v[3:4], v[141:142], v[135:136]
	s_clause 0x2
	buffer_load_dword v152, off, s[0:3], 0 offset:556
	buffer_load_dword v142, off, s[0:3], 0 offset:532
	;; [unrolled: 1-line block ×3, first 2 shown]
	ds_read_b128 v[1:4], v174 offset:1152
	v_add_f64 v[121:122], v[121:122], v[147:148]
	v_add_f64 v[117:118], v[117:118], v[143:144]
	s_waitcnt vmcnt(58) lgkmcnt(1)
	v_mul_f64 v[147:148], v[115:116], v[159:160]
	s_waitcnt vmcnt(56)
	v_fma_f64 v[155:156], v[5:6], v[161:162], -v[154:155]
	v_mul_f64 v[143:144], v[113:114], v[159:160]
	v_add_f64 v[121:122], v[121:122], v[139:140]
	v_fma_f64 v[139:140], v[7:8], v[161:162], v[196:197]
	v_add_f64 v[117:118], v[117:118], v[135:136]
	s_clause 0x4
	buffer_load_dword v136, off, s[0:3], 0 offset:572
	buffer_load_dword v159, off, s[0:3], 0 offset:584
	;; [unrolled: 1-line block ×5, first 2 shown]
	s_waitcnt vmcnt(57) lgkmcnt(0)
	v_mul_f64 v[196:197], v[1:2], v[163:164]
	v_mul_f64 v[162:163], v[3:4], v[163:164]
	s_waitcnt vmcnt(56)
	v_fma_f64 v[147:148], v[113:114], v[149:150], -v[147:148]
	ds_read_b128 v[5:8], v174 offset:1168
	v_fma_f64 v[143:144], v[115:116], v[149:150], v[143:144]
	v_add_f64 v[121:122], v[121:122], v[155:156]
	v_add_f64 v[117:118], v[117:118], v[139:140]
	s_clause 0x2
	buffer_load_dword v160, off, s[0:3], 0 offset:588
	buffer_load_dword v140, off, s[0:3], 0 offset:564
	buffer_load_dword v139, off, s[0:3], 0 offset:560
	ds_read_b128 v[113:116], v174 offset:1184
	s_waitcnt vmcnt(58) lgkmcnt(1)
	v_mul_f64 v[155:156], v[7:8], v[165:166]
	s_waitcnt vmcnt(56)
	v_fma_f64 v[163:164], v[1:2], v[167:168], -v[162:163]
	v_mul_f64 v[149:150], v[5:6], v[165:166]
	v_add_f64 v[121:122], v[121:122], v[147:148]
	v_fma_f64 v[147:148], v[3:4], v[167:168], v[196:197]
	v_add_f64 v[117:118], v[117:118], v[143:144]
	s_clause 0x4
	buffer_load_dword v144, off, s[0:3], 0 offset:604
	buffer_load_dword v165, off, s[0:3], 0 offset:616
	;; [unrolled: 1-line block ×5, first 2 shown]
	s_waitcnt vmcnt(57) lgkmcnt(0)
	v_mul_f64 v[196:197], v[113:114], v[181:182]
	v_mul_f64 v[181:182], v[115:116], v[181:182]
	s_waitcnt vmcnt(56)
	v_fma_f64 v[155:156], v[5:6], v[157:158], -v[155:156]
	ds_read_b128 v[1:4], v174 offset:1200
	v_fma_f64 v[149:150], v[7:8], v[157:158], v[149:150]
	v_add_f64 v[121:122], v[121:122], v[163:164]
	v_add_f64 v[117:118], v[117:118], v[147:148]
	s_clause 0x2
	buffer_load_dword v166, off, s[0:3], 0 offset:620
	buffer_load_dword v148, off, s[0:3], 0 offset:596
	buffer_load_dword v147, off, s[0:3], 0 offset:592
	ds_read_b128 v[5:8], v174 offset:1216
	s_waitcnt vmcnt(58) lgkmcnt(1)
	v_mul_f64 v[163:164], v[3:4], v[183:184]
	v_mul_f64 v[157:158], v[1:2], v[183:184]
	s_waitcnt vmcnt(56)
	v_fma_f64 v[181:182], v[113:114], v[171:172], -v[181:182]
	v_add_f64 v[121:122], v[121:122], v[155:156]
	v_fma_f64 v[155:156], v[115:116], v[171:172], v[196:197]
	v_add_f64 v[117:118], v[117:118], v[149:150]
	s_clause 0x4
	buffer_load_dword v150, off, s[0:3], 0 offset:636
	buffer_load_dword v171, off, s[0:3], 0 offset:648
	;; [unrolled: 1-line block ×5, first 2 shown]
	ds_read_b128 v[113:116], v174 offset:1232
	s_waitcnt vmcnt(57) lgkmcnt(1)
	v_mul_f64 v[196:197], v[5:6], v[179:180]
	v_mul_f64 v[179:180], v[7:8], v[179:180]
	s_waitcnt vmcnt(56)
	v_fma_f64 v[163:164], v[1:2], v[185:186], -v[163:164]
	v_fma_f64 v[157:158], v[3:4], v[185:186], v[157:158]
	v_add_f64 v[121:122], v[121:122], v[181:182]
	v_add_f64 v[117:118], v[117:118], v[155:156]
	s_clause 0x2
	buffer_load_dword v172, off, s[0:3], 0 offset:652
	buffer_load_dword v156, off, s[0:3], 0 offset:628
	;; [unrolled: 1-line block ×3, first 2 shown]
	s_waitcnt vmcnt(58) lgkmcnt(0)
	v_mul_f64 v[185:186], v[115:116], v[187:188]
	ds_read_b128 v[1:4], v174 offset:1248
	v_mul_f64 v[181:182], v[113:114], v[187:188]
	s_waitcnt vmcnt(56)
	v_fma_f64 v[179:180], v[5:6], v[177:178], -v[179:180]
	v_add_f64 v[121:122], v[121:122], v[163:164]
	v_fma_f64 v[163:164], v[7:8], v[177:178], v[196:197]
	v_add_f64 v[117:118], v[117:118], v[157:158]
	s_clause 0x4
	buffer_load_dword v158, off, s[0:3], 0 offset:668
	buffer_load_dword v177, off, s[0:3], 0 offset:680
	;; [unrolled: 1-line block ×5, first 2 shown]
	ds_read_b128 v[5:8], v174 offset:1264
	s_waitcnt vmcnt(57) lgkmcnt(1)
	v_mul_f64 v[196:197], v[1:2], v[133:134]
	v_mul_f64 v[133:134], v[3:4], v[133:134]
	s_waitcnt vmcnt(56)
	v_fma_f64 v[185:186], v[113:114], v[192:193], -v[185:186]
	v_add_f64 v[121:122], v[121:122], v[179:180]
	v_fma_f64 v[179:180], v[115:116], v[192:193], v[181:182]
	v_add_f64 v[117:118], v[117:118], v[163:164]
	s_clause 0x2
	buffer_load_dword v178, off, s[0:3], 0 offset:684
	buffer_load_dword v164, off, s[0:3], 0 offset:660
	;; [unrolled: 1-line block ×3, first 2 shown]
	ds_read_b128 v[113:116], v174 offset:1280
	s_waitcnt vmcnt(58) lgkmcnt(1)
	v_mul_f64 v[181:182], v[5:6], v[175:176]
	v_mul_f64 v[175:176], v[7:8], v[175:176]
	s_waitcnt vmcnt(56)
	v_fma_f64 v[133:134], v[1:2], v[127:128], -v[133:134]
	v_fma_f64 v[127:128], v[3:4], v[127:128], v[196:197]
	v_add_f64 v[121:122], v[121:122], v[185:186]
	v_add_f64 v[117:118], v[117:118], v[179:180]
	s_clause 0x4
	buffer_load_dword v180, off, s[0:3], 0 offset:700
	buffer_load_dword v185, off, s[0:3], 0 offset:712
	;; [unrolled: 1-line block ×5, first 2 shown]
	ds_read_b128 v[1:4], v174 offset:1296
	s_waitcnt vmcnt(57) lgkmcnt(1)
	v_mul_f64 v[192:193], v[113:114], v[119:120]
	v_mul_f64 v[119:120], v[115:116], v[119:120]
	s_waitcnt vmcnt(56)
	v_fma_f64 v[175:176], v[5:6], v[194:195], -v[175:176]
	v_add_f64 v[121:122], v[121:122], v[133:134]
	v_fma_f64 v[133:134], v[7:8], v[194:195], v[181:182]
	v_add_f64 v[117:118], v[117:118], v[127:128]
	s_clause 0x2
	buffer_load_dword v186, off, s[0:3], 0 offset:716
	buffer_load_dword v128, off, s[0:3], 0 offset:692
	;; [unrolled: 1-line block ×3, first 2 shown]
	ds_read_b128 v[5:8], v174 offset:1312
	s_waitcnt vmcnt(58) lgkmcnt(1)
	v_mul_f64 v[181:182], v[1:2], v[137:138]
	v_mul_f64 v[137:138], v[3:4], v[137:138]
	s_waitcnt vmcnt(56)
	v_fma_f64 v[119:120], v[113:114], v[125:126], -v[119:120]
	v_fma_f64 v[125:126], v[115:116], v[125:126], v[192:193]
	v_add_f64 v[121:122], v[121:122], v[175:176]
	v_add_f64 v[117:118], v[117:118], v[133:134]
	s_clause 0x4
	buffer_load_dword v134, off, s[0:3], 0 offset:732
	buffer_load_dword v175, off, s[0:3], 0 offset:744
	;; [unrolled: 1-line block ×5, first 2 shown]
	ds_read_b128 v[113:116], v174 offset:1328
	s_waitcnt vmcnt(57) lgkmcnt(1)
	v_mul_f64 v[194:195], v[5:6], v[123:124]
	v_mul_f64 v[123:124], v[7:8], v[123:124]
	s_waitcnt vmcnt(56)
	v_fma_f64 v[137:138], v[1:2], v[189:190], -v[137:138]
	v_add_f64 v[119:120], v[121:122], v[119:120]
	v_fma_f64 v[121:122], v[3:4], v[189:190], v[181:182]
	v_add_f64 v[117:118], v[117:118], v[125:126]
	s_clause 0x2
	buffer_load_dword v176, off, s[0:3], 0 offset:748
	buffer_load_dword v126, off, s[0:3], 0 offset:724
	buffer_load_dword v125, off, s[0:3], 0 offset:720
	s_waitcnt vmcnt(58) lgkmcnt(0)
	v_mul_f64 v[181:182], v[113:114], v[145:146]
	v_mul_f64 v[145:146], v[115:116], v[145:146]
	ds_read_b128 v[1:4], v174 offset:1344
	s_waitcnt vmcnt(56)
	v_fma_f64 v[123:124], v[5:6], v[131:132], -v[123:124]
	v_fma_f64 v[131:132], v[7:8], v[131:132], v[194:195]
	v_add_f64 v[119:120], v[119:120], v[137:138]
	v_add_f64 v[117:118], v[117:118], v[121:122]
	s_clause 0x4
	buffer_load_dword v122, off, s[0:3], 0 offset:764
	buffer_load_dword v137, off, s[0:3], 0 offset:776
	;; [unrolled: 1-line block ×5, first 2 shown]
	ds_read_b128 v[5:8], v174 offset:1360
	s_waitcnt vmcnt(57) lgkmcnt(1)
	v_mul_f64 v[195:196], v[1:2], v[129:130]
	v_mul_f64 v[129:130], v[3:4], v[129:130]
	s_waitcnt vmcnt(56)
	v_fma_f64 v[145:146], v[113:114], v[169:170], -v[145:146]
	v_add_f64 v[119:120], v[119:120], v[123:124]
	v_fma_f64 v[123:124], v[115:116], v[169:170], v[181:182]
	v_add_f64 v[117:118], v[117:118], v[131:132]
	s_clause 0x2
	buffer_load_dword v138, off, s[0:3], 0 offset:780
	buffer_load_dword v132, off, s[0:3], 0 offset:756
	;; [unrolled: 1-line block ×3, first 2 shown]
	s_waitcnt vmcnt(58) lgkmcnt(0)
	v_mul_f64 v[169:170], v[5:6], v[151:152]
	v_mul_f64 v[151:152], v[7:8], v[151:152]
	ds_read_b128 v[113:116], v174 offset:1376
	s_waitcnt vmcnt(56)
	v_fma_f64 v[129:130], v[1:2], v[141:142], -v[129:130]
	v_fma_f64 v[141:142], v[3:4], v[141:142], v[195:196]
	v_add_f64 v[119:120], v[119:120], v[145:146]
	v_add_f64 v[117:118], v[117:118], v[123:124]
	s_clause 0x4
	buffer_load_dword v124, off, s[0:3], 0 offset:796
	buffer_load_dword v145, off, s[0:3], 0 offset:808
	;; [unrolled: 1-line block ×5, first 2 shown]
	ds_read_b128 v[1:4], v174 offset:1392
	s_waitcnt vmcnt(57) lgkmcnt(1)
	v_mul_f64 v[195:196], v[113:114], v[135:136]
	v_mul_f64 v[135:136], v[115:116], v[135:136]
	s_waitcnt vmcnt(56)
	v_fma_f64 v[151:152], v[5:6], v[153:154], -v[151:152]
	v_add_f64 v[119:120], v[119:120], v[129:130]
	v_fma_f64 v[129:130], v[7:8], v[153:154], v[169:170]
	v_add_f64 v[117:118], v[117:118], v[141:142]
	s_clause 0x2
	buffer_load_dword v146, off, s[0:3], 0 offset:812
	buffer_load_dword v142, off, s[0:3], 0 offset:788
	buffer_load_dword v141, off, s[0:3], 0 offset:784
	ds_read_b128 v[5:8], v174 offset:1408
	s_waitcnt vmcnt(58) lgkmcnt(1)
	v_mul_f64 v[153:154], v[1:2], v[159:160]
	v_mul_f64 v[159:160], v[3:4], v[159:160]
	s_waitcnt vmcnt(56)
	v_fma_f64 v[135:136], v[113:114], v[139:140], -v[135:136]
	v_fma_f64 v[139:140], v[115:116], v[139:140], v[195:196]
	v_add_f64 v[119:120], v[119:120], v[151:152]
	v_add_f64 v[117:118], v[117:118], v[129:130]
	s_clause 0x4
	buffer_load_dword v130, off, s[0:3], 0 offset:828
	buffer_load_dword v151, off, s[0:3], 0 offset:840
	;; [unrolled: 1-line block ×5, first 2 shown]
	ds_read_b128 v[113:116], v174 offset:1424
	s_waitcnt vmcnt(57) lgkmcnt(1)
	v_mul_f64 v[195:196], v[5:6], v[143:144]
	v_mul_f64 v[143:144], v[7:8], v[143:144]
	s_waitcnt vmcnt(56)
	v_fma_f64 v[159:160], v[1:2], v[161:162], -v[159:160]
	v_add_f64 v[119:120], v[119:120], v[135:136]
	v_fma_f64 v[135:136], v[3:4], v[161:162], v[153:154]
	v_add_f64 v[117:118], v[117:118], v[139:140]
	s_clause 0x2
	buffer_load_dword v152, off, s[0:3], 0 offset:844
	buffer_load_dword v140, off, s[0:3], 0 offset:820
	buffer_load_dword v139, off, s[0:3], 0 offset:816
	ds_read_b128 v[1:4], v174 offset:1440
	buffer_load_dword v170, off, s[0:3], 0 offset:836
	s_waitcnt vmcnt(59) lgkmcnt(1)
	v_mul_f64 v[161:162], v[115:116], v[165:166]
	v_mul_f64 v[153:154], v[113:114], v[165:166]
	s_waitcnt vmcnt(57)
	v_fma_f64 v[143:144], v[5:6], v[147:148], -v[143:144]
	v_fma_f64 v[147:148], v[7:8], v[147:148], v[195:196]
	ds_read_b128 v[5:8], v174 offset:1456
	v_add_f64 v[119:120], v[119:120], v[159:160]
	v_add_f64 v[117:118], v[117:118], v[135:136]
	s_waitcnt vmcnt(53) lgkmcnt(1)
	v_mul_f64 v[135:136], v[1:2], v[149:150]
	v_mul_f64 v[149:150], v[3:4], v[149:150]
	s_waitcnt vmcnt(52)
	v_fma_f64 v[159:160], v[113:114], v[167:168], -v[161:162]
	v_add_f64 v[119:120], v[119:120], v[143:144]
	v_fma_f64 v[143:144], v[115:116], v[167:168], v[153:154]
	v_add_f64 v[117:118], v[117:118], v[147:148]
	ds_read_b128 v[113:116], v174 offset:1472
	s_waitcnt vmcnt(51) lgkmcnt(1)
	v_mul_f64 v[153:154], v[7:8], v[171:172]
	v_mul_f64 v[147:148], v[5:6], v[171:172]
	s_waitcnt vmcnt(49)
	v_fma_f64 v[149:150], v[1:2], v[155:156], -v[149:150]
	v_fma_f64 v[135:136], v[3:4], v[155:156], v[135:136]
	v_add_f64 v[119:120], v[119:120], v[159:160]
	v_add_f64 v[117:118], v[117:118], v[143:144]
	s_clause 0x3
	buffer_load_dword v143, off, s[0:3], 0 offset:112
	buffer_load_dword v144, off, s[0:3], 0 offset:116
	;; [unrolled: 1-line block ×4, first 2 shown]
	ds_read_b128 v[1:4], v174 offset:1488
	s_waitcnt vmcnt(49) lgkmcnt(1)
	v_mul_f64 v[159:160], v[113:114], v[157:158]
	v_mul_f64 v[157:158], v[115:116], v[157:158]
	s_waitcnt vmcnt(48)
	v_fma_f64 v[153:154], v[5:6], v[183:184], -v[153:154]
	v_fma_f64 v[147:148], v[7:8], v[183:184], v[147:148]
	ds_read_b128 v[5:8], v174 offset:1504
	v_add_f64 v[119:120], v[119:120], v[149:150]
	v_add_f64 v[117:118], v[117:118], v[135:136]
	s_waitcnt vmcnt(47) lgkmcnt(1)
	v_mul_f64 v[149:150], v[3:4], v[177:178]
	v_mul_f64 v[135:136], v[1:2], v[177:178]
	s_waitcnt vmcnt(45)
	v_fma_f64 v[157:158], v[113:114], v[163:164], -v[157:158]
	v_add_f64 v[119:120], v[119:120], v[153:154]
	v_fma_f64 v[153:154], v[115:116], v[163:164], v[159:160]
	v_add_f64 v[117:118], v[117:118], v[147:148]
	ds_read_b128 v[113:116], v174 offset:1520
	s_waitcnt vmcnt(41) lgkmcnt(1)
	v_mul_f64 v[159:160], v[7:8], v[179:180]
	s_waitcnt vmcnt(40)
	v_fma_f64 v[149:150], v[1:2], v[187:188], -v[149:150]
	v_mul_f64 v[147:148], v[5:6], v[179:180]
	v_fma_f64 v[135:136], v[3:4], v[187:188], v[135:136]
	ds_read_b128 v[1:4], v174 offset:1536
	v_add_f64 v[119:120], v[119:120], v[157:158]
	v_add_f64 v[117:118], v[117:118], v[153:154]
	s_waitcnt vmcnt(39) lgkmcnt(1)
	v_mul_f64 v[157:158], v[115:116], v[185:186]
	v_mul_f64 v[153:154], v[113:114], v[185:186]
	s_waitcnt vmcnt(37)
	v_fma_f64 v[159:160], v[5:6], v[127:128], -v[159:160]
	v_fma_f64 v[127:128], v[7:8], v[127:128], v[147:148]
	ds_read_b128 v[5:8], v174 offset:1552
	v_add_f64 v[119:120], v[119:120], v[149:150]
	v_add_f64 v[117:118], v[117:118], v[135:136]
	s_waitcnt vmcnt(33) lgkmcnt(1)
	v_mul_f64 v[135:136], v[1:2], v[133:134]
	v_mul_f64 v[133:134], v[3:4], v[133:134]
	s_waitcnt vmcnt(32)
	v_fma_f64 v[147:148], v[113:114], v[191:192], -v[157:158]
	;; [unrolled: 9-line block ×6, first 2 shown]
	v_add_f64 v[119:120], v[119:120], v[121:122]
	v_fma_f64 v[121:122], v[3:4], v[189:190], v[125:126]
	v_add_f64 v[117:118], v[117:118], v[131:132]
	ds_read_b128 v[1:4], v174 offset:1632
	s_waitcnt vmcnt(15) lgkmcnt(1)
	v_mul_f64 v[131:132], v[115:116], v[145:146]
	v_mul_f64 v[125:126], v[113:114], v[145:146]
	s_waitcnt vmcnt(13)
	v_fma_f64 v[123:124], v[5:6], v[141:142], -v[123:124]
	v_fma_f64 v[127:128], v[7:8], v[141:142], v[127:128]
	ds_read_b128 v[5:8], v174 offset:1648
	v_add_f64 v[119:120], v[119:120], v[133:134]
	v_add_f64 v[117:118], v[117:118], v[121:122]
	s_waitcnt vmcnt(9) lgkmcnt(1)
	v_mul_f64 v[121:122], v[1:2], v[129:130]
	v_mul_f64 v[129:130], v[3:4], v[129:130]
	s_waitcnt vmcnt(8)
	v_fma_f64 v[113:114], v[113:114], v[181:182], -v[131:132]
	v_fma_f64 v[115:116], v[115:116], v[181:182], v[125:126]
	v_add_f64 v[119:120], v[119:120], v[123:124]
	v_add_f64 v[117:118], v[117:118], v[127:128]
	s_waitcnt vmcnt(7) lgkmcnt(0)
	v_mul_f64 v[125:126], v[7:8], v[151:152]
	v_mul_f64 v[123:124], v[5:6], v[151:152]
	s_waitcnt vmcnt(5)
	v_fma_f64 v[1:2], v[1:2], v[139:140], -v[129:130]
	v_fma_f64 v[3:4], v[3:4], v[139:140], v[121:122]
	v_add_f64 v[113:114], v[119:120], v[113:114]
	v_add_f64 v[115:116], v[117:118], v[115:116]
	s_waitcnt vmcnt(4)
	v_fma_f64 v[5:6], v[5:6], v[169:170], -v[125:126]
	v_fma_f64 v[7:8], v[7:8], v[169:170], v[123:124]
	v_add_f64 v[1:2], v[113:114], v[1:2]
	v_add_f64 v[3:4], v[115:116], v[3:4]
	v_add_f64 v[1:2], v[1:2], v[5:6]
	v_add_f64 v[3:4], v[3:4], v[7:8]
	s_waitcnt vmcnt(2)
	v_add_f64 v[1:2], v[143:144], -v[1:2]
	s_waitcnt vmcnt(0)
	v_add_f64 v[3:4], v[155:156], -v[3:4]
	buffer_store_dword v2, off, s[0:3], 0 offset:116
	buffer_store_dword v1, off, s[0:3], 0 offset:112
	;; [unrolled: 1-line block ×4, first 2 shown]
	v_cmpx_lt_u32_e32 5, v0
	s_cbranch_execz .LBB115_315
; %bb.314:
	v_mov_b32_e32 v4, s59
	s_clause 0x3
	buffer_load_dword v1, v4, s[0:3], 0 offen
	buffer_load_dword v2, v4, s[0:3], 0 offen offset:4
	buffer_load_dword v3, v4, s[0:3], 0 offen offset:8
	;; [unrolled: 1-line block ×3, first 2 shown]
	buffer_store_dword v174, off, s[0:3], 0 offset:96
	buffer_store_dword v174, off, s[0:3], 0 offset:100
	;; [unrolled: 1-line block ×4, first 2 shown]
	s_waitcnt vmcnt(0)
	ds_write_b128 v173, v[1:4]
.LBB115_315:
	s_or_b32 exec_lo, exec_lo, s4
	s_waitcnt lgkmcnt(0)
	s_waitcnt_vscnt null, 0x0
	s_barrier
	buffer_gl0_inv
	s_clause 0x37
	buffer_load_dword v121, off, s[0:3], 0 offset:120
	buffer_load_dword v122, off, s[0:3], 0 offset:124
	;; [unrolled: 1-line block ×56, first 2 shown]
	ds_read_b128 v[5:8], v174 offset:928
	s_clause 0x2
	buffer_load_dword v170, off, s[0:3], 0 offset:348
	buffer_load_dword v172, off, s[0:3], 0 offset:324
	buffer_load_dword v171, off, s[0:3], 0 offset:320
	ds_read_b128 v[1:4], v174 offset:944
	s_clause 0x4
	buffer_load_dword v182, off, s[0:3], 0 offset:364
	buffer_load_dword v183, off, s[0:3], 0 offset:376
	;; [unrolled: 1-line block ×5, first 2 shown]
	ds_read_b128 v[175:178], v174 offset:960
	s_mov_b32 s4, exec_lo
	s_waitcnt vmcnt(62) lgkmcnt(2)
	v_mul_f64 v[179:180], v[7:8], v[121:122]
	v_mul_f64 v[121:122], v[5:6], v[121:122]
	s_waitcnt vmcnt(60) lgkmcnt(1)
	v_mul_f64 v[186:187], v[3:4], v[117:118]
	v_mul_f64 v[117:118], v[1:2], v[117:118]
	;; [unrolled: 3-line block ×3, first 2 shown]
	v_fma_f64 v[179:180], v[5:6], v[119:120], -v[179:180]
	v_fma_f64 v[119:120], v[7:8], v[119:120], v[121:122]
	s_clause 0x2
	buffer_load_dword v184, off, s[0:3], 0 offset:380
	buffer_load_dword v122, off, s[0:3], 0 offset:356
	;; [unrolled: 1-line block ×3, first 2 shown]
	s_waitcnt vmcnt(57)
	v_fma_f64 v[190:191], v[1:2], v[113:114], -v[186:187]
	ds_read_b128 v[5:8], v174 offset:976
	v_fma_f64 v[113:114], v[3:4], v[113:114], v[117:118]
	s_waitcnt vmcnt(51)
	v_fma_f64 v[175:176], v[175:176], v[137:138], -v[115:116]
	v_fma_f64 v[137:138], v[177:178], v[137:138], v[188:189]
	v_add_f64 v[179:180], v[179:180], 0
	v_add_f64 v[117:118], v[119:120], 0
	s_clause 0x4
	buffer_load_dword v120, off, s[0:3], 0 offset:396
	buffer_load_dword v187, off, s[0:3], 0 offset:408
	;; [unrolled: 1-line block ×5, first 2 shown]
	s_waitcnt lgkmcnt(0)
	v_mul_f64 v[193:194], v[5:6], v[125:126]
	v_mul_f64 v[125:126], v[7:8], v[125:126]
	ds_read_b128 v[1:4], v174 offset:992
	s_clause 0x2
	buffer_load_dword v188, off, s[0:3], 0 offset:412
	buffer_load_dword v178, off, s[0:3], 0 offset:388
	buffer_load_dword v177, off, s[0:3], 0 offset:384
	v_add_f64 v[179:180], v[179:180], v[190:191]
	v_add_f64 v[117:118], v[117:118], v[113:114]
	ds_read_b128 v[113:116], v174 offset:1008
	s_waitcnt vmcnt(58) lgkmcnt(1)
	v_mul_f64 v[189:190], v[1:2], v[129:130]
	v_mul_f64 v[129:130], v[3:4], v[129:130]
	s_waitcnt vmcnt(56)
	v_fma_f64 v[125:126], v[5:6], v[131:132], -v[125:126]
	v_fma_f64 v[131:132], v[7:8], v[131:132], v[193:194]
	s_waitcnt vmcnt(52) lgkmcnt(0)
	v_mul_f64 v[195:196], v[113:114], v[133:134]
	v_add_f64 v[175:176], v[179:180], v[175:176]
	v_add_f64 v[117:118], v[117:118], v[137:138]
	s_clause 0x4
	buffer_load_dword v138, off, s[0:3], 0 offset:428
	buffer_load_dword v179, off, s[0:3], 0 offset:440
	;; [unrolled: 1-line block ×5, first 2 shown]
	v_mul_f64 v[133:134], v[115:116], v[133:134]
	s_waitcnt vmcnt(56)
	v_fma_f64 v[129:130], v[1:2], v[123:124], -v[129:130]
	ds_read_b128 v[5:8], v174 offset:1024
	v_fma_f64 v[123:124], v[3:4], v[123:124], v[189:190]
	v_add_f64 v[125:126], v[175:176], v[125:126]
	v_add_f64 v[117:118], v[117:118], v[131:132]
	s_clause 0x2
	buffer_load_dword v180, off, s[0:3], 0 offset:444
	buffer_load_dword v132, off, s[0:3], 0 offset:420
	;; [unrolled: 1-line block ×3, first 2 shown]
	s_waitcnt vmcnt(58) lgkmcnt(0)
	v_mul_f64 v[175:176], v[5:6], v[139:140]
	v_mul_f64 v[139:140], v[7:8], v[139:140]
	s_waitcnt vmcnt(56)
	v_fma_f64 v[133:134], v[113:114], v[141:142], -v[133:134]
	ds_read_b128 v[1:4], v174 offset:1040
	v_add_f64 v[125:126], v[125:126], v[129:130]
	v_fma_f64 v[129:130], v[115:116], v[141:142], v[195:196]
	v_add_f64 v[117:118], v[117:118], v[123:124]
	s_clause 0x4
	buffer_load_dword v124, off, s[0:3], 0 offset:460
	buffer_load_dword v141, off, s[0:3], 0 offset:472
	;; [unrolled: 1-line block ×5, first 2 shown]
	s_waitcnt vmcnt(57) lgkmcnt(0)
	v_mul_f64 v[190:191], v[1:2], v[143:144]
	v_mul_f64 v[143:144], v[3:4], v[143:144]
	s_waitcnt vmcnt(56)
	v_fma_f64 v[139:140], v[5:6], v[127:128], -v[139:140]
	ds_read_b128 v[113:116], v174 offset:1056
	v_fma_f64 v[127:128], v[7:8], v[127:128], v[175:176]
	v_add_f64 v[125:126], v[125:126], v[133:134]
	v_add_f64 v[117:118], v[117:118], v[129:130]
	s_clause 0x2
	buffer_load_dword v142, off, s[0:3], 0 offset:476
	buffer_load_dword v130, off, s[0:3], 0 offset:452
	buffer_load_dword v129, off, s[0:3], 0 offset:448
	ds_read_b128 v[5:8], v174 offset:1072
	s_waitcnt vmcnt(58) lgkmcnt(1)
	v_mul_f64 v[133:134], v[113:114], v[147:148]
	v_mul_f64 v[147:148], v[115:116], v[147:148]
	s_waitcnt vmcnt(56)
	v_fma_f64 v[143:144], v[1:2], v[149:150], -v[143:144]
	v_add_f64 v[125:126], v[125:126], v[139:140]
	v_fma_f64 v[139:140], v[3:4], v[149:150], v[190:191]
	v_add_f64 v[117:118], v[117:118], v[127:128]
	s_clause 0x4
	buffer_load_dword v128, off, s[0:3], 0 offset:492
	buffer_load_dword v149, off, s[0:3], 0 offset:504
	;; [unrolled: 1-line block ×5, first 2 shown]
	s_waitcnt vmcnt(57) lgkmcnt(0)
	v_mul_f64 v[196:197], v[5:6], v[151:152]
	v_mul_f64 v[151:152], v[7:8], v[151:152]
	s_waitcnt vmcnt(56)
	v_fma_f64 v[147:148], v[113:114], v[135:136], -v[147:148]
	ds_read_b128 v[1:4], v174 offset:1088
	v_fma_f64 v[133:134], v[115:116], v[135:136], v[133:134]
	s_clause 0x2
	buffer_load_dword v150, off, s[0:3], 0 offset:508
	buffer_load_dword v136, off, s[0:3], 0 offset:484
	;; [unrolled: 1-line block ×3, first 2 shown]
	ds_read_b128 v[113:116], v174 offset:1104
	v_add_f64 v[125:126], v[125:126], v[143:144]
	v_add_f64 v[117:118], v[117:118], v[139:140]
	s_waitcnt vmcnt(58) lgkmcnt(1)
	v_mul_f64 v[143:144], v[3:4], v[155:156]
	s_waitcnt vmcnt(56)
	v_fma_f64 v[151:152], v[5:6], v[157:158], -v[151:152]
	v_mul_f64 v[139:140], v[1:2], v[155:156]
	v_add_f64 v[125:126], v[125:126], v[147:148]
	v_fma_f64 v[147:148], v[7:8], v[157:158], v[196:197]
	v_add_f64 v[117:118], v[117:118], v[133:134]
	s_clause 0x4
	buffer_load_dword v134, off, s[0:3], 0 offset:524
	buffer_load_dword v155, off, s[0:3], 0 offset:536
	;; [unrolled: 1-line block ×5, first 2 shown]
	s_waitcnt vmcnt(57) lgkmcnt(0)
	v_mul_f64 v[196:197], v[113:114], v[159:160]
	v_mul_f64 v[158:159], v[115:116], v[159:160]
	s_waitcnt vmcnt(56)
	v_fma_f64 v[143:144], v[1:2], v[145:146], -v[143:144]
	ds_read_b128 v[5:8], v174 offset:1120
	v_fma_f64 v[139:140], v[3:4], v[145:146], v[139:140]
	s_clause 0x2
	buffer_load_dword v156, off, s[0:3], 0 offset:540
	buffer_load_dword v146, off, s[0:3], 0 offset:516
	buffer_load_dword v145, off, s[0:3], 0 offset:512
	ds_read_b128 v[1:4], v174 offset:1136
	v_add_f64 v[125:126], v[125:126], v[151:152]
	v_add_f64 v[117:118], v[117:118], v[147:148]
	s_waitcnt vmcnt(58) lgkmcnt(1)
	v_mul_f64 v[151:152], v[7:8], v[163:164]
	s_waitcnt vmcnt(56)
	v_fma_f64 v[159:160], v[113:114], v[165:166], -v[158:159]
	v_mul_f64 v[147:148], v[5:6], v[163:164]
	v_add_f64 v[125:126], v[125:126], v[143:144]
	v_fma_f64 v[143:144], v[115:116], v[165:166], v[196:197]
	v_add_f64 v[117:118], v[117:118], v[139:140]
	s_clause 0x4
	buffer_load_dword v140, off, s[0:3], 0 offset:556
	buffer_load_dword v163, off, s[0:3], 0 offset:568
	;; [unrolled: 1-line block ×5, first 2 shown]
	s_waitcnt vmcnt(57) lgkmcnt(0)
	v_mul_f64 v[196:197], v[1:2], v[167:168]
	v_mul_f64 v[166:167], v[3:4], v[167:168]
	s_waitcnt vmcnt(56)
	v_fma_f64 v[151:152], v[5:6], v[153:154], -v[151:152]
	ds_read_b128 v[113:116], v174 offset:1152
	v_fma_f64 v[147:148], v[7:8], v[153:154], v[147:148]
	v_add_f64 v[125:126], v[125:126], v[159:160]
	v_add_f64 v[117:118], v[117:118], v[143:144]
	s_clause 0x2
	buffer_load_dword v164, off, s[0:3], 0 offset:572
	buffer_load_dword v144, off, s[0:3], 0 offset:548
	;; [unrolled: 1-line block ×3, first 2 shown]
	ds_read_b128 v[5:8], v174 offset:1168
	s_waitcnt vmcnt(58) lgkmcnt(1)
	v_mul_f64 v[159:160], v[115:116], v[169:170]
	s_waitcnt vmcnt(56)
	v_fma_f64 v[167:168], v[1:2], v[171:172], -v[166:167]
	v_mul_f64 v[153:154], v[113:114], v[169:170]
	v_add_f64 v[125:126], v[125:126], v[151:152]
	v_fma_f64 v[151:152], v[3:4], v[171:172], v[196:197]
	v_add_f64 v[117:118], v[117:118], v[147:148]
	s_clause 0x4
	buffer_load_dword v148, off, s[0:3], 0 offset:588
	buffer_load_dword v169, off, s[0:3], 0 offset:600
	;; [unrolled: 1-line block ×5, first 2 shown]
	s_waitcnt vmcnt(57) lgkmcnt(0)
	v_mul_f64 v[196:197], v[5:6], v[181:182]
	v_mul_f64 v[181:182], v[7:8], v[181:182]
	s_waitcnt vmcnt(56)
	v_fma_f64 v[159:160], v[113:114], v[161:162], -v[159:160]
	ds_read_b128 v[1:4], v174 offset:1184
	v_fma_f64 v[153:154], v[115:116], v[161:162], v[153:154]
	v_add_f64 v[125:126], v[125:126], v[167:168]
	v_add_f64 v[117:118], v[117:118], v[151:152]
	s_clause 0x2
	buffer_load_dword v170, off, s[0:3], 0 offset:604
	buffer_load_dword v152, off, s[0:3], 0 offset:580
	;; [unrolled: 1-line block ×3, first 2 shown]
	ds_read_b128 v[113:116], v174 offset:1200
	s_waitcnt vmcnt(58) lgkmcnt(1)
	v_mul_f64 v[167:168], v[3:4], v[183:184]
	v_mul_f64 v[161:162], v[1:2], v[183:184]
	s_waitcnt vmcnt(56)
	v_fma_f64 v[181:182], v[5:6], v[121:122], -v[181:182]
	v_fma_f64 v[121:122], v[7:8], v[121:122], v[196:197]
	v_add_f64 v[125:126], v[125:126], v[159:160]
	v_add_f64 v[117:118], v[117:118], v[153:154]
	s_clause 0x4
	buffer_load_dword v154, off, s[0:3], 0 offset:620
	buffer_load_dword v159, off, s[0:3], 0 offset:632
	;; [unrolled: 1-line block ×5, first 2 shown]
	ds_read_b128 v[5:8], v174 offset:1216
	s_waitcnt vmcnt(57) lgkmcnt(1)
	v_mul_f64 v[196:197], v[113:114], v[119:120]
	v_mul_f64 v[119:120], v[115:116], v[119:120]
	s_waitcnt vmcnt(56)
	v_fma_f64 v[167:168], v[1:2], v[185:186], -v[167:168]
	v_fma_f64 v[161:162], v[3:4], v[185:186], v[161:162]
	v_add_f64 v[125:126], v[125:126], v[181:182]
	v_add_f64 v[117:118], v[117:118], v[121:122]
	s_clause 0x2
	buffer_load_dword v160, off, s[0:3], 0 offset:636
	buffer_load_dword v122, off, s[0:3], 0 offset:612
	;; [unrolled: 1-line block ×3, first 2 shown]
	s_waitcnt vmcnt(58) lgkmcnt(0)
	v_mul_f64 v[185:186], v[7:8], v[187:188]
	ds_read_b128 v[1:4], v174 offset:1232
	v_mul_f64 v[181:182], v[5:6], v[187:188]
	s_waitcnt vmcnt(56)
	v_fma_f64 v[119:120], v[113:114], v[177:178], -v[119:120]
	v_add_f64 v[125:126], v[125:126], v[167:168]
	v_fma_f64 v[167:168], v[115:116], v[177:178], v[196:197]
	v_add_f64 v[117:118], v[117:118], v[161:162]
	s_clause 0x4
	buffer_load_dword v162, off, s[0:3], 0 offset:652
	buffer_load_dword v177, off, s[0:3], 0 offset:664
	;; [unrolled: 1-line block ×5, first 2 shown]
	ds_read_b128 v[113:116], v174 offset:1248
	s_waitcnt vmcnt(57) lgkmcnt(1)
	v_mul_f64 v[196:197], v[1:2], v[137:138]
	v_mul_f64 v[137:138], v[3:4], v[137:138]
	s_waitcnt vmcnt(56)
	v_fma_f64 v[185:186], v[5:6], v[192:193], -v[185:186]
	v_add_f64 v[119:120], v[125:126], v[119:120]
	v_fma_f64 v[125:126], v[7:8], v[192:193], v[181:182]
	v_add_f64 v[117:118], v[117:118], v[167:168]
	s_clause 0x2
	buffer_load_dword v178, off, s[0:3], 0 offset:668
	buffer_load_dword v168, off, s[0:3], 0 offset:644
	;; [unrolled: 1-line block ×3, first 2 shown]
	ds_read_b128 v[5:8], v174 offset:1264
	s_waitcnt vmcnt(58) lgkmcnt(1)
	v_mul_f64 v[181:182], v[113:114], v[179:180]
	v_mul_f64 v[179:180], v[115:116], v[179:180]
	s_waitcnt vmcnt(56)
	v_fma_f64 v[137:138], v[1:2], v[131:132], -v[137:138]
	v_fma_f64 v[131:132], v[3:4], v[131:132], v[196:197]
	v_add_f64 v[119:120], v[119:120], v[185:186]
	v_add_f64 v[117:118], v[117:118], v[125:126]
	s_clause 0x4
	buffer_load_dword v126, off, s[0:3], 0 offset:684
	buffer_load_dword v185, off, s[0:3], 0 offset:696
	;; [unrolled: 1-line block ×5, first 2 shown]
	ds_read_b128 v[1:4], v174 offset:1280
	s_waitcnt vmcnt(57) lgkmcnt(1)
	v_mul_f64 v[192:193], v[5:6], v[123:124]
	v_mul_f64 v[123:124], v[7:8], v[123:124]
	s_waitcnt vmcnt(56)
	v_fma_f64 v[179:180], v[113:114], v[194:195], -v[179:180]
	v_add_f64 v[119:120], v[119:120], v[137:138]
	v_fma_f64 v[137:138], v[115:116], v[194:195], v[181:182]
	v_add_f64 v[117:118], v[117:118], v[131:132]
	s_clause 0x2
	buffer_load_dword v186, off, s[0:3], 0 offset:700
	buffer_load_dword v132, off, s[0:3], 0 offset:676
	;; [unrolled: 1-line block ×3, first 2 shown]
	ds_read_b128 v[113:116], v174 offset:1296
	s_waitcnt vmcnt(58) lgkmcnt(1)
	v_mul_f64 v[181:182], v[1:2], v[141:142]
	v_mul_f64 v[141:142], v[3:4], v[141:142]
	s_waitcnt vmcnt(56)
	v_fma_f64 v[123:124], v[5:6], v[129:130], -v[123:124]
	v_fma_f64 v[129:130], v[7:8], v[129:130], v[192:193]
	v_add_f64 v[119:120], v[119:120], v[179:180]
	v_add_f64 v[117:118], v[117:118], v[137:138]
	s_clause 0x4
	buffer_load_dword v138, off, s[0:3], 0 offset:716
	buffer_load_dword v179, off, s[0:3], 0 offset:728
	;; [unrolled: 1-line block ×5, first 2 shown]
	ds_read_b128 v[5:8], v174 offset:1312
	s_waitcnt vmcnt(57) lgkmcnt(1)
	v_mul_f64 v[194:195], v[113:114], v[127:128]
	v_mul_f64 v[127:128], v[115:116], v[127:128]
	s_waitcnt vmcnt(56)
	v_fma_f64 v[141:142], v[1:2], v[189:190], -v[141:142]
	v_add_f64 v[119:120], v[119:120], v[123:124]
	v_fma_f64 v[123:124], v[3:4], v[189:190], v[181:182]
	v_add_f64 v[117:118], v[117:118], v[129:130]
	s_clause 0x2
	buffer_load_dword v180, off, s[0:3], 0 offset:732
	buffer_load_dword v130, off, s[0:3], 0 offset:708
	buffer_load_dword v129, off, s[0:3], 0 offset:704
	s_waitcnt vmcnt(58) lgkmcnt(0)
	v_mul_f64 v[181:182], v[5:6], v[149:150]
	v_mul_f64 v[149:150], v[7:8], v[149:150]
	ds_read_b128 v[1:4], v174 offset:1328
	s_waitcnt vmcnt(56)
	v_fma_f64 v[127:128], v[113:114], v[135:136], -v[127:128]
	v_fma_f64 v[135:136], v[115:116], v[135:136], v[194:195]
	v_add_f64 v[119:120], v[119:120], v[141:142]
	v_add_f64 v[117:118], v[117:118], v[123:124]
	s_clause 0x4
	buffer_load_dword v124, off, s[0:3], 0 offset:748
	buffer_load_dword v141, off, s[0:3], 0 offset:760
	;; [unrolled: 1-line block ×5, first 2 shown]
	ds_read_b128 v[113:116], v174 offset:1344
	s_waitcnt vmcnt(57) lgkmcnt(1)
	v_mul_f64 v[195:196], v[1:2], v[133:134]
	v_mul_f64 v[133:134], v[3:4], v[133:134]
	s_waitcnt vmcnt(56)
	v_fma_f64 v[149:150], v[5:6], v[175:176], -v[149:150]
	v_add_f64 v[119:120], v[119:120], v[127:128]
	v_fma_f64 v[127:128], v[7:8], v[175:176], v[181:182]
	v_add_f64 v[117:118], v[117:118], v[135:136]
	s_clause 0x2
	buffer_load_dword v142, off, s[0:3], 0 offset:764
	buffer_load_dword v136, off, s[0:3], 0 offset:740
	;; [unrolled: 1-line block ×3, first 2 shown]
	s_waitcnt vmcnt(58) lgkmcnt(0)
	v_mul_f64 v[175:176], v[113:114], v[155:156]
	v_mul_f64 v[155:156], v[115:116], v[155:156]
	ds_read_b128 v[5:8], v174 offset:1360
	s_waitcnt vmcnt(56)
	v_fma_f64 v[133:134], v[1:2], v[145:146], -v[133:134]
	v_fma_f64 v[145:146], v[3:4], v[145:146], v[195:196]
	v_add_f64 v[119:120], v[119:120], v[149:150]
	v_add_f64 v[117:118], v[117:118], v[127:128]
	s_clause 0x4
	buffer_load_dword v128, off, s[0:3], 0 offset:780
	buffer_load_dword v149, off, s[0:3], 0 offset:792
	;; [unrolled: 1-line block ×5, first 2 shown]
	ds_read_b128 v[1:4], v174 offset:1376
	s_waitcnt vmcnt(57) lgkmcnt(1)
	v_mul_f64 v[195:196], v[5:6], v[139:140]
	v_mul_f64 v[139:140], v[7:8], v[139:140]
	s_waitcnt vmcnt(56)
	v_fma_f64 v[155:156], v[113:114], v[157:158], -v[155:156]
	v_add_f64 v[119:120], v[119:120], v[133:134]
	v_fma_f64 v[133:134], v[115:116], v[157:158], v[175:176]
	v_add_f64 v[117:118], v[117:118], v[145:146]
	s_clause 0x2
	buffer_load_dword v150, off, s[0:3], 0 offset:796
	buffer_load_dword v146, off, s[0:3], 0 offset:772
	;; [unrolled: 1-line block ×3, first 2 shown]
	ds_read_b128 v[113:116], v174 offset:1392
	s_waitcnt vmcnt(58) lgkmcnt(1)
	v_mul_f64 v[157:158], v[1:2], v[163:164]
	v_mul_f64 v[163:164], v[3:4], v[163:164]
	s_waitcnt vmcnt(56)
	v_fma_f64 v[139:140], v[5:6], v[143:144], -v[139:140]
	v_fma_f64 v[143:144], v[7:8], v[143:144], v[195:196]
	v_add_f64 v[119:120], v[119:120], v[155:156]
	v_add_f64 v[117:118], v[117:118], v[133:134]
	s_clause 0x4
	buffer_load_dword v134, off, s[0:3], 0 offset:812
	buffer_load_dword v155, off, s[0:3], 0 offset:824
	;; [unrolled: 1-line block ×5, first 2 shown]
	ds_read_b128 v[5:8], v174 offset:1408
	s_waitcnt vmcnt(57) lgkmcnt(1)
	v_mul_f64 v[195:196], v[113:114], v[147:148]
	v_mul_f64 v[147:148], v[115:116], v[147:148]
	s_waitcnt vmcnt(56)
	v_fma_f64 v[163:164], v[1:2], v[165:166], -v[163:164]
	v_add_f64 v[119:120], v[119:120], v[139:140]
	v_fma_f64 v[139:140], v[3:4], v[165:166], v[157:158]
	v_add_f64 v[117:118], v[117:118], v[143:144]
	s_clause 0x2
	buffer_load_dword v156, off, s[0:3], 0 offset:828
	buffer_load_dword v144, off, s[0:3], 0 offset:804
	buffer_load_dword v143, off, s[0:3], 0 offset:800
	ds_read_b128 v[1:4], v174 offset:1424
	s_waitcnt vmcnt(58) lgkmcnt(1)
	v_mul_f64 v[165:166], v[7:8], v[169:170]
	v_mul_f64 v[157:158], v[5:6], v[169:170]
	s_waitcnt vmcnt(56)
	v_fma_f64 v[147:148], v[113:114], v[151:152], -v[147:148]
	v_fma_f64 v[151:152], v[115:116], v[151:152], v[195:196]
	v_add_f64 v[119:120], v[119:120], v[163:164]
	v_add_f64 v[117:118], v[117:118], v[139:140]
	s_clause 0x2
	buffer_load_dword v140, off, s[0:3], 0 offset:844
	buffer_load_dword v139, off, s[0:3], 0 offset:840
	buffer_load_dword v176, off, s[0:3], 0 offset:820
	ds_read_b128 v[113:116], v174 offset:1440
	s_waitcnt vmcnt(55) lgkmcnt(1)
	v_mul_f64 v[163:164], v[1:2], v[153:154]
	v_mul_f64 v[153:154], v[3:4], v[153:154]
	s_waitcnt vmcnt(54)
	v_fma_f64 v[165:166], v[5:6], v[171:172], -v[165:166]
	v_add_f64 v[119:120], v[119:120], v[147:148]
	v_fma_f64 v[147:148], v[7:8], v[171:172], v[157:158]
	v_add_f64 v[117:118], v[117:118], v[151:152]
	s_clause 0x1
	buffer_load_dword v152, off, s[0:3], 0 offset:836
	buffer_load_dword v151, off, s[0:3], 0 offset:832
	ds_read_b128 v[5:8], v174 offset:1456
	s_waitcnt vmcnt(55) lgkmcnt(1)
	v_mul_f64 v[157:158], v[113:114], v[159:160]
	v_mul_f64 v[159:160], v[115:116], v[159:160]
	s_waitcnt vmcnt(53)
	v_fma_f64 v[153:154], v[1:2], v[121:122], -v[153:154]
	v_fma_f64 v[121:122], v[3:4], v[121:122], v[163:164]
	ds_read_b128 v[1:4], v174 offset:1472
	v_add_f64 v[119:120], v[119:120], v[165:166]
	v_add_f64 v[117:118], v[117:118], v[147:148]
	s_waitcnt vmcnt(49) lgkmcnt(1)
	v_mul_f64 v[147:148], v[5:6], v[161:162]
	v_mul_f64 v[161:162], v[7:8], v[161:162]
	s_waitcnt vmcnt(48)
	v_fma_f64 v[159:160], v[113:114], v[183:184], -v[159:160]
	v_add_f64 v[119:120], v[119:120], v[153:154]
	v_fma_f64 v[153:154], v[115:116], v[183:184], v[157:158]
	v_add_f64 v[117:118], v[117:118], v[121:122]
	s_clause 0x3
	buffer_load_dword v121, off, s[0:3], 0 offset:96
	buffer_load_dword v122, off, s[0:3], 0 offset:100
	;; [unrolled: 1-line block ×4, first 2 shown]
	ds_read_b128 v[113:116], v174 offset:1488
	s_waitcnt vmcnt(51) lgkmcnt(1)
	v_mul_f64 v[165:166], v[3:4], v[177:178]
	v_mul_f64 v[163:164], v[1:2], v[177:178]
	s_waitcnt vmcnt(49)
	v_fma_f64 v[161:162], v[5:6], v[167:168], -v[161:162]
	v_fma_f64 v[147:148], v[7:8], v[167:168], v[147:148]
	ds_read_b128 v[5:8], v174 offset:1504
	v_add_f64 v[119:120], v[119:120], v[159:160]
	v_add_f64 v[117:118], v[117:118], v[153:154]
	s_waitcnt vmcnt(45) lgkmcnt(1)
	v_mul_f64 v[153:154], v[113:114], v[125:126]
	v_mul_f64 v[125:126], v[115:116], v[125:126]
	s_waitcnt vmcnt(44)
	v_fma_f64 v[159:160], v[1:2], v[187:188], -v[165:166]
	v_add_f64 v[119:120], v[119:120], v[161:162]
	v_fma_f64 v[161:162], v[3:4], v[187:188], v[163:164]
	v_add_f64 v[117:118], v[117:118], v[147:148]
	ds_read_b128 v[1:4], v174 offset:1520
	s_waitcnt vmcnt(43) lgkmcnt(1)
	v_mul_f64 v[163:164], v[7:8], v[185:186]
	v_mul_f64 v[147:148], v[5:6], v[185:186]
	s_waitcnt vmcnt(41)
	v_fma_f64 v[125:126], v[113:114], v[131:132], -v[125:126]
	v_fma_f64 v[131:132], v[115:116], v[131:132], v[153:154]
	ds_read_b128 v[113:116], v174 offset:1536
	v_add_f64 v[119:120], v[119:120], v[159:160]
	v_add_f64 v[117:118], v[117:118], v[161:162]
	s_waitcnt vmcnt(37) lgkmcnt(1)
	v_mul_f64 v[153:154], v[1:2], v[137:138]
	v_mul_f64 v[137:138], v[3:4], v[137:138]
	s_waitcnt vmcnt(36)
	v_fma_f64 v[159:160], v[5:6], v[191:192], -v[163:164]
	v_add_f64 v[119:120], v[119:120], v[125:126]
	v_fma_f64 v[125:126], v[7:8], v[191:192], v[147:148]
	v_add_f64 v[117:118], v[117:118], v[131:132]
	ds_read_b128 v[5:8], v174 offset:1552
	s_waitcnt vmcnt(35) lgkmcnt(1)
	v_mul_f64 v[147:148], v[115:116], v[179:180]
	v_mul_f64 v[131:132], v[113:114], v[179:180]
	s_waitcnt vmcnt(33)
	v_fma_f64 v[137:138], v[1:2], v[129:130], -v[137:138]
	v_fma_f64 v[129:130], v[3:4], v[129:130], v[153:154]
	ds_read_b128 v[1:4], v174 offset:1568
	v_add_f64 v[119:120], v[119:120], v[159:160]
	v_add_f64 v[117:118], v[117:118], v[125:126]
	s_waitcnt vmcnt(29) lgkmcnt(1)
	v_mul_f64 v[125:126], v[5:6], v[123:124]
	v_mul_f64 v[123:124], v[7:8], v[123:124]
	s_waitcnt vmcnt(28)
	v_fma_f64 v[147:148], v[113:114], v[193:194], -v[147:148]
	v_fma_f64 v[131:132], v[115:116], v[193:194], v[131:132]
	ds_read_b128 v[113:116], v174 offset:1584
	v_add_f64 v[119:120], v[119:120], v[137:138]
	v_add_f64 v[117:118], v[117:118], v[129:130]
	;; [unrolled: 9-line block ×3, first 2 shown]
	s_waitcnt vmcnt(21) lgkmcnt(1)
	v_mul_f64 v[131:132], v[113:114], v[127:128]
	v_mul_f64 v[127:128], v[115:116], v[127:128]
	s_waitcnt vmcnt(20)
	v_fma_f64 v[135:136], v[1:2], v[189:190], -v[137:138]
	v_add_f64 v[119:120], v[119:120], v[123:124]
	v_fma_f64 v[123:124], v[3:4], v[189:190], v[129:130]
	v_add_f64 v[117:118], v[117:118], v[125:126]
	ds_read_b128 v[1:4], v174 offset:1616
	s_waitcnt vmcnt(19) lgkmcnt(1)
	v_mul_f64 v[129:130], v[7:8], v[149:150]
	v_mul_f64 v[125:126], v[5:6], v[149:150]
	s_waitcnt vmcnt(17)
	v_fma_f64 v[127:128], v[113:114], v[145:146], -v[127:128]
	v_fma_f64 v[131:132], v[115:116], v[145:146], v[131:132]
	ds_read_b128 v[113:116], v174 offset:1632
	v_add_f64 v[119:120], v[119:120], v[135:136]
	v_add_f64 v[117:118], v[117:118], v[123:124]
	s_waitcnt vmcnt(13) lgkmcnt(1)
	v_mul_f64 v[123:124], v[1:2], v[133:134]
	v_mul_f64 v[133:134], v[3:4], v[133:134]
	s_waitcnt vmcnt(12)
	v_fma_f64 v[129:130], v[5:6], v[181:182], -v[129:130]
	v_fma_f64 v[125:126], v[7:8], v[181:182], v[125:126]
	ds_read_b128 v[5:8], v174 offset:1648
	v_add_f64 v[119:120], v[119:120], v[127:128]
	v_add_f64 v[117:118], v[117:118], v[131:132]
	s_waitcnt vmcnt(11) lgkmcnt(1)
	v_mul_f64 v[131:132], v[115:116], v[155:156]
	v_mul_f64 v[127:128], v[113:114], v[155:156]
	s_waitcnt vmcnt(9)
	v_fma_f64 v[1:2], v[1:2], v[143:144], -v[133:134]
	v_fma_f64 v[3:4], v[3:4], v[143:144], v[123:124]
	v_add_f64 v[119:120], v[119:120], v[129:130]
	v_add_f64 v[117:118], v[117:118], v[125:126]
	s_waitcnt vmcnt(7) lgkmcnt(0)
	v_mul_f64 v[125:126], v[7:8], v[139:140]
	s_waitcnt vmcnt(6)
	v_fma_f64 v[113:114], v[113:114], v[175:176], -v[131:132]
	v_mul_f64 v[123:124], v[5:6], v[139:140]
	v_fma_f64 v[115:116], v[115:116], v[175:176], v[127:128]
	v_add_f64 v[1:2], v[119:120], v[1:2]
	v_add_f64 v[3:4], v[117:118], v[3:4]
	s_waitcnt vmcnt(4)
	v_fma_f64 v[5:6], v[5:6], v[151:152], -v[125:126]
	v_fma_f64 v[7:8], v[7:8], v[151:152], v[123:124]
	v_add_f64 v[1:2], v[1:2], v[113:114]
	v_add_f64 v[3:4], v[3:4], v[115:116]
	;; [unrolled: 1-line block ×4, first 2 shown]
	s_waitcnt vmcnt(2)
	v_add_f64 v[1:2], v[121:122], -v[1:2]
	s_waitcnt vmcnt(0)
	v_add_f64 v[3:4], v[157:158], -v[3:4]
	buffer_store_dword v2, off, s[0:3], 0 offset:100
	buffer_store_dword v1, off, s[0:3], 0 offset:96
	;; [unrolled: 1-line block ×4, first 2 shown]
	v_cmpx_lt_u32_e32 4, v0
	s_cbranch_execz .LBB115_317
; %bb.316:
	v_mov_b32_e32 v4, s60
	v_mov_b32_e32 v5, 0
	s_clause 0x3
	buffer_load_dword v1, v4, s[0:3], 0 offen
	buffer_load_dword v2, v4, s[0:3], 0 offen offset:4
	buffer_load_dword v3, v4, s[0:3], 0 offen offset:8
	buffer_load_dword v4, v4, s[0:3], 0 offen offset:12
	buffer_store_dword v5, off, s[0:3], 0 offset:80
	buffer_store_dword v5, off, s[0:3], 0 offset:84
	;; [unrolled: 1-line block ×4, first 2 shown]
	s_waitcnt vmcnt(0)
	ds_write_b128 v173, v[1:4]
.LBB115_317:
	s_or_b32 exec_lo, exec_lo, s4
	s_waitcnt lgkmcnt(0)
	s_waitcnt_vscnt null, 0x0
	s_barrier
	buffer_gl0_inv
	s_clause 0x37
	buffer_load_dword v121, off, s[0:3], 0 offset:104
	buffer_load_dword v122, off, s[0:3], 0 offset:108
	buffer_load_dword v117, off, s[0:3], 0 offset:120
	buffer_load_dword v118, off, s[0:3], 0 offset:124
	buffer_load_dword v119, off, s[0:3], 0 offset:96
	buffer_load_dword v120, off, s[0:3], 0 offset:100
	buffer_load_dword v115, off, s[0:3], 0 offset:136
	buffer_load_dword v116, off, s[0:3], 0 offset:140
	buffer_load_dword v113, off, s[0:3], 0 offset:112
	buffer_load_dword v114, off, s[0:3], 0 offset:116
	buffer_load_dword v126, off, s[0:3], 0 offset:156
	buffer_load_dword v129, off, s[0:3], 0 offset:168
	buffer_load_dword v123, off, s[0:3], 0 offset:160
	buffer_load_dword v125, off, s[0:3], 0 offset:152
	buffer_load_dword v137, off, s[0:3], 0 offset:128
	buffer_load_dword v138, off, s[0:3], 0 offset:132
	buffer_load_dword v130, off, s[0:3], 0 offset:172
	buffer_load_dword v132, off, s[0:3], 0 offset:148
	buffer_load_dword v131, off, s[0:3], 0 offset:144
	buffer_load_dword v134, off, s[0:3], 0 offset:188
	buffer_load_dword v139, off, s[0:3], 0 offset:200
	buffer_load_dword v127, off, s[0:3], 0 offset:192
	buffer_load_dword v133, off, s[0:3], 0 offset:184
	buffer_load_dword v124, off, s[0:3], 0 offset:164
	buffer_load_dword v140, off, s[0:3], 0 offset:204
	buffer_load_dword v142, off, s[0:3], 0 offset:180
	buffer_load_dword v141, off, s[0:3], 0 offset:176
	buffer_load_dword v144, off, s[0:3], 0 offset:220
	buffer_load_dword v147, off, s[0:3], 0 offset:232
	buffer_load_dword v135, off, s[0:3], 0 offset:224
	buffer_load_dword v143, off, s[0:3], 0 offset:216
	buffer_load_dword v128, off, s[0:3], 0 offset:196
	buffer_load_dword v148, off, s[0:3], 0 offset:236
	buffer_load_dword v150, off, s[0:3], 0 offset:212
	buffer_load_dword v149, off, s[0:3], 0 offset:208
	buffer_load_dword v152, off, s[0:3], 0 offset:252
	buffer_load_dword v155, off, s[0:3], 0 offset:264
	buffer_load_dword v145, off, s[0:3], 0 offset:256
	buffer_load_dword v151, off, s[0:3], 0 offset:248
	buffer_load_dword v136, off, s[0:3], 0 offset:228
	buffer_load_dword v156, off, s[0:3], 0 offset:268
	buffer_load_dword v158, off, s[0:3], 0 offset:244
	buffer_load_dword v157, off, s[0:3], 0 offset:240
	buffer_load_dword v160, off, s[0:3], 0 offset:284
	buffer_load_dword v163, off, s[0:3], 0 offset:296
	buffer_load_dword v153, off, s[0:3], 0 offset:288
	buffer_load_dword v159, off, s[0:3], 0 offset:280
	buffer_load_dword v146, off, s[0:3], 0 offset:260
	buffer_load_dword v164, off, s[0:3], 0 offset:300
	buffer_load_dword v166, off, s[0:3], 0 offset:276
	buffer_load_dword v165, off, s[0:3], 0 offset:272
	buffer_load_dword v168, off, s[0:3], 0 offset:316
	buffer_load_dword v169, off, s[0:3], 0 offset:328
	buffer_load_dword v161, off, s[0:3], 0 offset:320
	buffer_load_dword v167, off, s[0:3], 0 offset:312
	buffer_load_dword v154, off, s[0:3], 0 offset:292
	v_mov_b32_e32 v174, 0
	s_mov_b32 s4, exec_lo
	ds_read_b128 v[5:8], v174 offset:912
	s_clause 0x2
	buffer_load_dword v170, off, s[0:3], 0 offset:332
	buffer_load_dword v172, off, s[0:3], 0 offset:308
	;; [unrolled: 1-line block ×3, first 2 shown]
	ds_read_b128 v[1:4], v174 offset:928
	s_clause 0x4
	buffer_load_dword v182, off, s[0:3], 0 offset:348
	buffer_load_dword v183, off, s[0:3], 0 offset:360
	;; [unrolled: 1-line block ×5, first 2 shown]
	ds_read_b128 v[175:178], v174 offset:944
	s_waitcnt vmcnt(62) lgkmcnt(2)
	v_mul_f64 v[179:180], v[7:8], v[121:122]
	v_mul_f64 v[121:122], v[5:6], v[121:122]
	s_waitcnt vmcnt(60) lgkmcnt(1)
	v_mul_f64 v[186:187], v[3:4], v[117:118]
	v_mul_f64 v[117:118], v[1:2], v[117:118]
	;; [unrolled: 3-line block ×3, first 2 shown]
	v_fma_f64 v[179:180], v[5:6], v[119:120], -v[179:180]
	v_fma_f64 v[119:120], v[7:8], v[119:120], v[121:122]
	s_clause 0x2
	buffer_load_dword v184, off, s[0:3], 0 offset:364
	buffer_load_dword v122, off, s[0:3], 0 offset:340
	;; [unrolled: 1-line block ×3, first 2 shown]
	s_waitcnt vmcnt(57)
	v_fma_f64 v[190:191], v[1:2], v[113:114], -v[186:187]
	ds_read_b128 v[5:8], v174 offset:960
	v_fma_f64 v[113:114], v[3:4], v[113:114], v[117:118]
	s_waitcnt vmcnt(51)
	v_fma_f64 v[175:176], v[175:176], v[137:138], -v[115:116]
	v_fma_f64 v[137:138], v[177:178], v[137:138], v[188:189]
	v_add_f64 v[179:180], v[179:180], 0
	v_add_f64 v[117:118], v[119:120], 0
	s_clause 0x4
	buffer_load_dword v120, off, s[0:3], 0 offset:380
	buffer_load_dword v187, off, s[0:3], 0 offset:392
	;; [unrolled: 1-line block ×5, first 2 shown]
	s_waitcnt lgkmcnt(0)
	v_mul_f64 v[193:194], v[5:6], v[125:126]
	v_mul_f64 v[125:126], v[7:8], v[125:126]
	ds_read_b128 v[1:4], v174 offset:976
	s_clause 0x2
	buffer_load_dword v188, off, s[0:3], 0 offset:396
	buffer_load_dword v178, off, s[0:3], 0 offset:372
	buffer_load_dword v177, off, s[0:3], 0 offset:368
	v_add_f64 v[179:180], v[179:180], v[190:191]
	v_add_f64 v[117:118], v[117:118], v[113:114]
	ds_read_b128 v[113:116], v174 offset:992
	s_waitcnt vmcnt(58) lgkmcnt(1)
	v_mul_f64 v[189:190], v[1:2], v[129:130]
	v_mul_f64 v[129:130], v[3:4], v[129:130]
	s_waitcnt vmcnt(56)
	v_fma_f64 v[125:126], v[5:6], v[131:132], -v[125:126]
	v_fma_f64 v[131:132], v[7:8], v[131:132], v[193:194]
	s_waitcnt vmcnt(52) lgkmcnt(0)
	v_mul_f64 v[195:196], v[113:114], v[133:134]
	v_add_f64 v[175:176], v[179:180], v[175:176]
	v_add_f64 v[117:118], v[117:118], v[137:138]
	s_clause 0x4
	buffer_load_dword v138, off, s[0:3], 0 offset:412
	buffer_load_dword v179, off, s[0:3], 0 offset:424
	;; [unrolled: 1-line block ×5, first 2 shown]
	v_mul_f64 v[133:134], v[115:116], v[133:134]
	s_waitcnt vmcnt(56)
	v_fma_f64 v[129:130], v[1:2], v[123:124], -v[129:130]
	ds_read_b128 v[5:8], v174 offset:1008
	v_fma_f64 v[123:124], v[3:4], v[123:124], v[189:190]
	v_add_f64 v[125:126], v[175:176], v[125:126]
	v_add_f64 v[117:118], v[117:118], v[131:132]
	s_clause 0x2
	buffer_load_dword v180, off, s[0:3], 0 offset:428
	buffer_load_dword v132, off, s[0:3], 0 offset:404
	;; [unrolled: 1-line block ×3, first 2 shown]
	s_waitcnt vmcnt(58) lgkmcnt(0)
	v_mul_f64 v[175:176], v[5:6], v[139:140]
	v_mul_f64 v[139:140], v[7:8], v[139:140]
	s_waitcnt vmcnt(56)
	v_fma_f64 v[133:134], v[113:114], v[141:142], -v[133:134]
	ds_read_b128 v[1:4], v174 offset:1024
	v_add_f64 v[125:126], v[125:126], v[129:130]
	v_fma_f64 v[129:130], v[115:116], v[141:142], v[195:196]
	v_add_f64 v[117:118], v[117:118], v[123:124]
	s_clause 0x4
	buffer_load_dword v124, off, s[0:3], 0 offset:444
	buffer_load_dword v141, off, s[0:3], 0 offset:456
	;; [unrolled: 1-line block ×5, first 2 shown]
	s_waitcnt vmcnt(57) lgkmcnt(0)
	v_mul_f64 v[190:191], v[1:2], v[143:144]
	v_mul_f64 v[143:144], v[3:4], v[143:144]
	s_waitcnt vmcnt(56)
	v_fma_f64 v[139:140], v[5:6], v[127:128], -v[139:140]
	ds_read_b128 v[113:116], v174 offset:1040
	v_fma_f64 v[127:128], v[7:8], v[127:128], v[175:176]
	v_add_f64 v[125:126], v[125:126], v[133:134]
	v_add_f64 v[117:118], v[117:118], v[129:130]
	s_clause 0x2
	buffer_load_dword v142, off, s[0:3], 0 offset:460
	buffer_load_dword v130, off, s[0:3], 0 offset:436
	;; [unrolled: 1-line block ×3, first 2 shown]
	ds_read_b128 v[5:8], v174 offset:1056
	s_waitcnt vmcnt(58) lgkmcnt(1)
	v_mul_f64 v[133:134], v[113:114], v[147:148]
	v_mul_f64 v[147:148], v[115:116], v[147:148]
	s_waitcnt vmcnt(56)
	v_fma_f64 v[143:144], v[1:2], v[149:150], -v[143:144]
	v_add_f64 v[125:126], v[125:126], v[139:140]
	v_fma_f64 v[139:140], v[3:4], v[149:150], v[190:191]
	v_add_f64 v[117:118], v[117:118], v[127:128]
	s_clause 0x4
	buffer_load_dword v128, off, s[0:3], 0 offset:476
	buffer_load_dword v149, off, s[0:3], 0 offset:488
	buffer_load_dword v175, off, s[0:3], 0 offset:480
	buffer_load_dword v127, off, s[0:3], 0 offset:472
	buffer_load_dword v190, off, s[0:3], 0 offset:452
	s_waitcnt vmcnt(57) lgkmcnt(0)
	v_mul_f64 v[196:197], v[5:6], v[151:152]
	v_mul_f64 v[151:152], v[7:8], v[151:152]
	s_waitcnt vmcnt(56)
	v_fma_f64 v[147:148], v[113:114], v[135:136], -v[147:148]
	ds_read_b128 v[1:4], v174 offset:1072
	v_fma_f64 v[133:134], v[115:116], v[135:136], v[133:134]
	s_clause 0x2
	buffer_load_dword v150, off, s[0:3], 0 offset:492
	buffer_load_dword v136, off, s[0:3], 0 offset:468
	;; [unrolled: 1-line block ×3, first 2 shown]
	ds_read_b128 v[113:116], v174 offset:1088
	v_add_f64 v[125:126], v[125:126], v[143:144]
	v_add_f64 v[117:118], v[117:118], v[139:140]
	s_waitcnt vmcnt(58) lgkmcnt(1)
	v_mul_f64 v[143:144], v[3:4], v[155:156]
	s_waitcnt vmcnt(56)
	v_fma_f64 v[151:152], v[5:6], v[157:158], -v[151:152]
	v_mul_f64 v[139:140], v[1:2], v[155:156]
	v_add_f64 v[125:126], v[125:126], v[147:148]
	v_fma_f64 v[147:148], v[7:8], v[157:158], v[196:197]
	v_add_f64 v[117:118], v[117:118], v[133:134]
	s_clause 0x4
	buffer_load_dword v134, off, s[0:3], 0 offset:508
	buffer_load_dword v155, off, s[0:3], 0 offset:520
	;; [unrolled: 1-line block ×5, first 2 shown]
	s_waitcnt vmcnt(57) lgkmcnt(0)
	v_mul_f64 v[196:197], v[113:114], v[159:160]
	v_mul_f64 v[158:159], v[115:116], v[159:160]
	s_waitcnt vmcnt(56)
	v_fma_f64 v[143:144], v[1:2], v[145:146], -v[143:144]
	ds_read_b128 v[5:8], v174 offset:1104
	v_fma_f64 v[139:140], v[3:4], v[145:146], v[139:140]
	s_clause 0x2
	buffer_load_dword v156, off, s[0:3], 0 offset:524
	buffer_load_dword v146, off, s[0:3], 0 offset:500
	;; [unrolled: 1-line block ×3, first 2 shown]
	ds_read_b128 v[1:4], v174 offset:1120
	v_add_f64 v[125:126], v[125:126], v[151:152]
	v_add_f64 v[117:118], v[117:118], v[147:148]
	s_waitcnt vmcnt(58) lgkmcnt(1)
	v_mul_f64 v[151:152], v[7:8], v[163:164]
	s_waitcnt vmcnt(56)
	v_fma_f64 v[159:160], v[113:114], v[165:166], -v[158:159]
	v_mul_f64 v[147:148], v[5:6], v[163:164]
	v_add_f64 v[125:126], v[125:126], v[143:144]
	v_fma_f64 v[143:144], v[115:116], v[165:166], v[196:197]
	v_add_f64 v[117:118], v[117:118], v[139:140]
	s_clause 0x4
	buffer_load_dword v140, off, s[0:3], 0 offset:540
	buffer_load_dword v163, off, s[0:3], 0 offset:552
	;; [unrolled: 1-line block ×5, first 2 shown]
	s_waitcnt vmcnt(57) lgkmcnt(0)
	v_mul_f64 v[196:197], v[1:2], v[167:168]
	v_mul_f64 v[166:167], v[3:4], v[167:168]
	s_waitcnt vmcnt(56)
	v_fma_f64 v[151:152], v[5:6], v[153:154], -v[151:152]
	ds_read_b128 v[113:116], v174 offset:1136
	v_fma_f64 v[147:148], v[7:8], v[153:154], v[147:148]
	v_add_f64 v[125:126], v[125:126], v[159:160]
	v_add_f64 v[117:118], v[117:118], v[143:144]
	s_clause 0x2
	buffer_load_dword v164, off, s[0:3], 0 offset:556
	buffer_load_dword v144, off, s[0:3], 0 offset:532
	;; [unrolled: 1-line block ×3, first 2 shown]
	ds_read_b128 v[5:8], v174 offset:1152
	s_waitcnt vmcnt(58) lgkmcnt(1)
	v_mul_f64 v[159:160], v[115:116], v[169:170]
	s_waitcnt vmcnt(56)
	v_fma_f64 v[167:168], v[1:2], v[171:172], -v[166:167]
	v_mul_f64 v[153:154], v[113:114], v[169:170]
	v_add_f64 v[125:126], v[125:126], v[151:152]
	v_fma_f64 v[151:152], v[3:4], v[171:172], v[196:197]
	v_add_f64 v[117:118], v[117:118], v[147:148]
	s_clause 0x4
	buffer_load_dword v148, off, s[0:3], 0 offset:572
	buffer_load_dword v169, off, s[0:3], 0 offset:584
	;; [unrolled: 1-line block ×5, first 2 shown]
	s_waitcnt vmcnt(57) lgkmcnt(0)
	v_mul_f64 v[196:197], v[5:6], v[181:182]
	v_mul_f64 v[181:182], v[7:8], v[181:182]
	s_waitcnt vmcnt(56)
	v_fma_f64 v[159:160], v[113:114], v[161:162], -v[159:160]
	ds_read_b128 v[1:4], v174 offset:1168
	v_fma_f64 v[153:154], v[115:116], v[161:162], v[153:154]
	v_add_f64 v[125:126], v[125:126], v[167:168]
	v_add_f64 v[117:118], v[117:118], v[151:152]
	s_clause 0x2
	buffer_load_dword v170, off, s[0:3], 0 offset:588
	buffer_load_dword v152, off, s[0:3], 0 offset:564
	;; [unrolled: 1-line block ×3, first 2 shown]
	ds_read_b128 v[113:116], v174 offset:1184
	s_waitcnt vmcnt(58) lgkmcnt(1)
	v_mul_f64 v[167:168], v[3:4], v[183:184]
	v_mul_f64 v[161:162], v[1:2], v[183:184]
	s_waitcnt vmcnt(56)
	v_fma_f64 v[181:182], v[5:6], v[121:122], -v[181:182]
	v_fma_f64 v[121:122], v[7:8], v[121:122], v[196:197]
	v_add_f64 v[125:126], v[125:126], v[159:160]
	v_add_f64 v[117:118], v[117:118], v[153:154]
	s_clause 0x4
	buffer_load_dword v154, off, s[0:3], 0 offset:604
	buffer_load_dword v159, off, s[0:3], 0 offset:616
	;; [unrolled: 1-line block ×5, first 2 shown]
	ds_read_b128 v[5:8], v174 offset:1200
	s_waitcnt vmcnt(57) lgkmcnt(1)
	v_mul_f64 v[196:197], v[113:114], v[119:120]
	v_mul_f64 v[119:120], v[115:116], v[119:120]
	s_waitcnt vmcnt(56)
	v_fma_f64 v[167:168], v[1:2], v[185:186], -v[167:168]
	v_fma_f64 v[161:162], v[3:4], v[185:186], v[161:162]
	v_add_f64 v[125:126], v[125:126], v[181:182]
	v_add_f64 v[117:118], v[117:118], v[121:122]
	s_clause 0x2
	buffer_load_dword v160, off, s[0:3], 0 offset:620
	buffer_load_dword v122, off, s[0:3], 0 offset:596
	;; [unrolled: 1-line block ×3, first 2 shown]
	s_waitcnt vmcnt(58) lgkmcnt(0)
	v_mul_f64 v[185:186], v[7:8], v[187:188]
	ds_read_b128 v[1:4], v174 offset:1216
	v_mul_f64 v[181:182], v[5:6], v[187:188]
	s_waitcnt vmcnt(56)
	v_fma_f64 v[119:120], v[113:114], v[177:178], -v[119:120]
	v_add_f64 v[125:126], v[125:126], v[167:168]
	v_fma_f64 v[167:168], v[115:116], v[177:178], v[196:197]
	v_add_f64 v[117:118], v[117:118], v[161:162]
	s_clause 0x4
	buffer_load_dword v162, off, s[0:3], 0 offset:636
	buffer_load_dword v177, off, s[0:3], 0 offset:648
	;; [unrolled: 1-line block ×5, first 2 shown]
	ds_read_b128 v[113:116], v174 offset:1232
	s_waitcnt vmcnt(57) lgkmcnt(1)
	v_mul_f64 v[196:197], v[1:2], v[137:138]
	v_mul_f64 v[137:138], v[3:4], v[137:138]
	s_waitcnt vmcnt(56)
	v_fma_f64 v[185:186], v[5:6], v[192:193], -v[185:186]
	v_add_f64 v[119:120], v[125:126], v[119:120]
	v_fma_f64 v[125:126], v[7:8], v[192:193], v[181:182]
	v_add_f64 v[117:118], v[117:118], v[167:168]
	s_clause 0x2
	buffer_load_dword v178, off, s[0:3], 0 offset:652
	buffer_load_dword v168, off, s[0:3], 0 offset:628
	buffer_load_dword v167, off, s[0:3], 0 offset:624
	ds_read_b128 v[5:8], v174 offset:1248
	s_waitcnt vmcnt(58) lgkmcnt(1)
	v_mul_f64 v[181:182], v[113:114], v[179:180]
	v_mul_f64 v[179:180], v[115:116], v[179:180]
	s_waitcnt vmcnt(56)
	v_fma_f64 v[137:138], v[1:2], v[131:132], -v[137:138]
	v_fma_f64 v[131:132], v[3:4], v[131:132], v[196:197]
	v_add_f64 v[119:120], v[119:120], v[185:186]
	v_add_f64 v[117:118], v[117:118], v[125:126]
	s_clause 0x4
	buffer_load_dword v126, off, s[0:3], 0 offset:668
	buffer_load_dword v185, off, s[0:3], 0 offset:680
	;; [unrolled: 1-line block ×5, first 2 shown]
	ds_read_b128 v[1:4], v174 offset:1264
	s_waitcnt vmcnt(57) lgkmcnt(1)
	v_mul_f64 v[192:193], v[5:6], v[123:124]
	v_mul_f64 v[123:124], v[7:8], v[123:124]
	s_waitcnt vmcnt(56)
	v_fma_f64 v[179:180], v[113:114], v[194:195], -v[179:180]
	v_add_f64 v[119:120], v[119:120], v[137:138]
	v_fma_f64 v[137:138], v[115:116], v[194:195], v[181:182]
	v_add_f64 v[117:118], v[117:118], v[131:132]
	s_clause 0x2
	buffer_load_dword v186, off, s[0:3], 0 offset:684
	buffer_load_dword v132, off, s[0:3], 0 offset:660
	buffer_load_dword v131, off, s[0:3], 0 offset:656
	ds_read_b128 v[113:116], v174 offset:1280
	s_waitcnt vmcnt(58) lgkmcnt(1)
	v_mul_f64 v[181:182], v[1:2], v[141:142]
	v_mul_f64 v[141:142], v[3:4], v[141:142]
	s_waitcnt vmcnt(56)
	v_fma_f64 v[123:124], v[5:6], v[129:130], -v[123:124]
	v_fma_f64 v[129:130], v[7:8], v[129:130], v[192:193]
	v_add_f64 v[119:120], v[119:120], v[179:180]
	v_add_f64 v[117:118], v[117:118], v[137:138]
	s_clause 0x4
	buffer_load_dword v138, off, s[0:3], 0 offset:700
	buffer_load_dword v179, off, s[0:3], 0 offset:712
	;; [unrolled: 1-line block ×5, first 2 shown]
	ds_read_b128 v[5:8], v174 offset:1296
	s_waitcnt vmcnt(57) lgkmcnt(1)
	v_mul_f64 v[194:195], v[113:114], v[127:128]
	v_mul_f64 v[127:128], v[115:116], v[127:128]
	s_waitcnt vmcnt(56)
	v_fma_f64 v[141:142], v[1:2], v[189:190], -v[141:142]
	v_add_f64 v[119:120], v[119:120], v[123:124]
	v_fma_f64 v[123:124], v[3:4], v[189:190], v[181:182]
	v_add_f64 v[117:118], v[117:118], v[129:130]
	s_clause 0x2
	buffer_load_dword v180, off, s[0:3], 0 offset:716
	buffer_load_dword v130, off, s[0:3], 0 offset:692
	;; [unrolled: 1-line block ×3, first 2 shown]
	s_waitcnt vmcnt(58) lgkmcnt(0)
	v_mul_f64 v[181:182], v[5:6], v[149:150]
	v_mul_f64 v[149:150], v[7:8], v[149:150]
	ds_read_b128 v[1:4], v174 offset:1312
	s_waitcnt vmcnt(56)
	v_fma_f64 v[127:128], v[113:114], v[135:136], -v[127:128]
	v_fma_f64 v[135:136], v[115:116], v[135:136], v[194:195]
	v_add_f64 v[119:120], v[119:120], v[141:142]
	v_add_f64 v[117:118], v[117:118], v[123:124]
	s_clause 0x4
	buffer_load_dword v124, off, s[0:3], 0 offset:732
	buffer_load_dword v141, off, s[0:3], 0 offset:744
	buffer_load_dword v189, off, s[0:3], 0 offset:736
	buffer_load_dword v123, off, s[0:3], 0 offset:728
	buffer_load_dword v194, off, s[0:3], 0 offset:708
	ds_read_b128 v[113:116], v174 offset:1328
	s_waitcnt vmcnt(57) lgkmcnt(1)
	v_mul_f64 v[195:196], v[1:2], v[133:134]
	v_mul_f64 v[133:134], v[3:4], v[133:134]
	s_waitcnt vmcnt(56)
	v_fma_f64 v[149:150], v[5:6], v[175:176], -v[149:150]
	v_add_f64 v[119:120], v[119:120], v[127:128]
	v_fma_f64 v[127:128], v[7:8], v[175:176], v[181:182]
	v_add_f64 v[117:118], v[117:118], v[135:136]
	s_clause 0x2
	buffer_load_dword v142, off, s[0:3], 0 offset:748
	buffer_load_dword v136, off, s[0:3], 0 offset:724
	;; [unrolled: 1-line block ×3, first 2 shown]
	s_waitcnt vmcnt(58) lgkmcnt(0)
	v_mul_f64 v[175:176], v[113:114], v[155:156]
	v_mul_f64 v[155:156], v[115:116], v[155:156]
	ds_read_b128 v[5:8], v174 offset:1344
	s_waitcnt vmcnt(56)
	v_fma_f64 v[133:134], v[1:2], v[145:146], -v[133:134]
	v_fma_f64 v[145:146], v[3:4], v[145:146], v[195:196]
	v_add_f64 v[119:120], v[119:120], v[149:150]
	v_add_f64 v[117:118], v[117:118], v[127:128]
	s_clause 0x4
	buffer_load_dword v128, off, s[0:3], 0 offset:764
	buffer_load_dword v149, off, s[0:3], 0 offset:776
	;; [unrolled: 1-line block ×5, first 2 shown]
	ds_read_b128 v[1:4], v174 offset:1360
	s_waitcnt vmcnt(57) lgkmcnt(1)
	v_mul_f64 v[195:196], v[5:6], v[139:140]
	v_mul_f64 v[139:140], v[7:8], v[139:140]
	s_waitcnt vmcnt(56)
	v_fma_f64 v[155:156], v[113:114], v[157:158], -v[155:156]
	v_add_f64 v[119:120], v[119:120], v[133:134]
	v_fma_f64 v[133:134], v[115:116], v[157:158], v[175:176]
	v_add_f64 v[117:118], v[117:118], v[145:146]
	s_clause 0x2
	buffer_load_dword v150, off, s[0:3], 0 offset:780
	buffer_load_dword v146, off, s[0:3], 0 offset:756
	;; [unrolled: 1-line block ×3, first 2 shown]
	ds_read_b128 v[113:116], v174 offset:1376
	s_waitcnt vmcnt(58) lgkmcnt(1)
	v_mul_f64 v[157:158], v[1:2], v[163:164]
	v_mul_f64 v[163:164], v[3:4], v[163:164]
	s_waitcnt vmcnt(56)
	v_fma_f64 v[139:140], v[5:6], v[143:144], -v[139:140]
	v_fma_f64 v[143:144], v[7:8], v[143:144], v[195:196]
	v_add_f64 v[119:120], v[119:120], v[155:156]
	v_add_f64 v[117:118], v[117:118], v[133:134]
	s_clause 0x4
	buffer_load_dword v134, off, s[0:3], 0 offset:796
	buffer_load_dword v155, off, s[0:3], 0 offset:808
	;; [unrolled: 1-line block ×5, first 2 shown]
	ds_read_b128 v[5:8], v174 offset:1392
	s_waitcnt vmcnt(57) lgkmcnt(1)
	v_mul_f64 v[195:196], v[113:114], v[147:148]
	v_mul_f64 v[147:148], v[115:116], v[147:148]
	s_waitcnt vmcnt(56)
	v_fma_f64 v[163:164], v[1:2], v[165:166], -v[163:164]
	v_add_f64 v[119:120], v[119:120], v[139:140]
	v_fma_f64 v[139:140], v[3:4], v[165:166], v[157:158]
	v_add_f64 v[117:118], v[117:118], v[143:144]
	s_clause 0x2
	buffer_load_dword v156, off, s[0:3], 0 offset:812
	buffer_load_dword v144, off, s[0:3], 0 offset:788
	buffer_load_dword v143, off, s[0:3], 0 offset:784
	ds_read_b128 v[1:4], v174 offset:1408
	s_waitcnt vmcnt(58) lgkmcnt(1)
	v_mul_f64 v[165:166], v[7:8], v[169:170]
	v_mul_f64 v[157:158], v[5:6], v[169:170]
	s_waitcnt vmcnt(56)
	v_fma_f64 v[147:148], v[113:114], v[151:152], -v[147:148]
	v_fma_f64 v[151:152], v[115:116], v[151:152], v[195:196]
	v_add_f64 v[119:120], v[119:120], v[163:164]
	v_add_f64 v[117:118], v[117:118], v[139:140]
	s_clause 0x4
	buffer_load_dword v140, off, s[0:3], 0 offset:828
	buffer_load_dword v163, off, s[0:3], 0 offset:840
	;; [unrolled: 1-line block ×5, first 2 shown]
	ds_read_b128 v[113:116], v174 offset:1424
	s_waitcnt vmcnt(57) lgkmcnt(1)
	v_mul_f64 v[195:196], v[1:2], v[153:154]
	v_mul_f64 v[153:154], v[3:4], v[153:154]
	s_waitcnt vmcnt(56)
	v_fma_f64 v[165:166], v[5:6], v[171:172], -v[165:166]
	v_add_f64 v[119:120], v[119:120], v[147:148]
	v_fma_f64 v[147:148], v[7:8], v[171:172], v[157:158]
	v_add_f64 v[117:118], v[117:118], v[151:152]
	s_clause 0x2
	buffer_load_dword v164, off, s[0:3], 0 offset:844
	buffer_load_dword v152, off, s[0:3], 0 offset:820
	buffer_load_dword v151, off, s[0:3], 0 offset:816
	ds_read_b128 v[5:8], v174 offset:1440
	buffer_load_dword v170, off, s[0:3], 0 offset:836
	s_waitcnt vmcnt(59) lgkmcnt(1)
	v_mul_f64 v[157:158], v[113:114], v[159:160]
	v_mul_f64 v[159:160], v[115:116], v[159:160]
	s_waitcnt vmcnt(57)
	v_fma_f64 v[153:154], v[1:2], v[121:122], -v[153:154]
	v_fma_f64 v[121:122], v[3:4], v[121:122], v[195:196]
	ds_read_b128 v[1:4], v174 offset:1456
	v_add_f64 v[119:120], v[119:120], v[165:166]
	v_add_f64 v[117:118], v[117:118], v[147:148]
	s_waitcnt vmcnt(53) lgkmcnt(1)
	v_mul_f64 v[147:148], v[5:6], v[161:162]
	v_mul_f64 v[161:162], v[7:8], v[161:162]
	s_waitcnt vmcnt(52)
	v_fma_f64 v[159:160], v[113:114], v[183:184], -v[159:160]
	v_add_f64 v[119:120], v[119:120], v[153:154]
	v_fma_f64 v[153:154], v[115:116], v[183:184], v[157:158]
	v_add_f64 v[117:118], v[117:118], v[121:122]
	ds_read_b128 v[113:116], v174 offset:1472
	s_waitcnt vmcnt(51) lgkmcnt(1)
	v_mul_f64 v[157:158], v[3:4], v[177:178]
	v_mul_f64 v[121:122], v[1:2], v[177:178]
	s_waitcnt vmcnt(49)
	v_fma_f64 v[161:162], v[5:6], v[167:168], -v[161:162]
	v_fma_f64 v[147:148], v[7:8], v[167:168], v[147:148]
	v_add_f64 v[119:120], v[119:120], v[159:160]
	v_add_f64 v[117:118], v[117:118], v[153:154]
	s_clause 0x3
	buffer_load_dword v153, off, s[0:3], 0 offset:80
	buffer_load_dword v154, off, s[0:3], 0 offset:84
	;; [unrolled: 1-line block ×4, first 2 shown]
	ds_read_b128 v[5:8], v174 offset:1488
	s_waitcnt vmcnt(49) lgkmcnt(1)
	v_mul_f64 v[165:166], v[113:114], v[125:126]
	v_mul_f64 v[125:126], v[115:116], v[125:126]
	s_waitcnt vmcnt(48)
	v_fma_f64 v[157:158], v[1:2], v[187:188], -v[157:158]
	v_fma_f64 v[121:122], v[3:4], v[187:188], v[121:122]
	ds_read_b128 v[1:4], v174 offset:1504
	v_add_f64 v[119:120], v[119:120], v[161:162]
	v_add_f64 v[117:118], v[117:118], v[147:148]
	s_waitcnt vmcnt(47) lgkmcnt(1)
	v_mul_f64 v[161:162], v[7:8], v[185:186]
	v_mul_f64 v[147:148], v[5:6], v[185:186]
	s_waitcnt vmcnt(45)
	v_fma_f64 v[125:126], v[113:114], v[131:132], -v[125:126]
	v_fma_f64 v[131:132], v[115:116], v[131:132], v[165:166]
	ds_read_b128 v[113:116], v174 offset:1520
	v_add_f64 v[119:120], v[119:120], v[157:158]
	v_add_f64 v[117:118], v[117:118], v[121:122]
	s_waitcnt vmcnt(41) lgkmcnt(1)
	v_mul_f64 v[121:122], v[1:2], v[137:138]
	v_mul_f64 v[137:138], v[3:4], v[137:138]
	s_waitcnt vmcnt(40)
	v_fma_f64 v[157:158], v[5:6], v[191:192], -v[161:162]
	v_add_f64 v[119:120], v[119:120], v[125:126]
	v_fma_f64 v[125:126], v[7:8], v[191:192], v[147:148]
	v_add_f64 v[117:118], v[117:118], v[131:132]
	ds_read_b128 v[5:8], v174 offset:1536
	s_waitcnt vmcnt(39) lgkmcnt(1)
	v_mul_f64 v[147:148], v[115:116], v[179:180]
	v_mul_f64 v[131:132], v[113:114], v[179:180]
	s_waitcnt vmcnt(37)
	v_fma_f64 v[137:138], v[1:2], v[129:130], -v[137:138]
	v_fma_f64 v[121:122], v[3:4], v[129:130], v[121:122]
	ds_read_b128 v[1:4], v174 offset:1552
	v_add_f64 v[119:120], v[119:120], v[157:158]
	v_add_f64 v[117:118], v[117:118], v[125:126]
	s_waitcnt vmcnt(33) lgkmcnt(1)
	v_mul_f64 v[125:126], v[5:6], v[123:124]
	v_mul_f64 v[123:124], v[7:8], v[123:124]
	s_waitcnt vmcnt(32)
	v_fma_f64 v[129:130], v[113:114], v[193:194], -v[147:148]
	v_fma_f64 v[131:132], v[115:116], v[193:194], v[131:132]
	ds_read_b128 v[113:116], v174 offset:1568
	v_add_f64 v[119:120], v[119:120], v[137:138]
	v_add_f64 v[117:118], v[117:118], v[121:122]
	;; [unrolled: 9-line block ×5, first 2 shown]
	s_waitcnt vmcnt(17) lgkmcnt(1)
	v_mul_f64 v[131:132], v[3:4], v[133:134]
	s_waitcnt vmcnt(16)
	v_fma_f64 v[125:126], v[5:6], v[181:182], -v[125:126]
	v_mul_f64 v[121:122], v[1:2], v[133:134]
	v_fma_f64 v[123:124], v[7:8], v[181:182], v[123:124]
	ds_read_b128 v[5:8], v174 offset:1632
	v_add_f64 v[119:120], v[119:120], v[127:128]
	v_add_f64 v[117:118], v[117:118], v[129:130]
	s_waitcnt vmcnt(15) lgkmcnt(1)
	v_mul_f64 v[129:130], v[115:116], v[155:156]
	v_mul_f64 v[127:128], v[113:114], v[155:156]
	s_waitcnt vmcnt(13)
	v_fma_f64 v[131:132], v[1:2], v[143:144], -v[131:132]
	v_fma_f64 v[121:122], v[3:4], v[143:144], v[121:122]
	ds_read_b128 v[1:4], v174 offset:1648
	v_add_f64 v[119:120], v[119:120], v[125:126]
	v_add_f64 v[117:118], v[117:118], v[123:124]
	s_waitcnt vmcnt(9) lgkmcnt(1)
	v_mul_f64 v[125:126], v[7:8], v[139:140]
	s_waitcnt vmcnt(8)
	v_fma_f64 v[113:114], v[113:114], v[175:176], -v[129:130]
	v_mul_f64 v[123:124], v[5:6], v[139:140]
	v_fma_f64 v[115:116], v[115:116], v[175:176], v[127:128]
	v_add_f64 v[119:120], v[119:120], v[131:132]
	v_add_f64 v[117:118], v[117:118], v[121:122]
	s_waitcnt vmcnt(7) lgkmcnt(0)
	v_mul_f64 v[127:128], v[3:4], v[163:164]
	v_mul_f64 v[121:122], v[1:2], v[163:164]
	s_waitcnt vmcnt(5)
	v_fma_f64 v[5:6], v[5:6], v[151:152], -v[125:126]
	v_fma_f64 v[7:8], v[7:8], v[151:152], v[123:124]
	v_add_f64 v[113:114], v[119:120], v[113:114]
	v_add_f64 v[115:116], v[117:118], v[115:116]
	s_waitcnt vmcnt(4)
	v_fma_f64 v[1:2], v[1:2], v[169:170], -v[127:128]
	v_fma_f64 v[3:4], v[3:4], v[169:170], v[121:122]
	v_add_f64 v[5:6], v[113:114], v[5:6]
	v_add_f64 v[7:8], v[115:116], v[7:8]
	;; [unrolled: 1-line block ×4, first 2 shown]
	s_waitcnt vmcnt(2)
	v_add_f64 v[1:2], v[153:154], -v[1:2]
	s_waitcnt vmcnt(0)
	v_add_f64 v[3:4], v[159:160], -v[3:4]
	buffer_store_dword v2, off, s[0:3], 0 offset:84
	buffer_store_dword v1, off, s[0:3], 0 offset:80
	;; [unrolled: 1-line block ×4, first 2 shown]
	v_cmpx_lt_u32_e32 3, v0
	s_cbranch_execz .LBB115_319
; %bb.318:
	v_mov_b32_e32 v4, s61
	s_clause 0x3
	buffer_load_dword v1, v4, s[0:3], 0 offen
	buffer_load_dword v2, v4, s[0:3], 0 offen offset:4
	buffer_load_dword v3, v4, s[0:3], 0 offen offset:8
	;; [unrolled: 1-line block ×3, first 2 shown]
	buffer_store_dword v174, off, s[0:3], 0 offset:64
	buffer_store_dword v174, off, s[0:3], 0 offset:68
	;; [unrolled: 1-line block ×4, first 2 shown]
	s_waitcnt vmcnt(0)
	ds_write_b128 v173, v[1:4]
.LBB115_319:
	s_or_b32 exec_lo, exec_lo, s4
	s_waitcnt lgkmcnt(0)
	s_waitcnt_vscnt null, 0x0
	s_barrier
	buffer_gl0_inv
	s_clause 0x37
	buffer_load_dword v121, off, s[0:3], 0 offset:88
	buffer_load_dword v122, off, s[0:3], 0 offset:92
	;; [unrolled: 1-line block ×56, first 2 shown]
	ds_read_b128 v[5:8], v174 offset:896
	s_clause 0x2
	buffer_load_dword v170, off, s[0:3], 0 offset:316
	buffer_load_dword v172, off, s[0:3], 0 offset:292
	;; [unrolled: 1-line block ×3, first 2 shown]
	ds_read_b128 v[1:4], v174 offset:912
	s_clause 0x4
	buffer_load_dword v182, off, s[0:3], 0 offset:332
	buffer_load_dword v183, off, s[0:3], 0 offset:344
	;; [unrolled: 1-line block ×5, first 2 shown]
	ds_read_b128 v[175:178], v174 offset:928
	s_mov_b32 s4, exec_lo
	s_waitcnt vmcnt(62) lgkmcnt(2)
	v_mul_f64 v[179:180], v[7:8], v[121:122]
	v_mul_f64 v[121:122], v[5:6], v[121:122]
	s_waitcnt vmcnt(60) lgkmcnt(1)
	v_mul_f64 v[186:187], v[3:4], v[117:118]
	v_mul_f64 v[117:118], v[1:2], v[117:118]
	;; [unrolled: 3-line block ×3, first 2 shown]
	v_fma_f64 v[179:180], v[5:6], v[119:120], -v[179:180]
	v_fma_f64 v[119:120], v[7:8], v[119:120], v[121:122]
	s_clause 0x2
	buffer_load_dword v184, off, s[0:3], 0 offset:348
	buffer_load_dword v122, off, s[0:3], 0 offset:324
	buffer_load_dword v121, off, s[0:3], 0 offset:320
	s_waitcnt vmcnt(57)
	v_fma_f64 v[190:191], v[1:2], v[113:114], -v[186:187]
	ds_read_b128 v[5:8], v174 offset:944
	v_fma_f64 v[113:114], v[3:4], v[113:114], v[117:118]
	s_waitcnt vmcnt(51)
	v_fma_f64 v[175:176], v[175:176], v[137:138], -v[115:116]
	v_fma_f64 v[137:138], v[177:178], v[137:138], v[188:189]
	v_add_f64 v[179:180], v[179:180], 0
	v_add_f64 v[117:118], v[119:120], 0
	s_clause 0x4
	buffer_load_dword v120, off, s[0:3], 0 offset:364
	buffer_load_dword v187, off, s[0:3], 0 offset:376
	;; [unrolled: 1-line block ×5, first 2 shown]
	s_waitcnt lgkmcnt(0)
	v_mul_f64 v[193:194], v[5:6], v[125:126]
	v_mul_f64 v[125:126], v[7:8], v[125:126]
	ds_read_b128 v[1:4], v174 offset:960
	s_clause 0x2
	buffer_load_dword v188, off, s[0:3], 0 offset:380
	buffer_load_dword v178, off, s[0:3], 0 offset:356
	;; [unrolled: 1-line block ×3, first 2 shown]
	v_add_f64 v[179:180], v[179:180], v[190:191]
	v_add_f64 v[117:118], v[117:118], v[113:114]
	ds_read_b128 v[113:116], v174 offset:976
	s_waitcnt vmcnt(58) lgkmcnt(1)
	v_mul_f64 v[189:190], v[1:2], v[129:130]
	v_mul_f64 v[129:130], v[3:4], v[129:130]
	s_waitcnt vmcnt(56)
	v_fma_f64 v[125:126], v[5:6], v[131:132], -v[125:126]
	v_fma_f64 v[131:132], v[7:8], v[131:132], v[193:194]
	s_waitcnt vmcnt(52) lgkmcnt(0)
	v_mul_f64 v[195:196], v[113:114], v[133:134]
	v_add_f64 v[175:176], v[179:180], v[175:176]
	v_add_f64 v[117:118], v[117:118], v[137:138]
	s_clause 0x4
	buffer_load_dword v138, off, s[0:3], 0 offset:396
	buffer_load_dword v179, off, s[0:3], 0 offset:408
	;; [unrolled: 1-line block ×5, first 2 shown]
	v_mul_f64 v[133:134], v[115:116], v[133:134]
	s_waitcnt vmcnt(56)
	v_fma_f64 v[129:130], v[1:2], v[123:124], -v[129:130]
	ds_read_b128 v[5:8], v174 offset:992
	v_fma_f64 v[123:124], v[3:4], v[123:124], v[189:190]
	v_add_f64 v[125:126], v[175:176], v[125:126]
	v_add_f64 v[117:118], v[117:118], v[131:132]
	s_clause 0x2
	buffer_load_dword v180, off, s[0:3], 0 offset:412
	buffer_load_dword v132, off, s[0:3], 0 offset:388
	;; [unrolled: 1-line block ×3, first 2 shown]
	s_waitcnt vmcnt(58) lgkmcnt(0)
	v_mul_f64 v[175:176], v[5:6], v[139:140]
	v_mul_f64 v[139:140], v[7:8], v[139:140]
	s_waitcnt vmcnt(56)
	v_fma_f64 v[133:134], v[113:114], v[141:142], -v[133:134]
	ds_read_b128 v[1:4], v174 offset:1008
	v_add_f64 v[125:126], v[125:126], v[129:130]
	v_fma_f64 v[129:130], v[115:116], v[141:142], v[195:196]
	v_add_f64 v[117:118], v[117:118], v[123:124]
	s_clause 0x4
	buffer_load_dword v124, off, s[0:3], 0 offset:428
	buffer_load_dword v141, off, s[0:3], 0 offset:440
	buffer_load_dword v189, off, s[0:3], 0 offset:432
	buffer_load_dword v123, off, s[0:3], 0 offset:424
	buffer_load_dword v195, off, s[0:3], 0 offset:404
	s_waitcnt vmcnt(57) lgkmcnt(0)
	v_mul_f64 v[190:191], v[1:2], v[143:144]
	v_mul_f64 v[143:144], v[3:4], v[143:144]
	s_waitcnt vmcnt(56)
	v_fma_f64 v[139:140], v[5:6], v[127:128], -v[139:140]
	ds_read_b128 v[113:116], v174 offset:1024
	v_fma_f64 v[127:128], v[7:8], v[127:128], v[175:176]
	v_add_f64 v[125:126], v[125:126], v[133:134]
	v_add_f64 v[117:118], v[117:118], v[129:130]
	s_clause 0x2
	buffer_load_dword v142, off, s[0:3], 0 offset:444
	buffer_load_dword v130, off, s[0:3], 0 offset:420
	buffer_load_dword v129, off, s[0:3], 0 offset:416
	ds_read_b128 v[5:8], v174 offset:1040
	s_waitcnt vmcnt(58) lgkmcnt(1)
	v_mul_f64 v[133:134], v[113:114], v[147:148]
	v_mul_f64 v[147:148], v[115:116], v[147:148]
	s_waitcnt vmcnt(56)
	v_fma_f64 v[143:144], v[1:2], v[149:150], -v[143:144]
	v_add_f64 v[125:126], v[125:126], v[139:140]
	v_fma_f64 v[139:140], v[3:4], v[149:150], v[190:191]
	v_add_f64 v[117:118], v[117:118], v[127:128]
	s_clause 0x4
	buffer_load_dword v128, off, s[0:3], 0 offset:460
	buffer_load_dword v149, off, s[0:3], 0 offset:472
	;; [unrolled: 1-line block ×5, first 2 shown]
	s_waitcnt vmcnt(57) lgkmcnt(0)
	v_mul_f64 v[196:197], v[5:6], v[151:152]
	v_mul_f64 v[151:152], v[7:8], v[151:152]
	s_waitcnt vmcnt(56)
	v_fma_f64 v[147:148], v[113:114], v[135:136], -v[147:148]
	ds_read_b128 v[1:4], v174 offset:1056
	v_fma_f64 v[133:134], v[115:116], v[135:136], v[133:134]
	s_clause 0x2
	buffer_load_dword v150, off, s[0:3], 0 offset:476
	buffer_load_dword v136, off, s[0:3], 0 offset:452
	;; [unrolled: 1-line block ×3, first 2 shown]
	ds_read_b128 v[113:116], v174 offset:1072
	v_add_f64 v[125:126], v[125:126], v[143:144]
	v_add_f64 v[117:118], v[117:118], v[139:140]
	s_waitcnt vmcnt(58) lgkmcnt(1)
	v_mul_f64 v[143:144], v[3:4], v[155:156]
	s_waitcnt vmcnt(56)
	v_fma_f64 v[151:152], v[5:6], v[157:158], -v[151:152]
	v_mul_f64 v[139:140], v[1:2], v[155:156]
	v_add_f64 v[125:126], v[125:126], v[147:148]
	v_fma_f64 v[147:148], v[7:8], v[157:158], v[196:197]
	v_add_f64 v[117:118], v[117:118], v[133:134]
	s_clause 0x4
	buffer_load_dword v134, off, s[0:3], 0 offset:492
	buffer_load_dword v155, off, s[0:3], 0 offset:504
	;; [unrolled: 1-line block ×5, first 2 shown]
	s_waitcnt vmcnt(57) lgkmcnt(0)
	v_mul_f64 v[196:197], v[113:114], v[159:160]
	v_mul_f64 v[158:159], v[115:116], v[159:160]
	s_waitcnt vmcnt(56)
	v_fma_f64 v[143:144], v[1:2], v[145:146], -v[143:144]
	ds_read_b128 v[5:8], v174 offset:1088
	v_fma_f64 v[139:140], v[3:4], v[145:146], v[139:140]
	s_clause 0x2
	buffer_load_dword v156, off, s[0:3], 0 offset:508
	buffer_load_dword v146, off, s[0:3], 0 offset:484
	;; [unrolled: 1-line block ×3, first 2 shown]
	ds_read_b128 v[1:4], v174 offset:1104
	v_add_f64 v[125:126], v[125:126], v[151:152]
	v_add_f64 v[117:118], v[117:118], v[147:148]
	s_waitcnt vmcnt(58) lgkmcnt(1)
	v_mul_f64 v[151:152], v[7:8], v[163:164]
	s_waitcnt vmcnt(56)
	v_fma_f64 v[159:160], v[113:114], v[165:166], -v[158:159]
	v_mul_f64 v[147:148], v[5:6], v[163:164]
	v_add_f64 v[125:126], v[125:126], v[143:144]
	v_fma_f64 v[143:144], v[115:116], v[165:166], v[196:197]
	v_add_f64 v[117:118], v[117:118], v[139:140]
	s_clause 0x4
	buffer_load_dword v140, off, s[0:3], 0 offset:524
	buffer_load_dword v163, off, s[0:3], 0 offset:536
	;; [unrolled: 1-line block ×5, first 2 shown]
	s_waitcnt vmcnt(57) lgkmcnt(0)
	v_mul_f64 v[196:197], v[1:2], v[167:168]
	v_mul_f64 v[166:167], v[3:4], v[167:168]
	s_waitcnt vmcnt(56)
	v_fma_f64 v[151:152], v[5:6], v[153:154], -v[151:152]
	ds_read_b128 v[113:116], v174 offset:1120
	v_fma_f64 v[147:148], v[7:8], v[153:154], v[147:148]
	v_add_f64 v[125:126], v[125:126], v[159:160]
	v_add_f64 v[117:118], v[117:118], v[143:144]
	s_clause 0x2
	buffer_load_dword v164, off, s[0:3], 0 offset:540
	buffer_load_dword v144, off, s[0:3], 0 offset:516
	;; [unrolled: 1-line block ×3, first 2 shown]
	ds_read_b128 v[5:8], v174 offset:1136
	s_waitcnt vmcnt(58) lgkmcnt(1)
	v_mul_f64 v[159:160], v[115:116], v[169:170]
	s_waitcnt vmcnt(56)
	v_fma_f64 v[167:168], v[1:2], v[171:172], -v[166:167]
	v_mul_f64 v[153:154], v[113:114], v[169:170]
	v_add_f64 v[125:126], v[125:126], v[151:152]
	v_fma_f64 v[151:152], v[3:4], v[171:172], v[196:197]
	v_add_f64 v[117:118], v[117:118], v[147:148]
	s_clause 0x4
	buffer_load_dword v148, off, s[0:3], 0 offset:556
	buffer_load_dword v169, off, s[0:3], 0 offset:568
	;; [unrolled: 1-line block ×5, first 2 shown]
	s_waitcnt vmcnt(57) lgkmcnt(0)
	v_mul_f64 v[196:197], v[5:6], v[181:182]
	v_mul_f64 v[181:182], v[7:8], v[181:182]
	s_waitcnt vmcnt(56)
	v_fma_f64 v[159:160], v[113:114], v[161:162], -v[159:160]
	ds_read_b128 v[1:4], v174 offset:1152
	v_fma_f64 v[153:154], v[115:116], v[161:162], v[153:154]
	v_add_f64 v[125:126], v[125:126], v[167:168]
	v_add_f64 v[117:118], v[117:118], v[151:152]
	s_clause 0x2
	buffer_load_dword v170, off, s[0:3], 0 offset:572
	buffer_load_dword v152, off, s[0:3], 0 offset:548
	;; [unrolled: 1-line block ×3, first 2 shown]
	ds_read_b128 v[113:116], v174 offset:1168
	s_waitcnt vmcnt(58) lgkmcnt(1)
	v_mul_f64 v[167:168], v[3:4], v[183:184]
	v_mul_f64 v[161:162], v[1:2], v[183:184]
	s_waitcnt vmcnt(56)
	v_fma_f64 v[181:182], v[5:6], v[121:122], -v[181:182]
	v_fma_f64 v[121:122], v[7:8], v[121:122], v[196:197]
	v_add_f64 v[125:126], v[125:126], v[159:160]
	v_add_f64 v[117:118], v[117:118], v[153:154]
	s_clause 0x4
	buffer_load_dword v154, off, s[0:3], 0 offset:588
	buffer_load_dword v159, off, s[0:3], 0 offset:600
	;; [unrolled: 1-line block ×5, first 2 shown]
	ds_read_b128 v[5:8], v174 offset:1184
	s_waitcnt vmcnt(57) lgkmcnt(1)
	v_mul_f64 v[196:197], v[113:114], v[119:120]
	v_mul_f64 v[119:120], v[115:116], v[119:120]
	s_waitcnt vmcnt(56)
	v_fma_f64 v[167:168], v[1:2], v[185:186], -v[167:168]
	v_fma_f64 v[161:162], v[3:4], v[185:186], v[161:162]
	v_add_f64 v[125:126], v[125:126], v[181:182]
	v_add_f64 v[117:118], v[117:118], v[121:122]
	s_clause 0x2
	buffer_load_dword v160, off, s[0:3], 0 offset:604
	buffer_load_dword v122, off, s[0:3], 0 offset:580
	;; [unrolled: 1-line block ×3, first 2 shown]
	s_waitcnt vmcnt(58) lgkmcnt(0)
	v_mul_f64 v[185:186], v[7:8], v[187:188]
	ds_read_b128 v[1:4], v174 offset:1200
	v_mul_f64 v[181:182], v[5:6], v[187:188]
	s_waitcnt vmcnt(56)
	v_fma_f64 v[119:120], v[113:114], v[177:178], -v[119:120]
	v_add_f64 v[125:126], v[125:126], v[167:168]
	v_fma_f64 v[167:168], v[115:116], v[177:178], v[196:197]
	v_add_f64 v[117:118], v[117:118], v[161:162]
	s_clause 0x4
	buffer_load_dword v162, off, s[0:3], 0 offset:620
	buffer_load_dword v177, off, s[0:3], 0 offset:632
	;; [unrolled: 1-line block ×5, first 2 shown]
	ds_read_b128 v[113:116], v174 offset:1216
	s_waitcnt vmcnt(57) lgkmcnt(1)
	v_mul_f64 v[196:197], v[1:2], v[137:138]
	v_mul_f64 v[137:138], v[3:4], v[137:138]
	s_waitcnt vmcnt(56)
	v_fma_f64 v[185:186], v[5:6], v[192:193], -v[185:186]
	v_add_f64 v[119:120], v[125:126], v[119:120]
	v_fma_f64 v[125:126], v[7:8], v[192:193], v[181:182]
	v_add_f64 v[117:118], v[117:118], v[167:168]
	s_clause 0x2
	buffer_load_dword v178, off, s[0:3], 0 offset:636
	buffer_load_dword v168, off, s[0:3], 0 offset:612
	;; [unrolled: 1-line block ×3, first 2 shown]
	ds_read_b128 v[5:8], v174 offset:1232
	s_waitcnt vmcnt(58) lgkmcnt(1)
	v_mul_f64 v[181:182], v[113:114], v[179:180]
	v_mul_f64 v[179:180], v[115:116], v[179:180]
	s_waitcnt vmcnt(56)
	v_fma_f64 v[137:138], v[1:2], v[131:132], -v[137:138]
	v_fma_f64 v[131:132], v[3:4], v[131:132], v[196:197]
	v_add_f64 v[119:120], v[119:120], v[185:186]
	v_add_f64 v[117:118], v[117:118], v[125:126]
	s_clause 0x4
	buffer_load_dword v126, off, s[0:3], 0 offset:652
	buffer_load_dword v185, off, s[0:3], 0 offset:664
	;; [unrolled: 1-line block ×5, first 2 shown]
	ds_read_b128 v[1:4], v174 offset:1248
	s_waitcnt vmcnt(57) lgkmcnt(1)
	v_mul_f64 v[192:193], v[5:6], v[123:124]
	v_mul_f64 v[123:124], v[7:8], v[123:124]
	s_waitcnt vmcnt(56)
	v_fma_f64 v[179:180], v[113:114], v[194:195], -v[179:180]
	v_add_f64 v[119:120], v[119:120], v[137:138]
	v_fma_f64 v[137:138], v[115:116], v[194:195], v[181:182]
	v_add_f64 v[117:118], v[117:118], v[131:132]
	s_clause 0x2
	buffer_load_dword v186, off, s[0:3], 0 offset:668
	buffer_load_dword v132, off, s[0:3], 0 offset:644
	;; [unrolled: 1-line block ×3, first 2 shown]
	ds_read_b128 v[113:116], v174 offset:1264
	s_waitcnt vmcnt(58) lgkmcnt(1)
	v_mul_f64 v[181:182], v[1:2], v[141:142]
	v_mul_f64 v[141:142], v[3:4], v[141:142]
	s_waitcnt vmcnt(56)
	v_fma_f64 v[123:124], v[5:6], v[129:130], -v[123:124]
	v_fma_f64 v[129:130], v[7:8], v[129:130], v[192:193]
	v_add_f64 v[119:120], v[119:120], v[179:180]
	v_add_f64 v[117:118], v[117:118], v[137:138]
	s_clause 0x4
	buffer_load_dword v138, off, s[0:3], 0 offset:684
	buffer_load_dword v179, off, s[0:3], 0 offset:696
	;; [unrolled: 1-line block ×5, first 2 shown]
	ds_read_b128 v[5:8], v174 offset:1280
	s_waitcnt vmcnt(57) lgkmcnt(1)
	v_mul_f64 v[194:195], v[113:114], v[127:128]
	v_mul_f64 v[127:128], v[115:116], v[127:128]
	s_waitcnt vmcnt(56)
	v_fma_f64 v[141:142], v[1:2], v[189:190], -v[141:142]
	v_add_f64 v[119:120], v[119:120], v[123:124]
	v_fma_f64 v[123:124], v[3:4], v[189:190], v[181:182]
	v_add_f64 v[117:118], v[117:118], v[129:130]
	s_clause 0x2
	buffer_load_dword v180, off, s[0:3], 0 offset:700
	buffer_load_dword v130, off, s[0:3], 0 offset:676
	;; [unrolled: 1-line block ×3, first 2 shown]
	s_waitcnt vmcnt(58) lgkmcnt(0)
	v_mul_f64 v[181:182], v[5:6], v[149:150]
	v_mul_f64 v[149:150], v[7:8], v[149:150]
	ds_read_b128 v[1:4], v174 offset:1296
	s_waitcnt vmcnt(56)
	v_fma_f64 v[127:128], v[113:114], v[135:136], -v[127:128]
	v_fma_f64 v[135:136], v[115:116], v[135:136], v[194:195]
	v_add_f64 v[119:120], v[119:120], v[141:142]
	v_add_f64 v[117:118], v[117:118], v[123:124]
	s_clause 0x4
	buffer_load_dword v124, off, s[0:3], 0 offset:716
	buffer_load_dword v141, off, s[0:3], 0 offset:728
	;; [unrolled: 1-line block ×5, first 2 shown]
	ds_read_b128 v[113:116], v174 offset:1312
	s_waitcnt vmcnt(57) lgkmcnt(1)
	v_mul_f64 v[195:196], v[1:2], v[133:134]
	v_mul_f64 v[133:134], v[3:4], v[133:134]
	s_waitcnt vmcnt(56)
	v_fma_f64 v[149:150], v[5:6], v[175:176], -v[149:150]
	v_add_f64 v[119:120], v[119:120], v[127:128]
	v_fma_f64 v[127:128], v[7:8], v[175:176], v[181:182]
	v_add_f64 v[117:118], v[117:118], v[135:136]
	s_clause 0x2
	buffer_load_dword v142, off, s[0:3], 0 offset:732
	buffer_load_dword v136, off, s[0:3], 0 offset:708
	;; [unrolled: 1-line block ×3, first 2 shown]
	s_waitcnt vmcnt(58) lgkmcnt(0)
	v_mul_f64 v[175:176], v[113:114], v[155:156]
	v_mul_f64 v[155:156], v[115:116], v[155:156]
	ds_read_b128 v[5:8], v174 offset:1328
	s_waitcnt vmcnt(56)
	v_fma_f64 v[133:134], v[1:2], v[145:146], -v[133:134]
	v_fma_f64 v[145:146], v[3:4], v[145:146], v[195:196]
	v_add_f64 v[119:120], v[119:120], v[149:150]
	v_add_f64 v[117:118], v[117:118], v[127:128]
	s_clause 0x4
	buffer_load_dword v128, off, s[0:3], 0 offset:748
	buffer_load_dword v149, off, s[0:3], 0 offset:760
	buffer_load_dword v181, off, s[0:3], 0 offset:752
	buffer_load_dword v127, off, s[0:3], 0 offset:744
	buffer_load_dword v190, off, s[0:3], 0 offset:724
	ds_read_b128 v[1:4], v174 offset:1344
	s_waitcnt vmcnt(57) lgkmcnt(1)
	v_mul_f64 v[195:196], v[5:6], v[139:140]
	v_mul_f64 v[139:140], v[7:8], v[139:140]
	s_waitcnt vmcnt(56)
	v_fma_f64 v[155:156], v[113:114], v[157:158], -v[155:156]
	v_add_f64 v[119:120], v[119:120], v[133:134]
	v_fma_f64 v[133:134], v[115:116], v[157:158], v[175:176]
	v_add_f64 v[117:118], v[117:118], v[145:146]
	s_clause 0x2
	buffer_load_dword v150, off, s[0:3], 0 offset:764
	buffer_load_dword v146, off, s[0:3], 0 offset:740
	buffer_load_dword v145, off, s[0:3], 0 offset:736
	ds_read_b128 v[113:116], v174 offset:1360
	s_waitcnt vmcnt(58) lgkmcnt(1)
	v_mul_f64 v[157:158], v[1:2], v[163:164]
	v_mul_f64 v[163:164], v[3:4], v[163:164]
	s_waitcnt vmcnt(56)
	v_fma_f64 v[139:140], v[5:6], v[143:144], -v[139:140]
	v_fma_f64 v[143:144], v[7:8], v[143:144], v[195:196]
	v_add_f64 v[119:120], v[119:120], v[155:156]
	v_add_f64 v[117:118], v[117:118], v[133:134]
	s_clause 0x4
	buffer_load_dword v134, off, s[0:3], 0 offset:780
	buffer_load_dword v155, off, s[0:3], 0 offset:792
	buffer_load_dword v175, off, s[0:3], 0 offset:784
	buffer_load_dword v133, off, s[0:3], 0 offset:776
	buffer_load_dword v182, off, s[0:3], 0 offset:756
	ds_read_b128 v[5:8], v174 offset:1376
	s_waitcnt vmcnt(57) lgkmcnt(1)
	v_mul_f64 v[195:196], v[113:114], v[147:148]
	v_mul_f64 v[147:148], v[115:116], v[147:148]
	s_waitcnt vmcnt(56)
	v_fma_f64 v[163:164], v[1:2], v[165:166], -v[163:164]
	v_add_f64 v[119:120], v[119:120], v[139:140]
	v_fma_f64 v[139:140], v[3:4], v[165:166], v[157:158]
	v_add_f64 v[117:118], v[117:118], v[143:144]
	s_clause 0x2
	buffer_load_dword v156, off, s[0:3], 0 offset:796
	buffer_load_dword v144, off, s[0:3], 0 offset:772
	buffer_load_dword v143, off, s[0:3], 0 offset:768
	ds_read_b128 v[1:4], v174 offset:1392
	s_waitcnt vmcnt(58) lgkmcnt(1)
	v_mul_f64 v[165:166], v[7:8], v[169:170]
	v_mul_f64 v[157:158], v[5:6], v[169:170]
	;; [unrolled: 28-line block ×3, first 2 shown]
	s_waitcnt vmcnt(56)
	v_fma_f64 v[153:154], v[1:2], v[121:122], -v[153:154]
	v_fma_f64 v[121:122], v[3:4], v[121:122], v[195:196]
	v_add_f64 v[119:120], v[119:120], v[165:166]
	v_add_f64 v[117:118], v[117:118], v[147:148]
	s_clause 0x2
	buffer_load_dword v148, off, s[0:3], 0 offset:844
	buffer_load_dword v147, off, s[0:3], 0 offset:840
	;; [unrolled: 1-line block ×3, first 2 shown]
	ds_read_b128 v[1:4], v174 offset:1440
	s_waitcnt vmcnt(55) lgkmcnt(1)
	v_mul_f64 v[165:166], v[5:6], v[161:162]
	v_mul_f64 v[161:162], v[7:8], v[161:162]
	s_waitcnt vmcnt(54)
	v_fma_f64 v[159:160], v[113:114], v[183:184], -v[159:160]
	v_add_f64 v[119:120], v[119:120], v[153:154]
	v_fma_f64 v[153:154], v[115:116], v[183:184], v[157:158]
	v_add_f64 v[117:118], v[117:118], v[121:122]
	s_clause 0x1
	buffer_load_dword v122, off, s[0:3], 0 offset:836
	buffer_load_dword v121, off, s[0:3], 0 offset:832
	ds_read_b128 v[113:116], v174 offset:1456
	s_waitcnt vmcnt(55) lgkmcnt(1)
	v_mul_f64 v[171:172], v[3:4], v[177:178]
	v_mul_f64 v[157:158], v[1:2], v[177:178]
	s_waitcnt vmcnt(53)
	v_fma_f64 v[161:162], v[5:6], v[167:168], -v[161:162]
	v_add_f64 v[119:120], v[119:120], v[159:160]
	v_fma_f64 v[159:160], v[7:8], v[167:168], v[165:166]
	v_add_f64 v[117:118], v[117:118], v[153:154]
	ds_read_b128 v[5:8], v174 offset:1472
	s_waitcnt vmcnt(49) lgkmcnt(1)
	v_mul_f64 v[153:154], v[113:114], v[125:126]
	v_mul_f64 v[125:126], v[115:116], v[125:126]
	s_waitcnt vmcnt(48)
	v_fma_f64 v[165:166], v[1:2], v[187:188], -v[171:172]
	v_fma_f64 v[157:158], v[3:4], v[187:188], v[157:158]
	v_add_f64 v[119:120], v[119:120], v[161:162]
	v_add_f64 v[117:118], v[117:118], v[159:160]
	s_clause 0x3
	buffer_load_dword v159, off, s[0:3], 0 offset:64
	buffer_load_dword v160, off, s[0:3], 0 offset:68
	;; [unrolled: 1-line block ×4, first 2 shown]
	ds_read_b128 v[1:4], v174 offset:1488
	s_waitcnt vmcnt(51) lgkmcnt(1)
	v_mul_f64 v[171:172], v[7:8], v[185:186]
	v_mul_f64 v[167:168], v[5:6], v[185:186]
	s_waitcnt vmcnt(49)
	v_fma_f64 v[125:126], v[113:114], v[131:132], -v[125:126]
	v_fma_f64 v[131:132], v[115:116], v[131:132], v[153:154]
	ds_read_b128 v[113:116], v174 offset:1504
	v_add_f64 v[119:120], v[119:120], v[165:166]
	v_add_f64 v[117:118], v[117:118], v[157:158]
	s_waitcnt vmcnt(45) lgkmcnt(1)
	v_mul_f64 v[153:154], v[1:2], v[137:138]
	v_mul_f64 v[137:138], v[3:4], v[137:138]
	s_waitcnt vmcnt(44)
	v_fma_f64 v[157:158], v[5:6], v[191:192], -v[171:172]
	v_add_f64 v[119:120], v[119:120], v[125:126]
	v_fma_f64 v[125:126], v[7:8], v[191:192], v[167:168]
	v_add_f64 v[117:118], v[117:118], v[131:132]
	ds_read_b128 v[5:8], v174 offset:1520
	s_waitcnt vmcnt(43) lgkmcnt(1)
	v_mul_f64 v[165:166], v[115:116], v[179:180]
	v_mul_f64 v[131:132], v[113:114], v[179:180]
	s_waitcnt vmcnt(41)
	v_fma_f64 v[137:138], v[1:2], v[129:130], -v[137:138]
	v_fma_f64 v[129:130], v[3:4], v[129:130], v[153:154]
	ds_read_b128 v[1:4], v174 offset:1536
	v_add_f64 v[119:120], v[119:120], v[157:158]
	v_add_f64 v[117:118], v[117:118], v[125:126]
	s_waitcnt vmcnt(37) lgkmcnt(1)
	v_mul_f64 v[125:126], v[5:6], v[123:124]
	v_mul_f64 v[123:124], v[7:8], v[123:124]
	s_waitcnt vmcnt(36)
	v_fma_f64 v[153:154], v[113:114], v[193:194], -v[165:166]
	v_fma_f64 v[131:132], v[115:116], v[193:194], v[131:132]
	ds_read_b128 v[113:116], v174 offset:1552
	v_add_f64 v[119:120], v[119:120], v[137:138]
	v_add_f64 v[117:118], v[117:118], v[129:130]
	s_waitcnt vmcnt(35) lgkmcnt(1)
	v_mul_f64 v[137:138], v[3:4], v[141:142]
	v_mul_f64 v[129:130], v[1:2], v[141:142]
	s_waitcnt vmcnt(33)
	v_fma_f64 v[123:124], v[5:6], v[135:136], -v[123:124]
	v_fma_f64 v[125:126], v[7:8], v[135:136], v[125:126]
	ds_read_b128 v[5:8], v174 offset:1568
	v_add_f64 v[119:120], v[119:120], v[153:154]
	v_add_f64 v[117:118], v[117:118], v[131:132]
	s_waitcnt vmcnt(29) lgkmcnt(1)
	v_mul_f64 v[131:132], v[113:114], v[127:128]
	v_mul_f64 v[127:128], v[115:116], v[127:128]
	s_waitcnt vmcnt(28)
	v_fma_f64 v[135:136], v[1:2], v[189:190], -v[137:138]
	v_add_f64 v[119:120], v[119:120], v[123:124]
	v_fma_f64 v[123:124], v[3:4], v[189:190], v[129:130]
	v_add_f64 v[117:118], v[117:118], v[125:126]
	ds_read_b128 v[1:4], v174 offset:1584
	s_waitcnt vmcnt(27) lgkmcnt(1)
	v_mul_f64 v[129:130], v[7:8], v[149:150]
	v_mul_f64 v[125:126], v[5:6], v[149:150]
	s_waitcnt vmcnt(25)
	v_fma_f64 v[127:128], v[113:114], v[145:146], -v[127:128]
	v_fma_f64 v[131:132], v[115:116], v[145:146], v[131:132]
	ds_read_b128 v[113:116], v174 offset:1600
	v_add_f64 v[119:120], v[119:120], v[135:136]
	v_add_f64 v[117:118], v[117:118], v[123:124]
	s_waitcnt vmcnt(21) lgkmcnt(1)
	v_mul_f64 v[123:124], v[1:2], v[133:134]
	v_mul_f64 v[133:134], v[3:4], v[133:134]
	s_waitcnt vmcnt(20)
	v_fma_f64 v[129:130], v[5:6], v[181:182], -v[129:130]
	v_fma_f64 v[125:126], v[7:8], v[181:182], v[125:126]
	ds_read_b128 v[5:8], v174 offset:1616
	v_add_f64 v[119:120], v[119:120], v[127:128]
	v_add_f64 v[117:118], v[117:118], v[131:132]
	;; [unrolled: 9-line block ×3, first 2 shown]
	s_waitcnt vmcnt(13) lgkmcnt(1)
	v_mul_f64 v[129:130], v[7:8], v[139:140]
	s_waitcnt vmcnt(12)
	v_fma_f64 v[131:132], v[113:114], v[175:176], -v[131:132]
	v_mul_f64 v[125:126], v[5:6], v[139:140]
	v_fma_f64 v[127:128], v[115:116], v[175:176], v[127:128]
	ds_read_b128 v[113:116], v174 offset:1648
	v_add_f64 v[119:120], v[119:120], v[133:134]
	v_add_f64 v[117:118], v[117:118], v[123:124]
	s_waitcnt vmcnt(11) lgkmcnt(1)
	v_mul_f64 v[133:134], v[3:4], v[163:164]
	v_mul_f64 v[123:124], v[1:2], v[163:164]
	s_waitcnt vmcnt(9)
	v_fma_f64 v[5:6], v[5:6], v[151:152], -v[129:130]
	v_fma_f64 v[7:8], v[7:8], v[151:152], v[125:126]
	v_add_f64 v[119:120], v[119:120], v[131:132]
	v_add_f64 v[117:118], v[117:118], v[127:128]
	s_waitcnt vmcnt(7) lgkmcnt(0)
	v_mul_f64 v[127:128], v[115:116], v[147:148]
	s_waitcnt vmcnt(6)
	v_fma_f64 v[1:2], v[1:2], v[169:170], -v[133:134]
	v_mul_f64 v[125:126], v[113:114], v[147:148]
	v_fma_f64 v[3:4], v[3:4], v[169:170], v[123:124]
	v_add_f64 v[5:6], v[119:120], v[5:6]
	v_add_f64 v[7:8], v[117:118], v[7:8]
	s_waitcnt vmcnt(4)
	v_fma_f64 v[113:114], v[113:114], v[121:122], -v[127:128]
	v_add_f64 v[1:2], v[5:6], v[1:2]
	v_fma_f64 v[5:6], v[115:116], v[121:122], v[125:126]
	v_add_f64 v[3:4], v[7:8], v[3:4]
	v_add_f64 v[1:2], v[1:2], v[113:114]
	;; [unrolled: 1-line block ×3, first 2 shown]
	s_waitcnt vmcnt(2)
	v_add_f64 v[1:2], v[159:160], -v[1:2]
	s_waitcnt vmcnt(0)
	v_add_f64 v[3:4], v[161:162], -v[3:4]
	buffer_store_dword v2, off, s[0:3], 0 offset:68
	buffer_store_dword v1, off, s[0:3], 0 offset:64
	;; [unrolled: 1-line block ×4, first 2 shown]
	v_cmpx_lt_u32_e32 2, v0
	s_cbranch_execz .LBB115_321
; %bb.320:
	v_mov_b32_e32 v4, s62
	v_mov_b32_e32 v5, 0
	s_clause 0x3
	buffer_load_dword v1, v4, s[0:3], 0 offen
	buffer_load_dword v2, v4, s[0:3], 0 offen offset:4
	buffer_load_dword v3, v4, s[0:3], 0 offen offset:8
	;; [unrolled: 1-line block ×3, first 2 shown]
	buffer_store_dword v5, off, s[0:3], 0 offset:48
	buffer_store_dword v5, off, s[0:3], 0 offset:52
	;; [unrolled: 1-line block ×4, first 2 shown]
	s_waitcnt vmcnt(0)
	ds_write_b128 v173, v[1:4]
.LBB115_321:
	s_or_b32 exec_lo, exec_lo, s4
	s_waitcnt lgkmcnt(0)
	s_waitcnt_vscnt null, 0x0
	s_barrier
	buffer_gl0_inv
	s_clause 0x37
	buffer_load_dword v121, off, s[0:3], 0 offset:72
	buffer_load_dword v122, off, s[0:3], 0 offset:76
	;; [unrolled: 1-line block ×56, first 2 shown]
	v_mov_b32_e32 v174, 0
	s_mov_b32 s4, exec_lo
	ds_read_b128 v[5:8], v174 offset:880
	s_clause 0x2
	buffer_load_dword v170, off, s[0:3], 0 offset:300
	buffer_load_dword v172, off, s[0:3], 0 offset:276
	;; [unrolled: 1-line block ×3, first 2 shown]
	ds_read_b128 v[1:4], v174 offset:896
	s_clause 0x4
	buffer_load_dword v182, off, s[0:3], 0 offset:316
	buffer_load_dword v183, off, s[0:3], 0 offset:328
	;; [unrolled: 1-line block ×5, first 2 shown]
	ds_read_b128 v[175:178], v174 offset:912
	s_waitcnt vmcnt(62) lgkmcnt(2)
	v_mul_f64 v[179:180], v[7:8], v[121:122]
	v_mul_f64 v[121:122], v[5:6], v[121:122]
	s_waitcnt vmcnt(60) lgkmcnt(1)
	v_mul_f64 v[186:187], v[3:4], v[117:118]
	v_mul_f64 v[117:118], v[1:2], v[117:118]
	;; [unrolled: 3-line block ×3, first 2 shown]
	v_fma_f64 v[179:180], v[5:6], v[119:120], -v[179:180]
	v_fma_f64 v[119:120], v[7:8], v[119:120], v[121:122]
	s_clause 0x2
	buffer_load_dword v184, off, s[0:3], 0 offset:332
	buffer_load_dword v122, off, s[0:3], 0 offset:308
	;; [unrolled: 1-line block ×3, first 2 shown]
	s_waitcnt vmcnt(57)
	v_fma_f64 v[190:191], v[1:2], v[113:114], -v[186:187]
	ds_read_b128 v[5:8], v174 offset:928
	v_fma_f64 v[113:114], v[3:4], v[113:114], v[117:118]
	s_waitcnt vmcnt(51)
	v_fma_f64 v[175:176], v[175:176], v[137:138], -v[115:116]
	v_fma_f64 v[137:138], v[177:178], v[137:138], v[188:189]
	v_add_f64 v[179:180], v[179:180], 0
	v_add_f64 v[117:118], v[119:120], 0
	s_clause 0x4
	buffer_load_dword v120, off, s[0:3], 0 offset:348
	buffer_load_dword v187, off, s[0:3], 0 offset:360
	;; [unrolled: 1-line block ×5, first 2 shown]
	s_waitcnt lgkmcnt(0)
	v_mul_f64 v[193:194], v[5:6], v[125:126]
	v_mul_f64 v[125:126], v[7:8], v[125:126]
	ds_read_b128 v[1:4], v174 offset:944
	s_clause 0x2
	buffer_load_dword v188, off, s[0:3], 0 offset:364
	buffer_load_dword v178, off, s[0:3], 0 offset:340
	;; [unrolled: 1-line block ×3, first 2 shown]
	v_add_f64 v[179:180], v[179:180], v[190:191]
	v_add_f64 v[117:118], v[117:118], v[113:114]
	ds_read_b128 v[113:116], v174 offset:960
	s_waitcnt vmcnt(58) lgkmcnt(1)
	v_mul_f64 v[189:190], v[1:2], v[129:130]
	v_mul_f64 v[129:130], v[3:4], v[129:130]
	s_waitcnt vmcnt(56)
	v_fma_f64 v[125:126], v[5:6], v[131:132], -v[125:126]
	v_fma_f64 v[131:132], v[7:8], v[131:132], v[193:194]
	s_waitcnt vmcnt(52) lgkmcnt(0)
	v_mul_f64 v[195:196], v[113:114], v[133:134]
	v_add_f64 v[175:176], v[179:180], v[175:176]
	v_add_f64 v[117:118], v[117:118], v[137:138]
	s_clause 0x4
	buffer_load_dword v138, off, s[0:3], 0 offset:380
	buffer_load_dword v179, off, s[0:3], 0 offset:392
	;; [unrolled: 1-line block ×5, first 2 shown]
	v_mul_f64 v[133:134], v[115:116], v[133:134]
	s_waitcnt vmcnt(56)
	v_fma_f64 v[129:130], v[1:2], v[123:124], -v[129:130]
	ds_read_b128 v[5:8], v174 offset:976
	v_fma_f64 v[123:124], v[3:4], v[123:124], v[189:190]
	v_add_f64 v[125:126], v[175:176], v[125:126]
	v_add_f64 v[117:118], v[117:118], v[131:132]
	s_clause 0x2
	buffer_load_dword v180, off, s[0:3], 0 offset:396
	buffer_load_dword v132, off, s[0:3], 0 offset:372
	;; [unrolled: 1-line block ×3, first 2 shown]
	s_waitcnt vmcnt(58) lgkmcnt(0)
	v_mul_f64 v[175:176], v[5:6], v[139:140]
	v_mul_f64 v[139:140], v[7:8], v[139:140]
	s_waitcnt vmcnt(56)
	v_fma_f64 v[133:134], v[113:114], v[141:142], -v[133:134]
	ds_read_b128 v[1:4], v174 offset:992
	v_add_f64 v[125:126], v[125:126], v[129:130]
	v_fma_f64 v[129:130], v[115:116], v[141:142], v[195:196]
	v_add_f64 v[117:118], v[117:118], v[123:124]
	s_clause 0x4
	buffer_load_dword v124, off, s[0:3], 0 offset:412
	buffer_load_dword v141, off, s[0:3], 0 offset:424
	;; [unrolled: 1-line block ×5, first 2 shown]
	s_waitcnt vmcnt(57) lgkmcnt(0)
	v_mul_f64 v[190:191], v[1:2], v[143:144]
	v_mul_f64 v[143:144], v[3:4], v[143:144]
	s_waitcnt vmcnt(56)
	v_fma_f64 v[139:140], v[5:6], v[127:128], -v[139:140]
	ds_read_b128 v[113:116], v174 offset:1008
	v_fma_f64 v[127:128], v[7:8], v[127:128], v[175:176]
	v_add_f64 v[125:126], v[125:126], v[133:134]
	v_add_f64 v[117:118], v[117:118], v[129:130]
	s_clause 0x2
	buffer_load_dword v142, off, s[0:3], 0 offset:428
	buffer_load_dword v130, off, s[0:3], 0 offset:404
	;; [unrolled: 1-line block ×3, first 2 shown]
	ds_read_b128 v[5:8], v174 offset:1024
	s_waitcnt vmcnt(58) lgkmcnt(1)
	v_mul_f64 v[133:134], v[113:114], v[147:148]
	v_mul_f64 v[147:148], v[115:116], v[147:148]
	s_waitcnt vmcnt(56)
	v_fma_f64 v[143:144], v[1:2], v[149:150], -v[143:144]
	v_add_f64 v[125:126], v[125:126], v[139:140]
	v_fma_f64 v[139:140], v[3:4], v[149:150], v[190:191]
	v_add_f64 v[117:118], v[117:118], v[127:128]
	s_clause 0x4
	buffer_load_dword v128, off, s[0:3], 0 offset:444
	buffer_load_dword v149, off, s[0:3], 0 offset:456
	;; [unrolled: 1-line block ×5, first 2 shown]
	s_waitcnt vmcnt(57) lgkmcnt(0)
	v_mul_f64 v[196:197], v[5:6], v[151:152]
	v_mul_f64 v[151:152], v[7:8], v[151:152]
	s_waitcnt vmcnt(56)
	v_fma_f64 v[147:148], v[113:114], v[135:136], -v[147:148]
	ds_read_b128 v[1:4], v174 offset:1040
	v_fma_f64 v[133:134], v[115:116], v[135:136], v[133:134]
	s_clause 0x2
	buffer_load_dword v150, off, s[0:3], 0 offset:460
	buffer_load_dword v136, off, s[0:3], 0 offset:436
	;; [unrolled: 1-line block ×3, first 2 shown]
	ds_read_b128 v[113:116], v174 offset:1056
	v_add_f64 v[125:126], v[125:126], v[143:144]
	v_add_f64 v[117:118], v[117:118], v[139:140]
	s_waitcnt vmcnt(58) lgkmcnt(1)
	v_mul_f64 v[143:144], v[3:4], v[155:156]
	s_waitcnt vmcnt(56)
	v_fma_f64 v[151:152], v[5:6], v[157:158], -v[151:152]
	v_mul_f64 v[139:140], v[1:2], v[155:156]
	v_add_f64 v[125:126], v[125:126], v[147:148]
	v_fma_f64 v[147:148], v[7:8], v[157:158], v[196:197]
	v_add_f64 v[117:118], v[117:118], v[133:134]
	s_clause 0x4
	buffer_load_dword v134, off, s[0:3], 0 offset:476
	buffer_load_dword v155, off, s[0:3], 0 offset:488
	;; [unrolled: 1-line block ×5, first 2 shown]
	s_waitcnt vmcnt(57) lgkmcnt(0)
	v_mul_f64 v[196:197], v[113:114], v[159:160]
	v_mul_f64 v[158:159], v[115:116], v[159:160]
	s_waitcnt vmcnt(56)
	v_fma_f64 v[143:144], v[1:2], v[145:146], -v[143:144]
	ds_read_b128 v[5:8], v174 offset:1072
	v_fma_f64 v[139:140], v[3:4], v[145:146], v[139:140]
	s_clause 0x2
	buffer_load_dword v156, off, s[0:3], 0 offset:492
	buffer_load_dword v146, off, s[0:3], 0 offset:468
	;; [unrolled: 1-line block ×3, first 2 shown]
	ds_read_b128 v[1:4], v174 offset:1088
	v_add_f64 v[125:126], v[125:126], v[151:152]
	v_add_f64 v[117:118], v[117:118], v[147:148]
	s_waitcnt vmcnt(58) lgkmcnt(1)
	v_mul_f64 v[151:152], v[7:8], v[163:164]
	s_waitcnt vmcnt(56)
	v_fma_f64 v[159:160], v[113:114], v[165:166], -v[158:159]
	v_mul_f64 v[147:148], v[5:6], v[163:164]
	v_add_f64 v[125:126], v[125:126], v[143:144]
	v_fma_f64 v[143:144], v[115:116], v[165:166], v[196:197]
	v_add_f64 v[117:118], v[117:118], v[139:140]
	s_clause 0x4
	buffer_load_dword v140, off, s[0:3], 0 offset:508
	buffer_load_dword v163, off, s[0:3], 0 offset:520
	;; [unrolled: 1-line block ×5, first 2 shown]
	s_waitcnt vmcnt(57) lgkmcnt(0)
	v_mul_f64 v[196:197], v[1:2], v[167:168]
	v_mul_f64 v[166:167], v[3:4], v[167:168]
	s_waitcnt vmcnt(56)
	v_fma_f64 v[151:152], v[5:6], v[153:154], -v[151:152]
	ds_read_b128 v[113:116], v174 offset:1104
	v_fma_f64 v[147:148], v[7:8], v[153:154], v[147:148]
	v_add_f64 v[125:126], v[125:126], v[159:160]
	v_add_f64 v[117:118], v[117:118], v[143:144]
	s_clause 0x2
	buffer_load_dword v164, off, s[0:3], 0 offset:524
	buffer_load_dword v144, off, s[0:3], 0 offset:500
	buffer_load_dword v143, off, s[0:3], 0 offset:496
	ds_read_b128 v[5:8], v174 offset:1120
	s_waitcnt vmcnt(58) lgkmcnt(1)
	v_mul_f64 v[159:160], v[115:116], v[169:170]
	s_waitcnt vmcnt(56)
	v_fma_f64 v[167:168], v[1:2], v[171:172], -v[166:167]
	v_mul_f64 v[153:154], v[113:114], v[169:170]
	v_add_f64 v[125:126], v[125:126], v[151:152]
	v_fma_f64 v[151:152], v[3:4], v[171:172], v[196:197]
	v_add_f64 v[117:118], v[117:118], v[147:148]
	s_clause 0x4
	buffer_load_dword v148, off, s[0:3], 0 offset:540
	buffer_load_dword v169, off, s[0:3], 0 offset:552
	;; [unrolled: 1-line block ×5, first 2 shown]
	s_waitcnt vmcnt(57) lgkmcnt(0)
	v_mul_f64 v[196:197], v[5:6], v[181:182]
	v_mul_f64 v[181:182], v[7:8], v[181:182]
	s_waitcnt vmcnt(56)
	v_fma_f64 v[159:160], v[113:114], v[161:162], -v[159:160]
	ds_read_b128 v[1:4], v174 offset:1136
	v_fma_f64 v[153:154], v[115:116], v[161:162], v[153:154]
	v_add_f64 v[125:126], v[125:126], v[167:168]
	v_add_f64 v[117:118], v[117:118], v[151:152]
	s_clause 0x2
	buffer_load_dword v170, off, s[0:3], 0 offset:556
	buffer_load_dword v152, off, s[0:3], 0 offset:532
	;; [unrolled: 1-line block ×3, first 2 shown]
	ds_read_b128 v[113:116], v174 offset:1152
	s_waitcnt vmcnt(58) lgkmcnt(1)
	v_mul_f64 v[167:168], v[3:4], v[183:184]
	v_mul_f64 v[161:162], v[1:2], v[183:184]
	s_waitcnt vmcnt(56)
	v_fma_f64 v[181:182], v[5:6], v[121:122], -v[181:182]
	v_fma_f64 v[121:122], v[7:8], v[121:122], v[196:197]
	v_add_f64 v[125:126], v[125:126], v[159:160]
	v_add_f64 v[117:118], v[117:118], v[153:154]
	s_clause 0x4
	buffer_load_dword v154, off, s[0:3], 0 offset:572
	buffer_load_dword v159, off, s[0:3], 0 offset:584
	;; [unrolled: 1-line block ×5, first 2 shown]
	ds_read_b128 v[5:8], v174 offset:1168
	s_waitcnt vmcnt(57) lgkmcnt(1)
	v_mul_f64 v[196:197], v[113:114], v[119:120]
	v_mul_f64 v[119:120], v[115:116], v[119:120]
	s_waitcnt vmcnt(56)
	v_fma_f64 v[167:168], v[1:2], v[185:186], -v[167:168]
	v_fma_f64 v[161:162], v[3:4], v[185:186], v[161:162]
	v_add_f64 v[125:126], v[125:126], v[181:182]
	v_add_f64 v[117:118], v[117:118], v[121:122]
	s_clause 0x2
	buffer_load_dword v160, off, s[0:3], 0 offset:588
	buffer_load_dword v122, off, s[0:3], 0 offset:564
	;; [unrolled: 1-line block ×3, first 2 shown]
	s_waitcnt vmcnt(58) lgkmcnt(0)
	v_mul_f64 v[185:186], v[7:8], v[187:188]
	ds_read_b128 v[1:4], v174 offset:1184
	v_mul_f64 v[181:182], v[5:6], v[187:188]
	s_waitcnt vmcnt(56)
	v_fma_f64 v[119:120], v[113:114], v[177:178], -v[119:120]
	v_add_f64 v[125:126], v[125:126], v[167:168]
	v_fma_f64 v[167:168], v[115:116], v[177:178], v[196:197]
	v_add_f64 v[117:118], v[117:118], v[161:162]
	s_clause 0x4
	buffer_load_dword v162, off, s[0:3], 0 offset:604
	buffer_load_dword v177, off, s[0:3], 0 offset:616
	;; [unrolled: 1-line block ×5, first 2 shown]
	ds_read_b128 v[113:116], v174 offset:1200
	s_waitcnt vmcnt(57) lgkmcnt(1)
	v_mul_f64 v[196:197], v[1:2], v[137:138]
	v_mul_f64 v[137:138], v[3:4], v[137:138]
	s_waitcnt vmcnt(56)
	v_fma_f64 v[185:186], v[5:6], v[192:193], -v[185:186]
	v_add_f64 v[119:120], v[125:126], v[119:120]
	v_fma_f64 v[125:126], v[7:8], v[192:193], v[181:182]
	v_add_f64 v[117:118], v[117:118], v[167:168]
	s_clause 0x2
	buffer_load_dword v178, off, s[0:3], 0 offset:620
	buffer_load_dword v168, off, s[0:3], 0 offset:596
	buffer_load_dword v167, off, s[0:3], 0 offset:592
	ds_read_b128 v[5:8], v174 offset:1216
	s_waitcnt vmcnt(58) lgkmcnt(1)
	v_mul_f64 v[181:182], v[113:114], v[179:180]
	v_mul_f64 v[179:180], v[115:116], v[179:180]
	s_waitcnt vmcnt(56)
	v_fma_f64 v[137:138], v[1:2], v[131:132], -v[137:138]
	v_fma_f64 v[131:132], v[3:4], v[131:132], v[196:197]
	v_add_f64 v[119:120], v[119:120], v[185:186]
	v_add_f64 v[117:118], v[117:118], v[125:126]
	s_clause 0x4
	buffer_load_dword v126, off, s[0:3], 0 offset:636
	buffer_load_dword v185, off, s[0:3], 0 offset:648
	;; [unrolled: 1-line block ×5, first 2 shown]
	ds_read_b128 v[1:4], v174 offset:1232
	s_waitcnt vmcnt(57) lgkmcnt(1)
	v_mul_f64 v[192:193], v[5:6], v[123:124]
	v_mul_f64 v[123:124], v[7:8], v[123:124]
	s_waitcnt vmcnt(56)
	v_fma_f64 v[179:180], v[113:114], v[194:195], -v[179:180]
	v_add_f64 v[119:120], v[119:120], v[137:138]
	v_fma_f64 v[137:138], v[115:116], v[194:195], v[181:182]
	v_add_f64 v[117:118], v[117:118], v[131:132]
	s_clause 0x2
	buffer_load_dword v186, off, s[0:3], 0 offset:652
	buffer_load_dword v132, off, s[0:3], 0 offset:628
	;; [unrolled: 1-line block ×3, first 2 shown]
	ds_read_b128 v[113:116], v174 offset:1248
	s_waitcnt vmcnt(58) lgkmcnt(1)
	v_mul_f64 v[181:182], v[1:2], v[141:142]
	v_mul_f64 v[141:142], v[3:4], v[141:142]
	s_waitcnt vmcnt(56)
	v_fma_f64 v[123:124], v[5:6], v[129:130], -v[123:124]
	v_fma_f64 v[129:130], v[7:8], v[129:130], v[192:193]
	v_add_f64 v[119:120], v[119:120], v[179:180]
	v_add_f64 v[117:118], v[117:118], v[137:138]
	s_clause 0x4
	buffer_load_dword v138, off, s[0:3], 0 offset:668
	buffer_load_dword v179, off, s[0:3], 0 offset:680
	;; [unrolled: 1-line block ×5, first 2 shown]
	ds_read_b128 v[5:8], v174 offset:1264
	s_waitcnt vmcnt(57) lgkmcnt(1)
	v_mul_f64 v[194:195], v[113:114], v[127:128]
	v_mul_f64 v[127:128], v[115:116], v[127:128]
	s_waitcnt vmcnt(56)
	v_fma_f64 v[141:142], v[1:2], v[189:190], -v[141:142]
	v_add_f64 v[119:120], v[119:120], v[123:124]
	v_fma_f64 v[123:124], v[3:4], v[189:190], v[181:182]
	v_add_f64 v[117:118], v[117:118], v[129:130]
	s_clause 0x2
	buffer_load_dword v180, off, s[0:3], 0 offset:684
	buffer_load_dword v130, off, s[0:3], 0 offset:660
	;; [unrolled: 1-line block ×3, first 2 shown]
	s_waitcnt vmcnt(58) lgkmcnt(0)
	v_mul_f64 v[181:182], v[5:6], v[149:150]
	v_mul_f64 v[149:150], v[7:8], v[149:150]
	ds_read_b128 v[1:4], v174 offset:1280
	s_waitcnt vmcnt(56)
	v_fma_f64 v[127:128], v[113:114], v[135:136], -v[127:128]
	v_fma_f64 v[135:136], v[115:116], v[135:136], v[194:195]
	v_add_f64 v[119:120], v[119:120], v[141:142]
	v_add_f64 v[117:118], v[117:118], v[123:124]
	s_clause 0x4
	buffer_load_dword v124, off, s[0:3], 0 offset:700
	buffer_load_dword v141, off, s[0:3], 0 offset:712
	buffer_load_dword v189, off, s[0:3], 0 offset:704
	buffer_load_dword v123, off, s[0:3], 0 offset:696
	buffer_load_dword v194, off, s[0:3], 0 offset:676
	ds_read_b128 v[113:116], v174 offset:1296
	s_waitcnt vmcnt(57) lgkmcnt(1)
	v_mul_f64 v[195:196], v[1:2], v[133:134]
	v_mul_f64 v[133:134], v[3:4], v[133:134]
	s_waitcnt vmcnt(56)
	v_fma_f64 v[149:150], v[5:6], v[175:176], -v[149:150]
	v_add_f64 v[119:120], v[119:120], v[127:128]
	v_fma_f64 v[127:128], v[7:8], v[175:176], v[181:182]
	v_add_f64 v[117:118], v[117:118], v[135:136]
	s_clause 0x2
	buffer_load_dword v142, off, s[0:3], 0 offset:716
	buffer_load_dword v136, off, s[0:3], 0 offset:692
	;; [unrolled: 1-line block ×3, first 2 shown]
	s_waitcnt vmcnt(58) lgkmcnt(0)
	v_mul_f64 v[175:176], v[113:114], v[155:156]
	v_mul_f64 v[155:156], v[115:116], v[155:156]
	ds_read_b128 v[5:8], v174 offset:1312
	s_waitcnt vmcnt(56)
	v_fma_f64 v[133:134], v[1:2], v[145:146], -v[133:134]
	v_fma_f64 v[145:146], v[3:4], v[145:146], v[195:196]
	v_add_f64 v[119:120], v[119:120], v[149:150]
	v_add_f64 v[117:118], v[117:118], v[127:128]
	s_clause 0x4
	buffer_load_dword v128, off, s[0:3], 0 offset:732
	buffer_load_dword v149, off, s[0:3], 0 offset:744
	buffer_load_dword v181, off, s[0:3], 0 offset:736
	buffer_load_dword v127, off, s[0:3], 0 offset:728
	buffer_load_dword v190, off, s[0:3], 0 offset:708
	ds_read_b128 v[1:4], v174 offset:1328
	s_waitcnt vmcnt(57) lgkmcnt(1)
	v_mul_f64 v[195:196], v[5:6], v[139:140]
	v_mul_f64 v[139:140], v[7:8], v[139:140]
	s_waitcnt vmcnt(56)
	v_fma_f64 v[155:156], v[113:114], v[157:158], -v[155:156]
	v_add_f64 v[119:120], v[119:120], v[133:134]
	v_fma_f64 v[133:134], v[115:116], v[157:158], v[175:176]
	v_add_f64 v[117:118], v[117:118], v[145:146]
	s_clause 0x2
	buffer_load_dword v150, off, s[0:3], 0 offset:748
	buffer_load_dword v146, off, s[0:3], 0 offset:724
	buffer_load_dword v145, off, s[0:3], 0 offset:720
	ds_read_b128 v[113:116], v174 offset:1344
	s_waitcnt vmcnt(58) lgkmcnt(1)
	v_mul_f64 v[157:158], v[1:2], v[163:164]
	v_mul_f64 v[163:164], v[3:4], v[163:164]
	s_waitcnt vmcnt(56)
	v_fma_f64 v[139:140], v[5:6], v[143:144], -v[139:140]
	v_fma_f64 v[143:144], v[7:8], v[143:144], v[195:196]
	v_add_f64 v[119:120], v[119:120], v[155:156]
	v_add_f64 v[117:118], v[117:118], v[133:134]
	s_clause 0x4
	buffer_load_dword v134, off, s[0:3], 0 offset:764
	buffer_load_dword v155, off, s[0:3], 0 offset:776
	buffer_load_dword v175, off, s[0:3], 0 offset:768
	buffer_load_dword v133, off, s[0:3], 0 offset:760
	buffer_load_dword v182, off, s[0:3], 0 offset:740
	ds_read_b128 v[5:8], v174 offset:1360
	s_waitcnt vmcnt(57) lgkmcnt(1)
	v_mul_f64 v[195:196], v[113:114], v[147:148]
	v_mul_f64 v[147:148], v[115:116], v[147:148]
	s_waitcnt vmcnt(56)
	v_fma_f64 v[163:164], v[1:2], v[165:166], -v[163:164]
	v_add_f64 v[119:120], v[119:120], v[139:140]
	v_fma_f64 v[139:140], v[3:4], v[165:166], v[157:158]
	v_add_f64 v[117:118], v[117:118], v[143:144]
	s_clause 0x2
	buffer_load_dword v156, off, s[0:3], 0 offset:780
	buffer_load_dword v144, off, s[0:3], 0 offset:756
	buffer_load_dword v143, off, s[0:3], 0 offset:752
	ds_read_b128 v[1:4], v174 offset:1376
	s_waitcnt vmcnt(58) lgkmcnt(1)
	v_mul_f64 v[165:166], v[7:8], v[169:170]
	v_mul_f64 v[157:158], v[5:6], v[169:170]
	;; [unrolled: 28-line block ×3, first 2 shown]
	s_waitcnt vmcnt(56)
	v_fma_f64 v[153:154], v[1:2], v[121:122], -v[153:154]
	v_fma_f64 v[121:122], v[3:4], v[121:122], v[195:196]
	v_add_f64 v[119:120], v[119:120], v[165:166]
	v_add_f64 v[117:118], v[117:118], v[147:148]
	s_clause 0x4
	buffer_load_dword v148, off, s[0:3], 0 offset:828
	buffer_load_dword v165, off, s[0:3], 0 offset:840
	;; [unrolled: 1-line block ×5, first 2 shown]
	ds_read_b128 v[1:4], v174 offset:1424
	s_waitcnt vmcnt(57) lgkmcnt(1)
	v_mul_f64 v[195:196], v[5:6], v[161:162]
	v_mul_f64 v[161:162], v[7:8], v[161:162]
	s_waitcnt vmcnt(56)
	v_fma_f64 v[159:160], v[113:114], v[183:184], -v[159:160]
	v_add_f64 v[119:120], v[119:120], v[153:154]
	v_fma_f64 v[153:154], v[115:116], v[183:184], v[157:158]
	v_add_f64 v[117:118], v[117:118], v[121:122]
	s_clause 0x2
	buffer_load_dword v166, off, s[0:3], 0 offset:844
	buffer_load_dword v122, off, s[0:3], 0 offset:820
	buffer_load_dword v121, off, s[0:3], 0 offset:816
	ds_read_b128 v[113:116], v174 offset:1440
	buffer_load_dword v172, off, s[0:3], 0 offset:836
	s_waitcnt vmcnt(59) lgkmcnt(1)
	v_mul_f64 v[157:158], v[1:2], v[177:178]
	v_mul_f64 v[177:178], v[3:4], v[177:178]
	s_waitcnt vmcnt(57)
	v_fma_f64 v[161:162], v[5:6], v[167:168], -v[161:162]
	v_add_f64 v[119:120], v[119:120], v[159:160]
	v_fma_f64 v[159:160], v[7:8], v[167:168], v[195:196]
	v_add_f64 v[117:118], v[117:118], v[153:154]
	ds_read_b128 v[5:8], v174 offset:1456
	s_waitcnt vmcnt(53) lgkmcnt(1)
	v_mul_f64 v[153:154], v[113:114], v[125:126]
	v_mul_f64 v[125:126], v[115:116], v[125:126]
	s_waitcnt vmcnt(52)
	v_fma_f64 v[167:168], v[1:2], v[187:188], -v[177:178]
	v_fma_f64 v[157:158], v[3:4], v[187:188], v[157:158]
	ds_read_b128 v[1:4], v174 offset:1472
	v_add_f64 v[119:120], v[119:120], v[161:162]
	v_add_f64 v[117:118], v[117:118], v[159:160]
	s_waitcnt vmcnt(51) lgkmcnt(1)
	v_mul_f64 v[161:162], v[7:8], v[185:186]
	v_mul_f64 v[159:160], v[5:6], v[185:186]
	s_waitcnt vmcnt(49)
	v_fma_f64 v[125:126], v[113:114], v[131:132], -v[125:126]
	v_fma_f64 v[131:132], v[115:116], v[131:132], v[153:154]
	v_add_f64 v[119:120], v[119:120], v[167:168]
	v_add_f64 v[117:118], v[117:118], v[157:158]
	s_clause 0x3
	buffer_load_dword v153, off, s[0:3], 0 offset:48
	buffer_load_dword v154, off, s[0:3], 0 offset:52
	;; [unrolled: 1-line block ×4, first 2 shown]
	ds_read_b128 v[113:116], v174 offset:1488
	s_waitcnt vmcnt(49) lgkmcnt(1)
	v_mul_f64 v[167:168], v[1:2], v[137:138]
	v_mul_f64 v[137:138], v[3:4], v[137:138]
	s_waitcnt vmcnt(48)
	v_fma_f64 v[161:162], v[5:6], v[191:192], -v[161:162]
	v_add_f64 v[119:120], v[119:120], v[125:126]
	v_fma_f64 v[125:126], v[7:8], v[191:192], v[159:160]
	v_add_f64 v[117:118], v[117:118], v[131:132]
	ds_read_b128 v[5:8], v174 offset:1504
	s_waitcnt vmcnt(47) lgkmcnt(1)
	v_mul_f64 v[159:160], v[115:116], v[179:180]
	v_mul_f64 v[131:132], v[113:114], v[179:180]
	s_waitcnt vmcnt(45)
	v_fma_f64 v[137:138], v[1:2], v[129:130], -v[137:138]
	v_fma_f64 v[129:130], v[3:4], v[129:130], v[167:168]
	ds_read_b128 v[1:4], v174 offset:1520
	v_add_f64 v[119:120], v[119:120], v[161:162]
	v_add_f64 v[117:118], v[117:118], v[125:126]
	s_waitcnt vmcnt(41) lgkmcnt(1)
	v_mul_f64 v[125:126], v[5:6], v[123:124]
	v_mul_f64 v[123:124], v[7:8], v[123:124]
	s_waitcnt vmcnt(40)
	v_fma_f64 v[159:160], v[113:114], v[193:194], -v[159:160]
	v_fma_f64 v[131:132], v[115:116], v[193:194], v[131:132]
	ds_read_b128 v[113:116], v174 offset:1536
	v_add_f64 v[119:120], v[119:120], v[137:138]
	v_add_f64 v[117:118], v[117:118], v[129:130]
	;; [unrolled: 9-line block ×3, first 2 shown]
	s_waitcnt vmcnt(33) lgkmcnt(1)
	v_mul_f64 v[131:132], v[113:114], v[127:128]
	v_mul_f64 v[127:128], v[115:116], v[127:128]
	s_waitcnt vmcnt(32)
	v_fma_f64 v[135:136], v[1:2], v[189:190], -v[137:138]
	v_add_f64 v[119:120], v[119:120], v[123:124]
	v_fma_f64 v[123:124], v[3:4], v[189:190], v[129:130]
	v_add_f64 v[117:118], v[117:118], v[125:126]
	ds_read_b128 v[1:4], v174 offset:1568
	s_waitcnt vmcnt(31) lgkmcnt(1)
	v_mul_f64 v[129:130], v[7:8], v[149:150]
	v_mul_f64 v[125:126], v[5:6], v[149:150]
	s_waitcnt vmcnt(29)
	v_fma_f64 v[127:128], v[113:114], v[145:146], -v[127:128]
	v_fma_f64 v[131:132], v[115:116], v[145:146], v[131:132]
	ds_read_b128 v[113:116], v174 offset:1584
	v_add_f64 v[119:120], v[119:120], v[135:136]
	v_add_f64 v[117:118], v[117:118], v[123:124]
	s_waitcnt vmcnt(25) lgkmcnt(1)
	v_mul_f64 v[123:124], v[1:2], v[133:134]
	v_mul_f64 v[133:134], v[3:4], v[133:134]
	s_waitcnt vmcnt(24)
	v_fma_f64 v[129:130], v[5:6], v[181:182], -v[129:130]
	v_fma_f64 v[125:126], v[7:8], v[181:182], v[125:126]
	ds_read_b128 v[5:8], v174 offset:1600
	v_add_f64 v[119:120], v[119:120], v[127:128]
	v_add_f64 v[117:118], v[117:118], v[131:132]
	s_waitcnt vmcnt(23) lgkmcnt(1)
	v_mul_f64 v[131:132], v[115:116], v[155:156]
	v_mul_f64 v[127:128], v[113:114], v[155:156]
	s_waitcnt vmcnt(21)
	v_fma_f64 v[133:134], v[1:2], v[143:144], -v[133:134]
	v_fma_f64 v[123:124], v[3:4], v[143:144], v[123:124]
	ds_read_b128 v[1:4], v174 offset:1616
	v_add_f64 v[119:120], v[119:120], v[129:130]
	v_add_f64 v[117:118], v[117:118], v[125:126]
	s_waitcnt vmcnt(17) lgkmcnt(1)
	v_mul_f64 v[129:130], v[7:8], v[139:140]
	s_waitcnt vmcnt(16)
	v_fma_f64 v[131:132], v[113:114], v[175:176], -v[131:132]
	v_mul_f64 v[125:126], v[5:6], v[139:140]
	v_fma_f64 v[127:128], v[115:116], v[175:176], v[127:128]
	ds_read_b128 v[113:116], v174 offset:1632
	v_add_f64 v[119:120], v[119:120], v[133:134]
	v_add_f64 v[117:118], v[117:118], v[123:124]
	s_waitcnt vmcnt(15) lgkmcnt(1)
	v_mul_f64 v[133:134], v[3:4], v[163:164]
	v_mul_f64 v[123:124], v[1:2], v[163:164]
	s_waitcnt vmcnt(13)
	v_fma_f64 v[129:130], v[5:6], v[151:152], -v[129:130]
	v_fma_f64 v[125:126], v[7:8], v[151:152], v[125:126]
	ds_read_b128 v[5:8], v174 offset:1648
	v_add_f64 v[119:120], v[119:120], v[131:132]
	v_add_f64 v[117:118], v[117:118], v[127:128]
	s_waitcnt vmcnt(9) lgkmcnt(1)
	v_mul_f64 v[131:132], v[115:116], v[147:148]
	s_waitcnt vmcnt(8)
	v_fma_f64 v[1:2], v[1:2], v[169:170], -v[133:134]
	v_mul_f64 v[127:128], v[113:114], v[147:148]
	v_fma_f64 v[3:4], v[3:4], v[169:170], v[123:124]
	v_add_f64 v[119:120], v[119:120], v[129:130]
	v_add_f64 v[117:118], v[117:118], v[125:126]
	s_waitcnt vmcnt(7) lgkmcnt(0)
	v_mul_f64 v[125:126], v[7:8], v[165:166]
	v_mul_f64 v[123:124], v[5:6], v[165:166]
	s_waitcnt vmcnt(5)
	v_fma_f64 v[113:114], v[113:114], v[121:122], -v[131:132]
	v_fma_f64 v[115:116], v[115:116], v[121:122], v[127:128]
	v_add_f64 v[1:2], v[119:120], v[1:2]
	v_add_f64 v[3:4], v[117:118], v[3:4]
	s_waitcnt vmcnt(4)
	v_fma_f64 v[5:6], v[5:6], v[171:172], -v[125:126]
	v_fma_f64 v[7:8], v[7:8], v[171:172], v[123:124]
	v_add_f64 v[1:2], v[1:2], v[113:114]
	v_add_f64 v[3:4], v[3:4], v[115:116]
	;; [unrolled: 1-line block ×4, first 2 shown]
	s_waitcnt vmcnt(2)
	v_add_f64 v[1:2], v[153:154], -v[1:2]
	s_waitcnt vmcnt(0)
	v_add_f64 v[3:4], v[157:158], -v[3:4]
	buffer_store_dword v2, off, s[0:3], 0 offset:52
	buffer_store_dword v1, off, s[0:3], 0 offset:48
	;; [unrolled: 1-line block ×4, first 2 shown]
	v_cmpx_lt_u32_e32 1, v0
	s_cbranch_execz .LBB115_323
; %bb.322:
	v_mov_b32_e32 v4, s63
	s_clause 0x3
	buffer_load_dword v1, v4, s[0:3], 0 offen
	buffer_load_dword v2, v4, s[0:3], 0 offen offset:4
	buffer_load_dword v3, v4, s[0:3], 0 offen offset:8
	;; [unrolled: 1-line block ×3, first 2 shown]
	buffer_store_dword v174, off, s[0:3], 0 offset:32
	buffer_store_dword v174, off, s[0:3], 0 offset:36
	;; [unrolled: 1-line block ×4, first 2 shown]
	s_waitcnt vmcnt(0)
	ds_write_b128 v173, v[1:4]
.LBB115_323:
	s_or_b32 exec_lo, exec_lo, s4
	s_waitcnt lgkmcnt(0)
	s_waitcnt_vscnt null, 0x0
	s_barrier
	buffer_gl0_inv
	s_clause 0x37
	buffer_load_dword v121, off, s[0:3], 0 offset:56
	buffer_load_dword v122, off, s[0:3], 0 offset:60
	;; [unrolled: 1-line block ×56, first 2 shown]
	ds_read_b128 v[5:8], v174 offset:864
	s_clause 0x2
	buffer_load_dword v170, off, s[0:3], 0 offset:284
	buffer_load_dword v172, off, s[0:3], 0 offset:260
	;; [unrolled: 1-line block ×3, first 2 shown]
	ds_read_b128 v[1:4], v174 offset:880
	s_clause 0x4
	buffer_load_dword v182, off, s[0:3], 0 offset:300
	buffer_load_dword v183, off, s[0:3], 0 offset:312
	buffer_load_dword v185, off, s[0:3], 0 offset:304
	buffer_load_dword v181, off, s[0:3], 0 offset:296
	buffer_load_dword v162, off, s[0:3], 0 offset:276
	ds_read_b128 v[175:178], v174 offset:896
	s_mov_b32 s4, exec_lo
	s_waitcnt vmcnt(62) lgkmcnt(2)
	v_mul_f64 v[179:180], v[7:8], v[121:122]
	v_mul_f64 v[121:122], v[5:6], v[121:122]
	s_waitcnt vmcnt(60) lgkmcnt(1)
	v_mul_f64 v[186:187], v[3:4], v[117:118]
	v_mul_f64 v[117:118], v[1:2], v[117:118]
	;; [unrolled: 3-line block ×3, first 2 shown]
	v_fma_f64 v[179:180], v[5:6], v[119:120], -v[179:180]
	v_fma_f64 v[119:120], v[7:8], v[119:120], v[121:122]
	s_clause 0x2
	buffer_load_dword v184, off, s[0:3], 0 offset:316
	buffer_load_dword v122, off, s[0:3], 0 offset:292
	buffer_load_dword v121, off, s[0:3], 0 offset:288
	s_waitcnt vmcnt(57)
	v_fma_f64 v[190:191], v[1:2], v[113:114], -v[186:187]
	ds_read_b128 v[5:8], v174 offset:912
	v_fma_f64 v[113:114], v[3:4], v[113:114], v[117:118]
	s_waitcnt vmcnt(51)
	v_fma_f64 v[175:176], v[175:176], v[137:138], -v[115:116]
	v_fma_f64 v[137:138], v[177:178], v[137:138], v[188:189]
	v_add_f64 v[179:180], v[179:180], 0
	v_add_f64 v[117:118], v[119:120], 0
	s_clause 0x4
	buffer_load_dword v120, off, s[0:3], 0 offset:332
	buffer_load_dword v187, off, s[0:3], 0 offset:344
	;; [unrolled: 1-line block ×5, first 2 shown]
	s_waitcnt lgkmcnt(0)
	v_mul_f64 v[193:194], v[5:6], v[125:126]
	v_mul_f64 v[125:126], v[7:8], v[125:126]
	ds_read_b128 v[1:4], v174 offset:928
	s_clause 0x2
	buffer_load_dword v188, off, s[0:3], 0 offset:348
	buffer_load_dword v178, off, s[0:3], 0 offset:324
	;; [unrolled: 1-line block ×3, first 2 shown]
	v_add_f64 v[179:180], v[179:180], v[190:191]
	v_add_f64 v[117:118], v[117:118], v[113:114]
	ds_read_b128 v[113:116], v174 offset:944
	s_waitcnt vmcnt(58) lgkmcnt(1)
	v_mul_f64 v[189:190], v[1:2], v[129:130]
	v_mul_f64 v[129:130], v[3:4], v[129:130]
	s_waitcnt vmcnt(56)
	v_fma_f64 v[125:126], v[5:6], v[131:132], -v[125:126]
	v_fma_f64 v[131:132], v[7:8], v[131:132], v[193:194]
	s_waitcnt vmcnt(52) lgkmcnt(0)
	v_mul_f64 v[195:196], v[113:114], v[133:134]
	v_add_f64 v[175:176], v[179:180], v[175:176]
	v_add_f64 v[117:118], v[117:118], v[137:138]
	s_clause 0x4
	buffer_load_dword v138, off, s[0:3], 0 offset:364
	buffer_load_dword v179, off, s[0:3], 0 offset:376
	;; [unrolled: 1-line block ×5, first 2 shown]
	v_mul_f64 v[133:134], v[115:116], v[133:134]
	s_waitcnt vmcnt(56)
	v_fma_f64 v[129:130], v[1:2], v[123:124], -v[129:130]
	ds_read_b128 v[5:8], v174 offset:960
	v_fma_f64 v[123:124], v[3:4], v[123:124], v[189:190]
	v_add_f64 v[125:126], v[175:176], v[125:126]
	v_add_f64 v[117:118], v[117:118], v[131:132]
	s_clause 0x2
	buffer_load_dword v180, off, s[0:3], 0 offset:380
	buffer_load_dword v132, off, s[0:3], 0 offset:356
	buffer_load_dword v131, off, s[0:3], 0 offset:352
	s_waitcnt vmcnt(58) lgkmcnt(0)
	v_mul_f64 v[175:176], v[5:6], v[139:140]
	v_mul_f64 v[139:140], v[7:8], v[139:140]
	s_waitcnt vmcnt(56)
	v_fma_f64 v[133:134], v[113:114], v[141:142], -v[133:134]
	ds_read_b128 v[1:4], v174 offset:976
	v_add_f64 v[125:126], v[125:126], v[129:130]
	v_fma_f64 v[129:130], v[115:116], v[141:142], v[195:196]
	v_add_f64 v[117:118], v[117:118], v[123:124]
	s_clause 0x4
	buffer_load_dword v124, off, s[0:3], 0 offset:396
	buffer_load_dword v141, off, s[0:3], 0 offset:408
	;; [unrolled: 1-line block ×5, first 2 shown]
	s_waitcnt vmcnt(57) lgkmcnt(0)
	v_mul_f64 v[190:191], v[1:2], v[143:144]
	v_mul_f64 v[143:144], v[3:4], v[143:144]
	s_waitcnt vmcnt(56)
	v_fma_f64 v[139:140], v[5:6], v[127:128], -v[139:140]
	ds_read_b128 v[113:116], v174 offset:992
	v_fma_f64 v[127:128], v[7:8], v[127:128], v[175:176]
	v_add_f64 v[125:126], v[125:126], v[133:134]
	v_add_f64 v[117:118], v[117:118], v[129:130]
	s_clause 0x2
	buffer_load_dword v142, off, s[0:3], 0 offset:412
	buffer_load_dword v130, off, s[0:3], 0 offset:388
	;; [unrolled: 1-line block ×3, first 2 shown]
	ds_read_b128 v[5:8], v174 offset:1008
	s_waitcnt vmcnt(58) lgkmcnt(1)
	v_mul_f64 v[133:134], v[113:114], v[147:148]
	v_mul_f64 v[147:148], v[115:116], v[147:148]
	s_waitcnt vmcnt(56)
	v_fma_f64 v[143:144], v[1:2], v[149:150], -v[143:144]
	v_add_f64 v[125:126], v[125:126], v[139:140]
	v_fma_f64 v[139:140], v[3:4], v[149:150], v[190:191]
	v_add_f64 v[117:118], v[117:118], v[127:128]
	s_clause 0x4
	buffer_load_dword v128, off, s[0:3], 0 offset:428
	buffer_load_dword v149, off, s[0:3], 0 offset:440
	;; [unrolled: 1-line block ×5, first 2 shown]
	s_waitcnt vmcnt(57) lgkmcnt(0)
	v_mul_f64 v[196:197], v[5:6], v[151:152]
	v_mul_f64 v[151:152], v[7:8], v[151:152]
	s_waitcnt vmcnt(56)
	v_fma_f64 v[147:148], v[113:114], v[135:136], -v[147:148]
	ds_read_b128 v[1:4], v174 offset:1024
	v_fma_f64 v[133:134], v[115:116], v[135:136], v[133:134]
	s_clause 0x2
	buffer_load_dword v150, off, s[0:3], 0 offset:444
	buffer_load_dword v136, off, s[0:3], 0 offset:420
	;; [unrolled: 1-line block ×3, first 2 shown]
	ds_read_b128 v[113:116], v174 offset:1040
	v_add_f64 v[125:126], v[125:126], v[143:144]
	v_add_f64 v[117:118], v[117:118], v[139:140]
	s_waitcnt vmcnt(58) lgkmcnt(1)
	v_mul_f64 v[143:144], v[3:4], v[155:156]
	s_waitcnt vmcnt(56)
	v_fma_f64 v[151:152], v[5:6], v[157:158], -v[151:152]
	v_mul_f64 v[139:140], v[1:2], v[155:156]
	v_add_f64 v[125:126], v[125:126], v[147:148]
	v_fma_f64 v[147:148], v[7:8], v[157:158], v[196:197]
	v_add_f64 v[117:118], v[117:118], v[133:134]
	s_clause 0x4
	buffer_load_dword v134, off, s[0:3], 0 offset:460
	buffer_load_dword v155, off, s[0:3], 0 offset:472
	;; [unrolled: 1-line block ×5, first 2 shown]
	s_waitcnt vmcnt(57) lgkmcnt(0)
	v_mul_f64 v[196:197], v[113:114], v[159:160]
	v_mul_f64 v[158:159], v[115:116], v[159:160]
	s_waitcnt vmcnt(56)
	v_fma_f64 v[143:144], v[1:2], v[145:146], -v[143:144]
	ds_read_b128 v[5:8], v174 offset:1056
	v_fma_f64 v[139:140], v[3:4], v[145:146], v[139:140]
	s_clause 0x2
	buffer_load_dword v156, off, s[0:3], 0 offset:476
	buffer_load_dword v146, off, s[0:3], 0 offset:452
	buffer_load_dword v145, off, s[0:3], 0 offset:448
	ds_read_b128 v[1:4], v174 offset:1072
	v_add_f64 v[125:126], v[125:126], v[151:152]
	v_add_f64 v[117:118], v[117:118], v[147:148]
	s_waitcnt vmcnt(58) lgkmcnt(1)
	v_mul_f64 v[151:152], v[7:8], v[163:164]
	s_waitcnt vmcnt(56)
	v_fma_f64 v[159:160], v[113:114], v[165:166], -v[158:159]
	v_mul_f64 v[147:148], v[5:6], v[163:164]
	v_add_f64 v[125:126], v[125:126], v[143:144]
	v_fma_f64 v[143:144], v[115:116], v[165:166], v[196:197]
	v_add_f64 v[117:118], v[117:118], v[139:140]
	s_clause 0x4
	buffer_load_dword v140, off, s[0:3], 0 offset:492
	buffer_load_dword v163, off, s[0:3], 0 offset:504
	;; [unrolled: 1-line block ×5, first 2 shown]
	s_waitcnt vmcnt(57) lgkmcnt(0)
	v_mul_f64 v[196:197], v[1:2], v[167:168]
	v_mul_f64 v[166:167], v[3:4], v[167:168]
	s_waitcnt vmcnt(56)
	v_fma_f64 v[151:152], v[5:6], v[153:154], -v[151:152]
	ds_read_b128 v[113:116], v174 offset:1088
	v_fma_f64 v[147:148], v[7:8], v[153:154], v[147:148]
	v_add_f64 v[125:126], v[125:126], v[159:160]
	v_add_f64 v[117:118], v[117:118], v[143:144]
	s_clause 0x2
	buffer_load_dword v164, off, s[0:3], 0 offset:508
	buffer_load_dword v144, off, s[0:3], 0 offset:484
	;; [unrolled: 1-line block ×3, first 2 shown]
	ds_read_b128 v[5:8], v174 offset:1104
	s_waitcnt vmcnt(58) lgkmcnt(1)
	v_mul_f64 v[159:160], v[115:116], v[169:170]
	s_waitcnt vmcnt(56)
	v_fma_f64 v[167:168], v[1:2], v[171:172], -v[166:167]
	v_mul_f64 v[153:154], v[113:114], v[169:170]
	v_add_f64 v[125:126], v[125:126], v[151:152]
	v_fma_f64 v[151:152], v[3:4], v[171:172], v[196:197]
	v_add_f64 v[117:118], v[117:118], v[147:148]
	s_clause 0x4
	buffer_load_dword v148, off, s[0:3], 0 offset:524
	buffer_load_dword v169, off, s[0:3], 0 offset:536
	;; [unrolled: 1-line block ×5, first 2 shown]
	s_waitcnt vmcnt(57) lgkmcnt(0)
	v_mul_f64 v[196:197], v[5:6], v[181:182]
	v_mul_f64 v[181:182], v[7:8], v[181:182]
	s_waitcnt vmcnt(56)
	v_fma_f64 v[159:160], v[113:114], v[161:162], -v[159:160]
	ds_read_b128 v[1:4], v174 offset:1120
	v_fma_f64 v[153:154], v[115:116], v[161:162], v[153:154]
	v_add_f64 v[125:126], v[125:126], v[167:168]
	v_add_f64 v[117:118], v[117:118], v[151:152]
	s_clause 0x2
	buffer_load_dword v170, off, s[0:3], 0 offset:540
	buffer_load_dword v152, off, s[0:3], 0 offset:516
	;; [unrolled: 1-line block ×3, first 2 shown]
	ds_read_b128 v[113:116], v174 offset:1136
	s_waitcnt vmcnt(58) lgkmcnt(1)
	v_mul_f64 v[167:168], v[3:4], v[183:184]
	v_mul_f64 v[161:162], v[1:2], v[183:184]
	s_waitcnt vmcnt(56)
	v_fma_f64 v[181:182], v[5:6], v[121:122], -v[181:182]
	v_fma_f64 v[121:122], v[7:8], v[121:122], v[196:197]
	v_add_f64 v[125:126], v[125:126], v[159:160]
	v_add_f64 v[117:118], v[117:118], v[153:154]
	s_clause 0x4
	buffer_load_dword v154, off, s[0:3], 0 offset:556
	buffer_load_dword v159, off, s[0:3], 0 offset:568
	;; [unrolled: 1-line block ×5, first 2 shown]
	ds_read_b128 v[5:8], v174 offset:1152
	s_waitcnt vmcnt(57) lgkmcnt(1)
	v_mul_f64 v[196:197], v[113:114], v[119:120]
	v_mul_f64 v[119:120], v[115:116], v[119:120]
	s_waitcnt vmcnt(56)
	v_fma_f64 v[167:168], v[1:2], v[185:186], -v[167:168]
	v_fma_f64 v[161:162], v[3:4], v[185:186], v[161:162]
	v_add_f64 v[125:126], v[125:126], v[181:182]
	v_add_f64 v[117:118], v[117:118], v[121:122]
	s_clause 0x2
	buffer_load_dword v160, off, s[0:3], 0 offset:572
	buffer_load_dword v122, off, s[0:3], 0 offset:548
	;; [unrolled: 1-line block ×3, first 2 shown]
	s_waitcnt vmcnt(58) lgkmcnt(0)
	v_mul_f64 v[185:186], v[7:8], v[187:188]
	ds_read_b128 v[1:4], v174 offset:1168
	v_mul_f64 v[181:182], v[5:6], v[187:188]
	s_waitcnt vmcnt(56)
	v_fma_f64 v[119:120], v[113:114], v[177:178], -v[119:120]
	v_add_f64 v[125:126], v[125:126], v[167:168]
	v_fma_f64 v[167:168], v[115:116], v[177:178], v[196:197]
	v_add_f64 v[117:118], v[117:118], v[161:162]
	s_clause 0x4
	buffer_load_dword v162, off, s[0:3], 0 offset:588
	buffer_load_dword v177, off, s[0:3], 0 offset:600
	;; [unrolled: 1-line block ×5, first 2 shown]
	ds_read_b128 v[113:116], v174 offset:1184
	s_waitcnt vmcnt(57) lgkmcnt(1)
	v_mul_f64 v[196:197], v[1:2], v[137:138]
	v_mul_f64 v[137:138], v[3:4], v[137:138]
	s_waitcnt vmcnt(56)
	v_fma_f64 v[185:186], v[5:6], v[192:193], -v[185:186]
	v_add_f64 v[119:120], v[125:126], v[119:120]
	v_fma_f64 v[125:126], v[7:8], v[192:193], v[181:182]
	v_add_f64 v[117:118], v[117:118], v[167:168]
	s_clause 0x2
	buffer_load_dword v178, off, s[0:3], 0 offset:604
	buffer_load_dword v168, off, s[0:3], 0 offset:580
	;; [unrolled: 1-line block ×3, first 2 shown]
	ds_read_b128 v[5:8], v174 offset:1200
	s_waitcnt vmcnt(58) lgkmcnt(1)
	v_mul_f64 v[181:182], v[113:114], v[179:180]
	v_mul_f64 v[179:180], v[115:116], v[179:180]
	s_waitcnt vmcnt(56)
	v_fma_f64 v[137:138], v[1:2], v[131:132], -v[137:138]
	v_fma_f64 v[131:132], v[3:4], v[131:132], v[196:197]
	v_add_f64 v[119:120], v[119:120], v[185:186]
	v_add_f64 v[117:118], v[117:118], v[125:126]
	s_clause 0x4
	buffer_load_dword v126, off, s[0:3], 0 offset:620
	buffer_load_dword v185, off, s[0:3], 0 offset:632
	;; [unrolled: 1-line block ×5, first 2 shown]
	ds_read_b128 v[1:4], v174 offset:1216
	s_waitcnt vmcnt(57) lgkmcnt(1)
	v_mul_f64 v[192:193], v[5:6], v[123:124]
	v_mul_f64 v[123:124], v[7:8], v[123:124]
	s_waitcnt vmcnt(56)
	v_fma_f64 v[179:180], v[113:114], v[194:195], -v[179:180]
	v_add_f64 v[119:120], v[119:120], v[137:138]
	v_fma_f64 v[137:138], v[115:116], v[194:195], v[181:182]
	v_add_f64 v[117:118], v[117:118], v[131:132]
	s_clause 0x2
	buffer_load_dword v186, off, s[0:3], 0 offset:636
	buffer_load_dword v132, off, s[0:3], 0 offset:612
	;; [unrolled: 1-line block ×3, first 2 shown]
	ds_read_b128 v[113:116], v174 offset:1232
	s_waitcnt vmcnt(58) lgkmcnt(1)
	v_mul_f64 v[181:182], v[1:2], v[141:142]
	v_mul_f64 v[141:142], v[3:4], v[141:142]
	s_waitcnt vmcnt(56)
	v_fma_f64 v[123:124], v[5:6], v[129:130], -v[123:124]
	v_fma_f64 v[129:130], v[7:8], v[129:130], v[192:193]
	v_add_f64 v[119:120], v[119:120], v[179:180]
	v_add_f64 v[117:118], v[117:118], v[137:138]
	s_clause 0x4
	buffer_load_dword v138, off, s[0:3], 0 offset:652
	buffer_load_dword v179, off, s[0:3], 0 offset:664
	;; [unrolled: 1-line block ×5, first 2 shown]
	ds_read_b128 v[5:8], v174 offset:1248
	s_waitcnt vmcnt(57) lgkmcnt(1)
	v_mul_f64 v[194:195], v[113:114], v[127:128]
	v_mul_f64 v[127:128], v[115:116], v[127:128]
	s_waitcnt vmcnt(56)
	v_fma_f64 v[141:142], v[1:2], v[189:190], -v[141:142]
	v_add_f64 v[119:120], v[119:120], v[123:124]
	v_fma_f64 v[123:124], v[3:4], v[189:190], v[181:182]
	v_add_f64 v[117:118], v[117:118], v[129:130]
	s_clause 0x2
	buffer_load_dword v180, off, s[0:3], 0 offset:668
	buffer_load_dword v130, off, s[0:3], 0 offset:644
	;; [unrolled: 1-line block ×3, first 2 shown]
	s_waitcnt vmcnt(58) lgkmcnt(0)
	v_mul_f64 v[181:182], v[5:6], v[149:150]
	v_mul_f64 v[149:150], v[7:8], v[149:150]
	ds_read_b128 v[1:4], v174 offset:1264
	s_waitcnt vmcnt(56)
	v_fma_f64 v[127:128], v[113:114], v[135:136], -v[127:128]
	v_fma_f64 v[135:136], v[115:116], v[135:136], v[194:195]
	v_add_f64 v[119:120], v[119:120], v[141:142]
	v_add_f64 v[117:118], v[117:118], v[123:124]
	s_clause 0x4
	buffer_load_dword v124, off, s[0:3], 0 offset:684
	buffer_load_dword v141, off, s[0:3], 0 offset:696
	;; [unrolled: 1-line block ×5, first 2 shown]
	ds_read_b128 v[113:116], v174 offset:1280
	s_waitcnt vmcnt(57) lgkmcnt(1)
	v_mul_f64 v[195:196], v[1:2], v[133:134]
	v_mul_f64 v[133:134], v[3:4], v[133:134]
	s_waitcnt vmcnt(56)
	v_fma_f64 v[149:150], v[5:6], v[175:176], -v[149:150]
	v_add_f64 v[119:120], v[119:120], v[127:128]
	v_fma_f64 v[127:128], v[7:8], v[175:176], v[181:182]
	v_add_f64 v[117:118], v[117:118], v[135:136]
	s_clause 0x2
	buffer_load_dword v142, off, s[0:3], 0 offset:700
	buffer_load_dword v136, off, s[0:3], 0 offset:676
	;; [unrolled: 1-line block ×3, first 2 shown]
	s_waitcnt vmcnt(58) lgkmcnt(0)
	v_mul_f64 v[175:176], v[113:114], v[155:156]
	v_mul_f64 v[155:156], v[115:116], v[155:156]
	ds_read_b128 v[5:8], v174 offset:1296
	s_waitcnt vmcnt(56)
	v_fma_f64 v[133:134], v[1:2], v[145:146], -v[133:134]
	v_fma_f64 v[145:146], v[3:4], v[145:146], v[195:196]
	v_add_f64 v[119:120], v[119:120], v[149:150]
	v_add_f64 v[117:118], v[117:118], v[127:128]
	s_clause 0x4
	buffer_load_dword v128, off, s[0:3], 0 offset:716
	buffer_load_dword v149, off, s[0:3], 0 offset:728
	buffer_load_dword v181, off, s[0:3], 0 offset:720
	buffer_load_dword v127, off, s[0:3], 0 offset:712
	buffer_load_dword v190, off, s[0:3], 0 offset:692
	ds_read_b128 v[1:4], v174 offset:1312
	s_waitcnt vmcnt(57) lgkmcnt(1)
	v_mul_f64 v[195:196], v[5:6], v[139:140]
	v_mul_f64 v[139:140], v[7:8], v[139:140]
	s_waitcnt vmcnt(56)
	v_fma_f64 v[155:156], v[113:114], v[157:158], -v[155:156]
	v_add_f64 v[119:120], v[119:120], v[133:134]
	v_fma_f64 v[133:134], v[115:116], v[157:158], v[175:176]
	v_add_f64 v[117:118], v[117:118], v[145:146]
	s_clause 0x2
	buffer_load_dword v150, off, s[0:3], 0 offset:732
	buffer_load_dword v146, off, s[0:3], 0 offset:708
	buffer_load_dword v145, off, s[0:3], 0 offset:704
	ds_read_b128 v[113:116], v174 offset:1328
	s_waitcnt vmcnt(58) lgkmcnt(1)
	v_mul_f64 v[157:158], v[1:2], v[163:164]
	v_mul_f64 v[163:164], v[3:4], v[163:164]
	s_waitcnt vmcnt(56)
	v_fma_f64 v[139:140], v[5:6], v[143:144], -v[139:140]
	v_fma_f64 v[143:144], v[7:8], v[143:144], v[195:196]
	v_add_f64 v[119:120], v[119:120], v[155:156]
	v_add_f64 v[117:118], v[117:118], v[133:134]
	s_clause 0x4
	buffer_load_dword v134, off, s[0:3], 0 offset:748
	buffer_load_dword v155, off, s[0:3], 0 offset:760
	buffer_load_dword v175, off, s[0:3], 0 offset:752
	buffer_load_dword v133, off, s[0:3], 0 offset:744
	buffer_load_dword v182, off, s[0:3], 0 offset:724
	ds_read_b128 v[5:8], v174 offset:1344
	s_waitcnt vmcnt(57) lgkmcnt(1)
	v_mul_f64 v[195:196], v[113:114], v[147:148]
	v_mul_f64 v[147:148], v[115:116], v[147:148]
	s_waitcnt vmcnt(56)
	v_fma_f64 v[163:164], v[1:2], v[165:166], -v[163:164]
	v_add_f64 v[119:120], v[119:120], v[139:140]
	v_fma_f64 v[139:140], v[3:4], v[165:166], v[157:158]
	v_add_f64 v[117:118], v[117:118], v[143:144]
	s_clause 0x2
	buffer_load_dword v156, off, s[0:3], 0 offset:764
	buffer_load_dword v144, off, s[0:3], 0 offset:740
	buffer_load_dword v143, off, s[0:3], 0 offset:736
	ds_read_b128 v[1:4], v174 offset:1360
	s_waitcnt vmcnt(58) lgkmcnt(1)
	v_mul_f64 v[165:166], v[7:8], v[169:170]
	v_mul_f64 v[157:158], v[5:6], v[169:170]
	;; [unrolled: 28-line block ×4, first 2 shown]
	s_waitcnt vmcnt(56)
	v_fma_f64 v[161:162], v[5:6], v[167:168], -v[161:162]
	v_add_f64 v[119:120], v[119:120], v[159:160]
	v_fma_f64 v[159:160], v[7:8], v[167:168], v[195:196]
	v_add_f64 v[117:118], v[117:118], v[153:154]
	s_clause 0x2
	buffer_load_dword v154, off, s[0:3], 0 offset:844
	buffer_load_dword v153, off, s[0:3], 0 offset:840
	;; [unrolled: 1-line block ×3, first 2 shown]
	ds_read_b128 v[5:8], v174 offset:1440
	s_waitcnt vmcnt(55) lgkmcnt(1)
	v_mul_f64 v[167:168], v[113:114], v[125:126]
	v_mul_f64 v[125:126], v[115:116], v[125:126]
	s_waitcnt vmcnt(54)
	v_fma_f64 v[177:178], v[1:2], v[187:188], -v[177:178]
	v_fma_f64 v[157:158], v[3:4], v[187:188], v[157:158]
	v_add_f64 v[119:120], v[119:120], v[161:162]
	v_add_f64 v[117:118], v[117:118], v[159:160]
	s_clause 0x1
	buffer_load_dword v160, off, s[0:3], 0 offset:836
	buffer_load_dword v159, off, s[0:3], 0 offset:832
	ds_read_b128 v[1:4], v174 offset:1456
	s_waitcnt vmcnt(55) lgkmcnt(1)
	v_mul_f64 v[183:184], v[7:8], v[185:186]
	v_mul_f64 v[161:162], v[5:6], v[185:186]
	s_waitcnt vmcnt(53)
	v_fma_f64 v[125:126], v[113:114], v[131:132], -v[125:126]
	v_fma_f64 v[131:132], v[115:116], v[131:132], v[167:168]
	ds_read_b128 v[113:116], v174 offset:1472
	v_add_f64 v[119:120], v[119:120], v[177:178]
	v_add_f64 v[117:118], v[117:118], v[157:158]
	s_waitcnt vmcnt(49) lgkmcnt(1)
	v_mul_f64 v[157:158], v[1:2], v[137:138]
	v_mul_f64 v[137:138], v[3:4], v[137:138]
	s_waitcnt vmcnt(48)
	v_fma_f64 v[167:168], v[5:6], v[191:192], -v[183:184]
	v_add_f64 v[119:120], v[119:120], v[125:126]
	v_fma_f64 v[125:126], v[7:8], v[191:192], v[161:162]
	v_add_f64 v[117:118], v[117:118], v[131:132]
	s_clause 0x3
	buffer_load_dword v131, off, s[0:3], 0 offset:32
	buffer_load_dword v132, off, s[0:3], 0 offset:36
	;; [unrolled: 1-line block ×4, first 2 shown]
	ds_read_b128 v[5:8], v174 offset:1488
	s_waitcnt vmcnt(51) lgkmcnt(1)
	v_mul_f64 v[177:178], v[113:114], v[179:180]
	v_mul_f64 v[179:180], v[115:116], v[179:180]
	s_waitcnt vmcnt(49)
	v_fma_f64 v[137:138], v[1:2], v[129:130], -v[137:138]
	v_fma_f64 v[129:130], v[3:4], v[129:130], v[157:158]
	ds_read_b128 v[1:4], v174 offset:1504
	v_add_f64 v[119:120], v[119:120], v[167:168]
	v_add_f64 v[117:118], v[117:118], v[125:126]
	s_waitcnt vmcnt(45) lgkmcnt(1)
	v_mul_f64 v[125:126], v[5:6], v[123:124]
	v_mul_f64 v[123:124], v[7:8], v[123:124]
	s_waitcnt vmcnt(44)
	v_fma_f64 v[157:158], v[113:114], v[193:194], -v[179:180]
	v_add_f64 v[119:120], v[119:120], v[137:138]
	v_fma_f64 v[137:138], v[115:116], v[193:194], v[177:178]
	v_add_f64 v[117:118], v[117:118], v[129:130]
	ds_read_b128 v[113:116], v174 offset:1520
	s_waitcnt vmcnt(43) lgkmcnt(1)
	v_mul_f64 v[129:130], v[1:2], v[141:142]
	v_mul_f64 v[141:142], v[3:4], v[141:142]
	s_waitcnt vmcnt(41)
	v_fma_f64 v[123:124], v[5:6], v[135:136], -v[123:124]
	v_fma_f64 v[125:126], v[7:8], v[135:136], v[125:126]
	ds_read_b128 v[5:8], v174 offset:1536
	v_add_f64 v[119:120], v[119:120], v[157:158]
	v_add_f64 v[117:118], v[117:118], v[137:138]
	s_waitcnt vmcnt(37) lgkmcnt(1)
	v_mul_f64 v[135:136], v[113:114], v[127:128]
	v_mul_f64 v[127:128], v[115:116], v[127:128]
	s_waitcnt vmcnt(36)
	v_fma_f64 v[137:138], v[1:2], v[189:190], -v[141:142]
	v_add_f64 v[119:120], v[119:120], v[123:124]
	v_fma_f64 v[123:124], v[3:4], v[189:190], v[129:130]
	v_add_f64 v[117:118], v[117:118], v[125:126]
	ds_read_b128 v[1:4], v174 offset:1552
	s_waitcnt vmcnt(35) lgkmcnt(1)
	v_mul_f64 v[129:130], v[7:8], v[149:150]
	v_mul_f64 v[125:126], v[5:6], v[149:150]
	s_waitcnt vmcnt(33)
	v_fma_f64 v[127:128], v[113:114], v[145:146], -v[127:128]
	v_fma_f64 v[135:136], v[115:116], v[145:146], v[135:136]
	ds_read_b128 v[113:116], v174 offset:1568
	v_add_f64 v[119:120], v[119:120], v[137:138]
	v_add_f64 v[117:118], v[117:118], v[123:124]
	s_waitcnt vmcnt(29) lgkmcnt(1)
	v_mul_f64 v[123:124], v[1:2], v[133:134]
	v_mul_f64 v[133:134], v[3:4], v[133:134]
	s_waitcnt vmcnt(28)
	v_fma_f64 v[129:130], v[5:6], v[181:182], -v[129:130]
	v_fma_f64 v[125:126], v[7:8], v[181:182], v[125:126]
	ds_read_b128 v[5:8], v174 offset:1584
	v_add_f64 v[119:120], v[119:120], v[127:128]
	v_add_f64 v[117:118], v[117:118], v[135:136]
	;; [unrolled: 9-line block ×3, first 2 shown]
	s_waitcnt vmcnt(21) lgkmcnt(1)
	v_mul_f64 v[129:130], v[7:8], v[139:140]
	s_waitcnt vmcnt(20)
	v_fma_f64 v[135:136], v[113:114], v[175:176], -v[135:136]
	v_mul_f64 v[125:126], v[5:6], v[139:140]
	v_fma_f64 v[127:128], v[115:116], v[175:176], v[127:128]
	ds_read_b128 v[113:116], v174 offset:1616
	v_add_f64 v[119:120], v[119:120], v[133:134]
	v_add_f64 v[117:118], v[117:118], v[123:124]
	s_waitcnt vmcnt(19) lgkmcnt(1)
	v_mul_f64 v[133:134], v[3:4], v[163:164]
	v_mul_f64 v[123:124], v[1:2], v[163:164]
	s_waitcnt vmcnt(17)
	v_fma_f64 v[129:130], v[5:6], v[151:152], -v[129:130]
	v_fma_f64 v[125:126], v[7:8], v[151:152], v[125:126]
	ds_read_b128 v[5:8], v174 offset:1632
	v_add_f64 v[119:120], v[119:120], v[135:136]
	v_add_f64 v[117:118], v[117:118], v[127:128]
	s_waitcnt vmcnt(13) lgkmcnt(1)
	v_mul_f64 v[135:136], v[115:116], v[147:148]
	s_waitcnt vmcnt(12)
	v_fma_f64 v[133:134], v[1:2], v[169:170], -v[133:134]
	v_mul_f64 v[127:128], v[113:114], v[147:148]
	v_fma_f64 v[123:124], v[3:4], v[169:170], v[123:124]
	ds_read_b128 v[1:4], v174 offset:1648
	v_add_f64 v[119:120], v[119:120], v[129:130]
	v_add_f64 v[117:118], v[117:118], v[125:126]
	s_waitcnt vmcnt(11) lgkmcnt(1)
	v_mul_f64 v[129:130], v[7:8], v[165:166]
	v_mul_f64 v[125:126], v[5:6], v[165:166]
	s_waitcnt vmcnt(9)
	v_fma_f64 v[113:114], v[113:114], v[121:122], -v[135:136]
	v_fma_f64 v[115:116], v[115:116], v[121:122], v[127:128]
	v_add_f64 v[119:120], v[119:120], v[133:134]
	v_add_f64 v[117:118], v[117:118], v[123:124]
	s_waitcnt vmcnt(7) lgkmcnt(0)
	v_mul_f64 v[123:124], v[3:4], v[153:154]
	s_waitcnt vmcnt(6)
	v_fma_f64 v[5:6], v[5:6], v[171:172], -v[129:130]
	v_mul_f64 v[121:122], v[1:2], v[153:154]
	v_fma_f64 v[7:8], v[7:8], v[171:172], v[125:126]
	v_add_f64 v[113:114], v[119:120], v[113:114]
	v_add_f64 v[115:116], v[117:118], v[115:116]
	s_waitcnt vmcnt(4)
	v_fma_f64 v[1:2], v[1:2], v[159:160], -v[123:124]
	v_fma_f64 v[3:4], v[3:4], v[159:160], v[121:122]
	v_add_f64 v[5:6], v[113:114], v[5:6]
	v_add_f64 v[7:8], v[115:116], v[7:8]
	;; [unrolled: 1-line block ×4, first 2 shown]
	s_waitcnt vmcnt(2)
	v_add_f64 v[1:2], v[131:132], -v[1:2]
	s_waitcnt vmcnt(0)
	v_add_f64 v[3:4], v[161:162], -v[3:4]
	buffer_store_dword v2, off, s[0:3], 0 offset:36
	buffer_store_dword v1, off, s[0:3], 0 offset:32
	;; [unrolled: 1-line block ×4, first 2 shown]
	v_cmpx_ne_u32_e32 0, v0
	s_cbranch_execz .LBB115_325
; %bb.324:
	s_clause 0x3
	buffer_load_dword v0, off, s[0:3], 0 offset:16
	buffer_load_dword v1, off, s[0:3], 0 offset:20
	;; [unrolled: 1-line block ×4, first 2 shown]
	v_mov_b32_e32 v4, 0
	buffer_store_dword v4, off, s[0:3], 0 offset:16
	buffer_store_dword v4, off, s[0:3], 0 offset:20
	;; [unrolled: 1-line block ×4, first 2 shown]
	s_waitcnt vmcnt(0)
	ds_write_b128 v173, v[0:3]
.LBB115_325:
	s_or_b32 exec_lo, exec_lo, s4
	s_waitcnt lgkmcnt(0)
	s_waitcnt_vscnt null, 0x0
	s_barrier
	buffer_gl0_inv
	s_clause 0x37
	buffer_load_dword v121, off, s[0:3], 0 offset:40
	buffer_load_dword v122, off, s[0:3], 0 offset:44
	;; [unrolled: 1-line block ×56, first 2 shown]
	v_mov_b32_e32 v8, 0
	s_and_b32 vcc_lo, exec_lo, s64
	ds_read_b128 v[4:7], v8 offset:848
	s_clause 0x2
	buffer_load_dword v170, off, s[0:3], 0 offset:268
	buffer_load_dword v172, off, s[0:3], 0 offset:244
	;; [unrolled: 1-line block ×3, first 2 shown]
	ds_read_b128 v[0:3], v8 offset:864
	s_clause 0x4
	buffer_load_dword v180, off, s[0:3], 0 offset:284
	buffer_load_dword v181, off, s[0:3], 0 offset:296
	;; [unrolled: 1-line block ×5, first 2 shown]
	ds_read_b128 v[173:176], v8 offset:880
	s_waitcnt vmcnt(62) lgkmcnt(2)
	v_mul_f64 v[177:178], v[6:7], v[121:122]
	v_mul_f64 v[121:122], v[4:5], v[121:122]
	s_waitcnt vmcnt(60) lgkmcnt(1)
	v_mul_f64 v[184:185], v[2:3], v[117:118]
	v_mul_f64 v[117:118], v[0:1], v[117:118]
	;; [unrolled: 3-line block ×3, first 2 shown]
	v_fma_f64 v[177:178], v[4:5], v[119:120], -v[177:178]
	v_fma_f64 v[119:120], v[6:7], v[119:120], v[121:122]
	s_clause 0x2
	buffer_load_dword v182, off, s[0:3], 0 offset:300
	buffer_load_dword v122, off, s[0:3], 0 offset:276
	;; [unrolled: 1-line block ×3, first 2 shown]
	s_waitcnt vmcnt(57)
	v_fma_f64 v[188:189], v[0:1], v[113:114], -v[184:185]
	ds_read_b128 v[4:7], v8 offset:896
	v_fma_f64 v[113:114], v[2:3], v[113:114], v[117:118]
	s_waitcnt vmcnt(51)
	v_fma_f64 v[173:174], v[173:174], v[137:138], -v[115:116]
	v_fma_f64 v[137:138], v[175:176], v[137:138], v[186:187]
	v_add_f64 v[177:178], v[177:178], 0
	v_add_f64 v[117:118], v[119:120], 0
	s_clause 0x4
	buffer_load_dword v120, off, s[0:3], 0 offset:316
	buffer_load_dword v185, off, s[0:3], 0 offset:328
	;; [unrolled: 1-line block ×5, first 2 shown]
	s_waitcnt lgkmcnt(0)
	v_mul_f64 v[191:192], v[4:5], v[125:126]
	v_mul_f64 v[125:126], v[6:7], v[125:126]
	ds_read_b128 v[0:3], v8 offset:912
	s_clause 0x2
	buffer_load_dword v186, off, s[0:3], 0 offset:332
	buffer_load_dword v176, off, s[0:3], 0 offset:308
	buffer_load_dword v175, off, s[0:3], 0 offset:304
	v_add_f64 v[177:178], v[177:178], v[188:189]
	v_add_f64 v[117:118], v[117:118], v[113:114]
	ds_read_b128 v[113:116], v8 offset:928
	s_waitcnt vmcnt(58) lgkmcnt(1)
	v_mul_f64 v[187:188], v[0:1], v[129:130]
	v_mul_f64 v[129:130], v[2:3], v[129:130]
	s_waitcnt vmcnt(56)
	v_fma_f64 v[125:126], v[4:5], v[131:132], -v[125:126]
	v_fma_f64 v[131:132], v[6:7], v[131:132], v[191:192]
	s_waitcnt vmcnt(52) lgkmcnt(0)
	v_mul_f64 v[193:194], v[113:114], v[133:134]
	v_add_f64 v[173:174], v[177:178], v[173:174]
	v_add_f64 v[117:118], v[117:118], v[137:138]
	s_clause 0x4
	buffer_load_dword v138, off, s[0:3], 0 offset:348
	buffer_load_dword v177, off, s[0:3], 0 offset:360
	;; [unrolled: 1-line block ×5, first 2 shown]
	v_mul_f64 v[133:134], v[115:116], v[133:134]
	s_waitcnt vmcnt(56)
	v_fma_f64 v[129:130], v[0:1], v[123:124], -v[129:130]
	ds_read_b128 v[4:7], v8 offset:944
	v_fma_f64 v[123:124], v[2:3], v[123:124], v[187:188]
	v_add_f64 v[125:126], v[173:174], v[125:126]
	v_add_f64 v[117:118], v[117:118], v[131:132]
	s_clause 0x2
	buffer_load_dword v178, off, s[0:3], 0 offset:364
	buffer_load_dword v132, off, s[0:3], 0 offset:340
	;; [unrolled: 1-line block ×3, first 2 shown]
	s_waitcnt vmcnt(58) lgkmcnt(0)
	v_mul_f64 v[173:174], v[4:5], v[139:140]
	v_mul_f64 v[139:140], v[6:7], v[139:140]
	s_waitcnt vmcnt(56)
	v_fma_f64 v[133:134], v[113:114], v[141:142], -v[133:134]
	ds_read_b128 v[0:3], v8 offset:960
	v_add_f64 v[125:126], v[125:126], v[129:130]
	v_fma_f64 v[129:130], v[115:116], v[141:142], v[193:194]
	v_add_f64 v[117:118], v[117:118], v[123:124]
	s_clause 0x4
	buffer_load_dword v124, off, s[0:3], 0 offset:380
	buffer_load_dword v141, off, s[0:3], 0 offset:392
	;; [unrolled: 1-line block ×5, first 2 shown]
	s_waitcnt vmcnt(57) lgkmcnt(0)
	v_mul_f64 v[188:189], v[0:1], v[143:144]
	v_mul_f64 v[143:144], v[2:3], v[143:144]
	s_waitcnt vmcnt(56)
	v_fma_f64 v[139:140], v[4:5], v[127:128], -v[139:140]
	ds_read_b128 v[113:116], v8 offset:976
	v_fma_f64 v[127:128], v[6:7], v[127:128], v[173:174]
	v_add_f64 v[125:126], v[125:126], v[133:134]
	v_add_f64 v[117:118], v[117:118], v[129:130]
	s_clause 0x2
	buffer_load_dword v142, off, s[0:3], 0 offset:396
	buffer_load_dword v130, off, s[0:3], 0 offset:372
	buffer_load_dword v129, off, s[0:3], 0 offset:368
	ds_read_b128 v[4:7], v8 offset:992
	s_waitcnt vmcnt(58) lgkmcnt(1)
	v_mul_f64 v[133:134], v[113:114], v[147:148]
	v_mul_f64 v[147:148], v[115:116], v[147:148]
	s_waitcnt vmcnt(56)
	v_fma_f64 v[143:144], v[0:1], v[149:150], -v[143:144]
	v_add_f64 v[125:126], v[125:126], v[139:140]
	v_fma_f64 v[139:140], v[2:3], v[149:150], v[188:189]
	v_add_f64 v[117:118], v[117:118], v[127:128]
	s_clause 0x4
	buffer_load_dword v128, off, s[0:3], 0 offset:412
	buffer_load_dword v149, off, s[0:3], 0 offset:424
	;; [unrolled: 1-line block ×5, first 2 shown]
	s_waitcnt vmcnt(57) lgkmcnt(0)
	v_mul_f64 v[194:195], v[4:5], v[151:152]
	v_mul_f64 v[151:152], v[6:7], v[151:152]
	s_waitcnt vmcnt(56)
	v_fma_f64 v[147:148], v[113:114], v[135:136], -v[147:148]
	ds_read_b128 v[0:3], v8 offset:1008
	v_fma_f64 v[133:134], v[115:116], v[135:136], v[133:134]
	s_clause 0x2
	buffer_load_dword v150, off, s[0:3], 0 offset:428
	buffer_load_dword v136, off, s[0:3], 0 offset:404
	;; [unrolled: 1-line block ×3, first 2 shown]
	ds_read_b128 v[113:116], v8 offset:1024
	v_add_f64 v[125:126], v[125:126], v[143:144]
	v_add_f64 v[117:118], v[117:118], v[139:140]
	s_waitcnt vmcnt(58) lgkmcnt(1)
	v_mul_f64 v[143:144], v[2:3], v[155:156]
	s_waitcnt vmcnt(56)
	v_fma_f64 v[151:152], v[4:5], v[157:158], -v[151:152]
	v_mul_f64 v[139:140], v[0:1], v[155:156]
	v_add_f64 v[125:126], v[125:126], v[147:148]
	v_fma_f64 v[147:148], v[6:7], v[157:158], v[194:195]
	v_add_f64 v[117:118], v[117:118], v[133:134]
	s_clause 0x4
	buffer_load_dword v134, off, s[0:3], 0 offset:444
	buffer_load_dword v155, off, s[0:3], 0 offset:456
	;; [unrolled: 1-line block ×5, first 2 shown]
	s_waitcnt vmcnt(57) lgkmcnt(0)
	v_mul_f64 v[194:195], v[113:114], v[159:160]
	v_mul_f64 v[158:159], v[115:116], v[159:160]
	s_waitcnt vmcnt(56)
	v_fma_f64 v[143:144], v[0:1], v[145:146], -v[143:144]
	ds_read_b128 v[4:7], v8 offset:1040
	v_fma_f64 v[139:140], v[2:3], v[145:146], v[139:140]
	s_clause 0x2
	buffer_load_dword v156, off, s[0:3], 0 offset:460
	buffer_load_dword v146, off, s[0:3], 0 offset:436
	;; [unrolled: 1-line block ×3, first 2 shown]
	ds_read_b128 v[0:3], v8 offset:1056
	v_add_f64 v[125:126], v[125:126], v[151:152]
	v_add_f64 v[117:118], v[117:118], v[147:148]
	s_waitcnt vmcnt(58) lgkmcnt(1)
	v_mul_f64 v[151:152], v[6:7], v[163:164]
	s_waitcnt vmcnt(56)
	v_fma_f64 v[159:160], v[113:114], v[165:166], -v[158:159]
	v_mul_f64 v[147:148], v[4:5], v[163:164]
	v_add_f64 v[125:126], v[125:126], v[143:144]
	v_fma_f64 v[143:144], v[115:116], v[165:166], v[194:195]
	v_add_f64 v[117:118], v[117:118], v[139:140]
	s_clause 0x4
	buffer_load_dword v140, off, s[0:3], 0 offset:476
	buffer_load_dword v163, off, s[0:3], 0 offset:488
	;; [unrolled: 1-line block ×5, first 2 shown]
	s_waitcnt vmcnt(57) lgkmcnt(0)
	v_mul_f64 v[194:195], v[0:1], v[167:168]
	v_mul_f64 v[166:167], v[2:3], v[167:168]
	s_waitcnt vmcnt(56)
	v_fma_f64 v[151:152], v[4:5], v[153:154], -v[151:152]
	ds_read_b128 v[113:116], v8 offset:1072
	v_fma_f64 v[147:148], v[6:7], v[153:154], v[147:148]
	v_add_f64 v[125:126], v[125:126], v[159:160]
	v_add_f64 v[117:118], v[117:118], v[143:144]
	s_clause 0x2
	buffer_load_dword v164, off, s[0:3], 0 offset:492
	buffer_load_dword v144, off, s[0:3], 0 offset:468
	;; [unrolled: 1-line block ×3, first 2 shown]
	ds_read_b128 v[4:7], v8 offset:1088
	s_waitcnt vmcnt(58) lgkmcnt(1)
	v_mul_f64 v[159:160], v[115:116], v[169:170]
	s_waitcnt vmcnt(56)
	v_fma_f64 v[167:168], v[0:1], v[171:172], -v[166:167]
	v_mul_f64 v[153:154], v[113:114], v[169:170]
	v_add_f64 v[125:126], v[125:126], v[151:152]
	v_fma_f64 v[151:152], v[2:3], v[171:172], v[194:195]
	v_add_f64 v[117:118], v[117:118], v[147:148]
	s_clause 0x4
	buffer_load_dword v148, off, s[0:3], 0 offset:508
	buffer_load_dword v169, off, s[0:3], 0 offset:520
	;; [unrolled: 1-line block ×5, first 2 shown]
	s_waitcnt vmcnt(57) lgkmcnt(0)
	v_mul_f64 v[194:195], v[4:5], v[179:180]
	v_mul_f64 v[179:180], v[6:7], v[179:180]
	s_waitcnt vmcnt(56)
	v_fma_f64 v[159:160], v[113:114], v[161:162], -v[159:160]
	ds_read_b128 v[0:3], v8 offset:1104
	v_fma_f64 v[153:154], v[115:116], v[161:162], v[153:154]
	v_add_f64 v[125:126], v[125:126], v[167:168]
	v_add_f64 v[117:118], v[117:118], v[151:152]
	s_clause 0x2
	buffer_load_dword v170, off, s[0:3], 0 offset:524
	buffer_load_dword v152, off, s[0:3], 0 offset:500
	buffer_load_dword v151, off, s[0:3], 0 offset:496
	ds_read_b128 v[113:116], v8 offset:1120
	s_waitcnt vmcnt(58) lgkmcnt(1)
	v_mul_f64 v[167:168], v[2:3], v[181:182]
	v_mul_f64 v[161:162], v[0:1], v[181:182]
	s_waitcnt vmcnt(56)
	v_fma_f64 v[179:180], v[4:5], v[121:122], -v[179:180]
	v_fma_f64 v[121:122], v[6:7], v[121:122], v[194:195]
	v_add_f64 v[125:126], v[125:126], v[159:160]
	v_add_f64 v[117:118], v[117:118], v[153:154]
	s_clause 0x4
	buffer_load_dword v154, off, s[0:3], 0 offset:540
	buffer_load_dword v159, off, s[0:3], 0 offset:552
	;; [unrolled: 1-line block ×5, first 2 shown]
	ds_read_b128 v[4:7], v8 offset:1136
	s_waitcnt vmcnt(57) lgkmcnt(1)
	v_mul_f64 v[194:195], v[113:114], v[119:120]
	v_mul_f64 v[119:120], v[115:116], v[119:120]
	s_waitcnt vmcnt(56)
	v_fma_f64 v[167:168], v[0:1], v[183:184], -v[167:168]
	v_fma_f64 v[161:162], v[2:3], v[183:184], v[161:162]
	v_add_f64 v[125:126], v[125:126], v[179:180]
	v_add_f64 v[117:118], v[117:118], v[121:122]
	s_clause 0x2
	buffer_load_dword v160, off, s[0:3], 0 offset:556
	buffer_load_dword v122, off, s[0:3], 0 offset:532
	;; [unrolled: 1-line block ×3, first 2 shown]
	s_waitcnt vmcnt(58) lgkmcnt(0)
	v_mul_f64 v[183:184], v[6:7], v[185:186]
	ds_read_b128 v[0:3], v8 offset:1152
	v_mul_f64 v[179:180], v[4:5], v[185:186]
	s_waitcnt vmcnt(56)
	v_fma_f64 v[119:120], v[113:114], v[175:176], -v[119:120]
	v_add_f64 v[125:126], v[125:126], v[167:168]
	v_fma_f64 v[167:168], v[115:116], v[175:176], v[194:195]
	v_add_f64 v[117:118], v[117:118], v[161:162]
	s_clause 0x4
	buffer_load_dword v162, off, s[0:3], 0 offset:572
	buffer_load_dword v175, off, s[0:3], 0 offset:584
	;; [unrolled: 1-line block ×5, first 2 shown]
	ds_read_b128 v[113:116], v8 offset:1168
	s_waitcnt vmcnt(57) lgkmcnt(1)
	v_mul_f64 v[194:195], v[0:1], v[137:138]
	v_mul_f64 v[137:138], v[2:3], v[137:138]
	s_waitcnt vmcnt(56)
	v_fma_f64 v[183:184], v[4:5], v[190:191], -v[183:184]
	v_add_f64 v[119:120], v[125:126], v[119:120]
	v_fma_f64 v[125:126], v[6:7], v[190:191], v[179:180]
	v_add_f64 v[117:118], v[117:118], v[167:168]
	s_clause 0x2
	buffer_load_dword v176, off, s[0:3], 0 offset:588
	buffer_load_dword v168, off, s[0:3], 0 offset:564
	;; [unrolled: 1-line block ×3, first 2 shown]
	ds_read_b128 v[4:7], v8 offset:1184
	s_waitcnt vmcnt(58) lgkmcnt(1)
	v_mul_f64 v[179:180], v[113:114], v[177:178]
	v_mul_f64 v[177:178], v[115:116], v[177:178]
	s_waitcnt vmcnt(56)
	v_fma_f64 v[137:138], v[0:1], v[131:132], -v[137:138]
	v_fma_f64 v[131:132], v[2:3], v[131:132], v[194:195]
	v_add_f64 v[119:120], v[119:120], v[183:184]
	v_add_f64 v[117:118], v[117:118], v[125:126]
	s_clause 0x4
	buffer_load_dword v126, off, s[0:3], 0 offset:604
	buffer_load_dword v183, off, s[0:3], 0 offset:616
	;; [unrolled: 1-line block ×5, first 2 shown]
	ds_read_b128 v[0:3], v8 offset:1200
	s_waitcnt vmcnt(57) lgkmcnt(1)
	v_mul_f64 v[190:191], v[4:5], v[123:124]
	v_mul_f64 v[123:124], v[6:7], v[123:124]
	s_waitcnt vmcnt(56)
	v_fma_f64 v[177:178], v[113:114], v[192:193], -v[177:178]
	v_add_f64 v[119:120], v[119:120], v[137:138]
	v_fma_f64 v[137:138], v[115:116], v[192:193], v[179:180]
	v_add_f64 v[117:118], v[117:118], v[131:132]
	s_clause 0x2
	buffer_load_dword v184, off, s[0:3], 0 offset:620
	buffer_load_dword v132, off, s[0:3], 0 offset:596
	;; [unrolled: 1-line block ×3, first 2 shown]
	ds_read_b128 v[113:116], v8 offset:1216
	s_waitcnt vmcnt(58) lgkmcnt(1)
	v_mul_f64 v[179:180], v[0:1], v[141:142]
	v_mul_f64 v[141:142], v[2:3], v[141:142]
	s_waitcnt vmcnt(56)
	v_fma_f64 v[123:124], v[4:5], v[129:130], -v[123:124]
	v_fma_f64 v[129:130], v[6:7], v[129:130], v[190:191]
	v_add_f64 v[119:120], v[119:120], v[177:178]
	v_add_f64 v[117:118], v[117:118], v[137:138]
	s_clause 0x4
	buffer_load_dword v138, off, s[0:3], 0 offset:636
	buffer_load_dword v177, off, s[0:3], 0 offset:648
	;; [unrolled: 1-line block ×5, first 2 shown]
	ds_read_b128 v[4:7], v8 offset:1232
	s_waitcnt vmcnt(57) lgkmcnt(1)
	v_mul_f64 v[192:193], v[113:114], v[127:128]
	v_mul_f64 v[127:128], v[115:116], v[127:128]
	s_waitcnt vmcnt(56)
	v_fma_f64 v[141:142], v[0:1], v[187:188], -v[141:142]
	v_add_f64 v[119:120], v[119:120], v[123:124]
	v_fma_f64 v[123:124], v[2:3], v[187:188], v[179:180]
	v_add_f64 v[117:118], v[117:118], v[129:130]
	s_clause 0x2
	buffer_load_dword v178, off, s[0:3], 0 offset:652
	buffer_load_dword v130, off, s[0:3], 0 offset:628
	;; [unrolled: 1-line block ×3, first 2 shown]
	s_waitcnt vmcnt(58) lgkmcnt(0)
	v_mul_f64 v[179:180], v[4:5], v[149:150]
	v_mul_f64 v[149:150], v[6:7], v[149:150]
	ds_read_b128 v[0:3], v8 offset:1248
	s_waitcnt vmcnt(56)
	v_fma_f64 v[127:128], v[113:114], v[135:136], -v[127:128]
	v_fma_f64 v[135:136], v[115:116], v[135:136], v[192:193]
	v_add_f64 v[119:120], v[119:120], v[141:142]
	v_add_f64 v[117:118], v[117:118], v[123:124]
	s_clause 0x4
	buffer_load_dword v124, off, s[0:3], 0 offset:668
	buffer_load_dword v141, off, s[0:3], 0 offset:680
	;; [unrolled: 1-line block ×5, first 2 shown]
	ds_read_b128 v[113:116], v8 offset:1264
	s_waitcnt vmcnt(57) lgkmcnt(1)
	v_mul_f64 v[193:194], v[0:1], v[133:134]
	v_mul_f64 v[133:134], v[2:3], v[133:134]
	s_waitcnt vmcnt(56)
	v_fma_f64 v[149:150], v[4:5], v[173:174], -v[149:150]
	v_add_f64 v[119:120], v[119:120], v[127:128]
	v_fma_f64 v[127:128], v[6:7], v[173:174], v[179:180]
	v_add_f64 v[117:118], v[117:118], v[135:136]
	s_clause 0x2
	buffer_load_dword v142, off, s[0:3], 0 offset:684
	buffer_load_dword v136, off, s[0:3], 0 offset:660
	;; [unrolled: 1-line block ×3, first 2 shown]
	s_waitcnt vmcnt(58) lgkmcnt(0)
	v_mul_f64 v[173:174], v[113:114], v[155:156]
	v_mul_f64 v[155:156], v[115:116], v[155:156]
	ds_read_b128 v[4:7], v8 offset:1280
	s_waitcnt vmcnt(56)
	v_fma_f64 v[133:134], v[0:1], v[145:146], -v[133:134]
	v_fma_f64 v[145:146], v[2:3], v[145:146], v[193:194]
	v_add_f64 v[119:120], v[119:120], v[149:150]
	v_add_f64 v[117:118], v[117:118], v[127:128]
	s_clause 0x4
	buffer_load_dword v128, off, s[0:3], 0 offset:700
	buffer_load_dword v149, off, s[0:3], 0 offset:712
	buffer_load_dword v179, off, s[0:3], 0 offset:704
	buffer_load_dword v127, off, s[0:3], 0 offset:696
	buffer_load_dword v188, off, s[0:3], 0 offset:676
	ds_read_b128 v[0:3], v8 offset:1296
	s_waitcnt vmcnt(57) lgkmcnt(1)
	v_mul_f64 v[193:194], v[4:5], v[139:140]
	v_mul_f64 v[139:140], v[6:7], v[139:140]
	s_waitcnt vmcnt(56)
	v_fma_f64 v[155:156], v[113:114], v[157:158], -v[155:156]
	v_add_f64 v[119:120], v[119:120], v[133:134]
	v_fma_f64 v[133:134], v[115:116], v[157:158], v[173:174]
	v_add_f64 v[117:118], v[117:118], v[145:146]
	s_clause 0x2
	buffer_load_dword v150, off, s[0:3], 0 offset:716
	buffer_load_dword v146, off, s[0:3], 0 offset:692
	buffer_load_dword v145, off, s[0:3], 0 offset:688
	ds_read_b128 v[113:116], v8 offset:1312
	s_waitcnt vmcnt(58) lgkmcnt(1)
	v_mul_f64 v[157:158], v[0:1], v[163:164]
	v_mul_f64 v[163:164], v[2:3], v[163:164]
	s_waitcnt vmcnt(56)
	v_fma_f64 v[139:140], v[4:5], v[143:144], -v[139:140]
	v_fma_f64 v[143:144], v[6:7], v[143:144], v[193:194]
	v_add_f64 v[119:120], v[119:120], v[155:156]
	v_add_f64 v[117:118], v[117:118], v[133:134]
	s_clause 0x4
	buffer_load_dword v134, off, s[0:3], 0 offset:732
	buffer_load_dword v155, off, s[0:3], 0 offset:744
	buffer_load_dword v173, off, s[0:3], 0 offset:736
	buffer_load_dword v133, off, s[0:3], 0 offset:728
	buffer_load_dword v180, off, s[0:3], 0 offset:708
	ds_read_b128 v[4:7], v8 offset:1328
	s_waitcnt vmcnt(57) lgkmcnt(1)
	v_mul_f64 v[193:194], v[113:114], v[147:148]
	v_mul_f64 v[147:148], v[115:116], v[147:148]
	s_waitcnt vmcnt(56)
	v_fma_f64 v[163:164], v[0:1], v[165:166], -v[163:164]
	v_add_f64 v[119:120], v[119:120], v[139:140]
	v_fma_f64 v[139:140], v[2:3], v[165:166], v[157:158]
	v_add_f64 v[117:118], v[117:118], v[143:144]
	s_clause 0x2
	buffer_load_dword v156, off, s[0:3], 0 offset:748
	buffer_load_dword v144, off, s[0:3], 0 offset:724
	buffer_load_dword v143, off, s[0:3], 0 offset:720
	ds_read_b128 v[0:3], v8 offset:1344
	s_waitcnt vmcnt(58) lgkmcnt(1)
	v_mul_f64 v[165:166], v[6:7], v[169:170]
	v_mul_f64 v[157:158], v[4:5], v[169:170]
	;; [unrolled: 28-line block ×4, first 2 shown]
	s_waitcnt vmcnt(56)
	v_fma_f64 v[161:162], v[4:5], v[167:168], -v[161:162]
	v_add_f64 v[119:120], v[119:120], v[159:160]
	v_fma_f64 v[159:160], v[6:7], v[167:168], v[193:194]
	v_add_f64 v[117:118], v[117:118], v[153:154]
	s_clause 0x4
	buffer_load_dword v154, off, s[0:3], 0 offset:828
	buffer_load_dword v167, off, s[0:3], 0 offset:840
	buffer_load_dword v181, off, s[0:3], 0 offset:832
	buffer_load_dword v153, off, s[0:3], 0 offset:824
	buffer_load_dword v172, off, s[0:3], 0 offset:804
	ds_read_b128 v[4:7], v8 offset:1424
	s_waitcnt vmcnt(57) lgkmcnt(1)
	v_mul_f64 v[193:194], v[113:114], v[125:126]
	v_mul_f64 v[125:126], v[115:116], v[125:126]
	s_waitcnt vmcnt(56)
	v_fma_f64 v[175:176], v[0:1], v[185:186], -v[175:176]
	v_fma_f64 v[157:158], v[2:3], v[185:186], v[157:158]
	v_add_f64 v[119:120], v[119:120], v[161:162]
	v_add_f64 v[117:118], v[117:118], v[159:160]
	s_clause 0x2
	buffer_load_dword v168, off, s[0:3], 0 offset:844
	buffer_load_dword v160, off, s[0:3], 0 offset:820
	;; [unrolled: 1-line block ×3, first 2 shown]
	ds_read_b128 v[0:3], v8 offset:1440
	buffer_load_dword v182, off, s[0:3], 0 offset:836
	s_waitcnt vmcnt(59) lgkmcnt(1)
	v_mul_f64 v[161:162], v[4:5], v[183:184]
	v_mul_f64 v[183:184], v[6:7], v[183:184]
	s_waitcnt vmcnt(57)
	v_fma_f64 v[125:126], v[113:114], v[131:132], -v[125:126]
	v_fma_f64 v[131:132], v[115:116], v[131:132], v[193:194]
	ds_read_b128 v[113:116], v8 offset:1456
	v_add_f64 v[119:120], v[119:120], v[175:176]
	v_add_f64 v[117:118], v[117:118], v[157:158]
	s_waitcnt vmcnt(53) lgkmcnt(1)
	v_mul_f64 v[157:158], v[0:1], v[137:138]
	v_mul_f64 v[137:138], v[2:3], v[137:138]
	s_waitcnt vmcnt(52)
	v_fma_f64 v[175:176], v[4:5], v[189:190], -v[183:184]
	v_add_f64 v[119:120], v[119:120], v[125:126]
	v_fma_f64 v[125:126], v[6:7], v[189:190], v[161:162]
	v_add_f64 v[117:118], v[117:118], v[131:132]
	ds_read_b128 v[4:7], v8 offset:1472
	s_waitcnt vmcnt(51) lgkmcnt(1)
	v_mul_f64 v[161:162], v[115:116], v[177:178]
	v_mul_f64 v[131:132], v[113:114], v[177:178]
	s_waitcnt vmcnt(49)
	v_fma_f64 v[137:138], v[0:1], v[129:130], -v[137:138]
	v_fma_f64 v[129:130], v[2:3], v[129:130], v[157:158]
	v_add_f64 v[119:120], v[119:120], v[175:176]
	v_add_f64 v[117:118], v[117:118], v[125:126]
	s_clause 0x3
	buffer_load_dword v125, off, s[0:3], 0 offset:16
	buffer_load_dword v126, off, s[0:3], 0 offset:20
	;; [unrolled: 1-line block ×4, first 2 shown]
	ds_read_b128 v[0:3], v8 offset:1488
	s_waitcnt vmcnt(49) lgkmcnt(1)
	v_mul_f64 v[175:176], v[4:5], v[123:124]
	v_mul_f64 v[123:124], v[6:7], v[123:124]
	s_waitcnt vmcnt(48)
	v_fma_f64 v[161:162], v[113:114], v[191:192], -v[161:162]
	v_fma_f64 v[131:132], v[115:116], v[191:192], v[131:132]
	ds_read_b128 v[113:116], v8 offset:1504
	v_add_f64 v[119:120], v[119:120], v[137:138]
	v_add_f64 v[117:118], v[117:118], v[129:130]
	s_waitcnt vmcnt(47) lgkmcnt(1)
	v_mul_f64 v[137:138], v[2:3], v[141:142]
	v_mul_f64 v[129:130], v[0:1], v[141:142]
	s_waitcnt vmcnt(45)
	v_fma_f64 v[123:124], v[4:5], v[135:136], -v[123:124]
	v_fma_f64 v[135:136], v[6:7], v[135:136], v[175:176]
	ds_read_b128 v[4:7], v8 offset:1520
	v_add_f64 v[119:120], v[119:120], v[161:162]
	v_add_f64 v[117:118], v[117:118], v[131:132]
	s_waitcnt vmcnt(41) lgkmcnt(1)
	v_mul_f64 v[131:132], v[113:114], v[127:128]
	v_mul_f64 v[127:128], v[115:116], v[127:128]
	s_waitcnt vmcnt(40)
	v_fma_f64 v[137:138], v[0:1], v[187:188], -v[137:138]
	v_add_f64 v[119:120], v[119:120], v[123:124]
	v_fma_f64 v[123:124], v[2:3], v[187:188], v[129:130]
	v_add_f64 v[117:118], v[117:118], v[135:136]
	ds_read_b128 v[0:3], v8 offset:1536
	s_waitcnt vmcnt(39) lgkmcnt(1)
	v_mul_f64 v[135:136], v[6:7], v[149:150]
	v_mul_f64 v[129:130], v[4:5], v[149:150]
	s_waitcnt vmcnt(37)
	v_fma_f64 v[127:128], v[113:114], v[145:146], -v[127:128]
	v_fma_f64 v[131:132], v[115:116], v[145:146], v[131:132]
	ds_read_b128 v[113:116], v8 offset:1552
	v_add_f64 v[119:120], v[119:120], v[137:138]
	v_add_f64 v[117:118], v[117:118], v[123:124]
	s_waitcnt vmcnt(33) lgkmcnt(1)
	v_mul_f64 v[123:124], v[0:1], v[133:134]
	v_mul_f64 v[133:134], v[2:3], v[133:134]
	s_waitcnt vmcnt(32)
	v_fma_f64 v[135:136], v[4:5], v[179:180], -v[135:136]
	v_add_f64 v[119:120], v[119:120], v[127:128]
	v_fma_f64 v[127:128], v[6:7], v[179:180], v[129:130]
	v_add_f64 v[117:118], v[117:118], v[131:132]
	ds_read_b128 v[4:7], v8 offset:1568
	s_waitcnt vmcnt(31) lgkmcnt(1)
	v_mul_f64 v[131:132], v[115:116], v[155:156]
	v_mul_f64 v[129:130], v[113:114], v[155:156]
	s_waitcnt vmcnt(29)
	v_fma_f64 v[133:134], v[0:1], v[143:144], -v[133:134]
	v_fma_f64 v[123:124], v[2:3], v[143:144], v[123:124]
	ds_read_b128 v[0:3], v8 offset:1584
	v_add_f64 v[119:120], v[119:120], v[135:136]
	v_add_f64 v[117:118], v[117:118], v[127:128]
	s_waitcnt vmcnt(25) lgkmcnt(1)
	v_mul_f64 v[135:136], v[6:7], v[139:140]
	s_waitcnt vmcnt(24)
	v_fma_f64 v[131:132], v[113:114], v[173:174], -v[131:132]
	v_mul_f64 v[127:128], v[4:5], v[139:140]
	v_fma_f64 v[129:130], v[115:116], v[173:174], v[129:130]
	ds_read_b128 v[113:116], v8 offset:1600
	v_add_f64 v[119:120], v[119:120], v[133:134]
	v_add_f64 v[117:118], v[117:118], v[123:124]
	s_waitcnt vmcnt(23) lgkmcnt(1)
	v_mul_f64 v[133:134], v[2:3], v[163:164]
	v_mul_f64 v[123:124], v[0:1], v[163:164]
	s_waitcnt vmcnt(21)
	v_fma_f64 v[135:136], v[4:5], v[151:152], -v[135:136]
	v_fma_f64 v[127:128], v[6:7], v[151:152], v[127:128]
	ds_read_b128 v[4:7], v8 offset:1616
	v_add_f64 v[119:120], v[119:120], v[131:132]
	v_add_f64 v[117:118], v[117:118], v[129:130]
	s_waitcnt vmcnt(17) lgkmcnt(1)
	v_mul_f64 v[131:132], v[115:116], v[147:148]
	s_waitcnt vmcnt(16)
	v_fma_f64 v[133:134], v[0:1], v[169:170], -v[133:134]
	v_mul_f64 v[129:130], v[113:114], v[147:148]
	v_fma_f64 v[123:124], v[2:3], v[169:170], v[123:124]
	ds_read_b128 v[0:3], v8 offset:1632
	v_add_f64 v[119:120], v[119:120], v[135:136]
	v_add_f64 v[117:118], v[117:118], v[127:128]
	s_waitcnt vmcnt(15) lgkmcnt(1)
	v_mul_f64 v[135:136], v[6:7], v[165:166]
	v_mul_f64 v[127:128], v[4:5], v[165:166]
	s_waitcnt vmcnt(13)
	v_fma_f64 v[131:132], v[113:114], v[121:122], -v[131:132]
	v_fma_f64 v[121:122], v[115:116], v[121:122], v[129:130]
	ds_read_b128 v[113:116], v8 offset:1648
	v_add_f64 v[119:120], v[119:120], v[133:134]
	v_add_f64 v[117:118], v[117:118], v[123:124]
	s_waitcnt vmcnt(9) lgkmcnt(1)
	v_mul_f64 v[129:130], v[2:3], v[153:154]
	s_waitcnt vmcnt(8)
	v_fma_f64 v[4:5], v[4:5], v[171:172], -v[135:136]
	v_mul_f64 v[123:124], v[0:1], v[153:154]
	v_fma_f64 v[6:7], v[6:7], v[171:172], v[127:128]
	v_add_f64 v[119:120], v[119:120], v[131:132]
	v_add_f64 v[117:118], v[117:118], v[121:122]
	s_waitcnt vmcnt(7) lgkmcnt(0)
	v_mul_f64 v[127:128], v[115:116], v[167:168]
	v_mul_f64 v[121:122], v[113:114], v[167:168]
	s_waitcnt vmcnt(5)
	v_fma_f64 v[0:1], v[0:1], v[159:160], -v[129:130]
	v_fma_f64 v[2:3], v[2:3], v[159:160], v[123:124]
	v_add_f64 v[4:5], v[119:120], v[4:5]
	v_add_f64 v[6:7], v[117:118], v[6:7]
	s_waitcnt vmcnt(4)
	v_fma_f64 v[113:114], v[113:114], v[181:182], -v[127:128]
	v_add_f64 v[0:1], v[4:5], v[0:1]
	v_fma_f64 v[4:5], v[115:116], v[181:182], v[121:122]
	v_add_f64 v[2:3], v[6:7], v[2:3]
	v_add_f64 v[0:1], v[0:1], v[113:114]
	v_add_f64 v[2:3], v[2:3], v[4:5]
	s_waitcnt vmcnt(2)
	v_add_f64 v[0:1], v[125:126], -v[0:1]
	s_waitcnt vmcnt(0)
	v_add_f64 v[2:3], v[157:158], -v[2:3]
	buffer_store_dword v1, off, s[0:3], 0 offset:20
	buffer_store_dword v0, off, s[0:3], 0 offset:16
	buffer_store_dword v3, off, s[0:3], 0 offset:28
	buffer_store_dword v2, off, s[0:3], 0 offset:24
	s_cbranch_vccz .LBB115_428
; %bb.326:
	global_load_dword v0, v8, s[12:13] offset:200
	s_waitcnt vmcnt(0)
	v_add_nc_u32_e32 v0, -1, v0
	v_cmp_ne_u32_e32 vcc_lo, 50, v0
	s_cbranch_vccz .LBB115_328
; %bb.327:
	v_lshlrev_b32_e32 v0, 4, v0
	v_mov_b32_e32 v1, s9
	v_add_nc_u32_e32 v0, 16, v0
	s_clause 0x7
	buffer_load_dword v2, v0, s[0:3], 0 offen
	buffer_load_dword v3, v0, s[0:3], 0 offen offset:4
	buffer_load_dword v4, v0, s[0:3], 0 offen offset:8
	;; [unrolled: 1-line block ×6, first 2 shown]
	buffer_load_dword v113, v1, s[0:3], 0 offen
	s_waitcnt vmcnt(7)
	buffer_store_dword v2, v1, s[0:3], 0 offen
	s_waitcnt vmcnt(6)
	buffer_store_dword v3, v1, s[0:3], 0 offen offset:4
	s_waitcnt vmcnt(5)
	buffer_store_dword v4, v1, s[0:3], 0 offen offset:8
	;; [unrolled: 2-line block ×6, first 2 shown]
	s_waitcnt vmcnt(0)
	buffer_store_dword v113, v0, s[0:3], 0 offen
.LBB115_328:
	v_mov_b32_e32 v0, 0
	global_load_dword v1, v0, s[12:13] offset:196
	s_waitcnt vmcnt(0)
	v_add_nc_u32_e32 v1, -1, v1
	v_cmp_eq_u32_e32 vcc_lo, 49, v1
	s_cbranch_vccnz .LBB115_330
; %bb.329:
	v_lshlrev_b32_e32 v1, 4, v1
	v_mov_b32_e32 v2, s14
	v_add_nc_u32_e32 v1, 16, v1
	s_clause 0x7
	buffer_load_dword v3, v1, s[0:3], 0 offen
	buffer_load_dword v4, v1, s[0:3], 0 offen offset:4
	buffer_load_dword v5, v1, s[0:3], 0 offen offset:8
	;; [unrolled: 1-line block ×6, first 2 shown]
	buffer_load_dword v114, v2, s[0:3], 0 offen
	s_waitcnt vmcnt(7)
	buffer_store_dword v3, v2, s[0:3], 0 offen
	s_waitcnt vmcnt(6)
	buffer_store_dword v4, v2, s[0:3], 0 offen offset:4
	s_waitcnt vmcnt(5)
	buffer_store_dword v5, v2, s[0:3], 0 offen offset:8
	;; [unrolled: 2-line block ×6, first 2 shown]
	s_waitcnt vmcnt(0)
	buffer_store_dword v114, v1, s[0:3], 0 offen
.LBB115_330:
	global_load_dword v0, v0, s[12:13] offset:192
	s_waitcnt vmcnt(0)
	v_add_nc_u32_e32 v0, -1, v0
	v_cmp_eq_u32_e32 vcc_lo, 48, v0
	s_cbranch_vccnz .LBB115_332
; %bb.331:
	v_lshlrev_b32_e32 v0, 4, v0
	v_mov_b32_e32 v1, s15
	v_add_nc_u32_e32 v0, 16, v0
	s_clause 0x7
	buffer_load_dword v2, v0, s[0:3], 0 offen
	buffer_load_dword v3, v0, s[0:3], 0 offen offset:4
	buffer_load_dword v4, v0, s[0:3], 0 offen offset:8
	;; [unrolled: 1-line block ×6, first 2 shown]
	buffer_load_dword v113, v1, s[0:3], 0 offen
	s_waitcnt vmcnt(7)
	buffer_store_dword v2, v1, s[0:3], 0 offen
	s_waitcnt vmcnt(6)
	buffer_store_dword v3, v1, s[0:3], 0 offen offset:4
	s_waitcnt vmcnt(5)
	buffer_store_dword v4, v1, s[0:3], 0 offen offset:8
	;; [unrolled: 2-line block ×6, first 2 shown]
	s_waitcnt vmcnt(0)
	buffer_store_dword v113, v0, s[0:3], 0 offen
.LBB115_332:
	v_mov_b32_e32 v0, 0
	global_load_dword v1, v0, s[12:13] offset:188
	s_waitcnt vmcnt(0)
	v_add_nc_u32_e32 v1, -1, v1
	v_cmp_eq_u32_e32 vcc_lo, 47, v1
	s_cbranch_vccnz .LBB115_334
; %bb.333:
	v_lshlrev_b32_e32 v1, 4, v1
	v_mov_b32_e32 v2, s16
	v_add_nc_u32_e32 v1, 16, v1
	s_clause 0x7
	buffer_load_dword v3, v1, s[0:3], 0 offen
	buffer_load_dword v4, v1, s[0:3], 0 offen offset:4
	buffer_load_dword v5, v1, s[0:3], 0 offen offset:8
	;; [unrolled: 1-line block ×6, first 2 shown]
	buffer_load_dword v114, v2, s[0:3], 0 offen
	s_waitcnt vmcnt(7)
	buffer_store_dword v3, v2, s[0:3], 0 offen
	s_waitcnt vmcnt(6)
	buffer_store_dword v4, v2, s[0:3], 0 offen offset:4
	s_waitcnt vmcnt(5)
	buffer_store_dword v5, v2, s[0:3], 0 offen offset:8
	;; [unrolled: 2-line block ×6, first 2 shown]
	s_waitcnt vmcnt(0)
	buffer_store_dword v114, v1, s[0:3], 0 offen
.LBB115_334:
	global_load_dword v0, v0, s[12:13] offset:184
	s_waitcnt vmcnt(0)
	v_add_nc_u32_e32 v0, -1, v0
	v_cmp_eq_u32_e32 vcc_lo, 46, v0
	s_cbranch_vccnz .LBB115_336
; %bb.335:
	v_lshlrev_b32_e32 v0, 4, v0
	v_mov_b32_e32 v1, s17
	v_add_nc_u32_e32 v0, 16, v0
	s_clause 0x7
	buffer_load_dword v2, v0, s[0:3], 0 offen
	buffer_load_dword v3, v0, s[0:3], 0 offen offset:4
	buffer_load_dword v4, v0, s[0:3], 0 offen offset:8
	;; [unrolled: 1-line block ×6, first 2 shown]
	buffer_load_dword v113, v1, s[0:3], 0 offen
	s_waitcnt vmcnt(7)
	buffer_store_dword v2, v1, s[0:3], 0 offen
	s_waitcnt vmcnt(6)
	buffer_store_dword v3, v1, s[0:3], 0 offen offset:4
	s_waitcnt vmcnt(5)
	buffer_store_dword v4, v1, s[0:3], 0 offen offset:8
	;; [unrolled: 2-line block ×6, first 2 shown]
	s_waitcnt vmcnt(0)
	buffer_store_dword v113, v0, s[0:3], 0 offen
.LBB115_336:
	v_mov_b32_e32 v0, 0
	global_load_dword v1, v0, s[12:13] offset:180
	s_waitcnt vmcnt(0)
	v_add_nc_u32_e32 v1, -1, v1
	v_cmp_eq_u32_e32 vcc_lo, 45, v1
	s_cbranch_vccnz .LBB115_338
; %bb.337:
	v_lshlrev_b32_e32 v1, 4, v1
	v_mov_b32_e32 v2, s18
	v_add_nc_u32_e32 v1, 16, v1
	s_clause 0x7
	buffer_load_dword v3, v1, s[0:3], 0 offen
	buffer_load_dword v4, v1, s[0:3], 0 offen offset:4
	buffer_load_dword v5, v1, s[0:3], 0 offen offset:8
	;; [unrolled: 1-line block ×6, first 2 shown]
	buffer_load_dword v114, v2, s[0:3], 0 offen
	s_waitcnt vmcnt(7)
	buffer_store_dword v3, v2, s[0:3], 0 offen
	s_waitcnt vmcnt(6)
	buffer_store_dword v4, v2, s[0:3], 0 offen offset:4
	s_waitcnt vmcnt(5)
	buffer_store_dword v5, v2, s[0:3], 0 offen offset:8
	;; [unrolled: 2-line block ×6, first 2 shown]
	s_waitcnt vmcnt(0)
	buffer_store_dword v114, v1, s[0:3], 0 offen
.LBB115_338:
	global_load_dword v0, v0, s[12:13] offset:176
	s_waitcnt vmcnt(0)
	v_add_nc_u32_e32 v0, -1, v0
	v_cmp_eq_u32_e32 vcc_lo, 44, v0
	s_cbranch_vccnz .LBB115_340
; %bb.339:
	v_lshlrev_b32_e32 v0, 4, v0
	v_mov_b32_e32 v1, s19
	v_add_nc_u32_e32 v0, 16, v0
	s_clause 0x7
	buffer_load_dword v2, v0, s[0:3], 0 offen
	buffer_load_dword v3, v0, s[0:3], 0 offen offset:4
	buffer_load_dword v4, v0, s[0:3], 0 offen offset:8
	;; [unrolled: 1-line block ×6, first 2 shown]
	buffer_load_dword v113, v1, s[0:3], 0 offen
	s_waitcnt vmcnt(7)
	buffer_store_dword v2, v1, s[0:3], 0 offen
	s_waitcnt vmcnt(6)
	buffer_store_dword v3, v1, s[0:3], 0 offen offset:4
	s_waitcnt vmcnt(5)
	buffer_store_dword v4, v1, s[0:3], 0 offen offset:8
	;; [unrolled: 2-line block ×6, first 2 shown]
	s_waitcnt vmcnt(0)
	buffer_store_dword v113, v0, s[0:3], 0 offen
.LBB115_340:
	v_mov_b32_e32 v0, 0
	global_load_dword v1, v0, s[12:13] offset:172
	s_waitcnt vmcnt(0)
	v_add_nc_u32_e32 v1, -1, v1
	v_cmp_eq_u32_e32 vcc_lo, 43, v1
	s_cbranch_vccnz .LBB115_342
; %bb.341:
	v_lshlrev_b32_e32 v1, 4, v1
	v_mov_b32_e32 v2, s20
	v_add_nc_u32_e32 v1, 16, v1
	s_clause 0x7
	buffer_load_dword v3, v1, s[0:3], 0 offen
	buffer_load_dword v4, v1, s[0:3], 0 offen offset:4
	buffer_load_dword v5, v1, s[0:3], 0 offen offset:8
	;; [unrolled: 1-line block ×6, first 2 shown]
	buffer_load_dword v114, v2, s[0:3], 0 offen
	s_waitcnt vmcnt(7)
	buffer_store_dword v3, v2, s[0:3], 0 offen
	s_waitcnt vmcnt(6)
	buffer_store_dword v4, v2, s[0:3], 0 offen offset:4
	s_waitcnt vmcnt(5)
	buffer_store_dword v5, v2, s[0:3], 0 offen offset:8
	;; [unrolled: 2-line block ×6, first 2 shown]
	s_waitcnt vmcnt(0)
	buffer_store_dword v114, v1, s[0:3], 0 offen
.LBB115_342:
	global_load_dword v0, v0, s[12:13] offset:168
	s_waitcnt vmcnt(0)
	v_add_nc_u32_e32 v0, -1, v0
	v_cmp_eq_u32_e32 vcc_lo, 42, v0
	s_cbranch_vccnz .LBB115_344
; %bb.343:
	v_lshlrev_b32_e32 v0, 4, v0
	v_mov_b32_e32 v1, s21
	v_add_nc_u32_e32 v0, 16, v0
	s_clause 0x7
	buffer_load_dword v2, v0, s[0:3], 0 offen
	buffer_load_dword v3, v0, s[0:3], 0 offen offset:4
	buffer_load_dword v4, v0, s[0:3], 0 offen offset:8
	;; [unrolled: 1-line block ×6, first 2 shown]
	buffer_load_dword v113, v1, s[0:3], 0 offen
	s_waitcnt vmcnt(7)
	buffer_store_dword v2, v1, s[0:3], 0 offen
	s_waitcnt vmcnt(6)
	buffer_store_dword v3, v1, s[0:3], 0 offen offset:4
	s_waitcnt vmcnt(5)
	buffer_store_dword v4, v1, s[0:3], 0 offen offset:8
	;; [unrolled: 2-line block ×6, first 2 shown]
	s_waitcnt vmcnt(0)
	buffer_store_dword v113, v0, s[0:3], 0 offen
.LBB115_344:
	v_mov_b32_e32 v0, 0
	global_load_dword v1, v0, s[12:13] offset:164
	s_waitcnt vmcnt(0)
	v_add_nc_u32_e32 v1, -1, v1
	v_cmp_eq_u32_e32 vcc_lo, 41, v1
	s_cbranch_vccnz .LBB115_346
; %bb.345:
	v_lshlrev_b32_e32 v1, 4, v1
	v_mov_b32_e32 v2, s22
	v_add_nc_u32_e32 v1, 16, v1
	s_clause 0x7
	buffer_load_dword v3, v1, s[0:3], 0 offen
	buffer_load_dword v4, v1, s[0:3], 0 offen offset:4
	buffer_load_dword v5, v1, s[0:3], 0 offen offset:8
	;; [unrolled: 1-line block ×6, first 2 shown]
	buffer_load_dword v114, v2, s[0:3], 0 offen
	s_waitcnt vmcnt(7)
	buffer_store_dword v3, v2, s[0:3], 0 offen
	s_waitcnt vmcnt(6)
	buffer_store_dword v4, v2, s[0:3], 0 offen offset:4
	s_waitcnt vmcnt(5)
	buffer_store_dword v5, v2, s[0:3], 0 offen offset:8
	;; [unrolled: 2-line block ×6, first 2 shown]
	s_waitcnt vmcnt(0)
	buffer_store_dword v114, v1, s[0:3], 0 offen
.LBB115_346:
	global_load_dword v0, v0, s[12:13] offset:160
	s_waitcnt vmcnt(0)
	v_add_nc_u32_e32 v0, -1, v0
	v_cmp_eq_u32_e32 vcc_lo, 40, v0
	s_cbranch_vccnz .LBB115_348
; %bb.347:
	v_lshlrev_b32_e32 v0, 4, v0
	v_mov_b32_e32 v1, s23
	v_add_nc_u32_e32 v0, 16, v0
	s_clause 0x7
	buffer_load_dword v2, v0, s[0:3], 0 offen
	buffer_load_dword v3, v0, s[0:3], 0 offen offset:4
	buffer_load_dword v4, v0, s[0:3], 0 offen offset:8
	;; [unrolled: 1-line block ×6, first 2 shown]
	buffer_load_dword v113, v1, s[0:3], 0 offen
	s_waitcnt vmcnt(7)
	buffer_store_dword v2, v1, s[0:3], 0 offen
	s_waitcnt vmcnt(6)
	buffer_store_dword v3, v1, s[0:3], 0 offen offset:4
	s_waitcnt vmcnt(5)
	buffer_store_dword v4, v1, s[0:3], 0 offen offset:8
	;; [unrolled: 2-line block ×6, first 2 shown]
	s_waitcnt vmcnt(0)
	buffer_store_dword v113, v0, s[0:3], 0 offen
.LBB115_348:
	v_mov_b32_e32 v0, 0
	global_load_dword v1, v0, s[12:13] offset:156
	s_waitcnt vmcnt(0)
	v_add_nc_u32_e32 v1, -1, v1
	v_cmp_eq_u32_e32 vcc_lo, 39, v1
	s_cbranch_vccnz .LBB115_350
; %bb.349:
	v_lshlrev_b32_e32 v1, 4, v1
	v_mov_b32_e32 v2, s24
	v_add_nc_u32_e32 v1, 16, v1
	s_clause 0x7
	buffer_load_dword v3, v1, s[0:3], 0 offen
	buffer_load_dword v4, v1, s[0:3], 0 offen offset:4
	buffer_load_dword v5, v1, s[0:3], 0 offen offset:8
	;; [unrolled: 1-line block ×6, first 2 shown]
	buffer_load_dword v114, v2, s[0:3], 0 offen
	s_waitcnt vmcnt(7)
	buffer_store_dword v3, v2, s[0:3], 0 offen
	s_waitcnt vmcnt(6)
	buffer_store_dword v4, v2, s[0:3], 0 offen offset:4
	s_waitcnt vmcnt(5)
	buffer_store_dword v5, v2, s[0:3], 0 offen offset:8
	;; [unrolled: 2-line block ×6, first 2 shown]
	s_waitcnt vmcnt(0)
	buffer_store_dword v114, v1, s[0:3], 0 offen
.LBB115_350:
	global_load_dword v0, v0, s[12:13] offset:152
	s_waitcnt vmcnt(0)
	v_add_nc_u32_e32 v0, -1, v0
	v_cmp_eq_u32_e32 vcc_lo, 38, v0
	s_cbranch_vccnz .LBB115_352
; %bb.351:
	v_lshlrev_b32_e32 v0, 4, v0
	v_mov_b32_e32 v1, s25
	v_add_nc_u32_e32 v0, 16, v0
	s_clause 0x7
	buffer_load_dword v2, v0, s[0:3], 0 offen
	buffer_load_dword v3, v0, s[0:3], 0 offen offset:4
	buffer_load_dword v4, v0, s[0:3], 0 offen offset:8
	;; [unrolled: 1-line block ×6, first 2 shown]
	buffer_load_dword v113, v1, s[0:3], 0 offen
	s_waitcnt vmcnt(7)
	buffer_store_dword v2, v1, s[0:3], 0 offen
	s_waitcnt vmcnt(6)
	buffer_store_dword v3, v1, s[0:3], 0 offen offset:4
	s_waitcnt vmcnt(5)
	buffer_store_dword v4, v1, s[0:3], 0 offen offset:8
	;; [unrolled: 2-line block ×6, first 2 shown]
	s_waitcnt vmcnt(0)
	buffer_store_dword v113, v0, s[0:3], 0 offen
.LBB115_352:
	v_mov_b32_e32 v0, 0
	global_load_dword v1, v0, s[12:13] offset:148
	s_waitcnt vmcnt(0)
	v_add_nc_u32_e32 v1, -1, v1
	v_cmp_eq_u32_e32 vcc_lo, 37, v1
	s_cbranch_vccnz .LBB115_354
; %bb.353:
	v_lshlrev_b32_e32 v1, 4, v1
	v_mov_b32_e32 v2, s26
	v_add_nc_u32_e32 v1, 16, v1
	s_clause 0x7
	buffer_load_dword v3, v1, s[0:3], 0 offen
	buffer_load_dword v4, v1, s[0:3], 0 offen offset:4
	buffer_load_dword v5, v1, s[0:3], 0 offen offset:8
	buffer_load_dword v6, v1, s[0:3], 0 offen offset:12
	buffer_load_dword v7, v2, s[0:3], 0 offen offset:12
	buffer_load_dword v8, v2, s[0:3], 0 offen offset:8
	buffer_load_dword v113, v2, s[0:3], 0 offen offset:4
	buffer_load_dword v114, v2, s[0:3], 0 offen
	s_waitcnt vmcnt(7)
	buffer_store_dword v3, v2, s[0:3], 0 offen
	s_waitcnt vmcnt(6)
	buffer_store_dword v4, v2, s[0:3], 0 offen offset:4
	s_waitcnt vmcnt(5)
	buffer_store_dword v5, v2, s[0:3], 0 offen offset:8
	;; [unrolled: 2-line block ×6, first 2 shown]
	s_waitcnt vmcnt(0)
	buffer_store_dword v114, v1, s[0:3], 0 offen
.LBB115_354:
	global_load_dword v0, v0, s[12:13] offset:144
	s_waitcnt vmcnt(0)
	v_add_nc_u32_e32 v0, -1, v0
	v_cmp_eq_u32_e32 vcc_lo, 36, v0
	s_cbranch_vccnz .LBB115_356
; %bb.355:
	v_lshlrev_b32_e32 v0, 4, v0
	v_mov_b32_e32 v1, s27
	v_add_nc_u32_e32 v0, 16, v0
	s_clause 0x7
	buffer_load_dword v2, v0, s[0:3], 0 offen
	buffer_load_dword v3, v0, s[0:3], 0 offen offset:4
	buffer_load_dword v4, v0, s[0:3], 0 offen offset:8
	;; [unrolled: 1-line block ×6, first 2 shown]
	buffer_load_dword v113, v1, s[0:3], 0 offen
	s_waitcnt vmcnt(7)
	buffer_store_dword v2, v1, s[0:3], 0 offen
	s_waitcnt vmcnt(6)
	buffer_store_dword v3, v1, s[0:3], 0 offen offset:4
	s_waitcnt vmcnt(5)
	buffer_store_dword v4, v1, s[0:3], 0 offen offset:8
	;; [unrolled: 2-line block ×6, first 2 shown]
	s_waitcnt vmcnt(0)
	buffer_store_dword v113, v0, s[0:3], 0 offen
.LBB115_356:
	v_mov_b32_e32 v0, 0
	global_load_dword v1, v0, s[12:13] offset:140
	s_waitcnt vmcnt(0)
	v_add_nc_u32_e32 v1, -1, v1
	v_cmp_eq_u32_e32 vcc_lo, 35, v1
	s_cbranch_vccnz .LBB115_358
; %bb.357:
	v_lshlrev_b32_e32 v1, 4, v1
	v_mov_b32_e32 v2, s28
	v_add_nc_u32_e32 v1, 16, v1
	s_clause 0x7
	buffer_load_dword v3, v1, s[0:3], 0 offen
	buffer_load_dword v4, v1, s[0:3], 0 offen offset:4
	buffer_load_dword v5, v1, s[0:3], 0 offen offset:8
	buffer_load_dword v6, v1, s[0:3], 0 offen offset:12
	buffer_load_dword v7, v2, s[0:3], 0 offen offset:12
	buffer_load_dword v8, v2, s[0:3], 0 offen offset:8
	buffer_load_dword v113, v2, s[0:3], 0 offen offset:4
	buffer_load_dword v114, v2, s[0:3], 0 offen
	s_waitcnt vmcnt(7)
	buffer_store_dword v3, v2, s[0:3], 0 offen
	s_waitcnt vmcnt(6)
	buffer_store_dword v4, v2, s[0:3], 0 offen offset:4
	s_waitcnt vmcnt(5)
	buffer_store_dword v5, v2, s[0:3], 0 offen offset:8
	;; [unrolled: 2-line block ×6, first 2 shown]
	s_waitcnt vmcnt(0)
	buffer_store_dword v114, v1, s[0:3], 0 offen
.LBB115_358:
	global_load_dword v0, v0, s[12:13] offset:136
	s_waitcnt vmcnt(0)
	v_add_nc_u32_e32 v0, -1, v0
	v_cmp_eq_u32_e32 vcc_lo, 34, v0
	s_cbranch_vccnz .LBB115_360
; %bb.359:
	v_lshlrev_b32_e32 v0, 4, v0
	v_mov_b32_e32 v1, s29
	v_add_nc_u32_e32 v0, 16, v0
	s_clause 0x7
	buffer_load_dword v2, v0, s[0:3], 0 offen
	buffer_load_dword v3, v0, s[0:3], 0 offen offset:4
	buffer_load_dword v4, v0, s[0:3], 0 offen offset:8
	;; [unrolled: 1-line block ×6, first 2 shown]
	buffer_load_dword v113, v1, s[0:3], 0 offen
	s_waitcnt vmcnt(7)
	buffer_store_dword v2, v1, s[0:3], 0 offen
	s_waitcnt vmcnt(6)
	buffer_store_dword v3, v1, s[0:3], 0 offen offset:4
	s_waitcnt vmcnt(5)
	buffer_store_dword v4, v1, s[0:3], 0 offen offset:8
	;; [unrolled: 2-line block ×6, first 2 shown]
	s_waitcnt vmcnt(0)
	buffer_store_dword v113, v0, s[0:3], 0 offen
.LBB115_360:
	v_mov_b32_e32 v0, 0
	global_load_dword v1, v0, s[12:13] offset:132
	s_waitcnt vmcnt(0)
	v_add_nc_u32_e32 v1, -1, v1
	v_cmp_eq_u32_e32 vcc_lo, 33, v1
	s_cbranch_vccnz .LBB115_362
; %bb.361:
	v_lshlrev_b32_e32 v1, 4, v1
	v_mov_b32_e32 v2, s30
	v_add_nc_u32_e32 v1, 16, v1
	s_clause 0x7
	buffer_load_dword v3, v1, s[0:3], 0 offen
	buffer_load_dword v4, v1, s[0:3], 0 offen offset:4
	buffer_load_dword v5, v1, s[0:3], 0 offen offset:8
	;; [unrolled: 1-line block ×6, first 2 shown]
	buffer_load_dword v114, v2, s[0:3], 0 offen
	s_waitcnt vmcnt(7)
	buffer_store_dword v3, v2, s[0:3], 0 offen
	s_waitcnt vmcnt(6)
	buffer_store_dword v4, v2, s[0:3], 0 offen offset:4
	s_waitcnt vmcnt(5)
	buffer_store_dword v5, v2, s[0:3], 0 offen offset:8
	;; [unrolled: 2-line block ×6, first 2 shown]
	s_waitcnt vmcnt(0)
	buffer_store_dword v114, v1, s[0:3], 0 offen
.LBB115_362:
	global_load_dword v0, v0, s[12:13] offset:128
	s_waitcnt vmcnt(0)
	v_add_nc_u32_e32 v0, -1, v0
	v_cmp_eq_u32_e32 vcc_lo, 32, v0
	s_cbranch_vccnz .LBB115_364
; %bb.363:
	v_lshlrev_b32_e32 v0, 4, v0
	v_mov_b32_e32 v1, s31
	v_add_nc_u32_e32 v0, 16, v0
	s_clause 0x7
	buffer_load_dword v2, v0, s[0:3], 0 offen
	buffer_load_dword v3, v0, s[0:3], 0 offen offset:4
	buffer_load_dword v4, v0, s[0:3], 0 offen offset:8
	;; [unrolled: 1-line block ×6, first 2 shown]
	buffer_load_dword v113, v1, s[0:3], 0 offen
	s_waitcnt vmcnt(7)
	buffer_store_dword v2, v1, s[0:3], 0 offen
	s_waitcnt vmcnt(6)
	buffer_store_dword v3, v1, s[0:3], 0 offen offset:4
	s_waitcnt vmcnt(5)
	buffer_store_dword v4, v1, s[0:3], 0 offen offset:8
	;; [unrolled: 2-line block ×6, first 2 shown]
	s_waitcnt vmcnt(0)
	buffer_store_dword v113, v0, s[0:3], 0 offen
.LBB115_364:
	v_mov_b32_e32 v0, 0
	global_load_dword v1, v0, s[12:13] offset:124
	s_waitcnt vmcnt(0)
	v_add_nc_u32_e32 v1, -1, v1
	v_cmp_eq_u32_e32 vcc_lo, 31, v1
	s_cbranch_vccnz .LBB115_366
; %bb.365:
	v_lshlrev_b32_e32 v1, 4, v1
	v_mov_b32_e32 v2, s33
	v_add_nc_u32_e32 v1, 16, v1
	s_clause 0x7
	buffer_load_dword v3, v1, s[0:3], 0 offen
	buffer_load_dword v4, v1, s[0:3], 0 offen offset:4
	buffer_load_dword v5, v1, s[0:3], 0 offen offset:8
	;; [unrolled: 1-line block ×6, first 2 shown]
	buffer_load_dword v114, v2, s[0:3], 0 offen
	s_waitcnt vmcnt(7)
	buffer_store_dword v3, v2, s[0:3], 0 offen
	s_waitcnt vmcnt(6)
	buffer_store_dword v4, v2, s[0:3], 0 offen offset:4
	s_waitcnt vmcnt(5)
	buffer_store_dword v5, v2, s[0:3], 0 offen offset:8
	;; [unrolled: 2-line block ×6, first 2 shown]
	s_waitcnt vmcnt(0)
	buffer_store_dword v114, v1, s[0:3], 0 offen
.LBB115_366:
	global_load_dword v0, v0, s[12:13] offset:120
	s_waitcnt vmcnt(0)
	v_add_nc_u32_e32 v0, -1, v0
	v_cmp_eq_u32_e32 vcc_lo, 30, v0
	s_cbranch_vccnz .LBB115_368
; %bb.367:
	v_lshlrev_b32_e32 v0, 4, v0
	v_mov_b32_e32 v1, s34
	v_add_nc_u32_e32 v0, 16, v0
	s_clause 0x7
	buffer_load_dword v2, v0, s[0:3], 0 offen
	buffer_load_dword v3, v0, s[0:3], 0 offen offset:4
	buffer_load_dword v4, v0, s[0:3], 0 offen offset:8
	;; [unrolled: 1-line block ×6, first 2 shown]
	buffer_load_dword v113, v1, s[0:3], 0 offen
	s_waitcnt vmcnt(7)
	buffer_store_dword v2, v1, s[0:3], 0 offen
	s_waitcnt vmcnt(6)
	buffer_store_dword v3, v1, s[0:3], 0 offen offset:4
	s_waitcnt vmcnt(5)
	buffer_store_dword v4, v1, s[0:3], 0 offen offset:8
	s_waitcnt vmcnt(4)
	buffer_store_dword v5, v1, s[0:3], 0 offen offset:12
	s_waitcnt vmcnt(3)
	buffer_store_dword v6, v0, s[0:3], 0 offen offset:12
	s_waitcnt vmcnt(2)
	buffer_store_dword v7, v0, s[0:3], 0 offen offset:8
	s_waitcnt vmcnt(1)
	buffer_store_dword v8, v0, s[0:3], 0 offen offset:4
	s_waitcnt vmcnt(0)
	buffer_store_dword v113, v0, s[0:3], 0 offen
.LBB115_368:
	v_mov_b32_e32 v0, 0
	global_load_dword v1, v0, s[12:13] offset:116
	s_waitcnt vmcnt(0)
	v_add_nc_u32_e32 v1, -1, v1
	v_cmp_eq_u32_e32 vcc_lo, 29, v1
	s_cbranch_vccnz .LBB115_370
; %bb.369:
	v_lshlrev_b32_e32 v1, 4, v1
	v_mov_b32_e32 v2, s35
	v_add_nc_u32_e32 v1, 16, v1
	s_clause 0x7
	buffer_load_dword v3, v1, s[0:3], 0 offen
	buffer_load_dword v4, v1, s[0:3], 0 offen offset:4
	buffer_load_dword v5, v1, s[0:3], 0 offen offset:8
	buffer_load_dword v6, v1, s[0:3], 0 offen offset:12
	buffer_load_dword v7, v2, s[0:3], 0 offen offset:12
	buffer_load_dword v8, v2, s[0:3], 0 offen offset:8
	buffer_load_dword v113, v2, s[0:3], 0 offen offset:4
	buffer_load_dword v114, v2, s[0:3], 0 offen
	s_waitcnt vmcnt(7)
	buffer_store_dword v3, v2, s[0:3], 0 offen
	s_waitcnt vmcnt(6)
	buffer_store_dword v4, v2, s[0:3], 0 offen offset:4
	s_waitcnt vmcnt(5)
	buffer_store_dword v5, v2, s[0:3], 0 offen offset:8
	s_waitcnt vmcnt(4)
	buffer_store_dword v6, v2, s[0:3], 0 offen offset:12
	s_waitcnt vmcnt(3)
	buffer_store_dword v7, v1, s[0:3], 0 offen offset:12
	s_waitcnt vmcnt(2)
	buffer_store_dword v8, v1, s[0:3], 0 offen offset:8
	s_waitcnt vmcnt(1)
	buffer_store_dword v113, v1, s[0:3], 0 offen offset:4
	s_waitcnt vmcnt(0)
	buffer_store_dword v114, v1, s[0:3], 0 offen
.LBB115_370:
	global_load_dword v0, v0, s[12:13] offset:112
	s_waitcnt vmcnt(0)
	v_add_nc_u32_e32 v0, -1, v0
	v_cmp_eq_u32_e32 vcc_lo, 28, v0
	s_cbranch_vccnz .LBB115_372
; %bb.371:
	v_lshlrev_b32_e32 v0, 4, v0
	v_mov_b32_e32 v1, s36
	v_add_nc_u32_e32 v0, 16, v0
	s_clause 0x7
	buffer_load_dword v2, v0, s[0:3], 0 offen
	buffer_load_dword v3, v0, s[0:3], 0 offen offset:4
	buffer_load_dword v4, v0, s[0:3], 0 offen offset:8
	;; [unrolled: 1-line block ×6, first 2 shown]
	buffer_load_dword v113, v1, s[0:3], 0 offen
	s_waitcnt vmcnt(7)
	buffer_store_dword v2, v1, s[0:3], 0 offen
	s_waitcnt vmcnt(6)
	buffer_store_dword v3, v1, s[0:3], 0 offen offset:4
	s_waitcnt vmcnt(5)
	buffer_store_dword v4, v1, s[0:3], 0 offen offset:8
	;; [unrolled: 2-line block ×6, first 2 shown]
	s_waitcnt vmcnt(0)
	buffer_store_dword v113, v0, s[0:3], 0 offen
.LBB115_372:
	v_mov_b32_e32 v0, 0
	global_load_dword v1, v0, s[12:13] offset:108
	s_waitcnt vmcnt(0)
	v_add_nc_u32_e32 v1, -1, v1
	v_cmp_eq_u32_e32 vcc_lo, 27, v1
	s_cbranch_vccnz .LBB115_374
; %bb.373:
	v_lshlrev_b32_e32 v1, 4, v1
	v_mov_b32_e32 v2, s37
	v_add_nc_u32_e32 v1, 16, v1
	s_clause 0x7
	buffer_load_dword v3, v1, s[0:3], 0 offen
	buffer_load_dword v4, v1, s[0:3], 0 offen offset:4
	buffer_load_dword v5, v1, s[0:3], 0 offen offset:8
	;; [unrolled: 1-line block ×6, first 2 shown]
	buffer_load_dword v114, v2, s[0:3], 0 offen
	s_waitcnt vmcnt(7)
	buffer_store_dword v3, v2, s[0:3], 0 offen
	s_waitcnt vmcnt(6)
	buffer_store_dword v4, v2, s[0:3], 0 offen offset:4
	s_waitcnt vmcnt(5)
	buffer_store_dword v5, v2, s[0:3], 0 offen offset:8
	;; [unrolled: 2-line block ×6, first 2 shown]
	s_waitcnt vmcnt(0)
	buffer_store_dword v114, v1, s[0:3], 0 offen
.LBB115_374:
	global_load_dword v0, v0, s[12:13] offset:104
	s_waitcnt vmcnt(0)
	v_add_nc_u32_e32 v0, -1, v0
	v_cmp_eq_u32_e32 vcc_lo, 26, v0
	s_cbranch_vccnz .LBB115_376
; %bb.375:
	v_lshlrev_b32_e32 v0, 4, v0
	v_mov_b32_e32 v1, s38
	v_add_nc_u32_e32 v0, 16, v0
	s_clause 0x7
	buffer_load_dword v2, v0, s[0:3], 0 offen
	buffer_load_dword v3, v0, s[0:3], 0 offen offset:4
	buffer_load_dword v4, v0, s[0:3], 0 offen offset:8
	;; [unrolled: 1-line block ×6, first 2 shown]
	buffer_load_dword v113, v1, s[0:3], 0 offen
	s_waitcnt vmcnt(7)
	buffer_store_dword v2, v1, s[0:3], 0 offen
	s_waitcnt vmcnt(6)
	buffer_store_dword v3, v1, s[0:3], 0 offen offset:4
	s_waitcnt vmcnt(5)
	buffer_store_dword v4, v1, s[0:3], 0 offen offset:8
	;; [unrolled: 2-line block ×6, first 2 shown]
	s_waitcnt vmcnt(0)
	buffer_store_dword v113, v0, s[0:3], 0 offen
.LBB115_376:
	v_mov_b32_e32 v0, 0
	global_load_dword v1, v0, s[12:13] offset:100
	s_waitcnt vmcnt(0)
	v_add_nc_u32_e32 v1, -1, v1
	v_cmp_eq_u32_e32 vcc_lo, 25, v1
	s_cbranch_vccnz .LBB115_378
; %bb.377:
	v_lshlrev_b32_e32 v1, 4, v1
	v_mov_b32_e32 v2, s39
	v_add_nc_u32_e32 v1, 16, v1
	s_clause 0x7
	buffer_load_dword v3, v1, s[0:3], 0 offen
	buffer_load_dword v4, v1, s[0:3], 0 offen offset:4
	buffer_load_dword v5, v1, s[0:3], 0 offen offset:8
	;; [unrolled: 1-line block ×6, first 2 shown]
	buffer_load_dword v114, v2, s[0:3], 0 offen
	s_waitcnt vmcnt(7)
	buffer_store_dword v3, v2, s[0:3], 0 offen
	s_waitcnt vmcnt(6)
	buffer_store_dword v4, v2, s[0:3], 0 offen offset:4
	s_waitcnt vmcnt(5)
	buffer_store_dword v5, v2, s[0:3], 0 offen offset:8
	;; [unrolled: 2-line block ×6, first 2 shown]
	s_waitcnt vmcnt(0)
	buffer_store_dword v114, v1, s[0:3], 0 offen
.LBB115_378:
	global_load_dword v0, v0, s[12:13] offset:96
	s_waitcnt vmcnt(0)
	v_add_nc_u32_e32 v0, -1, v0
	v_cmp_eq_u32_e32 vcc_lo, 24, v0
	s_cbranch_vccnz .LBB115_380
; %bb.379:
	v_lshlrev_b32_e32 v0, 4, v0
	v_mov_b32_e32 v1, s40
	v_add_nc_u32_e32 v0, 16, v0
	s_clause 0x7
	buffer_load_dword v2, v0, s[0:3], 0 offen
	buffer_load_dword v3, v0, s[0:3], 0 offen offset:4
	buffer_load_dword v4, v0, s[0:3], 0 offen offset:8
	;; [unrolled: 1-line block ×6, first 2 shown]
	buffer_load_dword v113, v1, s[0:3], 0 offen
	s_waitcnt vmcnt(7)
	buffer_store_dword v2, v1, s[0:3], 0 offen
	s_waitcnt vmcnt(6)
	buffer_store_dword v3, v1, s[0:3], 0 offen offset:4
	s_waitcnt vmcnt(5)
	buffer_store_dword v4, v1, s[0:3], 0 offen offset:8
	;; [unrolled: 2-line block ×6, first 2 shown]
	s_waitcnt vmcnt(0)
	buffer_store_dword v113, v0, s[0:3], 0 offen
.LBB115_380:
	v_mov_b32_e32 v0, 0
	global_load_dword v1, v0, s[12:13] offset:92
	s_waitcnt vmcnt(0)
	v_add_nc_u32_e32 v1, -1, v1
	v_cmp_eq_u32_e32 vcc_lo, 23, v1
	s_cbranch_vccnz .LBB115_382
; %bb.381:
	v_lshlrev_b32_e32 v1, 4, v1
	v_mov_b32_e32 v2, s41
	v_add_nc_u32_e32 v1, 16, v1
	s_clause 0x7
	buffer_load_dword v3, v1, s[0:3], 0 offen
	buffer_load_dword v4, v1, s[0:3], 0 offen offset:4
	buffer_load_dword v5, v1, s[0:3], 0 offen offset:8
	;; [unrolled: 1-line block ×6, first 2 shown]
	buffer_load_dword v114, v2, s[0:3], 0 offen
	s_waitcnt vmcnt(7)
	buffer_store_dword v3, v2, s[0:3], 0 offen
	s_waitcnt vmcnt(6)
	buffer_store_dword v4, v2, s[0:3], 0 offen offset:4
	s_waitcnt vmcnt(5)
	buffer_store_dword v5, v2, s[0:3], 0 offen offset:8
	;; [unrolled: 2-line block ×6, first 2 shown]
	s_waitcnt vmcnt(0)
	buffer_store_dword v114, v1, s[0:3], 0 offen
.LBB115_382:
	global_load_dword v0, v0, s[12:13] offset:88
	s_waitcnt vmcnt(0)
	v_add_nc_u32_e32 v0, -1, v0
	v_cmp_eq_u32_e32 vcc_lo, 22, v0
	s_cbranch_vccnz .LBB115_384
; %bb.383:
	v_lshlrev_b32_e32 v0, 4, v0
	v_mov_b32_e32 v1, s42
	v_add_nc_u32_e32 v0, 16, v0
	s_clause 0x7
	buffer_load_dword v2, v0, s[0:3], 0 offen
	buffer_load_dword v3, v0, s[0:3], 0 offen offset:4
	buffer_load_dword v4, v0, s[0:3], 0 offen offset:8
	;; [unrolled: 1-line block ×6, first 2 shown]
	buffer_load_dword v113, v1, s[0:3], 0 offen
	s_waitcnt vmcnt(7)
	buffer_store_dword v2, v1, s[0:3], 0 offen
	s_waitcnt vmcnt(6)
	buffer_store_dword v3, v1, s[0:3], 0 offen offset:4
	s_waitcnt vmcnt(5)
	buffer_store_dword v4, v1, s[0:3], 0 offen offset:8
	;; [unrolled: 2-line block ×6, first 2 shown]
	s_waitcnt vmcnt(0)
	buffer_store_dword v113, v0, s[0:3], 0 offen
.LBB115_384:
	v_mov_b32_e32 v0, 0
	global_load_dword v1, v0, s[12:13] offset:84
	s_waitcnt vmcnt(0)
	v_add_nc_u32_e32 v1, -1, v1
	v_cmp_eq_u32_e32 vcc_lo, 21, v1
	s_cbranch_vccnz .LBB115_386
; %bb.385:
	v_lshlrev_b32_e32 v1, 4, v1
	v_mov_b32_e32 v2, s43
	v_add_nc_u32_e32 v1, 16, v1
	s_clause 0x7
	buffer_load_dword v3, v1, s[0:3], 0 offen
	buffer_load_dword v4, v1, s[0:3], 0 offen offset:4
	buffer_load_dword v5, v1, s[0:3], 0 offen offset:8
	;; [unrolled: 1-line block ×6, first 2 shown]
	buffer_load_dword v114, v2, s[0:3], 0 offen
	s_waitcnt vmcnt(7)
	buffer_store_dword v3, v2, s[0:3], 0 offen
	s_waitcnt vmcnt(6)
	buffer_store_dword v4, v2, s[0:3], 0 offen offset:4
	s_waitcnt vmcnt(5)
	buffer_store_dword v5, v2, s[0:3], 0 offen offset:8
	;; [unrolled: 2-line block ×6, first 2 shown]
	s_waitcnt vmcnt(0)
	buffer_store_dword v114, v1, s[0:3], 0 offen
.LBB115_386:
	global_load_dword v0, v0, s[12:13] offset:80
	s_waitcnt vmcnt(0)
	v_add_nc_u32_e32 v0, -1, v0
	v_cmp_eq_u32_e32 vcc_lo, 20, v0
	s_cbranch_vccnz .LBB115_388
; %bb.387:
	v_lshlrev_b32_e32 v0, 4, v0
	v_mov_b32_e32 v1, s44
	v_add_nc_u32_e32 v0, 16, v0
	s_clause 0x7
	buffer_load_dword v2, v0, s[0:3], 0 offen
	buffer_load_dword v3, v0, s[0:3], 0 offen offset:4
	buffer_load_dword v4, v0, s[0:3], 0 offen offset:8
	buffer_load_dword v5, v0, s[0:3], 0 offen offset:12
	buffer_load_dword v6, v1, s[0:3], 0 offen offset:12
	buffer_load_dword v7, v1, s[0:3], 0 offen offset:8
	buffer_load_dword v8, v1, s[0:3], 0 offen offset:4
	buffer_load_dword v113, v1, s[0:3], 0 offen
	s_waitcnt vmcnt(7)
	buffer_store_dword v2, v1, s[0:3], 0 offen
	s_waitcnt vmcnt(6)
	buffer_store_dword v3, v1, s[0:3], 0 offen offset:4
	s_waitcnt vmcnt(5)
	buffer_store_dword v4, v1, s[0:3], 0 offen offset:8
	;; [unrolled: 2-line block ×6, first 2 shown]
	s_waitcnt vmcnt(0)
	buffer_store_dword v113, v0, s[0:3], 0 offen
.LBB115_388:
	v_mov_b32_e32 v0, 0
	global_load_dword v1, v0, s[12:13] offset:76
	s_waitcnt vmcnt(0)
	v_add_nc_u32_e32 v1, -1, v1
	v_cmp_eq_u32_e32 vcc_lo, 19, v1
	s_cbranch_vccnz .LBB115_390
; %bb.389:
	v_lshlrev_b32_e32 v1, 4, v1
	v_mov_b32_e32 v2, s45
	v_add_nc_u32_e32 v1, 16, v1
	s_clause 0x7
	buffer_load_dword v3, v1, s[0:3], 0 offen
	buffer_load_dword v4, v1, s[0:3], 0 offen offset:4
	buffer_load_dword v5, v1, s[0:3], 0 offen offset:8
	;; [unrolled: 1-line block ×6, first 2 shown]
	buffer_load_dword v114, v2, s[0:3], 0 offen
	s_waitcnt vmcnt(7)
	buffer_store_dword v3, v2, s[0:3], 0 offen
	s_waitcnt vmcnt(6)
	buffer_store_dword v4, v2, s[0:3], 0 offen offset:4
	s_waitcnt vmcnt(5)
	buffer_store_dword v5, v2, s[0:3], 0 offen offset:8
	;; [unrolled: 2-line block ×6, first 2 shown]
	s_waitcnt vmcnt(0)
	buffer_store_dword v114, v1, s[0:3], 0 offen
.LBB115_390:
	global_load_dword v0, v0, s[12:13] offset:72
	s_waitcnt vmcnt(0)
	v_add_nc_u32_e32 v0, -1, v0
	v_cmp_eq_u32_e32 vcc_lo, 18, v0
	s_cbranch_vccnz .LBB115_392
; %bb.391:
	v_lshlrev_b32_e32 v0, 4, v0
	v_mov_b32_e32 v1, s46
	v_add_nc_u32_e32 v0, 16, v0
	s_clause 0x7
	buffer_load_dword v2, v0, s[0:3], 0 offen
	buffer_load_dword v3, v0, s[0:3], 0 offen offset:4
	buffer_load_dword v4, v0, s[0:3], 0 offen offset:8
	;; [unrolled: 1-line block ×6, first 2 shown]
	buffer_load_dword v113, v1, s[0:3], 0 offen
	s_waitcnt vmcnt(7)
	buffer_store_dword v2, v1, s[0:3], 0 offen
	s_waitcnt vmcnt(6)
	buffer_store_dword v3, v1, s[0:3], 0 offen offset:4
	s_waitcnt vmcnt(5)
	buffer_store_dword v4, v1, s[0:3], 0 offen offset:8
	;; [unrolled: 2-line block ×6, first 2 shown]
	s_waitcnt vmcnt(0)
	buffer_store_dword v113, v0, s[0:3], 0 offen
.LBB115_392:
	v_mov_b32_e32 v0, 0
	global_load_dword v1, v0, s[12:13] offset:68
	s_waitcnt vmcnt(0)
	v_add_nc_u32_e32 v1, -1, v1
	v_cmp_eq_u32_e32 vcc_lo, 17, v1
	s_cbranch_vccnz .LBB115_394
; %bb.393:
	v_lshlrev_b32_e32 v1, 4, v1
	v_mov_b32_e32 v2, s47
	v_add_nc_u32_e32 v1, 16, v1
	s_clause 0x7
	buffer_load_dword v3, v1, s[0:3], 0 offen
	buffer_load_dword v4, v1, s[0:3], 0 offen offset:4
	buffer_load_dword v5, v1, s[0:3], 0 offen offset:8
	buffer_load_dword v6, v1, s[0:3], 0 offen offset:12
	buffer_load_dword v7, v2, s[0:3], 0 offen offset:12
	buffer_load_dword v8, v2, s[0:3], 0 offen offset:8
	buffer_load_dword v113, v2, s[0:3], 0 offen offset:4
	buffer_load_dword v114, v2, s[0:3], 0 offen
	s_waitcnt vmcnt(7)
	buffer_store_dword v3, v2, s[0:3], 0 offen
	s_waitcnt vmcnt(6)
	buffer_store_dword v4, v2, s[0:3], 0 offen offset:4
	s_waitcnt vmcnt(5)
	buffer_store_dword v5, v2, s[0:3], 0 offen offset:8
	s_waitcnt vmcnt(4)
	buffer_store_dword v6, v2, s[0:3], 0 offen offset:12
	s_waitcnt vmcnt(3)
	buffer_store_dword v7, v1, s[0:3], 0 offen offset:12
	s_waitcnt vmcnt(2)
	buffer_store_dword v8, v1, s[0:3], 0 offen offset:8
	s_waitcnt vmcnt(1)
	buffer_store_dword v113, v1, s[0:3], 0 offen offset:4
	s_waitcnt vmcnt(0)
	buffer_store_dword v114, v1, s[0:3], 0 offen
.LBB115_394:
	global_load_dword v0, v0, s[12:13] offset:64
	s_waitcnt vmcnt(0)
	v_add_nc_u32_e32 v0, -1, v0
	v_cmp_eq_u32_e32 vcc_lo, 16, v0
	s_cbranch_vccnz .LBB115_396
; %bb.395:
	v_lshlrev_b32_e32 v0, 4, v0
	v_mov_b32_e32 v1, s48
	v_add_nc_u32_e32 v0, 16, v0
	s_clause 0x7
	buffer_load_dword v2, v0, s[0:3], 0 offen
	buffer_load_dword v3, v0, s[0:3], 0 offen offset:4
	buffer_load_dword v4, v0, s[0:3], 0 offen offset:8
	;; [unrolled: 1-line block ×6, first 2 shown]
	buffer_load_dword v113, v1, s[0:3], 0 offen
	s_waitcnt vmcnt(7)
	buffer_store_dword v2, v1, s[0:3], 0 offen
	s_waitcnt vmcnt(6)
	buffer_store_dword v3, v1, s[0:3], 0 offen offset:4
	s_waitcnt vmcnt(5)
	buffer_store_dword v4, v1, s[0:3], 0 offen offset:8
	;; [unrolled: 2-line block ×6, first 2 shown]
	s_waitcnt vmcnt(0)
	buffer_store_dword v113, v0, s[0:3], 0 offen
.LBB115_396:
	v_mov_b32_e32 v0, 0
	global_load_dword v1, v0, s[12:13] offset:60
	s_waitcnt vmcnt(0)
	v_add_nc_u32_e32 v1, -1, v1
	v_cmp_eq_u32_e32 vcc_lo, 15, v1
	s_cbranch_vccnz .LBB115_398
; %bb.397:
	v_lshlrev_b32_e32 v1, 4, v1
	v_mov_b32_e32 v2, s49
	v_add_nc_u32_e32 v1, 16, v1
	s_clause 0x7
	buffer_load_dword v3, v1, s[0:3], 0 offen
	buffer_load_dword v4, v1, s[0:3], 0 offen offset:4
	buffer_load_dword v5, v1, s[0:3], 0 offen offset:8
	;; [unrolled: 1-line block ×6, first 2 shown]
	buffer_load_dword v114, v2, s[0:3], 0 offen
	s_waitcnt vmcnt(7)
	buffer_store_dword v3, v2, s[0:3], 0 offen
	s_waitcnt vmcnt(6)
	buffer_store_dword v4, v2, s[0:3], 0 offen offset:4
	s_waitcnt vmcnt(5)
	buffer_store_dword v5, v2, s[0:3], 0 offen offset:8
	;; [unrolled: 2-line block ×6, first 2 shown]
	s_waitcnt vmcnt(0)
	buffer_store_dword v114, v1, s[0:3], 0 offen
.LBB115_398:
	global_load_dword v0, v0, s[12:13] offset:56
	s_waitcnt vmcnt(0)
	v_add_nc_u32_e32 v0, -1, v0
	v_cmp_eq_u32_e32 vcc_lo, 14, v0
	s_cbranch_vccnz .LBB115_400
; %bb.399:
	v_lshlrev_b32_e32 v0, 4, v0
	v_mov_b32_e32 v1, s50
	v_add_nc_u32_e32 v0, 16, v0
	s_clause 0x7
	buffer_load_dword v2, v0, s[0:3], 0 offen
	buffer_load_dword v3, v0, s[0:3], 0 offen offset:4
	buffer_load_dword v4, v0, s[0:3], 0 offen offset:8
	;; [unrolled: 1-line block ×6, first 2 shown]
	buffer_load_dword v113, v1, s[0:3], 0 offen
	s_waitcnt vmcnt(7)
	buffer_store_dword v2, v1, s[0:3], 0 offen
	s_waitcnt vmcnt(6)
	buffer_store_dword v3, v1, s[0:3], 0 offen offset:4
	s_waitcnt vmcnt(5)
	buffer_store_dword v4, v1, s[0:3], 0 offen offset:8
	;; [unrolled: 2-line block ×6, first 2 shown]
	s_waitcnt vmcnt(0)
	buffer_store_dword v113, v0, s[0:3], 0 offen
.LBB115_400:
	v_mov_b32_e32 v0, 0
	global_load_dword v1, v0, s[12:13] offset:52
	s_waitcnt vmcnt(0)
	v_add_nc_u32_e32 v1, -1, v1
	v_cmp_eq_u32_e32 vcc_lo, 13, v1
	s_cbranch_vccnz .LBB115_402
; %bb.401:
	v_lshlrev_b32_e32 v1, 4, v1
	v_mov_b32_e32 v2, s51
	v_add_nc_u32_e32 v1, 16, v1
	s_clause 0x7
	buffer_load_dword v3, v1, s[0:3], 0 offen
	buffer_load_dword v4, v1, s[0:3], 0 offen offset:4
	buffer_load_dword v5, v1, s[0:3], 0 offen offset:8
	;; [unrolled: 1-line block ×6, first 2 shown]
	buffer_load_dword v114, v2, s[0:3], 0 offen
	s_waitcnt vmcnt(7)
	buffer_store_dword v3, v2, s[0:3], 0 offen
	s_waitcnt vmcnt(6)
	buffer_store_dword v4, v2, s[0:3], 0 offen offset:4
	s_waitcnt vmcnt(5)
	buffer_store_dword v5, v2, s[0:3], 0 offen offset:8
	s_waitcnt vmcnt(4)
	buffer_store_dword v6, v2, s[0:3], 0 offen offset:12
	s_waitcnt vmcnt(3)
	buffer_store_dword v7, v1, s[0:3], 0 offen offset:12
	s_waitcnt vmcnt(2)
	buffer_store_dword v8, v1, s[0:3], 0 offen offset:8
	s_waitcnt vmcnt(1)
	buffer_store_dword v113, v1, s[0:3], 0 offen offset:4
	s_waitcnt vmcnt(0)
	buffer_store_dword v114, v1, s[0:3], 0 offen
.LBB115_402:
	global_load_dword v0, v0, s[12:13] offset:48
	s_waitcnt vmcnt(0)
	v_add_nc_u32_e32 v0, -1, v0
	v_cmp_eq_u32_e32 vcc_lo, 12, v0
	s_cbranch_vccnz .LBB115_404
; %bb.403:
	v_lshlrev_b32_e32 v0, 4, v0
	v_mov_b32_e32 v1, s52
	v_add_nc_u32_e32 v0, 16, v0
	s_clause 0x7
	buffer_load_dword v2, v0, s[0:3], 0 offen
	buffer_load_dword v3, v0, s[0:3], 0 offen offset:4
	buffer_load_dword v4, v0, s[0:3], 0 offen offset:8
	;; [unrolled: 1-line block ×6, first 2 shown]
	buffer_load_dword v113, v1, s[0:3], 0 offen
	s_waitcnt vmcnt(7)
	buffer_store_dword v2, v1, s[0:3], 0 offen
	s_waitcnt vmcnt(6)
	buffer_store_dword v3, v1, s[0:3], 0 offen offset:4
	s_waitcnt vmcnt(5)
	buffer_store_dword v4, v1, s[0:3], 0 offen offset:8
	;; [unrolled: 2-line block ×6, first 2 shown]
	s_waitcnt vmcnt(0)
	buffer_store_dword v113, v0, s[0:3], 0 offen
.LBB115_404:
	v_mov_b32_e32 v0, 0
	global_load_dword v1, v0, s[12:13] offset:44
	s_waitcnt vmcnt(0)
	v_add_nc_u32_e32 v1, -1, v1
	v_cmp_eq_u32_e32 vcc_lo, 11, v1
	s_cbranch_vccnz .LBB115_406
; %bb.405:
	v_lshlrev_b32_e32 v1, 4, v1
	v_mov_b32_e32 v2, s53
	v_add_nc_u32_e32 v1, 16, v1
	s_clause 0x7
	buffer_load_dword v3, v1, s[0:3], 0 offen
	buffer_load_dword v4, v1, s[0:3], 0 offen offset:4
	buffer_load_dword v5, v1, s[0:3], 0 offen offset:8
	;; [unrolled: 1-line block ×6, first 2 shown]
	buffer_load_dword v114, v2, s[0:3], 0 offen
	s_waitcnt vmcnt(7)
	buffer_store_dword v3, v2, s[0:3], 0 offen
	s_waitcnt vmcnt(6)
	buffer_store_dword v4, v2, s[0:3], 0 offen offset:4
	s_waitcnt vmcnt(5)
	buffer_store_dword v5, v2, s[0:3], 0 offen offset:8
	;; [unrolled: 2-line block ×6, first 2 shown]
	s_waitcnt vmcnt(0)
	buffer_store_dword v114, v1, s[0:3], 0 offen
.LBB115_406:
	global_load_dword v0, v0, s[12:13] offset:40
	s_waitcnt vmcnt(0)
	v_add_nc_u32_e32 v0, -1, v0
	v_cmp_eq_u32_e32 vcc_lo, 10, v0
	s_cbranch_vccnz .LBB115_408
; %bb.407:
	v_lshlrev_b32_e32 v0, 4, v0
	v_mov_b32_e32 v1, s54
	v_add_nc_u32_e32 v0, 16, v0
	s_clause 0x7
	buffer_load_dword v2, v0, s[0:3], 0 offen
	buffer_load_dword v3, v0, s[0:3], 0 offen offset:4
	buffer_load_dword v4, v0, s[0:3], 0 offen offset:8
	;; [unrolled: 1-line block ×6, first 2 shown]
	buffer_load_dword v113, v1, s[0:3], 0 offen
	s_waitcnt vmcnt(7)
	buffer_store_dword v2, v1, s[0:3], 0 offen
	s_waitcnt vmcnt(6)
	buffer_store_dword v3, v1, s[0:3], 0 offen offset:4
	s_waitcnt vmcnt(5)
	buffer_store_dword v4, v1, s[0:3], 0 offen offset:8
	;; [unrolled: 2-line block ×6, first 2 shown]
	s_waitcnt vmcnt(0)
	buffer_store_dword v113, v0, s[0:3], 0 offen
.LBB115_408:
	v_mov_b32_e32 v0, 0
	global_load_dword v1, v0, s[12:13] offset:36
	s_waitcnt vmcnt(0)
	v_add_nc_u32_e32 v1, -1, v1
	v_cmp_eq_u32_e32 vcc_lo, 9, v1
	s_cbranch_vccnz .LBB115_410
; %bb.409:
	v_lshlrev_b32_e32 v1, 4, v1
	v_mov_b32_e32 v2, s55
	v_add_nc_u32_e32 v1, 16, v1
	s_clause 0x7
	buffer_load_dword v3, v1, s[0:3], 0 offen
	buffer_load_dword v4, v1, s[0:3], 0 offen offset:4
	buffer_load_dword v5, v1, s[0:3], 0 offen offset:8
	;; [unrolled: 1-line block ×6, first 2 shown]
	buffer_load_dword v114, v2, s[0:3], 0 offen
	s_waitcnt vmcnt(7)
	buffer_store_dword v3, v2, s[0:3], 0 offen
	s_waitcnt vmcnt(6)
	buffer_store_dword v4, v2, s[0:3], 0 offen offset:4
	s_waitcnt vmcnt(5)
	buffer_store_dword v5, v2, s[0:3], 0 offen offset:8
	;; [unrolled: 2-line block ×6, first 2 shown]
	s_waitcnt vmcnt(0)
	buffer_store_dword v114, v1, s[0:3], 0 offen
.LBB115_410:
	global_load_dword v0, v0, s[12:13] offset:32
	s_waitcnt vmcnt(0)
	v_add_nc_u32_e32 v0, -1, v0
	v_cmp_eq_u32_e32 vcc_lo, 8, v0
	s_cbranch_vccnz .LBB115_412
; %bb.411:
	v_lshlrev_b32_e32 v0, 4, v0
	v_mov_b32_e32 v1, s56
	v_add_nc_u32_e32 v0, 16, v0
	s_clause 0x7
	buffer_load_dword v2, v0, s[0:3], 0 offen
	buffer_load_dword v3, v0, s[0:3], 0 offen offset:4
	buffer_load_dword v4, v0, s[0:3], 0 offen offset:8
	;; [unrolled: 1-line block ×6, first 2 shown]
	buffer_load_dword v113, v1, s[0:3], 0 offen
	s_waitcnt vmcnt(7)
	buffer_store_dword v2, v1, s[0:3], 0 offen
	s_waitcnt vmcnt(6)
	buffer_store_dword v3, v1, s[0:3], 0 offen offset:4
	s_waitcnt vmcnt(5)
	buffer_store_dword v4, v1, s[0:3], 0 offen offset:8
	;; [unrolled: 2-line block ×6, first 2 shown]
	s_waitcnt vmcnt(0)
	buffer_store_dword v113, v0, s[0:3], 0 offen
.LBB115_412:
	v_mov_b32_e32 v0, 0
	global_load_dword v1, v0, s[12:13] offset:28
	s_waitcnt vmcnt(0)
	v_add_nc_u32_e32 v1, -1, v1
	v_cmp_eq_u32_e32 vcc_lo, 7, v1
	s_cbranch_vccnz .LBB115_414
; %bb.413:
	v_lshlrev_b32_e32 v1, 4, v1
	v_mov_b32_e32 v2, s57
	v_add_nc_u32_e32 v1, 16, v1
	s_clause 0x7
	buffer_load_dword v3, v1, s[0:3], 0 offen
	buffer_load_dword v4, v1, s[0:3], 0 offen offset:4
	buffer_load_dword v5, v1, s[0:3], 0 offen offset:8
	;; [unrolled: 1-line block ×6, first 2 shown]
	buffer_load_dword v114, v2, s[0:3], 0 offen
	s_waitcnt vmcnt(7)
	buffer_store_dword v3, v2, s[0:3], 0 offen
	s_waitcnt vmcnt(6)
	buffer_store_dword v4, v2, s[0:3], 0 offen offset:4
	s_waitcnt vmcnt(5)
	buffer_store_dword v5, v2, s[0:3], 0 offen offset:8
	s_waitcnt vmcnt(4)
	buffer_store_dword v6, v2, s[0:3], 0 offen offset:12
	s_waitcnt vmcnt(3)
	buffer_store_dword v7, v1, s[0:3], 0 offen offset:12
	s_waitcnt vmcnt(2)
	buffer_store_dword v8, v1, s[0:3], 0 offen offset:8
	s_waitcnt vmcnt(1)
	buffer_store_dword v113, v1, s[0:3], 0 offen offset:4
	s_waitcnt vmcnt(0)
	buffer_store_dword v114, v1, s[0:3], 0 offen
.LBB115_414:
	global_load_dword v0, v0, s[12:13] offset:24
	s_waitcnt vmcnt(0)
	v_add_nc_u32_e32 v0, -1, v0
	v_cmp_eq_u32_e32 vcc_lo, 6, v0
	s_cbranch_vccnz .LBB115_416
; %bb.415:
	v_lshlrev_b32_e32 v0, 4, v0
	v_mov_b32_e32 v1, s58
	v_add_nc_u32_e32 v0, 16, v0
	s_clause 0x7
	buffer_load_dword v2, v0, s[0:3], 0 offen
	buffer_load_dword v3, v0, s[0:3], 0 offen offset:4
	buffer_load_dword v4, v0, s[0:3], 0 offen offset:8
	;; [unrolled: 1-line block ×6, first 2 shown]
	buffer_load_dword v113, v1, s[0:3], 0 offen
	s_waitcnt vmcnt(7)
	buffer_store_dword v2, v1, s[0:3], 0 offen
	s_waitcnt vmcnt(6)
	buffer_store_dword v3, v1, s[0:3], 0 offen offset:4
	s_waitcnt vmcnt(5)
	buffer_store_dword v4, v1, s[0:3], 0 offen offset:8
	;; [unrolled: 2-line block ×6, first 2 shown]
	s_waitcnt vmcnt(0)
	buffer_store_dword v113, v0, s[0:3], 0 offen
.LBB115_416:
	v_mov_b32_e32 v0, 0
	global_load_dword v1, v0, s[12:13] offset:20
	s_waitcnt vmcnt(0)
	v_add_nc_u32_e32 v1, -1, v1
	v_cmp_eq_u32_e32 vcc_lo, 5, v1
	s_cbranch_vccnz .LBB115_418
; %bb.417:
	v_lshlrev_b32_e32 v1, 4, v1
	v_mov_b32_e32 v2, s59
	v_add_nc_u32_e32 v1, 16, v1
	s_clause 0x7
	buffer_load_dword v3, v1, s[0:3], 0 offen
	buffer_load_dword v4, v1, s[0:3], 0 offen offset:4
	buffer_load_dword v5, v1, s[0:3], 0 offen offset:8
	;; [unrolled: 1-line block ×6, first 2 shown]
	buffer_load_dword v114, v2, s[0:3], 0 offen
	s_waitcnt vmcnt(7)
	buffer_store_dword v3, v2, s[0:3], 0 offen
	s_waitcnt vmcnt(6)
	buffer_store_dword v4, v2, s[0:3], 0 offen offset:4
	s_waitcnt vmcnt(5)
	buffer_store_dword v5, v2, s[0:3], 0 offen offset:8
	;; [unrolled: 2-line block ×6, first 2 shown]
	s_waitcnt vmcnt(0)
	buffer_store_dword v114, v1, s[0:3], 0 offen
.LBB115_418:
	global_load_dword v0, v0, s[12:13] offset:16
	s_waitcnt vmcnt(0)
	v_add_nc_u32_e32 v0, -1, v0
	v_cmp_eq_u32_e32 vcc_lo, 4, v0
	s_cbranch_vccnz .LBB115_420
; %bb.419:
	v_lshlrev_b32_e32 v0, 4, v0
	v_mov_b32_e32 v1, s60
	v_add_nc_u32_e32 v0, 16, v0
	s_clause 0x7
	buffer_load_dword v2, v0, s[0:3], 0 offen
	buffer_load_dword v3, v0, s[0:3], 0 offen offset:4
	buffer_load_dword v4, v0, s[0:3], 0 offen offset:8
	;; [unrolled: 1-line block ×6, first 2 shown]
	buffer_load_dword v113, v1, s[0:3], 0 offen
	s_waitcnt vmcnt(7)
	buffer_store_dword v2, v1, s[0:3], 0 offen
	s_waitcnt vmcnt(6)
	buffer_store_dword v3, v1, s[0:3], 0 offen offset:4
	s_waitcnt vmcnt(5)
	buffer_store_dword v4, v1, s[0:3], 0 offen offset:8
	;; [unrolled: 2-line block ×6, first 2 shown]
	s_waitcnt vmcnt(0)
	buffer_store_dword v113, v0, s[0:3], 0 offen
.LBB115_420:
	v_mov_b32_e32 v0, 0
	global_load_dword v1, v0, s[12:13] offset:12
	s_waitcnt vmcnt(0)
	v_add_nc_u32_e32 v1, -1, v1
	v_cmp_eq_u32_e32 vcc_lo, 3, v1
	s_cbranch_vccnz .LBB115_422
; %bb.421:
	v_lshlrev_b32_e32 v1, 4, v1
	v_mov_b32_e32 v2, s61
	v_add_nc_u32_e32 v1, 16, v1
	s_clause 0x7
	buffer_load_dword v3, v1, s[0:3], 0 offen
	buffer_load_dword v4, v1, s[0:3], 0 offen offset:4
	buffer_load_dword v5, v1, s[0:3], 0 offen offset:8
	;; [unrolled: 1-line block ×6, first 2 shown]
	buffer_load_dword v114, v2, s[0:3], 0 offen
	s_waitcnt vmcnt(7)
	buffer_store_dword v3, v2, s[0:3], 0 offen
	s_waitcnt vmcnt(6)
	buffer_store_dword v4, v2, s[0:3], 0 offen offset:4
	s_waitcnt vmcnt(5)
	buffer_store_dword v5, v2, s[0:3], 0 offen offset:8
	;; [unrolled: 2-line block ×6, first 2 shown]
	s_waitcnt vmcnt(0)
	buffer_store_dword v114, v1, s[0:3], 0 offen
.LBB115_422:
	global_load_dword v0, v0, s[12:13] offset:8
	s_waitcnt vmcnt(0)
	v_add_nc_u32_e32 v0, -1, v0
	v_cmp_eq_u32_e32 vcc_lo, 2, v0
	s_cbranch_vccnz .LBB115_424
; %bb.423:
	v_lshlrev_b32_e32 v0, 4, v0
	v_mov_b32_e32 v1, s62
	v_add_nc_u32_e32 v0, 16, v0
	s_clause 0x7
	buffer_load_dword v2, v0, s[0:3], 0 offen
	buffer_load_dword v3, v0, s[0:3], 0 offen offset:4
	buffer_load_dword v4, v0, s[0:3], 0 offen offset:8
	buffer_load_dword v5, v0, s[0:3], 0 offen offset:12
	buffer_load_dword v6, v1, s[0:3], 0 offen offset:12
	buffer_load_dword v7, v1, s[0:3], 0 offen offset:8
	buffer_load_dword v8, v1, s[0:3], 0 offen offset:4
	buffer_load_dword v113, v1, s[0:3], 0 offen
	s_waitcnt vmcnt(7)
	buffer_store_dword v2, v1, s[0:3], 0 offen
	s_waitcnt vmcnt(6)
	buffer_store_dword v3, v1, s[0:3], 0 offen offset:4
	s_waitcnt vmcnt(5)
	buffer_store_dword v4, v1, s[0:3], 0 offen offset:8
	;; [unrolled: 2-line block ×6, first 2 shown]
	s_waitcnt vmcnt(0)
	buffer_store_dword v113, v0, s[0:3], 0 offen
.LBB115_424:
	v_mov_b32_e32 v0, 0
	global_load_dword v1, v0, s[12:13] offset:4
	s_waitcnt vmcnt(0)
	v_add_nc_u32_e32 v1, -1, v1
	v_cmp_eq_u32_e32 vcc_lo, 1, v1
	s_cbranch_vccnz .LBB115_426
; %bb.425:
	v_lshlrev_b32_e32 v1, 4, v1
	v_mov_b32_e32 v2, s63
	v_add_nc_u32_e32 v1, 16, v1
	s_clause 0x7
	buffer_load_dword v3, v1, s[0:3], 0 offen
	buffer_load_dword v4, v1, s[0:3], 0 offen offset:4
	buffer_load_dword v5, v1, s[0:3], 0 offen offset:8
	buffer_load_dword v6, v1, s[0:3], 0 offen offset:12
	buffer_load_dword v7, v2, s[0:3], 0 offen offset:12
	buffer_load_dword v8, v2, s[0:3], 0 offen offset:8
	buffer_load_dword v113, v2, s[0:3], 0 offen offset:4
	buffer_load_dword v114, v2, s[0:3], 0 offen
	s_waitcnt vmcnt(7)
	buffer_store_dword v3, v2, s[0:3], 0 offen
	s_waitcnt vmcnt(6)
	buffer_store_dword v4, v2, s[0:3], 0 offen offset:4
	s_waitcnt vmcnt(5)
	buffer_store_dword v5, v2, s[0:3], 0 offen offset:8
	;; [unrolled: 2-line block ×6, first 2 shown]
	s_waitcnt vmcnt(0)
	buffer_store_dword v114, v1, s[0:3], 0 offen
.LBB115_426:
	global_load_dword v0, v0, s[12:13]
	s_waitcnt vmcnt(0)
	v_add_nc_u32_e32 v0, -1, v0
	v_cmp_eq_u32_e32 vcc_lo, 0, v0
	s_cbranch_vccnz .LBB115_428
; %bb.427:
	v_lshlrev_b32_e32 v0, 4, v0
	v_add_nc_u32_e32 v0, 16, v0
	s_clause 0x7
	buffer_load_dword v1, v0, s[0:3], 0 offen
	buffer_load_dword v2, v0, s[0:3], 0 offen offset:4
	buffer_load_dword v3, v0, s[0:3], 0 offen offset:8
	;; [unrolled: 1-line block ×3, first 2 shown]
	buffer_load_dword v5, off, s[0:3], 0 offset:28
	buffer_load_dword v6, off, s[0:3], 0 offset:24
	;; [unrolled: 1-line block ×4, first 2 shown]
	s_waitcnt vmcnt(7)
	buffer_store_dword v1, off, s[0:3], 0 offset:16
	s_waitcnt vmcnt(6)
	buffer_store_dword v2, off, s[0:3], 0 offset:20
	;; [unrolled: 2-line block ×4, first 2 shown]
	s_waitcnt vmcnt(3)
	buffer_store_dword v5, v0, s[0:3], 0 offen offset:12
	s_waitcnt vmcnt(2)
	buffer_store_dword v6, v0, s[0:3], 0 offen offset:8
	;; [unrolled: 2-line block ×3, first 2 shown]
	s_waitcnt vmcnt(0)
	buffer_store_dword v8, v0, s[0:3], 0 offen
.LBB115_428:
	s_clause 0x3
	buffer_load_dword v0, off, s[0:3], 0 offset:16
	buffer_load_dword v1, off, s[0:3], 0 offset:20
	;; [unrolled: 1-line block ×4, first 2 shown]
	v_mov_b32_e32 v4, s63
	s_waitcnt vmcnt(0)
	flat_store_dwordx4 v[9:10], v[0:3]
	s_clause 0x3
	buffer_load_dword v0, v4, s[0:3], 0 offen
	buffer_load_dword v1, v4, s[0:3], 0 offen offset:4
	buffer_load_dword v2, v4, s[0:3], 0 offen offset:8
	buffer_load_dword v3, v4, s[0:3], 0 offen offset:12
	v_mov_b32_e32 v4, s62
	s_waitcnt vmcnt(0)
	flat_store_dwordx4 v[63:64], v[0:3]
	s_clause 0x3
	buffer_load_dword v0, v4, s[0:3], 0 offen
	buffer_load_dword v1, v4, s[0:3], 0 offen offset:4
	buffer_load_dword v2, v4, s[0:3], 0 offen offset:8
	buffer_load_dword v3, v4, s[0:3], 0 offen offset:12
	;; [unrolled: 8-line block ×51, first 2 shown]
	s_waitcnt vmcnt(0)
	flat_store_dwordx4 v[111:112], v[0:3]
	s_endpgm
	.section	.rodata,"a",@progbits
	.p2align	6, 0x0
	.amdhsa_kernel _ZN9rocsolver6v33100L18getri_kernel_smallILi52E19rocblas_complex_numIdEPKPS3_EEvT1_iilPiilS8_bb
		.amdhsa_group_segment_fixed_size 1672
		.amdhsa_private_segment_fixed_size 864
		.amdhsa_kernarg_size 60
		.amdhsa_user_sgpr_count 6
		.amdhsa_user_sgpr_private_segment_buffer 1
		.amdhsa_user_sgpr_dispatch_ptr 0
		.amdhsa_user_sgpr_queue_ptr 0
		.amdhsa_user_sgpr_kernarg_segment_ptr 1
		.amdhsa_user_sgpr_dispatch_id 0
		.amdhsa_user_sgpr_flat_scratch_init 0
		.amdhsa_user_sgpr_private_segment_size 0
		.amdhsa_wavefront_size32 1
		.amdhsa_uses_dynamic_stack 0
		.amdhsa_system_sgpr_private_segment_wavefront_offset 1
		.amdhsa_system_sgpr_workgroup_id_x 1
		.amdhsa_system_sgpr_workgroup_id_y 0
		.amdhsa_system_sgpr_workgroup_id_z 0
		.amdhsa_system_sgpr_workgroup_info 0
		.amdhsa_system_vgpr_workitem_id 0
		.amdhsa_next_free_vgpr 199
		.amdhsa_next_free_sgpr 89
		.amdhsa_reserve_vcc 1
		.amdhsa_reserve_flat_scratch 0
		.amdhsa_float_round_mode_32 0
		.amdhsa_float_round_mode_16_64 0
		.amdhsa_float_denorm_mode_32 3
		.amdhsa_float_denorm_mode_16_64 3
		.amdhsa_dx10_clamp 1
		.amdhsa_ieee_mode 1
		.amdhsa_fp16_overflow 0
		.amdhsa_workgroup_processor_mode 1
		.amdhsa_memory_ordered 1
		.amdhsa_forward_progress 1
		.amdhsa_shared_vgpr_count 0
		.amdhsa_exception_fp_ieee_invalid_op 0
		.amdhsa_exception_fp_denorm_src 0
		.amdhsa_exception_fp_ieee_div_zero 0
		.amdhsa_exception_fp_ieee_overflow 0
		.amdhsa_exception_fp_ieee_underflow 0
		.amdhsa_exception_fp_ieee_inexact 0
		.amdhsa_exception_int_div_zero 0
	.end_amdhsa_kernel
	.section	.text._ZN9rocsolver6v33100L18getri_kernel_smallILi52E19rocblas_complex_numIdEPKPS3_EEvT1_iilPiilS8_bb,"axG",@progbits,_ZN9rocsolver6v33100L18getri_kernel_smallILi52E19rocblas_complex_numIdEPKPS3_EEvT1_iilPiilS8_bb,comdat
.Lfunc_end115:
	.size	_ZN9rocsolver6v33100L18getri_kernel_smallILi52E19rocblas_complex_numIdEPKPS3_EEvT1_iilPiilS8_bb, .Lfunc_end115-_ZN9rocsolver6v33100L18getri_kernel_smallILi52E19rocblas_complex_numIdEPKPS3_EEvT1_iilPiilS8_bb
                                        ; -- End function
	.set _ZN9rocsolver6v33100L18getri_kernel_smallILi52E19rocblas_complex_numIdEPKPS3_EEvT1_iilPiilS8_bb.num_vgpr, 199
	.set _ZN9rocsolver6v33100L18getri_kernel_smallILi52E19rocblas_complex_numIdEPKPS3_EEvT1_iilPiilS8_bb.num_agpr, 0
	.set _ZN9rocsolver6v33100L18getri_kernel_smallILi52E19rocblas_complex_numIdEPKPS3_EEvT1_iilPiilS8_bb.numbered_sgpr, 89
	.set _ZN9rocsolver6v33100L18getri_kernel_smallILi52E19rocblas_complex_numIdEPKPS3_EEvT1_iilPiilS8_bb.num_named_barrier, 0
	.set _ZN9rocsolver6v33100L18getri_kernel_smallILi52E19rocblas_complex_numIdEPKPS3_EEvT1_iilPiilS8_bb.private_seg_size, 864
	.set _ZN9rocsolver6v33100L18getri_kernel_smallILi52E19rocblas_complex_numIdEPKPS3_EEvT1_iilPiilS8_bb.uses_vcc, 1
	.set _ZN9rocsolver6v33100L18getri_kernel_smallILi52E19rocblas_complex_numIdEPKPS3_EEvT1_iilPiilS8_bb.uses_flat_scratch, 0
	.set _ZN9rocsolver6v33100L18getri_kernel_smallILi52E19rocblas_complex_numIdEPKPS3_EEvT1_iilPiilS8_bb.has_dyn_sized_stack, 0
	.set _ZN9rocsolver6v33100L18getri_kernel_smallILi52E19rocblas_complex_numIdEPKPS3_EEvT1_iilPiilS8_bb.has_recursion, 0
	.set _ZN9rocsolver6v33100L18getri_kernel_smallILi52E19rocblas_complex_numIdEPKPS3_EEvT1_iilPiilS8_bb.has_indirect_call, 0
	.section	.AMDGPU.csdata,"",@progbits
; Kernel info:
; codeLenInByte = 179160
; TotalNumSgprs: 91
; NumVgprs: 199
; ScratchSize: 864
; MemoryBound: 0
; FloatMode: 240
; IeeeMode: 1
; LDSByteSize: 1672 bytes/workgroup (compile time only)
; SGPRBlocks: 0
; VGPRBlocks: 24
; NumSGPRsForWavesPerEU: 91
; NumVGPRsForWavesPerEU: 199
; Occupancy: 4
; WaveLimiterHint : 1
; COMPUTE_PGM_RSRC2:SCRATCH_EN: 1
; COMPUTE_PGM_RSRC2:USER_SGPR: 6
; COMPUTE_PGM_RSRC2:TRAP_HANDLER: 0
; COMPUTE_PGM_RSRC2:TGID_X_EN: 1
; COMPUTE_PGM_RSRC2:TGID_Y_EN: 0
; COMPUTE_PGM_RSRC2:TGID_Z_EN: 0
; COMPUTE_PGM_RSRC2:TIDIG_COMP_CNT: 0
	.section	.text._ZN9rocsolver6v33100L18getri_kernel_smallILi53E19rocblas_complex_numIdEPKPS3_EEvT1_iilPiilS8_bb,"axG",@progbits,_ZN9rocsolver6v33100L18getri_kernel_smallILi53E19rocblas_complex_numIdEPKPS3_EEvT1_iilPiilS8_bb,comdat
	.globl	_ZN9rocsolver6v33100L18getri_kernel_smallILi53E19rocblas_complex_numIdEPKPS3_EEvT1_iilPiilS8_bb ; -- Begin function _ZN9rocsolver6v33100L18getri_kernel_smallILi53E19rocblas_complex_numIdEPKPS3_EEvT1_iilPiilS8_bb
	.p2align	8
	.type	_ZN9rocsolver6v33100L18getri_kernel_smallILi53E19rocblas_complex_numIdEPKPS3_EEvT1_iilPiilS8_bb,@function
_ZN9rocsolver6v33100L18getri_kernel_smallILi53E19rocblas_complex_numIdEPKPS3_EEvT1_iilPiilS8_bb: ; @_ZN9rocsolver6v33100L18getri_kernel_smallILi53E19rocblas_complex_numIdEPKPS3_EEvT1_iilPiilS8_bb
; %bb.0:
	s_add_u32 s0, s0, s7
	s_addc_u32 s1, s1, 0
	s_mov_b32 s7, exec_lo
	v_cmpx_gt_u32_e32 53, v0
	s_cbranch_execz .LBB116_226
; %bb.1:
	s_clause 0x2
	s_load_dword s16, s[4:5], 0x38
	s_load_dwordx2 s[12:13], s[4:5], 0x0
	s_load_dwordx4 s[8:11], s[4:5], 0x28
	s_waitcnt lgkmcnt(0)
	s_bitcmp1_b32 s16, 8
	s_cselect_b32 s65, -1, 0
	s_ashr_i32 s7, s6, 31
	s_lshl_b64 s[14:15], s[6:7], 3
	s_add_u32 s12, s12, s14
	s_addc_u32 s13, s13, s15
	s_load_dwordx2 s[14:15], s[12:13], 0x0
	s_bfe_u32 s12, s16, 0x10008
	s_cmp_eq_u32 s12, 0
                                        ; implicit-def: $sgpr12_sgpr13
	s_cbranch_scc1 .LBB116_3
; %bb.2:
	s_clause 0x1
	s_load_dword s12, s[4:5], 0x20
	s_load_dwordx2 s[16:17], s[4:5], 0x18
	s_mul_i32 s13, s8, s7
	s_mul_hi_u32 s18, s8, s6
	s_mul_i32 s9, s9, s6
	s_add_i32 s13, s18, s13
	s_mul_i32 s8, s8, s6
	s_add_i32 s9, s13, s9
	s_lshl_b64 s[8:9], s[8:9], 2
	s_waitcnt lgkmcnt(0)
	s_ashr_i32 s13, s12, 31
	s_add_u32 s16, s16, s8
	s_addc_u32 s17, s17, s9
	s_lshl_b64 s[8:9], s[12:13], 2
	s_add_u32 s12, s16, s8
	s_addc_u32 s13, s17, s9
.LBB116_3:
	s_clause 0x1
	s_load_dwordx2 s[8:9], s[4:5], 0x8
	s_load_dword s66, s[4:5], 0x38
	v_lshlrev_b32_e32 v117, 4, v0
	s_movk_i32 s16, 0xa0
	s_movk_i32 s17, 0xb0
	;; [unrolled: 1-line block ×17, first 2 shown]
	s_waitcnt lgkmcnt(0)
	s_ashr_i32 s5, s8, 31
	s_mov_b32 s4, s8
	v_add3_u32 v5, s9, s9, v0
	s_lshl_b64 s[4:5], s[4:5], 4
	s_movk_i32 s34, 0x1b0
	s_add_u32 s8, s14, s4
	s_addc_u32 s14, s15, s5
	v_add_co_u32 v9, s4, s8, v117
	v_add_co_ci_u32_e64 v10, null, s14, 0, s4
	s_mov_b32 s4, s9
	s_ashr_i32 s5, s9, 31
	v_ashrrev_i32_e32 v6, 31, v5
	flat_load_dwordx4 v[1:4], v[9:10]
	s_lshl_b64 s[4:5], s[4:5], 4
	s_movk_i32 s15, 0x90
	v_add_co_u32 v63, vcc_lo, v9, s4
	v_add_co_ci_u32_e64 v64, null, s5, v10, vcc_lo
	v_lshlrev_b64 v[6:7], 4, v[5:6]
	v_add_nc_u32_e32 v5, s9, v5
	s_movk_i32 s4, 0x50
	s_movk_i32 s35, 0x1c0
	s_movk_i32 s36, 0x1d0
	s_movk_i32 s67, 0x1e0
	v_add_co_u32 v61, vcc_lo, s8, v6
	v_add_co_ci_u32_e64 v62, null, s14, v7, vcc_lo
	v_ashrrev_i32_e32 v6, 31, v5
	s_movk_i32 s68, 0x1f0
	s_movk_i32 s69, 0x200
	s_movk_i32 s70, 0x210
	s_movk_i32 s71, 0x220
	v_lshlrev_b64 v[6:7], 4, v[5:6]
	v_add_nc_u32_e32 v5, s9, v5
	s_movk_i32 s72, 0x230
	s_movk_i32 s73, 0x240
	s_movk_i32 s74, 0x250
	s_movk_i32 s75, 0x260
	v_add_co_u32 v57, vcc_lo, s8, v6
	v_add_co_ci_u32_e64 v58, null, s14, v7, vcc_lo
	v_ashrrev_i32_e32 v6, 31, v5
	s_movk_i32 s76, 0x270
	s_movk_i32 s77, 0x280
	s_movk_i32 s78, 0x290
	s_movk_i32 s79, 0x2a0
	;; [unrolled: 13-line block ×3, first 2 shown]
	v_lshlrev_b64 v[6:7], 4, v[5:6]
	v_add_nc_u32_e32 v5, s9, v5
	s_movk_i32 s88, 0x330
	s_movk_i32 s89, 0x340
	s_add_i32 s60, s4, 16
	s_add_i32 s56, s15, 16
	v_add_co_u32 v53, vcc_lo, s8, v6
	v_add_co_ci_u32_e64 v54, null, s14, v7, vcc_lo
	v_ashrrev_i32_e32 v6, 31, v5
	s_add_i32 s55, s16, 16
	s_add_i32 s54, s17, 16
	s_add_i32 s53, s18, 16
	s_add_i32 s52, s19, 16
	v_lshlrev_b64 v[6:7], 4, v[5:6]
	v_add_nc_u32_e32 v5, s9, v5
	s_add_i32 s51, s20, 16
	s_add_i32 s50, s21, 16
	s_add_i32 s49, s22, 16
	s_add_i32 s48, s23, 16
	v_add_co_u32 v51, vcc_lo, s8, v6
	v_add_co_ci_u32_e64 v52, null, s14, v7, vcc_lo
	v_ashrrev_i32_e32 v6, 31, v5
	s_add_i32 s47, s24, 16
	s_add_i32 s46, s25, 16
	s_add_i32 s45, s26, 16
	s_add_i32 s44, s27, 16
	v_lshlrev_b64 v[6:7], 4, v[5:6]
	v_add_nc_u32_e32 v5, s9, v5
	s_add_i32 s43, s28, 16
	s_add_i32 s42, s29, 16
	;; [unrolled: 13-line block ×5, first 2 shown]
	s_add_i32 s16, s85, 16
	s_add_i32 s15, s86, 16
	v_add_co_u32 v43, vcc_lo, s8, v6
	v_add_co_ci_u32_e64 v44, null, s14, v7, vcc_lo
	v_ashrrev_i32_e32 v6, 31, v5
	s_mov_b32 s5, -1
	s_mov_b32 s64, 32
	s_mov_b32 s63, 48
	;; [unrolled: 1-line block ×3, first 2 shown]
	v_lshlrev_b64 v[6:7], 4, v[5:6]
	v_add_nc_u32_e32 v5, s9, v5
	s_movk_i32 s61, 0x50
	s_waitcnt vmcnt(0) lgkmcnt(0)
	buffer_store_dword v4, off, s[0:3], 0 offset:28
	buffer_store_dword v3, off, s[0:3], 0 offset:24
	buffer_store_dword v2, off, s[0:3], 0 offset:20
	buffer_store_dword v1, off, s[0:3], 0 offset:16
	flat_load_dwordx4 v[1:4], v[63:64]
	v_add_co_u32 v41, vcc_lo, s8, v6
	v_add_co_ci_u32_e64 v42, null, s14, v7, vcc_lo
	v_ashrrev_i32_e32 v6, 31, v5
	s_waitcnt vmcnt(0) lgkmcnt(0)
	buffer_store_dword v4, off, s[0:3], 0 offset:44
	buffer_store_dword v3, off, s[0:3], 0 offset:40
	buffer_store_dword v2, off, s[0:3], 0 offset:36
	buffer_store_dword v1, off, s[0:3], 0 offset:32
	flat_load_dwordx4 v[1:4], v[61:62]
	v_lshlrev_b64 v[6:7], 4, v[5:6]
	v_add_nc_u32_e32 v5, s9, v5
	s_waitcnt vmcnt(0) lgkmcnt(0)
	buffer_store_dword v4, off, s[0:3], 0 offset:60
	buffer_store_dword v3, off, s[0:3], 0 offset:56
	buffer_store_dword v2, off, s[0:3], 0 offset:52
	buffer_store_dword v1, off, s[0:3], 0 offset:48
	flat_load_dwordx4 v[1:4], v[57:58]
	v_add_co_u32 v37, vcc_lo, s8, v6
	v_add_co_ci_u32_e64 v38, null, s14, v7, vcc_lo
	v_ashrrev_i32_e32 v6, 31, v5
	s_waitcnt vmcnt(0) lgkmcnt(0)
	buffer_store_dword v4, off, s[0:3], 0 offset:76
	buffer_store_dword v3, off, s[0:3], 0 offset:72
	buffer_store_dword v2, off, s[0:3], 0 offset:68
	buffer_store_dword v1, off, s[0:3], 0 offset:64
	flat_load_dwordx4 v[1:4], v[55:56]
	v_lshlrev_b64 v[6:7], 4, v[5:6]
	v_add_nc_u32_e32 v5, s9, v5
	;; [unrolled: 17-line block ×10, first 2 shown]
	s_waitcnt vmcnt(0) lgkmcnt(0)
	buffer_store_dword v4, off, s[0:3], 0 offset:348
	buffer_store_dword v3, off, s[0:3], 0 offset:344
	;; [unrolled: 1-line block ×4, first 2 shown]
	v_add_co_u32 v19, vcc_lo, s8, v6
	v_add_co_ci_u32_e64 v20, null, s14, v7, vcc_lo
	v_ashrrev_i32_e32 v6, 31, v5
	flat_load_dwordx4 v[1:4], v[19:20]
	s_waitcnt vmcnt(0) lgkmcnt(0)
	buffer_store_dword v4, off, s[0:3], 0 offset:364
	buffer_store_dword v3, off, s[0:3], 0 offset:360
	buffer_store_dword v2, off, s[0:3], 0 offset:356
	buffer_store_dword v1, off, s[0:3], 0 offset:352
	v_lshlrev_b64 v[6:7], 4, v[5:6]
	v_add_nc_u32_e32 v5, s9, v5
	v_add_co_u32 v17, vcc_lo, s8, v6
	v_add_co_ci_u32_e64 v18, null, s14, v7, vcc_lo
	v_ashrrev_i32_e32 v6, 31, v5
	flat_load_dwordx4 v[1:4], v[17:18]
	s_waitcnt vmcnt(0) lgkmcnt(0)
	buffer_store_dword v4, off, s[0:3], 0 offset:380
	buffer_store_dword v3, off, s[0:3], 0 offset:376
	buffer_store_dword v2, off, s[0:3], 0 offset:372
	buffer_store_dword v1, off, s[0:3], 0 offset:368
	v_lshlrev_b64 v[6:7], 4, v[5:6]
	v_add_nc_u32_e32 v5, s9, v5
	;; [unrolled: 11-line block ×30, first 2 shown]
	s_movk_i32 s9, 0x70
	s_add_i32 s58, s9, 16
	s_add_i32 s9, s88, 16
	v_add_co_u32 v111, vcc_lo, s8, v6
	v_add_co_ci_u32_e64 v112, null, s14, v7, vcc_lo
	v_ashrrev_i32_e32 v6, 31, v5
	flat_load_dwordx4 v[1:4], v[111:112]
	s_waitcnt vmcnt(0) lgkmcnt(0)
	buffer_store_dword v4, off, s[0:3], 0 offset:844
	buffer_store_dword v3, off, s[0:3], 0 offset:840
	;; [unrolled: 1-line block ×4, first 2 shown]
	v_lshlrev_b64 v[5:6], 4, v[5:6]
	v_add_co_u32 v113, vcc_lo, s8, v5
	v_add_co_ci_u32_e64 v114, null, s14, v6, vcc_lo
	s_movk_i32 s8, 0x60
	s_movk_i32 s14, 0x80
	s_add_i32 s59, s8, 16
	flat_load_dwordx4 v[1:4], v[113:114]
	s_add_i32 s57, s14, 16
	s_add_i32 s14, s87, 16
	;; [unrolled: 1-line block ×3, first 2 shown]
	s_bitcmp0_b32 s66, 0
	s_waitcnt vmcnt(0) lgkmcnt(0)
	buffer_store_dword v4, off, s[0:3], 0 offset:860
	buffer_store_dword v3, off, s[0:3], 0 offset:856
	buffer_store_dword v2, off, s[0:3], 0 offset:852
	buffer_store_dword v1, off, s[0:3], 0 offset:848
	s_cbranch_scc1 .LBB116_224
; %bb.4:
	v_cmp_eq_u32_e64 s4, 0, v0
	s_and_saveexec_b32 s5, s4
; %bb.5:
	v_mov_b32_e32 v1, 0
	ds_write_b32 v1, v1 offset:1696
; %bb.6:
	s_or_b32 exec_lo, exec_lo, s5
	v_lshl_add_u32 v118, v0, 4, 16
	s_waitcnt lgkmcnt(0)
	s_waitcnt_vscnt null, 0x0
	s_barrier
	buffer_gl0_inv
	s_clause 0x3
	buffer_load_dword v1, v118, s[0:3], 0 offen
	buffer_load_dword v2, v118, s[0:3], 0 offen offset:4
	buffer_load_dword v3, v118, s[0:3], 0 offen offset:8
	;; [unrolled: 1-line block ×3, first 2 shown]
	s_waitcnt vmcnt(2)
	v_cmp_eq_f64_e32 vcc_lo, 0, v[1:2]
	s_waitcnt vmcnt(0)
	v_cmp_eq_f64_e64 s5, 0, v[3:4]
	s_and_b32 s5, vcc_lo, s5
	s_and_saveexec_b32 s66, s5
	s_cbranch_execz .LBB116_10
; %bb.7:
	v_mov_b32_e32 v1, 0
	s_mov_b32 s67, 0
	ds_read_b32 v2, v1 offset:1696
	s_waitcnt lgkmcnt(0)
	v_readfirstlane_b32 s5, v2
	v_add_nc_u32_e32 v2, 1, v0
	s_cmp_eq_u32 s5, 0
	v_cmp_gt_i32_e32 vcc_lo, s5, v2
	s_cselect_b32 s68, -1, 0
	s_or_b32 s68, s68, vcc_lo
	s_and_b32 exec_lo, exec_lo, s68
	s_cbranch_execz .LBB116_10
; %bb.8:
	v_mov_b32_e32 v3, s5
.LBB116_9:                              ; =>This Inner Loop Header: Depth=1
	ds_cmpst_rtn_b32 v3, v1, v3, v2 offset:1696
	s_waitcnt lgkmcnt(0)
	v_cmp_ne_u32_e32 vcc_lo, 0, v3
	v_cmp_le_i32_e64 s5, v3, v2
	s_and_b32 s5, vcc_lo, s5
	s_and_b32 s5, exec_lo, s5
	s_or_b32 s67, s5, s67
	s_andn2_b32 exec_lo, exec_lo, s67
	s_cbranch_execnz .LBB116_9
.LBB116_10:
	s_or_b32 exec_lo, exec_lo, s66
	v_mov_b32_e32 v1, 0
	s_barrier
	buffer_gl0_inv
	ds_read_b32 v2, v1 offset:1696
	s_and_saveexec_b32 s5, s4
	s_cbranch_execz .LBB116_12
; %bb.11:
	s_lshl_b64 s[66:67], s[6:7], 2
	s_add_u32 s66, s10, s66
	s_addc_u32 s67, s11, s67
	s_waitcnt lgkmcnt(0)
	global_store_dword v1, v2, s[66:67]
.LBB116_12:
	s_or_b32 exec_lo, exec_lo, s5
	s_waitcnt lgkmcnt(0)
	v_cmp_ne_u32_e32 vcc_lo, 0, v2
	s_mov_b32 s5, 0
	s_cbranch_vccnz .LBB116_224
; %bb.13:
	s_clause 0x3
	buffer_load_dword v7, v118, s[0:3], 0 offen
	buffer_load_dword v8, v118, s[0:3], 0 offen offset:4
	buffer_load_dword v115, v118, s[0:3], 0 offen offset:8
	;; [unrolled: 1-line block ×3, first 2 shown]
                                        ; implicit-def: $vgpr5_vgpr6
                                        ; implicit-def: $vgpr3_vgpr4
	s_waitcnt vmcnt(0)
	v_cmp_ngt_f64_e64 s5, |v[7:8]|, |v[115:116]|
	s_and_saveexec_b32 s66, s5
	s_xor_b32 s5, exec_lo, s66
	s_cbranch_execz .LBB116_15
; %bb.14:
	v_div_scale_f64 v[1:2], null, v[115:116], v[115:116], v[7:8]
	v_div_scale_f64 v[119:120], vcc_lo, v[7:8], v[115:116], v[7:8]
	v_rcp_f64_e32 v[3:4], v[1:2]
	v_fma_f64 v[5:6], -v[1:2], v[3:4], 1.0
	v_fma_f64 v[3:4], v[3:4], v[5:6], v[3:4]
	v_fma_f64 v[5:6], -v[1:2], v[3:4], 1.0
	v_fma_f64 v[3:4], v[3:4], v[5:6], v[3:4]
	v_mul_f64 v[5:6], v[119:120], v[3:4]
	v_fma_f64 v[1:2], -v[1:2], v[5:6], v[119:120]
	v_div_fmas_f64 v[1:2], v[1:2], v[3:4], v[5:6]
	v_div_fixup_f64 v[1:2], v[1:2], v[115:116], v[7:8]
	v_fma_f64 v[3:4], v[7:8], v[1:2], v[115:116]
	v_div_scale_f64 v[5:6], null, v[3:4], v[3:4], 1.0
	v_div_scale_f64 v[119:120], vcc_lo, 1.0, v[3:4], 1.0
	v_rcp_f64_e32 v[7:8], v[5:6]
	v_fma_f64 v[115:116], -v[5:6], v[7:8], 1.0
	v_fma_f64 v[7:8], v[7:8], v[115:116], v[7:8]
	v_fma_f64 v[115:116], -v[5:6], v[7:8], 1.0
	v_fma_f64 v[7:8], v[7:8], v[115:116], v[7:8]
	v_mul_f64 v[115:116], v[119:120], v[7:8]
	v_fma_f64 v[5:6], -v[5:6], v[115:116], v[119:120]
	v_div_fmas_f64 v[5:6], v[5:6], v[7:8], v[115:116]
                                        ; implicit-def: $vgpr7_vgpr8
                                        ; implicit-def: $vgpr115_vgpr116
	v_div_fixup_f64 v[3:4], v[5:6], v[3:4], 1.0
	v_mul_f64 v[5:6], v[1:2], v[3:4]
	v_xor_b32_e32 v4, 0x80000000, v4
	v_xor_b32_e32 v2, 0x80000000, v6
	v_mov_b32_e32 v1, v5
.LBB116_15:
	s_andn2_saveexec_b32 s5, s5
	s_cbranch_execz .LBB116_17
; %bb.16:
	v_div_scale_f64 v[1:2], null, v[7:8], v[7:8], v[115:116]
	v_div_scale_f64 v[119:120], vcc_lo, v[115:116], v[7:8], v[115:116]
	v_rcp_f64_e32 v[3:4], v[1:2]
	v_fma_f64 v[5:6], -v[1:2], v[3:4], 1.0
	v_fma_f64 v[3:4], v[3:4], v[5:6], v[3:4]
	v_fma_f64 v[5:6], -v[1:2], v[3:4], 1.0
	v_fma_f64 v[3:4], v[3:4], v[5:6], v[3:4]
	v_mul_f64 v[5:6], v[119:120], v[3:4]
	v_fma_f64 v[1:2], -v[1:2], v[5:6], v[119:120]
	v_div_fmas_f64 v[1:2], v[1:2], v[3:4], v[5:6]
	v_div_fixup_f64 v[1:2], v[1:2], v[7:8], v[115:116]
	v_fma_f64 v[3:4], v[115:116], v[1:2], v[7:8]
	v_div_scale_f64 v[5:6], null, v[3:4], v[3:4], 1.0
	v_rcp_f64_e32 v[7:8], v[5:6]
	v_fma_f64 v[115:116], -v[5:6], v[7:8], 1.0
	v_fma_f64 v[7:8], v[7:8], v[115:116], v[7:8]
	v_fma_f64 v[115:116], -v[5:6], v[7:8], 1.0
	v_fma_f64 v[7:8], v[7:8], v[115:116], v[7:8]
	v_div_scale_f64 v[115:116], vcc_lo, 1.0, v[3:4], 1.0
	v_mul_f64 v[119:120], v[115:116], v[7:8]
	v_fma_f64 v[5:6], -v[5:6], v[119:120], v[115:116]
	v_div_fmas_f64 v[5:6], v[5:6], v[7:8], v[119:120]
	v_div_fixup_f64 v[5:6], v[5:6], v[3:4], 1.0
	v_mul_f64 v[3:4], v[1:2], -v[5:6]
	v_xor_b32_e32 v2, 0x80000000, v6
	v_mov_b32_e32 v1, v5
.LBB116_17:
	s_or_b32 exec_lo, exec_lo, s5
	v_mov_b32_e32 v7, s64
	buffer_store_dword v6, v118, s[0:3], 0 offen offset:4
	buffer_store_dword v5, v118, s[0:3], 0 offen
	buffer_store_dword v4, v118, s[0:3], 0 offen offset:12
	buffer_store_dword v3, v118, s[0:3], 0 offen offset:8
	v_xor_b32_e32 v4, 0x80000000, v4
	v_add_nc_u32_e32 v5, 0x350, v117
	s_clause 0x3
	buffer_load_dword v122, v7, s[0:3], 0 offen offset:12
	buffer_load_dword v121, v7, s[0:3], 0 offen offset:8
	buffer_load_dword v120, v7, s[0:3], 0 offen offset:4
	buffer_load_dword v119, v7, s[0:3], 0 offen
	ds_write_b128 v117, v[1:4]
	s_waitcnt vmcnt(0)
	ds_write_b128 v117, v[119:122] offset:848
	s_waitcnt lgkmcnt(0)
	s_waitcnt_vscnt null, 0x0
	s_barrier
	buffer_gl0_inv
	s_and_saveexec_b32 s5, s4
	s_cbranch_execz .LBB116_19
; %bb.18:
	s_clause 0x3
	buffer_load_dword v6, v118, s[0:3], 0 offen offset:8
	buffer_load_dword v7, v118, s[0:3], 0 offen offset:12
	buffer_load_dword v115, v118, s[0:3], 0 offen
	buffer_load_dword v116, v118, s[0:3], 0 offen offset:4
	ds_read_b128 v[1:4], v5
	v_mov_b32_e32 v8, 0
	ds_read_b128 v[119:122], v8 offset:16
	s_waitcnt vmcnt(2) lgkmcnt(1)
	v_mul_f64 v[123:124], v[1:2], v[6:7]
	v_mul_f64 v[6:7], v[3:4], v[6:7]
	s_waitcnt vmcnt(0)
	v_fma_f64 v[3:4], v[3:4], v[115:116], v[123:124]
	v_fma_f64 v[1:2], v[1:2], v[115:116], -v[6:7]
	v_add_f64 v[3:4], v[3:4], 0
	v_add_f64 v[1:2], v[1:2], 0
	s_waitcnt lgkmcnt(0)
	v_mul_f64 v[6:7], v[3:4], v[121:122]
	v_mul_f64 v[115:116], v[1:2], v[121:122]
	v_fma_f64 v[1:2], v[1:2], v[119:120], -v[6:7]
	v_fma_f64 v[3:4], v[3:4], v[119:120], v[115:116]
	buffer_store_dword v1, off, s[0:3], 0 offset:32
	buffer_store_dword v2, off, s[0:3], 0 offset:36
	;; [unrolled: 1-line block ×4, first 2 shown]
.LBB116_19:
	s_or_b32 exec_lo, exec_lo, s5
	v_mov_b32_e32 v4, s63
	s_waitcnt_vscnt null, 0x0
	s_barrier
	buffer_gl0_inv
	s_mov_b32 s5, exec_lo
	s_clause 0x3
	buffer_load_dword v1, v4, s[0:3], 0 offen
	buffer_load_dword v2, v4, s[0:3], 0 offen offset:4
	buffer_load_dword v3, v4, s[0:3], 0 offen offset:8
	;; [unrolled: 1-line block ×3, first 2 shown]
	s_waitcnt vmcnt(0)
	ds_write_b128 v5, v[1:4]
	s_waitcnt lgkmcnt(0)
	s_barrier
	buffer_gl0_inv
	v_cmpx_gt_u32_e32 2, v0
	s_cbranch_execz .LBB116_23
; %bb.20:
	s_clause 0x3
	buffer_load_dword v6, v118, s[0:3], 0 offen offset:8
	buffer_load_dword v7, v118, s[0:3], 0 offen offset:12
	buffer_load_dword v115, v118, s[0:3], 0 offen
	buffer_load_dword v116, v118, s[0:3], 0 offen offset:4
	ds_read_b128 v[1:4], v5
	s_waitcnt vmcnt(2) lgkmcnt(0)
	v_mul_f64 v[118:119], v[3:4], v[6:7]
	v_mul_f64 v[6:7], v[1:2], v[6:7]
	s_waitcnt vmcnt(0)
	v_fma_f64 v[1:2], v[1:2], v[115:116], -v[118:119]
	v_fma_f64 v[3:4], v[3:4], v[115:116], v[6:7]
	v_add_f64 v[1:2], v[1:2], 0
	v_add_f64 v[3:4], v[3:4], 0
	s_and_saveexec_b32 s66, s4
	s_cbranch_execz .LBB116_22
; %bb.21:
	s_clause 0x3
	buffer_load_dword v6, off, s[0:3], 0 offset:40
	buffer_load_dword v7, off, s[0:3], 0 offset:44
	;; [unrolled: 1-line block ×4, first 2 shown]
	v_mov_b32_e32 v8, 0
	ds_read_b128 v[118:121], v8 offset:864
	s_waitcnt vmcnt(2) lgkmcnt(0)
	v_mul_f64 v[122:123], v[118:119], v[6:7]
	v_mul_f64 v[6:7], v[120:121], v[6:7]
	s_waitcnt vmcnt(0)
	v_fma_f64 v[120:121], v[120:121], v[115:116], v[122:123]
	v_fma_f64 v[6:7], v[118:119], v[115:116], -v[6:7]
	v_add_f64 v[3:4], v[3:4], v[120:121]
	v_add_f64 v[1:2], v[1:2], v[6:7]
.LBB116_22:
	s_or_b32 exec_lo, exec_lo, s66
	v_mov_b32_e32 v6, 0
	ds_read_b128 v[118:121], v6 offset:32
	s_waitcnt lgkmcnt(0)
	v_mul_f64 v[6:7], v[3:4], v[120:121]
	v_mul_f64 v[115:116], v[1:2], v[120:121]
	v_fma_f64 v[1:2], v[1:2], v[118:119], -v[6:7]
	v_fma_f64 v[3:4], v[3:4], v[118:119], v[115:116]
	buffer_store_dword v2, off, s[0:3], 0 offset:52
	buffer_store_dword v1, off, s[0:3], 0 offset:48
	;; [unrolled: 1-line block ×4, first 2 shown]
.LBB116_23:
	s_or_b32 exec_lo, exec_lo, s5
	v_mov_b32_e32 v4, s62
	s_waitcnt_vscnt null, 0x0
	s_barrier
	buffer_gl0_inv
	v_add_nc_u32_e32 v6, -1, v0
	s_clause 0x3
	buffer_load_dword v1, v4, s[0:3], 0 offen
	buffer_load_dword v2, v4, s[0:3], 0 offen offset:4
	buffer_load_dword v3, v4, s[0:3], 0 offen offset:8
	;; [unrolled: 1-line block ×3, first 2 shown]
	s_mov_b32 s4, exec_lo
	s_waitcnt vmcnt(0)
	ds_write_b128 v5, v[1:4]
	s_waitcnt lgkmcnt(0)
	s_barrier
	buffer_gl0_inv
	v_cmpx_gt_u32_e32 3, v0
	s_cbranch_execz .LBB116_27
; %bb.24:
	v_mov_b32_e32 v1, 0
	v_mov_b32_e32 v3, 0
	v_add_nc_u32_e32 v7, -1, v0
	v_add_nc_u32_e32 v8, 0x350, v117
	v_mov_b32_e32 v2, 0
	v_mov_b32_e32 v4, 0
	v_add_nc_u32_e32 v115, 16, v117
	s_mov_b32 s5, 0
	.p2align	6
.LBB116_25:                             ; =>This Inner Loop Header: Depth=1
	s_clause 0x3
	buffer_load_dword v122, v115, s[0:3], 0 offen offset:8
	buffer_load_dword v123, v115, s[0:3], 0 offen offset:12
	buffer_load_dword v124, v115, s[0:3], 0 offen
	buffer_load_dword v125, v115, s[0:3], 0 offen offset:4
	ds_read_b128 v[118:121], v8
	v_add_nc_u32_e32 v7, 1, v7
	v_add_nc_u32_e32 v8, 16, v8
	;; [unrolled: 1-line block ×3, first 2 shown]
	v_cmp_lt_u32_e32 vcc_lo, 1, v7
	s_or_b32 s5, vcc_lo, s5
	s_waitcnt vmcnt(2) lgkmcnt(0)
	v_mul_f64 v[126:127], v[120:121], v[122:123]
	v_mul_f64 v[122:123], v[118:119], v[122:123]
	s_waitcnt vmcnt(0)
	v_fma_f64 v[118:119], v[118:119], v[124:125], -v[126:127]
	v_fma_f64 v[120:121], v[120:121], v[124:125], v[122:123]
	v_add_f64 v[3:4], v[3:4], v[118:119]
	v_add_f64 v[1:2], v[1:2], v[120:121]
	s_andn2_b32 exec_lo, exec_lo, s5
	s_cbranch_execnz .LBB116_25
; %bb.26:
	s_or_b32 exec_lo, exec_lo, s5
	v_mov_b32_e32 v7, 0
	ds_read_b128 v[118:121], v7 offset:48
	s_waitcnt lgkmcnt(0)
	v_mul_f64 v[7:8], v[1:2], v[120:121]
	v_mul_f64 v[115:116], v[3:4], v[120:121]
	v_fma_f64 v[3:4], v[3:4], v[118:119], -v[7:8]
	v_fma_f64 v[1:2], v[1:2], v[118:119], v[115:116]
	buffer_store_dword v4, off, s[0:3], 0 offset:68
	buffer_store_dword v3, off, s[0:3], 0 offset:64
	;; [unrolled: 1-line block ×4, first 2 shown]
.LBB116_27:
	s_or_b32 exec_lo, exec_lo, s4
	v_mov_b32_e32 v4, s61
	s_waitcnt_vscnt null, 0x0
	s_barrier
	buffer_gl0_inv
	s_mov_b32 s4, exec_lo
	s_clause 0x3
	buffer_load_dword v1, v4, s[0:3], 0 offen
	buffer_load_dword v2, v4, s[0:3], 0 offen offset:4
	buffer_load_dword v3, v4, s[0:3], 0 offen offset:8
	;; [unrolled: 1-line block ×3, first 2 shown]
	s_waitcnt vmcnt(0)
	ds_write_b128 v5, v[1:4]
	s_waitcnt lgkmcnt(0)
	s_barrier
	buffer_gl0_inv
	v_cmpx_gt_u32_e32 4, v0
	s_cbranch_execz .LBB116_31
; %bb.28:
	v_mov_b32_e32 v1, 0
	v_mov_b32_e32 v3, 0
	v_add_nc_u32_e32 v7, -1, v0
	v_add_nc_u32_e32 v8, 0x350, v117
	v_mov_b32_e32 v2, 0
	v_mov_b32_e32 v4, 0
	v_add_nc_u32_e32 v115, 16, v117
	s_mov_b32 s5, 0
	.p2align	6
.LBB116_29:                             ; =>This Inner Loop Header: Depth=1
	s_clause 0x3
	buffer_load_dword v122, v115, s[0:3], 0 offen offset:8
	buffer_load_dword v123, v115, s[0:3], 0 offen offset:12
	buffer_load_dword v124, v115, s[0:3], 0 offen
	buffer_load_dword v125, v115, s[0:3], 0 offen offset:4
	ds_read_b128 v[118:121], v8
	v_add_nc_u32_e32 v7, 1, v7
	v_add_nc_u32_e32 v8, 16, v8
	;; [unrolled: 1-line block ×3, first 2 shown]
	v_cmp_lt_u32_e32 vcc_lo, 2, v7
	s_or_b32 s5, vcc_lo, s5
	s_waitcnt vmcnt(2) lgkmcnt(0)
	v_mul_f64 v[126:127], v[120:121], v[122:123]
	v_mul_f64 v[122:123], v[118:119], v[122:123]
	s_waitcnt vmcnt(0)
	v_fma_f64 v[118:119], v[118:119], v[124:125], -v[126:127]
	v_fma_f64 v[120:121], v[120:121], v[124:125], v[122:123]
	v_add_f64 v[3:4], v[3:4], v[118:119]
	v_add_f64 v[1:2], v[1:2], v[120:121]
	s_andn2_b32 exec_lo, exec_lo, s5
	s_cbranch_execnz .LBB116_29
; %bb.30:
	s_or_b32 exec_lo, exec_lo, s5
	v_mov_b32_e32 v7, 0
	ds_read_b128 v[118:121], v7 offset:64
	s_waitcnt lgkmcnt(0)
	v_mul_f64 v[7:8], v[1:2], v[120:121]
	v_mul_f64 v[115:116], v[3:4], v[120:121]
	v_fma_f64 v[3:4], v[3:4], v[118:119], -v[7:8]
	v_fma_f64 v[1:2], v[1:2], v[118:119], v[115:116]
	buffer_store_dword v4, off, s[0:3], 0 offset:84
	buffer_store_dword v3, off, s[0:3], 0 offset:80
	;; [unrolled: 1-line block ×4, first 2 shown]
.LBB116_31:
	s_or_b32 exec_lo, exec_lo, s4
	v_mov_b32_e32 v4, s60
	s_waitcnt_vscnt null, 0x0
	s_barrier
	buffer_gl0_inv
	s_mov_b32 s4, exec_lo
	s_clause 0x3
	buffer_load_dword v1, v4, s[0:3], 0 offen
	buffer_load_dword v2, v4, s[0:3], 0 offen offset:4
	buffer_load_dword v3, v4, s[0:3], 0 offen offset:8
	;; [unrolled: 1-line block ×3, first 2 shown]
	s_waitcnt vmcnt(0)
	ds_write_b128 v5, v[1:4]
	s_waitcnt lgkmcnt(0)
	s_barrier
	buffer_gl0_inv
	v_cmpx_gt_u32_e32 5, v0
	s_cbranch_execz .LBB116_35
; %bb.32:
	v_mov_b32_e32 v1, 0
	v_mov_b32_e32 v3, 0
	v_add_nc_u32_e32 v7, -1, v0
	v_add_nc_u32_e32 v8, 0x350, v117
	v_mov_b32_e32 v2, 0
	v_mov_b32_e32 v4, 0
	v_add_nc_u32_e32 v115, 16, v117
	s_mov_b32 s5, 0
	.p2align	6
.LBB116_33:                             ; =>This Inner Loop Header: Depth=1
	s_clause 0x3
	buffer_load_dword v122, v115, s[0:3], 0 offen offset:8
	buffer_load_dword v123, v115, s[0:3], 0 offen offset:12
	buffer_load_dword v124, v115, s[0:3], 0 offen
	buffer_load_dword v125, v115, s[0:3], 0 offen offset:4
	ds_read_b128 v[118:121], v8
	v_add_nc_u32_e32 v7, 1, v7
	v_add_nc_u32_e32 v8, 16, v8
	;; [unrolled: 1-line block ×3, first 2 shown]
	v_cmp_lt_u32_e32 vcc_lo, 3, v7
	s_or_b32 s5, vcc_lo, s5
	s_waitcnt vmcnt(2) lgkmcnt(0)
	v_mul_f64 v[126:127], v[120:121], v[122:123]
	v_mul_f64 v[122:123], v[118:119], v[122:123]
	s_waitcnt vmcnt(0)
	v_fma_f64 v[118:119], v[118:119], v[124:125], -v[126:127]
	v_fma_f64 v[120:121], v[120:121], v[124:125], v[122:123]
	v_add_f64 v[3:4], v[3:4], v[118:119]
	v_add_f64 v[1:2], v[1:2], v[120:121]
	s_andn2_b32 exec_lo, exec_lo, s5
	s_cbranch_execnz .LBB116_33
; %bb.34:
	s_or_b32 exec_lo, exec_lo, s5
	v_mov_b32_e32 v7, 0
	ds_read_b128 v[118:121], v7 offset:80
	s_waitcnt lgkmcnt(0)
	v_mul_f64 v[7:8], v[1:2], v[120:121]
	v_mul_f64 v[115:116], v[3:4], v[120:121]
	v_fma_f64 v[3:4], v[3:4], v[118:119], -v[7:8]
	v_fma_f64 v[1:2], v[1:2], v[118:119], v[115:116]
	buffer_store_dword v4, off, s[0:3], 0 offset:100
	buffer_store_dword v3, off, s[0:3], 0 offset:96
	;; [unrolled: 1-line block ×4, first 2 shown]
.LBB116_35:
	s_or_b32 exec_lo, exec_lo, s4
	v_mov_b32_e32 v4, s59
	s_waitcnt_vscnt null, 0x0
	s_barrier
	buffer_gl0_inv
	s_mov_b32 s4, exec_lo
	s_clause 0x3
	buffer_load_dword v1, v4, s[0:3], 0 offen
	buffer_load_dword v2, v4, s[0:3], 0 offen offset:4
	buffer_load_dword v3, v4, s[0:3], 0 offen offset:8
	buffer_load_dword v4, v4, s[0:3], 0 offen offset:12
	s_waitcnt vmcnt(0)
	ds_write_b128 v5, v[1:4]
	s_waitcnt lgkmcnt(0)
	s_barrier
	buffer_gl0_inv
	v_cmpx_gt_u32_e32 6, v0
	s_cbranch_execz .LBB116_39
; %bb.36:
	v_mov_b32_e32 v1, 0
	v_mov_b32_e32 v3, 0
	v_add_nc_u32_e32 v7, -1, v0
	v_add_nc_u32_e32 v8, 0x350, v117
	v_mov_b32_e32 v2, 0
	v_mov_b32_e32 v4, 0
	v_add_nc_u32_e32 v115, 16, v117
	s_mov_b32 s5, 0
	.p2align	6
.LBB116_37:                             ; =>This Inner Loop Header: Depth=1
	s_clause 0x3
	buffer_load_dword v122, v115, s[0:3], 0 offen offset:8
	buffer_load_dword v123, v115, s[0:3], 0 offen offset:12
	buffer_load_dword v124, v115, s[0:3], 0 offen
	buffer_load_dword v125, v115, s[0:3], 0 offen offset:4
	ds_read_b128 v[118:121], v8
	v_add_nc_u32_e32 v7, 1, v7
	v_add_nc_u32_e32 v8, 16, v8
	;; [unrolled: 1-line block ×3, first 2 shown]
	v_cmp_lt_u32_e32 vcc_lo, 4, v7
	s_or_b32 s5, vcc_lo, s5
	s_waitcnt vmcnt(2) lgkmcnt(0)
	v_mul_f64 v[126:127], v[120:121], v[122:123]
	v_mul_f64 v[122:123], v[118:119], v[122:123]
	s_waitcnt vmcnt(0)
	v_fma_f64 v[118:119], v[118:119], v[124:125], -v[126:127]
	v_fma_f64 v[120:121], v[120:121], v[124:125], v[122:123]
	v_add_f64 v[3:4], v[3:4], v[118:119]
	v_add_f64 v[1:2], v[1:2], v[120:121]
	s_andn2_b32 exec_lo, exec_lo, s5
	s_cbranch_execnz .LBB116_37
; %bb.38:
	s_or_b32 exec_lo, exec_lo, s5
	v_mov_b32_e32 v7, 0
	ds_read_b128 v[118:121], v7 offset:96
	s_waitcnt lgkmcnt(0)
	v_mul_f64 v[7:8], v[1:2], v[120:121]
	v_mul_f64 v[115:116], v[3:4], v[120:121]
	v_fma_f64 v[3:4], v[3:4], v[118:119], -v[7:8]
	v_fma_f64 v[1:2], v[1:2], v[118:119], v[115:116]
	buffer_store_dword v4, off, s[0:3], 0 offset:116
	buffer_store_dword v3, off, s[0:3], 0 offset:112
	;; [unrolled: 1-line block ×4, first 2 shown]
.LBB116_39:
	s_or_b32 exec_lo, exec_lo, s4
	v_mov_b32_e32 v4, s58
	s_waitcnt_vscnt null, 0x0
	s_barrier
	buffer_gl0_inv
	s_mov_b32 s4, exec_lo
	s_clause 0x3
	buffer_load_dword v1, v4, s[0:3], 0 offen
	buffer_load_dword v2, v4, s[0:3], 0 offen offset:4
	buffer_load_dword v3, v4, s[0:3], 0 offen offset:8
	;; [unrolled: 1-line block ×3, first 2 shown]
	s_waitcnt vmcnt(0)
	ds_write_b128 v5, v[1:4]
	s_waitcnt lgkmcnt(0)
	s_barrier
	buffer_gl0_inv
	v_cmpx_gt_u32_e32 7, v0
	s_cbranch_execz .LBB116_43
; %bb.40:
	v_mov_b32_e32 v1, 0
	v_mov_b32_e32 v3, 0
	v_add_nc_u32_e32 v7, -1, v0
	v_add_nc_u32_e32 v8, 0x350, v117
	v_mov_b32_e32 v2, 0
	v_mov_b32_e32 v4, 0
	v_add_nc_u32_e32 v115, 16, v117
	s_mov_b32 s5, 0
	.p2align	6
.LBB116_41:                             ; =>This Inner Loop Header: Depth=1
	s_clause 0x3
	buffer_load_dword v122, v115, s[0:3], 0 offen offset:8
	buffer_load_dword v123, v115, s[0:3], 0 offen offset:12
	buffer_load_dword v124, v115, s[0:3], 0 offen
	buffer_load_dword v125, v115, s[0:3], 0 offen offset:4
	ds_read_b128 v[118:121], v8
	v_add_nc_u32_e32 v7, 1, v7
	v_add_nc_u32_e32 v8, 16, v8
	v_add_nc_u32_e32 v115, 16, v115
	v_cmp_lt_u32_e32 vcc_lo, 5, v7
	s_or_b32 s5, vcc_lo, s5
	s_waitcnt vmcnt(2) lgkmcnt(0)
	v_mul_f64 v[126:127], v[120:121], v[122:123]
	v_mul_f64 v[122:123], v[118:119], v[122:123]
	s_waitcnt vmcnt(0)
	v_fma_f64 v[118:119], v[118:119], v[124:125], -v[126:127]
	v_fma_f64 v[120:121], v[120:121], v[124:125], v[122:123]
	v_add_f64 v[3:4], v[3:4], v[118:119]
	v_add_f64 v[1:2], v[1:2], v[120:121]
	s_andn2_b32 exec_lo, exec_lo, s5
	s_cbranch_execnz .LBB116_41
; %bb.42:
	s_or_b32 exec_lo, exec_lo, s5
	v_mov_b32_e32 v7, 0
	ds_read_b128 v[118:121], v7 offset:112
	s_waitcnt lgkmcnt(0)
	v_mul_f64 v[7:8], v[1:2], v[120:121]
	v_mul_f64 v[115:116], v[3:4], v[120:121]
	v_fma_f64 v[3:4], v[3:4], v[118:119], -v[7:8]
	v_fma_f64 v[1:2], v[1:2], v[118:119], v[115:116]
	buffer_store_dword v4, off, s[0:3], 0 offset:132
	buffer_store_dword v3, off, s[0:3], 0 offset:128
	;; [unrolled: 1-line block ×4, first 2 shown]
.LBB116_43:
	s_or_b32 exec_lo, exec_lo, s4
	v_mov_b32_e32 v4, s57
	s_waitcnt_vscnt null, 0x0
	s_barrier
	buffer_gl0_inv
	s_mov_b32 s4, exec_lo
	s_clause 0x3
	buffer_load_dword v1, v4, s[0:3], 0 offen
	buffer_load_dword v2, v4, s[0:3], 0 offen offset:4
	buffer_load_dword v3, v4, s[0:3], 0 offen offset:8
	;; [unrolled: 1-line block ×3, first 2 shown]
	s_waitcnt vmcnt(0)
	ds_write_b128 v5, v[1:4]
	s_waitcnt lgkmcnt(0)
	s_barrier
	buffer_gl0_inv
	v_cmpx_gt_u32_e32 8, v0
	s_cbranch_execz .LBB116_47
; %bb.44:
	v_mov_b32_e32 v1, 0
	v_mov_b32_e32 v3, 0
	v_add_nc_u32_e32 v7, -1, v0
	v_add_nc_u32_e32 v8, 0x350, v117
	v_mov_b32_e32 v2, 0
	v_mov_b32_e32 v4, 0
	v_add_nc_u32_e32 v115, 16, v117
	s_mov_b32 s5, 0
	.p2align	6
.LBB116_45:                             ; =>This Inner Loop Header: Depth=1
	s_clause 0x3
	buffer_load_dword v122, v115, s[0:3], 0 offen offset:8
	buffer_load_dword v123, v115, s[0:3], 0 offen offset:12
	buffer_load_dword v124, v115, s[0:3], 0 offen
	buffer_load_dword v125, v115, s[0:3], 0 offen offset:4
	ds_read_b128 v[118:121], v8
	v_add_nc_u32_e32 v7, 1, v7
	v_add_nc_u32_e32 v8, 16, v8
	;; [unrolled: 1-line block ×3, first 2 shown]
	v_cmp_lt_u32_e32 vcc_lo, 6, v7
	s_or_b32 s5, vcc_lo, s5
	s_waitcnt vmcnt(2) lgkmcnt(0)
	v_mul_f64 v[126:127], v[120:121], v[122:123]
	v_mul_f64 v[122:123], v[118:119], v[122:123]
	s_waitcnt vmcnt(0)
	v_fma_f64 v[118:119], v[118:119], v[124:125], -v[126:127]
	v_fma_f64 v[120:121], v[120:121], v[124:125], v[122:123]
	v_add_f64 v[3:4], v[3:4], v[118:119]
	v_add_f64 v[1:2], v[1:2], v[120:121]
	s_andn2_b32 exec_lo, exec_lo, s5
	s_cbranch_execnz .LBB116_45
; %bb.46:
	s_or_b32 exec_lo, exec_lo, s5
	v_mov_b32_e32 v7, 0
	ds_read_b128 v[118:121], v7 offset:128
	s_waitcnt lgkmcnt(0)
	v_mul_f64 v[7:8], v[1:2], v[120:121]
	v_mul_f64 v[115:116], v[3:4], v[120:121]
	v_fma_f64 v[3:4], v[3:4], v[118:119], -v[7:8]
	v_fma_f64 v[1:2], v[1:2], v[118:119], v[115:116]
	buffer_store_dword v4, off, s[0:3], 0 offset:148
	buffer_store_dword v3, off, s[0:3], 0 offset:144
	;; [unrolled: 1-line block ×4, first 2 shown]
.LBB116_47:
	s_or_b32 exec_lo, exec_lo, s4
	v_mov_b32_e32 v4, s56
	s_waitcnt_vscnt null, 0x0
	s_barrier
	buffer_gl0_inv
	s_mov_b32 s4, exec_lo
	s_clause 0x3
	buffer_load_dword v1, v4, s[0:3], 0 offen
	buffer_load_dword v2, v4, s[0:3], 0 offen offset:4
	buffer_load_dword v3, v4, s[0:3], 0 offen offset:8
	;; [unrolled: 1-line block ×3, first 2 shown]
	s_waitcnt vmcnt(0)
	ds_write_b128 v5, v[1:4]
	s_waitcnt lgkmcnt(0)
	s_barrier
	buffer_gl0_inv
	v_cmpx_gt_u32_e32 9, v0
	s_cbranch_execz .LBB116_51
; %bb.48:
	v_mov_b32_e32 v1, 0
	v_mov_b32_e32 v3, 0
	v_add_nc_u32_e32 v7, -1, v0
	v_add_nc_u32_e32 v8, 0x350, v117
	v_mov_b32_e32 v2, 0
	v_mov_b32_e32 v4, 0
	v_add_nc_u32_e32 v115, 16, v117
	s_mov_b32 s5, 0
	.p2align	6
.LBB116_49:                             ; =>This Inner Loop Header: Depth=1
	s_clause 0x3
	buffer_load_dword v122, v115, s[0:3], 0 offen offset:8
	buffer_load_dword v123, v115, s[0:3], 0 offen offset:12
	buffer_load_dword v124, v115, s[0:3], 0 offen
	buffer_load_dword v125, v115, s[0:3], 0 offen offset:4
	ds_read_b128 v[118:121], v8
	v_add_nc_u32_e32 v7, 1, v7
	v_add_nc_u32_e32 v8, 16, v8
	;; [unrolled: 1-line block ×3, first 2 shown]
	v_cmp_lt_u32_e32 vcc_lo, 7, v7
	s_or_b32 s5, vcc_lo, s5
	s_waitcnt vmcnt(2) lgkmcnt(0)
	v_mul_f64 v[126:127], v[120:121], v[122:123]
	v_mul_f64 v[122:123], v[118:119], v[122:123]
	s_waitcnt vmcnt(0)
	v_fma_f64 v[118:119], v[118:119], v[124:125], -v[126:127]
	v_fma_f64 v[120:121], v[120:121], v[124:125], v[122:123]
	v_add_f64 v[3:4], v[3:4], v[118:119]
	v_add_f64 v[1:2], v[1:2], v[120:121]
	s_andn2_b32 exec_lo, exec_lo, s5
	s_cbranch_execnz .LBB116_49
; %bb.50:
	s_or_b32 exec_lo, exec_lo, s5
	v_mov_b32_e32 v7, 0
	ds_read_b128 v[118:121], v7 offset:144
	s_waitcnt lgkmcnt(0)
	v_mul_f64 v[7:8], v[1:2], v[120:121]
	v_mul_f64 v[115:116], v[3:4], v[120:121]
	v_fma_f64 v[3:4], v[3:4], v[118:119], -v[7:8]
	v_fma_f64 v[1:2], v[1:2], v[118:119], v[115:116]
	buffer_store_dword v4, off, s[0:3], 0 offset:164
	buffer_store_dword v3, off, s[0:3], 0 offset:160
	;; [unrolled: 1-line block ×4, first 2 shown]
.LBB116_51:
	s_or_b32 exec_lo, exec_lo, s4
	v_mov_b32_e32 v4, s55
	s_waitcnt_vscnt null, 0x0
	s_barrier
	buffer_gl0_inv
	s_mov_b32 s4, exec_lo
	s_clause 0x3
	buffer_load_dword v1, v4, s[0:3], 0 offen
	buffer_load_dword v2, v4, s[0:3], 0 offen offset:4
	buffer_load_dword v3, v4, s[0:3], 0 offen offset:8
	;; [unrolled: 1-line block ×3, first 2 shown]
	s_waitcnt vmcnt(0)
	ds_write_b128 v5, v[1:4]
	s_waitcnt lgkmcnt(0)
	s_barrier
	buffer_gl0_inv
	v_cmpx_gt_u32_e32 10, v0
	s_cbranch_execz .LBB116_55
; %bb.52:
	v_mov_b32_e32 v1, 0
	v_mov_b32_e32 v3, 0
	v_add_nc_u32_e32 v7, -1, v0
	v_add_nc_u32_e32 v8, 0x350, v117
	v_mov_b32_e32 v2, 0
	v_mov_b32_e32 v4, 0
	v_add_nc_u32_e32 v115, 16, v117
	s_mov_b32 s5, 0
	.p2align	6
.LBB116_53:                             ; =>This Inner Loop Header: Depth=1
	s_clause 0x3
	buffer_load_dword v122, v115, s[0:3], 0 offen offset:8
	buffer_load_dword v123, v115, s[0:3], 0 offen offset:12
	buffer_load_dword v124, v115, s[0:3], 0 offen
	buffer_load_dword v125, v115, s[0:3], 0 offen offset:4
	ds_read_b128 v[118:121], v8
	v_add_nc_u32_e32 v7, 1, v7
	v_add_nc_u32_e32 v8, 16, v8
	;; [unrolled: 1-line block ×3, first 2 shown]
	v_cmp_lt_u32_e32 vcc_lo, 8, v7
	s_or_b32 s5, vcc_lo, s5
	s_waitcnt vmcnt(2) lgkmcnt(0)
	v_mul_f64 v[126:127], v[120:121], v[122:123]
	v_mul_f64 v[122:123], v[118:119], v[122:123]
	s_waitcnt vmcnt(0)
	v_fma_f64 v[118:119], v[118:119], v[124:125], -v[126:127]
	v_fma_f64 v[120:121], v[120:121], v[124:125], v[122:123]
	v_add_f64 v[3:4], v[3:4], v[118:119]
	v_add_f64 v[1:2], v[1:2], v[120:121]
	s_andn2_b32 exec_lo, exec_lo, s5
	s_cbranch_execnz .LBB116_53
; %bb.54:
	s_or_b32 exec_lo, exec_lo, s5
	v_mov_b32_e32 v7, 0
	ds_read_b128 v[118:121], v7 offset:160
	s_waitcnt lgkmcnt(0)
	v_mul_f64 v[7:8], v[1:2], v[120:121]
	v_mul_f64 v[115:116], v[3:4], v[120:121]
	v_fma_f64 v[3:4], v[3:4], v[118:119], -v[7:8]
	v_fma_f64 v[1:2], v[1:2], v[118:119], v[115:116]
	buffer_store_dword v4, off, s[0:3], 0 offset:180
	buffer_store_dword v3, off, s[0:3], 0 offset:176
	;; [unrolled: 1-line block ×4, first 2 shown]
.LBB116_55:
	s_or_b32 exec_lo, exec_lo, s4
	v_mov_b32_e32 v4, s54
	s_waitcnt_vscnt null, 0x0
	s_barrier
	buffer_gl0_inv
	s_mov_b32 s4, exec_lo
	s_clause 0x3
	buffer_load_dword v1, v4, s[0:3], 0 offen
	buffer_load_dword v2, v4, s[0:3], 0 offen offset:4
	buffer_load_dword v3, v4, s[0:3], 0 offen offset:8
	buffer_load_dword v4, v4, s[0:3], 0 offen offset:12
	s_waitcnt vmcnt(0)
	ds_write_b128 v5, v[1:4]
	s_waitcnt lgkmcnt(0)
	s_barrier
	buffer_gl0_inv
	v_cmpx_gt_u32_e32 11, v0
	s_cbranch_execz .LBB116_59
; %bb.56:
	v_mov_b32_e32 v1, 0
	v_mov_b32_e32 v3, 0
	v_add_nc_u32_e32 v7, -1, v0
	v_add_nc_u32_e32 v8, 0x350, v117
	v_mov_b32_e32 v2, 0
	v_mov_b32_e32 v4, 0
	v_add_nc_u32_e32 v115, 16, v117
	s_mov_b32 s5, 0
	.p2align	6
.LBB116_57:                             ; =>This Inner Loop Header: Depth=1
	s_clause 0x3
	buffer_load_dword v122, v115, s[0:3], 0 offen offset:8
	buffer_load_dword v123, v115, s[0:3], 0 offen offset:12
	buffer_load_dword v124, v115, s[0:3], 0 offen
	buffer_load_dword v125, v115, s[0:3], 0 offen offset:4
	ds_read_b128 v[118:121], v8
	v_add_nc_u32_e32 v7, 1, v7
	v_add_nc_u32_e32 v8, 16, v8
	;; [unrolled: 1-line block ×3, first 2 shown]
	v_cmp_lt_u32_e32 vcc_lo, 9, v7
	s_or_b32 s5, vcc_lo, s5
	s_waitcnt vmcnt(2) lgkmcnt(0)
	v_mul_f64 v[126:127], v[120:121], v[122:123]
	v_mul_f64 v[122:123], v[118:119], v[122:123]
	s_waitcnt vmcnt(0)
	v_fma_f64 v[118:119], v[118:119], v[124:125], -v[126:127]
	v_fma_f64 v[120:121], v[120:121], v[124:125], v[122:123]
	v_add_f64 v[3:4], v[3:4], v[118:119]
	v_add_f64 v[1:2], v[1:2], v[120:121]
	s_andn2_b32 exec_lo, exec_lo, s5
	s_cbranch_execnz .LBB116_57
; %bb.58:
	s_or_b32 exec_lo, exec_lo, s5
	v_mov_b32_e32 v7, 0
	ds_read_b128 v[118:121], v7 offset:176
	s_waitcnt lgkmcnt(0)
	v_mul_f64 v[7:8], v[1:2], v[120:121]
	v_mul_f64 v[115:116], v[3:4], v[120:121]
	v_fma_f64 v[3:4], v[3:4], v[118:119], -v[7:8]
	v_fma_f64 v[1:2], v[1:2], v[118:119], v[115:116]
	buffer_store_dword v4, off, s[0:3], 0 offset:196
	buffer_store_dword v3, off, s[0:3], 0 offset:192
	;; [unrolled: 1-line block ×4, first 2 shown]
.LBB116_59:
	s_or_b32 exec_lo, exec_lo, s4
	v_mov_b32_e32 v4, s53
	s_waitcnt_vscnt null, 0x0
	s_barrier
	buffer_gl0_inv
	s_mov_b32 s4, exec_lo
	s_clause 0x3
	buffer_load_dword v1, v4, s[0:3], 0 offen
	buffer_load_dword v2, v4, s[0:3], 0 offen offset:4
	buffer_load_dword v3, v4, s[0:3], 0 offen offset:8
	;; [unrolled: 1-line block ×3, first 2 shown]
	s_waitcnt vmcnt(0)
	ds_write_b128 v5, v[1:4]
	s_waitcnt lgkmcnt(0)
	s_barrier
	buffer_gl0_inv
	v_cmpx_gt_u32_e32 12, v0
	s_cbranch_execz .LBB116_63
; %bb.60:
	v_mov_b32_e32 v1, 0
	v_mov_b32_e32 v3, 0
	v_add_nc_u32_e32 v7, -1, v0
	v_add_nc_u32_e32 v8, 0x350, v117
	v_mov_b32_e32 v2, 0
	v_mov_b32_e32 v4, 0
	v_add_nc_u32_e32 v115, 16, v117
	s_mov_b32 s5, 0
	.p2align	6
.LBB116_61:                             ; =>This Inner Loop Header: Depth=1
	s_clause 0x3
	buffer_load_dword v122, v115, s[0:3], 0 offen offset:8
	buffer_load_dword v123, v115, s[0:3], 0 offen offset:12
	buffer_load_dword v124, v115, s[0:3], 0 offen
	buffer_load_dword v125, v115, s[0:3], 0 offen offset:4
	ds_read_b128 v[118:121], v8
	v_add_nc_u32_e32 v7, 1, v7
	v_add_nc_u32_e32 v8, 16, v8
	;; [unrolled: 1-line block ×3, first 2 shown]
	v_cmp_lt_u32_e32 vcc_lo, 10, v7
	s_or_b32 s5, vcc_lo, s5
	s_waitcnt vmcnt(2) lgkmcnt(0)
	v_mul_f64 v[126:127], v[120:121], v[122:123]
	v_mul_f64 v[122:123], v[118:119], v[122:123]
	s_waitcnt vmcnt(0)
	v_fma_f64 v[118:119], v[118:119], v[124:125], -v[126:127]
	v_fma_f64 v[120:121], v[120:121], v[124:125], v[122:123]
	v_add_f64 v[3:4], v[3:4], v[118:119]
	v_add_f64 v[1:2], v[1:2], v[120:121]
	s_andn2_b32 exec_lo, exec_lo, s5
	s_cbranch_execnz .LBB116_61
; %bb.62:
	s_or_b32 exec_lo, exec_lo, s5
	v_mov_b32_e32 v7, 0
	ds_read_b128 v[118:121], v7 offset:192
	s_waitcnt lgkmcnt(0)
	v_mul_f64 v[7:8], v[1:2], v[120:121]
	v_mul_f64 v[115:116], v[3:4], v[120:121]
	v_fma_f64 v[3:4], v[3:4], v[118:119], -v[7:8]
	v_fma_f64 v[1:2], v[1:2], v[118:119], v[115:116]
	buffer_store_dword v4, off, s[0:3], 0 offset:212
	buffer_store_dword v3, off, s[0:3], 0 offset:208
	;; [unrolled: 1-line block ×4, first 2 shown]
.LBB116_63:
	s_or_b32 exec_lo, exec_lo, s4
	v_mov_b32_e32 v4, s52
	s_waitcnt_vscnt null, 0x0
	s_barrier
	buffer_gl0_inv
	s_mov_b32 s4, exec_lo
	s_clause 0x3
	buffer_load_dword v1, v4, s[0:3], 0 offen
	buffer_load_dword v2, v4, s[0:3], 0 offen offset:4
	buffer_load_dword v3, v4, s[0:3], 0 offen offset:8
	;; [unrolled: 1-line block ×3, first 2 shown]
	s_waitcnt vmcnt(0)
	ds_write_b128 v5, v[1:4]
	s_waitcnt lgkmcnt(0)
	s_barrier
	buffer_gl0_inv
	v_cmpx_gt_u32_e32 13, v0
	s_cbranch_execz .LBB116_67
; %bb.64:
	v_mov_b32_e32 v1, 0
	v_mov_b32_e32 v3, 0
	v_add_nc_u32_e32 v7, -1, v0
	v_add_nc_u32_e32 v8, 0x350, v117
	v_mov_b32_e32 v2, 0
	v_mov_b32_e32 v4, 0
	v_add_nc_u32_e32 v115, 16, v117
	s_mov_b32 s5, 0
	.p2align	6
.LBB116_65:                             ; =>This Inner Loop Header: Depth=1
	s_clause 0x3
	buffer_load_dword v122, v115, s[0:3], 0 offen offset:8
	buffer_load_dword v123, v115, s[0:3], 0 offen offset:12
	buffer_load_dword v124, v115, s[0:3], 0 offen
	buffer_load_dword v125, v115, s[0:3], 0 offen offset:4
	ds_read_b128 v[118:121], v8
	v_add_nc_u32_e32 v7, 1, v7
	v_add_nc_u32_e32 v8, 16, v8
	;; [unrolled: 1-line block ×3, first 2 shown]
	v_cmp_lt_u32_e32 vcc_lo, 11, v7
	s_or_b32 s5, vcc_lo, s5
	s_waitcnt vmcnt(2) lgkmcnt(0)
	v_mul_f64 v[126:127], v[120:121], v[122:123]
	v_mul_f64 v[122:123], v[118:119], v[122:123]
	s_waitcnt vmcnt(0)
	v_fma_f64 v[118:119], v[118:119], v[124:125], -v[126:127]
	v_fma_f64 v[120:121], v[120:121], v[124:125], v[122:123]
	v_add_f64 v[3:4], v[3:4], v[118:119]
	v_add_f64 v[1:2], v[1:2], v[120:121]
	s_andn2_b32 exec_lo, exec_lo, s5
	s_cbranch_execnz .LBB116_65
; %bb.66:
	s_or_b32 exec_lo, exec_lo, s5
	v_mov_b32_e32 v7, 0
	ds_read_b128 v[118:121], v7 offset:208
	s_waitcnt lgkmcnt(0)
	v_mul_f64 v[7:8], v[1:2], v[120:121]
	v_mul_f64 v[115:116], v[3:4], v[120:121]
	v_fma_f64 v[3:4], v[3:4], v[118:119], -v[7:8]
	v_fma_f64 v[1:2], v[1:2], v[118:119], v[115:116]
	buffer_store_dword v4, off, s[0:3], 0 offset:228
	buffer_store_dword v3, off, s[0:3], 0 offset:224
	buffer_store_dword v2, off, s[0:3], 0 offset:236
	buffer_store_dword v1, off, s[0:3], 0 offset:232
.LBB116_67:
	s_or_b32 exec_lo, exec_lo, s4
	v_mov_b32_e32 v4, s51
	s_waitcnt_vscnt null, 0x0
	s_barrier
	buffer_gl0_inv
	s_mov_b32 s4, exec_lo
	s_clause 0x3
	buffer_load_dword v1, v4, s[0:3], 0 offen
	buffer_load_dword v2, v4, s[0:3], 0 offen offset:4
	buffer_load_dword v3, v4, s[0:3], 0 offen offset:8
	;; [unrolled: 1-line block ×3, first 2 shown]
	s_waitcnt vmcnt(0)
	ds_write_b128 v5, v[1:4]
	s_waitcnt lgkmcnt(0)
	s_barrier
	buffer_gl0_inv
	v_cmpx_gt_u32_e32 14, v0
	s_cbranch_execz .LBB116_71
; %bb.68:
	v_mov_b32_e32 v1, 0
	v_mov_b32_e32 v3, 0
	v_add_nc_u32_e32 v7, -1, v0
	v_add_nc_u32_e32 v8, 0x350, v117
	v_mov_b32_e32 v2, 0
	v_mov_b32_e32 v4, 0
	v_add_nc_u32_e32 v115, 16, v117
	s_mov_b32 s5, 0
	.p2align	6
.LBB116_69:                             ; =>This Inner Loop Header: Depth=1
	s_clause 0x3
	buffer_load_dword v122, v115, s[0:3], 0 offen offset:8
	buffer_load_dword v123, v115, s[0:3], 0 offen offset:12
	buffer_load_dword v124, v115, s[0:3], 0 offen
	buffer_load_dword v125, v115, s[0:3], 0 offen offset:4
	ds_read_b128 v[118:121], v8
	v_add_nc_u32_e32 v7, 1, v7
	v_add_nc_u32_e32 v8, 16, v8
	;; [unrolled: 1-line block ×3, first 2 shown]
	v_cmp_lt_u32_e32 vcc_lo, 12, v7
	s_or_b32 s5, vcc_lo, s5
	s_waitcnt vmcnt(2) lgkmcnt(0)
	v_mul_f64 v[126:127], v[120:121], v[122:123]
	v_mul_f64 v[122:123], v[118:119], v[122:123]
	s_waitcnt vmcnt(0)
	v_fma_f64 v[118:119], v[118:119], v[124:125], -v[126:127]
	v_fma_f64 v[120:121], v[120:121], v[124:125], v[122:123]
	v_add_f64 v[3:4], v[3:4], v[118:119]
	v_add_f64 v[1:2], v[1:2], v[120:121]
	s_andn2_b32 exec_lo, exec_lo, s5
	s_cbranch_execnz .LBB116_69
; %bb.70:
	s_or_b32 exec_lo, exec_lo, s5
	v_mov_b32_e32 v7, 0
	ds_read_b128 v[118:121], v7 offset:224
	s_waitcnt lgkmcnt(0)
	v_mul_f64 v[7:8], v[1:2], v[120:121]
	v_mul_f64 v[115:116], v[3:4], v[120:121]
	v_fma_f64 v[3:4], v[3:4], v[118:119], -v[7:8]
	v_fma_f64 v[1:2], v[1:2], v[118:119], v[115:116]
	buffer_store_dword v4, off, s[0:3], 0 offset:244
	buffer_store_dword v3, off, s[0:3], 0 offset:240
	;; [unrolled: 1-line block ×4, first 2 shown]
.LBB116_71:
	s_or_b32 exec_lo, exec_lo, s4
	v_mov_b32_e32 v4, s50
	s_waitcnt_vscnt null, 0x0
	s_barrier
	buffer_gl0_inv
	s_mov_b32 s4, exec_lo
	s_clause 0x3
	buffer_load_dword v1, v4, s[0:3], 0 offen
	buffer_load_dword v2, v4, s[0:3], 0 offen offset:4
	buffer_load_dword v3, v4, s[0:3], 0 offen offset:8
	buffer_load_dword v4, v4, s[0:3], 0 offen offset:12
	s_waitcnt vmcnt(0)
	ds_write_b128 v5, v[1:4]
	s_waitcnt lgkmcnt(0)
	s_barrier
	buffer_gl0_inv
	v_cmpx_gt_u32_e32 15, v0
	s_cbranch_execz .LBB116_75
; %bb.72:
	v_mov_b32_e32 v1, 0
	v_mov_b32_e32 v3, 0
	v_add_nc_u32_e32 v7, -1, v0
	v_add_nc_u32_e32 v8, 0x350, v117
	v_mov_b32_e32 v2, 0
	v_mov_b32_e32 v4, 0
	v_add_nc_u32_e32 v115, 16, v117
	s_mov_b32 s5, 0
	.p2align	6
.LBB116_73:                             ; =>This Inner Loop Header: Depth=1
	s_clause 0x3
	buffer_load_dword v122, v115, s[0:3], 0 offen offset:8
	buffer_load_dword v123, v115, s[0:3], 0 offen offset:12
	buffer_load_dword v124, v115, s[0:3], 0 offen
	buffer_load_dword v125, v115, s[0:3], 0 offen offset:4
	ds_read_b128 v[118:121], v8
	v_add_nc_u32_e32 v7, 1, v7
	v_add_nc_u32_e32 v8, 16, v8
	;; [unrolled: 1-line block ×3, first 2 shown]
	v_cmp_lt_u32_e32 vcc_lo, 13, v7
	s_or_b32 s5, vcc_lo, s5
	s_waitcnt vmcnt(2) lgkmcnt(0)
	v_mul_f64 v[126:127], v[120:121], v[122:123]
	v_mul_f64 v[122:123], v[118:119], v[122:123]
	s_waitcnt vmcnt(0)
	v_fma_f64 v[118:119], v[118:119], v[124:125], -v[126:127]
	v_fma_f64 v[120:121], v[120:121], v[124:125], v[122:123]
	v_add_f64 v[3:4], v[3:4], v[118:119]
	v_add_f64 v[1:2], v[1:2], v[120:121]
	s_andn2_b32 exec_lo, exec_lo, s5
	s_cbranch_execnz .LBB116_73
; %bb.74:
	s_or_b32 exec_lo, exec_lo, s5
	v_mov_b32_e32 v7, 0
	ds_read_b128 v[118:121], v7 offset:240
	s_waitcnt lgkmcnt(0)
	v_mul_f64 v[7:8], v[1:2], v[120:121]
	v_mul_f64 v[115:116], v[3:4], v[120:121]
	v_fma_f64 v[3:4], v[3:4], v[118:119], -v[7:8]
	v_fma_f64 v[1:2], v[1:2], v[118:119], v[115:116]
	buffer_store_dword v4, off, s[0:3], 0 offset:260
	buffer_store_dword v3, off, s[0:3], 0 offset:256
	;; [unrolled: 1-line block ×4, first 2 shown]
.LBB116_75:
	s_or_b32 exec_lo, exec_lo, s4
	v_mov_b32_e32 v4, s49
	s_waitcnt_vscnt null, 0x0
	s_barrier
	buffer_gl0_inv
	s_mov_b32 s4, exec_lo
	s_clause 0x3
	buffer_load_dword v1, v4, s[0:3], 0 offen
	buffer_load_dword v2, v4, s[0:3], 0 offen offset:4
	buffer_load_dword v3, v4, s[0:3], 0 offen offset:8
	;; [unrolled: 1-line block ×3, first 2 shown]
	s_waitcnt vmcnt(0)
	ds_write_b128 v5, v[1:4]
	s_waitcnt lgkmcnt(0)
	s_barrier
	buffer_gl0_inv
	v_cmpx_gt_u32_e32 16, v0
	s_cbranch_execz .LBB116_79
; %bb.76:
	v_mov_b32_e32 v1, 0
	v_mov_b32_e32 v3, 0
	v_add_nc_u32_e32 v7, -1, v0
	v_add_nc_u32_e32 v8, 0x350, v117
	v_mov_b32_e32 v2, 0
	v_mov_b32_e32 v4, 0
	v_add_nc_u32_e32 v115, 16, v117
	s_mov_b32 s5, 0
	.p2align	6
.LBB116_77:                             ; =>This Inner Loop Header: Depth=1
	s_clause 0x3
	buffer_load_dword v122, v115, s[0:3], 0 offen offset:8
	buffer_load_dword v123, v115, s[0:3], 0 offen offset:12
	buffer_load_dword v124, v115, s[0:3], 0 offen
	buffer_load_dword v125, v115, s[0:3], 0 offen offset:4
	ds_read_b128 v[118:121], v8
	v_add_nc_u32_e32 v7, 1, v7
	v_add_nc_u32_e32 v8, 16, v8
	;; [unrolled: 1-line block ×3, first 2 shown]
	v_cmp_lt_u32_e32 vcc_lo, 14, v7
	s_or_b32 s5, vcc_lo, s5
	s_waitcnt vmcnt(2) lgkmcnt(0)
	v_mul_f64 v[126:127], v[120:121], v[122:123]
	v_mul_f64 v[122:123], v[118:119], v[122:123]
	s_waitcnt vmcnt(0)
	v_fma_f64 v[118:119], v[118:119], v[124:125], -v[126:127]
	v_fma_f64 v[120:121], v[120:121], v[124:125], v[122:123]
	v_add_f64 v[3:4], v[3:4], v[118:119]
	v_add_f64 v[1:2], v[1:2], v[120:121]
	s_andn2_b32 exec_lo, exec_lo, s5
	s_cbranch_execnz .LBB116_77
; %bb.78:
	s_or_b32 exec_lo, exec_lo, s5
	v_mov_b32_e32 v7, 0
	ds_read_b128 v[118:121], v7 offset:256
	s_waitcnt lgkmcnt(0)
	v_mul_f64 v[7:8], v[1:2], v[120:121]
	v_mul_f64 v[115:116], v[3:4], v[120:121]
	v_fma_f64 v[3:4], v[3:4], v[118:119], -v[7:8]
	v_fma_f64 v[1:2], v[1:2], v[118:119], v[115:116]
	buffer_store_dword v4, off, s[0:3], 0 offset:276
	buffer_store_dword v3, off, s[0:3], 0 offset:272
	;; [unrolled: 1-line block ×4, first 2 shown]
.LBB116_79:
	s_or_b32 exec_lo, exec_lo, s4
	v_mov_b32_e32 v4, s48
	s_waitcnt_vscnt null, 0x0
	s_barrier
	buffer_gl0_inv
	s_mov_b32 s4, exec_lo
	s_clause 0x3
	buffer_load_dword v1, v4, s[0:3], 0 offen
	buffer_load_dword v2, v4, s[0:3], 0 offen offset:4
	buffer_load_dword v3, v4, s[0:3], 0 offen offset:8
	;; [unrolled: 1-line block ×3, first 2 shown]
	s_waitcnt vmcnt(0)
	ds_write_b128 v5, v[1:4]
	s_waitcnt lgkmcnt(0)
	s_barrier
	buffer_gl0_inv
	v_cmpx_gt_u32_e32 17, v0
	s_cbranch_execz .LBB116_83
; %bb.80:
	v_mov_b32_e32 v1, 0
	v_mov_b32_e32 v3, 0
	v_add_nc_u32_e32 v7, -1, v0
	v_add_nc_u32_e32 v8, 0x350, v117
	v_mov_b32_e32 v2, 0
	v_mov_b32_e32 v4, 0
	v_add_nc_u32_e32 v115, 16, v117
	s_mov_b32 s5, 0
	.p2align	6
.LBB116_81:                             ; =>This Inner Loop Header: Depth=1
	s_clause 0x3
	buffer_load_dword v122, v115, s[0:3], 0 offen offset:8
	buffer_load_dword v123, v115, s[0:3], 0 offen offset:12
	buffer_load_dword v124, v115, s[0:3], 0 offen
	buffer_load_dword v125, v115, s[0:3], 0 offen offset:4
	ds_read_b128 v[118:121], v8
	v_add_nc_u32_e32 v7, 1, v7
	v_add_nc_u32_e32 v8, 16, v8
	;; [unrolled: 1-line block ×3, first 2 shown]
	v_cmp_lt_u32_e32 vcc_lo, 15, v7
	s_or_b32 s5, vcc_lo, s5
	s_waitcnt vmcnt(2) lgkmcnt(0)
	v_mul_f64 v[126:127], v[120:121], v[122:123]
	v_mul_f64 v[122:123], v[118:119], v[122:123]
	s_waitcnt vmcnt(0)
	v_fma_f64 v[118:119], v[118:119], v[124:125], -v[126:127]
	v_fma_f64 v[120:121], v[120:121], v[124:125], v[122:123]
	v_add_f64 v[3:4], v[3:4], v[118:119]
	v_add_f64 v[1:2], v[1:2], v[120:121]
	s_andn2_b32 exec_lo, exec_lo, s5
	s_cbranch_execnz .LBB116_81
; %bb.82:
	s_or_b32 exec_lo, exec_lo, s5
	v_mov_b32_e32 v7, 0
	ds_read_b128 v[118:121], v7 offset:272
	s_waitcnt lgkmcnt(0)
	v_mul_f64 v[7:8], v[1:2], v[120:121]
	v_mul_f64 v[115:116], v[3:4], v[120:121]
	v_fma_f64 v[3:4], v[3:4], v[118:119], -v[7:8]
	v_fma_f64 v[1:2], v[1:2], v[118:119], v[115:116]
	buffer_store_dword v4, off, s[0:3], 0 offset:292
	buffer_store_dword v3, off, s[0:3], 0 offset:288
	buffer_store_dword v2, off, s[0:3], 0 offset:300
	buffer_store_dword v1, off, s[0:3], 0 offset:296
.LBB116_83:
	s_or_b32 exec_lo, exec_lo, s4
	v_mov_b32_e32 v4, s47
	s_waitcnt_vscnt null, 0x0
	s_barrier
	buffer_gl0_inv
	s_mov_b32 s4, exec_lo
	s_clause 0x3
	buffer_load_dword v1, v4, s[0:3], 0 offen
	buffer_load_dword v2, v4, s[0:3], 0 offen offset:4
	buffer_load_dword v3, v4, s[0:3], 0 offen offset:8
	buffer_load_dword v4, v4, s[0:3], 0 offen offset:12
	s_waitcnt vmcnt(0)
	ds_write_b128 v5, v[1:4]
	s_waitcnt lgkmcnt(0)
	s_barrier
	buffer_gl0_inv
	v_cmpx_gt_u32_e32 18, v0
	s_cbranch_execz .LBB116_87
; %bb.84:
	v_mov_b32_e32 v1, 0
	v_mov_b32_e32 v3, 0
	v_add_nc_u32_e32 v7, -1, v0
	v_add_nc_u32_e32 v8, 0x350, v117
	v_mov_b32_e32 v2, 0
	v_mov_b32_e32 v4, 0
	v_add_nc_u32_e32 v115, 16, v117
	s_mov_b32 s5, 0
	.p2align	6
.LBB116_85:                             ; =>This Inner Loop Header: Depth=1
	s_clause 0x3
	buffer_load_dword v122, v115, s[0:3], 0 offen offset:8
	buffer_load_dword v123, v115, s[0:3], 0 offen offset:12
	buffer_load_dword v124, v115, s[0:3], 0 offen
	buffer_load_dword v125, v115, s[0:3], 0 offen offset:4
	ds_read_b128 v[118:121], v8
	v_add_nc_u32_e32 v7, 1, v7
	v_add_nc_u32_e32 v8, 16, v8
	;; [unrolled: 1-line block ×3, first 2 shown]
	v_cmp_lt_u32_e32 vcc_lo, 16, v7
	s_or_b32 s5, vcc_lo, s5
	s_waitcnt vmcnt(2) lgkmcnt(0)
	v_mul_f64 v[126:127], v[120:121], v[122:123]
	v_mul_f64 v[122:123], v[118:119], v[122:123]
	s_waitcnt vmcnt(0)
	v_fma_f64 v[118:119], v[118:119], v[124:125], -v[126:127]
	v_fma_f64 v[120:121], v[120:121], v[124:125], v[122:123]
	v_add_f64 v[3:4], v[3:4], v[118:119]
	v_add_f64 v[1:2], v[1:2], v[120:121]
	s_andn2_b32 exec_lo, exec_lo, s5
	s_cbranch_execnz .LBB116_85
; %bb.86:
	s_or_b32 exec_lo, exec_lo, s5
	v_mov_b32_e32 v7, 0
	ds_read_b128 v[118:121], v7 offset:288
	s_waitcnt lgkmcnt(0)
	v_mul_f64 v[7:8], v[1:2], v[120:121]
	v_mul_f64 v[115:116], v[3:4], v[120:121]
	v_fma_f64 v[3:4], v[3:4], v[118:119], -v[7:8]
	v_fma_f64 v[1:2], v[1:2], v[118:119], v[115:116]
	buffer_store_dword v4, off, s[0:3], 0 offset:308
	buffer_store_dword v3, off, s[0:3], 0 offset:304
	;; [unrolled: 1-line block ×4, first 2 shown]
.LBB116_87:
	s_or_b32 exec_lo, exec_lo, s4
	v_mov_b32_e32 v4, s46
	s_waitcnt_vscnt null, 0x0
	s_barrier
	buffer_gl0_inv
	s_mov_b32 s4, exec_lo
	s_clause 0x3
	buffer_load_dword v1, v4, s[0:3], 0 offen
	buffer_load_dword v2, v4, s[0:3], 0 offen offset:4
	buffer_load_dword v3, v4, s[0:3], 0 offen offset:8
	;; [unrolled: 1-line block ×3, first 2 shown]
	s_waitcnt vmcnt(0)
	ds_write_b128 v5, v[1:4]
	s_waitcnt lgkmcnt(0)
	s_barrier
	buffer_gl0_inv
	v_cmpx_gt_u32_e32 19, v0
	s_cbranch_execz .LBB116_91
; %bb.88:
	v_mov_b32_e32 v1, 0
	v_mov_b32_e32 v3, 0
	v_add_nc_u32_e32 v7, -1, v0
	v_add_nc_u32_e32 v8, 0x350, v117
	v_mov_b32_e32 v2, 0
	v_mov_b32_e32 v4, 0
	v_add_nc_u32_e32 v115, 16, v117
	s_mov_b32 s5, 0
	.p2align	6
.LBB116_89:                             ; =>This Inner Loop Header: Depth=1
	s_clause 0x3
	buffer_load_dword v122, v115, s[0:3], 0 offen offset:8
	buffer_load_dword v123, v115, s[0:3], 0 offen offset:12
	buffer_load_dword v124, v115, s[0:3], 0 offen
	buffer_load_dword v125, v115, s[0:3], 0 offen offset:4
	ds_read_b128 v[118:121], v8
	v_add_nc_u32_e32 v7, 1, v7
	v_add_nc_u32_e32 v8, 16, v8
	;; [unrolled: 1-line block ×3, first 2 shown]
	v_cmp_lt_u32_e32 vcc_lo, 17, v7
	s_or_b32 s5, vcc_lo, s5
	s_waitcnt vmcnt(2) lgkmcnt(0)
	v_mul_f64 v[126:127], v[120:121], v[122:123]
	v_mul_f64 v[122:123], v[118:119], v[122:123]
	s_waitcnt vmcnt(0)
	v_fma_f64 v[118:119], v[118:119], v[124:125], -v[126:127]
	v_fma_f64 v[120:121], v[120:121], v[124:125], v[122:123]
	v_add_f64 v[3:4], v[3:4], v[118:119]
	v_add_f64 v[1:2], v[1:2], v[120:121]
	s_andn2_b32 exec_lo, exec_lo, s5
	s_cbranch_execnz .LBB116_89
; %bb.90:
	s_or_b32 exec_lo, exec_lo, s5
	v_mov_b32_e32 v7, 0
	ds_read_b128 v[118:121], v7 offset:304
	s_waitcnt lgkmcnt(0)
	v_mul_f64 v[7:8], v[1:2], v[120:121]
	v_mul_f64 v[115:116], v[3:4], v[120:121]
	v_fma_f64 v[3:4], v[3:4], v[118:119], -v[7:8]
	v_fma_f64 v[1:2], v[1:2], v[118:119], v[115:116]
	buffer_store_dword v4, off, s[0:3], 0 offset:324
	buffer_store_dword v3, off, s[0:3], 0 offset:320
	;; [unrolled: 1-line block ×4, first 2 shown]
.LBB116_91:
	s_or_b32 exec_lo, exec_lo, s4
	v_mov_b32_e32 v4, s45
	s_waitcnt_vscnt null, 0x0
	s_barrier
	buffer_gl0_inv
	s_mov_b32 s4, exec_lo
	s_clause 0x3
	buffer_load_dword v1, v4, s[0:3], 0 offen
	buffer_load_dword v2, v4, s[0:3], 0 offen offset:4
	buffer_load_dword v3, v4, s[0:3], 0 offen offset:8
	;; [unrolled: 1-line block ×3, first 2 shown]
	s_waitcnt vmcnt(0)
	ds_write_b128 v5, v[1:4]
	s_waitcnt lgkmcnt(0)
	s_barrier
	buffer_gl0_inv
	v_cmpx_gt_u32_e32 20, v0
	s_cbranch_execz .LBB116_95
; %bb.92:
	v_mov_b32_e32 v1, 0
	v_mov_b32_e32 v3, 0
	v_add_nc_u32_e32 v7, -1, v0
	v_add_nc_u32_e32 v8, 0x350, v117
	v_mov_b32_e32 v2, 0
	v_mov_b32_e32 v4, 0
	v_add_nc_u32_e32 v115, 16, v117
	s_mov_b32 s5, 0
	.p2align	6
.LBB116_93:                             ; =>This Inner Loop Header: Depth=1
	s_clause 0x3
	buffer_load_dword v122, v115, s[0:3], 0 offen offset:8
	buffer_load_dword v123, v115, s[0:3], 0 offen offset:12
	buffer_load_dword v124, v115, s[0:3], 0 offen
	buffer_load_dword v125, v115, s[0:3], 0 offen offset:4
	ds_read_b128 v[118:121], v8
	v_add_nc_u32_e32 v7, 1, v7
	v_add_nc_u32_e32 v8, 16, v8
	;; [unrolled: 1-line block ×3, first 2 shown]
	v_cmp_lt_u32_e32 vcc_lo, 18, v7
	s_or_b32 s5, vcc_lo, s5
	s_waitcnt vmcnt(2) lgkmcnt(0)
	v_mul_f64 v[126:127], v[120:121], v[122:123]
	v_mul_f64 v[122:123], v[118:119], v[122:123]
	s_waitcnt vmcnt(0)
	v_fma_f64 v[118:119], v[118:119], v[124:125], -v[126:127]
	v_fma_f64 v[120:121], v[120:121], v[124:125], v[122:123]
	v_add_f64 v[3:4], v[3:4], v[118:119]
	v_add_f64 v[1:2], v[1:2], v[120:121]
	s_andn2_b32 exec_lo, exec_lo, s5
	s_cbranch_execnz .LBB116_93
; %bb.94:
	s_or_b32 exec_lo, exec_lo, s5
	v_mov_b32_e32 v7, 0
	ds_read_b128 v[118:121], v7 offset:320
	s_waitcnt lgkmcnt(0)
	v_mul_f64 v[7:8], v[1:2], v[120:121]
	v_mul_f64 v[115:116], v[3:4], v[120:121]
	v_fma_f64 v[3:4], v[3:4], v[118:119], -v[7:8]
	v_fma_f64 v[1:2], v[1:2], v[118:119], v[115:116]
	buffer_store_dword v4, off, s[0:3], 0 offset:340
	buffer_store_dword v3, off, s[0:3], 0 offset:336
	;; [unrolled: 1-line block ×4, first 2 shown]
.LBB116_95:
	s_or_b32 exec_lo, exec_lo, s4
	v_mov_b32_e32 v4, s44
	s_waitcnt_vscnt null, 0x0
	s_barrier
	buffer_gl0_inv
	s_mov_b32 s4, exec_lo
	s_clause 0x3
	buffer_load_dword v1, v4, s[0:3], 0 offen
	buffer_load_dword v2, v4, s[0:3], 0 offen offset:4
	buffer_load_dword v3, v4, s[0:3], 0 offen offset:8
	;; [unrolled: 1-line block ×3, first 2 shown]
	s_waitcnt vmcnt(0)
	ds_write_b128 v5, v[1:4]
	s_waitcnt lgkmcnt(0)
	s_barrier
	buffer_gl0_inv
	v_cmpx_gt_u32_e32 21, v0
	s_cbranch_execz .LBB116_99
; %bb.96:
	v_mov_b32_e32 v1, 0
	v_mov_b32_e32 v3, 0
	v_add_nc_u32_e32 v7, -1, v0
	v_add_nc_u32_e32 v8, 0x350, v117
	v_mov_b32_e32 v2, 0
	v_mov_b32_e32 v4, 0
	v_add_nc_u32_e32 v115, 16, v117
	s_mov_b32 s5, 0
	.p2align	6
.LBB116_97:                             ; =>This Inner Loop Header: Depth=1
	s_clause 0x3
	buffer_load_dword v122, v115, s[0:3], 0 offen offset:8
	buffer_load_dword v123, v115, s[0:3], 0 offen offset:12
	buffer_load_dword v124, v115, s[0:3], 0 offen
	buffer_load_dword v125, v115, s[0:3], 0 offen offset:4
	ds_read_b128 v[118:121], v8
	v_add_nc_u32_e32 v7, 1, v7
	v_add_nc_u32_e32 v8, 16, v8
	;; [unrolled: 1-line block ×3, first 2 shown]
	v_cmp_lt_u32_e32 vcc_lo, 19, v7
	s_or_b32 s5, vcc_lo, s5
	s_waitcnt vmcnt(2) lgkmcnt(0)
	v_mul_f64 v[126:127], v[120:121], v[122:123]
	v_mul_f64 v[122:123], v[118:119], v[122:123]
	s_waitcnt vmcnt(0)
	v_fma_f64 v[118:119], v[118:119], v[124:125], -v[126:127]
	v_fma_f64 v[120:121], v[120:121], v[124:125], v[122:123]
	v_add_f64 v[3:4], v[3:4], v[118:119]
	v_add_f64 v[1:2], v[1:2], v[120:121]
	s_andn2_b32 exec_lo, exec_lo, s5
	s_cbranch_execnz .LBB116_97
; %bb.98:
	s_or_b32 exec_lo, exec_lo, s5
	v_mov_b32_e32 v7, 0
	ds_read_b128 v[118:121], v7 offset:336
	s_waitcnt lgkmcnt(0)
	v_mul_f64 v[7:8], v[1:2], v[120:121]
	v_mul_f64 v[115:116], v[3:4], v[120:121]
	v_fma_f64 v[3:4], v[3:4], v[118:119], -v[7:8]
	v_fma_f64 v[1:2], v[1:2], v[118:119], v[115:116]
	buffer_store_dword v4, off, s[0:3], 0 offset:356
	buffer_store_dword v3, off, s[0:3], 0 offset:352
	;; [unrolled: 1-line block ×4, first 2 shown]
.LBB116_99:
	s_or_b32 exec_lo, exec_lo, s4
	v_mov_b32_e32 v4, s43
	s_waitcnt_vscnt null, 0x0
	s_barrier
	buffer_gl0_inv
	s_mov_b32 s4, exec_lo
	s_clause 0x3
	buffer_load_dword v1, v4, s[0:3], 0 offen
	buffer_load_dword v2, v4, s[0:3], 0 offen offset:4
	buffer_load_dword v3, v4, s[0:3], 0 offen offset:8
	;; [unrolled: 1-line block ×3, first 2 shown]
	s_waitcnt vmcnt(0)
	ds_write_b128 v5, v[1:4]
	s_waitcnt lgkmcnt(0)
	s_barrier
	buffer_gl0_inv
	v_cmpx_gt_u32_e32 22, v0
	s_cbranch_execz .LBB116_103
; %bb.100:
	v_mov_b32_e32 v1, 0
	v_mov_b32_e32 v3, 0
	v_add_nc_u32_e32 v7, -1, v0
	v_add_nc_u32_e32 v8, 0x350, v117
	v_mov_b32_e32 v2, 0
	v_mov_b32_e32 v4, 0
	v_add_nc_u32_e32 v115, 16, v117
	s_mov_b32 s5, 0
	.p2align	6
.LBB116_101:                            ; =>This Inner Loop Header: Depth=1
	s_clause 0x3
	buffer_load_dword v122, v115, s[0:3], 0 offen offset:8
	buffer_load_dword v123, v115, s[0:3], 0 offen offset:12
	buffer_load_dword v124, v115, s[0:3], 0 offen
	buffer_load_dword v125, v115, s[0:3], 0 offen offset:4
	ds_read_b128 v[118:121], v8
	v_add_nc_u32_e32 v7, 1, v7
	v_add_nc_u32_e32 v8, 16, v8
	;; [unrolled: 1-line block ×3, first 2 shown]
	v_cmp_lt_u32_e32 vcc_lo, 20, v7
	s_or_b32 s5, vcc_lo, s5
	s_waitcnt vmcnt(2) lgkmcnt(0)
	v_mul_f64 v[126:127], v[120:121], v[122:123]
	v_mul_f64 v[122:123], v[118:119], v[122:123]
	s_waitcnt vmcnt(0)
	v_fma_f64 v[118:119], v[118:119], v[124:125], -v[126:127]
	v_fma_f64 v[120:121], v[120:121], v[124:125], v[122:123]
	v_add_f64 v[3:4], v[3:4], v[118:119]
	v_add_f64 v[1:2], v[1:2], v[120:121]
	s_andn2_b32 exec_lo, exec_lo, s5
	s_cbranch_execnz .LBB116_101
; %bb.102:
	s_or_b32 exec_lo, exec_lo, s5
	v_mov_b32_e32 v7, 0
	ds_read_b128 v[118:121], v7 offset:352
	s_waitcnt lgkmcnt(0)
	v_mul_f64 v[7:8], v[1:2], v[120:121]
	v_mul_f64 v[115:116], v[3:4], v[120:121]
	v_fma_f64 v[3:4], v[3:4], v[118:119], -v[7:8]
	v_fma_f64 v[1:2], v[1:2], v[118:119], v[115:116]
	buffer_store_dword v4, off, s[0:3], 0 offset:372
	buffer_store_dword v3, off, s[0:3], 0 offset:368
	;; [unrolled: 1-line block ×4, first 2 shown]
.LBB116_103:
	s_or_b32 exec_lo, exec_lo, s4
	v_mov_b32_e32 v4, s42
	s_waitcnt_vscnt null, 0x0
	s_barrier
	buffer_gl0_inv
	s_mov_b32 s4, exec_lo
	s_clause 0x3
	buffer_load_dword v1, v4, s[0:3], 0 offen
	buffer_load_dword v2, v4, s[0:3], 0 offen offset:4
	buffer_load_dword v3, v4, s[0:3], 0 offen offset:8
	;; [unrolled: 1-line block ×3, first 2 shown]
	s_waitcnt vmcnt(0)
	ds_write_b128 v5, v[1:4]
	s_waitcnt lgkmcnt(0)
	s_barrier
	buffer_gl0_inv
	v_cmpx_gt_u32_e32 23, v0
	s_cbranch_execz .LBB116_107
; %bb.104:
	v_mov_b32_e32 v1, 0
	v_mov_b32_e32 v3, 0
	v_add_nc_u32_e32 v7, -1, v0
	v_add_nc_u32_e32 v8, 0x350, v117
	v_mov_b32_e32 v2, 0
	v_mov_b32_e32 v4, 0
	v_add_nc_u32_e32 v115, 16, v117
	s_mov_b32 s5, 0
	.p2align	6
.LBB116_105:                            ; =>This Inner Loop Header: Depth=1
	s_clause 0x3
	buffer_load_dword v122, v115, s[0:3], 0 offen offset:8
	buffer_load_dword v123, v115, s[0:3], 0 offen offset:12
	buffer_load_dword v124, v115, s[0:3], 0 offen
	buffer_load_dword v125, v115, s[0:3], 0 offen offset:4
	ds_read_b128 v[118:121], v8
	v_add_nc_u32_e32 v7, 1, v7
	v_add_nc_u32_e32 v8, 16, v8
	;; [unrolled: 1-line block ×3, first 2 shown]
	v_cmp_lt_u32_e32 vcc_lo, 21, v7
	s_or_b32 s5, vcc_lo, s5
	s_waitcnt vmcnt(2) lgkmcnt(0)
	v_mul_f64 v[126:127], v[120:121], v[122:123]
	v_mul_f64 v[122:123], v[118:119], v[122:123]
	s_waitcnt vmcnt(0)
	v_fma_f64 v[118:119], v[118:119], v[124:125], -v[126:127]
	v_fma_f64 v[120:121], v[120:121], v[124:125], v[122:123]
	v_add_f64 v[3:4], v[3:4], v[118:119]
	v_add_f64 v[1:2], v[1:2], v[120:121]
	s_andn2_b32 exec_lo, exec_lo, s5
	s_cbranch_execnz .LBB116_105
; %bb.106:
	s_or_b32 exec_lo, exec_lo, s5
	v_mov_b32_e32 v7, 0
	ds_read_b128 v[118:121], v7 offset:368
	s_waitcnt lgkmcnt(0)
	v_mul_f64 v[7:8], v[1:2], v[120:121]
	v_mul_f64 v[115:116], v[3:4], v[120:121]
	v_fma_f64 v[3:4], v[3:4], v[118:119], -v[7:8]
	v_fma_f64 v[1:2], v[1:2], v[118:119], v[115:116]
	buffer_store_dword v4, off, s[0:3], 0 offset:388
	buffer_store_dword v3, off, s[0:3], 0 offset:384
	;; [unrolled: 1-line block ×4, first 2 shown]
.LBB116_107:
	s_or_b32 exec_lo, exec_lo, s4
	v_mov_b32_e32 v4, s41
	s_waitcnt_vscnt null, 0x0
	s_barrier
	buffer_gl0_inv
	s_mov_b32 s4, exec_lo
	s_clause 0x3
	buffer_load_dword v1, v4, s[0:3], 0 offen
	buffer_load_dword v2, v4, s[0:3], 0 offen offset:4
	buffer_load_dword v3, v4, s[0:3], 0 offen offset:8
	;; [unrolled: 1-line block ×3, first 2 shown]
	s_waitcnt vmcnt(0)
	ds_write_b128 v5, v[1:4]
	s_waitcnt lgkmcnt(0)
	s_barrier
	buffer_gl0_inv
	v_cmpx_gt_u32_e32 24, v0
	s_cbranch_execz .LBB116_111
; %bb.108:
	v_mov_b32_e32 v1, 0
	v_mov_b32_e32 v3, 0
	v_add_nc_u32_e32 v7, -1, v0
	v_add_nc_u32_e32 v8, 0x350, v117
	v_mov_b32_e32 v2, 0
	v_mov_b32_e32 v4, 0
	v_add_nc_u32_e32 v115, 16, v117
	s_mov_b32 s5, 0
	.p2align	6
.LBB116_109:                            ; =>This Inner Loop Header: Depth=1
	s_clause 0x3
	buffer_load_dword v122, v115, s[0:3], 0 offen offset:8
	buffer_load_dword v123, v115, s[0:3], 0 offen offset:12
	buffer_load_dword v124, v115, s[0:3], 0 offen
	buffer_load_dword v125, v115, s[0:3], 0 offen offset:4
	ds_read_b128 v[118:121], v8
	v_add_nc_u32_e32 v7, 1, v7
	v_add_nc_u32_e32 v8, 16, v8
	;; [unrolled: 1-line block ×3, first 2 shown]
	v_cmp_lt_u32_e32 vcc_lo, 22, v7
	s_or_b32 s5, vcc_lo, s5
	s_waitcnt vmcnt(2) lgkmcnt(0)
	v_mul_f64 v[126:127], v[120:121], v[122:123]
	v_mul_f64 v[122:123], v[118:119], v[122:123]
	s_waitcnt vmcnt(0)
	v_fma_f64 v[118:119], v[118:119], v[124:125], -v[126:127]
	v_fma_f64 v[120:121], v[120:121], v[124:125], v[122:123]
	v_add_f64 v[3:4], v[3:4], v[118:119]
	v_add_f64 v[1:2], v[1:2], v[120:121]
	s_andn2_b32 exec_lo, exec_lo, s5
	s_cbranch_execnz .LBB116_109
; %bb.110:
	s_or_b32 exec_lo, exec_lo, s5
	v_mov_b32_e32 v7, 0
	ds_read_b128 v[118:121], v7 offset:384
	s_waitcnt lgkmcnt(0)
	v_mul_f64 v[7:8], v[1:2], v[120:121]
	v_mul_f64 v[115:116], v[3:4], v[120:121]
	v_fma_f64 v[3:4], v[3:4], v[118:119], -v[7:8]
	v_fma_f64 v[1:2], v[1:2], v[118:119], v[115:116]
	buffer_store_dword v4, off, s[0:3], 0 offset:404
	buffer_store_dword v3, off, s[0:3], 0 offset:400
	buffer_store_dword v2, off, s[0:3], 0 offset:412
	buffer_store_dword v1, off, s[0:3], 0 offset:408
.LBB116_111:
	s_or_b32 exec_lo, exec_lo, s4
	v_mov_b32_e32 v4, s40
	s_waitcnt_vscnt null, 0x0
	s_barrier
	buffer_gl0_inv
	s_mov_b32 s4, exec_lo
	s_clause 0x3
	buffer_load_dword v1, v4, s[0:3], 0 offen
	buffer_load_dword v2, v4, s[0:3], 0 offen offset:4
	buffer_load_dword v3, v4, s[0:3], 0 offen offset:8
	;; [unrolled: 1-line block ×3, first 2 shown]
	s_waitcnt vmcnt(0)
	ds_write_b128 v5, v[1:4]
	s_waitcnt lgkmcnt(0)
	s_barrier
	buffer_gl0_inv
	v_cmpx_gt_u32_e32 25, v0
	s_cbranch_execz .LBB116_115
; %bb.112:
	v_mov_b32_e32 v1, 0
	v_mov_b32_e32 v3, 0
	v_add_nc_u32_e32 v7, -1, v0
	v_add_nc_u32_e32 v8, 0x350, v117
	v_mov_b32_e32 v2, 0
	v_mov_b32_e32 v4, 0
	v_add_nc_u32_e32 v115, 16, v117
	s_mov_b32 s5, 0
	.p2align	6
.LBB116_113:                            ; =>This Inner Loop Header: Depth=1
	s_clause 0x3
	buffer_load_dword v122, v115, s[0:3], 0 offen offset:8
	buffer_load_dword v123, v115, s[0:3], 0 offen offset:12
	buffer_load_dword v124, v115, s[0:3], 0 offen
	buffer_load_dword v125, v115, s[0:3], 0 offen offset:4
	ds_read_b128 v[118:121], v8
	v_add_nc_u32_e32 v7, 1, v7
	v_add_nc_u32_e32 v8, 16, v8
	;; [unrolled: 1-line block ×3, first 2 shown]
	v_cmp_lt_u32_e32 vcc_lo, 23, v7
	s_or_b32 s5, vcc_lo, s5
	s_waitcnt vmcnt(2) lgkmcnt(0)
	v_mul_f64 v[126:127], v[120:121], v[122:123]
	v_mul_f64 v[122:123], v[118:119], v[122:123]
	s_waitcnt vmcnt(0)
	v_fma_f64 v[118:119], v[118:119], v[124:125], -v[126:127]
	v_fma_f64 v[120:121], v[120:121], v[124:125], v[122:123]
	v_add_f64 v[3:4], v[3:4], v[118:119]
	v_add_f64 v[1:2], v[1:2], v[120:121]
	s_andn2_b32 exec_lo, exec_lo, s5
	s_cbranch_execnz .LBB116_113
; %bb.114:
	s_or_b32 exec_lo, exec_lo, s5
	v_mov_b32_e32 v7, 0
	ds_read_b128 v[118:121], v7 offset:400
	s_waitcnt lgkmcnt(0)
	v_mul_f64 v[7:8], v[1:2], v[120:121]
	v_mul_f64 v[115:116], v[3:4], v[120:121]
	v_fma_f64 v[3:4], v[3:4], v[118:119], -v[7:8]
	v_fma_f64 v[1:2], v[1:2], v[118:119], v[115:116]
	buffer_store_dword v4, off, s[0:3], 0 offset:420
	buffer_store_dword v3, off, s[0:3], 0 offset:416
	;; [unrolled: 1-line block ×4, first 2 shown]
.LBB116_115:
	s_or_b32 exec_lo, exec_lo, s4
	v_mov_b32_e32 v4, s39
	s_waitcnt_vscnt null, 0x0
	s_barrier
	buffer_gl0_inv
	s_mov_b32 s4, exec_lo
	s_clause 0x3
	buffer_load_dword v1, v4, s[0:3], 0 offen
	buffer_load_dword v2, v4, s[0:3], 0 offen offset:4
	buffer_load_dword v3, v4, s[0:3], 0 offen offset:8
	;; [unrolled: 1-line block ×3, first 2 shown]
	s_waitcnt vmcnt(0)
	ds_write_b128 v5, v[1:4]
	s_waitcnt lgkmcnt(0)
	s_barrier
	buffer_gl0_inv
	v_cmpx_gt_u32_e32 26, v0
	s_cbranch_execz .LBB116_119
; %bb.116:
	v_mov_b32_e32 v1, 0
	v_mov_b32_e32 v3, 0
	v_add_nc_u32_e32 v7, -1, v0
	v_add_nc_u32_e32 v8, 0x350, v117
	v_mov_b32_e32 v2, 0
	v_mov_b32_e32 v4, 0
	v_add_nc_u32_e32 v115, 16, v117
	s_mov_b32 s5, 0
	.p2align	6
.LBB116_117:                            ; =>This Inner Loop Header: Depth=1
	s_clause 0x3
	buffer_load_dword v122, v115, s[0:3], 0 offen offset:8
	buffer_load_dword v123, v115, s[0:3], 0 offen offset:12
	buffer_load_dword v124, v115, s[0:3], 0 offen
	buffer_load_dword v125, v115, s[0:3], 0 offen offset:4
	ds_read_b128 v[118:121], v8
	v_add_nc_u32_e32 v7, 1, v7
	v_add_nc_u32_e32 v8, 16, v8
	;; [unrolled: 1-line block ×3, first 2 shown]
	v_cmp_lt_u32_e32 vcc_lo, 24, v7
	s_or_b32 s5, vcc_lo, s5
	s_waitcnt vmcnt(2) lgkmcnt(0)
	v_mul_f64 v[126:127], v[120:121], v[122:123]
	v_mul_f64 v[122:123], v[118:119], v[122:123]
	s_waitcnt vmcnt(0)
	v_fma_f64 v[118:119], v[118:119], v[124:125], -v[126:127]
	v_fma_f64 v[120:121], v[120:121], v[124:125], v[122:123]
	v_add_f64 v[3:4], v[3:4], v[118:119]
	v_add_f64 v[1:2], v[1:2], v[120:121]
	s_andn2_b32 exec_lo, exec_lo, s5
	s_cbranch_execnz .LBB116_117
; %bb.118:
	s_or_b32 exec_lo, exec_lo, s5
	v_mov_b32_e32 v7, 0
	ds_read_b128 v[118:121], v7 offset:416
	s_waitcnt lgkmcnt(0)
	v_mul_f64 v[7:8], v[1:2], v[120:121]
	v_mul_f64 v[115:116], v[3:4], v[120:121]
	v_fma_f64 v[3:4], v[3:4], v[118:119], -v[7:8]
	v_fma_f64 v[1:2], v[1:2], v[118:119], v[115:116]
	buffer_store_dword v4, off, s[0:3], 0 offset:436
	buffer_store_dword v3, off, s[0:3], 0 offset:432
	buffer_store_dword v2, off, s[0:3], 0 offset:444
	buffer_store_dword v1, off, s[0:3], 0 offset:440
.LBB116_119:
	s_or_b32 exec_lo, exec_lo, s4
	v_mov_b32_e32 v4, s38
	s_waitcnt_vscnt null, 0x0
	s_barrier
	buffer_gl0_inv
	s_mov_b32 s4, exec_lo
	s_clause 0x3
	buffer_load_dword v1, v4, s[0:3], 0 offen
	buffer_load_dword v2, v4, s[0:3], 0 offen offset:4
	buffer_load_dword v3, v4, s[0:3], 0 offen offset:8
	;; [unrolled: 1-line block ×3, first 2 shown]
	s_waitcnt vmcnt(0)
	ds_write_b128 v5, v[1:4]
	s_waitcnt lgkmcnt(0)
	s_barrier
	buffer_gl0_inv
	v_cmpx_gt_u32_e32 27, v0
	s_cbranch_execz .LBB116_123
; %bb.120:
	v_mov_b32_e32 v1, 0
	v_mov_b32_e32 v3, 0
	v_add_nc_u32_e32 v7, -1, v0
	v_add_nc_u32_e32 v8, 0x350, v117
	v_mov_b32_e32 v2, 0
	v_mov_b32_e32 v4, 0
	v_add_nc_u32_e32 v115, 16, v117
	s_mov_b32 s5, 0
	.p2align	6
.LBB116_121:                            ; =>This Inner Loop Header: Depth=1
	s_clause 0x3
	buffer_load_dword v122, v115, s[0:3], 0 offen offset:8
	buffer_load_dword v123, v115, s[0:3], 0 offen offset:12
	buffer_load_dword v124, v115, s[0:3], 0 offen
	buffer_load_dword v125, v115, s[0:3], 0 offen offset:4
	ds_read_b128 v[118:121], v8
	v_add_nc_u32_e32 v7, 1, v7
	v_add_nc_u32_e32 v8, 16, v8
	;; [unrolled: 1-line block ×3, first 2 shown]
	v_cmp_lt_u32_e32 vcc_lo, 25, v7
	s_or_b32 s5, vcc_lo, s5
	s_waitcnt vmcnt(2) lgkmcnt(0)
	v_mul_f64 v[126:127], v[120:121], v[122:123]
	v_mul_f64 v[122:123], v[118:119], v[122:123]
	s_waitcnt vmcnt(0)
	v_fma_f64 v[118:119], v[118:119], v[124:125], -v[126:127]
	v_fma_f64 v[120:121], v[120:121], v[124:125], v[122:123]
	v_add_f64 v[3:4], v[3:4], v[118:119]
	v_add_f64 v[1:2], v[1:2], v[120:121]
	s_andn2_b32 exec_lo, exec_lo, s5
	s_cbranch_execnz .LBB116_121
; %bb.122:
	s_or_b32 exec_lo, exec_lo, s5
	v_mov_b32_e32 v7, 0
	ds_read_b128 v[118:121], v7 offset:432
	s_waitcnt lgkmcnt(0)
	v_mul_f64 v[7:8], v[1:2], v[120:121]
	v_mul_f64 v[115:116], v[3:4], v[120:121]
	v_fma_f64 v[3:4], v[3:4], v[118:119], -v[7:8]
	v_fma_f64 v[1:2], v[1:2], v[118:119], v[115:116]
	buffer_store_dword v4, off, s[0:3], 0 offset:452
	buffer_store_dword v3, off, s[0:3], 0 offset:448
	;; [unrolled: 1-line block ×4, first 2 shown]
.LBB116_123:
	s_or_b32 exec_lo, exec_lo, s4
	v_mov_b32_e32 v4, s37
	s_waitcnt_vscnt null, 0x0
	s_barrier
	buffer_gl0_inv
	s_mov_b32 s4, exec_lo
	s_clause 0x3
	buffer_load_dword v1, v4, s[0:3], 0 offen
	buffer_load_dword v2, v4, s[0:3], 0 offen offset:4
	buffer_load_dword v3, v4, s[0:3], 0 offen offset:8
	;; [unrolled: 1-line block ×3, first 2 shown]
	s_waitcnt vmcnt(0)
	ds_write_b128 v5, v[1:4]
	s_waitcnt lgkmcnt(0)
	s_barrier
	buffer_gl0_inv
	v_cmpx_gt_u32_e32 28, v0
	s_cbranch_execz .LBB116_127
; %bb.124:
	v_mov_b32_e32 v1, 0
	v_mov_b32_e32 v3, 0
	v_add_nc_u32_e32 v7, -1, v0
	v_add_nc_u32_e32 v8, 0x350, v117
	v_mov_b32_e32 v2, 0
	v_mov_b32_e32 v4, 0
	v_add_nc_u32_e32 v115, 16, v117
	s_mov_b32 s5, 0
	.p2align	6
.LBB116_125:                            ; =>This Inner Loop Header: Depth=1
	s_clause 0x3
	buffer_load_dword v122, v115, s[0:3], 0 offen offset:8
	buffer_load_dword v123, v115, s[0:3], 0 offen offset:12
	buffer_load_dword v124, v115, s[0:3], 0 offen
	buffer_load_dword v125, v115, s[0:3], 0 offen offset:4
	ds_read_b128 v[118:121], v8
	v_add_nc_u32_e32 v7, 1, v7
	v_add_nc_u32_e32 v8, 16, v8
	;; [unrolled: 1-line block ×3, first 2 shown]
	v_cmp_lt_u32_e32 vcc_lo, 26, v7
	s_or_b32 s5, vcc_lo, s5
	s_waitcnt vmcnt(2) lgkmcnt(0)
	v_mul_f64 v[126:127], v[120:121], v[122:123]
	v_mul_f64 v[122:123], v[118:119], v[122:123]
	s_waitcnt vmcnt(0)
	v_fma_f64 v[118:119], v[118:119], v[124:125], -v[126:127]
	v_fma_f64 v[120:121], v[120:121], v[124:125], v[122:123]
	v_add_f64 v[3:4], v[3:4], v[118:119]
	v_add_f64 v[1:2], v[1:2], v[120:121]
	s_andn2_b32 exec_lo, exec_lo, s5
	s_cbranch_execnz .LBB116_125
; %bb.126:
	s_or_b32 exec_lo, exec_lo, s5
	v_mov_b32_e32 v7, 0
	ds_read_b128 v[118:121], v7 offset:448
	s_waitcnt lgkmcnt(0)
	v_mul_f64 v[7:8], v[1:2], v[120:121]
	v_mul_f64 v[115:116], v[3:4], v[120:121]
	v_fma_f64 v[3:4], v[3:4], v[118:119], -v[7:8]
	v_fma_f64 v[1:2], v[1:2], v[118:119], v[115:116]
	buffer_store_dword v4, off, s[0:3], 0 offset:468
	buffer_store_dword v3, off, s[0:3], 0 offset:464
	;; [unrolled: 1-line block ×4, first 2 shown]
.LBB116_127:
	s_or_b32 exec_lo, exec_lo, s4
	v_mov_b32_e32 v4, s36
	s_waitcnt_vscnt null, 0x0
	s_barrier
	buffer_gl0_inv
	s_mov_b32 s4, exec_lo
	s_clause 0x3
	buffer_load_dword v1, v4, s[0:3], 0 offen
	buffer_load_dword v2, v4, s[0:3], 0 offen offset:4
	buffer_load_dword v3, v4, s[0:3], 0 offen offset:8
	;; [unrolled: 1-line block ×3, first 2 shown]
	s_waitcnt vmcnt(0)
	ds_write_b128 v5, v[1:4]
	s_waitcnt lgkmcnt(0)
	s_barrier
	buffer_gl0_inv
	v_cmpx_gt_u32_e32 29, v0
	s_cbranch_execz .LBB116_131
; %bb.128:
	v_mov_b32_e32 v1, 0
	v_mov_b32_e32 v3, 0
	v_add_nc_u32_e32 v7, -1, v0
	v_add_nc_u32_e32 v8, 0x350, v117
	v_mov_b32_e32 v2, 0
	v_mov_b32_e32 v4, 0
	v_add_nc_u32_e32 v115, 16, v117
	s_mov_b32 s5, 0
	.p2align	6
.LBB116_129:                            ; =>This Inner Loop Header: Depth=1
	s_clause 0x3
	buffer_load_dword v122, v115, s[0:3], 0 offen offset:8
	buffer_load_dword v123, v115, s[0:3], 0 offen offset:12
	buffer_load_dword v124, v115, s[0:3], 0 offen
	buffer_load_dword v125, v115, s[0:3], 0 offen offset:4
	ds_read_b128 v[118:121], v8
	v_add_nc_u32_e32 v7, 1, v7
	v_add_nc_u32_e32 v8, 16, v8
	;; [unrolled: 1-line block ×3, first 2 shown]
	v_cmp_lt_u32_e32 vcc_lo, 27, v7
	s_or_b32 s5, vcc_lo, s5
	s_waitcnt vmcnt(2) lgkmcnt(0)
	v_mul_f64 v[126:127], v[120:121], v[122:123]
	v_mul_f64 v[122:123], v[118:119], v[122:123]
	s_waitcnt vmcnt(0)
	v_fma_f64 v[118:119], v[118:119], v[124:125], -v[126:127]
	v_fma_f64 v[120:121], v[120:121], v[124:125], v[122:123]
	v_add_f64 v[3:4], v[3:4], v[118:119]
	v_add_f64 v[1:2], v[1:2], v[120:121]
	s_andn2_b32 exec_lo, exec_lo, s5
	s_cbranch_execnz .LBB116_129
; %bb.130:
	s_or_b32 exec_lo, exec_lo, s5
	v_mov_b32_e32 v7, 0
	ds_read_b128 v[118:121], v7 offset:464
	s_waitcnt lgkmcnt(0)
	v_mul_f64 v[7:8], v[1:2], v[120:121]
	v_mul_f64 v[115:116], v[3:4], v[120:121]
	v_fma_f64 v[3:4], v[3:4], v[118:119], -v[7:8]
	v_fma_f64 v[1:2], v[1:2], v[118:119], v[115:116]
	buffer_store_dword v4, off, s[0:3], 0 offset:484
	buffer_store_dword v3, off, s[0:3], 0 offset:480
	;; [unrolled: 1-line block ×4, first 2 shown]
.LBB116_131:
	s_or_b32 exec_lo, exec_lo, s4
	v_mov_b32_e32 v4, s35
	s_waitcnt_vscnt null, 0x0
	s_barrier
	buffer_gl0_inv
	s_mov_b32 s4, exec_lo
	s_clause 0x3
	buffer_load_dword v1, v4, s[0:3], 0 offen
	buffer_load_dword v2, v4, s[0:3], 0 offen offset:4
	buffer_load_dword v3, v4, s[0:3], 0 offen offset:8
	;; [unrolled: 1-line block ×3, first 2 shown]
	s_waitcnt vmcnt(0)
	ds_write_b128 v5, v[1:4]
	s_waitcnt lgkmcnt(0)
	s_barrier
	buffer_gl0_inv
	v_cmpx_gt_u32_e32 30, v0
	s_cbranch_execz .LBB116_135
; %bb.132:
	v_mov_b32_e32 v1, 0
	v_mov_b32_e32 v3, 0
	v_add_nc_u32_e32 v7, -1, v0
	v_add_nc_u32_e32 v8, 0x350, v117
	v_mov_b32_e32 v2, 0
	v_mov_b32_e32 v4, 0
	v_add_nc_u32_e32 v115, 16, v117
	s_mov_b32 s5, 0
	.p2align	6
.LBB116_133:                            ; =>This Inner Loop Header: Depth=1
	s_clause 0x3
	buffer_load_dword v122, v115, s[0:3], 0 offen offset:8
	buffer_load_dword v123, v115, s[0:3], 0 offen offset:12
	buffer_load_dword v124, v115, s[0:3], 0 offen
	buffer_load_dword v125, v115, s[0:3], 0 offen offset:4
	ds_read_b128 v[118:121], v8
	v_add_nc_u32_e32 v7, 1, v7
	v_add_nc_u32_e32 v8, 16, v8
	;; [unrolled: 1-line block ×3, first 2 shown]
	v_cmp_lt_u32_e32 vcc_lo, 28, v7
	s_or_b32 s5, vcc_lo, s5
	s_waitcnt vmcnt(2) lgkmcnt(0)
	v_mul_f64 v[126:127], v[120:121], v[122:123]
	v_mul_f64 v[122:123], v[118:119], v[122:123]
	s_waitcnt vmcnt(0)
	v_fma_f64 v[118:119], v[118:119], v[124:125], -v[126:127]
	v_fma_f64 v[120:121], v[120:121], v[124:125], v[122:123]
	v_add_f64 v[3:4], v[3:4], v[118:119]
	v_add_f64 v[1:2], v[1:2], v[120:121]
	s_andn2_b32 exec_lo, exec_lo, s5
	s_cbranch_execnz .LBB116_133
; %bb.134:
	s_or_b32 exec_lo, exec_lo, s5
	v_mov_b32_e32 v7, 0
	ds_read_b128 v[118:121], v7 offset:480
	s_waitcnt lgkmcnt(0)
	v_mul_f64 v[7:8], v[1:2], v[120:121]
	v_mul_f64 v[115:116], v[3:4], v[120:121]
	v_fma_f64 v[3:4], v[3:4], v[118:119], -v[7:8]
	v_fma_f64 v[1:2], v[1:2], v[118:119], v[115:116]
	buffer_store_dword v4, off, s[0:3], 0 offset:500
	buffer_store_dword v3, off, s[0:3], 0 offset:496
	;; [unrolled: 1-line block ×4, first 2 shown]
.LBB116_135:
	s_or_b32 exec_lo, exec_lo, s4
	v_mov_b32_e32 v4, s34
	s_waitcnt_vscnt null, 0x0
	s_barrier
	buffer_gl0_inv
	s_mov_b32 s4, exec_lo
	s_clause 0x3
	buffer_load_dword v1, v4, s[0:3], 0 offen
	buffer_load_dword v2, v4, s[0:3], 0 offen offset:4
	buffer_load_dword v3, v4, s[0:3], 0 offen offset:8
	;; [unrolled: 1-line block ×3, first 2 shown]
	s_waitcnt vmcnt(0)
	ds_write_b128 v5, v[1:4]
	s_waitcnt lgkmcnt(0)
	s_barrier
	buffer_gl0_inv
	v_cmpx_gt_u32_e32 31, v0
	s_cbranch_execz .LBB116_139
; %bb.136:
	v_mov_b32_e32 v1, 0
	v_mov_b32_e32 v3, 0
	v_add_nc_u32_e32 v7, -1, v0
	v_add_nc_u32_e32 v8, 0x350, v117
	v_mov_b32_e32 v2, 0
	v_mov_b32_e32 v4, 0
	v_add_nc_u32_e32 v115, 16, v117
	s_mov_b32 s5, 0
	.p2align	6
.LBB116_137:                            ; =>This Inner Loop Header: Depth=1
	s_clause 0x3
	buffer_load_dword v122, v115, s[0:3], 0 offen offset:8
	buffer_load_dword v123, v115, s[0:3], 0 offen offset:12
	buffer_load_dword v124, v115, s[0:3], 0 offen
	buffer_load_dword v125, v115, s[0:3], 0 offen offset:4
	ds_read_b128 v[118:121], v8
	v_add_nc_u32_e32 v7, 1, v7
	v_add_nc_u32_e32 v8, 16, v8
	v_add_nc_u32_e32 v115, 16, v115
	v_cmp_lt_u32_e32 vcc_lo, 29, v7
	s_or_b32 s5, vcc_lo, s5
	s_waitcnt vmcnt(2) lgkmcnt(0)
	v_mul_f64 v[126:127], v[120:121], v[122:123]
	v_mul_f64 v[122:123], v[118:119], v[122:123]
	s_waitcnt vmcnt(0)
	v_fma_f64 v[118:119], v[118:119], v[124:125], -v[126:127]
	v_fma_f64 v[120:121], v[120:121], v[124:125], v[122:123]
	v_add_f64 v[3:4], v[3:4], v[118:119]
	v_add_f64 v[1:2], v[1:2], v[120:121]
	s_andn2_b32 exec_lo, exec_lo, s5
	s_cbranch_execnz .LBB116_137
; %bb.138:
	s_or_b32 exec_lo, exec_lo, s5
	v_mov_b32_e32 v7, 0
	ds_read_b128 v[118:121], v7 offset:496
	s_waitcnt lgkmcnt(0)
	v_mul_f64 v[7:8], v[1:2], v[120:121]
	v_mul_f64 v[115:116], v[3:4], v[120:121]
	v_fma_f64 v[3:4], v[3:4], v[118:119], -v[7:8]
	v_fma_f64 v[1:2], v[1:2], v[118:119], v[115:116]
	buffer_store_dword v4, off, s[0:3], 0 offset:516
	buffer_store_dword v3, off, s[0:3], 0 offset:512
	;; [unrolled: 1-line block ×4, first 2 shown]
.LBB116_139:
	s_or_b32 exec_lo, exec_lo, s4
	v_mov_b32_e32 v4, s33
	s_waitcnt_vscnt null, 0x0
	s_barrier
	buffer_gl0_inv
	s_mov_b32 s4, exec_lo
	s_clause 0x3
	buffer_load_dword v1, v4, s[0:3], 0 offen
	buffer_load_dword v2, v4, s[0:3], 0 offen offset:4
	buffer_load_dword v3, v4, s[0:3], 0 offen offset:8
	;; [unrolled: 1-line block ×3, first 2 shown]
	s_waitcnt vmcnt(0)
	ds_write_b128 v5, v[1:4]
	s_waitcnt lgkmcnt(0)
	s_barrier
	buffer_gl0_inv
	v_cmpx_gt_u32_e32 32, v0
	s_cbranch_execz .LBB116_143
; %bb.140:
	v_mov_b32_e32 v1, 0
	v_mov_b32_e32 v3, 0
	v_add_nc_u32_e32 v7, -1, v0
	v_add_nc_u32_e32 v8, 0x350, v117
	v_mov_b32_e32 v2, 0
	v_mov_b32_e32 v4, 0
	v_add_nc_u32_e32 v115, 16, v117
	s_mov_b32 s5, 0
	.p2align	6
.LBB116_141:                            ; =>This Inner Loop Header: Depth=1
	s_clause 0x3
	buffer_load_dword v122, v115, s[0:3], 0 offen offset:8
	buffer_load_dword v123, v115, s[0:3], 0 offen offset:12
	buffer_load_dword v124, v115, s[0:3], 0 offen
	buffer_load_dword v125, v115, s[0:3], 0 offen offset:4
	ds_read_b128 v[118:121], v8
	v_add_nc_u32_e32 v7, 1, v7
	v_add_nc_u32_e32 v8, 16, v8
	v_add_nc_u32_e32 v115, 16, v115
	v_cmp_lt_u32_e32 vcc_lo, 30, v7
	s_or_b32 s5, vcc_lo, s5
	s_waitcnt vmcnt(2) lgkmcnt(0)
	v_mul_f64 v[126:127], v[120:121], v[122:123]
	v_mul_f64 v[122:123], v[118:119], v[122:123]
	s_waitcnt vmcnt(0)
	v_fma_f64 v[118:119], v[118:119], v[124:125], -v[126:127]
	v_fma_f64 v[120:121], v[120:121], v[124:125], v[122:123]
	v_add_f64 v[3:4], v[3:4], v[118:119]
	v_add_f64 v[1:2], v[1:2], v[120:121]
	s_andn2_b32 exec_lo, exec_lo, s5
	s_cbranch_execnz .LBB116_141
; %bb.142:
	s_or_b32 exec_lo, exec_lo, s5
	v_mov_b32_e32 v7, 0
	ds_read_b128 v[118:121], v7 offset:512
	s_waitcnt lgkmcnt(0)
	v_mul_f64 v[7:8], v[1:2], v[120:121]
	v_mul_f64 v[115:116], v[3:4], v[120:121]
	v_fma_f64 v[3:4], v[3:4], v[118:119], -v[7:8]
	v_fma_f64 v[1:2], v[1:2], v[118:119], v[115:116]
	buffer_store_dword v4, off, s[0:3], 0 offset:532
	buffer_store_dword v3, off, s[0:3], 0 offset:528
	;; [unrolled: 1-line block ×4, first 2 shown]
.LBB116_143:
	s_or_b32 exec_lo, exec_lo, s4
	v_mov_b32_e32 v4, s31
	s_waitcnt_vscnt null, 0x0
	s_barrier
	buffer_gl0_inv
	s_mov_b32 s4, exec_lo
	s_clause 0x3
	buffer_load_dword v1, v4, s[0:3], 0 offen
	buffer_load_dword v2, v4, s[0:3], 0 offen offset:4
	buffer_load_dword v3, v4, s[0:3], 0 offen offset:8
	buffer_load_dword v4, v4, s[0:3], 0 offen offset:12
	s_waitcnt vmcnt(0)
	ds_write_b128 v5, v[1:4]
	s_waitcnt lgkmcnt(0)
	s_barrier
	buffer_gl0_inv
	v_cmpx_gt_u32_e32 33, v0
	s_cbranch_execz .LBB116_147
; %bb.144:
	v_mov_b32_e32 v1, 0
	v_mov_b32_e32 v3, 0
	v_add_nc_u32_e32 v7, -1, v0
	v_add_nc_u32_e32 v8, 0x350, v117
	v_mov_b32_e32 v2, 0
	v_mov_b32_e32 v4, 0
	v_add_nc_u32_e32 v115, 16, v117
	s_mov_b32 s5, 0
	.p2align	6
.LBB116_145:                            ; =>This Inner Loop Header: Depth=1
	s_clause 0x3
	buffer_load_dword v122, v115, s[0:3], 0 offen offset:8
	buffer_load_dword v123, v115, s[0:3], 0 offen offset:12
	buffer_load_dword v124, v115, s[0:3], 0 offen
	buffer_load_dword v125, v115, s[0:3], 0 offen offset:4
	ds_read_b128 v[118:121], v8
	v_add_nc_u32_e32 v7, 1, v7
	v_add_nc_u32_e32 v8, 16, v8
	;; [unrolled: 1-line block ×3, first 2 shown]
	v_cmp_lt_u32_e32 vcc_lo, 31, v7
	s_or_b32 s5, vcc_lo, s5
	s_waitcnt vmcnt(2) lgkmcnt(0)
	v_mul_f64 v[126:127], v[120:121], v[122:123]
	v_mul_f64 v[122:123], v[118:119], v[122:123]
	s_waitcnt vmcnt(0)
	v_fma_f64 v[118:119], v[118:119], v[124:125], -v[126:127]
	v_fma_f64 v[120:121], v[120:121], v[124:125], v[122:123]
	v_add_f64 v[3:4], v[3:4], v[118:119]
	v_add_f64 v[1:2], v[1:2], v[120:121]
	s_andn2_b32 exec_lo, exec_lo, s5
	s_cbranch_execnz .LBB116_145
; %bb.146:
	s_or_b32 exec_lo, exec_lo, s5
	v_mov_b32_e32 v7, 0
	ds_read_b128 v[118:121], v7 offset:528
	s_waitcnt lgkmcnt(0)
	v_mul_f64 v[7:8], v[1:2], v[120:121]
	v_mul_f64 v[115:116], v[3:4], v[120:121]
	v_fma_f64 v[3:4], v[3:4], v[118:119], -v[7:8]
	v_fma_f64 v[1:2], v[1:2], v[118:119], v[115:116]
	buffer_store_dword v4, off, s[0:3], 0 offset:548
	buffer_store_dword v3, off, s[0:3], 0 offset:544
	;; [unrolled: 1-line block ×4, first 2 shown]
.LBB116_147:
	s_or_b32 exec_lo, exec_lo, s4
	v_mov_b32_e32 v4, s30
	s_waitcnt_vscnt null, 0x0
	s_barrier
	buffer_gl0_inv
	s_mov_b32 s4, exec_lo
	s_clause 0x3
	buffer_load_dword v1, v4, s[0:3], 0 offen
	buffer_load_dword v2, v4, s[0:3], 0 offen offset:4
	buffer_load_dword v3, v4, s[0:3], 0 offen offset:8
	;; [unrolled: 1-line block ×3, first 2 shown]
	s_waitcnt vmcnt(0)
	ds_write_b128 v5, v[1:4]
	s_waitcnt lgkmcnt(0)
	s_barrier
	buffer_gl0_inv
	v_cmpx_gt_u32_e32 34, v0
	s_cbranch_execz .LBB116_151
; %bb.148:
	v_mov_b32_e32 v1, 0
	v_mov_b32_e32 v3, 0
	v_add_nc_u32_e32 v7, -1, v0
	v_add_nc_u32_e32 v8, 0x350, v117
	v_mov_b32_e32 v2, 0
	v_mov_b32_e32 v4, 0
	v_add_nc_u32_e32 v115, 16, v117
	s_mov_b32 s5, 0
	.p2align	6
.LBB116_149:                            ; =>This Inner Loop Header: Depth=1
	s_clause 0x3
	buffer_load_dword v122, v115, s[0:3], 0 offen offset:8
	buffer_load_dword v123, v115, s[0:3], 0 offen offset:12
	buffer_load_dword v124, v115, s[0:3], 0 offen
	buffer_load_dword v125, v115, s[0:3], 0 offen offset:4
	ds_read_b128 v[118:121], v8
	v_add_nc_u32_e32 v7, 1, v7
	v_add_nc_u32_e32 v8, 16, v8
	;; [unrolled: 1-line block ×3, first 2 shown]
	v_cmp_lt_u32_e32 vcc_lo, 32, v7
	s_or_b32 s5, vcc_lo, s5
	s_waitcnt vmcnt(2) lgkmcnt(0)
	v_mul_f64 v[126:127], v[120:121], v[122:123]
	v_mul_f64 v[122:123], v[118:119], v[122:123]
	s_waitcnt vmcnt(0)
	v_fma_f64 v[118:119], v[118:119], v[124:125], -v[126:127]
	v_fma_f64 v[120:121], v[120:121], v[124:125], v[122:123]
	v_add_f64 v[3:4], v[3:4], v[118:119]
	v_add_f64 v[1:2], v[1:2], v[120:121]
	s_andn2_b32 exec_lo, exec_lo, s5
	s_cbranch_execnz .LBB116_149
; %bb.150:
	s_or_b32 exec_lo, exec_lo, s5
	v_mov_b32_e32 v7, 0
	ds_read_b128 v[118:121], v7 offset:544
	s_waitcnt lgkmcnt(0)
	v_mul_f64 v[7:8], v[1:2], v[120:121]
	v_mul_f64 v[115:116], v[3:4], v[120:121]
	v_fma_f64 v[3:4], v[3:4], v[118:119], -v[7:8]
	v_fma_f64 v[1:2], v[1:2], v[118:119], v[115:116]
	buffer_store_dword v4, off, s[0:3], 0 offset:564
	buffer_store_dword v3, off, s[0:3], 0 offset:560
	;; [unrolled: 1-line block ×4, first 2 shown]
.LBB116_151:
	s_or_b32 exec_lo, exec_lo, s4
	v_mov_b32_e32 v4, s29
	s_waitcnt_vscnt null, 0x0
	s_barrier
	buffer_gl0_inv
	s_mov_b32 s4, exec_lo
	s_clause 0x3
	buffer_load_dword v1, v4, s[0:3], 0 offen
	buffer_load_dword v2, v4, s[0:3], 0 offen offset:4
	buffer_load_dword v3, v4, s[0:3], 0 offen offset:8
	;; [unrolled: 1-line block ×3, first 2 shown]
	s_waitcnt vmcnt(0)
	ds_write_b128 v5, v[1:4]
	s_waitcnt lgkmcnt(0)
	s_barrier
	buffer_gl0_inv
	v_cmpx_gt_u32_e32 35, v0
	s_cbranch_execz .LBB116_155
; %bb.152:
	v_mov_b32_e32 v1, 0
	v_mov_b32_e32 v3, 0
	v_add_nc_u32_e32 v7, -1, v0
	v_add_nc_u32_e32 v8, 0x350, v117
	v_mov_b32_e32 v2, 0
	v_mov_b32_e32 v4, 0
	v_add_nc_u32_e32 v115, 16, v117
	s_mov_b32 s5, 0
	.p2align	6
.LBB116_153:                            ; =>This Inner Loop Header: Depth=1
	s_clause 0x3
	buffer_load_dword v122, v115, s[0:3], 0 offen offset:8
	buffer_load_dword v123, v115, s[0:3], 0 offen offset:12
	buffer_load_dword v124, v115, s[0:3], 0 offen
	buffer_load_dword v125, v115, s[0:3], 0 offen offset:4
	ds_read_b128 v[118:121], v8
	v_add_nc_u32_e32 v7, 1, v7
	v_add_nc_u32_e32 v8, 16, v8
	;; [unrolled: 1-line block ×3, first 2 shown]
	v_cmp_lt_u32_e32 vcc_lo, 33, v7
	s_or_b32 s5, vcc_lo, s5
	s_waitcnt vmcnt(2) lgkmcnt(0)
	v_mul_f64 v[126:127], v[120:121], v[122:123]
	v_mul_f64 v[122:123], v[118:119], v[122:123]
	s_waitcnt vmcnt(0)
	v_fma_f64 v[118:119], v[118:119], v[124:125], -v[126:127]
	v_fma_f64 v[120:121], v[120:121], v[124:125], v[122:123]
	v_add_f64 v[3:4], v[3:4], v[118:119]
	v_add_f64 v[1:2], v[1:2], v[120:121]
	s_andn2_b32 exec_lo, exec_lo, s5
	s_cbranch_execnz .LBB116_153
; %bb.154:
	s_or_b32 exec_lo, exec_lo, s5
	v_mov_b32_e32 v7, 0
	ds_read_b128 v[118:121], v7 offset:560
	s_waitcnt lgkmcnt(0)
	v_mul_f64 v[7:8], v[1:2], v[120:121]
	v_mul_f64 v[115:116], v[3:4], v[120:121]
	v_fma_f64 v[3:4], v[3:4], v[118:119], -v[7:8]
	v_fma_f64 v[1:2], v[1:2], v[118:119], v[115:116]
	buffer_store_dword v4, off, s[0:3], 0 offset:580
	buffer_store_dword v3, off, s[0:3], 0 offset:576
	;; [unrolled: 1-line block ×4, first 2 shown]
.LBB116_155:
	s_or_b32 exec_lo, exec_lo, s4
	v_mov_b32_e32 v4, s28
	s_waitcnt_vscnt null, 0x0
	s_barrier
	buffer_gl0_inv
	s_mov_b32 s4, exec_lo
	s_clause 0x3
	buffer_load_dword v1, v4, s[0:3], 0 offen
	buffer_load_dword v2, v4, s[0:3], 0 offen offset:4
	buffer_load_dword v3, v4, s[0:3], 0 offen offset:8
	;; [unrolled: 1-line block ×3, first 2 shown]
	s_waitcnt vmcnt(0)
	ds_write_b128 v5, v[1:4]
	s_waitcnt lgkmcnt(0)
	s_barrier
	buffer_gl0_inv
	v_cmpx_gt_u32_e32 36, v0
	s_cbranch_execz .LBB116_159
; %bb.156:
	v_mov_b32_e32 v1, 0
	v_mov_b32_e32 v3, 0
	v_add_nc_u32_e32 v7, -1, v0
	v_add_nc_u32_e32 v8, 0x350, v117
	v_mov_b32_e32 v2, 0
	v_mov_b32_e32 v4, 0
	v_add_nc_u32_e32 v115, 16, v117
	s_mov_b32 s5, 0
	.p2align	6
.LBB116_157:                            ; =>This Inner Loop Header: Depth=1
	s_clause 0x3
	buffer_load_dword v122, v115, s[0:3], 0 offen offset:8
	buffer_load_dword v123, v115, s[0:3], 0 offen offset:12
	buffer_load_dword v124, v115, s[0:3], 0 offen
	buffer_load_dword v125, v115, s[0:3], 0 offen offset:4
	ds_read_b128 v[118:121], v8
	v_add_nc_u32_e32 v7, 1, v7
	v_add_nc_u32_e32 v8, 16, v8
	;; [unrolled: 1-line block ×3, first 2 shown]
	v_cmp_lt_u32_e32 vcc_lo, 34, v7
	s_or_b32 s5, vcc_lo, s5
	s_waitcnt vmcnt(2) lgkmcnt(0)
	v_mul_f64 v[126:127], v[120:121], v[122:123]
	v_mul_f64 v[122:123], v[118:119], v[122:123]
	s_waitcnt vmcnt(0)
	v_fma_f64 v[118:119], v[118:119], v[124:125], -v[126:127]
	v_fma_f64 v[120:121], v[120:121], v[124:125], v[122:123]
	v_add_f64 v[3:4], v[3:4], v[118:119]
	v_add_f64 v[1:2], v[1:2], v[120:121]
	s_andn2_b32 exec_lo, exec_lo, s5
	s_cbranch_execnz .LBB116_157
; %bb.158:
	s_or_b32 exec_lo, exec_lo, s5
	v_mov_b32_e32 v7, 0
	ds_read_b128 v[118:121], v7 offset:576
	s_waitcnt lgkmcnt(0)
	v_mul_f64 v[7:8], v[1:2], v[120:121]
	v_mul_f64 v[115:116], v[3:4], v[120:121]
	v_fma_f64 v[3:4], v[3:4], v[118:119], -v[7:8]
	v_fma_f64 v[1:2], v[1:2], v[118:119], v[115:116]
	buffer_store_dword v4, off, s[0:3], 0 offset:596
	buffer_store_dword v3, off, s[0:3], 0 offset:592
	;; [unrolled: 1-line block ×4, first 2 shown]
.LBB116_159:
	s_or_b32 exec_lo, exec_lo, s4
	v_mov_b32_e32 v4, s27
	s_waitcnt_vscnt null, 0x0
	s_barrier
	buffer_gl0_inv
	s_mov_b32 s4, exec_lo
	s_clause 0x3
	buffer_load_dword v1, v4, s[0:3], 0 offen
	buffer_load_dword v2, v4, s[0:3], 0 offen offset:4
	buffer_load_dword v3, v4, s[0:3], 0 offen offset:8
	;; [unrolled: 1-line block ×3, first 2 shown]
	s_waitcnt vmcnt(0)
	ds_write_b128 v5, v[1:4]
	s_waitcnt lgkmcnt(0)
	s_barrier
	buffer_gl0_inv
	v_cmpx_gt_u32_e32 37, v0
	s_cbranch_execz .LBB116_163
; %bb.160:
	v_mov_b32_e32 v1, 0
	v_mov_b32_e32 v3, 0
	v_add_nc_u32_e32 v7, -1, v0
	v_add_nc_u32_e32 v8, 0x350, v117
	v_mov_b32_e32 v2, 0
	v_mov_b32_e32 v4, 0
	v_add_nc_u32_e32 v115, 16, v117
	s_mov_b32 s5, 0
	.p2align	6
.LBB116_161:                            ; =>This Inner Loop Header: Depth=1
	s_clause 0x3
	buffer_load_dword v122, v115, s[0:3], 0 offen offset:8
	buffer_load_dword v123, v115, s[0:3], 0 offen offset:12
	buffer_load_dword v124, v115, s[0:3], 0 offen
	buffer_load_dword v125, v115, s[0:3], 0 offen offset:4
	ds_read_b128 v[118:121], v8
	v_add_nc_u32_e32 v7, 1, v7
	v_add_nc_u32_e32 v8, 16, v8
	;; [unrolled: 1-line block ×3, first 2 shown]
	v_cmp_lt_u32_e32 vcc_lo, 35, v7
	s_or_b32 s5, vcc_lo, s5
	s_waitcnt vmcnt(2) lgkmcnt(0)
	v_mul_f64 v[126:127], v[120:121], v[122:123]
	v_mul_f64 v[122:123], v[118:119], v[122:123]
	s_waitcnt vmcnt(0)
	v_fma_f64 v[118:119], v[118:119], v[124:125], -v[126:127]
	v_fma_f64 v[120:121], v[120:121], v[124:125], v[122:123]
	v_add_f64 v[3:4], v[3:4], v[118:119]
	v_add_f64 v[1:2], v[1:2], v[120:121]
	s_andn2_b32 exec_lo, exec_lo, s5
	s_cbranch_execnz .LBB116_161
; %bb.162:
	s_or_b32 exec_lo, exec_lo, s5
	v_mov_b32_e32 v7, 0
	ds_read_b128 v[118:121], v7 offset:592
	s_waitcnt lgkmcnt(0)
	v_mul_f64 v[7:8], v[1:2], v[120:121]
	v_mul_f64 v[115:116], v[3:4], v[120:121]
	v_fma_f64 v[3:4], v[3:4], v[118:119], -v[7:8]
	v_fma_f64 v[1:2], v[1:2], v[118:119], v[115:116]
	buffer_store_dword v4, off, s[0:3], 0 offset:612
	buffer_store_dword v3, off, s[0:3], 0 offset:608
	;; [unrolled: 1-line block ×4, first 2 shown]
.LBB116_163:
	s_or_b32 exec_lo, exec_lo, s4
	v_mov_b32_e32 v4, s26
	s_waitcnt_vscnt null, 0x0
	s_barrier
	buffer_gl0_inv
	s_mov_b32 s4, exec_lo
	s_clause 0x3
	buffer_load_dword v1, v4, s[0:3], 0 offen
	buffer_load_dword v2, v4, s[0:3], 0 offen offset:4
	buffer_load_dword v3, v4, s[0:3], 0 offen offset:8
	;; [unrolled: 1-line block ×3, first 2 shown]
	s_waitcnt vmcnt(0)
	ds_write_b128 v5, v[1:4]
	s_waitcnt lgkmcnt(0)
	s_barrier
	buffer_gl0_inv
	v_cmpx_gt_u32_e32 38, v0
	s_cbranch_execz .LBB116_167
; %bb.164:
	v_mov_b32_e32 v1, 0
	v_mov_b32_e32 v3, 0
	v_add_nc_u32_e32 v7, -1, v0
	v_add_nc_u32_e32 v8, 0x350, v117
	v_mov_b32_e32 v2, 0
	v_mov_b32_e32 v4, 0
	v_add_nc_u32_e32 v115, 16, v117
	s_mov_b32 s5, 0
	.p2align	6
.LBB116_165:                            ; =>This Inner Loop Header: Depth=1
	s_clause 0x3
	buffer_load_dword v122, v115, s[0:3], 0 offen offset:8
	buffer_load_dword v123, v115, s[0:3], 0 offen offset:12
	buffer_load_dword v124, v115, s[0:3], 0 offen
	buffer_load_dword v125, v115, s[0:3], 0 offen offset:4
	ds_read_b128 v[118:121], v8
	v_add_nc_u32_e32 v7, 1, v7
	v_add_nc_u32_e32 v8, 16, v8
	;; [unrolled: 1-line block ×3, first 2 shown]
	v_cmp_lt_u32_e32 vcc_lo, 36, v7
	s_or_b32 s5, vcc_lo, s5
	s_waitcnt vmcnt(2) lgkmcnt(0)
	v_mul_f64 v[126:127], v[120:121], v[122:123]
	v_mul_f64 v[122:123], v[118:119], v[122:123]
	s_waitcnt vmcnt(0)
	v_fma_f64 v[118:119], v[118:119], v[124:125], -v[126:127]
	v_fma_f64 v[120:121], v[120:121], v[124:125], v[122:123]
	v_add_f64 v[3:4], v[3:4], v[118:119]
	v_add_f64 v[1:2], v[1:2], v[120:121]
	s_andn2_b32 exec_lo, exec_lo, s5
	s_cbranch_execnz .LBB116_165
; %bb.166:
	s_or_b32 exec_lo, exec_lo, s5
	v_mov_b32_e32 v7, 0
	ds_read_b128 v[118:121], v7 offset:608
	s_waitcnt lgkmcnt(0)
	v_mul_f64 v[7:8], v[1:2], v[120:121]
	v_mul_f64 v[115:116], v[3:4], v[120:121]
	v_fma_f64 v[3:4], v[3:4], v[118:119], -v[7:8]
	v_fma_f64 v[1:2], v[1:2], v[118:119], v[115:116]
	buffer_store_dword v4, off, s[0:3], 0 offset:628
	buffer_store_dword v3, off, s[0:3], 0 offset:624
	;; [unrolled: 1-line block ×4, first 2 shown]
.LBB116_167:
	s_or_b32 exec_lo, exec_lo, s4
	v_mov_b32_e32 v4, s25
	s_waitcnt_vscnt null, 0x0
	s_barrier
	buffer_gl0_inv
	s_mov_b32 s4, exec_lo
	s_clause 0x3
	buffer_load_dword v1, v4, s[0:3], 0 offen
	buffer_load_dword v2, v4, s[0:3], 0 offen offset:4
	buffer_load_dword v3, v4, s[0:3], 0 offen offset:8
	;; [unrolled: 1-line block ×3, first 2 shown]
	s_waitcnt vmcnt(0)
	ds_write_b128 v5, v[1:4]
	s_waitcnt lgkmcnt(0)
	s_barrier
	buffer_gl0_inv
	v_cmpx_gt_u32_e32 39, v0
	s_cbranch_execz .LBB116_171
; %bb.168:
	v_mov_b32_e32 v1, 0
	v_mov_b32_e32 v3, 0
	v_add_nc_u32_e32 v7, -1, v0
	v_add_nc_u32_e32 v8, 0x350, v117
	v_mov_b32_e32 v2, 0
	v_mov_b32_e32 v4, 0
	v_add_nc_u32_e32 v115, 16, v117
	s_mov_b32 s5, 0
	.p2align	6
.LBB116_169:                            ; =>This Inner Loop Header: Depth=1
	s_clause 0x3
	buffer_load_dword v122, v115, s[0:3], 0 offen offset:8
	buffer_load_dword v123, v115, s[0:3], 0 offen offset:12
	buffer_load_dword v124, v115, s[0:3], 0 offen
	buffer_load_dword v125, v115, s[0:3], 0 offen offset:4
	ds_read_b128 v[118:121], v8
	v_add_nc_u32_e32 v7, 1, v7
	v_add_nc_u32_e32 v8, 16, v8
	;; [unrolled: 1-line block ×3, first 2 shown]
	v_cmp_lt_u32_e32 vcc_lo, 37, v7
	s_or_b32 s5, vcc_lo, s5
	s_waitcnt vmcnt(2) lgkmcnt(0)
	v_mul_f64 v[126:127], v[120:121], v[122:123]
	v_mul_f64 v[122:123], v[118:119], v[122:123]
	s_waitcnt vmcnt(0)
	v_fma_f64 v[118:119], v[118:119], v[124:125], -v[126:127]
	v_fma_f64 v[120:121], v[120:121], v[124:125], v[122:123]
	v_add_f64 v[3:4], v[3:4], v[118:119]
	v_add_f64 v[1:2], v[1:2], v[120:121]
	s_andn2_b32 exec_lo, exec_lo, s5
	s_cbranch_execnz .LBB116_169
; %bb.170:
	s_or_b32 exec_lo, exec_lo, s5
	v_mov_b32_e32 v7, 0
	ds_read_b128 v[118:121], v7 offset:624
	s_waitcnt lgkmcnt(0)
	v_mul_f64 v[7:8], v[1:2], v[120:121]
	v_mul_f64 v[115:116], v[3:4], v[120:121]
	v_fma_f64 v[3:4], v[3:4], v[118:119], -v[7:8]
	v_fma_f64 v[1:2], v[1:2], v[118:119], v[115:116]
	buffer_store_dword v4, off, s[0:3], 0 offset:644
	buffer_store_dword v3, off, s[0:3], 0 offset:640
	;; [unrolled: 1-line block ×4, first 2 shown]
.LBB116_171:
	s_or_b32 exec_lo, exec_lo, s4
	v_mov_b32_e32 v4, s24
	s_waitcnt_vscnt null, 0x0
	s_barrier
	buffer_gl0_inv
	s_mov_b32 s4, exec_lo
	s_clause 0x3
	buffer_load_dword v1, v4, s[0:3], 0 offen
	buffer_load_dword v2, v4, s[0:3], 0 offen offset:4
	buffer_load_dword v3, v4, s[0:3], 0 offen offset:8
	;; [unrolled: 1-line block ×3, first 2 shown]
	s_waitcnt vmcnt(0)
	ds_write_b128 v5, v[1:4]
	s_waitcnt lgkmcnt(0)
	s_barrier
	buffer_gl0_inv
	v_cmpx_gt_u32_e32 40, v0
	s_cbranch_execz .LBB116_175
; %bb.172:
	v_mov_b32_e32 v1, 0
	v_mov_b32_e32 v3, 0
	v_add_nc_u32_e32 v7, -1, v0
	v_add_nc_u32_e32 v8, 0x350, v117
	v_mov_b32_e32 v2, 0
	v_mov_b32_e32 v4, 0
	v_add_nc_u32_e32 v115, 16, v117
	s_mov_b32 s5, 0
	.p2align	6
.LBB116_173:                            ; =>This Inner Loop Header: Depth=1
	s_clause 0x3
	buffer_load_dword v122, v115, s[0:3], 0 offen offset:8
	buffer_load_dword v123, v115, s[0:3], 0 offen offset:12
	buffer_load_dword v124, v115, s[0:3], 0 offen
	buffer_load_dword v125, v115, s[0:3], 0 offen offset:4
	ds_read_b128 v[118:121], v8
	v_add_nc_u32_e32 v7, 1, v7
	v_add_nc_u32_e32 v8, 16, v8
	;; [unrolled: 1-line block ×3, first 2 shown]
	v_cmp_lt_u32_e32 vcc_lo, 38, v7
	s_or_b32 s5, vcc_lo, s5
	s_waitcnt vmcnt(2) lgkmcnt(0)
	v_mul_f64 v[126:127], v[120:121], v[122:123]
	v_mul_f64 v[122:123], v[118:119], v[122:123]
	s_waitcnt vmcnt(0)
	v_fma_f64 v[118:119], v[118:119], v[124:125], -v[126:127]
	v_fma_f64 v[120:121], v[120:121], v[124:125], v[122:123]
	v_add_f64 v[3:4], v[3:4], v[118:119]
	v_add_f64 v[1:2], v[1:2], v[120:121]
	s_andn2_b32 exec_lo, exec_lo, s5
	s_cbranch_execnz .LBB116_173
; %bb.174:
	s_or_b32 exec_lo, exec_lo, s5
	v_mov_b32_e32 v7, 0
	ds_read_b128 v[118:121], v7 offset:640
	s_waitcnt lgkmcnt(0)
	v_mul_f64 v[7:8], v[1:2], v[120:121]
	v_mul_f64 v[115:116], v[3:4], v[120:121]
	v_fma_f64 v[3:4], v[3:4], v[118:119], -v[7:8]
	v_fma_f64 v[1:2], v[1:2], v[118:119], v[115:116]
	buffer_store_dword v4, off, s[0:3], 0 offset:660
	buffer_store_dword v3, off, s[0:3], 0 offset:656
	;; [unrolled: 1-line block ×4, first 2 shown]
.LBB116_175:
	s_or_b32 exec_lo, exec_lo, s4
	v_mov_b32_e32 v4, s23
	s_waitcnt_vscnt null, 0x0
	s_barrier
	buffer_gl0_inv
	s_mov_b32 s4, exec_lo
	s_clause 0x3
	buffer_load_dword v1, v4, s[0:3], 0 offen
	buffer_load_dword v2, v4, s[0:3], 0 offen offset:4
	buffer_load_dword v3, v4, s[0:3], 0 offen offset:8
	;; [unrolled: 1-line block ×3, first 2 shown]
	s_waitcnt vmcnt(0)
	ds_write_b128 v5, v[1:4]
	s_waitcnt lgkmcnt(0)
	s_barrier
	buffer_gl0_inv
	v_cmpx_gt_u32_e32 41, v0
	s_cbranch_execz .LBB116_179
; %bb.176:
	v_mov_b32_e32 v1, 0
	v_mov_b32_e32 v3, 0
	v_add_nc_u32_e32 v7, -1, v0
	v_add_nc_u32_e32 v8, 0x350, v117
	v_mov_b32_e32 v2, 0
	v_mov_b32_e32 v4, 0
	v_add_nc_u32_e32 v115, 16, v117
	s_mov_b32 s5, 0
	.p2align	6
.LBB116_177:                            ; =>This Inner Loop Header: Depth=1
	s_clause 0x3
	buffer_load_dword v122, v115, s[0:3], 0 offen offset:8
	buffer_load_dword v123, v115, s[0:3], 0 offen offset:12
	buffer_load_dword v124, v115, s[0:3], 0 offen
	buffer_load_dword v125, v115, s[0:3], 0 offen offset:4
	ds_read_b128 v[118:121], v8
	v_add_nc_u32_e32 v7, 1, v7
	v_add_nc_u32_e32 v8, 16, v8
	;; [unrolled: 1-line block ×3, first 2 shown]
	v_cmp_lt_u32_e32 vcc_lo, 39, v7
	s_or_b32 s5, vcc_lo, s5
	s_waitcnt vmcnt(2) lgkmcnt(0)
	v_mul_f64 v[126:127], v[120:121], v[122:123]
	v_mul_f64 v[122:123], v[118:119], v[122:123]
	s_waitcnt vmcnt(0)
	v_fma_f64 v[118:119], v[118:119], v[124:125], -v[126:127]
	v_fma_f64 v[120:121], v[120:121], v[124:125], v[122:123]
	v_add_f64 v[3:4], v[3:4], v[118:119]
	v_add_f64 v[1:2], v[1:2], v[120:121]
	s_andn2_b32 exec_lo, exec_lo, s5
	s_cbranch_execnz .LBB116_177
; %bb.178:
	s_or_b32 exec_lo, exec_lo, s5
	v_mov_b32_e32 v7, 0
	ds_read_b128 v[118:121], v7 offset:656
	s_waitcnt lgkmcnt(0)
	v_mul_f64 v[7:8], v[1:2], v[120:121]
	v_mul_f64 v[115:116], v[3:4], v[120:121]
	v_fma_f64 v[3:4], v[3:4], v[118:119], -v[7:8]
	v_fma_f64 v[1:2], v[1:2], v[118:119], v[115:116]
	buffer_store_dword v4, off, s[0:3], 0 offset:676
	buffer_store_dword v3, off, s[0:3], 0 offset:672
	buffer_store_dword v2, off, s[0:3], 0 offset:684
	buffer_store_dword v1, off, s[0:3], 0 offset:680
.LBB116_179:
	s_or_b32 exec_lo, exec_lo, s4
	v_mov_b32_e32 v4, s22
	s_waitcnt_vscnt null, 0x0
	s_barrier
	buffer_gl0_inv
	s_mov_b32 s4, exec_lo
	s_clause 0x3
	buffer_load_dword v1, v4, s[0:3], 0 offen
	buffer_load_dword v2, v4, s[0:3], 0 offen offset:4
	buffer_load_dword v3, v4, s[0:3], 0 offen offset:8
	;; [unrolled: 1-line block ×3, first 2 shown]
	s_waitcnt vmcnt(0)
	ds_write_b128 v5, v[1:4]
	s_waitcnt lgkmcnt(0)
	s_barrier
	buffer_gl0_inv
	v_cmpx_gt_u32_e32 42, v0
	s_cbranch_execz .LBB116_183
; %bb.180:
	v_mov_b32_e32 v1, 0
	v_mov_b32_e32 v3, 0
	v_add_nc_u32_e32 v7, -1, v0
	v_add_nc_u32_e32 v8, 0x350, v117
	v_mov_b32_e32 v2, 0
	v_mov_b32_e32 v4, 0
	v_add_nc_u32_e32 v115, 16, v117
	s_mov_b32 s5, 0
	.p2align	6
.LBB116_181:                            ; =>This Inner Loop Header: Depth=1
	s_clause 0x3
	buffer_load_dword v122, v115, s[0:3], 0 offen offset:8
	buffer_load_dword v123, v115, s[0:3], 0 offen offset:12
	buffer_load_dword v124, v115, s[0:3], 0 offen
	buffer_load_dword v125, v115, s[0:3], 0 offen offset:4
	ds_read_b128 v[118:121], v8
	v_add_nc_u32_e32 v7, 1, v7
	v_add_nc_u32_e32 v8, 16, v8
	;; [unrolled: 1-line block ×3, first 2 shown]
	v_cmp_lt_u32_e32 vcc_lo, 40, v7
	s_or_b32 s5, vcc_lo, s5
	s_waitcnt vmcnt(2) lgkmcnt(0)
	v_mul_f64 v[126:127], v[120:121], v[122:123]
	v_mul_f64 v[122:123], v[118:119], v[122:123]
	s_waitcnt vmcnt(0)
	v_fma_f64 v[118:119], v[118:119], v[124:125], -v[126:127]
	v_fma_f64 v[120:121], v[120:121], v[124:125], v[122:123]
	v_add_f64 v[3:4], v[3:4], v[118:119]
	v_add_f64 v[1:2], v[1:2], v[120:121]
	s_andn2_b32 exec_lo, exec_lo, s5
	s_cbranch_execnz .LBB116_181
; %bb.182:
	s_or_b32 exec_lo, exec_lo, s5
	v_mov_b32_e32 v7, 0
	ds_read_b128 v[118:121], v7 offset:672
	s_waitcnt lgkmcnt(0)
	v_mul_f64 v[7:8], v[1:2], v[120:121]
	v_mul_f64 v[115:116], v[3:4], v[120:121]
	v_fma_f64 v[3:4], v[3:4], v[118:119], -v[7:8]
	v_fma_f64 v[1:2], v[1:2], v[118:119], v[115:116]
	buffer_store_dword v4, off, s[0:3], 0 offset:692
	buffer_store_dword v3, off, s[0:3], 0 offset:688
	;; [unrolled: 1-line block ×4, first 2 shown]
.LBB116_183:
	s_or_b32 exec_lo, exec_lo, s4
	v_mov_b32_e32 v4, s21
	s_waitcnt_vscnt null, 0x0
	s_barrier
	buffer_gl0_inv
	s_mov_b32 s4, exec_lo
	s_clause 0x3
	buffer_load_dword v1, v4, s[0:3], 0 offen
	buffer_load_dword v2, v4, s[0:3], 0 offen offset:4
	buffer_load_dword v3, v4, s[0:3], 0 offen offset:8
	;; [unrolled: 1-line block ×3, first 2 shown]
	s_waitcnt vmcnt(0)
	ds_write_b128 v5, v[1:4]
	s_waitcnt lgkmcnt(0)
	s_barrier
	buffer_gl0_inv
	v_cmpx_gt_u32_e32 43, v0
	s_cbranch_execz .LBB116_187
; %bb.184:
	v_mov_b32_e32 v1, 0
	v_mov_b32_e32 v3, 0
	v_add_nc_u32_e32 v7, -1, v0
	v_add_nc_u32_e32 v8, 0x350, v117
	v_mov_b32_e32 v2, 0
	v_mov_b32_e32 v4, 0
	v_add_nc_u32_e32 v115, 16, v117
	s_mov_b32 s5, 0
	.p2align	6
.LBB116_185:                            ; =>This Inner Loop Header: Depth=1
	s_clause 0x3
	buffer_load_dword v122, v115, s[0:3], 0 offen offset:8
	buffer_load_dword v123, v115, s[0:3], 0 offen offset:12
	buffer_load_dword v124, v115, s[0:3], 0 offen
	buffer_load_dword v125, v115, s[0:3], 0 offen offset:4
	ds_read_b128 v[118:121], v8
	v_add_nc_u32_e32 v7, 1, v7
	v_add_nc_u32_e32 v8, 16, v8
	v_add_nc_u32_e32 v115, 16, v115
	v_cmp_lt_u32_e32 vcc_lo, 41, v7
	s_or_b32 s5, vcc_lo, s5
	s_waitcnt vmcnt(2) lgkmcnt(0)
	v_mul_f64 v[126:127], v[120:121], v[122:123]
	v_mul_f64 v[122:123], v[118:119], v[122:123]
	s_waitcnt vmcnt(0)
	v_fma_f64 v[118:119], v[118:119], v[124:125], -v[126:127]
	v_fma_f64 v[120:121], v[120:121], v[124:125], v[122:123]
	v_add_f64 v[3:4], v[3:4], v[118:119]
	v_add_f64 v[1:2], v[1:2], v[120:121]
	s_andn2_b32 exec_lo, exec_lo, s5
	s_cbranch_execnz .LBB116_185
; %bb.186:
	s_or_b32 exec_lo, exec_lo, s5
	v_mov_b32_e32 v7, 0
	ds_read_b128 v[118:121], v7 offset:688
	s_waitcnt lgkmcnt(0)
	v_mul_f64 v[7:8], v[1:2], v[120:121]
	v_mul_f64 v[115:116], v[3:4], v[120:121]
	v_fma_f64 v[3:4], v[3:4], v[118:119], -v[7:8]
	v_fma_f64 v[1:2], v[1:2], v[118:119], v[115:116]
	buffer_store_dword v4, off, s[0:3], 0 offset:708
	buffer_store_dword v3, off, s[0:3], 0 offset:704
	;; [unrolled: 1-line block ×4, first 2 shown]
.LBB116_187:
	s_or_b32 exec_lo, exec_lo, s4
	v_mov_b32_e32 v4, s20
	s_waitcnt_vscnt null, 0x0
	s_barrier
	buffer_gl0_inv
	s_mov_b32 s4, exec_lo
	s_clause 0x3
	buffer_load_dword v1, v4, s[0:3], 0 offen
	buffer_load_dword v2, v4, s[0:3], 0 offen offset:4
	buffer_load_dword v3, v4, s[0:3], 0 offen offset:8
	;; [unrolled: 1-line block ×3, first 2 shown]
	s_waitcnt vmcnt(0)
	ds_write_b128 v5, v[1:4]
	s_waitcnt lgkmcnt(0)
	s_barrier
	buffer_gl0_inv
	v_cmpx_gt_u32_e32 44, v0
	s_cbranch_execz .LBB116_191
; %bb.188:
	v_mov_b32_e32 v1, 0
	v_mov_b32_e32 v3, 0
	v_add_nc_u32_e32 v7, -1, v0
	v_add_nc_u32_e32 v8, 0x350, v117
	v_mov_b32_e32 v2, 0
	v_mov_b32_e32 v4, 0
	v_add_nc_u32_e32 v115, 16, v117
	s_mov_b32 s5, 0
	.p2align	6
.LBB116_189:                            ; =>This Inner Loop Header: Depth=1
	s_clause 0x3
	buffer_load_dword v122, v115, s[0:3], 0 offen offset:8
	buffer_load_dword v123, v115, s[0:3], 0 offen offset:12
	buffer_load_dword v124, v115, s[0:3], 0 offen
	buffer_load_dword v125, v115, s[0:3], 0 offen offset:4
	ds_read_b128 v[118:121], v8
	v_add_nc_u32_e32 v7, 1, v7
	v_add_nc_u32_e32 v8, 16, v8
	v_add_nc_u32_e32 v115, 16, v115
	v_cmp_lt_u32_e32 vcc_lo, 42, v7
	s_or_b32 s5, vcc_lo, s5
	s_waitcnt vmcnt(2) lgkmcnt(0)
	v_mul_f64 v[126:127], v[120:121], v[122:123]
	v_mul_f64 v[122:123], v[118:119], v[122:123]
	s_waitcnt vmcnt(0)
	v_fma_f64 v[118:119], v[118:119], v[124:125], -v[126:127]
	v_fma_f64 v[120:121], v[120:121], v[124:125], v[122:123]
	v_add_f64 v[3:4], v[3:4], v[118:119]
	v_add_f64 v[1:2], v[1:2], v[120:121]
	s_andn2_b32 exec_lo, exec_lo, s5
	s_cbranch_execnz .LBB116_189
; %bb.190:
	s_or_b32 exec_lo, exec_lo, s5
	v_mov_b32_e32 v7, 0
	ds_read_b128 v[118:121], v7 offset:704
	s_waitcnt lgkmcnt(0)
	v_mul_f64 v[7:8], v[1:2], v[120:121]
	v_mul_f64 v[115:116], v[3:4], v[120:121]
	v_fma_f64 v[3:4], v[3:4], v[118:119], -v[7:8]
	v_fma_f64 v[1:2], v[1:2], v[118:119], v[115:116]
	buffer_store_dword v4, off, s[0:3], 0 offset:724
	buffer_store_dword v3, off, s[0:3], 0 offset:720
	;; [unrolled: 1-line block ×4, first 2 shown]
.LBB116_191:
	s_or_b32 exec_lo, exec_lo, s4
	v_mov_b32_e32 v4, s19
	s_waitcnt_vscnt null, 0x0
	s_barrier
	buffer_gl0_inv
	s_mov_b32 s4, exec_lo
	s_clause 0x3
	buffer_load_dword v1, v4, s[0:3], 0 offen
	buffer_load_dword v2, v4, s[0:3], 0 offen offset:4
	buffer_load_dword v3, v4, s[0:3], 0 offen offset:8
	;; [unrolled: 1-line block ×3, first 2 shown]
	s_waitcnt vmcnt(0)
	ds_write_b128 v5, v[1:4]
	s_waitcnt lgkmcnt(0)
	s_barrier
	buffer_gl0_inv
	v_cmpx_gt_u32_e32 45, v0
	s_cbranch_execz .LBB116_195
; %bb.192:
	v_mov_b32_e32 v1, 0
	v_mov_b32_e32 v3, 0
	v_add_nc_u32_e32 v7, -1, v0
	v_add_nc_u32_e32 v8, 0x350, v117
	v_mov_b32_e32 v2, 0
	v_mov_b32_e32 v4, 0
	v_add_nc_u32_e32 v115, 16, v117
	s_mov_b32 s5, 0
	.p2align	6
.LBB116_193:                            ; =>This Inner Loop Header: Depth=1
	s_clause 0x3
	buffer_load_dword v122, v115, s[0:3], 0 offen offset:8
	buffer_load_dword v123, v115, s[0:3], 0 offen offset:12
	buffer_load_dword v124, v115, s[0:3], 0 offen
	buffer_load_dword v125, v115, s[0:3], 0 offen offset:4
	ds_read_b128 v[118:121], v8
	v_add_nc_u32_e32 v7, 1, v7
	v_add_nc_u32_e32 v8, 16, v8
	;; [unrolled: 1-line block ×3, first 2 shown]
	v_cmp_lt_u32_e32 vcc_lo, 43, v7
	s_or_b32 s5, vcc_lo, s5
	s_waitcnt vmcnt(2) lgkmcnt(0)
	v_mul_f64 v[126:127], v[120:121], v[122:123]
	v_mul_f64 v[122:123], v[118:119], v[122:123]
	s_waitcnt vmcnt(0)
	v_fma_f64 v[118:119], v[118:119], v[124:125], -v[126:127]
	v_fma_f64 v[120:121], v[120:121], v[124:125], v[122:123]
	v_add_f64 v[3:4], v[3:4], v[118:119]
	v_add_f64 v[1:2], v[1:2], v[120:121]
	s_andn2_b32 exec_lo, exec_lo, s5
	s_cbranch_execnz .LBB116_193
; %bb.194:
	s_or_b32 exec_lo, exec_lo, s5
	v_mov_b32_e32 v7, 0
	ds_read_b128 v[118:121], v7 offset:720
	s_waitcnt lgkmcnt(0)
	v_mul_f64 v[7:8], v[1:2], v[120:121]
	v_mul_f64 v[115:116], v[3:4], v[120:121]
	v_fma_f64 v[3:4], v[3:4], v[118:119], -v[7:8]
	v_fma_f64 v[1:2], v[1:2], v[118:119], v[115:116]
	buffer_store_dword v4, off, s[0:3], 0 offset:740
	buffer_store_dword v3, off, s[0:3], 0 offset:736
	;; [unrolled: 1-line block ×4, first 2 shown]
.LBB116_195:
	s_or_b32 exec_lo, exec_lo, s4
	v_mov_b32_e32 v4, s18
	s_waitcnt_vscnt null, 0x0
	s_barrier
	buffer_gl0_inv
	s_mov_b32 s4, exec_lo
	s_clause 0x3
	buffer_load_dword v1, v4, s[0:3], 0 offen
	buffer_load_dword v2, v4, s[0:3], 0 offen offset:4
	buffer_load_dword v3, v4, s[0:3], 0 offen offset:8
	;; [unrolled: 1-line block ×3, first 2 shown]
	s_waitcnt vmcnt(0)
	ds_write_b128 v5, v[1:4]
	s_waitcnt lgkmcnt(0)
	s_barrier
	buffer_gl0_inv
	v_cmpx_gt_u32_e32 46, v0
	s_cbranch_execz .LBB116_199
; %bb.196:
	v_mov_b32_e32 v1, 0
	v_mov_b32_e32 v3, 0
	v_add_nc_u32_e32 v7, -1, v0
	v_add_nc_u32_e32 v8, 0x350, v117
	v_mov_b32_e32 v2, 0
	v_mov_b32_e32 v4, 0
	v_add_nc_u32_e32 v115, 16, v117
	s_mov_b32 s5, 0
	.p2align	6
.LBB116_197:                            ; =>This Inner Loop Header: Depth=1
	s_clause 0x3
	buffer_load_dword v122, v115, s[0:3], 0 offen offset:8
	buffer_load_dword v123, v115, s[0:3], 0 offen offset:12
	buffer_load_dword v124, v115, s[0:3], 0 offen
	buffer_load_dword v125, v115, s[0:3], 0 offen offset:4
	ds_read_b128 v[118:121], v8
	v_add_nc_u32_e32 v7, 1, v7
	v_add_nc_u32_e32 v8, 16, v8
	v_add_nc_u32_e32 v115, 16, v115
	v_cmp_lt_u32_e32 vcc_lo, 44, v7
	s_or_b32 s5, vcc_lo, s5
	s_waitcnt vmcnt(2) lgkmcnt(0)
	v_mul_f64 v[126:127], v[120:121], v[122:123]
	v_mul_f64 v[122:123], v[118:119], v[122:123]
	s_waitcnt vmcnt(0)
	v_fma_f64 v[118:119], v[118:119], v[124:125], -v[126:127]
	v_fma_f64 v[120:121], v[120:121], v[124:125], v[122:123]
	v_add_f64 v[3:4], v[3:4], v[118:119]
	v_add_f64 v[1:2], v[1:2], v[120:121]
	s_andn2_b32 exec_lo, exec_lo, s5
	s_cbranch_execnz .LBB116_197
; %bb.198:
	s_or_b32 exec_lo, exec_lo, s5
	v_mov_b32_e32 v7, 0
	ds_read_b128 v[118:121], v7 offset:736
	s_waitcnt lgkmcnt(0)
	v_mul_f64 v[7:8], v[1:2], v[120:121]
	v_mul_f64 v[115:116], v[3:4], v[120:121]
	v_fma_f64 v[3:4], v[3:4], v[118:119], -v[7:8]
	v_fma_f64 v[1:2], v[1:2], v[118:119], v[115:116]
	buffer_store_dword v4, off, s[0:3], 0 offset:756
	buffer_store_dword v3, off, s[0:3], 0 offset:752
	;; [unrolled: 1-line block ×4, first 2 shown]
.LBB116_199:
	s_or_b32 exec_lo, exec_lo, s4
	v_mov_b32_e32 v4, s17
	s_waitcnt_vscnt null, 0x0
	s_barrier
	buffer_gl0_inv
	s_mov_b32 s4, exec_lo
	s_clause 0x3
	buffer_load_dword v1, v4, s[0:3], 0 offen
	buffer_load_dword v2, v4, s[0:3], 0 offen offset:4
	buffer_load_dword v3, v4, s[0:3], 0 offen offset:8
	;; [unrolled: 1-line block ×3, first 2 shown]
	s_waitcnt vmcnt(0)
	ds_write_b128 v5, v[1:4]
	s_waitcnt lgkmcnt(0)
	s_barrier
	buffer_gl0_inv
	v_cmpx_gt_u32_e32 47, v0
	s_cbranch_execz .LBB116_203
; %bb.200:
	v_mov_b32_e32 v1, 0
	v_mov_b32_e32 v3, 0
	v_add_nc_u32_e32 v7, -1, v0
	v_add_nc_u32_e32 v8, 0x350, v117
	v_mov_b32_e32 v2, 0
	v_mov_b32_e32 v4, 0
	v_add_nc_u32_e32 v115, 16, v117
	s_mov_b32 s5, 0
	.p2align	6
.LBB116_201:                            ; =>This Inner Loop Header: Depth=1
	s_clause 0x3
	buffer_load_dword v122, v115, s[0:3], 0 offen offset:8
	buffer_load_dword v123, v115, s[0:3], 0 offen offset:12
	buffer_load_dword v124, v115, s[0:3], 0 offen
	buffer_load_dword v125, v115, s[0:3], 0 offen offset:4
	ds_read_b128 v[118:121], v8
	v_add_nc_u32_e32 v7, 1, v7
	v_add_nc_u32_e32 v8, 16, v8
	;; [unrolled: 1-line block ×3, first 2 shown]
	v_cmp_lt_u32_e32 vcc_lo, 45, v7
	s_or_b32 s5, vcc_lo, s5
	s_waitcnt vmcnt(2) lgkmcnt(0)
	v_mul_f64 v[126:127], v[120:121], v[122:123]
	v_mul_f64 v[122:123], v[118:119], v[122:123]
	s_waitcnt vmcnt(0)
	v_fma_f64 v[118:119], v[118:119], v[124:125], -v[126:127]
	v_fma_f64 v[120:121], v[120:121], v[124:125], v[122:123]
	v_add_f64 v[3:4], v[3:4], v[118:119]
	v_add_f64 v[1:2], v[1:2], v[120:121]
	s_andn2_b32 exec_lo, exec_lo, s5
	s_cbranch_execnz .LBB116_201
; %bb.202:
	s_or_b32 exec_lo, exec_lo, s5
	v_mov_b32_e32 v7, 0
	ds_read_b128 v[118:121], v7 offset:752
	s_waitcnt lgkmcnt(0)
	v_mul_f64 v[7:8], v[1:2], v[120:121]
	v_mul_f64 v[115:116], v[3:4], v[120:121]
	v_fma_f64 v[3:4], v[3:4], v[118:119], -v[7:8]
	v_fma_f64 v[1:2], v[1:2], v[118:119], v[115:116]
	buffer_store_dword v4, off, s[0:3], 0 offset:772
	buffer_store_dword v3, off, s[0:3], 0 offset:768
	;; [unrolled: 1-line block ×4, first 2 shown]
.LBB116_203:
	s_or_b32 exec_lo, exec_lo, s4
	v_mov_b32_e32 v4, s16
	s_waitcnt_vscnt null, 0x0
	s_barrier
	buffer_gl0_inv
	s_mov_b32 s4, exec_lo
	s_clause 0x3
	buffer_load_dword v1, v4, s[0:3], 0 offen
	buffer_load_dword v2, v4, s[0:3], 0 offen offset:4
	buffer_load_dword v3, v4, s[0:3], 0 offen offset:8
	;; [unrolled: 1-line block ×3, first 2 shown]
	s_waitcnt vmcnt(0)
	ds_write_b128 v5, v[1:4]
	s_waitcnt lgkmcnt(0)
	s_barrier
	buffer_gl0_inv
	v_cmpx_gt_u32_e32 48, v0
	s_cbranch_execz .LBB116_207
; %bb.204:
	v_mov_b32_e32 v1, 0
	v_mov_b32_e32 v3, 0
	v_add_nc_u32_e32 v7, -1, v0
	v_add_nc_u32_e32 v8, 0x350, v117
	v_mov_b32_e32 v2, 0
	v_mov_b32_e32 v4, 0
	v_add_nc_u32_e32 v115, 16, v117
	s_mov_b32 s5, 0
	.p2align	6
.LBB116_205:                            ; =>This Inner Loop Header: Depth=1
	s_clause 0x3
	buffer_load_dword v122, v115, s[0:3], 0 offen offset:8
	buffer_load_dword v123, v115, s[0:3], 0 offen offset:12
	buffer_load_dword v124, v115, s[0:3], 0 offen
	buffer_load_dword v125, v115, s[0:3], 0 offen offset:4
	ds_read_b128 v[118:121], v8
	v_add_nc_u32_e32 v7, 1, v7
	v_add_nc_u32_e32 v8, 16, v8
	;; [unrolled: 1-line block ×3, first 2 shown]
	v_cmp_lt_u32_e32 vcc_lo, 46, v7
	s_or_b32 s5, vcc_lo, s5
	s_waitcnt vmcnt(2) lgkmcnt(0)
	v_mul_f64 v[126:127], v[120:121], v[122:123]
	v_mul_f64 v[122:123], v[118:119], v[122:123]
	s_waitcnt vmcnt(0)
	v_fma_f64 v[118:119], v[118:119], v[124:125], -v[126:127]
	v_fma_f64 v[120:121], v[120:121], v[124:125], v[122:123]
	v_add_f64 v[3:4], v[3:4], v[118:119]
	v_add_f64 v[1:2], v[1:2], v[120:121]
	s_andn2_b32 exec_lo, exec_lo, s5
	s_cbranch_execnz .LBB116_205
; %bb.206:
	s_or_b32 exec_lo, exec_lo, s5
	v_mov_b32_e32 v7, 0
	ds_read_b128 v[118:121], v7 offset:768
	s_waitcnt lgkmcnt(0)
	v_mul_f64 v[7:8], v[1:2], v[120:121]
	v_mul_f64 v[115:116], v[3:4], v[120:121]
	v_fma_f64 v[3:4], v[3:4], v[118:119], -v[7:8]
	v_fma_f64 v[1:2], v[1:2], v[118:119], v[115:116]
	buffer_store_dword v4, off, s[0:3], 0 offset:788
	buffer_store_dword v3, off, s[0:3], 0 offset:784
	;; [unrolled: 1-line block ×4, first 2 shown]
.LBB116_207:
	s_or_b32 exec_lo, exec_lo, s4
	v_mov_b32_e32 v4, s15
	s_waitcnt_vscnt null, 0x0
	s_barrier
	buffer_gl0_inv
	s_mov_b32 s4, exec_lo
	s_clause 0x3
	buffer_load_dword v1, v4, s[0:3], 0 offen
	buffer_load_dword v2, v4, s[0:3], 0 offen offset:4
	buffer_load_dword v3, v4, s[0:3], 0 offen offset:8
	;; [unrolled: 1-line block ×3, first 2 shown]
	s_waitcnt vmcnt(0)
	ds_write_b128 v5, v[1:4]
	s_waitcnt lgkmcnt(0)
	s_barrier
	buffer_gl0_inv
	v_cmpx_gt_u32_e32 49, v0
	s_cbranch_execz .LBB116_211
; %bb.208:
	v_mov_b32_e32 v1, 0
	v_mov_b32_e32 v3, 0
	v_add_nc_u32_e32 v7, -1, v0
	v_add_nc_u32_e32 v8, 0x350, v117
	v_mov_b32_e32 v2, 0
	v_mov_b32_e32 v4, 0
	v_add_nc_u32_e32 v115, 16, v117
	s_mov_b32 s5, 0
	.p2align	6
.LBB116_209:                            ; =>This Inner Loop Header: Depth=1
	s_clause 0x3
	buffer_load_dword v122, v115, s[0:3], 0 offen offset:8
	buffer_load_dword v123, v115, s[0:3], 0 offen offset:12
	buffer_load_dword v124, v115, s[0:3], 0 offen
	buffer_load_dword v125, v115, s[0:3], 0 offen offset:4
	ds_read_b128 v[118:121], v8
	v_add_nc_u32_e32 v7, 1, v7
	v_add_nc_u32_e32 v8, 16, v8
	;; [unrolled: 1-line block ×3, first 2 shown]
	v_cmp_lt_u32_e32 vcc_lo, 47, v7
	s_or_b32 s5, vcc_lo, s5
	s_waitcnt vmcnt(2) lgkmcnt(0)
	v_mul_f64 v[126:127], v[120:121], v[122:123]
	v_mul_f64 v[122:123], v[118:119], v[122:123]
	s_waitcnt vmcnt(0)
	v_fma_f64 v[118:119], v[118:119], v[124:125], -v[126:127]
	v_fma_f64 v[120:121], v[120:121], v[124:125], v[122:123]
	v_add_f64 v[3:4], v[3:4], v[118:119]
	v_add_f64 v[1:2], v[1:2], v[120:121]
	s_andn2_b32 exec_lo, exec_lo, s5
	s_cbranch_execnz .LBB116_209
; %bb.210:
	s_or_b32 exec_lo, exec_lo, s5
	v_mov_b32_e32 v7, 0
	ds_read_b128 v[118:121], v7 offset:784
	s_waitcnt lgkmcnt(0)
	v_mul_f64 v[7:8], v[1:2], v[120:121]
	v_mul_f64 v[115:116], v[3:4], v[120:121]
	v_fma_f64 v[3:4], v[3:4], v[118:119], -v[7:8]
	v_fma_f64 v[1:2], v[1:2], v[118:119], v[115:116]
	buffer_store_dword v4, off, s[0:3], 0 offset:804
	buffer_store_dword v3, off, s[0:3], 0 offset:800
	;; [unrolled: 1-line block ×4, first 2 shown]
.LBB116_211:
	s_or_b32 exec_lo, exec_lo, s4
	v_mov_b32_e32 v4, s14
	s_waitcnt_vscnt null, 0x0
	s_barrier
	buffer_gl0_inv
	s_mov_b32 s4, exec_lo
	s_clause 0x3
	buffer_load_dword v1, v4, s[0:3], 0 offen
	buffer_load_dword v2, v4, s[0:3], 0 offen offset:4
	buffer_load_dword v3, v4, s[0:3], 0 offen offset:8
	;; [unrolled: 1-line block ×3, first 2 shown]
	s_waitcnt vmcnt(0)
	ds_write_b128 v5, v[1:4]
	s_waitcnt lgkmcnt(0)
	s_barrier
	buffer_gl0_inv
	v_cmpx_gt_u32_e32 50, v0
	s_cbranch_execz .LBB116_215
; %bb.212:
	v_mov_b32_e32 v1, 0
	v_mov_b32_e32 v3, 0
	v_add_nc_u32_e32 v7, -1, v0
	v_add_nc_u32_e32 v8, 0x350, v117
	v_mov_b32_e32 v2, 0
	v_mov_b32_e32 v4, 0
	v_add_nc_u32_e32 v115, 16, v117
	s_mov_b32 s5, 0
	.p2align	6
.LBB116_213:                            ; =>This Inner Loop Header: Depth=1
	s_clause 0x3
	buffer_load_dword v122, v115, s[0:3], 0 offen offset:8
	buffer_load_dword v123, v115, s[0:3], 0 offen offset:12
	buffer_load_dword v124, v115, s[0:3], 0 offen
	buffer_load_dword v125, v115, s[0:3], 0 offen offset:4
	ds_read_b128 v[118:121], v8
	v_add_nc_u32_e32 v7, 1, v7
	v_add_nc_u32_e32 v8, 16, v8
	;; [unrolled: 1-line block ×3, first 2 shown]
	v_cmp_lt_u32_e32 vcc_lo, 48, v7
	s_or_b32 s5, vcc_lo, s5
	s_waitcnt vmcnt(2) lgkmcnt(0)
	v_mul_f64 v[126:127], v[120:121], v[122:123]
	v_mul_f64 v[122:123], v[118:119], v[122:123]
	s_waitcnt vmcnt(0)
	v_fma_f64 v[118:119], v[118:119], v[124:125], -v[126:127]
	v_fma_f64 v[120:121], v[120:121], v[124:125], v[122:123]
	v_add_f64 v[3:4], v[3:4], v[118:119]
	v_add_f64 v[1:2], v[1:2], v[120:121]
	s_andn2_b32 exec_lo, exec_lo, s5
	s_cbranch_execnz .LBB116_213
; %bb.214:
	s_or_b32 exec_lo, exec_lo, s5
	v_mov_b32_e32 v7, 0
	ds_read_b128 v[118:121], v7 offset:800
	s_waitcnt lgkmcnt(0)
	v_mul_f64 v[7:8], v[1:2], v[120:121]
	v_mul_f64 v[115:116], v[3:4], v[120:121]
	v_fma_f64 v[3:4], v[3:4], v[118:119], -v[7:8]
	v_fma_f64 v[1:2], v[1:2], v[118:119], v[115:116]
	buffer_store_dword v4, off, s[0:3], 0 offset:820
	buffer_store_dword v3, off, s[0:3], 0 offset:816
	;; [unrolled: 1-line block ×4, first 2 shown]
.LBB116_215:
	s_or_b32 exec_lo, exec_lo, s4
	v_mov_b32_e32 v4, s9
	s_waitcnt_vscnt null, 0x0
	s_barrier
	buffer_gl0_inv
	s_mov_b32 s4, exec_lo
	s_clause 0x3
	buffer_load_dword v1, v4, s[0:3], 0 offen
	buffer_load_dword v2, v4, s[0:3], 0 offen offset:4
	buffer_load_dword v3, v4, s[0:3], 0 offen offset:8
	;; [unrolled: 1-line block ×3, first 2 shown]
	s_waitcnt vmcnt(0)
	ds_write_b128 v5, v[1:4]
	s_waitcnt lgkmcnt(0)
	s_barrier
	buffer_gl0_inv
	v_cmpx_gt_u32_e32 51, v0
	s_cbranch_execz .LBB116_219
; %bb.216:
	v_mov_b32_e32 v1, 0
	v_mov_b32_e32 v3, 0
	v_add_nc_u32_e32 v7, -1, v0
	v_add_nc_u32_e32 v8, 0x350, v117
	v_mov_b32_e32 v2, 0
	v_mov_b32_e32 v4, 0
	v_add_nc_u32_e32 v115, 16, v117
	s_mov_b32 s5, 0
	.p2align	6
.LBB116_217:                            ; =>This Inner Loop Header: Depth=1
	s_clause 0x3
	buffer_load_dword v122, v115, s[0:3], 0 offen offset:8
	buffer_load_dword v123, v115, s[0:3], 0 offen offset:12
	buffer_load_dword v124, v115, s[0:3], 0 offen
	buffer_load_dword v125, v115, s[0:3], 0 offen offset:4
	ds_read_b128 v[118:121], v8
	v_add_nc_u32_e32 v7, 1, v7
	v_add_nc_u32_e32 v8, 16, v8
	;; [unrolled: 1-line block ×3, first 2 shown]
	v_cmp_lt_u32_e32 vcc_lo, 49, v7
	s_or_b32 s5, vcc_lo, s5
	s_waitcnt vmcnt(2) lgkmcnt(0)
	v_mul_f64 v[126:127], v[120:121], v[122:123]
	v_mul_f64 v[122:123], v[118:119], v[122:123]
	s_waitcnt vmcnt(0)
	v_fma_f64 v[118:119], v[118:119], v[124:125], -v[126:127]
	v_fma_f64 v[120:121], v[120:121], v[124:125], v[122:123]
	v_add_f64 v[3:4], v[3:4], v[118:119]
	v_add_f64 v[1:2], v[1:2], v[120:121]
	s_andn2_b32 exec_lo, exec_lo, s5
	s_cbranch_execnz .LBB116_217
; %bb.218:
	s_or_b32 exec_lo, exec_lo, s5
	v_mov_b32_e32 v7, 0
	ds_read_b128 v[118:121], v7 offset:816
	s_waitcnt lgkmcnt(0)
	v_mul_f64 v[7:8], v[1:2], v[120:121]
	v_mul_f64 v[115:116], v[3:4], v[120:121]
	v_fma_f64 v[3:4], v[3:4], v[118:119], -v[7:8]
	v_fma_f64 v[1:2], v[1:2], v[118:119], v[115:116]
	buffer_store_dword v4, off, s[0:3], 0 offset:836
	buffer_store_dword v3, off, s[0:3], 0 offset:832
	;; [unrolled: 1-line block ×4, first 2 shown]
.LBB116_219:
	s_or_b32 exec_lo, exec_lo, s4
	v_mov_b32_e32 v4, s8
	s_waitcnt_vscnt null, 0x0
	s_barrier
	buffer_gl0_inv
	s_mov_b32 s4, exec_lo
	s_clause 0x3
	buffer_load_dword v1, v4, s[0:3], 0 offen
	buffer_load_dword v2, v4, s[0:3], 0 offen offset:4
	buffer_load_dword v3, v4, s[0:3], 0 offen offset:8
	buffer_load_dword v4, v4, s[0:3], 0 offen offset:12
	s_waitcnt vmcnt(0)
	ds_write_b128 v5, v[1:4]
	s_waitcnt lgkmcnt(0)
	s_barrier
	buffer_gl0_inv
	v_cmpx_ne_u32_e32 52, v0
	s_cbranch_execz .LBB116_223
; %bb.220:
	v_mov_b32_e32 v1, 0
	v_mov_b32_e32 v3, 0
	;; [unrolled: 1-line block ×4, first 2 shown]
	v_add_nc_u32_e32 v7, 16, v117
	s_mov_b32 s5, 0
	.p2align	6
.LBB116_221:                            ; =>This Inner Loop Header: Depth=1
	s_clause 0x3
	buffer_load_dword v119, v7, s[0:3], 0 offen offset:8
	buffer_load_dword v120, v7, s[0:3], 0 offen offset:12
	buffer_load_dword v121, v7, s[0:3], 0 offen
	buffer_load_dword v122, v7, s[0:3], 0 offen offset:4
	ds_read_b128 v[115:118], v5
	v_add_nc_u32_e32 v6, 1, v6
	v_add_nc_u32_e32 v5, 16, v5
	;; [unrolled: 1-line block ×3, first 2 shown]
	v_cmp_lt_u32_e32 vcc_lo, 50, v6
	s_or_b32 s5, vcc_lo, s5
	s_waitcnt vmcnt(2) lgkmcnt(0)
	v_mul_f64 v[123:124], v[117:118], v[119:120]
	v_mul_f64 v[119:120], v[115:116], v[119:120]
	s_waitcnt vmcnt(0)
	v_fma_f64 v[115:116], v[115:116], v[121:122], -v[123:124]
	v_fma_f64 v[117:118], v[117:118], v[121:122], v[119:120]
	v_add_f64 v[3:4], v[3:4], v[115:116]
	v_add_f64 v[1:2], v[1:2], v[117:118]
	s_andn2_b32 exec_lo, exec_lo, s5
	s_cbranch_execnz .LBB116_221
; %bb.222:
	s_or_b32 exec_lo, exec_lo, s5
	v_mov_b32_e32 v5, 0
	ds_read_b128 v[5:8], v5 offset:832
	s_waitcnt lgkmcnt(0)
	v_mul_f64 v[115:116], v[1:2], v[7:8]
	v_mul_f64 v[7:8], v[3:4], v[7:8]
	v_fma_f64 v[3:4], v[3:4], v[5:6], -v[115:116]
	v_fma_f64 v[1:2], v[1:2], v[5:6], v[7:8]
	buffer_store_dword v4, off, s[0:3], 0 offset:852
	buffer_store_dword v3, off, s[0:3], 0 offset:848
	;; [unrolled: 1-line block ×4, first 2 shown]
.LBB116_223:
	s_or_b32 exec_lo, exec_lo, s4
	s_mov_b32 s5, -1
	s_waitcnt_vscnt null, 0x0
	s_barrier
	buffer_gl0_inv
.LBB116_224:
	s_and_b32 vcc_lo, exec_lo, s5
	s_cbranch_vccz .LBB116_226
; %bb.225:
	s_lshl_b64 s[4:5], s[6:7], 2
	v_mov_b32_e32 v1, 0
	s_add_u32 s4, s10, s4
	s_addc_u32 s5, s11, s5
	global_load_dword v1, v1, s[4:5]
	s_waitcnt vmcnt(0)
	v_cmp_ne_u32_e32 vcc_lo, 0, v1
	s_cbranch_vccz .LBB116_227
.LBB116_226:
	s_endpgm
.LBB116_227:
	v_lshl_add_u32 v175, v0, 4, 0x350
	s_mov_b32 s4, exec_lo
	v_cmpx_eq_u32_e32 52, v0
	s_cbranch_execz .LBB116_229
; %bb.228:
	v_mov_b32_e32 v4, s9
	v_mov_b32_e32 v5, 0
	s_clause 0x3
	buffer_load_dword v1, v4, s[0:3], 0 offen
	buffer_load_dword v2, v4, s[0:3], 0 offen offset:4
	buffer_load_dword v3, v4, s[0:3], 0 offen offset:8
	;; [unrolled: 1-line block ×3, first 2 shown]
	buffer_store_dword v5, off, s[0:3], 0 offset:832
	buffer_store_dword v5, off, s[0:3], 0 offset:836
	;; [unrolled: 1-line block ×4, first 2 shown]
	s_waitcnt vmcnt(0)
	ds_write_b128 v175, v[1:4]
.LBB116_229:
	s_or_b32 exec_lo, exec_lo, s4
	s_waitcnt lgkmcnt(0)
	s_waitcnt_vscnt null, 0x0
	s_barrier
	buffer_gl0_inv
	s_clause 0x7
	buffer_load_dword v6, off, s[0:3], 0 offset:856
	buffer_load_dword v7, off, s[0:3], 0 offset:860
	;; [unrolled: 1-line block ×8, first 2 shown]
	v_mov_b32_e32 v1, 0
	s_mov_b32 s4, exec_lo
	ds_read_b128 v[2:5], v1 offset:1680
	s_waitcnt vmcnt(6) lgkmcnt(0)
	v_mul_f64 v[121:122], v[4:5], v[6:7]
	v_mul_f64 v[6:7], v[2:3], v[6:7]
	s_waitcnt vmcnt(4)
	v_fma_f64 v[2:3], v[2:3], v[115:116], -v[121:122]
	v_fma_f64 v[4:5], v[4:5], v[115:116], v[6:7]
	v_add_f64 v[2:3], v[2:3], 0
	v_add_f64 v[4:5], v[4:5], 0
	s_waitcnt vmcnt(2)
	v_add_f64 v[2:3], v[117:118], -v[2:3]
	s_waitcnt vmcnt(0)
	v_add_f64 v[4:5], v[119:120], -v[4:5]
	buffer_store_dword v2, off, s[0:3], 0 offset:832
	buffer_store_dword v3, off, s[0:3], 0 offset:836
	;; [unrolled: 1-line block ×4, first 2 shown]
	v_cmpx_lt_u32_e32 50, v0
	s_cbranch_execz .LBB116_231
; %bb.230:
	v_mov_b32_e32 v5, s14
	s_clause 0x3
	buffer_load_dword v2, v5, s[0:3], 0 offen
	buffer_load_dword v3, v5, s[0:3], 0 offen offset:4
	buffer_load_dword v4, v5, s[0:3], 0 offen offset:8
	;; [unrolled: 1-line block ×3, first 2 shown]
	buffer_store_dword v1, off, s[0:3], 0 offset:816
	buffer_store_dword v1, off, s[0:3], 0 offset:820
	;; [unrolled: 1-line block ×4, first 2 shown]
	s_waitcnt vmcnt(0)
	ds_write_b128 v175, v[2:5]
.LBB116_231:
	s_or_b32 exec_lo, exec_lo, s4
	s_waitcnt lgkmcnt(0)
	s_waitcnt_vscnt null, 0x0
	s_barrier
	buffer_gl0_inv
	s_clause 0xb
	buffer_load_dword v6, off, s[0:3], 0 offset:840
	buffer_load_dword v7, off, s[0:3], 0 offset:844
	;; [unrolled: 1-line block ×12, first 2 shown]
	ds_read_b128 v[2:5], v1 offset:1664
	ds_read_b128 v[115:118], v1 offset:1680
	s_mov_b32 s4, exec_lo
	s_waitcnt vmcnt(10) lgkmcnt(1)
	v_mul_f64 v[129:130], v[4:5], v[6:7]
	v_mul_f64 v[6:7], v[2:3], v[6:7]
	s_waitcnt vmcnt(8) lgkmcnt(0)
	v_mul_f64 v[131:132], v[117:118], v[119:120]
	v_mul_f64 v[119:120], v[115:116], v[119:120]
	s_waitcnt vmcnt(6)
	v_fma_f64 v[1:2], v[2:3], v[121:122], -v[129:130]
	v_fma_f64 v[3:4], v[4:5], v[121:122], v[6:7]
	s_waitcnt vmcnt(4)
	v_fma_f64 v[5:6], v[115:116], v[123:124], -v[131:132]
	v_fma_f64 v[7:8], v[117:118], v[123:124], v[119:120]
	v_add_f64 v[1:2], v[1:2], 0
	v_add_f64 v[3:4], v[3:4], 0
	;; [unrolled: 1-line block ×4, first 2 shown]
	s_waitcnt vmcnt(2)
	v_add_f64 v[1:2], v[125:126], -v[1:2]
	s_waitcnt vmcnt(0)
	v_add_f64 v[3:4], v[127:128], -v[3:4]
	buffer_store_dword v1, off, s[0:3], 0 offset:816
	buffer_store_dword v2, off, s[0:3], 0 offset:820
	;; [unrolled: 1-line block ×4, first 2 shown]
	v_cmpx_lt_u32_e32 49, v0
	s_cbranch_execz .LBB116_233
; %bb.232:
	v_mov_b32_e32 v4, s15
	v_mov_b32_e32 v5, 0
	s_clause 0x3
	buffer_load_dword v1, v4, s[0:3], 0 offen
	buffer_load_dword v2, v4, s[0:3], 0 offen offset:4
	buffer_load_dword v3, v4, s[0:3], 0 offen offset:8
	;; [unrolled: 1-line block ×3, first 2 shown]
	buffer_store_dword v5, off, s[0:3], 0 offset:800
	buffer_store_dword v5, off, s[0:3], 0 offset:804
	;; [unrolled: 1-line block ×4, first 2 shown]
	s_waitcnt vmcnt(0)
	ds_write_b128 v175, v[1:4]
.LBB116_233:
	s_or_b32 exec_lo, exec_lo, s4
	s_waitcnt lgkmcnt(0)
	s_waitcnt_vscnt null, 0x0
	s_barrier
	buffer_gl0_inv
	s_clause 0xf
	buffer_load_dword v6, off, s[0:3], 0 offset:824
	buffer_load_dword v7, off, s[0:3], 0 offset:828
	;; [unrolled: 1-line block ×16, first 2 shown]
	v_mov_b32_e32 v1, 0
	ds_read_b128 v[2:5], v1 offset:1648
	ds_read_b128 v[115:118], v1 offset:1664
	;; [unrolled: 1-line block ×3, first 2 shown]
	s_mov_b32 s4, exec_lo
	s_waitcnt vmcnt(14) lgkmcnt(2)
	v_mul_f64 v[137:138], v[4:5], v[6:7]
	v_mul_f64 v[6:7], v[2:3], v[6:7]
	s_waitcnt vmcnt(12) lgkmcnt(1)
	v_mul_f64 v[139:140], v[117:118], v[123:124]
	v_mul_f64 v[123:124], v[115:116], v[123:124]
	s_waitcnt vmcnt(10)
	v_fma_f64 v[2:3], v[2:3], v[125:126], -v[137:138]
	v_fma_f64 v[4:5], v[4:5], v[125:126], v[6:7]
	s_waitcnt vmcnt(8) lgkmcnt(0)
	v_mul_f64 v[125:126], v[121:122], v[127:128]
	s_waitcnt vmcnt(6)
	v_fma_f64 v[115:116], v[115:116], v[129:130], -v[139:140]
	v_mul_f64 v[6:7], v[119:120], v[127:128]
	v_fma_f64 v[117:118], v[117:118], v[129:130], v[123:124]
	v_add_f64 v[2:3], v[2:3], 0
	v_add_f64 v[4:5], v[4:5], 0
	s_waitcnt vmcnt(4)
	v_fma_f64 v[119:120], v[119:120], v[131:132], -v[125:126]
	v_fma_f64 v[6:7], v[121:122], v[131:132], v[6:7]
	v_add_f64 v[2:3], v[2:3], v[115:116]
	v_add_f64 v[4:5], v[4:5], v[117:118]
	v_add_f64 v[2:3], v[2:3], v[119:120]
	v_add_f64 v[4:5], v[4:5], v[6:7]
	s_waitcnt vmcnt(2)
	v_add_f64 v[2:3], v[133:134], -v[2:3]
	s_waitcnt vmcnt(0)
	v_add_f64 v[4:5], v[135:136], -v[4:5]
	buffer_store_dword v2, off, s[0:3], 0 offset:800
	buffer_store_dword v3, off, s[0:3], 0 offset:804
	;; [unrolled: 1-line block ×4, first 2 shown]
	v_cmpx_lt_u32_e32 48, v0
	s_cbranch_execz .LBB116_235
; %bb.234:
	v_mov_b32_e32 v5, s16
	s_clause 0x3
	buffer_load_dword v2, v5, s[0:3], 0 offen
	buffer_load_dword v3, v5, s[0:3], 0 offen offset:4
	buffer_load_dword v4, v5, s[0:3], 0 offen offset:8
	;; [unrolled: 1-line block ×3, first 2 shown]
	buffer_store_dword v1, off, s[0:3], 0 offset:784
	buffer_store_dword v1, off, s[0:3], 0 offset:788
	;; [unrolled: 1-line block ×4, first 2 shown]
	s_waitcnt vmcnt(0)
	ds_write_b128 v175, v[2:5]
.LBB116_235:
	s_or_b32 exec_lo, exec_lo, s4
	s_waitcnt lgkmcnt(0)
	s_waitcnt_vscnt null, 0x0
	s_barrier
	buffer_gl0_inv
	s_clause 0x13
	buffer_load_dword v6, off, s[0:3], 0 offset:808
	buffer_load_dword v7, off, s[0:3], 0 offset:812
	;; [unrolled: 1-line block ×20, first 2 shown]
	ds_read_b128 v[2:5], v1 offset:1632
	ds_read_b128 v[115:118], v1 offset:1648
	;; [unrolled: 1-line block ×3, first 2 shown]
	s_mov_b32 s4, exec_lo
	s_waitcnt vmcnt(18) lgkmcnt(2)
	v_mul_f64 v[141:142], v[4:5], v[6:7]
	v_mul_f64 v[6:7], v[2:3], v[6:7]
	s_waitcnt vmcnt(16) lgkmcnt(1)
	v_mul_f64 v[143:144], v[117:118], v[123:124]
	v_mul_f64 v[123:124], v[115:116], v[123:124]
	s_waitcnt vmcnt(14)
	v_fma_f64 v[141:142], v[2:3], v[125:126], -v[141:142]
	v_fma_f64 v[5:6], v[4:5], v[125:126], v[6:7]
	s_waitcnt vmcnt(12) lgkmcnt(0)
	v_mul_f64 v[7:8], v[119:120], v[127:128]
	v_mul_f64 v[125:126], v[121:122], v[127:128]
	s_waitcnt vmcnt(10)
	v_fma_f64 v[115:116], v[115:116], v[129:130], -v[143:144]
	ds_read_b128 v[1:4], v1 offset:1680
	v_fma_f64 v[117:118], v[117:118], v[129:130], v[123:124]
	v_add_f64 v[127:128], v[141:142], 0
	v_add_f64 v[5:6], v[5:6], 0
	s_waitcnt vmcnt(6)
	v_fma_f64 v[7:8], v[121:122], v[133:134], v[7:8]
	s_waitcnt lgkmcnt(0)
	v_mul_f64 v[129:130], v[3:4], v[131:132]
	v_fma_f64 v[119:120], v[119:120], v[133:134], -v[125:126]
	v_mul_f64 v[123:124], v[1:2], v[131:132]
	v_add_f64 v[115:116], v[127:128], v[115:116]
	v_add_f64 v[5:6], v[5:6], v[117:118]
	s_waitcnt vmcnt(4)
	v_fma_f64 v[1:2], v[1:2], v[135:136], -v[129:130]
	v_fma_f64 v[3:4], v[3:4], v[135:136], v[123:124]
	v_add_f64 v[115:116], v[115:116], v[119:120]
	v_add_f64 v[5:6], v[5:6], v[7:8]
	;; [unrolled: 1-line block ×4, first 2 shown]
	s_waitcnt vmcnt(2)
	v_add_f64 v[1:2], v[137:138], -v[1:2]
	s_waitcnt vmcnt(0)
	v_add_f64 v[3:4], v[139:140], -v[3:4]
	buffer_store_dword v1, off, s[0:3], 0 offset:784
	buffer_store_dword v2, off, s[0:3], 0 offset:788
	;; [unrolled: 1-line block ×4, first 2 shown]
	v_cmpx_lt_u32_e32 47, v0
	s_cbranch_execz .LBB116_237
; %bb.236:
	v_mov_b32_e32 v4, s17
	v_mov_b32_e32 v5, 0
	s_clause 0x3
	buffer_load_dword v1, v4, s[0:3], 0 offen
	buffer_load_dword v2, v4, s[0:3], 0 offen offset:4
	buffer_load_dword v3, v4, s[0:3], 0 offen offset:8
	;; [unrolled: 1-line block ×3, first 2 shown]
	buffer_store_dword v5, off, s[0:3], 0 offset:768
	buffer_store_dword v5, off, s[0:3], 0 offset:772
	;; [unrolled: 1-line block ×4, first 2 shown]
	s_waitcnt vmcnt(0)
	ds_write_b128 v175, v[1:4]
.LBB116_237:
	s_or_b32 exec_lo, exec_lo, s4
	s_waitcnt lgkmcnt(0)
	s_waitcnt_vscnt null, 0x0
	s_barrier
	buffer_gl0_inv
	s_clause 0x17
	buffer_load_dword v6, off, s[0:3], 0 offset:792
	buffer_load_dword v7, off, s[0:3], 0 offset:796
	;; [unrolled: 1-line block ×24, first 2 shown]
	v_mov_b32_e32 v1, 0
	ds_read_b128 v[2:5], v1 offset:1616
	ds_read_b128 v[115:118], v1 offset:1632
	;; [unrolled: 1-line block ×3, first 2 shown]
	s_mov_b32 s4, exec_lo
	s_waitcnt vmcnt(22) lgkmcnt(2)
	v_mul_f64 v[145:146], v[4:5], v[6:7]
	v_mul_f64 v[6:7], v[2:3], v[6:7]
	s_waitcnt vmcnt(20) lgkmcnt(1)
	v_mul_f64 v[147:148], v[117:118], v[123:124]
	v_mul_f64 v[123:124], v[115:116], v[123:124]
	s_waitcnt vmcnt(18)
	v_fma_f64 v[145:146], v[2:3], v[125:126], -v[145:146]
	v_fma_f64 v[6:7], v[4:5], v[125:126], v[6:7]
	ds_read_b128 v[2:5], v1 offset:1664
	s_waitcnt vmcnt(16) lgkmcnt(1)
	v_mul_f64 v[125:126], v[119:120], v[127:128]
	v_mul_f64 v[127:128], v[121:122], v[127:128]
	s_waitcnt vmcnt(14)
	v_fma_f64 v[147:148], v[115:116], v[129:130], -v[147:148]
	v_fma_f64 v[123:124], v[117:118], v[129:130], v[123:124]
	ds_read_b128 v[115:118], v1 offset:1680
	s_waitcnt vmcnt(10) lgkmcnt(1)
	v_mul_f64 v[129:130], v[2:3], v[131:132]
	v_add_f64 v[145:146], v[145:146], 0
	v_add_f64 v[6:7], v[6:7], 0
	v_mul_f64 v[131:132], v[4:5], v[131:132]
	s_waitcnt vmcnt(8)
	v_fma_f64 v[119:120], v[119:120], v[137:138], -v[127:128]
	v_fma_f64 v[121:122], v[121:122], v[137:138], v[125:126]
	s_waitcnt vmcnt(7) lgkmcnt(0)
	v_mul_f64 v[125:126], v[117:118], v[133:134]
	s_waitcnt vmcnt(5)
	v_fma_f64 v[4:5], v[4:5], v[139:140], v[129:130]
	v_add_f64 v[127:128], v[145:146], v[147:148]
	v_add_f64 v[6:7], v[6:7], v[123:124]
	v_fma_f64 v[2:3], v[2:3], v[139:140], -v[131:132]
	v_mul_f64 v[123:124], v[115:116], v[133:134]
	s_waitcnt vmcnt(4)
	v_fma_f64 v[115:116], v[115:116], v[135:136], -v[125:126]
	v_add_f64 v[119:120], v[127:128], v[119:120]
	v_add_f64 v[6:7], v[6:7], v[121:122]
	v_fma_f64 v[117:118], v[117:118], v[135:136], v[123:124]
	v_add_f64 v[2:3], v[119:120], v[2:3]
	v_add_f64 v[4:5], v[6:7], v[4:5]
	;; [unrolled: 1-line block ×4, first 2 shown]
	s_waitcnt vmcnt(2)
	v_add_f64 v[2:3], v[141:142], -v[2:3]
	s_waitcnt vmcnt(0)
	v_add_f64 v[4:5], v[143:144], -v[4:5]
	buffer_store_dword v3, off, s[0:3], 0 offset:772
	buffer_store_dword v2, off, s[0:3], 0 offset:768
	;; [unrolled: 1-line block ×4, first 2 shown]
	v_cmpx_lt_u32_e32 46, v0
	s_cbranch_execz .LBB116_239
; %bb.238:
	v_mov_b32_e32 v5, s18
	s_clause 0x3
	buffer_load_dword v2, v5, s[0:3], 0 offen
	buffer_load_dword v3, v5, s[0:3], 0 offen offset:4
	buffer_load_dword v4, v5, s[0:3], 0 offen offset:8
	buffer_load_dword v5, v5, s[0:3], 0 offen offset:12
	buffer_store_dword v1, off, s[0:3], 0 offset:752
	buffer_store_dword v1, off, s[0:3], 0 offset:756
	;; [unrolled: 1-line block ×4, first 2 shown]
	s_waitcnt vmcnt(0)
	ds_write_b128 v175, v[2:5]
.LBB116_239:
	s_or_b32 exec_lo, exec_lo, s4
	s_waitcnt lgkmcnt(0)
	s_waitcnt_vscnt null, 0x0
	s_barrier
	buffer_gl0_inv
	s_clause 0x1b
	buffer_load_dword v6, off, s[0:3], 0 offset:776
	buffer_load_dword v7, off, s[0:3], 0 offset:780
	;; [unrolled: 1-line block ×28, first 2 shown]
	ds_read_b128 v[2:5], v1 offset:1600
	ds_read_b128 v[115:118], v1 offset:1616
	;; [unrolled: 1-line block ×3, first 2 shown]
	s_mov_b32 s4, exec_lo
	s_waitcnt vmcnt(26) lgkmcnt(2)
	v_mul_f64 v[149:150], v[4:5], v[6:7]
	v_mul_f64 v[6:7], v[2:3], v[6:7]
	s_waitcnt vmcnt(24) lgkmcnt(1)
	v_mul_f64 v[151:152], v[117:118], v[123:124]
	v_mul_f64 v[123:124], v[115:116], v[123:124]
	s_waitcnt vmcnt(22)
	v_fma_f64 v[149:150], v[2:3], v[125:126], -v[149:150]
	v_fma_f64 v[6:7], v[4:5], v[125:126], v[6:7]
	ds_read_b128 v[2:5], v1 offset:1648
	s_waitcnt vmcnt(20) lgkmcnt(1)
	v_mul_f64 v[125:126], v[119:120], v[127:128]
	v_mul_f64 v[127:128], v[121:122], v[127:128]
	s_waitcnt vmcnt(18)
	v_fma_f64 v[151:152], v[115:116], v[129:130], -v[151:152]
	v_fma_f64 v[123:124], v[117:118], v[129:130], v[123:124]
	ds_read_b128 v[115:118], v1 offset:1664
	s_waitcnt vmcnt(14) lgkmcnt(1)
	v_mul_f64 v[129:130], v[2:3], v[131:132]
	v_add_f64 v[149:150], v[149:150], 0
	v_add_f64 v[6:7], v[6:7], 0
	v_mul_f64 v[131:132], v[4:5], v[131:132]
	s_waitcnt vmcnt(12)
	v_fma_f64 v[127:128], v[119:120], v[137:138], -v[127:128]
	v_fma_f64 v[125:126], v[121:122], v[137:138], v[125:126]
	ds_read_b128 v[119:122], v1 offset:1680
	v_add_f64 v[149:150], v[149:150], v[151:152]
	v_add_f64 v[6:7], v[6:7], v[123:124]
	s_waitcnt vmcnt(11) lgkmcnt(1)
	v_mul_f64 v[123:124], v[115:116], v[133:134]
	v_mul_f64 v[133:134], v[117:118], v[133:134]
	s_waitcnt vmcnt(9)
	v_fma_f64 v[1:2], v[2:3], v[139:140], -v[131:132]
	v_fma_f64 v[3:4], v[4:5], v[139:140], v[129:130]
	v_add_f64 v[127:128], v[149:150], v[127:128]
	v_add_f64 v[5:6], v[6:7], v[125:126]
	s_waitcnt vmcnt(7) lgkmcnt(0)
	v_mul_f64 v[125:126], v[121:122], v[141:142]
	s_waitcnt vmcnt(6)
	v_fma_f64 v[115:116], v[115:116], v[135:136], -v[133:134]
	v_mul_f64 v[7:8], v[119:120], v[141:142]
	v_fma_f64 v[117:118], v[117:118], v[135:136], v[123:124]
	v_add_f64 v[1:2], v[127:128], v[1:2]
	v_add_f64 v[3:4], v[5:6], v[3:4]
	s_waitcnt vmcnt(4)
	v_fma_f64 v[5:6], v[119:120], v[143:144], -v[125:126]
	v_fma_f64 v[7:8], v[121:122], v[143:144], v[7:8]
	v_add_f64 v[1:2], v[1:2], v[115:116]
	v_add_f64 v[3:4], v[3:4], v[117:118]
	v_add_f64 v[1:2], v[1:2], v[5:6]
	v_add_f64 v[3:4], v[3:4], v[7:8]
	s_waitcnt vmcnt(2)
	v_add_f64 v[1:2], v[145:146], -v[1:2]
	s_waitcnt vmcnt(0)
	v_add_f64 v[3:4], v[147:148], -v[3:4]
	buffer_store_dword v2, off, s[0:3], 0 offset:756
	buffer_store_dword v1, off, s[0:3], 0 offset:752
	;; [unrolled: 1-line block ×4, first 2 shown]
	v_cmpx_lt_u32_e32 45, v0
	s_cbranch_execz .LBB116_241
; %bb.240:
	v_mov_b32_e32 v4, s19
	v_mov_b32_e32 v5, 0
	s_clause 0x3
	buffer_load_dword v1, v4, s[0:3], 0 offen
	buffer_load_dword v2, v4, s[0:3], 0 offen offset:4
	buffer_load_dword v3, v4, s[0:3], 0 offen offset:8
	;; [unrolled: 1-line block ×3, first 2 shown]
	buffer_store_dword v5, off, s[0:3], 0 offset:736
	buffer_store_dword v5, off, s[0:3], 0 offset:740
	;; [unrolled: 1-line block ×4, first 2 shown]
	s_waitcnt vmcnt(0)
	ds_write_b128 v175, v[1:4]
.LBB116_241:
	s_or_b32 exec_lo, exec_lo, s4
	s_waitcnt lgkmcnt(0)
	s_waitcnt_vscnt null, 0x0
	s_barrier
	buffer_gl0_inv
	s_clause 0x1f
	buffer_load_dword v6, off, s[0:3], 0 offset:760
	buffer_load_dword v7, off, s[0:3], 0 offset:764
	;; [unrolled: 1-line block ×32, first 2 shown]
	v_mov_b32_e32 v1, 0
	ds_read_b128 v[2:5], v1 offset:1584
	ds_read_b128 v[115:118], v1 offset:1600
	;; [unrolled: 1-line block ×3, first 2 shown]
	s_mov_b32 s4, exec_lo
	s_waitcnt vmcnt(30) lgkmcnt(2)
	v_mul_f64 v[153:154], v[4:5], v[6:7]
	v_mul_f64 v[6:7], v[2:3], v[6:7]
	s_waitcnt vmcnt(28) lgkmcnt(1)
	v_mul_f64 v[155:156], v[117:118], v[123:124]
	v_mul_f64 v[123:124], v[115:116], v[123:124]
	s_waitcnt vmcnt(26)
	v_fma_f64 v[153:154], v[2:3], v[125:126], -v[153:154]
	v_fma_f64 v[6:7], v[4:5], v[125:126], v[6:7]
	ds_read_b128 v[2:5], v1 offset:1632
	s_waitcnt vmcnt(24) lgkmcnt(1)
	v_mul_f64 v[125:126], v[119:120], v[127:128]
	v_mul_f64 v[127:128], v[121:122], v[127:128]
	s_waitcnt vmcnt(22)
	v_fma_f64 v[155:156], v[115:116], v[129:130], -v[155:156]
	v_fma_f64 v[123:124], v[117:118], v[129:130], v[123:124]
	ds_read_b128 v[115:118], v1 offset:1648
	s_waitcnt vmcnt(18) lgkmcnt(1)
	v_mul_f64 v[129:130], v[2:3], v[131:132]
	v_add_f64 v[153:154], v[153:154], 0
	v_add_f64 v[6:7], v[6:7], 0
	v_mul_f64 v[131:132], v[4:5], v[131:132]
	s_waitcnt vmcnt(16)
	v_fma_f64 v[127:128], v[119:120], v[137:138], -v[127:128]
	v_fma_f64 v[125:126], v[121:122], v[137:138], v[125:126]
	ds_read_b128 v[119:122], v1 offset:1664
	s_waitcnt vmcnt(13)
	v_fma_f64 v[129:130], v[4:5], v[139:140], v[129:130]
	v_add_f64 v[153:154], v[153:154], v[155:156]
	v_add_f64 v[6:7], v[6:7], v[123:124]
	s_waitcnt lgkmcnt(1)
	v_mul_f64 v[123:124], v[115:116], v[133:134]
	v_mul_f64 v[133:134], v[117:118], v[133:134]
	v_fma_f64 v[131:132], v[2:3], v[139:140], -v[131:132]
	s_waitcnt vmcnt(9) lgkmcnt(0)
	v_mul_f64 v[137:138], v[121:122], v[141:142]
	ds_read_b128 v[2:5], v1 offset:1680
	v_add_f64 v[127:128], v[153:154], v[127:128]
	v_add_f64 v[6:7], v[6:7], v[125:126]
	v_mul_f64 v[125:126], v[119:120], v[141:142]
	s_waitcnt vmcnt(8)
	v_fma_f64 v[115:116], v[115:116], v[135:136], -v[133:134]
	v_fma_f64 v[117:118], v[117:118], v[135:136], v[123:124]
	s_waitcnt vmcnt(5)
	v_fma_f64 v[119:120], v[119:120], v[147:148], -v[137:138]
	s_waitcnt lgkmcnt(0)
	v_mul_f64 v[123:124], v[2:3], v[143:144]
	v_add_f64 v[127:128], v[127:128], v[131:132]
	v_add_f64 v[6:7], v[6:7], v[129:130]
	v_mul_f64 v[129:130], v[4:5], v[143:144]
	v_fma_f64 v[121:122], v[121:122], v[147:148], v[125:126]
	s_waitcnt vmcnt(4)
	v_fma_f64 v[4:5], v[4:5], v[145:146], v[123:124]
	v_add_f64 v[115:116], v[127:128], v[115:116]
	v_add_f64 v[6:7], v[6:7], v[117:118]
	v_fma_f64 v[2:3], v[2:3], v[145:146], -v[129:130]
	v_add_f64 v[115:116], v[115:116], v[119:120]
	v_add_f64 v[6:7], v[6:7], v[121:122]
	;; [unrolled: 1-line block ×4, first 2 shown]
	s_waitcnt vmcnt(2)
	v_add_f64 v[2:3], v[149:150], -v[2:3]
	s_waitcnt vmcnt(0)
	v_add_f64 v[4:5], v[151:152], -v[4:5]
	buffer_store_dword v3, off, s[0:3], 0 offset:740
	buffer_store_dword v2, off, s[0:3], 0 offset:736
	;; [unrolled: 1-line block ×4, first 2 shown]
	v_cmpx_lt_u32_e32 44, v0
	s_cbranch_execz .LBB116_243
; %bb.242:
	v_mov_b32_e32 v5, s20
	s_clause 0x3
	buffer_load_dword v2, v5, s[0:3], 0 offen
	buffer_load_dword v3, v5, s[0:3], 0 offen offset:4
	buffer_load_dword v4, v5, s[0:3], 0 offen offset:8
	;; [unrolled: 1-line block ×3, first 2 shown]
	buffer_store_dword v1, off, s[0:3], 0 offset:720
	buffer_store_dword v1, off, s[0:3], 0 offset:724
	;; [unrolled: 1-line block ×4, first 2 shown]
	s_waitcnt vmcnt(0)
	ds_write_b128 v175, v[2:5]
.LBB116_243:
	s_or_b32 exec_lo, exec_lo, s4
	s_waitcnt lgkmcnt(0)
	s_waitcnt_vscnt null, 0x0
	s_barrier
	buffer_gl0_inv
	s_clause 0x23
	buffer_load_dword v6, off, s[0:3], 0 offset:744
	buffer_load_dword v7, off, s[0:3], 0 offset:748
	;; [unrolled: 1-line block ×36, first 2 shown]
	ds_read_b128 v[2:5], v1 offset:1568
	ds_read_b128 v[115:118], v1 offset:1584
	;; [unrolled: 1-line block ×3, first 2 shown]
	s_mov_b32 s4, exec_lo
	s_waitcnt vmcnt(34) lgkmcnt(2)
	v_mul_f64 v[157:158], v[4:5], v[6:7]
	v_mul_f64 v[6:7], v[2:3], v[6:7]
	s_waitcnt vmcnt(32) lgkmcnt(1)
	v_mul_f64 v[159:160], v[117:118], v[123:124]
	v_mul_f64 v[123:124], v[115:116], v[123:124]
	s_waitcnt vmcnt(30)
	v_fma_f64 v[157:158], v[2:3], v[125:126], -v[157:158]
	v_fma_f64 v[6:7], v[4:5], v[125:126], v[6:7]
	ds_read_b128 v[2:5], v1 offset:1616
	s_waitcnt vmcnt(28) lgkmcnt(1)
	v_mul_f64 v[125:126], v[119:120], v[127:128]
	v_mul_f64 v[127:128], v[121:122], v[127:128]
	s_waitcnt vmcnt(26)
	v_fma_f64 v[159:160], v[115:116], v[129:130], -v[159:160]
	v_fma_f64 v[123:124], v[117:118], v[129:130], v[123:124]
	ds_read_b128 v[115:118], v1 offset:1632
	s_waitcnt vmcnt(22) lgkmcnt(1)
	v_mul_f64 v[129:130], v[2:3], v[131:132]
	v_add_f64 v[157:158], v[157:158], 0
	v_add_f64 v[6:7], v[6:7], 0
	v_mul_f64 v[131:132], v[4:5], v[131:132]
	s_waitcnt vmcnt(20)
	v_fma_f64 v[127:128], v[119:120], v[137:138], -v[127:128]
	v_fma_f64 v[125:126], v[121:122], v[137:138], v[125:126]
	ds_read_b128 v[119:122], v1 offset:1648
	s_waitcnt vmcnt(17)
	v_fma_f64 v[129:130], v[4:5], v[139:140], v[129:130]
	v_add_f64 v[157:158], v[157:158], v[159:160]
	v_add_f64 v[6:7], v[6:7], v[123:124]
	s_waitcnt lgkmcnt(1)
	v_mul_f64 v[123:124], v[115:116], v[133:134]
	v_mul_f64 v[133:134], v[117:118], v[133:134]
	v_fma_f64 v[131:132], v[2:3], v[139:140], -v[131:132]
	s_waitcnt vmcnt(13) lgkmcnt(0)
	v_mul_f64 v[137:138], v[121:122], v[141:142]
	ds_read_b128 v[2:5], v1 offset:1664
	v_add_f64 v[127:128], v[157:158], v[127:128]
	v_add_f64 v[6:7], v[6:7], v[125:126]
	v_mul_f64 v[125:126], v[119:120], v[141:142]
	s_waitcnt vmcnt(12)
	v_fma_f64 v[133:134], v[115:116], v[135:136], -v[133:134]
	v_fma_f64 v[123:124], v[117:118], v[135:136], v[123:124]
	ds_read_b128 v[115:118], v1 offset:1680
	s_waitcnt vmcnt(9)
	v_fma_f64 v[119:120], v[119:120], v[147:148], -v[137:138]
	v_add_f64 v[127:128], v[127:128], v[131:132]
	v_add_f64 v[6:7], v[6:7], v[129:130]
	s_waitcnt lgkmcnt(1)
	v_mul_f64 v[131:132], v[4:5], v[143:144]
	v_mul_f64 v[129:130], v[2:3], v[143:144]
	v_fma_f64 v[121:122], v[121:122], v[147:148], v[125:126]
	s_waitcnt vmcnt(7) lgkmcnt(0)
	v_mul_f64 v[125:126], v[117:118], v[149:150]
	v_add_f64 v[127:128], v[127:128], v[133:134]
	v_add_f64 v[6:7], v[6:7], v[123:124]
	s_waitcnt vmcnt(6)
	v_fma_f64 v[1:2], v[2:3], v[145:146], -v[131:132]
	v_mul_f64 v[123:124], v[115:116], v[149:150]
	v_fma_f64 v[3:4], v[4:5], v[145:146], v[129:130]
	v_add_f64 v[119:120], v[127:128], v[119:120]
	v_add_f64 v[5:6], v[6:7], v[121:122]
	s_waitcnt vmcnt(4)
	v_fma_f64 v[7:8], v[115:116], v[151:152], -v[125:126]
	v_fma_f64 v[115:116], v[117:118], v[151:152], v[123:124]
	v_add_f64 v[1:2], v[119:120], v[1:2]
	v_add_f64 v[3:4], v[5:6], v[3:4]
	;; [unrolled: 1-line block ×4, first 2 shown]
	s_waitcnt vmcnt(2)
	v_add_f64 v[1:2], v[153:154], -v[1:2]
	s_waitcnt vmcnt(0)
	v_add_f64 v[3:4], v[155:156], -v[3:4]
	buffer_store_dword v2, off, s[0:3], 0 offset:724
	buffer_store_dword v1, off, s[0:3], 0 offset:720
	;; [unrolled: 1-line block ×4, first 2 shown]
	v_cmpx_lt_u32_e32 43, v0
	s_cbranch_execz .LBB116_245
; %bb.244:
	v_mov_b32_e32 v4, s21
	v_mov_b32_e32 v5, 0
	s_clause 0x3
	buffer_load_dword v1, v4, s[0:3], 0 offen
	buffer_load_dword v2, v4, s[0:3], 0 offen offset:4
	buffer_load_dword v3, v4, s[0:3], 0 offen offset:8
	buffer_load_dword v4, v4, s[0:3], 0 offen offset:12
	buffer_store_dword v5, off, s[0:3], 0 offset:704
	buffer_store_dword v5, off, s[0:3], 0 offset:708
	;; [unrolled: 1-line block ×4, first 2 shown]
	s_waitcnt vmcnt(0)
	ds_write_b128 v175, v[1:4]
.LBB116_245:
	s_or_b32 exec_lo, exec_lo, s4
	s_waitcnt lgkmcnt(0)
	s_waitcnt_vscnt null, 0x0
	s_barrier
	buffer_gl0_inv
	s_clause 0x27
	buffer_load_dword v6, off, s[0:3], 0 offset:728
	buffer_load_dword v7, off, s[0:3], 0 offset:732
	;; [unrolled: 1-line block ×40, first 2 shown]
	v_mov_b32_e32 v1, 0
	ds_read_b128 v[2:5], v1 offset:1552
	ds_read_b128 v[115:118], v1 offset:1568
	;; [unrolled: 1-line block ×3, first 2 shown]
	s_mov_b32 s4, exec_lo
	s_waitcnt vmcnt(38) lgkmcnt(2)
	v_mul_f64 v[161:162], v[4:5], v[6:7]
	v_mul_f64 v[6:7], v[2:3], v[6:7]
	s_waitcnt vmcnt(36) lgkmcnt(1)
	v_mul_f64 v[163:164], v[117:118], v[123:124]
	v_mul_f64 v[123:124], v[115:116], v[123:124]
	s_waitcnt vmcnt(34)
	v_fma_f64 v[161:162], v[2:3], v[125:126], -v[161:162]
	v_fma_f64 v[6:7], v[4:5], v[125:126], v[6:7]
	ds_read_b128 v[2:5], v1 offset:1600
	s_waitcnt vmcnt(32) lgkmcnt(1)
	v_mul_f64 v[125:126], v[119:120], v[127:128]
	v_mul_f64 v[127:128], v[121:122], v[127:128]
	s_waitcnt vmcnt(30)
	v_fma_f64 v[163:164], v[115:116], v[129:130], -v[163:164]
	v_fma_f64 v[123:124], v[117:118], v[129:130], v[123:124]
	ds_read_b128 v[115:118], v1 offset:1616
	s_waitcnt vmcnt(26) lgkmcnt(1)
	v_mul_f64 v[129:130], v[2:3], v[131:132]
	v_add_f64 v[161:162], v[161:162], 0
	v_add_f64 v[6:7], v[6:7], 0
	v_mul_f64 v[131:132], v[4:5], v[131:132]
	s_waitcnt vmcnt(24)
	v_fma_f64 v[127:128], v[119:120], v[137:138], -v[127:128]
	v_fma_f64 v[125:126], v[121:122], v[137:138], v[125:126]
	ds_read_b128 v[119:122], v1 offset:1632
	s_waitcnt vmcnt(21)
	v_fma_f64 v[129:130], v[4:5], v[139:140], v[129:130]
	v_add_f64 v[161:162], v[161:162], v[163:164]
	v_add_f64 v[6:7], v[6:7], v[123:124]
	s_waitcnt lgkmcnt(1)
	v_mul_f64 v[123:124], v[115:116], v[133:134]
	v_mul_f64 v[133:134], v[117:118], v[133:134]
	v_fma_f64 v[131:132], v[2:3], v[139:140], -v[131:132]
	s_waitcnt vmcnt(17) lgkmcnt(0)
	v_mul_f64 v[137:138], v[121:122], v[141:142]
	ds_read_b128 v[2:5], v1 offset:1648
	v_add_f64 v[127:128], v[161:162], v[127:128]
	v_add_f64 v[6:7], v[6:7], v[125:126]
	v_mul_f64 v[125:126], v[119:120], v[141:142]
	s_waitcnt vmcnt(16)
	v_fma_f64 v[133:134], v[115:116], v[135:136], -v[133:134]
	v_fma_f64 v[123:124], v[117:118], v[135:136], v[123:124]
	ds_read_b128 v[115:118], v1 offset:1664
	s_waitcnt vmcnt(13)
	v_fma_f64 v[135:136], v[119:120], v[147:148], -v[137:138]
	v_add_f64 v[127:128], v[127:128], v[131:132]
	v_add_f64 v[6:7], v[6:7], v[129:130]
	s_waitcnt lgkmcnt(1)
	v_mul_f64 v[131:132], v[4:5], v[143:144]
	v_mul_f64 v[129:130], v[2:3], v[143:144]
	v_fma_f64 v[125:126], v[121:122], v[147:148], v[125:126]
	ds_read_b128 v[119:122], v1 offset:1680
	v_add_f64 v[127:128], v[127:128], v[133:134]
	v_add_f64 v[6:7], v[6:7], v[123:124]
	s_waitcnt vmcnt(9) lgkmcnt(1)
	v_mul_f64 v[133:134], v[117:118], v[149:150]
	s_waitcnt vmcnt(8)
	v_fma_f64 v[2:3], v[2:3], v[145:146], -v[131:132]
	v_mul_f64 v[123:124], v[115:116], v[149:150]
	v_fma_f64 v[4:5], v[4:5], v[145:146], v[129:130]
	s_waitcnt vmcnt(7) lgkmcnt(0)
	v_mul_f64 v[129:130], v[121:122], v[151:152]
	v_add_f64 v[127:128], v[127:128], v[135:136]
	v_add_f64 v[6:7], v[6:7], v[125:126]
	s_waitcnt vmcnt(5)
	v_fma_f64 v[115:116], v[115:116], v[155:156], -v[133:134]
	v_mul_f64 v[125:126], v[119:120], v[151:152]
	v_fma_f64 v[117:118], v[117:118], v[155:156], v[123:124]
	v_add_f64 v[2:3], v[127:128], v[2:3]
	v_add_f64 v[4:5], v[6:7], v[4:5]
	s_waitcnt vmcnt(4)
	v_fma_f64 v[6:7], v[119:120], v[153:154], -v[129:130]
	v_add_f64 v[2:3], v[2:3], v[115:116]
	v_fma_f64 v[115:116], v[121:122], v[153:154], v[125:126]
	v_add_f64 v[4:5], v[4:5], v[117:118]
	v_add_f64 v[2:3], v[2:3], v[6:7]
	;; [unrolled: 1-line block ×3, first 2 shown]
	s_waitcnt vmcnt(2)
	v_add_f64 v[2:3], v[157:158], -v[2:3]
	s_waitcnt vmcnt(0)
	v_add_f64 v[4:5], v[159:160], -v[4:5]
	buffer_store_dword v3, off, s[0:3], 0 offset:708
	buffer_store_dword v2, off, s[0:3], 0 offset:704
	;; [unrolled: 1-line block ×4, first 2 shown]
	v_cmpx_lt_u32_e32 42, v0
	s_cbranch_execz .LBB116_247
; %bb.246:
	v_mov_b32_e32 v5, s22
	s_clause 0x3
	buffer_load_dword v2, v5, s[0:3], 0 offen
	buffer_load_dword v3, v5, s[0:3], 0 offen offset:4
	buffer_load_dword v4, v5, s[0:3], 0 offen offset:8
	buffer_load_dword v5, v5, s[0:3], 0 offen offset:12
	buffer_store_dword v1, off, s[0:3], 0 offset:688
	buffer_store_dword v1, off, s[0:3], 0 offset:692
	;; [unrolled: 1-line block ×4, first 2 shown]
	s_waitcnt vmcnt(0)
	ds_write_b128 v175, v[2:5]
.LBB116_247:
	s_or_b32 exec_lo, exec_lo, s4
	s_waitcnt lgkmcnt(0)
	s_waitcnt_vscnt null, 0x0
	s_barrier
	buffer_gl0_inv
	s_clause 0x2b
	buffer_load_dword v6, off, s[0:3], 0 offset:712
	buffer_load_dword v7, off, s[0:3], 0 offset:716
	;; [unrolled: 1-line block ×44, first 2 shown]
	ds_read_b128 v[2:5], v1 offset:1536
	ds_read_b128 v[115:118], v1 offset:1552
	ds_read_b128 v[119:122], v1 offset:1568
	s_mov_b32 s4, exec_lo
	s_waitcnt vmcnt(42) lgkmcnt(2)
	v_mul_f64 v[165:166], v[4:5], v[6:7]
	v_mul_f64 v[6:7], v[2:3], v[6:7]
	s_waitcnt vmcnt(40) lgkmcnt(1)
	v_mul_f64 v[167:168], v[117:118], v[123:124]
	v_mul_f64 v[123:124], v[115:116], v[123:124]
	s_waitcnt vmcnt(38)
	v_fma_f64 v[165:166], v[2:3], v[125:126], -v[165:166]
	v_fma_f64 v[6:7], v[4:5], v[125:126], v[6:7]
	ds_read_b128 v[2:5], v1 offset:1584
	s_waitcnt vmcnt(36) lgkmcnt(1)
	v_mul_f64 v[125:126], v[119:120], v[127:128]
	v_mul_f64 v[127:128], v[121:122], v[127:128]
	s_waitcnt vmcnt(34)
	v_fma_f64 v[167:168], v[115:116], v[129:130], -v[167:168]
	v_fma_f64 v[123:124], v[117:118], v[129:130], v[123:124]
	ds_read_b128 v[115:118], v1 offset:1600
	s_waitcnt vmcnt(30) lgkmcnt(1)
	v_mul_f64 v[129:130], v[2:3], v[131:132]
	v_add_f64 v[165:166], v[165:166], 0
	v_add_f64 v[6:7], v[6:7], 0
	v_mul_f64 v[131:132], v[4:5], v[131:132]
	s_waitcnt vmcnt(28)
	v_fma_f64 v[127:128], v[119:120], v[137:138], -v[127:128]
	v_fma_f64 v[125:126], v[121:122], v[137:138], v[125:126]
	ds_read_b128 v[119:122], v1 offset:1616
	s_waitcnt vmcnt(25)
	v_fma_f64 v[129:130], v[4:5], v[139:140], v[129:130]
	v_add_f64 v[165:166], v[165:166], v[167:168]
	v_add_f64 v[6:7], v[6:7], v[123:124]
	s_waitcnt lgkmcnt(1)
	v_mul_f64 v[123:124], v[115:116], v[133:134]
	v_mul_f64 v[133:134], v[117:118], v[133:134]
	v_fma_f64 v[131:132], v[2:3], v[139:140], -v[131:132]
	s_waitcnt vmcnt(21) lgkmcnt(0)
	v_mul_f64 v[137:138], v[121:122], v[141:142]
	ds_read_b128 v[2:5], v1 offset:1632
	v_add_f64 v[127:128], v[165:166], v[127:128]
	v_add_f64 v[6:7], v[6:7], v[125:126]
	v_mul_f64 v[125:126], v[119:120], v[141:142]
	s_waitcnt vmcnt(20)
	v_fma_f64 v[133:134], v[115:116], v[135:136], -v[133:134]
	v_fma_f64 v[123:124], v[117:118], v[135:136], v[123:124]
	ds_read_b128 v[115:118], v1 offset:1648
	s_waitcnt vmcnt(17)
	v_fma_f64 v[135:136], v[119:120], v[147:148], -v[137:138]
	v_add_f64 v[127:128], v[127:128], v[131:132]
	v_add_f64 v[6:7], v[6:7], v[129:130]
	s_waitcnt lgkmcnt(1)
	v_mul_f64 v[131:132], v[4:5], v[143:144]
	v_mul_f64 v[129:130], v[2:3], v[143:144]
	v_fma_f64 v[125:126], v[121:122], v[147:148], v[125:126]
	ds_read_b128 v[119:122], v1 offset:1664
	v_add_f64 v[127:128], v[127:128], v[133:134]
	v_add_f64 v[6:7], v[6:7], v[123:124]
	s_waitcnt vmcnt(13) lgkmcnt(1)
	v_mul_f64 v[133:134], v[117:118], v[149:150]
	s_waitcnt vmcnt(12)
	v_fma_f64 v[131:132], v[2:3], v[145:146], -v[131:132]
	v_mul_f64 v[123:124], v[115:116], v[149:150]
	v_fma_f64 v[129:130], v[4:5], v[145:146], v[129:130]
	ds_read_b128 v[1:4], v1 offset:1680
	v_add_f64 v[127:128], v[127:128], v[135:136]
	v_add_f64 v[5:6], v[6:7], v[125:126]
	s_waitcnt vmcnt(11) lgkmcnt(1)
	v_mul_f64 v[125:126], v[121:122], v[151:152]
	s_waitcnt vmcnt(9)
	v_fma_f64 v[115:116], v[115:116], v[155:156], -v[133:134]
	v_mul_f64 v[7:8], v[119:120], v[151:152]
	v_fma_f64 v[117:118], v[117:118], v[155:156], v[123:124]
	s_waitcnt vmcnt(7) lgkmcnt(0)
	v_mul_f64 v[123:124], v[1:2], v[157:158]
	v_add_f64 v[127:128], v[127:128], v[131:132]
	v_add_f64 v[5:6], v[5:6], v[129:130]
	v_mul_f64 v[129:130], v[3:4], v[157:158]
	s_waitcnt vmcnt(6)
	v_fma_f64 v[119:120], v[119:120], v[153:154], -v[125:126]
	v_fma_f64 v[7:8], v[121:122], v[153:154], v[7:8]
	s_waitcnt vmcnt(4)
	v_fma_f64 v[3:4], v[3:4], v[159:160], v[123:124]
	v_add_f64 v[115:116], v[127:128], v[115:116]
	v_add_f64 v[5:6], v[5:6], v[117:118]
	v_fma_f64 v[1:2], v[1:2], v[159:160], -v[129:130]
	v_add_f64 v[115:116], v[115:116], v[119:120]
	v_add_f64 v[5:6], v[5:6], v[7:8]
	;; [unrolled: 1-line block ×4, first 2 shown]
	s_waitcnt vmcnt(2)
	v_add_f64 v[1:2], v[161:162], -v[1:2]
	s_waitcnt vmcnt(0)
	v_add_f64 v[3:4], v[163:164], -v[3:4]
	buffer_store_dword v2, off, s[0:3], 0 offset:692
	buffer_store_dword v1, off, s[0:3], 0 offset:688
	;; [unrolled: 1-line block ×4, first 2 shown]
	v_cmpx_lt_u32_e32 41, v0
	s_cbranch_execz .LBB116_249
; %bb.248:
	v_mov_b32_e32 v4, s23
	v_mov_b32_e32 v5, 0
	s_clause 0x3
	buffer_load_dword v1, v4, s[0:3], 0 offen
	buffer_load_dword v2, v4, s[0:3], 0 offen offset:4
	buffer_load_dword v3, v4, s[0:3], 0 offen offset:8
	;; [unrolled: 1-line block ×3, first 2 shown]
	buffer_store_dword v5, off, s[0:3], 0 offset:672
	buffer_store_dword v5, off, s[0:3], 0 offset:676
	buffer_store_dword v5, off, s[0:3], 0 offset:680
	buffer_store_dword v5, off, s[0:3], 0 offset:684
	s_waitcnt vmcnt(0)
	ds_write_b128 v175, v[1:4]
.LBB116_249:
	s_or_b32 exec_lo, exec_lo, s4
	s_waitcnt lgkmcnt(0)
	s_waitcnt_vscnt null, 0x0
	s_barrier
	buffer_gl0_inv
	s_clause 0x2f
	buffer_load_dword v6, off, s[0:3], 0 offset:696
	buffer_load_dword v7, off, s[0:3], 0 offset:700
	;; [unrolled: 1-line block ×48, first 2 shown]
	v_mov_b32_e32 v1, 0
	ds_read_b128 v[2:5], v1 offset:1520
	ds_read_b128 v[115:118], v1 offset:1536
	;; [unrolled: 1-line block ×3, first 2 shown]
	s_mov_b32 s4, exec_lo
	s_waitcnt vmcnt(46) lgkmcnt(2)
	v_mul_f64 v[169:170], v[4:5], v[6:7]
	v_mul_f64 v[6:7], v[2:3], v[6:7]
	s_waitcnt vmcnt(44) lgkmcnt(1)
	v_mul_f64 v[171:172], v[117:118], v[123:124]
	v_mul_f64 v[123:124], v[115:116], v[123:124]
	s_waitcnt vmcnt(42)
	v_fma_f64 v[169:170], v[2:3], v[125:126], -v[169:170]
	v_fma_f64 v[6:7], v[4:5], v[125:126], v[6:7]
	ds_read_b128 v[2:5], v1 offset:1568
	s_waitcnt vmcnt(40) lgkmcnt(1)
	v_mul_f64 v[125:126], v[119:120], v[127:128]
	v_mul_f64 v[127:128], v[121:122], v[127:128]
	s_waitcnt vmcnt(38)
	v_fma_f64 v[171:172], v[115:116], v[129:130], -v[171:172]
	v_fma_f64 v[123:124], v[117:118], v[129:130], v[123:124]
	ds_read_b128 v[115:118], v1 offset:1584
	s_waitcnt vmcnt(34) lgkmcnt(1)
	v_mul_f64 v[129:130], v[2:3], v[131:132]
	v_add_f64 v[169:170], v[169:170], 0
	v_add_f64 v[6:7], v[6:7], 0
	v_mul_f64 v[131:132], v[4:5], v[131:132]
	s_waitcnt vmcnt(32)
	v_fma_f64 v[127:128], v[119:120], v[137:138], -v[127:128]
	v_fma_f64 v[125:126], v[121:122], v[137:138], v[125:126]
	ds_read_b128 v[119:122], v1 offset:1600
	s_waitcnt vmcnt(29)
	v_fma_f64 v[129:130], v[4:5], v[139:140], v[129:130]
	v_add_f64 v[169:170], v[169:170], v[171:172]
	v_add_f64 v[6:7], v[6:7], v[123:124]
	s_waitcnt lgkmcnt(1)
	v_mul_f64 v[123:124], v[115:116], v[133:134]
	v_mul_f64 v[133:134], v[117:118], v[133:134]
	v_fma_f64 v[131:132], v[2:3], v[139:140], -v[131:132]
	s_waitcnt vmcnt(25) lgkmcnt(0)
	v_mul_f64 v[137:138], v[121:122], v[141:142]
	ds_read_b128 v[2:5], v1 offset:1616
	v_add_f64 v[127:128], v[169:170], v[127:128]
	v_add_f64 v[6:7], v[6:7], v[125:126]
	v_mul_f64 v[125:126], v[119:120], v[141:142]
	s_waitcnt vmcnt(24)
	v_fma_f64 v[133:134], v[115:116], v[135:136], -v[133:134]
	v_fma_f64 v[123:124], v[117:118], v[135:136], v[123:124]
	ds_read_b128 v[115:118], v1 offset:1632
	s_waitcnt vmcnt(21)
	v_fma_f64 v[135:136], v[119:120], v[147:148], -v[137:138]
	v_add_f64 v[127:128], v[127:128], v[131:132]
	v_add_f64 v[6:7], v[6:7], v[129:130]
	s_waitcnt lgkmcnt(1)
	v_mul_f64 v[131:132], v[4:5], v[143:144]
	v_mul_f64 v[129:130], v[2:3], v[143:144]
	v_fma_f64 v[125:126], v[121:122], v[147:148], v[125:126]
	ds_read_b128 v[119:122], v1 offset:1648
	v_add_f64 v[127:128], v[127:128], v[133:134]
	v_add_f64 v[6:7], v[6:7], v[123:124]
	s_waitcnt vmcnt(17) lgkmcnt(1)
	v_mul_f64 v[133:134], v[117:118], v[149:150]
	s_waitcnt vmcnt(16)
	v_fma_f64 v[131:132], v[2:3], v[145:146], -v[131:132]
	v_mul_f64 v[123:124], v[115:116], v[149:150]
	v_fma_f64 v[129:130], v[4:5], v[145:146], v[129:130]
	ds_read_b128 v[2:5], v1 offset:1664
	v_add_f64 v[127:128], v[127:128], v[135:136]
	v_add_f64 v[6:7], v[6:7], v[125:126]
	s_waitcnt vmcnt(15) lgkmcnt(1)
	v_mul_f64 v[135:136], v[121:122], v[151:152]
	s_waitcnt vmcnt(13)
	v_fma_f64 v[133:134], v[115:116], v[155:156], -v[133:134]
	;; [unrolled: 9-line block ×3, first 2 shown]
	v_mul_f64 v[129:130], v[2:3], v[157:158]
	v_fma_f64 v[121:122], v[121:122], v[153:154], v[125:126]
	s_waitcnt vmcnt(7) lgkmcnt(0)
	v_mul_f64 v[125:126], v[117:118], v[159:160]
	v_add_f64 v[127:128], v[127:128], v[133:134]
	v_add_f64 v[6:7], v[6:7], v[123:124]
	s_waitcnt vmcnt(5)
	v_fma_f64 v[2:3], v[2:3], v[163:164], -v[131:132]
	v_mul_f64 v[123:124], v[115:116], v[159:160]
	v_fma_f64 v[4:5], v[4:5], v[163:164], v[129:130]
	s_waitcnt vmcnt(4)
	v_fma_f64 v[115:116], v[115:116], v[161:162], -v[125:126]
	v_add_f64 v[119:120], v[127:128], v[119:120]
	v_add_f64 v[6:7], v[6:7], v[121:122]
	v_fma_f64 v[117:118], v[117:118], v[161:162], v[123:124]
	v_add_f64 v[2:3], v[119:120], v[2:3]
	v_add_f64 v[4:5], v[6:7], v[4:5]
	;; [unrolled: 1-line block ×4, first 2 shown]
	s_waitcnt vmcnt(2)
	v_add_f64 v[2:3], v[165:166], -v[2:3]
	s_waitcnt vmcnt(0)
	v_add_f64 v[4:5], v[167:168], -v[4:5]
	buffer_store_dword v3, off, s[0:3], 0 offset:676
	buffer_store_dword v2, off, s[0:3], 0 offset:672
	;; [unrolled: 1-line block ×4, first 2 shown]
	v_cmpx_lt_u32_e32 40, v0
	s_cbranch_execz .LBB116_251
; %bb.250:
	v_mov_b32_e32 v5, s24
	s_clause 0x3
	buffer_load_dword v2, v5, s[0:3], 0 offen
	buffer_load_dword v3, v5, s[0:3], 0 offen offset:4
	buffer_load_dword v4, v5, s[0:3], 0 offen offset:8
	;; [unrolled: 1-line block ×3, first 2 shown]
	buffer_store_dword v1, off, s[0:3], 0 offset:656
	buffer_store_dword v1, off, s[0:3], 0 offset:660
	;; [unrolled: 1-line block ×4, first 2 shown]
	s_waitcnt vmcnt(0)
	ds_write_b128 v175, v[2:5]
.LBB116_251:
	s_or_b32 exec_lo, exec_lo, s4
	s_waitcnt lgkmcnt(0)
	s_waitcnt_vscnt null, 0x0
	s_barrier
	buffer_gl0_inv
	s_clause 0x2f
	buffer_load_dword v6, off, s[0:3], 0 offset:680
	buffer_load_dword v7, off, s[0:3], 0 offset:684
	;; [unrolled: 1-line block ×48, first 2 shown]
	ds_read_b128 v[2:5], v1 offset:1504
	s_clause 0x3
	buffer_load_dword v169, off, s[0:3], 0 offset:656
	buffer_load_dword v170, off, s[0:3], 0 offset:660
	;; [unrolled: 1-line block ×4, first 2 shown]
	ds_read_b128 v[115:118], v1 offset:1520
	ds_read_b128 v[119:122], v1 offset:1536
	s_mov_b32 s4, exec_lo
	s_waitcnt vmcnt(50) lgkmcnt(2)
	v_mul_f64 v[173:174], v[4:5], v[6:7]
	v_mul_f64 v[6:7], v[2:3], v[6:7]
	s_waitcnt vmcnt(48) lgkmcnt(1)
	v_mul_f64 v[176:177], v[117:118], v[123:124]
	v_mul_f64 v[123:124], v[115:116], v[123:124]
	s_waitcnt vmcnt(46)
	v_fma_f64 v[173:174], v[2:3], v[125:126], -v[173:174]
	v_fma_f64 v[6:7], v[4:5], v[125:126], v[6:7]
	s_waitcnt vmcnt(44) lgkmcnt(0)
	v_mul_f64 v[125:126], v[119:120], v[127:128]
	v_mul_f64 v[127:128], v[121:122], v[127:128]
	s_waitcnt vmcnt(42)
	v_fma_f64 v[176:177], v[115:116], v[129:130], -v[176:177]
	ds_read_b128 v[2:5], v1 offset:1552
	v_fma_f64 v[123:124], v[117:118], v[129:130], v[123:124]
	ds_read_b128 v[115:118], v1 offset:1568
	v_add_f64 v[173:174], v[173:174], 0
	v_add_f64 v[6:7], v[6:7], 0
	s_waitcnt vmcnt(36)
	v_fma_f64 v[125:126], v[121:122], v[137:138], v[125:126]
	s_waitcnt lgkmcnt(1)
	v_mul_f64 v[129:130], v[2:3], v[131:132]
	v_mul_f64 v[131:132], v[4:5], v[131:132]
	v_fma_f64 v[127:128], v[119:120], v[137:138], -v[127:128]
	ds_read_b128 v[119:122], v1 offset:1584
	v_add_f64 v[173:174], v[173:174], v[176:177]
	v_add_f64 v[6:7], v[6:7], v[123:124]
	s_waitcnt vmcnt(35) lgkmcnt(1)
	v_mul_f64 v[123:124], v[115:116], v[133:134]
	v_mul_f64 v[133:134], v[117:118], v[133:134]
	s_waitcnt vmcnt(33)
	v_fma_f64 v[131:132], v[2:3], v[139:140], -v[131:132]
	v_fma_f64 v[129:130], v[4:5], v[139:140], v[129:130]
	ds_read_b128 v[2:5], v1 offset:1600
	s_waitcnt vmcnt(29) lgkmcnt(1)
	v_mul_f64 v[137:138], v[121:122], v[141:142]
	v_add_f64 v[127:128], v[173:174], v[127:128]
	v_add_f64 v[6:7], v[6:7], v[125:126]
	v_mul_f64 v[125:126], v[119:120], v[141:142]
	s_waitcnt vmcnt(28)
	v_fma_f64 v[133:134], v[115:116], v[135:136], -v[133:134]
	v_fma_f64 v[123:124], v[117:118], v[135:136], v[123:124]
	ds_read_b128 v[115:118], v1 offset:1616
	s_waitcnt vmcnt(25)
	v_fma_f64 v[135:136], v[119:120], v[147:148], -v[137:138]
	v_add_f64 v[127:128], v[127:128], v[131:132]
	v_add_f64 v[6:7], v[6:7], v[129:130]
	s_waitcnt lgkmcnt(1)
	v_mul_f64 v[131:132], v[4:5], v[143:144]
	v_mul_f64 v[129:130], v[2:3], v[143:144]
	v_fma_f64 v[125:126], v[121:122], v[147:148], v[125:126]
	ds_read_b128 v[119:122], v1 offset:1632
	v_add_f64 v[127:128], v[127:128], v[133:134]
	v_add_f64 v[6:7], v[6:7], v[123:124]
	s_waitcnt vmcnt(21) lgkmcnt(1)
	v_mul_f64 v[133:134], v[117:118], v[149:150]
	s_waitcnt vmcnt(20)
	v_fma_f64 v[131:132], v[2:3], v[145:146], -v[131:132]
	v_mul_f64 v[123:124], v[115:116], v[149:150]
	v_fma_f64 v[129:130], v[4:5], v[145:146], v[129:130]
	ds_read_b128 v[2:5], v1 offset:1648
	v_add_f64 v[127:128], v[127:128], v[135:136]
	v_add_f64 v[6:7], v[6:7], v[125:126]
	s_waitcnt vmcnt(19) lgkmcnt(1)
	v_mul_f64 v[135:136], v[121:122], v[151:152]
	s_waitcnt vmcnt(17)
	v_fma_f64 v[133:134], v[115:116], v[155:156], -v[133:134]
	;; [unrolled: 9-line block ×4, first 2 shown]
	v_mul_f64 v[123:124], v[115:116], v[159:160]
	v_fma_f64 v[3:4], v[4:5], v[163:164], v[129:130]
	v_add_f64 v[127:128], v[127:128], v[135:136]
	v_add_f64 v[5:6], v[6:7], v[125:126]
	s_waitcnt vmcnt(7) lgkmcnt(0)
	v_mul_f64 v[125:126], v[121:122], v[165:166]
	s_waitcnt vmcnt(6)
	v_fma_f64 v[115:116], v[115:116], v[161:162], -v[133:134]
	v_mul_f64 v[7:8], v[119:120], v[165:166]
	v_fma_f64 v[117:118], v[117:118], v[161:162], v[123:124]
	v_add_f64 v[1:2], v[127:128], v[1:2]
	v_add_f64 v[3:4], v[5:6], v[3:4]
	s_waitcnt vmcnt(4)
	v_fma_f64 v[5:6], v[119:120], v[167:168], -v[125:126]
	v_fma_f64 v[7:8], v[121:122], v[167:168], v[7:8]
	v_add_f64 v[1:2], v[1:2], v[115:116]
	v_add_f64 v[3:4], v[3:4], v[117:118]
	;; [unrolled: 1-line block ×4, first 2 shown]
	s_waitcnt vmcnt(2)
	v_add_f64 v[1:2], v[169:170], -v[1:2]
	s_waitcnt vmcnt(0)
	v_add_f64 v[3:4], v[171:172], -v[3:4]
	buffer_store_dword v2, off, s[0:3], 0 offset:660
	buffer_store_dword v1, off, s[0:3], 0 offset:656
	;; [unrolled: 1-line block ×4, first 2 shown]
	v_cmpx_lt_u32_e32 39, v0
	s_cbranch_execz .LBB116_253
; %bb.252:
	v_mov_b32_e32 v4, s25
	v_mov_b32_e32 v5, 0
	s_clause 0x3
	buffer_load_dword v1, v4, s[0:3], 0 offen
	buffer_load_dword v2, v4, s[0:3], 0 offen offset:4
	buffer_load_dword v3, v4, s[0:3], 0 offen offset:8
	;; [unrolled: 1-line block ×3, first 2 shown]
	buffer_store_dword v5, off, s[0:3], 0 offset:640
	buffer_store_dword v5, off, s[0:3], 0 offset:644
	;; [unrolled: 1-line block ×4, first 2 shown]
	s_waitcnt vmcnt(0)
	ds_write_b128 v175, v[1:4]
.LBB116_253:
	s_or_b32 exec_lo, exec_lo, s4
	s_waitcnt lgkmcnt(0)
	s_waitcnt_vscnt null, 0x0
	s_barrier
	buffer_gl0_inv
	s_clause 0x33
	buffer_load_dword v6, off, s[0:3], 0 offset:664
	buffer_load_dword v7, off, s[0:3], 0 offset:668
	;; [unrolled: 1-line block ×52, first 2 shown]
	v_mov_b32_e32 v1, 0
	ds_read_b128 v[2:5], v1 offset:1488
	ds_read_b128 v[115:118], v1 offset:1504
	s_clause 0x3
	buffer_load_dword v176, off, s[0:3], 0 offset:640
	buffer_load_dword v177, off, s[0:3], 0 offset:644
	;; [unrolled: 1-line block ×4, first 2 shown]
	ds_read_b128 v[119:122], v1 offset:1520
	s_mov_b32 s4, exec_lo
	s_waitcnt vmcnt(54) lgkmcnt(2)
	v_mul_f64 v[173:174], v[4:5], v[6:7]
	v_mul_f64 v[6:7], v[2:3], v[6:7]
	s_waitcnt vmcnt(52) lgkmcnt(1)
	v_mul_f64 v[180:181], v[117:118], v[123:124]
	v_mul_f64 v[123:124], v[115:116], v[123:124]
	s_waitcnt vmcnt(50)
	v_fma_f64 v[173:174], v[2:3], v[125:126], -v[173:174]
	v_fma_f64 v[6:7], v[4:5], v[125:126], v[6:7]
	ds_read_b128 v[2:5], v1 offset:1536
	s_waitcnt vmcnt(48) lgkmcnt(1)
	v_mul_f64 v[125:126], v[119:120], v[127:128]
	v_mul_f64 v[127:128], v[121:122], v[127:128]
	s_waitcnt vmcnt(46)
	v_fma_f64 v[180:181], v[115:116], v[129:130], -v[180:181]
	v_fma_f64 v[123:124], v[117:118], v[129:130], v[123:124]
	ds_read_b128 v[115:118], v1 offset:1552
	s_waitcnt vmcnt(42) lgkmcnt(1)
	v_mul_f64 v[129:130], v[2:3], v[131:132]
	v_add_f64 v[173:174], v[173:174], 0
	v_add_f64 v[6:7], v[6:7], 0
	v_mul_f64 v[131:132], v[4:5], v[131:132]
	s_waitcnt vmcnt(40)
	v_fma_f64 v[127:128], v[119:120], v[137:138], -v[127:128]
	v_fma_f64 v[125:126], v[121:122], v[137:138], v[125:126]
	ds_read_b128 v[119:122], v1 offset:1568
	s_waitcnt vmcnt(37)
	v_fma_f64 v[129:130], v[4:5], v[139:140], v[129:130]
	v_add_f64 v[173:174], v[173:174], v[180:181]
	v_add_f64 v[6:7], v[6:7], v[123:124]
	s_waitcnt lgkmcnt(1)
	v_mul_f64 v[123:124], v[115:116], v[133:134]
	v_mul_f64 v[133:134], v[117:118], v[133:134]
	v_fma_f64 v[131:132], v[2:3], v[139:140], -v[131:132]
	s_waitcnt vmcnt(33) lgkmcnt(0)
	v_mul_f64 v[137:138], v[121:122], v[141:142]
	ds_read_b128 v[2:5], v1 offset:1584
	v_add_f64 v[127:128], v[173:174], v[127:128]
	v_add_f64 v[6:7], v[6:7], v[125:126]
	v_mul_f64 v[125:126], v[119:120], v[141:142]
	s_waitcnt vmcnt(32)
	v_fma_f64 v[133:134], v[115:116], v[135:136], -v[133:134]
	v_fma_f64 v[123:124], v[117:118], v[135:136], v[123:124]
	ds_read_b128 v[115:118], v1 offset:1600
	s_waitcnt vmcnt(29)
	v_fma_f64 v[135:136], v[119:120], v[147:148], -v[137:138]
	v_add_f64 v[127:128], v[127:128], v[131:132]
	v_add_f64 v[6:7], v[6:7], v[129:130]
	s_waitcnt lgkmcnt(1)
	v_mul_f64 v[131:132], v[4:5], v[143:144]
	v_mul_f64 v[129:130], v[2:3], v[143:144]
	v_fma_f64 v[125:126], v[121:122], v[147:148], v[125:126]
	ds_read_b128 v[119:122], v1 offset:1616
	v_add_f64 v[127:128], v[127:128], v[133:134]
	v_add_f64 v[6:7], v[6:7], v[123:124]
	s_waitcnt vmcnt(25) lgkmcnt(1)
	v_mul_f64 v[133:134], v[117:118], v[149:150]
	s_waitcnt vmcnt(24)
	v_fma_f64 v[131:132], v[2:3], v[145:146], -v[131:132]
	v_mul_f64 v[123:124], v[115:116], v[149:150]
	v_fma_f64 v[129:130], v[4:5], v[145:146], v[129:130]
	ds_read_b128 v[2:5], v1 offset:1632
	v_add_f64 v[127:128], v[127:128], v[135:136]
	v_add_f64 v[6:7], v[6:7], v[125:126]
	s_waitcnt vmcnt(23) lgkmcnt(1)
	v_mul_f64 v[135:136], v[121:122], v[151:152]
	s_waitcnt vmcnt(21)
	v_fma_f64 v[133:134], v[115:116], v[155:156], -v[133:134]
	;; [unrolled: 9-line block ×5, first 2 shown]
	v_mul_f64 v[125:126], v[119:120], v[165:166]
	v_fma_f64 v[117:118], v[117:118], v[161:162], v[123:124]
	s_waitcnt vmcnt(7) lgkmcnt(0)
	v_mul_f64 v[123:124], v[2:3], v[167:168]
	v_add_f64 v[127:128], v[127:128], v[131:132]
	v_add_f64 v[6:7], v[6:7], v[129:130]
	v_mul_f64 v[129:130], v[4:5], v[167:168]
	s_waitcnt vmcnt(5)
	v_fma_f64 v[119:120], v[119:120], v[171:172], -v[135:136]
	v_fma_f64 v[121:122], v[121:122], v[171:172], v[125:126]
	s_waitcnt vmcnt(4)
	v_fma_f64 v[4:5], v[4:5], v[169:170], v[123:124]
	v_add_f64 v[115:116], v[127:128], v[115:116]
	v_add_f64 v[6:7], v[6:7], v[117:118]
	v_fma_f64 v[2:3], v[2:3], v[169:170], -v[129:130]
	v_add_f64 v[115:116], v[115:116], v[119:120]
	v_add_f64 v[6:7], v[6:7], v[121:122]
	;; [unrolled: 1-line block ×4, first 2 shown]
	s_waitcnt vmcnt(2)
	v_add_f64 v[2:3], v[176:177], -v[2:3]
	s_waitcnt vmcnt(0)
	v_add_f64 v[4:5], v[178:179], -v[4:5]
	buffer_store_dword v3, off, s[0:3], 0 offset:644
	buffer_store_dword v2, off, s[0:3], 0 offset:640
	;; [unrolled: 1-line block ×4, first 2 shown]
	v_cmpx_lt_u32_e32 38, v0
	s_cbranch_execz .LBB116_255
; %bb.254:
	v_mov_b32_e32 v5, s26
	s_clause 0x3
	buffer_load_dword v2, v5, s[0:3], 0 offen
	buffer_load_dword v3, v5, s[0:3], 0 offen offset:4
	buffer_load_dword v4, v5, s[0:3], 0 offen offset:8
	;; [unrolled: 1-line block ×3, first 2 shown]
	buffer_store_dword v1, off, s[0:3], 0 offset:624
	buffer_store_dword v1, off, s[0:3], 0 offset:628
	;; [unrolled: 1-line block ×4, first 2 shown]
	s_waitcnt vmcnt(0)
	ds_write_b128 v175, v[2:5]
.LBB116_255:
	s_or_b32 exec_lo, exec_lo, s4
	s_waitcnt lgkmcnt(0)
	s_waitcnt_vscnt null, 0x0
	s_barrier
	buffer_gl0_inv
	s_clause 0x35
	buffer_load_dword v6, off, s[0:3], 0 offset:648
	buffer_load_dword v7, off, s[0:3], 0 offset:652
	;; [unrolled: 1-line block ×54, first 2 shown]
	ds_read_b128 v[2:5], v1 offset:1472
	s_clause 0x1
	buffer_load_dword v177, off, s[0:3], 0 offset:852
	buffer_load_dword v176, off, s[0:3], 0 offset:848
	ds_read_b128 v[115:118], v1 offset:1488
	ds_read_b128 v[119:122], v1 offset:1504
	s_mov_b32 s4, exec_lo
	s_waitcnt vmcnt(54) lgkmcnt(2)
	v_mul_f64 v[178:179], v[4:5], v[6:7]
	v_mul_f64 v[6:7], v[2:3], v[6:7]
	s_waitcnt vmcnt(52) lgkmcnt(1)
	v_mul_f64 v[180:181], v[117:118], v[123:124]
	v_mul_f64 v[123:124], v[115:116], v[123:124]
	;; [unrolled: 3-line block ×3, first 2 shown]
	v_fma_f64 v[178:179], v[2:3], v[125:126], -v[178:179]
	v_fma_f64 v[6:7], v[4:5], v[125:126], v[6:7]
	s_clause 0x3
	buffer_load_dword v125, off, s[0:3], 0 offset:624
	buffer_load_dword v126, off, s[0:3], 0 offset:628
	;; [unrolled: 1-line block ×4, first 2 shown]
	s_waitcnt vmcnt(50)
	v_fma_f64 v[180:181], v[115:116], v[129:130], -v[180:181]
	ds_read_b128 v[2:5], v1 offset:1520
	v_fma_f64 v[123:124], v[117:118], v[129:130], v[123:124]
	ds_read_b128 v[115:118], v1 offset:1536
	s_waitcnt vmcnt(44)
	v_fma_f64 v[127:128], v[119:120], v[137:138], -v[127:128]
	v_fma_f64 v[137:138], v[121:122], v[137:138], v[184:185]
	ds_read_b128 v[119:122], v1 offset:1552
	v_add_f64 v[178:179], v[178:179], 0
	v_add_f64 v[6:7], v[6:7], 0
	s_waitcnt lgkmcnt(2)
	v_mul_f64 v[129:130], v[2:3], v[131:132]
	v_mul_f64 v[131:132], v[4:5], v[131:132]
	v_add_f64 v[178:179], v[178:179], v[180:181]
	v_add_f64 v[6:7], v[6:7], v[123:124]
	s_waitcnt vmcnt(43) lgkmcnt(1)
	v_mul_f64 v[123:124], v[115:116], v[133:134]
	v_mul_f64 v[133:134], v[117:118], v[133:134]
	s_waitcnt vmcnt(41)
	v_fma_f64 v[131:132], v[2:3], v[139:140], -v[131:132]
	v_fma_f64 v[129:130], v[4:5], v[139:140], v[129:130]
	ds_read_b128 v[2:5], v1 offset:1568
	s_waitcnt vmcnt(37) lgkmcnt(1)
	v_mul_f64 v[139:140], v[121:122], v[141:142]
	v_add_f64 v[127:128], v[178:179], v[127:128]
	v_add_f64 v[6:7], v[6:7], v[137:138]
	v_mul_f64 v[137:138], v[119:120], v[141:142]
	s_waitcnt vmcnt(36)
	v_fma_f64 v[133:134], v[115:116], v[135:136], -v[133:134]
	v_fma_f64 v[123:124], v[117:118], v[135:136], v[123:124]
	ds_read_b128 v[115:118], v1 offset:1584
	s_waitcnt vmcnt(33)
	v_fma_f64 v[135:136], v[119:120], v[147:148], -v[139:140]
	v_add_f64 v[127:128], v[127:128], v[131:132]
	v_add_f64 v[6:7], v[6:7], v[129:130]
	s_waitcnt lgkmcnt(1)
	v_mul_f64 v[131:132], v[4:5], v[143:144]
	v_mul_f64 v[129:130], v[2:3], v[143:144]
	v_add_f64 v[127:128], v[127:128], v[133:134]
	v_fma_f64 v[133:134], v[121:122], v[147:148], v[137:138]
	v_add_f64 v[6:7], v[6:7], v[123:124]
	ds_read_b128 v[119:122], v1 offset:1600
	s_waitcnt vmcnt(29) lgkmcnt(1)
	v_mul_f64 v[137:138], v[117:118], v[149:150]
	s_waitcnt vmcnt(28)
	v_fma_f64 v[131:132], v[2:3], v[145:146], -v[131:132]
	v_mul_f64 v[123:124], v[115:116], v[149:150]
	v_fma_f64 v[129:130], v[4:5], v[145:146], v[129:130]
	ds_read_b128 v[2:5], v1 offset:1616
	v_add_f64 v[127:128], v[127:128], v[135:136]
	s_waitcnt vmcnt(27) lgkmcnt(1)
	v_mul_f64 v[135:136], v[121:122], v[151:152]
	v_add_f64 v[6:7], v[6:7], v[133:134]
	v_mul_f64 v[133:134], v[119:120], v[151:152]
	s_waitcnt vmcnt(25)
	v_fma_f64 v[137:138], v[115:116], v[155:156], -v[137:138]
	v_fma_f64 v[123:124], v[117:118], v[155:156], v[123:124]
	ds_read_b128 v[115:118], v1 offset:1632
	v_add_f64 v[127:128], v[127:128], v[131:132]
	s_waitcnt vmcnt(21) lgkmcnt(1)
	v_mul_f64 v[131:132], v[4:5], v[157:158]
	v_add_f64 v[6:7], v[6:7], v[129:130]
	s_waitcnt vmcnt(20)
	v_fma_f64 v[135:136], v[119:120], v[153:154], -v[135:136]
	v_mul_f64 v[129:130], v[2:3], v[157:158]
	v_fma_f64 v[133:134], v[121:122], v[153:154], v[133:134]
	ds_read_b128 v[119:122], v1 offset:1648
	v_add_f64 v[127:128], v[127:128], v[137:138]
	s_waitcnt vmcnt(19) lgkmcnt(1)
	v_mul_f64 v[137:138], v[117:118], v[159:160]
	v_add_f64 v[6:7], v[6:7], v[123:124]
	s_waitcnt vmcnt(17)
	v_fma_f64 v[131:132], v[2:3], v[163:164], -v[131:132]
	v_mul_f64 v[123:124], v[115:116], v[159:160]
	;; [unrolled: 9-line block ×4, first 2 shown]
	v_fma_f64 v[121:122], v[121:122], v[171:172], v[133:134]
	s_waitcnt vmcnt(7) lgkmcnt(0)
	v_mul_f64 v[133:134], v[117:118], v[173:174]
	v_add_f64 v[127:128], v[127:128], v[137:138]
	s_waitcnt vmcnt(6)
	v_fma_f64 v[1:2], v[2:3], v[169:170], -v[131:132]
	v_add_f64 v[6:7], v[6:7], v[123:124]
	v_mul_f64 v[123:124], v[115:116], v[173:174]
	v_fma_f64 v[3:4], v[4:5], v[169:170], v[129:130]
	v_add_f64 v[119:120], v[127:128], v[119:120]
	v_add_f64 v[5:6], v[6:7], v[121:122]
	s_waitcnt vmcnt(4)
	v_fma_f64 v[7:8], v[115:116], v[176:177], -v[133:134]
	v_fma_f64 v[115:116], v[117:118], v[176:177], v[123:124]
	v_add_f64 v[1:2], v[119:120], v[1:2]
	v_add_f64 v[3:4], v[5:6], v[3:4]
	;; [unrolled: 1-line block ×4, first 2 shown]
	s_waitcnt vmcnt(2)
	v_add_f64 v[1:2], v[125:126], -v[1:2]
	s_waitcnt vmcnt(0)
	v_add_f64 v[3:4], v[182:183], -v[3:4]
	buffer_store_dword v2, off, s[0:3], 0 offset:628
	buffer_store_dword v1, off, s[0:3], 0 offset:624
	;; [unrolled: 1-line block ×4, first 2 shown]
	v_cmpx_lt_u32_e32 37, v0
	s_cbranch_execz .LBB116_257
; %bb.256:
	v_mov_b32_e32 v4, s27
	v_mov_b32_e32 v5, 0
	s_clause 0x3
	buffer_load_dword v1, v4, s[0:3], 0 offen
	buffer_load_dword v2, v4, s[0:3], 0 offen offset:4
	buffer_load_dword v3, v4, s[0:3], 0 offen offset:8
	;; [unrolled: 1-line block ×3, first 2 shown]
	buffer_store_dword v5, off, s[0:3], 0 offset:608
	buffer_store_dword v5, off, s[0:3], 0 offset:612
	;; [unrolled: 1-line block ×4, first 2 shown]
	s_waitcnt vmcnt(0)
	ds_write_b128 v175, v[1:4]
.LBB116_257:
	s_or_b32 exec_lo, exec_lo, s4
	s_waitcnt lgkmcnt(0)
	s_waitcnt_vscnt null, 0x0
	s_barrier
	buffer_gl0_inv
	s_clause 0x37
	buffer_load_dword v6, off, s[0:3], 0 offset:632
	buffer_load_dword v7, off, s[0:3], 0 offset:636
	buffer_load_dword v123, off, s[0:3], 0 offset:648
	buffer_load_dword v124, off, s[0:3], 0 offset:652
	buffer_load_dword v125, off, s[0:3], 0 offset:624
	buffer_load_dword v126, off, s[0:3], 0 offset:628
	buffer_load_dword v127, off, s[0:3], 0 offset:664
	buffer_load_dword v128, off, s[0:3], 0 offset:668
	buffer_load_dword v129, off, s[0:3], 0 offset:640
	buffer_load_dword v130, off, s[0:3], 0 offset:644
	buffer_load_dword v132, off, s[0:3], 0 offset:684
	buffer_load_dword v133, off, s[0:3], 0 offset:696
	buffer_load_dword v135, off, s[0:3], 0 offset:688
	buffer_load_dword v131, off, s[0:3], 0 offset:680
	buffer_load_dword v137, off, s[0:3], 0 offset:656
	buffer_load_dword v138, off, s[0:3], 0 offset:660
	buffer_load_dword v134, off, s[0:3], 0 offset:700
	buffer_load_dword v140, off, s[0:3], 0 offset:676
	buffer_load_dword v139, off, s[0:3], 0 offset:672
	buffer_load_dword v142, off, s[0:3], 0 offset:716
	buffer_load_dword v143, off, s[0:3], 0 offset:728
	buffer_load_dword v145, off, s[0:3], 0 offset:720
	buffer_load_dword v141, off, s[0:3], 0 offset:712
	buffer_load_dword v136, off, s[0:3], 0 offset:692
	buffer_load_dword v144, off, s[0:3], 0 offset:732
	buffer_load_dword v148, off, s[0:3], 0 offset:708
	buffer_load_dword v147, off, s[0:3], 0 offset:704
	buffer_load_dword v150, off, s[0:3], 0 offset:748
	buffer_load_dword v151, off, s[0:3], 0 offset:760
	buffer_load_dword v153, off, s[0:3], 0 offset:752
	buffer_load_dword v149, off, s[0:3], 0 offset:744
	buffer_load_dword v146, off, s[0:3], 0 offset:724
	buffer_load_dword v152, off, s[0:3], 0 offset:764
	buffer_load_dword v156, off, s[0:3], 0 offset:740
	buffer_load_dword v155, off, s[0:3], 0 offset:736
	buffer_load_dword v158, off, s[0:3], 0 offset:780
	buffer_load_dword v159, off, s[0:3], 0 offset:792
	buffer_load_dword v161, off, s[0:3], 0 offset:784
	buffer_load_dword v157, off, s[0:3], 0 offset:776
	buffer_load_dword v154, off, s[0:3], 0 offset:756
	buffer_load_dword v160, off, s[0:3], 0 offset:796
	buffer_load_dword v164, off, s[0:3], 0 offset:772
	buffer_load_dword v163, off, s[0:3], 0 offset:768
	buffer_load_dword v166, off, s[0:3], 0 offset:812
	buffer_load_dword v167, off, s[0:3], 0 offset:824
	buffer_load_dword v169, off, s[0:3], 0 offset:816
	buffer_load_dword v165, off, s[0:3], 0 offset:808
	buffer_load_dword v162, off, s[0:3], 0 offset:788
	buffer_load_dword v168, off, s[0:3], 0 offset:828
	buffer_load_dword v172, off, s[0:3], 0 offset:804
	buffer_load_dword v171, off, s[0:3], 0 offset:800
	buffer_load_dword v174, off, s[0:3], 0 offset:844
	buffer_load_dword v176, off, s[0:3], 0 offset:856
	buffer_load_dword v178, off, s[0:3], 0 offset:848
	buffer_load_dword v173, off, s[0:3], 0 offset:840
	buffer_load_dword v170, off, s[0:3], 0 offset:820
	v_mov_b32_e32 v1, 0
	s_mov_b32 s4, exec_lo
	ds_read_b128 v[2:5], v1 offset:1456
	s_clause 0x2
	buffer_load_dword v177, off, s[0:3], 0 offset:860
	buffer_load_dword v181, off, s[0:3], 0 offset:836
	;; [unrolled: 1-line block ×3, first 2 shown]
	ds_read_b128 v[115:118], v1 offset:1472
	ds_read_b128 v[119:122], v1 offset:1488
	buffer_load_dword v179, off, s[0:3], 0 offset:852
	s_waitcnt vmcnt(58) lgkmcnt(2)
	v_mul_f64 v[182:183], v[4:5], v[6:7]
	v_mul_f64 v[6:7], v[2:3], v[6:7]
	s_waitcnt vmcnt(56) lgkmcnt(1)
	v_mul_f64 v[184:185], v[117:118], v[123:124]
	v_mul_f64 v[123:124], v[115:116], v[123:124]
	s_waitcnt vmcnt(54)
	v_fma_f64 v[182:183], v[2:3], v[125:126], -v[182:183]
	v_fma_f64 v[6:7], v[4:5], v[125:126], v[6:7]
	s_waitcnt vmcnt(52) lgkmcnt(0)
	v_mul_f64 v[125:126], v[119:120], v[127:128]
	v_mul_f64 v[127:128], v[121:122], v[127:128]
	s_waitcnt vmcnt(50)
	v_fma_f64 v[184:185], v[115:116], v[129:130], -v[184:185]
	ds_read_b128 v[2:5], v1 offset:1504
	v_fma_f64 v[123:124], v[117:118], v[129:130], v[123:124]
	s_clause 0x3
	buffer_load_dword v129, off, s[0:3], 0 offset:608
	buffer_load_dword v130, off, s[0:3], 0 offset:612
	;; [unrolled: 1-line block ×4, first 2 shown]
	ds_read_b128 v[115:118], v1 offset:1520
	v_add_f64 v[182:183], v[182:183], 0
	v_add_f64 v[6:7], v[6:7], 0
	s_waitcnt vmcnt(48)
	v_fma_f64 v[125:126], v[121:122], v[137:138], v[125:126]
	s_waitcnt lgkmcnt(1)
	v_mul_f64 v[188:189], v[2:3], v[131:132]
	v_mul_f64 v[131:132], v[4:5], v[131:132]
	v_fma_f64 v[127:128], v[119:120], v[137:138], -v[127:128]
	ds_read_b128 v[119:122], v1 offset:1536
	v_add_f64 v[182:183], v[182:183], v[184:185]
	v_add_f64 v[6:7], v[6:7], v[123:124]
	s_waitcnt vmcnt(47) lgkmcnt(1)
	v_mul_f64 v[123:124], v[115:116], v[133:134]
	v_mul_f64 v[133:134], v[117:118], v[133:134]
	s_waitcnt vmcnt(45)
	v_fma_f64 v[131:132], v[2:3], v[139:140], -v[131:132]
	v_fma_f64 v[137:138], v[4:5], v[139:140], v[188:189]
	s_waitcnt vmcnt(41) lgkmcnt(0)
	v_mul_f64 v[139:140], v[121:122], v[141:142]
	ds_read_b128 v[2:5], v1 offset:1552
	v_add_f64 v[127:128], v[182:183], v[127:128]
	v_add_f64 v[6:7], v[6:7], v[125:126]
	v_mul_f64 v[125:126], v[119:120], v[141:142]
	s_waitcnt vmcnt(40)
	v_fma_f64 v[133:134], v[115:116], v[135:136], -v[133:134]
	v_fma_f64 v[123:124], v[117:118], v[135:136], v[123:124]
	ds_read_b128 v[115:118], v1 offset:1568
	s_waitcnt vmcnt(39) lgkmcnt(1)
	v_mul_f64 v[135:136], v[4:5], v[143:144]
	v_add_f64 v[127:128], v[127:128], v[131:132]
	v_add_f64 v[6:7], v[6:7], v[137:138]
	s_waitcnt vmcnt(37)
	v_fma_f64 v[137:138], v[119:120], v[147:148], -v[139:140]
	v_mul_f64 v[131:132], v[2:3], v[143:144]
	v_fma_f64 v[125:126], v[121:122], v[147:148], v[125:126]
	ds_read_b128 v[119:122], v1 offset:1584
	s_waitcnt vmcnt(32)
	v_fma_f64 v[135:136], v[2:3], v[145:146], -v[135:136]
	v_add_f64 v[127:128], v[127:128], v[133:134]
	v_add_f64 v[6:7], v[6:7], v[123:124]
	s_waitcnt lgkmcnt(1)
	v_mul_f64 v[133:134], v[117:118], v[149:150]
	v_mul_f64 v[123:124], v[115:116], v[149:150]
	v_fma_f64 v[131:132], v[4:5], v[145:146], v[131:132]
	ds_read_b128 v[2:5], v1 offset:1600
	v_add_f64 v[127:128], v[127:128], v[137:138]
	v_add_f64 v[6:7], v[6:7], v[125:126]
	s_waitcnt vmcnt(31) lgkmcnt(1)
	v_mul_f64 v[137:138], v[121:122], v[151:152]
	s_waitcnt vmcnt(29)
	v_fma_f64 v[133:134], v[115:116], v[155:156], -v[133:134]
	v_mul_f64 v[125:126], v[119:120], v[151:152]
	v_fma_f64 v[123:124], v[117:118], v[155:156], v[123:124]
	ds_read_b128 v[115:118], v1 offset:1616
	v_add_f64 v[127:128], v[127:128], v[135:136]
	v_add_f64 v[6:7], v[6:7], v[131:132]
	s_waitcnt vmcnt(25) lgkmcnt(1)
	v_mul_f64 v[135:136], v[4:5], v[157:158]
	s_waitcnt vmcnt(24)
	v_fma_f64 v[137:138], v[119:120], v[153:154], -v[137:138]
	v_mul_f64 v[131:132], v[2:3], v[157:158]
	v_fma_f64 v[125:126], v[121:122], v[153:154], v[125:126]
	ds_read_b128 v[119:122], v1 offset:1632
	v_add_f64 v[127:128], v[127:128], v[133:134]
	v_add_f64 v[6:7], v[6:7], v[123:124]
	s_waitcnt vmcnt(23) lgkmcnt(1)
	v_mul_f64 v[133:134], v[117:118], v[159:160]
	s_waitcnt vmcnt(21)
	v_fma_f64 v[135:136], v[2:3], v[163:164], -v[135:136]
	v_mul_f64 v[123:124], v[115:116], v[159:160]
	v_fma_f64 v[131:132], v[4:5], v[163:164], v[131:132]
	ds_read_b128 v[2:5], v1 offset:1648
	v_add_f64 v[127:128], v[127:128], v[137:138]
	v_add_f64 v[6:7], v[6:7], v[125:126]
	s_waitcnt vmcnt(17) lgkmcnt(1)
	v_mul_f64 v[137:138], v[121:122], v[165:166]
	s_waitcnt vmcnt(16)
	v_fma_f64 v[133:134], v[115:116], v[161:162], -v[133:134]
	v_mul_f64 v[125:126], v[119:120], v[165:166]
	v_fma_f64 v[123:124], v[117:118], v[161:162], v[123:124]
	ds_read_b128 v[115:118], v1 offset:1664
	v_add_f64 v[127:128], v[127:128], v[135:136]
	v_add_f64 v[6:7], v[6:7], v[131:132]
	s_waitcnt vmcnt(15) lgkmcnt(1)
	v_mul_f64 v[135:136], v[4:5], v[167:168]
	s_waitcnt vmcnt(13)
	v_fma_f64 v[137:138], v[119:120], v[171:172], -v[137:138]
	v_mul_f64 v[131:132], v[2:3], v[167:168]
	v_fma_f64 v[125:126], v[121:122], v[171:172], v[125:126]
	ds_read_b128 v[119:122], v1 offset:1680
	v_add_f64 v[127:128], v[127:128], v[133:134]
	v_add_f64 v[6:7], v[6:7], v[123:124]
	s_waitcnt vmcnt(9) lgkmcnt(1)
	v_mul_f64 v[133:134], v[117:118], v[173:174]
	s_waitcnt vmcnt(8)
	v_fma_f64 v[2:3], v[2:3], v[169:170], -v[135:136]
	v_mul_f64 v[123:124], v[115:116], v[173:174]
	v_fma_f64 v[4:5], v[4:5], v[169:170], v[131:132]
	s_waitcnt vmcnt(7) lgkmcnt(0)
	v_mul_f64 v[131:132], v[121:122], v[176:177]
	v_add_f64 v[127:128], v[127:128], v[137:138]
	v_add_f64 v[6:7], v[6:7], v[125:126]
	s_waitcnt vmcnt(5)
	v_fma_f64 v[115:116], v[115:116], v[180:181], -v[133:134]
	v_mul_f64 v[125:126], v[119:120], v[176:177]
	v_fma_f64 v[117:118], v[117:118], v[180:181], v[123:124]
	v_add_f64 v[2:3], v[127:128], v[2:3]
	v_add_f64 v[4:5], v[6:7], v[4:5]
	s_waitcnt vmcnt(4)
	v_fma_f64 v[6:7], v[119:120], v[178:179], -v[131:132]
	v_add_f64 v[2:3], v[2:3], v[115:116]
	v_fma_f64 v[115:116], v[121:122], v[178:179], v[125:126]
	v_add_f64 v[4:5], v[4:5], v[117:118]
	v_add_f64 v[2:3], v[2:3], v[6:7]
	;; [unrolled: 1-line block ×3, first 2 shown]
	s_waitcnt vmcnt(2)
	v_add_f64 v[2:3], v[129:130], -v[2:3]
	s_waitcnt vmcnt(0)
	v_add_f64 v[4:5], v[186:187], -v[4:5]
	buffer_store_dword v3, off, s[0:3], 0 offset:612
	buffer_store_dword v2, off, s[0:3], 0 offset:608
	;; [unrolled: 1-line block ×4, first 2 shown]
	v_cmpx_lt_u32_e32 36, v0
	s_cbranch_execz .LBB116_259
; %bb.258:
	v_mov_b32_e32 v5, s28
	s_clause 0x3
	buffer_load_dword v2, v5, s[0:3], 0 offen
	buffer_load_dword v3, v5, s[0:3], 0 offen offset:4
	buffer_load_dword v4, v5, s[0:3], 0 offen offset:8
	;; [unrolled: 1-line block ×3, first 2 shown]
	buffer_store_dword v1, off, s[0:3], 0 offset:592
	buffer_store_dword v1, off, s[0:3], 0 offset:596
	;; [unrolled: 1-line block ×4, first 2 shown]
	s_waitcnt vmcnt(0)
	ds_write_b128 v175, v[2:5]
.LBB116_259:
	s_or_b32 exec_lo, exec_lo, s4
	s_waitcnt lgkmcnt(0)
	s_waitcnt_vscnt null, 0x0
	s_barrier
	buffer_gl0_inv
	s_clause 0x37
	buffer_load_dword v6, off, s[0:3], 0 offset:616
	buffer_load_dword v7, off, s[0:3], 0 offset:620
	;; [unrolled: 1-line block ×56, first 2 shown]
	ds_read_b128 v[2:5], v1 offset:1440
	s_clause 0x2
	buffer_load_dword v177, off, s[0:3], 0 offset:844
	buffer_load_dword v181, off, s[0:3], 0 offset:820
	;; [unrolled: 1-line block ×3, first 2 shown]
	ds_read_b128 v[115:118], v1 offset:1456
	s_clause 0x2
	buffer_load_dword v185, off, s[0:3], 0 offset:860
	buffer_load_dword v184, off, s[0:3], 0 offset:856
	;; [unrolled: 1-line block ×3, first 2 shown]
	ds_read_b128 v[119:122], v1 offset:1472
	s_mov_b32 s4, exec_lo
	s_waitcnt vmcnt(60) lgkmcnt(2)
	v_mul_f64 v[182:183], v[4:5], v[6:7]
	v_mul_f64 v[6:7], v[2:3], v[6:7]
	s_waitcnt vmcnt(58) lgkmcnt(1)
	v_mul_f64 v[186:187], v[117:118], v[123:124]
	v_mul_f64 v[123:124], v[115:116], v[123:124]
	;; [unrolled: 3-line block ×3, first 2 shown]
	v_fma_f64 v[182:183], v[2:3], v[125:126], -v[182:183]
	v_fma_f64 v[6:7], v[4:5], v[125:126], v[6:7]
	s_clause 0x1
	buffer_load_dword v126, off, s[0:3], 0 offset:852
	buffer_load_dword v125, off, s[0:3], 0 offset:848
	s_waitcnt vmcnt(54)
	v_fma_f64 v[186:187], v[115:116], v[129:130], -v[186:187]
	ds_read_b128 v[2:5], v1 offset:1488
	v_fma_f64 v[123:124], v[117:118], v[129:130], v[123:124]
	ds_read_b128 v[115:118], v1 offset:1504
	s_waitcnt vmcnt(48)
	v_fma_f64 v[127:128], v[119:120], v[137:138], -v[127:128]
	v_fma_f64 v[137:138], v[121:122], v[137:138], v[188:189]
	v_add_f64 v[182:183], v[182:183], 0
	v_add_f64 v[6:7], v[6:7], 0
	s_waitcnt lgkmcnt(1)
	v_mul_f64 v[129:130], v[2:3], v[131:132]
	v_mul_f64 v[131:132], v[4:5], v[131:132]
	s_waitcnt vmcnt(47) lgkmcnt(0)
	v_mul_f64 v[188:189], v[115:116], v[133:134]
	v_mul_f64 v[133:134], v[117:118], v[133:134]
	v_add_f64 v[182:183], v[182:183], v[186:187]
	v_add_f64 v[6:7], v[6:7], v[123:124]
	s_clause 0x3
	buffer_load_dword v123, off, s[0:3], 0 offset:592
	buffer_load_dword v124, off, s[0:3], 0 offset:596
	;; [unrolled: 1-line block ×4, first 2 shown]
	s_waitcnt vmcnt(49)
	v_fma_f64 v[131:132], v[2:3], v[139:140], -v[131:132]
	ds_read_b128 v[119:122], v1 offset:1520
	v_fma_f64 v[129:130], v[4:5], v[139:140], v[129:130]
	ds_read_b128 v[2:5], v1 offset:1536
	s_waitcnt vmcnt(44)
	v_fma_f64 v[133:134], v[115:116], v[135:136], -v[133:134]
	v_add_f64 v[127:128], v[182:183], v[127:128]
	v_add_f64 v[6:7], v[6:7], v[137:138]
	s_waitcnt lgkmcnt(1)
	v_mul_f64 v[139:140], v[121:122], v[141:142]
	v_mul_f64 v[137:138], v[119:120], v[141:142]
	v_add_f64 v[127:128], v[127:128], v[131:132]
	v_fma_f64 v[131:132], v[117:118], v[135:136], v[188:189]
	v_add_f64 v[6:7], v[6:7], v[129:130]
	s_waitcnt vmcnt(43) lgkmcnt(0)
	v_mul_f64 v[135:136], v[4:5], v[143:144]
	s_waitcnt vmcnt(41)
	v_fma_f64 v[139:140], v[119:120], v[147:148], -v[139:140]
	ds_read_b128 v[115:118], v1 offset:1552
	v_mul_f64 v[129:130], v[2:3], v[143:144]
	v_add_f64 v[127:128], v[127:128], v[133:134]
	v_fma_f64 v[133:134], v[121:122], v[147:148], v[137:138]
	v_add_f64 v[6:7], v[6:7], v[131:132]
	ds_read_b128 v[119:122], v1 offset:1568
	s_waitcnt vmcnt(37) lgkmcnt(1)
	v_mul_f64 v[137:138], v[117:118], v[149:150]
	s_waitcnt vmcnt(36)
	v_fma_f64 v[135:136], v[2:3], v[145:146], -v[135:136]
	v_mul_f64 v[131:132], v[115:116], v[149:150]
	v_fma_f64 v[129:130], v[4:5], v[145:146], v[129:130]
	ds_read_b128 v[2:5], v1 offset:1584
	v_add_f64 v[127:128], v[127:128], v[139:140]
	s_waitcnt vmcnt(35) lgkmcnt(1)
	v_mul_f64 v[139:140], v[121:122], v[151:152]
	v_add_f64 v[6:7], v[6:7], v[133:134]
	v_mul_f64 v[133:134], v[119:120], v[151:152]
	s_waitcnt vmcnt(33)
	v_fma_f64 v[137:138], v[115:116], v[155:156], -v[137:138]
	v_fma_f64 v[131:132], v[117:118], v[155:156], v[131:132]
	ds_read_b128 v[115:118], v1 offset:1600
	v_add_f64 v[127:128], v[127:128], v[135:136]
	s_waitcnt vmcnt(29) lgkmcnt(1)
	v_mul_f64 v[135:136], v[4:5], v[157:158]
	v_add_f64 v[6:7], v[6:7], v[129:130]
	s_waitcnt vmcnt(28)
	v_fma_f64 v[139:140], v[119:120], v[153:154], -v[139:140]
	v_mul_f64 v[129:130], v[2:3], v[157:158]
	v_fma_f64 v[133:134], v[121:122], v[153:154], v[133:134]
	ds_read_b128 v[119:122], v1 offset:1616
	v_add_f64 v[127:128], v[127:128], v[137:138]
	s_waitcnt vmcnt(27) lgkmcnt(1)
	v_mul_f64 v[137:138], v[117:118], v[159:160]
	v_add_f64 v[6:7], v[6:7], v[131:132]
	s_waitcnt vmcnt(25)
	v_fma_f64 v[135:136], v[2:3], v[163:164], -v[135:136]
	v_mul_f64 v[131:132], v[115:116], v[159:160]
	;; [unrolled: 9-line block ×5, first 2 shown]
	v_fma_f64 v[129:130], v[4:5], v[169:170], v[129:130]
	ds_read_b128 v[1:4], v1 offset:1680
	v_add_f64 v[127:128], v[127:128], v[139:140]
	s_waitcnt vmcnt(9)
	v_fma_f64 v[115:116], v[115:116], v[180:181], -v[137:138]
	v_add_f64 v[5:6], v[6:7], v[133:134]
	s_waitcnt lgkmcnt(1)
	v_mul_f64 v[133:134], v[121:122], v[176:177]
	v_mul_f64 v[7:8], v[119:120], v[176:177]
	v_fma_f64 v[117:118], v[117:118], v[180:181], v[131:132]
	s_waitcnt vmcnt(7) lgkmcnt(0)
	v_mul_f64 v[131:132], v[3:4], v[184:185]
	v_add_f64 v[127:128], v[127:128], v[135:136]
	v_add_f64 v[5:6], v[5:6], v[129:130]
	s_waitcnt vmcnt(6)
	v_fma_f64 v[119:120], v[119:120], v[178:179], -v[133:134]
	v_mul_f64 v[129:130], v[1:2], v[184:185]
	v_fma_f64 v[7:8], v[121:122], v[178:179], v[7:8]
	v_add_f64 v[115:116], v[127:128], v[115:116]
	v_add_f64 v[5:6], v[5:6], v[117:118]
	s_waitcnt vmcnt(4)
	v_fma_f64 v[1:2], v[1:2], v[125:126], -v[131:132]
	v_fma_f64 v[3:4], v[3:4], v[125:126], v[129:130]
	v_add_f64 v[115:116], v[115:116], v[119:120]
	v_add_f64 v[5:6], v[5:6], v[7:8]
	;; [unrolled: 1-line block ×4, first 2 shown]
	s_waitcnt vmcnt(2)
	v_add_f64 v[1:2], v[123:124], -v[1:2]
	s_waitcnt vmcnt(0)
	v_add_f64 v[3:4], v[186:187], -v[3:4]
	buffer_store_dword v2, off, s[0:3], 0 offset:596
	buffer_store_dword v1, off, s[0:3], 0 offset:592
	;; [unrolled: 1-line block ×4, first 2 shown]
	v_cmpx_lt_u32_e32 35, v0
	s_cbranch_execz .LBB116_261
; %bb.260:
	v_mov_b32_e32 v4, s29
	v_mov_b32_e32 v5, 0
	s_clause 0x3
	buffer_load_dword v1, v4, s[0:3], 0 offen
	buffer_load_dword v2, v4, s[0:3], 0 offen offset:4
	buffer_load_dword v3, v4, s[0:3], 0 offen offset:8
	;; [unrolled: 1-line block ×3, first 2 shown]
	buffer_store_dword v5, off, s[0:3], 0 offset:576
	buffer_store_dword v5, off, s[0:3], 0 offset:580
	;; [unrolled: 1-line block ×4, first 2 shown]
	s_waitcnt vmcnt(0)
	ds_write_b128 v175, v[1:4]
.LBB116_261:
	s_or_b32 exec_lo, exec_lo, s4
	s_waitcnt lgkmcnt(0)
	s_waitcnt_vscnt null, 0x0
	s_barrier
	buffer_gl0_inv
	s_clause 0x35
	buffer_load_dword v6, off, s[0:3], 0 offset:600
	buffer_load_dword v7, off, s[0:3], 0 offset:604
	;; [unrolled: 1-line block ×54, first 2 shown]
	v_mov_b32_e32 v1, 0
	s_mov_b32 s4, exec_lo
	ds_read_b128 v[2:5], v1 offset:1424
	s_clause 0x3
	buffer_load_dword v176, off, s[0:3], 0 offset:824
	buffer_load_dword v177, off, s[0:3], 0 offset:828
	;; [unrolled: 1-line block ×4, first 2 shown]
	ds_read_b128 v[115:118], v1 offset:1440
	s_clause 0x3
	buffer_load_dword v183, off, s[0:3], 0 offset:844
	buffer_load_dword v182, off, s[0:3], 0 offset:840
	;; [unrolled: 1-line block ×4, first 2 shown]
	ds_read_b128 v[119:122], v1 offset:1456
	s_waitcnt vmcnt(60) lgkmcnt(2)
	v_mul_f64 v[180:181], v[4:5], v[6:7]
	v_mul_f64 v[6:7], v[2:3], v[6:7]
	s_waitcnt vmcnt(58) lgkmcnt(1)
	v_mul_f64 v[186:187], v[117:118], v[123:124]
	v_mul_f64 v[123:124], v[115:116], v[123:124]
	;; [unrolled: 3-line block ×3, first 2 shown]
	v_fma_f64 v[180:181], v[2:3], v[125:126], -v[180:181]
	v_fma_f64 v[6:7], v[4:5], v[125:126], v[6:7]
	s_clause 0x3
	buffer_load_dword v125, off, s[0:3], 0 offset:856
	buffer_load_dword v126, off, s[0:3], 0 offset:860
	;; [unrolled: 1-line block ×4, first 2 shown]
	s_waitcnt vmcnt(56)
	v_fma_f64 v[186:187], v[115:116], v[129:130], -v[186:187]
	ds_read_b128 v[2:5], v1 offset:1472
	v_fma_f64 v[123:124], v[117:118], v[129:130], v[123:124]
	s_clause 0x1
	buffer_load_dword v129, off, s[0:3], 0 offset:848
	buffer_load_dword v130, off, s[0:3], 0 offset:852
	s_waitcnt vmcnt(54)
	v_fma_f64 v[127:128], v[119:120], v[133:134], -v[127:128]
	ds_read_b128 v[115:118], v1 offset:1488
	v_fma_f64 v[133:134], v[121:122], v[133:134], v[190:191]
	ds_read_b128 v[119:122], v1 offset:1504
	v_add_f64 v[180:181], v[180:181], 0
	v_add_f64 v[6:7], v[6:7], 0
	s_waitcnt lgkmcnt(2)
	v_mul_f64 v[192:193], v[2:3], v[131:132]
	v_mul_f64 v[131:132], v[4:5], v[131:132]
	v_add_f64 v[180:181], v[180:181], v[186:187]
	v_add_f64 v[6:7], v[6:7], v[123:124]
	s_waitcnt vmcnt(52) lgkmcnt(1)
	v_mul_f64 v[123:124], v[115:116], v[135:136]
	v_mul_f64 v[135:136], v[117:118], v[135:136]
	s_waitcnt vmcnt(50)
	v_fma_f64 v[131:132], v[2:3], v[137:138], -v[131:132]
	v_fma_f64 v[137:138], v[4:5], v[137:138], v[192:193]
	s_waitcnt vmcnt(48) lgkmcnt(0)
	v_mul_f64 v[186:187], v[119:120], v[139:140]
	v_mul_f64 v[139:140], v[121:122], v[139:140]
	v_add_f64 v[127:128], v[180:181], v[127:128]
	v_add_f64 v[6:7], v[6:7], v[133:134]
	s_clause 0x3
	buffer_load_dword v133, off, s[0:3], 0 offset:576
	buffer_load_dword v134, off, s[0:3], 0 offset:580
	;; [unrolled: 1-line block ×4, first 2 shown]
	s_waitcnt vmcnt(50)
	v_fma_f64 v[135:136], v[115:116], v[141:142], -v[135:136]
	ds_read_b128 v[2:5], v1 offset:1520
	v_fma_f64 v[123:124], v[117:118], v[141:142], v[123:124]
	ds_read_b128 v[115:118], v1 offset:1536
	s_waitcnt vmcnt(46)
	v_fma_f64 v[139:140], v[119:120], v[145:146], -v[139:140]
	v_add_f64 v[127:128], v[127:128], v[131:132]
	v_add_f64 v[6:7], v[6:7], v[137:138]
	s_waitcnt lgkmcnt(1)
	v_mul_f64 v[137:138], v[4:5], v[143:144]
	v_mul_f64 v[131:132], v[2:3], v[143:144]
	s_waitcnt vmcnt(44) lgkmcnt(0)
	v_mul_f64 v[141:142], v[117:118], v[147:148]
	v_add_f64 v[127:128], v[127:128], v[135:136]
	v_fma_f64 v[135:136], v[121:122], v[145:146], v[186:187]
	v_add_f64 v[6:7], v[6:7], v[123:124]
	s_waitcnt vmcnt(42)
	v_fma_f64 v[137:138], v[2:3], v[149:150], -v[137:138]
	ds_read_b128 v[119:122], v1 offset:1552
	v_mul_f64 v[123:124], v[115:116], v[147:148]
	v_fma_f64 v[131:132], v[4:5], v[149:150], v[131:132]
	ds_read_b128 v[2:5], v1 offset:1568
	s_waitcnt vmcnt(38)
	v_fma_f64 v[141:142], v[115:116], v[153:154], -v[141:142]
	v_add_f64 v[127:128], v[127:128], v[139:140]
	v_add_f64 v[6:7], v[6:7], v[135:136]
	s_waitcnt lgkmcnt(1)
	v_mul_f64 v[139:140], v[121:122], v[151:152]
	v_mul_f64 v[135:136], v[119:120], v[151:152]
	v_fma_f64 v[123:124], v[117:118], v[153:154], v[123:124]
	ds_read_b128 v[115:118], v1 offset:1584
	v_add_f64 v[127:128], v[127:128], v[137:138]
	s_waitcnt vmcnt(36) lgkmcnt(1)
	v_mul_f64 v[137:138], v[4:5], v[155:156]
	v_add_f64 v[6:7], v[6:7], v[131:132]
	s_waitcnt vmcnt(34)
	v_fma_f64 v[139:140], v[119:120], v[157:158], -v[139:140]
	v_mul_f64 v[131:132], v[2:3], v[155:156]
	v_fma_f64 v[135:136], v[121:122], v[157:158], v[135:136]
	ds_read_b128 v[119:122], v1 offset:1600
	v_add_f64 v[127:128], v[127:128], v[141:142]
	s_waitcnt vmcnt(32) lgkmcnt(1)
	v_mul_f64 v[141:142], v[117:118], v[159:160]
	v_add_f64 v[6:7], v[6:7], v[123:124]
	s_waitcnt vmcnt(30)
	v_fma_f64 v[137:138], v[2:3], v[161:162], -v[137:138]
	;; [unrolled: 9-line block ×7, first 2 shown]
	v_mul_f64 v[131:132], v[2:3], v[182:183]
	v_fma_f64 v[121:122], v[121:122], v[184:185], v[135:136]
	v_add_f64 v[127:128], v[127:128], v[141:142]
	v_add_f64 v[6:7], v[6:7], v[123:124]
	s_waitcnt vmcnt(8) lgkmcnt(0)
	v_mul_f64 v[123:124], v[115:116], v[125:126]
	v_mul_f64 v[125:126], v[117:118], v[125:126]
	s_waitcnt vmcnt(6)
	v_fma_f64 v[2:3], v[2:3], v[188:189], -v[137:138]
	v_fma_f64 v[4:5], v[4:5], v[188:189], v[131:132]
	v_add_f64 v[119:120], v[127:128], v[119:120]
	v_add_f64 v[6:7], v[6:7], v[121:122]
	s_waitcnt vmcnt(4)
	v_fma_f64 v[117:118], v[117:118], v[129:130], v[123:124]
	v_fma_f64 v[115:116], v[115:116], v[129:130], -v[125:126]
	v_add_f64 v[2:3], v[119:120], v[2:3]
	v_add_f64 v[4:5], v[6:7], v[4:5]
	;; [unrolled: 1-line block ×4, first 2 shown]
	s_waitcnt vmcnt(2)
	v_add_f64 v[2:3], v[133:134], -v[2:3]
	s_waitcnt vmcnt(0)
	v_add_f64 v[4:5], v[180:181], -v[4:5]
	buffer_store_dword v3, off, s[0:3], 0 offset:580
	buffer_store_dword v2, off, s[0:3], 0 offset:576
	;; [unrolled: 1-line block ×4, first 2 shown]
	v_cmpx_lt_u32_e32 34, v0
	s_cbranch_execz .LBB116_263
; %bb.262:
	v_mov_b32_e32 v5, s30
	s_clause 0x3
	buffer_load_dword v2, v5, s[0:3], 0 offen
	buffer_load_dword v3, v5, s[0:3], 0 offen offset:4
	buffer_load_dword v4, v5, s[0:3], 0 offen offset:8
	;; [unrolled: 1-line block ×3, first 2 shown]
	buffer_store_dword v1, off, s[0:3], 0 offset:560
	buffer_store_dword v1, off, s[0:3], 0 offset:564
	;; [unrolled: 1-line block ×4, first 2 shown]
	s_waitcnt vmcnt(0)
	ds_write_b128 v175, v[2:5]
.LBB116_263:
	s_or_b32 exec_lo, exec_lo, s4
	s_waitcnt lgkmcnt(0)
	s_waitcnt_vscnt null, 0x0
	s_barrier
	buffer_gl0_inv
	s_clause 0x37
	buffer_load_dword v6, off, s[0:3], 0 offset:584
	buffer_load_dword v7, off, s[0:3], 0 offset:588
	;; [unrolled: 1-line block ×56, first 2 shown]
	ds_read_b128 v[2:5], v1 offset:1408
	s_clause 0x2
	buffer_load_dword v177, off, s[0:3], 0 offset:812
	buffer_load_dword v181, off, s[0:3], 0 offset:788
	;; [unrolled: 1-line block ×3, first 2 shown]
	ds_read_b128 v[115:118], v1 offset:1424
	s_clause 0x4
	buffer_load_dword v185, off, s[0:3], 0 offset:828
	buffer_load_dword v186, off, s[0:3], 0 offset:840
	;; [unrolled: 1-line block ×5, first 2 shown]
	ds_read_b128 v[119:122], v1 offset:1440
	s_mov_b32 s4, exec_lo
	s_waitcnt vmcnt(62) lgkmcnt(2)
	v_mul_f64 v[182:183], v[4:5], v[6:7]
	v_mul_f64 v[6:7], v[2:3], v[6:7]
	s_waitcnt vmcnt(60) lgkmcnt(1)
	v_mul_f64 v[189:190], v[117:118], v[123:124]
	v_mul_f64 v[123:124], v[115:116], v[123:124]
	;; [unrolled: 3-line block ×3, first 2 shown]
	v_fma_f64 v[182:183], v[2:3], v[125:126], -v[182:183]
	v_fma_f64 v[6:7], v[4:5], v[125:126], v[6:7]
	s_clause 0x2
	buffer_load_dword v187, off, s[0:3], 0 offset:844
	buffer_load_dword v126, off, s[0:3], 0 offset:820
	;; [unrolled: 1-line block ×3, first 2 shown]
	s_waitcnt vmcnt(57)
	v_fma_f64 v[193:194], v[115:116], v[129:130], -v[189:190]
	ds_read_b128 v[2:5], v1 offset:1456
	v_fma_f64 v[123:124], v[117:118], v[129:130], v[123:124]
	s_clause 0x2
	buffer_load_dword v130, off, s[0:3], 0 offset:860
	buffer_load_dword v129, off, s[0:3], 0 offset:856
	;; [unrolled: 1-line block ×3, first 2 shown]
	s_waitcnt vmcnt(54)
	v_fma_f64 v[127:128], v[119:120], v[137:138], -v[127:128]
	ds_read_b128 v[115:118], v1 offset:1472
	v_fma_f64 v[137:138], v[121:122], v[137:138], v[191:192]
	v_add_f64 v[182:183], v[182:183], 0
	v_add_f64 v[6:7], v[6:7], 0
	s_waitcnt lgkmcnt(1)
	v_mul_f64 v[195:196], v[2:3], v[131:132]
	v_mul_f64 v[131:132], v[4:5], v[131:132]
	s_waitcnt vmcnt(53) lgkmcnt(0)
	v_mul_f64 v[190:191], v[115:116], v[133:134]
	v_mul_f64 v[133:134], v[117:118], v[133:134]
	v_add_f64 v[182:183], v[182:183], v[193:194]
	v_add_f64 v[6:7], v[6:7], v[123:124]
	s_clause 0x1
	buffer_load_dword v124, off, s[0:3], 0 offset:852
	buffer_load_dword v123, off, s[0:3], 0 offset:848
	s_waitcnt vmcnt(53)
	v_fma_f64 v[131:132], v[2:3], v[139:140], -v[131:132]
	ds_read_b128 v[119:122], v1 offset:1488
	v_fma_f64 v[139:140], v[4:5], v[139:140], v[195:196]
	ds_read_b128 v[2:5], v1 offset:1504
	s_waitcnt vmcnt(48)
	v_fma_f64 v[133:134], v[115:116], v[135:136], -v[133:134]
	v_add_f64 v[127:128], v[182:183], v[127:128]
	v_add_f64 v[6:7], v[6:7], v[137:138]
	s_waitcnt lgkmcnt(1)
	v_mul_f64 v[137:138], v[119:120], v[141:142]
	v_mul_f64 v[141:142], v[121:122], v[141:142]
	s_waitcnt vmcnt(47) lgkmcnt(0)
	v_mul_f64 v[182:183], v[2:3], v[143:144]
	v_mul_f64 v[143:144], v[4:5], v[143:144]
	v_add_f64 v[127:128], v[127:128], v[131:132]
	v_fma_f64 v[131:132], v[117:118], v[135:136], v[190:191]
	v_add_f64 v[6:7], v[6:7], v[139:140]
	s_clause 0x3
	buffer_load_dword v135, off, s[0:3], 0 offset:560
	buffer_load_dword v136, off, s[0:3], 0 offset:564
	;; [unrolled: 1-line block ×4, first 2 shown]
	s_waitcnt vmcnt(49)
	v_fma_f64 v[141:142], v[119:120], v[147:148], -v[141:142]
	ds_read_b128 v[115:118], v1 offset:1520
	s_waitcnt vmcnt(44)
	v_fma_f64 v[143:144], v[2:3], v[145:146], -v[143:144]
	v_add_f64 v[127:128], v[127:128], v[133:134]
	v_fma_f64 v[133:134], v[121:122], v[147:148], v[137:138]
	v_add_f64 v[6:7], v[6:7], v[131:132]
	ds_read_b128 v[119:122], v1 offset:1536
	s_waitcnt lgkmcnt(1)
	v_mul_f64 v[137:138], v[117:118], v[149:150]
	v_mul_f64 v[131:132], v[115:116], v[149:150]
	v_add_f64 v[127:128], v[127:128], v[141:142]
	v_fma_f64 v[141:142], v[4:5], v[145:146], v[182:183]
	v_add_f64 v[6:7], v[6:7], v[133:134]
	s_waitcnt vmcnt(43) lgkmcnt(0)
	v_mul_f64 v[145:146], v[121:122], v[151:152]
	s_waitcnt vmcnt(41)
	v_fma_f64 v[137:138], v[115:116], v[155:156], -v[137:138]
	ds_read_b128 v[2:5], v1 offset:1552
	v_mul_f64 v[133:134], v[119:120], v[151:152]
	v_fma_f64 v[131:132], v[117:118], v[155:156], v[131:132]
	ds_read_b128 v[115:118], v1 offset:1568
	v_add_f64 v[127:128], v[127:128], v[143:144]
	v_add_f64 v[6:7], v[6:7], v[141:142]
	s_waitcnt vmcnt(37) lgkmcnt(1)
	v_mul_f64 v[143:144], v[4:5], v[157:158]
	s_waitcnt vmcnt(36)
	v_fma_f64 v[145:146], v[119:120], v[153:154], -v[145:146]
	v_mul_f64 v[141:142], v[2:3], v[157:158]
	v_fma_f64 v[133:134], v[121:122], v[153:154], v[133:134]
	ds_read_b128 v[119:122], v1 offset:1584
	v_add_f64 v[127:128], v[127:128], v[137:138]
	s_waitcnt vmcnt(35) lgkmcnt(1)
	v_mul_f64 v[137:138], v[117:118], v[159:160]
	v_add_f64 v[6:7], v[6:7], v[131:132]
	s_waitcnt vmcnt(33)
	v_fma_f64 v[143:144], v[2:3], v[163:164], -v[143:144]
	v_mul_f64 v[131:132], v[115:116], v[159:160]
	v_fma_f64 v[141:142], v[4:5], v[163:164], v[141:142]
	ds_read_b128 v[2:5], v1 offset:1600
	v_add_f64 v[127:128], v[127:128], v[145:146]
	s_waitcnt vmcnt(29) lgkmcnt(1)
	v_mul_f64 v[145:146], v[121:122], v[165:166]
	v_add_f64 v[6:7], v[6:7], v[133:134]
	;; [unrolled: 9-line block ×6, first 2 shown]
	s_waitcnt vmcnt(12)
	v_fma_f64 v[145:146], v[119:120], v[178:179], -v[145:146]
	v_mul_f64 v[141:142], v[2:3], v[184:185]
	v_fma_f64 v[133:134], v[121:122], v[178:179], v[133:134]
	ds_read_b128 v[119:122], v1 offset:1680
	v_add_f64 v[127:128], v[127:128], v[137:138]
	v_add_f64 v[6:7], v[6:7], v[131:132]
	s_waitcnt vmcnt(11) lgkmcnt(1)
	v_mul_f64 v[137:138], v[117:118], v[186:187]
	v_mul_f64 v[131:132], v[115:116], v[186:187]
	s_waitcnt vmcnt(9)
	v_fma_f64 v[1:2], v[2:3], v[125:126], -v[143:144]
	v_fma_f64 v[3:4], v[4:5], v[125:126], v[141:142]
	s_waitcnt vmcnt(7) lgkmcnt(0)
	v_mul_f64 v[125:126], v[121:122], v[129:130]
	v_add_f64 v[127:128], v[127:128], v[145:146]
	v_add_f64 v[5:6], v[6:7], v[133:134]
	v_mul_f64 v[7:8], v[119:120], v[129:130]
	s_waitcnt vmcnt(6)
	v_fma_f64 v[115:116], v[115:116], v[188:189], -v[137:138]
	v_fma_f64 v[117:118], v[117:118], v[188:189], v[131:132]
	v_add_f64 v[1:2], v[127:128], v[1:2]
	v_add_f64 v[3:4], v[5:6], v[3:4]
	s_waitcnt vmcnt(4)
	v_fma_f64 v[5:6], v[119:120], v[123:124], -v[125:126]
	v_fma_f64 v[7:8], v[121:122], v[123:124], v[7:8]
	v_add_f64 v[1:2], v[1:2], v[115:116]
	v_add_f64 v[3:4], v[3:4], v[117:118]
	;; [unrolled: 1-line block ×4, first 2 shown]
	s_waitcnt vmcnt(2)
	v_add_f64 v[1:2], v[135:136], -v[1:2]
	s_waitcnt vmcnt(0)
	v_add_f64 v[3:4], v[139:140], -v[3:4]
	buffer_store_dword v2, off, s[0:3], 0 offset:564
	buffer_store_dword v1, off, s[0:3], 0 offset:560
	;; [unrolled: 1-line block ×4, first 2 shown]
	v_cmpx_lt_u32_e32 33, v0
	s_cbranch_execz .LBB116_265
; %bb.264:
	v_mov_b32_e32 v4, s31
	v_mov_b32_e32 v5, 0
	s_clause 0x3
	buffer_load_dword v1, v4, s[0:3], 0 offen
	buffer_load_dword v2, v4, s[0:3], 0 offen offset:4
	buffer_load_dword v3, v4, s[0:3], 0 offen offset:8
	buffer_load_dword v4, v4, s[0:3], 0 offen offset:12
	buffer_store_dword v5, off, s[0:3], 0 offset:544
	buffer_store_dword v5, off, s[0:3], 0 offset:548
	;; [unrolled: 1-line block ×4, first 2 shown]
	s_waitcnt vmcnt(0)
	ds_write_b128 v175, v[1:4]
.LBB116_265:
	s_or_b32 exec_lo, exec_lo, s4
	s_waitcnt lgkmcnt(0)
	s_waitcnt_vscnt null, 0x0
	s_barrier
	buffer_gl0_inv
	s_clause 0x37
	buffer_load_dword v6, off, s[0:3], 0 offset:568
	buffer_load_dword v7, off, s[0:3], 0 offset:572
	;; [unrolled: 1-line block ×56, first 2 shown]
	v_mov_b32_e32 v1, 0
	s_mov_b32 s4, exec_lo
	ds_read_b128 v[2:5], v1 offset:1392
	s_clause 0x2
	buffer_load_dword v177, off, s[0:3], 0 offset:796
	buffer_load_dword v181, off, s[0:3], 0 offset:772
	;; [unrolled: 1-line block ×3, first 2 shown]
	ds_read_b128 v[115:118], v1 offset:1408
	s_clause 0x4
	buffer_load_dword v185, off, s[0:3], 0 offset:812
	buffer_load_dword v186, off, s[0:3], 0 offset:824
	;; [unrolled: 1-line block ×5, first 2 shown]
	ds_read_b128 v[119:122], v1 offset:1424
	s_waitcnt vmcnt(62) lgkmcnt(2)
	v_mul_f64 v[182:183], v[4:5], v[6:7]
	v_mul_f64 v[6:7], v[2:3], v[6:7]
	s_waitcnt vmcnt(60) lgkmcnt(1)
	v_mul_f64 v[189:190], v[117:118], v[123:124]
	v_mul_f64 v[123:124], v[115:116], v[123:124]
	s_waitcnt vmcnt(56) lgkmcnt(0)
	v_mul_f64 v[191:192], v[119:120], v[127:128]
	v_mul_f64 v[127:128], v[121:122], v[127:128]
	v_fma_f64 v[182:183], v[2:3], v[125:126], -v[182:183]
	v_fma_f64 v[6:7], v[4:5], v[125:126], v[6:7]
	s_clause 0x2
	buffer_load_dword v187, off, s[0:3], 0 offset:828
	buffer_load_dword v126, off, s[0:3], 0 offset:804
	;; [unrolled: 1-line block ×3, first 2 shown]
	s_waitcnt vmcnt(57)
	v_fma_f64 v[193:194], v[115:116], v[129:130], -v[189:190]
	ds_read_b128 v[2:5], v1 offset:1440
	v_fma_f64 v[123:124], v[117:118], v[129:130], v[123:124]
	s_clause 0x4
	buffer_load_dword v130, off, s[0:3], 0 offset:844
	buffer_load_dword v190, off, s[0:3], 0 offset:856
	;; [unrolled: 1-line block ×5, first 2 shown]
	s_waitcnt vmcnt(56)
	v_fma_f64 v[127:128], v[119:120], v[137:138], -v[127:128]
	ds_read_b128 v[115:118], v1 offset:1456
	v_fma_f64 v[137:138], v[121:122], v[137:138], v[191:192]
	v_add_f64 v[182:183], v[182:183], 0
	v_add_f64 v[6:7], v[6:7], 0
	s_waitcnt lgkmcnt(1)
	v_mul_f64 v[196:197], v[2:3], v[131:132]
	v_mul_f64 v[131:132], v[4:5], v[131:132]
	v_add_f64 v[182:183], v[182:183], v[193:194]
	v_add_f64 v[6:7], v[6:7], v[123:124]
	s_clause 0x2
	buffer_load_dword v191, off, s[0:3], 0 offset:860
	buffer_load_dword v124, off, s[0:3], 0 offset:836
	;; [unrolled: 1-line block ×3, first 2 shown]
	s_waitcnt vmcnt(58) lgkmcnt(0)
	v_mul_f64 v[192:193], v[115:116], v[133:134]
	v_mul_f64 v[133:134], v[117:118], v[133:134]
	s_waitcnt vmcnt(56)
	v_fma_f64 v[131:132], v[2:3], v[139:140], -v[131:132]
	ds_read_b128 v[119:122], v1 offset:1472
	v_fma_f64 v[139:140], v[4:5], v[139:140], v[196:197]
	buffer_load_dword v196, off, s[0:3], 0 offset:852
	ds_read_b128 v[2:5], v1 offset:1488
	v_add_f64 v[127:128], v[182:183], v[127:128]
	v_add_f64 v[6:7], v[6:7], v[137:138]
	s_waitcnt vmcnt(53) lgkmcnt(1)
	v_mul_f64 v[137:138], v[119:120], v[141:142]
	v_mul_f64 v[141:142], v[121:122], v[141:142]
	s_waitcnt vmcnt(52)
	v_fma_f64 v[133:134], v[115:116], v[135:136], -v[133:134]
	v_add_f64 v[127:128], v[127:128], v[131:132]
	v_fma_f64 v[131:132], v[117:118], v[135:136], v[192:193]
	v_add_f64 v[6:7], v[6:7], v[139:140]
	s_waitcnt vmcnt(51) lgkmcnt(0)
	v_mul_f64 v[139:140], v[4:5], v[143:144]
	ds_read_b128 v[115:118], v1 offset:1504
	s_waitcnt vmcnt(49)
	v_fma_f64 v[141:142], v[119:120], v[147:148], -v[141:142]
	v_mul_f64 v[135:136], v[2:3], v[143:144]
	v_add_f64 v[127:128], v[127:128], v[133:134]
	v_fma_f64 v[133:134], v[121:122], v[147:148], v[137:138]
	v_add_f64 v[6:7], v[6:7], v[131:132]
	s_clause 0x3
	buffer_load_dword v131, off, s[0:3], 0 offset:544
	buffer_load_dword v132, off, s[0:3], 0 offset:548
	buffer_load_dword v137, off, s[0:3], 0 offset:552
	buffer_load_dword v138, off, s[0:3], 0 offset:556
	s_waitcnt vmcnt(49) lgkmcnt(0)
	v_mul_f64 v[147:148], v[117:118], v[149:150]
	s_waitcnt vmcnt(48)
	v_fma_f64 v[139:140], v[2:3], v[145:146], -v[139:140]
	ds_read_b128 v[119:122], v1 offset:1520
	v_mul_f64 v[143:144], v[115:116], v[149:150]
	v_fma_f64 v[135:136], v[4:5], v[145:146], v[135:136]
	ds_read_b128 v[2:5], v1 offset:1536
	v_add_f64 v[127:128], v[127:128], v[141:142]
	v_add_f64 v[6:7], v[6:7], v[133:134]
	s_waitcnt vmcnt(47) lgkmcnt(1)
	v_mul_f64 v[141:142], v[121:122], v[151:152]
	s_waitcnt vmcnt(45)
	v_fma_f64 v[145:146], v[115:116], v[155:156], -v[147:148]
	v_mul_f64 v[133:134], v[119:120], v[151:152]
	v_add_f64 v[127:128], v[127:128], v[139:140]
	v_fma_f64 v[139:140], v[117:118], v[155:156], v[143:144]
	v_add_f64 v[6:7], v[6:7], v[135:136]
	s_waitcnt vmcnt(41) lgkmcnt(0)
	v_mul_f64 v[143:144], v[4:5], v[157:158]
	s_waitcnt vmcnt(40)
	v_fma_f64 v[141:142], v[119:120], v[153:154], -v[141:142]
	ds_read_b128 v[115:118], v1 offset:1552
	v_mul_f64 v[135:136], v[2:3], v[157:158]
	v_fma_f64 v[133:134], v[121:122], v[153:154], v[133:134]
	ds_read_b128 v[119:122], v1 offset:1568
	v_add_f64 v[127:128], v[127:128], v[145:146]
	v_add_f64 v[6:7], v[6:7], v[139:140]
	s_waitcnt vmcnt(39) lgkmcnt(1)
	v_mul_f64 v[145:146], v[117:118], v[159:160]
	s_waitcnt vmcnt(37)
	v_fma_f64 v[143:144], v[2:3], v[163:164], -v[143:144]
	v_mul_f64 v[139:140], v[115:116], v[159:160]
	v_fma_f64 v[135:136], v[4:5], v[163:164], v[135:136]
	ds_read_b128 v[2:5], v1 offset:1584
	v_add_f64 v[127:128], v[127:128], v[141:142]
	s_waitcnt vmcnt(33) lgkmcnt(1)
	v_mul_f64 v[141:142], v[121:122], v[165:166]
	v_add_f64 v[6:7], v[6:7], v[133:134]
	s_waitcnt vmcnt(32)
	v_fma_f64 v[145:146], v[115:116], v[161:162], -v[145:146]
	v_mul_f64 v[133:134], v[119:120], v[165:166]
	v_fma_f64 v[139:140], v[117:118], v[161:162], v[139:140]
	ds_read_b128 v[115:118], v1 offset:1600
	v_add_f64 v[127:128], v[127:128], v[143:144]
	s_waitcnt vmcnt(31) lgkmcnt(1)
	v_mul_f64 v[143:144], v[4:5], v[167:168]
	v_add_f64 v[6:7], v[6:7], v[135:136]
	;; [unrolled: 9-line block ×5, first 2 shown]
	s_waitcnt vmcnt(16)
	v_fma_f64 v[141:142], v[119:120], v[178:179], -v[141:142]
	v_mul_f64 v[135:136], v[2:3], v[184:185]
	v_fma_f64 v[133:134], v[121:122], v[178:179], v[133:134]
	ds_read_b128 v[119:122], v1 offset:1664
	v_add_f64 v[127:128], v[127:128], v[145:146]
	v_add_f64 v[6:7], v[6:7], v[139:140]
	s_waitcnt vmcnt(15) lgkmcnt(1)
	v_mul_f64 v[145:146], v[117:118], v[186:187]
	v_mul_f64 v[139:140], v[115:116], v[186:187]
	s_waitcnt vmcnt(13)
	v_fma_f64 v[143:144], v[2:3], v[125:126], -v[143:144]
	v_fma_f64 v[125:126], v[4:5], v[125:126], v[135:136]
	ds_read_b128 v[2:5], v1 offset:1680
	v_add_f64 v[127:128], v[127:128], v[141:142]
	v_add_f64 v[6:7], v[6:7], v[133:134]
	s_waitcnt vmcnt(9) lgkmcnt(1)
	v_mul_f64 v[133:134], v[119:120], v[129:130]
	v_mul_f64 v[129:130], v[121:122], v[129:130]
	s_waitcnt vmcnt(8)
	v_fma_f64 v[115:116], v[115:116], v[188:189], -v[145:146]
	v_fma_f64 v[117:118], v[117:118], v[188:189], v[139:140]
	v_add_f64 v[127:128], v[127:128], v[143:144]
	v_add_f64 v[6:7], v[6:7], v[125:126]
	s_waitcnt vmcnt(7) lgkmcnt(0)
	v_mul_f64 v[135:136], v[4:5], v[190:191]
	v_mul_f64 v[125:126], v[2:3], v[190:191]
	s_waitcnt vmcnt(5)
	v_fma_f64 v[119:120], v[119:120], v[123:124], -v[129:130]
	v_fma_f64 v[121:122], v[121:122], v[123:124], v[133:134]
	v_add_f64 v[115:116], v[127:128], v[115:116]
	v_add_f64 v[6:7], v[6:7], v[117:118]
	s_waitcnt vmcnt(4)
	v_fma_f64 v[2:3], v[2:3], v[195:196], -v[135:136]
	v_fma_f64 v[4:5], v[4:5], v[195:196], v[125:126]
	v_add_f64 v[115:116], v[115:116], v[119:120]
	v_add_f64 v[6:7], v[6:7], v[121:122]
	;; [unrolled: 1-line block ×4, first 2 shown]
	s_waitcnt vmcnt(2)
	v_add_f64 v[2:3], v[131:132], -v[2:3]
	s_waitcnt vmcnt(0)
	v_add_f64 v[4:5], v[137:138], -v[4:5]
	buffer_store_dword v3, off, s[0:3], 0 offset:548
	buffer_store_dword v2, off, s[0:3], 0 offset:544
	;; [unrolled: 1-line block ×4, first 2 shown]
	v_cmpx_lt_u32_e32 32, v0
	s_cbranch_execz .LBB116_267
; %bb.266:
	v_mov_b32_e32 v5, s33
	s_clause 0x3
	buffer_load_dword v2, v5, s[0:3], 0 offen
	buffer_load_dword v3, v5, s[0:3], 0 offen offset:4
	buffer_load_dword v4, v5, s[0:3], 0 offen offset:8
	;; [unrolled: 1-line block ×3, first 2 shown]
	buffer_store_dword v1, off, s[0:3], 0 offset:528
	buffer_store_dword v1, off, s[0:3], 0 offset:532
	;; [unrolled: 1-line block ×4, first 2 shown]
	s_waitcnt vmcnt(0)
	ds_write_b128 v175, v[2:5]
.LBB116_267:
	s_or_b32 exec_lo, exec_lo, s4
	s_waitcnt lgkmcnt(0)
	s_waitcnt_vscnt null, 0x0
	s_barrier
	buffer_gl0_inv
	s_clause 0x37
	buffer_load_dword v6, off, s[0:3], 0 offset:552
	buffer_load_dword v7, off, s[0:3], 0 offset:556
	;; [unrolled: 1-line block ×56, first 2 shown]
	ds_read_b128 v[2:5], v1 offset:1376
	s_clause 0x2
	buffer_load_dword v177, off, s[0:3], 0 offset:780
	buffer_load_dword v181, off, s[0:3], 0 offset:756
	;; [unrolled: 1-line block ×3, first 2 shown]
	ds_read_b128 v[115:118], v1 offset:1392
	s_clause 0x4
	buffer_load_dword v185, off, s[0:3], 0 offset:796
	buffer_load_dword v186, off, s[0:3], 0 offset:808
	buffer_load_dword v188, off, s[0:3], 0 offset:800
	buffer_load_dword v184, off, s[0:3], 0 offset:792
	buffer_load_dword v179, off, s[0:3], 0 offset:772
	ds_read_b128 v[119:122], v1 offset:1408
	s_mov_b32 s4, exec_lo
	s_waitcnt vmcnt(62) lgkmcnt(2)
	v_mul_f64 v[182:183], v[4:5], v[6:7]
	v_mul_f64 v[6:7], v[2:3], v[6:7]
	s_waitcnt vmcnt(60) lgkmcnt(1)
	v_mul_f64 v[189:190], v[117:118], v[123:124]
	v_mul_f64 v[123:124], v[115:116], v[123:124]
	;; [unrolled: 3-line block ×3, first 2 shown]
	v_fma_f64 v[182:183], v[2:3], v[125:126], -v[182:183]
	v_fma_f64 v[6:7], v[4:5], v[125:126], v[6:7]
	s_clause 0x2
	buffer_load_dword v187, off, s[0:3], 0 offset:812
	buffer_load_dword v126, off, s[0:3], 0 offset:788
	;; [unrolled: 1-line block ×3, first 2 shown]
	s_waitcnt vmcnt(57)
	v_fma_f64 v[193:194], v[115:116], v[129:130], -v[189:190]
	ds_read_b128 v[2:5], v1 offset:1424
	v_fma_f64 v[123:124], v[117:118], v[129:130], v[123:124]
	s_clause 0x4
	buffer_load_dword v130, off, s[0:3], 0 offset:828
	buffer_load_dword v190, off, s[0:3], 0 offset:840
	;; [unrolled: 1-line block ×5, first 2 shown]
	s_waitcnt vmcnt(56)
	v_fma_f64 v[127:128], v[119:120], v[137:138], -v[127:128]
	ds_read_b128 v[115:118], v1 offset:1440
	v_fma_f64 v[137:138], v[121:122], v[137:138], v[191:192]
	v_add_f64 v[182:183], v[182:183], 0
	v_add_f64 v[6:7], v[6:7], 0
	s_waitcnt lgkmcnt(1)
	v_mul_f64 v[196:197], v[2:3], v[131:132]
	v_mul_f64 v[131:132], v[4:5], v[131:132]
	v_add_f64 v[182:183], v[182:183], v[193:194]
	v_add_f64 v[6:7], v[6:7], v[123:124]
	s_clause 0x2
	buffer_load_dword v191, off, s[0:3], 0 offset:844
	buffer_load_dword v124, off, s[0:3], 0 offset:820
	buffer_load_dword v123, off, s[0:3], 0 offset:816
	s_waitcnt vmcnt(58) lgkmcnt(0)
	v_mul_f64 v[192:193], v[115:116], v[133:134]
	v_mul_f64 v[133:134], v[117:118], v[133:134]
	s_waitcnt vmcnt(56)
	v_fma_f64 v[131:132], v[2:3], v[139:140], -v[131:132]
	ds_read_b128 v[119:122], v1 offset:1456
	v_fma_f64 v[139:140], v[4:5], v[139:140], v[196:197]
	v_add_f64 v[127:128], v[182:183], v[127:128]
	v_add_f64 v[6:7], v[6:7], v[137:138]
	s_clause 0x2
	buffer_load_dword v138, off, s[0:3], 0 offset:860
	buffer_load_dword v137, off, s[0:3], 0 offset:856
	;; [unrolled: 1-line block ×3, first 2 shown]
	ds_read_b128 v[2:5], v1 offset:1472
	s_waitcnt vmcnt(55) lgkmcnt(1)
	v_mul_f64 v[182:183], v[119:120], v[141:142]
	v_mul_f64 v[141:142], v[121:122], v[141:142]
	s_waitcnt vmcnt(54)
	v_fma_f64 v[133:134], v[115:116], v[135:136], -v[133:134]
	v_add_f64 v[127:128], v[127:128], v[131:132]
	v_fma_f64 v[131:132], v[117:118], v[135:136], v[192:193]
	v_add_f64 v[6:7], v[6:7], v[139:140]
	s_clause 0x1
	buffer_load_dword v136, off, s[0:3], 0 offset:852
	buffer_load_dword v135, off, s[0:3], 0 offset:848
	s_waitcnt vmcnt(55) lgkmcnt(0)
	v_mul_f64 v[139:140], v[2:3], v[143:144]
	v_mul_f64 v[143:144], v[4:5], v[143:144]
	s_waitcnt vmcnt(53)
	v_fma_f64 v[141:142], v[119:120], v[147:148], -v[141:142]
	ds_read_b128 v[115:118], v1 offset:1488
	v_add_f64 v[127:128], v[127:128], v[133:134]
	v_fma_f64 v[133:134], v[121:122], v[147:148], v[182:183]
	v_add_f64 v[6:7], v[6:7], v[131:132]
	ds_read_b128 v[119:122], v1 offset:1504
	s_waitcnt vmcnt(48)
	v_fma_f64 v[139:140], v[4:5], v[145:146], v[139:140]
	s_waitcnt lgkmcnt(1)
	v_mul_f64 v[147:148], v[117:118], v[149:150]
	v_fma_f64 v[143:144], v[2:3], v[145:146], -v[143:144]
	v_mul_f64 v[131:132], v[115:116], v[149:150]
	v_add_f64 v[127:128], v[127:128], v[141:142]
	s_waitcnt vmcnt(47) lgkmcnt(0)
	v_mul_f64 v[149:150], v[121:122], v[151:152]
	v_add_f64 v[6:7], v[6:7], v[133:134]
	s_clause 0x3
	buffer_load_dword v133, off, s[0:3], 0 offset:528
	buffer_load_dword v134, off, s[0:3], 0 offset:532
	;; [unrolled: 1-line block ×4, first 2 shown]
	ds_read_b128 v[2:5], v1 offset:1520
	s_waitcnt vmcnt(49)
	v_fma_f64 v[147:148], v[115:116], v[155:156], -v[147:148]
	v_mul_f64 v[145:146], v[119:120], v[151:152]
	v_fma_f64 v[131:132], v[117:118], v[155:156], v[131:132]
	ds_read_b128 v[115:118], v1 offset:1536
	v_add_f64 v[127:128], v[127:128], v[143:144]
	s_waitcnt vmcnt(44)
	v_fma_f64 v[149:150], v[119:120], v[153:154], -v[149:150]
	v_add_f64 v[6:7], v[6:7], v[139:140]
	s_waitcnt lgkmcnt(1)
	v_mul_f64 v[143:144], v[4:5], v[157:158]
	v_mul_f64 v[139:140], v[2:3], v[157:158]
	v_fma_f64 v[145:146], v[121:122], v[153:154], v[145:146]
	ds_read_b128 v[119:122], v1 offset:1552
	v_add_f64 v[127:128], v[127:128], v[147:148]
	s_waitcnt vmcnt(43) lgkmcnt(1)
	v_mul_f64 v[147:148], v[117:118], v[159:160]
	v_add_f64 v[6:7], v[6:7], v[131:132]
	s_waitcnt vmcnt(41)
	v_fma_f64 v[143:144], v[2:3], v[163:164], -v[143:144]
	v_mul_f64 v[131:132], v[115:116], v[159:160]
	v_fma_f64 v[139:140], v[4:5], v[163:164], v[139:140]
	ds_read_b128 v[2:5], v1 offset:1568
	v_add_f64 v[127:128], v[127:128], v[149:150]
	s_waitcnt vmcnt(37) lgkmcnt(1)
	v_mul_f64 v[149:150], v[121:122], v[165:166]
	v_add_f64 v[6:7], v[6:7], v[145:146]
	s_waitcnt vmcnt(36)
	v_fma_f64 v[147:148], v[115:116], v[161:162], -v[147:148]
	;; [unrolled: 9-line block ×6, first 2 shown]
	v_mul_f64 v[139:140], v[2:3], v[184:185]
	v_fma_f64 v[145:146], v[121:122], v[178:179], v[145:146]
	ds_read_b128 v[119:122], v1 offset:1648
	v_add_f64 v[127:128], v[127:128], v[147:148]
	v_add_f64 v[6:7], v[6:7], v[131:132]
	s_waitcnt vmcnt(19) lgkmcnt(1)
	v_mul_f64 v[147:148], v[117:118], v[186:187]
	v_mul_f64 v[131:132], v[115:116], v[186:187]
	s_waitcnt vmcnt(17)
	v_fma_f64 v[143:144], v[2:3], v[125:126], -v[143:144]
	v_fma_f64 v[125:126], v[4:5], v[125:126], v[139:140]
	ds_read_b128 v[2:5], v1 offset:1664
	s_waitcnt vmcnt(13) lgkmcnt(1)
	v_mul_f64 v[139:140], v[119:120], v[129:130]
	v_mul_f64 v[129:130], v[121:122], v[129:130]
	v_add_f64 v[127:128], v[127:128], v[149:150]
	v_add_f64 v[6:7], v[6:7], v[145:146]
	s_waitcnt vmcnt(12)
	v_fma_f64 v[145:146], v[115:116], v[188:189], -v[147:148]
	v_fma_f64 v[131:132], v[117:118], v[188:189], v[131:132]
	ds_read_b128 v[115:118], v1 offset:1680
	v_add_f64 v[127:128], v[127:128], v[143:144]
	v_add_f64 v[6:7], v[6:7], v[125:126]
	s_waitcnt vmcnt(11) lgkmcnt(1)
	v_mul_f64 v[143:144], v[4:5], v[190:191]
	v_mul_f64 v[125:126], v[2:3], v[190:191]
	s_waitcnt vmcnt(9)
	v_fma_f64 v[119:120], v[119:120], v[123:124], -v[129:130]
	v_fma_f64 v[121:122], v[121:122], v[123:124], v[139:140]
	v_add_f64 v[127:128], v[127:128], v[145:146]
	v_add_f64 v[6:7], v[6:7], v[131:132]
	s_waitcnt vmcnt(7) lgkmcnt(0)
	v_mul_f64 v[129:130], v[117:118], v[137:138]
	s_waitcnt vmcnt(6)
	v_fma_f64 v[1:2], v[2:3], v[195:196], -v[143:144]
	v_mul_f64 v[123:124], v[115:116], v[137:138]
	v_fma_f64 v[3:4], v[4:5], v[195:196], v[125:126]
	v_add_f64 v[119:120], v[127:128], v[119:120]
	v_add_f64 v[5:6], v[6:7], v[121:122]
	s_waitcnt vmcnt(4)
	v_fma_f64 v[7:8], v[115:116], v[135:136], -v[129:130]
	v_fma_f64 v[115:116], v[117:118], v[135:136], v[123:124]
	v_add_f64 v[1:2], v[119:120], v[1:2]
	v_add_f64 v[3:4], v[5:6], v[3:4]
	;; [unrolled: 1-line block ×4, first 2 shown]
	s_waitcnt vmcnt(2)
	v_add_f64 v[1:2], v[133:134], -v[1:2]
	s_waitcnt vmcnt(0)
	v_add_f64 v[3:4], v[141:142], -v[3:4]
	buffer_store_dword v2, off, s[0:3], 0 offset:532
	buffer_store_dword v1, off, s[0:3], 0 offset:528
	;; [unrolled: 1-line block ×4, first 2 shown]
	v_cmpx_lt_u32_e32 31, v0
	s_cbranch_execz .LBB116_269
; %bb.268:
	v_mov_b32_e32 v4, s34
	v_mov_b32_e32 v5, 0
	s_clause 0x3
	buffer_load_dword v1, v4, s[0:3], 0 offen
	buffer_load_dword v2, v4, s[0:3], 0 offen offset:4
	buffer_load_dword v3, v4, s[0:3], 0 offen offset:8
	buffer_load_dword v4, v4, s[0:3], 0 offen offset:12
	buffer_store_dword v5, off, s[0:3], 0 offset:512
	buffer_store_dword v5, off, s[0:3], 0 offset:516
	;; [unrolled: 1-line block ×4, first 2 shown]
	s_waitcnt vmcnt(0)
	ds_write_b128 v175, v[1:4]
.LBB116_269:
	s_or_b32 exec_lo, exec_lo, s4
	s_waitcnt lgkmcnt(0)
	s_waitcnt_vscnt null, 0x0
	s_barrier
	buffer_gl0_inv
	s_clause 0x37
	buffer_load_dword v6, off, s[0:3], 0 offset:536
	buffer_load_dword v7, off, s[0:3], 0 offset:540
	;; [unrolled: 1-line block ×56, first 2 shown]
	v_mov_b32_e32 v1, 0
	s_mov_b32 s4, exec_lo
	ds_read_b128 v[2:5], v1 offset:1360
	s_clause 0x2
	buffer_load_dword v177, off, s[0:3], 0 offset:764
	buffer_load_dword v181, off, s[0:3], 0 offset:740
	;; [unrolled: 1-line block ×3, first 2 shown]
	ds_read_b128 v[115:118], v1 offset:1376
	s_clause 0x4
	buffer_load_dword v185, off, s[0:3], 0 offset:780
	buffer_load_dword v186, off, s[0:3], 0 offset:792
	;; [unrolled: 1-line block ×5, first 2 shown]
	ds_read_b128 v[119:122], v1 offset:1392
	s_waitcnt vmcnt(62) lgkmcnt(2)
	v_mul_f64 v[182:183], v[4:5], v[6:7]
	v_mul_f64 v[6:7], v[2:3], v[6:7]
	s_waitcnt vmcnt(60) lgkmcnt(1)
	v_mul_f64 v[189:190], v[117:118], v[123:124]
	v_mul_f64 v[123:124], v[115:116], v[123:124]
	;; [unrolled: 3-line block ×3, first 2 shown]
	v_fma_f64 v[182:183], v[2:3], v[125:126], -v[182:183]
	v_fma_f64 v[6:7], v[4:5], v[125:126], v[6:7]
	s_clause 0x2
	buffer_load_dword v187, off, s[0:3], 0 offset:796
	buffer_load_dword v126, off, s[0:3], 0 offset:772
	buffer_load_dword v125, off, s[0:3], 0 offset:768
	s_waitcnt vmcnt(57)
	v_fma_f64 v[193:194], v[115:116], v[129:130], -v[189:190]
	ds_read_b128 v[2:5], v1 offset:1408
	v_fma_f64 v[123:124], v[117:118], v[129:130], v[123:124]
	s_clause 0x4
	buffer_load_dword v130, off, s[0:3], 0 offset:812
	buffer_load_dword v190, off, s[0:3], 0 offset:824
	;; [unrolled: 1-line block ×5, first 2 shown]
	s_waitcnt vmcnt(56)
	v_fma_f64 v[127:128], v[119:120], v[137:138], -v[127:128]
	ds_read_b128 v[115:118], v1 offset:1424
	v_fma_f64 v[137:138], v[121:122], v[137:138], v[191:192]
	v_add_f64 v[182:183], v[182:183], 0
	v_add_f64 v[6:7], v[6:7], 0
	s_waitcnt lgkmcnt(1)
	v_mul_f64 v[196:197], v[2:3], v[131:132]
	v_mul_f64 v[131:132], v[4:5], v[131:132]
	v_add_f64 v[182:183], v[182:183], v[193:194]
	v_add_f64 v[6:7], v[6:7], v[123:124]
	s_clause 0x2
	buffer_load_dword v191, off, s[0:3], 0 offset:828
	buffer_load_dword v124, off, s[0:3], 0 offset:804
	;; [unrolled: 1-line block ×3, first 2 shown]
	s_waitcnt vmcnt(58) lgkmcnt(0)
	v_mul_f64 v[192:193], v[115:116], v[133:134]
	v_mul_f64 v[133:134], v[117:118], v[133:134]
	s_waitcnt vmcnt(56)
	v_fma_f64 v[131:132], v[2:3], v[139:140], -v[131:132]
	ds_read_b128 v[119:122], v1 offset:1440
	v_fma_f64 v[139:140], v[4:5], v[139:140], v[196:197]
	v_add_f64 v[127:128], v[182:183], v[127:128]
	v_add_f64 v[6:7], v[6:7], v[137:138]
	s_clause 0x4
	buffer_load_dword v138, off, s[0:3], 0 offset:844
	buffer_load_dword v182, off, s[0:3], 0 offset:856
	;; [unrolled: 1-line block ×5, first 2 shown]
	ds_read_b128 v[2:5], v1 offset:1456
	s_waitcnt vmcnt(57) lgkmcnt(1)
	v_mul_f64 v[198:199], v[119:120], v[141:142]
	v_mul_f64 v[141:142], v[121:122], v[141:142]
	s_waitcnt vmcnt(56)
	v_fma_f64 v[133:134], v[115:116], v[135:136], -v[133:134]
	v_add_f64 v[127:128], v[127:128], v[131:132]
	v_fma_f64 v[131:132], v[117:118], v[135:136], v[192:193]
	v_add_f64 v[6:7], v[6:7], v[139:140]
	s_clause 0x2
	buffer_load_dword v183, off, s[0:3], 0 offset:860
	buffer_load_dword v136, off, s[0:3], 0 offset:836
	;; [unrolled: 1-line block ×3, first 2 shown]
	s_waitcnt vmcnt(58) lgkmcnt(0)
	v_mul_f64 v[139:140], v[2:3], v[143:144]
	v_mul_f64 v[143:144], v[4:5], v[143:144]
	s_waitcnt vmcnt(56)
	v_fma_f64 v[141:142], v[119:120], v[147:148], -v[141:142]
	ds_read_b128 v[115:118], v1 offset:1472
	v_add_f64 v[127:128], v[127:128], v[133:134]
	v_fma_f64 v[133:134], v[121:122], v[147:148], v[198:199]
	v_add_f64 v[6:7], v[6:7], v[131:132]
	buffer_load_dword v198, off, s[0:3], 0 offset:852
	ds_read_b128 v[119:122], v1 offset:1488
	s_waitcnt vmcnt(53) lgkmcnt(1)
	v_mul_f64 v[147:148], v[117:118], v[149:150]
	s_waitcnt vmcnt(52)
	v_fma_f64 v[143:144], v[2:3], v[145:146], -v[143:144]
	v_mul_f64 v[131:132], v[115:116], v[149:150]
	v_fma_f64 v[139:140], v[4:5], v[145:146], v[139:140]
	ds_read_b128 v[2:5], v1 offset:1504
	v_add_f64 v[127:128], v[127:128], v[141:142]
	v_add_f64 v[6:7], v[6:7], v[133:134]
	s_waitcnt vmcnt(51) lgkmcnt(1)
	v_mul_f64 v[141:142], v[121:122], v[151:152]
	v_mul_f64 v[133:134], v[119:120], v[151:152]
	s_waitcnt vmcnt(49)
	v_fma_f64 v[145:146], v[115:116], v[155:156], -v[147:148]
	v_fma_f64 v[131:132], v[117:118], v[155:156], v[131:132]
	s_waitcnt vmcnt(45) lgkmcnt(0)
	v_mul_f64 v[149:150], v[4:5], v[157:158]
	v_mul_f64 v[147:148], v[2:3], v[157:158]
	v_add_f64 v[127:128], v[127:128], v[143:144]
	v_add_f64 v[6:7], v[6:7], v[139:140]
	s_clause 0x3
	buffer_load_dword v139, off, s[0:3], 0 offset:512
	buffer_load_dword v140, off, s[0:3], 0 offset:516
	;; [unrolled: 1-line block ×4, first 2 shown]
	s_waitcnt vmcnt(48)
	v_fma_f64 v[141:142], v[119:120], v[153:154], -v[141:142]
	ds_read_b128 v[115:118], v1 offset:1520
	v_fma_f64 v[133:134], v[121:122], v[153:154], v[133:134]
	ds_read_b128 v[119:122], v1 offset:1536
	s_waitcnt vmcnt(45)
	v_fma_f64 v[149:150], v[2:3], v[163:164], -v[149:150]
	v_add_f64 v[127:128], v[127:128], v[145:146]
	v_add_f64 v[6:7], v[6:7], v[131:132]
	s_waitcnt lgkmcnt(1)
	v_mul_f64 v[145:146], v[117:118], v[159:160]
	v_mul_f64 v[131:132], v[115:116], v[159:160]
	v_add_f64 v[127:128], v[127:128], v[141:142]
	v_fma_f64 v[141:142], v[4:5], v[163:164], v[147:148]
	v_add_f64 v[6:7], v[6:7], v[133:134]
	s_waitcnt vmcnt(41) lgkmcnt(0)
	v_mul_f64 v[147:148], v[121:122], v[165:166]
	s_waitcnt vmcnt(40)
	v_fma_f64 v[145:146], v[115:116], v[161:162], -v[145:146]
	ds_read_b128 v[2:5], v1 offset:1552
	v_mul_f64 v[133:134], v[119:120], v[165:166]
	v_fma_f64 v[131:132], v[117:118], v[161:162], v[131:132]
	ds_read_b128 v[115:118], v1 offset:1568
	v_add_f64 v[127:128], v[127:128], v[149:150]
	v_add_f64 v[6:7], v[6:7], v[141:142]
	s_waitcnt vmcnt(39) lgkmcnt(1)
	v_mul_f64 v[149:150], v[4:5], v[167:168]
	s_waitcnt vmcnt(37)
	v_fma_f64 v[147:148], v[119:120], v[171:172], -v[147:148]
	v_mul_f64 v[141:142], v[2:3], v[167:168]
	v_fma_f64 v[133:134], v[121:122], v[171:172], v[133:134]
	ds_read_b128 v[119:122], v1 offset:1584
	v_add_f64 v[127:128], v[127:128], v[145:146]
	s_waitcnt vmcnt(33) lgkmcnt(1)
	v_mul_f64 v[145:146], v[117:118], v[173:174]
	v_add_f64 v[6:7], v[6:7], v[131:132]
	s_waitcnt vmcnt(32)
	v_fma_f64 v[149:150], v[2:3], v[169:170], -v[149:150]
	v_mul_f64 v[131:132], v[115:116], v[173:174]
	v_fma_f64 v[141:142], v[4:5], v[169:170], v[141:142]
	ds_read_b128 v[2:5], v1 offset:1600
	v_add_f64 v[127:128], v[127:128], v[147:148]
	s_waitcnt vmcnt(31) lgkmcnt(1)
	v_mul_f64 v[147:148], v[121:122], v[176:177]
	v_add_f64 v[6:7], v[6:7], v[133:134]
	;; [unrolled: 9-line block ×3, first 2 shown]
	s_waitcnt vmcnt(24)
	v_fma_f64 v[147:148], v[119:120], v[178:179], -v[147:148]
	v_mul_f64 v[141:142], v[2:3], v[184:185]
	v_fma_f64 v[133:134], v[121:122], v[178:179], v[133:134]
	ds_read_b128 v[119:122], v1 offset:1632
	v_add_f64 v[127:128], v[127:128], v[145:146]
	v_add_f64 v[6:7], v[6:7], v[131:132]
	s_waitcnt vmcnt(23) lgkmcnt(1)
	v_mul_f64 v[145:146], v[117:118], v[186:187]
	v_mul_f64 v[131:132], v[115:116], v[186:187]
	s_waitcnt vmcnt(21)
	v_fma_f64 v[149:150], v[2:3], v[125:126], -v[149:150]
	v_fma_f64 v[125:126], v[4:5], v[125:126], v[141:142]
	ds_read_b128 v[2:5], v1 offset:1648
	v_add_f64 v[127:128], v[127:128], v[147:148]
	v_add_f64 v[6:7], v[6:7], v[133:134]
	s_waitcnt vmcnt(17) lgkmcnt(1)
	v_mul_f64 v[133:134], v[119:120], v[129:130]
	v_mul_f64 v[129:130], v[121:122], v[129:130]
	s_waitcnt vmcnt(16)
	v_fma_f64 v[141:142], v[115:116], v[188:189], -v[145:146]
	v_fma_f64 v[131:132], v[117:118], v[188:189], v[131:132]
	ds_read_b128 v[115:118], v1 offset:1664
	v_add_f64 v[127:128], v[127:128], v[149:150]
	v_add_f64 v[6:7], v[6:7], v[125:126]
	s_waitcnt vmcnt(15) lgkmcnt(1)
	v_mul_f64 v[145:146], v[4:5], v[190:191]
	v_mul_f64 v[125:126], v[2:3], v[190:191]
	s_waitcnt vmcnt(13)
	v_fma_f64 v[129:130], v[119:120], v[123:124], -v[129:130]
	v_fma_f64 v[123:124], v[121:122], v[123:124], v[133:134]
	ds_read_b128 v[119:122], v1 offset:1680
	v_add_f64 v[127:128], v[127:128], v[141:142]
	v_add_f64 v[6:7], v[6:7], v[131:132]
	s_waitcnt vmcnt(9) lgkmcnt(1)
	v_mul_f64 v[133:134], v[117:118], v[137:138]
	s_waitcnt vmcnt(8)
	v_fma_f64 v[2:3], v[2:3], v[195:196], -v[145:146]
	v_mul_f64 v[131:132], v[115:116], v[137:138]
	v_fma_f64 v[4:5], v[4:5], v[195:196], v[125:126]
	v_add_f64 v[127:128], v[127:128], v[129:130]
	v_add_f64 v[6:7], v[6:7], v[123:124]
	s_waitcnt vmcnt(7) lgkmcnt(0)
	v_mul_f64 v[125:126], v[121:122], v[182:183]
	v_mul_f64 v[123:124], v[119:120], v[182:183]
	s_waitcnt vmcnt(5)
	v_fma_f64 v[115:116], v[115:116], v[135:136], -v[133:134]
	v_fma_f64 v[117:118], v[117:118], v[135:136], v[131:132]
	v_add_f64 v[2:3], v[127:128], v[2:3]
	v_add_f64 v[4:5], v[6:7], v[4:5]
	s_waitcnt vmcnt(4)
	v_fma_f64 v[6:7], v[119:120], v[197:198], -v[125:126]
	v_add_f64 v[2:3], v[2:3], v[115:116]
	v_fma_f64 v[115:116], v[121:122], v[197:198], v[123:124]
	v_add_f64 v[4:5], v[4:5], v[117:118]
	v_add_f64 v[2:3], v[2:3], v[6:7]
	;; [unrolled: 1-line block ×3, first 2 shown]
	s_waitcnt vmcnt(2)
	v_add_f64 v[2:3], v[139:140], -v[2:3]
	s_waitcnt vmcnt(0)
	v_add_f64 v[4:5], v[143:144], -v[4:5]
	buffer_store_dword v3, off, s[0:3], 0 offset:516
	buffer_store_dword v2, off, s[0:3], 0 offset:512
	;; [unrolled: 1-line block ×4, first 2 shown]
	v_cmpx_lt_u32_e32 30, v0
	s_cbranch_execz .LBB116_271
; %bb.270:
	v_mov_b32_e32 v5, s35
	s_clause 0x3
	buffer_load_dword v2, v5, s[0:3], 0 offen
	buffer_load_dword v3, v5, s[0:3], 0 offen offset:4
	buffer_load_dword v4, v5, s[0:3], 0 offen offset:8
	;; [unrolled: 1-line block ×3, first 2 shown]
	buffer_store_dword v1, off, s[0:3], 0 offset:496
	buffer_store_dword v1, off, s[0:3], 0 offset:500
	;; [unrolled: 1-line block ×4, first 2 shown]
	s_waitcnt vmcnt(0)
	ds_write_b128 v175, v[2:5]
.LBB116_271:
	s_or_b32 exec_lo, exec_lo, s4
	s_waitcnt lgkmcnt(0)
	s_waitcnt_vscnt null, 0x0
	s_barrier
	buffer_gl0_inv
	s_clause 0x37
	buffer_load_dword v6, off, s[0:3], 0 offset:520
	buffer_load_dword v7, off, s[0:3], 0 offset:524
	;; [unrolled: 1-line block ×56, first 2 shown]
	ds_read_b128 v[2:5], v1 offset:1344
	s_clause 0x2
	buffer_load_dword v177, off, s[0:3], 0 offset:748
	buffer_load_dword v181, off, s[0:3], 0 offset:724
	;; [unrolled: 1-line block ×3, first 2 shown]
	ds_read_b128 v[115:118], v1 offset:1360
	s_clause 0x4
	buffer_load_dword v185, off, s[0:3], 0 offset:764
	buffer_load_dword v186, off, s[0:3], 0 offset:776
	;; [unrolled: 1-line block ×5, first 2 shown]
	ds_read_b128 v[119:122], v1 offset:1376
	s_mov_b32 s4, exec_lo
	s_waitcnt vmcnt(62) lgkmcnt(2)
	v_mul_f64 v[182:183], v[4:5], v[6:7]
	v_mul_f64 v[6:7], v[2:3], v[6:7]
	s_waitcnt vmcnt(60) lgkmcnt(1)
	v_mul_f64 v[189:190], v[117:118], v[123:124]
	v_mul_f64 v[123:124], v[115:116], v[123:124]
	s_waitcnt vmcnt(56) lgkmcnt(0)
	v_mul_f64 v[191:192], v[119:120], v[127:128]
	v_mul_f64 v[127:128], v[121:122], v[127:128]
	v_fma_f64 v[182:183], v[2:3], v[125:126], -v[182:183]
	v_fma_f64 v[6:7], v[4:5], v[125:126], v[6:7]
	s_clause 0x2
	buffer_load_dword v187, off, s[0:3], 0 offset:780
	buffer_load_dword v126, off, s[0:3], 0 offset:756
	;; [unrolled: 1-line block ×3, first 2 shown]
	s_waitcnt vmcnt(57)
	v_fma_f64 v[193:194], v[115:116], v[129:130], -v[189:190]
	ds_read_b128 v[2:5], v1 offset:1392
	v_fma_f64 v[123:124], v[117:118], v[129:130], v[123:124]
	s_clause 0x4
	buffer_load_dword v130, off, s[0:3], 0 offset:796
	buffer_load_dword v190, off, s[0:3], 0 offset:808
	;; [unrolled: 1-line block ×5, first 2 shown]
	s_waitcnt vmcnt(56)
	v_fma_f64 v[127:128], v[119:120], v[137:138], -v[127:128]
	ds_read_b128 v[115:118], v1 offset:1408
	v_fma_f64 v[137:138], v[121:122], v[137:138], v[191:192]
	v_add_f64 v[182:183], v[182:183], 0
	v_add_f64 v[6:7], v[6:7], 0
	s_waitcnt lgkmcnt(1)
	v_mul_f64 v[196:197], v[2:3], v[131:132]
	v_mul_f64 v[131:132], v[4:5], v[131:132]
	v_add_f64 v[182:183], v[182:183], v[193:194]
	v_add_f64 v[6:7], v[6:7], v[123:124]
	s_clause 0x2
	buffer_load_dword v191, off, s[0:3], 0 offset:812
	buffer_load_dword v124, off, s[0:3], 0 offset:788
	;; [unrolled: 1-line block ×3, first 2 shown]
	s_waitcnt vmcnt(58) lgkmcnt(0)
	v_mul_f64 v[192:193], v[115:116], v[133:134]
	v_mul_f64 v[133:134], v[117:118], v[133:134]
	s_waitcnt vmcnt(56)
	v_fma_f64 v[131:132], v[2:3], v[139:140], -v[131:132]
	ds_read_b128 v[119:122], v1 offset:1424
	v_fma_f64 v[139:140], v[4:5], v[139:140], v[196:197]
	v_add_f64 v[127:128], v[182:183], v[127:128]
	v_add_f64 v[6:7], v[6:7], v[137:138]
	s_clause 0x4
	buffer_load_dword v138, off, s[0:3], 0 offset:828
	buffer_load_dword v182, off, s[0:3], 0 offset:840
	;; [unrolled: 1-line block ×5, first 2 shown]
	ds_read_b128 v[2:5], v1 offset:1440
	s_waitcnt vmcnt(57) lgkmcnt(1)
	v_mul_f64 v[198:199], v[119:120], v[141:142]
	v_mul_f64 v[141:142], v[121:122], v[141:142]
	s_waitcnt vmcnt(56)
	v_fma_f64 v[133:134], v[115:116], v[135:136], -v[133:134]
	v_add_f64 v[127:128], v[127:128], v[131:132]
	v_fma_f64 v[131:132], v[117:118], v[135:136], v[192:193]
	v_add_f64 v[6:7], v[6:7], v[139:140]
	s_clause 0x2
	buffer_load_dword v183, off, s[0:3], 0 offset:844
	buffer_load_dword v136, off, s[0:3], 0 offset:820
	;; [unrolled: 1-line block ×3, first 2 shown]
	s_waitcnt vmcnt(58) lgkmcnt(0)
	v_mul_f64 v[139:140], v[2:3], v[143:144]
	v_mul_f64 v[143:144], v[4:5], v[143:144]
	s_waitcnt vmcnt(56)
	v_fma_f64 v[141:142], v[119:120], v[147:148], -v[141:142]
	ds_read_b128 v[115:118], v1 offset:1456
	v_add_f64 v[127:128], v[127:128], v[133:134]
	v_fma_f64 v[133:134], v[121:122], v[147:148], v[198:199]
	v_add_f64 v[6:7], v[6:7], v[131:132]
	s_clause 0x2
	buffer_load_dword v132, off, s[0:3], 0 offset:860
	buffer_load_dword v131, off, s[0:3], 0 offset:856
	;; [unrolled: 1-line block ×3, first 2 shown]
	ds_read_b128 v[119:122], v1 offset:1472
	s_waitcnt vmcnt(55) lgkmcnt(1)
	v_mul_f64 v[147:148], v[115:116], v[149:150]
	v_mul_f64 v[149:150], v[117:118], v[149:150]
	s_waitcnt vmcnt(54)
	v_fma_f64 v[143:144], v[2:3], v[145:146], -v[143:144]
	v_fma_f64 v[139:140], v[4:5], v[145:146], v[139:140]
	v_add_f64 v[127:128], v[127:128], v[141:142]
	v_add_f64 v[6:7], v[6:7], v[133:134]
	s_clause 0x1
	buffer_load_dword v134, off, s[0:3], 0 offset:852
	buffer_load_dword v133, off, s[0:3], 0 offset:848
	s_waitcnt vmcnt(55) lgkmcnt(0)
	v_mul_f64 v[145:146], v[121:122], v[151:152]
	ds_read_b128 v[2:5], v1 offset:1488
	s_waitcnt vmcnt(53)
	v_fma_f64 v[149:150], v[115:116], v[155:156], -v[149:150]
	v_mul_f64 v[141:142], v[119:120], v[151:152]
	v_add_f64 v[127:128], v[127:128], v[143:144]
	v_fma_f64 v[143:144], v[117:118], v[155:156], v[147:148]
	v_add_f64 v[6:7], v[6:7], v[139:140]
	ds_read_b128 v[115:118], v1 offset:1504
	s_waitcnt vmcnt(49) lgkmcnt(1)
	v_mul_f64 v[147:148], v[4:5], v[157:158]
	s_waitcnt vmcnt(48)
	v_fma_f64 v[145:146], v[119:120], v[153:154], -v[145:146]
	v_mul_f64 v[139:140], v[2:3], v[157:158]
	v_fma_f64 v[141:142], v[121:122], v[153:154], v[141:142]
	v_add_f64 v[127:128], v[127:128], v[149:150]
	s_waitcnt vmcnt(47) lgkmcnt(0)
	v_mul_f64 v[153:154], v[117:118], v[159:160]
	v_add_f64 v[6:7], v[6:7], v[143:144]
	s_clause 0x3
	buffer_load_dword v143, off, s[0:3], 0 offset:496
	buffer_load_dword v144, off, s[0:3], 0 offset:500
	;; [unrolled: 1-line block ×4, first 2 shown]
	s_waitcnt vmcnt(49)
	v_fma_f64 v[147:148], v[2:3], v[163:164], -v[147:148]
	ds_read_b128 v[119:122], v1 offset:1520
	v_mul_f64 v[151:152], v[115:116], v[159:160]
	v_fma_f64 v[139:140], v[4:5], v[163:164], v[139:140]
	ds_read_b128 v[2:5], v1 offset:1536
	v_add_f64 v[127:128], v[127:128], v[145:146]
	s_waitcnt vmcnt(44)
	v_fma_f64 v[153:154], v[115:116], v[161:162], -v[153:154]
	v_add_f64 v[6:7], v[6:7], v[141:142]
	s_waitcnt lgkmcnt(1)
	v_mul_f64 v[145:146], v[121:122], v[165:166]
	v_mul_f64 v[141:142], v[119:120], v[165:166]
	v_add_f64 v[127:128], v[127:128], v[147:148]
	v_fma_f64 v[147:148], v[117:118], v[161:162], v[151:152]
	v_add_f64 v[6:7], v[6:7], v[139:140]
	s_waitcnt vmcnt(43) lgkmcnt(0)
	v_mul_f64 v[151:152], v[4:5], v[167:168]
	s_waitcnt vmcnt(41)
	v_fma_f64 v[145:146], v[119:120], v[171:172], -v[145:146]
	ds_read_b128 v[115:118], v1 offset:1552
	v_mul_f64 v[139:140], v[2:3], v[167:168]
	v_fma_f64 v[141:142], v[121:122], v[171:172], v[141:142]
	ds_read_b128 v[119:122], v1 offset:1568
	v_add_f64 v[127:128], v[127:128], v[153:154]
	v_add_f64 v[6:7], v[6:7], v[147:148]
	s_waitcnt vmcnt(37) lgkmcnt(1)
	v_mul_f64 v[153:154], v[117:118], v[173:174]
	s_waitcnt vmcnt(36)
	v_fma_f64 v[151:152], v[2:3], v[169:170], -v[151:152]
	v_mul_f64 v[147:148], v[115:116], v[173:174]
	v_fma_f64 v[139:140], v[4:5], v[169:170], v[139:140]
	ds_read_b128 v[2:5], v1 offset:1584
	v_add_f64 v[127:128], v[127:128], v[145:146]
	s_waitcnt vmcnt(35) lgkmcnt(1)
	v_mul_f64 v[145:146], v[121:122], v[176:177]
	v_add_f64 v[6:7], v[6:7], v[141:142]
	s_waitcnt vmcnt(33)
	v_fma_f64 v[153:154], v[115:116], v[180:181], -v[153:154]
	v_mul_f64 v[141:142], v[119:120], v[176:177]
	v_fma_f64 v[147:148], v[117:118], v[180:181], v[147:148]
	ds_read_b128 v[115:118], v1 offset:1600
	v_add_f64 v[127:128], v[127:128], v[151:152]
	s_waitcnt vmcnt(29) lgkmcnt(1)
	v_mul_f64 v[151:152], v[4:5], v[184:185]
	v_add_f64 v[6:7], v[6:7], v[139:140]
	s_waitcnt vmcnt(28)
	v_fma_f64 v[145:146], v[119:120], v[178:179], -v[145:146]
	v_mul_f64 v[139:140], v[2:3], v[184:185]
	v_fma_f64 v[141:142], v[121:122], v[178:179], v[141:142]
	ds_read_b128 v[119:122], v1 offset:1616
	v_add_f64 v[127:128], v[127:128], v[153:154]
	v_add_f64 v[6:7], v[6:7], v[147:148]
	s_waitcnt vmcnt(27) lgkmcnt(1)
	v_mul_f64 v[153:154], v[117:118], v[186:187]
	v_mul_f64 v[147:148], v[115:116], v[186:187]
	s_waitcnt vmcnt(25)
	v_fma_f64 v[151:152], v[2:3], v[125:126], -v[151:152]
	v_fma_f64 v[125:126], v[4:5], v[125:126], v[139:140]
	ds_read_b128 v[2:5], v1 offset:1632
	s_waitcnt vmcnt(21) lgkmcnt(1)
	v_mul_f64 v[139:140], v[119:120], v[129:130]
	v_mul_f64 v[129:130], v[121:122], v[129:130]
	v_add_f64 v[127:128], v[127:128], v[145:146]
	v_add_f64 v[6:7], v[6:7], v[141:142]
	s_waitcnt vmcnt(20)
	v_fma_f64 v[141:142], v[115:116], v[188:189], -v[153:154]
	v_fma_f64 v[145:146], v[117:118], v[188:189], v[147:148]
	ds_read_b128 v[115:118], v1 offset:1648
	v_add_f64 v[127:128], v[127:128], v[151:152]
	v_add_f64 v[6:7], v[6:7], v[125:126]
	s_waitcnt vmcnt(19) lgkmcnt(1)
	v_mul_f64 v[147:148], v[4:5], v[190:191]
	v_mul_f64 v[125:126], v[2:3], v[190:191]
	s_waitcnt vmcnt(17)
	v_fma_f64 v[129:130], v[119:120], v[123:124], -v[129:130]
	v_fma_f64 v[123:124], v[121:122], v[123:124], v[139:140]
	ds_read_b128 v[119:122], v1 offset:1664
	v_add_f64 v[127:128], v[127:128], v[141:142]
	v_add_f64 v[6:7], v[6:7], v[145:146]
	s_waitcnt vmcnt(13) lgkmcnt(1)
	v_mul_f64 v[139:140], v[115:116], v[137:138]
	v_mul_f64 v[137:138], v[117:118], v[137:138]
	;; [unrolled: 9-line block ×3, first 2 shown]
	s_waitcnt vmcnt(9)
	v_fma_f64 v[115:116], v[115:116], v[135:136], -v[137:138]
	v_fma_f64 v[117:118], v[117:118], v[135:136], v[139:140]
	v_add_f64 v[127:128], v[127:128], v[141:142]
	v_add_f64 v[5:6], v[5:6], v[125:126]
	s_waitcnt vmcnt(7) lgkmcnt(0)
	v_mul_f64 v[129:130], v[3:4], v[131:132]
	s_waitcnt vmcnt(6)
	v_fma_f64 v[119:120], v[119:120], v[197:198], -v[123:124]
	v_mul_f64 v[125:126], v[1:2], v[131:132]
	v_fma_f64 v[7:8], v[121:122], v[197:198], v[7:8]
	v_add_f64 v[115:116], v[127:128], v[115:116]
	v_add_f64 v[5:6], v[5:6], v[117:118]
	s_waitcnt vmcnt(4)
	v_fma_f64 v[1:2], v[1:2], v[133:134], -v[129:130]
	v_fma_f64 v[3:4], v[3:4], v[133:134], v[125:126]
	v_add_f64 v[115:116], v[115:116], v[119:120]
	v_add_f64 v[5:6], v[5:6], v[7:8]
	;; [unrolled: 1-line block ×4, first 2 shown]
	s_waitcnt vmcnt(2)
	v_add_f64 v[1:2], v[143:144], -v[1:2]
	s_waitcnt vmcnt(0)
	v_add_f64 v[3:4], v[149:150], -v[3:4]
	buffer_store_dword v2, off, s[0:3], 0 offset:500
	buffer_store_dword v1, off, s[0:3], 0 offset:496
	;; [unrolled: 1-line block ×4, first 2 shown]
	v_cmpx_lt_u32_e32 29, v0
	s_cbranch_execz .LBB116_273
; %bb.272:
	v_mov_b32_e32 v4, s36
	v_mov_b32_e32 v5, 0
	s_clause 0x3
	buffer_load_dword v1, v4, s[0:3], 0 offen
	buffer_load_dword v2, v4, s[0:3], 0 offen offset:4
	buffer_load_dword v3, v4, s[0:3], 0 offen offset:8
	;; [unrolled: 1-line block ×3, first 2 shown]
	buffer_store_dword v5, off, s[0:3], 0 offset:480
	buffer_store_dword v5, off, s[0:3], 0 offset:484
	;; [unrolled: 1-line block ×4, first 2 shown]
	s_waitcnt vmcnt(0)
	ds_write_b128 v175, v[1:4]
.LBB116_273:
	s_or_b32 exec_lo, exec_lo, s4
	s_waitcnt lgkmcnt(0)
	s_waitcnt_vscnt null, 0x0
	s_barrier
	buffer_gl0_inv
	s_clause 0x37
	buffer_load_dword v6, off, s[0:3], 0 offset:504
	buffer_load_dword v7, off, s[0:3], 0 offset:508
	;; [unrolled: 1-line block ×56, first 2 shown]
	v_mov_b32_e32 v1, 0
	s_mov_b32 s4, exec_lo
	ds_read_b128 v[2:5], v1 offset:1328
	s_clause 0x2
	buffer_load_dword v177, off, s[0:3], 0 offset:732
	buffer_load_dword v181, off, s[0:3], 0 offset:708
	;; [unrolled: 1-line block ×3, first 2 shown]
	ds_read_b128 v[115:118], v1 offset:1344
	s_clause 0x4
	buffer_load_dword v185, off, s[0:3], 0 offset:748
	buffer_load_dword v186, off, s[0:3], 0 offset:760
	;; [unrolled: 1-line block ×5, first 2 shown]
	ds_read_b128 v[119:122], v1 offset:1360
	s_waitcnt vmcnt(62) lgkmcnt(2)
	v_mul_f64 v[182:183], v[4:5], v[6:7]
	v_mul_f64 v[6:7], v[2:3], v[6:7]
	s_waitcnt vmcnt(60) lgkmcnt(1)
	v_mul_f64 v[189:190], v[117:118], v[123:124]
	v_mul_f64 v[123:124], v[115:116], v[123:124]
	;; [unrolled: 3-line block ×3, first 2 shown]
	v_fma_f64 v[182:183], v[2:3], v[125:126], -v[182:183]
	v_fma_f64 v[6:7], v[4:5], v[125:126], v[6:7]
	s_clause 0x2
	buffer_load_dword v187, off, s[0:3], 0 offset:764
	buffer_load_dword v126, off, s[0:3], 0 offset:740
	;; [unrolled: 1-line block ×3, first 2 shown]
	s_waitcnt vmcnt(57)
	v_fma_f64 v[193:194], v[115:116], v[129:130], -v[189:190]
	ds_read_b128 v[2:5], v1 offset:1376
	v_fma_f64 v[123:124], v[117:118], v[129:130], v[123:124]
	s_clause 0x4
	buffer_load_dword v130, off, s[0:3], 0 offset:780
	buffer_load_dword v190, off, s[0:3], 0 offset:792
	;; [unrolled: 1-line block ×5, first 2 shown]
	s_waitcnt vmcnt(56)
	v_fma_f64 v[127:128], v[119:120], v[137:138], -v[127:128]
	ds_read_b128 v[115:118], v1 offset:1392
	v_fma_f64 v[137:138], v[121:122], v[137:138], v[191:192]
	v_add_f64 v[182:183], v[182:183], 0
	v_add_f64 v[6:7], v[6:7], 0
	s_waitcnt lgkmcnt(1)
	v_mul_f64 v[196:197], v[2:3], v[131:132]
	v_mul_f64 v[131:132], v[4:5], v[131:132]
	v_add_f64 v[182:183], v[182:183], v[193:194]
	v_add_f64 v[6:7], v[6:7], v[123:124]
	s_clause 0x2
	buffer_load_dword v191, off, s[0:3], 0 offset:796
	buffer_load_dword v124, off, s[0:3], 0 offset:772
	;; [unrolled: 1-line block ×3, first 2 shown]
	s_waitcnt vmcnt(58) lgkmcnt(0)
	v_mul_f64 v[192:193], v[115:116], v[133:134]
	v_mul_f64 v[133:134], v[117:118], v[133:134]
	s_waitcnt vmcnt(56)
	v_fma_f64 v[131:132], v[2:3], v[139:140], -v[131:132]
	ds_read_b128 v[119:122], v1 offset:1408
	v_fma_f64 v[139:140], v[4:5], v[139:140], v[196:197]
	v_add_f64 v[127:128], v[182:183], v[127:128]
	v_add_f64 v[6:7], v[6:7], v[137:138]
	s_clause 0x4
	buffer_load_dword v138, off, s[0:3], 0 offset:812
	buffer_load_dword v182, off, s[0:3], 0 offset:824
	;; [unrolled: 1-line block ×5, first 2 shown]
	ds_read_b128 v[2:5], v1 offset:1424
	s_waitcnt vmcnt(57) lgkmcnt(1)
	v_mul_f64 v[198:199], v[119:120], v[141:142]
	v_mul_f64 v[141:142], v[121:122], v[141:142]
	s_waitcnt vmcnt(56)
	v_fma_f64 v[133:134], v[115:116], v[135:136], -v[133:134]
	v_add_f64 v[127:128], v[127:128], v[131:132]
	v_fma_f64 v[131:132], v[117:118], v[135:136], v[192:193]
	v_add_f64 v[6:7], v[6:7], v[139:140]
	s_clause 0x2
	buffer_load_dword v183, off, s[0:3], 0 offset:828
	buffer_load_dword v136, off, s[0:3], 0 offset:804
	;; [unrolled: 1-line block ×3, first 2 shown]
	s_waitcnt vmcnt(58) lgkmcnt(0)
	v_mul_f64 v[139:140], v[2:3], v[143:144]
	v_mul_f64 v[143:144], v[4:5], v[143:144]
	s_waitcnt vmcnt(56)
	v_fma_f64 v[141:142], v[119:120], v[147:148], -v[141:142]
	ds_read_b128 v[115:118], v1 offset:1440
	v_add_f64 v[127:128], v[127:128], v[133:134]
	v_fma_f64 v[133:134], v[121:122], v[147:148], v[198:199]
	v_add_f64 v[6:7], v[6:7], v[131:132]
	s_clause 0x4
	buffer_load_dword v132, off, s[0:3], 0 offset:844
	buffer_load_dword v147, off, s[0:3], 0 offset:856
	;; [unrolled: 1-line block ×5, first 2 shown]
	ds_read_b128 v[119:122], v1 offset:1456
	s_waitcnt vmcnt(57) lgkmcnt(1)
	v_mul_f64 v[193:194], v[115:116], v[149:150]
	v_mul_f64 v[149:150], v[117:118], v[149:150]
	s_waitcnt vmcnt(56)
	v_fma_f64 v[143:144], v[2:3], v[145:146], -v[143:144]
	v_fma_f64 v[139:140], v[4:5], v[145:146], v[139:140]
	v_add_f64 v[127:128], v[127:128], v[141:142]
	v_add_f64 v[6:7], v[6:7], v[133:134]
	s_clause 0x2
	buffer_load_dword v148, off, s[0:3], 0 offset:860
	buffer_load_dword v134, off, s[0:3], 0 offset:836
	;; [unrolled: 1-line block ×3, first 2 shown]
	s_waitcnt vmcnt(58) lgkmcnt(0)
	v_mul_f64 v[145:146], v[121:122], v[151:152]
	ds_read_b128 v[2:5], v1 offset:1472
	s_waitcnt vmcnt(56)
	v_fma_f64 v[149:150], v[115:116], v[155:156], -v[149:150]
	v_mul_f64 v[141:142], v[119:120], v[151:152]
	v_add_f64 v[127:128], v[127:128], v[143:144]
	v_fma_f64 v[143:144], v[117:118], v[155:156], v[193:194]
	v_add_f64 v[6:7], v[6:7], v[139:140]
	buffer_load_dword v193, off, s[0:3], 0 offset:852
	ds_read_b128 v[115:118], v1 offset:1488
	s_waitcnt vmcnt(53) lgkmcnt(1)
	v_mul_f64 v[151:152], v[4:5], v[157:158]
	s_waitcnt vmcnt(52)
	v_fma_f64 v[145:146], v[119:120], v[153:154], -v[145:146]
	v_mul_f64 v[139:140], v[2:3], v[157:158]
	v_fma_f64 v[141:142], v[121:122], v[153:154], v[141:142]
	ds_read_b128 v[119:122], v1 offset:1504
	v_add_f64 v[127:128], v[127:128], v[149:150]
	v_add_f64 v[6:7], v[6:7], v[143:144]
	s_waitcnt vmcnt(51) lgkmcnt(1)
	v_mul_f64 v[149:150], v[117:118], v[159:160]
	v_mul_f64 v[143:144], v[115:116], v[159:160]
	s_waitcnt vmcnt(49)
	v_fma_f64 v[151:152], v[2:3], v[163:164], -v[151:152]
	v_fma_f64 v[139:140], v[4:5], v[163:164], v[139:140]
	s_waitcnt vmcnt(45) lgkmcnt(0)
	v_mul_f64 v[155:156], v[121:122], v[165:166]
	v_mul_f64 v[153:154], v[119:120], v[165:166]
	v_add_f64 v[127:128], v[127:128], v[145:146]
	v_add_f64 v[6:7], v[6:7], v[141:142]
	s_clause 0x3
	buffer_load_dword v141, off, s[0:3], 0 offset:480
	buffer_load_dword v142, off, s[0:3], 0 offset:484
	;; [unrolled: 1-line block ×4, first 2 shown]
	s_waitcnt vmcnt(48)
	v_fma_f64 v[149:150], v[115:116], v[161:162], -v[149:150]
	ds_read_b128 v[2:5], v1 offset:1520
	v_fma_f64 v[143:144], v[117:118], v[161:162], v[143:144]
	ds_read_b128 v[115:118], v1 offset:1536
	s_waitcnt vmcnt(45)
	v_fma_f64 v[155:156], v[119:120], v[171:172], -v[155:156]
	v_add_f64 v[127:128], v[127:128], v[151:152]
	v_add_f64 v[6:7], v[6:7], v[139:140]
	s_waitcnt lgkmcnt(1)
	v_mul_f64 v[151:152], v[4:5], v[167:168]
	v_mul_f64 v[139:140], v[2:3], v[167:168]
	v_add_f64 v[127:128], v[127:128], v[149:150]
	v_fma_f64 v[149:150], v[121:122], v[171:172], v[153:154]
	v_add_f64 v[6:7], v[6:7], v[143:144]
	s_waitcnt vmcnt(41) lgkmcnt(0)
	v_mul_f64 v[153:154], v[117:118], v[173:174]
	s_waitcnt vmcnt(40)
	v_fma_f64 v[151:152], v[2:3], v[169:170], -v[151:152]
	ds_read_b128 v[119:122], v1 offset:1552
	v_mul_f64 v[143:144], v[115:116], v[173:174]
	v_fma_f64 v[139:140], v[4:5], v[169:170], v[139:140]
	ds_read_b128 v[2:5], v1 offset:1568
	v_add_f64 v[127:128], v[127:128], v[155:156]
	v_add_f64 v[6:7], v[6:7], v[149:150]
	s_waitcnt vmcnt(39) lgkmcnt(1)
	v_mul_f64 v[155:156], v[121:122], v[176:177]
	s_waitcnt vmcnt(37)
	v_fma_f64 v[153:154], v[115:116], v[180:181], -v[153:154]
	v_mul_f64 v[149:150], v[119:120], v[176:177]
	v_fma_f64 v[143:144], v[117:118], v[180:181], v[143:144]
	ds_read_b128 v[115:118], v1 offset:1584
	v_add_f64 v[127:128], v[127:128], v[151:152]
	s_waitcnt vmcnt(33) lgkmcnt(1)
	v_mul_f64 v[151:152], v[4:5], v[184:185]
	v_add_f64 v[6:7], v[6:7], v[139:140]
	s_waitcnt vmcnt(32)
	v_fma_f64 v[155:156], v[119:120], v[178:179], -v[155:156]
	v_mul_f64 v[139:140], v[2:3], v[184:185]
	v_fma_f64 v[149:150], v[121:122], v[178:179], v[149:150]
	ds_read_b128 v[119:122], v1 offset:1600
	v_add_f64 v[127:128], v[127:128], v[153:154]
	v_add_f64 v[6:7], v[6:7], v[143:144]
	s_waitcnt vmcnt(31) lgkmcnt(1)
	v_mul_f64 v[153:154], v[117:118], v[186:187]
	v_mul_f64 v[143:144], v[115:116], v[186:187]
	s_waitcnt vmcnt(29)
	v_fma_f64 v[151:152], v[2:3], v[125:126], -v[151:152]
	v_fma_f64 v[125:126], v[4:5], v[125:126], v[139:140]
	ds_read_b128 v[2:5], v1 offset:1616
	s_waitcnt vmcnt(25) lgkmcnt(1)
	v_mul_f64 v[139:140], v[119:120], v[129:130]
	v_mul_f64 v[129:130], v[121:122], v[129:130]
	v_add_f64 v[127:128], v[127:128], v[155:156]
	v_add_f64 v[6:7], v[6:7], v[149:150]
	s_waitcnt vmcnt(24)
	v_fma_f64 v[149:150], v[115:116], v[188:189], -v[153:154]
	v_fma_f64 v[143:144], v[117:118], v[188:189], v[143:144]
	ds_read_b128 v[115:118], v1 offset:1632
	v_add_f64 v[127:128], v[127:128], v[151:152]
	v_add_f64 v[6:7], v[6:7], v[125:126]
	s_waitcnt vmcnt(23) lgkmcnt(1)
	v_mul_f64 v[151:152], v[4:5], v[190:191]
	v_mul_f64 v[125:126], v[2:3], v[190:191]
	s_waitcnt vmcnt(21)
	v_fma_f64 v[129:130], v[119:120], v[123:124], -v[129:130]
	v_fma_f64 v[123:124], v[121:122], v[123:124], v[139:140]
	ds_read_b128 v[119:122], v1 offset:1648
	v_add_f64 v[127:128], v[127:128], v[149:150]
	v_add_f64 v[6:7], v[6:7], v[143:144]
	s_waitcnt vmcnt(17) lgkmcnt(1)
	v_mul_f64 v[139:140], v[115:116], v[137:138]
	v_mul_f64 v[137:138], v[117:118], v[137:138]
	s_waitcnt vmcnt(16)
	v_fma_f64 v[143:144], v[2:3], v[195:196], -v[151:152]
	v_fma_f64 v[125:126], v[4:5], v[195:196], v[125:126]
	ds_read_b128 v[2:5], v1 offset:1664
	v_add_f64 v[127:128], v[127:128], v[129:130]
	v_add_f64 v[6:7], v[6:7], v[123:124]
	s_waitcnt vmcnt(15) lgkmcnt(1)
	v_mul_f64 v[129:130], v[121:122], v[182:183]
	v_mul_f64 v[123:124], v[119:120], v[182:183]
	s_waitcnt vmcnt(13)
	v_fma_f64 v[137:138], v[115:116], v[135:136], -v[137:138]
	v_fma_f64 v[135:136], v[117:118], v[135:136], v[139:140]
	ds_read_b128 v[115:118], v1 offset:1680
	v_add_f64 v[127:128], v[127:128], v[143:144]
	v_add_f64 v[6:7], v[6:7], v[125:126]
	s_waitcnt vmcnt(9) lgkmcnt(1)
	v_mul_f64 v[125:126], v[2:3], v[131:132]
	v_mul_f64 v[131:132], v[4:5], v[131:132]
	s_waitcnt vmcnt(8)
	v_fma_f64 v[119:120], v[119:120], v[197:198], -v[129:130]
	v_fma_f64 v[121:122], v[121:122], v[197:198], v[123:124]
	v_add_f64 v[127:128], v[127:128], v[137:138]
	v_add_f64 v[6:7], v[6:7], v[135:136]
	s_waitcnt vmcnt(7) lgkmcnt(0)
	v_mul_f64 v[129:130], v[117:118], v[147:148]
	v_mul_f64 v[123:124], v[115:116], v[147:148]
	s_waitcnt vmcnt(5)
	v_fma_f64 v[2:3], v[2:3], v[133:134], -v[131:132]
	v_fma_f64 v[4:5], v[4:5], v[133:134], v[125:126]
	v_add_f64 v[119:120], v[127:128], v[119:120]
	v_add_f64 v[6:7], v[6:7], v[121:122]
	s_waitcnt vmcnt(4)
	v_fma_f64 v[115:116], v[115:116], v[192:193], -v[129:130]
	v_fma_f64 v[117:118], v[117:118], v[192:193], v[123:124]
	v_add_f64 v[2:3], v[119:120], v[2:3]
	v_add_f64 v[4:5], v[6:7], v[4:5]
	v_add_f64 v[2:3], v[2:3], v[115:116]
	v_add_f64 v[4:5], v[4:5], v[117:118]
	s_waitcnt vmcnt(2)
	v_add_f64 v[2:3], v[141:142], -v[2:3]
	s_waitcnt vmcnt(0)
	v_add_f64 v[4:5], v[145:146], -v[4:5]
	buffer_store_dword v3, off, s[0:3], 0 offset:484
	buffer_store_dword v2, off, s[0:3], 0 offset:480
	buffer_store_dword v5, off, s[0:3], 0 offset:492
	buffer_store_dword v4, off, s[0:3], 0 offset:488
	v_cmpx_lt_u32_e32 28, v0
	s_cbranch_execz .LBB116_275
; %bb.274:
	v_mov_b32_e32 v5, s37
	s_clause 0x3
	buffer_load_dword v2, v5, s[0:3], 0 offen
	buffer_load_dword v3, v5, s[0:3], 0 offen offset:4
	buffer_load_dword v4, v5, s[0:3], 0 offen offset:8
	;; [unrolled: 1-line block ×3, first 2 shown]
	buffer_store_dword v1, off, s[0:3], 0 offset:464
	buffer_store_dword v1, off, s[0:3], 0 offset:468
	;; [unrolled: 1-line block ×4, first 2 shown]
	s_waitcnt vmcnt(0)
	ds_write_b128 v175, v[2:5]
.LBB116_275:
	s_or_b32 exec_lo, exec_lo, s4
	s_waitcnt lgkmcnt(0)
	s_waitcnt_vscnt null, 0x0
	s_barrier
	buffer_gl0_inv
	s_clause 0x37
	buffer_load_dword v6, off, s[0:3], 0 offset:488
	buffer_load_dword v7, off, s[0:3], 0 offset:492
	;; [unrolled: 1-line block ×56, first 2 shown]
	ds_read_b128 v[2:5], v1 offset:1312
	s_clause 0x2
	buffer_load_dword v177, off, s[0:3], 0 offset:716
	buffer_load_dword v181, off, s[0:3], 0 offset:692
	;; [unrolled: 1-line block ×3, first 2 shown]
	ds_read_b128 v[115:118], v1 offset:1328
	s_clause 0x4
	buffer_load_dword v185, off, s[0:3], 0 offset:732
	buffer_load_dword v186, off, s[0:3], 0 offset:744
	;; [unrolled: 1-line block ×5, first 2 shown]
	ds_read_b128 v[119:122], v1 offset:1344
	s_mov_b32 s4, exec_lo
	s_waitcnt vmcnt(62) lgkmcnt(2)
	v_mul_f64 v[182:183], v[4:5], v[6:7]
	v_mul_f64 v[6:7], v[2:3], v[6:7]
	s_waitcnt vmcnt(60) lgkmcnt(1)
	v_mul_f64 v[189:190], v[117:118], v[123:124]
	v_mul_f64 v[123:124], v[115:116], v[123:124]
	;; [unrolled: 3-line block ×3, first 2 shown]
	v_fma_f64 v[182:183], v[2:3], v[125:126], -v[182:183]
	v_fma_f64 v[6:7], v[4:5], v[125:126], v[6:7]
	s_clause 0x2
	buffer_load_dword v187, off, s[0:3], 0 offset:748
	buffer_load_dword v126, off, s[0:3], 0 offset:724
	;; [unrolled: 1-line block ×3, first 2 shown]
	s_waitcnt vmcnt(57)
	v_fma_f64 v[193:194], v[115:116], v[129:130], -v[189:190]
	ds_read_b128 v[2:5], v1 offset:1360
	v_fma_f64 v[123:124], v[117:118], v[129:130], v[123:124]
	s_clause 0x4
	buffer_load_dword v130, off, s[0:3], 0 offset:764
	buffer_load_dword v190, off, s[0:3], 0 offset:776
	;; [unrolled: 1-line block ×5, first 2 shown]
	s_waitcnt vmcnt(56)
	v_fma_f64 v[127:128], v[119:120], v[137:138], -v[127:128]
	ds_read_b128 v[115:118], v1 offset:1376
	v_fma_f64 v[137:138], v[121:122], v[137:138], v[191:192]
	v_add_f64 v[182:183], v[182:183], 0
	v_add_f64 v[6:7], v[6:7], 0
	s_waitcnt lgkmcnt(1)
	v_mul_f64 v[196:197], v[2:3], v[131:132]
	v_mul_f64 v[131:132], v[4:5], v[131:132]
	v_add_f64 v[182:183], v[182:183], v[193:194]
	v_add_f64 v[6:7], v[6:7], v[123:124]
	s_clause 0x2
	buffer_load_dword v191, off, s[0:3], 0 offset:780
	buffer_load_dword v124, off, s[0:3], 0 offset:756
	;; [unrolled: 1-line block ×3, first 2 shown]
	s_waitcnt vmcnt(58) lgkmcnt(0)
	v_mul_f64 v[192:193], v[115:116], v[133:134]
	v_mul_f64 v[133:134], v[117:118], v[133:134]
	s_waitcnt vmcnt(56)
	v_fma_f64 v[131:132], v[2:3], v[139:140], -v[131:132]
	ds_read_b128 v[119:122], v1 offset:1392
	v_fma_f64 v[139:140], v[4:5], v[139:140], v[196:197]
	v_add_f64 v[127:128], v[182:183], v[127:128]
	v_add_f64 v[6:7], v[6:7], v[137:138]
	s_clause 0x4
	buffer_load_dword v138, off, s[0:3], 0 offset:796
	buffer_load_dword v182, off, s[0:3], 0 offset:808
	;; [unrolled: 1-line block ×5, first 2 shown]
	ds_read_b128 v[2:5], v1 offset:1408
	s_waitcnt vmcnt(57) lgkmcnt(1)
	v_mul_f64 v[198:199], v[119:120], v[141:142]
	v_mul_f64 v[141:142], v[121:122], v[141:142]
	s_waitcnt vmcnt(56)
	v_fma_f64 v[133:134], v[115:116], v[135:136], -v[133:134]
	v_add_f64 v[127:128], v[127:128], v[131:132]
	v_fma_f64 v[131:132], v[117:118], v[135:136], v[192:193]
	v_add_f64 v[6:7], v[6:7], v[139:140]
	s_clause 0x2
	buffer_load_dword v183, off, s[0:3], 0 offset:812
	buffer_load_dword v136, off, s[0:3], 0 offset:788
	;; [unrolled: 1-line block ×3, first 2 shown]
	s_waitcnt vmcnt(58) lgkmcnt(0)
	v_mul_f64 v[139:140], v[2:3], v[143:144]
	v_mul_f64 v[143:144], v[4:5], v[143:144]
	s_waitcnt vmcnt(56)
	v_fma_f64 v[141:142], v[119:120], v[147:148], -v[141:142]
	ds_read_b128 v[115:118], v1 offset:1424
	v_add_f64 v[127:128], v[127:128], v[133:134]
	v_fma_f64 v[133:134], v[121:122], v[147:148], v[198:199]
	v_add_f64 v[6:7], v[6:7], v[131:132]
	s_clause 0x4
	buffer_load_dword v132, off, s[0:3], 0 offset:828
	buffer_load_dword v147, off, s[0:3], 0 offset:840
	;; [unrolled: 1-line block ×5, first 2 shown]
	ds_read_b128 v[119:122], v1 offset:1440
	s_waitcnt vmcnt(57) lgkmcnt(1)
	v_mul_f64 v[193:194], v[115:116], v[149:150]
	v_mul_f64 v[149:150], v[117:118], v[149:150]
	s_waitcnt vmcnt(56)
	v_fma_f64 v[143:144], v[2:3], v[145:146], -v[143:144]
	v_fma_f64 v[139:140], v[4:5], v[145:146], v[139:140]
	v_add_f64 v[127:128], v[127:128], v[141:142]
	v_add_f64 v[6:7], v[6:7], v[133:134]
	s_clause 0x2
	buffer_load_dword v148, off, s[0:3], 0 offset:844
	buffer_load_dword v134, off, s[0:3], 0 offset:820
	;; [unrolled: 1-line block ×3, first 2 shown]
	s_waitcnt vmcnt(58) lgkmcnt(0)
	v_mul_f64 v[145:146], v[121:122], v[151:152]
	ds_read_b128 v[2:5], v1 offset:1456
	s_waitcnt vmcnt(56)
	v_fma_f64 v[149:150], v[115:116], v[155:156], -v[149:150]
	v_mul_f64 v[141:142], v[119:120], v[151:152]
	v_add_f64 v[127:128], v[127:128], v[143:144]
	v_fma_f64 v[143:144], v[117:118], v[155:156], v[193:194]
	v_add_f64 v[6:7], v[6:7], v[139:140]
	s_clause 0x2
	buffer_load_dword v140, off, s[0:3], 0 offset:860
	buffer_load_dword v139, off, s[0:3], 0 offset:856
	;; [unrolled: 1-line block ×3, first 2 shown]
	s_waitcnt vmcnt(55) lgkmcnt(0)
	v_mul_f64 v[155:156], v[4:5], v[157:158]
	s_waitcnt vmcnt(54)
	v_fma_f64 v[145:146], v[119:120], v[153:154], -v[145:146]
	ds_read_b128 v[115:118], v1 offset:1472
	v_mul_f64 v[151:152], v[2:3], v[157:158]
	v_fma_f64 v[141:142], v[121:122], v[153:154], v[141:142]
	v_add_f64 v[127:128], v[127:128], v[149:150]
	v_add_f64 v[6:7], v[6:7], v[143:144]
	s_clause 0x1
	buffer_load_dword v144, off, s[0:3], 0 offset:852
	buffer_load_dword v143, off, s[0:3], 0 offset:848
	s_waitcnt vmcnt(55) lgkmcnt(0)
	v_mul_f64 v[153:154], v[117:118], v[159:160]
	s_waitcnt vmcnt(53)
	v_fma_f64 v[155:156], v[2:3], v[163:164], -v[155:156]
	ds_read_b128 v[119:122], v1 offset:1488
	v_mul_f64 v[149:150], v[115:116], v[159:160]
	v_add_f64 v[127:128], v[127:128], v[145:146]
	v_fma_f64 v[145:146], v[4:5], v[163:164], v[151:152]
	v_add_f64 v[6:7], v[6:7], v[141:142]
	ds_read_b128 v[2:5], v1 offset:1504
	s_waitcnt vmcnt(49) lgkmcnt(1)
	v_mul_f64 v[151:152], v[121:122], v[165:166]
	s_waitcnt vmcnt(48)
	v_fma_f64 v[153:154], v[115:116], v[161:162], -v[153:154]
	v_mul_f64 v[141:142], v[119:120], v[165:166]
	v_fma_f64 v[149:150], v[117:118], v[161:162], v[149:150]
	v_add_f64 v[127:128], v[127:128], v[155:156]
	s_waitcnt vmcnt(47) lgkmcnt(0)
	v_mul_f64 v[159:160], v[4:5], v[167:168]
	v_add_f64 v[6:7], v[6:7], v[145:146]
	s_clause 0x3
	buffer_load_dword v145, off, s[0:3], 0 offset:464
	buffer_load_dword v146, off, s[0:3], 0 offset:468
	;; [unrolled: 1-line block ×4, first 2 shown]
	s_waitcnt vmcnt(49)
	v_fma_f64 v[151:152], v[119:120], v[171:172], -v[151:152]
	ds_read_b128 v[115:118], v1 offset:1520
	v_mul_f64 v[157:158], v[2:3], v[167:168]
	v_fma_f64 v[141:142], v[121:122], v[171:172], v[141:142]
	ds_read_b128 v[119:122], v1 offset:1536
	v_add_f64 v[127:128], v[127:128], v[153:154]
	s_waitcnt vmcnt(44)
	v_fma_f64 v[159:160], v[2:3], v[169:170], -v[159:160]
	v_add_f64 v[6:7], v[6:7], v[149:150]
	s_waitcnt lgkmcnt(1)
	v_mul_f64 v[153:154], v[117:118], v[173:174]
	v_mul_f64 v[149:150], v[115:116], v[173:174]
	v_add_f64 v[127:128], v[127:128], v[151:152]
	v_fma_f64 v[151:152], v[4:5], v[169:170], v[157:158]
	v_add_f64 v[6:7], v[6:7], v[141:142]
	s_waitcnt vmcnt(43) lgkmcnt(0)
	v_mul_f64 v[157:158], v[121:122], v[176:177]
	s_waitcnt vmcnt(41)
	v_fma_f64 v[153:154], v[115:116], v[180:181], -v[153:154]
	ds_read_b128 v[2:5], v1 offset:1552
	v_mul_f64 v[141:142], v[119:120], v[176:177]
	v_fma_f64 v[149:150], v[117:118], v[180:181], v[149:150]
	ds_read_b128 v[115:118], v1 offset:1568
	v_add_f64 v[127:128], v[127:128], v[159:160]
	v_add_f64 v[6:7], v[6:7], v[151:152]
	s_waitcnt vmcnt(37) lgkmcnt(1)
	v_mul_f64 v[159:160], v[4:5], v[184:185]
	s_waitcnt vmcnt(36)
	v_fma_f64 v[157:158], v[119:120], v[178:179], -v[157:158]
	v_mul_f64 v[151:152], v[2:3], v[184:185]
	v_fma_f64 v[141:142], v[121:122], v[178:179], v[141:142]
	ds_read_b128 v[119:122], v1 offset:1584
	v_add_f64 v[127:128], v[127:128], v[153:154]
	v_add_f64 v[6:7], v[6:7], v[149:150]
	s_waitcnt vmcnt(35) lgkmcnt(1)
	v_mul_f64 v[153:154], v[117:118], v[186:187]
	v_mul_f64 v[149:150], v[115:116], v[186:187]
	s_waitcnt vmcnt(33)
	v_fma_f64 v[159:160], v[2:3], v[125:126], -v[159:160]
	v_fma_f64 v[125:126], v[4:5], v[125:126], v[151:152]
	ds_read_b128 v[2:5], v1 offset:1600
	v_add_f64 v[127:128], v[127:128], v[157:158]
	v_add_f64 v[6:7], v[6:7], v[141:142]
	s_waitcnt vmcnt(29) lgkmcnt(1)
	v_mul_f64 v[141:142], v[119:120], v[129:130]
	v_mul_f64 v[129:130], v[121:122], v[129:130]
	s_waitcnt vmcnt(28)
	v_fma_f64 v[151:152], v[115:116], v[188:189], -v[153:154]
	v_fma_f64 v[149:150], v[117:118], v[188:189], v[149:150]
	ds_read_b128 v[115:118], v1 offset:1616
	v_add_f64 v[127:128], v[127:128], v[159:160]
	v_add_f64 v[6:7], v[6:7], v[125:126]
	s_waitcnt vmcnt(27) lgkmcnt(1)
	v_mul_f64 v[153:154], v[4:5], v[190:191]
	v_mul_f64 v[125:126], v[2:3], v[190:191]
	s_waitcnt vmcnt(25)
	v_fma_f64 v[129:130], v[119:120], v[123:124], -v[129:130]
	v_fma_f64 v[123:124], v[121:122], v[123:124], v[141:142]
	ds_read_b128 v[119:122], v1 offset:1632
	v_add_f64 v[127:128], v[127:128], v[151:152]
	v_add_f64 v[6:7], v[6:7], v[149:150]
	s_waitcnt vmcnt(21) lgkmcnt(1)
	v_mul_f64 v[141:142], v[115:116], v[137:138]
	v_mul_f64 v[137:138], v[117:118], v[137:138]
	s_waitcnt vmcnt(20)
	v_fma_f64 v[149:150], v[2:3], v[195:196], -v[153:154]
	v_fma_f64 v[125:126], v[4:5], v[195:196], v[125:126]
	ds_read_b128 v[2:5], v1 offset:1648
	v_add_f64 v[127:128], v[127:128], v[129:130]
	v_add_f64 v[6:7], v[6:7], v[123:124]
	s_waitcnt vmcnt(19) lgkmcnt(1)
	v_mul_f64 v[129:130], v[121:122], v[182:183]
	v_mul_f64 v[123:124], v[119:120], v[182:183]
	s_waitcnt vmcnt(17)
	v_fma_f64 v[137:138], v[115:116], v[135:136], -v[137:138]
	v_fma_f64 v[135:136], v[117:118], v[135:136], v[141:142]
	ds_read_b128 v[115:118], v1 offset:1664
	v_add_f64 v[127:128], v[127:128], v[149:150]
	v_add_f64 v[6:7], v[6:7], v[125:126]
	s_waitcnt vmcnt(13) lgkmcnt(1)
	v_mul_f64 v[125:126], v[2:3], v[131:132]
	v_mul_f64 v[131:132], v[4:5], v[131:132]
	s_waitcnt vmcnt(12)
	v_fma_f64 v[129:130], v[119:120], v[197:198], -v[129:130]
	v_fma_f64 v[123:124], v[121:122], v[197:198], v[123:124]
	ds_read_b128 v[119:122], v1 offset:1680
	v_add_f64 v[127:128], v[127:128], v[137:138]
	v_add_f64 v[6:7], v[6:7], v[135:136]
	s_waitcnt vmcnt(11) lgkmcnt(1)
	v_mul_f64 v[137:138], v[117:118], v[147:148]
	v_mul_f64 v[135:136], v[115:116], v[147:148]
	s_waitcnt vmcnt(9)
	v_fma_f64 v[1:2], v[2:3], v[133:134], -v[131:132]
	v_fma_f64 v[3:4], v[4:5], v[133:134], v[125:126]
	v_add_f64 v[127:128], v[127:128], v[129:130]
	v_add_f64 v[5:6], v[6:7], v[123:124]
	s_waitcnt vmcnt(7) lgkmcnt(0)
	v_mul_f64 v[123:124], v[121:122], v[139:140]
	s_waitcnt vmcnt(6)
	v_fma_f64 v[115:116], v[115:116], v[192:193], -v[137:138]
	v_mul_f64 v[7:8], v[119:120], v[139:140]
	v_fma_f64 v[117:118], v[117:118], v[192:193], v[135:136]
	v_add_f64 v[1:2], v[127:128], v[1:2]
	v_add_f64 v[3:4], v[5:6], v[3:4]
	s_waitcnt vmcnt(4)
	v_fma_f64 v[5:6], v[119:120], v[143:144], -v[123:124]
	v_fma_f64 v[7:8], v[121:122], v[143:144], v[7:8]
	v_add_f64 v[1:2], v[1:2], v[115:116]
	v_add_f64 v[3:4], v[3:4], v[117:118]
	;; [unrolled: 1-line block ×4, first 2 shown]
	s_waitcnt vmcnt(2)
	v_add_f64 v[1:2], v[145:146], -v[1:2]
	s_waitcnt vmcnt(0)
	v_add_f64 v[3:4], v[155:156], -v[3:4]
	buffer_store_dword v2, off, s[0:3], 0 offset:468
	buffer_store_dword v1, off, s[0:3], 0 offset:464
	;; [unrolled: 1-line block ×4, first 2 shown]
	v_cmpx_lt_u32_e32 27, v0
	s_cbranch_execz .LBB116_277
; %bb.276:
	v_mov_b32_e32 v4, s38
	v_mov_b32_e32 v5, 0
	s_clause 0x3
	buffer_load_dword v1, v4, s[0:3], 0 offen
	buffer_load_dword v2, v4, s[0:3], 0 offen offset:4
	buffer_load_dword v3, v4, s[0:3], 0 offen offset:8
	;; [unrolled: 1-line block ×3, first 2 shown]
	buffer_store_dword v5, off, s[0:3], 0 offset:448
	buffer_store_dword v5, off, s[0:3], 0 offset:452
	;; [unrolled: 1-line block ×4, first 2 shown]
	s_waitcnt vmcnt(0)
	ds_write_b128 v175, v[1:4]
.LBB116_277:
	s_or_b32 exec_lo, exec_lo, s4
	s_waitcnt lgkmcnt(0)
	s_waitcnt_vscnt null, 0x0
	s_barrier
	buffer_gl0_inv
	s_clause 0x37
	buffer_load_dword v6, off, s[0:3], 0 offset:472
	buffer_load_dword v7, off, s[0:3], 0 offset:476
	;; [unrolled: 1-line block ×56, first 2 shown]
	v_mov_b32_e32 v1, 0
	s_mov_b32 s4, exec_lo
	ds_read_b128 v[2:5], v1 offset:1296
	s_clause 0x2
	buffer_load_dword v177, off, s[0:3], 0 offset:700
	buffer_load_dword v181, off, s[0:3], 0 offset:676
	;; [unrolled: 1-line block ×3, first 2 shown]
	ds_read_b128 v[115:118], v1 offset:1312
	s_clause 0x4
	buffer_load_dword v185, off, s[0:3], 0 offset:716
	buffer_load_dword v186, off, s[0:3], 0 offset:728
	buffer_load_dword v188, off, s[0:3], 0 offset:720
	buffer_load_dword v184, off, s[0:3], 0 offset:712
	buffer_load_dword v179, off, s[0:3], 0 offset:692
	ds_read_b128 v[119:122], v1 offset:1328
	s_waitcnt vmcnt(62) lgkmcnt(2)
	v_mul_f64 v[182:183], v[4:5], v[6:7]
	v_mul_f64 v[6:7], v[2:3], v[6:7]
	s_waitcnt vmcnt(60) lgkmcnt(1)
	v_mul_f64 v[189:190], v[117:118], v[123:124]
	v_mul_f64 v[123:124], v[115:116], v[123:124]
	;; [unrolled: 3-line block ×3, first 2 shown]
	v_fma_f64 v[182:183], v[2:3], v[125:126], -v[182:183]
	v_fma_f64 v[6:7], v[4:5], v[125:126], v[6:7]
	s_clause 0x2
	buffer_load_dword v187, off, s[0:3], 0 offset:732
	buffer_load_dword v126, off, s[0:3], 0 offset:708
	;; [unrolled: 1-line block ×3, first 2 shown]
	s_waitcnt vmcnt(57)
	v_fma_f64 v[193:194], v[115:116], v[129:130], -v[189:190]
	ds_read_b128 v[2:5], v1 offset:1344
	v_fma_f64 v[123:124], v[117:118], v[129:130], v[123:124]
	s_clause 0x4
	buffer_load_dword v130, off, s[0:3], 0 offset:748
	buffer_load_dword v190, off, s[0:3], 0 offset:760
	;; [unrolled: 1-line block ×5, first 2 shown]
	s_waitcnt vmcnt(56)
	v_fma_f64 v[127:128], v[119:120], v[137:138], -v[127:128]
	ds_read_b128 v[115:118], v1 offset:1360
	v_fma_f64 v[137:138], v[121:122], v[137:138], v[191:192]
	v_add_f64 v[182:183], v[182:183], 0
	v_add_f64 v[6:7], v[6:7], 0
	s_waitcnt lgkmcnt(1)
	v_mul_f64 v[196:197], v[2:3], v[131:132]
	v_mul_f64 v[131:132], v[4:5], v[131:132]
	v_add_f64 v[182:183], v[182:183], v[193:194]
	v_add_f64 v[6:7], v[6:7], v[123:124]
	s_clause 0x2
	buffer_load_dword v191, off, s[0:3], 0 offset:764
	buffer_load_dword v124, off, s[0:3], 0 offset:740
	;; [unrolled: 1-line block ×3, first 2 shown]
	s_waitcnt vmcnt(58) lgkmcnt(0)
	v_mul_f64 v[192:193], v[115:116], v[133:134]
	v_mul_f64 v[133:134], v[117:118], v[133:134]
	s_waitcnt vmcnt(56)
	v_fma_f64 v[131:132], v[2:3], v[139:140], -v[131:132]
	ds_read_b128 v[119:122], v1 offset:1376
	v_fma_f64 v[139:140], v[4:5], v[139:140], v[196:197]
	v_add_f64 v[127:128], v[182:183], v[127:128]
	v_add_f64 v[6:7], v[6:7], v[137:138]
	s_clause 0x4
	buffer_load_dword v138, off, s[0:3], 0 offset:780
	buffer_load_dword v182, off, s[0:3], 0 offset:792
	;; [unrolled: 1-line block ×5, first 2 shown]
	ds_read_b128 v[2:5], v1 offset:1392
	s_waitcnt vmcnt(57) lgkmcnt(1)
	v_mul_f64 v[198:199], v[119:120], v[141:142]
	v_mul_f64 v[141:142], v[121:122], v[141:142]
	s_waitcnt vmcnt(56)
	v_fma_f64 v[133:134], v[115:116], v[135:136], -v[133:134]
	v_add_f64 v[127:128], v[127:128], v[131:132]
	v_fma_f64 v[131:132], v[117:118], v[135:136], v[192:193]
	v_add_f64 v[6:7], v[6:7], v[139:140]
	s_clause 0x2
	buffer_load_dword v183, off, s[0:3], 0 offset:796
	buffer_load_dword v136, off, s[0:3], 0 offset:772
	;; [unrolled: 1-line block ×3, first 2 shown]
	s_waitcnt vmcnt(58) lgkmcnt(0)
	v_mul_f64 v[139:140], v[2:3], v[143:144]
	v_mul_f64 v[143:144], v[4:5], v[143:144]
	s_waitcnt vmcnt(56)
	v_fma_f64 v[141:142], v[119:120], v[147:148], -v[141:142]
	ds_read_b128 v[115:118], v1 offset:1408
	v_add_f64 v[127:128], v[127:128], v[133:134]
	v_fma_f64 v[133:134], v[121:122], v[147:148], v[198:199]
	v_add_f64 v[6:7], v[6:7], v[131:132]
	s_clause 0x4
	buffer_load_dword v132, off, s[0:3], 0 offset:812
	buffer_load_dword v147, off, s[0:3], 0 offset:824
	;; [unrolled: 1-line block ×5, first 2 shown]
	ds_read_b128 v[119:122], v1 offset:1424
	s_waitcnt vmcnt(57) lgkmcnt(1)
	v_mul_f64 v[193:194], v[115:116], v[149:150]
	v_mul_f64 v[149:150], v[117:118], v[149:150]
	s_waitcnt vmcnt(56)
	v_fma_f64 v[143:144], v[2:3], v[145:146], -v[143:144]
	v_fma_f64 v[139:140], v[4:5], v[145:146], v[139:140]
	v_add_f64 v[127:128], v[127:128], v[141:142]
	v_add_f64 v[6:7], v[6:7], v[133:134]
	s_clause 0x2
	buffer_load_dword v148, off, s[0:3], 0 offset:828
	buffer_load_dword v134, off, s[0:3], 0 offset:804
	;; [unrolled: 1-line block ×3, first 2 shown]
	s_waitcnt vmcnt(58) lgkmcnt(0)
	v_mul_f64 v[145:146], v[121:122], v[151:152]
	ds_read_b128 v[2:5], v1 offset:1440
	s_waitcnt vmcnt(56)
	v_fma_f64 v[149:150], v[115:116], v[155:156], -v[149:150]
	v_mul_f64 v[141:142], v[119:120], v[151:152]
	v_add_f64 v[127:128], v[127:128], v[143:144]
	v_fma_f64 v[143:144], v[117:118], v[155:156], v[193:194]
	v_add_f64 v[6:7], v[6:7], v[139:140]
	s_clause 0x4
	buffer_load_dword v140, off, s[0:3], 0 offset:844
	buffer_load_dword v151, off, s[0:3], 0 offset:856
	;; [unrolled: 1-line block ×5, first 2 shown]
	s_waitcnt vmcnt(57) lgkmcnt(0)
	v_mul_f64 v[199:200], v[2:3], v[157:158]
	v_mul_f64 v[156:157], v[4:5], v[157:158]
	s_waitcnt vmcnt(56)
	v_fma_f64 v[145:146], v[119:120], v[153:154], -v[145:146]
	ds_read_b128 v[115:118], v1 offset:1456
	v_fma_f64 v[141:142], v[121:122], v[153:154], v[141:142]
	v_add_f64 v[127:128], v[127:128], v[149:150]
	v_add_f64 v[6:7], v[6:7], v[143:144]
	s_clause 0x2
	buffer_load_dword v152, off, s[0:3], 0 offset:860
	buffer_load_dword v144, off, s[0:3], 0 offset:836
	;; [unrolled: 1-line block ×3, first 2 shown]
	ds_read_b128 v[119:122], v1 offset:1472
	s_waitcnt vmcnt(58) lgkmcnt(1)
	v_mul_f64 v[153:154], v[117:118], v[159:160]
	s_waitcnt vmcnt(56)
	v_fma_f64 v[157:158], v[2:3], v[163:164], -v[156:157]
	v_mul_f64 v[149:150], v[115:116], v[159:160]
	buffer_load_dword v156, off, s[0:3], 0 offset:852
	v_add_f64 v[127:128], v[127:128], v[145:146]
	v_fma_f64 v[145:146], v[4:5], v[163:164], v[199:200]
	v_add_f64 v[6:7], v[6:7], v[141:142]
	ds_read_b128 v[2:5], v1 offset:1488
	s_waitcnt vmcnt(53) lgkmcnt(1)
	v_mul_f64 v[159:160], v[121:122], v[165:166]
	s_waitcnt vmcnt(52)
	v_fma_f64 v[153:154], v[115:116], v[161:162], -v[153:154]
	v_mul_f64 v[141:142], v[119:120], v[165:166]
	v_fma_f64 v[149:150], v[117:118], v[161:162], v[149:150]
	ds_read_b128 v[115:118], v1 offset:1504
	v_add_f64 v[127:128], v[127:128], v[157:158]
	s_waitcnt vmcnt(51) lgkmcnt(1)
	v_mul_f64 v[157:158], v[4:5], v[167:168]
	v_add_f64 v[6:7], v[6:7], v[145:146]
	v_mul_f64 v[145:146], v[2:3], v[167:168]
	s_waitcnt vmcnt(49)
	v_fma_f64 v[159:160], v[119:120], v[171:172], -v[159:160]
	v_fma_f64 v[141:142], v[121:122], v[171:172], v[141:142]
	s_waitcnt vmcnt(45) lgkmcnt(0)
	v_mul_f64 v[163:164], v[117:118], v[173:174]
	v_mul_f64 v[161:162], v[115:116], v[173:174]
	v_add_f64 v[127:128], v[127:128], v[153:154]
	s_waitcnt vmcnt(44)
	v_fma_f64 v[157:158], v[2:3], v[169:170], -v[157:158]
	v_add_f64 v[6:7], v[6:7], v[149:150]
	s_clause 0x3
	buffer_load_dword v149, off, s[0:3], 0 offset:448
	buffer_load_dword v150, off, s[0:3], 0 offset:452
	;; [unrolled: 1-line block ×4, first 2 shown]
	ds_read_b128 v[119:122], v1 offset:1520
	v_fma_f64 v[145:146], v[4:5], v[169:170], v[145:146]
	ds_read_b128 v[2:5], v1 offset:1536
	s_waitcnt vmcnt(45)
	v_fma_f64 v[163:164], v[115:116], v[180:181], -v[163:164]
	v_add_f64 v[127:128], v[127:128], v[159:160]
	v_add_f64 v[6:7], v[6:7], v[141:142]
	s_waitcnt lgkmcnt(1)
	v_mul_f64 v[159:160], v[121:122], v[176:177]
	v_mul_f64 v[141:142], v[119:120], v[176:177]
	v_add_f64 v[127:128], v[127:128], v[157:158]
	v_fma_f64 v[157:158], v[117:118], v[180:181], v[161:162]
	v_add_f64 v[6:7], v[6:7], v[145:146]
	s_waitcnt vmcnt(41) lgkmcnt(0)
	v_mul_f64 v[161:162], v[4:5], v[184:185]
	s_waitcnt vmcnt(40)
	v_fma_f64 v[159:160], v[119:120], v[178:179], -v[159:160]
	ds_read_b128 v[115:118], v1 offset:1552
	v_mul_f64 v[145:146], v[2:3], v[184:185]
	v_fma_f64 v[141:142], v[121:122], v[178:179], v[141:142]
	ds_read_b128 v[119:122], v1 offset:1568
	v_add_f64 v[127:128], v[127:128], v[163:164]
	v_add_f64 v[6:7], v[6:7], v[157:158]
	s_waitcnt vmcnt(39) lgkmcnt(1)
	v_mul_f64 v[163:164], v[117:118], v[186:187]
	v_mul_f64 v[157:158], v[115:116], v[186:187]
	s_waitcnt vmcnt(37)
	v_fma_f64 v[161:162], v[2:3], v[125:126], -v[161:162]
	v_fma_f64 v[125:126], v[4:5], v[125:126], v[145:146]
	ds_read_b128 v[2:5], v1 offset:1584
	v_add_f64 v[127:128], v[127:128], v[159:160]
	v_add_f64 v[6:7], v[6:7], v[141:142]
	s_waitcnt vmcnt(33) lgkmcnt(1)
	v_mul_f64 v[141:142], v[119:120], v[129:130]
	v_mul_f64 v[129:130], v[121:122], v[129:130]
	s_waitcnt vmcnt(32)
	v_fma_f64 v[145:146], v[115:116], v[188:189], -v[163:164]
	;; [unrolled: 9-line block ×7, first 2 shown]
	v_fma_f64 v[125:126], v[4:5], v[133:134], v[125:126]
	ds_read_b128 v[2:5], v1 offset:1680
	v_add_f64 v[127:128], v[127:128], v[129:130]
	v_add_f64 v[6:7], v[6:7], v[123:124]
	s_waitcnt vmcnt(9) lgkmcnt(1)
	v_mul_f64 v[129:130], v[121:122], v[139:140]
	s_waitcnt vmcnt(8)
	v_fma_f64 v[115:116], v[115:116], v[192:193], -v[137:138]
	v_mul_f64 v[123:124], v[119:120], v[139:140]
	v_fma_f64 v[117:118], v[117:118], v[192:193], v[135:136]
	v_add_f64 v[127:128], v[127:128], v[131:132]
	v_add_f64 v[6:7], v[6:7], v[125:126]
	s_waitcnt vmcnt(7) lgkmcnt(0)
	v_mul_f64 v[131:132], v[4:5], v[151:152]
	v_mul_f64 v[125:126], v[2:3], v[151:152]
	s_waitcnt vmcnt(5)
	v_fma_f64 v[119:120], v[119:120], v[143:144], -v[129:130]
	v_fma_f64 v[121:122], v[121:122], v[143:144], v[123:124]
	v_add_f64 v[115:116], v[127:128], v[115:116]
	v_add_f64 v[6:7], v[6:7], v[117:118]
	s_waitcnt vmcnt(4)
	v_fma_f64 v[2:3], v[2:3], v[155:156], -v[131:132]
	v_fma_f64 v[4:5], v[4:5], v[155:156], v[125:126]
	v_add_f64 v[115:116], v[115:116], v[119:120]
	v_add_f64 v[6:7], v[6:7], v[121:122]
	;; [unrolled: 1-line block ×4, first 2 shown]
	s_waitcnt vmcnt(2)
	v_add_f64 v[2:3], v[149:150], -v[2:3]
	s_waitcnt vmcnt(0)
	v_add_f64 v[4:5], v[153:154], -v[4:5]
	buffer_store_dword v3, off, s[0:3], 0 offset:452
	buffer_store_dword v2, off, s[0:3], 0 offset:448
	;; [unrolled: 1-line block ×4, first 2 shown]
	v_cmpx_lt_u32_e32 26, v0
	s_cbranch_execz .LBB116_279
; %bb.278:
	v_mov_b32_e32 v5, s39
	s_clause 0x3
	buffer_load_dword v2, v5, s[0:3], 0 offen
	buffer_load_dword v3, v5, s[0:3], 0 offen offset:4
	buffer_load_dword v4, v5, s[0:3], 0 offen offset:8
	;; [unrolled: 1-line block ×3, first 2 shown]
	buffer_store_dword v1, off, s[0:3], 0 offset:432
	buffer_store_dword v1, off, s[0:3], 0 offset:436
	;; [unrolled: 1-line block ×4, first 2 shown]
	s_waitcnt vmcnt(0)
	ds_write_b128 v175, v[2:5]
.LBB116_279:
	s_or_b32 exec_lo, exec_lo, s4
	s_waitcnt lgkmcnt(0)
	s_waitcnt_vscnt null, 0x0
	s_barrier
	buffer_gl0_inv
	s_clause 0x37
	buffer_load_dword v6, off, s[0:3], 0 offset:456
	buffer_load_dword v7, off, s[0:3], 0 offset:460
	;; [unrolled: 1-line block ×56, first 2 shown]
	ds_read_b128 v[2:5], v1 offset:1280
	s_clause 0x2
	buffer_load_dword v177, off, s[0:3], 0 offset:684
	buffer_load_dword v181, off, s[0:3], 0 offset:660
	;; [unrolled: 1-line block ×3, first 2 shown]
	ds_read_b128 v[115:118], v1 offset:1296
	s_clause 0x4
	buffer_load_dword v185, off, s[0:3], 0 offset:700
	buffer_load_dword v186, off, s[0:3], 0 offset:712
	buffer_load_dword v188, off, s[0:3], 0 offset:704
	buffer_load_dword v184, off, s[0:3], 0 offset:696
	buffer_load_dword v179, off, s[0:3], 0 offset:676
	ds_read_b128 v[119:122], v1 offset:1312
	s_mov_b32 s4, exec_lo
	s_waitcnt vmcnt(62) lgkmcnt(2)
	v_mul_f64 v[182:183], v[4:5], v[6:7]
	v_mul_f64 v[6:7], v[2:3], v[6:7]
	s_waitcnt vmcnt(60) lgkmcnt(1)
	v_mul_f64 v[189:190], v[117:118], v[123:124]
	v_mul_f64 v[123:124], v[115:116], v[123:124]
	;; [unrolled: 3-line block ×3, first 2 shown]
	v_fma_f64 v[182:183], v[2:3], v[125:126], -v[182:183]
	v_fma_f64 v[6:7], v[4:5], v[125:126], v[6:7]
	s_clause 0x2
	buffer_load_dword v187, off, s[0:3], 0 offset:716
	buffer_load_dword v126, off, s[0:3], 0 offset:692
	;; [unrolled: 1-line block ×3, first 2 shown]
	s_waitcnt vmcnt(57)
	v_fma_f64 v[193:194], v[115:116], v[129:130], -v[189:190]
	ds_read_b128 v[2:5], v1 offset:1328
	v_fma_f64 v[123:124], v[117:118], v[129:130], v[123:124]
	s_clause 0x4
	buffer_load_dword v130, off, s[0:3], 0 offset:732
	buffer_load_dword v190, off, s[0:3], 0 offset:744
	;; [unrolled: 1-line block ×5, first 2 shown]
	s_waitcnt vmcnt(56)
	v_fma_f64 v[127:128], v[119:120], v[137:138], -v[127:128]
	ds_read_b128 v[115:118], v1 offset:1344
	v_fma_f64 v[137:138], v[121:122], v[137:138], v[191:192]
	v_add_f64 v[182:183], v[182:183], 0
	v_add_f64 v[6:7], v[6:7], 0
	s_waitcnt lgkmcnt(1)
	v_mul_f64 v[196:197], v[2:3], v[131:132]
	v_mul_f64 v[131:132], v[4:5], v[131:132]
	v_add_f64 v[182:183], v[182:183], v[193:194]
	v_add_f64 v[6:7], v[6:7], v[123:124]
	s_clause 0x2
	buffer_load_dword v191, off, s[0:3], 0 offset:748
	buffer_load_dword v124, off, s[0:3], 0 offset:724
	;; [unrolled: 1-line block ×3, first 2 shown]
	s_waitcnt vmcnt(58) lgkmcnt(0)
	v_mul_f64 v[192:193], v[115:116], v[133:134]
	v_mul_f64 v[133:134], v[117:118], v[133:134]
	s_waitcnt vmcnt(56)
	v_fma_f64 v[131:132], v[2:3], v[139:140], -v[131:132]
	ds_read_b128 v[119:122], v1 offset:1360
	v_fma_f64 v[139:140], v[4:5], v[139:140], v[196:197]
	v_add_f64 v[127:128], v[182:183], v[127:128]
	v_add_f64 v[6:7], v[6:7], v[137:138]
	s_clause 0x4
	buffer_load_dword v138, off, s[0:3], 0 offset:764
	buffer_load_dword v182, off, s[0:3], 0 offset:776
	;; [unrolled: 1-line block ×5, first 2 shown]
	ds_read_b128 v[2:5], v1 offset:1376
	s_waitcnt vmcnt(57) lgkmcnt(1)
	v_mul_f64 v[198:199], v[119:120], v[141:142]
	v_mul_f64 v[141:142], v[121:122], v[141:142]
	s_waitcnt vmcnt(56)
	v_fma_f64 v[133:134], v[115:116], v[135:136], -v[133:134]
	v_add_f64 v[127:128], v[127:128], v[131:132]
	v_fma_f64 v[131:132], v[117:118], v[135:136], v[192:193]
	v_add_f64 v[6:7], v[6:7], v[139:140]
	s_clause 0x2
	buffer_load_dword v183, off, s[0:3], 0 offset:780
	buffer_load_dword v136, off, s[0:3], 0 offset:756
	;; [unrolled: 1-line block ×3, first 2 shown]
	s_waitcnt vmcnt(58) lgkmcnt(0)
	v_mul_f64 v[139:140], v[2:3], v[143:144]
	v_mul_f64 v[143:144], v[4:5], v[143:144]
	s_waitcnt vmcnt(56)
	v_fma_f64 v[141:142], v[119:120], v[147:148], -v[141:142]
	ds_read_b128 v[115:118], v1 offset:1392
	v_add_f64 v[127:128], v[127:128], v[133:134]
	v_fma_f64 v[133:134], v[121:122], v[147:148], v[198:199]
	v_add_f64 v[6:7], v[6:7], v[131:132]
	s_clause 0x4
	buffer_load_dword v132, off, s[0:3], 0 offset:796
	buffer_load_dword v147, off, s[0:3], 0 offset:808
	buffer_load_dword v192, off, s[0:3], 0 offset:800
	buffer_load_dword v131, off, s[0:3], 0 offset:792
	buffer_load_dword v198, off, s[0:3], 0 offset:772
	ds_read_b128 v[119:122], v1 offset:1408
	s_waitcnt vmcnt(57) lgkmcnt(1)
	v_mul_f64 v[193:194], v[115:116], v[149:150]
	v_mul_f64 v[149:150], v[117:118], v[149:150]
	s_waitcnt vmcnt(56)
	v_fma_f64 v[143:144], v[2:3], v[145:146], -v[143:144]
	v_fma_f64 v[139:140], v[4:5], v[145:146], v[139:140]
	v_add_f64 v[127:128], v[127:128], v[141:142]
	v_add_f64 v[6:7], v[6:7], v[133:134]
	s_clause 0x2
	buffer_load_dword v148, off, s[0:3], 0 offset:812
	buffer_load_dword v134, off, s[0:3], 0 offset:788
	;; [unrolled: 1-line block ×3, first 2 shown]
	s_waitcnt vmcnt(58) lgkmcnt(0)
	v_mul_f64 v[145:146], v[121:122], v[151:152]
	ds_read_b128 v[2:5], v1 offset:1424
	s_waitcnt vmcnt(56)
	v_fma_f64 v[149:150], v[115:116], v[155:156], -v[149:150]
	v_mul_f64 v[141:142], v[119:120], v[151:152]
	v_add_f64 v[127:128], v[127:128], v[143:144]
	v_fma_f64 v[143:144], v[117:118], v[155:156], v[193:194]
	v_add_f64 v[6:7], v[6:7], v[139:140]
	s_clause 0x4
	buffer_load_dword v140, off, s[0:3], 0 offset:828
	buffer_load_dword v151, off, s[0:3], 0 offset:840
	buffer_load_dword v155, off, s[0:3], 0 offset:832
	buffer_load_dword v139, off, s[0:3], 0 offset:824
	buffer_load_dword v193, off, s[0:3], 0 offset:804
	s_waitcnt vmcnt(57) lgkmcnt(0)
	v_mul_f64 v[199:200], v[2:3], v[157:158]
	v_mul_f64 v[156:157], v[4:5], v[157:158]
	s_waitcnt vmcnt(56)
	v_fma_f64 v[145:146], v[119:120], v[153:154], -v[145:146]
	ds_read_b128 v[115:118], v1 offset:1440
	v_fma_f64 v[141:142], v[121:122], v[153:154], v[141:142]
	v_add_f64 v[127:128], v[127:128], v[149:150]
	v_add_f64 v[6:7], v[6:7], v[143:144]
	s_clause 0x2
	buffer_load_dword v152, off, s[0:3], 0 offset:844
	buffer_load_dword v144, off, s[0:3], 0 offset:820
	;; [unrolled: 1-line block ×3, first 2 shown]
	ds_read_b128 v[119:122], v1 offset:1456
	s_waitcnt vmcnt(58) lgkmcnt(1)
	v_mul_f64 v[153:154], v[117:118], v[159:160]
	s_waitcnt vmcnt(56)
	v_fma_f64 v[157:158], v[2:3], v[163:164], -v[156:157]
	v_mul_f64 v[149:150], v[115:116], v[159:160]
	v_add_f64 v[127:128], v[127:128], v[145:146]
	v_fma_f64 v[145:146], v[4:5], v[163:164], v[199:200]
	v_add_f64 v[6:7], v[6:7], v[141:142]
	s_clause 0x2
	buffer_load_dword v142, off, s[0:3], 0 offset:860
	buffer_load_dword v141, off, s[0:3], 0 offset:856
	;; [unrolled: 1-line block ×3, first 2 shown]
	s_waitcnt vmcnt(55) lgkmcnt(0)
	v_mul_f64 v[163:164], v[121:122], v[165:166]
	s_waitcnt vmcnt(54)
	v_fma_f64 v[153:154], v[115:116], v[161:162], -v[153:154]
	ds_read_b128 v[2:5], v1 offset:1472
	v_mul_f64 v[159:160], v[119:120], v[165:166]
	v_fma_f64 v[149:150], v[117:118], v[161:162], v[149:150]
	v_add_f64 v[127:128], v[127:128], v[157:158]
	v_add_f64 v[6:7], v[6:7], v[145:146]
	s_clause 0x1
	buffer_load_dword v146, off, s[0:3], 0 offset:852
	buffer_load_dword v145, off, s[0:3], 0 offset:848
	s_waitcnt vmcnt(55) lgkmcnt(0)
	v_mul_f64 v[161:162], v[4:5], v[167:168]
	s_waitcnt vmcnt(53)
	v_fma_f64 v[163:164], v[119:120], v[171:172], -v[163:164]
	ds_read_b128 v[115:118], v1 offset:1488
	v_mul_f64 v[157:158], v[2:3], v[167:168]
	v_add_f64 v[127:128], v[127:128], v[153:154]
	v_fma_f64 v[153:154], v[121:122], v[171:172], v[159:160]
	v_add_f64 v[6:7], v[6:7], v[149:150]
	ds_read_b128 v[119:122], v1 offset:1504
	s_waitcnt vmcnt(49) lgkmcnt(1)
	v_mul_f64 v[159:160], v[117:118], v[173:174]
	s_waitcnt vmcnt(48)
	v_fma_f64 v[161:162], v[2:3], v[169:170], -v[161:162]
	v_mul_f64 v[149:150], v[115:116], v[173:174]
	v_fma_f64 v[157:158], v[4:5], v[169:170], v[157:158]
	v_add_f64 v[127:128], v[127:128], v[163:164]
	s_waitcnt vmcnt(47) lgkmcnt(0)
	v_mul_f64 v[167:168], v[121:122], v[176:177]
	v_add_f64 v[6:7], v[6:7], v[153:154]
	s_clause 0x3
	buffer_load_dword v153, off, s[0:3], 0 offset:432
	buffer_load_dword v154, off, s[0:3], 0 offset:436
	;; [unrolled: 1-line block ×4, first 2 shown]
	s_waitcnt vmcnt(49)
	v_fma_f64 v[159:160], v[115:116], v[180:181], -v[159:160]
	ds_read_b128 v[2:5], v1 offset:1520
	v_mul_f64 v[165:166], v[119:120], v[176:177]
	v_fma_f64 v[149:150], v[117:118], v[180:181], v[149:150]
	ds_read_b128 v[115:118], v1 offset:1536
	v_add_f64 v[127:128], v[127:128], v[161:162]
	s_waitcnt vmcnt(44)
	v_fma_f64 v[167:168], v[119:120], v[178:179], -v[167:168]
	v_add_f64 v[6:7], v[6:7], v[157:158]
	s_waitcnt lgkmcnt(1)
	v_mul_f64 v[161:162], v[4:5], v[184:185]
	v_mul_f64 v[157:158], v[2:3], v[184:185]
	v_add_f64 v[127:128], v[127:128], v[159:160]
	v_fma_f64 v[159:160], v[121:122], v[178:179], v[165:166]
	v_add_f64 v[6:7], v[6:7], v[149:150]
	ds_read_b128 v[119:122], v1 offset:1552
	s_waitcnt vmcnt(43) lgkmcnt(1)
	v_mul_f64 v[165:166], v[117:118], v[186:187]
	v_mul_f64 v[149:150], v[115:116], v[186:187]
	s_waitcnt vmcnt(41)
	v_fma_f64 v[161:162], v[2:3], v[125:126], -v[161:162]
	v_fma_f64 v[125:126], v[4:5], v[125:126], v[157:158]
	ds_read_b128 v[2:5], v1 offset:1568
	v_add_f64 v[127:128], v[127:128], v[167:168]
	s_waitcnt vmcnt(37) lgkmcnt(1)
	v_mul_f64 v[157:158], v[119:120], v[129:130]
	v_add_f64 v[6:7], v[6:7], v[159:160]
	v_mul_f64 v[129:130], v[121:122], v[129:130]
	s_waitcnt vmcnt(36)
	v_fma_f64 v[159:160], v[115:116], v[188:189], -v[165:166]
	v_fma_f64 v[149:150], v[117:118], v[188:189], v[149:150]
	ds_read_b128 v[115:118], v1 offset:1584
	v_add_f64 v[127:128], v[127:128], v[161:162]
	v_add_f64 v[6:7], v[6:7], v[125:126]
	s_waitcnt vmcnt(35) lgkmcnt(1)
	v_mul_f64 v[161:162], v[4:5], v[190:191]
	v_mul_f64 v[125:126], v[2:3], v[190:191]
	s_waitcnt vmcnt(33)
	v_fma_f64 v[129:130], v[119:120], v[123:124], -v[129:130]
	v_fma_f64 v[123:124], v[121:122], v[123:124], v[157:158]
	ds_read_b128 v[119:122], v1 offset:1600
	v_add_f64 v[127:128], v[127:128], v[159:160]
	v_add_f64 v[6:7], v[6:7], v[149:150]
	s_waitcnt vmcnt(29) lgkmcnt(1)
	v_mul_f64 v[149:150], v[115:116], v[137:138]
	;; [unrolled: 9-line block ×6, first 2 shown]
	s_waitcnt vmcnt(12)
	v_fma_f64 v[133:134], v[115:116], v[192:193], -v[137:138]
	v_mul_f64 v[123:124], v[119:120], v[139:140]
	v_add_f64 v[127:128], v[127:128], v[131:132]
	v_fma_f64 v[131:132], v[117:118], v[192:193], v[135:136]
	v_add_f64 v[6:7], v[6:7], v[125:126]
	ds_read_b128 v[115:118], v1 offset:1680
	s_waitcnt vmcnt(11) lgkmcnt(1)
	v_mul_f64 v[135:136], v[4:5], v[151:152]
	v_mul_f64 v[125:126], v[2:3], v[151:152]
	s_waitcnt vmcnt(9)
	v_fma_f64 v[119:120], v[119:120], v[143:144], -v[129:130]
	v_fma_f64 v[121:122], v[121:122], v[143:144], v[123:124]
	v_add_f64 v[127:128], v[127:128], v[133:134]
	v_add_f64 v[6:7], v[6:7], v[131:132]
	s_waitcnt vmcnt(7) lgkmcnt(0)
	v_mul_f64 v[129:130], v[117:118], v[141:142]
	s_waitcnt vmcnt(6)
	v_fma_f64 v[1:2], v[2:3], v[155:156], -v[135:136]
	v_mul_f64 v[123:124], v[115:116], v[141:142]
	v_fma_f64 v[3:4], v[4:5], v[155:156], v[125:126]
	v_add_f64 v[119:120], v[127:128], v[119:120]
	v_add_f64 v[5:6], v[6:7], v[121:122]
	s_waitcnt vmcnt(4)
	v_fma_f64 v[7:8], v[115:116], v[145:146], -v[129:130]
	v_fma_f64 v[115:116], v[117:118], v[145:146], v[123:124]
	v_add_f64 v[1:2], v[119:120], v[1:2]
	v_add_f64 v[3:4], v[5:6], v[3:4]
	;; [unrolled: 1-line block ×4, first 2 shown]
	s_waitcnt vmcnt(2)
	v_add_f64 v[1:2], v[153:154], -v[1:2]
	s_waitcnt vmcnt(0)
	v_add_f64 v[3:4], v[163:164], -v[3:4]
	buffer_store_dword v2, off, s[0:3], 0 offset:436
	buffer_store_dword v1, off, s[0:3], 0 offset:432
	;; [unrolled: 1-line block ×4, first 2 shown]
	v_cmpx_lt_u32_e32 25, v0
	s_cbranch_execz .LBB116_281
; %bb.280:
	v_mov_b32_e32 v4, s40
	v_mov_b32_e32 v5, 0
	s_clause 0x3
	buffer_load_dword v1, v4, s[0:3], 0 offen
	buffer_load_dword v2, v4, s[0:3], 0 offen offset:4
	buffer_load_dword v3, v4, s[0:3], 0 offen offset:8
	;; [unrolled: 1-line block ×3, first 2 shown]
	buffer_store_dword v5, off, s[0:3], 0 offset:416
	buffer_store_dword v5, off, s[0:3], 0 offset:420
	;; [unrolled: 1-line block ×4, first 2 shown]
	s_waitcnt vmcnt(0)
	ds_write_b128 v175, v[1:4]
.LBB116_281:
	s_or_b32 exec_lo, exec_lo, s4
	s_waitcnt lgkmcnt(0)
	s_waitcnt_vscnt null, 0x0
	s_barrier
	buffer_gl0_inv
	s_clause 0x37
	buffer_load_dword v6, off, s[0:3], 0 offset:440
	buffer_load_dword v7, off, s[0:3], 0 offset:444
	;; [unrolled: 1-line block ×56, first 2 shown]
	v_mov_b32_e32 v1, 0
	s_mov_b32 s4, exec_lo
	ds_read_b128 v[2:5], v1 offset:1264
	s_clause 0x2
	buffer_load_dword v177, off, s[0:3], 0 offset:668
	buffer_load_dword v181, off, s[0:3], 0 offset:644
	;; [unrolled: 1-line block ×3, first 2 shown]
	ds_read_b128 v[115:118], v1 offset:1280
	s_clause 0x4
	buffer_load_dword v185, off, s[0:3], 0 offset:684
	buffer_load_dword v186, off, s[0:3], 0 offset:696
	;; [unrolled: 1-line block ×5, first 2 shown]
	ds_read_b128 v[119:122], v1 offset:1296
	s_waitcnt vmcnt(62) lgkmcnt(2)
	v_mul_f64 v[182:183], v[4:5], v[6:7]
	v_mul_f64 v[6:7], v[2:3], v[6:7]
	s_waitcnt vmcnt(60) lgkmcnt(1)
	v_mul_f64 v[189:190], v[117:118], v[123:124]
	v_mul_f64 v[123:124], v[115:116], v[123:124]
	;; [unrolled: 3-line block ×3, first 2 shown]
	v_fma_f64 v[182:183], v[2:3], v[125:126], -v[182:183]
	v_fma_f64 v[6:7], v[4:5], v[125:126], v[6:7]
	s_clause 0x2
	buffer_load_dword v187, off, s[0:3], 0 offset:700
	buffer_load_dword v126, off, s[0:3], 0 offset:676
	;; [unrolled: 1-line block ×3, first 2 shown]
	s_waitcnt vmcnt(57)
	v_fma_f64 v[193:194], v[115:116], v[129:130], -v[189:190]
	ds_read_b128 v[2:5], v1 offset:1312
	v_fma_f64 v[123:124], v[117:118], v[129:130], v[123:124]
	s_clause 0x4
	buffer_load_dword v130, off, s[0:3], 0 offset:716
	buffer_load_dword v190, off, s[0:3], 0 offset:728
	;; [unrolled: 1-line block ×5, first 2 shown]
	s_waitcnt vmcnt(56)
	v_fma_f64 v[127:128], v[119:120], v[137:138], -v[127:128]
	ds_read_b128 v[115:118], v1 offset:1328
	v_fma_f64 v[137:138], v[121:122], v[137:138], v[191:192]
	v_add_f64 v[182:183], v[182:183], 0
	v_add_f64 v[6:7], v[6:7], 0
	s_waitcnt lgkmcnt(1)
	v_mul_f64 v[196:197], v[2:3], v[131:132]
	v_mul_f64 v[131:132], v[4:5], v[131:132]
	v_add_f64 v[182:183], v[182:183], v[193:194]
	v_add_f64 v[6:7], v[6:7], v[123:124]
	s_clause 0x2
	buffer_load_dword v191, off, s[0:3], 0 offset:732
	buffer_load_dword v124, off, s[0:3], 0 offset:708
	buffer_load_dword v123, off, s[0:3], 0 offset:704
	s_waitcnt vmcnt(58) lgkmcnt(0)
	v_mul_f64 v[192:193], v[115:116], v[133:134]
	v_mul_f64 v[133:134], v[117:118], v[133:134]
	s_waitcnt vmcnt(56)
	v_fma_f64 v[131:132], v[2:3], v[139:140], -v[131:132]
	ds_read_b128 v[119:122], v1 offset:1344
	v_fma_f64 v[139:140], v[4:5], v[139:140], v[196:197]
	v_add_f64 v[127:128], v[182:183], v[127:128]
	v_add_f64 v[6:7], v[6:7], v[137:138]
	s_clause 0x4
	buffer_load_dword v138, off, s[0:3], 0 offset:748
	buffer_load_dword v182, off, s[0:3], 0 offset:760
	;; [unrolled: 1-line block ×5, first 2 shown]
	ds_read_b128 v[2:5], v1 offset:1360
	s_waitcnt vmcnt(57) lgkmcnt(1)
	v_mul_f64 v[198:199], v[119:120], v[141:142]
	v_mul_f64 v[141:142], v[121:122], v[141:142]
	s_waitcnt vmcnt(56)
	v_fma_f64 v[133:134], v[115:116], v[135:136], -v[133:134]
	v_add_f64 v[127:128], v[127:128], v[131:132]
	v_fma_f64 v[131:132], v[117:118], v[135:136], v[192:193]
	v_add_f64 v[6:7], v[6:7], v[139:140]
	s_clause 0x2
	buffer_load_dword v183, off, s[0:3], 0 offset:764
	buffer_load_dword v136, off, s[0:3], 0 offset:740
	buffer_load_dword v135, off, s[0:3], 0 offset:736
	s_waitcnt vmcnt(58) lgkmcnt(0)
	v_mul_f64 v[139:140], v[2:3], v[143:144]
	v_mul_f64 v[143:144], v[4:5], v[143:144]
	s_waitcnt vmcnt(56)
	v_fma_f64 v[141:142], v[119:120], v[147:148], -v[141:142]
	ds_read_b128 v[115:118], v1 offset:1376
	v_add_f64 v[127:128], v[127:128], v[133:134]
	v_fma_f64 v[133:134], v[121:122], v[147:148], v[198:199]
	v_add_f64 v[6:7], v[6:7], v[131:132]
	s_clause 0x4
	buffer_load_dword v132, off, s[0:3], 0 offset:780
	buffer_load_dword v147, off, s[0:3], 0 offset:792
	buffer_load_dword v192, off, s[0:3], 0 offset:784
	buffer_load_dword v131, off, s[0:3], 0 offset:776
	buffer_load_dword v198, off, s[0:3], 0 offset:756
	ds_read_b128 v[119:122], v1 offset:1392
	s_waitcnt vmcnt(57) lgkmcnt(1)
	v_mul_f64 v[193:194], v[115:116], v[149:150]
	v_mul_f64 v[149:150], v[117:118], v[149:150]
	s_waitcnt vmcnt(56)
	v_fma_f64 v[143:144], v[2:3], v[145:146], -v[143:144]
	v_fma_f64 v[139:140], v[4:5], v[145:146], v[139:140]
	v_add_f64 v[127:128], v[127:128], v[141:142]
	v_add_f64 v[6:7], v[6:7], v[133:134]
	s_clause 0x2
	buffer_load_dword v148, off, s[0:3], 0 offset:796
	buffer_load_dword v134, off, s[0:3], 0 offset:772
	;; [unrolled: 1-line block ×3, first 2 shown]
	s_waitcnt vmcnt(58) lgkmcnt(0)
	v_mul_f64 v[145:146], v[121:122], v[151:152]
	ds_read_b128 v[2:5], v1 offset:1408
	s_waitcnt vmcnt(56)
	v_fma_f64 v[149:150], v[115:116], v[155:156], -v[149:150]
	v_mul_f64 v[141:142], v[119:120], v[151:152]
	v_add_f64 v[127:128], v[127:128], v[143:144]
	v_fma_f64 v[143:144], v[117:118], v[155:156], v[193:194]
	v_add_f64 v[6:7], v[6:7], v[139:140]
	s_clause 0x4
	buffer_load_dword v140, off, s[0:3], 0 offset:812
	buffer_load_dword v151, off, s[0:3], 0 offset:824
	;; [unrolled: 1-line block ×5, first 2 shown]
	s_waitcnt vmcnt(57) lgkmcnt(0)
	v_mul_f64 v[199:200], v[2:3], v[157:158]
	v_mul_f64 v[156:157], v[4:5], v[157:158]
	s_waitcnt vmcnt(56)
	v_fma_f64 v[145:146], v[119:120], v[153:154], -v[145:146]
	ds_read_b128 v[115:118], v1 offset:1424
	v_fma_f64 v[141:142], v[121:122], v[153:154], v[141:142]
	v_add_f64 v[127:128], v[127:128], v[149:150]
	v_add_f64 v[6:7], v[6:7], v[143:144]
	s_clause 0x2
	buffer_load_dword v152, off, s[0:3], 0 offset:828
	buffer_load_dword v144, off, s[0:3], 0 offset:804
	;; [unrolled: 1-line block ×3, first 2 shown]
	ds_read_b128 v[119:122], v1 offset:1440
	s_waitcnt vmcnt(58) lgkmcnt(1)
	v_mul_f64 v[153:154], v[117:118], v[159:160]
	s_waitcnt vmcnt(56)
	v_fma_f64 v[157:158], v[2:3], v[163:164], -v[156:157]
	v_mul_f64 v[149:150], v[115:116], v[159:160]
	v_add_f64 v[127:128], v[127:128], v[145:146]
	v_fma_f64 v[145:146], v[4:5], v[163:164], v[199:200]
	v_add_f64 v[6:7], v[6:7], v[141:142]
	s_clause 0x4
	buffer_load_dword v142, off, s[0:3], 0 offset:844
	buffer_load_dword v159, off, s[0:3], 0 offset:856
	;; [unrolled: 1-line block ×5, first 2 shown]
	s_waitcnt vmcnt(57) lgkmcnt(0)
	v_mul_f64 v[199:200], v[119:120], v[165:166]
	v_mul_f64 v[164:165], v[121:122], v[165:166]
	s_waitcnt vmcnt(56)
	v_fma_f64 v[153:154], v[115:116], v[161:162], -v[153:154]
	ds_read_b128 v[2:5], v1 offset:1456
	v_fma_f64 v[149:150], v[117:118], v[161:162], v[149:150]
	v_add_f64 v[127:128], v[127:128], v[157:158]
	v_add_f64 v[6:7], v[6:7], v[145:146]
	s_clause 0x2
	buffer_load_dword v160, off, s[0:3], 0 offset:860
	buffer_load_dword v146, off, s[0:3], 0 offset:836
	;; [unrolled: 1-line block ×3, first 2 shown]
	ds_read_b128 v[115:118], v1 offset:1472
	s_waitcnt vmcnt(58) lgkmcnt(1)
	v_mul_f64 v[161:162], v[4:5], v[167:168]
	s_waitcnt vmcnt(56)
	v_fma_f64 v[165:166], v[119:120], v[171:172], -v[164:165]
	v_mul_f64 v[157:158], v[2:3], v[167:168]
	buffer_load_dword v164, off, s[0:3], 0 offset:852
	v_add_f64 v[127:128], v[127:128], v[153:154]
	v_fma_f64 v[153:154], v[121:122], v[171:172], v[199:200]
	v_add_f64 v[6:7], v[6:7], v[149:150]
	ds_read_b128 v[119:122], v1 offset:1488
	s_waitcnt vmcnt(53) lgkmcnt(1)
	v_mul_f64 v[167:168], v[117:118], v[173:174]
	s_waitcnt vmcnt(52)
	v_fma_f64 v[161:162], v[2:3], v[169:170], -v[161:162]
	v_mul_f64 v[149:150], v[115:116], v[173:174]
	v_fma_f64 v[157:158], v[4:5], v[169:170], v[157:158]
	ds_read_b128 v[2:5], v1 offset:1504
	v_add_f64 v[127:128], v[127:128], v[165:166]
	s_waitcnt vmcnt(51) lgkmcnt(1)
	v_mul_f64 v[165:166], v[121:122], v[176:177]
	v_add_f64 v[6:7], v[6:7], v[153:154]
	v_mul_f64 v[153:154], v[119:120], v[176:177]
	s_waitcnt vmcnt(49)
	v_fma_f64 v[167:168], v[115:116], v[180:181], -v[167:168]
	v_fma_f64 v[149:150], v[117:118], v[180:181], v[149:150]
	s_waitcnt vmcnt(45) lgkmcnt(0)
	v_mul_f64 v[171:172], v[4:5], v[184:185]
	v_mul_f64 v[169:170], v[2:3], v[184:185]
	v_add_f64 v[127:128], v[127:128], v[161:162]
	s_waitcnt vmcnt(44)
	v_fma_f64 v[165:166], v[119:120], v[178:179], -v[165:166]
	v_add_f64 v[6:7], v[6:7], v[157:158]
	s_clause 0x3
	buffer_load_dword v157, off, s[0:3], 0 offset:416
	buffer_load_dword v158, off, s[0:3], 0 offset:420
	;; [unrolled: 1-line block ×4, first 2 shown]
	ds_read_b128 v[115:118], v1 offset:1520
	v_fma_f64 v[153:154], v[121:122], v[178:179], v[153:154]
	ds_read_b128 v[119:122], v1 offset:1536
	v_add_f64 v[127:128], v[127:128], v[167:168]
	v_add_f64 v[6:7], v[6:7], v[149:150]
	s_waitcnt vmcnt(47) lgkmcnt(1)
	v_mul_f64 v[167:168], v[117:118], v[186:187]
	v_mul_f64 v[149:150], v[115:116], v[186:187]
	s_waitcnt vmcnt(45)
	v_fma_f64 v[171:172], v[2:3], v[125:126], -v[171:172]
	v_fma_f64 v[125:126], v[4:5], v[125:126], v[169:170]
	ds_read_b128 v[2:5], v1 offset:1552
	v_add_f64 v[127:128], v[127:128], v[165:166]
	v_add_f64 v[6:7], v[6:7], v[153:154]
	s_waitcnt vmcnt(41) lgkmcnt(1)
	v_mul_f64 v[153:154], v[119:120], v[129:130]
	v_mul_f64 v[129:130], v[121:122], v[129:130]
	s_waitcnt vmcnt(40)
	v_fma_f64 v[165:166], v[115:116], v[188:189], -v[167:168]
	;; [unrolled: 9-line block ×7, first 2 shown]
	v_fma_f64 v[125:126], v[4:5], v[133:134], v[125:126]
	ds_read_b128 v[2:5], v1 offset:1648
	v_add_f64 v[127:128], v[127:128], v[129:130]
	v_add_f64 v[6:7], v[6:7], v[123:124]
	s_waitcnt vmcnt(17) lgkmcnt(1)
	v_mul_f64 v[129:130], v[121:122], v[139:140]
	s_waitcnt vmcnt(16)
	v_fma_f64 v[133:134], v[115:116], v[192:193], -v[137:138]
	v_mul_f64 v[123:124], v[119:120], v[139:140]
	v_add_f64 v[127:128], v[127:128], v[131:132]
	v_fma_f64 v[131:132], v[117:118], v[192:193], v[135:136]
	v_add_f64 v[6:7], v[6:7], v[125:126]
	ds_read_b128 v[115:118], v1 offset:1664
	s_waitcnt vmcnt(15) lgkmcnt(1)
	v_mul_f64 v[135:136], v[4:5], v[151:152]
	v_mul_f64 v[125:126], v[2:3], v[151:152]
	s_waitcnt vmcnt(13)
	v_fma_f64 v[129:130], v[119:120], v[143:144], -v[129:130]
	v_fma_f64 v[123:124], v[121:122], v[143:144], v[123:124]
	ds_read_b128 v[119:122], v1 offset:1680
	v_add_f64 v[127:128], v[127:128], v[133:134]
	v_add_f64 v[6:7], v[6:7], v[131:132]
	s_waitcnt vmcnt(9) lgkmcnt(1)
	v_mul_f64 v[133:134], v[117:118], v[141:142]
	s_waitcnt vmcnt(8)
	v_fma_f64 v[2:3], v[2:3], v[155:156], -v[135:136]
	v_mul_f64 v[131:132], v[115:116], v[141:142]
	v_fma_f64 v[4:5], v[4:5], v[155:156], v[125:126]
	v_add_f64 v[127:128], v[127:128], v[129:130]
	v_add_f64 v[6:7], v[6:7], v[123:124]
	s_waitcnt vmcnt(7) lgkmcnt(0)
	v_mul_f64 v[125:126], v[121:122], v[159:160]
	v_mul_f64 v[123:124], v[119:120], v[159:160]
	s_waitcnt vmcnt(5)
	v_fma_f64 v[115:116], v[115:116], v[145:146], -v[133:134]
	v_fma_f64 v[117:118], v[117:118], v[145:146], v[131:132]
	v_add_f64 v[2:3], v[127:128], v[2:3]
	v_add_f64 v[4:5], v[6:7], v[4:5]
	s_waitcnt vmcnt(4)
	v_fma_f64 v[6:7], v[119:120], v[163:164], -v[125:126]
	v_add_f64 v[2:3], v[2:3], v[115:116]
	v_fma_f64 v[115:116], v[121:122], v[163:164], v[123:124]
	v_add_f64 v[4:5], v[4:5], v[117:118]
	v_add_f64 v[2:3], v[2:3], v[6:7]
	;; [unrolled: 1-line block ×3, first 2 shown]
	s_waitcnt vmcnt(2)
	v_add_f64 v[2:3], v[157:158], -v[2:3]
	s_waitcnt vmcnt(0)
	v_add_f64 v[4:5], v[161:162], -v[4:5]
	buffer_store_dword v3, off, s[0:3], 0 offset:420
	buffer_store_dword v2, off, s[0:3], 0 offset:416
	;; [unrolled: 1-line block ×4, first 2 shown]
	v_cmpx_lt_u32_e32 24, v0
	s_cbranch_execz .LBB116_283
; %bb.282:
	v_mov_b32_e32 v5, s41
	s_clause 0x3
	buffer_load_dword v2, v5, s[0:3], 0 offen
	buffer_load_dword v3, v5, s[0:3], 0 offen offset:4
	buffer_load_dword v4, v5, s[0:3], 0 offen offset:8
	;; [unrolled: 1-line block ×3, first 2 shown]
	buffer_store_dword v1, off, s[0:3], 0 offset:400
	buffer_store_dword v1, off, s[0:3], 0 offset:404
	;; [unrolled: 1-line block ×4, first 2 shown]
	s_waitcnt vmcnt(0)
	ds_write_b128 v175, v[2:5]
.LBB116_283:
	s_or_b32 exec_lo, exec_lo, s4
	s_waitcnt lgkmcnt(0)
	s_waitcnt_vscnt null, 0x0
	s_barrier
	buffer_gl0_inv
	s_clause 0x37
	buffer_load_dword v6, off, s[0:3], 0 offset:424
	buffer_load_dword v7, off, s[0:3], 0 offset:428
	;; [unrolled: 1-line block ×56, first 2 shown]
	ds_read_b128 v[2:5], v1 offset:1248
	s_clause 0x2
	buffer_load_dword v177, off, s[0:3], 0 offset:652
	buffer_load_dword v181, off, s[0:3], 0 offset:628
	;; [unrolled: 1-line block ×3, first 2 shown]
	ds_read_b128 v[115:118], v1 offset:1264
	s_clause 0x4
	buffer_load_dword v185, off, s[0:3], 0 offset:668
	buffer_load_dword v186, off, s[0:3], 0 offset:680
	;; [unrolled: 1-line block ×5, first 2 shown]
	ds_read_b128 v[119:122], v1 offset:1280
	s_mov_b32 s4, exec_lo
	s_waitcnt vmcnt(62) lgkmcnt(2)
	v_mul_f64 v[182:183], v[4:5], v[6:7]
	v_mul_f64 v[6:7], v[2:3], v[6:7]
	s_waitcnt vmcnt(60) lgkmcnt(1)
	v_mul_f64 v[189:190], v[117:118], v[123:124]
	v_mul_f64 v[123:124], v[115:116], v[123:124]
	;; [unrolled: 3-line block ×3, first 2 shown]
	v_fma_f64 v[182:183], v[2:3], v[125:126], -v[182:183]
	v_fma_f64 v[6:7], v[4:5], v[125:126], v[6:7]
	s_clause 0x2
	buffer_load_dword v187, off, s[0:3], 0 offset:684
	buffer_load_dword v126, off, s[0:3], 0 offset:660
	;; [unrolled: 1-line block ×3, first 2 shown]
	s_waitcnt vmcnt(57)
	v_fma_f64 v[193:194], v[115:116], v[129:130], -v[189:190]
	ds_read_b128 v[2:5], v1 offset:1296
	v_fma_f64 v[123:124], v[117:118], v[129:130], v[123:124]
	s_clause 0x4
	buffer_load_dword v130, off, s[0:3], 0 offset:700
	buffer_load_dword v190, off, s[0:3], 0 offset:712
	;; [unrolled: 1-line block ×5, first 2 shown]
	s_waitcnt vmcnt(56)
	v_fma_f64 v[127:128], v[119:120], v[137:138], -v[127:128]
	ds_read_b128 v[115:118], v1 offset:1312
	v_fma_f64 v[137:138], v[121:122], v[137:138], v[191:192]
	v_add_f64 v[182:183], v[182:183], 0
	v_add_f64 v[6:7], v[6:7], 0
	s_waitcnt lgkmcnt(1)
	v_mul_f64 v[196:197], v[2:3], v[131:132]
	v_mul_f64 v[131:132], v[4:5], v[131:132]
	v_add_f64 v[182:183], v[182:183], v[193:194]
	v_add_f64 v[6:7], v[6:7], v[123:124]
	s_clause 0x2
	buffer_load_dword v191, off, s[0:3], 0 offset:716
	buffer_load_dword v124, off, s[0:3], 0 offset:692
	;; [unrolled: 1-line block ×3, first 2 shown]
	s_waitcnt vmcnt(58) lgkmcnt(0)
	v_mul_f64 v[192:193], v[115:116], v[133:134]
	v_mul_f64 v[133:134], v[117:118], v[133:134]
	s_waitcnt vmcnt(56)
	v_fma_f64 v[131:132], v[2:3], v[139:140], -v[131:132]
	ds_read_b128 v[119:122], v1 offset:1328
	v_fma_f64 v[139:140], v[4:5], v[139:140], v[196:197]
	v_add_f64 v[127:128], v[182:183], v[127:128]
	v_add_f64 v[6:7], v[6:7], v[137:138]
	s_clause 0x4
	buffer_load_dword v138, off, s[0:3], 0 offset:732
	buffer_load_dword v182, off, s[0:3], 0 offset:744
	;; [unrolled: 1-line block ×5, first 2 shown]
	ds_read_b128 v[2:5], v1 offset:1344
	s_waitcnt vmcnt(57) lgkmcnt(1)
	v_mul_f64 v[198:199], v[119:120], v[141:142]
	v_mul_f64 v[141:142], v[121:122], v[141:142]
	s_waitcnt vmcnt(56)
	v_fma_f64 v[133:134], v[115:116], v[135:136], -v[133:134]
	v_add_f64 v[127:128], v[127:128], v[131:132]
	v_fma_f64 v[131:132], v[117:118], v[135:136], v[192:193]
	v_add_f64 v[6:7], v[6:7], v[139:140]
	s_clause 0x2
	buffer_load_dword v183, off, s[0:3], 0 offset:748
	buffer_load_dword v136, off, s[0:3], 0 offset:724
	buffer_load_dword v135, off, s[0:3], 0 offset:720
	s_waitcnt vmcnt(58) lgkmcnt(0)
	v_mul_f64 v[139:140], v[2:3], v[143:144]
	v_mul_f64 v[143:144], v[4:5], v[143:144]
	s_waitcnt vmcnt(56)
	v_fma_f64 v[141:142], v[119:120], v[147:148], -v[141:142]
	ds_read_b128 v[115:118], v1 offset:1360
	v_add_f64 v[127:128], v[127:128], v[133:134]
	v_fma_f64 v[133:134], v[121:122], v[147:148], v[198:199]
	v_add_f64 v[6:7], v[6:7], v[131:132]
	s_clause 0x4
	buffer_load_dword v132, off, s[0:3], 0 offset:764
	buffer_load_dword v147, off, s[0:3], 0 offset:776
	;; [unrolled: 1-line block ×5, first 2 shown]
	ds_read_b128 v[119:122], v1 offset:1376
	s_waitcnt vmcnt(57) lgkmcnt(1)
	v_mul_f64 v[193:194], v[115:116], v[149:150]
	v_mul_f64 v[149:150], v[117:118], v[149:150]
	s_waitcnt vmcnt(56)
	v_fma_f64 v[143:144], v[2:3], v[145:146], -v[143:144]
	v_fma_f64 v[139:140], v[4:5], v[145:146], v[139:140]
	v_add_f64 v[127:128], v[127:128], v[141:142]
	v_add_f64 v[6:7], v[6:7], v[133:134]
	s_clause 0x2
	buffer_load_dword v148, off, s[0:3], 0 offset:780
	buffer_load_dword v134, off, s[0:3], 0 offset:756
	;; [unrolled: 1-line block ×3, first 2 shown]
	s_waitcnt vmcnt(58) lgkmcnt(0)
	v_mul_f64 v[145:146], v[121:122], v[151:152]
	ds_read_b128 v[2:5], v1 offset:1392
	s_waitcnt vmcnt(56)
	v_fma_f64 v[149:150], v[115:116], v[155:156], -v[149:150]
	v_mul_f64 v[141:142], v[119:120], v[151:152]
	v_add_f64 v[127:128], v[127:128], v[143:144]
	v_fma_f64 v[143:144], v[117:118], v[155:156], v[193:194]
	v_add_f64 v[6:7], v[6:7], v[139:140]
	s_clause 0x4
	buffer_load_dword v140, off, s[0:3], 0 offset:796
	buffer_load_dword v151, off, s[0:3], 0 offset:808
	;; [unrolled: 1-line block ×5, first 2 shown]
	s_waitcnt vmcnt(57) lgkmcnt(0)
	v_mul_f64 v[199:200], v[2:3], v[157:158]
	v_mul_f64 v[156:157], v[4:5], v[157:158]
	s_waitcnt vmcnt(56)
	v_fma_f64 v[145:146], v[119:120], v[153:154], -v[145:146]
	ds_read_b128 v[115:118], v1 offset:1408
	v_fma_f64 v[141:142], v[121:122], v[153:154], v[141:142]
	v_add_f64 v[127:128], v[127:128], v[149:150]
	v_add_f64 v[6:7], v[6:7], v[143:144]
	s_clause 0x2
	buffer_load_dword v152, off, s[0:3], 0 offset:812
	buffer_load_dword v144, off, s[0:3], 0 offset:788
	;; [unrolled: 1-line block ×3, first 2 shown]
	ds_read_b128 v[119:122], v1 offset:1424
	s_waitcnt vmcnt(58) lgkmcnt(1)
	v_mul_f64 v[153:154], v[117:118], v[159:160]
	s_waitcnt vmcnt(56)
	v_fma_f64 v[157:158], v[2:3], v[163:164], -v[156:157]
	v_mul_f64 v[149:150], v[115:116], v[159:160]
	v_add_f64 v[127:128], v[127:128], v[145:146]
	v_fma_f64 v[145:146], v[4:5], v[163:164], v[199:200]
	v_add_f64 v[6:7], v[6:7], v[141:142]
	s_clause 0x4
	buffer_load_dword v142, off, s[0:3], 0 offset:828
	buffer_load_dword v159, off, s[0:3], 0 offset:840
	;; [unrolled: 1-line block ×5, first 2 shown]
	s_waitcnt vmcnt(57) lgkmcnt(0)
	v_mul_f64 v[199:200], v[119:120], v[165:166]
	v_mul_f64 v[164:165], v[121:122], v[165:166]
	s_waitcnt vmcnt(56)
	v_fma_f64 v[153:154], v[115:116], v[161:162], -v[153:154]
	ds_read_b128 v[2:5], v1 offset:1440
	v_fma_f64 v[149:150], v[117:118], v[161:162], v[149:150]
	v_add_f64 v[127:128], v[127:128], v[157:158]
	v_add_f64 v[6:7], v[6:7], v[145:146]
	s_clause 0x2
	buffer_load_dword v160, off, s[0:3], 0 offset:844
	buffer_load_dword v146, off, s[0:3], 0 offset:820
	;; [unrolled: 1-line block ×3, first 2 shown]
	ds_read_b128 v[115:118], v1 offset:1456
	s_waitcnt vmcnt(58) lgkmcnt(1)
	v_mul_f64 v[161:162], v[4:5], v[167:168]
	s_waitcnt vmcnt(56)
	v_fma_f64 v[165:166], v[119:120], v[171:172], -v[164:165]
	v_mul_f64 v[157:158], v[2:3], v[167:168]
	v_add_f64 v[127:128], v[127:128], v[153:154]
	v_fma_f64 v[153:154], v[121:122], v[171:172], v[199:200]
	v_add_f64 v[6:7], v[6:7], v[149:150]
	s_clause 0x2
	buffer_load_dword v150, off, s[0:3], 0 offset:860
	buffer_load_dword v149, off, s[0:3], 0 offset:856
	;; [unrolled: 1-line block ×3, first 2 shown]
	s_waitcnt vmcnt(55) lgkmcnt(0)
	v_mul_f64 v[171:172], v[117:118], v[173:174]
	s_waitcnt vmcnt(54)
	v_fma_f64 v[161:162], v[2:3], v[169:170], -v[161:162]
	ds_read_b128 v[119:122], v1 offset:1472
	v_mul_f64 v[167:168], v[115:116], v[173:174]
	v_fma_f64 v[157:158], v[4:5], v[169:170], v[157:158]
	v_add_f64 v[127:128], v[127:128], v[165:166]
	v_add_f64 v[6:7], v[6:7], v[153:154]
	s_clause 0x1
	buffer_load_dword v154, off, s[0:3], 0 offset:852
	buffer_load_dword v153, off, s[0:3], 0 offset:848
	s_waitcnt vmcnt(55) lgkmcnt(0)
	v_mul_f64 v[169:170], v[121:122], v[176:177]
	s_waitcnt vmcnt(53)
	v_fma_f64 v[171:172], v[115:116], v[180:181], -v[171:172]
	ds_read_b128 v[2:5], v1 offset:1488
	v_mul_f64 v[165:166], v[119:120], v[176:177]
	v_add_f64 v[127:128], v[127:128], v[161:162]
	v_fma_f64 v[161:162], v[117:118], v[180:181], v[167:168]
	v_add_f64 v[6:7], v[6:7], v[157:158]
	ds_read_b128 v[115:118], v1 offset:1504
	s_waitcnt vmcnt(49) lgkmcnt(1)
	v_mul_f64 v[167:168], v[4:5], v[184:185]
	s_waitcnt vmcnt(48)
	v_fma_f64 v[169:170], v[119:120], v[178:179], -v[169:170]
	v_mul_f64 v[157:158], v[2:3], v[184:185]
	v_fma_f64 v[165:166], v[121:122], v[178:179], v[165:166]
	v_add_f64 v[127:128], v[127:128], v[171:172]
	v_add_f64 v[6:7], v[6:7], v[161:162]
	s_clause 0x3
	buffer_load_dword v161, off, s[0:3], 0 offset:400
	buffer_load_dword v162, off, s[0:3], 0 offset:404
	;; [unrolled: 1-line block ×4, first 2 shown]
	ds_read_b128 v[119:122], v1 offset:1520
	s_waitcnt vmcnt(51) lgkmcnt(1)
	v_mul_f64 v[176:177], v[117:118], v[186:187]
	v_mul_f64 v[173:174], v[115:116], v[186:187]
	s_waitcnt vmcnt(49)
	v_fma_f64 v[167:168], v[2:3], v[125:126], -v[167:168]
	v_fma_f64 v[125:126], v[4:5], v[125:126], v[157:158]
	ds_read_b128 v[2:5], v1 offset:1536
	v_add_f64 v[127:128], v[127:128], v[169:170]
	v_add_f64 v[6:7], v[6:7], v[165:166]
	s_waitcnt vmcnt(45) lgkmcnt(1)
	v_mul_f64 v[157:158], v[119:120], v[129:130]
	v_mul_f64 v[129:130], v[121:122], v[129:130]
	s_waitcnt vmcnt(44)
	v_fma_f64 v[165:166], v[115:116], v[188:189], -v[176:177]
	v_add_f64 v[127:128], v[127:128], v[167:168]
	v_fma_f64 v[167:168], v[117:118], v[188:189], v[173:174]
	v_add_f64 v[6:7], v[6:7], v[125:126]
	ds_read_b128 v[115:118], v1 offset:1552
	s_waitcnt vmcnt(43) lgkmcnt(1)
	v_mul_f64 v[169:170], v[4:5], v[190:191]
	v_mul_f64 v[125:126], v[2:3], v[190:191]
	s_waitcnt vmcnt(41)
	v_fma_f64 v[129:130], v[119:120], v[123:124], -v[129:130]
	v_fma_f64 v[123:124], v[121:122], v[123:124], v[157:158]
	ds_read_b128 v[119:122], v1 offset:1568
	v_add_f64 v[127:128], v[127:128], v[165:166]
	v_add_f64 v[6:7], v[6:7], v[167:168]
	s_waitcnt vmcnt(37) lgkmcnt(1)
	v_mul_f64 v[157:158], v[115:116], v[137:138]
	v_mul_f64 v[137:138], v[117:118], v[137:138]
	s_waitcnt vmcnt(36)
	v_fma_f64 v[165:166], v[2:3], v[195:196], -v[169:170]
	v_fma_f64 v[125:126], v[4:5], v[195:196], v[125:126]
	ds_read_b128 v[2:5], v1 offset:1584
	v_add_f64 v[127:128], v[127:128], v[129:130]
	v_add_f64 v[6:7], v[6:7], v[123:124]
	;; [unrolled: 9-line block ×5, first 2 shown]
	s_waitcnt vmcnt(21) lgkmcnt(1)
	v_mul_f64 v[129:130], v[121:122], v[139:140]
	s_waitcnt vmcnt(20)
	v_fma_f64 v[133:134], v[115:116], v[192:193], -v[137:138]
	v_mul_f64 v[123:124], v[119:120], v[139:140]
	v_add_f64 v[127:128], v[127:128], v[131:132]
	v_fma_f64 v[131:132], v[117:118], v[192:193], v[135:136]
	v_add_f64 v[6:7], v[6:7], v[125:126]
	ds_read_b128 v[115:118], v1 offset:1648
	s_waitcnt vmcnt(19) lgkmcnt(1)
	v_mul_f64 v[135:136], v[4:5], v[151:152]
	v_mul_f64 v[125:126], v[2:3], v[151:152]
	s_waitcnt vmcnt(17)
	v_fma_f64 v[129:130], v[119:120], v[143:144], -v[129:130]
	v_fma_f64 v[123:124], v[121:122], v[143:144], v[123:124]
	ds_read_b128 v[119:122], v1 offset:1664
	v_add_f64 v[127:128], v[127:128], v[133:134]
	v_add_f64 v[6:7], v[6:7], v[131:132]
	s_waitcnt vmcnt(13) lgkmcnt(1)
	v_mul_f64 v[133:134], v[117:118], v[141:142]
	s_waitcnt vmcnt(12)
	v_fma_f64 v[135:136], v[2:3], v[155:156], -v[135:136]
	v_mul_f64 v[131:132], v[115:116], v[141:142]
	v_fma_f64 v[125:126], v[4:5], v[155:156], v[125:126]
	ds_read_b128 v[1:4], v1 offset:1680
	v_add_f64 v[127:128], v[127:128], v[129:130]
	v_add_f64 v[5:6], v[6:7], v[123:124]
	s_waitcnt vmcnt(11) lgkmcnt(1)
	v_mul_f64 v[123:124], v[121:122], v[159:160]
	v_mul_f64 v[7:8], v[119:120], v[159:160]
	s_waitcnt vmcnt(9)
	v_fma_f64 v[115:116], v[115:116], v[145:146], -v[133:134]
	v_fma_f64 v[117:118], v[117:118], v[145:146], v[131:132]
	v_add_f64 v[127:128], v[127:128], v[135:136]
	v_add_f64 v[5:6], v[5:6], v[125:126]
	s_waitcnt vmcnt(7) lgkmcnt(0)
	v_mul_f64 v[129:130], v[3:4], v[149:150]
	s_waitcnt vmcnt(6)
	v_fma_f64 v[119:120], v[119:120], v[163:164], -v[123:124]
	v_mul_f64 v[125:126], v[1:2], v[149:150]
	v_fma_f64 v[7:8], v[121:122], v[163:164], v[7:8]
	v_add_f64 v[115:116], v[127:128], v[115:116]
	v_add_f64 v[5:6], v[5:6], v[117:118]
	s_waitcnt vmcnt(4)
	v_fma_f64 v[1:2], v[1:2], v[153:154], -v[129:130]
	v_fma_f64 v[3:4], v[3:4], v[153:154], v[125:126]
	v_add_f64 v[115:116], v[115:116], v[119:120]
	v_add_f64 v[5:6], v[5:6], v[7:8]
	;; [unrolled: 1-line block ×4, first 2 shown]
	s_waitcnt vmcnt(2)
	v_add_f64 v[1:2], v[161:162], -v[1:2]
	s_waitcnt vmcnt(0)
	v_add_f64 v[3:4], v[171:172], -v[3:4]
	buffer_store_dword v2, off, s[0:3], 0 offset:404
	buffer_store_dword v1, off, s[0:3], 0 offset:400
	;; [unrolled: 1-line block ×4, first 2 shown]
	v_cmpx_lt_u32_e32 23, v0
	s_cbranch_execz .LBB116_285
; %bb.284:
	v_mov_b32_e32 v4, s42
	v_mov_b32_e32 v5, 0
	s_clause 0x3
	buffer_load_dword v1, v4, s[0:3], 0 offen
	buffer_load_dword v2, v4, s[0:3], 0 offen offset:4
	buffer_load_dword v3, v4, s[0:3], 0 offen offset:8
	;; [unrolled: 1-line block ×3, first 2 shown]
	buffer_store_dword v5, off, s[0:3], 0 offset:384
	buffer_store_dword v5, off, s[0:3], 0 offset:388
	;; [unrolled: 1-line block ×4, first 2 shown]
	s_waitcnt vmcnt(0)
	ds_write_b128 v175, v[1:4]
.LBB116_285:
	s_or_b32 exec_lo, exec_lo, s4
	s_waitcnt lgkmcnt(0)
	s_waitcnt_vscnt null, 0x0
	s_barrier
	buffer_gl0_inv
	s_clause 0x37
	buffer_load_dword v115, off, s[0:3], 0 offset:408
	buffer_load_dword v116, off, s[0:3], 0 offset:412
	;; [unrolled: 1-line block ×56, first 2 shown]
	v_mov_b32_e32 v117, 0
	s_mov_b32 s4, exec_lo
	ds_read_b128 v[5:8], v117 offset:1232
	s_clause 0x2
	buffer_load_dword v177, off, s[0:3], 0 offset:636
	buffer_load_dword v181, off, s[0:3], 0 offset:612
	;; [unrolled: 1-line block ×3, first 2 shown]
	ds_read_b128 v[118:121], v117 offset:1248
	s_clause 0x4
	buffer_load_dword v185, off, s[0:3], 0 offset:652
	buffer_load_dword v186, off, s[0:3], 0 offset:664
	;; [unrolled: 1-line block ×5, first 2 shown]
	ds_read_b128 v[122:125], v117 offset:1264
	s_waitcnt vmcnt(62) lgkmcnt(2)
	v_mul_f64 v[182:183], v[7:8], v[115:116]
	v_mul_f64 v[115:116], v[5:6], v[115:116]
	s_waitcnt vmcnt(60) lgkmcnt(1)
	v_mul_f64 v[189:190], v[120:121], v[126:127]
	v_mul_f64 v[126:127], v[118:119], v[126:127]
	;; [unrolled: 3-line block ×3, first 2 shown]
	v_fma_f64 v[182:183], v[5:6], v[128:129], -v[182:183]
	v_fma_f64 v[115:116], v[7:8], v[128:129], v[115:116]
	s_clause 0x2
	buffer_load_dword v187, off, s[0:3], 0 offset:668
	buffer_load_dword v129, off, s[0:3], 0 offset:644
	;; [unrolled: 1-line block ×3, first 2 shown]
	s_waitcnt vmcnt(57)
	v_fma_f64 v[118:119], v[118:119], v[1:2], -v[189:190]
	ds_read_b128 v[5:8], v117 offset:1280
	v_fma_f64 v[120:121], v[120:121], v[1:2], v[126:127]
	s_clause 0x4
	buffer_load_dword v127, off, s[0:3], 0 offset:684
	buffer_load_dword v190, off, s[0:3], 0 offset:696
	;; [unrolled: 1-line block ×5, first 2 shown]
	s_waitcnt vmcnt(56)
	v_fma_f64 v[122:123], v[122:123], v[136:137], -v[193:194]
	ds_read_b128 v[1:4], v117 offset:1296
	v_fma_f64 v[124:125], v[124:125], v[136:137], v[191:192]
	s_clause 0x2
	buffer_load_dword v191, off, s[0:3], 0 offset:700
	buffer_load_dword v137, off, s[0:3], 0 offset:676
	;; [unrolled: 1-line block ×3, first 2 shown]
	v_add_f64 v[182:183], v[182:183], 0
	v_add_f64 v[115:116], v[115:116], 0
	s_waitcnt lgkmcnt(1)
	v_mul_f64 v[196:197], v[5:6], v[130:131]
	v_mul_f64 v[130:131], v[7:8], v[130:131]
	s_waitcnt vmcnt(58) lgkmcnt(0)
	v_mul_f64 v[192:193], v[1:2], v[132:133]
	v_mul_f64 v[132:133], v[3:4], v[132:133]
	v_add_f64 v[182:183], v[182:183], v[118:119]
	v_add_f64 v[115:116], v[115:116], v[120:121]
	ds_read_b128 v[118:121], v117 offset:1312
	s_waitcnt vmcnt(56)
	v_fma_f64 v[130:131], v[5:6], v[138:139], -v[130:131]
	v_fma_f64 v[138:139], v[7:8], v[138:139], v[196:197]
	s_waitcnt vmcnt(51)
	v_fma_f64 v[132:133], v[1:2], v[134:135], -v[132:133]
	s_waitcnt lgkmcnt(0)
	v_mul_f64 v[198:199], v[118:119], v[140:141]
	v_add_f64 v[122:123], v[182:183], v[122:123]
	v_add_f64 v[115:116], v[115:116], v[124:125]
	s_clause 0x4
	buffer_load_dword v125, off, s[0:3], 0 offset:716
	buffer_load_dword v182, off, s[0:3], 0 offset:728
	;; [unrolled: 1-line block ×5, first 2 shown]
	v_mul_f64 v[140:141], v[120:121], v[140:141]
	ds_read_b128 v[5:8], v117 offset:1328
	v_add_f64 v[122:123], v[122:123], v[130:131]
	v_fma_f64 v[130:131], v[3:4], v[134:135], v[192:193]
	v_add_f64 v[115:116], v[115:116], v[138:139]
	s_clause 0x2
	buffer_load_dword v183, off, s[0:3], 0 offset:732
	buffer_load_dword v135, off, s[0:3], 0 offset:708
	;; [unrolled: 1-line block ×3, first 2 shown]
	s_waitcnt vmcnt(58) lgkmcnt(0)
	v_mul_f64 v[138:139], v[5:6], v[142:143]
	v_mul_f64 v[142:143], v[7:8], v[142:143]
	s_waitcnt vmcnt(56)
	v_fma_f64 v[140:141], v[118:119], v[146:147], -v[140:141]
	ds_read_b128 v[1:4], v117 offset:1344
	v_add_f64 v[122:123], v[122:123], v[132:133]
	v_fma_f64 v[132:133], v[120:121], v[146:147], v[198:199]
	v_add_f64 v[115:116], v[115:116], v[130:131]
	s_clause 0x4
	buffer_load_dword v131, off, s[0:3], 0 offset:748
	buffer_load_dword v146, off, s[0:3], 0 offset:760
	;; [unrolled: 1-line block ×5, first 2 shown]
	ds_read_b128 v[118:121], v117 offset:1360
	s_waitcnt vmcnt(57) lgkmcnt(1)
	v_mul_f64 v[193:194], v[1:2], v[148:149]
	v_mul_f64 v[148:149], v[3:4], v[148:149]
	s_waitcnt vmcnt(56)
	v_fma_f64 v[142:143], v[5:6], v[144:145], -v[142:143]
	v_fma_f64 v[138:139], v[7:8], v[144:145], v[138:139]
	v_add_f64 v[122:123], v[122:123], v[140:141]
	v_add_f64 v[115:116], v[115:116], v[132:133]
	s_clause 0x2
	buffer_load_dword v147, off, s[0:3], 0 offset:764
	buffer_load_dword v133, off, s[0:3], 0 offset:740
	;; [unrolled: 1-line block ×3, first 2 shown]
	s_waitcnt vmcnt(58) lgkmcnt(0)
	v_mul_f64 v[144:145], v[120:121], v[150:151]
	ds_read_b128 v[5:8], v117 offset:1376
	s_waitcnt vmcnt(56)
	v_fma_f64 v[148:149], v[1:2], v[154:155], -v[148:149]
	v_mul_f64 v[140:141], v[118:119], v[150:151]
	v_add_f64 v[122:123], v[122:123], v[142:143]
	v_fma_f64 v[142:143], v[3:4], v[154:155], v[193:194]
	v_add_f64 v[115:116], v[115:116], v[138:139]
	s_clause 0x4
	buffer_load_dword v139, off, s[0:3], 0 offset:780
	buffer_load_dword v150, off, s[0:3], 0 offset:792
	buffer_load_dword v154, off, s[0:3], 0 offset:784
	buffer_load_dword v138, off, s[0:3], 0 offset:776
	buffer_load_dword v193, off, s[0:3], 0 offset:756
	s_waitcnt vmcnt(57) lgkmcnt(0)
	v_mul_f64 v[199:200], v[5:6], v[156:157]
	v_mul_f64 v[155:156], v[7:8], v[156:157]
	s_waitcnt vmcnt(56)
	v_fma_f64 v[144:145], v[118:119], v[152:153], -v[144:145]
	ds_read_b128 v[1:4], v117 offset:1392
	v_fma_f64 v[140:141], v[120:121], v[152:153], v[140:141]
	v_add_f64 v[122:123], v[122:123], v[148:149]
	v_add_f64 v[115:116], v[115:116], v[142:143]
	s_clause 0x2
	buffer_load_dword v151, off, s[0:3], 0 offset:796
	buffer_load_dword v143, off, s[0:3], 0 offset:772
	buffer_load_dword v142, off, s[0:3], 0 offset:768
	ds_read_b128 v[118:121], v117 offset:1408
	s_waitcnt vmcnt(58) lgkmcnt(1)
	v_mul_f64 v[152:153], v[3:4], v[158:159]
	s_waitcnt vmcnt(56)
	v_fma_f64 v[156:157], v[5:6], v[162:163], -v[155:156]
	v_mul_f64 v[148:149], v[1:2], v[158:159]
	v_add_f64 v[122:123], v[122:123], v[144:145]
	v_fma_f64 v[144:145], v[7:8], v[162:163], v[199:200]
	v_add_f64 v[115:116], v[115:116], v[140:141]
	s_clause 0x4
	buffer_load_dword v141, off, s[0:3], 0 offset:812
	buffer_load_dword v158, off, s[0:3], 0 offset:824
	buffer_load_dword v162, off, s[0:3], 0 offset:816
	buffer_load_dword v140, off, s[0:3], 0 offset:808
	buffer_load_dword v155, off, s[0:3], 0 offset:788
	s_waitcnt vmcnt(57) lgkmcnt(0)
	v_mul_f64 v[199:200], v[118:119], v[164:165]
	v_mul_f64 v[163:164], v[120:121], v[164:165]
	s_waitcnt vmcnt(56)
	v_fma_f64 v[152:153], v[1:2], v[160:161], -v[152:153]
	ds_read_b128 v[5:8], v117 offset:1424
	v_fma_f64 v[148:149], v[3:4], v[160:161], v[148:149]
	v_add_f64 v[122:123], v[122:123], v[156:157]
	v_add_f64 v[115:116], v[115:116], v[144:145]
	s_clause 0x2
	buffer_load_dword v159, off, s[0:3], 0 offset:828
	buffer_load_dword v145, off, s[0:3], 0 offset:804
	buffer_load_dword v144, off, s[0:3], 0 offset:800
	ds_read_b128 v[1:4], v117 offset:1440
	s_waitcnt vmcnt(58) lgkmcnt(1)
	v_mul_f64 v[160:161], v[7:8], v[166:167]
	;; [unrolled: 28-line block ×3, first 2 shown]
	s_waitcnt vmcnt(56)
	v_fma_f64 v[172:173], v[1:2], v[180:181], -v[171:172]
	v_mul_f64 v[164:165], v[118:119], v[176:177]
	buffer_load_dword v171, off, s[0:3], 0 offset:852
	v_add_f64 v[122:123], v[122:123], v[160:161]
	v_fma_f64 v[160:161], v[3:4], v[180:181], v[199:200]
	v_add_f64 v[115:116], v[115:116], v[156:157]
	ds_read_b128 v[1:4], v117 offset:1488
	s_waitcnt vmcnt(53) lgkmcnt(1)
	v_mul_f64 v[176:177], v[7:8], v[184:185]
	s_waitcnt vmcnt(52)
	v_fma_f64 v[168:169], v[118:119], v[178:179], -v[168:169]
	v_mul_f64 v[156:157], v[5:6], v[184:185]
	v_fma_f64 v[164:165], v[120:121], v[178:179], v[164:165]
	ds_read_b128 v[118:121], v117 offset:1504
	v_add_f64 v[122:123], v[122:123], v[172:173]
	v_add_f64 v[115:116], v[115:116], v[160:161]
	s_waitcnt vmcnt(51) lgkmcnt(1)
	v_mul_f64 v[172:173], v[3:4], v[186:187]
	v_mul_f64 v[160:161], v[1:2], v[186:187]
	s_waitcnt vmcnt(49)
	v_fma_f64 v[176:177], v[5:6], v[128:129], -v[176:177]
	v_fma_f64 v[128:129], v[7:8], v[128:129], v[156:157]
	v_add_f64 v[122:123], v[122:123], v[168:169]
	s_waitcnt vmcnt(45) lgkmcnt(0)
	v_mul_f64 v[168:169], v[118:119], v[126:127]
	v_add_f64 v[115:116], v[115:116], v[164:165]
	s_clause 0x3
	buffer_load_dword v156, off, s[0:3], 0 offset:384
	buffer_load_dword v157, off, s[0:3], 0 offset:388
	;; [unrolled: 1-line block ×4, first 2 shown]
	v_mul_f64 v[126:127], v[120:121], v[126:127]
	ds_read_b128 v[5:8], v117 offset:1520
	s_waitcnt vmcnt(48)
	v_fma_f64 v[172:173], v[1:2], v[188:189], -v[172:173]
	v_fma_f64 v[160:161], v[3:4], v[188:189], v[160:161]
	ds_read_b128 v[1:4], v117 offset:1536
	v_add_f64 v[122:123], v[122:123], v[176:177]
	v_add_f64 v[115:116], v[115:116], v[128:129]
	s_waitcnt vmcnt(47) lgkmcnt(1)
	v_mul_f64 v[176:177], v[7:8], v[190:191]
	s_waitcnt vmcnt(45)
	v_fma_f64 v[126:127], v[118:119], v[136:137], -v[126:127]
	v_mul_f64 v[128:129], v[5:6], v[190:191]
	v_fma_f64 v[136:137], v[120:121], v[136:137], v[168:169]
	ds_read_b128 v[118:121], v117 offset:1552
	v_add_f64 v[122:123], v[122:123], v[172:173]
	v_add_f64 v[115:116], v[115:116], v[160:161]
	s_waitcnt vmcnt(41) lgkmcnt(1)
	v_mul_f64 v[160:161], v[1:2], v[124:125]
	v_mul_f64 v[124:125], v[3:4], v[124:125]
	s_waitcnt vmcnt(40)
	v_fma_f64 v[168:169], v[5:6], v[195:196], -v[176:177]
	v_add_f64 v[122:123], v[122:123], v[126:127]
	v_fma_f64 v[126:127], v[7:8], v[195:196], v[128:129]
	v_add_f64 v[115:116], v[115:116], v[136:137]
	ds_read_b128 v[5:8], v117 offset:1568
	s_waitcnt vmcnt(39) lgkmcnt(1)
	v_mul_f64 v[136:137], v[120:121], v[182:183]
	v_mul_f64 v[128:129], v[118:119], v[182:183]
	s_waitcnt vmcnt(37)
	v_fma_f64 v[124:125], v[1:2], v[134:135], -v[124:125]
	v_fma_f64 v[134:135], v[3:4], v[134:135], v[160:161]
	ds_read_b128 v[1:4], v117 offset:1584
	v_add_f64 v[122:123], v[122:123], v[168:169]
	v_add_f64 v[115:116], v[115:116], v[126:127]
	s_waitcnt vmcnt(33) lgkmcnt(1)
	v_mul_f64 v[126:127], v[5:6], v[130:131]
	v_mul_f64 v[130:131], v[7:8], v[130:131]
	s_waitcnt vmcnt(32)
	v_fma_f64 v[136:137], v[118:119], v[197:198], -v[136:137]
	v_add_f64 v[122:123], v[122:123], v[124:125]
	v_fma_f64 v[124:125], v[120:121], v[197:198], v[128:129]
	v_add_f64 v[115:116], v[115:116], v[134:135]
	ds_read_b128 v[118:121], v117 offset:1600
	s_waitcnt vmcnt(31) lgkmcnt(1)
	v_mul_f64 v[134:135], v[3:4], v[146:147]
	v_mul_f64 v[128:129], v[1:2], v[146:147]
	s_waitcnt vmcnt(29)
	v_fma_f64 v[130:131], v[5:6], v[132:133], -v[130:131]
	v_fma_f64 v[126:127], v[7:8], v[132:133], v[126:127]
	ds_read_b128 v[5:8], v117 offset:1616
	v_add_f64 v[122:123], v[122:123], v[136:137]
	v_add_f64 v[115:116], v[115:116], v[124:125]
	s_waitcnt vmcnt(25) lgkmcnt(1)
	v_mul_f64 v[132:133], v[120:121], v[138:139]
	s_waitcnt vmcnt(24)
	v_fma_f64 v[134:135], v[1:2], v[192:193], -v[134:135]
	v_mul_f64 v[124:125], v[118:119], v[138:139]
	v_fma_f64 v[128:129], v[3:4], v[192:193], v[128:129]
	ds_read_b128 v[1:4], v117 offset:1632
	v_add_f64 v[122:123], v[122:123], v[130:131]
	v_add_f64 v[115:116], v[115:116], v[126:127]
	s_waitcnt vmcnt(23) lgkmcnt(1)
	v_mul_f64 v[130:131], v[7:8], v[150:151]
	v_mul_f64 v[126:127], v[5:6], v[150:151]
	s_waitcnt vmcnt(21)
	v_fma_f64 v[132:133], v[118:119], v[142:143], -v[132:133]
	v_fma_f64 v[124:125], v[120:121], v[142:143], v[124:125]
	ds_read_b128 v[118:121], v117 offset:1648
	v_add_f64 v[122:123], v[122:123], v[134:135]
	v_add_f64 v[115:116], v[115:116], v[128:129]
	s_waitcnt vmcnt(17) lgkmcnt(1)
	v_mul_f64 v[134:135], v[3:4], v[140:141]
	s_waitcnt vmcnt(16)
	v_fma_f64 v[130:131], v[5:6], v[154:155], -v[130:131]
	v_mul_f64 v[128:129], v[1:2], v[140:141]
	v_fma_f64 v[126:127], v[7:8], v[154:155], v[126:127]
	ds_read_b128 v[5:8], v117 offset:1664
	v_add_f64 v[122:123], v[122:123], v[132:133]
	v_add_f64 v[115:116], v[115:116], v[124:125]
	s_waitcnt vmcnt(15) lgkmcnt(1)
	v_mul_f64 v[132:133], v[120:121], v[158:159]
	v_mul_f64 v[124:125], v[118:119], v[158:159]
	s_waitcnt vmcnt(13)
	v_fma_f64 v[134:135], v[1:2], v[144:145], -v[134:135]
	v_fma_f64 v[128:129], v[3:4], v[144:145], v[128:129]
	ds_read_b128 v[1:4], v117 offset:1680
	v_add_f64 v[122:123], v[122:123], v[130:131]
	v_add_f64 v[115:116], v[115:116], v[126:127]
	s_waitcnt vmcnt(9) lgkmcnt(1)
	v_mul_f64 v[130:131], v[7:8], v[148:149]
	s_waitcnt vmcnt(8)
	v_fma_f64 v[118:119], v[118:119], v[162:163], -v[132:133]
	v_mul_f64 v[126:127], v[5:6], v[148:149]
	v_fma_f64 v[120:121], v[120:121], v[162:163], v[124:125]
	v_add_f64 v[122:123], v[122:123], v[134:135]
	v_add_f64 v[115:116], v[115:116], v[128:129]
	s_waitcnt vmcnt(7) lgkmcnt(0)
	v_mul_f64 v[128:129], v[3:4], v[166:167]
	v_mul_f64 v[124:125], v[1:2], v[166:167]
	s_waitcnt vmcnt(5)
	v_fma_f64 v[5:6], v[5:6], v[152:153], -v[130:131]
	v_fma_f64 v[7:8], v[7:8], v[152:153], v[126:127]
	v_add_f64 v[118:119], v[122:123], v[118:119]
	v_add_f64 v[115:116], v[115:116], v[120:121]
	s_waitcnt vmcnt(4)
	v_fma_f64 v[1:2], v[1:2], v[170:171], -v[128:129]
	v_fma_f64 v[3:4], v[3:4], v[170:171], v[124:125]
	v_add_f64 v[5:6], v[118:119], v[5:6]
	v_add_f64 v[7:8], v[115:116], v[7:8]
	;; [unrolled: 1-line block ×4, first 2 shown]
	s_waitcnt vmcnt(2)
	v_add_f64 v[1:2], v[156:157], -v[1:2]
	s_waitcnt vmcnt(0)
	v_add_f64 v[3:4], v[164:165], -v[3:4]
	buffer_store_dword v2, off, s[0:3], 0 offset:388
	buffer_store_dword v1, off, s[0:3], 0 offset:384
	;; [unrolled: 1-line block ×4, first 2 shown]
	v_cmpx_lt_u32_e32 22, v0
	s_cbranch_execz .LBB116_287
; %bb.286:
	v_mov_b32_e32 v4, s43
	s_clause 0x3
	buffer_load_dword v1, v4, s[0:3], 0 offen
	buffer_load_dword v2, v4, s[0:3], 0 offen offset:4
	buffer_load_dword v3, v4, s[0:3], 0 offen offset:8
	;; [unrolled: 1-line block ×3, first 2 shown]
	buffer_store_dword v117, off, s[0:3], 0 offset:368
	buffer_store_dword v117, off, s[0:3], 0 offset:372
	;; [unrolled: 1-line block ×4, first 2 shown]
	s_waitcnt vmcnt(0)
	ds_write_b128 v175, v[1:4]
.LBB116_287:
	s_or_b32 exec_lo, exec_lo, s4
	s_waitcnt lgkmcnt(0)
	s_waitcnt_vscnt null, 0x0
	s_barrier
	buffer_gl0_inv
	s_clause 0x37
	buffer_load_dword v115, off, s[0:3], 0 offset:392
	buffer_load_dword v116, off, s[0:3], 0 offset:396
	buffer_load_dword v5, off, s[0:3], 0 offset:408
	buffer_load_dword v6, off, s[0:3], 0 offset:412
	buffer_load_dword v7, off, s[0:3], 0 offset:384
	buffer_load_dword v8, off, s[0:3], 0 offset:388
	buffer_load_dword v3, off, s[0:3], 0 offset:424
	buffer_load_dword v4, off, s[0:3], 0 offset:428
	buffer_load_dword v1, off, s[0:3], 0 offset:400
	buffer_load_dword v2, off, s[0:3], 0 offset:404
	buffer_load_dword v131, off, s[0:3], 0 offset:444
	buffer_load_dword v132, off, s[0:3], 0 offset:456
	buffer_load_dword v134, off, s[0:3], 0 offset:448
	buffer_load_dword v130, off, s[0:3], 0 offset:440
	buffer_load_dword v136, off, s[0:3], 0 offset:416
	buffer_load_dword v137, off, s[0:3], 0 offset:420
	buffer_load_dword v133, off, s[0:3], 0 offset:460
	buffer_load_dword v139, off, s[0:3], 0 offset:436
	buffer_load_dword v138, off, s[0:3], 0 offset:432
	buffer_load_dword v141, off, s[0:3], 0 offset:476
	buffer_load_dword v142, off, s[0:3], 0 offset:488
	buffer_load_dword v144, off, s[0:3], 0 offset:480
	buffer_load_dword v140, off, s[0:3], 0 offset:472
	buffer_load_dword v135, off, s[0:3], 0 offset:452
	buffer_load_dword v143, off, s[0:3], 0 offset:492
	buffer_load_dword v147, off, s[0:3], 0 offset:468
	buffer_load_dword v146, off, s[0:3], 0 offset:464
	buffer_load_dword v149, off, s[0:3], 0 offset:508
	buffer_load_dword v150, off, s[0:3], 0 offset:520
	buffer_load_dword v152, off, s[0:3], 0 offset:512
	buffer_load_dword v148, off, s[0:3], 0 offset:504
	buffer_load_dword v145, off, s[0:3], 0 offset:484
	buffer_load_dword v151, off, s[0:3], 0 offset:524
	buffer_load_dword v155, off, s[0:3], 0 offset:500
	buffer_load_dword v154, off, s[0:3], 0 offset:496
	buffer_load_dword v157, off, s[0:3], 0 offset:540
	buffer_load_dword v158, off, s[0:3], 0 offset:552
	buffer_load_dword v160, off, s[0:3], 0 offset:544
	buffer_load_dword v156, off, s[0:3], 0 offset:536
	buffer_load_dword v153, off, s[0:3], 0 offset:516
	buffer_load_dword v159, off, s[0:3], 0 offset:556
	buffer_load_dword v163, off, s[0:3], 0 offset:532
	buffer_load_dword v162, off, s[0:3], 0 offset:528
	buffer_load_dword v165, off, s[0:3], 0 offset:572
	buffer_load_dword v166, off, s[0:3], 0 offset:584
	buffer_load_dword v168, off, s[0:3], 0 offset:576
	buffer_load_dword v164, off, s[0:3], 0 offset:568
	buffer_load_dword v161, off, s[0:3], 0 offset:548
	buffer_load_dword v167, off, s[0:3], 0 offset:588
	buffer_load_dword v171, off, s[0:3], 0 offset:564
	buffer_load_dword v170, off, s[0:3], 0 offset:560
	buffer_load_dword v173, off, s[0:3], 0 offset:604
	buffer_load_dword v176, off, s[0:3], 0 offset:616
	buffer_load_dword v178, off, s[0:3], 0 offset:608
	buffer_load_dword v172, off, s[0:3], 0 offset:600
	buffer_load_dword v169, off, s[0:3], 0 offset:580
	ds_read_b128 v[118:121], v117 offset:1216
	s_clause 0x2
	buffer_load_dword v177, off, s[0:3], 0 offset:620
	buffer_load_dword v181, off, s[0:3], 0 offset:596
	;; [unrolled: 1-line block ×3, first 2 shown]
	ds_read_b128 v[122:125], v117 offset:1232
	s_clause 0x4
	buffer_load_dword v185, off, s[0:3], 0 offset:636
	buffer_load_dword v186, off, s[0:3], 0 offset:648
	;; [unrolled: 1-line block ×5, first 2 shown]
	ds_read_b128 v[126:129], v117 offset:1248
	s_clause 0x2
	buffer_load_dword v187, off, s[0:3], 0 offset:652
	buffer_load_dword v192, off, s[0:3], 0 offset:628
	;; [unrolled: 1-line block ×3, first 2 shown]
	s_mov_b32 s4, exec_lo
	s_waitcnt vmcnt(62) lgkmcnt(2)
	v_mul_f64 v[182:183], v[120:121], v[115:116]
	v_mul_f64 v[115:116], v[118:119], v[115:116]
	s_waitcnt lgkmcnt(1)
	v_mul_f64 v[189:190], v[124:125], v[5:6]
	s_waitcnt vmcnt(59) lgkmcnt(0)
	v_mul_f64 v[193:194], v[128:129], v[3:4]
	v_fma_f64 v[118:119], v[118:119], v[7:8], -v[182:183]
	v_mul_f64 v[182:183], v[122:123], v[5:6]
	v_fma_f64 v[115:116], v[120:121], v[7:8], v[115:116]
	s_waitcnt vmcnt(57)
	v_fma_f64 v[122:123], v[122:123], v[1:2], -v[189:190]
	ds_read_b128 v[5:8], v117 offset:1264
	v_mul_f64 v[120:121], v[126:127], v[3:4]
	s_waitcnt vmcnt(51)
	v_fma_f64 v[126:127], v[126:127], v[136:137], -v[193:194]
	v_add_f64 v[118:119], v[118:119], 0
	v_fma_f64 v[124:125], v[124:125], v[1:2], v[182:183]
	v_add_f64 v[115:116], v[115:116], 0
	s_clause 0x4
	buffer_load_dword v183, off, s[0:3], 0 offset:668
	buffer_load_dword v195, off, s[0:3], 0 offset:680
	;; [unrolled: 1-line block ×5, first 2 shown]
	s_waitcnt lgkmcnt(0)
	v_mul_f64 v[198:199], v[5:6], v[130:131]
	v_mul_f64 v[130:131], v[7:8], v[130:131]
	ds_read_b128 v[1:4], v117 offset:1280
	v_fma_f64 v[128:129], v[128:129], v[136:137], v[120:121]
	v_add_f64 v[122:123], v[118:119], v[122:123]
	v_add_f64 v[115:116], v[115:116], v[124:125]
	s_clause 0x2
	buffer_load_dword v196, off, s[0:3], 0 offset:684
	buffer_load_dword v125, off, s[0:3], 0 offset:660
	;; [unrolled: 1-line block ×3, first 2 shown]
	s_waitcnt vmcnt(58) lgkmcnt(0)
	v_mul_f64 v[136:137], v[1:2], v[132:133]
	v_mul_f64 v[132:133], v[3:4], v[132:133]
	s_waitcnt vmcnt(56)
	v_fma_f64 v[130:131], v[5:6], v[138:139], -v[130:131]
	ds_read_b128 v[118:121], v117 offset:1296
	v_add_f64 v[122:123], v[122:123], v[126:127]
	v_fma_f64 v[126:127], v[7:8], v[138:139], v[198:199]
	v_add_f64 v[115:116], v[115:116], v[128:129]
	s_clause 0x4
	buffer_load_dword v129, off, s[0:3], 0 offset:700
	buffer_load_dword v138, off, s[0:3], 0 offset:712
	;; [unrolled: 1-line block ×5, first 2 shown]
	ds_read_b128 v[5:8], v117 offset:1312
	s_waitcnt vmcnt(57) lgkmcnt(1)
	v_mul_f64 v[199:200], v[118:119], v[140:141]
	v_mul_f64 v[140:141], v[120:121], v[140:141]
	s_waitcnt vmcnt(56)
	v_fma_f64 v[132:133], v[1:2], v[134:135], -v[132:133]
	v_add_f64 v[122:123], v[122:123], v[130:131]
	v_fma_f64 v[130:131], v[3:4], v[134:135], v[136:137]
	v_add_f64 v[115:116], v[115:116], v[126:127]
	s_clause 0x2
	buffer_load_dword v139, off, s[0:3], 0 offset:716
	buffer_load_dword v127, off, s[0:3], 0 offset:692
	;; [unrolled: 1-line block ×3, first 2 shown]
	s_waitcnt vmcnt(58) lgkmcnt(0)
	v_mul_f64 v[136:137], v[7:8], v[142:143]
	ds_read_b128 v[1:4], v117 offset:1328
	s_waitcnt vmcnt(56)
	v_fma_f64 v[140:141], v[118:119], v[146:147], -v[140:141]
	v_mul_f64 v[134:135], v[5:6], v[142:143]
	v_add_f64 v[122:123], v[122:123], v[132:133]
	v_fma_f64 v[132:133], v[120:121], v[146:147], v[199:200]
	v_add_f64 v[115:116], v[115:116], v[130:131]
	s_clause 0x4
	buffer_load_dword v131, off, s[0:3], 0 offset:732
	buffer_load_dword v142, off, s[0:3], 0 offset:744
	buffer_load_dword v146, off, s[0:3], 0 offset:736
	buffer_load_dword v130, off, s[0:3], 0 offset:728
	buffer_load_dword v194, off, s[0:3], 0 offset:708
	s_waitcnt vmcnt(57) lgkmcnt(0)
	v_mul_f64 v[199:200], v[1:2], v[148:149]
	v_mul_f64 v[147:148], v[3:4], v[148:149]
	s_waitcnt vmcnt(56)
	v_fma_f64 v[136:137], v[5:6], v[144:145], -v[136:137]
	ds_read_b128 v[118:121], v117 offset:1344
	v_fma_f64 v[134:135], v[7:8], v[144:145], v[134:135]
	v_add_f64 v[122:123], v[122:123], v[140:141]
	v_add_f64 v[115:116], v[115:116], v[132:133]
	s_clause 0x2
	buffer_load_dword v143, off, s[0:3], 0 offset:748
	buffer_load_dword v133, off, s[0:3], 0 offset:724
	buffer_load_dword v132, off, s[0:3], 0 offset:720
	ds_read_b128 v[5:8], v117 offset:1360
	s_waitcnt vmcnt(58) lgkmcnt(1)
	v_mul_f64 v[144:145], v[120:121], v[150:151]
	s_waitcnt vmcnt(56)
	v_fma_f64 v[148:149], v[1:2], v[154:155], -v[147:148]
	v_mul_f64 v[140:141], v[118:119], v[150:151]
	v_add_f64 v[122:123], v[122:123], v[136:137]
	v_fma_f64 v[136:137], v[3:4], v[154:155], v[199:200]
	v_add_f64 v[115:116], v[115:116], v[134:135]
	s_clause 0x4
	buffer_load_dword v135, off, s[0:3], 0 offset:764
	buffer_load_dword v150, off, s[0:3], 0 offset:776
	buffer_load_dword v154, off, s[0:3], 0 offset:768
	buffer_load_dword v134, off, s[0:3], 0 offset:760
	buffer_load_dword v147, off, s[0:3], 0 offset:740
	s_waitcnt vmcnt(57) lgkmcnt(0)
	v_mul_f64 v[199:200], v[5:6], v[156:157]
	v_mul_f64 v[155:156], v[7:8], v[156:157]
	s_waitcnt vmcnt(56)
	v_fma_f64 v[144:145], v[118:119], v[152:153], -v[144:145]
	ds_read_b128 v[1:4], v117 offset:1376
	v_fma_f64 v[140:141], v[120:121], v[152:153], v[140:141]
	v_add_f64 v[122:123], v[122:123], v[148:149]
	v_add_f64 v[115:116], v[115:116], v[136:137]
	s_clause 0x2
	buffer_load_dword v151, off, s[0:3], 0 offset:780
	buffer_load_dword v137, off, s[0:3], 0 offset:756
	buffer_load_dword v136, off, s[0:3], 0 offset:752
	ds_read_b128 v[118:121], v117 offset:1392
	s_waitcnt vmcnt(58) lgkmcnt(1)
	v_mul_f64 v[152:153], v[3:4], v[158:159]
	;; [unrolled: 28-line block ×4, first 2 shown]
	s_waitcnt vmcnt(56)
	v_fma_f64 v[172:173], v[1:2], v[180:181], -v[171:172]
	v_mul_f64 v[164:165], v[118:119], v[176:177]
	v_add_f64 v[122:123], v[122:123], v[160:161]
	v_fma_f64 v[160:161], v[3:4], v[180:181], v[199:200]
	v_add_f64 v[115:116], v[115:116], v[156:157]
	s_clause 0x2
	buffer_load_dword v157, off, s[0:3], 0 offset:860
	buffer_load_dword v156, off, s[0:3], 0 offset:856
	;; [unrolled: 1-line block ×3, first 2 shown]
	s_waitcnt vmcnt(55) lgkmcnt(0)
	v_mul_f64 v[180:181], v[7:8], v[184:185]
	s_waitcnt vmcnt(54)
	v_fma_f64 v[168:169], v[118:119], v[178:179], -v[168:169]
	ds_read_b128 v[1:4], v117 offset:1472
	v_mul_f64 v[176:177], v[5:6], v[184:185]
	v_fma_f64 v[164:165], v[120:121], v[178:179], v[164:165]
	v_add_f64 v[122:123], v[122:123], v[172:173]
	v_add_f64 v[115:116], v[115:116], v[160:161]
	s_clause 0x1
	buffer_load_dword v161, off, s[0:3], 0 offset:852
	buffer_load_dword v160, off, s[0:3], 0 offset:848
	s_waitcnt vmcnt(55) lgkmcnt(0)
	v_mul_f64 v[178:179], v[3:4], v[186:187]
	s_waitcnt vmcnt(53)
	v_fma_f64 v[180:181], v[5:6], v[191:192], -v[180:181]
	ds_read_b128 v[118:121], v117 offset:1488
	v_mul_f64 v[172:173], v[1:2], v[186:187]
	v_add_f64 v[122:123], v[122:123], v[168:169]
	v_fma_f64 v[168:169], v[7:8], v[191:192], v[176:177]
	v_add_f64 v[115:116], v[115:116], v[164:165]
	ds_read_b128 v[5:8], v117 offset:1504
	s_waitcnt vmcnt(49) lgkmcnt(1)
	v_mul_f64 v[176:177], v[120:121], v[182:183]
	s_waitcnt vmcnt(48)
	v_fma_f64 v[178:179], v[1:2], v[188:189], -v[178:179]
	v_mul_f64 v[164:165], v[118:119], v[182:183]
	v_fma_f64 v[172:173], v[3:4], v[188:189], v[172:173]
	v_add_f64 v[122:123], v[122:123], v[180:181]
	v_add_f64 v[115:116], v[115:116], v[168:169]
	s_clause 0x3
	buffer_load_dword v168, off, s[0:3], 0 offset:368
	buffer_load_dword v169, off, s[0:3], 0 offset:372
	;; [unrolled: 1-line block ×4, first 2 shown]
	ds_read_b128 v[1:4], v117 offset:1520
	s_waitcnt vmcnt(51) lgkmcnt(1)
	v_mul_f64 v[184:185], v[7:8], v[195:196]
	v_mul_f64 v[182:183], v[5:6], v[195:196]
	s_waitcnt vmcnt(49)
	v_fma_f64 v[176:177], v[118:119], v[124:125], -v[176:177]
	v_fma_f64 v[124:125], v[120:121], v[124:125], v[164:165]
	ds_read_b128 v[118:121], v117 offset:1536
	v_add_f64 v[122:123], v[122:123], v[178:179]
	v_add_f64 v[115:116], v[115:116], v[172:173]
	s_waitcnt vmcnt(45) lgkmcnt(1)
	v_mul_f64 v[164:165], v[1:2], v[128:129]
	v_mul_f64 v[128:129], v[3:4], v[128:129]
	s_waitcnt vmcnt(44)
	v_fma_f64 v[172:173], v[5:6], v[197:198], -v[184:185]
	v_add_f64 v[122:123], v[122:123], v[176:177]
	v_fma_f64 v[176:177], v[7:8], v[197:198], v[182:183]
	v_add_f64 v[115:116], v[115:116], v[124:125]
	ds_read_b128 v[5:8], v117 offset:1552
	s_waitcnt vmcnt(43) lgkmcnt(1)
	v_mul_f64 v[124:125], v[118:119], v[138:139]
	v_mul_f64 v[138:139], v[120:121], v[138:139]
	s_waitcnt vmcnt(41)
	v_fma_f64 v[128:129], v[1:2], v[126:127], -v[128:129]
	v_fma_f64 v[126:127], v[3:4], v[126:127], v[164:165]
	ds_read_b128 v[1:4], v117 offset:1568
	v_add_f64 v[122:123], v[122:123], v[172:173]
	v_add_f64 v[115:116], v[115:116], v[176:177]
	s_waitcnt vmcnt(37) lgkmcnt(1)
	v_mul_f64 v[164:165], v[5:6], v[130:131]
	v_mul_f64 v[130:131], v[7:8], v[130:131]
	s_waitcnt vmcnt(36)
	v_fma_f64 v[138:139], v[118:119], v[193:194], -v[138:139]
	v_fma_f64 v[124:125], v[120:121], v[193:194], v[124:125]
	ds_read_b128 v[118:121], v117 offset:1584
	v_add_f64 v[122:123], v[122:123], v[128:129]
	v_add_f64 v[115:116], v[115:116], v[126:127]
	;; [unrolled: 9-line block ×5, first 2 shown]
	s_waitcnt vmcnt(21) lgkmcnt(1)
	v_mul_f64 v[128:129], v[3:4], v[140:141]
	s_waitcnt vmcnt(20)
	v_fma_f64 v[132:133], v[5:6], v[154:155], -v[132:133]
	v_mul_f64 v[126:127], v[1:2], v[140:141]
	v_fma_f64 v[130:131], v[7:8], v[154:155], v[130:131]
	ds_read_b128 v[5:8], v117 offset:1648
	v_add_f64 v[122:123], v[122:123], v[134:135]
	v_add_f64 v[115:116], v[115:116], v[124:125]
	s_waitcnt vmcnt(19) lgkmcnt(1)
	v_mul_f64 v[134:135], v[120:121], v[158:159]
	v_mul_f64 v[124:125], v[118:119], v[158:159]
	s_waitcnt vmcnt(17)
	v_fma_f64 v[128:129], v[1:2], v[144:145], -v[128:129]
	v_fma_f64 v[126:127], v[3:4], v[144:145], v[126:127]
	ds_read_b128 v[1:4], v117 offset:1664
	v_add_f64 v[122:123], v[122:123], v[132:133]
	v_add_f64 v[115:116], v[115:116], v[130:131]
	s_waitcnt vmcnt(13) lgkmcnt(1)
	v_mul_f64 v[132:133], v[7:8], v[148:149]
	s_waitcnt vmcnt(12)
	v_fma_f64 v[134:135], v[118:119], v[162:163], -v[134:135]
	v_mul_f64 v[130:131], v[5:6], v[148:149]
	v_fma_f64 v[119:120], v[120:121], v[162:163], v[124:125]
	v_add_f64 v[122:123], v[122:123], v[128:129]
	v_add_f64 v[124:125], v[115:116], v[126:127]
	ds_read_b128 v[115:118], v117 offset:1680
	s_waitcnt vmcnt(11) lgkmcnt(1)
	v_mul_f64 v[128:129], v[3:4], v[166:167]
	v_mul_f64 v[126:127], v[1:2], v[166:167]
	s_waitcnt vmcnt(9)
	v_fma_f64 v[5:6], v[5:6], v[152:153], -v[132:133]
	v_fma_f64 v[7:8], v[7:8], v[152:153], v[130:131]
	v_add_f64 v[121:122], v[122:123], v[134:135]
	v_add_f64 v[119:120], v[124:125], v[119:120]
	s_waitcnt vmcnt(7) lgkmcnt(0)
	v_mul_f64 v[130:131], v[117:118], v[156:157]
	s_waitcnt vmcnt(6)
	v_fma_f64 v[1:2], v[1:2], v[170:171], -v[128:129]
	v_mul_f64 v[123:124], v[115:116], v[156:157]
	v_fma_f64 v[3:4], v[3:4], v[170:171], v[126:127]
	v_add_f64 v[5:6], v[121:122], v[5:6]
	v_add_f64 v[7:8], v[119:120], v[7:8]
	s_waitcnt vmcnt(4)
	v_fma_f64 v[115:116], v[115:116], v[160:161], -v[130:131]
	v_add_f64 v[1:2], v[5:6], v[1:2]
	v_fma_f64 v[5:6], v[117:118], v[160:161], v[123:124]
	v_add_f64 v[3:4], v[7:8], v[3:4]
	v_add_f64 v[1:2], v[1:2], v[115:116]
	v_add_f64 v[3:4], v[3:4], v[5:6]
	s_waitcnt vmcnt(2)
	v_add_f64 v[1:2], v[168:169], -v[1:2]
	s_waitcnt vmcnt(0)
	v_add_f64 v[3:4], v[180:181], -v[3:4]
	buffer_store_dword v2, off, s[0:3], 0 offset:372
	buffer_store_dword v1, off, s[0:3], 0 offset:368
	;; [unrolled: 1-line block ×4, first 2 shown]
	v_cmpx_lt_u32_e32 21, v0
	s_cbranch_execz .LBB116_289
; %bb.288:
	v_mov_b32_e32 v4, s44
	v_mov_b32_e32 v5, 0
	s_clause 0x3
	buffer_load_dword v1, v4, s[0:3], 0 offen
	buffer_load_dword v2, v4, s[0:3], 0 offen offset:4
	buffer_load_dword v3, v4, s[0:3], 0 offen offset:8
	;; [unrolled: 1-line block ×3, first 2 shown]
	buffer_store_dword v5, off, s[0:3], 0 offset:352
	buffer_store_dword v5, off, s[0:3], 0 offset:356
	;; [unrolled: 1-line block ×4, first 2 shown]
	s_waitcnt vmcnt(0)
	ds_write_b128 v175, v[1:4]
.LBB116_289:
	s_or_b32 exec_lo, exec_lo, s4
	s_waitcnt lgkmcnt(0)
	s_waitcnt_vscnt null, 0x0
	s_barrier
	buffer_gl0_inv
	s_clause 0x37
	buffer_load_dword v115, off, s[0:3], 0 offset:376
	buffer_load_dword v116, off, s[0:3], 0 offset:380
	;; [unrolled: 1-line block ×56, first 2 shown]
	v_mov_b32_e32 v135, 0
	s_mov_b32 s4, exec_lo
	ds_read_b128 v[123:126], v135 offset:1200
	s_clause 0x2
	buffer_load_dword v177, off, s[0:3], 0 offset:604
	buffer_load_dword v181, off, s[0:3], 0 offset:580
	;; [unrolled: 1-line block ×3, first 2 shown]
	ds_read_b128 v[127:130], v135 offset:1216
	s_clause 0x4
	buffer_load_dword v185, off, s[0:3], 0 offset:620
	buffer_load_dword v186, off, s[0:3], 0 offset:632
	;; [unrolled: 1-line block ×5, first 2 shown]
	ds_read_b128 v[131:134], v135 offset:1232
	s_clause 0x2
	buffer_load_dword v187, off, s[0:3], 0 offset:636
	buffer_load_dword v192, off, s[0:3], 0 offset:612
	;; [unrolled: 1-line block ×3, first 2 shown]
	s_waitcnt vmcnt(62) lgkmcnt(2)
	v_mul_f64 v[182:183], v[125:126], v[115:116]
	v_mul_f64 v[115:116], v[123:124], v[115:116]
	s_waitcnt lgkmcnt(1)
	v_mul_f64 v[189:190], v[129:130], v[5:6]
	s_waitcnt vmcnt(59) lgkmcnt(0)
	v_mul_f64 v[193:194], v[133:134], v[3:4]
	v_fma_f64 v[123:124], v[123:124], v[7:8], -v[182:183]
	v_mul_f64 v[182:183], v[127:128], v[5:6]
	v_fma_f64 v[115:116], v[125:126], v[7:8], v[115:116]
	s_waitcnt vmcnt(57)
	v_fma_f64 v[127:128], v[127:128], v[1:2], -v[189:190]
	ds_read_b128 v[5:8], v135 offset:1248
	v_mul_f64 v[125:126], v[131:132], v[3:4]
	s_waitcnt vmcnt(51)
	v_fma_f64 v[131:132], v[131:132], v[138:139], -v[193:194]
	v_add_f64 v[123:124], v[123:124], 0
	v_fma_f64 v[129:130], v[129:130], v[1:2], v[182:183]
	v_add_f64 v[115:116], v[115:116], 0
	s_clause 0x4
	buffer_load_dword v183, off, s[0:3], 0 offset:652
	buffer_load_dword v195, off, s[0:3], 0 offset:664
	;; [unrolled: 1-line block ×5, first 2 shown]
	s_waitcnt lgkmcnt(0)
	v_mul_f64 v[198:199], v[5:6], v[119:120]
	v_mul_f64 v[119:120], v[7:8], v[119:120]
	ds_read_b128 v[1:4], v135 offset:1264
	v_fma_f64 v[133:134], v[133:134], v[138:139], v[125:126]
	v_add_f64 v[127:128], v[123:124], v[127:128]
	v_add_f64 v[115:116], v[115:116], v[129:130]
	s_clause 0x2
	buffer_load_dword v196, off, s[0:3], 0 offset:668
	buffer_load_dword v130, off, s[0:3], 0 offset:644
	buffer_load_dword v129, off, s[0:3], 0 offset:640
	s_waitcnt vmcnt(58) lgkmcnt(0)
	v_mul_f64 v[138:139], v[1:2], v[136:137]
	v_mul_f64 v[136:137], v[3:4], v[136:137]
	s_waitcnt vmcnt(56)
	v_fma_f64 v[119:120], v[5:6], v[140:141], -v[119:120]
	ds_read_b128 v[123:126], v135 offset:1280
	v_add_f64 v[127:128], v[127:128], v[131:132]
	v_fma_f64 v[131:132], v[7:8], v[140:141], v[198:199]
	v_add_f64 v[115:116], v[115:116], v[133:134]
	s_clause 0x4
	buffer_load_dword v134, off, s[0:3], 0 offset:684
	buffer_load_dword v140, off, s[0:3], 0 offset:696
	;; [unrolled: 1-line block ×5, first 2 shown]
	ds_read_b128 v[5:8], v135 offset:1296
	s_waitcnt vmcnt(57) lgkmcnt(1)
	v_mul_f64 v[199:200], v[123:124], v[142:143]
	v_mul_f64 v[142:143], v[125:126], v[142:143]
	s_waitcnt vmcnt(56)
	v_fma_f64 v[136:137], v[1:2], v[117:118], -v[136:137]
	v_fma_f64 v[117:118], v[3:4], v[117:118], v[138:139]
	v_add_f64 v[119:120], v[127:128], v[119:120]
	s_clause 0x2
	buffer_load_dword v141, off, s[0:3], 0 offset:700
	buffer_load_dword v128, off, s[0:3], 0 offset:676
	;; [unrolled: 1-line block ×3, first 2 shown]
	v_add_f64 v[115:116], v[115:116], v[131:132]
	s_waitcnt vmcnt(58) lgkmcnt(0)
	v_mul_f64 v[138:139], v[7:8], v[144:145]
	ds_read_b128 v[1:4], v135 offset:1312
	v_mul_f64 v[131:132], v[5:6], v[144:145]
	s_waitcnt vmcnt(56)
	v_fma_f64 v[123:124], v[123:124], v[146:147], -v[142:143]
	v_fma_f64 v[125:126], v[125:126], v[146:147], v[199:200]
	s_clause 0x4
	buffer_load_dword v143, off, s[0:3], 0 offset:716
	buffer_load_dword v144, off, s[0:3], 0 offset:728
	;; [unrolled: 1-line block ×5, first 2 shown]
	v_add_f64 v[119:120], v[119:120], v[136:137]
	v_add_f64 v[136:137], v[115:116], v[117:118]
	s_waitcnt vmcnt(57) lgkmcnt(0)
	v_mul_f64 v[199:200], v[1:2], v[148:149]
	v_mul_f64 v[147:148], v[3:4], v[148:149]
	s_waitcnt vmcnt(56)
	v_fma_f64 v[138:139], v[5:6], v[121:122], -v[138:139]
	ds_read_b128 v[115:118], v135 offset:1328
	v_fma_f64 v[121:122], v[7:8], v[121:122], v[131:132]
	v_add_f64 v[119:120], v[119:120], v[123:124]
	v_add_f64 v[123:124], v[136:137], v[125:126]
	s_clause 0x2
	buffer_load_dword v145, off, s[0:3], 0 offset:732
	buffer_load_dword v126, off, s[0:3], 0 offset:708
	;; [unrolled: 1-line block ×3, first 2 shown]
	s_waitcnt vmcnt(58) lgkmcnt(0)
	v_mul_f64 v[136:137], v[117:118], v[150:151]
	s_waitcnt vmcnt(56)
	v_fma_f64 v[148:149], v[1:2], v[154:155], -v[147:148]
	ds_read_b128 v[5:8], v135 offset:1344
	v_mul_f64 v[131:132], v[115:116], v[150:151]
	v_add_f64 v[119:120], v[119:120], v[138:139]
	v_fma_f64 v[138:139], v[3:4], v[154:155], v[199:200]
	v_add_f64 v[121:122], v[123:124], v[121:122]
	s_clause 0x4
	buffer_load_dword v124, off, s[0:3], 0 offset:748
	buffer_load_dword v150, off, s[0:3], 0 offset:760
	buffer_load_dword v154, off, s[0:3], 0 offset:752
	buffer_load_dword v123, off, s[0:3], 0 offset:744
	buffer_load_dword v147, off, s[0:3], 0 offset:724
	s_waitcnt vmcnt(57) lgkmcnt(0)
	v_mul_f64 v[199:200], v[5:6], v[156:157]
	v_mul_f64 v[155:156], v[7:8], v[156:157]
	s_waitcnt vmcnt(56)
	v_fma_f64 v[136:137], v[115:116], v[152:153], -v[136:137]
	ds_read_b128 v[1:4], v135 offset:1360
	v_fma_f64 v[131:132], v[117:118], v[152:153], v[131:132]
	v_add_f64 v[119:120], v[119:120], v[148:149]
	v_add_f64 v[121:122], v[121:122], v[138:139]
	s_clause 0x2
	buffer_load_dword v151, off, s[0:3], 0 offset:764
	buffer_load_dword v139, off, s[0:3], 0 offset:740
	buffer_load_dword v138, off, s[0:3], 0 offset:736
	ds_read_b128 v[115:118], v135 offset:1376
	s_waitcnt vmcnt(58) lgkmcnt(1)
	v_mul_f64 v[152:153], v[3:4], v[158:159]
	s_waitcnt vmcnt(56)
	v_fma_f64 v[156:157], v[5:6], v[162:163], -v[155:156]
	v_mul_f64 v[148:149], v[1:2], v[158:159]
	v_add_f64 v[119:120], v[119:120], v[136:137]
	v_fma_f64 v[136:137], v[7:8], v[162:163], v[199:200]
	v_add_f64 v[121:122], v[121:122], v[131:132]
	s_clause 0x4
	buffer_load_dword v132, off, s[0:3], 0 offset:780
	buffer_load_dword v158, off, s[0:3], 0 offset:792
	buffer_load_dword v162, off, s[0:3], 0 offset:784
	buffer_load_dword v131, off, s[0:3], 0 offset:776
	buffer_load_dword v155, off, s[0:3], 0 offset:756
	s_waitcnt vmcnt(57) lgkmcnt(0)
	v_mul_f64 v[199:200], v[115:116], v[164:165]
	v_mul_f64 v[163:164], v[117:118], v[164:165]
	s_waitcnt vmcnt(56)
	v_fma_f64 v[152:153], v[1:2], v[160:161], -v[152:153]
	ds_read_b128 v[5:8], v135 offset:1392
	v_fma_f64 v[148:149], v[3:4], v[160:161], v[148:149]
	v_add_f64 v[119:120], v[119:120], v[156:157]
	v_add_f64 v[121:122], v[121:122], v[136:137]
	s_clause 0x2
	buffer_load_dword v159, off, s[0:3], 0 offset:796
	buffer_load_dword v137, off, s[0:3], 0 offset:772
	buffer_load_dword v136, off, s[0:3], 0 offset:768
	ds_read_b128 v[1:4], v135 offset:1408
	s_waitcnt vmcnt(58) lgkmcnt(1)
	v_mul_f64 v[160:161], v[7:8], v[166:167]
	s_waitcnt vmcnt(56)
	v_fma_f64 v[164:165], v[115:116], v[170:171], -v[163:164]
	;; [unrolled: 28-line block ×4, first 2 shown]
	v_mul_f64 v[172:173], v[1:2], v[186:187]
	buffer_load_dword v181, off, s[0:3], 0 offset:852
	v_add_f64 v[119:120], v[119:120], v[168:169]
	v_fma_f64 v[168:169], v[7:8], v[191:192], v[199:200]
	v_add_f64 v[121:122], v[121:122], v[164:165]
	ds_read_b128 v[5:8], v135 offset:1488
	s_waitcnt vmcnt(53) lgkmcnt(1)
	v_mul_f64 v[164:165], v[115:116], v[182:183]
	v_mul_f64 v[182:183], v[117:118], v[182:183]
	s_waitcnt vmcnt(52)
	v_fma_f64 v[178:179], v[1:2], v[188:189], -v[178:179]
	v_fma_f64 v[172:173], v[3:4], v[188:189], v[172:173]
	ds_read_b128 v[1:4], v135 offset:1504
	v_add_f64 v[119:120], v[119:120], v[184:185]
	v_add_f64 v[121:122], v[121:122], v[168:169]
	s_waitcnt vmcnt(51) lgkmcnt(1)
	v_mul_f64 v[184:185], v[7:8], v[195:196]
	v_mul_f64 v[168:169], v[5:6], v[195:196]
	s_waitcnt vmcnt(49)
	v_fma_f64 v[182:183], v[115:116], v[129:130], -v[182:183]
	v_fma_f64 v[129:130], v[117:118], v[129:130], v[164:165]
	v_add_f64 v[119:120], v[119:120], v[178:179]
	v_add_f64 v[121:122], v[121:122], v[172:173]
	s_clause 0x3
	buffer_load_dword v164, off, s[0:3], 0 offset:352
	buffer_load_dword v165, off, s[0:3], 0 offset:356
	;; [unrolled: 1-line block ×4, first 2 shown]
	ds_read_b128 v[115:118], v135 offset:1520
	s_waitcnt vmcnt(49) lgkmcnt(1)
	v_mul_f64 v[178:179], v[1:2], v[133:134]
	v_mul_f64 v[133:134], v[3:4], v[133:134]
	s_waitcnt vmcnt(48)
	v_fma_f64 v[184:185], v[5:6], v[197:198], -v[184:185]
	v_fma_f64 v[168:169], v[7:8], v[197:198], v[168:169]
	ds_read_b128 v[5:8], v135 offset:1536
	v_add_f64 v[119:120], v[119:120], v[182:183]
	v_add_f64 v[121:122], v[121:122], v[129:130]
	s_waitcnt vmcnt(47) lgkmcnt(1)
	v_mul_f64 v[129:130], v[115:116], v[140:141]
	v_mul_f64 v[140:141], v[117:118], v[140:141]
	s_waitcnt vmcnt(45)
	v_fma_f64 v[133:134], v[1:2], v[127:128], -v[133:134]
	v_fma_f64 v[127:128], v[3:4], v[127:128], v[178:179]
	ds_read_b128 v[1:4], v135 offset:1552
	v_add_f64 v[119:120], v[119:120], v[184:185]
	v_add_f64 v[121:122], v[121:122], v[168:169]
	s_waitcnt vmcnt(41) lgkmcnt(1)
	v_mul_f64 v[168:169], v[5:6], v[142:143]
	v_mul_f64 v[142:143], v[7:8], v[142:143]
	s_waitcnt vmcnt(40)
	v_fma_f64 v[129:130], v[117:118], v[193:194], v[129:130]
	v_fma_f64 v[140:141], v[115:116], v[193:194], -v[140:141]
	ds_read_b128 v[115:118], v135 offset:1568
	v_add_f64 v[119:120], v[119:120], v[133:134]
	v_add_f64 v[121:122], v[121:122], v[127:128]
	s_waitcnt vmcnt(39) lgkmcnt(1)
	v_mul_f64 v[133:134], v[3:4], v[144:145]
	v_mul_f64 v[127:128], v[1:2], v[144:145]
	s_waitcnt vmcnt(37)
	v_fma_f64 v[142:143], v[5:6], v[125:126], -v[142:143]
	v_fma_f64 v[125:126], v[7:8], v[125:126], v[168:169]
	ds_read_b128 v[5:8], v135 offset:1584
	v_add_f64 v[119:120], v[119:120], v[140:141]
	v_add_f64 v[121:122], v[121:122], v[129:130]
	s_waitcnt vmcnt(33) lgkmcnt(1)
	v_mul_f64 v[129:130], v[115:116], v[123:124]
	v_mul_f64 v[123:124], v[117:118], v[123:124]
	s_waitcnt vmcnt(32)
	v_fma_f64 v[133:134], v[1:2], v[146:147], -v[133:134]
	v_fma_f64 v[127:128], v[3:4], v[146:147], v[127:128]
	;; [unrolled: 9-line block ×3, first 2 shown]
	ds_read_b128 v[115:118], v135 offset:1616
	v_add_f64 v[119:120], v[119:120], v[133:134]
	v_add_f64 v[121:122], v[121:122], v[127:128]
	s_waitcnt vmcnt(25) lgkmcnt(1)
	v_mul_f64 v[127:128], v[1:2], v[131:132]
	v_mul_f64 v[131:132], v[3:4], v[131:132]
	s_waitcnt vmcnt(24)
	v_fma_f64 v[133:134], v[5:6], v[154:155], -v[140:141]
	v_add_f64 v[119:120], v[119:120], v[123:124]
	v_fma_f64 v[123:124], v[7:8], v[154:155], v[125:126]
	v_add_f64 v[121:122], v[121:122], v[129:130]
	ds_read_b128 v[5:8], v135 offset:1632
	s_waitcnt vmcnt(23) lgkmcnt(1)
	v_mul_f64 v[129:130], v[117:118], v[158:159]
	v_mul_f64 v[125:126], v[115:116], v[158:159]
	s_waitcnt vmcnt(21)
	v_fma_f64 v[131:132], v[1:2], v[136:137], -v[131:132]
	v_fma_f64 v[127:128], v[3:4], v[136:137], v[127:128]
	ds_read_b128 v[1:4], v135 offset:1648
	v_add_f64 v[119:120], v[119:120], v[133:134]
	v_add_f64 v[121:122], v[121:122], v[123:124]
	s_waitcnt vmcnt(17) lgkmcnt(1)
	v_mul_f64 v[133:134], v[7:8], v[148:149]
	s_waitcnt vmcnt(16)
	v_fma_f64 v[129:130], v[115:116], v[162:163], -v[129:130]
	v_mul_f64 v[123:124], v[5:6], v[148:149]
	v_fma_f64 v[125:126], v[117:118], v[162:163], v[125:126]
	ds_read_b128 v[115:118], v135 offset:1664
	v_add_f64 v[119:120], v[119:120], v[131:132]
	v_add_f64 v[121:122], v[121:122], v[127:128]
	s_waitcnt vmcnt(15) lgkmcnt(1)
	v_mul_f64 v[131:132], v[3:4], v[166:167]
	v_mul_f64 v[127:128], v[1:2], v[166:167]
	s_waitcnt vmcnt(13)
	v_fma_f64 v[133:134], v[5:6], v[152:153], -v[133:134]
	v_fma_f64 v[123:124], v[7:8], v[152:153], v[123:124]
	ds_read_b128 v[5:8], v135 offset:1680
	v_add_f64 v[119:120], v[119:120], v[129:130]
	v_add_f64 v[121:122], v[121:122], v[125:126]
	s_waitcnt vmcnt(9) lgkmcnt(1)
	v_mul_f64 v[129:130], v[117:118], v[156:157]
	s_waitcnt vmcnt(8)
	v_fma_f64 v[1:2], v[1:2], v[170:171], -v[131:132]
	v_mul_f64 v[125:126], v[115:116], v[156:157]
	v_fma_f64 v[3:4], v[3:4], v[170:171], v[127:128]
	v_add_f64 v[119:120], v[119:120], v[133:134]
	v_add_f64 v[121:122], v[121:122], v[123:124]
	s_waitcnt vmcnt(7) lgkmcnt(0)
	v_mul_f64 v[127:128], v[7:8], v[176:177]
	v_mul_f64 v[123:124], v[5:6], v[176:177]
	s_waitcnt vmcnt(5)
	v_fma_f64 v[115:116], v[115:116], v[160:161], -v[129:130]
	v_fma_f64 v[117:118], v[117:118], v[160:161], v[125:126]
	v_add_f64 v[1:2], v[119:120], v[1:2]
	v_add_f64 v[3:4], v[121:122], v[3:4]
	s_waitcnt vmcnt(4)
	v_fma_f64 v[5:6], v[5:6], v[180:181], -v[127:128]
	v_fma_f64 v[7:8], v[7:8], v[180:181], v[123:124]
	v_add_f64 v[1:2], v[1:2], v[115:116]
	v_add_f64 v[3:4], v[3:4], v[117:118]
	;; [unrolled: 1-line block ×4, first 2 shown]
	s_waitcnt vmcnt(2)
	v_add_f64 v[1:2], v[164:165], -v[1:2]
	s_waitcnt vmcnt(0)
	v_add_f64 v[3:4], v[172:173], -v[3:4]
	buffer_store_dword v2, off, s[0:3], 0 offset:356
	buffer_store_dword v1, off, s[0:3], 0 offset:352
	;; [unrolled: 1-line block ×4, first 2 shown]
	v_cmpx_lt_u32_e32 20, v0
	s_cbranch_execz .LBB116_291
; %bb.290:
	v_mov_b32_e32 v4, s45
	s_clause 0x3
	buffer_load_dword v1, v4, s[0:3], 0 offen
	buffer_load_dword v2, v4, s[0:3], 0 offen offset:4
	buffer_load_dword v3, v4, s[0:3], 0 offen offset:8
	buffer_load_dword v4, v4, s[0:3], 0 offen offset:12
	buffer_store_dword v135, off, s[0:3], 0 offset:336
	buffer_store_dword v135, off, s[0:3], 0 offset:340
	;; [unrolled: 1-line block ×4, first 2 shown]
	s_waitcnt vmcnt(0)
	ds_write_b128 v175, v[1:4]
.LBB116_291:
	s_or_b32 exec_lo, exec_lo, s4
	s_waitcnt lgkmcnt(0)
	s_waitcnt_vscnt null, 0x0
	s_barrier
	buffer_gl0_inv
	s_clause 0x37
	buffer_load_dword v115, off, s[0:3], 0 offset:360
	buffer_load_dword v116, off, s[0:3], 0 offset:364
	;; [unrolled: 1-line block ×56, first 2 shown]
	ds_read_b128 v[136:139], v135 offset:1184
	s_clause 0x2
	buffer_load_dword v177, off, s[0:3], 0 offset:588
	buffer_load_dword v181, off, s[0:3], 0 offset:564
	;; [unrolled: 1-line block ×3, first 2 shown]
	ds_read_b128 v[140:143], v135 offset:1200
	s_clause 0x4
	buffer_load_dword v185, off, s[0:3], 0 offset:604
	buffer_load_dword v186, off, s[0:3], 0 offset:616
	;; [unrolled: 1-line block ×5, first 2 shown]
	ds_read_b128 v[144:147], v135 offset:1216
	s_clause 0x2
	buffer_load_dword v187, off, s[0:3], 0 offset:620
	buffer_load_dword v192, off, s[0:3], 0 offset:596
	;; [unrolled: 1-line block ×3, first 2 shown]
	s_mov_b32 s4, exec_lo
	s_waitcnt vmcnt(62) lgkmcnt(2)
	v_mul_f64 v[182:183], v[138:139], v[115:116]
	v_mul_f64 v[115:116], v[136:137], v[115:116]
	s_waitcnt lgkmcnt(1)
	v_mul_f64 v[189:190], v[142:143], v[5:6]
	s_waitcnt vmcnt(59) lgkmcnt(0)
	v_mul_f64 v[193:194], v[146:147], v[3:4]
	v_fma_f64 v[136:137], v[136:137], v[7:8], -v[182:183]
	v_mul_f64 v[182:183], v[140:141], v[5:6]
	v_fma_f64 v[115:116], v[138:139], v[7:8], v[115:116]
	s_waitcnt vmcnt(57)
	v_fma_f64 v[140:141], v[140:141], v[1:2], -v[189:190]
	ds_read_b128 v[5:8], v135 offset:1232
	v_mul_f64 v[138:139], v[144:145], v[3:4]
	s_waitcnt vmcnt(51)
	v_fma_f64 v[144:145], v[144:145], v[131:132], -v[193:194]
	v_add_f64 v[136:137], v[136:137], 0
	v_fma_f64 v[142:143], v[142:143], v[1:2], v[182:183]
	v_add_f64 v[115:116], v[115:116], 0
	s_clause 0x4
	buffer_load_dword v183, off, s[0:3], 0 offset:636
	buffer_load_dword v195, off, s[0:3], 0 offset:648
	;; [unrolled: 1-line block ×5, first 2 shown]
	s_waitcnt lgkmcnt(0)
	v_mul_f64 v[198:199], v[5:6], v[119:120]
	v_mul_f64 v[119:120], v[7:8], v[119:120]
	ds_read_b128 v[1:4], v135 offset:1248
	v_fma_f64 v[131:132], v[146:147], v[131:132], v[138:139]
	v_add_f64 v[140:141], v[136:137], v[140:141]
	v_add_f64 v[115:116], v[115:116], v[142:143]
	s_clause 0x2
	buffer_load_dword v196, off, s[0:3], 0 offset:652
	buffer_load_dword v143, off, s[0:3], 0 offset:628
	;; [unrolled: 1-line block ×3, first 2 shown]
	s_waitcnt vmcnt(58) lgkmcnt(0)
	v_mul_f64 v[146:147], v[1:2], v[123:124]
	v_mul_f64 v[123:124], v[3:4], v[123:124]
	s_waitcnt vmcnt(56)
	v_fma_f64 v[119:120], v[5:6], v[125:126], -v[119:120]
	ds_read_b128 v[136:139], v135 offset:1264
	v_fma_f64 v[125:126], v[7:8], v[125:126], v[198:199]
	v_add_f64 v[140:141], v[140:141], v[144:145]
	v_add_f64 v[115:116], v[115:116], v[131:132]
	s_clause 0x4
	buffer_load_dword v132, off, s[0:3], 0 offset:668
	buffer_load_dword v144, off, s[0:3], 0 offset:680
	;; [unrolled: 1-line block ×5, first 2 shown]
	ds_read_b128 v[5:8], v135 offset:1280
	s_waitcnt vmcnt(57) lgkmcnt(1)
	v_mul_f64 v[199:200], v[136:137], v[127:128]
	v_mul_f64 v[127:128], v[138:139], v[127:128]
	s_waitcnt vmcnt(56)
	v_fma_f64 v[123:124], v[1:2], v[117:118], -v[123:124]
	v_fma_f64 v[117:118], v[3:4], v[117:118], v[146:147]
	v_add_f64 v[119:120], v[140:141], v[119:120]
	v_add_f64 v[115:116], v[115:116], v[125:126]
	s_clause 0x2
	buffer_load_dword v145, off, s[0:3], 0 offset:684
	buffer_load_dword v126, off, s[0:3], 0 offset:660
	;; [unrolled: 1-line block ×3, first 2 shown]
	s_waitcnt vmcnt(58) lgkmcnt(0)
	v_mul_f64 v[140:141], v[5:6], v[133:134]
	v_mul_f64 v[133:134], v[7:8], v[133:134]
	s_waitcnt vmcnt(56)
	v_fma_f64 v[127:128], v[136:137], v[148:149], -v[127:128]
	ds_read_b128 v[1:4], v135 offset:1296
	v_add_f64 v[119:120], v[119:120], v[123:124]
	v_fma_f64 v[123:124], v[138:139], v[148:149], v[199:200]
	v_add_f64 v[136:137], v[115:116], v[117:118]
	s_clause 0x4
	buffer_load_dword v139, off, s[0:3], 0 offset:700
	buffer_load_dword v146, off, s[0:3], 0 offset:712
	;; [unrolled: 1-line block ×5, first 2 shown]
	ds_read_b128 v[115:118], v135 offset:1312
	s_waitcnt vmcnt(57) lgkmcnt(1)
	v_mul_f64 v[199:200], v[1:2], v[150:151]
	v_mul_f64 v[149:150], v[3:4], v[150:151]
	s_waitcnt vmcnt(56)
	v_fma_f64 v[133:134], v[5:6], v[121:122], -v[133:134]
	v_fma_f64 v[121:122], v[7:8], v[121:122], v[140:141]
	v_add_f64 v[119:120], v[119:120], v[127:128]
	s_clause 0x2
	buffer_load_dword v147, off, s[0:3], 0 offset:716
	buffer_load_dword v128, off, s[0:3], 0 offset:692
	buffer_load_dword v127, off, s[0:3], 0 offset:688
	v_add_f64 v[123:124], v[136:137], v[123:124]
	s_waitcnt vmcnt(58) lgkmcnt(0)
	v_mul_f64 v[140:141], v[117:118], v[152:153]
	ds_read_b128 v[5:8], v135 offset:1328
	v_mul_f64 v[136:137], v[115:116], v[152:153]
	s_waitcnt vmcnt(56)
	v_fma_f64 v[150:151], v[1:2], v[154:155], -v[149:150]
	v_add_f64 v[119:120], v[119:120], v[133:134]
	v_fma_f64 v[133:134], v[3:4], v[154:155], v[199:200]
	v_add_f64 v[121:122], v[123:124], v[121:122]
	s_clause 0x4
	buffer_load_dword v124, off, s[0:3], 0 offset:732
	buffer_load_dword v152, off, s[0:3], 0 offset:744
	buffer_load_dword v154, off, s[0:3], 0 offset:736
	buffer_load_dword v123, off, s[0:3], 0 offset:728
	buffer_load_dword v149, off, s[0:3], 0 offset:708
	s_waitcnt vmcnt(57) lgkmcnt(0)
	v_mul_f64 v[199:200], v[5:6], v[156:157]
	v_mul_f64 v[155:156], v[7:8], v[156:157]
	s_waitcnt vmcnt(56)
	v_fma_f64 v[140:141], v[115:116], v[129:130], -v[140:141]
	ds_read_b128 v[1:4], v135 offset:1344
	v_fma_f64 v[129:130], v[117:118], v[129:130], v[136:137]
	v_add_f64 v[119:120], v[119:120], v[150:151]
	v_add_f64 v[121:122], v[121:122], v[133:134]
	s_clause 0x2
	buffer_load_dword v153, off, s[0:3], 0 offset:748
	buffer_load_dword v134, off, s[0:3], 0 offset:724
	buffer_load_dword v133, off, s[0:3], 0 offset:720
	ds_read_b128 v[115:118], v135 offset:1360
	s_waitcnt vmcnt(58) lgkmcnt(1)
	v_mul_f64 v[150:151], v[3:4], v[158:159]
	s_waitcnt vmcnt(56)
	v_fma_f64 v[156:157], v[5:6], v[162:163], -v[155:156]
	v_mul_f64 v[136:137], v[1:2], v[158:159]
	v_add_f64 v[119:120], v[119:120], v[140:141]
	v_fma_f64 v[140:141], v[7:8], v[162:163], v[199:200]
	v_add_f64 v[121:122], v[121:122], v[129:130]
	s_clause 0x4
	buffer_load_dword v130, off, s[0:3], 0 offset:764
	buffer_load_dword v158, off, s[0:3], 0 offset:776
	buffer_load_dword v162, off, s[0:3], 0 offset:768
	buffer_load_dword v129, off, s[0:3], 0 offset:760
	buffer_load_dword v155, off, s[0:3], 0 offset:740
	s_waitcnt vmcnt(57) lgkmcnt(0)
	v_mul_f64 v[199:200], v[115:116], v[164:165]
	v_mul_f64 v[163:164], v[117:118], v[164:165]
	s_waitcnt vmcnt(56)
	v_fma_f64 v[150:151], v[1:2], v[160:161], -v[150:151]
	ds_read_b128 v[5:8], v135 offset:1376
	v_fma_f64 v[136:137], v[3:4], v[160:161], v[136:137]
	v_add_f64 v[119:120], v[119:120], v[156:157]
	v_add_f64 v[121:122], v[121:122], v[140:141]
	s_clause 0x2
	buffer_load_dword v159, off, s[0:3], 0 offset:780
	buffer_load_dword v141, off, s[0:3], 0 offset:756
	buffer_load_dword v140, off, s[0:3], 0 offset:752
	ds_read_b128 v[1:4], v135 offset:1392
	s_waitcnt vmcnt(58) lgkmcnt(1)
	v_mul_f64 v[160:161], v[7:8], v[166:167]
	s_waitcnt vmcnt(56)
	v_fma_f64 v[164:165], v[115:116], v[170:171], -v[163:164]
	v_mul_f64 v[156:157], v[5:6], v[166:167]
	;; [unrolled: 28-line block ×4, first 2 shown]
	v_add_f64 v[119:120], v[119:120], v[168:169]
	v_fma_f64 v[168:169], v[7:8], v[191:192], v[199:200]
	v_add_f64 v[121:122], v[121:122], v[164:165]
	s_clause 0x2
	buffer_load_dword v165, off, s[0:3], 0 offset:860
	buffer_load_dword v164, off, s[0:3], 0 offset:856
	;; [unrolled: 1-line block ×3, first 2 shown]
	ds_read_b128 v[5:8], v135 offset:1472
	s_waitcnt vmcnt(55) lgkmcnt(1)
	v_mul_f64 v[186:187], v[115:116], v[182:183]
	v_mul_f64 v[182:183], v[117:118], v[182:183]
	s_waitcnt vmcnt(54)
	v_fma_f64 v[178:179], v[1:2], v[188:189], -v[178:179]
	v_fma_f64 v[172:173], v[3:4], v[188:189], v[172:173]
	v_add_f64 v[119:120], v[119:120], v[184:185]
	v_add_f64 v[121:122], v[121:122], v[168:169]
	s_clause 0x1
	buffer_load_dword v169, off, s[0:3], 0 offset:852
	buffer_load_dword v168, off, s[0:3], 0 offset:848
	ds_read_b128 v[1:4], v135 offset:1488
	s_waitcnt vmcnt(55) lgkmcnt(1)
	v_mul_f64 v[188:189], v[7:8], v[195:196]
	v_mul_f64 v[184:185], v[5:6], v[195:196]
	s_waitcnt vmcnt(53)
	v_fma_f64 v[182:183], v[115:116], v[142:143], -v[182:183]
	v_fma_f64 v[142:143], v[117:118], v[142:143], v[186:187]
	ds_read_b128 v[115:118], v135 offset:1504
	v_add_f64 v[119:120], v[119:120], v[178:179]
	v_add_f64 v[121:122], v[121:122], v[172:173]
	s_waitcnt vmcnt(49) lgkmcnt(1)
	v_mul_f64 v[172:173], v[1:2], v[131:132]
	v_mul_f64 v[131:132], v[3:4], v[131:132]
	s_waitcnt vmcnt(48)
	v_fma_f64 v[178:179], v[5:6], v[197:198], -v[188:189]
	v_add_f64 v[119:120], v[119:120], v[182:183]
	v_fma_f64 v[182:183], v[7:8], v[197:198], v[184:185]
	v_add_f64 v[121:122], v[121:122], v[142:143]
	s_clause 0x3
	buffer_load_dword v142, off, s[0:3], 0 offset:336
	buffer_load_dword v143, off, s[0:3], 0 offset:340
	;; [unrolled: 1-line block ×4, first 2 shown]
	ds_read_b128 v[5:8], v135 offset:1520
	s_waitcnt vmcnt(51) lgkmcnt(1)
	v_mul_f64 v[186:187], v[115:116], v[144:145]
	v_mul_f64 v[144:145], v[117:118], v[144:145]
	s_waitcnt vmcnt(49)
	v_fma_f64 v[131:132], v[1:2], v[125:126], -v[131:132]
	v_fma_f64 v[125:126], v[3:4], v[125:126], v[172:173]
	ds_read_b128 v[1:4], v135 offset:1536
	v_add_f64 v[119:120], v[119:120], v[178:179]
	v_add_f64 v[121:122], v[121:122], v[182:183]
	s_waitcnt vmcnt(45) lgkmcnt(1)
	v_mul_f64 v[172:173], v[5:6], v[138:139]
	v_mul_f64 v[138:139], v[7:8], v[138:139]
	s_waitcnt vmcnt(44)
	v_fma_f64 v[144:145], v[115:116], v[193:194], -v[144:145]
	v_add_f64 v[119:120], v[119:120], v[131:132]
	v_fma_f64 v[131:132], v[117:118], v[193:194], v[186:187]
	v_add_f64 v[121:122], v[121:122], v[125:126]
	ds_read_b128 v[115:118], v135 offset:1552
	s_waitcnt vmcnt(43) lgkmcnt(1)
	v_mul_f64 v[125:126], v[1:2], v[146:147]
	v_mul_f64 v[146:147], v[3:4], v[146:147]
	s_waitcnt vmcnt(41)
	v_fma_f64 v[138:139], v[5:6], v[127:128], -v[138:139]
	v_fma_f64 v[127:128], v[7:8], v[127:128], v[172:173]
	ds_read_b128 v[5:8], v135 offset:1568
	v_add_f64 v[119:120], v[119:120], v[144:145]
	v_add_f64 v[121:122], v[121:122], v[131:132]
	s_waitcnt vmcnt(37) lgkmcnt(1)
	v_mul_f64 v[131:132], v[115:116], v[123:124]
	v_mul_f64 v[123:124], v[117:118], v[123:124]
	s_waitcnt vmcnt(36)
	v_fma_f64 v[144:145], v[1:2], v[148:149], -v[146:147]
	v_fma_f64 v[125:126], v[3:4], v[148:149], v[125:126]
	ds_read_b128 v[1:4], v135 offset:1584
	v_add_f64 v[119:120], v[119:120], v[138:139]
	v_add_f64 v[121:122], v[121:122], v[127:128]
	s_waitcnt vmcnt(35) lgkmcnt(1)
	v_mul_f64 v[138:139], v[7:8], v[152:153]
	v_mul_f64 v[127:128], v[5:6], v[152:153]
	s_waitcnt vmcnt(33)
	v_fma_f64 v[123:124], v[115:116], v[133:134], -v[123:124]
	v_fma_f64 v[131:132], v[117:118], v[133:134], v[131:132]
	ds_read_b128 v[115:118], v135 offset:1600
	v_add_f64 v[119:120], v[119:120], v[144:145]
	v_add_f64 v[121:122], v[121:122], v[125:126]
	s_waitcnt vmcnt(29) lgkmcnt(1)
	v_mul_f64 v[125:126], v[1:2], v[129:130]
	v_mul_f64 v[129:130], v[3:4], v[129:130]
	s_waitcnt vmcnt(28)
	v_fma_f64 v[133:134], v[5:6], v[154:155], -v[138:139]
	v_add_f64 v[119:120], v[119:120], v[123:124]
	v_fma_f64 v[123:124], v[7:8], v[154:155], v[127:128]
	v_add_f64 v[121:122], v[121:122], v[131:132]
	ds_read_b128 v[5:8], v135 offset:1616
	s_waitcnt vmcnt(27) lgkmcnt(1)
	v_mul_f64 v[131:132], v[117:118], v[158:159]
	v_mul_f64 v[127:128], v[115:116], v[158:159]
	s_waitcnt vmcnt(25)
	v_fma_f64 v[129:130], v[1:2], v[140:141], -v[129:130]
	v_fma_f64 v[125:126], v[3:4], v[140:141], v[125:126]
	ds_read_b128 v[1:4], v135 offset:1632
	v_add_f64 v[119:120], v[119:120], v[133:134]
	v_add_f64 v[121:122], v[121:122], v[123:124]
	s_waitcnt vmcnt(21) lgkmcnt(1)
	v_mul_f64 v[133:134], v[7:8], v[136:137]
	s_waitcnt vmcnt(20)
	v_fma_f64 v[131:132], v[115:116], v[162:163], -v[131:132]
	v_mul_f64 v[123:124], v[5:6], v[136:137]
	v_fma_f64 v[127:128], v[117:118], v[162:163], v[127:128]
	ds_read_b128 v[115:118], v135 offset:1648
	v_add_f64 v[119:120], v[119:120], v[129:130]
	v_add_f64 v[121:122], v[121:122], v[125:126]
	s_waitcnt vmcnt(19) lgkmcnt(1)
	v_mul_f64 v[129:130], v[3:4], v[166:167]
	v_mul_f64 v[125:126], v[1:2], v[166:167]
	s_waitcnt vmcnt(17)
	v_fma_f64 v[133:134], v[5:6], v[150:151], -v[133:134]
	v_fma_f64 v[123:124], v[7:8], v[150:151], v[123:124]
	ds_read_b128 v[5:8], v135 offset:1664
	v_add_f64 v[119:120], v[119:120], v[131:132]
	v_add_f64 v[121:122], v[121:122], v[127:128]
	s_waitcnt vmcnt(13) lgkmcnt(1)
	v_mul_f64 v[131:132], v[117:118], v[156:157]
	s_waitcnt vmcnt(12)
	v_fma_f64 v[129:130], v[1:2], v[170:171], -v[129:130]
	v_mul_f64 v[127:128], v[115:116], v[156:157]
	v_fma_f64 v[125:126], v[3:4], v[170:171], v[125:126]
	ds_read_b128 v[1:4], v135 offset:1680
	v_add_f64 v[119:120], v[119:120], v[133:134]
	v_add_f64 v[121:122], v[121:122], v[123:124]
	s_waitcnt vmcnt(11) lgkmcnt(1)
	v_mul_f64 v[133:134], v[7:8], v[176:177]
	v_mul_f64 v[123:124], v[5:6], v[176:177]
	s_waitcnt vmcnt(9)
	v_fma_f64 v[115:116], v[115:116], v[160:161], -v[131:132]
	v_fma_f64 v[117:118], v[117:118], v[160:161], v[127:128]
	v_add_f64 v[119:120], v[119:120], v[129:130]
	v_add_f64 v[121:122], v[121:122], v[125:126]
	s_waitcnt vmcnt(7) lgkmcnt(0)
	v_mul_f64 v[127:128], v[3:4], v[164:165]
	s_waitcnt vmcnt(6)
	v_fma_f64 v[5:6], v[5:6], v[180:181], -v[133:134]
	v_mul_f64 v[125:126], v[1:2], v[164:165]
	v_fma_f64 v[7:8], v[7:8], v[180:181], v[123:124]
	v_add_f64 v[115:116], v[119:120], v[115:116]
	v_add_f64 v[117:118], v[121:122], v[117:118]
	s_waitcnt vmcnt(4)
	v_fma_f64 v[1:2], v[1:2], v[168:169], -v[127:128]
	v_fma_f64 v[3:4], v[3:4], v[168:169], v[125:126]
	v_add_f64 v[5:6], v[115:116], v[5:6]
	v_add_f64 v[7:8], v[117:118], v[7:8]
	;; [unrolled: 1-line block ×4, first 2 shown]
	s_waitcnt vmcnt(2)
	v_add_f64 v[1:2], v[142:143], -v[1:2]
	s_waitcnt vmcnt(0)
	v_add_f64 v[3:4], v[184:185], -v[3:4]
	buffer_store_dword v2, off, s[0:3], 0 offset:340
	buffer_store_dword v1, off, s[0:3], 0 offset:336
	;; [unrolled: 1-line block ×4, first 2 shown]
	v_cmpx_lt_u32_e32 19, v0
	s_cbranch_execz .LBB116_293
; %bb.292:
	v_mov_b32_e32 v4, s46
	v_mov_b32_e32 v5, 0
	s_clause 0x3
	buffer_load_dword v1, v4, s[0:3], 0 offen
	buffer_load_dword v2, v4, s[0:3], 0 offen offset:4
	buffer_load_dword v3, v4, s[0:3], 0 offen offset:8
	;; [unrolled: 1-line block ×3, first 2 shown]
	buffer_store_dword v5, off, s[0:3], 0 offset:320
	buffer_store_dword v5, off, s[0:3], 0 offset:324
	;; [unrolled: 1-line block ×4, first 2 shown]
	s_waitcnt vmcnt(0)
	ds_write_b128 v175, v[1:4]
.LBB116_293:
	s_or_b32 exec_lo, exec_lo, s4
	s_waitcnt lgkmcnt(0)
	s_waitcnt_vscnt null, 0x0
	s_barrier
	buffer_gl0_inv
	s_clause 0x37
	buffer_load_dword v115, off, s[0:3], 0 offset:344
	buffer_load_dword v116, off, s[0:3], 0 offset:348
	;; [unrolled: 1-line block ×56, first 2 shown]
	v_mov_b32_e32 v157, 0
	s_mov_b32 s4, exec_lo
	ds_read_b128 v[145:148], v157 offset:1168
	s_clause 0x2
	buffer_load_dword v177, off, s[0:3], 0 offset:572
	buffer_load_dword v181, off, s[0:3], 0 offset:548
	;; [unrolled: 1-line block ×3, first 2 shown]
	ds_read_b128 v[149:152], v157 offset:1184
	s_clause 0x4
	buffer_load_dword v185, off, s[0:3], 0 offset:588
	buffer_load_dword v186, off, s[0:3], 0 offset:600
	;; [unrolled: 1-line block ×5, first 2 shown]
	ds_read_b128 v[153:156], v157 offset:1200
	s_clause 0x2
	buffer_load_dword v187, off, s[0:3], 0 offset:604
	buffer_load_dword v192, off, s[0:3], 0 offset:580
	;; [unrolled: 1-line block ×3, first 2 shown]
	s_waitcnt vmcnt(62) lgkmcnt(2)
	v_mul_f64 v[182:183], v[147:148], v[115:116]
	v_mul_f64 v[115:116], v[145:146], v[115:116]
	s_waitcnt lgkmcnt(1)
	v_mul_f64 v[189:190], v[151:152], v[5:6]
	s_waitcnt vmcnt(59) lgkmcnt(0)
	v_mul_f64 v[193:194], v[155:156], v[3:4]
	v_fma_f64 v[145:146], v[145:146], v[7:8], -v[182:183]
	v_mul_f64 v[182:183], v[149:150], v[5:6]
	v_fma_f64 v[115:116], v[147:148], v[7:8], v[115:116]
	s_waitcnt vmcnt(57)
	v_fma_f64 v[149:150], v[149:150], v[1:2], -v[189:190]
	ds_read_b128 v[5:8], v157 offset:1216
	v_mul_f64 v[147:148], v[153:154], v[3:4]
	s_waitcnt vmcnt(51)
	v_fma_f64 v[153:154], v[153:154], v[131:132], -v[193:194]
	v_add_f64 v[145:146], v[145:146], 0
	v_fma_f64 v[151:152], v[151:152], v[1:2], v[182:183]
	v_add_f64 v[115:116], v[115:116], 0
	s_clause 0x4
	buffer_load_dword v183, off, s[0:3], 0 offset:620
	buffer_load_dword v195, off, s[0:3], 0 offset:632
	;; [unrolled: 1-line block ×5, first 2 shown]
	s_waitcnt lgkmcnt(0)
	v_mul_f64 v[198:199], v[5:6], v[119:120]
	v_mul_f64 v[119:120], v[7:8], v[119:120]
	ds_read_b128 v[1:4], v157 offset:1232
	v_fma_f64 v[131:132], v[155:156], v[131:132], v[147:148]
	v_add_f64 v[149:150], v[145:146], v[149:150]
	v_add_f64 v[115:116], v[115:116], v[151:152]
	s_clause 0x2
	buffer_load_dword v196, off, s[0:3], 0 offset:636
	buffer_load_dword v152, off, s[0:3], 0 offset:612
	buffer_load_dword v151, off, s[0:3], 0 offset:608
	s_waitcnt vmcnt(58) lgkmcnt(0)
	v_mul_f64 v[155:156], v[1:2], v[123:124]
	v_mul_f64 v[123:124], v[3:4], v[123:124]
	s_waitcnt vmcnt(56)
	v_fma_f64 v[119:120], v[5:6], v[125:126], -v[119:120]
	ds_read_b128 v[145:148], v157 offset:1248
	v_fma_f64 v[125:126], v[7:8], v[125:126], v[198:199]
	v_add_f64 v[149:150], v[149:150], v[153:154]
	v_add_f64 v[115:116], v[115:116], v[131:132]
	s_clause 0x4
	buffer_load_dword v132, off, s[0:3], 0 offset:652
	buffer_load_dword v153, off, s[0:3], 0 offset:664
	;; [unrolled: 1-line block ×5, first 2 shown]
	ds_read_b128 v[5:8], v157 offset:1264
	s_waitcnt vmcnt(57) lgkmcnt(1)
	v_mul_f64 v[199:200], v[145:146], v[127:128]
	v_mul_f64 v[127:128], v[147:148], v[127:128]
	s_waitcnt vmcnt(56)
	v_fma_f64 v[123:124], v[1:2], v[117:118], -v[123:124]
	v_fma_f64 v[117:118], v[3:4], v[117:118], v[155:156]
	v_add_f64 v[119:120], v[149:150], v[119:120]
	v_add_f64 v[115:116], v[115:116], v[125:126]
	s_clause 0x2
	buffer_load_dword v154, off, s[0:3], 0 offset:668
	buffer_load_dword v126, off, s[0:3], 0 offset:644
	;; [unrolled: 1-line block ×3, first 2 shown]
	s_waitcnt vmcnt(58) lgkmcnt(0)
	v_mul_f64 v[149:150], v[5:6], v[133:134]
	v_mul_f64 v[133:134], v[7:8], v[133:134]
	s_waitcnt vmcnt(56)
	v_fma_f64 v[127:128], v[145:146], v[135:136], -v[127:128]
	ds_read_b128 v[1:4], v157 offset:1280
	v_add_f64 v[119:120], v[119:120], v[123:124]
	v_fma_f64 v[123:124], v[147:148], v[135:136], v[199:200]
	v_add_f64 v[135:136], v[115:116], v[117:118]
	s_clause 0x4
	buffer_load_dword v146, off, s[0:3], 0 offset:684
	buffer_load_dword v147, off, s[0:3], 0 offset:696
	;; [unrolled: 1-line block ×5, first 2 shown]
	ds_read_b128 v[115:118], v157 offset:1296
	s_waitcnt vmcnt(57) lgkmcnt(1)
	v_mul_f64 v[199:200], v[1:2], v[137:138]
	v_mul_f64 v[137:138], v[3:4], v[137:138]
	s_waitcnt vmcnt(56)
	v_fma_f64 v[133:134], v[5:6], v[121:122], -v[133:134]
	v_fma_f64 v[121:122], v[7:8], v[121:122], v[149:150]
	v_add_f64 v[119:120], v[119:120], v[127:128]
	s_clause 0x2
	buffer_load_dword v148, off, s[0:3], 0 offset:700
	buffer_load_dword v128, off, s[0:3], 0 offset:676
	;; [unrolled: 1-line block ×3, first 2 shown]
	v_add_f64 v[123:124], v[135:136], v[123:124]
	s_waitcnt vmcnt(58) lgkmcnt(0)
	v_mul_f64 v[135:136], v[115:116], v[141:142]
	v_mul_f64 v[141:142], v[117:118], v[141:142]
	ds_read_b128 v[5:8], v157 offset:1312
	s_waitcnt vmcnt(56)
	v_fma_f64 v[137:138], v[1:2], v[143:144], -v[137:138]
	v_add_f64 v[119:120], v[119:120], v[133:134]
	v_fma_f64 v[133:134], v[3:4], v[143:144], v[199:200]
	v_add_f64 v[121:122], v[123:124], v[121:122]
	s_clause 0x4
	buffer_load_dword v124, off, s[0:3], 0 offset:716
	buffer_load_dword v143, off, s[0:3], 0 offset:728
	;; [unrolled: 1-line block ×5, first 2 shown]
	s_waitcnt vmcnt(57) lgkmcnt(0)
	v_mul_f64 v[199:200], v[5:6], v[158:159]
	v_mul_f64 v[158:159], v[7:8], v[158:159]
	s_waitcnt vmcnt(56)
	v_fma_f64 v[141:142], v[115:116], v[129:130], -v[141:142]
	ds_read_b128 v[1:4], v157 offset:1328
	v_fma_f64 v[129:130], v[117:118], v[129:130], v[135:136]
	v_add_f64 v[119:120], v[119:120], v[137:138]
	v_add_f64 v[121:122], v[121:122], v[133:134]
	s_clause 0x2
	buffer_load_dword v144, off, s[0:3], 0 offset:732
	buffer_load_dword v134, off, s[0:3], 0 offset:708
	;; [unrolled: 1-line block ×3, first 2 shown]
	ds_read_b128 v[115:118], v157 offset:1344
	s_waitcnt vmcnt(58) lgkmcnt(1)
	v_mul_f64 v[137:138], v[3:4], v[160:161]
	s_waitcnt vmcnt(56)
	v_fma_f64 v[158:159], v[5:6], v[162:163], -v[158:159]
	v_mul_f64 v[135:136], v[1:2], v[160:161]
	v_add_f64 v[119:120], v[119:120], v[141:142]
	v_fma_f64 v[141:142], v[7:8], v[162:163], v[199:200]
	v_add_f64 v[121:122], v[121:122], v[129:130]
	s_clause 0x4
	buffer_load_dword v130, off, s[0:3], 0 offset:748
	buffer_load_dword v160, off, s[0:3], 0 offset:760
	;; [unrolled: 1-line block ×5, first 2 shown]
	s_waitcnt vmcnt(57) lgkmcnt(0)
	v_mul_f64 v[199:200], v[115:116], v[164:165]
	v_mul_f64 v[163:164], v[117:118], v[164:165]
	s_waitcnt vmcnt(56)
	v_fma_f64 v[137:138], v[1:2], v[139:140], -v[137:138]
	ds_read_b128 v[5:8], v157 offset:1360
	v_fma_f64 v[135:136], v[3:4], v[139:140], v[135:136]
	s_clause 0x2
	buffer_load_dword v161, off, s[0:3], 0 offset:764
	buffer_load_dword v140, off, s[0:3], 0 offset:740
	;; [unrolled: 1-line block ×3, first 2 shown]
	ds_read_b128 v[1:4], v157 offset:1376
	v_add_f64 v[119:120], v[119:120], v[158:159]
	v_add_f64 v[121:122], v[121:122], v[141:142]
	s_waitcnt vmcnt(58) lgkmcnt(1)
	v_mul_f64 v[158:159], v[7:8], v[166:167]
	s_waitcnt vmcnt(56)
	v_fma_f64 v[164:165], v[115:116], v[170:171], -v[163:164]
	v_mul_f64 v[141:142], v[5:6], v[166:167]
	v_add_f64 v[119:120], v[119:120], v[137:138]
	v_fma_f64 v[137:138], v[117:118], v[170:171], v[199:200]
	v_add_f64 v[121:122], v[121:122], v[135:136]
	s_clause 0x4
	buffer_load_dword v136, off, s[0:3], 0 offset:780
	buffer_load_dword v166, off, s[0:3], 0 offset:792
	;; [unrolled: 1-line block ×5, first 2 shown]
	s_waitcnt vmcnt(57) lgkmcnt(0)
	v_mul_f64 v[199:200], v[1:2], v[172:173]
	v_mul_f64 v[171:172], v[3:4], v[172:173]
	s_waitcnt vmcnt(56)
	v_fma_f64 v[158:159], v[5:6], v[168:169], -v[158:159]
	ds_read_b128 v[115:118], v157 offset:1392
	v_fma_f64 v[141:142], v[7:8], v[168:169], v[141:142]
	v_add_f64 v[119:120], v[119:120], v[164:165]
	v_add_f64 v[121:122], v[121:122], v[137:138]
	s_clause 0x2
	buffer_load_dword v167, off, s[0:3], 0 offset:796
	buffer_load_dword v138, off, s[0:3], 0 offset:772
	;; [unrolled: 1-line block ×3, first 2 shown]
	ds_read_b128 v[5:8], v157 offset:1408
	s_waitcnt vmcnt(58) lgkmcnt(1)
	v_mul_f64 v[168:169], v[117:118], v[176:177]
	s_waitcnt vmcnt(56)
	v_fma_f64 v[172:173], v[1:2], v[180:181], -v[171:172]
	v_mul_f64 v[164:165], v[115:116], v[176:177]
	v_add_f64 v[119:120], v[119:120], v[158:159]
	v_fma_f64 v[158:159], v[3:4], v[180:181], v[199:200]
	v_add_f64 v[121:122], v[121:122], v[141:142]
	s_clause 0x4
	buffer_load_dword v142, off, s[0:3], 0 offset:812
	buffer_load_dword v176, off, s[0:3], 0 offset:824
	buffer_load_dword v180, off, s[0:3], 0 offset:816
	buffer_load_dword v141, off, s[0:3], 0 offset:808
	buffer_load_dword v171, off, s[0:3], 0 offset:788
	s_waitcnt vmcnt(57) lgkmcnt(0)
	v_mul_f64 v[199:200], v[5:6], v[184:185]
	v_mul_f64 v[184:185], v[7:8], v[184:185]
	s_waitcnt vmcnt(56)
	v_fma_f64 v[168:169], v[115:116], v[178:179], -v[168:169]
	ds_read_b128 v[1:4], v157 offset:1424
	v_fma_f64 v[164:165], v[117:118], v[178:179], v[164:165]
	v_add_f64 v[119:120], v[119:120], v[172:173]
	v_add_f64 v[121:122], v[121:122], v[158:159]
	s_clause 0x2
	buffer_load_dword v177, off, s[0:3], 0 offset:828
	buffer_load_dword v159, off, s[0:3], 0 offset:804
	;; [unrolled: 1-line block ×3, first 2 shown]
	ds_read_b128 v[115:118], v157 offset:1440
	s_waitcnt vmcnt(58) lgkmcnt(1)
	v_mul_f64 v[178:179], v[3:4], v[186:187]
	s_waitcnt vmcnt(56)
	v_fma_f64 v[184:185], v[5:6], v[191:192], -v[184:185]
	v_mul_f64 v[172:173], v[1:2], v[186:187]
	v_add_f64 v[119:120], v[119:120], v[168:169]
	v_fma_f64 v[168:169], v[7:8], v[191:192], v[199:200]
	v_add_f64 v[121:122], v[121:122], v[164:165]
	s_clause 0x4
	buffer_load_dword v165, off, s[0:3], 0 offset:844
	buffer_load_dword v186, off, s[0:3], 0 offset:856
	;; [unrolled: 1-line block ×5, first 2 shown]
	ds_read_b128 v[5:8], v157 offset:1456
	s_waitcnt vmcnt(57) lgkmcnt(1)
	v_mul_f64 v[191:192], v[115:116], v[182:183]
	v_mul_f64 v[182:183], v[117:118], v[182:183]
	s_waitcnt vmcnt(56)
	v_fma_f64 v[178:179], v[1:2], v[188:189], -v[178:179]
	v_fma_f64 v[172:173], v[3:4], v[188:189], v[172:173]
	v_add_f64 v[119:120], v[119:120], v[184:185]
	v_add_f64 v[121:122], v[121:122], v[168:169]
	s_clause 0x2
	buffer_load_dword v187, off, s[0:3], 0 offset:860
	buffer_load_dword v169, off, s[0:3], 0 offset:836
	buffer_load_dword v168, off, s[0:3], 0 offset:832
	ds_read_b128 v[1:4], v157 offset:1472
	s_waitcnt vmcnt(58) lgkmcnt(1)
	v_mul_f64 v[188:189], v[7:8], v[195:196]
	v_mul_f64 v[184:185], v[5:6], v[195:196]
	s_waitcnt vmcnt(56)
	v_fma_f64 v[182:183], v[115:116], v[151:152], -v[182:183]
	v_fma_f64 v[151:152], v[117:118], v[151:152], v[191:192]
	buffer_load_dword v191, off, s[0:3], 0 offset:852
	ds_read_b128 v[115:118], v157 offset:1488
	v_add_f64 v[119:120], v[119:120], v[178:179]
	v_add_f64 v[121:122], v[121:122], v[172:173]
	s_waitcnt vmcnt(53) lgkmcnt(1)
	v_mul_f64 v[172:173], v[1:2], v[131:132]
	v_mul_f64 v[131:132], v[3:4], v[131:132]
	s_waitcnt vmcnt(52)
	v_fma_f64 v[178:179], v[5:6], v[197:198], -v[188:189]
	v_add_f64 v[119:120], v[119:120], v[182:183]
	v_fma_f64 v[182:183], v[7:8], v[197:198], v[184:185]
	v_add_f64 v[121:122], v[121:122], v[151:152]
	ds_read_b128 v[5:8], v157 offset:1504
	s_waitcnt vmcnt(51) lgkmcnt(1)
	v_mul_f64 v[151:152], v[115:116], v[153:154]
	v_mul_f64 v[153:154], v[117:118], v[153:154]
	s_waitcnt vmcnt(49)
	v_fma_f64 v[131:132], v[1:2], v[125:126], -v[131:132]
	v_fma_f64 v[125:126], v[3:4], v[125:126], v[172:173]
	v_add_f64 v[119:120], v[119:120], v[178:179]
	s_clause 0x3
	buffer_load_dword v172, off, s[0:3], 0 offset:320
	buffer_load_dword v173, off, s[0:3], 0 offset:324
	;; [unrolled: 1-line block ×4, first 2 shown]
	v_add_f64 v[121:122], v[121:122], v[182:183]
	ds_read_b128 v[1:4], v157 offset:1520
	s_waitcnt vmcnt(49) lgkmcnt(1)
	v_mul_f64 v[182:183], v[5:6], v[145:146]
	v_mul_f64 v[145:146], v[7:8], v[145:146]
	s_waitcnt vmcnt(48)
	v_fma_f64 v[153:154], v[115:116], v[193:194], -v[153:154]
	v_add_f64 v[119:120], v[119:120], v[131:132]
	v_fma_f64 v[131:132], v[117:118], v[193:194], v[151:152]
	v_add_f64 v[121:122], v[121:122], v[125:126]
	ds_read_b128 v[115:118], v157 offset:1536
	s_waitcnt vmcnt(47) lgkmcnt(1)
	v_mul_f64 v[125:126], v[1:2], v[147:148]
	v_mul_f64 v[147:148], v[3:4], v[147:148]
	s_waitcnt vmcnt(45)
	v_fma_f64 v[145:146], v[5:6], v[127:128], -v[145:146]
	v_fma_f64 v[127:128], v[7:8], v[127:128], v[182:183]
	ds_read_b128 v[5:8], v157 offset:1552
	v_add_f64 v[119:120], v[119:120], v[153:154]
	v_add_f64 v[121:122], v[121:122], v[131:132]
	s_waitcnt vmcnt(41) lgkmcnt(1)
	v_mul_f64 v[131:132], v[115:116], v[123:124]
	v_mul_f64 v[123:124], v[117:118], v[123:124]
	s_waitcnt vmcnt(40)
	v_fma_f64 v[147:148], v[1:2], v[155:156], -v[147:148]
	v_fma_f64 v[125:126], v[3:4], v[155:156], v[125:126]
	ds_read_b128 v[1:4], v157 offset:1568
	v_add_f64 v[119:120], v[119:120], v[145:146]
	v_add_f64 v[121:122], v[121:122], v[127:128]
	;; [unrolled: 9-line block ×3, first 2 shown]
	s_waitcnt vmcnt(33) lgkmcnt(1)
	v_mul_f64 v[125:126], v[1:2], v[129:130]
	v_mul_f64 v[129:130], v[3:4], v[129:130]
	s_waitcnt vmcnt(32)
	v_fma_f64 v[133:134], v[5:6], v[149:150], -v[143:144]
	v_add_f64 v[119:120], v[119:120], v[123:124]
	v_fma_f64 v[123:124], v[7:8], v[149:150], v[127:128]
	v_add_f64 v[121:122], v[121:122], v[131:132]
	ds_read_b128 v[5:8], v157 offset:1600
	s_waitcnt vmcnt(31) lgkmcnt(1)
	v_mul_f64 v[131:132], v[117:118], v[160:161]
	v_mul_f64 v[127:128], v[115:116], v[160:161]
	s_waitcnt vmcnt(29)
	v_fma_f64 v[125:126], v[3:4], v[139:140], v[125:126]
	v_fma_f64 v[129:130], v[1:2], v[139:140], -v[129:130]
	ds_read_b128 v[1:4], v157 offset:1616
	v_add_f64 v[119:120], v[119:120], v[133:134]
	v_add_f64 v[121:122], v[121:122], v[123:124]
	s_waitcnt vmcnt(25) lgkmcnt(1)
	v_mul_f64 v[133:134], v[7:8], v[135:136]
	s_waitcnt vmcnt(24)
	v_fma_f64 v[131:132], v[115:116], v[162:163], -v[131:132]
	v_mul_f64 v[123:124], v[5:6], v[135:136]
	v_fma_f64 v[127:128], v[117:118], v[162:163], v[127:128]
	ds_read_b128 v[115:118], v157 offset:1632
	v_add_f64 v[119:120], v[119:120], v[129:130]
	v_add_f64 v[121:122], v[121:122], v[125:126]
	s_waitcnt vmcnt(23) lgkmcnt(1)
	v_mul_f64 v[129:130], v[3:4], v[166:167]
	v_mul_f64 v[125:126], v[1:2], v[166:167]
	s_waitcnt vmcnt(21)
	v_fma_f64 v[133:134], v[5:6], v[137:138], -v[133:134]
	v_fma_f64 v[123:124], v[7:8], v[137:138], v[123:124]
	ds_read_b128 v[5:8], v157 offset:1648
	v_add_f64 v[119:120], v[119:120], v[131:132]
	v_add_f64 v[121:122], v[121:122], v[127:128]
	s_waitcnt vmcnt(17) lgkmcnt(1)
	v_mul_f64 v[131:132], v[117:118], v[141:142]
	s_waitcnt vmcnt(16)
	v_fma_f64 v[129:130], v[1:2], v[170:171], -v[129:130]
	v_mul_f64 v[127:128], v[115:116], v[141:142]
	v_fma_f64 v[125:126], v[3:4], v[170:171], v[125:126]
	ds_read_b128 v[1:4], v157 offset:1664
	v_add_f64 v[119:120], v[119:120], v[133:134]
	v_add_f64 v[121:122], v[121:122], v[123:124]
	s_waitcnt vmcnt(15) lgkmcnt(1)
	v_mul_f64 v[133:134], v[7:8], v[176:177]
	v_mul_f64 v[123:124], v[5:6], v[176:177]
	s_waitcnt vmcnt(13)
	v_fma_f64 v[131:132], v[115:116], v[158:159], -v[131:132]
	v_fma_f64 v[127:128], v[117:118], v[158:159], v[127:128]
	ds_read_b128 v[115:118], v157 offset:1680
	v_add_f64 v[119:120], v[119:120], v[129:130]
	v_add_f64 v[121:122], v[121:122], v[125:126]
	s_waitcnt vmcnt(9) lgkmcnt(1)
	v_mul_f64 v[129:130], v[3:4], v[164:165]
	s_waitcnt vmcnt(8)
	v_fma_f64 v[5:6], v[5:6], v[180:181], -v[133:134]
	v_mul_f64 v[125:126], v[1:2], v[164:165]
	v_fma_f64 v[7:8], v[7:8], v[180:181], v[123:124]
	v_add_f64 v[119:120], v[119:120], v[131:132]
	v_add_f64 v[121:122], v[121:122], v[127:128]
	s_waitcnt vmcnt(7) lgkmcnt(0)
	v_mul_f64 v[127:128], v[117:118], v[186:187]
	v_mul_f64 v[123:124], v[115:116], v[186:187]
	s_waitcnt vmcnt(5)
	v_fma_f64 v[1:2], v[1:2], v[168:169], -v[129:130]
	v_fma_f64 v[3:4], v[3:4], v[168:169], v[125:126]
	v_add_f64 v[5:6], v[119:120], v[5:6]
	v_add_f64 v[7:8], v[121:122], v[7:8]
	s_waitcnt vmcnt(4)
	v_fma_f64 v[115:116], v[115:116], v[190:191], -v[127:128]
	v_add_f64 v[1:2], v[5:6], v[1:2]
	v_fma_f64 v[5:6], v[117:118], v[190:191], v[123:124]
	v_add_f64 v[3:4], v[7:8], v[3:4]
	v_add_f64 v[1:2], v[1:2], v[115:116]
	v_add_f64 v[3:4], v[3:4], v[5:6]
	s_waitcnt vmcnt(2)
	v_add_f64 v[1:2], v[172:173], -v[1:2]
	s_waitcnt vmcnt(0)
	v_add_f64 v[3:4], v[178:179], -v[3:4]
	buffer_store_dword v2, off, s[0:3], 0 offset:324
	buffer_store_dword v1, off, s[0:3], 0 offset:320
	buffer_store_dword v4, off, s[0:3], 0 offset:332
	buffer_store_dword v3, off, s[0:3], 0 offset:328
	v_cmpx_lt_u32_e32 18, v0
	s_cbranch_execz .LBB116_295
; %bb.294:
	v_mov_b32_e32 v4, s47
	s_clause 0x3
	buffer_load_dword v1, v4, s[0:3], 0 offen
	buffer_load_dword v2, v4, s[0:3], 0 offen offset:4
	buffer_load_dword v3, v4, s[0:3], 0 offen offset:8
	;; [unrolled: 1-line block ×3, first 2 shown]
	buffer_store_dword v157, off, s[0:3], 0 offset:304
	buffer_store_dword v157, off, s[0:3], 0 offset:308
	;; [unrolled: 1-line block ×4, first 2 shown]
	s_waitcnt vmcnt(0)
	ds_write_b128 v175, v[1:4]
.LBB116_295:
	s_or_b32 exec_lo, exec_lo, s4
	s_waitcnt lgkmcnt(0)
	s_waitcnt_vscnt null, 0x0
	s_barrier
	buffer_gl0_inv
	s_clause 0x37
	buffer_load_dword v115, off, s[0:3], 0 offset:328
	buffer_load_dword v116, off, s[0:3], 0 offset:332
	;; [unrolled: 1-line block ×56, first 2 shown]
	ds_read_b128 v[158:161], v157 offset:1152
	s_clause 0x2
	buffer_load_dword v179, off, s[0:3], 0 offset:556
	buffer_load_dword v181, off, s[0:3], 0 offset:532
	;; [unrolled: 1-line block ×3, first 2 shown]
	ds_read_b128 v[162:165], v157 offset:1168
	s_clause 0x4
	buffer_load_dword v185, off, s[0:3], 0 offset:572
	buffer_load_dword v186, off, s[0:3], 0 offset:584
	buffer_load_dword v188, off, s[0:3], 0 offset:576
	buffer_load_dword v184, off, s[0:3], 0 offset:568
	buffer_load_dword v156, off, s[0:3], 0 offset:548
	ds_read_b128 v[166:169], v157 offset:1184
	s_clause 0x2
	buffer_load_dword v187, off, s[0:3], 0 offset:588
	buffer_load_dword v192, off, s[0:3], 0 offset:564
	;; [unrolled: 1-line block ×3, first 2 shown]
	s_mov_b32 s4, exec_lo
	s_waitcnt vmcnt(62) lgkmcnt(2)
	v_mul_f64 v[182:183], v[160:161], v[115:116]
	v_mul_f64 v[115:116], v[158:159], v[115:116]
	s_waitcnt lgkmcnt(1)
	v_mul_f64 v[189:190], v[164:165], v[5:6]
	s_waitcnt vmcnt(59) lgkmcnt(0)
	v_mul_f64 v[193:194], v[168:169], v[3:4]
	v_fma_f64 v[158:159], v[158:159], v[7:8], -v[182:183]
	v_mul_f64 v[182:183], v[162:163], v[5:6]
	v_fma_f64 v[115:116], v[160:161], v[7:8], v[115:116]
	s_waitcnt vmcnt(57)
	v_fma_f64 v[162:163], v[162:163], v[1:2], -v[189:190]
	ds_read_b128 v[5:8], v157 offset:1200
	v_mul_f64 v[160:161], v[166:167], v[3:4]
	s_waitcnt vmcnt(51)
	v_fma_f64 v[166:167], v[166:167], v[131:132], -v[193:194]
	v_add_f64 v[158:159], v[158:159], 0
	v_fma_f64 v[164:165], v[164:165], v[1:2], v[182:183]
	v_add_f64 v[115:116], v[115:116], 0
	s_clause 0x4
	buffer_load_dword v183, off, s[0:3], 0 offset:604
	buffer_load_dword v195, off, s[0:3], 0 offset:616
	buffer_load_dword v197, off, s[0:3], 0 offset:608
	buffer_load_dword v182, off, s[0:3], 0 offset:600
	buffer_load_dword v189, off, s[0:3], 0 offset:580
	s_waitcnt lgkmcnt(0)
	v_mul_f64 v[198:199], v[5:6], v[119:120]
	v_mul_f64 v[119:120], v[7:8], v[119:120]
	ds_read_b128 v[1:4], v157 offset:1216
	v_fma_f64 v[131:132], v[168:169], v[131:132], v[160:161]
	v_add_f64 v[162:163], v[158:159], v[162:163]
	v_add_f64 v[115:116], v[115:116], v[164:165]
	s_clause 0x2
	buffer_load_dword v196, off, s[0:3], 0 offset:620
	buffer_load_dword v165, off, s[0:3], 0 offset:596
	;; [unrolled: 1-line block ×3, first 2 shown]
	s_waitcnt vmcnt(58) lgkmcnt(0)
	v_mul_f64 v[168:169], v[1:2], v[123:124]
	v_mul_f64 v[123:124], v[3:4], v[123:124]
	s_waitcnt vmcnt(56)
	v_fma_f64 v[119:120], v[5:6], v[125:126], -v[119:120]
	ds_read_b128 v[158:161], v157 offset:1232
	v_fma_f64 v[125:126], v[7:8], v[125:126], v[198:199]
	v_add_f64 v[162:163], v[162:163], v[166:167]
	v_add_f64 v[115:116], v[115:116], v[131:132]
	s_clause 0x4
	buffer_load_dword v132, off, s[0:3], 0 offset:636
	buffer_load_dword v166, off, s[0:3], 0 offset:648
	;; [unrolled: 1-line block ×5, first 2 shown]
	ds_read_b128 v[5:8], v157 offset:1248
	s_waitcnt vmcnt(57) lgkmcnt(1)
	v_mul_f64 v[199:200], v[158:159], v[127:128]
	v_mul_f64 v[127:128], v[160:161], v[127:128]
	s_waitcnt vmcnt(56)
	v_fma_f64 v[123:124], v[1:2], v[117:118], -v[123:124]
	v_fma_f64 v[117:118], v[3:4], v[117:118], v[168:169]
	v_add_f64 v[119:120], v[162:163], v[119:120]
	v_add_f64 v[115:116], v[115:116], v[125:126]
	s_clause 0x2
	buffer_load_dword v167, off, s[0:3], 0 offset:652
	buffer_load_dword v126, off, s[0:3], 0 offset:628
	buffer_load_dword v125, off, s[0:3], 0 offset:624
	s_waitcnt vmcnt(58) lgkmcnt(0)
	v_mul_f64 v[162:163], v[5:6], v[133:134]
	v_mul_f64 v[133:134], v[7:8], v[133:134]
	s_waitcnt vmcnt(56)
	v_fma_f64 v[127:128], v[158:159], v[135:136], -v[127:128]
	ds_read_b128 v[1:4], v157 offset:1264
	v_add_f64 v[119:120], v[119:120], v[123:124]
	v_fma_f64 v[123:124], v[160:161], v[135:136], v[199:200]
	v_add_f64 v[135:136], v[115:116], v[117:118]
	s_clause 0x4
	buffer_load_dword v159, off, s[0:3], 0 offset:668
	buffer_load_dword v160, off, s[0:3], 0 offset:680
	;; [unrolled: 1-line block ×5, first 2 shown]
	ds_read_b128 v[115:118], v157 offset:1280
	s_waitcnt vmcnt(57) lgkmcnt(1)
	v_mul_f64 v[199:200], v[1:2], v[137:138]
	v_mul_f64 v[137:138], v[3:4], v[137:138]
	s_waitcnt vmcnt(56)
	v_fma_f64 v[133:134], v[5:6], v[121:122], -v[133:134]
	v_fma_f64 v[121:122], v[7:8], v[121:122], v[162:163]
	v_add_f64 v[119:120], v[119:120], v[127:128]
	s_clause 0x2
	buffer_load_dword v161, off, s[0:3], 0 offset:684
	buffer_load_dword v128, off, s[0:3], 0 offset:660
	;; [unrolled: 1-line block ×3, first 2 shown]
	v_add_f64 v[123:124], v[135:136], v[123:124]
	s_waitcnt vmcnt(58) lgkmcnt(0)
	v_mul_f64 v[135:136], v[115:116], v[141:142]
	v_mul_f64 v[141:142], v[117:118], v[141:142]
	ds_read_b128 v[5:8], v157 offset:1296
	s_waitcnt vmcnt(56)
	v_fma_f64 v[137:138], v[1:2], v[143:144], -v[137:138]
	v_add_f64 v[119:120], v[119:120], v[133:134]
	v_fma_f64 v[133:134], v[3:4], v[143:144], v[199:200]
	v_add_f64 v[121:122], v[123:124], v[121:122]
	s_clause 0x4
	buffer_load_dword v124, off, s[0:3], 0 offset:700
	buffer_load_dword v143, off, s[0:3], 0 offset:712
	;; [unrolled: 1-line block ×5, first 2 shown]
	s_waitcnt vmcnt(57) lgkmcnt(0)
	v_mul_f64 v[199:200], v[5:6], v[145:146]
	v_mul_f64 v[145:146], v[7:8], v[145:146]
	s_waitcnt vmcnt(56)
	v_fma_f64 v[141:142], v[115:116], v[129:130], -v[141:142]
	ds_read_b128 v[1:4], v157 offset:1312
	v_fma_f64 v[129:130], v[117:118], v[129:130], v[135:136]
	v_add_f64 v[119:120], v[119:120], v[137:138]
	v_add_f64 v[121:122], v[121:122], v[133:134]
	s_clause 0x2
	buffer_load_dword v144, off, s[0:3], 0 offset:716
	buffer_load_dword v134, off, s[0:3], 0 offset:692
	;; [unrolled: 1-line block ×3, first 2 shown]
	ds_read_b128 v[115:118], v157 offset:1328
	s_waitcnt vmcnt(58) lgkmcnt(1)
	v_mul_f64 v[137:138], v[3:4], v[149:150]
	s_waitcnt vmcnt(56)
	v_fma_f64 v[145:146], v[5:6], v[151:152], -v[145:146]
	v_mul_f64 v[135:136], v[1:2], v[149:150]
	v_add_f64 v[119:120], v[119:120], v[141:142]
	v_fma_f64 v[141:142], v[7:8], v[151:152], v[199:200]
	v_add_f64 v[121:122], v[121:122], v[129:130]
	s_clause 0x4
	buffer_load_dword v130, off, s[0:3], 0 offset:732
	buffer_load_dword v149, off, s[0:3], 0 offset:744
	;; [unrolled: 1-line block ×5, first 2 shown]
	s_waitcnt vmcnt(57) lgkmcnt(0)
	v_mul_f64 v[199:200], v[115:116], v[153:154]
	v_mul_f64 v[152:153], v[117:118], v[153:154]
	s_waitcnt vmcnt(56)
	v_fma_f64 v[137:138], v[1:2], v[139:140], -v[137:138]
	ds_read_b128 v[5:8], v157 offset:1344
	v_fma_f64 v[135:136], v[3:4], v[139:140], v[135:136]
	s_clause 0x2
	buffer_load_dword v150, off, s[0:3], 0 offset:748
	buffer_load_dword v140, off, s[0:3], 0 offset:724
	;; [unrolled: 1-line block ×3, first 2 shown]
	ds_read_b128 v[1:4], v157 offset:1360
	v_add_f64 v[119:120], v[119:120], v[145:146]
	v_add_f64 v[121:122], v[121:122], v[141:142]
	s_waitcnt vmcnt(58) lgkmcnt(1)
	v_mul_f64 v[145:146], v[7:8], v[170:171]
	s_waitcnt vmcnt(56)
	v_fma_f64 v[153:154], v[115:116], v[172:173], -v[152:153]
	v_mul_f64 v[141:142], v[5:6], v[170:171]
	v_add_f64 v[119:120], v[119:120], v[137:138]
	v_fma_f64 v[137:138], v[117:118], v[172:173], v[199:200]
	v_add_f64 v[121:122], v[121:122], v[135:136]
	s_clause 0x4
	buffer_load_dword v136, off, s[0:3], 0 offset:764
	buffer_load_dword v170, off, s[0:3], 0 offset:776
	;; [unrolled: 1-line block ×5, first 2 shown]
	s_waitcnt vmcnt(57) lgkmcnt(0)
	v_mul_f64 v[173:174], v[1:2], v[176:177]
	v_mul_f64 v[176:177], v[3:4], v[176:177]
	s_waitcnt vmcnt(56)
	v_fma_f64 v[145:146], v[5:6], v[147:148], -v[145:146]
	ds_read_b128 v[115:118], v157 offset:1376
	v_fma_f64 v[141:142], v[7:8], v[147:148], v[141:142]
	v_add_f64 v[119:120], v[119:120], v[153:154]
	v_add_f64 v[121:122], v[121:122], v[137:138]
	s_clause 0x2
	buffer_load_dword v171, off, s[0:3], 0 offset:780
	buffer_load_dword v138, off, s[0:3], 0 offset:756
	buffer_load_dword v137, off, s[0:3], 0 offset:752
	ds_read_b128 v[5:8], v157 offset:1392
	s_waitcnt vmcnt(58) lgkmcnt(1)
	v_mul_f64 v[153:154], v[117:118], v[178:179]
	s_waitcnt vmcnt(56)
	v_fma_f64 v[176:177], v[1:2], v[180:181], -v[176:177]
	v_mul_f64 v[147:148], v[115:116], v[178:179]
	v_add_f64 v[119:120], v[119:120], v[145:146]
	v_fma_f64 v[145:146], v[3:4], v[180:181], v[173:174]
	v_add_f64 v[121:122], v[121:122], v[141:142]
	s_clause 0x4
	buffer_load_dword v142, off, s[0:3], 0 offset:796
	buffer_load_dword v178, off, s[0:3], 0 offset:808
	;; [unrolled: 1-line block ×5, first 2 shown]
	s_waitcnt vmcnt(57) lgkmcnt(0)
	v_mul_f64 v[199:200], v[5:6], v[184:185]
	v_mul_f64 v[184:185], v[7:8], v[184:185]
	s_waitcnt vmcnt(56)
	v_fma_f64 v[153:154], v[115:116], v[155:156], -v[153:154]
	ds_read_b128 v[1:4], v157 offset:1408
	v_fma_f64 v[147:148], v[117:118], v[155:156], v[147:148]
	v_add_f64 v[119:120], v[119:120], v[176:177]
	v_add_f64 v[121:122], v[121:122], v[145:146]
	s_clause 0x2
	buffer_load_dword v179, off, s[0:3], 0 offset:812
	buffer_load_dword v146, off, s[0:3], 0 offset:788
	;; [unrolled: 1-line block ×3, first 2 shown]
	ds_read_b128 v[115:118], v157 offset:1424
	s_waitcnt vmcnt(58) lgkmcnt(1)
	v_mul_f64 v[176:177], v[3:4], v[186:187]
	s_waitcnt vmcnt(56)
	v_fma_f64 v[184:185], v[5:6], v[191:192], -v[184:185]
	v_mul_f64 v[155:156], v[1:2], v[186:187]
	v_add_f64 v[119:120], v[119:120], v[153:154]
	v_fma_f64 v[153:154], v[7:8], v[191:192], v[199:200]
	v_add_f64 v[121:122], v[121:122], v[147:148]
	s_clause 0x4
	buffer_load_dword v148, off, s[0:3], 0 offset:828
	buffer_load_dword v186, off, s[0:3], 0 offset:840
	;; [unrolled: 1-line block ×5, first 2 shown]
	ds_read_b128 v[5:8], v157 offset:1440
	s_waitcnt vmcnt(57) lgkmcnt(1)
	v_mul_f64 v[191:192], v[115:116], v[182:183]
	v_mul_f64 v[182:183], v[117:118], v[182:183]
	s_waitcnt vmcnt(56)
	v_fma_f64 v[176:177], v[1:2], v[188:189], -v[176:177]
	v_fma_f64 v[155:156], v[3:4], v[188:189], v[155:156]
	v_add_f64 v[119:120], v[119:120], v[184:185]
	v_add_f64 v[121:122], v[121:122], v[153:154]
	s_clause 0x2
	buffer_load_dword v187, off, s[0:3], 0 offset:844
	buffer_load_dword v154, off, s[0:3], 0 offset:820
	;; [unrolled: 1-line block ×3, first 2 shown]
	ds_read_b128 v[1:4], v157 offset:1456
	s_waitcnt vmcnt(58) lgkmcnt(1)
	v_mul_f64 v[188:189], v[7:8], v[195:196]
	v_mul_f64 v[184:185], v[5:6], v[195:196]
	s_waitcnt vmcnt(56)
	v_fma_f64 v[182:183], v[115:116], v[164:165], -v[182:183]
	v_fma_f64 v[164:165], v[117:118], v[164:165], v[191:192]
	v_add_f64 v[119:120], v[119:120], v[176:177]
	v_add_f64 v[121:122], v[121:122], v[155:156]
	s_clause 0x2
	buffer_load_dword v156, off, s[0:3], 0 offset:860
	buffer_load_dword v155, off, s[0:3], 0 offset:856
	;; [unrolled: 1-line block ×3, first 2 shown]
	ds_read_b128 v[115:118], v157 offset:1472
	s_waitcnt vmcnt(55) lgkmcnt(1)
	v_mul_f64 v[176:177], v[1:2], v[131:132]
	v_mul_f64 v[131:132], v[3:4], v[131:132]
	s_waitcnt vmcnt(54)
	v_fma_f64 v[188:189], v[5:6], v[197:198], -v[188:189]
	v_add_f64 v[119:120], v[119:120], v[182:183]
	v_fma_f64 v[182:183], v[7:8], v[197:198], v[184:185]
	v_add_f64 v[121:122], v[121:122], v[164:165]
	s_clause 0x1
	buffer_load_dword v165, off, s[0:3], 0 offset:852
	buffer_load_dword v164, off, s[0:3], 0 offset:848
	ds_read_b128 v[5:8], v157 offset:1488
	s_waitcnt vmcnt(55) lgkmcnt(1)
	v_mul_f64 v[184:185], v[115:116], v[166:167]
	v_mul_f64 v[166:167], v[117:118], v[166:167]
	s_waitcnt vmcnt(53)
	v_fma_f64 v[131:132], v[1:2], v[125:126], -v[131:132]
	v_fma_f64 v[125:126], v[3:4], v[125:126], v[176:177]
	ds_read_b128 v[1:4], v157 offset:1504
	v_add_f64 v[119:120], v[119:120], v[188:189]
	v_add_f64 v[121:122], v[121:122], v[182:183]
	s_waitcnt vmcnt(49) lgkmcnt(1)
	v_mul_f64 v[176:177], v[5:6], v[158:159]
	v_mul_f64 v[158:159], v[7:8], v[158:159]
	s_waitcnt vmcnt(48)
	v_fma_f64 v[166:167], v[115:116], v[193:194], -v[166:167]
	v_add_f64 v[119:120], v[119:120], v[131:132]
	v_fma_f64 v[131:132], v[117:118], v[193:194], v[184:185]
	v_add_f64 v[121:122], v[121:122], v[125:126]
	s_clause 0x3
	buffer_load_dword v125, off, s[0:3], 0 offset:304
	buffer_load_dword v126, off, s[0:3], 0 offset:308
	;; [unrolled: 1-line block ×4, first 2 shown]
	ds_read_b128 v[115:118], v157 offset:1520
	s_waitcnt vmcnt(51) lgkmcnt(1)
	v_mul_f64 v[184:185], v[1:2], v[160:161]
	v_mul_f64 v[160:161], v[3:4], v[160:161]
	s_waitcnt vmcnt(49)
	v_fma_f64 v[158:159], v[5:6], v[127:128], -v[158:159]
	v_fma_f64 v[127:128], v[7:8], v[127:128], v[176:177]
	ds_read_b128 v[5:8], v157 offset:1536
	v_add_f64 v[119:120], v[119:120], v[166:167]
	v_add_f64 v[121:122], v[121:122], v[131:132]
	s_waitcnt vmcnt(45) lgkmcnt(1)
	v_mul_f64 v[131:132], v[115:116], v[123:124]
	v_mul_f64 v[123:124], v[117:118], v[123:124]
	s_waitcnt vmcnt(44)
	v_fma_f64 v[160:161], v[1:2], v[168:169], -v[160:161]
	v_add_f64 v[119:120], v[119:120], v[158:159]
	v_fma_f64 v[158:159], v[3:4], v[168:169], v[184:185]
	v_add_f64 v[121:122], v[121:122], v[127:128]
	ds_read_b128 v[1:4], v157 offset:1552
	s_waitcnt vmcnt(43) lgkmcnt(1)
	v_mul_f64 v[127:128], v[5:6], v[143:144]
	v_mul_f64 v[143:144], v[7:8], v[143:144]
	s_waitcnt vmcnt(41)
	v_fma_f64 v[123:124], v[115:116], v[133:134], -v[123:124]
	v_fma_f64 v[131:132], v[117:118], v[133:134], v[131:132]
	ds_read_b128 v[115:118], v157 offset:1568
	v_add_f64 v[119:120], v[119:120], v[160:161]
	v_add_f64 v[121:122], v[121:122], v[158:159]
	s_waitcnt vmcnt(37) lgkmcnt(1)
	v_mul_f64 v[133:134], v[1:2], v[129:130]
	v_mul_f64 v[129:130], v[3:4], v[129:130]
	s_waitcnt vmcnt(36)
	v_fma_f64 v[143:144], v[5:6], v[162:163], -v[143:144]
	v_add_f64 v[119:120], v[119:120], v[123:124]
	v_fma_f64 v[123:124], v[7:8], v[162:163], v[127:128]
	v_add_f64 v[121:122], v[121:122], v[131:132]
	s_waitcnt vmcnt(35) lgkmcnt(0)
	v_mul_f64 v[131:132], v[117:118], v[149:150]
	ds_read_b128 v[5:8], v157 offset:1584
	v_mul_f64 v[127:128], v[115:116], v[149:150]
	s_waitcnt vmcnt(33)
	v_fma_f64 v[133:134], v[3:4], v[139:140], v[133:134]
	v_fma_f64 v[129:130], v[1:2], v[139:140], -v[129:130]
	ds_read_b128 v[1:4], v157 offset:1600
	v_add_f64 v[119:120], v[119:120], v[143:144]
	v_add_f64 v[121:122], v[121:122], v[123:124]
	s_waitcnt vmcnt(29) lgkmcnt(1)
	v_mul_f64 v[123:124], v[5:6], v[135:136]
	v_mul_f64 v[135:136], v[7:8], v[135:136]
	s_waitcnt vmcnt(28)
	v_fma_f64 v[131:132], v[115:116], v[151:152], -v[131:132]
	v_fma_f64 v[127:128], v[117:118], v[151:152], v[127:128]
	ds_read_b128 v[115:118], v157 offset:1616
	v_add_f64 v[119:120], v[119:120], v[129:130]
	v_add_f64 v[121:122], v[121:122], v[133:134]
	s_waitcnt vmcnt(27) lgkmcnt(1)
	v_mul_f64 v[133:134], v[3:4], v[170:171]
	v_mul_f64 v[129:130], v[1:2], v[170:171]
	s_waitcnt vmcnt(25)
	v_fma_f64 v[135:136], v[5:6], v[137:138], -v[135:136]
	v_fma_f64 v[123:124], v[7:8], v[137:138], v[123:124]
	ds_read_b128 v[5:8], v157 offset:1632
	v_add_f64 v[119:120], v[119:120], v[131:132]
	v_add_f64 v[121:122], v[121:122], v[127:128]
	s_waitcnt vmcnt(21) lgkmcnt(1)
	v_mul_f64 v[131:132], v[117:118], v[141:142]
	s_waitcnt vmcnt(20)
	v_fma_f64 v[133:134], v[1:2], v[172:173], -v[133:134]
	v_mul_f64 v[127:128], v[115:116], v[141:142]
	v_fma_f64 v[129:130], v[3:4], v[172:173], v[129:130]
	ds_read_b128 v[1:4], v157 offset:1648
	v_add_f64 v[119:120], v[119:120], v[135:136]
	v_add_f64 v[121:122], v[121:122], v[123:124]
	s_waitcnt vmcnt(19) lgkmcnt(1)
	v_mul_f64 v[135:136], v[7:8], v[178:179]
	v_mul_f64 v[123:124], v[5:6], v[178:179]
	s_waitcnt vmcnt(17)
	v_fma_f64 v[131:132], v[115:116], v[145:146], -v[131:132]
	v_fma_f64 v[127:128], v[117:118], v[145:146], v[127:128]
	ds_read_b128 v[115:118], v157 offset:1664
	v_add_f64 v[119:120], v[119:120], v[133:134]
	v_add_f64 v[121:122], v[121:122], v[129:130]
	s_waitcnt vmcnt(13) lgkmcnt(1)
	v_mul_f64 v[133:134], v[3:4], v[147:148]
	s_waitcnt vmcnt(12)
	v_fma_f64 v[135:136], v[5:6], v[180:181], -v[135:136]
	v_mul_f64 v[129:130], v[1:2], v[147:148]
	v_fma_f64 v[123:124], v[7:8], v[180:181], v[123:124]
	ds_read_b128 v[5:8], v157 offset:1680
	v_add_f64 v[119:120], v[119:120], v[131:132]
	v_add_f64 v[121:122], v[121:122], v[127:128]
	s_waitcnt vmcnt(11) lgkmcnt(1)
	v_mul_f64 v[131:132], v[117:118], v[186:187]
	v_mul_f64 v[127:128], v[115:116], v[186:187]
	s_waitcnt vmcnt(9)
	v_fma_f64 v[1:2], v[1:2], v[153:154], -v[133:134]
	v_fma_f64 v[3:4], v[3:4], v[153:154], v[129:130]
	v_add_f64 v[119:120], v[119:120], v[135:136]
	v_add_f64 v[121:122], v[121:122], v[123:124]
	s_waitcnt vmcnt(7) lgkmcnt(0)
	v_mul_f64 v[129:130], v[7:8], v[155:156]
	s_waitcnt vmcnt(6)
	v_fma_f64 v[115:116], v[115:116], v[190:191], -v[131:132]
	v_mul_f64 v[123:124], v[5:6], v[155:156]
	v_fma_f64 v[117:118], v[117:118], v[190:191], v[127:128]
	v_add_f64 v[1:2], v[119:120], v[1:2]
	v_add_f64 v[3:4], v[121:122], v[3:4]
	s_waitcnt vmcnt(4)
	v_fma_f64 v[5:6], v[5:6], v[164:165], -v[129:130]
	v_fma_f64 v[7:8], v[7:8], v[164:165], v[123:124]
	v_add_f64 v[1:2], v[1:2], v[115:116]
	v_add_f64 v[3:4], v[3:4], v[117:118]
	;; [unrolled: 1-line block ×4, first 2 shown]
	s_waitcnt vmcnt(2)
	v_add_f64 v[1:2], v[125:126], -v[1:2]
	s_waitcnt vmcnt(0)
	v_add_f64 v[3:4], v[182:183], -v[3:4]
	buffer_store_dword v2, off, s[0:3], 0 offset:308
	buffer_store_dword v1, off, s[0:3], 0 offset:304
	;; [unrolled: 1-line block ×4, first 2 shown]
	v_cmpx_lt_u32_e32 17, v0
	s_cbranch_execz .LBB116_297
; %bb.296:
	v_mov_b32_e32 v4, s48
	v_mov_b32_e32 v5, 0
	s_clause 0x3
	buffer_load_dword v1, v4, s[0:3], 0 offen
	buffer_load_dword v2, v4, s[0:3], 0 offen offset:4
	buffer_load_dword v3, v4, s[0:3], 0 offen offset:8
	;; [unrolled: 1-line block ×3, first 2 shown]
	buffer_store_dword v5, off, s[0:3], 0 offset:288
	buffer_store_dword v5, off, s[0:3], 0 offset:292
	;; [unrolled: 1-line block ×4, first 2 shown]
	s_waitcnt vmcnt(0)
	ds_write_b128 v175, v[1:4]
.LBB116_297:
	s_or_b32 exec_lo, exec_lo, s4
	s_waitcnt lgkmcnt(0)
	s_waitcnt_vscnt null, 0x0
	s_barrier
	buffer_gl0_inv
	s_clause 0x37
	buffer_load_dword v115, off, s[0:3], 0 offset:312
	buffer_load_dword v116, off, s[0:3], 0 offset:316
	;; [unrolled: 1-line block ×56, first 2 shown]
	v_mov_b32_e32 v167, 0
	s_mov_b32 s4, exec_lo
	ds_read_b128 v[168:171], v167 offset:1136
	s_clause 0x2
	buffer_load_dword v164, off, s[0:3], 0 offset:540
	buffer_load_dword v166, off, s[0:3], 0 offset:516
	;; [unrolled: 1-line block ×3, first 2 shown]
	ds_read_b128 v[176:179], v167 offset:1152
	s_clause 0x4
	buffer_load_dword v185, off, s[0:3], 0 offset:556
	buffer_load_dword v186, off, s[0:3], 0 offset:568
	buffer_load_dword v188, off, s[0:3], 0 offset:560
	buffer_load_dword v184, off, s[0:3], 0 offset:552
	buffer_load_dword v156, off, s[0:3], 0 offset:532
	ds_read_b128 v[180:183], v167 offset:1168
	s_clause 0x2
	buffer_load_dword v187, off, s[0:3], 0 offset:572
	buffer_load_dword v192, off, s[0:3], 0 offset:548
	buffer_load_dword v191, off, s[0:3], 0 offset:544
	s_waitcnt vmcnt(62) lgkmcnt(2)
	v_mul_f64 v[172:173], v[170:171], v[115:116]
	v_mul_f64 v[115:116], v[168:169], v[115:116]
	s_waitcnt lgkmcnt(1)
	v_mul_f64 v[189:190], v[178:179], v[5:6]
	s_waitcnt vmcnt(59) lgkmcnt(0)
	v_mul_f64 v[193:194], v[182:183], v[3:4]
	v_fma_f64 v[168:169], v[168:169], v[7:8], -v[172:173]
	v_mul_f64 v[172:173], v[176:177], v[5:6]
	v_fma_f64 v[115:116], v[170:171], v[7:8], v[115:116]
	s_waitcnt vmcnt(57)
	v_fma_f64 v[176:177], v[176:177], v[1:2], -v[189:190]
	ds_read_b128 v[5:8], v167 offset:1184
	v_mul_f64 v[170:171], v[180:181], v[3:4]
	s_waitcnt vmcnt(51)
	v_fma_f64 v[180:181], v[180:181], v[131:132], -v[193:194]
	v_add_f64 v[168:169], v[168:169], 0
	v_fma_f64 v[172:173], v[178:179], v[1:2], v[172:173]
	v_add_f64 v[115:116], v[115:116], 0
	s_clause 0x4
	buffer_load_dword v179, off, s[0:3], 0 offset:588
	buffer_load_dword v195, off, s[0:3], 0 offset:600
	;; [unrolled: 1-line block ×5, first 2 shown]
	s_waitcnt lgkmcnt(0)
	v_mul_f64 v[198:199], v[5:6], v[119:120]
	v_mul_f64 v[119:120], v[7:8], v[119:120]
	ds_read_b128 v[1:4], v167 offset:1200
	v_fma_f64 v[131:132], v[182:183], v[131:132], v[170:171]
	v_add_f64 v[176:177], v[168:169], v[176:177]
	v_add_f64 v[115:116], v[115:116], v[172:173]
	s_clause 0x2
	buffer_load_dword v196, off, s[0:3], 0 offset:604
	buffer_load_dword v173, off, s[0:3], 0 offset:580
	;; [unrolled: 1-line block ×3, first 2 shown]
	s_waitcnt vmcnt(58) lgkmcnt(0)
	v_mul_f64 v[182:183], v[1:2], v[123:124]
	v_mul_f64 v[123:124], v[3:4], v[123:124]
	s_waitcnt vmcnt(56)
	v_fma_f64 v[119:120], v[5:6], v[125:126], -v[119:120]
	ds_read_b128 v[168:171], v167 offset:1216
	v_fma_f64 v[125:126], v[7:8], v[125:126], v[198:199]
	v_add_f64 v[176:177], v[176:177], v[180:181]
	v_add_f64 v[115:116], v[115:116], v[131:132]
	s_clause 0x4
	buffer_load_dword v132, off, s[0:3], 0 offset:620
	buffer_load_dword v180, off, s[0:3], 0 offset:632
	;; [unrolled: 1-line block ×5, first 2 shown]
	ds_read_b128 v[5:8], v167 offset:1232
	s_waitcnt vmcnt(57) lgkmcnt(1)
	v_mul_f64 v[199:200], v[168:169], v[127:128]
	v_mul_f64 v[127:128], v[170:171], v[127:128]
	s_waitcnt vmcnt(56)
	v_fma_f64 v[123:124], v[1:2], v[117:118], -v[123:124]
	v_fma_f64 v[117:118], v[3:4], v[117:118], v[182:183]
	v_add_f64 v[119:120], v[176:177], v[119:120]
	v_add_f64 v[115:116], v[115:116], v[125:126]
	s_clause 0x2
	buffer_load_dword v181, off, s[0:3], 0 offset:636
	buffer_load_dword v126, off, s[0:3], 0 offset:612
	;; [unrolled: 1-line block ×3, first 2 shown]
	s_waitcnt vmcnt(58) lgkmcnt(0)
	v_mul_f64 v[176:177], v[5:6], v[133:134]
	v_mul_f64 v[133:134], v[7:8], v[133:134]
	s_waitcnt vmcnt(56)
	v_fma_f64 v[127:128], v[168:169], v[135:136], -v[127:128]
	ds_read_b128 v[1:4], v167 offset:1248
	v_add_f64 v[119:120], v[119:120], v[123:124]
	v_fma_f64 v[123:124], v[170:171], v[135:136], v[199:200]
	v_add_f64 v[135:136], v[115:116], v[117:118]
	s_clause 0x4
	buffer_load_dword v169, off, s[0:3], 0 offset:652
	buffer_load_dword v170, off, s[0:3], 0 offset:664
	buffer_load_dword v182, off, s[0:3], 0 offset:656
	buffer_load_dword v168, off, s[0:3], 0 offset:648
	buffer_load_dword v194, off, s[0:3], 0 offset:628
	ds_read_b128 v[115:118], v167 offset:1264
	s_waitcnt vmcnt(57) lgkmcnt(1)
	v_mul_f64 v[199:200], v[1:2], v[137:138]
	v_mul_f64 v[137:138], v[3:4], v[137:138]
	s_waitcnt vmcnt(56)
	v_fma_f64 v[133:134], v[5:6], v[121:122], -v[133:134]
	v_fma_f64 v[121:122], v[7:8], v[121:122], v[176:177]
	v_add_f64 v[119:120], v[119:120], v[127:128]
	s_clause 0x2
	buffer_load_dword v171, off, s[0:3], 0 offset:668
	buffer_load_dword v128, off, s[0:3], 0 offset:644
	;; [unrolled: 1-line block ×3, first 2 shown]
	v_add_f64 v[123:124], v[135:136], v[123:124]
	s_waitcnt vmcnt(58) lgkmcnt(0)
	v_mul_f64 v[135:136], v[115:116], v[141:142]
	v_mul_f64 v[141:142], v[117:118], v[141:142]
	ds_read_b128 v[5:8], v167 offset:1280
	s_waitcnt vmcnt(56)
	v_fma_f64 v[137:138], v[1:2], v[143:144], -v[137:138]
	v_add_f64 v[119:120], v[119:120], v[133:134]
	v_fma_f64 v[133:134], v[3:4], v[143:144], v[199:200]
	v_add_f64 v[121:122], v[123:124], v[121:122]
	s_clause 0x4
	buffer_load_dword v124, off, s[0:3], 0 offset:684
	buffer_load_dword v143, off, s[0:3], 0 offset:696
	;; [unrolled: 1-line block ×5, first 2 shown]
	s_waitcnt vmcnt(57) lgkmcnt(0)
	v_mul_f64 v[199:200], v[5:6], v[145:146]
	v_mul_f64 v[145:146], v[7:8], v[145:146]
	s_waitcnt vmcnt(56)
	v_fma_f64 v[141:142], v[115:116], v[129:130], -v[141:142]
	ds_read_b128 v[1:4], v167 offset:1296
	v_fma_f64 v[129:130], v[117:118], v[129:130], v[135:136]
	v_add_f64 v[119:120], v[119:120], v[137:138]
	v_add_f64 v[121:122], v[121:122], v[133:134]
	s_clause 0x2
	buffer_load_dword v144, off, s[0:3], 0 offset:700
	buffer_load_dword v134, off, s[0:3], 0 offset:676
	;; [unrolled: 1-line block ×3, first 2 shown]
	ds_read_b128 v[115:118], v167 offset:1312
	s_waitcnt vmcnt(58) lgkmcnt(1)
	v_mul_f64 v[137:138], v[3:4], v[149:150]
	s_waitcnt vmcnt(56)
	v_fma_f64 v[145:146], v[5:6], v[151:152], -v[145:146]
	v_mul_f64 v[135:136], v[1:2], v[149:150]
	v_add_f64 v[119:120], v[119:120], v[141:142]
	v_fma_f64 v[141:142], v[7:8], v[151:152], v[199:200]
	v_add_f64 v[121:122], v[121:122], v[129:130]
	s_clause 0x4
	buffer_load_dword v130, off, s[0:3], 0 offset:716
	buffer_load_dword v149, off, s[0:3], 0 offset:728
	;; [unrolled: 1-line block ×5, first 2 shown]
	s_waitcnt vmcnt(57) lgkmcnt(0)
	v_mul_f64 v[199:200], v[115:116], v[153:154]
	v_mul_f64 v[152:153], v[117:118], v[153:154]
	s_waitcnt vmcnt(56)
	v_fma_f64 v[137:138], v[1:2], v[139:140], -v[137:138]
	ds_read_b128 v[5:8], v167 offset:1328
	v_fma_f64 v[135:136], v[3:4], v[139:140], v[135:136]
	s_clause 0x2
	buffer_load_dword v150, off, s[0:3], 0 offset:732
	buffer_load_dword v140, off, s[0:3], 0 offset:708
	;; [unrolled: 1-line block ×3, first 2 shown]
	ds_read_b128 v[1:4], v167 offset:1344
	v_add_f64 v[119:120], v[119:120], v[145:146]
	v_add_f64 v[121:122], v[121:122], v[141:142]
	s_waitcnt vmcnt(58) lgkmcnt(1)
	v_mul_f64 v[145:146], v[7:8], v[157:158]
	s_waitcnt vmcnt(56)
	v_fma_f64 v[153:154], v[115:116], v[159:160], -v[152:153]
	v_mul_f64 v[141:142], v[5:6], v[157:158]
	v_add_f64 v[119:120], v[119:120], v[137:138]
	v_fma_f64 v[137:138], v[117:118], v[159:160], v[199:200]
	v_add_f64 v[121:122], v[121:122], v[135:136]
	s_clause 0x4
	buffer_load_dword v136, off, s[0:3], 0 offset:748
	buffer_load_dword v157, off, s[0:3], 0 offset:760
	;; [unrolled: 1-line block ×5, first 2 shown]
	s_waitcnt vmcnt(57) lgkmcnt(0)
	v_mul_f64 v[199:200], v[1:2], v[161:162]
	v_mul_f64 v[160:161], v[3:4], v[161:162]
	s_waitcnt vmcnt(56)
	v_fma_f64 v[145:146], v[5:6], v[147:148], -v[145:146]
	ds_read_b128 v[115:118], v167 offset:1360
	v_fma_f64 v[141:142], v[7:8], v[147:148], v[141:142]
	v_add_f64 v[119:120], v[119:120], v[153:154]
	v_add_f64 v[121:122], v[121:122], v[137:138]
	s_clause 0x2
	buffer_load_dword v158, off, s[0:3], 0 offset:764
	buffer_load_dword v138, off, s[0:3], 0 offset:740
	;; [unrolled: 1-line block ×3, first 2 shown]
	ds_read_b128 v[5:8], v167 offset:1376
	s_waitcnt vmcnt(58) lgkmcnt(1)
	v_mul_f64 v[153:154], v[117:118], v[163:164]
	s_waitcnt vmcnt(56)
	v_fma_f64 v[161:162], v[1:2], v[165:166], -v[160:161]
	v_mul_f64 v[147:148], v[115:116], v[163:164]
	v_add_f64 v[119:120], v[119:120], v[145:146]
	v_fma_f64 v[145:146], v[3:4], v[165:166], v[199:200]
	v_add_f64 v[121:122], v[121:122], v[141:142]
	s_clause 0x4
	buffer_load_dword v142, off, s[0:3], 0 offset:780
	buffer_load_dword v163, off, s[0:3], 0 offset:792
	;; [unrolled: 1-line block ×5, first 2 shown]
	s_waitcnt vmcnt(57) lgkmcnt(0)
	v_mul_f64 v[199:200], v[5:6], v[184:185]
	v_mul_f64 v[184:185], v[7:8], v[184:185]
	s_waitcnt vmcnt(56)
	v_fma_f64 v[153:154], v[115:116], v[155:156], -v[153:154]
	ds_read_b128 v[1:4], v167 offset:1392
	v_fma_f64 v[147:148], v[117:118], v[155:156], v[147:148]
	v_add_f64 v[119:120], v[119:120], v[161:162]
	v_add_f64 v[121:122], v[121:122], v[145:146]
	s_clause 0x2
	buffer_load_dword v164, off, s[0:3], 0 offset:796
	buffer_load_dword v146, off, s[0:3], 0 offset:772
	;; [unrolled: 1-line block ×3, first 2 shown]
	ds_read_b128 v[115:118], v167 offset:1408
	s_waitcnt vmcnt(58) lgkmcnt(1)
	v_mul_f64 v[161:162], v[3:4], v[186:187]
	s_waitcnt vmcnt(56)
	v_fma_f64 v[184:185], v[5:6], v[191:192], -v[184:185]
	v_mul_f64 v[155:156], v[1:2], v[186:187]
	v_add_f64 v[119:120], v[119:120], v[153:154]
	v_fma_f64 v[153:154], v[7:8], v[191:192], v[199:200]
	v_add_f64 v[121:122], v[121:122], v[147:148]
	s_clause 0x4
	buffer_load_dword v148, off, s[0:3], 0 offset:812
	buffer_load_dword v186, off, s[0:3], 0 offset:824
	buffer_load_dword v190, off, s[0:3], 0 offset:816
	buffer_load_dword v147, off, s[0:3], 0 offset:808
	buffer_load_dword v166, off, s[0:3], 0 offset:788
	ds_read_b128 v[5:8], v167 offset:1424
	s_waitcnt vmcnt(57) lgkmcnt(1)
	v_mul_f64 v[191:192], v[115:116], v[178:179]
	v_mul_f64 v[178:179], v[117:118], v[178:179]
	s_waitcnt vmcnt(56)
	v_fma_f64 v[161:162], v[1:2], v[188:189], -v[161:162]
	v_fma_f64 v[155:156], v[3:4], v[188:189], v[155:156]
	v_add_f64 v[119:120], v[119:120], v[184:185]
	v_add_f64 v[121:122], v[121:122], v[153:154]
	s_clause 0x2
	buffer_load_dword v187, off, s[0:3], 0 offset:828
	buffer_load_dword v154, off, s[0:3], 0 offset:804
	;; [unrolled: 1-line block ×3, first 2 shown]
	ds_read_b128 v[1:4], v167 offset:1440
	s_waitcnt vmcnt(58) lgkmcnt(1)
	v_mul_f64 v[188:189], v[7:8], v[195:196]
	v_mul_f64 v[184:185], v[5:6], v[195:196]
	s_waitcnt vmcnt(56)
	v_fma_f64 v[178:179], v[115:116], v[172:173], -v[178:179]
	v_add_f64 v[119:120], v[119:120], v[161:162]
	v_fma_f64 v[161:162], v[117:118], v[172:173], v[191:192]
	v_add_f64 v[121:122], v[121:122], v[155:156]
	s_clause 0x4
	buffer_load_dword v156, off, s[0:3], 0 offset:844
	buffer_load_dword v172, off, s[0:3], 0 offset:856
	;; [unrolled: 1-line block ×5, first 2 shown]
	ds_read_b128 v[115:118], v167 offset:1456
	s_waitcnt vmcnt(57) lgkmcnt(1)
	v_mul_f64 v[199:200], v[1:2], v[131:132]
	v_mul_f64 v[131:132], v[3:4], v[131:132]
	s_waitcnt vmcnt(56)
	v_fma_f64 v[188:189], v[5:6], v[197:198], -v[188:189]
	v_add_f64 v[119:120], v[119:120], v[178:179]
	v_fma_f64 v[178:179], v[7:8], v[197:198], v[184:185]
	v_add_f64 v[121:122], v[121:122], v[161:162]
	s_clause 0x2
	buffer_load_dword v173, off, s[0:3], 0 offset:860
	buffer_load_dword v162, off, s[0:3], 0 offset:836
	buffer_load_dword v161, off, s[0:3], 0 offset:832
	ds_read_b128 v[5:8], v167 offset:1472
	buffer_load_dword v196, off, s[0:3], 0 offset:852
	s_waitcnt vmcnt(59) lgkmcnt(1)
	v_mul_f64 v[184:185], v[115:116], v[180:181]
	v_mul_f64 v[180:181], v[117:118], v[180:181]
	s_waitcnt vmcnt(57)
	v_fma_f64 v[131:132], v[1:2], v[125:126], -v[131:132]
	v_fma_f64 v[125:126], v[3:4], v[125:126], v[199:200]
	ds_read_b128 v[1:4], v167 offset:1488
	v_add_f64 v[119:120], v[119:120], v[188:189]
	v_add_f64 v[121:122], v[121:122], v[178:179]
	s_waitcnt vmcnt(53) lgkmcnt(1)
	v_mul_f64 v[178:179], v[5:6], v[168:169]
	v_mul_f64 v[168:169], v[7:8], v[168:169]
	s_waitcnt vmcnt(52)
	v_fma_f64 v[180:181], v[115:116], v[193:194], -v[180:181]
	v_add_f64 v[119:120], v[119:120], v[131:132]
	v_fma_f64 v[131:132], v[117:118], v[193:194], v[184:185]
	v_add_f64 v[121:122], v[121:122], v[125:126]
	ds_read_b128 v[115:118], v167 offset:1504
	s_waitcnt vmcnt(51) lgkmcnt(1)
	v_mul_f64 v[125:126], v[1:2], v[170:171]
	v_mul_f64 v[170:171], v[3:4], v[170:171]
	s_waitcnt vmcnt(49)
	v_fma_f64 v[168:169], v[5:6], v[127:128], -v[168:169]
	v_fma_f64 v[127:128], v[7:8], v[127:128], v[178:179]
	v_add_f64 v[119:120], v[119:120], v[180:181]
	v_add_f64 v[121:122], v[121:122], v[131:132]
	s_clause 0x3
	buffer_load_dword v131, off, s[0:3], 0 offset:288
	buffer_load_dword v132, off, s[0:3], 0 offset:292
	;; [unrolled: 1-line block ×4, first 2 shown]
	ds_read_b128 v[5:8], v167 offset:1520
	s_waitcnt vmcnt(49) lgkmcnt(1)
	v_mul_f64 v[180:181], v[115:116], v[123:124]
	v_mul_f64 v[123:124], v[117:118], v[123:124]
	s_waitcnt vmcnt(48)
	v_fma_f64 v[170:171], v[1:2], v[182:183], -v[170:171]
	v_fma_f64 v[125:126], v[3:4], v[182:183], v[125:126]
	ds_read_b128 v[1:4], v167 offset:1536
	v_add_f64 v[119:120], v[119:120], v[168:169]
	v_add_f64 v[121:122], v[121:122], v[127:128]
	s_waitcnt vmcnt(47) lgkmcnt(1)
	v_mul_f64 v[127:128], v[5:6], v[143:144]
	v_mul_f64 v[143:144], v[7:8], v[143:144]
	s_waitcnt vmcnt(45)
	v_fma_f64 v[123:124], v[115:116], v[133:134], -v[123:124]
	v_fma_f64 v[133:134], v[117:118], v[133:134], v[180:181]
	ds_read_b128 v[115:118], v167 offset:1552
	v_add_f64 v[119:120], v[119:120], v[170:171]
	v_add_f64 v[121:122], v[121:122], v[125:126]
	s_waitcnt vmcnt(41) lgkmcnt(1)
	v_mul_f64 v[125:126], v[1:2], v[129:130]
	v_mul_f64 v[129:130], v[3:4], v[129:130]
	s_waitcnt vmcnt(40)
	v_fma_f64 v[143:144], v[5:6], v[176:177], -v[143:144]
	v_add_f64 v[119:120], v[119:120], v[123:124]
	v_fma_f64 v[123:124], v[7:8], v[176:177], v[127:128]
	v_add_f64 v[121:122], v[121:122], v[133:134]
	ds_read_b128 v[5:8], v167 offset:1568
	s_waitcnt vmcnt(39) lgkmcnt(1)
	v_mul_f64 v[133:134], v[117:118], v[149:150]
	v_mul_f64 v[127:128], v[115:116], v[149:150]
	s_waitcnt vmcnt(37)
	v_fma_f64 v[125:126], v[3:4], v[139:140], v[125:126]
	v_fma_f64 v[129:130], v[1:2], v[139:140], -v[129:130]
	ds_read_b128 v[1:4], v167 offset:1584
	v_add_f64 v[119:120], v[119:120], v[143:144]
	v_add_f64 v[121:122], v[121:122], v[123:124]
	s_waitcnt vmcnt(33) lgkmcnt(1)
	v_mul_f64 v[123:124], v[5:6], v[135:136]
	v_mul_f64 v[135:136], v[7:8], v[135:136]
	s_waitcnt vmcnt(32)
	v_fma_f64 v[133:134], v[115:116], v[151:152], -v[133:134]
	v_fma_f64 v[127:128], v[117:118], v[151:152], v[127:128]
	ds_read_b128 v[115:118], v167 offset:1600
	v_add_f64 v[119:120], v[119:120], v[129:130]
	v_add_f64 v[121:122], v[121:122], v[125:126]
	s_waitcnt vmcnt(31) lgkmcnt(1)
	v_mul_f64 v[129:130], v[3:4], v[157:158]
	v_mul_f64 v[125:126], v[1:2], v[157:158]
	s_waitcnt vmcnt(29)
	v_fma_f64 v[135:136], v[5:6], v[137:138], -v[135:136]
	v_fma_f64 v[123:124], v[7:8], v[137:138], v[123:124]
	ds_read_b128 v[5:8], v167 offset:1616
	v_add_f64 v[119:120], v[119:120], v[133:134]
	v_add_f64 v[121:122], v[121:122], v[127:128]
	s_waitcnt vmcnt(25) lgkmcnt(1)
	v_mul_f64 v[133:134], v[117:118], v[141:142]
	s_waitcnt vmcnt(24)
	v_fma_f64 v[129:130], v[1:2], v[159:160], -v[129:130]
	v_mul_f64 v[127:128], v[115:116], v[141:142]
	v_fma_f64 v[125:126], v[3:4], v[159:160], v[125:126]
	ds_read_b128 v[1:4], v167 offset:1632
	v_add_f64 v[119:120], v[119:120], v[135:136]
	v_add_f64 v[121:122], v[121:122], v[123:124]
	s_waitcnt vmcnt(23) lgkmcnt(1)
	v_mul_f64 v[135:136], v[7:8], v[163:164]
	v_mul_f64 v[123:124], v[5:6], v[163:164]
	s_waitcnt vmcnt(21)
	v_fma_f64 v[133:134], v[115:116], v[145:146], -v[133:134]
	v_fma_f64 v[127:128], v[117:118], v[145:146], v[127:128]
	ds_read_b128 v[115:118], v167 offset:1648
	v_add_f64 v[119:120], v[119:120], v[129:130]
	v_add_f64 v[121:122], v[121:122], v[125:126]
	s_waitcnt vmcnt(17) lgkmcnt(1)
	v_mul_f64 v[129:130], v[3:4], v[147:148]
	s_waitcnt vmcnt(16)
	v_fma_f64 v[135:136], v[5:6], v[165:166], -v[135:136]
	v_mul_f64 v[125:126], v[1:2], v[147:148]
	;; [unrolled: 18-line block ×3, first 2 shown]
	v_fma_f64 v[117:118], v[117:118], v[190:191], v[127:128]
	v_add_f64 v[119:120], v[119:120], v[129:130]
	v_add_f64 v[121:122], v[121:122], v[125:126]
	s_waitcnt vmcnt(7) lgkmcnt(0)
	v_mul_f64 v[127:128], v[3:4], v[172:173]
	v_mul_f64 v[125:126], v[1:2], v[172:173]
	s_waitcnt vmcnt(5)
	v_fma_f64 v[5:6], v[5:6], v[161:162], -v[135:136]
	v_fma_f64 v[7:8], v[7:8], v[161:162], v[123:124]
	v_add_f64 v[115:116], v[119:120], v[115:116]
	v_add_f64 v[117:118], v[121:122], v[117:118]
	s_waitcnt vmcnt(4)
	v_fma_f64 v[1:2], v[1:2], v[195:196], -v[127:128]
	v_fma_f64 v[3:4], v[3:4], v[195:196], v[125:126]
	v_add_f64 v[5:6], v[115:116], v[5:6]
	v_add_f64 v[7:8], v[117:118], v[7:8]
	;; [unrolled: 1-line block ×4, first 2 shown]
	s_waitcnt vmcnt(2)
	v_add_f64 v[1:2], v[131:132], -v[1:2]
	s_waitcnt vmcnt(0)
	v_add_f64 v[3:4], v[178:179], -v[3:4]
	buffer_store_dword v2, off, s[0:3], 0 offset:292
	buffer_store_dword v1, off, s[0:3], 0 offset:288
	;; [unrolled: 1-line block ×4, first 2 shown]
	v_cmpx_lt_u32_e32 16, v0
	s_cbranch_execz .LBB116_299
; %bb.298:
	v_mov_b32_e32 v4, s49
	s_clause 0x3
	buffer_load_dword v1, v4, s[0:3], 0 offen
	buffer_load_dword v2, v4, s[0:3], 0 offen offset:4
	buffer_load_dword v3, v4, s[0:3], 0 offen offset:8
	;; [unrolled: 1-line block ×3, first 2 shown]
	buffer_store_dword v167, off, s[0:3], 0 offset:272
	buffer_store_dword v167, off, s[0:3], 0 offset:276
	;; [unrolled: 1-line block ×4, first 2 shown]
	s_waitcnt vmcnt(0)
	ds_write_b128 v175, v[1:4]
.LBB116_299:
	s_or_b32 exec_lo, exec_lo, s4
	s_waitcnt lgkmcnt(0)
	s_waitcnt_vscnt null, 0x0
	s_barrier
	buffer_gl0_inv
	s_clause 0x37
	buffer_load_dword v115, off, s[0:3], 0 offset:296
	buffer_load_dword v116, off, s[0:3], 0 offset:300
	;; [unrolled: 1-line block ×56, first 2 shown]
	ds_read_b128 v[168:171], v167 offset:1120
	s_clause 0x2
	buffer_load_dword v164, off, s[0:3], 0 offset:524
	buffer_load_dword v166, off, s[0:3], 0 offset:500
	;; [unrolled: 1-line block ×3, first 2 shown]
	ds_read_b128 v[176:179], v167 offset:1136
	s_clause 0x4
	buffer_load_dword v185, off, s[0:3], 0 offset:540
	buffer_load_dword v186, off, s[0:3], 0 offset:552
	;; [unrolled: 1-line block ×5, first 2 shown]
	ds_read_b128 v[180:183], v167 offset:1152
	s_clause 0x2
	buffer_load_dword v187, off, s[0:3], 0 offset:556
	buffer_load_dword v192, off, s[0:3], 0 offset:532
	;; [unrolled: 1-line block ×3, first 2 shown]
	s_mov_b32 s4, exec_lo
	s_waitcnt vmcnt(62) lgkmcnt(2)
	v_mul_f64 v[172:173], v[170:171], v[115:116]
	v_mul_f64 v[115:116], v[168:169], v[115:116]
	s_waitcnt lgkmcnt(1)
	v_mul_f64 v[189:190], v[178:179], v[5:6]
	s_waitcnt vmcnt(59) lgkmcnt(0)
	v_mul_f64 v[193:194], v[182:183], v[3:4]
	v_fma_f64 v[168:169], v[168:169], v[7:8], -v[172:173]
	v_mul_f64 v[172:173], v[176:177], v[5:6]
	v_fma_f64 v[115:116], v[170:171], v[7:8], v[115:116]
	s_waitcnt vmcnt(57)
	v_fma_f64 v[176:177], v[176:177], v[1:2], -v[189:190]
	ds_read_b128 v[5:8], v167 offset:1168
	v_mul_f64 v[170:171], v[180:181], v[3:4]
	s_waitcnt vmcnt(51)
	v_fma_f64 v[180:181], v[180:181], v[131:132], -v[193:194]
	v_add_f64 v[168:169], v[168:169], 0
	v_fma_f64 v[172:173], v[178:179], v[1:2], v[172:173]
	v_add_f64 v[115:116], v[115:116], 0
	s_clause 0x4
	buffer_load_dword v179, off, s[0:3], 0 offset:572
	buffer_load_dword v195, off, s[0:3], 0 offset:584
	;; [unrolled: 1-line block ×5, first 2 shown]
	s_waitcnt lgkmcnt(0)
	v_mul_f64 v[198:199], v[5:6], v[119:120]
	v_mul_f64 v[119:120], v[7:8], v[119:120]
	ds_read_b128 v[1:4], v167 offset:1184
	v_fma_f64 v[131:132], v[182:183], v[131:132], v[170:171]
	v_add_f64 v[176:177], v[168:169], v[176:177]
	v_add_f64 v[115:116], v[115:116], v[172:173]
	s_clause 0x2
	buffer_load_dword v196, off, s[0:3], 0 offset:588
	buffer_load_dword v173, off, s[0:3], 0 offset:564
	;; [unrolled: 1-line block ×3, first 2 shown]
	s_waitcnt vmcnt(58) lgkmcnt(0)
	v_mul_f64 v[182:183], v[1:2], v[123:124]
	v_mul_f64 v[123:124], v[3:4], v[123:124]
	s_waitcnt vmcnt(56)
	v_fma_f64 v[119:120], v[5:6], v[125:126], -v[119:120]
	ds_read_b128 v[168:171], v167 offset:1200
	v_fma_f64 v[125:126], v[7:8], v[125:126], v[198:199]
	v_add_f64 v[176:177], v[176:177], v[180:181]
	v_add_f64 v[115:116], v[115:116], v[131:132]
	s_clause 0x4
	buffer_load_dword v132, off, s[0:3], 0 offset:604
	buffer_load_dword v180, off, s[0:3], 0 offset:616
	;; [unrolled: 1-line block ×5, first 2 shown]
	ds_read_b128 v[5:8], v167 offset:1216
	s_waitcnt vmcnt(57) lgkmcnt(1)
	v_mul_f64 v[199:200], v[168:169], v[127:128]
	v_mul_f64 v[127:128], v[170:171], v[127:128]
	s_waitcnt vmcnt(56)
	v_fma_f64 v[123:124], v[1:2], v[117:118], -v[123:124]
	v_fma_f64 v[117:118], v[3:4], v[117:118], v[182:183]
	v_add_f64 v[119:120], v[176:177], v[119:120]
	v_add_f64 v[115:116], v[115:116], v[125:126]
	s_clause 0x2
	buffer_load_dword v181, off, s[0:3], 0 offset:620
	buffer_load_dword v126, off, s[0:3], 0 offset:596
	;; [unrolled: 1-line block ×3, first 2 shown]
	s_waitcnt vmcnt(58) lgkmcnt(0)
	v_mul_f64 v[176:177], v[5:6], v[133:134]
	v_mul_f64 v[133:134], v[7:8], v[133:134]
	s_waitcnt vmcnt(56)
	v_fma_f64 v[127:128], v[168:169], v[135:136], -v[127:128]
	ds_read_b128 v[1:4], v167 offset:1232
	v_add_f64 v[119:120], v[119:120], v[123:124]
	v_fma_f64 v[123:124], v[170:171], v[135:136], v[199:200]
	v_add_f64 v[135:136], v[115:116], v[117:118]
	s_clause 0x4
	buffer_load_dword v169, off, s[0:3], 0 offset:636
	buffer_load_dword v170, off, s[0:3], 0 offset:648
	;; [unrolled: 1-line block ×5, first 2 shown]
	ds_read_b128 v[115:118], v167 offset:1248
	s_waitcnt vmcnt(57) lgkmcnt(1)
	v_mul_f64 v[199:200], v[1:2], v[137:138]
	v_mul_f64 v[137:138], v[3:4], v[137:138]
	s_waitcnt vmcnt(56)
	v_fma_f64 v[133:134], v[5:6], v[121:122], -v[133:134]
	v_fma_f64 v[121:122], v[7:8], v[121:122], v[176:177]
	v_add_f64 v[119:120], v[119:120], v[127:128]
	s_clause 0x2
	buffer_load_dword v171, off, s[0:3], 0 offset:652
	buffer_load_dword v128, off, s[0:3], 0 offset:628
	;; [unrolled: 1-line block ×3, first 2 shown]
	v_add_f64 v[123:124], v[135:136], v[123:124]
	s_waitcnt vmcnt(58) lgkmcnt(0)
	v_mul_f64 v[135:136], v[115:116], v[141:142]
	v_mul_f64 v[141:142], v[117:118], v[141:142]
	ds_read_b128 v[5:8], v167 offset:1264
	s_waitcnt vmcnt(56)
	v_fma_f64 v[137:138], v[1:2], v[143:144], -v[137:138]
	v_add_f64 v[119:120], v[119:120], v[133:134]
	v_fma_f64 v[133:134], v[3:4], v[143:144], v[199:200]
	v_add_f64 v[121:122], v[123:124], v[121:122]
	s_clause 0x4
	buffer_load_dword v124, off, s[0:3], 0 offset:668
	buffer_load_dword v143, off, s[0:3], 0 offset:680
	;; [unrolled: 1-line block ×5, first 2 shown]
	s_waitcnt vmcnt(57) lgkmcnt(0)
	v_mul_f64 v[199:200], v[5:6], v[145:146]
	v_mul_f64 v[145:146], v[7:8], v[145:146]
	s_waitcnt vmcnt(56)
	v_fma_f64 v[141:142], v[115:116], v[129:130], -v[141:142]
	ds_read_b128 v[1:4], v167 offset:1280
	v_fma_f64 v[129:130], v[117:118], v[129:130], v[135:136]
	v_add_f64 v[119:120], v[119:120], v[137:138]
	v_add_f64 v[121:122], v[121:122], v[133:134]
	s_clause 0x2
	buffer_load_dword v144, off, s[0:3], 0 offset:684
	buffer_load_dword v134, off, s[0:3], 0 offset:660
	;; [unrolled: 1-line block ×3, first 2 shown]
	ds_read_b128 v[115:118], v167 offset:1296
	s_waitcnt vmcnt(58) lgkmcnt(1)
	v_mul_f64 v[137:138], v[3:4], v[149:150]
	s_waitcnt vmcnt(56)
	v_fma_f64 v[145:146], v[5:6], v[151:152], -v[145:146]
	v_mul_f64 v[135:136], v[1:2], v[149:150]
	v_add_f64 v[119:120], v[119:120], v[141:142]
	v_fma_f64 v[141:142], v[7:8], v[151:152], v[199:200]
	v_add_f64 v[121:122], v[121:122], v[129:130]
	s_clause 0x4
	buffer_load_dword v130, off, s[0:3], 0 offset:700
	buffer_load_dword v149, off, s[0:3], 0 offset:712
	;; [unrolled: 1-line block ×5, first 2 shown]
	s_waitcnt vmcnt(57) lgkmcnt(0)
	v_mul_f64 v[199:200], v[115:116], v[153:154]
	v_mul_f64 v[152:153], v[117:118], v[153:154]
	s_waitcnt vmcnt(56)
	v_fma_f64 v[137:138], v[1:2], v[139:140], -v[137:138]
	ds_read_b128 v[5:8], v167 offset:1312
	v_fma_f64 v[135:136], v[3:4], v[139:140], v[135:136]
	s_clause 0x2
	buffer_load_dword v150, off, s[0:3], 0 offset:716
	buffer_load_dword v140, off, s[0:3], 0 offset:692
	;; [unrolled: 1-line block ×3, first 2 shown]
	ds_read_b128 v[1:4], v167 offset:1328
	v_add_f64 v[119:120], v[119:120], v[145:146]
	v_add_f64 v[121:122], v[121:122], v[141:142]
	s_waitcnt vmcnt(58) lgkmcnt(1)
	v_mul_f64 v[145:146], v[7:8], v[157:158]
	s_waitcnt vmcnt(56)
	v_fma_f64 v[153:154], v[115:116], v[159:160], -v[152:153]
	v_mul_f64 v[141:142], v[5:6], v[157:158]
	v_add_f64 v[119:120], v[119:120], v[137:138]
	v_fma_f64 v[137:138], v[117:118], v[159:160], v[199:200]
	v_add_f64 v[121:122], v[121:122], v[135:136]
	s_clause 0x4
	buffer_load_dword v136, off, s[0:3], 0 offset:732
	buffer_load_dword v157, off, s[0:3], 0 offset:744
	;; [unrolled: 1-line block ×5, first 2 shown]
	s_waitcnt vmcnt(57) lgkmcnt(0)
	v_mul_f64 v[199:200], v[1:2], v[161:162]
	v_mul_f64 v[160:161], v[3:4], v[161:162]
	s_waitcnt vmcnt(56)
	v_fma_f64 v[145:146], v[5:6], v[147:148], -v[145:146]
	ds_read_b128 v[115:118], v167 offset:1344
	v_fma_f64 v[141:142], v[7:8], v[147:148], v[141:142]
	v_add_f64 v[119:120], v[119:120], v[153:154]
	v_add_f64 v[121:122], v[121:122], v[137:138]
	s_clause 0x2
	buffer_load_dword v158, off, s[0:3], 0 offset:748
	buffer_load_dword v138, off, s[0:3], 0 offset:724
	;; [unrolled: 1-line block ×3, first 2 shown]
	ds_read_b128 v[5:8], v167 offset:1360
	s_waitcnt vmcnt(58) lgkmcnt(1)
	v_mul_f64 v[153:154], v[117:118], v[163:164]
	s_waitcnt vmcnt(56)
	v_fma_f64 v[161:162], v[1:2], v[165:166], -v[160:161]
	v_mul_f64 v[147:148], v[115:116], v[163:164]
	v_add_f64 v[119:120], v[119:120], v[145:146]
	v_fma_f64 v[145:146], v[3:4], v[165:166], v[199:200]
	v_add_f64 v[121:122], v[121:122], v[141:142]
	s_clause 0x4
	buffer_load_dword v142, off, s[0:3], 0 offset:764
	buffer_load_dword v163, off, s[0:3], 0 offset:776
	;; [unrolled: 1-line block ×5, first 2 shown]
	s_waitcnt vmcnt(57) lgkmcnt(0)
	v_mul_f64 v[199:200], v[5:6], v[184:185]
	v_mul_f64 v[184:185], v[7:8], v[184:185]
	s_waitcnt vmcnt(56)
	v_fma_f64 v[153:154], v[115:116], v[155:156], -v[153:154]
	ds_read_b128 v[1:4], v167 offset:1376
	v_fma_f64 v[147:148], v[117:118], v[155:156], v[147:148]
	v_add_f64 v[119:120], v[119:120], v[161:162]
	v_add_f64 v[121:122], v[121:122], v[145:146]
	s_clause 0x2
	buffer_load_dword v164, off, s[0:3], 0 offset:780
	buffer_load_dword v146, off, s[0:3], 0 offset:756
	;; [unrolled: 1-line block ×3, first 2 shown]
	ds_read_b128 v[115:118], v167 offset:1392
	s_waitcnt vmcnt(58) lgkmcnt(1)
	v_mul_f64 v[161:162], v[3:4], v[186:187]
	s_waitcnt vmcnt(56)
	v_fma_f64 v[184:185], v[5:6], v[191:192], -v[184:185]
	v_mul_f64 v[155:156], v[1:2], v[186:187]
	v_add_f64 v[119:120], v[119:120], v[153:154]
	v_fma_f64 v[153:154], v[7:8], v[191:192], v[199:200]
	v_add_f64 v[121:122], v[121:122], v[147:148]
	s_clause 0x4
	buffer_load_dword v148, off, s[0:3], 0 offset:796
	buffer_load_dword v186, off, s[0:3], 0 offset:808
	;; [unrolled: 1-line block ×5, first 2 shown]
	ds_read_b128 v[5:8], v167 offset:1408
	s_waitcnt vmcnt(57) lgkmcnt(1)
	v_mul_f64 v[191:192], v[115:116], v[178:179]
	v_mul_f64 v[178:179], v[117:118], v[178:179]
	s_waitcnt vmcnt(56)
	v_fma_f64 v[161:162], v[1:2], v[188:189], -v[161:162]
	v_fma_f64 v[155:156], v[3:4], v[188:189], v[155:156]
	v_add_f64 v[119:120], v[119:120], v[184:185]
	v_add_f64 v[121:122], v[121:122], v[153:154]
	s_clause 0x2
	buffer_load_dword v187, off, s[0:3], 0 offset:812
	buffer_load_dword v154, off, s[0:3], 0 offset:788
	buffer_load_dword v153, off, s[0:3], 0 offset:784
	ds_read_b128 v[1:4], v167 offset:1424
	s_waitcnt vmcnt(58) lgkmcnt(1)
	v_mul_f64 v[188:189], v[7:8], v[195:196]
	v_mul_f64 v[184:185], v[5:6], v[195:196]
	s_waitcnt vmcnt(56)
	v_fma_f64 v[178:179], v[115:116], v[172:173], -v[178:179]
	v_add_f64 v[119:120], v[119:120], v[161:162]
	v_fma_f64 v[161:162], v[117:118], v[172:173], v[191:192]
	v_add_f64 v[121:122], v[121:122], v[155:156]
	s_clause 0x4
	buffer_load_dword v156, off, s[0:3], 0 offset:828
	buffer_load_dword v172, off, s[0:3], 0 offset:840
	;; [unrolled: 1-line block ×5, first 2 shown]
	ds_read_b128 v[115:118], v167 offset:1440
	s_waitcnt vmcnt(57) lgkmcnt(1)
	v_mul_f64 v[199:200], v[1:2], v[131:132]
	v_mul_f64 v[131:132], v[3:4], v[131:132]
	s_waitcnt vmcnt(56)
	v_fma_f64 v[188:189], v[5:6], v[197:198], -v[188:189]
	v_add_f64 v[119:120], v[119:120], v[178:179]
	v_fma_f64 v[178:179], v[7:8], v[197:198], v[184:185]
	v_add_f64 v[121:122], v[121:122], v[161:162]
	s_clause 0x2
	buffer_load_dword v173, off, s[0:3], 0 offset:844
	buffer_load_dword v162, off, s[0:3], 0 offset:820
	;; [unrolled: 1-line block ×3, first 2 shown]
	ds_read_b128 v[5:8], v167 offset:1456
	s_waitcnt vmcnt(58) lgkmcnt(1)
	v_mul_f64 v[184:185], v[115:116], v[180:181]
	v_mul_f64 v[180:181], v[117:118], v[180:181]
	s_waitcnt vmcnt(56)
	v_fma_f64 v[131:132], v[1:2], v[125:126], -v[131:132]
	v_fma_f64 v[125:126], v[3:4], v[125:126], v[199:200]
	v_add_f64 v[119:120], v[119:120], v[188:189]
	v_add_f64 v[121:122], v[121:122], v[178:179]
	s_clause 0x2
	buffer_load_dword v179, off, s[0:3], 0 offset:860
	buffer_load_dword v178, off, s[0:3], 0 offset:856
	;; [unrolled: 1-line block ×3, first 2 shown]
	ds_read_b128 v[1:4], v167 offset:1472
	s_waitcnt vmcnt(55) lgkmcnt(1)
	v_mul_f64 v[188:189], v[5:6], v[168:169]
	v_mul_f64 v[168:169], v[7:8], v[168:169]
	s_waitcnt vmcnt(54)
	v_fma_f64 v[180:181], v[115:116], v[193:194], -v[180:181]
	v_add_f64 v[119:120], v[119:120], v[131:132]
	v_fma_f64 v[131:132], v[117:118], v[193:194], v[184:185]
	v_add_f64 v[121:122], v[121:122], v[125:126]
	s_clause 0x1
	buffer_load_dword v126, off, s[0:3], 0 offset:852
	buffer_load_dword v125, off, s[0:3], 0 offset:848
	ds_read_b128 v[115:118], v167 offset:1488
	s_waitcnt vmcnt(55) lgkmcnt(1)
	v_mul_f64 v[184:185], v[1:2], v[170:171]
	v_mul_f64 v[170:171], v[3:4], v[170:171]
	s_waitcnt vmcnt(53)
	v_fma_f64 v[168:169], v[5:6], v[127:128], -v[168:169]
	v_fma_f64 v[127:128], v[7:8], v[127:128], v[188:189]
	ds_read_b128 v[5:8], v167 offset:1504
	v_add_f64 v[119:120], v[119:120], v[180:181]
	v_add_f64 v[121:122], v[121:122], v[131:132]
	s_waitcnt vmcnt(49) lgkmcnt(1)
	v_mul_f64 v[131:132], v[115:116], v[123:124]
	v_mul_f64 v[123:124], v[117:118], v[123:124]
	s_waitcnt vmcnt(48)
	v_fma_f64 v[170:171], v[1:2], v[182:183], -v[170:171]
	v_add_f64 v[119:120], v[119:120], v[168:169]
	v_fma_f64 v[168:169], v[3:4], v[182:183], v[184:185]
	v_add_f64 v[121:122], v[121:122], v[127:128]
	s_clause 0x3
	buffer_load_dword v127, off, s[0:3], 0 offset:272
	buffer_load_dword v128, off, s[0:3], 0 offset:276
	;; [unrolled: 1-line block ×4, first 2 shown]
	ds_read_b128 v[1:4], v167 offset:1520
	s_waitcnt vmcnt(51) lgkmcnt(1)
	v_mul_f64 v[182:183], v[5:6], v[143:144]
	v_mul_f64 v[143:144], v[7:8], v[143:144]
	s_waitcnt vmcnt(49)
	v_fma_f64 v[123:124], v[115:116], v[133:134], -v[123:124]
	v_fma_f64 v[131:132], v[117:118], v[133:134], v[131:132]
	ds_read_b128 v[115:118], v167 offset:1536
	v_add_f64 v[119:120], v[119:120], v[170:171]
	v_add_f64 v[121:122], v[121:122], v[168:169]
	s_waitcnt vmcnt(45) lgkmcnt(1)
	v_mul_f64 v[133:134], v[1:2], v[129:130]
	v_mul_f64 v[129:130], v[3:4], v[129:130]
	s_waitcnt vmcnt(44)
	v_fma_f64 v[143:144], v[5:6], v[176:177], -v[143:144]
	v_add_f64 v[119:120], v[119:120], v[123:124]
	v_fma_f64 v[123:124], v[7:8], v[176:177], v[182:183]
	v_add_f64 v[121:122], v[121:122], v[131:132]
	s_waitcnt vmcnt(43) lgkmcnt(0)
	v_mul_f64 v[131:132], v[115:116], v[149:150]
	v_mul_f64 v[149:150], v[117:118], v[149:150]
	ds_read_b128 v[5:8], v167 offset:1552
	s_waitcnt vmcnt(41)
	v_fma_f64 v[133:134], v[3:4], v[139:140], v[133:134]
	v_fma_f64 v[129:130], v[1:2], v[139:140], -v[129:130]
	ds_read_b128 v[1:4], v167 offset:1568
	v_add_f64 v[119:120], v[119:120], v[143:144]
	v_add_f64 v[121:122], v[121:122], v[123:124]
	s_waitcnt vmcnt(37) lgkmcnt(1)
	v_mul_f64 v[123:124], v[5:6], v[135:136]
	v_mul_f64 v[135:136], v[7:8], v[135:136]
	s_waitcnt vmcnt(36)
	v_fma_f64 v[139:140], v[115:116], v[151:152], -v[149:150]
	v_add_f64 v[119:120], v[119:120], v[129:130]
	v_fma_f64 v[129:130], v[117:118], v[151:152], v[131:132]
	v_add_f64 v[121:122], v[121:122], v[133:134]
	ds_read_b128 v[115:118], v167 offset:1584
	s_waitcnt vmcnt(35) lgkmcnt(1)
	v_mul_f64 v[133:134], v[3:4], v[157:158]
	v_mul_f64 v[131:132], v[1:2], v[157:158]
	s_waitcnt vmcnt(33)
	v_fma_f64 v[135:136], v[5:6], v[137:138], -v[135:136]
	v_fma_f64 v[123:124], v[7:8], v[137:138], v[123:124]
	ds_read_b128 v[5:8], v167 offset:1600
	v_add_f64 v[119:120], v[119:120], v[139:140]
	v_add_f64 v[121:122], v[121:122], v[129:130]
	s_waitcnt vmcnt(29) lgkmcnt(1)
	v_mul_f64 v[137:138], v[117:118], v[141:142]
	s_waitcnt vmcnt(28)
	v_fma_f64 v[133:134], v[1:2], v[159:160], -v[133:134]
	v_mul_f64 v[129:130], v[115:116], v[141:142]
	v_fma_f64 v[131:132], v[3:4], v[159:160], v[131:132]
	ds_read_b128 v[1:4], v167 offset:1616
	v_add_f64 v[119:120], v[119:120], v[135:136]
	v_add_f64 v[121:122], v[121:122], v[123:124]
	s_waitcnt vmcnt(27) lgkmcnt(1)
	v_mul_f64 v[135:136], v[7:8], v[163:164]
	v_mul_f64 v[123:124], v[5:6], v[163:164]
	s_waitcnt vmcnt(25)
	v_fma_f64 v[137:138], v[115:116], v[145:146], -v[137:138]
	v_fma_f64 v[129:130], v[117:118], v[145:146], v[129:130]
	ds_read_b128 v[115:118], v167 offset:1632
	v_add_f64 v[119:120], v[119:120], v[133:134]
	v_add_f64 v[121:122], v[121:122], v[131:132]
	s_waitcnt vmcnt(21) lgkmcnt(1)
	v_mul_f64 v[133:134], v[3:4], v[147:148]
	s_waitcnt vmcnt(20)
	v_fma_f64 v[135:136], v[5:6], v[165:166], -v[135:136]
	v_mul_f64 v[131:132], v[1:2], v[147:148]
	v_fma_f64 v[123:124], v[7:8], v[165:166], v[123:124]
	ds_read_b128 v[5:8], v167 offset:1648
	v_add_f64 v[119:120], v[119:120], v[137:138]
	v_add_f64 v[121:122], v[121:122], v[129:130]
	;; [unrolled: 18-line block ×3, first 2 shown]
	s_waitcnt vmcnt(11) lgkmcnt(1)
	v_mul_f64 v[133:134], v[3:4], v[172:173]
	v_mul_f64 v[131:132], v[1:2], v[172:173]
	s_waitcnt vmcnt(9)
	v_fma_f64 v[5:6], v[5:6], v[161:162], -v[135:136]
	v_fma_f64 v[7:8], v[7:8], v[161:162], v[123:124]
	v_add_f64 v[119:120], v[119:120], v[137:138]
	v_add_f64 v[121:122], v[121:122], v[129:130]
	s_waitcnt vmcnt(7) lgkmcnt(0)
	v_mul_f64 v[129:130], v[117:118], v[178:179]
	s_waitcnt vmcnt(6)
	v_fma_f64 v[1:2], v[1:2], v[195:196], -v[133:134]
	v_mul_f64 v[123:124], v[115:116], v[178:179]
	v_fma_f64 v[3:4], v[3:4], v[195:196], v[131:132]
	v_add_f64 v[5:6], v[119:120], v[5:6]
	v_add_f64 v[7:8], v[121:122], v[7:8]
	s_waitcnt vmcnt(4)
	v_fma_f64 v[115:116], v[115:116], v[125:126], -v[129:130]
	v_add_f64 v[1:2], v[5:6], v[1:2]
	v_fma_f64 v[5:6], v[117:118], v[125:126], v[123:124]
	v_add_f64 v[3:4], v[7:8], v[3:4]
	v_add_f64 v[1:2], v[1:2], v[115:116]
	;; [unrolled: 1-line block ×3, first 2 shown]
	s_waitcnt vmcnt(2)
	v_add_f64 v[1:2], v[127:128], -v[1:2]
	s_waitcnt vmcnt(0)
	v_add_f64 v[3:4], v[180:181], -v[3:4]
	buffer_store_dword v2, off, s[0:3], 0 offset:276
	buffer_store_dword v1, off, s[0:3], 0 offset:272
	;; [unrolled: 1-line block ×4, first 2 shown]
	v_cmpx_lt_u32_e32 15, v0
	s_cbranch_execz .LBB116_301
; %bb.300:
	v_mov_b32_e32 v4, s50
	v_mov_b32_e32 v5, 0
	s_clause 0x3
	buffer_load_dword v1, v4, s[0:3], 0 offen
	buffer_load_dword v2, v4, s[0:3], 0 offen offset:4
	buffer_load_dword v3, v4, s[0:3], 0 offen offset:8
	;; [unrolled: 1-line block ×3, first 2 shown]
	buffer_store_dword v5, off, s[0:3], 0 offset:256
	buffer_store_dword v5, off, s[0:3], 0 offset:260
	;; [unrolled: 1-line block ×4, first 2 shown]
	s_waitcnt vmcnt(0)
	ds_write_b128 v175, v[1:4]
.LBB116_301:
	s_or_b32 exec_lo, exec_lo, s4
	s_waitcnt lgkmcnt(0)
	s_waitcnt_vscnt null, 0x0
	s_barrier
	buffer_gl0_inv
	s_clause 0x37
	buffer_load_dword v115, off, s[0:3], 0 offset:280
	buffer_load_dword v116, off, s[0:3], 0 offset:284
	;; [unrolled: 1-line block ×56, first 2 shown]
	v_mov_b32_e32 v167, 0
	s_mov_b32 s4, exec_lo
	ds_read_b128 v[168:171], v167 offset:1104
	s_clause 0x2
	buffer_load_dword v164, off, s[0:3], 0 offset:508
	buffer_load_dword v166, off, s[0:3], 0 offset:484
	;; [unrolled: 1-line block ×3, first 2 shown]
	ds_read_b128 v[176:179], v167 offset:1120
	s_clause 0x4
	buffer_load_dword v185, off, s[0:3], 0 offset:524
	buffer_load_dword v186, off, s[0:3], 0 offset:536
	buffer_load_dword v188, off, s[0:3], 0 offset:528
	buffer_load_dword v184, off, s[0:3], 0 offset:520
	buffer_load_dword v156, off, s[0:3], 0 offset:500
	ds_read_b128 v[180:183], v167 offset:1136
	s_clause 0x2
	buffer_load_dword v187, off, s[0:3], 0 offset:540
	buffer_load_dword v192, off, s[0:3], 0 offset:516
	;; [unrolled: 1-line block ×3, first 2 shown]
	s_waitcnt vmcnt(62) lgkmcnt(2)
	v_mul_f64 v[172:173], v[170:171], v[115:116]
	v_mul_f64 v[115:116], v[168:169], v[115:116]
	s_waitcnt lgkmcnt(1)
	v_mul_f64 v[189:190], v[178:179], v[5:6]
	s_waitcnt vmcnt(59) lgkmcnt(0)
	v_mul_f64 v[193:194], v[182:183], v[3:4]
	v_fma_f64 v[168:169], v[168:169], v[7:8], -v[172:173]
	v_mul_f64 v[172:173], v[176:177], v[5:6]
	v_fma_f64 v[115:116], v[170:171], v[7:8], v[115:116]
	s_waitcnt vmcnt(57)
	v_fma_f64 v[176:177], v[176:177], v[1:2], -v[189:190]
	ds_read_b128 v[5:8], v167 offset:1152
	v_mul_f64 v[170:171], v[180:181], v[3:4]
	s_waitcnt vmcnt(51)
	v_fma_f64 v[180:181], v[180:181], v[131:132], -v[193:194]
	v_add_f64 v[168:169], v[168:169], 0
	v_fma_f64 v[172:173], v[178:179], v[1:2], v[172:173]
	v_add_f64 v[115:116], v[115:116], 0
	s_clause 0x4
	buffer_load_dword v179, off, s[0:3], 0 offset:556
	buffer_load_dword v195, off, s[0:3], 0 offset:568
	;; [unrolled: 1-line block ×5, first 2 shown]
	s_waitcnt lgkmcnt(0)
	v_mul_f64 v[198:199], v[5:6], v[119:120]
	v_mul_f64 v[119:120], v[7:8], v[119:120]
	ds_read_b128 v[1:4], v167 offset:1168
	v_fma_f64 v[131:132], v[182:183], v[131:132], v[170:171]
	v_add_f64 v[176:177], v[168:169], v[176:177]
	v_add_f64 v[115:116], v[115:116], v[172:173]
	s_clause 0x2
	buffer_load_dword v196, off, s[0:3], 0 offset:572
	buffer_load_dword v173, off, s[0:3], 0 offset:548
	;; [unrolled: 1-line block ×3, first 2 shown]
	s_waitcnt vmcnt(58) lgkmcnt(0)
	v_mul_f64 v[182:183], v[1:2], v[123:124]
	v_mul_f64 v[123:124], v[3:4], v[123:124]
	s_waitcnt vmcnt(56)
	v_fma_f64 v[119:120], v[5:6], v[125:126], -v[119:120]
	ds_read_b128 v[168:171], v167 offset:1184
	v_fma_f64 v[125:126], v[7:8], v[125:126], v[198:199]
	v_add_f64 v[176:177], v[176:177], v[180:181]
	v_add_f64 v[115:116], v[115:116], v[131:132]
	s_clause 0x4
	buffer_load_dword v132, off, s[0:3], 0 offset:588
	buffer_load_dword v180, off, s[0:3], 0 offset:600
	;; [unrolled: 1-line block ×5, first 2 shown]
	ds_read_b128 v[5:8], v167 offset:1200
	s_waitcnt vmcnt(57) lgkmcnt(1)
	v_mul_f64 v[199:200], v[168:169], v[127:128]
	v_mul_f64 v[127:128], v[170:171], v[127:128]
	s_waitcnt vmcnt(56)
	v_fma_f64 v[123:124], v[1:2], v[117:118], -v[123:124]
	v_fma_f64 v[117:118], v[3:4], v[117:118], v[182:183]
	v_add_f64 v[119:120], v[176:177], v[119:120]
	v_add_f64 v[115:116], v[115:116], v[125:126]
	s_clause 0x2
	buffer_load_dword v181, off, s[0:3], 0 offset:604
	buffer_load_dword v126, off, s[0:3], 0 offset:580
	;; [unrolled: 1-line block ×3, first 2 shown]
	s_waitcnt vmcnt(58) lgkmcnt(0)
	v_mul_f64 v[176:177], v[5:6], v[133:134]
	v_mul_f64 v[133:134], v[7:8], v[133:134]
	s_waitcnt vmcnt(56)
	v_fma_f64 v[127:128], v[168:169], v[135:136], -v[127:128]
	ds_read_b128 v[1:4], v167 offset:1216
	v_add_f64 v[119:120], v[119:120], v[123:124]
	v_fma_f64 v[123:124], v[170:171], v[135:136], v[199:200]
	v_add_f64 v[135:136], v[115:116], v[117:118]
	s_clause 0x4
	buffer_load_dword v169, off, s[0:3], 0 offset:620
	buffer_load_dword v170, off, s[0:3], 0 offset:632
	;; [unrolled: 1-line block ×5, first 2 shown]
	ds_read_b128 v[115:118], v167 offset:1232
	s_waitcnt vmcnt(57) lgkmcnt(1)
	v_mul_f64 v[199:200], v[1:2], v[137:138]
	v_mul_f64 v[137:138], v[3:4], v[137:138]
	s_waitcnt vmcnt(56)
	v_fma_f64 v[133:134], v[5:6], v[121:122], -v[133:134]
	v_fma_f64 v[121:122], v[7:8], v[121:122], v[176:177]
	v_add_f64 v[119:120], v[119:120], v[127:128]
	s_clause 0x2
	buffer_load_dword v171, off, s[0:3], 0 offset:636
	buffer_load_dword v128, off, s[0:3], 0 offset:612
	buffer_load_dword v127, off, s[0:3], 0 offset:608
	v_add_f64 v[123:124], v[135:136], v[123:124]
	s_waitcnt vmcnt(58) lgkmcnt(0)
	v_mul_f64 v[135:136], v[115:116], v[141:142]
	v_mul_f64 v[141:142], v[117:118], v[141:142]
	ds_read_b128 v[5:8], v167 offset:1248
	s_waitcnt vmcnt(56)
	v_fma_f64 v[137:138], v[1:2], v[143:144], -v[137:138]
	v_add_f64 v[119:120], v[119:120], v[133:134]
	v_fma_f64 v[133:134], v[3:4], v[143:144], v[199:200]
	v_add_f64 v[121:122], v[123:124], v[121:122]
	s_clause 0x4
	buffer_load_dword v124, off, s[0:3], 0 offset:652
	buffer_load_dword v143, off, s[0:3], 0 offset:664
	;; [unrolled: 1-line block ×5, first 2 shown]
	s_waitcnt vmcnt(57) lgkmcnt(0)
	v_mul_f64 v[199:200], v[5:6], v[145:146]
	v_mul_f64 v[145:146], v[7:8], v[145:146]
	s_waitcnt vmcnt(56)
	v_fma_f64 v[141:142], v[115:116], v[129:130], -v[141:142]
	ds_read_b128 v[1:4], v167 offset:1264
	v_fma_f64 v[129:130], v[117:118], v[129:130], v[135:136]
	v_add_f64 v[119:120], v[119:120], v[137:138]
	v_add_f64 v[121:122], v[121:122], v[133:134]
	s_clause 0x2
	buffer_load_dword v144, off, s[0:3], 0 offset:668
	buffer_load_dword v134, off, s[0:3], 0 offset:644
	;; [unrolled: 1-line block ×3, first 2 shown]
	ds_read_b128 v[115:118], v167 offset:1280
	s_waitcnt vmcnt(58) lgkmcnt(1)
	v_mul_f64 v[137:138], v[3:4], v[149:150]
	s_waitcnt vmcnt(56)
	v_fma_f64 v[145:146], v[5:6], v[151:152], -v[145:146]
	v_mul_f64 v[135:136], v[1:2], v[149:150]
	v_add_f64 v[119:120], v[119:120], v[141:142]
	v_fma_f64 v[141:142], v[7:8], v[151:152], v[199:200]
	v_add_f64 v[121:122], v[121:122], v[129:130]
	s_clause 0x4
	buffer_load_dword v130, off, s[0:3], 0 offset:684
	buffer_load_dword v149, off, s[0:3], 0 offset:696
	;; [unrolled: 1-line block ×5, first 2 shown]
	s_waitcnt vmcnt(57) lgkmcnt(0)
	v_mul_f64 v[199:200], v[115:116], v[153:154]
	v_mul_f64 v[152:153], v[117:118], v[153:154]
	s_waitcnt vmcnt(56)
	v_fma_f64 v[137:138], v[1:2], v[139:140], -v[137:138]
	ds_read_b128 v[5:8], v167 offset:1296
	v_fma_f64 v[135:136], v[3:4], v[139:140], v[135:136]
	s_clause 0x2
	buffer_load_dword v150, off, s[0:3], 0 offset:700
	buffer_load_dword v140, off, s[0:3], 0 offset:676
	;; [unrolled: 1-line block ×3, first 2 shown]
	ds_read_b128 v[1:4], v167 offset:1312
	v_add_f64 v[119:120], v[119:120], v[145:146]
	v_add_f64 v[121:122], v[121:122], v[141:142]
	s_waitcnt vmcnt(58) lgkmcnt(1)
	v_mul_f64 v[145:146], v[7:8], v[157:158]
	s_waitcnt vmcnt(56)
	v_fma_f64 v[153:154], v[115:116], v[159:160], -v[152:153]
	v_mul_f64 v[141:142], v[5:6], v[157:158]
	v_add_f64 v[119:120], v[119:120], v[137:138]
	v_fma_f64 v[137:138], v[117:118], v[159:160], v[199:200]
	v_add_f64 v[121:122], v[121:122], v[135:136]
	s_clause 0x4
	buffer_load_dword v136, off, s[0:3], 0 offset:716
	buffer_load_dword v157, off, s[0:3], 0 offset:728
	;; [unrolled: 1-line block ×5, first 2 shown]
	s_waitcnt vmcnt(57) lgkmcnt(0)
	v_mul_f64 v[199:200], v[1:2], v[161:162]
	v_mul_f64 v[160:161], v[3:4], v[161:162]
	s_waitcnt vmcnt(56)
	v_fma_f64 v[145:146], v[5:6], v[147:148], -v[145:146]
	ds_read_b128 v[115:118], v167 offset:1328
	v_fma_f64 v[141:142], v[7:8], v[147:148], v[141:142]
	v_add_f64 v[119:120], v[119:120], v[153:154]
	v_add_f64 v[121:122], v[121:122], v[137:138]
	s_clause 0x2
	buffer_load_dword v158, off, s[0:3], 0 offset:732
	buffer_load_dword v138, off, s[0:3], 0 offset:708
	;; [unrolled: 1-line block ×3, first 2 shown]
	ds_read_b128 v[5:8], v167 offset:1344
	s_waitcnt vmcnt(58) lgkmcnt(1)
	v_mul_f64 v[153:154], v[117:118], v[163:164]
	s_waitcnt vmcnt(56)
	v_fma_f64 v[161:162], v[1:2], v[165:166], -v[160:161]
	v_mul_f64 v[147:148], v[115:116], v[163:164]
	v_add_f64 v[119:120], v[119:120], v[145:146]
	v_fma_f64 v[145:146], v[3:4], v[165:166], v[199:200]
	v_add_f64 v[121:122], v[121:122], v[141:142]
	s_clause 0x4
	buffer_load_dword v142, off, s[0:3], 0 offset:748
	buffer_load_dword v163, off, s[0:3], 0 offset:760
	;; [unrolled: 1-line block ×5, first 2 shown]
	s_waitcnt vmcnt(57) lgkmcnt(0)
	v_mul_f64 v[199:200], v[5:6], v[184:185]
	v_mul_f64 v[184:185], v[7:8], v[184:185]
	s_waitcnt vmcnt(56)
	v_fma_f64 v[153:154], v[115:116], v[155:156], -v[153:154]
	ds_read_b128 v[1:4], v167 offset:1360
	v_fma_f64 v[147:148], v[117:118], v[155:156], v[147:148]
	v_add_f64 v[119:120], v[119:120], v[161:162]
	v_add_f64 v[121:122], v[121:122], v[145:146]
	s_clause 0x2
	buffer_load_dword v164, off, s[0:3], 0 offset:764
	buffer_load_dword v146, off, s[0:3], 0 offset:740
	;; [unrolled: 1-line block ×3, first 2 shown]
	ds_read_b128 v[115:118], v167 offset:1376
	s_waitcnt vmcnt(58) lgkmcnt(1)
	v_mul_f64 v[161:162], v[3:4], v[186:187]
	s_waitcnt vmcnt(56)
	v_fma_f64 v[184:185], v[5:6], v[191:192], -v[184:185]
	v_mul_f64 v[155:156], v[1:2], v[186:187]
	v_add_f64 v[119:120], v[119:120], v[153:154]
	v_fma_f64 v[153:154], v[7:8], v[191:192], v[199:200]
	v_add_f64 v[121:122], v[121:122], v[147:148]
	s_clause 0x4
	buffer_load_dword v148, off, s[0:3], 0 offset:780
	buffer_load_dword v186, off, s[0:3], 0 offset:792
	;; [unrolled: 1-line block ×5, first 2 shown]
	ds_read_b128 v[5:8], v167 offset:1392
	s_waitcnt vmcnt(57) lgkmcnt(1)
	v_mul_f64 v[191:192], v[115:116], v[178:179]
	v_mul_f64 v[178:179], v[117:118], v[178:179]
	s_waitcnt vmcnt(56)
	v_fma_f64 v[161:162], v[1:2], v[188:189], -v[161:162]
	v_fma_f64 v[155:156], v[3:4], v[188:189], v[155:156]
	v_add_f64 v[119:120], v[119:120], v[184:185]
	v_add_f64 v[121:122], v[121:122], v[153:154]
	s_clause 0x2
	buffer_load_dword v187, off, s[0:3], 0 offset:796
	buffer_load_dword v154, off, s[0:3], 0 offset:772
	;; [unrolled: 1-line block ×3, first 2 shown]
	ds_read_b128 v[1:4], v167 offset:1408
	s_waitcnt vmcnt(58) lgkmcnt(1)
	v_mul_f64 v[188:189], v[7:8], v[195:196]
	v_mul_f64 v[184:185], v[5:6], v[195:196]
	s_waitcnt vmcnt(56)
	v_fma_f64 v[178:179], v[115:116], v[172:173], -v[178:179]
	v_add_f64 v[119:120], v[119:120], v[161:162]
	v_fma_f64 v[161:162], v[117:118], v[172:173], v[191:192]
	v_add_f64 v[121:122], v[121:122], v[155:156]
	s_clause 0x4
	buffer_load_dword v156, off, s[0:3], 0 offset:812
	buffer_load_dword v172, off, s[0:3], 0 offset:824
	;; [unrolled: 1-line block ×5, first 2 shown]
	ds_read_b128 v[115:118], v167 offset:1424
	s_waitcnt vmcnt(57) lgkmcnt(1)
	v_mul_f64 v[199:200], v[1:2], v[131:132]
	v_mul_f64 v[131:132], v[3:4], v[131:132]
	s_waitcnt vmcnt(56)
	v_fma_f64 v[188:189], v[5:6], v[197:198], -v[188:189]
	v_add_f64 v[119:120], v[119:120], v[178:179]
	v_fma_f64 v[178:179], v[7:8], v[197:198], v[184:185]
	v_add_f64 v[121:122], v[121:122], v[161:162]
	s_clause 0x2
	buffer_load_dword v173, off, s[0:3], 0 offset:828
	buffer_load_dword v162, off, s[0:3], 0 offset:804
	;; [unrolled: 1-line block ×3, first 2 shown]
	ds_read_b128 v[5:8], v167 offset:1440
	s_waitcnt vmcnt(58) lgkmcnt(1)
	v_mul_f64 v[184:185], v[115:116], v[180:181]
	v_mul_f64 v[180:181], v[117:118], v[180:181]
	s_waitcnt vmcnt(56)
	v_fma_f64 v[131:132], v[1:2], v[125:126], -v[131:132]
	v_fma_f64 v[125:126], v[3:4], v[125:126], v[199:200]
	v_add_f64 v[119:120], v[119:120], v[188:189]
	v_add_f64 v[121:122], v[121:122], v[178:179]
	s_clause 0x4
	buffer_load_dword v179, off, s[0:3], 0 offset:844
	buffer_load_dword v188, off, s[0:3], 0 offset:856
	;; [unrolled: 1-line block ×5, first 2 shown]
	ds_read_b128 v[1:4], v167 offset:1456
	s_waitcnt vmcnt(57) lgkmcnt(1)
	v_mul_f64 v[197:198], v[5:6], v[168:169]
	v_mul_f64 v[168:169], v[7:8], v[168:169]
	s_waitcnt vmcnt(56)
	v_fma_f64 v[180:181], v[115:116], v[193:194], -v[180:181]
	v_add_f64 v[119:120], v[119:120], v[131:132]
	v_fma_f64 v[131:132], v[117:118], v[193:194], v[184:185]
	v_add_f64 v[121:122], v[121:122], v[125:126]
	s_clause 0x2
	buffer_load_dword v189, off, s[0:3], 0 offset:860
	buffer_load_dword v126, off, s[0:3], 0 offset:836
	;; [unrolled: 1-line block ×3, first 2 shown]
	ds_read_b128 v[115:118], v167 offset:1472
	buffer_load_dword v193, off, s[0:3], 0 offset:852
	s_waitcnt vmcnt(59) lgkmcnt(1)
	v_mul_f64 v[184:185], v[1:2], v[170:171]
	v_mul_f64 v[170:171], v[3:4], v[170:171]
	s_waitcnt vmcnt(57)
	v_fma_f64 v[168:169], v[5:6], v[127:128], -v[168:169]
	v_fma_f64 v[127:128], v[7:8], v[127:128], v[197:198]
	ds_read_b128 v[5:8], v167 offset:1488
	v_add_f64 v[119:120], v[119:120], v[180:181]
	v_add_f64 v[121:122], v[121:122], v[131:132]
	s_waitcnt vmcnt(53) lgkmcnt(1)
	v_mul_f64 v[131:132], v[115:116], v[123:124]
	v_mul_f64 v[123:124], v[117:118], v[123:124]
	s_waitcnt vmcnt(52)
	v_fma_f64 v[170:171], v[1:2], v[182:183], -v[170:171]
	v_add_f64 v[119:120], v[119:120], v[168:169]
	v_fma_f64 v[168:169], v[3:4], v[182:183], v[184:185]
	v_add_f64 v[121:122], v[121:122], v[127:128]
	ds_read_b128 v[1:4], v167 offset:1504
	s_waitcnt vmcnt(51) lgkmcnt(1)
	v_mul_f64 v[127:128], v[5:6], v[143:144]
	v_mul_f64 v[143:144], v[7:8], v[143:144]
	s_waitcnt vmcnt(49)
	v_fma_f64 v[123:124], v[115:116], v[133:134], -v[123:124]
	v_fma_f64 v[131:132], v[117:118], v[133:134], v[131:132]
	v_add_f64 v[119:120], v[119:120], v[170:171]
	v_add_f64 v[121:122], v[121:122], v[168:169]
	s_clause 0x3
	buffer_load_dword v133, off, s[0:3], 0 offset:256
	buffer_load_dword v134, off, s[0:3], 0 offset:260
	;; [unrolled: 1-line block ×4, first 2 shown]
	ds_read_b128 v[115:118], v167 offset:1520
	s_waitcnt vmcnt(49) lgkmcnt(1)
	v_mul_f64 v[170:171], v[1:2], v[129:130]
	v_mul_f64 v[129:130], v[3:4], v[129:130]
	s_waitcnt vmcnt(48)
	v_fma_f64 v[143:144], v[5:6], v[176:177], -v[143:144]
	v_add_f64 v[119:120], v[119:120], v[123:124]
	v_fma_f64 v[123:124], v[7:8], v[176:177], v[127:128]
	v_add_f64 v[121:122], v[121:122], v[131:132]
	ds_read_b128 v[5:8], v167 offset:1536
	s_waitcnt vmcnt(47) lgkmcnt(1)
	v_mul_f64 v[131:132], v[117:118], v[149:150]
	v_mul_f64 v[127:128], v[115:116], v[149:150]
	s_waitcnt vmcnt(45)
	v_fma_f64 v[129:130], v[1:2], v[139:140], -v[129:130]
	v_fma_f64 v[139:140], v[3:4], v[139:140], v[170:171]
	ds_read_b128 v[1:4], v167 offset:1552
	v_add_f64 v[119:120], v[119:120], v[143:144]
	v_add_f64 v[121:122], v[121:122], v[123:124]
	s_waitcnt vmcnt(41) lgkmcnt(1)
	v_mul_f64 v[123:124], v[5:6], v[135:136]
	v_mul_f64 v[135:136], v[7:8], v[135:136]
	s_waitcnt vmcnt(40)
	v_fma_f64 v[131:132], v[115:116], v[151:152], -v[131:132]
	v_fma_f64 v[127:128], v[117:118], v[151:152], v[127:128]
	ds_read_b128 v[115:118], v167 offset:1568
	v_add_f64 v[119:120], v[119:120], v[129:130]
	v_add_f64 v[121:122], v[121:122], v[139:140]
	;; [unrolled: 9-line block ×3, first 2 shown]
	s_waitcnt vmcnt(33) lgkmcnt(1)
	v_mul_f64 v[131:132], v[117:118], v[141:142]
	s_waitcnt vmcnt(32)
	v_fma_f64 v[137:138], v[1:2], v[159:160], -v[139:140]
	v_mul_f64 v[127:128], v[115:116], v[141:142]
	v_fma_f64 v[129:130], v[3:4], v[159:160], v[129:130]
	ds_read_b128 v[1:4], v167 offset:1600
	v_add_f64 v[119:120], v[119:120], v[135:136]
	v_add_f64 v[121:122], v[121:122], v[123:124]
	s_waitcnt vmcnt(31) lgkmcnt(1)
	v_mul_f64 v[135:136], v[7:8], v[163:164]
	v_mul_f64 v[123:124], v[5:6], v[163:164]
	s_waitcnt vmcnt(29)
	v_fma_f64 v[131:132], v[115:116], v[145:146], -v[131:132]
	v_fma_f64 v[127:128], v[117:118], v[145:146], v[127:128]
	ds_read_b128 v[115:118], v167 offset:1616
	v_add_f64 v[119:120], v[119:120], v[137:138]
	v_add_f64 v[121:122], v[121:122], v[129:130]
	s_waitcnt vmcnt(25) lgkmcnt(1)
	v_mul_f64 v[137:138], v[3:4], v[147:148]
	s_waitcnt vmcnt(24)
	v_fma_f64 v[135:136], v[5:6], v[165:166], -v[135:136]
	v_mul_f64 v[129:130], v[1:2], v[147:148]
	v_fma_f64 v[123:124], v[7:8], v[165:166], v[123:124]
	ds_read_b128 v[5:8], v167 offset:1632
	v_add_f64 v[119:120], v[119:120], v[131:132]
	v_add_f64 v[121:122], v[121:122], v[127:128]
	s_waitcnt vmcnt(23) lgkmcnt(1)
	v_mul_f64 v[131:132], v[117:118], v[186:187]
	v_mul_f64 v[127:128], v[115:116], v[186:187]
	s_waitcnt vmcnt(21)
	v_fma_f64 v[137:138], v[1:2], v[153:154], -v[137:138]
	v_fma_f64 v[129:130], v[3:4], v[153:154], v[129:130]
	ds_read_b128 v[1:4], v167 offset:1648
	v_add_f64 v[119:120], v[119:120], v[135:136]
	v_add_f64 v[121:122], v[121:122], v[123:124]
	;; [unrolled: 18-line block ×3, first 2 shown]
	s_waitcnt vmcnt(9) lgkmcnt(1)
	v_mul_f64 v[131:132], v[117:118], v[178:179]
	s_waitcnt vmcnt(8)
	v_fma_f64 v[1:2], v[1:2], v[195:196], -v[137:138]
	v_mul_f64 v[127:128], v[115:116], v[178:179]
	v_fma_f64 v[3:4], v[3:4], v[195:196], v[129:130]
	v_add_f64 v[119:120], v[119:120], v[135:136]
	v_add_f64 v[121:122], v[121:122], v[123:124]
	s_waitcnt vmcnt(7) lgkmcnt(0)
	v_mul_f64 v[129:130], v[7:8], v[188:189]
	v_mul_f64 v[123:124], v[5:6], v[188:189]
	s_waitcnt vmcnt(5)
	v_fma_f64 v[115:116], v[115:116], v[125:126], -v[131:132]
	v_fma_f64 v[117:118], v[117:118], v[125:126], v[127:128]
	v_add_f64 v[1:2], v[119:120], v[1:2]
	v_add_f64 v[3:4], v[121:122], v[3:4]
	s_waitcnt vmcnt(4)
	v_fma_f64 v[5:6], v[5:6], v[192:193], -v[129:130]
	v_fma_f64 v[7:8], v[7:8], v[192:193], v[123:124]
	v_add_f64 v[1:2], v[1:2], v[115:116]
	v_add_f64 v[3:4], v[3:4], v[117:118]
	;; [unrolled: 1-line block ×4, first 2 shown]
	s_waitcnt vmcnt(2)
	v_add_f64 v[1:2], v[133:134], -v[1:2]
	s_waitcnt vmcnt(0)
	v_add_f64 v[3:4], v[168:169], -v[3:4]
	buffer_store_dword v2, off, s[0:3], 0 offset:260
	buffer_store_dword v1, off, s[0:3], 0 offset:256
	;; [unrolled: 1-line block ×4, first 2 shown]
	v_cmpx_lt_u32_e32 14, v0
	s_cbranch_execz .LBB116_303
; %bb.302:
	v_mov_b32_e32 v4, s51
	s_clause 0x3
	buffer_load_dword v1, v4, s[0:3], 0 offen
	buffer_load_dword v2, v4, s[0:3], 0 offen offset:4
	buffer_load_dword v3, v4, s[0:3], 0 offen offset:8
	;; [unrolled: 1-line block ×3, first 2 shown]
	buffer_store_dword v167, off, s[0:3], 0 offset:240
	buffer_store_dword v167, off, s[0:3], 0 offset:244
	;; [unrolled: 1-line block ×4, first 2 shown]
	s_waitcnt vmcnt(0)
	ds_write_b128 v175, v[1:4]
.LBB116_303:
	s_or_b32 exec_lo, exec_lo, s4
	s_waitcnt lgkmcnt(0)
	s_waitcnt_vscnt null, 0x0
	s_barrier
	buffer_gl0_inv
	s_clause 0x37
	buffer_load_dword v115, off, s[0:3], 0 offset:264
	buffer_load_dword v116, off, s[0:3], 0 offset:268
	;; [unrolled: 1-line block ×56, first 2 shown]
	ds_read_b128 v[168:171], v167 offset:1088
	s_clause 0x2
	buffer_load_dword v164, off, s[0:3], 0 offset:492
	buffer_load_dword v166, off, s[0:3], 0 offset:468
	;; [unrolled: 1-line block ×3, first 2 shown]
	ds_read_b128 v[176:179], v167 offset:1104
	s_clause 0x4
	buffer_load_dword v185, off, s[0:3], 0 offset:508
	buffer_load_dword v186, off, s[0:3], 0 offset:520
	;; [unrolled: 1-line block ×5, first 2 shown]
	ds_read_b128 v[180:183], v167 offset:1120
	s_clause 0x2
	buffer_load_dword v187, off, s[0:3], 0 offset:524
	buffer_load_dword v192, off, s[0:3], 0 offset:500
	;; [unrolled: 1-line block ×3, first 2 shown]
	s_mov_b32 s4, exec_lo
	s_waitcnt vmcnt(62) lgkmcnt(2)
	v_mul_f64 v[172:173], v[170:171], v[115:116]
	v_mul_f64 v[115:116], v[168:169], v[115:116]
	s_waitcnt lgkmcnt(1)
	v_mul_f64 v[189:190], v[178:179], v[5:6]
	s_waitcnt vmcnt(59) lgkmcnt(0)
	v_mul_f64 v[193:194], v[182:183], v[3:4]
	v_fma_f64 v[168:169], v[168:169], v[7:8], -v[172:173]
	v_mul_f64 v[172:173], v[176:177], v[5:6]
	v_fma_f64 v[115:116], v[170:171], v[7:8], v[115:116]
	s_waitcnt vmcnt(57)
	v_fma_f64 v[176:177], v[176:177], v[1:2], -v[189:190]
	ds_read_b128 v[5:8], v167 offset:1136
	v_mul_f64 v[170:171], v[180:181], v[3:4]
	s_waitcnt vmcnt(51)
	v_fma_f64 v[180:181], v[180:181], v[131:132], -v[193:194]
	v_add_f64 v[168:169], v[168:169], 0
	v_fma_f64 v[172:173], v[178:179], v[1:2], v[172:173]
	v_add_f64 v[115:116], v[115:116], 0
	s_clause 0x4
	buffer_load_dword v179, off, s[0:3], 0 offset:540
	buffer_load_dword v195, off, s[0:3], 0 offset:552
	;; [unrolled: 1-line block ×5, first 2 shown]
	s_waitcnt lgkmcnt(0)
	v_mul_f64 v[198:199], v[5:6], v[119:120]
	v_mul_f64 v[119:120], v[7:8], v[119:120]
	ds_read_b128 v[1:4], v167 offset:1152
	v_fma_f64 v[131:132], v[182:183], v[131:132], v[170:171]
	v_add_f64 v[176:177], v[168:169], v[176:177]
	v_add_f64 v[115:116], v[115:116], v[172:173]
	s_clause 0x2
	buffer_load_dword v196, off, s[0:3], 0 offset:556
	buffer_load_dword v173, off, s[0:3], 0 offset:532
	;; [unrolled: 1-line block ×3, first 2 shown]
	s_waitcnt vmcnt(58) lgkmcnt(0)
	v_mul_f64 v[182:183], v[1:2], v[123:124]
	v_mul_f64 v[123:124], v[3:4], v[123:124]
	s_waitcnt vmcnt(56)
	v_fma_f64 v[119:120], v[5:6], v[125:126], -v[119:120]
	ds_read_b128 v[168:171], v167 offset:1168
	v_fma_f64 v[125:126], v[7:8], v[125:126], v[198:199]
	v_add_f64 v[176:177], v[176:177], v[180:181]
	v_add_f64 v[115:116], v[115:116], v[131:132]
	s_clause 0x4
	buffer_load_dword v132, off, s[0:3], 0 offset:572
	buffer_load_dword v180, off, s[0:3], 0 offset:584
	;; [unrolled: 1-line block ×5, first 2 shown]
	ds_read_b128 v[5:8], v167 offset:1184
	s_waitcnt vmcnt(57) lgkmcnt(1)
	v_mul_f64 v[199:200], v[168:169], v[127:128]
	v_mul_f64 v[127:128], v[170:171], v[127:128]
	s_waitcnt vmcnt(56)
	v_fma_f64 v[123:124], v[1:2], v[117:118], -v[123:124]
	v_fma_f64 v[117:118], v[3:4], v[117:118], v[182:183]
	v_add_f64 v[119:120], v[176:177], v[119:120]
	v_add_f64 v[115:116], v[115:116], v[125:126]
	s_clause 0x2
	buffer_load_dword v181, off, s[0:3], 0 offset:588
	buffer_load_dword v126, off, s[0:3], 0 offset:564
	;; [unrolled: 1-line block ×3, first 2 shown]
	s_waitcnt vmcnt(58) lgkmcnt(0)
	v_mul_f64 v[176:177], v[5:6], v[133:134]
	v_mul_f64 v[133:134], v[7:8], v[133:134]
	s_waitcnt vmcnt(56)
	v_fma_f64 v[127:128], v[168:169], v[135:136], -v[127:128]
	ds_read_b128 v[1:4], v167 offset:1200
	v_add_f64 v[119:120], v[119:120], v[123:124]
	v_fma_f64 v[123:124], v[170:171], v[135:136], v[199:200]
	v_add_f64 v[135:136], v[115:116], v[117:118]
	s_clause 0x4
	buffer_load_dword v169, off, s[0:3], 0 offset:604
	buffer_load_dword v170, off, s[0:3], 0 offset:616
	buffer_load_dword v182, off, s[0:3], 0 offset:608
	buffer_load_dword v168, off, s[0:3], 0 offset:600
	buffer_load_dword v194, off, s[0:3], 0 offset:580
	ds_read_b128 v[115:118], v167 offset:1216
	s_waitcnt vmcnt(57) lgkmcnt(1)
	v_mul_f64 v[199:200], v[1:2], v[137:138]
	v_mul_f64 v[137:138], v[3:4], v[137:138]
	s_waitcnt vmcnt(56)
	v_fma_f64 v[133:134], v[5:6], v[121:122], -v[133:134]
	v_fma_f64 v[121:122], v[7:8], v[121:122], v[176:177]
	v_add_f64 v[119:120], v[119:120], v[127:128]
	s_clause 0x2
	buffer_load_dword v171, off, s[0:3], 0 offset:620
	buffer_load_dword v128, off, s[0:3], 0 offset:596
	buffer_load_dword v127, off, s[0:3], 0 offset:592
	v_add_f64 v[123:124], v[135:136], v[123:124]
	s_waitcnt vmcnt(58) lgkmcnt(0)
	v_mul_f64 v[135:136], v[115:116], v[141:142]
	v_mul_f64 v[141:142], v[117:118], v[141:142]
	ds_read_b128 v[5:8], v167 offset:1232
	s_waitcnt vmcnt(56)
	v_fma_f64 v[137:138], v[1:2], v[143:144], -v[137:138]
	v_add_f64 v[119:120], v[119:120], v[133:134]
	v_fma_f64 v[133:134], v[3:4], v[143:144], v[199:200]
	v_add_f64 v[121:122], v[123:124], v[121:122]
	s_clause 0x4
	buffer_load_dword v124, off, s[0:3], 0 offset:636
	buffer_load_dword v143, off, s[0:3], 0 offset:648
	;; [unrolled: 1-line block ×5, first 2 shown]
	s_waitcnt vmcnt(57) lgkmcnt(0)
	v_mul_f64 v[199:200], v[5:6], v[145:146]
	v_mul_f64 v[145:146], v[7:8], v[145:146]
	s_waitcnt vmcnt(56)
	v_fma_f64 v[141:142], v[115:116], v[129:130], -v[141:142]
	ds_read_b128 v[1:4], v167 offset:1248
	v_fma_f64 v[129:130], v[117:118], v[129:130], v[135:136]
	v_add_f64 v[119:120], v[119:120], v[137:138]
	v_add_f64 v[121:122], v[121:122], v[133:134]
	s_clause 0x2
	buffer_load_dword v144, off, s[0:3], 0 offset:652
	buffer_load_dword v134, off, s[0:3], 0 offset:628
	;; [unrolled: 1-line block ×3, first 2 shown]
	ds_read_b128 v[115:118], v167 offset:1264
	s_waitcnt vmcnt(58) lgkmcnt(1)
	v_mul_f64 v[137:138], v[3:4], v[149:150]
	s_waitcnt vmcnt(56)
	v_fma_f64 v[145:146], v[5:6], v[151:152], -v[145:146]
	v_mul_f64 v[135:136], v[1:2], v[149:150]
	v_add_f64 v[119:120], v[119:120], v[141:142]
	v_fma_f64 v[141:142], v[7:8], v[151:152], v[199:200]
	v_add_f64 v[121:122], v[121:122], v[129:130]
	s_clause 0x4
	buffer_load_dword v130, off, s[0:3], 0 offset:668
	buffer_load_dword v149, off, s[0:3], 0 offset:680
	;; [unrolled: 1-line block ×5, first 2 shown]
	s_waitcnt vmcnt(57) lgkmcnt(0)
	v_mul_f64 v[199:200], v[115:116], v[153:154]
	v_mul_f64 v[152:153], v[117:118], v[153:154]
	s_waitcnt vmcnt(56)
	v_fma_f64 v[137:138], v[1:2], v[139:140], -v[137:138]
	ds_read_b128 v[5:8], v167 offset:1280
	v_fma_f64 v[135:136], v[3:4], v[139:140], v[135:136]
	s_clause 0x2
	buffer_load_dword v150, off, s[0:3], 0 offset:684
	buffer_load_dword v140, off, s[0:3], 0 offset:660
	;; [unrolled: 1-line block ×3, first 2 shown]
	ds_read_b128 v[1:4], v167 offset:1296
	v_add_f64 v[119:120], v[119:120], v[145:146]
	v_add_f64 v[121:122], v[121:122], v[141:142]
	s_waitcnt vmcnt(58) lgkmcnt(1)
	v_mul_f64 v[145:146], v[7:8], v[157:158]
	s_waitcnt vmcnt(56)
	v_fma_f64 v[153:154], v[115:116], v[159:160], -v[152:153]
	v_mul_f64 v[141:142], v[5:6], v[157:158]
	v_add_f64 v[119:120], v[119:120], v[137:138]
	v_fma_f64 v[137:138], v[117:118], v[159:160], v[199:200]
	v_add_f64 v[121:122], v[121:122], v[135:136]
	s_clause 0x4
	buffer_load_dword v136, off, s[0:3], 0 offset:700
	buffer_load_dword v157, off, s[0:3], 0 offset:712
	;; [unrolled: 1-line block ×5, first 2 shown]
	s_waitcnt vmcnt(57) lgkmcnt(0)
	v_mul_f64 v[199:200], v[1:2], v[161:162]
	v_mul_f64 v[160:161], v[3:4], v[161:162]
	s_waitcnt vmcnt(56)
	v_fma_f64 v[145:146], v[5:6], v[147:148], -v[145:146]
	ds_read_b128 v[115:118], v167 offset:1312
	v_fma_f64 v[141:142], v[7:8], v[147:148], v[141:142]
	v_add_f64 v[119:120], v[119:120], v[153:154]
	v_add_f64 v[121:122], v[121:122], v[137:138]
	s_clause 0x2
	buffer_load_dword v158, off, s[0:3], 0 offset:716
	buffer_load_dword v138, off, s[0:3], 0 offset:692
	buffer_load_dword v137, off, s[0:3], 0 offset:688
	ds_read_b128 v[5:8], v167 offset:1328
	s_waitcnt vmcnt(58) lgkmcnt(1)
	v_mul_f64 v[153:154], v[117:118], v[163:164]
	s_waitcnt vmcnt(56)
	v_fma_f64 v[161:162], v[1:2], v[165:166], -v[160:161]
	v_mul_f64 v[147:148], v[115:116], v[163:164]
	v_add_f64 v[119:120], v[119:120], v[145:146]
	v_fma_f64 v[145:146], v[3:4], v[165:166], v[199:200]
	v_add_f64 v[121:122], v[121:122], v[141:142]
	s_clause 0x4
	buffer_load_dword v142, off, s[0:3], 0 offset:732
	buffer_load_dword v163, off, s[0:3], 0 offset:744
	;; [unrolled: 1-line block ×5, first 2 shown]
	s_waitcnt vmcnt(57) lgkmcnt(0)
	v_mul_f64 v[199:200], v[5:6], v[184:185]
	v_mul_f64 v[184:185], v[7:8], v[184:185]
	s_waitcnt vmcnt(56)
	v_fma_f64 v[153:154], v[115:116], v[155:156], -v[153:154]
	ds_read_b128 v[1:4], v167 offset:1344
	v_fma_f64 v[147:148], v[117:118], v[155:156], v[147:148]
	v_add_f64 v[119:120], v[119:120], v[161:162]
	v_add_f64 v[121:122], v[121:122], v[145:146]
	s_clause 0x2
	buffer_load_dword v164, off, s[0:3], 0 offset:748
	buffer_load_dword v146, off, s[0:3], 0 offset:724
	;; [unrolled: 1-line block ×3, first 2 shown]
	ds_read_b128 v[115:118], v167 offset:1360
	s_waitcnt vmcnt(58) lgkmcnt(1)
	v_mul_f64 v[161:162], v[3:4], v[186:187]
	s_waitcnt vmcnt(56)
	v_fma_f64 v[184:185], v[5:6], v[191:192], -v[184:185]
	v_mul_f64 v[155:156], v[1:2], v[186:187]
	v_add_f64 v[119:120], v[119:120], v[153:154]
	v_fma_f64 v[153:154], v[7:8], v[191:192], v[199:200]
	v_add_f64 v[121:122], v[121:122], v[147:148]
	s_clause 0x4
	buffer_load_dword v148, off, s[0:3], 0 offset:764
	buffer_load_dword v186, off, s[0:3], 0 offset:776
	;; [unrolled: 1-line block ×5, first 2 shown]
	ds_read_b128 v[5:8], v167 offset:1376
	s_waitcnt vmcnt(57) lgkmcnt(1)
	v_mul_f64 v[191:192], v[115:116], v[178:179]
	v_mul_f64 v[178:179], v[117:118], v[178:179]
	s_waitcnt vmcnt(56)
	v_fma_f64 v[161:162], v[1:2], v[188:189], -v[161:162]
	v_fma_f64 v[155:156], v[3:4], v[188:189], v[155:156]
	v_add_f64 v[119:120], v[119:120], v[184:185]
	v_add_f64 v[121:122], v[121:122], v[153:154]
	s_clause 0x2
	buffer_load_dword v187, off, s[0:3], 0 offset:780
	buffer_load_dword v154, off, s[0:3], 0 offset:756
	;; [unrolled: 1-line block ×3, first 2 shown]
	ds_read_b128 v[1:4], v167 offset:1392
	s_waitcnt vmcnt(58) lgkmcnt(1)
	v_mul_f64 v[188:189], v[7:8], v[195:196]
	v_mul_f64 v[184:185], v[5:6], v[195:196]
	s_waitcnt vmcnt(56)
	v_fma_f64 v[178:179], v[115:116], v[172:173], -v[178:179]
	v_add_f64 v[119:120], v[119:120], v[161:162]
	v_fma_f64 v[161:162], v[117:118], v[172:173], v[191:192]
	v_add_f64 v[121:122], v[121:122], v[155:156]
	s_clause 0x4
	buffer_load_dword v156, off, s[0:3], 0 offset:796
	buffer_load_dword v172, off, s[0:3], 0 offset:808
	;; [unrolled: 1-line block ×5, first 2 shown]
	ds_read_b128 v[115:118], v167 offset:1408
	s_waitcnt vmcnt(57) lgkmcnt(1)
	v_mul_f64 v[199:200], v[1:2], v[131:132]
	v_mul_f64 v[131:132], v[3:4], v[131:132]
	s_waitcnt vmcnt(56)
	v_fma_f64 v[188:189], v[5:6], v[197:198], -v[188:189]
	v_add_f64 v[119:120], v[119:120], v[178:179]
	v_fma_f64 v[178:179], v[7:8], v[197:198], v[184:185]
	v_add_f64 v[121:122], v[121:122], v[161:162]
	s_clause 0x2
	buffer_load_dword v173, off, s[0:3], 0 offset:812
	buffer_load_dword v162, off, s[0:3], 0 offset:788
	;; [unrolled: 1-line block ×3, first 2 shown]
	ds_read_b128 v[5:8], v167 offset:1424
	s_waitcnt vmcnt(58) lgkmcnt(1)
	v_mul_f64 v[184:185], v[115:116], v[180:181]
	v_mul_f64 v[180:181], v[117:118], v[180:181]
	s_waitcnt vmcnt(56)
	v_fma_f64 v[131:132], v[1:2], v[125:126], -v[131:132]
	v_fma_f64 v[125:126], v[3:4], v[125:126], v[199:200]
	v_add_f64 v[119:120], v[119:120], v[188:189]
	v_add_f64 v[121:122], v[121:122], v[178:179]
	s_clause 0x4
	buffer_load_dword v179, off, s[0:3], 0 offset:828
	buffer_load_dword v188, off, s[0:3], 0 offset:840
	;; [unrolled: 1-line block ×5, first 2 shown]
	ds_read_b128 v[1:4], v167 offset:1440
	s_waitcnt vmcnt(57) lgkmcnt(1)
	v_mul_f64 v[197:198], v[5:6], v[168:169]
	v_mul_f64 v[168:169], v[7:8], v[168:169]
	s_waitcnt vmcnt(56)
	v_fma_f64 v[180:181], v[115:116], v[193:194], -v[180:181]
	v_add_f64 v[119:120], v[119:120], v[131:132]
	v_fma_f64 v[131:132], v[117:118], v[193:194], v[184:185]
	v_add_f64 v[121:122], v[121:122], v[125:126]
	s_clause 0x2
	buffer_load_dword v189, off, s[0:3], 0 offset:844
	buffer_load_dword v126, off, s[0:3], 0 offset:820
	;; [unrolled: 1-line block ×3, first 2 shown]
	ds_read_b128 v[115:118], v167 offset:1456
	s_waitcnt vmcnt(58) lgkmcnt(1)
	v_mul_f64 v[184:185], v[1:2], v[170:171]
	v_mul_f64 v[170:171], v[3:4], v[170:171]
	s_waitcnt vmcnt(56)
	v_fma_f64 v[168:169], v[5:6], v[127:128], -v[168:169]
	v_fma_f64 v[127:128], v[7:8], v[127:128], v[197:198]
	v_add_f64 v[119:120], v[119:120], v[180:181]
	v_add_f64 v[121:122], v[121:122], v[131:132]
	s_clause 0x2
	buffer_load_dword v132, off, s[0:3], 0 offset:860
	buffer_load_dword v131, off, s[0:3], 0 offset:856
	;; [unrolled: 1-line block ×3, first 2 shown]
	ds_read_b128 v[5:8], v167 offset:1472
	s_waitcnt vmcnt(55) lgkmcnt(1)
	v_mul_f64 v[180:181], v[115:116], v[123:124]
	v_mul_f64 v[123:124], v[117:118], v[123:124]
	s_waitcnt vmcnt(54)
	v_fma_f64 v[170:171], v[1:2], v[182:183], -v[170:171]
	v_add_f64 v[119:120], v[119:120], v[168:169]
	v_fma_f64 v[168:169], v[3:4], v[182:183], v[184:185]
	v_add_f64 v[121:122], v[121:122], v[127:128]
	s_clause 0x1
	buffer_load_dword v128, off, s[0:3], 0 offset:852
	buffer_load_dword v127, off, s[0:3], 0 offset:848
	ds_read_b128 v[1:4], v167 offset:1488
	s_waitcnt vmcnt(55) lgkmcnt(1)
	v_mul_f64 v[182:183], v[5:6], v[143:144]
	v_mul_f64 v[143:144], v[7:8], v[143:144]
	s_waitcnt vmcnt(53)
	v_fma_f64 v[123:124], v[115:116], v[133:134], -v[123:124]
	v_fma_f64 v[133:134], v[117:118], v[133:134], v[180:181]
	ds_read_b128 v[115:118], v167 offset:1504
	v_add_f64 v[119:120], v[119:120], v[170:171]
	v_add_f64 v[121:122], v[121:122], v[168:169]
	s_waitcnt vmcnt(49) lgkmcnt(1)
	v_mul_f64 v[168:169], v[1:2], v[129:130]
	v_mul_f64 v[129:130], v[3:4], v[129:130]
	s_waitcnt vmcnt(48)
	v_fma_f64 v[143:144], v[5:6], v[176:177], -v[143:144]
	v_add_f64 v[119:120], v[119:120], v[123:124]
	v_fma_f64 v[123:124], v[7:8], v[176:177], v[182:183]
	v_add_f64 v[121:122], v[121:122], v[133:134]
	s_clause 0x3
	buffer_load_dword v133, off, s[0:3], 0 offset:240
	buffer_load_dword v134, off, s[0:3], 0 offset:244
	;; [unrolled: 1-line block ×4, first 2 shown]
	s_waitcnt vmcnt(51) lgkmcnt(0)
	v_mul_f64 v[176:177], v[115:116], v[149:150]
	v_mul_f64 v[149:150], v[117:118], v[149:150]
	ds_read_b128 v[5:8], v167 offset:1520
	s_waitcnt vmcnt(49)
	v_fma_f64 v[129:130], v[1:2], v[139:140], -v[129:130]
	v_fma_f64 v[139:140], v[3:4], v[139:140], v[168:169]
	ds_read_b128 v[1:4], v167 offset:1536
	v_add_f64 v[119:120], v[119:120], v[143:144]
	v_add_f64 v[121:122], v[121:122], v[123:124]
	s_waitcnt vmcnt(45) lgkmcnt(1)
	v_mul_f64 v[123:124], v[5:6], v[135:136]
	v_mul_f64 v[135:136], v[7:8], v[135:136]
	s_waitcnt vmcnt(44)
	v_fma_f64 v[143:144], v[115:116], v[151:152], -v[149:150]
	v_add_f64 v[119:120], v[119:120], v[129:130]
	v_fma_f64 v[129:130], v[117:118], v[151:152], v[176:177]
	v_add_f64 v[121:122], v[121:122], v[139:140]
	ds_read_b128 v[115:118], v167 offset:1552
	s_waitcnt vmcnt(43) lgkmcnt(1)
	v_mul_f64 v[149:150], v[3:4], v[157:158]
	v_mul_f64 v[139:140], v[1:2], v[157:158]
	s_waitcnt vmcnt(41)
	v_fma_f64 v[135:136], v[5:6], v[137:138], -v[135:136]
	v_fma_f64 v[123:124], v[7:8], v[137:138], v[123:124]
	ds_read_b128 v[5:8], v167 offset:1568
	v_add_f64 v[119:120], v[119:120], v[143:144]
	v_add_f64 v[121:122], v[121:122], v[129:130]
	s_waitcnt vmcnt(37) lgkmcnt(1)
	v_mul_f64 v[129:130], v[115:116], v[141:142]
	v_mul_f64 v[137:138], v[117:118], v[141:142]
	s_waitcnt vmcnt(36)
	v_fma_f64 v[141:142], v[1:2], v[159:160], -v[149:150]
	v_add_f64 v[119:120], v[119:120], v[135:136]
	v_fma_f64 v[135:136], v[3:4], v[159:160], v[139:140]
	v_add_f64 v[121:122], v[121:122], v[123:124]
	ds_read_b128 v[1:4], v167 offset:1584
	s_waitcnt vmcnt(35) lgkmcnt(1)
	v_mul_f64 v[139:140], v[7:8], v[163:164]
	v_mul_f64 v[123:124], v[5:6], v[163:164]
	s_waitcnt vmcnt(33)
	v_fma_f64 v[137:138], v[115:116], v[145:146], -v[137:138]
	v_fma_f64 v[129:130], v[117:118], v[145:146], v[129:130]
	ds_read_b128 v[115:118], v167 offset:1600
	v_add_f64 v[119:120], v[119:120], v[141:142]
	v_add_f64 v[121:122], v[121:122], v[135:136]
	s_waitcnt vmcnt(29) lgkmcnt(1)
	v_mul_f64 v[141:142], v[3:4], v[147:148]
	s_waitcnt vmcnt(28)
	v_fma_f64 v[139:140], v[5:6], v[165:166], -v[139:140]
	v_mul_f64 v[135:136], v[1:2], v[147:148]
	v_fma_f64 v[123:124], v[7:8], v[165:166], v[123:124]
	ds_read_b128 v[5:8], v167 offset:1616
	v_add_f64 v[119:120], v[119:120], v[137:138]
	v_add_f64 v[121:122], v[121:122], v[129:130]
	s_waitcnt vmcnt(27) lgkmcnt(1)
	v_mul_f64 v[137:138], v[117:118], v[186:187]
	v_mul_f64 v[129:130], v[115:116], v[186:187]
	s_waitcnt vmcnt(25)
	v_fma_f64 v[141:142], v[1:2], v[153:154], -v[141:142]
	v_fma_f64 v[135:136], v[3:4], v[153:154], v[135:136]
	ds_read_b128 v[1:4], v167 offset:1632
	v_add_f64 v[119:120], v[119:120], v[139:140]
	v_add_f64 v[121:122], v[121:122], v[123:124]
	s_waitcnt vmcnt(21) lgkmcnt(1)
	v_mul_f64 v[139:140], v[7:8], v[155:156]
	s_waitcnt vmcnt(20)
	v_fma_f64 v[137:138], v[115:116], v[190:191], -v[137:138]
	v_mul_f64 v[123:124], v[5:6], v[155:156]
	v_fma_f64 v[129:130], v[117:118], v[190:191], v[129:130]
	ds_read_b128 v[115:118], v167 offset:1648
	v_add_f64 v[119:120], v[119:120], v[141:142]
	v_add_f64 v[121:122], v[121:122], v[135:136]
	;; [unrolled: 18-line block ×3, first 2 shown]
	s_waitcnt vmcnt(11) lgkmcnt(1)
	v_mul_f64 v[139:140], v[7:8], v[188:189]
	v_mul_f64 v[123:124], v[5:6], v[188:189]
	s_waitcnt vmcnt(9)
	v_fma_f64 v[115:116], v[115:116], v[125:126], -v[137:138]
	v_fma_f64 v[117:118], v[117:118], v[125:126], v[129:130]
	v_add_f64 v[119:120], v[119:120], v[141:142]
	v_add_f64 v[121:122], v[121:122], v[135:136]
	s_waitcnt vmcnt(7) lgkmcnt(0)
	v_mul_f64 v[129:130], v[3:4], v[131:132]
	s_waitcnt vmcnt(6)
	v_fma_f64 v[5:6], v[5:6], v[192:193], -v[139:140]
	v_mul_f64 v[125:126], v[1:2], v[131:132]
	v_fma_f64 v[7:8], v[7:8], v[192:193], v[123:124]
	v_add_f64 v[115:116], v[119:120], v[115:116]
	v_add_f64 v[117:118], v[121:122], v[117:118]
	s_waitcnt vmcnt(4)
	v_fma_f64 v[1:2], v[1:2], v[127:128], -v[129:130]
	v_fma_f64 v[3:4], v[3:4], v[127:128], v[125:126]
	v_add_f64 v[5:6], v[115:116], v[5:6]
	v_add_f64 v[7:8], v[117:118], v[7:8]
	;; [unrolled: 1-line block ×4, first 2 shown]
	s_waitcnt vmcnt(2)
	v_add_f64 v[1:2], v[133:134], -v[1:2]
	s_waitcnt vmcnt(0)
	v_add_f64 v[3:4], v[170:171], -v[3:4]
	buffer_store_dword v2, off, s[0:3], 0 offset:244
	buffer_store_dword v1, off, s[0:3], 0 offset:240
	;; [unrolled: 1-line block ×4, first 2 shown]
	v_cmpx_lt_u32_e32 13, v0
	s_cbranch_execz .LBB116_305
; %bb.304:
	v_mov_b32_e32 v4, s52
	v_mov_b32_e32 v5, 0
	s_clause 0x3
	buffer_load_dword v1, v4, s[0:3], 0 offen
	buffer_load_dword v2, v4, s[0:3], 0 offen offset:4
	buffer_load_dword v3, v4, s[0:3], 0 offen offset:8
	;; [unrolled: 1-line block ×3, first 2 shown]
	buffer_store_dword v5, off, s[0:3], 0 offset:224
	buffer_store_dword v5, off, s[0:3], 0 offset:228
	;; [unrolled: 1-line block ×4, first 2 shown]
	s_waitcnt vmcnt(0)
	ds_write_b128 v175, v[1:4]
.LBB116_305:
	s_or_b32 exec_lo, exec_lo, s4
	s_waitcnt lgkmcnt(0)
	s_waitcnt_vscnt null, 0x0
	s_barrier
	buffer_gl0_inv
	s_clause 0x37
	buffer_load_dword v115, off, s[0:3], 0 offset:248
	buffer_load_dword v116, off, s[0:3], 0 offset:252
	;; [unrolled: 1-line block ×56, first 2 shown]
	v_mov_b32_e32 v167, 0
	s_mov_b32 s4, exec_lo
	ds_read_b128 v[168:171], v167 offset:1072
	s_clause 0x2
	buffer_load_dword v164, off, s[0:3], 0 offset:476
	buffer_load_dword v166, off, s[0:3], 0 offset:452
	;; [unrolled: 1-line block ×3, first 2 shown]
	ds_read_b128 v[176:179], v167 offset:1088
	s_clause 0x4
	buffer_load_dword v185, off, s[0:3], 0 offset:492
	buffer_load_dword v186, off, s[0:3], 0 offset:504
	;; [unrolled: 1-line block ×5, first 2 shown]
	ds_read_b128 v[180:183], v167 offset:1104
	s_clause 0x2
	buffer_load_dword v187, off, s[0:3], 0 offset:508
	buffer_load_dword v192, off, s[0:3], 0 offset:484
	;; [unrolled: 1-line block ×3, first 2 shown]
	s_waitcnt vmcnt(62) lgkmcnt(2)
	v_mul_f64 v[172:173], v[170:171], v[115:116]
	v_mul_f64 v[115:116], v[168:169], v[115:116]
	s_waitcnt lgkmcnt(1)
	v_mul_f64 v[189:190], v[178:179], v[5:6]
	s_waitcnt vmcnt(59) lgkmcnt(0)
	v_mul_f64 v[193:194], v[182:183], v[3:4]
	v_fma_f64 v[168:169], v[168:169], v[7:8], -v[172:173]
	v_mul_f64 v[172:173], v[176:177], v[5:6]
	v_fma_f64 v[115:116], v[170:171], v[7:8], v[115:116]
	s_waitcnt vmcnt(57)
	v_fma_f64 v[176:177], v[176:177], v[1:2], -v[189:190]
	ds_read_b128 v[5:8], v167 offset:1120
	v_mul_f64 v[170:171], v[180:181], v[3:4]
	s_waitcnt vmcnt(51)
	v_fma_f64 v[180:181], v[180:181], v[131:132], -v[193:194]
	v_add_f64 v[168:169], v[168:169], 0
	v_fma_f64 v[172:173], v[178:179], v[1:2], v[172:173]
	v_add_f64 v[115:116], v[115:116], 0
	s_clause 0x4
	buffer_load_dword v179, off, s[0:3], 0 offset:524
	buffer_load_dword v195, off, s[0:3], 0 offset:536
	;; [unrolled: 1-line block ×5, first 2 shown]
	s_waitcnt lgkmcnt(0)
	v_mul_f64 v[198:199], v[5:6], v[119:120]
	v_mul_f64 v[119:120], v[7:8], v[119:120]
	ds_read_b128 v[1:4], v167 offset:1136
	v_fma_f64 v[131:132], v[182:183], v[131:132], v[170:171]
	v_add_f64 v[176:177], v[168:169], v[176:177]
	v_add_f64 v[115:116], v[115:116], v[172:173]
	s_clause 0x2
	buffer_load_dword v196, off, s[0:3], 0 offset:540
	buffer_load_dword v173, off, s[0:3], 0 offset:516
	;; [unrolled: 1-line block ×3, first 2 shown]
	s_waitcnt vmcnt(58) lgkmcnt(0)
	v_mul_f64 v[182:183], v[1:2], v[123:124]
	v_mul_f64 v[123:124], v[3:4], v[123:124]
	s_waitcnt vmcnt(56)
	v_fma_f64 v[119:120], v[5:6], v[125:126], -v[119:120]
	ds_read_b128 v[168:171], v167 offset:1152
	v_fma_f64 v[125:126], v[7:8], v[125:126], v[198:199]
	v_add_f64 v[176:177], v[176:177], v[180:181]
	v_add_f64 v[115:116], v[115:116], v[131:132]
	s_clause 0x4
	buffer_load_dword v132, off, s[0:3], 0 offset:556
	buffer_load_dword v180, off, s[0:3], 0 offset:568
	;; [unrolled: 1-line block ×5, first 2 shown]
	ds_read_b128 v[5:8], v167 offset:1168
	s_waitcnt vmcnt(57) lgkmcnt(1)
	v_mul_f64 v[199:200], v[168:169], v[127:128]
	v_mul_f64 v[127:128], v[170:171], v[127:128]
	s_waitcnt vmcnt(56)
	v_fma_f64 v[123:124], v[1:2], v[117:118], -v[123:124]
	v_fma_f64 v[117:118], v[3:4], v[117:118], v[182:183]
	v_add_f64 v[119:120], v[176:177], v[119:120]
	v_add_f64 v[115:116], v[115:116], v[125:126]
	s_clause 0x2
	buffer_load_dword v181, off, s[0:3], 0 offset:572
	buffer_load_dword v126, off, s[0:3], 0 offset:548
	;; [unrolled: 1-line block ×3, first 2 shown]
	s_waitcnt vmcnt(58) lgkmcnt(0)
	v_mul_f64 v[176:177], v[5:6], v[133:134]
	v_mul_f64 v[133:134], v[7:8], v[133:134]
	s_waitcnt vmcnt(56)
	v_fma_f64 v[127:128], v[168:169], v[135:136], -v[127:128]
	ds_read_b128 v[1:4], v167 offset:1184
	v_add_f64 v[119:120], v[119:120], v[123:124]
	v_fma_f64 v[123:124], v[170:171], v[135:136], v[199:200]
	v_add_f64 v[135:136], v[115:116], v[117:118]
	s_clause 0x4
	buffer_load_dword v169, off, s[0:3], 0 offset:588
	buffer_load_dword v170, off, s[0:3], 0 offset:600
	;; [unrolled: 1-line block ×5, first 2 shown]
	ds_read_b128 v[115:118], v167 offset:1200
	s_waitcnt vmcnt(57) lgkmcnt(1)
	v_mul_f64 v[199:200], v[1:2], v[137:138]
	v_mul_f64 v[137:138], v[3:4], v[137:138]
	s_waitcnt vmcnt(56)
	v_fma_f64 v[133:134], v[5:6], v[121:122], -v[133:134]
	v_fma_f64 v[121:122], v[7:8], v[121:122], v[176:177]
	v_add_f64 v[119:120], v[119:120], v[127:128]
	s_clause 0x2
	buffer_load_dword v171, off, s[0:3], 0 offset:604
	buffer_load_dword v128, off, s[0:3], 0 offset:580
	;; [unrolled: 1-line block ×3, first 2 shown]
	v_add_f64 v[123:124], v[135:136], v[123:124]
	s_waitcnt vmcnt(58) lgkmcnt(0)
	v_mul_f64 v[135:136], v[115:116], v[141:142]
	v_mul_f64 v[141:142], v[117:118], v[141:142]
	ds_read_b128 v[5:8], v167 offset:1216
	s_waitcnt vmcnt(56)
	v_fma_f64 v[137:138], v[1:2], v[143:144], -v[137:138]
	v_add_f64 v[119:120], v[119:120], v[133:134]
	v_fma_f64 v[133:134], v[3:4], v[143:144], v[199:200]
	v_add_f64 v[121:122], v[123:124], v[121:122]
	s_clause 0x4
	buffer_load_dword v124, off, s[0:3], 0 offset:620
	buffer_load_dword v143, off, s[0:3], 0 offset:632
	buffer_load_dword v176, off, s[0:3], 0 offset:624
	buffer_load_dword v123, off, s[0:3], 0 offset:616
	buffer_load_dword v183, off, s[0:3], 0 offset:596
	s_waitcnt vmcnt(57) lgkmcnt(0)
	v_mul_f64 v[199:200], v[5:6], v[145:146]
	v_mul_f64 v[145:146], v[7:8], v[145:146]
	s_waitcnt vmcnt(56)
	v_fma_f64 v[141:142], v[115:116], v[129:130], -v[141:142]
	ds_read_b128 v[1:4], v167 offset:1232
	v_fma_f64 v[129:130], v[117:118], v[129:130], v[135:136]
	v_add_f64 v[119:120], v[119:120], v[137:138]
	v_add_f64 v[121:122], v[121:122], v[133:134]
	s_clause 0x2
	buffer_load_dword v144, off, s[0:3], 0 offset:636
	buffer_load_dword v134, off, s[0:3], 0 offset:612
	;; [unrolled: 1-line block ×3, first 2 shown]
	ds_read_b128 v[115:118], v167 offset:1248
	s_waitcnt vmcnt(58) lgkmcnt(1)
	v_mul_f64 v[137:138], v[3:4], v[149:150]
	s_waitcnt vmcnt(56)
	v_fma_f64 v[145:146], v[5:6], v[151:152], -v[145:146]
	v_mul_f64 v[135:136], v[1:2], v[149:150]
	v_add_f64 v[119:120], v[119:120], v[141:142]
	v_fma_f64 v[141:142], v[7:8], v[151:152], v[199:200]
	v_add_f64 v[121:122], v[121:122], v[129:130]
	s_clause 0x4
	buffer_load_dword v130, off, s[0:3], 0 offset:652
	buffer_load_dword v149, off, s[0:3], 0 offset:664
	;; [unrolled: 1-line block ×5, first 2 shown]
	s_waitcnt vmcnt(57) lgkmcnt(0)
	v_mul_f64 v[199:200], v[115:116], v[153:154]
	v_mul_f64 v[152:153], v[117:118], v[153:154]
	s_waitcnt vmcnt(56)
	v_fma_f64 v[137:138], v[1:2], v[139:140], -v[137:138]
	ds_read_b128 v[5:8], v167 offset:1264
	v_fma_f64 v[135:136], v[3:4], v[139:140], v[135:136]
	s_clause 0x2
	buffer_load_dword v150, off, s[0:3], 0 offset:668
	buffer_load_dword v140, off, s[0:3], 0 offset:644
	;; [unrolled: 1-line block ×3, first 2 shown]
	ds_read_b128 v[1:4], v167 offset:1280
	v_add_f64 v[119:120], v[119:120], v[145:146]
	v_add_f64 v[121:122], v[121:122], v[141:142]
	s_waitcnt vmcnt(58) lgkmcnt(1)
	v_mul_f64 v[145:146], v[7:8], v[157:158]
	s_waitcnt vmcnt(56)
	v_fma_f64 v[153:154], v[115:116], v[159:160], -v[152:153]
	v_mul_f64 v[141:142], v[5:6], v[157:158]
	v_add_f64 v[119:120], v[119:120], v[137:138]
	v_fma_f64 v[137:138], v[117:118], v[159:160], v[199:200]
	v_add_f64 v[121:122], v[121:122], v[135:136]
	s_clause 0x4
	buffer_load_dword v136, off, s[0:3], 0 offset:684
	buffer_load_dword v157, off, s[0:3], 0 offset:696
	;; [unrolled: 1-line block ×5, first 2 shown]
	s_waitcnt vmcnt(57) lgkmcnt(0)
	v_mul_f64 v[199:200], v[1:2], v[161:162]
	v_mul_f64 v[160:161], v[3:4], v[161:162]
	s_waitcnt vmcnt(56)
	v_fma_f64 v[145:146], v[5:6], v[147:148], -v[145:146]
	ds_read_b128 v[115:118], v167 offset:1296
	v_fma_f64 v[141:142], v[7:8], v[147:148], v[141:142]
	v_add_f64 v[119:120], v[119:120], v[153:154]
	v_add_f64 v[121:122], v[121:122], v[137:138]
	s_clause 0x2
	buffer_load_dword v158, off, s[0:3], 0 offset:700
	buffer_load_dword v138, off, s[0:3], 0 offset:676
	;; [unrolled: 1-line block ×3, first 2 shown]
	ds_read_b128 v[5:8], v167 offset:1312
	s_waitcnt vmcnt(58) lgkmcnt(1)
	v_mul_f64 v[153:154], v[117:118], v[163:164]
	s_waitcnt vmcnt(56)
	v_fma_f64 v[161:162], v[1:2], v[165:166], -v[160:161]
	v_mul_f64 v[147:148], v[115:116], v[163:164]
	v_add_f64 v[119:120], v[119:120], v[145:146]
	v_fma_f64 v[145:146], v[3:4], v[165:166], v[199:200]
	v_add_f64 v[121:122], v[121:122], v[141:142]
	s_clause 0x4
	buffer_load_dword v142, off, s[0:3], 0 offset:716
	buffer_load_dword v163, off, s[0:3], 0 offset:728
	;; [unrolled: 1-line block ×5, first 2 shown]
	s_waitcnt vmcnt(57) lgkmcnt(0)
	v_mul_f64 v[199:200], v[5:6], v[184:185]
	v_mul_f64 v[184:185], v[7:8], v[184:185]
	s_waitcnt vmcnt(56)
	v_fma_f64 v[153:154], v[115:116], v[155:156], -v[153:154]
	ds_read_b128 v[1:4], v167 offset:1328
	v_fma_f64 v[147:148], v[117:118], v[155:156], v[147:148]
	v_add_f64 v[119:120], v[119:120], v[161:162]
	v_add_f64 v[121:122], v[121:122], v[145:146]
	s_clause 0x2
	buffer_load_dword v164, off, s[0:3], 0 offset:732
	buffer_load_dword v146, off, s[0:3], 0 offset:708
	;; [unrolled: 1-line block ×3, first 2 shown]
	ds_read_b128 v[115:118], v167 offset:1344
	s_waitcnt vmcnt(58) lgkmcnt(1)
	v_mul_f64 v[161:162], v[3:4], v[186:187]
	s_waitcnt vmcnt(56)
	v_fma_f64 v[184:185], v[5:6], v[191:192], -v[184:185]
	v_mul_f64 v[155:156], v[1:2], v[186:187]
	v_add_f64 v[119:120], v[119:120], v[153:154]
	v_fma_f64 v[153:154], v[7:8], v[191:192], v[199:200]
	v_add_f64 v[121:122], v[121:122], v[147:148]
	s_clause 0x4
	buffer_load_dword v148, off, s[0:3], 0 offset:748
	buffer_load_dword v186, off, s[0:3], 0 offset:760
	;; [unrolled: 1-line block ×5, first 2 shown]
	ds_read_b128 v[5:8], v167 offset:1360
	s_waitcnt vmcnt(57) lgkmcnt(1)
	v_mul_f64 v[191:192], v[115:116], v[178:179]
	v_mul_f64 v[178:179], v[117:118], v[178:179]
	s_waitcnt vmcnt(56)
	v_fma_f64 v[161:162], v[1:2], v[188:189], -v[161:162]
	v_fma_f64 v[155:156], v[3:4], v[188:189], v[155:156]
	v_add_f64 v[119:120], v[119:120], v[184:185]
	v_add_f64 v[121:122], v[121:122], v[153:154]
	s_clause 0x2
	buffer_load_dword v187, off, s[0:3], 0 offset:764
	buffer_load_dword v154, off, s[0:3], 0 offset:740
	;; [unrolled: 1-line block ×3, first 2 shown]
	ds_read_b128 v[1:4], v167 offset:1376
	s_waitcnt vmcnt(58) lgkmcnt(1)
	v_mul_f64 v[188:189], v[7:8], v[195:196]
	v_mul_f64 v[184:185], v[5:6], v[195:196]
	s_waitcnt vmcnt(56)
	v_fma_f64 v[178:179], v[115:116], v[172:173], -v[178:179]
	v_add_f64 v[119:120], v[119:120], v[161:162]
	v_fma_f64 v[161:162], v[117:118], v[172:173], v[191:192]
	v_add_f64 v[121:122], v[121:122], v[155:156]
	s_clause 0x4
	buffer_load_dword v156, off, s[0:3], 0 offset:780
	buffer_load_dword v172, off, s[0:3], 0 offset:792
	;; [unrolled: 1-line block ×5, first 2 shown]
	ds_read_b128 v[115:118], v167 offset:1392
	s_waitcnt vmcnt(57) lgkmcnt(1)
	v_mul_f64 v[199:200], v[1:2], v[131:132]
	v_mul_f64 v[131:132], v[3:4], v[131:132]
	s_waitcnt vmcnt(56)
	v_fma_f64 v[188:189], v[5:6], v[197:198], -v[188:189]
	v_add_f64 v[119:120], v[119:120], v[178:179]
	v_fma_f64 v[178:179], v[7:8], v[197:198], v[184:185]
	v_add_f64 v[121:122], v[121:122], v[161:162]
	s_clause 0x2
	buffer_load_dword v173, off, s[0:3], 0 offset:796
	buffer_load_dword v162, off, s[0:3], 0 offset:772
	;; [unrolled: 1-line block ×3, first 2 shown]
	ds_read_b128 v[5:8], v167 offset:1408
	s_waitcnt vmcnt(58) lgkmcnt(1)
	v_mul_f64 v[184:185], v[115:116], v[180:181]
	v_mul_f64 v[180:181], v[117:118], v[180:181]
	s_waitcnt vmcnt(56)
	v_fma_f64 v[131:132], v[1:2], v[125:126], -v[131:132]
	v_fma_f64 v[125:126], v[3:4], v[125:126], v[199:200]
	v_add_f64 v[119:120], v[119:120], v[188:189]
	v_add_f64 v[121:122], v[121:122], v[178:179]
	s_clause 0x4
	buffer_load_dword v179, off, s[0:3], 0 offset:812
	buffer_load_dword v188, off, s[0:3], 0 offset:824
	;; [unrolled: 1-line block ×5, first 2 shown]
	ds_read_b128 v[1:4], v167 offset:1424
	s_waitcnt vmcnt(57) lgkmcnt(1)
	v_mul_f64 v[197:198], v[5:6], v[168:169]
	v_mul_f64 v[168:169], v[7:8], v[168:169]
	s_waitcnt vmcnt(56)
	v_fma_f64 v[180:181], v[115:116], v[193:194], -v[180:181]
	v_add_f64 v[119:120], v[119:120], v[131:132]
	v_fma_f64 v[131:132], v[117:118], v[193:194], v[184:185]
	v_add_f64 v[121:122], v[121:122], v[125:126]
	s_clause 0x2
	buffer_load_dword v189, off, s[0:3], 0 offset:828
	buffer_load_dword v126, off, s[0:3], 0 offset:804
	;; [unrolled: 1-line block ×3, first 2 shown]
	ds_read_b128 v[115:118], v167 offset:1440
	s_waitcnt vmcnt(58) lgkmcnt(1)
	v_mul_f64 v[184:185], v[1:2], v[170:171]
	v_mul_f64 v[170:171], v[3:4], v[170:171]
	s_waitcnt vmcnt(56)
	v_fma_f64 v[168:169], v[5:6], v[127:128], -v[168:169]
	v_fma_f64 v[127:128], v[7:8], v[127:128], v[197:198]
	v_add_f64 v[119:120], v[119:120], v[180:181]
	v_add_f64 v[121:122], v[121:122], v[131:132]
	s_clause 0x4
	buffer_load_dword v132, off, s[0:3], 0 offset:844
	buffer_load_dword v180, off, s[0:3], 0 offset:856
	;; [unrolled: 1-line block ×5, first 2 shown]
	ds_read_b128 v[5:8], v167 offset:1456
	s_waitcnt vmcnt(57) lgkmcnt(1)
	v_mul_f64 v[198:199], v[115:116], v[123:124]
	v_mul_f64 v[123:124], v[117:118], v[123:124]
	s_waitcnt vmcnt(56)
	v_fma_f64 v[170:171], v[1:2], v[182:183], -v[170:171]
	v_add_f64 v[119:120], v[119:120], v[168:169]
	v_fma_f64 v[168:169], v[3:4], v[182:183], v[184:185]
	v_add_f64 v[121:122], v[121:122], v[127:128]
	s_clause 0x2
	buffer_load_dword v181, off, s[0:3], 0 offset:860
	buffer_load_dword v128, off, s[0:3], 0 offset:836
	;; [unrolled: 1-line block ×3, first 2 shown]
	ds_read_b128 v[1:4], v167 offset:1472
	s_waitcnt vmcnt(58) lgkmcnt(1)
	v_mul_f64 v[182:183], v[5:6], v[143:144]
	v_mul_f64 v[143:144], v[7:8], v[143:144]
	s_waitcnt vmcnt(56)
	v_fma_f64 v[123:124], v[115:116], v[133:134], -v[123:124]
	v_fma_f64 v[133:134], v[117:118], v[133:134], v[198:199]
	buffer_load_dword v198, off, s[0:3], 0 offset:852
	ds_read_b128 v[115:118], v167 offset:1488
	v_add_f64 v[119:120], v[119:120], v[170:171]
	v_add_f64 v[121:122], v[121:122], v[168:169]
	s_waitcnt vmcnt(53) lgkmcnt(1)
	v_mul_f64 v[168:169], v[1:2], v[129:130]
	v_mul_f64 v[129:130], v[3:4], v[129:130]
	s_waitcnt vmcnt(52)
	v_fma_f64 v[143:144], v[5:6], v[176:177], -v[143:144]
	v_add_f64 v[119:120], v[119:120], v[123:124]
	v_fma_f64 v[123:124], v[7:8], v[176:177], v[182:183]
	v_add_f64 v[121:122], v[121:122], v[133:134]
	s_waitcnt vmcnt(51) lgkmcnt(0)
	v_mul_f64 v[133:134], v[115:116], v[149:150]
	v_mul_f64 v[149:150], v[117:118], v[149:150]
	ds_read_b128 v[5:8], v167 offset:1504
	s_waitcnt vmcnt(49)
	v_fma_f64 v[129:130], v[1:2], v[139:140], -v[129:130]
	v_fma_f64 v[139:140], v[3:4], v[139:140], v[168:169]
	v_add_f64 v[119:120], v[119:120], v[143:144]
	v_add_f64 v[121:122], v[121:122], v[123:124]
	s_clause 0x3
	buffer_load_dword v123, off, s[0:3], 0 offset:224
	buffer_load_dword v124, off, s[0:3], 0 offset:228
	;; [unrolled: 1-line block ×4, first 2 shown]
	ds_read_b128 v[1:4], v167 offset:1520
	s_waitcnt vmcnt(49) lgkmcnt(1)
	v_mul_f64 v[168:169], v[5:6], v[135:136]
	v_mul_f64 v[135:136], v[7:8], v[135:136]
	s_waitcnt vmcnt(48)
	v_fma_f64 v[149:150], v[115:116], v[151:152], -v[149:150]
	v_add_f64 v[119:120], v[119:120], v[129:130]
	v_fma_f64 v[129:130], v[117:118], v[151:152], v[133:134]
	v_add_f64 v[121:122], v[121:122], v[139:140]
	ds_read_b128 v[115:118], v167 offset:1536
	s_waitcnt vmcnt(47) lgkmcnt(1)
	v_mul_f64 v[139:140], v[3:4], v[157:158]
	v_mul_f64 v[133:134], v[1:2], v[157:158]
	s_waitcnt vmcnt(45)
	v_fma_f64 v[135:136], v[5:6], v[137:138], -v[135:136]
	v_fma_f64 v[137:138], v[7:8], v[137:138], v[168:169]
	ds_read_b128 v[5:8], v167 offset:1552
	v_add_f64 v[119:120], v[119:120], v[149:150]
	v_add_f64 v[121:122], v[121:122], v[129:130]
	s_waitcnt vmcnt(41) lgkmcnt(1)
	v_mul_f64 v[129:130], v[115:116], v[141:142]
	v_mul_f64 v[141:142], v[117:118], v[141:142]
	s_waitcnt vmcnt(40)
	v_fma_f64 v[139:140], v[1:2], v[159:160], -v[139:140]
	v_fma_f64 v[133:134], v[3:4], v[159:160], v[133:134]
	ds_read_b128 v[1:4], v167 offset:1568
	v_add_f64 v[119:120], v[119:120], v[135:136]
	v_add_f64 v[121:122], v[121:122], v[137:138]
	s_waitcnt vmcnt(39) lgkmcnt(1)
	v_mul_f64 v[137:138], v[7:8], v[163:164]
	v_mul_f64 v[135:136], v[5:6], v[163:164]
	s_waitcnt vmcnt(37)
	v_fma_f64 v[141:142], v[115:116], v[145:146], -v[141:142]
	v_fma_f64 v[129:130], v[117:118], v[145:146], v[129:130]
	ds_read_b128 v[115:118], v167 offset:1584
	v_add_f64 v[119:120], v[119:120], v[139:140]
	v_add_f64 v[121:122], v[121:122], v[133:134]
	s_waitcnt vmcnt(33) lgkmcnt(1)
	v_mul_f64 v[139:140], v[3:4], v[147:148]
	s_waitcnt vmcnt(32)
	v_fma_f64 v[137:138], v[5:6], v[165:166], -v[137:138]
	v_mul_f64 v[133:134], v[1:2], v[147:148]
	v_fma_f64 v[135:136], v[7:8], v[165:166], v[135:136]
	ds_read_b128 v[5:8], v167 offset:1600
	v_add_f64 v[119:120], v[119:120], v[141:142]
	v_add_f64 v[121:122], v[121:122], v[129:130]
	s_waitcnt vmcnt(31) lgkmcnt(1)
	v_mul_f64 v[141:142], v[117:118], v[186:187]
	v_mul_f64 v[129:130], v[115:116], v[186:187]
	s_waitcnt vmcnt(29)
	v_fma_f64 v[139:140], v[1:2], v[153:154], -v[139:140]
	v_fma_f64 v[133:134], v[3:4], v[153:154], v[133:134]
	ds_read_b128 v[1:4], v167 offset:1616
	v_add_f64 v[119:120], v[119:120], v[137:138]
	v_add_f64 v[121:122], v[121:122], v[135:136]
	s_waitcnt vmcnt(25) lgkmcnt(1)
	v_mul_f64 v[137:138], v[7:8], v[155:156]
	s_waitcnt vmcnt(24)
	v_fma_f64 v[141:142], v[115:116], v[190:191], -v[141:142]
	v_mul_f64 v[135:136], v[5:6], v[155:156]
	v_fma_f64 v[129:130], v[117:118], v[190:191], v[129:130]
	ds_read_b128 v[115:118], v167 offset:1632
	v_add_f64 v[119:120], v[119:120], v[139:140]
	v_add_f64 v[121:122], v[121:122], v[133:134]
	s_waitcnt vmcnt(23) lgkmcnt(1)
	v_mul_f64 v[139:140], v[3:4], v[172:173]
	v_mul_f64 v[133:134], v[1:2], v[172:173]
	s_waitcnt vmcnt(21)
	v_fma_f64 v[137:138], v[5:6], v[161:162], -v[137:138]
	v_fma_f64 v[135:136], v[7:8], v[161:162], v[135:136]
	ds_read_b128 v[5:8], v167 offset:1648
	v_add_f64 v[119:120], v[119:120], v[141:142]
	v_add_f64 v[121:122], v[121:122], v[129:130]
	;; [unrolled: 18-line block ×3, first 2 shown]
	s_waitcnt vmcnt(9) lgkmcnt(1)
	v_mul_f64 v[129:130], v[1:2], v[131:132]
	v_mul_f64 v[131:132], v[3:4], v[131:132]
	s_waitcnt vmcnt(8)
	v_fma_f64 v[5:6], v[5:6], v[192:193], -v[137:138]
	v_fma_f64 v[7:8], v[7:8], v[192:193], v[135:136]
	v_add_f64 v[119:120], v[119:120], v[141:142]
	v_add_f64 v[121:122], v[121:122], v[125:126]
	s_waitcnt vmcnt(7) lgkmcnt(0)
	v_mul_f64 v[133:134], v[117:118], v[180:181]
	v_mul_f64 v[125:126], v[115:116], v[180:181]
	s_waitcnt vmcnt(5)
	v_fma_f64 v[1:2], v[1:2], v[127:128], -v[131:132]
	v_fma_f64 v[3:4], v[3:4], v[127:128], v[129:130]
	v_add_f64 v[5:6], v[119:120], v[5:6]
	v_add_f64 v[7:8], v[121:122], v[7:8]
	s_waitcnt vmcnt(4)
	v_fma_f64 v[115:116], v[115:116], v[197:198], -v[133:134]
	v_add_f64 v[1:2], v[5:6], v[1:2]
	v_fma_f64 v[5:6], v[117:118], v[197:198], v[125:126]
	v_add_f64 v[3:4], v[7:8], v[3:4]
	v_add_f64 v[1:2], v[1:2], v[115:116]
	;; [unrolled: 1-line block ×3, first 2 shown]
	s_waitcnt vmcnt(2)
	v_add_f64 v[1:2], v[123:124], -v[1:2]
	s_waitcnt vmcnt(0)
	v_add_f64 v[3:4], v[143:144], -v[3:4]
	buffer_store_dword v2, off, s[0:3], 0 offset:228
	buffer_store_dword v1, off, s[0:3], 0 offset:224
	buffer_store_dword v4, off, s[0:3], 0 offset:236
	buffer_store_dword v3, off, s[0:3], 0 offset:232
	v_cmpx_lt_u32_e32 12, v0
	s_cbranch_execz .LBB116_307
; %bb.306:
	v_mov_b32_e32 v4, s53
	s_clause 0x3
	buffer_load_dword v1, v4, s[0:3], 0 offen
	buffer_load_dword v2, v4, s[0:3], 0 offen offset:4
	buffer_load_dword v3, v4, s[0:3], 0 offen offset:8
	;; [unrolled: 1-line block ×3, first 2 shown]
	buffer_store_dword v167, off, s[0:3], 0 offset:208
	buffer_store_dword v167, off, s[0:3], 0 offset:212
	;; [unrolled: 1-line block ×4, first 2 shown]
	s_waitcnt vmcnt(0)
	ds_write_b128 v175, v[1:4]
.LBB116_307:
	s_or_b32 exec_lo, exec_lo, s4
	s_waitcnt lgkmcnt(0)
	s_waitcnt_vscnt null, 0x0
	s_barrier
	buffer_gl0_inv
	s_clause 0x37
	buffer_load_dword v115, off, s[0:3], 0 offset:232
	buffer_load_dword v116, off, s[0:3], 0 offset:236
	;; [unrolled: 1-line block ×56, first 2 shown]
	ds_read_b128 v[168:171], v167 offset:1056
	s_clause 0x2
	buffer_load_dword v164, off, s[0:3], 0 offset:460
	buffer_load_dword v166, off, s[0:3], 0 offset:436
	;; [unrolled: 1-line block ×3, first 2 shown]
	ds_read_b128 v[176:179], v167 offset:1072
	s_clause 0x4
	buffer_load_dword v185, off, s[0:3], 0 offset:476
	buffer_load_dword v186, off, s[0:3], 0 offset:488
	;; [unrolled: 1-line block ×5, first 2 shown]
	ds_read_b128 v[180:183], v167 offset:1088
	s_clause 0x2
	buffer_load_dword v187, off, s[0:3], 0 offset:492
	buffer_load_dword v192, off, s[0:3], 0 offset:468
	;; [unrolled: 1-line block ×3, first 2 shown]
	s_mov_b32 s4, exec_lo
	s_waitcnt vmcnt(62) lgkmcnt(2)
	v_mul_f64 v[172:173], v[170:171], v[115:116]
	v_mul_f64 v[115:116], v[168:169], v[115:116]
	s_waitcnt lgkmcnt(1)
	v_mul_f64 v[189:190], v[178:179], v[5:6]
	s_waitcnt vmcnt(59) lgkmcnt(0)
	v_mul_f64 v[193:194], v[182:183], v[3:4]
	v_fma_f64 v[168:169], v[168:169], v[7:8], -v[172:173]
	v_mul_f64 v[172:173], v[176:177], v[5:6]
	v_fma_f64 v[115:116], v[170:171], v[7:8], v[115:116]
	s_waitcnt vmcnt(57)
	v_fma_f64 v[176:177], v[176:177], v[1:2], -v[189:190]
	ds_read_b128 v[5:8], v167 offset:1104
	v_mul_f64 v[170:171], v[180:181], v[3:4]
	s_waitcnt vmcnt(51)
	v_fma_f64 v[180:181], v[180:181], v[131:132], -v[193:194]
	v_add_f64 v[168:169], v[168:169], 0
	v_fma_f64 v[172:173], v[178:179], v[1:2], v[172:173]
	v_add_f64 v[115:116], v[115:116], 0
	s_clause 0x4
	buffer_load_dword v179, off, s[0:3], 0 offset:508
	buffer_load_dword v195, off, s[0:3], 0 offset:520
	;; [unrolled: 1-line block ×5, first 2 shown]
	s_waitcnt lgkmcnt(0)
	v_mul_f64 v[198:199], v[5:6], v[119:120]
	v_mul_f64 v[119:120], v[7:8], v[119:120]
	ds_read_b128 v[1:4], v167 offset:1120
	v_fma_f64 v[131:132], v[182:183], v[131:132], v[170:171]
	v_add_f64 v[176:177], v[168:169], v[176:177]
	v_add_f64 v[115:116], v[115:116], v[172:173]
	s_clause 0x2
	buffer_load_dword v196, off, s[0:3], 0 offset:524
	buffer_load_dword v173, off, s[0:3], 0 offset:500
	;; [unrolled: 1-line block ×3, first 2 shown]
	s_waitcnt vmcnt(58) lgkmcnt(0)
	v_mul_f64 v[182:183], v[1:2], v[123:124]
	v_mul_f64 v[123:124], v[3:4], v[123:124]
	s_waitcnt vmcnt(56)
	v_fma_f64 v[119:120], v[5:6], v[125:126], -v[119:120]
	ds_read_b128 v[168:171], v167 offset:1136
	v_fma_f64 v[125:126], v[7:8], v[125:126], v[198:199]
	v_add_f64 v[176:177], v[176:177], v[180:181]
	v_add_f64 v[115:116], v[115:116], v[131:132]
	s_clause 0x4
	buffer_load_dword v132, off, s[0:3], 0 offset:540
	buffer_load_dword v180, off, s[0:3], 0 offset:552
	;; [unrolled: 1-line block ×5, first 2 shown]
	ds_read_b128 v[5:8], v167 offset:1152
	s_waitcnt vmcnt(57) lgkmcnt(1)
	v_mul_f64 v[199:200], v[168:169], v[127:128]
	v_mul_f64 v[127:128], v[170:171], v[127:128]
	s_waitcnt vmcnt(56)
	v_fma_f64 v[123:124], v[1:2], v[117:118], -v[123:124]
	v_fma_f64 v[117:118], v[3:4], v[117:118], v[182:183]
	v_add_f64 v[119:120], v[176:177], v[119:120]
	v_add_f64 v[115:116], v[115:116], v[125:126]
	s_clause 0x2
	buffer_load_dword v181, off, s[0:3], 0 offset:556
	buffer_load_dword v126, off, s[0:3], 0 offset:532
	;; [unrolled: 1-line block ×3, first 2 shown]
	s_waitcnt vmcnt(58) lgkmcnt(0)
	v_mul_f64 v[176:177], v[5:6], v[133:134]
	v_mul_f64 v[133:134], v[7:8], v[133:134]
	s_waitcnt vmcnt(56)
	v_fma_f64 v[127:128], v[168:169], v[135:136], -v[127:128]
	ds_read_b128 v[1:4], v167 offset:1168
	v_add_f64 v[119:120], v[119:120], v[123:124]
	v_fma_f64 v[123:124], v[170:171], v[135:136], v[199:200]
	v_add_f64 v[135:136], v[115:116], v[117:118]
	s_clause 0x4
	buffer_load_dword v169, off, s[0:3], 0 offset:572
	buffer_load_dword v170, off, s[0:3], 0 offset:584
	;; [unrolled: 1-line block ×5, first 2 shown]
	ds_read_b128 v[115:118], v167 offset:1184
	s_waitcnt vmcnt(57) lgkmcnt(1)
	v_mul_f64 v[199:200], v[1:2], v[137:138]
	v_mul_f64 v[137:138], v[3:4], v[137:138]
	s_waitcnt vmcnt(56)
	v_fma_f64 v[133:134], v[5:6], v[121:122], -v[133:134]
	v_fma_f64 v[121:122], v[7:8], v[121:122], v[176:177]
	v_add_f64 v[119:120], v[119:120], v[127:128]
	s_clause 0x2
	buffer_load_dword v171, off, s[0:3], 0 offset:588
	buffer_load_dword v128, off, s[0:3], 0 offset:564
	;; [unrolled: 1-line block ×3, first 2 shown]
	v_add_f64 v[123:124], v[135:136], v[123:124]
	s_waitcnt vmcnt(58) lgkmcnt(0)
	v_mul_f64 v[135:136], v[115:116], v[141:142]
	v_mul_f64 v[141:142], v[117:118], v[141:142]
	ds_read_b128 v[5:8], v167 offset:1200
	s_waitcnt vmcnt(56)
	v_fma_f64 v[137:138], v[1:2], v[143:144], -v[137:138]
	v_add_f64 v[119:120], v[119:120], v[133:134]
	v_fma_f64 v[133:134], v[3:4], v[143:144], v[199:200]
	v_add_f64 v[121:122], v[123:124], v[121:122]
	s_clause 0x4
	buffer_load_dword v124, off, s[0:3], 0 offset:604
	buffer_load_dword v143, off, s[0:3], 0 offset:616
	;; [unrolled: 1-line block ×5, first 2 shown]
	s_waitcnt vmcnt(57) lgkmcnt(0)
	v_mul_f64 v[199:200], v[5:6], v[145:146]
	v_mul_f64 v[145:146], v[7:8], v[145:146]
	s_waitcnt vmcnt(56)
	v_fma_f64 v[141:142], v[115:116], v[129:130], -v[141:142]
	ds_read_b128 v[1:4], v167 offset:1216
	v_fma_f64 v[129:130], v[117:118], v[129:130], v[135:136]
	v_add_f64 v[119:120], v[119:120], v[137:138]
	v_add_f64 v[121:122], v[121:122], v[133:134]
	s_clause 0x2
	buffer_load_dword v144, off, s[0:3], 0 offset:620
	buffer_load_dword v134, off, s[0:3], 0 offset:596
	;; [unrolled: 1-line block ×3, first 2 shown]
	ds_read_b128 v[115:118], v167 offset:1232
	s_waitcnt vmcnt(58) lgkmcnt(1)
	v_mul_f64 v[137:138], v[3:4], v[149:150]
	s_waitcnt vmcnt(56)
	v_fma_f64 v[145:146], v[5:6], v[151:152], -v[145:146]
	v_mul_f64 v[135:136], v[1:2], v[149:150]
	v_add_f64 v[119:120], v[119:120], v[141:142]
	v_fma_f64 v[141:142], v[7:8], v[151:152], v[199:200]
	v_add_f64 v[121:122], v[121:122], v[129:130]
	s_clause 0x4
	buffer_load_dword v130, off, s[0:3], 0 offset:636
	buffer_load_dword v149, off, s[0:3], 0 offset:648
	buffer_load_dword v151, off, s[0:3], 0 offset:640
	buffer_load_dword v129, off, s[0:3], 0 offset:632
	buffer_load_dword v177, off, s[0:3], 0 offset:612
	s_waitcnt vmcnt(57) lgkmcnt(0)
	v_mul_f64 v[199:200], v[115:116], v[153:154]
	v_mul_f64 v[152:153], v[117:118], v[153:154]
	s_waitcnt vmcnt(56)
	v_fma_f64 v[137:138], v[1:2], v[139:140], -v[137:138]
	ds_read_b128 v[5:8], v167 offset:1248
	v_fma_f64 v[135:136], v[3:4], v[139:140], v[135:136]
	s_clause 0x2
	buffer_load_dword v150, off, s[0:3], 0 offset:652
	buffer_load_dword v140, off, s[0:3], 0 offset:628
	;; [unrolled: 1-line block ×3, first 2 shown]
	ds_read_b128 v[1:4], v167 offset:1264
	v_add_f64 v[119:120], v[119:120], v[145:146]
	v_add_f64 v[121:122], v[121:122], v[141:142]
	s_waitcnt vmcnt(58) lgkmcnt(1)
	v_mul_f64 v[145:146], v[7:8], v[157:158]
	s_waitcnt vmcnt(56)
	v_fma_f64 v[153:154], v[115:116], v[159:160], -v[152:153]
	v_mul_f64 v[141:142], v[5:6], v[157:158]
	v_add_f64 v[119:120], v[119:120], v[137:138]
	v_fma_f64 v[137:138], v[117:118], v[159:160], v[199:200]
	v_add_f64 v[121:122], v[121:122], v[135:136]
	s_clause 0x4
	buffer_load_dword v136, off, s[0:3], 0 offset:668
	buffer_load_dword v157, off, s[0:3], 0 offset:680
	;; [unrolled: 1-line block ×5, first 2 shown]
	s_waitcnt vmcnt(57) lgkmcnt(0)
	v_mul_f64 v[199:200], v[1:2], v[161:162]
	v_mul_f64 v[160:161], v[3:4], v[161:162]
	s_waitcnt vmcnt(56)
	v_fma_f64 v[145:146], v[5:6], v[147:148], -v[145:146]
	ds_read_b128 v[115:118], v167 offset:1280
	v_fma_f64 v[141:142], v[7:8], v[147:148], v[141:142]
	v_add_f64 v[119:120], v[119:120], v[153:154]
	v_add_f64 v[121:122], v[121:122], v[137:138]
	s_clause 0x2
	buffer_load_dword v158, off, s[0:3], 0 offset:684
	buffer_load_dword v138, off, s[0:3], 0 offset:660
	;; [unrolled: 1-line block ×3, first 2 shown]
	ds_read_b128 v[5:8], v167 offset:1296
	s_waitcnt vmcnt(58) lgkmcnt(1)
	v_mul_f64 v[153:154], v[117:118], v[163:164]
	s_waitcnt vmcnt(56)
	v_fma_f64 v[161:162], v[1:2], v[165:166], -v[160:161]
	v_mul_f64 v[147:148], v[115:116], v[163:164]
	v_add_f64 v[119:120], v[119:120], v[145:146]
	v_fma_f64 v[145:146], v[3:4], v[165:166], v[199:200]
	v_add_f64 v[121:122], v[121:122], v[141:142]
	s_clause 0x4
	buffer_load_dword v142, off, s[0:3], 0 offset:700
	buffer_load_dword v163, off, s[0:3], 0 offset:712
	;; [unrolled: 1-line block ×5, first 2 shown]
	s_waitcnt vmcnt(57) lgkmcnt(0)
	v_mul_f64 v[199:200], v[5:6], v[184:185]
	v_mul_f64 v[184:185], v[7:8], v[184:185]
	s_waitcnt vmcnt(56)
	v_fma_f64 v[153:154], v[115:116], v[155:156], -v[153:154]
	ds_read_b128 v[1:4], v167 offset:1312
	v_fma_f64 v[147:148], v[117:118], v[155:156], v[147:148]
	v_add_f64 v[119:120], v[119:120], v[161:162]
	v_add_f64 v[121:122], v[121:122], v[145:146]
	s_clause 0x2
	buffer_load_dword v164, off, s[0:3], 0 offset:716
	buffer_load_dword v146, off, s[0:3], 0 offset:692
	;; [unrolled: 1-line block ×3, first 2 shown]
	ds_read_b128 v[115:118], v167 offset:1328
	s_waitcnt vmcnt(58) lgkmcnt(1)
	v_mul_f64 v[161:162], v[3:4], v[186:187]
	s_waitcnt vmcnt(56)
	v_fma_f64 v[184:185], v[5:6], v[191:192], -v[184:185]
	v_mul_f64 v[155:156], v[1:2], v[186:187]
	v_add_f64 v[119:120], v[119:120], v[153:154]
	v_fma_f64 v[153:154], v[7:8], v[191:192], v[199:200]
	v_add_f64 v[121:122], v[121:122], v[147:148]
	s_clause 0x4
	buffer_load_dword v148, off, s[0:3], 0 offset:732
	buffer_load_dword v186, off, s[0:3], 0 offset:744
	;; [unrolled: 1-line block ×5, first 2 shown]
	ds_read_b128 v[5:8], v167 offset:1344
	s_waitcnt vmcnt(57) lgkmcnt(1)
	v_mul_f64 v[191:192], v[115:116], v[178:179]
	v_mul_f64 v[178:179], v[117:118], v[178:179]
	s_waitcnt vmcnt(56)
	v_fma_f64 v[161:162], v[1:2], v[188:189], -v[161:162]
	v_fma_f64 v[155:156], v[3:4], v[188:189], v[155:156]
	v_add_f64 v[119:120], v[119:120], v[184:185]
	v_add_f64 v[121:122], v[121:122], v[153:154]
	s_clause 0x2
	buffer_load_dword v187, off, s[0:3], 0 offset:748
	buffer_load_dword v154, off, s[0:3], 0 offset:724
	;; [unrolled: 1-line block ×3, first 2 shown]
	ds_read_b128 v[1:4], v167 offset:1360
	s_waitcnt vmcnt(58) lgkmcnt(1)
	v_mul_f64 v[188:189], v[7:8], v[195:196]
	v_mul_f64 v[184:185], v[5:6], v[195:196]
	s_waitcnt vmcnt(56)
	v_fma_f64 v[178:179], v[115:116], v[172:173], -v[178:179]
	v_add_f64 v[119:120], v[119:120], v[161:162]
	v_fma_f64 v[161:162], v[117:118], v[172:173], v[191:192]
	v_add_f64 v[121:122], v[121:122], v[155:156]
	s_clause 0x4
	buffer_load_dword v156, off, s[0:3], 0 offset:764
	buffer_load_dword v172, off, s[0:3], 0 offset:776
	buffer_load_dword v195, off, s[0:3], 0 offset:768
	buffer_load_dword v155, off, s[0:3], 0 offset:760
	buffer_load_dword v191, off, s[0:3], 0 offset:740
	ds_read_b128 v[115:118], v167 offset:1376
	s_waitcnt vmcnt(57) lgkmcnt(1)
	v_mul_f64 v[199:200], v[1:2], v[131:132]
	v_mul_f64 v[131:132], v[3:4], v[131:132]
	s_waitcnt vmcnt(56)
	v_fma_f64 v[188:189], v[5:6], v[197:198], -v[188:189]
	v_add_f64 v[119:120], v[119:120], v[178:179]
	v_fma_f64 v[178:179], v[7:8], v[197:198], v[184:185]
	v_add_f64 v[121:122], v[121:122], v[161:162]
	s_clause 0x2
	buffer_load_dword v173, off, s[0:3], 0 offset:780
	buffer_load_dword v162, off, s[0:3], 0 offset:756
	buffer_load_dword v161, off, s[0:3], 0 offset:752
	ds_read_b128 v[5:8], v167 offset:1392
	s_waitcnt vmcnt(58) lgkmcnt(1)
	v_mul_f64 v[184:185], v[115:116], v[180:181]
	v_mul_f64 v[180:181], v[117:118], v[180:181]
	s_waitcnt vmcnt(56)
	v_fma_f64 v[131:132], v[1:2], v[125:126], -v[131:132]
	v_fma_f64 v[125:126], v[3:4], v[125:126], v[199:200]
	v_add_f64 v[119:120], v[119:120], v[188:189]
	v_add_f64 v[121:122], v[121:122], v[178:179]
	s_clause 0x4
	buffer_load_dword v179, off, s[0:3], 0 offset:796
	buffer_load_dword v188, off, s[0:3], 0 offset:808
	buffer_load_dword v192, off, s[0:3], 0 offset:800
	buffer_load_dword v178, off, s[0:3], 0 offset:792
	buffer_load_dword v196, off, s[0:3], 0 offset:772
	ds_read_b128 v[1:4], v167 offset:1408
	s_waitcnt vmcnt(57) lgkmcnt(1)
	v_mul_f64 v[197:198], v[5:6], v[168:169]
	v_mul_f64 v[168:169], v[7:8], v[168:169]
	s_waitcnt vmcnt(56)
	v_fma_f64 v[180:181], v[115:116], v[193:194], -v[180:181]
	v_add_f64 v[119:120], v[119:120], v[131:132]
	v_fma_f64 v[131:132], v[117:118], v[193:194], v[184:185]
	v_add_f64 v[121:122], v[121:122], v[125:126]
	s_clause 0x2
	buffer_load_dword v189, off, s[0:3], 0 offset:812
	buffer_load_dword v126, off, s[0:3], 0 offset:788
	buffer_load_dword v125, off, s[0:3], 0 offset:784
	ds_read_b128 v[115:118], v167 offset:1424
	s_waitcnt vmcnt(58) lgkmcnt(1)
	v_mul_f64 v[184:185], v[1:2], v[170:171]
	v_mul_f64 v[170:171], v[3:4], v[170:171]
	s_waitcnt vmcnt(56)
	v_fma_f64 v[168:169], v[5:6], v[127:128], -v[168:169]
	v_fma_f64 v[127:128], v[7:8], v[127:128], v[197:198]
	v_add_f64 v[119:120], v[119:120], v[180:181]
	;; [unrolled: 28-line block ×3, first 2 shown]
	v_add_f64 v[121:122], v[121:122], v[168:169]
	s_clause 0x2
	buffer_load_dword v169, off, s[0:3], 0 offset:860
	buffer_load_dword v168, off, s[0:3], 0 offset:856
	;; [unrolled: 1-line block ×3, first 2 shown]
	ds_read_b128 v[115:118], v167 offset:1472
	s_waitcnt vmcnt(55) lgkmcnt(1)
	v_mul_f64 v[170:171], v[1:2], v[129:130]
	v_mul_f64 v[129:130], v[3:4], v[129:130]
	s_waitcnt vmcnt(54)
	v_fma_f64 v[143:144], v[5:6], v[176:177], -v[143:144]
	v_add_f64 v[119:120], v[119:120], v[123:124]
	v_fma_f64 v[123:124], v[7:8], v[176:177], v[182:183]
	v_add_f64 v[121:122], v[121:122], v[133:134]
	s_clause 0x1
	buffer_load_dword v134, off, s[0:3], 0 offset:852
	buffer_load_dword v133, off, s[0:3], 0 offset:848
	s_waitcnt vmcnt(55) lgkmcnt(0)
	v_mul_f64 v[176:177], v[115:116], v[149:150]
	v_mul_f64 v[149:150], v[117:118], v[149:150]
	ds_read_b128 v[5:8], v167 offset:1488
	s_waitcnt vmcnt(53)
	v_fma_f64 v[129:130], v[1:2], v[139:140], -v[129:130]
	v_fma_f64 v[139:140], v[3:4], v[139:140], v[170:171]
	ds_read_b128 v[1:4], v167 offset:1504
	v_add_f64 v[119:120], v[119:120], v[143:144]
	v_add_f64 v[121:122], v[121:122], v[123:124]
	s_waitcnt vmcnt(49) lgkmcnt(1)
	v_mul_f64 v[123:124], v[5:6], v[135:136]
	v_mul_f64 v[135:136], v[7:8], v[135:136]
	s_waitcnt vmcnt(48)
	v_fma_f64 v[143:144], v[115:116], v[151:152], -v[149:150]
	v_add_f64 v[119:120], v[119:120], v[129:130]
	v_fma_f64 v[129:130], v[117:118], v[151:152], v[176:177]
	v_add_f64 v[121:122], v[121:122], v[139:140]
	s_clause 0x3
	buffer_load_dword v139, off, s[0:3], 0 offset:208
	buffer_load_dword v140, off, s[0:3], 0 offset:212
	;; [unrolled: 1-line block ×4, first 2 shown]
	ds_read_b128 v[115:118], v167 offset:1520
	s_waitcnt vmcnt(51) lgkmcnt(1)
	v_mul_f64 v[151:152], v[1:2], v[157:158]
	v_mul_f64 v[157:158], v[3:4], v[157:158]
	s_waitcnt vmcnt(49)
	v_fma_f64 v[135:136], v[5:6], v[137:138], -v[135:136]
	v_fma_f64 v[123:124], v[7:8], v[137:138], v[123:124]
	ds_read_b128 v[5:8], v167 offset:1536
	v_add_f64 v[119:120], v[119:120], v[143:144]
	v_add_f64 v[121:122], v[121:122], v[129:130]
	s_waitcnt vmcnt(45) lgkmcnt(1)
	v_mul_f64 v[129:130], v[115:116], v[141:142]
	v_mul_f64 v[137:138], v[117:118], v[141:142]
	s_waitcnt vmcnt(44)
	v_fma_f64 v[141:142], v[1:2], v[159:160], -v[157:158]
	v_add_f64 v[119:120], v[119:120], v[135:136]
	v_fma_f64 v[135:136], v[3:4], v[159:160], v[151:152]
	v_add_f64 v[121:122], v[121:122], v[123:124]
	ds_read_b128 v[1:4], v167 offset:1552
	s_waitcnt vmcnt(43) lgkmcnt(1)
	v_mul_f64 v[143:144], v[7:8], v[163:164]
	v_mul_f64 v[123:124], v[5:6], v[163:164]
	s_waitcnt vmcnt(41)
	v_fma_f64 v[137:138], v[115:116], v[145:146], -v[137:138]
	v_fma_f64 v[129:130], v[117:118], v[145:146], v[129:130]
	ds_read_b128 v[115:118], v167 offset:1568
	v_add_f64 v[119:120], v[119:120], v[141:142]
	v_add_f64 v[121:122], v[121:122], v[135:136]
	s_waitcnt vmcnt(37) lgkmcnt(1)
	v_mul_f64 v[141:142], v[3:4], v[147:148]
	s_waitcnt vmcnt(36)
	v_fma_f64 v[143:144], v[5:6], v[165:166], -v[143:144]
	v_mul_f64 v[135:136], v[1:2], v[147:148]
	v_fma_f64 v[123:124], v[7:8], v[165:166], v[123:124]
	ds_read_b128 v[5:8], v167 offset:1584
	v_add_f64 v[119:120], v[119:120], v[137:138]
	v_add_f64 v[121:122], v[121:122], v[129:130]
	s_waitcnt vmcnt(35) lgkmcnt(1)
	v_mul_f64 v[137:138], v[117:118], v[186:187]
	v_mul_f64 v[129:130], v[115:116], v[186:187]
	s_waitcnt vmcnt(33)
	v_fma_f64 v[141:142], v[1:2], v[153:154], -v[141:142]
	v_fma_f64 v[135:136], v[3:4], v[153:154], v[135:136]
	ds_read_b128 v[1:4], v167 offset:1600
	v_add_f64 v[119:120], v[119:120], v[143:144]
	v_add_f64 v[121:122], v[121:122], v[123:124]
	s_waitcnt vmcnt(29) lgkmcnt(1)
	v_mul_f64 v[143:144], v[7:8], v[155:156]
	s_waitcnt vmcnt(28)
	v_fma_f64 v[137:138], v[115:116], v[190:191], -v[137:138]
	v_mul_f64 v[123:124], v[5:6], v[155:156]
	v_fma_f64 v[129:130], v[117:118], v[190:191], v[129:130]
	ds_read_b128 v[115:118], v167 offset:1616
	v_add_f64 v[119:120], v[119:120], v[141:142]
	v_add_f64 v[121:122], v[121:122], v[135:136]
	;; [unrolled: 18-line block ×3, first 2 shown]
	s_waitcnt vmcnt(19) lgkmcnt(1)
	v_mul_f64 v[143:144], v[7:8], v[188:189]
	v_mul_f64 v[123:124], v[5:6], v[188:189]
	s_waitcnt vmcnt(17)
	v_fma_f64 v[137:138], v[115:116], v[125:126], -v[137:138]
	v_fma_f64 v[125:126], v[117:118], v[125:126], v[129:130]
	ds_read_b128 v[115:118], v167 offset:1664
	v_add_f64 v[119:120], v[119:120], v[141:142]
	v_add_f64 v[121:122], v[121:122], v[135:136]
	s_waitcnt vmcnt(13) lgkmcnt(1)
	v_mul_f64 v[129:130], v[1:2], v[131:132]
	v_mul_f64 v[131:132], v[3:4], v[131:132]
	s_waitcnt vmcnt(12)
	v_fma_f64 v[135:136], v[5:6], v[192:193], -v[143:144]
	v_fma_f64 v[123:124], v[7:8], v[192:193], v[123:124]
	ds_read_b128 v[5:8], v167 offset:1680
	v_add_f64 v[119:120], v[119:120], v[137:138]
	v_add_f64 v[121:122], v[121:122], v[125:126]
	s_waitcnt vmcnt(11) lgkmcnt(1)
	v_mul_f64 v[137:138], v[117:118], v[180:181]
	v_mul_f64 v[125:126], v[115:116], v[180:181]
	s_waitcnt vmcnt(9)
	v_fma_f64 v[1:2], v[1:2], v[127:128], -v[131:132]
	v_fma_f64 v[3:4], v[3:4], v[127:128], v[129:130]
	v_add_f64 v[119:120], v[119:120], v[135:136]
	v_add_f64 v[121:122], v[121:122], v[123:124]
	s_waitcnt vmcnt(7) lgkmcnt(0)
	v_mul_f64 v[127:128], v[7:8], v[168:169]
	s_waitcnt vmcnt(6)
	v_fma_f64 v[115:116], v[115:116], v[197:198], -v[137:138]
	v_mul_f64 v[123:124], v[5:6], v[168:169]
	v_fma_f64 v[117:118], v[117:118], v[197:198], v[125:126]
	v_add_f64 v[1:2], v[119:120], v[1:2]
	v_add_f64 v[3:4], v[121:122], v[3:4]
	s_waitcnt vmcnt(4)
	v_fma_f64 v[5:6], v[5:6], v[133:134], -v[127:128]
	v_fma_f64 v[7:8], v[7:8], v[133:134], v[123:124]
	v_add_f64 v[1:2], v[1:2], v[115:116]
	v_add_f64 v[3:4], v[3:4], v[117:118]
	;; [unrolled: 1-line block ×4, first 2 shown]
	s_waitcnt vmcnt(2)
	v_add_f64 v[1:2], v[139:140], -v[1:2]
	s_waitcnt vmcnt(0)
	v_add_f64 v[3:4], v[149:150], -v[3:4]
	buffer_store_dword v2, off, s[0:3], 0 offset:212
	buffer_store_dword v1, off, s[0:3], 0 offset:208
	;; [unrolled: 1-line block ×4, first 2 shown]
	v_cmpx_lt_u32_e32 11, v0
	s_cbranch_execz .LBB116_309
; %bb.308:
	v_mov_b32_e32 v4, s54
	v_mov_b32_e32 v5, 0
	s_clause 0x3
	buffer_load_dword v1, v4, s[0:3], 0 offen
	buffer_load_dword v2, v4, s[0:3], 0 offen offset:4
	buffer_load_dword v3, v4, s[0:3], 0 offen offset:8
	;; [unrolled: 1-line block ×3, first 2 shown]
	buffer_store_dword v5, off, s[0:3], 0 offset:192
	buffer_store_dword v5, off, s[0:3], 0 offset:196
	;; [unrolled: 1-line block ×4, first 2 shown]
	s_waitcnt vmcnt(0)
	ds_write_b128 v175, v[1:4]
.LBB116_309:
	s_or_b32 exec_lo, exec_lo, s4
	s_waitcnt lgkmcnt(0)
	s_waitcnt_vscnt null, 0x0
	s_barrier
	buffer_gl0_inv
	s_clause 0x37
	buffer_load_dword v115, off, s[0:3], 0 offset:216
	buffer_load_dword v116, off, s[0:3], 0 offset:220
	;; [unrolled: 1-line block ×56, first 2 shown]
	v_mov_b32_e32 v167, 0
	s_mov_b32 s4, exec_lo
	ds_read_b128 v[168:171], v167 offset:1040
	s_clause 0x2
	buffer_load_dword v164, off, s[0:3], 0 offset:444
	buffer_load_dword v166, off, s[0:3], 0 offset:420
	;; [unrolled: 1-line block ×3, first 2 shown]
	ds_read_b128 v[176:179], v167 offset:1056
	s_clause 0x4
	buffer_load_dword v185, off, s[0:3], 0 offset:460
	buffer_load_dword v186, off, s[0:3], 0 offset:472
	;; [unrolled: 1-line block ×5, first 2 shown]
	ds_read_b128 v[180:183], v167 offset:1072
	s_clause 0x2
	buffer_load_dword v187, off, s[0:3], 0 offset:476
	buffer_load_dword v192, off, s[0:3], 0 offset:452
	;; [unrolled: 1-line block ×3, first 2 shown]
	s_waitcnt vmcnt(62) lgkmcnt(2)
	v_mul_f64 v[172:173], v[170:171], v[115:116]
	v_mul_f64 v[115:116], v[168:169], v[115:116]
	s_waitcnt lgkmcnt(1)
	v_mul_f64 v[189:190], v[178:179], v[5:6]
	s_waitcnt vmcnt(59) lgkmcnt(0)
	v_mul_f64 v[193:194], v[182:183], v[3:4]
	v_fma_f64 v[168:169], v[168:169], v[7:8], -v[172:173]
	v_mul_f64 v[172:173], v[176:177], v[5:6]
	v_fma_f64 v[115:116], v[170:171], v[7:8], v[115:116]
	s_waitcnt vmcnt(57)
	v_fma_f64 v[176:177], v[176:177], v[1:2], -v[189:190]
	ds_read_b128 v[5:8], v167 offset:1088
	v_mul_f64 v[170:171], v[180:181], v[3:4]
	s_waitcnt vmcnt(51)
	v_fma_f64 v[180:181], v[180:181], v[131:132], -v[193:194]
	v_add_f64 v[168:169], v[168:169], 0
	v_fma_f64 v[172:173], v[178:179], v[1:2], v[172:173]
	v_add_f64 v[115:116], v[115:116], 0
	s_clause 0x4
	buffer_load_dword v179, off, s[0:3], 0 offset:492
	buffer_load_dword v195, off, s[0:3], 0 offset:504
	;; [unrolled: 1-line block ×5, first 2 shown]
	s_waitcnt lgkmcnt(0)
	v_mul_f64 v[198:199], v[5:6], v[119:120]
	v_mul_f64 v[119:120], v[7:8], v[119:120]
	ds_read_b128 v[1:4], v167 offset:1104
	v_fma_f64 v[131:132], v[182:183], v[131:132], v[170:171]
	v_add_f64 v[176:177], v[168:169], v[176:177]
	v_add_f64 v[115:116], v[115:116], v[172:173]
	s_clause 0x2
	buffer_load_dword v196, off, s[0:3], 0 offset:508
	buffer_load_dword v173, off, s[0:3], 0 offset:484
	;; [unrolled: 1-line block ×3, first 2 shown]
	s_waitcnt vmcnt(58) lgkmcnt(0)
	v_mul_f64 v[182:183], v[1:2], v[123:124]
	v_mul_f64 v[123:124], v[3:4], v[123:124]
	s_waitcnt vmcnt(56)
	v_fma_f64 v[119:120], v[5:6], v[125:126], -v[119:120]
	ds_read_b128 v[168:171], v167 offset:1120
	v_fma_f64 v[125:126], v[7:8], v[125:126], v[198:199]
	v_add_f64 v[176:177], v[176:177], v[180:181]
	v_add_f64 v[115:116], v[115:116], v[131:132]
	s_clause 0x4
	buffer_load_dword v132, off, s[0:3], 0 offset:524
	buffer_load_dword v180, off, s[0:3], 0 offset:536
	;; [unrolled: 1-line block ×5, first 2 shown]
	ds_read_b128 v[5:8], v167 offset:1136
	s_waitcnt vmcnt(57) lgkmcnt(1)
	v_mul_f64 v[199:200], v[168:169], v[127:128]
	v_mul_f64 v[127:128], v[170:171], v[127:128]
	s_waitcnt vmcnt(56)
	v_fma_f64 v[123:124], v[1:2], v[117:118], -v[123:124]
	v_fma_f64 v[117:118], v[3:4], v[117:118], v[182:183]
	v_add_f64 v[119:120], v[176:177], v[119:120]
	v_add_f64 v[115:116], v[115:116], v[125:126]
	s_clause 0x2
	buffer_load_dword v181, off, s[0:3], 0 offset:540
	buffer_load_dword v126, off, s[0:3], 0 offset:516
	buffer_load_dword v125, off, s[0:3], 0 offset:512
	s_waitcnt vmcnt(58) lgkmcnt(0)
	v_mul_f64 v[176:177], v[5:6], v[133:134]
	v_mul_f64 v[133:134], v[7:8], v[133:134]
	s_waitcnt vmcnt(56)
	v_fma_f64 v[127:128], v[168:169], v[135:136], -v[127:128]
	ds_read_b128 v[1:4], v167 offset:1152
	v_add_f64 v[119:120], v[119:120], v[123:124]
	v_fma_f64 v[123:124], v[170:171], v[135:136], v[199:200]
	v_add_f64 v[135:136], v[115:116], v[117:118]
	s_clause 0x4
	buffer_load_dword v169, off, s[0:3], 0 offset:556
	buffer_load_dword v170, off, s[0:3], 0 offset:568
	;; [unrolled: 1-line block ×5, first 2 shown]
	ds_read_b128 v[115:118], v167 offset:1168
	s_waitcnt vmcnt(57) lgkmcnt(1)
	v_mul_f64 v[199:200], v[1:2], v[137:138]
	v_mul_f64 v[137:138], v[3:4], v[137:138]
	s_waitcnt vmcnt(56)
	v_fma_f64 v[133:134], v[5:6], v[121:122], -v[133:134]
	v_fma_f64 v[121:122], v[7:8], v[121:122], v[176:177]
	v_add_f64 v[119:120], v[119:120], v[127:128]
	s_clause 0x2
	buffer_load_dword v171, off, s[0:3], 0 offset:572
	buffer_load_dword v128, off, s[0:3], 0 offset:548
	;; [unrolled: 1-line block ×3, first 2 shown]
	v_add_f64 v[123:124], v[135:136], v[123:124]
	s_waitcnt vmcnt(58) lgkmcnt(0)
	v_mul_f64 v[135:136], v[115:116], v[141:142]
	v_mul_f64 v[141:142], v[117:118], v[141:142]
	ds_read_b128 v[5:8], v167 offset:1184
	s_waitcnt vmcnt(56)
	v_fma_f64 v[137:138], v[1:2], v[143:144], -v[137:138]
	v_add_f64 v[119:120], v[119:120], v[133:134]
	v_fma_f64 v[133:134], v[3:4], v[143:144], v[199:200]
	v_add_f64 v[121:122], v[123:124], v[121:122]
	s_clause 0x4
	buffer_load_dword v124, off, s[0:3], 0 offset:588
	buffer_load_dword v143, off, s[0:3], 0 offset:600
	;; [unrolled: 1-line block ×5, first 2 shown]
	s_waitcnt vmcnt(57) lgkmcnt(0)
	v_mul_f64 v[199:200], v[5:6], v[145:146]
	v_mul_f64 v[145:146], v[7:8], v[145:146]
	s_waitcnt vmcnt(56)
	v_fma_f64 v[141:142], v[115:116], v[129:130], -v[141:142]
	ds_read_b128 v[1:4], v167 offset:1200
	v_fma_f64 v[129:130], v[117:118], v[129:130], v[135:136]
	v_add_f64 v[119:120], v[119:120], v[137:138]
	v_add_f64 v[121:122], v[121:122], v[133:134]
	s_clause 0x2
	buffer_load_dword v144, off, s[0:3], 0 offset:604
	buffer_load_dword v134, off, s[0:3], 0 offset:580
	;; [unrolled: 1-line block ×3, first 2 shown]
	ds_read_b128 v[115:118], v167 offset:1216
	s_waitcnt vmcnt(58) lgkmcnt(1)
	v_mul_f64 v[137:138], v[3:4], v[149:150]
	s_waitcnt vmcnt(56)
	v_fma_f64 v[145:146], v[5:6], v[151:152], -v[145:146]
	v_mul_f64 v[135:136], v[1:2], v[149:150]
	v_add_f64 v[119:120], v[119:120], v[141:142]
	v_fma_f64 v[141:142], v[7:8], v[151:152], v[199:200]
	v_add_f64 v[121:122], v[121:122], v[129:130]
	s_clause 0x4
	buffer_load_dword v130, off, s[0:3], 0 offset:620
	buffer_load_dword v149, off, s[0:3], 0 offset:632
	;; [unrolled: 1-line block ×5, first 2 shown]
	s_waitcnt vmcnt(57) lgkmcnt(0)
	v_mul_f64 v[199:200], v[115:116], v[153:154]
	v_mul_f64 v[152:153], v[117:118], v[153:154]
	s_waitcnt vmcnt(56)
	v_fma_f64 v[137:138], v[1:2], v[139:140], -v[137:138]
	ds_read_b128 v[5:8], v167 offset:1232
	v_fma_f64 v[135:136], v[3:4], v[139:140], v[135:136]
	s_clause 0x2
	buffer_load_dword v150, off, s[0:3], 0 offset:636
	buffer_load_dword v140, off, s[0:3], 0 offset:612
	;; [unrolled: 1-line block ×3, first 2 shown]
	ds_read_b128 v[1:4], v167 offset:1248
	v_add_f64 v[119:120], v[119:120], v[145:146]
	v_add_f64 v[121:122], v[121:122], v[141:142]
	s_waitcnt vmcnt(58) lgkmcnt(1)
	v_mul_f64 v[145:146], v[7:8], v[157:158]
	s_waitcnt vmcnt(56)
	v_fma_f64 v[153:154], v[115:116], v[159:160], -v[152:153]
	v_mul_f64 v[141:142], v[5:6], v[157:158]
	v_add_f64 v[119:120], v[119:120], v[137:138]
	v_fma_f64 v[137:138], v[117:118], v[159:160], v[199:200]
	v_add_f64 v[121:122], v[121:122], v[135:136]
	s_clause 0x4
	buffer_load_dword v136, off, s[0:3], 0 offset:652
	buffer_load_dword v157, off, s[0:3], 0 offset:664
	;; [unrolled: 1-line block ×5, first 2 shown]
	s_waitcnt vmcnt(57) lgkmcnt(0)
	v_mul_f64 v[199:200], v[1:2], v[161:162]
	v_mul_f64 v[160:161], v[3:4], v[161:162]
	s_waitcnt vmcnt(56)
	v_fma_f64 v[145:146], v[5:6], v[147:148], -v[145:146]
	ds_read_b128 v[115:118], v167 offset:1264
	v_fma_f64 v[141:142], v[7:8], v[147:148], v[141:142]
	v_add_f64 v[119:120], v[119:120], v[153:154]
	v_add_f64 v[121:122], v[121:122], v[137:138]
	s_clause 0x2
	buffer_load_dword v158, off, s[0:3], 0 offset:668
	buffer_load_dword v138, off, s[0:3], 0 offset:644
	;; [unrolled: 1-line block ×3, first 2 shown]
	ds_read_b128 v[5:8], v167 offset:1280
	s_waitcnt vmcnt(58) lgkmcnt(1)
	v_mul_f64 v[153:154], v[117:118], v[163:164]
	s_waitcnt vmcnt(56)
	v_fma_f64 v[161:162], v[1:2], v[165:166], -v[160:161]
	v_mul_f64 v[147:148], v[115:116], v[163:164]
	v_add_f64 v[119:120], v[119:120], v[145:146]
	v_fma_f64 v[145:146], v[3:4], v[165:166], v[199:200]
	v_add_f64 v[121:122], v[121:122], v[141:142]
	s_clause 0x4
	buffer_load_dword v142, off, s[0:3], 0 offset:684
	buffer_load_dword v163, off, s[0:3], 0 offset:696
	;; [unrolled: 1-line block ×5, first 2 shown]
	s_waitcnt vmcnt(57) lgkmcnt(0)
	v_mul_f64 v[199:200], v[5:6], v[184:185]
	v_mul_f64 v[184:185], v[7:8], v[184:185]
	s_waitcnt vmcnt(56)
	v_fma_f64 v[153:154], v[115:116], v[155:156], -v[153:154]
	ds_read_b128 v[1:4], v167 offset:1296
	v_fma_f64 v[147:148], v[117:118], v[155:156], v[147:148]
	v_add_f64 v[119:120], v[119:120], v[161:162]
	v_add_f64 v[121:122], v[121:122], v[145:146]
	s_clause 0x2
	buffer_load_dword v164, off, s[0:3], 0 offset:700
	buffer_load_dword v146, off, s[0:3], 0 offset:676
	;; [unrolled: 1-line block ×3, first 2 shown]
	ds_read_b128 v[115:118], v167 offset:1312
	s_waitcnt vmcnt(58) lgkmcnt(1)
	v_mul_f64 v[161:162], v[3:4], v[186:187]
	s_waitcnt vmcnt(56)
	v_fma_f64 v[184:185], v[5:6], v[191:192], -v[184:185]
	v_mul_f64 v[155:156], v[1:2], v[186:187]
	v_add_f64 v[119:120], v[119:120], v[153:154]
	v_fma_f64 v[153:154], v[7:8], v[191:192], v[199:200]
	v_add_f64 v[121:122], v[121:122], v[147:148]
	s_clause 0x4
	buffer_load_dword v148, off, s[0:3], 0 offset:716
	buffer_load_dword v186, off, s[0:3], 0 offset:728
	;; [unrolled: 1-line block ×5, first 2 shown]
	ds_read_b128 v[5:8], v167 offset:1328
	s_waitcnt vmcnt(57) lgkmcnt(1)
	v_mul_f64 v[191:192], v[115:116], v[178:179]
	v_mul_f64 v[178:179], v[117:118], v[178:179]
	s_waitcnt vmcnt(56)
	v_fma_f64 v[161:162], v[1:2], v[188:189], -v[161:162]
	v_fma_f64 v[155:156], v[3:4], v[188:189], v[155:156]
	v_add_f64 v[119:120], v[119:120], v[184:185]
	v_add_f64 v[121:122], v[121:122], v[153:154]
	s_clause 0x2
	buffer_load_dword v187, off, s[0:3], 0 offset:732
	buffer_load_dword v154, off, s[0:3], 0 offset:708
	;; [unrolled: 1-line block ×3, first 2 shown]
	ds_read_b128 v[1:4], v167 offset:1344
	s_waitcnt vmcnt(58) lgkmcnt(1)
	v_mul_f64 v[188:189], v[7:8], v[195:196]
	v_mul_f64 v[184:185], v[5:6], v[195:196]
	s_waitcnt vmcnt(56)
	v_fma_f64 v[178:179], v[115:116], v[172:173], -v[178:179]
	v_add_f64 v[119:120], v[119:120], v[161:162]
	v_fma_f64 v[161:162], v[117:118], v[172:173], v[191:192]
	v_add_f64 v[121:122], v[121:122], v[155:156]
	s_clause 0x4
	buffer_load_dword v156, off, s[0:3], 0 offset:748
	buffer_load_dword v172, off, s[0:3], 0 offset:760
	buffer_load_dword v195, off, s[0:3], 0 offset:752
	buffer_load_dword v155, off, s[0:3], 0 offset:744
	buffer_load_dword v191, off, s[0:3], 0 offset:724
	ds_read_b128 v[115:118], v167 offset:1360
	s_waitcnt vmcnt(57) lgkmcnt(1)
	v_mul_f64 v[199:200], v[1:2], v[131:132]
	v_mul_f64 v[131:132], v[3:4], v[131:132]
	s_waitcnt vmcnt(56)
	v_fma_f64 v[188:189], v[5:6], v[197:198], -v[188:189]
	v_add_f64 v[119:120], v[119:120], v[178:179]
	v_fma_f64 v[178:179], v[7:8], v[197:198], v[184:185]
	v_add_f64 v[121:122], v[121:122], v[161:162]
	s_clause 0x2
	buffer_load_dword v173, off, s[0:3], 0 offset:764
	buffer_load_dword v162, off, s[0:3], 0 offset:740
	buffer_load_dword v161, off, s[0:3], 0 offset:736
	ds_read_b128 v[5:8], v167 offset:1376
	s_waitcnt vmcnt(58) lgkmcnt(1)
	v_mul_f64 v[184:185], v[115:116], v[180:181]
	v_mul_f64 v[180:181], v[117:118], v[180:181]
	s_waitcnt vmcnt(56)
	v_fma_f64 v[131:132], v[1:2], v[125:126], -v[131:132]
	v_fma_f64 v[125:126], v[3:4], v[125:126], v[199:200]
	v_add_f64 v[119:120], v[119:120], v[188:189]
	v_add_f64 v[121:122], v[121:122], v[178:179]
	s_clause 0x4
	buffer_load_dword v179, off, s[0:3], 0 offset:780
	buffer_load_dword v188, off, s[0:3], 0 offset:792
	buffer_load_dword v192, off, s[0:3], 0 offset:784
	buffer_load_dword v178, off, s[0:3], 0 offset:776
	buffer_load_dword v196, off, s[0:3], 0 offset:756
	ds_read_b128 v[1:4], v167 offset:1392
	s_waitcnt vmcnt(57) lgkmcnt(1)
	v_mul_f64 v[197:198], v[5:6], v[168:169]
	v_mul_f64 v[168:169], v[7:8], v[168:169]
	s_waitcnt vmcnt(56)
	v_fma_f64 v[180:181], v[115:116], v[193:194], -v[180:181]
	v_add_f64 v[119:120], v[119:120], v[131:132]
	v_fma_f64 v[131:132], v[117:118], v[193:194], v[184:185]
	v_add_f64 v[121:122], v[121:122], v[125:126]
	s_clause 0x2
	buffer_load_dword v189, off, s[0:3], 0 offset:796
	buffer_load_dword v126, off, s[0:3], 0 offset:772
	buffer_load_dword v125, off, s[0:3], 0 offset:768
	ds_read_b128 v[115:118], v167 offset:1408
	s_waitcnt vmcnt(58) lgkmcnt(1)
	v_mul_f64 v[184:185], v[1:2], v[170:171]
	v_mul_f64 v[170:171], v[3:4], v[170:171]
	s_waitcnt vmcnt(56)
	v_fma_f64 v[168:169], v[5:6], v[127:128], -v[168:169]
	v_fma_f64 v[127:128], v[7:8], v[127:128], v[197:198]
	v_add_f64 v[119:120], v[119:120], v[180:181]
	;; [unrolled: 28-line block ×3, first 2 shown]
	v_add_f64 v[121:122], v[121:122], v[168:169]
	s_clause 0x4
	buffer_load_dword v169, off, s[0:3], 0 offset:844
	buffer_load_dword v170, off, s[0:3], 0 offset:856
	;; [unrolled: 1-line block ×5, first 2 shown]
	ds_read_b128 v[115:118], v167 offset:1456
	s_waitcnt vmcnt(57) lgkmcnt(1)
	v_mul_f64 v[199:200], v[1:2], v[129:130]
	v_mul_f64 v[129:130], v[3:4], v[129:130]
	s_waitcnt vmcnt(56)
	v_fma_f64 v[143:144], v[5:6], v[176:177], -v[143:144]
	v_add_f64 v[119:120], v[119:120], v[123:124]
	v_fma_f64 v[123:124], v[7:8], v[176:177], v[182:183]
	v_add_f64 v[121:122], v[121:122], v[133:134]
	s_clause 0x2
	buffer_load_dword v171, off, s[0:3], 0 offset:860
	buffer_load_dword v134, off, s[0:3], 0 offset:836
	;; [unrolled: 1-line block ×3, first 2 shown]
	s_waitcnt vmcnt(58) lgkmcnt(0)
	v_mul_f64 v[176:177], v[115:116], v[149:150]
	v_mul_f64 v[149:150], v[117:118], v[149:150]
	ds_read_b128 v[5:8], v167 offset:1472
	buffer_load_dword v185, off, s[0:3], 0 offset:852
	s_waitcnt vmcnt(57)
	v_fma_f64 v[129:130], v[1:2], v[139:140], -v[129:130]
	v_fma_f64 v[139:140], v[3:4], v[139:140], v[199:200]
	ds_read_b128 v[1:4], v167 offset:1488
	v_add_f64 v[119:120], v[119:120], v[143:144]
	v_add_f64 v[121:122], v[121:122], v[123:124]
	s_waitcnt vmcnt(53) lgkmcnt(1)
	v_mul_f64 v[123:124], v[5:6], v[135:136]
	v_mul_f64 v[135:136], v[7:8], v[135:136]
	s_waitcnt vmcnt(52)
	v_fma_f64 v[143:144], v[115:116], v[151:152], -v[149:150]
	v_add_f64 v[119:120], v[119:120], v[129:130]
	v_fma_f64 v[129:130], v[117:118], v[151:152], v[176:177]
	v_add_f64 v[121:122], v[121:122], v[139:140]
	ds_read_b128 v[115:118], v167 offset:1504
	s_waitcnt vmcnt(51) lgkmcnt(1)
	v_mul_f64 v[149:150], v[3:4], v[157:158]
	v_mul_f64 v[139:140], v[1:2], v[157:158]
	s_waitcnt vmcnt(49)
	v_fma_f64 v[135:136], v[5:6], v[137:138], -v[135:136]
	v_fma_f64 v[123:124], v[7:8], v[137:138], v[123:124]
	v_add_f64 v[119:120], v[119:120], v[143:144]
	v_add_f64 v[121:122], v[121:122], v[129:130]
	s_clause 0x3
	buffer_load_dword v129, off, s[0:3], 0 offset:192
	buffer_load_dword v130, off, s[0:3], 0 offset:196
	buffer_load_dword v137, off, s[0:3], 0 offset:200
	buffer_load_dword v138, off, s[0:3], 0 offset:204
	ds_read_b128 v[5:8], v167 offset:1520
	s_waitcnt vmcnt(49) lgkmcnt(1)
	v_mul_f64 v[143:144], v[115:116], v[141:142]
	v_mul_f64 v[141:142], v[117:118], v[141:142]
	s_waitcnt vmcnt(48)
	v_fma_f64 v[149:150], v[1:2], v[159:160], -v[149:150]
	v_add_f64 v[119:120], v[119:120], v[135:136]
	v_fma_f64 v[135:136], v[3:4], v[159:160], v[139:140]
	v_add_f64 v[121:122], v[121:122], v[123:124]
	ds_read_b128 v[1:4], v167 offset:1536
	s_waitcnt vmcnt(47) lgkmcnt(1)
	v_mul_f64 v[139:140], v[7:8], v[163:164]
	v_mul_f64 v[123:124], v[5:6], v[163:164]
	s_waitcnt vmcnt(45)
	v_fma_f64 v[141:142], v[115:116], v[145:146], -v[141:142]
	v_fma_f64 v[143:144], v[117:118], v[145:146], v[143:144]
	ds_read_b128 v[115:118], v167 offset:1552
	v_add_f64 v[119:120], v[119:120], v[149:150]
	v_add_f64 v[121:122], v[121:122], v[135:136]
	s_waitcnt vmcnt(41) lgkmcnt(1)
	v_mul_f64 v[145:146], v[3:4], v[147:148]
	s_waitcnt vmcnt(40)
	v_fma_f64 v[139:140], v[5:6], v[165:166], -v[139:140]
	v_mul_f64 v[135:136], v[1:2], v[147:148]
	v_fma_f64 v[123:124], v[7:8], v[165:166], v[123:124]
	ds_read_b128 v[5:8], v167 offset:1568
	v_add_f64 v[119:120], v[119:120], v[141:142]
	v_add_f64 v[121:122], v[121:122], v[143:144]
	s_waitcnt vmcnt(39) lgkmcnt(1)
	v_mul_f64 v[143:144], v[117:118], v[186:187]
	v_mul_f64 v[141:142], v[115:116], v[186:187]
	s_waitcnt vmcnt(37)
	v_fma_f64 v[145:146], v[1:2], v[153:154], -v[145:146]
	v_fma_f64 v[135:136], v[3:4], v[153:154], v[135:136]
	ds_read_b128 v[1:4], v167 offset:1584
	v_add_f64 v[119:120], v[119:120], v[139:140]
	v_add_f64 v[121:122], v[121:122], v[123:124]
	s_waitcnt vmcnt(33) lgkmcnt(1)
	v_mul_f64 v[139:140], v[7:8], v[155:156]
	s_waitcnt vmcnt(32)
	v_fma_f64 v[143:144], v[115:116], v[190:191], -v[143:144]
	v_mul_f64 v[123:124], v[5:6], v[155:156]
	v_fma_f64 v[141:142], v[117:118], v[190:191], v[141:142]
	ds_read_b128 v[115:118], v167 offset:1600
	v_add_f64 v[119:120], v[119:120], v[145:146]
	v_add_f64 v[121:122], v[121:122], v[135:136]
	;; [unrolled: 18-line block ×3, first 2 shown]
	s_waitcnt vmcnt(23) lgkmcnt(1)
	v_mul_f64 v[139:140], v[7:8], v[188:189]
	v_mul_f64 v[123:124], v[5:6], v[188:189]
	s_waitcnt vmcnt(21)
	v_fma_f64 v[143:144], v[115:116], v[125:126], -v[143:144]
	v_fma_f64 v[125:126], v[117:118], v[125:126], v[141:142]
	ds_read_b128 v[115:118], v167 offset:1648
	v_add_f64 v[119:120], v[119:120], v[145:146]
	v_add_f64 v[121:122], v[121:122], v[135:136]
	s_waitcnt vmcnt(17) lgkmcnt(1)
	v_mul_f64 v[135:136], v[1:2], v[131:132]
	v_mul_f64 v[131:132], v[3:4], v[131:132]
	s_waitcnt vmcnt(16)
	v_fma_f64 v[139:140], v[5:6], v[192:193], -v[139:140]
	v_fma_f64 v[123:124], v[7:8], v[192:193], v[123:124]
	ds_read_b128 v[5:8], v167 offset:1664
	v_add_f64 v[119:120], v[119:120], v[143:144]
	v_add_f64 v[121:122], v[121:122], v[125:126]
	s_waitcnt vmcnt(15) lgkmcnt(1)
	v_mul_f64 v[141:142], v[117:118], v[180:181]
	v_mul_f64 v[125:126], v[115:116], v[180:181]
	s_waitcnt vmcnt(13)
	v_fma_f64 v[131:132], v[1:2], v[127:128], -v[131:132]
	v_fma_f64 v[127:128], v[3:4], v[127:128], v[135:136]
	ds_read_b128 v[1:4], v167 offset:1680
	v_add_f64 v[119:120], v[119:120], v[139:140]
	v_add_f64 v[121:122], v[121:122], v[123:124]
	s_waitcnt vmcnt(9) lgkmcnt(1)
	v_mul_f64 v[135:136], v[7:8], v[168:169]
	s_waitcnt vmcnt(8)
	v_fma_f64 v[115:116], v[115:116], v[197:198], -v[141:142]
	v_mul_f64 v[123:124], v[5:6], v[168:169]
	v_fma_f64 v[117:118], v[117:118], v[197:198], v[125:126]
	v_add_f64 v[119:120], v[119:120], v[131:132]
	v_add_f64 v[121:122], v[121:122], v[127:128]
	s_waitcnt vmcnt(7) lgkmcnt(0)
	v_mul_f64 v[127:128], v[3:4], v[170:171]
	v_mul_f64 v[125:126], v[1:2], v[170:171]
	s_waitcnt vmcnt(5)
	v_fma_f64 v[5:6], v[5:6], v[133:134], -v[135:136]
	v_fma_f64 v[7:8], v[7:8], v[133:134], v[123:124]
	v_add_f64 v[115:116], v[119:120], v[115:116]
	v_add_f64 v[117:118], v[121:122], v[117:118]
	s_waitcnt vmcnt(4)
	v_fma_f64 v[1:2], v[1:2], v[184:185], -v[127:128]
	v_fma_f64 v[3:4], v[3:4], v[184:185], v[125:126]
	v_add_f64 v[5:6], v[115:116], v[5:6]
	v_add_f64 v[7:8], v[117:118], v[7:8]
	;; [unrolled: 1-line block ×4, first 2 shown]
	s_waitcnt vmcnt(2)
	v_add_f64 v[1:2], v[129:130], -v[1:2]
	s_waitcnt vmcnt(0)
	v_add_f64 v[3:4], v[137:138], -v[3:4]
	buffer_store_dword v2, off, s[0:3], 0 offset:196
	buffer_store_dword v1, off, s[0:3], 0 offset:192
	;; [unrolled: 1-line block ×4, first 2 shown]
	v_cmpx_lt_u32_e32 10, v0
	s_cbranch_execz .LBB116_311
; %bb.310:
	v_mov_b32_e32 v4, s55
	s_clause 0x3
	buffer_load_dword v1, v4, s[0:3], 0 offen
	buffer_load_dword v2, v4, s[0:3], 0 offen offset:4
	buffer_load_dword v3, v4, s[0:3], 0 offen offset:8
	;; [unrolled: 1-line block ×3, first 2 shown]
	buffer_store_dword v167, off, s[0:3], 0 offset:176
	buffer_store_dword v167, off, s[0:3], 0 offset:180
	;; [unrolled: 1-line block ×4, first 2 shown]
	s_waitcnt vmcnt(0)
	ds_write_b128 v175, v[1:4]
.LBB116_311:
	s_or_b32 exec_lo, exec_lo, s4
	s_waitcnt lgkmcnt(0)
	s_waitcnt_vscnt null, 0x0
	s_barrier
	buffer_gl0_inv
	s_clause 0x37
	buffer_load_dword v115, off, s[0:3], 0 offset:200
	buffer_load_dword v116, off, s[0:3], 0 offset:204
	;; [unrolled: 1-line block ×56, first 2 shown]
	ds_read_b128 v[168:171], v167 offset:1024
	s_clause 0x2
	buffer_load_dword v164, off, s[0:3], 0 offset:428
	buffer_load_dword v166, off, s[0:3], 0 offset:404
	;; [unrolled: 1-line block ×3, first 2 shown]
	ds_read_b128 v[176:179], v167 offset:1040
	s_clause 0x4
	buffer_load_dword v185, off, s[0:3], 0 offset:444
	buffer_load_dword v186, off, s[0:3], 0 offset:456
	;; [unrolled: 1-line block ×5, first 2 shown]
	ds_read_b128 v[180:183], v167 offset:1056
	s_clause 0x2
	buffer_load_dword v187, off, s[0:3], 0 offset:460
	buffer_load_dword v192, off, s[0:3], 0 offset:436
	;; [unrolled: 1-line block ×3, first 2 shown]
	s_mov_b32 s4, exec_lo
	s_waitcnt vmcnt(62) lgkmcnt(2)
	v_mul_f64 v[172:173], v[170:171], v[115:116]
	v_mul_f64 v[115:116], v[168:169], v[115:116]
	s_waitcnt lgkmcnt(1)
	v_mul_f64 v[189:190], v[178:179], v[5:6]
	s_waitcnt vmcnt(59) lgkmcnt(0)
	v_mul_f64 v[193:194], v[182:183], v[3:4]
	v_fma_f64 v[168:169], v[168:169], v[7:8], -v[172:173]
	v_mul_f64 v[172:173], v[176:177], v[5:6]
	v_fma_f64 v[115:116], v[170:171], v[7:8], v[115:116]
	s_waitcnt vmcnt(57)
	v_fma_f64 v[176:177], v[176:177], v[1:2], -v[189:190]
	ds_read_b128 v[5:8], v167 offset:1072
	v_mul_f64 v[170:171], v[180:181], v[3:4]
	s_waitcnt vmcnt(51)
	v_fma_f64 v[180:181], v[180:181], v[131:132], -v[193:194]
	v_add_f64 v[168:169], v[168:169], 0
	v_fma_f64 v[172:173], v[178:179], v[1:2], v[172:173]
	v_add_f64 v[115:116], v[115:116], 0
	s_clause 0x4
	buffer_load_dword v179, off, s[0:3], 0 offset:476
	buffer_load_dword v195, off, s[0:3], 0 offset:488
	;; [unrolled: 1-line block ×5, first 2 shown]
	s_waitcnt lgkmcnt(0)
	v_mul_f64 v[198:199], v[5:6], v[119:120]
	v_mul_f64 v[119:120], v[7:8], v[119:120]
	ds_read_b128 v[1:4], v167 offset:1088
	v_fma_f64 v[131:132], v[182:183], v[131:132], v[170:171]
	v_add_f64 v[176:177], v[168:169], v[176:177]
	v_add_f64 v[115:116], v[115:116], v[172:173]
	s_clause 0x2
	buffer_load_dword v196, off, s[0:3], 0 offset:492
	buffer_load_dword v173, off, s[0:3], 0 offset:468
	;; [unrolled: 1-line block ×3, first 2 shown]
	s_waitcnt vmcnt(58) lgkmcnt(0)
	v_mul_f64 v[182:183], v[1:2], v[123:124]
	v_mul_f64 v[123:124], v[3:4], v[123:124]
	s_waitcnt vmcnt(56)
	v_fma_f64 v[119:120], v[5:6], v[125:126], -v[119:120]
	ds_read_b128 v[168:171], v167 offset:1104
	v_fma_f64 v[125:126], v[7:8], v[125:126], v[198:199]
	v_add_f64 v[176:177], v[176:177], v[180:181]
	v_add_f64 v[115:116], v[115:116], v[131:132]
	s_clause 0x4
	buffer_load_dword v132, off, s[0:3], 0 offset:508
	buffer_load_dword v180, off, s[0:3], 0 offset:520
	;; [unrolled: 1-line block ×5, first 2 shown]
	ds_read_b128 v[5:8], v167 offset:1120
	s_waitcnt vmcnt(57) lgkmcnt(1)
	v_mul_f64 v[199:200], v[168:169], v[127:128]
	v_mul_f64 v[127:128], v[170:171], v[127:128]
	s_waitcnt vmcnt(56)
	v_fma_f64 v[123:124], v[1:2], v[117:118], -v[123:124]
	v_fma_f64 v[117:118], v[3:4], v[117:118], v[182:183]
	v_add_f64 v[119:120], v[176:177], v[119:120]
	v_add_f64 v[115:116], v[115:116], v[125:126]
	s_clause 0x2
	buffer_load_dword v181, off, s[0:3], 0 offset:524
	buffer_load_dword v126, off, s[0:3], 0 offset:500
	;; [unrolled: 1-line block ×3, first 2 shown]
	s_waitcnt vmcnt(58) lgkmcnt(0)
	v_mul_f64 v[176:177], v[5:6], v[133:134]
	v_mul_f64 v[133:134], v[7:8], v[133:134]
	s_waitcnt vmcnt(56)
	v_fma_f64 v[127:128], v[168:169], v[135:136], -v[127:128]
	ds_read_b128 v[1:4], v167 offset:1136
	v_add_f64 v[119:120], v[119:120], v[123:124]
	v_fma_f64 v[123:124], v[170:171], v[135:136], v[199:200]
	v_add_f64 v[135:136], v[115:116], v[117:118]
	s_clause 0x4
	buffer_load_dword v169, off, s[0:3], 0 offset:540
	buffer_load_dword v170, off, s[0:3], 0 offset:552
	;; [unrolled: 1-line block ×5, first 2 shown]
	ds_read_b128 v[115:118], v167 offset:1152
	s_waitcnt vmcnt(57) lgkmcnt(1)
	v_mul_f64 v[199:200], v[1:2], v[137:138]
	v_mul_f64 v[137:138], v[3:4], v[137:138]
	s_waitcnt vmcnt(56)
	v_fma_f64 v[133:134], v[5:6], v[121:122], -v[133:134]
	v_fma_f64 v[121:122], v[7:8], v[121:122], v[176:177]
	v_add_f64 v[119:120], v[119:120], v[127:128]
	s_clause 0x2
	buffer_load_dword v171, off, s[0:3], 0 offset:556
	buffer_load_dword v128, off, s[0:3], 0 offset:532
	;; [unrolled: 1-line block ×3, first 2 shown]
	v_add_f64 v[123:124], v[135:136], v[123:124]
	s_waitcnt vmcnt(58) lgkmcnt(0)
	v_mul_f64 v[135:136], v[115:116], v[141:142]
	v_mul_f64 v[141:142], v[117:118], v[141:142]
	ds_read_b128 v[5:8], v167 offset:1168
	s_waitcnt vmcnt(56)
	v_fma_f64 v[137:138], v[1:2], v[143:144], -v[137:138]
	v_add_f64 v[119:120], v[119:120], v[133:134]
	v_fma_f64 v[133:134], v[3:4], v[143:144], v[199:200]
	v_add_f64 v[121:122], v[123:124], v[121:122]
	s_clause 0x4
	buffer_load_dword v124, off, s[0:3], 0 offset:572
	buffer_load_dword v143, off, s[0:3], 0 offset:584
	;; [unrolled: 1-line block ×5, first 2 shown]
	s_waitcnt vmcnt(57) lgkmcnt(0)
	v_mul_f64 v[199:200], v[5:6], v[145:146]
	v_mul_f64 v[145:146], v[7:8], v[145:146]
	s_waitcnt vmcnt(56)
	v_fma_f64 v[141:142], v[115:116], v[129:130], -v[141:142]
	ds_read_b128 v[1:4], v167 offset:1184
	v_fma_f64 v[129:130], v[117:118], v[129:130], v[135:136]
	v_add_f64 v[119:120], v[119:120], v[137:138]
	v_add_f64 v[121:122], v[121:122], v[133:134]
	s_clause 0x2
	buffer_load_dword v144, off, s[0:3], 0 offset:588
	buffer_load_dword v134, off, s[0:3], 0 offset:564
	;; [unrolled: 1-line block ×3, first 2 shown]
	ds_read_b128 v[115:118], v167 offset:1200
	s_waitcnt vmcnt(58) lgkmcnt(1)
	v_mul_f64 v[137:138], v[3:4], v[149:150]
	s_waitcnt vmcnt(56)
	v_fma_f64 v[145:146], v[5:6], v[151:152], -v[145:146]
	v_mul_f64 v[135:136], v[1:2], v[149:150]
	v_add_f64 v[119:120], v[119:120], v[141:142]
	v_fma_f64 v[141:142], v[7:8], v[151:152], v[199:200]
	v_add_f64 v[121:122], v[121:122], v[129:130]
	s_clause 0x4
	buffer_load_dword v130, off, s[0:3], 0 offset:604
	buffer_load_dword v149, off, s[0:3], 0 offset:616
	;; [unrolled: 1-line block ×5, first 2 shown]
	s_waitcnt vmcnt(57) lgkmcnt(0)
	v_mul_f64 v[199:200], v[115:116], v[153:154]
	v_mul_f64 v[152:153], v[117:118], v[153:154]
	s_waitcnt vmcnt(56)
	v_fma_f64 v[137:138], v[1:2], v[139:140], -v[137:138]
	ds_read_b128 v[5:8], v167 offset:1216
	v_fma_f64 v[135:136], v[3:4], v[139:140], v[135:136]
	s_clause 0x2
	buffer_load_dword v150, off, s[0:3], 0 offset:620
	buffer_load_dword v140, off, s[0:3], 0 offset:596
	;; [unrolled: 1-line block ×3, first 2 shown]
	ds_read_b128 v[1:4], v167 offset:1232
	v_add_f64 v[119:120], v[119:120], v[145:146]
	v_add_f64 v[121:122], v[121:122], v[141:142]
	s_waitcnt vmcnt(58) lgkmcnt(1)
	v_mul_f64 v[145:146], v[7:8], v[157:158]
	s_waitcnt vmcnt(56)
	v_fma_f64 v[153:154], v[115:116], v[159:160], -v[152:153]
	v_mul_f64 v[141:142], v[5:6], v[157:158]
	v_add_f64 v[119:120], v[119:120], v[137:138]
	v_fma_f64 v[137:138], v[117:118], v[159:160], v[199:200]
	v_add_f64 v[121:122], v[121:122], v[135:136]
	s_clause 0x4
	buffer_load_dword v136, off, s[0:3], 0 offset:636
	buffer_load_dword v157, off, s[0:3], 0 offset:648
	;; [unrolled: 1-line block ×5, first 2 shown]
	s_waitcnt vmcnt(57) lgkmcnt(0)
	v_mul_f64 v[199:200], v[1:2], v[161:162]
	v_mul_f64 v[160:161], v[3:4], v[161:162]
	s_waitcnt vmcnt(56)
	v_fma_f64 v[145:146], v[5:6], v[147:148], -v[145:146]
	ds_read_b128 v[115:118], v167 offset:1248
	v_fma_f64 v[141:142], v[7:8], v[147:148], v[141:142]
	v_add_f64 v[119:120], v[119:120], v[153:154]
	v_add_f64 v[121:122], v[121:122], v[137:138]
	s_clause 0x2
	buffer_load_dword v158, off, s[0:3], 0 offset:652
	buffer_load_dword v138, off, s[0:3], 0 offset:628
	;; [unrolled: 1-line block ×3, first 2 shown]
	ds_read_b128 v[5:8], v167 offset:1264
	s_waitcnt vmcnt(58) lgkmcnt(1)
	v_mul_f64 v[153:154], v[117:118], v[163:164]
	s_waitcnt vmcnt(56)
	v_fma_f64 v[161:162], v[1:2], v[165:166], -v[160:161]
	v_mul_f64 v[147:148], v[115:116], v[163:164]
	v_add_f64 v[119:120], v[119:120], v[145:146]
	v_fma_f64 v[145:146], v[3:4], v[165:166], v[199:200]
	v_add_f64 v[121:122], v[121:122], v[141:142]
	s_clause 0x4
	buffer_load_dword v142, off, s[0:3], 0 offset:668
	buffer_load_dword v163, off, s[0:3], 0 offset:680
	;; [unrolled: 1-line block ×5, first 2 shown]
	s_waitcnt vmcnt(57) lgkmcnt(0)
	v_mul_f64 v[199:200], v[5:6], v[184:185]
	v_mul_f64 v[184:185], v[7:8], v[184:185]
	s_waitcnt vmcnt(56)
	v_fma_f64 v[153:154], v[115:116], v[155:156], -v[153:154]
	ds_read_b128 v[1:4], v167 offset:1280
	v_fma_f64 v[147:148], v[117:118], v[155:156], v[147:148]
	v_add_f64 v[119:120], v[119:120], v[161:162]
	v_add_f64 v[121:122], v[121:122], v[145:146]
	s_clause 0x2
	buffer_load_dword v164, off, s[0:3], 0 offset:684
	buffer_load_dword v146, off, s[0:3], 0 offset:660
	;; [unrolled: 1-line block ×3, first 2 shown]
	ds_read_b128 v[115:118], v167 offset:1296
	s_waitcnt vmcnt(58) lgkmcnt(1)
	v_mul_f64 v[161:162], v[3:4], v[186:187]
	s_waitcnt vmcnt(56)
	v_fma_f64 v[184:185], v[5:6], v[191:192], -v[184:185]
	v_mul_f64 v[155:156], v[1:2], v[186:187]
	v_add_f64 v[119:120], v[119:120], v[153:154]
	v_fma_f64 v[153:154], v[7:8], v[191:192], v[199:200]
	v_add_f64 v[121:122], v[121:122], v[147:148]
	s_clause 0x4
	buffer_load_dword v148, off, s[0:3], 0 offset:700
	buffer_load_dword v186, off, s[0:3], 0 offset:712
	buffer_load_dword v190, off, s[0:3], 0 offset:704
	buffer_load_dword v147, off, s[0:3], 0 offset:696
	buffer_load_dword v166, off, s[0:3], 0 offset:676
	ds_read_b128 v[5:8], v167 offset:1312
	s_waitcnt vmcnt(57) lgkmcnt(1)
	v_mul_f64 v[191:192], v[115:116], v[178:179]
	v_mul_f64 v[178:179], v[117:118], v[178:179]
	s_waitcnt vmcnt(56)
	v_fma_f64 v[161:162], v[1:2], v[188:189], -v[161:162]
	v_fma_f64 v[155:156], v[3:4], v[188:189], v[155:156]
	v_add_f64 v[119:120], v[119:120], v[184:185]
	v_add_f64 v[121:122], v[121:122], v[153:154]
	s_clause 0x2
	buffer_load_dword v187, off, s[0:3], 0 offset:716
	buffer_load_dword v154, off, s[0:3], 0 offset:692
	;; [unrolled: 1-line block ×3, first 2 shown]
	ds_read_b128 v[1:4], v167 offset:1328
	s_waitcnt vmcnt(58) lgkmcnt(1)
	v_mul_f64 v[188:189], v[7:8], v[195:196]
	v_mul_f64 v[184:185], v[5:6], v[195:196]
	s_waitcnt vmcnt(56)
	v_fma_f64 v[178:179], v[115:116], v[172:173], -v[178:179]
	v_add_f64 v[119:120], v[119:120], v[161:162]
	v_fma_f64 v[161:162], v[117:118], v[172:173], v[191:192]
	v_add_f64 v[121:122], v[121:122], v[155:156]
	s_clause 0x4
	buffer_load_dword v156, off, s[0:3], 0 offset:732
	buffer_load_dword v172, off, s[0:3], 0 offset:744
	buffer_load_dword v195, off, s[0:3], 0 offset:736
	buffer_load_dword v155, off, s[0:3], 0 offset:728
	buffer_load_dword v191, off, s[0:3], 0 offset:708
	ds_read_b128 v[115:118], v167 offset:1344
	s_waitcnt vmcnt(57) lgkmcnt(1)
	v_mul_f64 v[199:200], v[1:2], v[131:132]
	v_mul_f64 v[131:132], v[3:4], v[131:132]
	s_waitcnt vmcnt(56)
	v_fma_f64 v[188:189], v[5:6], v[197:198], -v[188:189]
	v_add_f64 v[119:120], v[119:120], v[178:179]
	v_fma_f64 v[178:179], v[7:8], v[197:198], v[184:185]
	v_add_f64 v[121:122], v[121:122], v[161:162]
	s_clause 0x2
	buffer_load_dword v173, off, s[0:3], 0 offset:748
	buffer_load_dword v162, off, s[0:3], 0 offset:724
	buffer_load_dword v161, off, s[0:3], 0 offset:720
	ds_read_b128 v[5:8], v167 offset:1360
	s_waitcnt vmcnt(58) lgkmcnt(1)
	v_mul_f64 v[184:185], v[115:116], v[180:181]
	v_mul_f64 v[180:181], v[117:118], v[180:181]
	s_waitcnt vmcnt(56)
	v_fma_f64 v[131:132], v[1:2], v[125:126], -v[131:132]
	v_fma_f64 v[125:126], v[3:4], v[125:126], v[199:200]
	v_add_f64 v[119:120], v[119:120], v[188:189]
	v_add_f64 v[121:122], v[121:122], v[178:179]
	s_clause 0x4
	buffer_load_dword v179, off, s[0:3], 0 offset:764
	buffer_load_dword v188, off, s[0:3], 0 offset:776
	buffer_load_dword v192, off, s[0:3], 0 offset:768
	buffer_load_dword v178, off, s[0:3], 0 offset:760
	buffer_load_dword v196, off, s[0:3], 0 offset:740
	ds_read_b128 v[1:4], v167 offset:1376
	s_waitcnt vmcnt(57) lgkmcnt(1)
	v_mul_f64 v[197:198], v[5:6], v[168:169]
	v_mul_f64 v[168:169], v[7:8], v[168:169]
	s_waitcnt vmcnt(56)
	v_fma_f64 v[180:181], v[115:116], v[193:194], -v[180:181]
	v_add_f64 v[119:120], v[119:120], v[131:132]
	v_fma_f64 v[131:132], v[117:118], v[193:194], v[184:185]
	v_add_f64 v[121:122], v[121:122], v[125:126]
	s_clause 0x2
	buffer_load_dword v189, off, s[0:3], 0 offset:780
	buffer_load_dword v126, off, s[0:3], 0 offset:756
	buffer_load_dword v125, off, s[0:3], 0 offset:752
	ds_read_b128 v[115:118], v167 offset:1392
	s_waitcnt vmcnt(58) lgkmcnt(1)
	v_mul_f64 v[184:185], v[1:2], v[170:171]
	v_mul_f64 v[170:171], v[3:4], v[170:171]
	s_waitcnt vmcnt(56)
	v_fma_f64 v[168:169], v[5:6], v[127:128], -v[168:169]
	v_fma_f64 v[127:128], v[7:8], v[127:128], v[197:198]
	v_add_f64 v[119:120], v[119:120], v[180:181]
	;; [unrolled: 28-line block ×3, first 2 shown]
	v_add_f64 v[121:122], v[121:122], v[168:169]
	s_clause 0x4
	buffer_load_dword v169, off, s[0:3], 0 offset:828
	buffer_load_dword v170, off, s[0:3], 0 offset:840
	;; [unrolled: 1-line block ×5, first 2 shown]
	ds_read_b128 v[115:118], v167 offset:1440
	s_waitcnt vmcnt(57) lgkmcnt(1)
	v_mul_f64 v[199:200], v[1:2], v[129:130]
	v_mul_f64 v[129:130], v[3:4], v[129:130]
	s_waitcnt vmcnt(56)
	v_fma_f64 v[143:144], v[5:6], v[176:177], -v[143:144]
	v_add_f64 v[119:120], v[119:120], v[123:124]
	v_fma_f64 v[123:124], v[7:8], v[176:177], v[182:183]
	v_add_f64 v[121:122], v[121:122], v[133:134]
	s_clause 0x2
	buffer_load_dword v171, off, s[0:3], 0 offset:844
	buffer_load_dword v134, off, s[0:3], 0 offset:820
	;; [unrolled: 1-line block ×3, first 2 shown]
	s_waitcnt vmcnt(58) lgkmcnt(0)
	v_mul_f64 v[176:177], v[115:116], v[149:150]
	v_mul_f64 v[149:150], v[117:118], v[149:150]
	ds_read_b128 v[5:8], v167 offset:1456
	s_waitcnt vmcnt(56)
	v_fma_f64 v[129:130], v[1:2], v[139:140], -v[129:130]
	v_fma_f64 v[139:140], v[3:4], v[139:140], v[199:200]
	v_add_f64 v[119:120], v[119:120], v[143:144]
	v_add_f64 v[121:122], v[121:122], v[123:124]
	s_clause 0x2
	buffer_load_dword v124, off, s[0:3], 0 offset:860
	buffer_load_dword v123, off, s[0:3], 0 offset:856
	;; [unrolled: 1-line block ×3, first 2 shown]
	ds_read_b128 v[1:4], v167 offset:1472
	s_waitcnt vmcnt(55) lgkmcnt(1)
	v_mul_f64 v[143:144], v[5:6], v[135:136]
	v_mul_f64 v[135:136], v[7:8], v[135:136]
	s_waitcnt vmcnt(54)
	v_fma_f64 v[149:150], v[115:116], v[151:152], -v[149:150]
	v_add_f64 v[119:120], v[119:120], v[129:130]
	v_fma_f64 v[129:130], v[117:118], v[151:152], v[176:177]
	v_add_f64 v[121:122], v[121:122], v[139:140]
	s_clause 0x1
	buffer_load_dword v140, off, s[0:3], 0 offset:852
	buffer_load_dword v139, off, s[0:3], 0 offset:848
	ds_read_b128 v[115:118], v167 offset:1488
	s_waitcnt vmcnt(55) lgkmcnt(1)
	v_mul_f64 v[151:152], v[1:2], v[157:158]
	v_mul_f64 v[157:158], v[3:4], v[157:158]
	s_waitcnt vmcnt(53)
	v_fma_f64 v[135:136], v[5:6], v[137:138], -v[135:136]
	v_fma_f64 v[137:138], v[7:8], v[137:138], v[143:144]
	ds_read_b128 v[5:8], v167 offset:1504
	v_add_f64 v[119:120], v[119:120], v[149:150]
	v_add_f64 v[121:122], v[121:122], v[129:130]
	s_waitcnt vmcnt(49) lgkmcnt(1)
	v_mul_f64 v[129:130], v[115:116], v[141:142]
	v_mul_f64 v[141:142], v[117:118], v[141:142]
	s_waitcnt vmcnt(48)
	v_fma_f64 v[143:144], v[1:2], v[159:160], -v[157:158]
	v_add_f64 v[119:120], v[119:120], v[135:136]
	v_fma_f64 v[135:136], v[3:4], v[159:160], v[151:152]
	v_add_f64 v[121:122], v[121:122], v[137:138]
	s_clause 0x3
	buffer_load_dword v137, off, s[0:3], 0 offset:176
	buffer_load_dword v138, off, s[0:3], 0 offset:180
	;; [unrolled: 1-line block ×4, first 2 shown]
	ds_read_b128 v[1:4], v167 offset:1520
	s_waitcnt vmcnt(51) lgkmcnt(1)
	v_mul_f64 v[157:158], v[7:8], v[163:164]
	v_mul_f64 v[151:152], v[5:6], v[163:164]
	s_waitcnt vmcnt(49)
	v_fma_f64 v[141:142], v[115:116], v[145:146], -v[141:142]
	v_fma_f64 v[129:130], v[117:118], v[145:146], v[129:130]
	ds_read_b128 v[115:118], v167 offset:1536
	v_add_f64 v[119:120], v[119:120], v[143:144]
	v_add_f64 v[121:122], v[121:122], v[135:136]
	s_waitcnt vmcnt(45) lgkmcnt(1)
	v_mul_f64 v[143:144], v[3:4], v[147:148]
	s_waitcnt vmcnt(44)
	v_fma_f64 v[145:146], v[5:6], v[165:166], -v[157:158]
	v_mul_f64 v[135:136], v[1:2], v[147:148]
	v_add_f64 v[119:120], v[119:120], v[141:142]
	v_fma_f64 v[141:142], v[7:8], v[165:166], v[151:152]
	v_add_f64 v[121:122], v[121:122], v[129:130]
	ds_read_b128 v[5:8], v167 offset:1552
	s_waitcnt vmcnt(43) lgkmcnt(1)
	v_mul_f64 v[147:148], v[117:118], v[186:187]
	v_mul_f64 v[129:130], v[115:116], v[186:187]
	s_waitcnt vmcnt(41)
	v_fma_f64 v[143:144], v[1:2], v[153:154], -v[143:144]
	v_fma_f64 v[135:136], v[3:4], v[153:154], v[135:136]
	ds_read_b128 v[1:4], v167 offset:1568
	v_add_f64 v[119:120], v[119:120], v[145:146]
	v_add_f64 v[121:122], v[121:122], v[141:142]
	s_waitcnt vmcnt(37) lgkmcnt(1)
	v_mul_f64 v[145:146], v[7:8], v[155:156]
	s_waitcnt vmcnt(36)
	v_fma_f64 v[147:148], v[115:116], v[190:191], -v[147:148]
	v_mul_f64 v[141:142], v[5:6], v[155:156]
	v_fma_f64 v[129:130], v[117:118], v[190:191], v[129:130]
	ds_read_b128 v[115:118], v167 offset:1584
	v_add_f64 v[119:120], v[119:120], v[143:144]
	v_add_f64 v[121:122], v[121:122], v[135:136]
	s_waitcnt vmcnt(35) lgkmcnt(1)
	v_mul_f64 v[143:144], v[3:4], v[172:173]
	v_mul_f64 v[135:136], v[1:2], v[172:173]
	s_waitcnt vmcnt(33)
	v_fma_f64 v[145:146], v[5:6], v[161:162], -v[145:146]
	v_fma_f64 v[141:142], v[7:8], v[161:162], v[141:142]
	ds_read_b128 v[5:8], v167 offset:1600
	v_add_f64 v[119:120], v[119:120], v[147:148]
	v_add_f64 v[121:122], v[121:122], v[129:130]
	s_waitcnt vmcnt(29) lgkmcnt(1)
	v_mul_f64 v[147:148], v[117:118], v[178:179]
	s_waitcnt vmcnt(28)
	v_fma_f64 v[143:144], v[1:2], v[195:196], -v[143:144]
	v_mul_f64 v[129:130], v[115:116], v[178:179]
	v_fma_f64 v[135:136], v[3:4], v[195:196], v[135:136]
	ds_read_b128 v[1:4], v167 offset:1616
	v_add_f64 v[119:120], v[119:120], v[145:146]
	v_add_f64 v[121:122], v[121:122], v[141:142]
	s_waitcnt vmcnt(27) lgkmcnt(1)
	v_mul_f64 v[145:146], v[7:8], v[188:189]
	v_mul_f64 v[141:142], v[5:6], v[188:189]
	s_waitcnt vmcnt(25)
	v_fma_f64 v[147:148], v[115:116], v[125:126], -v[147:148]
	v_fma_f64 v[125:126], v[117:118], v[125:126], v[129:130]
	ds_read_b128 v[115:118], v167 offset:1632
	v_add_f64 v[119:120], v[119:120], v[143:144]
	v_add_f64 v[121:122], v[121:122], v[135:136]
	s_waitcnt vmcnt(21) lgkmcnt(1)
	v_mul_f64 v[129:130], v[1:2], v[131:132]
	v_mul_f64 v[131:132], v[3:4], v[131:132]
	s_waitcnt vmcnt(20)
	v_fma_f64 v[135:136], v[5:6], v[192:193], -v[145:146]
	;; [unrolled: 9-line block ×3, first 2 shown]
	v_fma_f64 v[127:128], v[3:4], v[127:128], v[129:130]
	ds_read_b128 v[1:4], v167 offset:1664
	v_add_f64 v[119:120], v[119:120], v[135:136]
	v_add_f64 v[121:122], v[121:122], v[141:142]
	s_waitcnt vmcnt(13) lgkmcnt(1)
	v_mul_f64 v[135:136], v[7:8], v[168:169]
	s_waitcnt vmcnt(12)
	v_fma_f64 v[141:142], v[115:116], v[197:198], -v[143:144]
	v_mul_f64 v[129:130], v[5:6], v[168:169]
	v_fma_f64 v[125:126], v[117:118], v[197:198], v[125:126]
	ds_read_b128 v[115:118], v167 offset:1680
	v_add_f64 v[119:120], v[119:120], v[131:132]
	v_add_f64 v[121:122], v[121:122], v[127:128]
	s_waitcnt vmcnt(11) lgkmcnt(1)
	v_mul_f64 v[131:132], v[3:4], v[170:171]
	v_mul_f64 v[127:128], v[1:2], v[170:171]
	s_waitcnt vmcnt(9)
	v_fma_f64 v[5:6], v[5:6], v[133:134], -v[135:136]
	v_fma_f64 v[7:8], v[7:8], v[133:134], v[129:130]
	v_add_f64 v[119:120], v[119:120], v[141:142]
	v_add_f64 v[121:122], v[121:122], v[125:126]
	s_waitcnt vmcnt(7) lgkmcnt(0)
	v_mul_f64 v[125:126], v[115:116], v[123:124]
	v_mul_f64 v[123:124], v[117:118], v[123:124]
	s_waitcnt vmcnt(6)
	v_fma_f64 v[1:2], v[1:2], v[184:185], -v[131:132]
	v_fma_f64 v[3:4], v[3:4], v[184:185], v[127:128]
	v_add_f64 v[5:6], v[119:120], v[5:6]
	v_add_f64 v[7:8], v[121:122], v[7:8]
	s_waitcnt vmcnt(4)
	v_fma_f64 v[115:116], v[115:116], v[139:140], -v[123:124]
	v_add_f64 v[1:2], v[5:6], v[1:2]
	v_fma_f64 v[5:6], v[117:118], v[139:140], v[125:126]
	v_add_f64 v[3:4], v[7:8], v[3:4]
	v_add_f64 v[1:2], v[1:2], v[115:116]
	;; [unrolled: 1-line block ×3, first 2 shown]
	s_waitcnt vmcnt(2)
	v_add_f64 v[1:2], v[137:138], -v[1:2]
	s_waitcnt vmcnt(0)
	v_add_f64 v[3:4], v[149:150], -v[3:4]
	buffer_store_dword v2, off, s[0:3], 0 offset:180
	buffer_store_dword v1, off, s[0:3], 0 offset:176
	;; [unrolled: 1-line block ×4, first 2 shown]
	v_cmpx_lt_u32_e32 9, v0
	s_cbranch_execz .LBB116_313
; %bb.312:
	v_mov_b32_e32 v4, s56
	v_mov_b32_e32 v5, 0
	s_clause 0x3
	buffer_load_dword v1, v4, s[0:3], 0 offen
	buffer_load_dword v2, v4, s[0:3], 0 offen offset:4
	buffer_load_dword v3, v4, s[0:3], 0 offen offset:8
	;; [unrolled: 1-line block ×3, first 2 shown]
	buffer_store_dword v5, off, s[0:3], 0 offset:160
	buffer_store_dword v5, off, s[0:3], 0 offset:164
	;; [unrolled: 1-line block ×4, first 2 shown]
	s_waitcnt vmcnt(0)
	ds_write_b128 v175, v[1:4]
.LBB116_313:
	s_or_b32 exec_lo, exec_lo, s4
	s_waitcnt lgkmcnt(0)
	s_waitcnt_vscnt null, 0x0
	s_barrier
	buffer_gl0_inv
	s_clause 0x37
	buffer_load_dword v115, off, s[0:3], 0 offset:184
	buffer_load_dword v116, off, s[0:3], 0 offset:188
	;; [unrolled: 1-line block ×56, first 2 shown]
	v_mov_b32_e32 v167, 0
	s_mov_b32 s4, exec_lo
	ds_read_b128 v[168:171], v167 offset:1008
	s_clause 0x2
	buffer_load_dword v164, off, s[0:3], 0 offset:412
	buffer_load_dword v166, off, s[0:3], 0 offset:388
	;; [unrolled: 1-line block ×3, first 2 shown]
	ds_read_b128 v[176:179], v167 offset:1024
	s_clause 0x4
	buffer_load_dword v185, off, s[0:3], 0 offset:428
	buffer_load_dword v186, off, s[0:3], 0 offset:440
	;; [unrolled: 1-line block ×5, first 2 shown]
	ds_read_b128 v[180:183], v167 offset:1040
	s_clause 0x2
	buffer_load_dword v187, off, s[0:3], 0 offset:444
	buffer_load_dword v192, off, s[0:3], 0 offset:420
	;; [unrolled: 1-line block ×3, first 2 shown]
	s_waitcnt vmcnt(62) lgkmcnt(2)
	v_mul_f64 v[172:173], v[170:171], v[115:116]
	v_mul_f64 v[115:116], v[168:169], v[115:116]
	s_waitcnt lgkmcnt(1)
	v_mul_f64 v[189:190], v[178:179], v[5:6]
	s_waitcnt vmcnt(59) lgkmcnt(0)
	v_mul_f64 v[193:194], v[182:183], v[3:4]
	v_fma_f64 v[168:169], v[168:169], v[7:8], -v[172:173]
	v_mul_f64 v[172:173], v[176:177], v[5:6]
	v_fma_f64 v[115:116], v[170:171], v[7:8], v[115:116]
	s_waitcnt vmcnt(57)
	v_fma_f64 v[176:177], v[176:177], v[1:2], -v[189:190]
	ds_read_b128 v[5:8], v167 offset:1056
	v_mul_f64 v[170:171], v[180:181], v[3:4]
	s_waitcnt vmcnt(51)
	v_fma_f64 v[180:181], v[180:181], v[131:132], -v[193:194]
	v_add_f64 v[168:169], v[168:169], 0
	v_fma_f64 v[172:173], v[178:179], v[1:2], v[172:173]
	v_add_f64 v[115:116], v[115:116], 0
	s_clause 0x4
	buffer_load_dword v179, off, s[0:3], 0 offset:460
	buffer_load_dword v195, off, s[0:3], 0 offset:472
	;; [unrolled: 1-line block ×5, first 2 shown]
	s_waitcnt lgkmcnt(0)
	v_mul_f64 v[198:199], v[5:6], v[119:120]
	v_mul_f64 v[119:120], v[7:8], v[119:120]
	ds_read_b128 v[1:4], v167 offset:1072
	v_fma_f64 v[131:132], v[182:183], v[131:132], v[170:171]
	v_add_f64 v[176:177], v[168:169], v[176:177]
	v_add_f64 v[115:116], v[115:116], v[172:173]
	s_clause 0x2
	buffer_load_dword v196, off, s[0:3], 0 offset:476
	buffer_load_dword v173, off, s[0:3], 0 offset:452
	;; [unrolled: 1-line block ×3, first 2 shown]
	s_waitcnt vmcnt(58) lgkmcnt(0)
	v_mul_f64 v[182:183], v[1:2], v[123:124]
	v_mul_f64 v[123:124], v[3:4], v[123:124]
	s_waitcnt vmcnt(56)
	v_fma_f64 v[119:120], v[5:6], v[125:126], -v[119:120]
	ds_read_b128 v[168:171], v167 offset:1088
	v_fma_f64 v[125:126], v[7:8], v[125:126], v[198:199]
	v_add_f64 v[176:177], v[176:177], v[180:181]
	v_add_f64 v[115:116], v[115:116], v[131:132]
	s_clause 0x4
	buffer_load_dword v132, off, s[0:3], 0 offset:492
	buffer_load_dword v180, off, s[0:3], 0 offset:504
	;; [unrolled: 1-line block ×5, first 2 shown]
	ds_read_b128 v[5:8], v167 offset:1104
	s_waitcnt vmcnt(57) lgkmcnt(1)
	v_mul_f64 v[199:200], v[168:169], v[127:128]
	v_mul_f64 v[127:128], v[170:171], v[127:128]
	s_waitcnt vmcnt(56)
	v_fma_f64 v[123:124], v[1:2], v[117:118], -v[123:124]
	v_fma_f64 v[117:118], v[3:4], v[117:118], v[182:183]
	v_add_f64 v[119:120], v[176:177], v[119:120]
	v_add_f64 v[115:116], v[115:116], v[125:126]
	s_clause 0x2
	buffer_load_dword v181, off, s[0:3], 0 offset:508
	buffer_load_dword v126, off, s[0:3], 0 offset:484
	;; [unrolled: 1-line block ×3, first 2 shown]
	s_waitcnt vmcnt(58) lgkmcnt(0)
	v_mul_f64 v[176:177], v[5:6], v[133:134]
	v_mul_f64 v[133:134], v[7:8], v[133:134]
	s_waitcnt vmcnt(56)
	v_fma_f64 v[127:128], v[168:169], v[135:136], -v[127:128]
	ds_read_b128 v[1:4], v167 offset:1120
	v_add_f64 v[119:120], v[119:120], v[123:124]
	v_fma_f64 v[123:124], v[170:171], v[135:136], v[199:200]
	v_add_f64 v[135:136], v[115:116], v[117:118]
	s_clause 0x4
	buffer_load_dword v169, off, s[0:3], 0 offset:524
	buffer_load_dword v170, off, s[0:3], 0 offset:536
	;; [unrolled: 1-line block ×5, first 2 shown]
	ds_read_b128 v[115:118], v167 offset:1136
	s_waitcnt vmcnt(57) lgkmcnt(1)
	v_mul_f64 v[199:200], v[1:2], v[137:138]
	v_mul_f64 v[137:138], v[3:4], v[137:138]
	s_waitcnt vmcnt(56)
	v_fma_f64 v[133:134], v[5:6], v[121:122], -v[133:134]
	v_fma_f64 v[121:122], v[7:8], v[121:122], v[176:177]
	v_add_f64 v[119:120], v[119:120], v[127:128]
	s_clause 0x2
	buffer_load_dword v171, off, s[0:3], 0 offset:540
	buffer_load_dword v128, off, s[0:3], 0 offset:516
	;; [unrolled: 1-line block ×3, first 2 shown]
	v_add_f64 v[123:124], v[135:136], v[123:124]
	s_waitcnt vmcnt(58) lgkmcnt(0)
	v_mul_f64 v[135:136], v[115:116], v[141:142]
	v_mul_f64 v[141:142], v[117:118], v[141:142]
	ds_read_b128 v[5:8], v167 offset:1152
	s_waitcnt vmcnt(56)
	v_fma_f64 v[137:138], v[1:2], v[143:144], -v[137:138]
	v_add_f64 v[119:120], v[119:120], v[133:134]
	v_fma_f64 v[133:134], v[3:4], v[143:144], v[199:200]
	v_add_f64 v[121:122], v[123:124], v[121:122]
	s_clause 0x4
	buffer_load_dword v124, off, s[0:3], 0 offset:556
	buffer_load_dword v143, off, s[0:3], 0 offset:568
	;; [unrolled: 1-line block ×5, first 2 shown]
	s_waitcnt vmcnt(57) lgkmcnt(0)
	v_mul_f64 v[199:200], v[5:6], v[145:146]
	v_mul_f64 v[145:146], v[7:8], v[145:146]
	s_waitcnt vmcnt(56)
	v_fma_f64 v[141:142], v[115:116], v[129:130], -v[141:142]
	ds_read_b128 v[1:4], v167 offset:1168
	v_fma_f64 v[129:130], v[117:118], v[129:130], v[135:136]
	v_add_f64 v[119:120], v[119:120], v[137:138]
	v_add_f64 v[121:122], v[121:122], v[133:134]
	s_clause 0x2
	buffer_load_dword v144, off, s[0:3], 0 offset:572
	buffer_load_dword v134, off, s[0:3], 0 offset:548
	;; [unrolled: 1-line block ×3, first 2 shown]
	ds_read_b128 v[115:118], v167 offset:1184
	s_waitcnt vmcnt(58) lgkmcnt(1)
	v_mul_f64 v[137:138], v[3:4], v[149:150]
	s_waitcnt vmcnt(56)
	v_fma_f64 v[145:146], v[5:6], v[151:152], -v[145:146]
	v_mul_f64 v[135:136], v[1:2], v[149:150]
	v_add_f64 v[119:120], v[119:120], v[141:142]
	v_fma_f64 v[141:142], v[7:8], v[151:152], v[199:200]
	v_add_f64 v[121:122], v[121:122], v[129:130]
	s_clause 0x4
	buffer_load_dword v130, off, s[0:3], 0 offset:588
	buffer_load_dword v149, off, s[0:3], 0 offset:600
	;; [unrolled: 1-line block ×5, first 2 shown]
	s_waitcnt vmcnt(57) lgkmcnt(0)
	v_mul_f64 v[199:200], v[115:116], v[153:154]
	v_mul_f64 v[152:153], v[117:118], v[153:154]
	s_waitcnt vmcnt(56)
	v_fma_f64 v[137:138], v[1:2], v[139:140], -v[137:138]
	ds_read_b128 v[5:8], v167 offset:1200
	v_fma_f64 v[135:136], v[3:4], v[139:140], v[135:136]
	s_clause 0x2
	buffer_load_dword v150, off, s[0:3], 0 offset:604
	buffer_load_dword v140, off, s[0:3], 0 offset:580
	buffer_load_dword v139, off, s[0:3], 0 offset:576
	ds_read_b128 v[1:4], v167 offset:1216
	v_add_f64 v[119:120], v[119:120], v[145:146]
	v_add_f64 v[121:122], v[121:122], v[141:142]
	s_waitcnt vmcnt(58) lgkmcnt(1)
	v_mul_f64 v[145:146], v[7:8], v[157:158]
	s_waitcnt vmcnt(56)
	v_fma_f64 v[153:154], v[115:116], v[159:160], -v[152:153]
	v_mul_f64 v[141:142], v[5:6], v[157:158]
	v_add_f64 v[119:120], v[119:120], v[137:138]
	v_fma_f64 v[137:138], v[117:118], v[159:160], v[199:200]
	v_add_f64 v[121:122], v[121:122], v[135:136]
	s_clause 0x4
	buffer_load_dword v136, off, s[0:3], 0 offset:620
	buffer_load_dword v157, off, s[0:3], 0 offset:632
	;; [unrolled: 1-line block ×5, first 2 shown]
	s_waitcnt vmcnt(57) lgkmcnt(0)
	v_mul_f64 v[199:200], v[1:2], v[161:162]
	v_mul_f64 v[160:161], v[3:4], v[161:162]
	s_waitcnt vmcnt(56)
	v_fma_f64 v[145:146], v[5:6], v[147:148], -v[145:146]
	ds_read_b128 v[115:118], v167 offset:1232
	v_fma_f64 v[141:142], v[7:8], v[147:148], v[141:142]
	v_add_f64 v[119:120], v[119:120], v[153:154]
	v_add_f64 v[121:122], v[121:122], v[137:138]
	s_clause 0x2
	buffer_load_dword v158, off, s[0:3], 0 offset:636
	buffer_load_dword v138, off, s[0:3], 0 offset:612
	;; [unrolled: 1-line block ×3, first 2 shown]
	ds_read_b128 v[5:8], v167 offset:1248
	s_waitcnt vmcnt(58) lgkmcnt(1)
	v_mul_f64 v[153:154], v[117:118], v[163:164]
	s_waitcnt vmcnt(56)
	v_fma_f64 v[161:162], v[1:2], v[165:166], -v[160:161]
	v_mul_f64 v[147:148], v[115:116], v[163:164]
	v_add_f64 v[119:120], v[119:120], v[145:146]
	v_fma_f64 v[145:146], v[3:4], v[165:166], v[199:200]
	v_add_f64 v[121:122], v[121:122], v[141:142]
	s_clause 0x4
	buffer_load_dword v142, off, s[0:3], 0 offset:652
	buffer_load_dword v163, off, s[0:3], 0 offset:664
	;; [unrolled: 1-line block ×5, first 2 shown]
	s_waitcnt vmcnt(57) lgkmcnt(0)
	v_mul_f64 v[199:200], v[5:6], v[184:185]
	v_mul_f64 v[184:185], v[7:8], v[184:185]
	s_waitcnt vmcnt(56)
	v_fma_f64 v[153:154], v[115:116], v[155:156], -v[153:154]
	ds_read_b128 v[1:4], v167 offset:1264
	v_fma_f64 v[147:148], v[117:118], v[155:156], v[147:148]
	v_add_f64 v[119:120], v[119:120], v[161:162]
	v_add_f64 v[121:122], v[121:122], v[145:146]
	s_clause 0x2
	buffer_load_dword v164, off, s[0:3], 0 offset:668
	buffer_load_dword v146, off, s[0:3], 0 offset:644
	buffer_load_dword v145, off, s[0:3], 0 offset:640
	ds_read_b128 v[115:118], v167 offset:1280
	s_waitcnt vmcnt(58) lgkmcnt(1)
	v_mul_f64 v[161:162], v[3:4], v[186:187]
	s_waitcnt vmcnt(56)
	v_fma_f64 v[184:185], v[5:6], v[191:192], -v[184:185]
	v_mul_f64 v[155:156], v[1:2], v[186:187]
	v_add_f64 v[119:120], v[119:120], v[153:154]
	v_fma_f64 v[153:154], v[7:8], v[191:192], v[199:200]
	v_add_f64 v[121:122], v[121:122], v[147:148]
	s_clause 0x4
	buffer_load_dword v148, off, s[0:3], 0 offset:684
	buffer_load_dword v186, off, s[0:3], 0 offset:696
	;; [unrolled: 1-line block ×5, first 2 shown]
	ds_read_b128 v[5:8], v167 offset:1296
	s_waitcnt vmcnt(57) lgkmcnt(1)
	v_mul_f64 v[191:192], v[115:116], v[178:179]
	v_mul_f64 v[178:179], v[117:118], v[178:179]
	s_waitcnt vmcnt(56)
	v_fma_f64 v[161:162], v[1:2], v[188:189], -v[161:162]
	v_fma_f64 v[155:156], v[3:4], v[188:189], v[155:156]
	v_add_f64 v[119:120], v[119:120], v[184:185]
	v_add_f64 v[121:122], v[121:122], v[153:154]
	s_clause 0x2
	buffer_load_dword v187, off, s[0:3], 0 offset:700
	buffer_load_dword v154, off, s[0:3], 0 offset:676
	;; [unrolled: 1-line block ×3, first 2 shown]
	ds_read_b128 v[1:4], v167 offset:1312
	s_waitcnt vmcnt(58) lgkmcnt(1)
	v_mul_f64 v[188:189], v[7:8], v[195:196]
	v_mul_f64 v[184:185], v[5:6], v[195:196]
	s_waitcnt vmcnt(56)
	v_fma_f64 v[178:179], v[115:116], v[172:173], -v[178:179]
	v_add_f64 v[119:120], v[119:120], v[161:162]
	v_fma_f64 v[161:162], v[117:118], v[172:173], v[191:192]
	v_add_f64 v[121:122], v[121:122], v[155:156]
	s_clause 0x4
	buffer_load_dword v156, off, s[0:3], 0 offset:716
	buffer_load_dword v172, off, s[0:3], 0 offset:728
	buffer_load_dword v195, off, s[0:3], 0 offset:720
	buffer_load_dword v155, off, s[0:3], 0 offset:712
	buffer_load_dword v191, off, s[0:3], 0 offset:692
	ds_read_b128 v[115:118], v167 offset:1328
	s_waitcnt vmcnt(57) lgkmcnt(1)
	v_mul_f64 v[199:200], v[1:2], v[131:132]
	v_mul_f64 v[131:132], v[3:4], v[131:132]
	s_waitcnt vmcnt(56)
	v_fma_f64 v[188:189], v[5:6], v[197:198], -v[188:189]
	v_add_f64 v[119:120], v[119:120], v[178:179]
	v_fma_f64 v[178:179], v[7:8], v[197:198], v[184:185]
	v_add_f64 v[121:122], v[121:122], v[161:162]
	s_clause 0x2
	buffer_load_dword v173, off, s[0:3], 0 offset:732
	buffer_load_dword v162, off, s[0:3], 0 offset:708
	buffer_load_dword v161, off, s[0:3], 0 offset:704
	ds_read_b128 v[5:8], v167 offset:1344
	s_waitcnt vmcnt(58) lgkmcnt(1)
	v_mul_f64 v[184:185], v[115:116], v[180:181]
	v_mul_f64 v[180:181], v[117:118], v[180:181]
	s_waitcnt vmcnt(56)
	v_fma_f64 v[131:132], v[1:2], v[125:126], -v[131:132]
	v_fma_f64 v[125:126], v[3:4], v[125:126], v[199:200]
	v_add_f64 v[119:120], v[119:120], v[188:189]
	v_add_f64 v[121:122], v[121:122], v[178:179]
	s_clause 0x4
	buffer_load_dword v179, off, s[0:3], 0 offset:748
	buffer_load_dword v188, off, s[0:3], 0 offset:760
	buffer_load_dword v192, off, s[0:3], 0 offset:752
	buffer_load_dword v178, off, s[0:3], 0 offset:744
	buffer_load_dword v196, off, s[0:3], 0 offset:724
	ds_read_b128 v[1:4], v167 offset:1360
	s_waitcnt vmcnt(57) lgkmcnt(1)
	v_mul_f64 v[197:198], v[5:6], v[168:169]
	v_mul_f64 v[168:169], v[7:8], v[168:169]
	s_waitcnt vmcnt(56)
	v_fma_f64 v[180:181], v[115:116], v[193:194], -v[180:181]
	v_add_f64 v[119:120], v[119:120], v[131:132]
	v_fma_f64 v[131:132], v[117:118], v[193:194], v[184:185]
	v_add_f64 v[121:122], v[121:122], v[125:126]
	s_clause 0x2
	buffer_load_dword v189, off, s[0:3], 0 offset:764
	buffer_load_dword v126, off, s[0:3], 0 offset:740
	buffer_load_dword v125, off, s[0:3], 0 offset:736
	ds_read_b128 v[115:118], v167 offset:1376
	s_waitcnt vmcnt(58) lgkmcnt(1)
	v_mul_f64 v[184:185], v[1:2], v[170:171]
	v_mul_f64 v[170:171], v[3:4], v[170:171]
	s_waitcnt vmcnt(56)
	v_fma_f64 v[168:169], v[5:6], v[127:128], -v[168:169]
	v_fma_f64 v[127:128], v[7:8], v[127:128], v[197:198]
	v_add_f64 v[119:120], v[119:120], v[180:181]
	;; [unrolled: 28-line block ×3, first 2 shown]
	v_add_f64 v[121:122], v[121:122], v[168:169]
	s_clause 0x4
	buffer_load_dword v169, off, s[0:3], 0 offset:812
	buffer_load_dword v170, off, s[0:3], 0 offset:824
	;; [unrolled: 1-line block ×5, first 2 shown]
	ds_read_b128 v[115:118], v167 offset:1424
	s_waitcnt vmcnt(57) lgkmcnt(1)
	v_mul_f64 v[199:200], v[1:2], v[129:130]
	v_mul_f64 v[129:130], v[3:4], v[129:130]
	s_waitcnt vmcnt(56)
	v_fma_f64 v[143:144], v[5:6], v[176:177], -v[143:144]
	v_add_f64 v[119:120], v[119:120], v[123:124]
	v_fma_f64 v[123:124], v[7:8], v[176:177], v[182:183]
	v_add_f64 v[121:122], v[121:122], v[133:134]
	s_clause 0x2
	buffer_load_dword v171, off, s[0:3], 0 offset:828
	buffer_load_dword v134, off, s[0:3], 0 offset:804
	buffer_load_dword v133, off, s[0:3], 0 offset:800
	s_waitcnt vmcnt(58) lgkmcnt(0)
	v_mul_f64 v[176:177], v[115:116], v[149:150]
	v_mul_f64 v[149:150], v[117:118], v[149:150]
	ds_read_b128 v[5:8], v167 offset:1440
	s_waitcnt vmcnt(56)
	v_fma_f64 v[129:130], v[1:2], v[139:140], -v[129:130]
	v_fma_f64 v[139:140], v[3:4], v[139:140], v[199:200]
	v_add_f64 v[119:120], v[119:120], v[143:144]
	v_add_f64 v[121:122], v[121:122], v[123:124]
	s_clause 0x4
	buffer_load_dword v124, off, s[0:3], 0 offset:844
	buffer_load_dword v143, off, s[0:3], 0 offset:856
	;; [unrolled: 1-line block ×5, first 2 shown]
	ds_read_b128 v[1:4], v167 offset:1456
	s_waitcnt vmcnt(57) lgkmcnt(1)
	v_mul_f64 v[199:200], v[5:6], v[135:136]
	v_mul_f64 v[135:136], v[7:8], v[135:136]
	s_waitcnt vmcnt(56)
	v_fma_f64 v[149:150], v[115:116], v[151:152], -v[149:150]
	v_add_f64 v[119:120], v[119:120], v[129:130]
	v_fma_f64 v[129:130], v[117:118], v[151:152], v[176:177]
	v_add_f64 v[121:122], v[121:122], v[139:140]
	s_clause 0x2
	buffer_load_dword v144, off, s[0:3], 0 offset:860
	buffer_load_dword v140, off, s[0:3], 0 offset:836
	buffer_load_dword v139, off, s[0:3], 0 offset:832
	ds_read_b128 v[115:118], v167 offset:1472
	buffer_load_dword v183, off, s[0:3], 0 offset:852
	s_waitcnt vmcnt(59) lgkmcnt(1)
	v_mul_f64 v[151:152], v[1:2], v[157:158]
	v_mul_f64 v[157:158], v[3:4], v[157:158]
	s_waitcnt vmcnt(57)
	v_fma_f64 v[135:136], v[5:6], v[137:138], -v[135:136]
	v_fma_f64 v[137:138], v[7:8], v[137:138], v[199:200]
	ds_read_b128 v[5:8], v167 offset:1488
	v_add_f64 v[119:120], v[119:120], v[149:150]
	v_add_f64 v[121:122], v[121:122], v[129:130]
	s_waitcnt vmcnt(53) lgkmcnt(1)
	v_mul_f64 v[129:130], v[115:116], v[141:142]
	v_mul_f64 v[141:142], v[117:118], v[141:142]
	s_waitcnt vmcnt(52)
	v_fma_f64 v[149:150], v[1:2], v[159:160], -v[157:158]
	v_add_f64 v[119:120], v[119:120], v[135:136]
	v_fma_f64 v[135:136], v[3:4], v[159:160], v[151:152]
	v_add_f64 v[121:122], v[121:122], v[137:138]
	ds_read_b128 v[1:4], v167 offset:1504
	s_waitcnt vmcnt(51) lgkmcnt(1)
	v_mul_f64 v[151:152], v[7:8], v[163:164]
	v_mul_f64 v[137:138], v[5:6], v[163:164]
	s_waitcnt vmcnt(49)
	v_fma_f64 v[141:142], v[115:116], v[145:146], -v[141:142]
	v_fma_f64 v[129:130], v[117:118], v[145:146], v[129:130]
	v_add_f64 v[119:120], v[119:120], v[149:150]
	v_add_f64 v[121:122], v[121:122], v[135:136]
	s_clause 0x3
	buffer_load_dword v135, off, s[0:3], 0 offset:160
	buffer_load_dword v136, off, s[0:3], 0 offset:164
	;; [unrolled: 1-line block ×4, first 2 shown]
	ds_read_b128 v[115:118], v167 offset:1520
	s_waitcnt vmcnt(49) lgkmcnt(1)
	v_mul_f64 v[149:150], v[1:2], v[147:148]
	v_mul_f64 v[147:148], v[3:4], v[147:148]
	s_waitcnt vmcnt(48)
	v_fma_f64 v[151:152], v[5:6], v[165:166], -v[151:152]
	v_fma_f64 v[137:138], v[7:8], v[165:166], v[137:138]
	ds_read_b128 v[5:8], v167 offset:1536
	v_add_f64 v[119:120], v[119:120], v[141:142]
	v_add_f64 v[121:122], v[121:122], v[129:130]
	s_waitcnt vmcnt(47) lgkmcnt(1)
	v_mul_f64 v[141:142], v[117:118], v[186:187]
	v_mul_f64 v[129:130], v[115:116], v[186:187]
	s_waitcnt vmcnt(45)
	v_fma_f64 v[147:148], v[1:2], v[153:154], -v[147:148]
	v_fma_f64 v[149:150], v[3:4], v[153:154], v[149:150]
	ds_read_b128 v[1:4], v167 offset:1552
	v_add_f64 v[119:120], v[119:120], v[151:152]
	v_add_f64 v[121:122], v[121:122], v[137:138]
	s_waitcnt vmcnt(41) lgkmcnt(1)
	v_mul_f64 v[151:152], v[7:8], v[155:156]
	s_waitcnt vmcnt(40)
	v_fma_f64 v[141:142], v[115:116], v[190:191], -v[141:142]
	v_mul_f64 v[137:138], v[5:6], v[155:156]
	v_fma_f64 v[129:130], v[117:118], v[190:191], v[129:130]
	ds_read_b128 v[115:118], v167 offset:1568
	v_add_f64 v[119:120], v[119:120], v[147:148]
	v_add_f64 v[121:122], v[121:122], v[149:150]
	s_waitcnt vmcnt(39) lgkmcnt(1)
	v_mul_f64 v[149:150], v[3:4], v[172:173]
	v_mul_f64 v[147:148], v[1:2], v[172:173]
	s_waitcnt vmcnt(37)
	v_fma_f64 v[151:152], v[5:6], v[161:162], -v[151:152]
	v_fma_f64 v[137:138], v[7:8], v[161:162], v[137:138]
	ds_read_b128 v[5:8], v167 offset:1584
	v_add_f64 v[119:120], v[119:120], v[141:142]
	v_add_f64 v[121:122], v[121:122], v[129:130]
	s_waitcnt vmcnt(33) lgkmcnt(1)
	v_mul_f64 v[141:142], v[117:118], v[178:179]
	s_waitcnt vmcnt(32)
	v_fma_f64 v[149:150], v[1:2], v[195:196], -v[149:150]
	v_mul_f64 v[129:130], v[115:116], v[178:179]
	v_fma_f64 v[147:148], v[3:4], v[195:196], v[147:148]
	ds_read_b128 v[1:4], v167 offset:1600
	v_add_f64 v[119:120], v[119:120], v[151:152]
	v_add_f64 v[121:122], v[121:122], v[137:138]
	s_waitcnt vmcnt(31) lgkmcnt(1)
	v_mul_f64 v[151:152], v[7:8], v[188:189]
	v_mul_f64 v[137:138], v[5:6], v[188:189]
	s_waitcnt vmcnt(29)
	v_fma_f64 v[141:142], v[115:116], v[125:126], -v[141:142]
	v_fma_f64 v[125:126], v[117:118], v[125:126], v[129:130]
	ds_read_b128 v[115:118], v167 offset:1616
	v_add_f64 v[119:120], v[119:120], v[149:150]
	v_add_f64 v[121:122], v[121:122], v[147:148]
	s_waitcnt vmcnt(25) lgkmcnt(1)
	v_mul_f64 v[129:130], v[1:2], v[131:132]
	v_mul_f64 v[131:132], v[3:4], v[131:132]
	s_waitcnt vmcnt(24)
	v_fma_f64 v[147:148], v[5:6], v[192:193], -v[151:152]
	;; [unrolled: 9-line block ×3, first 2 shown]
	v_fma_f64 v[127:128], v[3:4], v[127:128], v[129:130]
	ds_read_b128 v[1:4], v167 offset:1648
	v_add_f64 v[119:120], v[119:120], v[147:148]
	v_add_f64 v[121:122], v[121:122], v[137:138]
	s_waitcnt vmcnt(17) lgkmcnt(1)
	v_mul_f64 v[137:138], v[7:8], v[168:169]
	s_waitcnt vmcnt(16)
	v_fma_f64 v[141:142], v[115:116], v[197:198], -v[141:142]
	v_mul_f64 v[129:130], v[5:6], v[168:169]
	v_fma_f64 v[125:126], v[117:118], v[197:198], v[125:126]
	ds_read_b128 v[115:118], v167 offset:1664
	v_add_f64 v[119:120], v[119:120], v[131:132]
	v_add_f64 v[121:122], v[121:122], v[127:128]
	s_waitcnt vmcnt(15) lgkmcnt(1)
	v_mul_f64 v[131:132], v[3:4], v[170:171]
	v_mul_f64 v[127:128], v[1:2], v[170:171]
	s_waitcnt vmcnt(13)
	v_fma_f64 v[137:138], v[5:6], v[133:134], -v[137:138]
	v_fma_f64 v[129:130], v[7:8], v[133:134], v[129:130]
	ds_read_b128 v[5:8], v167 offset:1680
	v_add_f64 v[119:120], v[119:120], v[141:142]
	v_add_f64 v[121:122], v[121:122], v[125:126]
	s_waitcnt vmcnt(9) lgkmcnt(1)
	v_mul_f64 v[125:126], v[115:116], v[123:124]
	v_mul_f64 v[123:124], v[117:118], v[123:124]
	s_waitcnt vmcnt(8)
	v_fma_f64 v[1:2], v[1:2], v[184:185], -v[131:132]
	v_fma_f64 v[3:4], v[3:4], v[184:185], v[127:128]
	v_add_f64 v[119:120], v[119:120], v[137:138]
	v_add_f64 v[121:122], v[121:122], v[129:130]
	s_waitcnt vmcnt(7) lgkmcnt(0)
	v_mul_f64 v[129:130], v[7:8], v[143:144]
	v_mul_f64 v[127:128], v[5:6], v[143:144]
	s_waitcnt vmcnt(5)
	v_fma_f64 v[115:116], v[115:116], v[139:140], -v[123:124]
	v_fma_f64 v[117:118], v[117:118], v[139:140], v[125:126]
	v_add_f64 v[1:2], v[119:120], v[1:2]
	v_add_f64 v[3:4], v[121:122], v[3:4]
	s_waitcnt vmcnt(4)
	v_fma_f64 v[5:6], v[5:6], v[182:183], -v[129:130]
	v_fma_f64 v[7:8], v[7:8], v[182:183], v[127:128]
	v_add_f64 v[1:2], v[1:2], v[115:116]
	v_add_f64 v[3:4], v[3:4], v[117:118]
	;; [unrolled: 1-line block ×4, first 2 shown]
	s_waitcnt vmcnt(2)
	v_add_f64 v[1:2], v[135:136], -v[1:2]
	s_waitcnt vmcnt(0)
	v_add_f64 v[3:4], v[145:146], -v[3:4]
	buffer_store_dword v2, off, s[0:3], 0 offset:164
	buffer_store_dword v1, off, s[0:3], 0 offset:160
	;; [unrolled: 1-line block ×4, first 2 shown]
	v_cmpx_lt_u32_e32 8, v0
	s_cbranch_execz .LBB116_315
; %bb.314:
	v_mov_b32_e32 v4, s57
	s_clause 0x3
	buffer_load_dword v1, v4, s[0:3], 0 offen
	buffer_load_dword v2, v4, s[0:3], 0 offen offset:4
	buffer_load_dword v3, v4, s[0:3], 0 offen offset:8
	;; [unrolled: 1-line block ×3, first 2 shown]
	buffer_store_dword v167, off, s[0:3], 0 offset:144
	buffer_store_dword v167, off, s[0:3], 0 offset:148
	;; [unrolled: 1-line block ×4, first 2 shown]
	s_waitcnt vmcnt(0)
	ds_write_b128 v175, v[1:4]
.LBB116_315:
	s_or_b32 exec_lo, exec_lo, s4
	s_waitcnt lgkmcnt(0)
	s_waitcnt_vscnt null, 0x0
	s_barrier
	buffer_gl0_inv
	s_clause 0x37
	buffer_load_dword v115, off, s[0:3], 0 offset:168
	buffer_load_dword v116, off, s[0:3], 0 offset:172
	;; [unrolled: 1-line block ×56, first 2 shown]
	ds_read_b128 v[168:171], v167 offset:992
	s_clause 0x2
	buffer_load_dword v164, off, s[0:3], 0 offset:396
	buffer_load_dword v166, off, s[0:3], 0 offset:372
	;; [unrolled: 1-line block ×3, first 2 shown]
	ds_read_b128 v[176:179], v167 offset:1008
	s_clause 0x4
	buffer_load_dword v185, off, s[0:3], 0 offset:412
	buffer_load_dword v186, off, s[0:3], 0 offset:424
	;; [unrolled: 1-line block ×5, first 2 shown]
	ds_read_b128 v[180:183], v167 offset:1024
	s_clause 0x2
	buffer_load_dword v187, off, s[0:3], 0 offset:428
	buffer_load_dword v192, off, s[0:3], 0 offset:404
	;; [unrolled: 1-line block ×3, first 2 shown]
	s_mov_b32 s4, exec_lo
	s_waitcnt vmcnt(62) lgkmcnt(2)
	v_mul_f64 v[172:173], v[170:171], v[115:116]
	v_mul_f64 v[115:116], v[168:169], v[115:116]
	s_waitcnt lgkmcnt(1)
	v_mul_f64 v[189:190], v[178:179], v[5:6]
	s_waitcnt vmcnt(59) lgkmcnt(0)
	v_mul_f64 v[193:194], v[182:183], v[3:4]
	v_fma_f64 v[168:169], v[168:169], v[7:8], -v[172:173]
	v_mul_f64 v[172:173], v[176:177], v[5:6]
	v_fma_f64 v[115:116], v[170:171], v[7:8], v[115:116]
	s_waitcnt vmcnt(57)
	v_fma_f64 v[176:177], v[176:177], v[1:2], -v[189:190]
	ds_read_b128 v[5:8], v167 offset:1040
	v_mul_f64 v[170:171], v[180:181], v[3:4]
	s_waitcnt vmcnt(51)
	v_fma_f64 v[180:181], v[180:181], v[131:132], -v[193:194]
	v_add_f64 v[168:169], v[168:169], 0
	v_fma_f64 v[172:173], v[178:179], v[1:2], v[172:173]
	v_add_f64 v[115:116], v[115:116], 0
	s_clause 0x4
	buffer_load_dword v179, off, s[0:3], 0 offset:444
	buffer_load_dword v195, off, s[0:3], 0 offset:456
	;; [unrolled: 1-line block ×5, first 2 shown]
	s_waitcnt lgkmcnt(0)
	v_mul_f64 v[198:199], v[5:6], v[119:120]
	v_mul_f64 v[119:120], v[7:8], v[119:120]
	ds_read_b128 v[1:4], v167 offset:1056
	v_fma_f64 v[131:132], v[182:183], v[131:132], v[170:171]
	v_add_f64 v[176:177], v[168:169], v[176:177]
	v_add_f64 v[115:116], v[115:116], v[172:173]
	s_clause 0x2
	buffer_load_dword v196, off, s[0:3], 0 offset:460
	buffer_load_dword v173, off, s[0:3], 0 offset:436
	;; [unrolled: 1-line block ×3, first 2 shown]
	s_waitcnt vmcnt(58) lgkmcnt(0)
	v_mul_f64 v[182:183], v[1:2], v[123:124]
	v_mul_f64 v[123:124], v[3:4], v[123:124]
	s_waitcnt vmcnt(56)
	v_fma_f64 v[119:120], v[5:6], v[125:126], -v[119:120]
	ds_read_b128 v[168:171], v167 offset:1072
	v_fma_f64 v[125:126], v[7:8], v[125:126], v[198:199]
	v_add_f64 v[176:177], v[176:177], v[180:181]
	v_add_f64 v[115:116], v[115:116], v[131:132]
	s_clause 0x4
	buffer_load_dword v132, off, s[0:3], 0 offset:476
	buffer_load_dword v180, off, s[0:3], 0 offset:488
	;; [unrolled: 1-line block ×5, first 2 shown]
	ds_read_b128 v[5:8], v167 offset:1088
	s_waitcnt vmcnt(57) lgkmcnt(1)
	v_mul_f64 v[199:200], v[168:169], v[127:128]
	v_mul_f64 v[127:128], v[170:171], v[127:128]
	s_waitcnt vmcnt(56)
	v_fma_f64 v[123:124], v[1:2], v[117:118], -v[123:124]
	v_fma_f64 v[117:118], v[3:4], v[117:118], v[182:183]
	v_add_f64 v[119:120], v[176:177], v[119:120]
	v_add_f64 v[115:116], v[115:116], v[125:126]
	s_clause 0x2
	buffer_load_dword v181, off, s[0:3], 0 offset:492
	buffer_load_dword v126, off, s[0:3], 0 offset:468
	;; [unrolled: 1-line block ×3, first 2 shown]
	s_waitcnt vmcnt(58) lgkmcnt(0)
	v_mul_f64 v[176:177], v[5:6], v[133:134]
	v_mul_f64 v[133:134], v[7:8], v[133:134]
	s_waitcnt vmcnt(56)
	v_fma_f64 v[127:128], v[168:169], v[135:136], -v[127:128]
	ds_read_b128 v[1:4], v167 offset:1104
	v_add_f64 v[119:120], v[119:120], v[123:124]
	v_fma_f64 v[123:124], v[170:171], v[135:136], v[199:200]
	v_add_f64 v[135:136], v[115:116], v[117:118]
	s_clause 0x4
	buffer_load_dword v169, off, s[0:3], 0 offset:508
	buffer_load_dword v170, off, s[0:3], 0 offset:520
	;; [unrolled: 1-line block ×5, first 2 shown]
	ds_read_b128 v[115:118], v167 offset:1120
	s_waitcnt vmcnt(57) lgkmcnt(1)
	v_mul_f64 v[199:200], v[1:2], v[137:138]
	v_mul_f64 v[137:138], v[3:4], v[137:138]
	s_waitcnt vmcnt(56)
	v_fma_f64 v[133:134], v[5:6], v[121:122], -v[133:134]
	v_fma_f64 v[121:122], v[7:8], v[121:122], v[176:177]
	v_add_f64 v[119:120], v[119:120], v[127:128]
	s_clause 0x2
	buffer_load_dword v171, off, s[0:3], 0 offset:524
	buffer_load_dword v128, off, s[0:3], 0 offset:500
	;; [unrolled: 1-line block ×3, first 2 shown]
	v_add_f64 v[123:124], v[135:136], v[123:124]
	s_waitcnt vmcnt(58) lgkmcnt(0)
	v_mul_f64 v[135:136], v[115:116], v[141:142]
	v_mul_f64 v[141:142], v[117:118], v[141:142]
	ds_read_b128 v[5:8], v167 offset:1136
	s_waitcnt vmcnt(56)
	v_fma_f64 v[137:138], v[1:2], v[143:144], -v[137:138]
	v_add_f64 v[119:120], v[119:120], v[133:134]
	v_fma_f64 v[133:134], v[3:4], v[143:144], v[199:200]
	v_add_f64 v[121:122], v[123:124], v[121:122]
	s_clause 0x4
	buffer_load_dword v124, off, s[0:3], 0 offset:540
	buffer_load_dword v143, off, s[0:3], 0 offset:552
	;; [unrolled: 1-line block ×5, first 2 shown]
	s_waitcnt vmcnt(57) lgkmcnt(0)
	v_mul_f64 v[199:200], v[5:6], v[145:146]
	v_mul_f64 v[145:146], v[7:8], v[145:146]
	s_waitcnt vmcnt(56)
	v_fma_f64 v[141:142], v[115:116], v[129:130], -v[141:142]
	ds_read_b128 v[1:4], v167 offset:1152
	v_fma_f64 v[129:130], v[117:118], v[129:130], v[135:136]
	v_add_f64 v[119:120], v[119:120], v[137:138]
	v_add_f64 v[121:122], v[121:122], v[133:134]
	s_clause 0x2
	buffer_load_dword v144, off, s[0:3], 0 offset:556
	buffer_load_dword v134, off, s[0:3], 0 offset:532
	;; [unrolled: 1-line block ×3, first 2 shown]
	ds_read_b128 v[115:118], v167 offset:1168
	s_waitcnt vmcnt(58) lgkmcnt(1)
	v_mul_f64 v[137:138], v[3:4], v[149:150]
	s_waitcnt vmcnt(56)
	v_fma_f64 v[145:146], v[5:6], v[151:152], -v[145:146]
	v_mul_f64 v[135:136], v[1:2], v[149:150]
	v_add_f64 v[119:120], v[119:120], v[141:142]
	v_fma_f64 v[141:142], v[7:8], v[151:152], v[199:200]
	v_add_f64 v[121:122], v[121:122], v[129:130]
	s_clause 0x4
	buffer_load_dword v130, off, s[0:3], 0 offset:572
	buffer_load_dword v149, off, s[0:3], 0 offset:584
	buffer_load_dword v151, off, s[0:3], 0 offset:576
	buffer_load_dword v129, off, s[0:3], 0 offset:568
	buffer_load_dword v177, off, s[0:3], 0 offset:548
	s_waitcnt vmcnt(57) lgkmcnt(0)
	v_mul_f64 v[199:200], v[115:116], v[153:154]
	v_mul_f64 v[152:153], v[117:118], v[153:154]
	s_waitcnt vmcnt(56)
	v_fma_f64 v[137:138], v[1:2], v[139:140], -v[137:138]
	ds_read_b128 v[5:8], v167 offset:1184
	v_fma_f64 v[135:136], v[3:4], v[139:140], v[135:136]
	s_clause 0x2
	buffer_load_dword v150, off, s[0:3], 0 offset:588
	buffer_load_dword v140, off, s[0:3], 0 offset:564
	;; [unrolled: 1-line block ×3, first 2 shown]
	ds_read_b128 v[1:4], v167 offset:1200
	v_add_f64 v[119:120], v[119:120], v[145:146]
	v_add_f64 v[121:122], v[121:122], v[141:142]
	s_waitcnt vmcnt(58) lgkmcnt(1)
	v_mul_f64 v[145:146], v[7:8], v[157:158]
	s_waitcnt vmcnt(56)
	v_fma_f64 v[153:154], v[115:116], v[159:160], -v[152:153]
	v_mul_f64 v[141:142], v[5:6], v[157:158]
	v_add_f64 v[119:120], v[119:120], v[137:138]
	v_fma_f64 v[137:138], v[117:118], v[159:160], v[199:200]
	v_add_f64 v[121:122], v[121:122], v[135:136]
	s_clause 0x4
	buffer_load_dword v136, off, s[0:3], 0 offset:604
	buffer_load_dword v157, off, s[0:3], 0 offset:616
	;; [unrolled: 1-line block ×5, first 2 shown]
	s_waitcnt vmcnt(57) lgkmcnt(0)
	v_mul_f64 v[199:200], v[1:2], v[161:162]
	v_mul_f64 v[160:161], v[3:4], v[161:162]
	s_waitcnt vmcnt(56)
	v_fma_f64 v[145:146], v[5:6], v[147:148], -v[145:146]
	ds_read_b128 v[115:118], v167 offset:1216
	v_fma_f64 v[141:142], v[7:8], v[147:148], v[141:142]
	v_add_f64 v[119:120], v[119:120], v[153:154]
	v_add_f64 v[121:122], v[121:122], v[137:138]
	s_clause 0x2
	buffer_load_dword v158, off, s[0:3], 0 offset:620
	buffer_load_dword v138, off, s[0:3], 0 offset:596
	;; [unrolled: 1-line block ×3, first 2 shown]
	ds_read_b128 v[5:8], v167 offset:1232
	s_waitcnt vmcnt(58) lgkmcnt(1)
	v_mul_f64 v[153:154], v[117:118], v[163:164]
	s_waitcnt vmcnt(56)
	v_fma_f64 v[161:162], v[1:2], v[165:166], -v[160:161]
	v_mul_f64 v[147:148], v[115:116], v[163:164]
	v_add_f64 v[119:120], v[119:120], v[145:146]
	v_fma_f64 v[145:146], v[3:4], v[165:166], v[199:200]
	v_add_f64 v[121:122], v[121:122], v[141:142]
	s_clause 0x4
	buffer_load_dword v142, off, s[0:3], 0 offset:636
	buffer_load_dword v163, off, s[0:3], 0 offset:648
	buffer_load_dword v165, off, s[0:3], 0 offset:640
	buffer_load_dword v141, off, s[0:3], 0 offset:632
	buffer_load_dword v160, off, s[0:3], 0 offset:612
	s_waitcnt vmcnt(57) lgkmcnt(0)
	v_mul_f64 v[199:200], v[5:6], v[184:185]
	v_mul_f64 v[184:185], v[7:8], v[184:185]
	s_waitcnt vmcnt(56)
	v_fma_f64 v[153:154], v[115:116], v[155:156], -v[153:154]
	ds_read_b128 v[1:4], v167 offset:1248
	v_fma_f64 v[147:148], v[117:118], v[155:156], v[147:148]
	v_add_f64 v[119:120], v[119:120], v[161:162]
	v_add_f64 v[121:122], v[121:122], v[145:146]
	s_clause 0x2
	buffer_load_dword v164, off, s[0:3], 0 offset:652
	buffer_load_dword v146, off, s[0:3], 0 offset:628
	;; [unrolled: 1-line block ×3, first 2 shown]
	ds_read_b128 v[115:118], v167 offset:1264
	s_waitcnt vmcnt(58) lgkmcnt(1)
	v_mul_f64 v[161:162], v[3:4], v[186:187]
	s_waitcnt vmcnt(56)
	v_fma_f64 v[184:185], v[5:6], v[191:192], -v[184:185]
	v_mul_f64 v[155:156], v[1:2], v[186:187]
	v_add_f64 v[119:120], v[119:120], v[153:154]
	v_fma_f64 v[153:154], v[7:8], v[191:192], v[199:200]
	v_add_f64 v[121:122], v[121:122], v[147:148]
	s_clause 0x4
	buffer_load_dword v148, off, s[0:3], 0 offset:668
	buffer_load_dword v186, off, s[0:3], 0 offset:680
	;; [unrolled: 1-line block ×5, first 2 shown]
	ds_read_b128 v[5:8], v167 offset:1280
	s_waitcnt vmcnt(57) lgkmcnt(1)
	v_mul_f64 v[191:192], v[115:116], v[178:179]
	v_mul_f64 v[178:179], v[117:118], v[178:179]
	s_waitcnt vmcnt(56)
	v_fma_f64 v[161:162], v[1:2], v[188:189], -v[161:162]
	v_fma_f64 v[155:156], v[3:4], v[188:189], v[155:156]
	v_add_f64 v[119:120], v[119:120], v[184:185]
	v_add_f64 v[121:122], v[121:122], v[153:154]
	s_clause 0x2
	buffer_load_dword v187, off, s[0:3], 0 offset:684
	buffer_load_dword v154, off, s[0:3], 0 offset:660
	;; [unrolled: 1-line block ×3, first 2 shown]
	ds_read_b128 v[1:4], v167 offset:1296
	s_waitcnt vmcnt(58) lgkmcnt(1)
	v_mul_f64 v[188:189], v[7:8], v[195:196]
	v_mul_f64 v[184:185], v[5:6], v[195:196]
	s_waitcnt vmcnt(56)
	v_fma_f64 v[178:179], v[115:116], v[172:173], -v[178:179]
	v_add_f64 v[119:120], v[119:120], v[161:162]
	v_fma_f64 v[161:162], v[117:118], v[172:173], v[191:192]
	v_add_f64 v[121:122], v[121:122], v[155:156]
	s_clause 0x4
	buffer_load_dword v156, off, s[0:3], 0 offset:700
	buffer_load_dword v172, off, s[0:3], 0 offset:712
	buffer_load_dword v195, off, s[0:3], 0 offset:704
	buffer_load_dword v155, off, s[0:3], 0 offset:696
	buffer_load_dword v191, off, s[0:3], 0 offset:676
	ds_read_b128 v[115:118], v167 offset:1312
	s_waitcnt vmcnt(57) lgkmcnt(1)
	v_mul_f64 v[199:200], v[1:2], v[131:132]
	v_mul_f64 v[131:132], v[3:4], v[131:132]
	s_waitcnt vmcnt(56)
	v_fma_f64 v[188:189], v[5:6], v[197:198], -v[188:189]
	v_add_f64 v[119:120], v[119:120], v[178:179]
	v_fma_f64 v[178:179], v[7:8], v[197:198], v[184:185]
	v_add_f64 v[121:122], v[121:122], v[161:162]
	s_clause 0x2
	buffer_load_dword v173, off, s[0:3], 0 offset:716
	buffer_load_dword v162, off, s[0:3], 0 offset:692
	buffer_load_dword v161, off, s[0:3], 0 offset:688
	ds_read_b128 v[5:8], v167 offset:1328
	s_waitcnt vmcnt(58) lgkmcnt(1)
	v_mul_f64 v[184:185], v[115:116], v[180:181]
	v_mul_f64 v[180:181], v[117:118], v[180:181]
	s_waitcnt vmcnt(56)
	v_fma_f64 v[131:132], v[1:2], v[125:126], -v[131:132]
	v_fma_f64 v[125:126], v[3:4], v[125:126], v[199:200]
	v_add_f64 v[119:120], v[119:120], v[188:189]
	v_add_f64 v[121:122], v[121:122], v[178:179]
	s_clause 0x4
	buffer_load_dword v179, off, s[0:3], 0 offset:732
	buffer_load_dword v188, off, s[0:3], 0 offset:744
	buffer_load_dword v192, off, s[0:3], 0 offset:736
	buffer_load_dword v178, off, s[0:3], 0 offset:728
	buffer_load_dword v196, off, s[0:3], 0 offset:708
	ds_read_b128 v[1:4], v167 offset:1344
	s_waitcnt vmcnt(57) lgkmcnt(1)
	v_mul_f64 v[197:198], v[5:6], v[168:169]
	v_mul_f64 v[168:169], v[7:8], v[168:169]
	s_waitcnt vmcnt(56)
	v_fma_f64 v[180:181], v[115:116], v[193:194], -v[180:181]
	v_add_f64 v[119:120], v[119:120], v[131:132]
	v_fma_f64 v[131:132], v[117:118], v[193:194], v[184:185]
	v_add_f64 v[121:122], v[121:122], v[125:126]
	s_clause 0x2
	buffer_load_dword v189, off, s[0:3], 0 offset:748
	buffer_load_dword v126, off, s[0:3], 0 offset:724
	buffer_load_dword v125, off, s[0:3], 0 offset:720
	ds_read_b128 v[115:118], v167 offset:1360
	s_waitcnt vmcnt(58) lgkmcnt(1)
	v_mul_f64 v[184:185], v[1:2], v[170:171]
	v_mul_f64 v[170:171], v[3:4], v[170:171]
	s_waitcnt vmcnt(56)
	v_fma_f64 v[168:169], v[5:6], v[127:128], -v[168:169]
	v_fma_f64 v[127:128], v[7:8], v[127:128], v[197:198]
	v_add_f64 v[119:120], v[119:120], v[180:181]
	;; [unrolled: 28-line block ×3, first 2 shown]
	v_add_f64 v[121:122], v[121:122], v[168:169]
	s_clause 0x4
	buffer_load_dword v169, off, s[0:3], 0 offset:796
	buffer_load_dword v170, off, s[0:3], 0 offset:808
	buffer_load_dword v184, off, s[0:3], 0 offset:800
	buffer_load_dword v168, off, s[0:3], 0 offset:792
	buffer_load_dword v198, off, s[0:3], 0 offset:772
	ds_read_b128 v[115:118], v167 offset:1408
	s_waitcnt vmcnt(57) lgkmcnt(1)
	v_mul_f64 v[199:200], v[1:2], v[129:130]
	v_mul_f64 v[129:130], v[3:4], v[129:130]
	s_waitcnt vmcnt(56)
	v_fma_f64 v[143:144], v[5:6], v[176:177], -v[143:144]
	v_add_f64 v[119:120], v[119:120], v[123:124]
	v_fma_f64 v[123:124], v[7:8], v[176:177], v[182:183]
	v_add_f64 v[121:122], v[121:122], v[133:134]
	s_clause 0x2
	buffer_load_dword v171, off, s[0:3], 0 offset:812
	buffer_load_dword v134, off, s[0:3], 0 offset:788
	;; [unrolled: 1-line block ×3, first 2 shown]
	s_waitcnt vmcnt(58) lgkmcnt(0)
	v_mul_f64 v[176:177], v[115:116], v[149:150]
	v_mul_f64 v[149:150], v[117:118], v[149:150]
	ds_read_b128 v[5:8], v167 offset:1424
	s_waitcnt vmcnt(56)
	v_fma_f64 v[129:130], v[1:2], v[139:140], -v[129:130]
	v_fma_f64 v[139:140], v[3:4], v[139:140], v[199:200]
	v_add_f64 v[119:120], v[119:120], v[143:144]
	v_add_f64 v[121:122], v[121:122], v[123:124]
	s_clause 0x4
	buffer_load_dword v124, off, s[0:3], 0 offset:828
	buffer_load_dword v143, off, s[0:3], 0 offset:840
	;; [unrolled: 1-line block ×5, first 2 shown]
	ds_read_b128 v[1:4], v167 offset:1440
	s_waitcnt vmcnt(57) lgkmcnt(1)
	v_mul_f64 v[199:200], v[5:6], v[135:136]
	v_mul_f64 v[135:136], v[7:8], v[135:136]
	s_waitcnt vmcnt(56)
	v_fma_f64 v[149:150], v[115:116], v[151:152], -v[149:150]
	v_add_f64 v[119:120], v[119:120], v[129:130]
	v_fma_f64 v[129:130], v[117:118], v[151:152], v[176:177]
	v_add_f64 v[121:122], v[121:122], v[139:140]
	s_clause 0x2
	buffer_load_dword v144, off, s[0:3], 0 offset:844
	buffer_load_dword v140, off, s[0:3], 0 offset:820
	;; [unrolled: 1-line block ×3, first 2 shown]
	ds_read_b128 v[115:118], v167 offset:1456
	s_waitcnt vmcnt(58) lgkmcnt(1)
	v_mul_f64 v[151:152], v[1:2], v[157:158]
	v_mul_f64 v[157:158], v[3:4], v[157:158]
	s_waitcnt vmcnt(56)
	v_fma_f64 v[135:136], v[5:6], v[137:138], -v[135:136]
	v_fma_f64 v[137:138], v[7:8], v[137:138], v[199:200]
	v_add_f64 v[119:120], v[119:120], v[149:150]
	v_add_f64 v[121:122], v[121:122], v[129:130]
	s_clause 0x2
	buffer_load_dword v130, off, s[0:3], 0 offset:860
	buffer_load_dword v129, off, s[0:3], 0 offset:856
	;; [unrolled: 1-line block ×3, first 2 shown]
	ds_read_b128 v[5:8], v167 offset:1472
	s_waitcnt vmcnt(55) lgkmcnt(1)
	v_mul_f64 v[149:150], v[115:116], v[141:142]
	v_mul_f64 v[141:142], v[117:118], v[141:142]
	s_waitcnt vmcnt(54)
	v_fma_f64 v[157:158], v[1:2], v[159:160], -v[157:158]
	v_add_f64 v[119:120], v[119:120], v[135:136]
	v_fma_f64 v[135:136], v[3:4], v[159:160], v[151:152]
	v_add_f64 v[121:122], v[121:122], v[137:138]
	s_clause 0x1
	buffer_load_dword v138, off, s[0:3], 0 offset:852
	buffer_load_dword v137, off, s[0:3], 0 offset:848
	ds_read_b128 v[1:4], v167 offset:1488
	s_waitcnt vmcnt(55) lgkmcnt(1)
	v_mul_f64 v[159:160], v[7:8], v[163:164]
	v_mul_f64 v[151:152], v[5:6], v[163:164]
	s_waitcnt vmcnt(53)
	v_fma_f64 v[141:142], v[115:116], v[145:146], -v[141:142]
	v_fma_f64 v[145:146], v[117:118], v[145:146], v[149:150]
	ds_read_b128 v[115:118], v167 offset:1504
	v_add_f64 v[119:120], v[119:120], v[157:158]
	v_add_f64 v[121:122], v[121:122], v[135:136]
	s_waitcnt vmcnt(49) lgkmcnt(1)
	v_mul_f64 v[135:136], v[1:2], v[147:148]
	v_mul_f64 v[147:148], v[3:4], v[147:148]
	s_waitcnt vmcnt(48)
	v_fma_f64 v[149:150], v[5:6], v[165:166], -v[159:160]
	v_add_f64 v[119:120], v[119:120], v[141:142]
	v_fma_f64 v[141:142], v[7:8], v[165:166], v[151:152]
	v_add_f64 v[121:122], v[121:122], v[145:146]
	s_clause 0x3
	buffer_load_dword v145, off, s[0:3], 0 offset:144
	buffer_load_dword v146, off, s[0:3], 0 offset:148
	;; [unrolled: 1-line block ×4, first 2 shown]
	ds_read_b128 v[5:8], v167 offset:1520
	s_waitcnt vmcnt(51) lgkmcnt(1)
	v_mul_f64 v[159:160], v[117:118], v[186:187]
	v_mul_f64 v[157:158], v[115:116], v[186:187]
	s_waitcnt vmcnt(49)
	v_fma_f64 v[147:148], v[1:2], v[153:154], -v[147:148]
	v_fma_f64 v[135:136], v[3:4], v[153:154], v[135:136]
	ds_read_b128 v[1:4], v167 offset:1536
	v_add_f64 v[119:120], v[119:120], v[149:150]
	v_add_f64 v[121:122], v[121:122], v[141:142]
	s_waitcnt vmcnt(45) lgkmcnt(1)
	v_mul_f64 v[149:150], v[7:8], v[155:156]
	s_waitcnt vmcnt(44)
	v_fma_f64 v[153:154], v[115:116], v[190:191], -v[159:160]
	v_mul_f64 v[141:142], v[5:6], v[155:156]
	v_add_f64 v[119:120], v[119:120], v[147:148]
	v_fma_f64 v[147:148], v[117:118], v[190:191], v[157:158]
	v_add_f64 v[121:122], v[121:122], v[135:136]
	ds_read_b128 v[115:118], v167 offset:1552
	s_waitcnt vmcnt(43) lgkmcnt(1)
	v_mul_f64 v[155:156], v[3:4], v[172:173]
	v_mul_f64 v[135:136], v[1:2], v[172:173]
	s_waitcnt vmcnt(41)
	v_fma_f64 v[149:150], v[5:6], v[161:162], -v[149:150]
	v_fma_f64 v[141:142], v[7:8], v[161:162], v[141:142]
	ds_read_b128 v[5:8], v167 offset:1568
	v_add_f64 v[119:120], v[119:120], v[153:154]
	v_add_f64 v[121:122], v[121:122], v[147:148]
	s_waitcnt vmcnt(37) lgkmcnt(1)
	v_mul_f64 v[153:154], v[117:118], v[178:179]
	s_waitcnt vmcnt(36)
	v_fma_f64 v[155:156], v[1:2], v[195:196], -v[155:156]
	v_mul_f64 v[147:148], v[115:116], v[178:179]
	v_fma_f64 v[135:136], v[3:4], v[195:196], v[135:136]
	ds_read_b128 v[1:4], v167 offset:1584
	v_add_f64 v[119:120], v[119:120], v[149:150]
	v_add_f64 v[121:122], v[121:122], v[141:142]
	s_waitcnt vmcnt(35) lgkmcnt(1)
	v_mul_f64 v[149:150], v[7:8], v[188:189]
	v_mul_f64 v[141:142], v[5:6], v[188:189]
	s_waitcnt vmcnt(33)
	v_fma_f64 v[153:154], v[115:116], v[125:126], -v[153:154]
	v_fma_f64 v[125:126], v[117:118], v[125:126], v[147:148]
	ds_read_b128 v[115:118], v167 offset:1600
	v_add_f64 v[119:120], v[119:120], v[155:156]
	v_add_f64 v[121:122], v[121:122], v[135:136]
	s_waitcnt vmcnt(29) lgkmcnt(1)
	v_mul_f64 v[135:136], v[1:2], v[131:132]
	v_mul_f64 v[131:132], v[3:4], v[131:132]
	s_waitcnt vmcnt(28)
	v_fma_f64 v[147:148], v[5:6], v[192:193], -v[149:150]
	;; [unrolled: 9-line block ×3, first 2 shown]
	v_fma_f64 v[127:128], v[3:4], v[127:128], v[135:136]
	ds_read_b128 v[1:4], v167 offset:1632
	v_add_f64 v[119:120], v[119:120], v[147:148]
	v_add_f64 v[121:122], v[121:122], v[141:142]
	s_waitcnt vmcnt(21) lgkmcnt(1)
	v_mul_f64 v[141:142], v[7:8], v[168:169]
	s_waitcnt vmcnt(20)
	v_fma_f64 v[147:148], v[115:116], v[197:198], -v[149:150]
	v_mul_f64 v[135:136], v[5:6], v[168:169]
	v_fma_f64 v[125:126], v[117:118], v[197:198], v[125:126]
	ds_read_b128 v[115:118], v167 offset:1648
	v_add_f64 v[119:120], v[119:120], v[131:132]
	v_add_f64 v[121:122], v[121:122], v[127:128]
	s_waitcnt vmcnt(19) lgkmcnt(1)
	v_mul_f64 v[131:132], v[3:4], v[170:171]
	v_mul_f64 v[127:128], v[1:2], v[170:171]
	s_waitcnt vmcnt(17)
	v_fma_f64 v[141:142], v[5:6], v[133:134], -v[141:142]
	v_fma_f64 v[133:134], v[7:8], v[133:134], v[135:136]
	ds_read_b128 v[5:8], v167 offset:1664
	v_add_f64 v[119:120], v[119:120], v[147:148]
	v_add_f64 v[121:122], v[121:122], v[125:126]
	s_waitcnt vmcnt(13) lgkmcnt(1)
	v_mul_f64 v[125:126], v[115:116], v[123:124]
	v_mul_f64 v[123:124], v[117:118], v[123:124]
	s_waitcnt vmcnt(12)
	v_fma_f64 v[131:132], v[1:2], v[184:185], -v[131:132]
	;; [unrolled: 9-line block ×3, first 2 shown]
	v_fma_f64 v[117:118], v[117:118], v[139:140], v[125:126]
	v_add_f64 v[119:120], v[119:120], v[131:132]
	v_add_f64 v[121:122], v[121:122], v[127:128]
	s_waitcnt vmcnt(7) lgkmcnt(0)
	v_mul_f64 v[125:126], v[3:4], v[129:130]
	s_waitcnt vmcnt(6)
	v_fma_f64 v[5:6], v[5:6], v[182:183], -v[135:136]
	v_mul_f64 v[123:124], v[1:2], v[129:130]
	v_fma_f64 v[7:8], v[7:8], v[182:183], v[133:134]
	v_add_f64 v[115:116], v[119:120], v[115:116]
	v_add_f64 v[117:118], v[121:122], v[117:118]
	s_waitcnt vmcnt(4)
	v_fma_f64 v[1:2], v[1:2], v[137:138], -v[125:126]
	v_fma_f64 v[3:4], v[3:4], v[137:138], v[123:124]
	v_add_f64 v[5:6], v[115:116], v[5:6]
	v_add_f64 v[7:8], v[117:118], v[7:8]
	;; [unrolled: 1-line block ×4, first 2 shown]
	s_waitcnt vmcnt(2)
	v_add_f64 v[1:2], v[145:146], -v[1:2]
	s_waitcnt vmcnt(0)
	v_add_f64 v[3:4], v[151:152], -v[3:4]
	buffer_store_dword v2, off, s[0:3], 0 offset:148
	buffer_store_dword v1, off, s[0:3], 0 offset:144
	buffer_store_dword v4, off, s[0:3], 0 offset:156
	buffer_store_dword v3, off, s[0:3], 0 offset:152
	v_cmpx_lt_u32_e32 7, v0
	s_cbranch_execz .LBB116_317
; %bb.316:
	v_mov_b32_e32 v4, s58
	v_mov_b32_e32 v5, 0
	s_clause 0x3
	buffer_load_dword v1, v4, s[0:3], 0 offen
	buffer_load_dword v2, v4, s[0:3], 0 offen offset:4
	buffer_load_dword v3, v4, s[0:3], 0 offen offset:8
	;; [unrolled: 1-line block ×3, first 2 shown]
	buffer_store_dword v5, off, s[0:3], 0 offset:128
	buffer_store_dword v5, off, s[0:3], 0 offset:132
	;; [unrolled: 1-line block ×4, first 2 shown]
	s_waitcnt vmcnt(0)
	ds_write_b128 v175, v[1:4]
.LBB116_317:
	s_or_b32 exec_lo, exec_lo, s4
	s_waitcnt lgkmcnt(0)
	s_waitcnt_vscnt null, 0x0
	s_barrier
	buffer_gl0_inv
	s_clause 0x37
	buffer_load_dword v119, off, s[0:3], 0 offset:152
	buffer_load_dword v120, off, s[0:3], 0 offset:156
	;; [unrolled: 1-line block ×56, first 2 shown]
	v_mov_b32_e32 v176, 0
	s_mov_b32 s4, exec_lo
	ds_read_b128 v[171:174], v176 offset:976
	s_clause 0x2
	buffer_load_dword v168, off, s[0:3], 0 offset:380
	buffer_load_dword v170, off, s[0:3], 0 offset:356
	;; [unrolled: 1-line block ×3, first 2 shown]
	ds_read_b128 v[1:4], v176 offset:992
	s_clause 0x4
	buffer_load_dword v184, off, s[0:3], 0 offset:396
	buffer_load_dword v185, off, s[0:3], 0 offset:408
	buffer_load_dword v187, off, s[0:3], 0 offset:400
	buffer_load_dword v183, off, s[0:3], 0 offset:392
	buffer_load_dword v160, off, s[0:3], 0 offset:372
	ds_read_b128 v[177:180], v176 offset:1008
	s_waitcnt vmcnt(62) lgkmcnt(2)
	v_mul_f64 v[181:182], v[173:174], v[119:120]
	v_mul_f64 v[119:120], v[171:172], v[119:120]
	s_waitcnt vmcnt(60) lgkmcnt(1)
	v_mul_f64 v[188:189], v[3:4], v[115:116]
	s_waitcnt vmcnt(56) lgkmcnt(0)
	v_mul_f64 v[190:191], v[177:178], v[7:8]
	v_mul_f64 v[7:8], v[179:180], v[7:8]
	v_fma_f64 v[171:172], v[171:172], v[117:118], -v[181:182]
	v_mul_f64 v[181:182], v[1:2], v[115:116]
	v_fma_f64 v[119:120], v[173:174], v[117:118], v[119:120]
	s_clause 0x2
	buffer_load_dword v186, off, s[0:3], 0 offset:412
	buffer_load_dword v174, off, s[0:3], 0 offset:388
	;; [unrolled: 1-line block ×3, first 2 shown]
	s_waitcnt vmcnt(57)
	v_fma_f64 v[192:193], v[1:2], v[5:6], -v[188:189]
	ds_read_b128 v[115:118], v176 offset:1024
	s_waitcnt vmcnt(51)
	v_fma_f64 v[177:178], v[177:178], v[135:136], -v[7:8]
	v_fma_f64 v[135:136], v[179:180], v[135:136], v[190:191]
	v_add_f64 v[171:172], v[171:172], 0
	v_fma_f64 v[5:6], v[3:4], v[5:6], v[181:182]
	v_add_f64 v[119:120], v[119:120], 0
	s_clause 0x4
	buffer_load_dword v182, off, s[0:3], 0 offset:428
	buffer_load_dword v189, off, s[0:3], 0 offset:440
	;; [unrolled: 1-line block ×5, first 2 shown]
	s_waitcnt lgkmcnt(0)
	v_mul_f64 v[195:196], v[115:116], v[123:124]
	v_mul_f64 v[123:124], v[117:118], v[123:124]
	ds_read_b128 v[1:4], v176 offset:1040
	s_clause 0x2
	buffer_load_dword v190, off, s[0:3], 0 offset:444
	buffer_load_dword v180, off, s[0:3], 0 offset:420
	;; [unrolled: 1-line block ×3, first 2 shown]
	v_add_f64 v[171:172], v[171:172], v[192:193]
	v_add_f64 v[119:120], v[119:120], v[5:6]
	ds_read_b128 v[5:8], v176 offset:1056
	s_waitcnt vmcnt(58) lgkmcnt(1)
	v_mul_f64 v[191:192], v[1:2], v[127:128]
	v_mul_f64 v[127:128], v[3:4], v[127:128]
	s_waitcnt vmcnt(56)
	v_fma_f64 v[123:124], v[115:116], v[129:130], -v[123:124]
	v_fma_f64 v[129:130], v[117:118], v[129:130], v[195:196]
	v_add_f64 v[171:172], v[171:172], v[177:178]
	s_waitcnt vmcnt(52) lgkmcnt(0)
	v_mul_f64 v[197:198], v[5:6], v[131:132]
	v_add_f64 v[119:120], v[119:120], v[135:136]
	s_clause 0x4
	buffer_load_dword v136, off, s[0:3], 0 offset:460
	buffer_load_dword v177, off, s[0:3], 0 offset:472
	;; [unrolled: 1-line block ×5, first 2 shown]
	v_mul_f64 v[131:132], v[7:8], v[131:132]
	s_waitcnt vmcnt(56)
	v_fma_f64 v[127:128], v[1:2], v[121:122], -v[127:128]
	ds_read_b128 v[115:118], v176 offset:1072
	v_fma_f64 v[121:122], v[3:4], v[121:122], v[191:192]
	v_add_f64 v[123:124], v[171:172], v[123:124]
	v_add_f64 v[119:120], v[119:120], v[129:130]
	s_clause 0x2
	buffer_load_dword v178, off, s[0:3], 0 offset:476
	buffer_load_dword v130, off, s[0:3], 0 offset:452
	;; [unrolled: 1-line block ×3, first 2 shown]
	s_waitcnt vmcnt(58) lgkmcnt(0)
	v_mul_f64 v[171:172], v[115:116], v[137:138]
	v_mul_f64 v[137:138], v[117:118], v[137:138]
	s_waitcnt vmcnt(56)
	v_fma_f64 v[131:132], v[5:6], v[139:140], -v[131:132]
	ds_read_b128 v[1:4], v176 offset:1088
	v_add_f64 v[123:124], v[123:124], v[127:128]
	v_fma_f64 v[127:128], v[7:8], v[139:140], v[197:198]
	v_add_f64 v[119:120], v[119:120], v[121:122]
	s_clause 0x4
	buffer_load_dword v122, off, s[0:3], 0 offset:492
	buffer_load_dword v139, off, s[0:3], 0 offset:504
	;; [unrolled: 1-line block ×5, first 2 shown]
	ds_read_b128 v[5:8], v176 offset:1104
	s_waitcnt vmcnt(57) lgkmcnt(1)
	v_mul_f64 v[192:193], v[1:2], v[141:142]
	v_mul_f64 v[141:142], v[3:4], v[141:142]
	s_waitcnt vmcnt(56)
	v_fma_f64 v[137:138], v[115:116], v[125:126], -v[137:138]
	v_fma_f64 v[125:126], v[117:118], v[125:126], v[171:172]
	v_add_f64 v[123:124], v[123:124], v[131:132]
	v_add_f64 v[119:120], v[119:120], v[127:128]
	s_clause 0x2
	buffer_load_dword v140, off, s[0:3], 0 offset:508
	buffer_load_dword v128, off, s[0:3], 0 offset:484
	;; [unrolled: 1-line block ×3, first 2 shown]
	s_waitcnt vmcnt(58) lgkmcnt(0)
	v_mul_f64 v[131:132], v[5:6], v[145:146]
	v_mul_f64 v[145:146], v[7:8], v[145:146]
	s_waitcnt vmcnt(56)
	v_fma_f64 v[141:142], v[1:2], v[147:148], -v[141:142]
	ds_read_b128 v[115:118], v176 offset:1120
	v_add_f64 v[123:124], v[123:124], v[137:138]
	v_fma_f64 v[137:138], v[3:4], v[147:148], v[192:193]
	v_add_f64 v[119:120], v[119:120], v[125:126]
	s_clause 0x4
	buffer_load_dword v126, off, s[0:3], 0 offset:524
	buffer_load_dword v147, off, s[0:3], 0 offset:536
	;; [unrolled: 1-line block ×5, first 2 shown]
	ds_read_b128 v[1:4], v176 offset:1136
	s_waitcnt vmcnt(57) lgkmcnt(1)
	v_mul_f64 v[198:199], v[115:116], v[149:150]
	v_mul_f64 v[149:150], v[117:118], v[149:150]
	s_waitcnt vmcnt(56)
	v_fma_f64 v[145:146], v[5:6], v[133:134], -v[145:146]
	v_fma_f64 v[131:132], v[7:8], v[133:134], v[131:132]
	s_clause 0x2
	buffer_load_dword v148, off, s[0:3], 0 offset:540
	buffer_load_dword v134, off, s[0:3], 0 offset:516
	;; [unrolled: 1-line block ×3, first 2 shown]
	ds_read_b128 v[5:8], v176 offset:1152
	v_add_f64 v[123:124], v[123:124], v[141:142]
	v_add_f64 v[119:120], v[119:120], v[137:138]
	s_waitcnt vmcnt(58) lgkmcnt(1)
	v_mul_f64 v[141:142], v[3:4], v[153:154]
	v_mul_f64 v[137:138], v[1:2], v[153:154]
	s_waitcnt vmcnt(56)
	v_fma_f64 v[149:150], v[115:116], v[155:156], -v[149:150]
	v_add_f64 v[123:124], v[123:124], v[145:146]
	v_fma_f64 v[145:146], v[117:118], v[155:156], v[198:199]
	v_add_f64 v[119:120], v[119:120], v[131:132]
	s_clause 0x4
	buffer_load_dword v132, off, s[0:3], 0 offset:556
	buffer_load_dword v153, off, s[0:3], 0 offset:568
	;; [unrolled: 1-line block ×5, first 2 shown]
	s_waitcnt vmcnt(57) lgkmcnt(0)
	v_mul_f64 v[198:199], v[5:6], v[157:158]
	v_mul_f64 v[156:157], v[7:8], v[157:158]
	s_waitcnt vmcnt(56)
	v_fma_f64 v[141:142], v[1:2], v[143:144], -v[141:142]
	ds_read_b128 v[115:118], v176 offset:1168
	v_fma_f64 v[137:138], v[3:4], v[143:144], v[137:138]
	s_clause 0x2
	buffer_load_dword v154, off, s[0:3], 0 offset:572
	buffer_load_dword v144, off, s[0:3], 0 offset:548
	;; [unrolled: 1-line block ×3, first 2 shown]
	ds_read_b128 v[1:4], v176 offset:1184
	v_add_f64 v[123:124], v[123:124], v[149:150]
	v_add_f64 v[119:120], v[119:120], v[145:146]
	s_waitcnt vmcnt(58) lgkmcnt(1)
	v_mul_f64 v[149:150], v[117:118], v[161:162]
	s_waitcnt vmcnt(56)
	v_fma_f64 v[157:158], v[5:6], v[163:164], -v[156:157]
	v_mul_f64 v[145:146], v[115:116], v[161:162]
	v_add_f64 v[123:124], v[123:124], v[141:142]
	v_fma_f64 v[141:142], v[7:8], v[163:164], v[198:199]
	v_add_f64 v[119:120], v[119:120], v[137:138]
	s_clause 0x4
	buffer_load_dword v138, off, s[0:3], 0 offset:588
	buffer_load_dword v161, off, s[0:3], 0 offset:600
	buffer_load_dword v163, off, s[0:3], 0 offset:592
	buffer_load_dword v137, off, s[0:3], 0 offset:584
	buffer_load_dword v156, off, s[0:3], 0 offset:564
	s_waitcnt vmcnt(57) lgkmcnt(0)
	v_mul_f64 v[198:199], v[1:2], v[165:166]
	v_mul_f64 v[164:165], v[3:4], v[165:166]
	s_waitcnt vmcnt(56)
	v_fma_f64 v[149:150], v[115:116], v[151:152], -v[149:150]
	ds_read_b128 v[5:8], v176 offset:1200
	v_fma_f64 v[145:146], v[117:118], v[151:152], v[145:146]
	v_add_f64 v[123:124], v[123:124], v[157:158]
	v_add_f64 v[119:120], v[119:120], v[141:142]
	s_clause 0x2
	buffer_load_dword v162, off, s[0:3], 0 offset:604
	buffer_load_dword v142, off, s[0:3], 0 offset:580
	;; [unrolled: 1-line block ×3, first 2 shown]
	ds_read_b128 v[115:118], v176 offset:1216
	s_waitcnt vmcnt(58) lgkmcnt(1)
	v_mul_f64 v[157:158], v[7:8], v[167:168]
	s_waitcnt vmcnt(56)
	v_fma_f64 v[165:166], v[1:2], v[169:170], -v[164:165]
	v_mul_f64 v[151:152], v[5:6], v[167:168]
	v_add_f64 v[123:124], v[123:124], v[149:150]
	v_fma_f64 v[149:150], v[3:4], v[169:170], v[198:199]
	v_add_f64 v[119:120], v[119:120], v[145:146]
	s_clause 0x4
	buffer_load_dword v146, off, s[0:3], 0 offset:620
	buffer_load_dword v167, off, s[0:3], 0 offset:632
	;; [unrolled: 1-line block ×5, first 2 shown]
	s_waitcnt vmcnt(57) lgkmcnt(0)
	v_mul_f64 v[198:199], v[115:116], v[183:184]
	v_mul_f64 v[183:184], v[117:118], v[183:184]
	s_waitcnt vmcnt(56)
	v_fma_f64 v[157:158], v[5:6], v[159:160], -v[157:158]
	ds_read_b128 v[1:4], v176 offset:1232
	v_fma_f64 v[151:152], v[7:8], v[159:160], v[151:152]
	v_add_f64 v[123:124], v[123:124], v[165:166]
	v_add_f64 v[119:120], v[119:120], v[149:150]
	s_clause 0x2
	buffer_load_dword v168, off, s[0:3], 0 offset:636
	buffer_load_dword v150, off, s[0:3], 0 offset:612
	;; [unrolled: 1-line block ×3, first 2 shown]
	ds_read_b128 v[5:8], v176 offset:1248
	s_waitcnt vmcnt(58) lgkmcnt(1)
	v_mul_f64 v[165:166], v[3:4], v[185:186]
	v_mul_f64 v[159:160], v[1:2], v[185:186]
	s_waitcnt vmcnt(56)
	v_fma_f64 v[183:184], v[115:116], v[173:174], -v[183:184]
	v_add_f64 v[123:124], v[123:124], v[157:158]
	v_fma_f64 v[157:158], v[117:118], v[173:174], v[198:199]
	v_add_f64 v[119:120], v[119:120], v[151:152]
	s_clause 0x4
	buffer_load_dword v152, off, s[0:3], 0 offset:652
	buffer_load_dword v173, off, s[0:3], 0 offset:664
	;; [unrolled: 1-line block ×5, first 2 shown]
	ds_read_b128 v[115:118], v176 offset:1264
	s_waitcnt vmcnt(57) lgkmcnt(1)
	v_mul_f64 v[198:199], v[5:6], v[181:182]
	v_mul_f64 v[181:182], v[7:8], v[181:182]
	s_waitcnt vmcnt(56)
	v_fma_f64 v[165:166], v[1:2], v[187:188], -v[165:166]
	v_fma_f64 v[159:160], v[3:4], v[187:188], v[159:160]
	v_add_f64 v[123:124], v[123:124], v[183:184]
	v_add_f64 v[119:120], v[119:120], v[157:158]
	s_clause 0x2
	buffer_load_dword v174, off, s[0:3], 0 offset:668
	buffer_load_dword v158, off, s[0:3], 0 offset:644
	;; [unrolled: 1-line block ×3, first 2 shown]
	s_waitcnt vmcnt(58) lgkmcnt(0)
	v_mul_f64 v[187:188], v[117:118], v[189:190]
	ds_read_b128 v[1:4], v176 offset:1280
	v_mul_f64 v[183:184], v[115:116], v[189:190]
	s_waitcnt vmcnt(56)
	v_fma_f64 v[181:182], v[5:6], v[179:180], -v[181:182]
	v_add_f64 v[123:124], v[123:124], v[165:166]
	v_fma_f64 v[165:166], v[7:8], v[179:180], v[198:199]
	v_add_f64 v[119:120], v[119:120], v[159:160]
	s_clause 0x4
	buffer_load_dword v160, off, s[0:3], 0 offset:684
	buffer_load_dword v179, off, s[0:3], 0 offset:696
	;; [unrolled: 1-line block ×5, first 2 shown]
	ds_read_b128 v[5:8], v176 offset:1296
	s_waitcnt vmcnt(57) lgkmcnt(1)
	v_mul_f64 v[198:199], v[1:2], v[135:136]
	v_mul_f64 v[135:136], v[3:4], v[135:136]
	s_waitcnt vmcnt(56)
	v_fma_f64 v[187:188], v[115:116], v[194:195], -v[187:188]
	v_add_f64 v[123:124], v[123:124], v[181:182]
	v_fma_f64 v[181:182], v[117:118], v[194:195], v[183:184]
	v_add_f64 v[119:120], v[119:120], v[165:166]
	s_clause 0x2
	buffer_load_dword v180, off, s[0:3], 0 offset:700
	buffer_load_dword v166, off, s[0:3], 0 offset:676
	;; [unrolled: 1-line block ×3, first 2 shown]
	ds_read_b128 v[115:118], v176 offset:1312
	s_waitcnt vmcnt(58) lgkmcnt(1)
	v_mul_f64 v[183:184], v[5:6], v[177:178]
	v_mul_f64 v[177:178], v[7:8], v[177:178]
	s_waitcnt vmcnt(56)
	v_fma_f64 v[135:136], v[1:2], v[129:130], -v[135:136]
	v_fma_f64 v[129:130], v[3:4], v[129:130], v[198:199]
	v_add_f64 v[123:124], v[123:124], v[187:188]
	v_add_f64 v[119:120], v[119:120], v[181:182]
	s_clause 0x4
	buffer_load_dword v182, off, s[0:3], 0 offset:716
	buffer_load_dword v187, off, s[0:3], 0 offset:728
	;; [unrolled: 1-line block ×5, first 2 shown]
	ds_read_b128 v[1:4], v176 offset:1328
	s_waitcnt vmcnt(57) lgkmcnt(1)
	v_mul_f64 v[194:195], v[115:116], v[121:122]
	v_mul_f64 v[121:122], v[117:118], v[121:122]
	s_waitcnt vmcnt(56)
	v_fma_f64 v[177:178], v[5:6], v[196:197], -v[177:178]
	v_add_f64 v[123:124], v[123:124], v[135:136]
	v_fma_f64 v[135:136], v[7:8], v[196:197], v[183:184]
	v_add_f64 v[119:120], v[119:120], v[129:130]
	s_clause 0x2
	buffer_load_dword v188, off, s[0:3], 0 offset:732
	buffer_load_dword v130, off, s[0:3], 0 offset:708
	;; [unrolled: 1-line block ×3, first 2 shown]
	ds_read_b128 v[5:8], v176 offset:1344
	s_waitcnt vmcnt(58) lgkmcnt(1)
	v_mul_f64 v[183:184], v[1:2], v[139:140]
	v_mul_f64 v[139:140], v[3:4], v[139:140]
	s_waitcnt vmcnt(56)
	v_fma_f64 v[121:122], v[115:116], v[127:128], -v[121:122]
	v_fma_f64 v[127:128], v[117:118], v[127:128], v[194:195]
	v_add_f64 v[123:124], v[123:124], v[177:178]
	v_add_f64 v[119:120], v[119:120], v[135:136]
	s_clause 0x4
	buffer_load_dword v136, off, s[0:3], 0 offset:748
	buffer_load_dword v177, off, s[0:3], 0 offset:760
	;; [unrolled: 1-line block ×5, first 2 shown]
	ds_read_b128 v[115:118], v176 offset:1360
	s_waitcnt vmcnt(57) lgkmcnt(1)
	v_mul_f64 v[196:197], v[5:6], v[125:126]
	v_mul_f64 v[125:126], v[7:8], v[125:126]
	s_waitcnt vmcnt(56)
	v_fma_f64 v[139:140], v[1:2], v[191:192], -v[139:140]
	v_add_f64 v[121:122], v[123:124], v[121:122]
	v_fma_f64 v[123:124], v[3:4], v[191:192], v[183:184]
	v_add_f64 v[119:120], v[119:120], v[127:128]
	s_clause 0x2
	buffer_load_dword v178, off, s[0:3], 0 offset:764
	buffer_load_dword v128, off, s[0:3], 0 offset:740
	;; [unrolled: 1-line block ×3, first 2 shown]
	s_waitcnt vmcnt(58) lgkmcnt(0)
	v_mul_f64 v[183:184], v[115:116], v[147:148]
	v_mul_f64 v[147:148], v[117:118], v[147:148]
	ds_read_b128 v[1:4], v176 offset:1376
	s_waitcnt vmcnt(56)
	v_fma_f64 v[125:126], v[5:6], v[133:134], -v[125:126]
	v_fma_f64 v[133:134], v[7:8], v[133:134], v[196:197]
	v_add_f64 v[121:122], v[121:122], v[139:140]
	v_add_f64 v[119:120], v[119:120], v[123:124]
	s_clause 0x4
	buffer_load_dword v124, off, s[0:3], 0 offset:780
	buffer_load_dword v139, off, s[0:3], 0 offset:792
	;; [unrolled: 1-line block ×5, first 2 shown]
	ds_read_b128 v[5:8], v176 offset:1392
	s_waitcnt vmcnt(57) lgkmcnt(1)
	v_mul_f64 v[197:198], v[1:2], v[131:132]
	v_mul_f64 v[131:132], v[3:4], v[131:132]
	s_waitcnt vmcnt(56)
	v_fma_f64 v[147:148], v[115:116], v[171:172], -v[147:148]
	v_add_f64 v[121:122], v[121:122], v[125:126]
	v_fma_f64 v[125:126], v[117:118], v[171:172], v[183:184]
	v_add_f64 v[119:120], v[119:120], v[133:134]
	s_clause 0x2
	buffer_load_dword v140, off, s[0:3], 0 offset:796
	buffer_load_dword v134, off, s[0:3], 0 offset:772
	;; [unrolled: 1-line block ×3, first 2 shown]
	s_waitcnt vmcnt(58) lgkmcnt(0)
	v_mul_f64 v[171:172], v[5:6], v[153:154]
	v_mul_f64 v[153:154], v[7:8], v[153:154]
	ds_read_b128 v[115:118], v176 offset:1408
	s_waitcnt vmcnt(56)
	v_fma_f64 v[131:132], v[1:2], v[143:144], -v[131:132]
	v_fma_f64 v[143:144], v[3:4], v[143:144], v[197:198]
	v_add_f64 v[121:122], v[121:122], v[147:148]
	v_add_f64 v[119:120], v[119:120], v[125:126]
	s_clause 0x4
	buffer_load_dword v126, off, s[0:3], 0 offset:812
	buffer_load_dword v147, off, s[0:3], 0 offset:824
	;; [unrolled: 1-line block ×5, first 2 shown]
	ds_read_b128 v[1:4], v176 offset:1424
	s_waitcnt vmcnt(57) lgkmcnt(1)
	v_mul_f64 v[197:198], v[115:116], v[137:138]
	v_mul_f64 v[137:138], v[117:118], v[137:138]
	s_waitcnt vmcnt(56)
	v_fma_f64 v[153:154], v[5:6], v[155:156], -v[153:154]
	v_add_f64 v[121:122], v[121:122], v[131:132]
	v_fma_f64 v[131:132], v[7:8], v[155:156], v[171:172]
	v_add_f64 v[119:120], v[119:120], v[143:144]
	s_clause 0x2
	buffer_load_dword v148, off, s[0:3], 0 offset:828
	buffer_load_dword v144, off, s[0:3], 0 offset:804
	buffer_load_dword v143, off, s[0:3], 0 offset:800
	ds_read_b128 v[5:8], v176 offset:1440
	s_waitcnt vmcnt(58) lgkmcnt(1)
	v_mul_f64 v[155:156], v[1:2], v[161:162]
	v_mul_f64 v[161:162], v[3:4], v[161:162]
	s_waitcnt vmcnt(56)
	v_fma_f64 v[137:138], v[115:116], v[141:142], -v[137:138]
	v_fma_f64 v[141:142], v[117:118], v[141:142], v[197:198]
	v_add_f64 v[121:122], v[121:122], v[153:154]
	v_add_f64 v[119:120], v[119:120], v[131:132]
	s_clause 0x4
	buffer_load_dword v132, off, s[0:3], 0 offset:844
	buffer_load_dword v153, off, s[0:3], 0 offset:856
	;; [unrolled: 1-line block ×5, first 2 shown]
	ds_read_b128 v[115:118], v176 offset:1456
	s_waitcnt vmcnt(57) lgkmcnt(1)
	v_mul_f64 v[197:198], v[5:6], v[145:146]
	v_mul_f64 v[145:146], v[7:8], v[145:146]
	s_waitcnt vmcnt(56)
	v_fma_f64 v[161:162], v[1:2], v[163:164], -v[161:162]
	v_add_f64 v[121:122], v[121:122], v[137:138]
	v_fma_f64 v[137:138], v[3:4], v[163:164], v[155:156]
	v_add_f64 v[119:120], v[119:120], v[141:142]
	s_clause 0x2
	buffer_load_dword v154, off, s[0:3], 0 offset:860
	buffer_load_dword v142, off, s[0:3], 0 offset:836
	;; [unrolled: 1-line block ×3, first 2 shown]
	ds_read_b128 v[1:4], v176 offset:1472
	buffer_load_dword v172, off, s[0:3], 0 offset:852
	s_waitcnt vmcnt(59) lgkmcnt(1)
	v_mul_f64 v[163:164], v[117:118], v[167:168]
	v_mul_f64 v[155:156], v[115:116], v[167:168]
	s_waitcnt vmcnt(57)
	v_fma_f64 v[145:146], v[5:6], v[149:150], -v[145:146]
	v_fma_f64 v[149:150], v[7:8], v[149:150], v[197:198]
	ds_read_b128 v[5:8], v176 offset:1488
	v_add_f64 v[121:122], v[121:122], v[161:162]
	v_add_f64 v[119:120], v[119:120], v[137:138]
	s_waitcnt vmcnt(53) lgkmcnt(1)
	v_mul_f64 v[137:138], v[1:2], v[151:152]
	v_mul_f64 v[151:152], v[3:4], v[151:152]
	s_waitcnt vmcnt(52)
	v_fma_f64 v[161:162], v[115:116], v[169:170], -v[163:164]
	v_add_f64 v[121:122], v[121:122], v[145:146]
	v_fma_f64 v[145:146], v[117:118], v[169:170], v[155:156]
	v_add_f64 v[119:120], v[119:120], v[149:150]
	ds_read_b128 v[115:118], v176 offset:1504
	s_waitcnt vmcnt(51) lgkmcnt(1)
	v_mul_f64 v[155:156], v[7:8], v[173:174]
	v_mul_f64 v[149:150], v[5:6], v[173:174]
	s_waitcnt vmcnt(49)
	v_fma_f64 v[151:152], v[1:2], v[157:158], -v[151:152]
	v_fma_f64 v[137:138], v[3:4], v[157:158], v[137:138]
	v_add_f64 v[121:122], v[121:122], v[161:162]
	v_add_f64 v[119:120], v[119:120], v[145:146]
	s_clause 0x3
	buffer_load_dword v145, off, s[0:3], 0 offset:128
	buffer_load_dword v146, off, s[0:3], 0 offset:132
	;; [unrolled: 1-line block ×4, first 2 shown]
	ds_read_b128 v[1:4], v176 offset:1520
	s_waitcnt vmcnt(49) lgkmcnt(1)
	v_mul_f64 v[161:162], v[115:116], v[159:160]
	v_mul_f64 v[159:160], v[117:118], v[159:160]
	s_waitcnt vmcnt(48)
	v_fma_f64 v[155:156], v[5:6], v[185:186], -v[155:156]
	v_fma_f64 v[149:150], v[7:8], v[185:186], v[149:150]
	ds_read_b128 v[5:8], v176 offset:1536
	v_add_f64 v[121:122], v[121:122], v[151:152]
	v_add_f64 v[119:120], v[119:120], v[137:138]
	s_waitcnt vmcnt(47) lgkmcnt(1)
	v_mul_f64 v[151:152], v[3:4], v[179:180]
	v_mul_f64 v[137:138], v[1:2], v[179:180]
	s_waitcnt vmcnt(45)
	v_fma_f64 v[159:160], v[115:116], v[165:166], -v[159:160]
	v_add_f64 v[121:122], v[121:122], v[155:156]
	v_fma_f64 v[155:156], v[117:118], v[165:166], v[161:162]
	v_add_f64 v[119:120], v[119:120], v[149:150]
	ds_read_b128 v[115:118], v176 offset:1552
	s_waitcnt vmcnt(41) lgkmcnt(1)
	v_mul_f64 v[161:162], v[7:8], v[181:182]
	s_waitcnt vmcnt(40)
	v_fma_f64 v[151:152], v[1:2], v[189:190], -v[151:152]
	v_mul_f64 v[149:150], v[5:6], v[181:182]
	v_fma_f64 v[137:138], v[3:4], v[189:190], v[137:138]
	ds_read_b128 v[1:4], v176 offset:1568
	v_add_f64 v[121:122], v[121:122], v[159:160]
	v_add_f64 v[119:120], v[119:120], v[155:156]
	s_waitcnt vmcnt(39) lgkmcnt(1)
	v_mul_f64 v[159:160], v[117:118], v[187:188]
	v_mul_f64 v[155:156], v[115:116], v[187:188]
	s_waitcnt vmcnt(37)
	v_fma_f64 v[161:162], v[5:6], v[129:130], -v[161:162]
	v_fma_f64 v[129:130], v[7:8], v[129:130], v[149:150]
	ds_read_b128 v[5:8], v176 offset:1584
	v_add_f64 v[121:122], v[121:122], v[151:152]
	v_add_f64 v[119:120], v[119:120], v[137:138]
	s_waitcnt vmcnt(33) lgkmcnt(1)
	v_mul_f64 v[137:138], v[1:2], v[135:136]
	v_mul_f64 v[135:136], v[3:4], v[135:136]
	s_waitcnt vmcnt(32)
	v_fma_f64 v[149:150], v[115:116], v[193:194], -v[159:160]
	;; [unrolled: 9-line block ×6, first 2 shown]
	v_add_f64 v[121:122], v[121:122], v[123:124]
	v_fma_f64 v[123:124], v[3:4], v[191:192], v[127:128]
	v_add_f64 v[119:120], v[119:120], v[133:134]
	ds_read_b128 v[1:4], v176 offset:1664
	s_waitcnt vmcnt(15) lgkmcnt(1)
	v_mul_f64 v[133:134], v[117:118], v[147:148]
	v_mul_f64 v[127:128], v[115:116], v[147:148]
	s_waitcnt vmcnt(13)
	v_fma_f64 v[125:126], v[5:6], v[143:144], -v[125:126]
	v_fma_f64 v[129:130], v[7:8], v[143:144], v[129:130]
	ds_read_b128 v[5:8], v176 offset:1680
	v_add_f64 v[121:122], v[121:122], v[135:136]
	v_add_f64 v[119:120], v[119:120], v[123:124]
	s_waitcnt vmcnt(9) lgkmcnt(1)
	v_mul_f64 v[123:124], v[1:2], v[131:132]
	v_mul_f64 v[131:132], v[3:4], v[131:132]
	s_waitcnt vmcnt(8)
	v_fma_f64 v[115:116], v[115:116], v[183:184], -v[133:134]
	v_fma_f64 v[117:118], v[117:118], v[183:184], v[127:128]
	v_add_f64 v[121:122], v[121:122], v[125:126]
	v_add_f64 v[119:120], v[119:120], v[129:130]
	s_waitcnt vmcnt(7) lgkmcnt(0)
	v_mul_f64 v[127:128], v[7:8], v[153:154]
	v_mul_f64 v[125:126], v[5:6], v[153:154]
	s_waitcnt vmcnt(5)
	v_fma_f64 v[1:2], v[1:2], v[141:142], -v[131:132]
	v_fma_f64 v[3:4], v[3:4], v[141:142], v[123:124]
	v_add_f64 v[115:116], v[121:122], v[115:116]
	v_add_f64 v[117:118], v[119:120], v[117:118]
	s_waitcnt vmcnt(4)
	v_fma_f64 v[5:6], v[5:6], v[171:172], -v[127:128]
	v_fma_f64 v[7:8], v[7:8], v[171:172], v[125:126]
	v_add_f64 v[1:2], v[115:116], v[1:2]
	v_add_f64 v[3:4], v[117:118], v[3:4]
	;; [unrolled: 1-line block ×4, first 2 shown]
	s_waitcnt vmcnt(2)
	v_add_f64 v[1:2], v[145:146], -v[1:2]
	s_waitcnt vmcnt(0)
	v_add_f64 v[3:4], v[157:158], -v[3:4]
	buffer_store_dword v2, off, s[0:3], 0 offset:132
	buffer_store_dword v1, off, s[0:3], 0 offset:128
	;; [unrolled: 1-line block ×4, first 2 shown]
	v_cmpx_lt_u32_e32 6, v0
	s_cbranch_execz .LBB116_319
; %bb.318:
	v_mov_b32_e32 v4, s59
	s_clause 0x3
	buffer_load_dword v1, v4, s[0:3], 0 offen
	buffer_load_dword v2, v4, s[0:3], 0 offen offset:4
	buffer_load_dword v3, v4, s[0:3], 0 offen offset:8
	;; [unrolled: 1-line block ×3, first 2 shown]
	buffer_store_dword v176, off, s[0:3], 0 offset:112
	buffer_store_dword v176, off, s[0:3], 0 offset:116
	;; [unrolled: 1-line block ×4, first 2 shown]
	s_waitcnt vmcnt(0)
	ds_write_b128 v175, v[1:4]
.LBB116_319:
	s_or_b32 exec_lo, exec_lo, s4
	s_waitcnt lgkmcnt(0)
	s_waitcnt_vscnt null, 0x0
	s_barrier
	buffer_gl0_inv
	s_clause 0x37
	buffer_load_dword v123, off, s[0:3], 0 offset:136
	buffer_load_dword v124, off, s[0:3], 0 offset:140
	;; [unrolled: 1-line block ×56, first 2 shown]
	ds_read_b128 v[5:8], v176 offset:960
	s_clause 0x2
	buffer_load_dword v172, off, s[0:3], 0 offset:364
	buffer_load_dword v174, off, s[0:3], 0 offset:340
	;; [unrolled: 1-line block ×3, first 2 shown]
	ds_read_b128 v[1:4], v176 offset:976
	s_clause 0x4
	buffer_load_dword v184, off, s[0:3], 0 offset:380
	buffer_load_dword v185, off, s[0:3], 0 offset:392
	;; [unrolled: 1-line block ×5, first 2 shown]
	ds_read_b128 v[177:180], v176 offset:992
	s_mov_b32 s4, exec_lo
	s_waitcnt vmcnt(62) lgkmcnt(2)
	v_mul_f64 v[181:182], v[7:8], v[123:124]
	v_mul_f64 v[123:124], v[5:6], v[123:124]
	s_waitcnt vmcnt(60) lgkmcnt(1)
	v_mul_f64 v[188:189], v[3:4], v[119:120]
	v_mul_f64 v[119:120], v[1:2], v[119:120]
	;; [unrolled: 3-line block ×3, first 2 shown]
	v_fma_f64 v[181:182], v[5:6], v[121:122], -v[181:182]
	v_fma_f64 v[121:122], v[7:8], v[121:122], v[123:124]
	s_clause 0x2
	buffer_load_dword v186, off, s[0:3], 0 offset:396
	buffer_load_dword v124, off, s[0:3], 0 offset:372
	;; [unrolled: 1-line block ×3, first 2 shown]
	s_waitcnt vmcnt(57)
	v_fma_f64 v[192:193], v[1:2], v[115:116], -v[188:189]
	ds_read_b128 v[5:8], v176 offset:1008
	v_fma_f64 v[115:116], v[3:4], v[115:116], v[119:120]
	s_waitcnt vmcnt(51)
	v_fma_f64 v[177:178], v[177:178], v[139:140], -v[117:118]
	v_fma_f64 v[139:140], v[179:180], v[139:140], v[190:191]
	v_add_f64 v[181:182], v[181:182], 0
	v_add_f64 v[119:120], v[121:122], 0
	s_clause 0x4
	buffer_load_dword v122, off, s[0:3], 0 offset:412
	buffer_load_dword v189, off, s[0:3], 0 offset:424
	;; [unrolled: 1-line block ×5, first 2 shown]
	s_waitcnt lgkmcnt(0)
	v_mul_f64 v[195:196], v[5:6], v[127:128]
	v_mul_f64 v[127:128], v[7:8], v[127:128]
	ds_read_b128 v[1:4], v176 offset:1024
	s_clause 0x2
	buffer_load_dword v190, off, s[0:3], 0 offset:428
	buffer_load_dword v180, off, s[0:3], 0 offset:404
	;; [unrolled: 1-line block ×3, first 2 shown]
	v_add_f64 v[181:182], v[181:182], v[192:193]
	v_add_f64 v[119:120], v[119:120], v[115:116]
	ds_read_b128 v[115:118], v176 offset:1040
	s_waitcnt vmcnt(58) lgkmcnt(1)
	v_mul_f64 v[191:192], v[1:2], v[131:132]
	v_mul_f64 v[131:132], v[3:4], v[131:132]
	s_waitcnt vmcnt(56)
	v_fma_f64 v[127:128], v[5:6], v[133:134], -v[127:128]
	v_fma_f64 v[133:134], v[7:8], v[133:134], v[195:196]
	s_waitcnt vmcnt(52) lgkmcnt(0)
	v_mul_f64 v[197:198], v[115:116], v[135:136]
	v_add_f64 v[177:178], v[181:182], v[177:178]
	v_add_f64 v[119:120], v[119:120], v[139:140]
	s_clause 0x4
	buffer_load_dword v140, off, s[0:3], 0 offset:444
	buffer_load_dword v181, off, s[0:3], 0 offset:456
	;; [unrolled: 1-line block ×5, first 2 shown]
	v_mul_f64 v[135:136], v[117:118], v[135:136]
	s_waitcnt vmcnt(56)
	v_fma_f64 v[131:132], v[1:2], v[125:126], -v[131:132]
	ds_read_b128 v[5:8], v176 offset:1056
	v_fma_f64 v[125:126], v[3:4], v[125:126], v[191:192]
	v_add_f64 v[127:128], v[177:178], v[127:128]
	v_add_f64 v[119:120], v[119:120], v[133:134]
	s_clause 0x2
	buffer_load_dword v182, off, s[0:3], 0 offset:460
	buffer_load_dword v134, off, s[0:3], 0 offset:436
	;; [unrolled: 1-line block ×3, first 2 shown]
	s_waitcnt vmcnt(58) lgkmcnt(0)
	v_mul_f64 v[177:178], v[5:6], v[141:142]
	v_mul_f64 v[141:142], v[7:8], v[141:142]
	s_waitcnt vmcnt(56)
	v_fma_f64 v[135:136], v[115:116], v[143:144], -v[135:136]
	ds_read_b128 v[1:4], v176 offset:1072
	v_add_f64 v[127:128], v[127:128], v[131:132]
	v_fma_f64 v[131:132], v[117:118], v[143:144], v[197:198]
	v_add_f64 v[119:120], v[119:120], v[125:126]
	s_clause 0x4
	buffer_load_dword v126, off, s[0:3], 0 offset:476
	buffer_load_dword v143, off, s[0:3], 0 offset:488
	;; [unrolled: 1-line block ×5, first 2 shown]
	s_waitcnt vmcnt(57) lgkmcnt(0)
	v_mul_f64 v[192:193], v[1:2], v[145:146]
	v_mul_f64 v[145:146], v[3:4], v[145:146]
	s_waitcnt vmcnt(56)
	v_fma_f64 v[141:142], v[5:6], v[129:130], -v[141:142]
	ds_read_b128 v[115:118], v176 offset:1088
	v_fma_f64 v[129:130], v[7:8], v[129:130], v[177:178]
	v_add_f64 v[127:128], v[127:128], v[135:136]
	v_add_f64 v[119:120], v[119:120], v[131:132]
	s_clause 0x2
	buffer_load_dword v144, off, s[0:3], 0 offset:492
	buffer_load_dword v132, off, s[0:3], 0 offset:468
	;; [unrolled: 1-line block ×3, first 2 shown]
	ds_read_b128 v[5:8], v176 offset:1104
	s_waitcnt vmcnt(58) lgkmcnt(1)
	v_mul_f64 v[135:136], v[115:116], v[149:150]
	v_mul_f64 v[149:150], v[117:118], v[149:150]
	s_waitcnt vmcnt(56)
	v_fma_f64 v[145:146], v[1:2], v[151:152], -v[145:146]
	v_add_f64 v[127:128], v[127:128], v[141:142]
	v_fma_f64 v[141:142], v[3:4], v[151:152], v[192:193]
	v_add_f64 v[119:120], v[119:120], v[129:130]
	s_clause 0x4
	buffer_load_dword v130, off, s[0:3], 0 offset:508
	buffer_load_dword v151, off, s[0:3], 0 offset:520
	;; [unrolled: 1-line block ×5, first 2 shown]
	s_waitcnt vmcnt(57) lgkmcnt(0)
	v_mul_f64 v[198:199], v[5:6], v[153:154]
	v_mul_f64 v[153:154], v[7:8], v[153:154]
	s_waitcnt vmcnt(56)
	v_fma_f64 v[149:150], v[115:116], v[137:138], -v[149:150]
	ds_read_b128 v[1:4], v176 offset:1120
	v_fma_f64 v[135:136], v[117:118], v[137:138], v[135:136]
	s_clause 0x2
	buffer_load_dword v152, off, s[0:3], 0 offset:524
	buffer_load_dword v138, off, s[0:3], 0 offset:500
	;; [unrolled: 1-line block ×3, first 2 shown]
	ds_read_b128 v[115:118], v176 offset:1136
	v_add_f64 v[127:128], v[127:128], v[145:146]
	v_add_f64 v[119:120], v[119:120], v[141:142]
	s_waitcnt vmcnt(58) lgkmcnt(1)
	v_mul_f64 v[145:146], v[3:4], v[157:158]
	s_waitcnt vmcnt(56)
	v_fma_f64 v[153:154], v[5:6], v[159:160], -v[153:154]
	v_mul_f64 v[141:142], v[1:2], v[157:158]
	v_add_f64 v[127:128], v[127:128], v[149:150]
	v_fma_f64 v[149:150], v[7:8], v[159:160], v[198:199]
	v_add_f64 v[119:120], v[119:120], v[135:136]
	s_clause 0x4
	buffer_load_dword v136, off, s[0:3], 0 offset:540
	buffer_load_dword v157, off, s[0:3], 0 offset:552
	;; [unrolled: 1-line block ×5, first 2 shown]
	s_waitcnt vmcnt(57) lgkmcnt(0)
	v_mul_f64 v[198:199], v[115:116], v[161:162]
	v_mul_f64 v[160:161], v[117:118], v[161:162]
	s_waitcnt vmcnt(56)
	v_fma_f64 v[145:146], v[1:2], v[147:148], -v[145:146]
	ds_read_b128 v[5:8], v176 offset:1152
	v_fma_f64 v[141:142], v[3:4], v[147:148], v[141:142]
	s_clause 0x2
	buffer_load_dword v158, off, s[0:3], 0 offset:556
	buffer_load_dword v148, off, s[0:3], 0 offset:532
	;; [unrolled: 1-line block ×3, first 2 shown]
	ds_read_b128 v[1:4], v176 offset:1168
	v_add_f64 v[127:128], v[127:128], v[153:154]
	v_add_f64 v[119:120], v[119:120], v[149:150]
	s_waitcnt vmcnt(58) lgkmcnt(1)
	v_mul_f64 v[153:154], v[7:8], v[165:166]
	s_waitcnt vmcnt(56)
	v_fma_f64 v[161:162], v[115:116], v[167:168], -v[160:161]
	v_mul_f64 v[149:150], v[5:6], v[165:166]
	v_add_f64 v[127:128], v[127:128], v[145:146]
	v_fma_f64 v[145:146], v[117:118], v[167:168], v[198:199]
	v_add_f64 v[119:120], v[119:120], v[141:142]
	s_clause 0x4
	buffer_load_dword v142, off, s[0:3], 0 offset:572
	buffer_load_dword v165, off, s[0:3], 0 offset:584
	buffer_load_dword v167, off, s[0:3], 0 offset:576
	buffer_load_dword v141, off, s[0:3], 0 offset:568
	buffer_load_dword v160, off, s[0:3], 0 offset:548
	s_waitcnt vmcnt(57) lgkmcnt(0)
	v_mul_f64 v[198:199], v[1:2], v[169:170]
	v_mul_f64 v[168:169], v[3:4], v[169:170]
	s_waitcnt vmcnt(56)
	v_fma_f64 v[153:154], v[5:6], v[155:156], -v[153:154]
	ds_read_b128 v[115:118], v176 offset:1184
	v_fma_f64 v[149:150], v[7:8], v[155:156], v[149:150]
	v_add_f64 v[127:128], v[127:128], v[161:162]
	v_add_f64 v[119:120], v[119:120], v[145:146]
	s_clause 0x2
	buffer_load_dword v166, off, s[0:3], 0 offset:588
	buffer_load_dword v146, off, s[0:3], 0 offset:564
	;; [unrolled: 1-line block ×3, first 2 shown]
	ds_read_b128 v[5:8], v176 offset:1200
	s_waitcnt vmcnt(58) lgkmcnt(1)
	v_mul_f64 v[161:162], v[117:118], v[171:172]
	s_waitcnt vmcnt(56)
	v_fma_f64 v[169:170], v[1:2], v[173:174], -v[168:169]
	v_mul_f64 v[155:156], v[115:116], v[171:172]
	v_add_f64 v[127:128], v[127:128], v[153:154]
	v_fma_f64 v[153:154], v[3:4], v[173:174], v[198:199]
	v_add_f64 v[119:120], v[119:120], v[149:150]
	s_clause 0x4
	buffer_load_dword v150, off, s[0:3], 0 offset:604
	buffer_load_dword v171, off, s[0:3], 0 offset:616
	;; [unrolled: 1-line block ×5, first 2 shown]
	s_waitcnt vmcnt(57) lgkmcnt(0)
	v_mul_f64 v[198:199], v[5:6], v[183:184]
	v_mul_f64 v[183:184], v[7:8], v[183:184]
	s_waitcnt vmcnt(56)
	v_fma_f64 v[161:162], v[115:116], v[163:164], -v[161:162]
	ds_read_b128 v[1:4], v176 offset:1216
	v_fma_f64 v[155:156], v[117:118], v[163:164], v[155:156]
	v_add_f64 v[127:128], v[127:128], v[169:170]
	v_add_f64 v[119:120], v[119:120], v[153:154]
	s_clause 0x2
	buffer_load_dword v172, off, s[0:3], 0 offset:620
	buffer_load_dword v154, off, s[0:3], 0 offset:596
	;; [unrolled: 1-line block ×3, first 2 shown]
	ds_read_b128 v[115:118], v176 offset:1232
	s_waitcnt vmcnt(58) lgkmcnt(1)
	v_mul_f64 v[169:170], v[3:4], v[185:186]
	v_mul_f64 v[163:164], v[1:2], v[185:186]
	s_waitcnt vmcnt(56)
	v_fma_f64 v[183:184], v[5:6], v[123:124], -v[183:184]
	v_fma_f64 v[123:124], v[7:8], v[123:124], v[198:199]
	v_add_f64 v[127:128], v[127:128], v[161:162]
	v_add_f64 v[119:120], v[119:120], v[155:156]
	s_clause 0x4
	buffer_load_dword v156, off, s[0:3], 0 offset:636
	buffer_load_dword v161, off, s[0:3], 0 offset:648
	;; [unrolled: 1-line block ×5, first 2 shown]
	ds_read_b128 v[5:8], v176 offset:1248
	s_waitcnt vmcnt(57) lgkmcnt(1)
	v_mul_f64 v[198:199], v[115:116], v[121:122]
	v_mul_f64 v[121:122], v[117:118], v[121:122]
	s_waitcnt vmcnt(56)
	v_fma_f64 v[169:170], v[1:2], v[187:188], -v[169:170]
	v_fma_f64 v[163:164], v[3:4], v[187:188], v[163:164]
	v_add_f64 v[127:128], v[127:128], v[183:184]
	v_add_f64 v[119:120], v[119:120], v[123:124]
	s_clause 0x2
	buffer_load_dword v162, off, s[0:3], 0 offset:652
	buffer_load_dword v124, off, s[0:3], 0 offset:628
	;; [unrolled: 1-line block ×3, first 2 shown]
	s_waitcnt vmcnt(58) lgkmcnt(0)
	v_mul_f64 v[187:188], v[7:8], v[189:190]
	ds_read_b128 v[1:4], v176 offset:1264
	v_mul_f64 v[183:184], v[5:6], v[189:190]
	s_waitcnt vmcnt(56)
	v_fma_f64 v[121:122], v[115:116], v[179:180], -v[121:122]
	v_add_f64 v[127:128], v[127:128], v[169:170]
	v_fma_f64 v[169:170], v[117:118], v[179:180], v[198:199]
	v_add_f64 v[119:120], v[119:120], v[163:164]
	s_clause 0x4
	buffer_load_dword v164, off, s[0:3], 0 offset:668
	buffer_load_dword v179, off, s[0:3], 0 offset:680
	;; [unrolled: 1-line block ×5, first 2 shown]
	ds_read_b128 v[115:118], v176 offset:1280
	s_waitcnt vmcnt(57) lgkmcnt(1)
	v_mul_f64 v[198:199], v[1:2], v[139:140]
	v_mul_f64 v[139:140], v[3:4], v[139:140]
	s_waitcnt vmcnt(56)
	v_fma_f64 v[187:188], v[5:6], v[194:195], -v[187:188]
	v_add_f64 v[121:122], v[127:128], v[121:122]
	v_fma_f64 v[127:128], v[7:8], v[194:195], v[183:184]
	v_add_f64 v[119:120], v[119:120], v[169:170]
	s_clause 0x2
	buffer_load_dword v180, off, s[0:3], 0 offset:684
	buffer_load_dword v170, off, s[0:3], 0 offset:660
	;; [unrolled: 1-line block ×3, first 2 shown]
	ds_read_b128 v[5:8], v176 offset:1296
	s_waitcnt vmcnt(58) lgkmcnt(1)
	v_mul_f64 v[183:184], v[115:116], v[181:182]
	v_mul_f64 v[181:182], v[117:118], v[181:182]
	s_waitcnt vmcnt(56)
	v_fma_f64 v[139:140], v[1:2], v[133:134], -v[139:140]
	v_fma_f64 v[133:134], v[3:4], v[133:134], v[198:199]
	v_add_f64 v[121:122], v[121:122], v[187:188]
	v_add_f64 v[119:120], v[119:120], v[127:128]
	s_clause 0x4
	buffer_load_dword v128, off, s[0:3], 0 offset:700
	buffer_load_dword v187, off, s[0:3], 0 offset:712
	;; [unrolled: 1-line block ×5, first 2 shown]
	ds_read_b128 v[1:4], v176 offset:1312
	s_waitcnt vmcnt(57) lgkmcnt(1)
	v_mul_f64 v[194:195], v[5:6], v[125:126]
	v_mul_f64 v[125:126], v[7:8], v[125:126]
	s_waitcnt vmcnt(56)
	v_fma_f64 v[181:182], v[115:116], v[196:197], -v[181:182]
	v_add_f64 v[121:122], v[121:122], v[139:140]
	v_fma_f64 v[139:140], v[117:118], v[196:197], v[183:184]
	v_add_f64 v[119:120], v[119:120], v[133:134]
	s_clause 0x2
	buffer_load_dword v188, off, s[0:3], 0 offset:716
	buffer_load_dword v134, off, s[0:3], 0 offset:692
	buffer_load_dword v133, off, s[0:3], 0 offset:688
	ds_read_b128 v[115:118], v176 offset:1328
	s_waitcnt vmcnt(58) lgkmcnt(1)
	v_mul_f64 v[183:184], v[1:2], v[143:144]
	v_mul_f64 v[143:144], v[3:4], v[143:144]
	s_waitcnt vmcnt(56)
	v_fma_f64 v[125:126], v[5:6], v[131:132], -v[125:126]
	v_fma_f64 v[131:132], v[7:8], v[131:132], v[194:195]
	v_add_f64 v[121:122], v[121:122], v[181:182]
	v_add_f64 v[119:120], v[119:120], v[139:140]
	s_clause 0x4
	buffer_load_dword v140, off, s[0:3], 0 offset:732
	buffer_load_dword v181, off, s[0:3], 0 offset:744
	;; [unrolled: 1-line block ×5, first 2 shown]
	ds_read_b128 v[5:8], v176 offset:1344
	s_waitcnt vmcnt(57) lgkmcnt(1)
	v_mul_f64 v[196:197], v[115:116], v[129:130]
	v_mul_f64 v[129:130], v[117:118], v[129:130]
	s_waitcnt vmcnt(56)
	v_fma_f64 v[143:144], v[1:2], v[191:192], -v[143:144]
	v_add_f64 v[121:122], v[121:122], v[125:126]
	v_fma_f64 v[125:126], v[3:4], v[191:192], v[183:184]
	v_add_f64 v[119:120], v[119:120], v[131:132]
	s_clause 0x2
	buffer_load_dword v182, off, s[0:3], 0 offset:748
	buffer_load_dword v132, off, s[0:3], 0 offset:724
	;; [unrolled: 1-line block ×3, first 2 shown]
	s_waitcnt vmcnt(58) lgkmcnt(0)
	v_mul_f64 v[183:184], v[5:6], v[151:152]
	v_mul_f64 v[151:152], v[7:8], v[151:152]
	ds_read_b128 v[1:4], v176 offset:1360
	s_waitcnt vmcnt(56)
	v_fma_f64 v[129:130], v[115:116], v[137:138], -v[129:130]
	v_fma_f64 v[137:138], v[117:118], v[137:138], v[196:197]
	v_add_f64 v[121:122], v[121:122], v[143:144]
	v_add_f64 v[119:120], v[119:120], v[125:126]
	s_clause 0x4
	buffer_load_dword v126, off, s[0:3], 0 offset:764
	buffer_load_dword v143, off, s[0:3], 0 offset:776
	buffer_load_dword v191, off, s[0:3], 0 offset:768
	buffer_load_dword v125, off, s[0:3], 0 offset:760
	buffer_load_dword v196, off, s[0:3], 0 offset:740
	ds_read_b128 v[115:118], v176 offset:1376
	s_waitcnt vmcnt(57) lgkmcnt(1)
	v_mul_f64 v[197:198], v[1:2], v[135:136]
	v_mul_f64 v[135:136], v[3:4], v[135:136]
	s_waitcnt vmcnt(56)
	v_fma_f64 v[151:152], v[5:6], v[177:178], -v[151:152]
	v_add_f64 v[121:122], v[121:122], v[129:130]
	v_fma_f64 v[129:130], v[7:8], v[177:178], v[183:184]
	v_add_f64 v[119:120], v[119:120], v[137:138]
	s_clause 0x2
	buffer_load_dword v144, off, s[0:3], 0 offset:780
	buffer_load_dword v138, off, s[0:3], 0 offset:756
	buffer_load_dword v137, off, s[0:3], 0 offset:752
	s_waitcnt vmcnt(58) lgkmcnt(0)
	v_mul_f64 v[177:178], v[115:116], v[157:158]
	v_mul_f64 v[157:158], v[117:118], v[157:158]
	ds_read_b128 v[5:8], v176 offset:1392
	s_waitcnt vmcnt(56)
	v_fma_f64 v[135:136], v[1:2], v[147:148], -v[135:136]
	v_fma_f64 v[147:148], v[3:4], v[147:148], v[197:198]
	v_add_f64 v[121:122], v[121:122], v[151:152]
	v_add_f64 v[119:120], v[119:120], v[129:130]
	s_clause 0x4
	buffer_load_dword v130, off, s[0:3], 0 offset:796
	buffer_load_dword v151, off, s[0:3], 0 offset:808
	;; [unrolled: 1-line block ×5, first 2 shown]
	ds_read_b128 v[1:4], v176 offset:1408
	s_waitcnt vmcnt(57) lgkmcnt(1)
	v_mul_f64 v[197:198], v[5:6], v[141:142]
	v_mul_f64 v[141:142], v[7:8], v[141:142]
	s_waitcnt vmcnt(56)
	v_fma_f64 v[157:158], v[115:116], v[159:160], -v[157:158]
	v_add_f64 v[121:122], v[121:122], v[135:136]
	v_fma_f64 v[135:136], v[117:118], v[159:160], v[177:178]
	v_add_f64 v[119:120], v[119:120], v[147:148]
	s_clause 0x2
	buffer_load_dword v152, off, s[0:3], 0 offset:812
	buffer_load_dword v148, off, s[0:3], 0 offset:788
	;; [unrolled: 1-line block ×3, first 2 shown]
	ds_read_b128 v[115:118], v176 offset:1424
	s_waitcnt vmcnt(58) lgkmcnt(1)
	v_mul_f64 v[159:160], v[1:2], v[165:166]
	v_mul_f64 v[165:166], v[3:4], v[165:166]
	s_waitcnt vmcnt(56)
	v_fma_f64 v[141:142], v[5:6], v[145:146], -v[141:142]
	v_fma_f64 v[145:146], v[7:8], v[145:146], v[197:198]
	v_add_f64 v[121:122], v[121:122], v[157:158]
	v_add_f64 v[119:120], v[119:120], v[135:136]
	s_clause 0x4
	buffer_load_dword v136, off, s[0:3], 0 offset:828
	buffer_load_dword v157, off, s[0:3], 0 offset:840
	;; [unrolled: 1-line block ×5, first 2 shown]
	ds_read_b128 v[5:8], v176 offset:1440
	s_waitcnt vmcnt(57) lgkmcnt(1)
	v_mul_f64 v[197:198], v[115:116], v[149:150]
	v_mul_f64 v[149:150], v[117:118], v[149:150]
	s_waitcnt vmcnt(56)
	v_fma_f64 v[165:166], v[1:2], v[167:168], -v[165:166]
	v_add_f64 v[121:122], v[121:122], v[141:142]
	v_fma_f64 v[141:142], v[3:4], v[167:168], v[159:160]
	v_add_f64 v[119:120], v[119:120], v[145:146]
	s_clause 0x2
	buffer_load_dword v158, off, s[0:3], 0 offset:844
	buffer_load_dword v146, off, s[0:3], 0 offset:820
	;; [unrolled: 1-line block ×3, first 2 shown]
	ds_read_b128 v[1:4], v176 offset:1456
	s_waitcnt vmcnt(58) lgkmcnt(1)
	v_mul_f64 v[167:168], v[7:8], v[171:172]
	v_mul_f64 v[159:160], v[5:6], v[171:172]
	s_waitcnt vmcnt(56)
	v_fma_f64 v[149:150], v[115:116], v[153:154], -v[149:150]
	v_fma_f64 v[153:154], v[117:118], v[153:154], v[197:198]
	v_add_f64 v[121:122], v[121:122], v[165:166]
	v_add_f64 v[119:120], v[119:120], v[141:142]
	s_clause 0x2
	buffer_load_dword v142, off, s[0:3], 0 offset:860
	buffer_load_dword v141, off, s[0:3], 0 offset:856
	;; [unrolled: 1-line block ×3, first 2 shown]
	ds_read_b128 v[115:118], v176 offset:1472
	s_waitcnt vmcnt(55) lgkmcnt(1)
	v_mul_f64 v[165:166], v[1:2], v[155:156]
	v_mul_f64 v[155:156], v[3:4], v[155:156]
	s_waitcnt vmcnt(54)
	v_fma_f64 v[167:168], v[5:6], v[173:174], -v[167:168]
	v_add_f64 v[121:122], v[121:122], v[149:150]
	v_fma_f64 v[149:150], v[7:8], v[173:174], v[159:160]
	v_add_f64 v[119:120], v[119:120], v[153:154]
	s_clause 0x1
	buffer_load_dword v154, off, s[0:3], 0 offset:852
	buffer_load_dword v153, off, s[0:3], 0 offset:848
	ds_read_b128 v[5:8], v176 offset:1488
	s_waitcnt vmcnt(55) lgkmcnt(1)
	v_mul_f64 v[159:160], v[115:116], v[161:162]
	v_mul_f64 v[161:162], v[117:118], v[161:162]
	s_waitcnt vmcnt(53)
	v_fma_f64 v[155:156], v[1:2], v[123:124], -v[155:156]
	v_fma_f64 v[123:124], v[3:4], v[123:124], v[165:166]
	ds_read_b128 v[1:4], v176 offset:1504
	v_add_f64 v[121:122], v[121:122], v[167:168]
	v_add_f64 v[119:120], v[119:120], v[149:150]
	s_waitcnt vmcnt(49) lgkmcnt(1)
	v_mul_f64 v[149:150], v[5:6], v[163:164]
	v_mul_f64 v[163:164], v[7:8], v[163:164]
	s_waitcnt vmcnt(48)
	v_fma_f64 v[161:162], v[115:116], v[185:186], -v[161:162]
	v_add_f64 v[121:122], v[121:122], v[155:156]
	v_fma_f64 v[155:156], v[117:118], v[185:186], v[159:160]
	v_add_f64 v[119:120], v[119:120], v[123:124]
	s_clause 0x3
	buffer_load_dword v123, off, s[0:3], 0 offset:112
	buffer_load_dword v124, off, s[0:3], 0 offset:116
	;; [unrolled: 1-line block ×4, first 2 shown]
	ds_read_b128 v[115:118], v176 offset:1520
	s_waitcnt vmcnt(51) lgkmcnt(1)
	v_mul_f64 v[167:168], v[3:4], v[179:180]
	v_mul_f64 v[165:166], v[1:2], v[179:180]
	s_waitcnt vmcnt(49)
	v_fma_f64 v[163:164], v[5:6], v[169:170], -v[163:164]
	v_fma_f64 v[149:150], v[7:8], v[169:170], v[149:150]
	ds_read_b128 v[5:8], v176 offset:1536
	v_add_f64 v[121:122], v[121:122], v[161:162]
	v_add_f64 v[119:120], v[119:120], v[155:156]
	s_waitcnt vmcnt(45) lgkmcnt(1)
	v_mul_f64 v[155:156], v[115:116], v[127:128]
	v_mul_f64 v[127:128], v[117:118], v[127:128]
	s_waitcnt vmcnt(44)
	v_fma_f64 v[161:162], v[1:2], v[189:190], -v[167:168]
	v_add_f64 v[121:122], v[121:122], v[163:164]
	v_fma_f64 v[163:164], v[3:4], v[189:190], v[165:166]
	v_add_f64 v[119:120], v[119:120], v[149:150]
	ds_read_b128 v[1:4], v176 offset:1552
	s_waitcnt vmcnt(43) lgkmcnt(1)
	v_mul_f64 v[165:166], v[7:8], v[187:188]
	v_mul_f64 v[149:150], v[5:6], v[187:188]
	s_waitcnt vmcnt(41)
	v_fma_f64 v[127:128], v[115:116], v[133:134], -v[127:128]
	v_fma_f64 v[133:134], v[117:118], v[133:134], v[155:156]
	ds_read_b128 v[115:118], v176 offset:1568
	v_add_f64 v[121:122], v[121:122], v[161:162]
	v_add_f64 v[119:120], v[119:120], v[163:164]
	s_waitcnt vmcnt(37) lgkmcnt(1)
	v_mul_f64 v[155:156], v[1:2], v[139:140]
	v_mul_f64 v[139:140], v[3:4], v[139:140]
	s_waitcnt vmcnt(36)
	v_fma_f64 v[161:162], v[5:6], v[193:194], -v[165:166]
	v_add_f64 v[121:122], v[121:122], v[127:128]
	v_fma_f64 v[127:128], v[7:8], v[193:194], v[149:150]
	v_add_f64 v[119:120], v[119:120], v[133:134]
	ds_read_b128 v[5:8], v176 offset:1584
	s_waitcnt vmcnt(35) lgkmcnt(1)
	v_mul_f64 v[149:150], v[117:118], v[181:182]
	v_mul_f64 v[133:134], v[115:116], v[181:182]
	s_waitcnt vmcnt(33)
	v_fma_f64 v[139:140], v[1:2], v[131:132], -v[139:140]
	v_fma_f64 v[131:132], v[3:4], v[131:132], v[155:156]
	ds_read_b128 v[1:4], v176 offset:1600
	v_add_f64 v[121:122], v[121:122], v[161:162]
	v_add_f64 v[119:120], v[119:120], v[127:128]
	s_waitcnt vmcnt(29) lgkmcnt(1)
	v_mul_f64 v[127:128], v[5:6], v[125:126]
	v_mul_f64 v[125:126], v[7:8], v[125:126]
	s_waitcnt vmcnt(28)
	v_fma_f64 v[149:150], v[115:116], v[195:196], -v[149:150]
	v_fma_f64 v[133:134], v[117:118], v[195:196], v[133:134]
	ds_read_b128 v[115:118], v176 offset:1616
	v_add_f64 v[121:122], v[121:122], v[139:140]
	v_add_f64 v[119:120], v[119:120], v[131:132]
	;; [unrolled: 9-line block ×3, first 2 shown]
	s_waitcnt vmcnt(21) lgkmcnt(1)
	v_mul_f64 v[133:134], v[115:116], v[129:130]
	v_mul_f64 v[129:130], v[117:118], v[129:130]
	s_waitcnt vmcnt(20)
	v_fma_f64 v[137:138], v[1:2], v[191:192], -v[139:140]
	v_add_f64 v[121:122], v[121:122], v[125:126]
	v_fma_f64 v[125:126], v[3:4], v[191:192], v[131:132]
	v_add_f64 v[119:120], v[119:120], v[127:128]
	ds_read_b128 v[1:4], v176 offset:1648
	s_waitcnt vmcnt(19) lgkmcnt(1)
	v_mul_f64 v[131:132], v[7:8], v[151:152]
	v_mul_f64 v[127:128], v[5:6], v[151:152]
	s_waitcnt vmcnt(17)
	v_fma_f64 v[129:130], v[115:116], v[147:148], -v[129:130]
	v_fma_f64 v[133:134], v[117:118], v[147:148], v[133:134]
	ds_read_b128 v[115:118], v176 offset:1664
	v_add_f64 v[121:122], v[121:122], v[137:138]
	v_add_f64 v[119:120], v[119:120], v[125:126]
	s_waitcnt vmcnt(13) lgkmcnt(1)
	v_mul_f64 v[125:126], v[1:2], v[135:136]
	v_mul_f64 v[135:136], v[3:4], v[135:136]
	s_waitcnt vmcnt(12)
	v_fma_f64 v[131:132], v[5:6], v[183:184], -v[131:132]
	v_fma_f64 v[127:128], v[7:8], v[183:184], v[127:128]
	ds_read_b128 v[5:8], v176 offset:1680
	v_add_f64 v[121:122], v[121:122], v[129:130]
	v_add_f64 v[119:120], v[119:120], v[133:134]
	s_waitcnt vmcnt(11) lgkmcnt(1)
	v_mul_f64 v[133:134], v[117:118], v[157:158]
	v_mul_f64 v[129:130], v[115:116], v[157:158]
	s_waitcnt vmcnt(9)
	v_fma_f64 v[1:2], v[1:2], v[145:146], -v[135:136]
	v_fma_f64 v[3:4], v[3:4], v[145:146], v[125:126]
	v_add_f64 v[121:122], v[121:122], v[131:132]
	v_add_f64 v[119:120], v[119:120], v[127:128]
	s_waitcnt vmcnt(7) lgkmcnt(0)
	v_mul_f64 v[127:128], v[7:8], v[141:142]
	s_waitcnt vmcnt(6)
	v_fma_f64 v[115:116], v[115:116], v[177:178], -v[133:134]
	v_mul_f64 v[125:126], v[5:6], v[141:142]
	v_fma_f64 v[117:118], v[117:118], v[177:178], v[129:130]
	v_add_f64 v[1:2], v[121:122], v[1:2]
	v_add_f64 v[3:4], v[119:120], v[3:4]
	s_waitcnt vmcnt(4)
	v_fma_f64 v[5:6], v[5:6], v[153:154], -v[127:128]
	v_fma_f64 v[7:8], v[7:8], v[153:154], v[125:126]
	v_add_f64 v[1:2], v[1:2], v[115:116]
	v_add_f64 v[3:4], v[3:4], v[117:118]
	;; [unrolled: 1-line block ×4, first 2 shown]
	s_waitcnt vmcnt(2)
	v_add_f64 v[1:2], v[123:124], -v[1:2]
	s_waitcnt vmcnt(0)
	v_add_f64 v[3:4], v[159:160], -v[3:4]
	buffer_store_dword v2, off, s[0:3], 0 offset:116
	buffer_store_dword v1, off, s[0:3], 0 offset:112
	;; [unrolled: 1-line block ×4, first 2 shown]
	v_cmpx_lt_u32_e32 5, v0
	s_cbranch_execz .LBB116_321
; %bb.320:
	v_mov_b32_e32 v4, s60
	v_mov_b32_e32 v5, 0
	s_clause 0x3
	buffer_load_dword v1, v4, s[0:3], 0 offen
	buffer_load_dword v2, v4, s[0:3], 0 offen offset:4
	buffer_load_dword v3, v4, s[0:3], 0 offen offset:8
	;; [unrolled: 1-line block ×3, first 2 shown]
	buffer_store_dword v5, off, s[0:3], 0 offset:96
	buffer_store_dword v5, off, s[0:3], 0 offset:100
	;; [unrolled: 1-line block ×4, first 2 shown]
	s_waitcnt vmcnt(0)
	ds_write_b128 v175, v[1:4]
.LBB116_321:
	s_or_b32 exec_lo, exec_lo, s4
	s_waitcnt lgkmcnt(0)
	s_waitcnt_vscnt null, 0x0
	s_barrier
	buffer_gl0_inv
	s_clause 0x37
	buffer_load_dword v123, off, s[0:3], 0 offset:120
	buffer_load_dword v124, off, s[0:3], 0 offset:124
	;; [unrolled: 1-line block ×56, first 2 shown]
	v_mov_b32_e32 v176, 0
	s_mov_b32 s4, exec_lo
	ds_read_b128 v[5:8], v176 offset:944
	s_clause 0x2
	buffer_load_dword v172, off, s[0:3], 0 offset:348
	buffer_load_dword v174, off, s[0:3], 0 offset:324
	;; [unrolled: 1-line block ×3, first 2 shown]
	ds_read_b128 v[1:4], v176 offset:960
	s_clause 0x4
	buffer_load_dword v184, off, s[0:3], 0 offset:364
	buffer_load_dword v185, off, s[0:3], 0 offset:376
	;; [unrolled: 1-line block ×5, first 2 shown]
	ds_read_b128 v[177:180], v176 offset:976
	s_waitcnt vmcnt(62) lgkmcnt(2)
	v_mul_f64 v[181:182], v[7:8], v[123:124]
	v_mul_f64 v[123:124], v[5:6], v[123:124]
	s_waitcnt vmcnt(60) lgkmcnt(1)
	v_mul_f64 v[188:189], v[3:4], v[119:120]
	v_mul_f64 v[119:120], v[1:2], v[119:120]
	;; [unrolled: 3-line block ×3, first 2 shown]
	v_fma_f64 v[181:182], v[5:6], v[121:122], -v[181:182]
	v_fma_f64 v[121:122], v[7:8], v[121:122], v[123:124]
	s_clause 0x2
	buffer_load_dword v186, off, s[0:3], 0 offset:380
	buffer_load_dword v124, off, s[0:3], 0 offset:356
	;; [unrolled: 1-line block ×3, first 2 shown]
	s_waitcnt vmcnt(57)
	v_fma_f64 v[192:193], v[1:2], v[115:116], -v[188:189]
	ds_read_b128 v[5:8], v176 offset:992
	v_fma_f64 v[115:116], v[3:4], v[115:116], v[119:120]
	s_waitcnt vmcnt(51)
	v_fma_f64 v[177:178], v[177:178], v[139:140], -v[117:118]
	v_fma_f64 v[139:140], v[179:180], v[139:140], v[190:191]
	v_add_f64 v[181:182], v[181:182], 0
	v_add_f64 v[119:120], v[121:122], 0
	s_clause 0x4
	buffer_load_dword v122, off, s[0:3], 0 offset:396
	buffer_load_dword v189, off, s[0:3], 0 offset:408
	;; [unrolled: 1-line block ×5, first 2 shown]
	s_waitcnt lgkmcnt(0)
	v_mul_f64 v[195:196], v[5:6], v[127:128]
	v_mul_f64 v[127:128], v[7:8], v[127:128]
	ds_read_b128 v[1:4], v176 offset:1008
	s_clause 0x2
	buffer_load_dword v190, off, s[0:3], 0 offset:412
	buffer_load_dword v180, off, s[0:3], 0 offset:388
	;; [unrolled: 1-line block ×3, first 2 shown]
	v_add_f64 v[181:182], v[181:182], v[192:193]
	v_add_f64 v[119:120], v[119:120], v[115:116]
	ds_read_b128 v[115:118], v176 offset:1024
	s_waitcnt vmcnt(58) lgkmcnt(1)
	v_mul_f64 v[191:192], v[1:2], v[131:132]
	v_mul_f64 v[131:132], v[3:4], v[131:132]
	s_waitcnt vmcnt(56)
	v_fma_f64 v[127:128], v[5:6], v[133:134], -v[127:128]
	v_fma_f64 v[133:134], v[7:8], v[133:134], v[195:196]
	s_waitcnt vmcnt(52) lgkmcnt(0)
	v_mul_f64 v[197:198], v[115:116], v[135:136]
	v_add_f64 v[177:178], v[181:182], v[177:178]
	v_add_f64 v[119:120], v[119:120], v[139:140]
	s_clause 0x4
	buffer_load_dword v140, off, s[0:3], 0 offset:428
	buffer_load_dword v181, off, s[0:3], 0 offset:440
	buffer_load_dword v196, off, s[0:3], 0 offset:432
	buffer_load_dword v139, off, s[0:3], 0 offset:424
	buffer_load_dword v195, off, s[0:3], 0 offset:404
	v_mul_f64 v[135:136], v[117:118], v[135:136]
	s_waitcnt vmcnt(56)
	v_fma_f64 v[131:132], v[1:2], v[125:126], -v[131:132]
	ds_read_b128 v[5:8], v176 offset:1040
	v_fma_f64 v[125:126], v[3:4], v[125:126], v[191:192]
	v_add_f64 v[127:128], v[177:178], v[127:128]
	v_add_f64 v[119:120], v[119:120], v[133:134]
	s_clause 0x2
	buffer_load_dword v182, off, s[0:3], 0 offset:444
	buffer_load_dword v134, off, s[0:3], 0 offset:420
	;; [unrolled: 1-line block ×3, first 2 shown]
	s_waitcnt vmcnt(58) lgkmcnt(0)
	v_mul_f64 v[177:178], v[5:6], v[141:142]
	v_mul_f64 v[141:142], v[7:8], v[141:142]
	s_waitcnt vmcnt(56)
	v_fma_f64 v[135:136], v[115:116], v[143:144], -v[135:136]
	ds_read_b128 v[1:4], v176 offset:1056
	v_add_f64 v[127:128], v[127:128], v[131:132]
	v_fma_f64 v[131:132], v[117:118], v[143:144], v[197:198]
	v_add_f64 v[119:120], v[119:120], v[125:126]
	s_clause 0x4
	buffer_load_dword v126, off, s[0:3], 0 offset:460
	buffer_load_dword v143, off, s[0:3], 0 offset:472
	;; [unrolled: 1-line block ×5, first 2 shown]
	s_waitcnt vmcnt(57) lgkmcnt(0)
	v_mul_f64 v[192:193], v[1:2], v[145:146]
	v_mul_f64 v[145:146], v[3:4], v[145:146]
	s_waitcnt vmcnt(56)
	v_fma_f64 v[141:142], v[5:6], v[129:130], -v[141:142]
	ds_read_b128 v[115:118], v176 offset:1072
	v_fma_f64 v[129:130], v[7:8], v[129:130], v[177:178]
	v_add_f64 v[127:128], v[127:128], v[135:136]
	v_add_f64 v[119:120], v[119:120], v[131:132]
	s_clause 0x2
	buffer_load_dword v144, off, s[0:3], 0 offset:476
	buffer_load_dword v132, off, s[0:3], 0 offset:452
	;; [unrolled: 1-line block ×3, first 2 shown]
	ds_read_b128 v[5:8], v176 offset:1088
	s_waitcnt vmcnt(58) lgkmcnt(1)
	v_mul_f64 v[135:136], v[115:116], v[149:150]
	v_mul_f64 v[149:150], v[117:118], v[149:150]
	s_waitcnt vmcnt(56)
	v_fma_f64 v[145:146], v[1:2], v[151:152], -v[145:146]
	v_add_f64 v[127:128], v[127:128], v[141:142]
	v_fma_f64 v[141:142], v[3:4], v[151:152], v[192:193]
	v_add_f64 v[119:120], v[119:120], v[129:130]
	s_clause 0x4
	buffer_load_dword v130, off, s[0:3], 0 offset:492
	buffer_load_dword v151, off, s[0:3], 0 offset:504
	;; [unrolled: 1-line block ×5, first 2 shown]
	s_waitcnt vmcnt(57) lgkmcnt(0)
	v_mul_f64 v[198:199], v[5:6], v[153:154]
	v_mul_f64 v[153:154], v[7:8], v[153:154]
	s_waitcnt vmcnt(56)
	v_fma_f64 v[149:150], v[115:116], v[137:138], -v[149:150]
	ds_read_b128 v[1:4], v176 offset:1104
	v_fma_f64 v[135:136], v[117:118], v[137:138], v[135:136]
	s_clause 0x2
	buffer_load_dword v152, off, s[0:3], 0 offset:508
	buffer_load_dword v138, off, s[0:3], 0 offset:484
	;; [unrolled: 1-line block ×3, first 2 shown]
	ds_read_b128 v[115:118], v176 offset:1120
	v_add_f64 v[127:128], v[127:128], v[145:146]
	v_add_f64 v[119:120], v[119:120], v[141:142]
	s_waitcnt vmcnt(58) lgkmcnt(1)
	v_mul_f64 v[145:146], v[3:4], v[157:158]
	s_waitcnt vmcnt(56)
	v_fma_f64 v[153:154], v[5:6], v[159:160], -v[153:154]
	v_mul_f64 v[141:142], v[1:2], v[157:158]
	v_add_f64 v[127:128], v[127:128], v[149:150]
	v_fma_f64 v[149:150], v[7:8], v[159:160], v[198:199]
	v_add_f64 v[119:120], v[119:120], v[135:136]
	s_clause 0x4
	buffer_load_dword v136, off, s[0:3], 0 offset:524
	buffer_load_dword v157, off, s[0:3], 0 offset:536
	;; [unrolled: 1-line block ×5, first 2 shown]
	s_waitcnt vmcnt(57) lgkmcnt(0)
	v_mul_f64 v[198:199], v[115:116], v[161:162]
	v_mul_f64 v[160:161], v[117:118], v[161:162]
	s_waitcnt vmcnt(56)
	v_fma_f64 v[145:146], v[1:2], v[147:148], -v[145:146]
	ds_read_b128 v[5:8], v176 offset:1136
	v_fma_f64 v[141:142], v[3:4], v[147:148], v[141:142]
	s_clause 0x2
	buffer_load_dword v158, off, s[0:3], 0 offset:540
	buffer_load_dword v148, off, s[0:3], 0 offset:516
	;; [unrolled: 1-line block ×3, first 2 shown]
	ds_read_b128 v[1:4], v176 offset:1152
	v_add_f64 v[127:128], v[127:128], v[153:154]
	v_add_f64 v[119:120], v[119:120], v[149:150]
	s_waitcnt vmcnt(58) lgkmcnt(1)
	v_mul_f64 v[153:154], v[7:8], v[165:166]
	s_waitcnt vmcnt(56)
	v_fma_f64 v[161:162], v[115:116], v[167:168], -v[160:161]
	v_mul_f64 v[149:150], v[5:6], v[165:166]
	v_add_f64 v[127:128], v[127:128], v[145:146]
	v_fma_f64 v[145:146], v[117:118], v[167:168], v[198:199]
	v_add_f64 v[119:120], v[119:120], v[141:142]
	s_clause 0x4
	buffer_load_dword v142, off, s[0:3], 0 offset:556
	buffer_load_dword v165, off, s[0:3], 0 offset:568
	buffer_load_dword v167, off, s[0:3], 0 offset:560
	buffer_load_dword v141, off, s[0:3], 0 offset:552
	buffer_load_dword v160, off, s[0:3], 0 offset:532
	s_waitcnt vmcnt(57) lgkmcnt(0)
	v_mul_f64 v[198:199], v[1:2], v[169:170]
	v_mul_f64 v[168:169], v[3:4], v[169:170]
	s_waitcnt vmcnt(56)
	v_fma_f64 v[153:154], v[5:6], v[155:156], -v[153:154]
	ds_read_b128 v[115:118], v176 offset:1168
	v_fma_f64 v[149:150], v[7:8], v[155:156], v[149:150]
	v_add_f64 v[127:128], v[127:128], v[161:162]
	v_add_f64 v[119:120], v[119:120], v[145:146]
	s_clause 0x2
	buffer_load_dword v166, off, s[0:3], 0 offset:572
	buffer_load_dword v146, off, s[0:3], 0 offset:548
	;; [unrolled: 1-line block ×3, first 2 shown]
	ds_read_b128 v[5:8], v176 offset:1184
	s_waitcnt vmcnt(58) lgkmcnt(1)
	v_mul_f64 v[161:162], v[117:118], v[171:172]
	s_waitcnt vmcnt(56)
	v_fma_f64 v[169:170], v[1:2], v[173:174], -v[168:169]
	v_mul_f64 v[155:156], v[115:116], v[171:172]
	v_add_f64 v[127:128], v[127:128], v[153:154]
	v_fma_f64 v[153:154], v[3:4], v[173:174], v[198:199]
	v_add_f64 v[119:120], v[119:120], v[149:150]
	s_clause 0x4
	buffer_load_dword v150, off, s[0:3], 0 offset:588
	buffer_load_dword v171, off, s[0:3], 0 offset:600
	;; [unrolled: 1-line block ×5, first 2 shown]
	s_waitcnt vmcnt(57) lgkmcnt(0)
	v_mul_f64 v[198:199], v[5:6], v[183:184]
	v_mul_f64 v[183:184], v[7:8], v[183:184]
	s_waitcnt vmcnt(56)
	v_fma_f64 v[161:162], v[115:116], v[163:164], -v[161:162]
	ds_read_b128 v[1:4], v176 offset:1200
	v_fma_f64 v[155:156], v[117:118], v[163:164], v[155:156]
	v_add_f64 v[127:128], v[127:128], v[169:170]
	v_add_f64 v[119:120], v[119:120], v[153:154]
	s_clause 0x2
	buffer_load_dword v172, off, s[0:3], 0 offset:604
	buffer_load_dword v154, off, s[0:3], 0 offset:580
	;; [unrolled: 1-line block ×3, first 2 shown]
	ds_read_b128 v[115:118], v176 offset:1216
	s_waitcnt vmcnt(58) lgkmcnt(1)
	v_mul_f64 v[169:170], v[3:4], v[185:186]
	v_mul_f64 v[163:164], v[1:2], v[185:186]
	s_waitcnt vmcnt(56)
	v_fma_f64 v[183:184], v[5:6], v[123:124], -v[183:184]
	v_fma_f64 v[123:124], v[7:8], v[123:124], v[198:199]
	v_add_f64 v[127:128], v[127:128], v[161:162]
	v_add_f64 v[119:120], v[119:120], v[155:156]
	s_clause 0x4
	buffer_load_dword v156, off, s[0:3], 0 offset:620
	buffer_load_dword v161, off, s[0:3], 0 offset:632
	;; [unrolled: 1-line block ×5, first 2 shown]
	ds_read_b128 v[5:8], v176 offset:1232
	s_waitcnt vmcnt(57) lgkmcnt(1)
	v_mul_f64 v[198:199], v[115:116], v[121:122]
	v_mul_f64 v[121:122], v[117:118], v[121:122]
	s_waitcnt vmcnt(56)
	v_fma_f64 v[169:170], v[1:2], v[187:188], -v[169:170]
	v_fma_f64 v[163:164], v[3:4], v[187:188], v[163:164]
	v_add_f64 v[127:128], v[127:128], v[183:184]
	v_add_f64 v[119:120], v[119:120], v[123:124]
	s_clause 0x2
	buffer_load_dword v162, off, s[0:3], 0 offset:636
	buffer_load_dword v124, off, s[0:3], 0 offset:612
	buffer_load_dword v123, off, s[0:3], 0 offset:608
	s_waitcnt vmcnt(58) lgkmcnt(0)
	v_mul_f64 v[187:188], v[7:8], v[189:190]
	ds_read_b128 v[1:4], v176 offset:1248
	v_mul_f64 v[183:184], v[5:6], v[189:190]
	s_waitcnt vmcnt(56)
	v_fma_f64 v[121:122], v[115:116], v[179:180], -v[121:122]
	v_add_f64 v[127:128], v[127:128], v[169:170]
	v_fma_f64 v[169:170], v[117:118], v[179:180], v[198:199]
	v_add_f64 v[119:120], v[119:120], v[163:164]
	s_clause 0x4
	buffer_load_dword v164, off, s[0:3], 0 offset:652
	buffer_load_dword v179, off, s[0:3], 0 offset:664
	;; [unrolled: 1-line block ×5, first 2 shown]
	ds_read_b128 v[115:118], v176 offset:1264
	s_waitcnt vmcnt(57) lgkmcnt(1)
	v_mul_f64 v[198:199], v[1:2], v[139:140]
	v_mul_f64 v[139:140], v[3:4], v[139:140]
	s_waitcnt vmcnt(56)
	v_fma_f64 v[187:188], v[5:6], v[194:195], -v[187:188]
	v_add_f64 v[121:122], v[127:128], v[121:122]
	v_fma_f64 v[127:128], v[7:8], v[194:195], v[183:184]
	v_add_f64 v[119:120], v[119:120], v[169:170]
	s_clause 0x2
	buffer_load_dword v180, off, s[0:3], 0 offset:668
	buffer_load_dword v170, off, s[0:3], 0 offset:644
	;; [unrolled: 1-line block ×3, first 2 shown]
	ds_read_b128 v[5:8], v176 offset:1280
	s_waitcnt vmcnt(58) lgkmcnt(1)
	v_mul_f64 v[183:184], v[115:116], v[181:182]
	v_mul_f64 v[181:182], v[117:118], v[181:182]
	s_waitcnt vmcnt(56)
	v_fma_f64 v[139:140], v[1:2], v[133:134], -v[139:140]
	v_fma_f64 v[133:134], v[3:4], v[133:134], v[198:199]
	v_add_f64 v[121:122], v[121:122], v[187:188]
	v_add_f64 v[119:120], v[119:120], v[127:128]
	s_clause 0x4
	buffer_load_dword v128, off, s[0:3], 0 offset:684
	buffer_load_dword v187, off, s[0:3], 0 offset:696
	;; [unrolled: 1-line block ×5, first 2 shown]
	ds_read_b128 v[1:4], v176 offset:1296
	s_waitcnt vmcnt(57) lgkmcnt(1)
	v_mul_f64 v[194:195], v[5:6], v[125:126]
	v_mul_f64 v[125:126], v[7:8], v[125:126]
	s_waitcnt vmcnt(56)
	v_fma_f64 v[181:182], v[115:116], v[196:197], -v[181:182]
	v_add_f64 v[121:122], v[121:122], v[139:140]
	v_fma_f64 v[139:140], v[117:118], v[196:197], v[183:184]
	v_add_f64 v[119:120], v[119:120], v[133:134]
	s_clause 0x2
	buffer_load_dword v188, off, s[0:3], 0 offset:700
	buffer_load_dword v134, off, s[0:3], 0 offset:676
	;; [unrolled: 1-line block ×3, first 2 shown]
	ds_read_b128 v[115:118], v176 offset:1312
	s_waitcnt vmcnt(58) lgkmcnt(1)
	v_mul_f64 v[183:184], v[1:2], v[143:144]
	v_mul_f64 v[143:144], v[3:4], v[143:144]
	s_waitcnt vmcnt(56)
	v_fma_f64 v[125:126], v[5:6], v[131:132], -v[125:126]
	v_fma_f64 v[131:132], v[7:8], v[131:132], v[194:195]
	v_add_f64 v[121:122], v[121:122], v[181:182]
	v_add_f64 v[119:120], v[119:120], v[139:140]
	s_clause 0x4
	buffer_load_dword v140, off, s[0:3], 0 offset:716
	buffer_load_dword v181, off, s[0:3], 0 offset:728
	;; [unrolled: 1-line block ×5, first 2 shown]
	ds_read_b128 v[5:8], v176 offset:1328
	s_waitcnt vmcnt(57) lgkmcnt(1)
	v_mul_f64 v[196:197], v[115:116], v[129:130]
	v_mul_f64 v[129:130], v[117:118], v[129:130]
	s_waitcnt vmcnt(56)
	v_fma_f64 v[143:144], v[1:2], v[191:192], -v[143:144]
	v_add_f64 v[121:122], v[121:122], v[125:126]
	v_fma_f64 v[125:126], v[3:4], v[191:192], v[183:184]
	v_add_f64 v[119:120], v[119:120], v[131:132]
	s_clause 0x2
	buffer_load_dword v182, off, s[0:3], 0 offset:732
	buffer_load_dword v132, off, s[0:3], 0 offset:708
	buffer_load_dword v131, off, s[0:3], 0 offset:704
	s_waitcnt vmcnt(58) lgkmcnt(0)
	v_mul_f64 v[183:184], v[5:6], v[151:152]
	v_mul_f64 v[151:152], v[7:8], v[151:152]
	ds_read_b128 v[1:4], v176 offset:1344
	s_waitcnt vmcnt(56)
	v_fma_f64 v[129:130], v[115:116], v[137:138], -v[129:130]
	v_fma_f64 v[137:138], v[117:118], v[137:138], v[196:197]
	v_add_f64 v[121:122], v[121:122], v[143:144]
	v_add_f64 v[119:120], v[119:120], v[125:126]
	s_clause 0x4
	buffer_load_dword v126, off, s[0:3], 0 offset:748
	buffer_load_dword v143, off, s[0:3], 0 offset:760
	;; [unrolled: 1-line block ×5, first 2 shown]
	ds_read_b128 v[115:118], v176 offset:1360
	s_waitcnt vmcnt(57) lgkmcnt(1)
	v_mul_f64 v[197:198], v[1:2], v[135:136]
	v_mul_f64 v[135:136], v[3:4], v[135:136]
	s_waitcnt vmcnt(56)
	v_fma_f64 v[151:152], v[5:6], v[177:178], -v[151:152]
	v_add_f64 v[121:122], v[121:122], v[129:130]
	v_fma_f64 v[129:130], v[7:8], v[177:178], v[183:184]
	v_add_f64 v[119:120], v[119:120], v[137:138]
	s_clause 0x2
	buffer_load_dword v144, off, s[0:3], 0 offset:764
	buffer_load_dword v138, off, s[0:3], 0 offset:740
	;; [unrolled: 1-line block ×3, first 2 shown]
	s_waitcnt vmcnt(58) lgkmcnt(0)
	v_mul_f64 v[177:178], v[115:116], v[157:158]
	v_mul_f64 v[157:158], v[117:118], v[157:158]
	ds_read_b128 v[5:8], v176 offset:1376
	s_waitcnt vmcnt(56)
	v_fma_f64 v[135:136], v[1:2], v[147:148], -v[135:136]
	v_fma_f64 v[147:148], v[3:4], v[147:148], v[197:198]
	v_add_f64 v[121:122], v[121:122], v[151:152]
	v_add_f64 v[119:120], v[119:120], v[129:130]
	s_clause 0x4
	buffer_load_dword v130, off, s[0:3], 0 offset:780
	buffer_load_dword v151, off, s[0:3], 0 offset:792
	buffer_load_dword v183, off, s[0:3], 0 offset:784
	buffer_load_dword v129, off, s[0:3], 0 offset:776
	buffer_load_dword v192, off, s[0:3], 0 offset:756
	ds_read_b128 v[1:4], v176 offset:1392
	s_waitcnt vmcnt(57) lgkmcnt(1)
	v_mul_f64 v[197:198], v[5:6], v[141:142]
	v_mul_f64 v[141:142], v[7:8], v[141:142]
	s_waitcnt vmcnt(56)
	v_fma_f64 v[157:158], v[115:116], v[159:160], -v[157:158]
	v_add_f64 v[121:122], v[121:122], v[135:136]
	v_fma_f64 v[135:136], v[117:118], v[159:160], v[177:178]
	v_add_f64 v[119:120], v[119:120], v[147:148]
	s_clause 0x2
	buffer_load_dword v152, off, s[0:3], 0 offset:796
	buffer_load_dword v148, off, s[0:3], 0 offset:772
	;; [unrolled: 1-line block ×3, first 2 shown]
	ds_read_b128 v[115:118], v176 offset:1408
	s_waitcnt vmcnt(58) lgkmcnt(1)
	v_mul_f64 v[159:160], v[1:2], v[165:166]
	v_mul_f64 v[165:166], v[3:4], v[165:166]
	s_waitcnt vmcnt(56)
	v_fma_f64 v[141:142], v[5:6], v[145:146], -v[141:142]
	v_fma_f64 v[145:146], v[7:8], v[145:146], v[197:198]
	v_add_f64 v[121:122], v[121:122], v[157:158]
	v_add_f64 v[119:120], v[119:120], v[135:136]
	s_clause 0x4
	buffer_load_dword v136, off, s[0:3], 0 offset:812
	buffer_load_dword v157, off, s[0:3], 0 offset:824
	;; [unrolled: 1-line block ×5, first 2 shown]
	ds_read_b128 v[5:8], v176 offset:1424
	s_waitcnt vmcnt(57) lgkmcnt(1)
	v_mul_f64 v[197:198], v[115:116], v[149:150]
	v_mul_f64 v[149:150], v[117:118], v[149:150]
	s_waitcnt vmcnt(56)
	v_fma_f64 v[165:166], v[1:2], v[167:168], -v[165:166]
	v_add_f64 v[121:122], v[121:122], v[141:142]
	v_fma_f64 v[141:142], v[3:4], v[167:168], v[159:160]
	v_add_f64 v[119:120], v[119:120], v[145:146]
	s_clause 0x2
	buffer_load_dword v158, off, s[0:3], 0 offset:828
	buffer_load_dword v146, off, s[0:3], 0 offset:804
	;; [unrolled: 1-line block ×3, first 2 shown]
	ds_read_b128 v[1:4], v176 offset:1440
	s_waitcnt vmcnt(58) lgkmcnt(1)
	v_mul_f64 v[167:168], v[7:8], v[171:172]
	v_mul_f64 v[159:160], v[5:6], v[171:172]
	s_waitcnt vmcnt(56)
	v_fma_f64 v[149:150], v[115:116], v[153:154], -v[149:150]
	v_fma_f64 v[153:154], v[117:118], v[153:154], v[197:198]
	v_add_f64 v[121:122], v[121:122], v[165:166]
	v_add_f64 v[119:120], v[119:120], v[141:142]
	s_clause 0x4
	buffer_load_dword v142, off, s[0:3], 0 offset:844
	buffer_load_dword v165, off, s[0:3], 0 offset:856
	;; [unrolled: 1-line block ×5, first 2 shown]
	ds_read_b128 v[115:118], v176 offset:1456
	s_waitcnt vmcnt(57) lgkmcnt(1)
	v_mul_f64 v[197:198], v[1:2], v[155:156]
	v_mul_f64 v[155:156], v[3:4], v[155:156]
	s_waitcnt vmcnt(56)
	v_fma_f64 v[167:168], v[5:6], v[173:174], -v[167:168]
	v_add_f64 v[121:122], v[121:122], v[149:150]
	v_fma_f64 v[149:150], v[7:8], v[173:174], v[159:160]
	v_add_f64 v[119:120], v[119:120], v[153:154]
	s_clause 0x2
	buffer_load_dword v166, off, s[0:3], 0 offset:860
	buffer_load_dword v154, off, s[0:3], 0 offset:836
	;; [unrolled: 1-line block ×3, first 2 shown]
	ds_read_b128 v[5:8], v176 offset:1472
	buffer_load_dword v172, off, s[0:3], 0 offset:852
	s_waitcnt vmcnt(59) lgkmcnt(1)
	v_mul_f64 v[159:160], v[115:116], v[161:162]
	v_mul_f64 v[161:162], v[117:118], v[161:162]
	s_waitcnt vmcnt(57)
	v_fma_f64 v[155:156], v[1:2], v[123:124], -v[155:156]
	v_fma_f64 v[123:124], v[3:4], v[123:124], v[197:198]
	ds_read_b128 v[1:4], v176 offset:1488
	v_add_f64 v[121:122], v[121:122], v[167:168]
	v_add_f64 v[119:120], v[119:120], v[149:150]
	s_waitcnt vmcnt(53) lgkmcnt(1)
	v_mul_f64 v[149:150], v[5:6], v[163:164]
	v_mul_f64 v[163:164], v[7:8], v[163:164]
	s_waitcnt vmcnt(52)
	v_fma_f64 v[161:162], v[115:116], v[185:186], -v[161:162]
	v_add_f64 v[121:122], v[121:122], v[155:156]
	v_fma_f64 v[155:156], v[117:118], v[185:186], v[159:160]
	v_add_f64 v[119:120], v[119:120], v[123:124]
	ds_read_b128 v[115:118], v176 offset:1504
	s_waitcnt vmcnt(51) lgkmcnt(1)
	v_mul_f64 v[159:160], v[3:4], v[179:180]
	v_mul_f64 v[123:124], v[1:2], v[179:180]
	s_waitcnt vmcnt(49)
	v_fma_f64 v[163:164], v[5:6], v[169:170], -v[163:164]
	v_fma_f64 v[149:150], v[7:8], v[169:170], v[149:150]
	v_add_f64 v[121:122], v[121:122], v[161:162]
	v_add_f64 v[119:120], v[119:120], v[155:156]
	s_clause 0x3
	buffer_load_dword v155, off, s[0:3], 0 offset:96
	buffer_load_dword v156, off, s[0:3], 0 offset:100
	;; [unrolled: 1-line block ×4, first 2 shown]
	ds_read_b128 v[5:8], v176 offset:1520
	s_waitcnt vmcnt(49) lgkmcnt(1)
	v_mul_f64 v[167:168], v[115:116], v[127:128]
	v_mul_f64 v[127:128], v[117:118], v[127:128]
	s_waitcnt vmcnt(48)
	v_fma_f64 v[159:160], v[1:2], v[189:190], -v[159:160]
	v_fma_f64 v[123:124], v[3:4], v[189:190], v[123:124]
	ds_read_b128 v[1:4], v176 offset:1536
	v_add_f64 v[121:122], v[121:122], v[163:164]
	v_add_f64 v[119:120], v[119:120], v[149:150]
	s_waitcnt vmcnt(47) lgkmcnt(1)
	v_mul_f64 v[163:164], v[7:8], v[187:188]
	v_mul_f64 v[149:150], v[5:6], v[187:188]
	s_waitcnt vmcnt(45)
	v_fma_f64 v[127:128], v[115:116], v[133:134], -v[127:128]
	v_fma_f64 v[133:134], v[117:118], v[133:134], v[167:168]
	ds_read_b128 v[115:118], v176 offset:1552
	v_add_f64 v[121:122], v[121:122], v[159:160]
	v_add_f64 v[119:120], v[119:120], v[123:124]
	s_waitcnt vmcnt(41) lgkmcnt(1)
	v_mul_f64 v[123:124], v[1:2], v[139:140]
	v_mul_f64 v[139:140], v[3:4], v[139:140]
	s_waitcnt vmcnt(40)
	v_fma_f64 v[159:160], v[5:6], v[193:194], -v[163:164]
	v_add_f64 v[121:122], v[121:122], v[127:128]
	v_fma_f64 v[127:128], v[7:8], v[193:194], v[149:150]
	v_add_f64 v[119:120], v[119:120], v[133:134]
	ds_read_b128 v[5:8], v176 offset:1568
	s_waitcnt vmcnt(39) lgkmcnt(1)
	v_mul_f64 v[149:150], v[117:118], v[181:182]
	v_mul_f64 v[133:134], v[115:116], v[181:182]
	s_waitcnt vmcnt(37)
	v_fma_f64 v[139:140], v[1:2], v[131:132], -v[139:140]
	v_fma_f64 v[123:124], v[3:4], v[131:132], v[123:124]
	ds_read_b128 v[1:4], v176 offset:1584
	v_add_f64 v[121:122], v[121:122], v[159:160]
	v_add_f64 v[119:120], v[119:120], v[127:128]
	s_waitcnt vmcnt(33) lgkmcnt(1)
	v_mul_f64 v[127:128], v[5:6], v[125:126]
	v_mul_f64 v[125:126], v[7:8], v[125:126]
	s_waitcnt vmcnt(32)
	v_fma_f64 v[131:132], v[115:116], v[195:196], -v[149:150]
	v_fma_f64 v[133:134], v[117:118], v[195:196], v[133:134]
	ds_read_b128 v[115:118], v176 offset:1600
	v_add_f64 v[121:122], v[121:122], v[139:140]
	v_add_f64 v[119:120], v[119:120], v[123:124]
	;; [unrolled: 9-line block ×5, first 2 shown]
	s_waitcnt vmcnt(17) lgkmcnt(1)
	v_mul_f64 v[133:134], v[3:4], v[135:136]
	s_waitcnt vmcnt(16)
	v_fma_f64 v[127:128], v[5:6], v[183:184], -v[127:128]
	v_mul_f64 v[123:124], v[1:2], v[135:136]
	v_fma_f64 v[125:126], v[7:8], v[183:184], v[125:126]
	ds_read_b128 v[5:8], v176 offset:1664
	v_add_f64 v[121:122], v[121:122], v[129:130]
	v_add_f64 v[119:120], v[119:120], v[131:132]
	s_waitcnt vmcnt(15) lgkmcnt(1)
	v_mul_f64 v[131:132], v[117:118], v[157:158]
	v_mul_f64 v[129:130], v[115:116], v[157:158]
	s_waitcnt vmcnt(13)
	v_fma_f64 v[133:134], v[1:2], v[145:146], -v[133:134]
	v_fma_f64 v[123:124], v[3:4], v[145:146], v[123:124]
	ds_read_b128 v[1:4], v176 offset:1680
	v_add_f64 v[121:122], v[121:122], v[127:128]
	v_add_f64 v[119:120], v[119:120], v[125:126]
	s_waitcnt vmcnt(9) lgkmcnt(1)
	v_mul_f64 v[127:128], v[7:8], v[141:142]
	s_waitcnt vmcnt(8)
	v_fma_f64 v[115:116], v[115:116], v[177:178], -v[131:132]
	v_mul_f64 v[125:126], v[5:6], v[141:142]
	v_fma_f64 v[117:118], v[117:118], v[177:178], v[129:130]
	v_add_f64 v[121:122], v[121:122], v[133:134]
	v_add_f64 v[119:120], v[119:120], v[123:124]
	s_waitcnt vmcnt(7) lgkmcnt(0)
	v_mul_f64 v[129:130], v[3:4], v[165:166]
	v_mul_f64 v[123:124], v[1:2], v[165:166]
	s_waitcnt vmcnt(5)
	v_fma_f64 v[5:6], v[5:6], v[153:154], -v[127:128]
	v_fma_f64 v[7:8], v[7:8], v[153:154], v[125:126]
	v_add_f64 v[115:116], v[121:122], v[115:116]
	v_add_f64 v[117:118], v[119:120], v[117:118]
	s_waitcnt vmcnt(4)
	v_fma_f64 v[1:2], v[1:2], v[171:172], -v[129:130]
	v_fma_f64 v[3:4], v[3:4], v[171:172], v[123:124]
	v_add_f64 v[5:6], v[115:116], v[5:6]
	v_add_f64 v[7:8], v[117:118], v[7:8]
	;; [unrolled: 1-line block ×4, first 2 shown]
	s_waitcnt vmcnt(2)
	v_add_f64 v[1:2], v[155:156], -v[1:2]
	s_waitcnt vmcnt(0)
	v_add_f64 v[3:4], v[161:162], -v[3:4]
	buffer_store_dword v2, off, s[0:3], 0 offset:100
	buffer_store_dword v1, off, s[0:3], 0 offset:96
	buffer_store_dword v4, off, s[0:3], 0 offset:108
	buffer_store_dword v3, off, s[0:3], 0 offset:104
	v_cmpx_lt_u32_e32 4, v0
	s_cbranch_execz .LBB116_323
; %bb.322:
	v_mov_b32_e32 v4, s61
	s_clause 0x3
	buffer_load_dword v1, v4, s[0:3], 0 offen
	buffer_load_dword v2, v4, s[0:3], 0 offen offset:4
	buffer_load_dword v3, v4, s[0:3], 0 offen offset:8
	;; [unrolled: 1-line block ×3, first 2 shown]
	buffer_store_dword v176, off, s[0:3], 0 offset:80
	buffer_store_dword v176, off, s[0:3], 0 offset:84
	;; [unrolled: 1-line block ×4, first 2 shown]
	s_waitcnt vmcnt(0)
	ds_write_b128 v175, v[1:4]
.LBB116_323:
	s_or_b32 exec_lo, exec_lo, s4
	s_waitcnt lgkmcnt(0)
	s_waitcnt_vscnt null, 0x0
	s_barrier
	buffer_gl0_inv
	s_clause 0x37
	buffer_load_dword v123, off, s[0:3], 0 offset:104
	buffer_load_dword v124, off, s[0:3], 0 offset:108
	;; [unrolled: 1-line block ×56, first 2 shown]
	ds_read_b128 v[5:8], v176 offset:928
	s_clause 0x2
	buffer_load_dword v172, off, s[0:3], 0 offset:332
	buffer_load_dword v174, off, s[0:3], 0 offset:308
	;; [unrolled: 1-line block ×3, first 2 shown]
	ds_read_b128 v[1:4], v176 offset:944
	s_clause 0x4
	buffer_load_dword v184, off, s[0:3], 0 offset:348
	buffer_load_dword v185, off, s[0:3], 0 offset:360
	;; [unrolled: 1-line block ×5, first 2 shown]
	ds_read_b128 v[177:180], v176 offset:960
	s_mov_b32 s4, exec_lo
	s_waitcnt vmcnt(62) lgkmcnt(2)
	v_mul_f64 v[181:182], v[7:8], v[123:124]
	v_mul_f64 v[123:124], v[5:6], v[123:124]
	s_waitcnt vmcnt(60) lgkmcnt(1)
	v_mul_f64 v[188:189], v[3:4], v[119:120]
	v_mul_f64 v[119:120], v[1:2], v[119:120]
	s_waitcnt vmcnt(56) lgkmcnt(0)
	v_mul_f64 v[190:191], v[177:178], v[117:118]
	v_mul_f64 v[117:118], v[179:180], v[117:118]
	v_fma_f64 v[181:182], v[5:6], v[121:122], -v[181:182]
	v_fma_f64 v[121:122], v[7:8], v[121:122], v[123:124]
	s_clause 0x2
	buffer_load_dword v186, off, s[0:3], 0 offset:364
	buffer_load_dword v124, off, s[0:3], 0 offset:340
	;; [unrolled: 1-line block ×3, first 2 shown]
	s_waitcnt vmcnt(57)
	v_fma_f64 v[192:193], v[1:2], v[115:116], -v[188:189]
	ds_read_b128 v[5:8], v176 offset:976
	v_fma_f64 v[115:116], v[3:4], v[115:116], v[119:120]
	s_waitcnt vmcnt(51)
	v_fma_f64 v[177:178], v[177:178], v[139:140], -v[117:118]
	v_fma_f64 v[139:140], v[179:180], v[139:140], v[190:191]
	v_add_f64 v[181:182], v[181:182], 0
	v_add_f64 v[119:120], v[121:122], 0
	s_clause 0x4
	buffer_load_dword v122, off, s[0:3], 0 offset:380
	buffer_load_dword v189, off, s[0:3], 0 offset:392
	;; [unrolled: 1-line block ×5, first 2 shown]
	s_waitcnt lgkmcnt(0)
	v_mul_f64 v[195:196], v[5:6], v[127:128]
	v_mul_f64 v[127:128], v[7:8], v[127:128]
	ds_read_b128 v[1:4], v176 offset:992
	s_clause 0x2
	buffer_load_dword v190, off, s[0:3], 0 offset:396
	buffer_load_dword v180, off, s[0:3], 0 offset:372
	buffer_load_dword v179, off, s[0:3], 0 offset:368
	v_add_f64 v[181:182], v[181:182], v[192:193]
	v_add_f64 v[119:120], v[119:120], v[115:116]
	ds_read_b128 v[115:118], v176 offset:1008
	s_waitcnt vmcnt(58) lgkmcnt(1)
	v_mul_f64 v[191:192], v[1:2], v[131:132]
	v_mul_f64 v[131:132], v[3:4], v[131:132]
	s_waitcnt vmcnt(56)
	v_fma_f64 v[127:128], v[5:6], v[133:134], -v[127:128]
	v_fma_f64 v[133:134], v[7:8], v[133:134], v[195:196]
	s_waitcnt vmcnt(52) lgkmcnt(0)
	v_mul_f64 v[197:198], v[115:116], v[135:136]
	v_add_f64 v[177:178], v[181:182], v[177:178]
	v_add_f64 v[119:120], v[119:120], v[139:140]
	s_clause 0x4
	buffer_load_dword v140, off, s[0:3], 0 offset:412
	buffer_load_dword v181, off, s[0:3], 0 offset:424
	;; [unrolled: 1-line block ×5, first 2 shown]
	v_mul_f64 v[135:136], v[117:118], v[135:136]
	s_waitcnt vmcnt(56)
	v_fma_f64 v[131:132], v[1:2], v[125:126], -v[131:132]
	ds_read_b128 v[5:8], v176 offset:1024
	v_fma_f64 v[125:126], v[3:4], v[125:126], v[191:192]
	v_add_f64 v[127:128], v[177:178], v[127:128]
	v_add_f64 v[119:120], v[119:120], v[133:134]
	s_clause 0x2
	buffer_load_dword v182, off, s[0:3], 0 offset:428
	buffer_load_dword v134, off, s[0:3], 0 offset:404
	;; [unrolled: 1-line block ×3, first 2 shown]
	s_waitcnt vmcnt(58) lgkmcnt(0)
	v_mul_f64 v[177:178], v[5:6], v[141:142]
	v_mul_f64 v[141:142], v[7:8], v[141:142]
	s_waitcnt vmcnt(56)
	v_fma_f64 v[135:136], v[115:116], v[143:144], -v[135:136]
	ds_read_b128 v[1:4], v176 offset:1040
	v_add_f64 v[127:128], v[127:128], v[131:132]
	v_fma_f64 v[131:132], v[117:118], v[143:144], v[197:198]
	v_add_f64 v[119:120], v[119:120], v[125:126]
	s_clause 0x4
	buffer_load_dword v126, off, s[0:3], 0 offset:444
	buffer_load_dword v143, off, s[0:3], 0 offset:456
	buffer_load_dword v191, off, s[0:3], 0 offset:448
	buffer_load_dword v125, off, s[0:3], 0 offset:440
	buffer_load_dword v197, off, s[0:3], 0 offset:420
	s_waitcnt vmcnt(57) lgkmcnt(0)
	v_mul_f64 v[192:193], v[1:2], v[145:146]
	v_mul_f64 v[145:146], v[3:4], v[145:146]
	s_waitcnt vmcnt(56)
	v_fma_f64 v[141:142], v[5:6], v[129:130], -v[141:142]
	ds_read_b128 v[115:118], v176 offset:1056
	v_fma_f64 v[129:130], v[7:8], v[129:130], v[177:178]
	v_add_f64 v[127:128], v[127:128], v[135:136]
	v_add_f64 v[119:120], v[119:120], v[131:132]
	s_clause 0x2
	buffer_load_dword v144, off, s[0:3], 0 offset:460
	buffer_load_dword v132, off, s[0:3], 0 offset:436
	;; [unrolled: 1-line block ×3, first 2 shown]
	ds_read_b128 v[5:8], v176 offset:1072
	s_waitcnt vmcnt(58) lgkmcnt(1)
	v_mul_f64 v[135:136], v[115:116], v[149:150]
	v_mul_f64 v[149:150], v[117:118], v[149:150]
	s_waitcnt vmcnt(56)
	v_fma_f64 v[145:146], v[1:2], v[151:152], -v[145:146]
	v_add_f64 v[127:128], v[127:128], v[141:142]
	v_fma_f64 v[141:142], v[3:4], v[151:152], v[192:193]
	v_add_f64 v[119:120], v[119:120], v[129:130]
	s_clause 0x4
	buffer_load_dword v130, off, s[0:3], 0 offset:476
	buffer_load_dword v151, off, s[0:3], 0 offset:488
	;; [unrolled: 1-line block ×5, first 2 shown]
	s_waitcnt vmcnt(57) lgkmcnt(0)
	v_mul_f64 v[198:199], v[5:6], v[153:154]
	v_mul_f64 v[153:154], v[7:8], v[153:154]
	s_waitcnt vmcnt(56)
	v_fma_f64 v[149:150], v[115:116], v[137:138], -v[149:150]
	ds_read_b128 v[1:4], v176 offset:1088
	v_fma_f64 v[135:136], v[117:118], v[137:138], v[135:136]
	s_clause 0x2
	buffer_load_dword v152, off, s[0:3], 0 offset:492
	buffer_load_dword v138, off, s[0:3], 0 offset:468
	;; [unrolled: 1-line block ×3, first 2 shown]
	ds_read_b128 v[115:118], v176 offset:1104
	v_add_f64 v[127:128], v[127:128], v[145:146]
	v_add_f64 v[119:120], v[119:120], v[141:142]
	s_waitcnt vmcnt(58) lgkmcnt(1)
	v_mul_f64 v[145:146], v[3:4], v[157:158]
	s_waitcnt vmcnt(56)
	v_fma_f64 v[153:154], v[5:6], v[159:160], -v[153:154]
	v_mul_f64 v[141:142], v[1:2], v[157:158]
	v_add_f64 v[127:128], v[127:128], v[149:150]
	v_fma_f64 v[149:150], v[7:8], v[159:160], v[198:199]
	v_add_f64 v[119:120], v[119:120], v[135:136]
	s_clause 0x4
	buffer_load_dword v136, off, s[0:3], 0 offset:508
	buffer_load_dword v157, off, s[0:3], 0 offset:520
	;; [unrolled: 1-line block ×5, first 2 shown]
	s_waitcnt vmcnt(57) lgkmcnt(0)
	v_mul_f64 v[198:199], v[115:116], v[161:162]
	v_mul_f64 v[160:161], v[117:118], v[161:162]
	s_waitcnt vmcnt(56)
	v_fma_f64 v[145:146], v[1:2], v[147:148], -v[145:146]
	ds_read_b128 v[5:8], v176 offset:1120
	v_fma_f64 v[141:142], v[3:4], v[147:148], v[141:142]
	s_clause 0x2
	buffer_load_dword v158, off, s[0:3], 0 offset:524
	buffer_load_dword v148, off, s[0:3], 0 offset:500
	;; [unrolled: 1-line block ×3, first 2 shown]
	ds_read_b128 v[1:4], v176 offset:1136
	v_add_f64 v[127:128], v[127:128], v[153:154]
	v_add_f64 v[119:120], v[119:120], v[149:150]
	s_waitcnt vmcnt(58) lgkmcnt(1)
	v_mul_f64 v[153:154], v[7:8], v[165:166]
	s_waitcnt vmcnt(56)
	v_fma_f64 v[161:162], v[115:116], v[167:168], -v[160:161]
	v_mul_f64 v[149:150], v[5:6], v[165:166]
	v_add_f64 v[127:128], v[127:128], v[145:146]
	v_fma_f64 v[145:146], v[117:118], v[167:168], v[198:199]
	v_add_f64 v[119:120], v[119:120], v[141:142]
	s_clause 0x4
	buffer_load_dword v142, off, s[0:3], 0 offset:540
	buffer_load_dword v165, off, s[0:3], 0 offset:552
	;; [unrolled: 1-line block ×5, first 2 shown]
	s_waitcnt vmcnt(57) lgkmcnt(0)
	v_mul_f64 v[198:199], v[1:2], v[169:170]
	v_mul_f64 v[168:169], v[3:4], v[169:170]
	s_waitcnt vmcnt(56)
	v_fma_f64 v[153:154], v[5:6], v[155:156], -v[153:154]
	ds_read_b128 v[115:118], v176 offset:1152
	v_fma_f64 v[149:150], v[7:8], v[155:156], v[149:150]
	v_add_f64 v[127:128], v[127:128], v[161:162]
	v_add_f64 v[119:120], v[119:120], v[145:146]
	s_clause 0x2
	buffer_load_dword v166, off, s[0:3], 0 offset:556
	buffer_load_dword v146, off, s[0:3], 0 offset:532
	;; [unrolled: 1-line block ×3, first 2 shown]
	ds_read_b128 v[5:8], v176 offset:1168
	s_waitcnt vmcnt(58) lgkmcnt(1)
	v_mul_f64 v[161:162], v[117:118], v[171:172]
	s_waitcnt vmcnt(56)
	v_fma_f64 v[169:170], v[1:2], v[173:174], -v[168:169]
	v_mul_f64 v[155:156], v[115:116], v[171:172]
	v_add_f64 v[127:128], v[127:128], v[153:154]
	v_fma_f64 v[153:154], v[3:4], v[173:174], v[198:199]
	v_add_f64 v[119:120], v[119:120], v[149:150]
	s_clause 0x4
	buffer_load_dword v150, off, s[0:3], 0 offset:572
	buffer_load_dword v171, off, s[0:3], 0 offset:584
	buffer_load_dword v173, off, s[0:3], 0 offset:576
	buffer_load_dword v149, off, s[0:3], 0 offset:568
	buffer_load_dword v168, off, s[0:3], 0 offset:548
	s_waitcnt vmcnt(57) lgkmcnt(0)
	v_mul_f64 v[198:199], v[5:6], v[183:184]
	v_mul_f64 v[183:184], v[7:8], v[183:184]
	s_waitcnt vmcnt(56)
	v_fma_f64 v[161:162], v[115:116], v[163:164], -v[161:162]
	ds_read_b128 v[1:4], v176 offset:1184
	v_fma_f64 v[155:156], v[117:118], v[163:164], v[155:156]
	v_add_f64 v[127:128], v[127:128], v[169:170]
	v_add_f64 v[119:120], v[119:120], v[153:154]
	s_clause 0x2
	buffer_load_dword v172, off, s[0:3], 0 offset:588
	buffer_load_dword v154, off, s[0:3], 0 offset:564
	buffer_load_dword v153, off, s[0:3], 0 offset:560
	ds_read_b128 v[115:118], v176 offset:1200
	s_waitcnt vmcnt(58) lgkmcnt(1)
	v_mul_f64 v[169:170], v[3:4], v[185:186]
	v_mul_f64 v[163:164], v[1:2], v[185:186]
	s_waitcnt vmcnt(56)
	v_fma_f64 v[183:184], v[5:6], v[123:124], -v[183:184]
	v_fma_f64 v[123:124], v[7:8], v[123:124], v[198:199]
	v_add_f64 v[127:128], v[127:128], v[161:162]
	v_add_f64 v[119:120], v[119:120], v[155:156]
	s_clause 0x4
	buffer_load_dword v156, off, s[0:3], 0 offset:604
	buffer_load_dword v161, off, s[0:3], 0 offset:616
	;; [unrolled: 1-line block ×5, first 2 shown]
	ds_read_b128 v[5:8], v176 offset:1216
	s_waitcnt vmcnt(57) lgkmcnt(1)
	v_mul_f64 v[198:199], v[115:116], v[121:122]
	v_mul_f64 v[121:122], v[117:118], v[121:122]
	s_waitcnt vmcnt(56)
	v_fma_f64 v[169:170], v[1:2], v[187:188], -v[169:170]
	v_fma_f64 v[163:164], v[3:4], v[187:188], v[163:164]
	v_add_f64 v[127:128], v[127:128], v[183:184]
	v_add_f64 v[119:120], v[119:120], v[123:124]
	s_clause 0x2
	buffer_load_dword v162, off, s[0:3], 0 offset:620
	buffer_load_dword v124, off, s[0:3], 0 offset:596
	;; [unrolled: 1-line block ×3, first 2 shown]
	s_waitcnt vmcnt(58) lgkmcnt(0)
	v_mul_f64 v[187:188], v[7:8], v[189:190]
	ds_read_b128 v[1:4], v176 offset:1232
	v_mul_f64 v[183:184], v[5:6], v[189:190]
	s_waitcnt vmcnt(56)
	v_fma_f64 v[121:122], v[115:116], v[179:180], -v[121:122]
	v_add_f64 v[127:128], v[127:128], v[169:170]
	v_fma_f64 v[169:170], v[117:118], v[179:180], v[198:199]
	v_add_f64 v[119:120], v[119:120], v[163:164]
	s_clause 0x4
	buffer_load_dword v164, off, s[0:3], 0 offset:636
	buffer_load_dword v179, off, s[0:3], 0 offset:648
	;; [unrolled: 1-line block ×5, first 2 shown]
	ds_read_b128 v[115:118], v176 offset:1248
	s_waitcnt vmcnt(57) lgkmcnt(1)
	v_mul_f64 v[198:199], v[1:2], v[139:140]
	v_mul_f64 v[139:140], v[3:4], v[139:140]
	s_waitcnt vmcnt(56)
	v_fma_f64 v[187:188], v[5:6], v[194:195], -v[187:188]
	v_add_f64 v[121:122], v[127:128], v[121:122]
	v_fma_f64 v[127:128], v[7:8], v[194:195], v[183:184]
	v_add_f64 v[119:120], v[119:120], v[169:170]
	s_clause 0x2
	buffer_load_dword v180, off, s[0:3], 0 offset:652
	buffer_load_dword v170, off, s[0:3], 0 offset:628
	;; [unrolled: 1-line block ×3, first 2 shown]
	ds_read_b128 v[5:8], v176 offset:1264
	s_waitcnt vmcnt(58) lgkmcnt(1)
	v_mul_f64 v[183:184], v[115:116], v[181:182]
	v_mul_f64 v[181:182], v[117:118], v[181:182]
	s_waitcnt vmcnt(56)
	v_fma_f64 v[139:140], v[1:2], v[133:134], -v[139:140]
	v_fma_f64 v[133:134], v[3:4], v[133:134], v[198:199]
	v_add_f64 v[121:122], v[121:122], v[187:188]
	v_add_f64 v[119:120], v[119:120], v[127:128]
	s_clause 0x4
	buffer_load_dword v128, off, s[0:3], 0 offset:668
	buffer_load_dword v187, off, s[0:3], 0 offset:680
	;; [unrolled: 1-line block ×5, first 2 shown]
	ds_read_b128 v[1:4], v176 offset:1280
	s_waitcnt vmcnt(57) lgkmcnt(1)
	v_mul_f64 v[194:195], v[5:6], v[125:126]
	v_mul_f64 v[125:126], v[7:8], v[125:126]
	s_waitcnt vmcnt(56)
	v_fma_f64 v[181:182], v[115:116], v[196:197], -v[181:182]
	v_add_f64 v[121:122], v[121:122], v[139:140]
	v_fma_f64 v[139:140], v[117:118], v[196:197], v[183:184]
	v_add_f64 v[119:120], v[119:120], v[133:134]
	s_clause 0x2
	buffer_load_dword v188, off, s[0:3], 0 offset:684
	buffer_load_dword v134, off, s[0:3], 0 offset:660
	;; [unrolled: 1-line block ×3, first 2 shown]
	ds_read_b128 v[115:118], v176 offset:1296
	s_waitcnt vmcnt(58) lgkmcnt(1)
	v_mul_f64 v[183:184], v[1:2], v[143:144]
	v_mul_f64 v[143:144], v[3:4], v[143:144]
	s_waitcnt vmcnt(56)
	v_fma_f64 v[125:126], v[5:6], v[131:132], -v[125:126]
	v_fma_f64 v[131:132], v[7:8], v[131:132], v[194:195]
	v_add_f64 v[121:122], v[121:122], v[181:182]
	v_add_f64 v[119:120], v[119:120], v[139:140]
	s_clause 0x4
	buffer_load_dword v140, off, s[0:3], 0 offset:700
	buffer_load_dword v181, off, s[0:3], 0 offset:712
	buffer_load_dword v195, off, s[0:3], 0 offset:704
	buffer_load_dword v139, off, s[0:3], 0 offset:696
	buffer_load_dword v194, off, s[0:3], 0 offset:676
	ds_read_b128 v[5:8], v176 offset:1312
	s_waitcnt vmcnt(57) lgkmcnt(1)
	v_mul_f64 v[196:197], v[115:116], v[129:130]
	v_mul_f64 v[129:130], v[117:118], v[129:130]
	s_waitcnt vmcnt(56)
	v_fma_f64 v[143:144], v[1:2], v[191:192], -v[143:144]
	v_add_f64 v[121:122], v[121:122], v[125:126]
	v_fma_f64 v[125:126], v[3:4], v[191:192], v[183:184]
	v_add_f64 v[119:120], v[119:120], v[131:132]
	s_clause 0x2
	buffer_load_dword v182, off, s[0:3], 0 offset:716
	buffer_load_dword v132, off, s[0:3], 0 offset:692
	;; [unrolled: 1-line block ×3, first 2 shown]
	s_waitcnt vmcnt(58) lgkmcnt(0)
	v_mul_f64 v[183:184], v[5:6], v[151:152]
	v_mul_f64 v[151:152], v[7:8], v[151:152]
	ds_read_b128 v[1:4], v176 offset:1328
	s_waitcnt vmcnt(56)
	v_fma_f64 v[129:130], v[115:116], v[137:138], -v[129:130]
	v_fma_f64 v[137:138], v[117:118], v[137:138], v[196:197]
	v_add_f64 v[121:122], v[121:122], v[143:144]
	v_add_f64 v[119:120], v[119:120], v[125:126]
	s_clause 0x4
	buffer_load_dword v126, off, s[0:3], 0 offset:732
	buffer_load_dword v143, off, s[0:3], 0 offset:744
	;; [unrolled: 1-line block ×5, first 2 shown]
	ds_read_b128 v[115:118], v176 offset:1344
	s_waitcnt vmcnt(57) lgkmcnt(1)
	v_mul_f64 v[197:198], v[1:2], v[135:136]
	v_mul_f64 v[135:136], v[3:4], v[135:136]
	s_waitcnt vmcnt(56)
	v_fma_f64 v[151:152], v[5:6], v[177:178], -v[151:152]
	v_add_f64 v[121:122], v[121:122], v[129:130]
	v_fma_f64 v[129:130], v[7:8], v[177:178], v[183:184]
	v_add_f64 v[119:120], v[119:120], v[137:138]
	s_clause 0x2
	buffer_load_dword v144, off, s[0:3], 0 offset:748
	buffer_load_dword v138, off, s[0:3], 0 offset:724
	;; [unrolled: 1-line block ×3, first 2 shown]
	s_waitcnt vmcnt(58) lgkmcnt(0)
	v_mul_f64 v[177:178], v[115:116], v[157:158]
	v_mul_f64 v[157:158], v[117:118], v[157:158]
	ds_read_b128 v[5:8], v176 offset:1360
	s_waitcnt vmcnt(56)
	v_fma_f64 v[135:136], v[1:2], v[147:148], -v[135:136]
	v_fma_f64 v[147:148], v[3:4], v[147:148], v[197:198]
	v_add_f64 v[121:122], v[121:122], v[151:152]
	v_add_f64 v[119:120], v[119:120], v[129:130]
	s_clause 0x4
	buffer_load_dword v130, off, s[0:3], 0 offset:764
	buffer_load_dword v151, off, s[0:3], 0 offset:776
	buffer_load_dword v183, off, s[0:3], 0 offset:768
	buffer_load_dword v129, off, s[0:3], 0 offset:760
	buffer_load_dword v192, off, s[0:3], 0 offset:740
	ds_read_b128 v[1:4], v176 offset:1376
	s_waitcnt vmcnt(57) lgkmcnt(1)
	v_mul_f64 v[197:198], v[5:6], v[141:142]
	v_mul_f64 v[141:142], v[7:8], v[141:142]
	s_waitcnt vmcnt(56)
	v_fma_f64 v[157:158], v[115:116], v[159:160], -v[157:158]
	v_add_f64 v[121:122], v[121:122], v[135:136]
	v_fma_f64 v[135:136], v[117:118], v[159:160], v[177:178]
	v_add_f64 v[119:120], v[119:120], v[147:148]
	s_clause 0x2
	buffer_load_dword v152, off, s[0:3], 0 offset:780
	buffer_load_dword v148, off, s[0:3], 0 offset:756
	buffer_load_dword v147, off, s[0:3], 0 offset:752
	ds_read_b128 v[115:118], v176 offset:1392
	s_waitcnt vmcnt(58) lgkmcnt(1)
	v_mul_f64 v[159:160], v[1:2], v[165:166]
	v_mul_f64 v[165:166], v[3:4], v[165:166]
	s_waitcnt vmcnt(56)
	v_fma_f64 v[141:142], v[5:6], v[145:146], -v[141:142]
	v_fma_f64 v[145:146], v[7:8], v[145:146], v[197:198]
	v_add_f64 v[121:122], v[121:122], v[157:158]
	v_add_f64 v[119:120], v[119:120], v[135:136]
	s_clause 0x4
	buffer_load_dword v136, off, s[0:3], 0 offset:796
	buffer_load_dword v157, off, s[0:3], 0 offset:808
	buffer_load_dword v177, off, s[0:3], 0 offset:800
	buffer_load_dword v135, off, s[0:3], 0 offset:792
	buffer_load_dword v184, off, s[0:3], 0 offset:772
	ds_read_b128 v[5:8], v176 offset:1408
	s_waitcnt vmcnt(57) lgkmcnt(1)
	v_mul_f64 v[197:198], v[115:116], v[149:150]
	v_mul_f64 v[149:150], v[117:118], v[149:150]
	s_waitcnt vmcnt(56)
	v_fma_f64 v[165:166], v[1:2], v[167:168], -v[165:166]
	v_add_f64 v[121:122], v[121:122], v[141:142]
	v_fma_f64 v[141:142], v[3:4], v[167:168], v[159:160]
	v_add_f64 v[119:120], v[119:120], v[145:146]
	s_clause 0x2
	buffer_load_dword v158, off, s[0:3], 0 offset:812
	buffer_load_dword v146, off, s[0:3], 0 offset:788
	buffer_load_dword v145, off, s[0:3], 0 offset:784
	ds_read_b128 v[1:4], v176 offset:1424
	s_waitcnt vmcnt(58) lgkmcnt(1)
	v_mul_f64 v[167:168], v[7:8], v[171:172]
	v_mul_f64 v[159:160], v[5:6], v[171:172]
	s_waitcnt vmcnt(56)
	v_fma_f64 v[149:150], v[115:116], v[153:154], -v[149:150]
	v_fma_f64 v[153:154], v[117:118], v[153:154], v[197:198]
	v_add_f64 v[121:122], v[121:122], v[165:166]
	v_add_f64 v[119:120], v[119:120], v[141:142]
	s_clause 0x4
	buffer_load_dword v142, off, s[0:3], 0 offset:828
	buffer_load_dword v165, off, s[0:3], 0 offset:840
	buffer_load_dword v171, off, s[0:3], 0 offset:832
	buffer_load_dword v141, off, s[0:3], 0 offset:824
	buffer_load_dword v178, off, s[0:3], 0 offset:804
	ds_read_b128 v[115:118], v176 offset:1440
	s_waitcnt vmcnt(57) lgkmcnt(1)
	v_mul_f64 v[197:198], v[1:2], v[155:156]
	v_mul_f64 v[155:156], v[3:4], v[155:156]
	s_waitcnt vmcnt(56)
	v_fma_f64 v[167:168], v[5:6], v[173:174], -v[167:168]
	v_add_f64 v[121:122], v[121:122], v[149:150]
	v_fma_f64 v[149:150], v[7:8], v[173:174], v[159:160]
	v_add_f64 v[119:120], v[119:120], v[153:154]
	s_clause 0x2
	buffer_load_dword v166, off, s[0:3], 0 offset:844
	buffer_load_dword v154, off, s[0:3], 0 offset:820
	buffer_load_dword v153, off, s[0:3], 0 offset:816
	ds_read_b128 v[5:8], v176 offset:1456
	s_waitcnt vmcnt(58) lgkmcnt(1)
	v_mul_f64 v[159:160], v[115:116], v[161:162]
	v_mul_f64 v[161:162], v[117:118], v[161:162]
	s_waitcnt vmcnt(56)
	v_fma_f64 v[155:156], v[1:2], v[123:124], -v[155:156]
	v_fma_f64 v[123:124], v[3:4], v[123:124], v[197:198]
	v_add_f64 v[121:122], v[121:122], v[167:168]
	v_add_f64 v[119:120], v[119:120], v[149:150]
	s_clause 0x2
	buffer_load_dword v150, off, s[0:3], 0 offset:860
	buffer_load_dword v149, off, s[0:3], 0 offset:856
	;; [unrolled: 1-line block ×3, first 2 shown]
	ds_read_b128 v[1:4], v176 offset:1472
	s_waitcnt vmcnt(55) lgkmcnt(1)
	v_mul_f64 v[167:168], v[5:6], v[163:164]
	v_mul_f64 v[163:164], v[7:8], v[163:164]
	s_waitcnt vmcnt(54)
	v_fma_f64 v[161:162], v[115:116], v[185:186], -v[161:162]
	v_add_f64 v[121:122], v[121:122], v[155:156]
	v_fma_f64 v[155:156], v[117:118], v[185:186], v[159:160]
	v_add_f64 v[119:120], v[119:120], v[123:124]
	s_clause 0x1
	buffer_load_dword v124, off, s[0:3], 0 offset:852
	buffer_load_dword v123, off, s[0:3], 0 offset:848
	ds_read_b128 v[115:118], v176 offset:1488
	s_waitcnt vmcnt(55) lgkmcnt(1)
	v_mul_f64 v[173:174], v[3:4], v[179:180]
	v_mul_f64 v[159:160], v[1:2], v[179:180]
	s_waitcnt vmcnt(53)
	v_fma_f64 v[163:164], v[5:6], v[169:170], -v[163:164]
	v_add_f64 v[121:122], v[121:122], v[161:162]
	v_fma_f64 v[161:162], v[7:8], v[169:170], v[167:168]
	v_add_f64 v[119:120], v[119:120], v[155:156]
	ds_read_b128 v[5:8], v176 offset:1504
	s_waitcnt vmcnt(49) lgkmcnt(1)
	v_mul_f64 v[155:156], v[115:116], v[127:128]
	v_mul_f64 v[127:128], v[117:118], v[127:128]
	s_waitcnt vmcnt(48)
	v_fma_f64 v[167:168], v[1:2], v[189:190], -v[173:174]
	v_fma_f64 v[159:160], v[3:4], v[189:190], v[159:160]
	v_add_f64 v[121:122], v[121:122], v[163:164]
	v_add_f64 v[119:120], v[119:120], v[161:162]
	s_clause 0x3
	buffer_load_dword v161, off, s[0:3], 0 offset:80
	buffer_load_dword v162, off, s[0:3], 0 offset:84
	;; [unrolled: 1-line block ×4, first 2 shown]
	ds_read_b128 v[1:4], v176 offset:1520
	s_waitcnt vmcnt(51) lgkmcnt(1)
	v_mul_f64 v[173:174], v[7:8], v[187:188]
	v_mul_f64 v[169:170], v[5:6], v[187:188]
	s_waitcnt vmcnt(49)
	v_fma_f64 v[127:128], v[115:116], v[133:134], -v[127:128]
	v_fma_f64 v[133:134], v[117:118], v[133:134], v[155:156]
	ds_read_b128 v[115:118], v176 offset:1536
	v_add_f64 v[121:122], v[121:122], v[167:168]
	v_add_f64 v[119:120], v[119:120], v[159:160]
	s_waitcnt vmcnt(45) lgkmcnt(1)
	v_mul_f64 v[155:156], v[1:2], v[139:140]
	v_mul_f64 v[139:140], v[3:4], v[139:140]
	s_waitcnt vmcnt(44)
	v_fma_f64 v[159:160], v[5:6], v[193:194], -v[173:174]
	v_add_f64 v[121:122], v[121:122], v[127:128]
	v_fma_f64 v[127:128], v[7:8], v[193:194], v[169:170]
	v_add_f64 v[119:120], v[119:120], v[133:134]
	ds_read_b128 v[5:8], v176 offset:1552
	s_waitcnt vmcnt(43) lgkmcnt(1)
	v_mul_f64 v[167:168], v[117:118], v[181:182]
	v_mul_f64 v[133:134], v[115:116], v[181:182]
	s_waitcnt vmcnt(41)
	v_fma_f64 v[139:140], v[1:2], v[131:132], -v[139:140]
	v_fma_f64 v[131:132], v[3:4], v[131:132], v[155:156]
	ds_read_b128 v[1:4], v176 offset:1568
	v_add_f64 v[121:122], v[121:122], v[159:160]
	v_add_f64 v[119:120], v[119:120], v[127:128]
	s_waitcnt vmcnt(37) lgkmcnt(1)
	v_mul_f64 v[127:128], v[5:6], v[125:126]
	v_mul_f64 v[125:126], v[7:8], v[125:126]
	s_waitcnt vmcnt(36)
	v_fma_f64 v[155:156], v[115:116], v[195:196], -v[167:168]
	v_fma_f64 v[133:134], v[117:118], v[195:196], v[133:134]
	ds_read_b128 v[115:118], v176 offset:1584
	v_add_f64 v[121:122], v[121:122], v[139:140]
	v_add_f64 v[119:120], v[119:120], v[131:132]
	;; [unrolled: 9-line block ×3, first 2 shown]
	s_waitcnt vmcnt(29) lgkmcnt(1)
	v_mul_f64 v[133:134], v[115:116], v[129:130]
	v_mul_f64 v[129:130], v[117:118], v[129:130]
	s_waitcnt vmcnt(28)
	v_fma_f64 v[137:138], v[1:2], v[191:192], -v[139:140]
	v_add_f64 v[121:122], v[121:122], v[125:126]
	v_fma_f64 v[125:126], v[3:4], v[191:192], v[131:132]
	v_add_f64 v[119:120], v[119:120], v[127:128]
	ds_read_b128 v[1:4], v176 offset:1616
	s_waitcnt vmcnt(27) lgkmcnt(1)
	v_mul_f64 v[131:132], v[7:8], v[151:152]
	v_mul_f64 v[127:128], v[5:6], v[151:152]
	s_waitcnt vmcnt(25)
	v_fma_f64 v[129:130], v[115:116], v[147:148], -v[129:130]
	v_fma_f64 v[133:134], v[117:118], v[147:148], v[133:134]
	ds_read_b128 v[115:118], v176 offset:1632
	v_add_f64 v[121:122], v[121:122], v[137:138]
	v_add_f64 v[119:120], v[119:120], v[125:126]
	s_waitcnt vmcnt(21) lgkmcnt(1)
	v_mul_f64 v[125:126], v[1:2], v[135:136]
	v_mul_f64 v[135:136], v[3:4], v[135:136]
	s_waitcnt vmcnt(20)
	v_fma_f64 v[131:132], v[5:6], v[183:184], -v[131:132]
	v_fma_f64 v[127:128], v[7:8], v[183:184], v[127:128]
	ds_read_b128 v[5:8], v176 offset:1648
	v_add_f64 v[121:122], v[121:122], v[129:130]
	v_add_f64 v[119:120], v[119:120], v[133:134]
	;; [unrolled: 9-line block ×3, first 2 shown]
	s_waitcnt vmcnt(13) lgkmcnt(1)
	v_mul_f64 v[131:132], v[7:8], v[141:142]
	s_waitcnt vmcnt(12)
	v_fma_f64 v[133:134], v[115:116], v[177:178], -v[133:134]
	v_mul_f64 v[127:128], v[5:6], v[141:142]
	v_fma_f64 v[129:130], v[117:118], v[177:178], v[129:130]
	ds_read_b128 v[115:118], v176 offset:1680
	v_add_f64 v[121:122], v[121:122], v[135:136]
	v_add_f64 v[119:120], v[119:120], v[125:126]
	s_waitcnt vmcnt(11) lgkmcnt(1)
	v_mul_f64 v[135:136], v[3:4], v[165:166]
	v_mul_f64 v[125:126], v[1:2], v[165:166]
	s_waitcnt vmcnt(9)
	v_fma_f64 v[5:6], v[5:6], v[153:154], -v[131:132]
	v_fma_f64 v[7:8], v[7:8], v[153:154], v[127:128]
	v_add_f64 v[121:122], v[121:122], v[133:134]
	v_add_f64 v[119:120], v[119:120], v[129:130]
	s_waitcnt vmcnt(7) lgkmcnt(0)
	v_mul_f64 v[129:130], v[117:118], v[149:150]
	s_waitcnt vmcnt(6)
	v_fma_f64 v[1:2], v[1:2], v[171:172], -v[135:136]
	v_mul_f64 v[127:128], v[115:116], v[149:150]
	v_fma_f64 v[3:4], v[3:4], v[171:172], v[125:126]
	v_add_f64 v[5:6], v[121:122], v[5:6]
	v_add_f64 v[7:8], v[119:120], v[7:8]
	s_waitcnt vmcnt(4)
	v_fma_f64 v[115:116], v[115:116], v[123:124], -v[129:130]
	v_add_f64 v[1:2], v[5:6], v[1:2]
	v_fma_f64 v[5:6], v[117:118], v[123:124], v[127:128]
	v_add_f64 v[3:4], v[7:8], v[3:4]
	v_add_f64 v[1:2], v[1:2], v[115:116]
	;; [unrolled: 1-line block ×3, first 2 shown]
	s_waitcnt vmcnt(2)
	v_add_f64 v[1:2], v[161:162], -v[1:2]
	s_waitcnt vmcnt(0)
	v_add_f64 v[3:4], v[163:164], -v[3:4]
	buffer_store_dword v2, off, s[0:3], 0 offset:84
	buffer_store_dword v1, off, s[0:3], 0 offset:80
	;; [unrolled: 1-line block ×4, first 2 shown]
	v_cmpx_lt_u32_e32 3, v0
	s_cbranch_execz .LBB116_325
; %bb.324:
	v_mov_b32_e32 v4, s62
	v_mov_b32_e32 v5, 0
	s_clause 0x3
	buffer_load_dword v1, v4, s[0:3], 0 offen
	buffer_load_dword v2, v4, s[0:3], 0 offen offset:4
	buffer_load_dword v3, v4, s[0:3], 0 offen offset:8
	;; [unrolled: 1-line block ×3, first 2 shown]
	buffer_store_dword v5, off, s[0:3], 0 offset:64
	buffer_store_dword v5, off, s[0:3], 0 offset:68
	;; [unrolled: 1-line block ×4, first 2 shown]
	s_waitcnt vmcnt(0)
	ds_write_b128 v175, v[1:4]
.LBB116_325:
	s_or_b32 exec_lo, exec_lo, s4
	s_waitcnt lgkmcnt(0)
	s_waitcnt_vscnt null, 0x0
	s_barrier
	buffer_gl0_inv
	s_clause 0x37
	buffer_load_dword v123, off, s[0:3], 0 offset:88
	buffer_load_dword v124, off, s[0:3], 0 offset:92
	;; [unrolled: 1-line block ×56, first 2 shown]
	v_mov_b32_e32 v176, 0
	s_mov_b32 s4, exec_lo
	ds_read_b128 v[5:8], v176 offset:912
	s_clause 0x2
	buffer_load_dword v172, off, s[0:3], 0 offset:316
	buffer_load_dword v174, off, s[0:3], 0 offset:292
	;; [unrolled: 1-line block ×3, first 2 shown]
	ds_read_b128 v[1:4], v176 offset:928
	s_clause 0x4
	buffer_load_dword v184, off, s[0:3], 0 offset:332
	buffer_load_dword v185, off, s[0:3], 0 offset:344
	;; [unrolled: 1-line block ×5, first 2 shown]
	ds_read_b128 v[177:180], v176 offset:944
	s_waitcnt vmcnt(62) lgkmcnt(2)
	v_mul_f64 v[181:182], v[7:8], v[123:124]
	v_mul_f64 v[123:124], v[5:6], v[123:124]
	s_waitcnt vmcnt(60) lgkmcnt(1)
	v_mul_f64 v[188:189], v[3:4], v[119:120]
	v_mul_f64 v[119:120], v[1:2], v[119:120]
	;; [unrolled: 3-line block ×3, first 2 shown]
	v_fma_f64 v[181:182], v[5:6], v[121:122], -v[181:182]
	v_fma_f64 v[121:122], v[7:8], v[121:122], v[123:124]
	s_clause 0x2
	buffer_load_dword v186, off, s[0:3], 0 offset:348
	buffer_load_dword v124, off, s[0:3], 0 offset:324
	;; [unrolled: 1-line block ×3, first 2 shown]
	s_waitcnt vmcnt(57)
	v_fma_f64 v[192:193], v[1:2], v[115:116], -v[188:189]
	ds_read_b128 v[5:8], v176 offset:960
	v_fma_f64 v[115:116], v[3:4], v[115:116], v[119:120]
	s_waitcnt vmcnt(51)
	v_fma_f64 v[177:178], v[177:178], v[139:140], -v[117:118]
	v_fma_f64 v[139:140], v[179:180], v[139:140], v[190:191]
	v_add_f64 v[181:182], v[181:182], 0
	v_add_f64 v[119:120], v[121:122], 0
	s_clause 0x4
	buffer_load_dword v122, off, s[0:3], 0 offset:364
	buffer_load_dword v189, off, s[0:3], 0 offset:376
	buffer_load_dword v194, off, s[0:3], 0 offset:368
	buffer_load_dword v121, off, s[0:3], 0 offset:360
	buffer_load_dword v188, off, s[0:3], 0 offset:340
	s_waitcnt lgkmcnt(0)
	v_mul_f64 v[195:196], v[5:6], v[127:128]
	v_mul_f64 v[127:128], v[7:8], v[127:128]
	ds_read_b128 v[1:4], v176 offset:976
	s_clause 0x2
	buffer_load_dword v190, off, s[0:3], 0 offset:380
	buffer_load_dword v180, off, s[0:3], 0 offset:356
	;; [unrolled: 1-line block ×3, first 2 shown]
	v_add_f64 v[181:182], v[181:182], v[192:193]
	v_add_f64 v[119:120], v[119:120], v[115:116]
	ds_read_b128 v[115:118], v176 offset:992
	s_waitcnt vmcnt(58) lgkmcnt(1)
	v_mul_f64 v[191:192], v[1:2], v[131:132]
	v_mul_f64 v[131:132], v[3:4], v[131:132]
	s_waitcnt vmcnt(56)
	v_fma_f64 v[127:128], v[5:6], v[133:134], -v[127:128]
	v_fma_f64 v[133:134], v[7:8], v[133:134], v[195:196]
	s_waitcnt vmcnt(52) lgkmcnt(0)
	v_mul_f64 v[197:198], v[115:116], v[135:136]
	v_add_f64 v[177:178], v[181:182], v[177:178]
	v_add_f64 v[119:120], v[119:120], v[139:140]
	s_clause 0x4
	buffer_load_dword v140, off, s[0:3], 0 offset:396
	buffer_load_dword v181, off, s[0:3], 0 offset:408
	;; [unrolled: 1-line block ×5, first 2 shown]
	v_mul_f64 v[135:136], v[117:118], v[135:136]
	s_waitcnt vmcnt(56)
	v_fma_f64 v[131:132], v[1:2], v[125:126], -v[131:132]
	ds_read_b128 v[5:8], v176 offset:1008
	v_fma_f64 v[125:126], v[3:4], v[125:126], v[191:192]
	v_add_f64 v[127:128], v[177:178], v[127:128]
	v_add_f64 v[119:120], v[119:120], v[133:134]
	s_clause 0x2
	buffer_load_dword v182, off, s[0:3], 0 offset:412
	buffer_load_dword v134, off, s[0:3], 0 offset:388
	;; [unrolled: 1-line block ×3, first 2 shown]
	s_waitcnt vmcnt(58) lgkmcnt(0)
	v_mul_f64 v[177:178], v[5:6], v[141:142]
	v_mul_f64 v[141:142], v[7:8], v[141:142]
	s_waitcnt vmcnt(56)
	v_fma_f64 v[135:136], v[115:116], v[143:144], -v[135:136]
	ds_read_b128 v[1:4], v176 offset:1024
	v_add_f64 v[127:128], v[127:128], v[131:132]
	v_fma_f64 v[131:132], v[117:118], v[143:144], v[197:198]
	v_add_f64 v[119:120], v[119:120], v[125:126]
	s_clause 0x4
	buffer_load_dword v126, off, s[0:3], 0 offset:428
	buffer_load_dword v143, off, s[0:3], 0 offset:440
	;; [unrolled: 1-line block ×5, first 2 shown]
	s_waitcnt vmcnt(57) lgkmcnt(0)
	v_mul_f64 v[192:193], v[1:2], v[145:146]
	v_mul_f64 v[145:146], v[3:4], v[145:146]
	s_waitcnt vmcnt(56)
	v_fma_f64 v[141:142], v[5:6], v[129:130], -v[141:142]
	ds_read_b128 v[115:118], v176 offset:1040
	v_fma_f64 v[129:130], v[7:8], v[129:130], v[177:178]
	v_add_f64 v[127:128], v[127:128], v[135:136]
	v_add_f64 v[119:120], v[119:120], v[131:132]
	s_clause 0x2
	buffer_load_dword v144, off, s[0:3], 0 offset:444
	buffer_load_dword v132, off, s[0:3], 0 offset:420
	;; [unrolled: 1-line block ×3, first 2 shown]
	ds_read_b128 v[5:8], v176 offset:1056
	s_waitcnt vmcnt(58) lgkmcnt(1)
	v_mul_f64 v[135:136], v[115:116], v[149:150]
	v_mul_f64 v[149:150], v[117:118], v[149:150]
	s_waitcnt vmcnt(56)
	v_fma_f64 v[145:146], v[1:2], v[151:152], -v[145:146]
	v_add_f64 v[127:128], v[127:128], v[141:142]
	v_fma_f64 v[141:142], v[3:4], v[151:152], v[192:193]
	v_add_f64 v[119:120], v[119:120], v[129:130]
	s_clause 0x4
	buffer_load_dword v130, off, s[0:3], 0 offset:460
	buffer_load_dword v151, off, s[0:3], 0 offset:472
	;; [unrolled: 1-line block ×5, first 2 shown]
	s_waitcnt vmcnt(57) lgkmcnt(0)
	v_mul_f64 v[198:199], v[5:6], v[153:154]
	v_mul_f64 v[153:154], v[7:8], v[153:154]
	s_waitcnt vmcnt(56)
	v_fma_f64 v[149:150], v[115:116], v[137:138], -v[149:150]
	ds_read_b128 v[1:4], v176 offset:1072
	v_fma_f64 v[135:136], v[117:118], v[137:138], v[135:136]
	s_clause 0x2
	buffer_load_dword v152, off, s[0:3], 0 offset:476
	buffer_load_dword v138, off, s[0:3], 0 offset:452
	;; [unrolled: 1-line block ×3, first 2 shown]
	ds_read_b128 v[115:118], v176 offset:1088
	v_add_f64 v[127:128], v[127:128], v[145:146]
	v_add_f64 v[119:120], v[119:120], v[141:142]
	s_waitcnt vmcnt(58) lgkmcnt(1)
	v_mul_f64 v[145:146], v[3:4], v[157:158]
	s_waitcnt vmcnt(56)
	v_fma_f64 v[153:154], v[5:6], v[159:160], -v[153:154]
	v_mul_f64 v[141:142], v[1:2], v[157:158]
	v_add_f64 v[127:128], v[127:128], v[149:150]
	v_fma_f64 v[149:150], v[7:8], v[159:160], v[198:199]
	v_add_f64 v[119:120], v[119:120], v[135:136]
	s_clause 0x4
	buffer_load_dword v136, off, s[0:3], 0 offset:492
	buffer_load_dword v157, off, s[0:3], 0 offset:504
	;; [unrolled: 1-line block ×5, first 2 shown]
	s_waitcnt vmcnt(57) lgkmcnt(0)
	v_mul_f64 v[198:199], v[115:116], v[161:162]
	v_mul_f64 v[160:161], v[117:118], v[161:162]
	s_waitcnt vmcnt(56)
	v_fma_f64 v[145:146], v[1:2], v[147:148], -v[145:146]
	ds_read_b128 v[5:8], v176 offset:1104
	v_fma_f64 v[141:142], v[3:4], v[147:148], v[141:142]
	s_clause 0x2
	buffer_load_dword v158, off, s[0:3], 0 offset:508
	buffer_load_dword v148, off, s[0:3], 0 offset:484
	;; [unrolled: 1-line block ×3, first 2 shown]
	ds_read_b128 v[1:4], v176 offset:1120
	v_add_f64 v[127:128], v[127:128], v[153:154]
	v_add_f64 v[119:120], v[119:120], v[149:150]
	s_waitcnt vmcnt(58) lgkmcnt(1)
	v_mul_f64 v[153:154], v[7:8], v[165:166]
	s_waitcnt vmcnt(56)
	v_fma_f64 v[161:162], v[115:116], v[167:168], -v[160:161]
	v_mul_f64 v[149:150], v[5:6], v[165:166]
	v_add_f64 v[127:128], v[127:128], v[145:146]
	v_fma_f64 v[145:146], v[117:118], v[167:168], v[198:199]
	v_add_f64 v[119:120], v[119:120], v[141:142]
	s_clause 0x4
	buffer_load_dword v142, off, s[0:3], 0 offset:524
	buffer_load_dword v165, off, s[0:3], 0 offset:536
	;; [unrolled: 1-line block ×5, first 2 shown]
	s_waitcnt vmcnt(57) lgkmcnt(0)
	v_mul_f64 v[198:199], v[1:2], v[169:170]
	v_mul_f64 v[168:169], v[3:4], v[169:170]
	s_waitcnt vmcnt(56)
	v_fma_f64 v[153:154], v[5:6], v[155:156], -v[153:154]
	ds_read_b128 v[115:118], v176 offset:1136
	v_fma_f64 v[149:150], v[7:8], v[155:156], v[149:150]
	v_add_f64 v[127:128], v[127:128], v[161:162]
	v_add_f64 v[119:120], v[119:120], v[145:146]
	s_clause 0x2
	buffer_load_dword v166, off, s[0:3], 0 offset:540
	buffer_load_dword v146, off, s[0:3], 0 offset:516
	;; [unrolled: 1-line block ×3, first 2 shown]
	ds_read_b128 v[5:8], v176 offset:1152
	s_waitcnt vmcnt(58) lgkmcnt(1)
	v_mul_f64 v[161:162], v[117:118], v[171:172]
	s_waitcnt vmcnt(56)
	v_fma_f64 v[169:170], v[1:2], v[173:174], -v[168:169]
	v_mul_f64 v[155:156], v[115:116], v[171:172]
	v_add_f64 v[127:128], v[127:128], v[153:154]
	v_fma_f64 v[153:154], v[3:4], v[173:174], v[198:199]
	v_add_f64 v[119:120], v[119:120], v[149:150]
	s_clause 0x4
	buffer_load_dword v150, off, s[0:3], 0 offset:556
	buffer_load_dword v171, off, s[0:3], 0 offset:568
	;; [unrolled: 1-line block ×5, first 2 shown]
	s_waitcnt vmcnt(57) lgkmcnt(0)
	v_mul_f64 v[198:199], v[5:6], v[183:184]
	v_mul_f64 v[183:184], v[7:8], v[183:184]
	s_waitcnt vmcnt(56)
	v_fma_f64 v[161:162], v[115:116], v[163:164], -v[161:162]
	ds_read_b128 v[1:4], v176 offset:1168
	v_fma_f64 v[155:156], v[117:118], v[163:164], v[155:156]
	v_add_f64 v[127:128], v[127:128], v[169:170]
	v_add_f64 v[119:120], v[119:120], v[153:154]
	s_clause 0x2
	buffer_load_dword v172, off, s[0:3], 0 offset:572
	buffer_load_dword v154, off, s[0:3], 0 offset:548
	;; [unrolled: 1-line block ×3, first 2 shown]
	ds_read_b128 v[115:118], v176 offset:1184
	s_waitcnt vmcnt(58) lgkmcnt(1)
	v_mul_f64 v[169:170], v[3:4], v[185:186]
	v_mul_f64 v[163:164], v[1:2], v[185:186]
	s_waitcnt vmcnt(56)
	v_fma_f64 v[183:184], v[5:6], v[123:124], -v[183:184]
	v_fma_f64 v[123:124], v[7:8], v[123:124], v[198:199]
	v_add_f64 v[127:128], v[127:128], v[161:162]
	v_add_f64 v[119:120], v[119:120], v[155:156]
	s_clause 0x4
	buffer_load_dword v156, off, s[0:3], 0 offset:588
	buffer_load_dword v161, off, s[0:3], 0 offset:600
	;; [unrolled: 1-line block ×5, first 2 shown]
	ds_read_b128 v[5:8], v176 offset:1200
	s_waitcnt vmcnt(57) lgkmcnt(1)
	v_mul_f64 v[198:199], v[115:116], v[121:122]
	v_mul_f64 v[121:122], v[117:118], v[121:122]
	s_waitcnt vmcnt(56)
	v_fma_f64 v[169:170], v[1:2], v[187:188], -v[169:170]
	v_fma_f64 v[163:164], v[3:4], v[187:188], v[163:164]
	v_add_f64 v[127:128], v[127:128], v[183:184]
	v_add_f64 v[119:120], v[119:120], v[123:124]
	s_clause 0x2
	buffer_load_dword v162, off, s[0:3], 0 offset:604
	buffer_load_dword v124, off, s[0:3], 0 offset:580
	;; [unrolled: 1-line block ×3, first 2 shown]
	s_waitcnt vmcnt(58) lgkmcnt(0)
	v_mul_f64 v[187:188], v[7:8], v[189:190]
	ds_read_b128 v[1:4], v176 offset:1216
	v_mul_f64 v[183:184], v[5:6], v[189:190]
	s_waitcnt vmcnt(56)
	v_fma_f64 v[121:122], v[115:116], v[179:180], -v[121:122]
	v_add_f64 v[127:128], v[127:128], v[169:170]
	v_fma_f64 v[169:170], v[117:118], v[179:180], v[198:199]
	v_add_f64 v[119:120], v[119:120], v[163:164]
	s_clause 0x4
	buffer_load_dword v164, off, s[0:3], 0 offset:620
	buffer_load_dword v179, off, s[0:3], 0 offset:632
	;; [unrolled: 1-line block ×5, first 2 shown]
	ds_read_b128 v[115:118], v176 offset:1232
	s_waitcnt vmcnt(57) lgkmcnt(1)
	v_mul_f64 v[198:199], v[1:2], v[139:140]
	v_mul_f64 v[139:140], v[3:4], v[139:140]
	s_waitcnt vmcnt(56)
	v_fma_f64 v[187:188], v[5:6], v[194:195], -v[187:188]
	v_add_f64 v[121:122], v[127:128], v[121:122]
	v_fma_f64 v[127:128], v[7:8], v[194:195], v[183:184]
	v_add_f64 v[119:120], v[119:120], v[169:170]
	s_clause 0x2
	buffer_load_dword v180, off, s[0:3], 0 offset:636
	buffer_load_dword v170, off, s[0:3], 0 offset:612
	;; [unrolled: 1-line block ×3, first 2 shown]
	ds_read_b128 v[5:8], v176 offset:1248
	s_waitcnt vmcnt(58) lgkmcnt(1)
	v_mul_f64 v[183:184], v[115:116], v[181:182]
	v_mul_f64 v[181:182], v[117:118], v[181:182]
	s_waitcnt vmcnt(56)
	v_fma_f64 v[139:140], v[1:2], v[133:134], -v[139:140]
	v_fma_f64 v[133:134], v[3:4], v[133:134], v[198:199]
	v_add_f64 v[121:122], v[121:122], v[187:188]
	v_add_f64 v[119:120], v[119:120], v[127:128]
	s_clause 0x4
	buffer_load_dword v128, off, s[0:3], 0 offset:652
	buffer_load_dword v187, off, s[0:3], 0 offset:664
	;; [unrolled: 1-line block ×5, first 2 shown]
	ds_read_b128 v[1:4], v176 offset:1264
	s_waitcnt vmcnt(57) lgkmcnt(1)
	v_mul_f64 v[194:195], v[5:6], v[125:126]
	v_mul_f64 v[125:126], v[7:8], v[125:126]
	s_waitcnt vmcnt(56)
	v_fma_f64 v[181:182], v[115:116], v[196:197], -v[181:182]
	v_add_f64 v[121:122], v[121:122], v[139:140]
	v_fma_f64 v[139:140], v[117:118], v[196:197], v[183:184]
	v_add_f64 v[119:120], v[119:120], v[133:134]
	s_clause 0x2
	buffer_load_dword v188, off, s[0:3], 0 offset:668
	buffer_load_dword v134, off, s[0:3], 0 offset:644
	;; [unrolled: 1-line block ×3, first 2 shown]
	ds_read_b128 v[115:118], v176 offset:1280
	s_waitcnt vmcnt(58) lgkmcnt(1)
	v_mul_f64 v[183:184], v[1:2], v[143:144]
	v_mul_f64 v[143:144], v[3:4], v[143:144]
	s_waitcnt vmcnt(56)
	v_fma_f64 v[125:126], v[5:6], v[131:132], -v[125:126]
	v_fma_f64 v[131:132], v[7:8], v[131:132], v[194:195]
	v_add_f64 v[121:122], v[121:122], v[181:182]
	v_add_f64 v[119:120], v[119:120], v[139:140]
	s_clause 0x4
	buffer_load_dword v140, off, s[0:3], 0 offset:684
	buffer_load_dword v181, off, s[0:3], 0 offset:696
	;; [unrolled: 1-line block ×5, first 2 shown]
	ds_read_b128 v[5:8], v176 offset:1296
	s_waitcnt vmcnt(57) lgkmcnt(1)
	v_mul_f64 v[196:197], v[115:116], v[129:130]
	v_mul_f64 v[129:130], v[117:118], v[129:130]
	s_waitcnt vmcnt(56)
	v_fma_f64 v[143:144], v[1:2], v[191:192], -v[143:144]
	v_add_f64 v[121:122], v[121:122], v[125:126]
	v_fma_f64 v[125:126], v[3:4], v[191:192], v[183:184]
	v_add_f64 v[119:120], v[119:120], v[131:132]
	s_clause 0x2
	buffer_load_dword v182, off, s[0:3], 0 offset:700
	buffer_load_dword v132, off, s[0:3], 0 offset:676
	;; [unrolled: 1-line block ×3, first 2 shown]
	s_waitcnt vmcnt(58) lgkmcnt(0)
	v_mul_f64 v[183:184], v[5:6], v[151:152]
	v_mul_f64 v[151:152], v[7:8], v[151:152]
	ds_read_b128 v[1:4], v176 offset:1312
	s_waitcnt vmcnt(56)
	v_fma_f64 v[129:130], v[115:116], v[137:138], -v[129:130]
	v_fma_f64 v[137:138], v[117:118], v[137:138], v[196:197]
	v_add_f64 v[121:122], v[121:122], v[143:144]
	v_add_f64 v[119:120], v[119:120], v[125:126]
	s_clause 0x4
	buffer_load_dword v126, off, s[0:3], 0 offset:716
	buffer_load_dword v143, off, s[0:3], 0 offset:728
	;; [unrolled: 1-line block ×5, first 2 shown]
	ds_read_b128 v[115:118], v176 offset:1328
	s_waitcnt vmcnt(57) lgkmcnt(1)
	v_mul_f64 v[197:198], v[1:2], v[135:136]
	v_mul_f64 v[135:136], v[3:4], v[135:136]
	s_waitcnt vmcnt(56)
	v_fma_f64 v[151:152], v[5:6], v[177:178], -v[151:152]
	v_add_f64 v[121:122], v[121:122], v[129:130]
	v_fma_f64 v[129:130], v[7:8], v[177:178], v[183:184]
	v_add_f64 v[119:120], v[119:120], v[137:138]
	s_clause 0x2
	buffer_load_dword v144, off, s[0:3], 0 offset:732
	buffer_load_dword v138, off, s[0:3], 0 offset:708
	;; [unrolled: 1-line block ×3, first 2 shown]
	s_waitcnt vmcnt(58) lgkmcnt(0)
	v_mul_f64 v[177:178], v[115:116], v[157:158]
	v_mul_f64 v[157:158], v[117:118], v[157:158]
	ds_read_b128 v[5:8], v176 offset:1344
	s_waitcnt vmcnt(56)
	v_fma_f64 v[135:136], v[1:2], v[147:148], -v[135:136]
	v_fma_f64 v[147:148], v[3:4], v[147:148], v[197:198]
	v_add_f64 v[121:122], v[121:122], v[151:152]
	v_add_f64 v[119:120], v[119:120], v[129:130]
	s_clause 0x4
	buffer_load_dword v130, off, s[0:3], 0 offset:748
	buffer_load_dword v151, off, s[0:3], 0 offset:760
	buffer_load_dword v183, off, s[0:3], 0 offset:752
	buffer_load_dword v129, off, s[0:3], 0 offset:744
	buffer_load_dword v192, off, s[0:3], 0 offset:724
	ds_read_b128 v[1:4], v176 offset:1360
	s_waitcnt vmcnt(57) lgkmcnt(1)
	v_mul_f64 v[197:198], v[5:6], v[141:142]
	v_mul_f64 v[141:142], v[7:8], v[141:142]
	s_waitcnt vmcnt(56)
	v_fma_f64 v[157:158], v[115:116], v[159:160], -v[157:158]
	v_add_f64 v[121:122], v[121:122], v[135:136]
	v_fma_f64 v[135:136], v[117:118], v[159:160], v[177:178]
	v_add_f64 v[119:120], v[119:120], v[147:148]
	s_clause 0x2
	buffer_load_dword v152, off, s[0:3], 0 offset:764
	buffer_load_dword v148, off, s[0:3], 0 offset:740
	buffer_load_dword v147, off, s[0:3], 0 offset:736
	ds_read_b128 v[115:118], v176 offset:1376
	s_waitcnt vmcnt(58) lgkmcnt(1)
	v_mul_f64 v[159:160], v[1:2], v[165:166]
	v_mul_f64 v[165:166], v[3:4], v[165:166]
	s_waitcnt vmcnt(56)
	v_fma_f64 v[141:142], v[5:6], v[145:146], -v[141:142]
	v_fma_f64 v[145:146], v[7:8], v[145:146], v[197:198]
	v_add_f64 v[121:122], v[121:122], v[157:158]
	v_add_f64 v[119:120], v[119:120], v[135:136]
	s_clause 0x4
	buffer_load_dword v136, off, s[0:3], 0 offset:780
	buffer_load_dword v157, off, s[0:3], 0 offset:792
	buffer_load_dword v177, off, s[0:3], 0 offset:784
	buffer_load_dword v135, off, s[0:3], 0 offset:776
	buffer_load_dword v184, off, s[0:3], 0 offset:756
	ds_read_b128 v[5:8], v176 offset:1392
	s_waitcnt vmcnt(57) lgkmcnt(1)
	v_mul_f64 v[197:198], v[115:116], v[149:150]
	v_mul_f64 v[149:150], v[117:118], v[149:150]
	s_waitcnt vmcnt(56)
	v_fma_f64 v[165:166], v[1:2], v[167:168], -v[165:166]
	v_add_f64 v[121:122], v[121:122], v[141:142]
	v_fma_f64 v[141:142], v[3:4], v[167:168], v[159:160]
	v_add_f64 v[119:120], v[119:120], v[145:146]
	s_clause 0x2
	buffer_load_dword v158, off, s[0:3], 0 offset:796
	buffer_load_dword v146, off, s[0:3], 0 offset:772
	buffer_load_dword v145, off, s[0:3], 0 offset:768
	ds_read_b128 v[1:4], v176 offset:1408
	s_waitcnt vmcnt(58) lgkmcnt(1)
	v_mul_f64 v[167:168], v[7:8], v[171:172]
	v_mul_f64 v[159:160], v[5:6], v[171:172]
	;; [unrolled: 28-line block ×3, first 2 shown]
	s_waitcnt vmcnt(56)
	v_fma_f64 v[155:156], v[1:2], v[123:124], -v[155:156]
	v_fma_f64 v[123:124], v[3:4], v[123:124], v[197:198]
	v_add_f64 v[121:122], v[121:122], v[167:168]
	v_add_f64 v[119:120], v[119:120], v[149:150]
	s_clause 0x4
	buffer_load_dword v150, off, s[0:3], 0 offset:844
	buffer_load_dword v167, off, s[0:3], 0 offset:856
	;; [unrolled: 1-line block ×5, first 2 shown]
	ds_read_b128 v[1:4], v176 offset:1456
	s_waitcnt vmcnt(57) lgkmcnt(1)
	v_mul_f64 v[197:198], v[5:6], v[163:164]
	v_mul_f64 v[163:164], v[7:8], v[163:164]
	s_waitcnt vmcnt(56)
	v_fma_f64 v[161:162], v[115:116], v[185:186], -v[161:162]
	v_add_f64 v[121:122], v[121:122], v[155:156]
	v_fma_f64 v[155:156], v[117:118], v[185:186], v[159:160]
	v_add_f64 v[119:120], v[119:120], v[123:124]
	s_clause 0x2
	buffer_load_dword v168, off, s[0:3], 0 offset:860
	buffer_load_dword v124, off, s[0:3], 0 offset:836
	;; [unrolled: 1-line block ×3, first 2 shown]
	ds_read_b128 v[115:118], v176 offset:1472
	buffer_load_dword v174, off, s[0:3], 0 offset:852
	s_waitcnt vmcnt(59) lgkmcnt(1)
	v_mul_f64 v[159:160], v[1:2], v[179:180]
	v_mul_f64 v[179:180], v[3:4], v[179:180]
	s_waitcnt vmcnt(57)
	v_fma_f64 v[163:164], v[5:6], v[169:170], -v[163:164]
	v_add_f64 v[121:122], v[121:122], v[161:162]
	v_fma_f64 v[161:162], v[7:8], v[169:170], v[197:198]
	v_add_f64 v[119:120], v[119:120], v[155:156]
	ds_read_b128 v[5:8], v176 offset:1488
	s_waitcnt vmcnt(53) lgkmcnt(1)
	v_mul_f64 v[155:156], v[115:116], v[127:128]
	v_mul_f64 v[127:128], v[117:118], v[127:128]
	s_waitcnt vmcnt(52)
	v_fma_f64 v[169:170], v[1:2], v[189:190], -v[179:180]
	v_fma_f64 v[159:160], v[3:4], v[189:190], v[159:160]
	ds_read_b128 v[1:4], v176 offset:1504
	v_add_f64 v[121:122], v[121:122], v[163:164]
	v_add_f64 v[119:120], v[119:120], v[161:162]
	s_waitcnt vmcnt(51) lgkmcnt(1)
	v_mul_f64 v[163:164], v[7:8], v[187:188]
	v_mul_f64 v[161:162], v[5:6], v[187:188]
	s_waitcnt vmcnt(49)
	v_fma_f64 v[127:128], v[115:116], v[133:134], -v[127:128]
	v_fma_f64 v[133:134], v[117:118], v[133:134], v[155:156]
	v_add_f64 v[121:122], v[121:122], v[169:170]
	v_add_f64 v[119:120], v[119:120], v[159:160]
	s_clause 0x3
	buffer_load_dword v155, off, s[0:3], 0 offset:64
	buffer_load_dword v156, off, s[0:3], 0 offset:68
	;; [unrolled: 1-line block ×4, first 2 shown]
	ds_read_b128 v[115:118], v176 offset:1520
	s_waitcnt vmcnt(49) lgkmcnt(1)
	v_mul_f64 v[169:170], v[1:2], v[139:140]
	v_mul_f64 v[139:140], v[3:4], v[139:140]
	s_waitcnt vmcnt(48)
	v_fma_f64 v[163:164], v[5:6], v[193:194], -v[163:164]
	v_add_f64 v[121:122], v[121:122], v[127:128]
	v_fma_f64 v[127:128], v[7:8], v[193:194], v[161:162]
	v_add_f64 v[119:120], v[119:120], v[133:134]
	ds_read_b128 v[5:8], v176 offset:1536
	s_waitcnt vmcnt(47) lgkmcnt(1)
	v_mul_f64 v[161:162], v[117:118], v[181:182]
	v_mul_f64 v[133:134], v[115:116], v[181:182]
	s_waitcnt vmcnt(45)
	v_fma_f64 v[139:140], v[1:2], v[131:132], -v[139:140]
	v_fma_f64 v[131:132], v[3:4], v[131:132], v[169:170]
	ds_read_b128 v[1:4], v176 offset:1552
	v_add_f64 v[121:122], v[121:122], v[163:164]
	v_add_f64 v[119:120], v[119:120], v[127:128]
	s_waitcnt vmcnt(41) lgkmcnt(1)
	v_mul_f64 v[127:128], v[5:6], v[125:126]
	v_mul_f64 v[125:126], v[7:8], v[125:126]
	s_waitcnt vmcnt(40)
	v_fma_f64 v[161:162], v[115:116], v[195:196], -v[161:162]
	v_fma_f64 v[133:134], v[117:118], v[195:196], v[133:134]
	ds_read_b128 v[115:118], v176 offset:1568
	v_add_f64 v[121:122], v[121:122], v[139:140]
	v_add_f64 v[119:120], v[119:120], v[131:132]
	;; [unrolled: 9-line block ×3, first 2 shown]
	s_waitcnt vmcnt(33) lgkmcnt(1)
	v_mul_f64 v[133:134], v[115:116], v[129:130]
	v_mul_f64 v[129:130], v[117:118], v[129:130]
	s_waitcnt vmcnt(32)
	v_fma_f64 v[137:138], v[1:2], v[191:192], -v[139:140]
	v_add_f64 v[121:122], v[121:122], v[125:126]
	v_fma_f64 v[125:126], v[3:4], v[191:192], v[131:132]
	v_add_f64 v[119:120], v[119:120], v[127:128]
	ds_read_b128 v[1:4], v176 offset:1600
	s_waitcnt vmcnt(31) lgkmcnt(1)
	v_mul_f64 v[131:132], v[7:8], v[151:152]
	v_mul_f64 v[127:128], v[5:6], v[151:152]
	s_waitcnt vmcnt(29)
	v_fma_f64 v[129:130], v[115:116], v[147:148], -v[129:130]
	v_fma_f64 v[133:134], v[117:118], v[147:148], v[133:134]
	ds_read_b128 v[115:118], v176 offset:1616
	v_add_f64 v[121:122], v[121:122], v[137:138]
	v_add_f64 v[119:120], v[119:120], v[125:126]
	s_waitcnt vmcnt(25) lgkmcnt(1)
	v_mul_f64 v[125:126], v[1:2], v[135:136]
	v_mul_f64 v[135:136], v[3:4], v[135:136]
	s_waitcnt vmcnt(24)
	v_fma_f64 v[131:132], v[5:6], v[183:184], -v[131:132]
	v_fma_f64 v[127:128], v[7:8], v[183:184], v[127:128]
	ds_read_b128 v[5:8], v176 offset:1632
	v_add_f64 v[121:122], v[121:122], v[129:130]
	v_add_f64 v[119:120], v[119:120], v[133:134]
	;; [unrolled: 9-line block ×3, first 2 shown]
	s_waitcnt vmcnt(17) lgkmcnt(1)
	v_mul_f64 v[131:132], v[7:8], v[141:142]
	s_waitcnt vmcnt(16)
	v_fma_f64 v[133:134], v[115:116], v[177:178], -v[133:134]
	v_mul_f64 v[127:128], v[5:6], v[141:142]
	v_fma_f64 v[129:130], v[117:118], v[177:178], v[129:130]
	ds_read_b128 v[115:118], v176 offset:1664
	v_add_f64 v[121:122], v[121:122], v[135:136]
	v_add_f64 v[119:120], v[119:120], v[125:126]
	s_waitcnt vmcnt(15) lgkmcnt(1)
	v_mul_f64 v[135:136], v[3:4], v[165:166]
	v_mul_f64 v[125:126], v[1:2], v[165:166]
	s_waitcnt vmcnt(13)
	v_fma_f64 v[131:132], v[5:6], v[153:154], -v[131:132]
	v_fma_f64 v[127:128], v[7:8], v[153:154], v[127:128]
	ds_read_b128 v[5:8], v176 offset:1680
	v_add_f64 v[121:122], v[121:122], v[133:134]
	v_add_f64 v[119:120], v[119:120], v[129:130]
	s_waitcnt vmcnt(9) lgkmcnt(1)
	v_mul_f64 v[133:134], v[117:118], v[149:150]
	s_waitcnt vmcnt(8)
	v_fma_f64 v[1:2], v[1:2], v[171:172], -v[135:136]
	v_mul_f64 v[129:130], v[115:116], v[149:150]
	v_fma_f64 v[3:4], v[3:4], v[171:172], v[125:126]
	v_add_f64 v[121:122], v[121:122], v[131:132]
	v_add_f64 v[119:120], v[119:120], v[127:128]
	s_waitcnt vmcnt(7) lgkmcnt(0)
	v_mul_f64 v[127:128], v[7:8], v[167:168]
	v_mul_f64 v[125:126], v[5:6], v[167:168]
	s_waitcnt vmcnt(5)
	v_fma_f64 v[115:116], v[115:116], v[123:124], -v[133:134]
	v_fma_f64 v[117:118], v[117:118], v[123:124], v[129:130]
	v_add_f64 v[1:2], v[121:122], v[1:2]
	v_add_f64 v[3:4], v[119:120], v[3:4]
	s_waitcnt vmcnt(4)
	v_fma_f64 v[5:6], v[5:6], v[173:174], -v[127:128]
	v_fma_f64 v[7:8], v[7:8], v[173:174], v[125:126]
	v_add_f64 v[1:2], v[1:2], v[115:116]
	v_add_f64 v[3:4], v[3:4], v[117:118]
	;; [unrolled: 1-line block ×4, first 2 shown]
	s_waitcnt vmcnt(2)
	v_add_f64 v[1:2], v[155:156], -v[1:2]
	s_waitcnt vmcnt(0)
	v_add_f64 v[3:4], v[159:160], -v[3:4]
	buffer_store_dword v2, off, s[0:3], 0 offset:68
	buffer_store_dword v1, off, s[0:3], 0 offset:64
	;; [unrolled: 1-line block ×4, first 2 shown]
	v_cmpx_lt_u32_e32 2, v0
	s_cbranch_execz .LBB116_327
; %bb.326:
	v_mov_b32_e32 v4, s63
	s_clause 0x3
	buffer_load_dword v1, v4, s[0:3], 0 offen
	buffer_load_dword v2, v4, s[0:3], 0 offen offset:4
	buffer_load_dword v3, v4, s[0:3], 0 offen offset:8
	;; [unrolled: 1-line block ×3, first 2 shown]
	buffer_store_dword v176, off, s[0:3], 0 offset:48
	buffer_store_dword v176, off, s[0:3], 0 offset:52
	;; [unrolled: 1-line block ×4, first 2 shown]
	s_waitcnt vmcnt(0)
	ds_write_b128 v175, v[1:4]
.LBB116_327:
	s_or_b32 exec_lo, exec_lo, s4
	s_waitcnt lgkmcnt(0)
	s_waitcnt_vscnt null, 0x0
	s_barrier
	buffer_gl0_inv
	s_clause 0x37
	buffer_load_dword v123, off, s[0:3], 0 offset:72
	buffer_load_dword v124, off, s[0:3], 0 offset:76
	;; [unrolled: 1-line block ×56, first 2 shown]
	ds_read_b128 v[5:8], v176 offset:896
	s_clause 0x2
	buffer_load_dword v172, off, s[0:3], 0 offset:300
	buffer_load_dword v174, off, s[0:3], 0 offset:276
	;; [unrolled: 1-line block ×3, first 2 shown]
	ds_read_b128 v[1:4], v176 offset:912
	s_clause 0x4
	buffer_load_dword v184, off, s[0:3], 0 offset:316
	buffer_load_dword v185, off, s[0:3], 0 offset:328
	;; [unrolled: 1-line block ×5, first 2 shown]
	ds_read_b128 v[177:180], v176 offset:928
	s_mov_b32 s4, exec_lo
	s_waitcnt vmcnt(62) lgkmcnt(2)
	v_mul_f64 v[181:182], v[7:8], v[123:124]
	v_mul_f64 v[123:124], v[5:6], v[123:124]
	s_waitcnt vmcnt(60) lgkmcnt(1)
	v_mul_f64 v[188:189], v[3:4], v[119:120]
	v_mul_f64 v[119:120], v[1:2], v[119:120]
	;; [unrolled: 3-line block ×3, first 2 shown]
	v_fma_f64 v[181:182], v[5:6], v[121:122], -v[181:182]
	v_fma_f64 v[121:122], v[7:8], v[121:122], v[123:124]
	s_clause 0x2
	buffer_load_dword v186, off, s[0:3], 0 offset:332
	buffer_load_dword v124, off, s[0:3], 0 offset:308
	;; [unrolled: 1-line block ×3, first 2 shown]
	s_waitcnt vmcnt(57)
	v_fma_f64 v[192:193], v[1:2], v[115:116], -v[188:189]
	ds_read_b128 v[5:8], v176 offset:944
	v_fma_f64 v[115:116], v[3:4], v[115:116], v[119:120]
	s_waitcnt vmcnt(51)
	v_fma_f64 v[177:178], v[177:178], v[139:140], -v[117:118]
	v_fma_f64 v[139:140], v[179:180], v[139:140], v[190:191]
	v_add_f64 v[181:182], v[181:182], 0
	v_add_f64 v[119:120], v[121:122], 0
	s_clause 0x4
	buffer_load_dword v122, off, s[0:3], 0 offset:348
	buffer_load_dword v189, off, s[0:3], 0 offset:360
	;; [unrolled: 1-line block ×5, first 2 shown]
	s_waitcnt lgkmcnt(0)
	v_mul_f64 v[195:196], v[5:6], v[127:128]
	v_mul_f64 v[127:128], v[7:8], v[127:128]
	ds_read_b128 v[1:4], v176 offset:960
	s_clause 0x2
	buffer_load_dword v190, off, s[0:3], 0 offset:364
	buffer_load_dword v180, off, s[0:3], 0 offset:340
	;; [unrolled: 1-line block ×3, first 2 shown]
	v_add_f64 v[181:182], v[181:182], v[192:193]
	v_add_f64 v[119:120], v[119:120], v[115:116]
	ds_read_b128 v[115:118], v176 offset:976
	s_waitcnt vmcnt(58) lgkmcnt(1)
	v_mul_f64 v[191:192], v[1:2], v[131:132]
	v_mul_f64 v[131:132], v[3:4], v[131:132]
	s_waitcnt vmcnt(56)
	v_fma_f64 v[127:128], v[5:6], v[133:134], -v[127:128]
	v_fma_f64 v[133:134], v[7:8], v[133:134], v[195:196]
	s_waitcnt vmcnt(52) lgkmcnt(0)
	v_mul_f64 v[197:198], v[115:116], v[135:136]
	v_add_f64 v[177:178], v[181:182], v[177:178]
	v_add_f64 v[119:120], v[119:120], v[139:140]
	s_clause 0x4
	buffer_load_dword v140, off, s[0:3], 0 offset:380
	buffer_load_dword v181, off, s[0:3], 0 offset:392
	;; [unrolled: 1-line block ×5, first 2 shown]
	v_mul_f64 v[135:136], v[117:118], v[135:136]
	s_waitcnt vmcnt(56)
	v_fma_f64 v[131:132], v[1:2], v[125:126], -v[131:132]
	ds_read_b128 v[5:8], v176 offset:992
	v_fma_f64 v[125:126], v[3:4], v[125:126], v[191:192]
	v_add_f64 v[127:128], v[177:178], v[127:128]
	v_add_f64 v[119:120], v[119:120], v[133:134]
	s_clause 0x2
	buffer_load_dword v182, off, s[0:3], 0 offset:396
	buffer_load_dword v134, off, s[0:3], 0 offset:372
	;; [unrolled: 1-line block ×3, first 2 shown]
	s_waitcnt vmcnt(58) lgkmcnt(0)
	v_mul_f64 v[177:178], v[5:6], v[141:142]
	v_mul_f64 v[141:142], v[7:8], v[141:142]
	s_waitcnt vmcnt(56)
	v_fma_f64 v[135:136], v[115:116], v[143:144], -v[135:136]
	ds_read_b128 v[1:4], v176 offset:1008
	v_add_f64 v[127:128], v[127:128], v[131:132]
	v_fma_f64 v[131:132], v[117:118], v[143:144], v[197:198]
	v_add_f64 v[119:120], v[119:120], v[125:126]
	s_clause 0x4
	buffer_load_dword v126, off, s[0:3], 0 offset:412
	buffer_load_dword v143, off, s[0:3], 0 offset:424
	;; [unrolled: 1-line block ×5, first 2 shown]
	s_waitcnt vmcnt(57) lgkmcnt(0)
	v_mul_f64 v[192:193], v[1:2], v[145:146]
	v_mul_f64 v[145:146], v[3:4], v[145:146]
	s_waitcnt vmcnt(56)
	v_fma_f64 v[141:142], v[5:6], v[129:130], -v[141:142]
	ds_read_b128 v[115:118], v176 offset:1024
	v_fma_f64 v[129:130], v[7:8], v[129:130], v[177:178]
	v_add_f64 v[127:128], v[127:128], v[135:136]
	v_add_f64 v[119:120], v[119:120], v[131:132]
	s_clause 0x2
	buffer_load_dword v144, off, s[0:3], 0 offset:428
	buffer_load_dword v132, off, s[0:3], 0 offset:404
	;; [unrolled: 1-line block ×3, first 2 shown]
	ds_read_b128 v[5:8], v176 offset:1040
	s_waitcnt vmcnt(58) lgkmcnt(1)
	v_mul_f64 v[135:136], v[115:116], v[149:150]
	v_mul_f64 v[149:150], v[117:118], v[149:150]
	s_waitcnt vmcnt(56)
	v_fma_f64 v[145:146], v[1:2], v[151:152], -v[145:146]
	v_add_f64 v[127:128], v[127:128], v[141:142]
	v_fma_f64 v[141:142], v[3:4], v[151:152], v[192:193]
	v_add_f64 v[119:120], v[119:120], v[129:130]
	s_clause 0x4
	buffer_load_dword v130, off, s[0:3], 0 offset:444
	buffer_load_dword v151, off, s[0:3], 0 offset:456
	;; [unrolled: 1-line block ×5, first 2 shown]
	s_waitcnt vmcnt(57) lgkmcnt(0)
	v_mul_f64 v[198:199], v[5:6], v[153:154]
	v_mul_f64 v[153:154], v[7:8], v[153:154]
	s_waitcnt vmcnt(56)
	v_fma_f64 v[149:150], v[115:116], v[137:138], -v[149:150]
	ds_read_b128 v[1:4], v176 offset:1056
	v_fma_f64 v[135:136], v[117:118], v[137:138], v[135:136]
	s_clause 0x2
	buffer_load_dword v152, off, s[0:3], 0 offset:460
	buffer_load_dword v138, off, s[0:3], 0 offset:436
	;; [unrolled: 1-line block ×3, first 2 shown]
	ds_read_b128 v[115:118], v176 offset:1072
	v_add_f64 v[127:128], v[127:128], v[145:146]
	v_add_f64 v[119:120], v[119:120], v[141:142]
	s_waitcnt vmcnt(58) lgkmcnt(1)
	v_mul_f64 v[145:146], v[3:4], v[157:158]
	s_waitcnt vmcnt(56)
	v_fma_f64 v[153:154], v[5:6], v[159:160], -v[153:154]
	v_mul_f64 v[141:142], v[1:2], v[157:158]
	v_add_f64 v[127:128], v[127:128], v[149:150]
	v_fma_f64 v[149:150], v[7:8], v[159:160], v[198:199]
	v_add_f64 v[119:120], v[119:120], v[135:136]
	s_clause 0x4
	buffer_load_dword v136, off, s[0:3], 0 offset:476
	buffer_load_dword v157, off, s[0:3], 0 offset:488
	;; [unrolled: 1-line block ×5, first 2 shown]
	s_waitcnt vmcnt(57) lgkmcnt(0)
	v_mul_f64 v[198:199], v[115:116], v[161:162]
	v_mul_f64 v[160:161], v[117:118], v[161:162]
	s_waitcnt vmcnt(56)
	v_fma_f64 v[145:146], v[1:2], v[147:148], -v[145:146]
	ds_read_b128 v[5:8], v176 offset:1088
	v_fma_f64 v[141:142], v[3:4], v[147:148], v[141:142]
	s_clause 0x2
	buffer_load_dword v158, off, s[0:3], 0 offset:492
	buffer_load_dword v148, off, s[0:3], 0 offset:468
	;; [unrolled: 1-line block ×3, first 2 shown]
	ds_read_b128 v[1:4], v176 offset:1104
	v_add_f64 v[127:128], v[127:128], v[153:154]
	v_add_f64 v[119:120], v[119:120], v[149:150]
	s_waitcnt vmcnt(58) lgkmcnt(1)
	v_mul_f64 v[153:154], v[7:8], v[165:166]
	s_waitcnt vmcnt(56)
	v_fma_f64 v[161:162], v[115:116], v[167:168], -v[160:161]
	v_mul_f64 v[149:150], v[5:6], v[165:166]
	v_add_f64 v[127:128], v[127:128], v[145:146]
	v_fma_f64 v[145:146], v[117:118], v[167:168], v[198:199]
	v_add_f64 v[119:120], v[119:120], v[141:142]
	s_clause 0x4
	buffer_load_dword v142, off, s[0:3], 0 offset:508
	buffer_load_dword v165, off, s[0:3], 0 offset:520
	;; [unrolled: 1-line block ×5, first 2 shown]
	s_waitcnt vmcnt(57) lgkmcnt(0)
	v_mul_f64 v[198:199], v[1:2], v[169:170]
	v_mul_f64 v[168:169], v[3:4], v[169:170]
	s_waitcnt vmcnt(56)
	v_fma_f64 v[153:154], v[5:6], v[155:156], -v[153:154]
	ds_read_b128 v[115:118], v176 offset:1120
	v_fma_f64 v[149:150], v[7:8], v[155:156], v[149:150]
	v_add_f64 v[127:128], v[127:128], v[161:162]
	v_add_f64 v[119:120], v[119:120], v[145:146]
	s_clause 0x2
	buffer_load_dword v166, off, s[0:3], 0 offset:524
	buffer_load_dword v146, off, s[0:3], 0 offset:500
	;; [unrolled: 1-line block ×3, first 2 shown]
	ds_read_b128 v[5:8], v176 offset:1136
	s_waitcnt vmcnt(58) lgkmcnt(1)
	v_mul_f64 v[161:162], v[117:118], v[171:172]
	s_waitcnt vmcnt(56)
	v_fma_f64 v[169:170], v[1:2], v[173:174], -v[168:169]
	v_mul_f64 v[155:156], v[115:116], v[171:172]
	v_add_f64 v[127:128], v[127:128], v[153:154]
	v_fma_f64 v[153:154], v[3:4], v[173:174], v[198:199]
	v_add_f64 v[119:120], v[119:120], v[149:150]
	s_clause 0x4
	buffer_load_dword v150, off, s[0:3], 0 offset:540
	buffer_load_dword v171, off, s[0:3], 0 offset:552
	;; [unrolled: 1-line block ×5, first 2 shown]
	s_waitcnt vmcnt(57) lgkmcnt(0)
	v_mul_f64 v[198:199], v[5:6], v[183:184]
	v_mul_f64 v[183:184], v[7:8], v[183:184]
	s_waitcnt vmcnt(56)
	v_fma_f64 v[161:162], v[115:116], v[163:164], -v[161:162]
	ds_read_b128 v[1:4], v176 offset:1152
	v_fma_f64 v[155:156], v[117:118], v[163:164], v[155:156]
	v_add_f64 v[127:128], v[127:128], v[169:170]
	v_add_f64 v[119:120], v[119:120], v[153:154]
	s_clause 0x2
	buffer_load_dword v172, off, s[0:3], 0 offset:556
	buffer_load_dword v154, off, s[0:3], 0 offset:532
	;; [unrolled: 1-line block ×3, first 2 shown]
	ds_read_b128 v[115:118], v176 offset:1168
	s_waitcnt vmcnt(58) lgkmcnt(1)
	v_mul_f64 v[169:170], v[3:4], v[185:186]
	v_mul_f64 v[163:164], v[1:2], v[185:186]
	s_waitcnt vmcnt(56)
	v_fma_f64 v[183:184], v[5:6], v[123:124], -v[183:184]
	v_fma_f64 v[123:124], v[7:8], v[123:124], v[198:199]
	v_add_f64 v[127:128], v[127:128], v[161:162]
	v_add_f64 v[119:120], v[119:120], v[155:156]
	s_clause 0x4
	buffer_load_dword v156, off, s[0:3], 0 offset:572
	buffer_load_dword v161, off, s[0:3], 0 offset:584
	;; [unrolled: 1-line block ×5, first 2 shown]
	ds_read_b128 v[5:8], v176 offset:1184
	s_waitcnt vmcnt(57) lgkmcnt(1)
	v_mul_f64 v[198:199], v[115:116], v[121:122]
	v_mul_f64 v[121:122], v[117:118], v[121:122]
	s_waitcnt vmcnt(56)
	v_fma_f64 v[169:170], v[1:2], v[187:188], -v[169:170]
	v_fma_f64 v[163:164], v[3:4], v[187:188], v[163:164]
	v_add_f64 v[127:128], v[127:128], v[183:184]
	v_add_f64 v[119:120], v[119:120], v[123:124]
	s_clause 0x2
	buffer_load_dword v162, off, s[0:3], 0 offset:588
	buffer_load_dword v124, off, s[0:3], 0 offset:564
	;; [unrolled: 1-line block ×3, first 2 shown]
	s_waitcnt vmcnt(58) lgkmcnt(0)
	v_mul_f64 v[187:188], v[7:8], v[189:190]
	ds_read_b128 v[1:4], v176 offset:1200
	v_mul_f64 v[183:184], v[5:6], v[189:190]
	s_waitcnt vmcnt(56)
	v_fma_f64 v[121:122], v[115:116], v[179:180], -v[121:122]
	v_add_f64 v[127:128], v[127:128], v[169:170]
	v_fma_f64 v[169:170], v[117:118], v[179:180], v[198:199]
	v_add_f64 v[119:120], v[119:120], v[163:164]
	s_clause 0x4
	buffer_load_dword v164, off, s[0:3], 0 offset:604
	buffer_load_dword v179, off, s[0:3], 0 offset:616
	;; [unrolled: 1-line block ×5, first 2 shown]
	ds_read_b128 v[115:118], v176 offset:1216
	s_waitcnt vmcnt(57) lgkmcnt(1)
	v_mul_f64 v[198:199], v[1:2], v[139:140]
	v_mul_f64 v[139:140], v[3:4], v[139:140]
	s_waitcnt vmcnt(56)
	v_fma_f64 v[187:188], v[5:6], v[194:195], -v[187:188]
	v_add_f64 v[121:122], v[127:128], v[121:122]
	v_fma_f64 v[127:128], v[7:8], v[194:195], v[183:184]
	v_add_f64 v[119:120], v[119:120], v[169:170]
	s_clause 0x2
	buffer_load_dword v180, off, s[0:3], 0 offset:620
	buffer_load_dword v170, off, s[0:3], 0 offset:596
	;; [unrolled: 1-line block ×3, first 2 shown]
	ds_read_b128 v[5:8], v176 offset:1232
	s_waitcnt vmcnt(58) lgkmcnt(1)
	v_mul_f64 v[183:184], v[115:116], v[181:182]
	v_mul_f64 v[181:182], v[117:118], v[181:182]
	s_waitcnt vmcnt(56)
	v_fma_f64 v[139:140], v[1:2], v[133:134], -v[139:140]
	v_fma_f64 v[133:134], v[3:4], v[133:134], v[198:199]
	v_add_f64 v[121:122], v[121:122], v[187:188]
	v_add_f64 v[119:120], v[119:120], v[127:128]
	s_clause 0x4
	buffer_load_dword v128, off, s[0:3], 0 offset:636
	buffer_load_dword v187, off, s[0:3], 0 offset:648
	;; [unrolled: 1-line block ×5, first 2 shown]
	ds_read_b128 v[1:4], v176 offset:1248
	s_waitcnt vmcnt(57) lgkmcnt(1)
	v_mul_f64 v[194:195], v[5:6], v[125:126]
	v_mul_f64 v[125:126], v[7:8], v[125:126]
	s_waitcnt vmcnt(56)
	v_fma_f64 v[181:182], v[115:116], v[196:197], -v[181:182]
	v_add_f64 v[121:122], v[121:122], v[139:140]
	v_fma_f64 v[139:140], v[117:118], v[196:197], v[183:184]
	v_add_f64 v[119:120], v[119:120], v[133:134]
	s_clause 0x2
	buffer_load_dword v188, off, s[0:3], 0 offset:652
	buffer_load_dword v134, off, s[0:3], 0 offset:628
	;; [unrolled: 1-line block ×3, first 2 shown]
	ds_read_b128 v[115:118], v176 offset:1264
	s_waitcnt vmcnt(58) lgkmcnt(1)
	v_mul_f64 v[183:184], v[1:2], v[143:144]
	v_mul_f64 v[143:144], v[3:4], v[143:144]
	s_waitcnt vmcnt(56)
	v_fma_f64 v[125:126], v[5:6], v[131:132], -v[125:126]
	v_fma_f64 v[131:132], v[7:8], v[131:132], v[194:195]
	v_add_f64 v[121:122], v[121:122], v[181:182]
	v_add_f64 v[119:120], v[119:120], v[139:140]
	s_clause 0x4
	buffer_load_dword v140, off, s[0:3], 0 offset:668
	buffer_load_dword v181, off, s[0:3], 0 offset:680
	;; [unrolled: 1-line block ×5, first 2 shown]
	ds_read_b128 v[5:8], v176 offset:1280
	s_waitcnt vmcnt(57) lgkmcnt(1)
	v_mul_f64 v[196:197], v[115:116], v[129:130]
	v_mul_f64 v[129:130], v[117:118], v[129:130]
	s_waitcnt vmcnt(56)
	v_fma_f64 v[143:144], v[1:2], v[191:192], -v[143:144]
	v_add_f64 v[121:122], v[121:122], v[125:126]
	v_fma_f64 v[125:126], v[3:4], v[191:192], v[183:184]
	v_add_f64 v[119:120], v[119:120], v[131:132]
	s_clause 0x2
	buffer_load_dword v182, off, s[0:3], 0 offset:684
	buffer_load_dword v132, off, s[0:3], 0 offset:660
	;; [unrolled: 1-line block ×3, first 2 shown]
	s_waitcnt vmcnt(58) lgkmcnt(0)
	v_mul_f64 v[183:184], v[5:6], v[151:152]
	v_mul_f64 v[151:152], v[7:8], v[151:152]
	ds_read_b128 v[1:4], v176 offset:1296
	s_waitcnt vmcnt(56)
	v_fma_f64 v[129:130], v[115:116], v[137:138], -v[129:130]
	v_fma_f64 v[137:138], v[117:118], v[137:138], v[196:197]
	v_add_f64 v[121:122], v[121:122], v[143:144]
	v_add_f64 v[119:120], v[119:120], v[125:126]
	s_clause 0x4
	buffer_load_dword v126, off, s[0:3], 0 offset:700
	buffer_load_dword v143, off, s[0:3], 0 offset:712
	;; [unrolled: 1-line block ×5, first 2 shown]
	ds_read_b128 v[115:118], v176 offset:1312
	s_waitcnt vmcnt(57) lgkmcnt(1)
	v_mul_f64 v[197:198], v[1:2], v[135:136]
	v_mul_f64 v[135:136], v[3:4], v[135:136]
	s_waitcnt vmcnt(56)
	v_fma_f64 v[151:152], v[5:6], v[177:178], -v[151:152]
	v_add_f64 v[121:122], v[121:122], v[129:130]
	v_fma_f64 v[129:130], v[7:8], v[177:178], v[183:184]
	v_add_f64 v[119:120], v[119:120], v[137:138]
	s_clause 0x2
	buffer_load_dword v144, off, s[0:3], 0 offset:716
	buffer_load_dword v138, off, s[0:3], 0 offset:692
	;; [unrolled: 1-line block ×3, first 2 shown]
	s_waitcnt vmcnt(58) lgkmcnt(0)
	v_mul_f64 v[177:178], v[115:116], v[157:158]
	v_mul_f64 v[157:158], v[117:118], v[157:158]
	ds_read_b128 v[5:8], v176 offset:1328
	s_waitcnt vmcnt(56)
	v_fma_f64 v[135:136], v[1:2], v[147:148], -v[135:136]
	v_fma_f64 v[147:148], v[3:4], v[147:148], v[197:198]
	v_add_f64 v[121:122], v[121:122], v[151:152]
	v_add_f64 v[119:120], v[119:120], v[129:130]
	s_clause 0x4
	buffer_load_dword v130, off, s[0:3], 0 offset:732
	buffer_load_dword v151, off, s[0:3], 0 offset:744
	buffer_load_dword v183, off, s[0:3], 0 offset:736
	buffer_load_dword v129, off, s[0:3], 0 offset:728
	buffer_load_dword v192, off, s[0:3], 0 offset:708
	ds_read_b128 v[1:4], v176 offset:1344
	s_waitcnt vmcnt(57) lgkmcnt(1)
	v_mul_f64 v[197:198], v[5:6], v[141:142]
	v_mul_f64 v[141:142], v[7:8], v[141:142]
	s_waitcnt vmcnt(56)
	v_fma_f64 v[157:158], v[115:116], v[159:160], -v[157:158]
	v_add_f64 v[121:122], v[121:122], v[135:136]
	v_fma_f64 v[135:136], v[117:118], v[159:160], v[177:178]
	v_add_f64 v[119:120], v[119:120], v[147:148]
	s_clause 0x2
	buffer_load_dword v152, off, s[0:3], 0 offset:748
	buffer_load_dword v148, off, s[0:3], 0 offset:724
	buffer_load_dword v147, off, s[0:3], 0 offset:720
	ds_read_b128 v[115:118], v176 offset:1360
	s_waitcnt vmcnt(58) lgkmcnt(1)
	v_mul_f64 v[159:160], v[1:2], v[165:166]
	v_mul_f64 v[165:166], v[3:4], v[165:166]
	s_waitcnt vmcnt(56)
	v_fma_f64 v[141:142], v[5:6], v[145:146], -v[141:142]
	v_fma_f64 v[145:146], v[7:8], v[145:146], v[197:198]
	v_add_f64 v[121:122], v[121:122], v[157:158]
	v_add_f64 v[119:120], v[119:120], v[135:136]
	s_clause 0x4
	buffer_load_dword v136, off, s[0:3], 0 offset:764
	buffer_load_dword v157, off, s[0:3], 0 offset:776
	buffer_load_dword v177, off, s[0:3], 0 offset:768
	buffer_load_dword v135, off, s[0:3], 0 offset:760
	buffer_load_dword v184, off, s[0:3], 0 offset:740
	ds_read_b128 v[5:8], v176 offset:1376
	s_waitcnt vmcnt(57) lgkmcnt(1)
	v_mul_f64 v[197:198], v[115:116], v[149:150]
	v_mul_f64 v[149:150], v[117:118], v[149:150]
	s_waitcnt vmcnt(56)
	v_fma_f64 v[165:166], v[1:2], v[167:168], -v[165:166]
	v_add_f64 v[121:122], v[121:122], v[141:142]
	v_fma_f64 v[141:142], v[3:4], v[167:168], v[159:160]
	v_add_f64 v[119:120], v[119:120], v[145:146]
	s_clause 0x2
	buffer_load_dword v158, off, s[0:3], 0 offset:780
	buffer_load_dword v146, off, s[0:3], 0 offset:756
	buffer_load_dword v145, off, s[0:3], 0 offset:752
	ds_read_b128 v[1:4], v176 offset:1392
	s_waitcnt vmcnt(58) lgkmcnt(1)
	v_mul_f64 v[167:168], v[7:8], v[171:172]
	v_mul_f64 v[159:160], v[5:6], v[171:172]
	;; [unrolled: 28-line block ×4, first 2 shown]
	s_waitcnt vmcnt(56)
	v_fma_f64 v[163:164], v[5:6], v[169:170], -v[163:164]
	v_add_f64 v[121:122], v[121:122], v[161:162]
	v_fma_f64 v[161:162], v[7:8], v[169:170], v[197:198]
	v_add_f64 v[119:120], v[119:120], v[155:156]
	s_clause 0x2
	buffer_load_dword v156, off, s[0:3], 0 offset:860
	buffer_load_dword v155, off, s[0:3], 0 offset:856
	;; [unrolled: 1-line block ×3, first 2 shown]
	ds_read_b128 v[5:8], v176 offset:1472
	s_waitcnt vmcnt(55) lgkmcnt(1)
	v_mul_f64 v[169:170], v[115:116], v[127:128]
	v_mul_f64 v[127:128], v[117:118], v[127:128]
	s_waitcnt vmcnt(54)
	v_fma_f64 v[179:180], v[1:2], v[189:190], -v[179:180]
	v_fma_f64 v[159:160], v[3:4], v[189:190], v[159:160]
	v_add_f64 v[121:122], v[121:122], v[163:164]
	v_add_f64 v[119:120], v[119:120], v[161:162]
	s_clause 0x1
	buffer_load_dword v162, off, s[0:3], 0 offset:852
	buffer_load_dword v161, off, s[0:3], 0 offset:848
	ds_read_b128 v[1:4], v176 offset:1488
	s_waitcnt vmcnt(55) lgkmcnt(1)
	v_mul_f64 v[185:186], v[7:8], v[187:188]
	v_mul_f64 v[163:164], v[5:6], v[187:188]
	s_waitcnt vmcnt(53)
	v_fma_f64 v[127:128], v[115:116], v[133:134], -v[127:128]
	v_fma_f64 v[133:134], v[117:118], v[133:134], v[169:170]
	ds_read_b128 v[115:118], v176 offset:1504
	v_add_f64 v[121:122], v[121:122], v[179:180]
	v_add_f64 v[119:120], v[119:120], v[159:160]
	s_waitcnt vmcnt(49) lgkmcnt(1)
	v_mul_f64 v[159:160], v[1:2], v[139:140]
	v_mul_f64 v[139:140], v[3:4], v[139:140]
	s_waitcnt vmcnt(48)
	v_fma_f64 v[169:170], v[5:6], v[193:194], -v[185:186]
	v_add_f64 v[121:122], v[121:122], v[127:128]
	v_fma_f64 v[127:128], v[7:8], v[193:194], v[163:164]
	v_add_f64 v[119:120], v[119:120], v[133:134]
	s_clause 0x3
	buffer_load_dword v133, off, s[0:3], 0 offset:48
	buffer_load_dword v134, off, s[0:3], 0 offset:52
	;; [unrolled: 1-line block ×4, first 2 shown]
	ds_read_b128 v[5:8], v176 offset:1520
	s_waitcnt vmcnt(51) lgkmcnt(1)
	v_mul_f64 v[179:180], v[115:116], v[181:182]
	v_mul_f64 v[181:182], v[117:118], v[181:182]
	s_waitcnt vmcnt(49)
	v_fma_f64 v[139:140], v[1:2], v[131:132], -v[139:140]
	v_fma_f64 v[131:132], v[3:4], v[131:132], v[159:160]
	ds_read_b128 v[1:4], v176 offset:1536
	v_add_f64 v[121:122], v[121:122], v[169:170]
	v_add_f64 v[119:120], v[119:120], v[127:128]
	s_waitcnt vmcnt(45) lgkmcnt(1)
	v_mul_f64 v[127:128], v[5:6], v[125:126]
	v_mul_f64 v[125:126], v[7:8], v[125:126]
	s_waitcnt vmcnt(44)
	v_fma_f64 v[159:160], v[115:116], v[195:196], -v[181:182]
	v_add_f64 v[121:122], v[121:122], v[139:140]
	v_fma_f64 v[139:140], v[117:118], v[195:196], v[179:180]
	v_add_f64 v[119:120], v[119:120], v[131:132]
	ds_read_b128 v[115:118], v176 offset:1552
	s_waitcnt vmcnt(43) lgkmcnt(1)
	v_mul_f64 v[131:132], v[1:2], v[143:144]
	v_mul_f64 v[143:144], v[3:4], v[143:144]
	s_waitcnt vmcnt(41)
	v_fma_f64 v[125:126], v[5:6], v[137:138], -v[125:126]
	v_fma_f64 v[127:128], v[7:8], v[137:138], v[127:128]
	ds_read_b128 v[5:8], v176 offset:1568
	v_add_f64 v[121:122], v[121:122], v[159:160]
	v_add_f64 v[119:120], v[119:120], v[139:140]
	s_waitcnt vmcnt(37) lgkmcnt(1)
	v_mul_f64 v[137:138], v[115:116], v[129:130]
	v_mul_f64 v[129:130], v[117:118], v[129:130]
	s_waitcnt vmcnt(36)
	v_fma_f64 v[139:140], v[1:2], v[191:192], -v[143:144]
	v_add_f64 v[121:122], v[121:122], v[125:126]
	v_fma_f64 v[125:126], v[3:4], v[191:192], v[131:132]
	v_add_f64 v[119:120], v[119:120], v[127:128]
	ds_read_b128 v[1:4], v176 offset:1584
	s_waitcnt vmcnt(35) lgkmcnt(1)
	v_mul_f64 v[131:132], v[7:8], v[151:152]
	v_mul_f64 v[127:128], v[5:6], v[151:152]
	s_waitcnt vmcnt(33)
	v_fma_f64 v[129:130], v[115:116], v[147:148], -v[129:130]
	v_fma_f64 v[137:138], v[117:118], v[147:148], v[137:138]
	ds_read_b128 v[115:118], v176 offset:1600
	v_add_f64 v[121:122], v[121:122], v[139:140]
	v_add_f64 v[119:120], v[119:120], v[125:126]
	s_waitcnt vmcnt(29) lgkmcnt(1)
	v_mul_f64 v[125:126], v[1:2], v[135:136]
	v_mul_f64 v[135:136], v[3:4], v[135:136]
	s_waitcnt vmcnt(28)
	v_fma_f64 v[131:132], v[5:6], v[183:184], -v[131:132]
	v_fma_f64 v[127:128], v[7:8], v[183:184], v[127:128]
	ds_read_b128 v[5:8], v176 offset:1616
	v_add_f64 v[121:122], v[121:122], v[129:130]
	v_add_f64 v[119:120], v[119:120], v[137:138]
	s_waitcnt vmcnt(27) lgkmcnt(1)
	v_mul_f64 v[137:138], v[117:118], v[157:158]
	v_mul_f64 v[129:130], v[115:116], v[157:158]
	s_waitcnt vmcnt(25)
	v_fma_f64 v[135:136], v[1:2], v[145:146], -v[135:136]
	v_fma_f64 v[125:126], v[3:4], v[145:146], v[125:126]
	ds_read_b128 v[1:4], v176 offset:1632
	v_add_f64 v[121:122], v[121:122], v[131:132]
	v_add_f64 v[119:120], v[119:120], v[127:128]
	s_waitcnt vmcnt(21) lgkmcnt(1)
	v_mul_f64 v[131:132], v[7:8], v[141:142]
	s_waitcnt vmcnt(20)
	v_fma_f64 v[137:138], v[115:116], v[177:178], -v[137:138]
	v_mul_f64 v[127:128], v[5:6], v[141:142]
	v_fma_f64 v[129:130], v[117:118], v[177:178], v[129:130]
	ds_read_b128 v[115:118], v176 offset:1648
	v_add_f64 v[121:122], v[121:122], v[135:136]
	v_add_f64 v[119:120], v[119:120], v[125:126]
	s_waitcnt vmcnt(19) lgkmcnt(1)
	v_mul_f64 v[135:136], v[3:4], v[165:166]
	v_mul_f64 v[125:126], v[1:2], v[165:166]
	s_waitcnt vmcnt(17)
	v_fma_f64 v[131:132], v[5:6], v[153:154], -v[131:132]
	v_fma_f64 v[127:128], v[7:8], v[153:154], v[127:128]
	ds_read_b128 v[5:8], v176 offset:1664
	v_add_f64 v[121:122], v[121:122], v[137:138]
	v_add_f64 v[119:120], v[119:120], v[129:130]
	s_waitcnt vmcnt(13) lgkmcnt(1)
	v_mul_f64 v[137:138], v[117:118], v[149:150]
	s_waitcnt vmcnt(12)
	v_fma_f64 v[135:136], v[1:2], v[171:172], -v[135:136]
	v_mul_f64 v[129:130], v[115:116], v[149:150]
	v_fma_f64 v[125:126], v[3:4], v[171:172], v[125:126]
	ds_read_b128 v[1:4], v176 offset:1680
	v_add_f64 v[121:122], v[121:122], v[131:132]
	v_add_f64 v[119:120], v[119:120], v[127:128]
	s_waitcnt vmcnt(11) lgkmcnt(1)
	v_mul_f64 v[131:132], v[7:8], v[167:168]
	v_mul_f64 v[127:128], v[5:6], v[167:168]
	s_waitcnt vmcnt(9)
	v_fma_f64 v[115:116], v[115:116], v[123:124], -v[137:138]
	v_fma_f64 v[117:118], v[117:118], v[123:124], v[129:130]
	v_add_f64 v[121:122], v[121:122], v[135:136]
	v_add_f64 v[119:120], v[119:120], v[125:126]
	s_waitcnt vmcnt(7) lgkmcnt(0)
	v_mul_f64 v[125:126], v[3:4], v[155:156]
	s_waitcnt vmcnt(6)
	v_fma_f64 v[5:6], v[5:6], v[173:174], -v[131:132]
	v_mul_f64 v[123:124], v[1:2], v[155:156]
	v_fma_f64 v[7:8], v[7:8], v[173:174], v[127:128]
	v_add_f64 v[115:116], v[121:122], v[115:116]
	v_add_f64 v[117:118], v[119:120], v[117:118]
	s_waitcnt vmcnt(4)
	v_fma_f64 v[1:2], v[1:2], v[161:162], -v[125:126]
	v_fma_f64 v[3:4], v[3:4], v[161:162], v[123:124]
	v_add_f64 v[5:6], v[115:116], v[5:6]
	v_add_f64 v[7:8], v[117:118], v[7:8]
	;; [unrolled: 1-line block ×4, first 2 shown]
	s_waitcnt vmcnt(2)
	v_add_f64 v[1:2], v[133:134], -v[1:2]
	s_waitcnt vmcnt(0)
	v_add_f64 v[3:4], v[163:164], -v[3:4]
	buffer_store_dword v2, off, s[0:3], 0 offset:52
	buffer_store_dword v1, off, s[0:3], 0 offset:48
	;; [unrolled: 1-line block ×4, first 2 shown]
	v_cmpx_lt_u32_e32 1, v0
	s_cbranch_execz .LBB116_329
; %bb.328:
	v_mov_b32_e32 v4, s64
	v_mov_b32_e32 v5, 0
	s_clause 0x3
	buffer_load_dword v1, v4, s[0:3], 0 offen
	buffer_load_dword v2, v4, s[0:3], 0 offen offset:4
	buffer_load_dword v3, v4, s[0:3], 0 offen offset:8
	;; [unrolled: 1-line block ×3, first 2 shown]
	buffer_store_dword v5, off, s[0:3], 0 offset:32
	buffer_store_dword v5, off, s[0:3], 0 offset:36
	;; [unrolled: 1-line block ×4, first 2 shown]
	s_waitcnt vmcnt(0)
	ds_write_b128 v175, v[1:4]
.LBB116_329:
	s_or_b32 exec_lo, exec_lo, s4
	s_waitcnt lgkmcnt(0)
	s_waitcnt_vscnt null, 0x0
	s_barrier
	buffer_gl0_inv
	s_clause 0x37
	buffer_load_dword v123, off, s[0:3], 0 offset:56
	buffer_load_dword v124, off, s[0:3], 0 offset:60
	;; [unrolled: 1-line block ×56, first 2 shown]
	v_mov_b32_e32 v176, 0
	s_mov_b32 s4, exec_lo
	ds_read_b128 v[5:8], v176 offset:880
	s_clause 0x2
	buffer_load_dword v172, off, s[0:3], 0 offset:284
	buffer_load_dword v174, off, s[0:3], 0 offset:260
	;; [unrolled: 1-line block ×3, first 2 shown]
	ds_read_b128 v[1:4], v176 offset:896
	s_clause 0x4
	buffer_load_dword v184, off, s[0:3], 0 offset:300
	buffer_load_dword v185, off, s[0:3], 0 offset:312
	;; [unrolled: 1-line block ×5, first 2 shown]
	ds_read_b128 v[177:180], v176 offset:912
	s_waitcnt vmcnt(62) lgkmcnt(2)
	v_mul_f64 v[181:182], v[7:8], v[123:124]
	v_mul_f64 v[123:124], v[5:6], v[123:124]
	s_waitcnt vmcnt(60) lgkmcnt(1)
	v_mul_f64 v[188:189], v[3:4], v[119:120]
	v_mul_f64 v[119:120], v[1:2], v[119:120]
	;; [unrolled: 3-line block ×3, first 2 shown]
	v_fma_f64 v[181:182], v[5:6], v[121:122], -v[181:182]
	v_fma_f64 v[121:122], v[7:8], v[121:122], v[123:124]
	s_clause 0x2
	buffer_load_dword v186, off, s[0:3], 0 offset:316
	buffer_load_dword v124, off, s[0:3], 0 offset:292
	buffer_load_dword v123, off, s[0:3], 0 offset:288
	s_waitcnt vmcnt(57)
	v_fma_f64 v[192:193], v[1:2], v[115:116], -v[188:189]
	ds_read_b128 v[5:8], v176 offset:928
	v_fma_f64 v[115:116], v[3:4], v[115:116], v[119:120]
	s_waitcnt vmcnt(51)
	v_fma_f64 v[177:178], v[177:178], v[139:140], -v[117:118]
	v_fma_f64 v[139:140], v[179:180], v[139:140], v[190:191]
	v_add_f64 v[181:182], v[181:182], 0
	v_add_f64 v[119:120], v[121:122], 0
	s_clause 0x4
	buffer_load_dword v122, off, s[0:3], 0 offset:332
	buffer_load_dword v189, off, s[0:3], 0 offset:344
	;; [unrolled: 1-line block ×5, first 2 shown]
	s_waitcnt lgkmcnt(0)
	v_mul_f64 v[195:196], v[5:6], v[127:128]
	v_mul_f64 v[127:128], v[7:8], v[127:128]
	ds_read_b128 v[1:4], v176 offset:944
	s_clause 0x2
	buffer_load_dword v190, off, s[0:3], 0 offset:348
	buffer_load_dword v180, off, s[0:3], 0 offset:324
	;; [unrolled: 1-line block ×3, first 2 shown]
	v_add_f64 v[181:182], v[181:182], v[192:193]
	v_add_f64 v[119:120], v[119:120], v[115:116]
	ds_read_b128 v[115:118], v176 offset:960
	s_waitcnt vmcnt(58) lgkmcnt(1)
	v_mul_f64 v[191:192], v[1:2], v[131:132]
	v_mul_f64 v[131:132], v[3:4], v[131:132]
	s_waitcnt vmcnt(56)
	v_fma_f64 v[127:128], v[5:6], v[133:134], -v[127:128]
	v_fma_f64 v[133:134], v[7:8], v[133:134], v[195:196]
	s_waitcnt vmcnt(52) lgkmcnt(0)
	v_mul_f64 v[197:198], v[115:116], v[135:136]
	v_add_f64 v[177:178], v[181:182], v[177:178]
	v_add_f64 v[119:120], v[119:120], v[139:140]
	s_clause 0x4
	buffer_load_dword v140, off, s[0:3], 0 offset:364
	buffer_load_dword v181, off, s[0:3], 0 offset:376
	;; [unrolled: 1-line block ×5, first 2 shown]
	v_mul_f64 v[135:136], v[117:118], v[135:136]
	s_waitcnt vmcnt(56)
	v_fma_f64 v[131:132], v[1:2], v[125:126], -v[131:132]
	ds_read_b128 v[5:8], v176 offset:976
	v_fma_f64 v[125:126], v[3:4], v[125:126], v[191:192]
	v_add_f64 v[127:128], v[177:178], v[127:128]
	v_add_f64 v[119:120], v[119:120], v[133:134]
	s_clause 0x2
	buffer_load_dword v182, off, s[0:3], 0 offset:380
	buffer_load_dword v134, off, s[0:3], 0 offset:356
	;; [unrolled: 1-line block ×3, first 2 shown]
	s_waitcnt vmcnt(58) lgkmcnt(0)
	v_mul_f64 v[177:178], v[5:6], v[141:142]
	v_mul_f64 v[141:142], v[7:8], v[141:142]
	s_waitcnt vmcnt(56)
	v_fma_f64 v[135:136], v[115:116], v[143:144], -v[135:136]
	ds_read_b128 v[1:4], v176 offset:992
	v_add_f64 v[127:128], v[127:128], v[131:132]
	v_fma_f64 v[131:132], v[117:118], v[143:144], v[197:198]
	v_add_f64 v[119:120], v[119:120], v[125:126]
	s_clause 0x4
	buffer_load_dword v126, off, s[0:3], 0 offset:396
	buffer_load_dword v143, off, s[0:3], 0 offset:408
	;; [unrolled: 1-line block ×5, first 2 shown]
	s_waitcnt vmcnt(57) lgkmcnt(0)
	v_mul_f64 v[192:193], v[1:2], v[145:146]
	v_mul_f64 v[145:146], v[3:4], v[145:146]
	s_waitcnt vmcnt(56)
	v_fma_f64 v[141:142], v[5:6], v[129:130], -v[141:142]
	ds_read_b128 v[115:118], v176 offset:1008
	v_fma_f64 v[129:130], v[7:8], v[129:130], v[177:178]
	v_add_f64 v[127:128], v[127:128], v[135:136]
	v_add_f64 v[119:120], v[119:120], v[131:132]
	s_clause 0x2
	buffer_load_dword v144, off, s[0:3], 0 offset:412
	buffer_load_dword v132, off, s[0:3], 0 offset:388
	;; [unrolled: 1-line block ×3, first 2 shown]
	ds_read_b128 v[5:8], v176 offset:1024
	s_waitcnt vmcnt(58) lgkmcnt(1)
	v_mul_f64 v[135:136], v[115:116], v[149:150]
	v_mul_f64 v[149:150], v[117:118], v[149:150]
	s_waitcnt vmcnt(56)
	v_fma_f64 v[145:146], v[1:2], v[151:152], -v[145:146]
	v_add_f64 v[127:128], v[127:128], v[141:142]
	v_fma_f64 v[141:142], v[3:4], v[151:152], v[192:193]
	v_add_f64 v[119:120], v[119:120], v[129:130]
	s_clause 0x4
	buffer_load_dword v130, off, s[0:3], 0 offset:428
	buffer_load_dword v151, off, s[0:3], 0 offset:440
	;; [unrolled: 1-line block ×5, first 2 shown]
	s_waitcnt vmcnt(57) lgkmcnt(0)
	v_mul_f64 v[198:199], v[5:6], v[153:154]
	v_mul_f64 v[153:154], v[7:8], v[153:154]
	s_waitcnt vmcnt(56)
	v_fma_f64 v[149:150], v[115:116], v[137:138], -v[149:150]
	ds_read_b128 v[1:4], v176 offset:1040
	v_fma_f64 v[135:136], v[117:118], v[137:138], v[135:136]
	s_clause 0x2
	buffer_load_dword v152, off, s[0:3], 0 offset:444
	buffer_load_dword v138, off, s[0:3], 0 offset:420
	buffer_load_dword v137, off, s[0:3], 0 offset:416
	ds_read_b128 v[115:118], v176 offset:1056
	v_add_f64 v[127:128], v[127:128], v[145:146]
	v_add_f64 v[119:120], v[119:120], v[141:142]
	s_waitcnt vmcnt(58) lgkmcnt(1)
	v_mul_f64 v[145:146], v[3:4], v[157:158]
	s_waitcnt vmcnt(56)
	v_fma_f64 v[153:154], v[5:6], v[159:160], -v[153:154]
	v_mul_f64 v[141:142], v[1:2], v[157:158]
	v_add_f64 v[127:128], v[127:128], v[149:150]
	v_fma_f64 v[149:150], v[7:8], v[159:160], v[198:199]
	v_add_f64 v[119:120], v[119:120], v[135:136]
	s_clause 0x4
	buffer_load_dword v136, off, s[0:3], 0 offset:460
	buffer_load_dword v157, off, s[0:3], 0 offset:472
	;; [unrolled: 1-line block ×5, first 2 shown]
	s_waitcnt vmcnt(57) lgkmcnt(0)
	v_mul_f64 v[198:199], v[115:116], v[161:162]
	v_mul_f64 v[160:161], v[117:118], v[161:162]
	s_waitcnt vmcnt(56)
	v_fma_f64 v[145:146], v[1:2], v[147:148], -v[145:146]
	ds_read_b128 v[5:8], v176 offset:1072
	v_fma_f64 v[141:142], v[3:4], v[147:148], v[141:142]
	s_clause 0x2
	buffer_load_dword v158, off, s[0:3], 0 offset:476
	buffer_load_dword v148, off, s[0:3], 0 offset:452
	buffer_load_dword v147, off, s[0:3], 0 offset:448
	ds_read_b128 v[1:4], v176 offset:1088
	v_add_f64 v[127:128], v[127:128], v[153:154]
	v_add_f64 v[119:120], v[119:120], v[149:150]
	s_waitcnt vmcnt(58) lgkmcnt(1)
	v_mul_f64 v[153:154], v[7:8], v[165:166]
	s_waitcnt vmcnt(56)
	v_fma_f64 v[161:162], v[115:116], v[167:168], -v[160:161]
	v_mul_f64 v[149:150], v[5:6], v[165:166]
	v_add_f64 v[127:128], v[127:128], v[145:146]
	v_fma_f64 v[145:146], v[117:118], v[167:168], v[198:199]
	v_add_f64 v[119:120], v[119:120], v[141:142]
	s_clause 0x4
	buffer_load_dword v142, off, s[0:3], 0 offset:492
	buffer_load_dword v165, off, s[0:3], 0 offset:504
	;; [unrolled: 1-line block ×5, first 2 shown]
	s_waitcnt vmcnt(57) lgkmcnt(0)
	v_mul_f64 v[198:199], v[1:2], v[169:170]
	v_mul_f64 v[168:169], v[3:4], v[169:170]
	s_waitcnt vmcnt(56)
	v_fma_f64 v[153:154], v[5:6], v[155:156], -v[153:154]
	ds_read_b128 v[115:118], v176 offset:1104
	v_fma_f64 v[149:150], v[7:8], v[155:156], v[149:150]
	v_add_f64 v[127:128], v[127:128], v[161:162]
	v_add_f64 v[119:120], v[119:120], v[145:146]
	s_clause 0x2
	buffer_load_dword v166, off, s[0:3], 0 offset:508
	buffer_load_dword v146, off, s[0:3], 0 offset:484
	;; [unrolled: 1-line block ×3, first 2 shown]
	ds_read_b128 v[5:8], v176 offset:1120
	s_waitcnt vmcnt(58) lgkmcnt(1)
	v_mul_f64 v[161:162], v[117:118], v[171:172]
	s_waitcnt vmcnt(56)
	v_fma_f64 v[169:170], v[1:2], v[173:174], -v[168:169]
	v_mul_f64 v[155:156], v[115:116], v[171:172]
	v_add_f64 v[127:128], v[127:128], v[153:154]
	v_fma_f64 v[153:154], v[3:4], v[173:174], v[198:199]
	v_add_f64 v[119:120], v[119:120], v[149:150]
	s_clause 0x4
	buffer_load_dword v150, off, s[0:3], 0 offset:524
	buffer_load_dword v171, off, s[0:3], 0 offset:536
	;; [unrolled: 1-line block ×5, first 2 shown]
	s_waitcnt vmcnt(57) lgkmcnt(0)
	v_mul_f64 v[198:199], v[5:6], v[183:184]
	v_mul_f64 v[183:184], v[7:8], v[183:184]
	s_waitcnt vmcnt(56)
	v_fma_f64 v[161:162], v[115:116], v[163:164], -v[161:162]
	ds_read_b128 v[1:4], v176 offset:1136
	v_fma_f64 v[155:156], v[117:118], v[163:164], v[155:156]
	v_add_f64 v[127:128], v[127:128], v[169:170]
	v_add_f64 v[119:120], v[119:120], v[153:154]
	s_clause 0x2
	buffer_load_dword v172, off, s[0:3], 0 offset:540
	buffer_load_dword v154, off, s[0:3], 0 offset:516
	;; [unrolled: 1-line block ×3, first 2 shown]
	ds_read_b128 v[115:118], v176 offset:1152
	s_waitcnt vmcnt(58) lgkmcnt(1)
	v_mul_f64 v[169:170], v[3:4], v[185:186]
	v_mul_f64 v[163:164], v[1:2], v[185:186]
	s_waitcnt vmcnt(56)
	v_fma_f64 v[183:184], v[5:6], v[123:124], -v[183:184]
	v_fma_f64 v[123:124], v[7:8], v[123:124], v[198:199]
	v_add_f64 v[127:128], v[127:128], v[161:162]
	v_add_f64 v[119:120], v[119:120], v[155:156]
	s_clause 0x4
	buffer_load_dword v156, off, s[0:3], 0 offset:556
	buffer_load_dword v161, off, s[0:3], 0 offset:568
	;; [unrolled: 1-line block ×5, first 2 shown]
	ds_read_b128 v[5:8], v176 offset:1168
	s_waitcnt vmcnt(57) lgkmcnt(1)
	v_mul_f64 v[198:199], v[115:116], v[121:122]
	v_mul_f64 v[121:122], v[117:118], v[121:122]
	s_waitcnt vmcnt(56)
	v_fma_f64 v[169:170], v[1:2], v[187:188], -v[169:170]
	v_fma_f64 v[163:164], v[3:4], v[187:188], v[163:164]
	v_add_f64 v[127:128], v[127:128], v[183:184]
	v_add_f64 v[119:120], v[119:120], v[123:124]
	s_clause 0x2
	buffer_load_dword v162, off, s[0:3], 0 offset:572
	buffer_load_dword v124, off, s[0:3], 0 offset:548
	;; [unrolled: 1-line block ×3, first 2 shown]
	s_waitcnt vmcnt(58) lgkmcnt(0)
	v_mul_f64 v[187:188], v[7:8], v[189:190]
	ds_read_b128 v[1:4], v176 offset:1184
	v_mul_f64 v[183:184], v[5:6], v[189:190]
	s_waitcnt vmcnt(56)
	v_fma_f64 v[121:122], v[115:116], v[179:180], -v[121:122]
	v_add_f64 v[127:128], v[127:128], v[169:170]
	v_fma_f64 v[169:170], v[117:118], v[179:180], v[198:199]
	v_add_f64 v[119:120], v[119:120], v[163:164]
	s_clause 0x4
	buffer_load_dword v164, off, s[0:3], 0 offset:588
	buffer_load_dword v179, off, s[0:3], 0 offset:600
	buffer_load_dword v189, off, s[0:3], 0 offset:592
	buffer_load_dword v163, off, s[0:3], 0 offset:584
	buffer_load_dword v186, off, s[0:3], 0 offset:564
	ds_read_b128 v[115:118], v176 offset:1200
	s_waitcnt vmcnt(57) lgkmcnt(1)
	v_mul_f64 v[198:199], v[1:2], v[139:140]
	v_mul_f64 v[139:140], v[3:4], v[139:140]
	s_waitcnt vmcnt(56)
	v_fma_f64 v[187:188], v[5:6], v[194:195], -v[187:188]
	v_add_f64 v[121:122], v[127:128], v[121:122]
	v_fma_f64 v[127:128], v[7:8], v[194:195], v[183:184]
	v_add_f64 v[119:120], v[119:120], v[169:170]
	s_clause 0x2
	buffer_load_dword v180, off, s[0:3], 0 offset:604
	buffer_load_dword v170, off, s[0:3], 0 offset:580
	buffer_load_dword v169, off, s[0:3], 0 offset:576
	ds_read_b128 v[5:8], v176 offset:1216
	s_waitcnt vmcnt(58) lgkmcnt(1)
	v_mul_f64 v[183:184], v[115:116], v[181:182]
	v_mul_f64 v[181:182], v[117:118], v[181:182]
	s_waitcnt vmcnt(56)
	v_fma_f64 v[139:140], v[1:2], v[133:134], -v[139:140]
	v_fma_f64 v[133:134], v[3:4], v[133:134], v[198:199]
	v_add_f64 v[121:122], v[121:122], v[187:188]
	v_add_f64 v[119:120], v[119:120], v[127:128]
	s_clause 0x4
	buffer_load_dword v128, off, s[0:3], 0 offset:620
	buffer_load_dword v187, off, s[0:3], 0 offset:632
	;; [unrolled: 1-line block ×5, first 2 shown]
	ds_read_b128 v[1:4], v176 offset:1232
	s_waitcnt vmcnt(57) lgkmcnt(1)
	v_mul_f64 v[194:195], v[5:6], v[125:126]
	v_mul_f64 v[125:126], v[7:8], v[125:126]
	s_waitcnt vmcnt(56)
	v_fma_f64 v[181:182], v[115:116], v[196:197], -v[181:182]
	v_add_f64 v[121:122], v[121:122], v[139:140]
	v_fma_f64 v[139:140], v[117:118], v[196:197], v[183:184]
	v_add_f64 v[119:120], v[119:120], v[133:134]
	s_clause 0x2
	buffer_load_dword v188, off, s[0:3], 0 offset:636
	buffer_load_dword v134, off, s[0:3], 0 offset:612
	buffer_load_dword v133, off, s[0:3], 0 offset:608
	ds_read_b128 v[115:118], v176 offset:1248
	s_waitcnt vmcnt(58) lgkmcnt(1)
	v_mul_f64 v[183:184], v[1:2], v[143:144]
	v_mul_f64 v[143:144], v[3:4], v[143:144]
	s_waitcnt vmcnt(56)
	v_fma_f64 v[125:126], v[5:6], v[131:132], -v[125:126]
	v_fma_f64 v[131:132], v[7:8], v[131:132], v[194:195]
	v_add_f64 v[121:122], v[121:122], v[181:182]
	v_add_f64 v[119:120], v[119:120], v[139:140]
	s_clause 0x4
	buffer_load_dword v140, off, s[0:3], 0 offset:652
	buffer_load_dword v181, off, s[0:3], 0 offset:664
	;; [unrolled: 1-line block ×5, first 2 shown]
	ds_read_b128 v[5:8], v176 offset:1264
	s_waitcnt vmcnt(57) lgkmcnt(1)
	v_mul_f64 v[196:197], v[115:116], v[129:130]
	v_mul_f64 v[129:130], v[117:118], v[129:130]
	s_waitcnt vmcnt(56)
	v_fma_f64 v[143:144], v[1:2], v[191:192], -v[143:144]
	v_add_f64 v[121:122], v[121:122], v[125:126]
	v_fma_f64 v[125:126], v[3:4], v[191:192], v[183:184]
	v_add_f64 v[119:120], v[119:120], v[131:132]
	s_clause 0x2
	buffer_load_dword v182, off, s[0:3], 0 offset:668
	buffer_load_dword v132, off, s[0:3], 0 offset:644
	;; [unrolled: 1-line block ×3, first 2 shown]
	s_waitcnt vmcnt(58) lgkmcnt(0)
	v_mul_f64 v[183:184], v[5:6], v[151:152]
	v_mul_f64 v[151:152], v[7:8], v[151:152]
	ds_read_b128 v[1:4], v176 offset:1280
	s_waitcnt vmcnt(56)
	v_fma_f64 v[129:130], v[115:116], v[137:138], -v[129:130]
	v_fma_f64 v[137:138], v[117:118], v[137:138], v[196:197]
	v_add_f64 v[121:122], v[121:122], v[143:144]
	v_add_f64 v[119:120], v[119:120], v[125:126]
	s_clause 0x4
	buffer_load_dword v126, off, s[0:3], 0 offset:684
	buffer_load_dword v143, off, s[0:3], 0 offset:696
	;; [unrolled: 1-line block ×5, first 2 shown]
	ds_read_b128 v[115:118], v176 offset:1296
	s_waitcnt vmcnt(57) lgkmcnt(1)
	v_mul_f64 v[197:198], v[1:2], v[135:136]
	v_mul_f64 v[135:136], v[3:4], v[135:136]
	s_waitcnt vmcnt(56)
	v_fma_f64 v[151:152], v[5:6], v[177:178], -v[151:152]
	v_add_f64 v[121:122], v[121:122], v[129:130]
	v_fma_f64 v[129:130], v[7:8], v[177:178], v[183:184]
	v_add_f64 v[119:120], v[119:120], v[137:138]
	s_clause 0x2
	buffer_load_dword v144, off, s[0:3], 0 offset:700
	buffer_load_dword v138, off, s[0:3], 0 offset:676
	;; [unrolled: 1-line block ×3, first 2 shown]
	s_waitcnt vmcnt(58) lgkmcnt(0)
	v_mul_f64 v[177:178], v[115:116], v[157:158]
	v_mul_f64 v[157:158], v[117:118], v[157:158]
	ds_read_b128 v[5:8], v176 offset:1312
	s_waitcnt vmcnt(56)
	v_fma_f64 v[135:136], v[1:2], v[147:148], -v[135:136]
	v_fma_f64 v[147:148], v[3:4], v[147:148], v[197:198]
	v_add_f64 v[121:122], v[121:122], v[151:152]
	v_add_f64 v[119:120], v[119:120], v[129:130]
	s_clause 0x4
	buffer_load_dword v130, off, s[0:3], 0 offset:716
	buffer_load_dword v151, off, s[0:3], 0 offset:728
	buffer_load_dword v183, off, s[0:3], 0 offset:720
	buffer_load_dword v129, off, s[0:3], 0 offset:712
	buffer_load_dword v192, off, s[0:3], 0 offset:692
	ds_read_b128 v[1:4], v176 offset:1328
	s_waitcnt vmcnt(57) lgkmcnt(1)
	v_mul_f64 v[197:198], v[5:6], v[141:142]
	v_mul_f64 v[141:142], v[7:8], v[141:142]
	s_waitcnt vmcnt(56)
	v_fma_f64 v[157:158], v[115:116], v[159:160], -v[157:158]
	v_add_f64 v[121:122], v[121:122], v[135:136]
	v_fma_f64 v[135:136], v[117:118], v[159:160], v[177:178]
	v_add_f64 v[119:120], v[119:120], v[147:148]
	s_clause 0x2
	buffer_load_dword v152, off, s[0:3], 0 offset:732
	buffer_load_dword v148, off, s[0:3], 0 offset:708
	buffer_load_dword v147, off, s[0:3], 0 offset:704
	ds_read_b128 v[115:118], v176 offset:1344
	s_waitcnt vmcnt(58) lgkmcnt(1)
	v_mul_f64 v[159:160], v[1:2], v[165:166]
	v_mul_f64 v[165:166], v[3:4], v[165:166]
	s_waitcnt vmcnt(56)
	v_fma_f64 v[141:142], v[5:6], v[145:146], -v[141:142]
	v_fma_f64 v[145:146], v[7:8], v[145:146], v[197:198]
	v_add_f64 v[121:122], v[121:122], v[157:158]
	v_add_f64 v[119:120], v[119:120], v[135:136]
	s_clause 0x4
	buffer_load_dword v136, off, s[0:3], 0 offset:748
	buffer_load_dword v157, off, s[0:3], 0 offset:760
	buffer_load_dword v177, off, s[0:3], 0 offset:752
	buffer_load_dword v135, off, s[0:3], 0 offset:744
	buffer_load_dword v184, off, s[0:3], 0 offset:724
	ds_read_b128 v[5:8], v176 offset:1360
	s_waitcnt vmcnt(57) lgkmcnt(1)
	v_mul_f64 v[197:198], v[115:116], v[149:150]
	v_mul_f64 v[149:150], v[117:118], v[149:150]
	s_waitcnt vmcnt(56)
	v_fma_f64 v[165:166], v[1:2], v[167:168], -v[165:166]
	v_add_f64 v[121:122], v[121:122], v[141:142]
	v_fma_f64 v[141:142], v[3:4], v[167:168], v[159:160]
	v_add_f64 v[119:120], v[119:120], v[145:146]
	s_clause 0x2
	buffer_load_dword v158, off, s[0:3], 0 offset:764
	buffer_load_dword v146, off, s[0:3], 0 offset:740
	buffer_load_dword v145, off, s[0:3], 0 offset:736
	ds_read_b128 v[1:4], v176 offset:1376
	s_waitcnt vmcnt(58) lgkmcnt(1)
	v_mul_f64 v[167:168], v[7:8], v[171:172]
	v_mul_f64 v[159:160], v[5:6], v[171:172]
	;; [unrolled: 28-line block ×4, first 2 shown]
	s_waitcnt vmcnt(56)
	v_fma_f64 v[163:164], v[5:6], v[169:170], -v[163:164]
	v_add_f64 v[121:122], v[121:122], v[161:162]
	v_fma_f64 v[161:162], v[7:8], v[169:170], v[197:198]
	v_add_f64 v[119:120], v[119:120], v[155:156]
	s_clause 0x4
	buffer_load_dword v156, off, s[0:3], 0 offset:844
	buffer_load_dword v169, off, s[0:3], 0 offset:856
	;; [unrolled: 1-line block ×5, first 2 shown]
	ds_read_b128 v[5:8], v176 offset:1456
	s_waitcnt vmcnt(57) lgkmcnt(1)
	v_mul_f64 v[197:198], v[115:116], v[127:128]
	v_mul_f64 v[127:128], v[117:118], v[127:128]
	s_waitcnt vmcnt(56)
	v_fma_f64 v[179:180], v[1:2], v[189:190], -v[179:180]
	v_fma_f64 v[159:160], v[3:4], v[189:190], v[159:160]
	v_add_f64 v[121:122], v[121:122], v[163:164]
	v_add_f64 v[119:120], v[119:120], v[161:162]
	s_clause 0x2
	buffer_load_dword v170, off, s[0:3], 0 offset:860
	buffer_load_dword v162, off, s[0:3], 0 offset:836
	;; [unrolled: 1-line block ×3, first 2 shown]
	ds_read_b128 v[1:4], v176 offset:1472
	buffer_load_dword v186, off, s[0:3], 0 offset:852
	s_waitcnt vmcnt(59) lgkmcnt(1)
	v_mul_f64 v[163:164], v[5:6], v[187:188]
	v_mul_f64 v[187:188], v[7:8], v[187:188]
	s_waitcnt vmcnt(57)
	v_fma_f64 v[127:128], v[115:116], v[133:134], -v[127:128]
	v_fma_f64 v[133:134], v[117:118], v[133:134], v[197:198]
	ds_read_b128 v[115:118], v176 offset:1488
	v_add_f64 v[121:122], v[121:122], v[179:180]
	v_add_f64 v[119:120], v[119:120], v[159:160]
	s_waitcnt vmcnt(53) lgkmcnt(1)
	v_mul_f64 v[159:160], v[1:2], v[139:140]
	v_mul_f64 v[139:140], v[3:4], v[139:140]
	s_waitcnt vmcnt(52)
	v_fma_f64 v[179:180], v[5:6], v[193:194], -v[187:188]
	v_add_f64 v[121:122], v[121:122], v[127:128]
	v_fma_f64 v[127:128], v[7:8], v[193:194], v[163:164]
	v_add_f64 v[119:120], v[119:120], v[133:134]
	ds_read_b128 v[5:8], v176 offset:1504
	s_waitcnt vmcnt(51) lgkmcnt(1)
	v_mul_f64 v[163:164], v[117:118], v[181:182]
	v_mul_f64 v[133:134], v[115:116], v[181:182]
	s_waitcnt vmcnt(49)
	v_fma_f64 v[139:140], v[1:2], v[131:132], -v[139:140]
	v_fma_f64 v[131:132], v[3:4], v[131:132], v[159:160]
	v_add_f64 v[121:122], v[121:122], v[179:180]
	v_add_f64 v[119:120], v[119:120], v[127:128]
	s_clause 0x3
	buffer_load_dword v127, off, s[0:3], 0 offset:32
	buffer_load_dword v128, off, s[0:3], 0 offset:36
	;; [unrolled: 1-line block ×4, first 2 shown]
	ds_read_b128 v[1:4], v176 offset:1520
	s_waitcnt vmcnt(49) lgkmcnt(1)
	v_mul_f64 v[179:180], v[5:6], v[125:126]
	v_mul_f64 v[125:126], v[7:8], v[125:126]
	s_waitcnt vmcnt(48)
	v_fma_f64 v[163:164], v[115:116], v[195:196], -v[163:164]
	v_fma_f64 v[133:134], v[117:118], v[195:196], v[133:134]
	ds_read_b128 v[115:118], v176 offset:1536
	v_add_f64 v[121:122], v[121:122], v[139:140]
	v_add_f64 v[119:120], v[119:120], v[131:132]
	s_waitcnt vmcnt(47) lgkmcnt(1)
	v_mul_f64 v[139:140], v[3:4], v[143:144]
	v_mul_f64 v[131:132], v[1:2], v[143:144]
	s_waitcnt vmcnt(45)
	v_fma_f64 v[125:126], v[5:6], v[137:138], -v[125:126]
	v_fma_f64 v[137:138], v[7:8], v[137:138], v[179:180]
	ds_read_b128 v[5:8], v176 offset:1552
	v_add_f64 v[121:122], v[121:122], v[163:164]
	v_add_f64 v[119:120], v[119:120], v[133:134]
	s_waitcnt vmcnt(41) lgkmcnt(1)
	v_mul_f64 v[133:134], v[115:116], v[129:130]
	v_mul_f64 v[129:130], v[117:118], v[129:130]
	s_waitcnt vmcnt(40)
	v_fma_f64 v[139:140], v[1:2], v[191:192], -v[139:140]
	v_add_f64 v[121:122], v[121:122], v[125:126]
	v_fma_f64 v[125:126], v[3:4], v[191:192], v[131:132]
	v_add_f64 v[119:120], v[119:120], v[137:138]
	ds_read_b128 v[1:4], v176 offset:1568
	s_waitcnt vmcnt(39) lgkmcnt(1)
	v_mul_f64 v[137:138], v[7:8], v[151:152]
	v_mul_f64 v[131:132], v[5:6], v[151:152]
	s_waitcnt vmcnt(37)
	v_fma_f64 v[129:130], v[115:116], v[147:148], -v[129:130]
	v_fma_f64 v[133:134], v[117:118], v[147:148], v[133:134]
	ds_read_b128 v[115:118], v176 offset:1584
	v_add_f64 v[121:122], v[121:122], v[139:140]
	v_add_f64 v[119:120], v[119:120], v[125:126]
	s_waitcnt vmcnt(33) lgkmcnt(1)
	v_mul_f64 v[125:126], v[1:2], v[135:136]
	v_mul_f64 v[135:136], v[3:4], v[135:136]
	s_waitcnt vmcnt(32)
	v_fma_f64 v[137:138], v[5:6], v[183:184], -v[137:138]
	v_add_f64 v[121:122], v[121:122], v[129:130]
	v_fma_f64 v[129:130], v[7:8], v[183:184], v[131:132]
	v_add_f64 v[119:120], v[119:120], v[133:134]
	ds_read_b128 v[5:8], v176 offset:1600
	s_waitcnt vmcnt(31) lgkmcnt(1)
	v_mul_f64 v[133:134], v[117:118], v[157:158]
	v_mul_f64 v[131:132], v[115:116], v[157:158]
	s_waitcnt vmcnt(29)
	v_fma_f64 v[135:136], v[1:2], v[145:146], -v[135:136]
	v_fma_f64 v[125:126], v[3:4], v[145:146], v[125:126]
	ds_read_b128 v[1:4], v176 offset:1616
	v_add_f64 v[121:122], v[121:122], v[137:138]
	v_add_f64 v[119:120], v[119:120], v[129:130]
	s_waitcnt vmcnt(25) lgkmcnt(1)
	v_mul_f64 v[137:138], v[7:8], v[141:142]
	s_waitcnt vmcnt(24)
	v_fma_f64 v[133:134], v[115:116], v[177:178], -v[133:134]
	v_mul_f64 v[129:130], v[5:6], v[141:142]
	v_fma_f64 v[131:132], v[117:118], v[177:178], v[131:132]
	ds_read_b128 v[115:118], v176 offset:1632
	v_add_f64 v[121:122], v[121:122], v[135:136]
	v_add_f64 v[119:120], v[119:120], v[125:126]
	s_waitcnt vmcnt(23) lgkmcnt(1)
	v_mul_f64 v[135:136], v[3:4], v[165:166]
	v_mul_f64 v[125:126], v[1:2], v[165:166]
	s_waitcnt vmcnt(21)
	v_fma_f64 v[137:138], v[5:6], v[153:154], -v[137:138]
	v_fma_f64 v[129:130], v[7:8], v[153:154], v[129:130]
	ds_read_b128 v[5:8], v176 offset:1648
	v_add_f64 v[121:122], v[121:122], v[133:134]
	v_add_f64 v[119:120], v[119:120], v[131:132]
	s_waitcnt vmcnt(17) lgkmcnt(1)
	v_mul_f64 v[133:134], v[117:118], v[149:150]
	s_waitcnt vmcnt(16)
	v_fma_f64 v[135:136], v[1:2], v[171:172], -v[135:136]
	v_mul_f64 v[131:132], v[115:116], v[149:150]
	v_fma_f64 v[125:126], v[3:4], v[171:172], v[125:126]
	ds_read_b128 v[1:4], v176 offset:1664
	v_add_f64 v[121:122], v[121:122], v[137:138]
	v_add_f64 v[119:120], v[119:120], v[129:130]
	s_waitcnt vmcnt(15) lgkmcnt(1)
	v_mul_f64 v[137:138], v[7:8], v[167:168]
	v_mul_f64 v[129:130], v[5:6], v[167:168]
	s_waitcnt vmcnt(13)
	v_fma_f64 v[133:134], v[115:116], v[123:124], -v[133:134]
	v_fma_f64 v[123:124], v[117:118], v[123:124], v[131:132]
	ds_read_b128 v[115:118], v176 offset:1680
	v_add_f64 v[121:122], v[121:122], v[135:136]
	v_add_f64 v[119:120], v[119:120], v[125:126]
	s_waitcnt vmcnt(9) lgkmcnt(1)
	v_mul_f64 v[131:132], v[3:4], v[155:156]
	s_waitcnt vmcnt(8)
	v_fma_f64 v[5:6], v[5:6], v[173:174], -v[137:138]
	v_mul_f64 v[125:126], v[1:2], v[155:156]
	v_fma_f64 v[7:8], v[7:8], v[173:174], v[129:130]
	v_add_f64 v[121:122], v[121:122], v[133:134]
	v_add_f64 v[119:120], v[119:120], v[123:124]
	s_waitcnt vmcnt(7) lgkmcnt(0)
	v_mul_f64 v[129:130], v[117:118], v[169:170]
	v_mul_f64 v[123:124], v[115:116], v[169:170]
	s_waitcnt vmcnt(5)
	v_fma_f64 v[1:2], v[1:2], v[161:162], -v[131:132]
	v_fma_f64 v[3:4], v[3:4], v[161:162], v[125:126]
	v_add_f64 v[5:6], v[121:122], v[5:6]
	v_add_f64 v[7:8], v[119:120], v[7:8]
	s_waitcnt vmcnt(4)
	v_fma_f64 v[115:116], v[115:116], v[185:186], -v[129:130]
	v_add_f64 v[1:2], v[5:6], v[1:2]
	v_fma_f64 v[5:6], v[117:118], v[185:186], v[123:124]
	v_add_f64 v[3:4], v[7:8], v[3:4]
	v_add_f64 v[1:2], v[1:2], v[115:116]
	v_add_f64 v[3:4], v[3:4], v[5:6]
	s_waitcnt vmcnt(2)
	v_add_f64 v[1:2], v[127:128], -v[1:2]
	s_waitcnt vmcnt(0)
	v_add_f64 v[3:4], v[159:160], -v[3:4]
	buffer_store_dword v2, off, s[0:3], 0 offset:36
	buffer_store_dword v1, off, s[0:3], 0 offset:32
	;; [unrolled: 1-line block ×4, first 2 shown]
	v_cmpx_ne_u32_e32 0, v0
	s_cbranch_execz .LBB116_331
; %bb.330:
	s_clause 0x3
	buffer_load_dword v0, off, s[0:3], 0 offset:16
	buffer_load_dword v1, off, s[0:3], 0 offset:20
	buffer_load_dword v2, off, s[0:3], 0 offset:24
	buffer_load_dword v3, off, s[0:3], 0 offset:28
	buffer_store_dword v176, off, s[0:3], 0 offset:16
	buffer_store_dword v176, off, s[0:3], 0 offset:20
	;; [unrolled: 1-line block ×4, first 2 shown]
	s_waitcnt vmcnt(0)
	ds_write_b128 v175, v[0:3]
.LBB116_331:
	s_or_b32 exec_lo, exec_lo, s4
	s_waitcnt lgkmcnt(0)
	s_waitcnt_vscnt null, 0x0
	s_barrier
	buffer_gl0_inv
	s_clause 0x37
	buffer_load_dword v123, off, s[0:3], 0 offset:40
	buffer_load_dword v124, off, s[0:3], 0 offset:44
	;; [unrolled: 1-line block ×56, first 2 shown]
	ds_read_b128 v[4:7], v176 offset:864
	s_clause 0x2
	buffer_load_dword v172, off, s[0:3], 0 offset:268
	buffer_load_dword v174, off, s[0:3], 0 offset:244
	;; [unrolled: 1-line block ×3, first 2 shown]
	ds_read_b128 v[0:3], v176 offset:880
	s_clause 0x4
	buffer_load_dword v184, off, s[0:3], 0 offset:284
	buffer_load_dword v185, off, s[0:3], 0 offset:296
	;; [unrolled: 1-line block ×5, first 2 shown]
	ds_read_b128 v[177:180], v176 offset:896
	s_and_b32 vcc_lo, exec_lo, s65
	s_waitcnt vmcnt(62) lgkmcnt(2)
	v_mul_f64 v[181:182], v[6:7], v[123:124]
	v_mul_f64 v[123:124], v[4:5], v[123:124]
	s_waitcnt vmcnt(60) lgkmcnt(1)
	v_mul_f64 v[188:189], v[2:3], v[119:120]
	v_mul_f64 v[119:120], v[0:1], v[119:120]
	;; [unrolled: 3-line block ×3, first 2 shown]
	v_fma_f64 v[181:182], v[4:5], v[121:122], -v[181:182]
	v_fma_f64 v[121:122], v[6:7], v[121:122], v[123:124]
	s_clause 0x2
	buffer_load_dword v186, off, s[0:3], 0 offset:300
	buffer_load_dword v124, off, s[0:3], 0 offset:276
	;; [unrolled: 1-line block ×3, first 2 shown]
	s_waitcnt vmcnt(57)
	v_fma_f64 v[192:193], v[0:1], v[115:116], -v[188:189]
	ds_read_b128 v[4:7], v176 offset:912
	v_fma_f64 v[115:116], v[2:3], v[115:116], v[119:120]
	s_waitcnt vmcnt(51)
	v_fma_f64 v[177:178], v[177:178], v[139:140], -v[117:118]
	v_fma_f64 v[139:140], v[179:180], v[139:140], v[190:191]
	v_add_f64 v[181:182], v[181:182], 0
	v_add_f64 v[119:120], v[121:122], 0
	s_clause 0x4
	buffer_load_dword v122, off, s[0:3], 0 offset:316
	buffer_load_dword v189, off, s[0:3], 0 offset:328
	;; [unrolled: 1-line block ×5, first 2 shown]
	s_waitcnt lgkmcnt(0)
	v_mul_f64 v[195:196], v[4:5], v[127:128]
	v_mul_f64 v[127:128], v[6:7], v[127:128]
	ds_read_b128 v[0:3], v176 offset:928
	s_clause 0x2
	buffer_load_dword v190, off, s[0:3], 0 offset:332
	buffer_load_dword v180, off, s[0:3], 0 offset:308
	;; [unrolled: 1-line block ×3, first 2 shown]
	v_add_f64 v[181:182], v[181:182], v[192:193]
	v_add_f64 v[119:120], v[119:120], v[115:116]
	ds_read_b128 v[115:118], v176 offset:944
	s_waitcnt vmcnt(58) lgkmcnt(1)
	v_mul_f64 v[191:192], v[0:1], v[131:132]
	v_mul_f64 v[131:132], v[2:3], v[131:132]
	s_waitcnt vmcnt(56)
	v_fma_f64 v[127:128], v[4:5], v[133:134], -v[127:128]
	v_fma_f64 v[133:134], v[6:7], v[133:134], v[195:196]
	s_waitcnt vmcnt(52) lgkmcnt(0)
	v_mul_f64 v[197:198], v[115:116], v[135:136]
	v_add_f64 v[177:178], v[181:182], v[177:178]
	v_add_f64 v[119:120], v[119:120], v[139:140]
	s_clause 0x4
	buffer_load_dword v140, off, s[0:3], 0 offset:348
	buffer_load_dword v181, off, s[0:3], 0 offset:360
	;; [unrolled: 1-line block ×5, first 2 shown]
	v_mul_f64 v[135:136], v[117:118], v[135:136]
	s_waitcnt vmcnt(56)
	v_fma_f64 v[131:132], v[0:1], v[125:126], -v[131:132]
	ds_read_b128 v[4:7], v176 offset:960
	v_fma_f64 v[125:126], v[2:3], v[125:126], v[191:192]
	v_add_f64 v[127:128], v[177:178], v[127:128]
	v_add_f64 v[119:120], v[119:120], v[133:134]
	s_clause 0x2
	buffer_load_dword v182, off, s[0:3], 0 offset:364
	buffer_load_dword v134, off, s[0:3], 0 offset:340
	;; [unrolled: 1-line block ×3, first 2 shown]
	s_waitcnt vmcnt(58) lgkmcnt(0)
	v_mul_f64 v[177:178], v[4:5], v[141:142]
	v_mul_f64 v[141:142], v[6:7], v[141:142]
	s_waitcnt vmcnt(56)
	v_fma_f64 v[135:136], v[115:116], v[143:144], -v[135:136]
	ds_read_b128 v[0:3], v176 offset:976
	v_add_f64 v[127:128], v[127:128], v[131:132]
	v_fma_f64 v[131:132], v[117:118], v[143:144], v[197:198]
	v_add_f64 v[119:120], v[119:120], v[125:126]
	s_clause 0x4
	buffer_load_dword v126, off, s[0:3], 0 offset:380
	buffer_load_dword v143, off, s[0:3], 0 offset:392
	;; [unrolled: 1-line block ×5, first 2 shown]
	s_waitcnt vmcnt(57) lgkmcnt(0)
	v_mul_f64 v[192:193], v[0:1], v[145:146]
	v_mul_f64 v[145:146], v[2:3], v[145:146]
	s_waitcnt vmcnt(56)
	v_fma_f64 v[141:142], v[4:5], v[129:130], -v[141:142]
	ds_read_b128 v[115:118], v176 offset:992
	v_fma_f64 v[129:130], v[6:7], v[129:130], v[177:178]
	v_add_f64 v[127:128], v[127:128], v[135:136]
	v_add_f64 v[119:120], v[119:120], v[131:132]
	s_clause 0x2
	buffer_load_dword v144, off, s[0:3], 0 offset:396
	buffer_load_dword v132, off, s[0:3], 0 offset:372
	;; [unrolled: 1-line block ×3, first 2 shown]
	ds_read_b128 v[4:7], v176 offset:1008
	s_waitcnt vmcnt(58) lgkmcnt(1)
	v_mul_f64 v[135:136], v[115:116], v[149:150]
	v_mul_f64 v[149:150], v[117:118], v[149:150]
	s_waitcnt vmcnt(56)
	v_fma_f64 v[145:146], v[0:1], v[151:152], -v[145:146]
	v_add_f64 v[127:128], v[127:128], v[141:142]
	v_fma_f64 v[141:142], v[2:3], v[151:152], v[192:193]
	v_add_f64 v[119:120], v[119:120], v[129:130]
	s_clause 0x4
	buffer_load_dword v130, off, s[0:3], 0 offset:412
	buffer_load_dword v151, off, s[0:3], 0 offset:424
	;; [unrolled: 1-line block ×5, first 2 shown]
	s_waitcnt vmcnt(57) lgkmcnt(0)
	v_mul_f64 v[198:199], v[4:5], v[153:154]
	v_mul_f64 v[153:154], v[6:7], v[153:154]
	s_waitcnt vmcnt(56)
	v_fma_f64 v[149:150], v[115:116], v[137:138], -v[149:150]
	ds_read_b128 v[0:3], v176 offset:1024
	v_fma_f64 v[135:136], v[117:118], v[137:138], v[135:136]
	s_clause 0x2
	buffer_load_dword v152, off, s[0:3], 0 offset:428
	buffer_load_dword v138, off, s[0:3], 0 offset:404
	;; [unrolled: 1-line block ×3, first 2 shown]
	ds_read_b128 v[115:118], v176 offset:1040
	v_add_f64 v[127:128], v[127:128], v[145:146]
	v_add_f64 v[119:120], v[119:120], v[141:142]
	s_waitcnt vmcnt(58) lgkmcnt(1)
	v_mul_f64 v[145:146], v[2:3], v[157:158]
	s_waitcnt vmcnt(56)
	v_fma_f64 v[153:154], v[4:5], v[159:160], -v[153:154]
	v_mul_f64 v[141:142], v[0:1], v[157:158]
	v_add_f64 v[127:128], v[127:128], v[149:150]
	v_fma_f64 v[149:150], v[6:7], v[159:160], v[198:199]
	v_add_f64 v[119:120], v[119:120], v[135:136]
	s_clause 0x4
	buffer_load_dword v136, off, s[0:3], 0 offset:444
	buffer_load_dword v157, off, s[0:3], 0 offset:456
	;; [unrolled: 1-line block ×5, first 2 shown]
	s_waitcnt vmcnt(57) lgkmcnt(0)
	v_mul_f64 v[198:199], v[115:116], v[161:162]
	v_mul_f64 v[160:161], v[117:118], v[161:162]
	s_waitcnt vmcnt(56)
	v_fma_f64 v[145:146], v[0:1], v[147:148], -v[145:146]
	ds_read_b128 v[4:7], v176 offset:1056
	v_fma_f64 v[141:142], v[2:3], v[147:148], v[141:142]
	s_clause 0x2
	buffer_load_dword v158, off, s[0:3], 0 offset:460
	buffer_load_dword v148, off, s[0:3], 0 offset:436
	;; [unrolled: 1-line block ×3, first 2 shown]
	ds_read_b128 v[0:3], v176 offset:1072
	v_add_f64 v[127:128], v[127:128], v[153:154]
	v_add_f64 v[119:120], v[119:120], v[149:150]
	s_waitcnt vmcnt(58) lgkmcnt(1)
	v_mul_f64 v[153:154], v[6:7], v[165:166]
	s_waitcnt vmcnt(56)
	v_fma_f64 v[161:162], v[115:116], v[167:168], -v[160:161]
	v_mul_f64 v[149:150], v[4:5], v[165:166]
	v_add_f64 v[127:128], v[127:128], v[145:146]
	v_fma_f64 v[145:146], v[117:118], v[167:168], v[198:199]
	v_add_f64 v[119:120], v[119:120], v[141:142]
	s_clause 0x4
	buffer_load_dword v142, off, s[0:3], 0 offset:476
	buffer_load_dword v165, off, s[0:3], 0 offset:488
	;; [unrolled: 1-line block ×5, first 2 shown]
	s_waitcnt vmcnt(57) lgkmcnt(0)
	v_mul_f64 v[198:199], v[0:1], v[169:170]
	v_mul_f64 v[168:169], v[2:3], v[169:170]
	s_waitcnt vmcnt(56)
	v_fma_f64 v[153:154], v[4:5], v[155:156], -v[153:154]
	ds_read_b128 v[115:118], v176 offset:1088
	v_fma_f64 v[149:150], v[6:7], v[155:156], v[149:150]
	v_add_f64 v[127:128], v[127:128], v[161:162]
	v_add_f64 v[119:120], v[119:120], v[145:146]
	s_clause 0x2
	buffer_load_dword v166, off, s[0:3], 0 offset:492
	buffer_load_dword v146, off, s[0:3], 0 offset:468
	;; [unrolled: 1-line block ×3, first 2 shown]
	ds_read_b128 v[4:7], v176 offset:1104
	s_waitcnt vmcnt(58) lgkmcnt(1)
	v_mul_f64 v[161:162], v[117:118], v[171:172]
	s_waitcnt vmcnt(56)
	v_fma_f64 v[169:170], v[0:1], v[173:174], -v[168:169]
	v_mul_f64 v[155:156], v[115:116], v[171:172]
	v_add_f64 v[127:128], v[127:128], v[153:154]
	v_fma_f64 v[153:154], v[2:3], v[173:174], v[198:199]
	v_add_f64 v[119:120], v[119:120], v[149:150]
	s_clause 0x4
	buffer_load_dword v150, off, s[0:3], 0 offset:508
	buffer_load_dword v171, off, s[0:3], 0 offset:520
	;; [unrolled: 1-line block ×5, first 2 shown]
	s_waitcnt vmcnt(57) lgkmcnt(0)
	v_mul_f64 v[174:175], v[4:5], v[183:184]
	v_mul_f64 v[183:184], v[6:7], v[183:184]
	s_waitcnt vmcnt(56)
	v_fma_f64 v[161:162], v[115:116], v[163:164], -v[161:162]
	ds_read_b128 v[0:3], v176 offset:1120
	v_fma_f64 v[155:156], v[117:118], v[163:164], v[155:156]
	v_add_f64 v[127:128], v[127:128], v[169:170]
	v_add_f64 v[119:120], v[119:120], v[153:154]
	s_clause 0x2
	buffer_load_dword v172, off, s[0:3], 0 offset:524
	buffer_load_dword v154, off, s[0:3], 0 offset:500
	;; [unrolled: 1-line block ×3, first 2 shown]
	ds_read_b128 v[115:118], v176 offset:1136
	s_waitcnt vmcnt(58) lgkmcnt(1)
	v_mul_f64 v[169:170], v[2:3], v[185:186]
	v_mul_f64 v[163:164], v[0:1], v[185:186]
	s_waitcnt vmcnt(56)
	v_fma_f64 v[183:184], v[4:5], v[123:124], -v[183:184]
	v_fma_f64 v[123:124], v[6:7], v[123:124], v[174:175]
	v_add_f64 v[127:128], v[127:128], v[161:162]
	v_add_f64 v[119:120], v[119:120], v[155:156]
	s_clause 0x4
	buffer_load_dword v156, off, s[0:3], 0 offset:540
	buffer_load_dword v161, off, s[0:3], 0 offset:552
	;; [unrolled: 1-line block ×5, first 2 shown]
	ds_read_b128 v[4:7], v176 offset:1152
	s_waitcnt vmcnt(57) lgkmcnt(1)
	v_mul_f64 v[198:199], v[115:116], v[121:122]
	v_mul_f64 v[121:122], v[117:118], v[121:122]
	s_waitcnt vmcnt(56)
	v_fma_f64 v[169:170], v[0:1], v[187:188], -v[169:170]
	v_fma_f64 v[163:164], v[2:3], v[187:188], v[163:164]
	v_add_f64 v[127:128], v[127:128], v[183:184]
	v_add_f64 v[119:120], v[119:120], v[123:124]
	s_clause 0x2
	buffer_load_dword v162, off, s[0:3], 0 offset:556
	buffer_load_dword v124, off, s[0:3], 0 offset:532
	;; [unrolled: 1-line block ×3, first 2 shown]
	s_waitcnt vmcnt(58) lgkmcnt(0)
	v_mul_f64 v[187:188], v[6:7], v[189:190]
	ds_read_b128 v[0:3], v176 offset:1168
	v_mul_f64 v[183:184], v[4:5], v[189:190]
	s_waitcnt vmcnt(56)
	v_fma_f64 v[121:122], v[115:116], v[179:180], -v[121:122]
	v_add_f64 v[127:128], v[127:128], v[169:170]
	v_fma_f64 v[169:170], v[117:118], v[179:180], v[198:199]
	v_add_f64 v[119:120], v[119:120], v[163:164]
	s_clause 0x4
	buffer_load_dword v164, off, s[0:3], 0 offset:572
	buffer_load_dword v179, off, s[0:3], 0 offset:584
	;; [unrolled: 1-line block ×5, first 2 shown]
	ds_read_b128 v[115:118], v176 offset:1184
	s_waitcnt vmcnt(57) lgkmcnt(1)
	v_mul_f64 v[198:199], v[0:1], v[139:140]
	v_mul_f64 v[139:140], v[2:3], v[139:140]
	s_waitcnt vmcnt(56)
	v_fma_f64 v[187:188], v[4:5], v[194:195], -v[187:188]
	v_add_f64 v[121:122], v[127:128], v[121:122]
	v_fma_f64 v[127:128], v[6:7], v[194:195], v[183:184]
	v_add_f64 v[119:120], v[119:120], v[169:170]
	s_clause 0x2
	buffer_load_dword v180, off, s[0:3], 0 offset:588
	buffer_load_dword v170, off, s[0:3], 0 offset:564
	;; [unrolled: 1-line block ×3, first 2 shown]
	ds_read_b128 v[4:7], v176 offset:1200
	s_waitcnt vmcnt(58) lgkmcnt(1)
	v_mul_f64 v[183:184], v[115:116], v[181:182]
	v_mul_f64 v[181:182], v[117:118], v[181:182]
	s_waitcnt vmcnt(56)
	v_fma_f64 v[139:140], v[0:1], v[133:134], -v[139:140]
	v_fma_f64 v[133:134], v[2:3], v[133:134], v[198:199]
	v_add_f64 v[121:122], v[121:122], v[187:188]
	v_add_f64 v[119:120], v[119:120], v[127:128]
	s_clause 0x4
	buffer_load_dword v128, off, s[0:3], 0 offset:604
	buffer_load_dword v187, off, s[0:3], 0 offset:616
	;; [unrolled: 1-line block ×5, first 2 shown]
	ds_read_b128 v[0:3], v176 offset:1216
	s_waitcnt vmcnt(57) lgkmcnt(1)
	v_mul_f64 v[194:195], v[4:5], v[125:126]
	v_mul_f64 v[125:126], v[6:7], v[125:126]
	s_waitcnt vmcnt(56)
	v_fma_f64 v[181:182], v[115:116], v[196:197], -v[181:182]
	v_add_f64 v[121:122], v[121:122], v[139:140]
	v_fma_f64 v[139:140], v[117:118], v[196:197], v[183:184]
	v_add_f64 v[119:120], v[119:120], v[133:134]
	s_clause 0x2
	buffer_load_dword v188, off, s[0:3], 0 offset:620
	buffer_load_dword v134, off, s[0:3], 0 offset:596
	;; [unrolled: 1-line block ×3, first 2 shown]
	ds_read_b128 v[115:118], v176 offset:1232
	s_waitcnt vmcnt(58) lgkmcnt(1)
	v_mul_f64 v[183:184], v[0:1], v[143:144]
	v_mul_f64 v[143:144], v[2:3], v[143:144]
	s_waitcnt vmcnt(56)
	v_fma_f64 v[125:126], v[4:5], v[131:132], -v[125:126]
	v_fma_f64 v[131:132], v[6:7], v[131:132], v[194:195]
	v_add_f64 v[121:122], v[121:122], v[181:182]
	v_add_f64 v[119:120], v[119:120], v[139:140]
	s_clause 0x4
	buffer_load_dword v140, off, s[0:3], 0 offset:636
	buffer_load_dword v181, off, s[0:3], 0 offset:648
	;; [unrolled: 1-line block ×5, first 2 shown]
	ds_read_b128 v[4:7], v176 offset:1248
	s_waitcnt vmcnt(57) lgkmcnt(1)
	v_mul_f64 v[196:197], v[115:116], v[129:130]
	v_mul_f64 v[129:130], v[117:118], v[129:130]
	s_waitcnt vmcnt(56)
	v_fma_f64 v[143:144], v[0:1], v[191:192], -v[143:144]
	v_add_f64 v[121:122], v[121:122], v[125:126]
	v_fma_f64 v[125:126], v[2:3], v[191:192], v[183:184]
	v_add_f64 v[119:120], v[119:120], v[131:132]
	s_clause 0x2
	buffer_load_dword v182, off, s[0:3], 0 offset:652
	buffer_load_dword v132, off, s[0:3], 0 offset:628
	;; [unrolled: 1-line block ×3, first 2 shown]
	s_waitcnt vmcnt(58) lgkmcnt(0)
	v_mul_f64 v[183:184], v[4:5], v[151:152]
	v_mul_f64 v[151:152], v[6:7], v[151:152]
	ds_read_b128 v[0:3], v176 offset:1264
	s_waitcnt vmcnt(56)
	v_fma_f64 v[129:130], v[115:116], v[137:138], -v[129:130]
	v_fma_f64 v[137:138], v[117:118], v[137:138], v[196:197]
	v_add_f64 v[121:122], v[121:122], v[143:144]
	v_add_f64 v[119:120], v[119:120], v[125:126]
	s_clause 0x4
	buffer_load_dword v126, off, s[0:3], 0 offset:668
	buffer_load_dword v143, off, s[0:3], 0 offset:680
	;; [unrolled: 1-line block ×5, first 2 shown]
	ds_read_b128 v[115:118], v176 offset:1280
	s_waitcnt vmcnt(57) lgkmcnt(1)
	v_mul_f64 v[197:198], v[0:1], v[135:136]
	v_mul_f64 v[135:136], v[2:3], v[135:136]
	s_waitcnt vmcnt(56)
	v_fma_f64 v[151:152], v[4:5], v[177:178], -v[151:152]
	v_add_f64 v[121:122], v[121:122], v[129:130]
	v_fma_f64 v[129:130], v[6:7], v[177:178], v[183:184]
	v_add_f64 v[119:120], v[119:120], v[137:138]
	s_clause 0x2
	buffer_load_dword v144, off, s[0:3], 0 offset:684
	buffer_load_dword v138, off, s[0:3], 0 offset:660
	;; [unrolled: 1-line block ×3, first 2 shown]
	s_waitcnt vmcnt(58) lgkmcnt(0)
	v_mul_f64 v[177:178], v[115:116], v[157:158]
	v_mul_f64 v[157:158], v[117:118], v[157:158]
	ds_read_b128 v[4:7], v176 offset:1296
	s_waitcnt vmcnt(56)
	v_fma_f64 v[135:136], v[0:1], v[147:148], -v[135:136]
	v_fma_f64 v[147:148], v[2:3], v[147:148], v[197:198]
	v_add_f64 v[121:122], v[121:122], v[151:152]
	v_add_f64 v[119:120], v[119:120], v[129:130]
	s_clause 0x4
	buffer_load_dword v130, off, s[0:3], 0 offset:700
	buffer_load_dword v151, off, s[0:3], 0 offset:712
	buffer_load_dword v183, off, s[0:3], 0 offset:704
	buffer_load_dword v129, off, s[0:3], 0 offset:696
	buffer_load_dword v192, off, s[0:3], 0 offset:676
	ds_read_b128 v[0:3], v176 offset:1312
	s_waitcnt vmcnt(57) lgkmcnt(1)
	v_mul_f64 v[197:198], v[4:5], v[141:142]
	v_mul_f64 v[141:142], v[6:7], v[141:142]
	s_waitcnt vmcnt(56)
	v_fma_f64 v[157:158], v[115:116], v[159:160], -v[157:158]
	v_add_f64 v[121:122], v[121:122], v[135:136]
	v_fma_f64 v[135:136], v[117:118], v[159:160], v[177:178]
	v_add_f64 v[119:120], v[119:120], v[147:148]
	s_clause 0x2
	buffer_load_dword v152, off, s[0:3], 0 offset:716
	buffer_load_dword v148, off, s[0:3], 0 offset:692
	buffer_load_dword v147, off, s[0:3], 0 offset:688
	ds_read_b128 v[115:118], v176 offset:1328
	s_waitcnt vmcnt(58) lgkmcnt(1)
	v_mul_f64 v[159:160], v[0:1], v[165:166]
	v_mul_f64 v[165:166], v[2:3], v[165:166]
	s_waitcnt vmcnt(56)
	v_fma_f64 v[141:142], v[4:5], v[145:146], -v[141:142]
	v_fma_f64 v[145:146], v[6:7], v[145:146], v[197:198]
	v_add_f64 v[121:122], v[121:122], v[157:158]
	v_add_f64 v[119:120], v[119:120], v[135:136]
	s_clause 0x4
	buffer_load_dword v136, off, s[0:3], 0 offset:732
	buffer_load_dword v157, off, s[0:3], 0 offset:744
	buffer_load_dword v177, off, s[0:3], 0 offset:736
	buffer_load_dword v135, off, s[0:3], 0 offset:728
	buffer_load_dword v184, off, s[0:3], 0 offset:708
	ds_read_b128 v[4:7], v176 offset:1344
	s_waitcnt vmcnt(57) lgkmcnt(1)
	v_mul_f64 v[197:198], v[115:116], v[149:150]
	v_mul_f64 v[149:150], v[117:118], v[149:150]
	s_waitcnt vmcnt(56)
	v_fma_f64 v[165:166], v[0:1], v[167:168], -v[165:166]
	v_add_f64 v[121:122], v[121:122], v[141:142]
	v_fma_f64 v[141:142], v[2:3], v[167:168], v[159:160]
	v_add_f64 v[119:120], v[119:120], v[145:146]
	s_clause 0x2
	buffer_load_dword v158, off, s[0:3], 0 offset:748
	buffer_load_dword v146, off, s[0:3], 0 offset:724
	buffer_load_dword v145, off, s[0:3], 0 offset:720
	ds_read_b128 v[0:3], v176 offset:1360
	s_waitcnt vmcnt(58) lgkmcnt(1)
	v_mul_f64 v[167:168], v[6:7], v[171:172]
	v_mul_f64 v[159:160], v[4:5], v[171:172]
	;; [unrolled: 28-line block ×4, first 2 shown]
	s_waitcnt vmcnt(56)
	v_fma_f64 v[163:164], v[4:5], v[169:170], -v[163:164]
	v_add_f64 v[121:122], v[121:122], v[161:162]
	v_fma_f64 v[161:162], v[6:7], v[169:170], v[174:175]
	v_add_f64 v[119:120], v[119:120], v[155:156]
	s_clause 0x4
	buffer_load_dword v156, off, s[0:3], 0 offset:828
	buffer_load_dword v169, off, s[0:3], 0 offset:840
	;; [unrolled: 1-line block ×5, first 2 shown]
	ds_read_b128 v[4:7], v176 offset:1440
	s_waitcnt vmcnt(57) lgkmcnt(1)
	v_mul_f64 v[197:198], v[115:116], v[127:128]
	v_mul_f64 v[127:128], v[117:118], v[127:128]
	s_waitcnt vmcnt(56)
	v_fma_f64 v[179:180], v[0:1], v[189:190], -v[179:180]
	v_fma_f64 v[159:160], v[2:3], v[189:190], v[159:160]
	v_add_f64 v[121:122], v[121:122], v[163:164]
	v_add_f64 v[119:120], v[119:120], v[161:162]
	s_clause 0x2
	buffer_load_dword v170, off, s[0:3], 0 offset:844
	buffer_load_dword v162, off, s[0:3], 0 offset:820
	;; [unrolled: 1-line block ×3, first 2 shown]
	ds_read_b128 v[0:3], v176 offset:1456
	s_waitcnt vmcnt(58) lgkmcnt(1)
	v_mul_f64 v[163:164], v[4:5], v[187:188]
	v_mul_f64 v[187:188], v[6:7], v[187:188]
	s_waitcnt vmcnt(56)
	v_fma_f64 v[127:128], v[115:116], v[133:134], -v[127:128]
	v_fma_f64 v[133:134], v[117:118], v[133:134], v[197:198]
	v_add_f64 v[121:122], v[121:122], v[179:180]
	v_add_f64 v[119:120], v[119:120], v[159:160]
	s_clause 0x2
	buffer_load_dword v160, off, s[0:3], 0 offset:860
	buffer_load_dword v159, off, s[0:3], 0 offset:856
	;; [unrolled: 1-line block ×3, first 2 shown]
	ds_read_b128 v[115:118], v176 offset:1472
	s_waitcnt vmcnt(55) lgkmcnt(1)
	v_mul_f64 v[179:180], v[0:1], v[139:140]
	v_mul_f64 v[139:140], v[2:3], v[139:140]
	s_waitcnt vmcnt(54)
	v_fma_f64 v[187:188], v[4:5], v[193:194], -v[187:188]
	v_add_f64 v[121:122], v[121:122], v[127:128]
	v_fma_f64 v[127:128], v[6:7], v[193:194], v[163:164]
	v_add_f64 v[119:120], v[119:120], v[133:134]
	s_clause 0x1
	buffer_load_dword v134, off, s[0:3], 0 offset:852
	buffer_load_dword v133, off, s[0:3], 0 offset:848
	ds_read_b128 v[4:7], v176 offset:1488
	s_waitcnt vmcnt(55) lgkmcnt(1)
	v_mul_f64 v[163:164], v[115:116], v[181:182]
	v_mul_f64 v[181:182], v[117:118], v[181:182]
	s_waitcnt vmcnt(53)
	v_fma_f64 v[139:140], v[0:1], v[131:132], -v[139:140]
	v_fma_f64 v[131:132], v[2:3], v[131:132], v[179:180]
	ds_read_b128 v[0:3], v176 offset:1504
	v_add_f64 v[121:122], v[121:122], v[187:188]
	v_add_f64 v[119:120], v[119:120], v[127:128]
	s_waitcnt vmcnt(49) lgkmcnt(1)
	v_mul_f64 v[127:128], v[4:5], v[125:126]
	v_mul_f64 v[125:126], v[6:7], v[125:126]
	s_waitcnt vmcnt(48)
	v_fma_f64 v[179:180], v[115:116], v[195:196], -v[181:182]
	v_add_f64 v[121:122], v[121:122], v[139:140]
	v_fma_f64 v[139:140], v[117:118], v[195:196], v[163:164]
	v_add_f64 v[119:120], v[119:120], v[131:132]
	s_clause 0x3
	buffer_load_dword v131, off, s[0:3], 0 offset:16
	buffer_load_dword v132, off, s[0:3], 0 offset:20
	;; [unrolled: 1-line block ×4, first 2 shown]
	ds_read_b128 v[115:118], v176 offset:1520
	s_waitcnt vmcnt(51) lgkmcnt(1)
	v_mul_f64 v[181:182], v[0:1], v[143:144]
	v_mul_f64 v[143:144], v[2:3], v[143:144]
	s_waitcnt vmcnt(49)
	v_fma_f64 v[125:126], v[4:5], v[137:138], -v[125:126]
	v_fma_f64 v[127:128], v[6:7], v[137:138], v[127:128]
	ds_read_b128 v[4:7], v176 offset:1536
	v_add_f64 v[121:122], v[121:122], v[179:180]
	v_add_f64 v[119:120], v[119:120], v[139:140]
	s_waitcnt vmcnt(45) lgkmcnt(1)
	v_mul_f64 v[137:138], v[115:116], v[129:130]
	v_mul_f64 v[129:130], v[117:118], v[129:130]
	s_waitcnt vmcnt(44)
	v_fma_f64 v[139:140], v[0:1], v[191:192], -v[143:144]
	v_add_f64 v[121:122], v[121:122], v[125:126]
	v_fma_f64 v[125:126], v[2:3], v[191:192], v[181:182]
	v_add_f64 v[119:120], v[119:120], v[127:128]
	ds_read_b128 v[0:3], v176 offset:1552
	s_waitcnt vmcnt(43) lgkmcnt(1)
	v_mul_f64 v[143:144], v[6:7], v[151:152]
	v_mul_f64 v[127:128], v[4:5], v[151:152]
	s_waitcnt vmcnt(41)
	v_fma_f64 v[129:130], v[115:116], v[147:148], -v[129:130]
	v_fma_f64 v[137:138], v[117:118], v[147:148], v[137:138]
	ds_read_b128 v[115:118], v176 offset:1568
	v_add_f64 v[121:122], v[121:122], v[139:140]
	v_add_f64 v[119:120], v[119:120], v[125:126]
	s_waitcnt vmcnt(37) lgkmcnt(1)
	v_mul_f64 v[125:126], v[0:1], v[135:136]
	v_mul_f64 v[135:136], v[2:3], v[135:136]
	s_waitcnt vmcnt(36)
	v_fma_f64 v[139:140], v[4:5], v[183:184], -v[143:144]
	v_fma_f64 v[127:128], v[6:7], v[183:184], v[127:128]
	ds_read_b128 v[4:7], v176 offset:1584
	v_add_f64 v[121:122], v[121:122], v[129:130]
	v_add_f64 v[119:120], v[119:120], v[137:138]
	;; [unrolled: 9-line block ×3, first 2 shown]
	s_waitcnt vmcnt(29) lgkmcnt(1)
	v_mul_f64 v[139:140], v[6:7], v[141:142]
	s_waitcnt vmcnt(28)
	v_fma_f64 v[137:138], v[115:116], v[177:178], -v[137:138]
	v_mul_f64 v[127:128], v[4:5], v[141:142]
	v_fma_f64 v[129:130], v[117:118], v[177:178], v[129:130]
	ds_read_b128 v[115:118], v176 offset:1616
	v_add_f64 v[121:122], v[121:122], v[135:136]
	v_add_f64 v[119:120], v[119:120], v[125:126]
	s_waitcnt vmcnt(27) lgkmcnt(1)
	v_mul_f64 v[135:136], v[2:3], v[165:166]
	v_mul_f64 v[125:126], v[0:1], v[165:166]
	s_waitcnt vmcnt(25)
	v_fma_f64 v[139:140], v[4:5], v[153:154], -v[139:140]
	v_fma_f64 v[127:128], v[6:7], v[153:154], v[127:128]
	ds_read_b128 v[4:7], v176 offset:1632
	v_add_f64 v[121:122], v[121:122], v[137:138]
	v_add_f64 v[119:120], v[119:120], v[129:130]
	s_waitcnt vmcnt(21) lgkmcnt(1)
	v_mul_f64 v[137:138], v[117:118], v[149:150]
	s_waitcnt vmcnt(20)
	v_fma_f64 v[135:136], v[0:1], v[171:172], -v[135:136]
	v_mul_f64 v[129:130], v[115:116], v[149:150]
	v_fma_f64 v[125:126], v[2:3], v[171:172], v[125:126]
	ds_read_b128 v[0:3], v176 offset:1648
	v_add_f64 v[121:122], v[121:122], v[139:140]
	v_add_f64 v[119:120], v[119:120], v[127:128]
	s_waitcnt vmcnt(19) lgkmcnt(1)
	v_mul_f64 v[139:140], v[6:7], v[167:168]
	v_mul_f64 v[127:128], v[4:5], v[167:168]
	s_waitcnt vmcnt(17)
	v_fma_f64 v[137:138], v[115:116], v[123:124], -v[137:138]
	v_fma_f64 v[123:124], v[117:118], v[123:124], v[129:130]
	ds_read_b128 v[115:118], v176 offset:1664
	v_add_f64 v[121:122], v[121:122], v[135:136]
	v_add_f64 v[119:120], v[119:120], v[125:126]
	s_waitcnt vmcnt(13) lgkmcnt(1)
	v_mul_f64 v[129:130], v[2:3], v[155:156]
	s_waitcnt vmcnt(12)
	v_fma_f64 v[135:136], v[4:5], v[173:174], -v[139:140]
	v_mul_f64 v[125:126], v[0:1], v[155:156]
	v_fma_f64 v[127:128], v[6:7], v[173:174], v[127:128]
	ds_read_b128 v[4:7], v176 offset:1680
	v_add_f64 v[121:122], v[121:122], v[137:138]
	v_add_f64 v[119:120], v[119:120], v[123:124]
	s_waitcnt vmcnt(11) lgkmcnt(1)
	v_mul_f64 v[137:138], v[117:118], v[169:170]
	v_mul_f64 v[123:124], v[115:116], v[169:170]
	s_waitcnt vmcnt(9)
	v_fma_f64 v[0:1], v[0:1], v[161:162], -v[129:130]
	v_fma_f64 v[2:3], v[2:3], v[161:162], v[125:126]
	v_add_f64 v[121:122], v[121:122], v[135:136]
	v_add_f64 v[119:120], v[119:120], v[127:128]
	s_waitcnt vmcnt(7) lgkmcnt(0)
	v_mul_f64 v[127:128], v[6:7], v[159:160]
	s_waitcnt vmcnt(6)
	v_fma_f64 v[115:116], v[115:116], v[185:186], -v[137:138]
	v_mul_f64 v[125:126], v[4:5], v[159:160]
	v_fma_f64 v[117:118], v[117:118], v[185:186], v[123:124]
	v_add_f64 v[0:1], v[121:122], v[0:1]
	v_add_f64 v[2:3], v[119:120], v[2:3]
	s_waitcnt vmcnt(4)
	v_fma_f64 v[4:5], v[4:5], v[133:134], -v[127:128]
	v_fma_f64 v[6:7], v[6:7], v[133:134], v[125:126]
	v_add_f64 v[0:1], v[0:1], v[115:116]
	v_add_f64 v[2:3], v[2:3], v[117:118]
	;; [unrolled: 1-line block ×4, first 2 shown]
	s_waitcnt vmcnt(2)
	v_add_f64 v[0:1], v[131:132], -v[0:1]
	s_waitcnt vmcnt(0)
	v_add_f64 v[2:3], v[163:164], -v[2:3]
	buffer_store_dword v1, off, s[0:3], 0 offset:20
	buffer_store_dword v0, off, s[0:3], 0 offset:16
	;; [unrolled: 1-line block ×4, first 2 shown]
	s_cbranch_vccz .LBB116_436
; %bb.332:
	v_mov_b32_e32 v0, 0
	global_load_dword v1, v0, s[12:13] offset:204
	s_waitcnt vmcnt(0)
	v_add_nc_u32_e32 v1, -1, v1
	v_cmp_ne_u32_e32 vcc_lo, 51, v1
	s_cbranch_vccz .LBB116_334
; %bb.333:
	v_lshlrev_b32_e32 v1, 4, v1
	v_mov_b32_e32 v2, s9
	v_add_nc_u32_e32 v1, 16, v1
	s_clause 0x7
	buffer_load_dword v3, v1, s[0:3], 0 offen
	buffer_load_dword v4, v1, s[0:3], 0 offen offset:4
	buffer_load_dword v5, v1, s[0:3], 0 offen offset:8
	;; [unrolled: 1-line block ×6, first 2 shown]
	buffer_load_dword v116, v2, s[0:3], 0 offen
	s_waitcnt vmcnt(7)
	buffer_store_dword v3, v2, s[0:3], 0 offen
	s_waitcnt vmcnt(6)
	buffer_store_dword v4, v2, s[0:3], 0 offen offset:4
	s_waitcnt vmcnt(5)
	buffer_store_dword v5, v2, s[0:3], 0 offen offset:8
	;; [unrolled: 2-line block ×6, first 2 shown]
	s_waitcnt vmcnt(0)
	buffer_store_dword v116, v1, s[0:3], 0 offen
.LBB116_334:
	global_load_dword v0, v0, s[12:13] offset:200
	s_waitcnt vmcnt(0)
	v_add_nc_u32_e32 v0, -1, v0
	v_cmp_eq_u32_e32 vcc_lo, 50, v0
	s_cbranch_vccnz .LBB116_336
; %bb.335:
	v_lshlrev_b32_e32 v0, 4, v0
	v_mov_b32_e32 v1, s14
	v_add_nc_u32_e32 v0, 16, v0
	s_clause 0x7
	buffer_load_dword v2, v0, s[0:3], 0 offen
	buffer_load_dword v3, v0, s[0:3], 0 offen offset:4
	buffer_load_dword v4, v0, s[0:3], 0 offen offset:8
	;; [unrolled: 1-line block ×6, first 2 shown]
	buffer_load_dword v115, v1, s[0:3], 0 offen
	s_waitcnt vmcnt(7)
	buffer_store_dword v2, v1, s[0:3], 0 offen
	s_waitcnt vmcnt(6)
	buffer_store_dword v3, v1, s[0:3], 0 offen offset:4
	s_waitcnt vmcnt(5)
	buffer_store_dword v4, v1, s[0:3], 0 offen offset:8
	;; [unrolled: 2-line block ×6, first 2 shown]
	s_waitcnt vmcnt(0)
	buffer_store_dword v115, v0, s[0:3], 0 offen
.LBB116_336:
	v_mov_b32_e32 v0, 0
	global_load_dword v1, v0, s[12:13] offset:196
	s_waitcnt vmcnt(0)
	v_add_nc_u32_e32 v1, -1, v1
	v_cmp_eq_u32_e32 vcc_lo, 49, v1
	s_cbranch_vccnz .LBB116_338
; %bb.337:
	v_lshlrev_b32_e32 v1, 4, v1
	v_mov_b32_e32 v2, s15
	v_add_nc_u32_e32 v1, 16, v1
	s_clause 0x7
	buffer_load_dword v3, v1, s[0:3], 0 offen
	buffer_load_dword v4, v1, s[0:3], 0 offen offset:4
	buffer_load_dword v5, v1, s[0:3], 0 offen offset:8
	;; [unrolled: 1-line block ×6, first 2 shown]
	buffer_load_dword v116, v2, s[0:3], 0 offen
	s_waitcnt vmcnt(7)
	buffer_store_dword v3, v2, s[0:3], 0 offen
	s_waitcnt vmcnt(6)
	buffer_store_dword v4, v2, s[0:3], 0 offen offset:4
	s_waitcnt vmcnt(5)
	buffer_store_dword v5, v2, s[0:3], 0 offen offset:8
	;; [unrolled: 2-line block ×6, first 2 shown]
	s_waitcnt vmcnt(0)
	buffer_store_dword v116, v1, s[0:3], 0 offen
.LBB116_338:
	global_load_dword v0, v0, s[12:13] offset:192
	s_waitcnt vmcnt(0)
	v_add_nc_u32_e32 v0, -1, v0
	v_cmp_eq_u32_e32 vcc_lo, 48, v0
	s_cbranch_vccnz .LBB116_340
; %bb.339:
	v_lshlrev_b32_e32 v0, 4, v0
	v_mov_b32_e32 v1, s16
	v_add_nc_u32_e32 v0, 16, v0
	s_clause 0x7
	buffer_load_dword v2, v0, s[0:3], 0 offen
	buffer_load_dword v3, v0, s[0:3], 0 offen offset:4
	buffer_load_dword v4, v0, s[0:3], 0 offen offset:8
	;; [unrolled: 1-line block ×6, first 2 shown]
	buffer_load_dword v115, v1, s[0:3], 0 offen
	s_waitcnt vmcnt(7)
	buffer_store_dword v2, v1, s[0:3], 0 offen
	s_waitcnt vmcnt(6)
	buffer_store_dword v3, v1, s[0:3], 0 offen offset:4
	s_waitcnt vmcnt(5)
	buffer_store_dword v4, v1, s[0:3], 0 offen offset:8
	;; [unrolled: 2-line block ×6, first 2 shown]
	s_waitcnt vmcnt(0)
	buffer_store_dword v115, v0, s[0:3], 0 offen
.LBB116_340:
	v_mov_b32_e32 v0, 0
	global_load_dword v1, v0, s[12:13] offset:188
	s_waitcnt vmcnt(0)
	v_add_nc_u32_e32 v1, -1, v1
	v_cmp_eq_u32_e32 vcc_lo, 47, v1
	s_cbranch_vccnz .LBB116_342
; %bb.341:
	v_lshlrev_b32_e32 v1, 4, v1
	v_mov_b32_e32 v2, s17
	v_add_nc_u32_e32 v1, 16, v1
	s_clause 0x7
	buffer_load_dword v3, v1, s[0:3], 0 offen
	buffer_load_dword v4, v1, s[0:3], 0 offen offset:4
	buffer_load_dword v5, v1, s[0:3], 0 offen offset:8
	;; [unrolled: 1-line block ×6, first 2 shown]
	buffer_load_dword v116, v2, s[0:3], 0 offen
	s_waitcnt vmcnt(7)
	buffer_store_dword v3, v2, s[0:3], 0 offen
	s_waitcnt vmcnt(6)
	buffer_store_dword v4, v2, s[0:3], 0 offen offset:4
	s_waitcnt vmcnt(5)
	buffer_store_dword v5, v2, s[0:3], 0 offen offset:8
	;; [unrolled: 2-line block ×6, first 2 shown]
	s_waitcnt vmcnt(0)
	buffer_store_dword v116, v1, s[0:3], 0 offen
.LBB116_342:
	global_load_dword v0, v0, s[12:13] offset:184
	s_waitcnt vmcnt(0)
	v_add_nc_u32_e32 v0, -1, v0
	v_cmp_eq_u32_e32 vcc_lo, 46, v0
	s_cbranch_vccnz .LBB116_344
; %bb.343:
	v_lshlrev_b32_e32 v0, 4, v0
	v_mov_b32_e32 v1, s18
	v_add_nc_u32_e32 v0, 16, v0
	s_clause 0x7
	buffer_load_dword v2, v0, s[0:3], 0 offen
	buffer_load_dword v3, v0, s[0:3], 0 offen offset:4
	buffer_load_dword v4, v0, s[0:3], 0 offen offset:8
	;; [unrolled: 1-line block ×6, first 2 shown]
	buffer_load_dword v115, v1, s[0:3], 0 offen
	s_waitcnt vmcnt(7)
	buffer_store_dword v2, v1, s[0:3], 0 offen
	s_waitcnt vmcnt(6)
	buffer_store_dword v3, v1, s[0:3], 0 offen offset:4
	s_waitcnt vmcnt(5)
	buffer_store_dword v4, v1, s[0:3], 0 offen offset:8
	;; [unrolled: 2-line block ×6, first 2 shown]
	s_waitcnt vmcnt(0)
	buffer_store_dword v115, v0, s[0:3], 0 offen
.LBB116_344:
	v_mov_b32_e32 v0, 0
	global_load_dword v1, v0, s[12:13] offset:180
	s_waitcnt vmcnt(0)
	v_add_nc_u32_e32 v1, -1, v1
	v_cmp_eq_u32_e32 vcc_lo, 45, v1
	s_cbranch_vccnz .LBB116_346
; %bb.345:
	v_lshlrev_b32_e32 v1, 4, v1
	v_mov_b32_e32 v2, s19
	v_add_nc_u32_e32 v1, 16, v1
	s_clause 0x7
	buffer_load_dword v3, v1, s[0:3], 0 offen
	buffer_load_dword v4, v1, s[0:3], 0 offen offset:4
	buffer_load_dword v5, v1, s[0:3], 0 offen offset:8
	;; [unrolled: 1-line block ×6, first 2 shown]
	buffer_load_dword v116, v2, s[0:3], 0 offen
	s_waitcnt vmcnt(7)
	buffer_store_dword v3, v2, s[0:3], 0 offen
	s_waitcnt vmcnt(6)
	buffer_store_dword v4, v2, s[0:3], 0 offen offset:4
	s_waitcnt vmcnt(5)
	buffer_store_dword v5, v2, s[0:3], 0 offen offset:8
	;; [unrolled: 2-line block ×6, first 2 shown]
	s_waitcnt vmcnt(0)
	buffer_store_dword v116, v1, s[0:3], 0 offen
.LBB116_346:
	global_load_dword v0, v0, s[12:13] offset:176
	s_waitcnt vmcnt(0)
	v_add_nc_u32_e32 v0, -1, v0
	v_cmp_eq_u32_e32 vcc_lo, 44, v0
	s_cbranch_vccnz .LBB116_348
; %bb.347:
	v_lshlrev_b32_e32 v0, 4, v0
	v_mov_b32_e32 v1, s20
	v_add_nc_u32_e32 v0, 16, v0
	s_clause 0x7
	buffer_load_dword v2, v0, s[0:3], 0 offen
	buffer_load_dword v3, v0, s[0:3], 0 offen offset:4
	buffer_load_dword v4, v0, s[0:3], 0 offen offset:8
	;; [unrolled: 1-line block ×6, first 2 shown]
	buffer_load_dword v115, v1, s[0:3], 0 offen
	s_waitcnt vmcnt(7)
	buffer_store_dword v2, v1, s[0:3], 0 offen
	s_waitcnt vmcnt(6)
	buffer_store_dword v3, v1, s[0:3], 0 offen offset:4
	s_waitcnt vmcnt(5)
	buffer_store_dword v4, v1, s[0:3], 0 offen offset:8
	;; [unrolled: 2-line block ×6, first 2 shown]
	s_waitcnt vmcnt(0)
	buffer_store_dword v115, v0, s[0:3], 0 offen
.LBB116_348:
	v_mov_b32_e32 v0, 0
	global_load_dword v1, v0, s[12:13] offset:172
	s_waitcnt vmcnt(0)
	v_add_nc_u32_e32 v1, -1, v1
	v_cmp_eq_u32_e32 vcc_lo, 43, v1
	s_cbranch_vccnz .LBB116_350
; %bb.349:
	v_lshlrev_b32_e32 v1, 4, v1
	v_mov_b32_e32 v2, s21
	v_add_nc_u32_e32 v1, 16, v1
	s_clause 0x7
	buffer_load_dword v3, v1, s[0:3], 0 offen
	buffer_load_dword v4, v1, s[0:3], 0 offen offset:4
	buffer_load_dword v5, v1, s[0:3], 0 offen offset:8
	;; [unrolled: 1-line block ×6, first 2 shown]
	buffer_load_dword v116, v2, s[0:3], 0 offen
	s_waitcnt vmcnt(7)
	buffer_store_dword v3, v2, s[0:3], 0 offen
	s_waitcnt vmcnt(6)
	buffer_store_dword v4, v2, s[0:3], 0 offen offset:4
	s_waitcnt vmcnt(5)
	buffer_store_dword v5, v2, s[0:3], 0 offen offset:8
	;; [unrolled: 2-line block ×6, first 2 shown]
	s_waitcnt vmcnt(0)
	buffer_store_dword v116, v1, s[0:3], 0 offen
.LBB116_350:
	global_load_dword v0, v0, s[12:13] offset:168
	s_waitcnt vmcnt(0)
	v_add_nc_u32_e32 v0, -1, v0
	v_cmp_eq_u32_e32 vcc_lo, 42, v0
	s_cbranch_vccnz .LBB116_352
; %bb.351:
	v_lshlrev_b32_e32 v0, 4, v0
	v_mov_b32_e32 v1, s22
	v_add_nc_u32_e32 v0, 16, v0
	s_clause 0x7
	buffer_load_dword v2, v0, s[0:3], 0 offen
	buffer_load_dword v3, v0, s[0:3], 0 offen offset:4
	buffer_load_dword v4, v0, s[0:3], 0 offen offset:8
	;; [unrolled: 1-line block ×6, first 2 shown]
	buffer_load_dword v115, v1, s[0:3], 0 offen
	s_waitcnt vmcnt(7)
	buffer_store_dword v2, v1, s[0:3], 0 offen
	s_waitcnt vmcnt(6)
	buffer_store_dword v3, v1, s[0:3], 0 offen offset:4
	s_waitcnt vmcnt(5)
	buffer_store_dword v4, v1, s[0:3], 0 offen offset:8
	;; [unrolled: 2-line block ×6, first 2 shown]
	s_waitcnt vmcnt(0)
	buffer_store_dword v115, v0, s[0:3], 0 offen
.LBB116_352:
	v_mov_b32_e32 v0, 0
	global_load_dword v1, v0, s[12:13] offset:164
	s_waitcnt vmcnt(0)
	v_add_nc_u32_e32 v1, -1, v1
	v_cmp_eq_u32_e32 vcc_lo, 41, v1
	s_cbranch_vccnz .LBB116_354
; %bb.353:
	v_lshlrev_b32_e32 v1, 4, v1
	v_mov_b32_e32 v2, s23
	v_add_nc_u32_e32 v1, 16, v1
	s_clause 0x7
	buffer_load_dword v3, v1, s[0:3], 0 offen
	buffer_load_dword v4, v1, s[0:3], 0 offen offset:4
	buffer_load_dword v5, v1, s[0:3], 0 offen offset:8
	buffer_load_dword v6, v1, s[0:3], 0 offen offset:12
	buffer_load_dword v7, v2, s[0:3], 0 offen offset:12
	buffer_load_dword v8, v2, s[0:3], 0 offen offset:8
	buffer_load_dword v115, v2, s[0:3], 0 offen offset:4
	buffer_load_dword v116, v2, s[0:3], 0 offen
	s_waitcnt vmcnt(7)
	buffer_store_dword v3, v2, s[0:3], 0 offen
	s_waitcnt vmcnt(6)
	buffer_store_dword v4, v2, s[0:3], 0 offen offset:4
	s_waitcnt vmcnt(5)
	buffer_store_dword v5, v2, s[0:3], 0 offen offset:8
	;; [unrolled: 2-line block ×6, first 2 shown]
	s_waitcnt vmcnt(0)
	buffer_store_dword v116, v1, s[0:3], 0 offen
.LBB116_354:
	global_load_dword v0, v0, s[12:13] offset:160
	s_waitcnt vmcnt(0)
	v_add_nc_u32_e32 v0, -1, v0
	v_cmp_eq_u32_e32 vcc_lo, 40, v0
	s_cbranch_vccnz .LBB116_356
; %bb.355:
	v_lshlrev_b32_e32 v0, 4, v0
	v_mov_b32_e32 v1, s24
	v_add_nc_u32_e32 v0, 16, v0
	s_clause 0x7
	buffer_load_dword v2, v0, s[0:3], 0 offen
	buffer_load_dword v3, v0, s[0:3], 0 offen offset:4
	buffer_load_dword v4, v0, s[0:3], 0 offen offset:8
	;; [unrolled: 1-line block ×6, first 2 shown]
	buffer_load_dword v115, v1, s[0:3], 0 offen
	s_waitcnt vmcnt(7)
	buffer_store_dword v2, v1, s[0:3], 0 offen
	s_waitcnt vmcnt(6)
	buffer_store_dword v3, v1, s[0:3], 0 offen offset:4
	s_waitcnt vmcnt(5)
	buffer_store_dword v4, v1, s[0:3], 0 offen offset:8
	;; [unrolled: 2-line block ×6, first 2 shown]
	s_waitcnt vmcnt(0)
	buffer_store_dword v115, v0, s[0:3], 0 offen
.LBB116_356:
	v_mov_b32_e32 v0, 0
	global_load_dword v1, v0, s[12:13] offset:156
	s_waitcnt vmcnt(0)
	v_add_nc_u32_e32 v1, -1, v1
	v_cmp_eq_u32_e32 vcc_lo, 39, v1
	s_cbranch_vccnz .LBB116_358
; %bb.357:
	v_lshlrev_b32_e32 v1, 4, v1
	v_mov_b32_e32 v2, s25
	v_add_nc_u32_e32 v1, 16, v1
	s_clause 0x7
	buffer_load_dword v3, v1, s[0:3], 0 offen
	buffer_load_dword v4, v1, s[0:3], 0 offen offset:4
	buffer_load_dword v5, v1, s[0:3], 0 offen offset:8
	;; [unrolled: 1-line block ×6, first 2 shown]
	buffer_load_dword v116, v2, s[0:3], 0 offen
	s_waitcnt vmcnt(7)
	buffer_store_dword v3, v2, s[0:3], 0 offen
	s_waitcnt vmcnt(6)
	buffer_store_dword v4, v2, s[0:3], 0 offen offset:4
	s_waitcnt vmcnt(5)
	buffer_store_dword v5, v2, s[0:3], 0 offen offset:8
	;; [unrolled: 2-line block ×6, first 2 shown]
	s_waitcnt vmcnt(0)
	buffer_store_dword v116, v1, s[0:3], 0 offen
.LBB116_358:
	global_load_dword v0, v0, s[12:13] offset:152
	s_waitcnt vmcnt(0)
	v_add_nc_u32_e32 v0, -1, v0
	v_cmp_eq_u32_e32 vcc_lo, 38, v0
	s_cbranch_vccnz .LBB116_360
; %bb.359:
	v_lshlrev_b32_e32 v0, 4, v0
	v_mov_b32_e32 v1, s26
	v_add_nc_u32_e32 v0, 16, v0
	s_clause 0x7
	buffer_load_dword v2, v0, s[0:3], 0 offen
	buffer_load_dword v3, v0, s[0:3], 0 offen offset:4
	buffer_load_dword v4, v0, s[0:3], 0 offen offset:8
	;; [unrolled: 1-line block ×6, first 2 shown]
	buffer_load_dword v115, v1, s[0:3], 0 offen
	s_waitcnt vmcnt(7)
	buffer_store_dword v2, v1, s[0:3], 0 offen
	s_waitcnt vmcnt(6)
	buffer_store_dword v3, v1, s[0:3], 0 offen offset:4
	s_waitcnt vmcnt(5)
	buffer_store_dword v4, v1, s[0:3], 0 offen offset:8
	;; [unrolled: 2-line block ×6, first 2 shown]
	s_waitcnt vmcnt(0)
	buffer_store_dword v115, v0, s[0:3], 0 offen
.LBB116_360:
	v_mov_b32_e32 v0, 0
	global_load_dword v1, v0, s[12:13] offset:148
	s_waitcnt vmcnt(0)
	v_add_nc_u32_e32 v1, -1, v1
	v_cmp_eq_u32_e32 vcc_lo, 37, v1
	s_cbranch_vccnz .LBB116_362
; %bb.361:
	v_lshlrev_b32_e32 v1, 4, v1
	v_mov_b32_e32 v2, s27
	v_add_nc_u32_e32 v1, 16, v1
	s_clause 0x7
	buffer_load_dword v3, v1, s[0:3], 0 offen
	buffer_load_dword v4, v1, s[0:3], 0 offen offset:4
	buffer_load_dword v5, v1, s[0:3], 0 offen offset:8
	;; [unrolled: 1-line block ×6, first 2 shown]
	buffer_load_dword v116, v2, s[0:3], 0 offen
	s_waitcnt vmcnt(7)
	buffer_store_dword v3, v2, s[0:3], 0 offen
	s_waitcnt vmcnt(6)
	buffer_store_dword v4, v2, s[0:3], 0 offen offset:4
	s_waitcnt vmcnt(5)
	buffer_store_dword v5, v2, s[0:3], 0 offen offset:8
	;; [unrolled: 2-line block ×6, first 2 shown]
	s_waitcnt vmcnt(0)
	buffer_store_dword v116, v1, s[0:3], 0 offen
.LBB116_362:
	global_load_dword v0, v0, s[12:13] offset:144
	s_waitcnt vmcnt(0)
	v_add_nc_u32_e32 v0, -1, v0
	v_cmp_eq_u32_e32 vcc_lo, 36, v0
	s_cbranch_vccnz .LBB116_364
; %bb.363:
	v_lshlrev_b32_e32 v0, 4, v0
	v_mov_b32_e32 v1, s28
	v_add_nc_u32_e32 v0, 16, v0
	s_clause 0x7
	buffer_load_dword v2, v0, s[0:3], 0 offen
	buffer_load_dword v3, v0, s[0:3], 0 offen offset:4
	buffer_load_dword v4, v0, s[0:3], 0 offen offset:8
	;; [unrolled: 1-line block ×6, first 2 shown]
	buffer_load_dword v115, v1, s[0:3], 0 offen
	s_waitcnt vmcnt(7)
	buffer_store_dword v2, v1, s[0:3], 0 offen
	s_waitcnt vmcnt(6)
	buffer_store_dword v3, v1, s[0:3], 0 offen offset:4
	s_waitcnt vmcnt(5)
	buffer_store_dword v4, v1, s[0:3], 0 offen offset:8
	;; [unrolled: 2-line block ×6, first 2 shown]
	s_waitcnt vmcnt(0)
	buffer_store_dword v115, v0, s[0:3], 0 offen
.LBB116_364:
	v_mov_b32_e32 v0, 0
	global_load_dword v1, v0, s[12:13] offset:140
	s_waitcnt vmcnt(0)
	v_add_nc_u32_e32 v1, -1, v1
	v_cmp_eq_u32_e32 vcc_lo, 35, v1
	s_cbranch_vccnz .LBB116_366
; %bb.365:
	v_lshlrev_b32_e32 v1, 4, v1
	v_mov_b32_e32 v2, s29
	v_add_nc_u32_e32 v1, 16, v1
	s_clause 0x7
	buffer_load_dword v3, v1, s[0:3], 0 offen
	buffer_load_dword v4, v1, s[0:3], 0 offen offset:4
	buffer_load_dword v5, v1, s[0:3], 0 offen offset:8
	buffer_load_dword v6, v1, s[0:3], 0 offen offset:12
	buffer_load_dword v7, v2, s[0:3], 0 offen offset:12
	buffer_load_dword v8, v2, s[0:3], 0 offen offset:8
	buffer_load_dword v115, v2, s[0:3], 0 offen offset:4
	buffer_load_dword v116, v2, s[0:3], 0 offen
	s_waitcnt vmcnt(7)
	buffer_store_dword v3, v2, s[0:3], 0 offen
	s_waitcnt vmcnt(6)
	buffer_store_dword v4, v2, s[0:3], 0 offen offset:4
	s_waitcnt vmcnt(5)
	buffer_store_dword v5, v2, s[0:3], 0 offen offset:8
	s_waitcnt vmcnt(4)
	buffer_store_dword v6, v2, s[0:3], 0 offen offset:12
	s_waitcnt vmcnt(3)
	buffer_store_dword v7, v1, s[0:3], 0 offen offset:12
	s_waitcnt vmcnt(2)
	buffer_store_dword v8, v1, s[0:3], 0 offen offset:8
	s_waitcnt vmcnt(1)
	buffer_store_dword v115, v1, s[0:3], 0 offen offset:4
	s_waitcnt vmcnt(0)
	buffer_store_dword v116, v1, s[0:3], 0 offen
.LBB116_366:
	global_load_dword v0, v0, s[12:13] offset:136
	s_waitcnt vmcnt(0)
	v_add_nc_u32_e32 v0, -1, v0
	v_cmp_eq_u32_e32 vcc_lo, 34, v0
	s_cbranch_vccnz .LBB116_368
; %bb.367:
	v_lshlrev_b32_e32 v0, 4, v0
	v_mov_b32_e32 v1, s30
	v_add_nc_u32_e32 v0, 16, v0
	s_clause 0x7
	buffer_load_dword v2, v0, s[0:3], 0 offen
	buffer_load_dword v3, v0, s[0:3], 0 offen offset:4
	buffer_load_dword v4, v0, s[0:3], 0 offen offset:8
	buffer_load_dword v5, v0, s[0:3], 0 offen offset:12
	buffer_load_dword v6, v1, s[0:3], 0 offen offset:12
	buffer_load_dword v7, v1, s[0:3], 0 offen offset:8
	buffer_load_dword v8, v1, s[0:3], 0 offen offset:4
	buffer_load_dword v115, v1, s[0:3], 0 offen
	s_waitcnt vmcnt(7)
	buffer_store_dword v2, v1, s[0:3], 0 offen
	s_waitcnt vmcnt(6)
	buffer_store_dword v3, v1, s[0:3], 0 offen offset:4
	s_waitcnt vmcnt(5)
	buffer_store_dword v4, v1, s[0:3], 0 offen offset:8
	;; [unrolled: 2-line block ×6, first 2 shown]
	s_waitcnt vmcnt(0)
	buffer_store_dword v115, v0, s[0:3], 0 offen
.LBB116_368:
	v_mov_b32_e32 v0, 0
	global_load_dword v1, v0, s[12:13] offset:132
	s_waitcnt vmcnt(0)
	v_add_nc_u32_e32 v1, -1, v1
	v_cmp_eq_u32_e32 vcc_lo, 33, v1
	s_cbranch_vccnz .LBB116_370
; %bb.369:
	v_lshlrev_b32_e32 v1, 4, v1
	v_mov_b32_e32 v2, s31
	v_add_nc_u32_e32 v1, 16, v1
	s_clause 0x7
	buffer_load_dword v3, v1, s[0:3], 0 offen
	buffer_load_dword v4, v1, s[0:3], 0 offen offset:4
	buffer_load_dword v5, v1, s[0:3], 0 offen offset:8
	;; [unrolled: 1-line block ×6, first 2 shown]
	buffer_load_dword v116, v2, s[0:3], 0 offen
	s_waitcnt vmcnt(7)
	buffer_store_dword v3, v2, s[0:3], 0 offen
	s_waitcnt vmcnt(6)
	buffer_store_dword v4, v2, s[0:3], 0 offen offset:4
	s_waitcnt vmcnt(5)
	buffer_store_dword v5, v2, s[0:3], 0 offen offset:8
	;; [unrolled: 2-line block ×6, first 2 shown]
	s_waitcnt vmcnt(0)
	buffer_store_dword v116, v1, s[0:3], 0 offen
.LBB116_370:
	global_load_dword v0, v0, s[12:13] offset:128
	s_waitcnt vmcnt(0)
	v_add_nc_u32_e32 v0, -1, v0
	v_cmp_eq_u32_e32 vcc_lo, 32, v0
	s_cbranch_vccnz .LBB116_372
; %bb.371:
	v_lshlrev_b32_e32 v0, 4, v0
	v_mov_b32_e32 v1, s33
	v_add_nc_u32_e32 v0, 16, v0
	s_clause 0x7
	buffer_load_dword v2, v0, s[0:3], 0 offen
	buffer_load_dword v3, v0, s[0:3], 0 offen offset:4
	buffer_load_dword v4, v0, s[0:3], 0 offen offset:8
	;; [unrolled: 1-line block ×6, first 2 shown]
	buffer_load_dword v115, v1, s[0:3], 0 offen
	s_waitcnt vmcnt(7)
	buffer_store_dword v2, v1, s[0:3], 0 offen
	s_waitcnt vmcnt(6)
	buffer_store_dword v3, v1, s[0:3], 0 offen offset:4
	s_waitcnt vmcnt(5)
	buffer_store_dword v4, v1, s[0:3], 0 offen offset:8
	;; [unrolled: 2-line block ×6, first 2 shown]
	s_waitcnt vmcnt(0)
	buffer_store_dword v115, v0, s[0:3], 0 offen
.LBB116_372:
	v_mov_b32_e32 v0, 0
	global_load_dword v1, v0, s[12:13] offset:124
	s_waitcnt vmcnt(0)
	v_add_nc_u32_e32 v1, -1, v1
	v_cmp_eq_u32_e32 vcc_lo, 31, v1
	s_cbranch_vccnz .LBB116_374
; %bb.373:
	v_lshlrev_b32_e32 v1, 4, v1
	v_mov_b32_e32 v2, s34
	v_add_nc_u32_e32 v1, 16, v1
	s_clause 0x7
	buffer_load_dword v3, v1, s[0:3], 0 offen
	buffer_load_dword v4, v1, s[0:3], 0 offen offset:4
	buffer_load_dword v5, v1, s[0:3], 0 offen offset:8
	;; [unrolled: 1-line block ×6, first 2 shown]
	buffer_load_dword v116, v2, s[0:3], 0 offen
	s_waitcnt vmcnt(7)
	buffer_store_dword v3, v2, s[0:3], 0 offen
	s_waitcnt vmcnt(6)
	buffer_store_dword v4, v2, s[0:3], 0 offen offset:4
	s_waitcnt vmcnt(5)
	buffer_store_dword v5, v2, s[0:3], 0 offen offset:8
	;; [unrolled: 2-line block ×6, first 2 shown]
	s_waitcnt vmcnt(0)
	buffer_store_dword v116, v1, s[0:3], 0 offen
.LBB116_374:
	global_load_dword v0, v0, s[12:13] offset:120
	s_waitcnt vmcnt(0)
	v_add_nc_u32_e32 v0, -1, v0
	v_cmp_eq_u32_e32 vcc_lo, 30, v0
	s_cbranch_vccnz .LBB116_376
; %bb.375:
	v_lshlrev_b32_e32 v0, 4, v0
	v_mov_b32_e32 v1, s35
	v_add_nc_u32_e32 v0, 16, v0
	s_clause 0x7
	buffer_load_dword v2, v0, s[0:3], 0 offen
	buffer_load_dword v3, v0, s[0:3], 0 offen offset:4
	buffer_load_dword v4, v0, s[0:3], 0 offen offset:8
	;; [unrolled: 1-line block ×6, first 2 shown]
	buffer_load_dword v115, v1, s[0:3], 0 offen
	s_waitcnt vmcnt(7)
	buffer_store_dword v2, v1, s[0:3], 0 offen
	s_waitcnt vmcnt(6)
	buffer_store_dword v3, v1, s[0:3], 0 offen offset:4
	s_waitcnt vmcnt(5)
	buffer_store_dword v4, v1, s[0:3], 0 offen offset:8
	;; [unrolled: 2-line block ×6, first 2 shown]
	s_waitcnt vmcnt(0)
	buffer_store_dword v115, v0, s[0:3], 0 offen
.LBB116_376:
	v_mov_b32_e32 v0, 0
	global_load_dword v1, v0, s[12:13] offset:116
	s_waitcnt vmcnt(0)
	v_add_nc_u32_e32 v1, -1, v1
	v_cmp_eq_u32_e32 vcc_lo, 29, v1
	s_cbranch_vccnz .LBB116_378
; %bb.377:
	v_lshlrev_b32_e32 v1, 4, v1
	v_mov_b32_e32 v2, s36
	v_add_nc_u32_e32 v1, 16, v1
	s_clause 0x7
	buffer_load_dword v3, v1, s[0:3], 0 offen
	buffer_load_dword v4, v1, s[0:3], 0 offen offset:4
	buffer_load_dword v5, v1, s[0:3], 0 offen offset:8
	;; [unrolled: 1-line block ×6, first 2 shown]
	buffer_load_dword v116, v2, s[0:3], 0 offen
	s_waitcnt vmcnt(7)
	buffer_store_dword v3, v2, s[0:3], 0 offen
	s_waitcnt vmcnt(6)
	buffer_store_dword v4, v2, s[0:3], 0 offen offset:4
	s_waitcnt vmcnt(5)
	buffer_store_dword v5, v2, s[0:3], 0 offen offset:8
	;; [unrolled: 2-line block ×6, first 2 shown]
	s_waitcnt vmcnt(0)
	buffer_store_dword v116, v1, s[0:3], 0 offen
.LBB116_378:
	global_load_dword v0, v0, s[12:13] offset:112
	s_waitcnt vmcnt(0)
	v_add_nc_u32_e32 v0, -1, v0
	v_cmp_eq_u32_e32 vcc_lo, 28, v0
	s_cbranch_vccnz .LBB116_380
; %bb.379:
	v_lshlrev_b32_e32 v0, 4, v0
	v_mov_b32_e32 v1, s37
	v_add_nc_u32_e32 v0, 16, v0
	s_clause 0x7
	buffer_load_dword v2, v0, s[0:3], 0 offen
	buffer_load_dword v3, v0, s[0:3], 0 offen offset:4
	buffer_load_dword v4, v0, s[0:3], 0 offen offset:8
	;; [unrolled: 1-line block ×6, first 2 shown]
	buffer_load_dword v115, v1, s[0:3], 0 offen
	s_waitcnt vmcnt(7)
	buffer_store_dword v2, v1, s[0:3], 0 offen
	s_waitcnt vmcnt(6)
	buffer_store_dword v3, v1, s[0:3], 0 offen offset:4
	s_waitcnt vmcnt(5)
	buffer_store_dword v4, v1, s[0:3], 0 offen offset:8
	;; [unrolled: 2-line block ×6, first 2 shown]
	s_waitcnt vmcnt(0)
	buffer_store_dword v115, v0, s[0:3], 0 offen
.LBB116_380:
	v_mov_b32_e32 v0, 0
	global_load_dword v1, v0, s[12:13] offset:108
	s_waitcnt vmcnt(0)
	v_add_nc_u32_e32 v1, -1, v1
	v_cmp_eq_u32_e32 vcc_lo, 27, v1
	s_cbranch_vccnz .LBB116_382
; %bb.381:
	v_lshlrev_b32_e32 v1, 4, v1
	v_mov_b32_e32 v2, s38
	v_add_nc_u32_e32 v1, 16, v1
	s_clause 0x7
	buffer_load_dword v3, v1, s[0:3], 0 offen
	buffer_load_dword v4, v1, s[0:3], 0 offen offset:4
	buffer_load_dword v5, v1, s[0:3], 0 offen offset:8
	;; [unrolled: 1-line block ×6, first 2 shown]
	buffer_load_dword v116, v2, s[0:3], 0 offen
	s_waitcnt vmcnt(7)
	buffer_store_dword v3, v2, s[0:3], 0 offen
	s_waitcnt vmcnt(6)
	buffer_store_dword v4, v2, s[0:3], 0 offen offset:4
	s_waitcnt vmcnt(5)
	buffer_store_dword v5, v2, s[0:3], 0 offen offset:8
	;; [unrolled: 2-line block ×6, first 2 shown]
	s_waitcnt vmcnt(0)
	buffer_store_dword v116, v1, s[0:3], 0 offen
.LBB116_382:
	global_load_dword v0, v0, s[12:13] offset:104
	s_waitcnt vmcnt(0)
	v_add_nc_u32_e32 v0, -1, v0
	v_cmp_eq_u32_e32 vcc_lo, 26, v0
	s_cbranch_vccnz .LBB116_384
; %bb.383:
	v_lshlrev_b32_e32 v0, 4, v0
	v_mov_b32_e32 v1, s39
	v_add_nc_u32_e32 v0, 16, v0
	s_clause 0x7
	buffer_load_dword v2, v0, s[0:3], 0 offen
	buffer_load_dword v3, v0, s[0:3], 0 offen offset:4
	buffer_load_dword v4, v0, s[0:3], 0 offen offset:8
	;; [unrolled: 1-line block ×6, first 2 shown]
	buffer_load_dword v115, v1, s[0:3], 0 offen
	s_waitcnt vmcnt(7)
	buffer_store_dword v2, v1, s[0:3], 0 offen
	s_waitcnt vmcnt(6)
	buffer_store_dword v3, v1, s[0:3], 0 offen offset:4
	s_waitcnt vmcnt(5)
	buffer_store_dword v4, v1, s[0:3], 0 offen offset:8
	;; [unrolled: 2-line block ×6, first 2 shown]
	s_waitcnt vmcnt(0)
	buffer_store_dword v115, v0, s[0:3], 0 offen
.LBB116_384:
	v_mov_b32_e32 v0, 0
	global_load_dword v1, v0, s[12:13] offset:100
	s_waitcnt vmcnt(0)
	v_add_nc_u32_e32 v1, -1, v1
	v_cmp_eq_u32_e32 vcc_lo, 25, v1
	s_cbranch_vccnz .LBB116_386
; %bb.385:
	v_lshlrev_b32_e32 v1, 4, v1
	v_mov_b32_e32 v2, s40
	v_add_nc_u32_e32 v1, 16, v1
	s_clause 0x7
	buffer_load_dword v3, v1, s[0:3], 0 offen
	buffer_load_dword v4, v1, s[0:3], 0 offen offset:4
	buffer_load_dword v5, v1, s[0:3], 0 offen offset:8
	;; [unrolled: 1-line block ×6, first 2 shown]
	buffer_load_dword v116, v2, s[0:3], 0 offen
	s_waitcnt vmcnt(7)
	buffer_store_dword v3, v2, s[0:3], 0 offen
	s_waitcnt vmcnt(6)
	buffer_store_dword v4, v2, s[0:3], 0 offen offset:4
	s_waitcnt vmcnt(5)
	buffer_store_dword v5, v2, s[0:3], 0 offen offset:8
	;; [unrolled: 2-line block ×6, first 2 shown]
	s_waitcnt vmcnt(0)
	buffer_store_dword v116, v1, s[0:3], 0 offen
.LBB116_386:
	global_load_dword v0, v0, s[12:13] offset:96
	s_waitcnt vmcnt(0)
	v_add_nc_u32_e32 v0, -1, v0
	v_cmp_eq_u32_e32 vcc_lo, 24, v0
	s_cbranch_vccnz .LBB116_388
; %bb.387:
	v_lshlrev_b32_e32 v0, 4, v0
	v_mov_b32_e32 v1, s41
	v_add_nc_u32_e32 v0, 16, v0
	s_clause 0x7
	buffer_load_dword v2, v0, s[0:3], 0 offen
	buffer_load_dword v3, v0, s[0:3], 0 offen offset:4
	buffer_load_dword v4, v0, s[0:3], 0 offen offset:8
	;; [unrolled: 1-line block ×6, first 2 shown]
	buffer_load_dword v115, v1, s[0:3], 0 offen
	s_waitcnt vmcnt(7)
	buffer_store_dword v2, v1, s[0:3], 0 offen
	s_waitcnt vmcnt(6)
	buffer_store_dword v3, v1, s[0:3], 0 offen offset:4
	s_waitcnt vmcnt(5)
	buffer_store_dword v4, v1, s[0:3], 0 offen offset:8
	;; [unrolled: 2-line block ×6, first 2 shown]
	s_waitcnt vmcnt(0)
	buffer_store_dword v115, v0, s[0:3], 0 offen
.LBB116_388:
	v_mov_b32_e32 v0, 0
	global_load_dword v1, v0, s[12:13] offset:92
	s_waitcnt vmcnt(0)
	v_add_nc_u32_e32 v1, -1, v1
	v_cmp_eq_u32_e32 vcc_lo, 23, v1
	s_cbranch_vccnz .LBB116_390
; %bb.389:
	v_lshlrev_b32_e32 v1, 4, v1
	v_mov_b32_e32 v2, s42
	v_add_nc_u32_e32 v1, 16, v1
	s_clause 0x7
	buffer_load_dword v3, v1, s[0:3], 0 offen
	buffer_load_dword v4, v1, s[0:3], 0 offen offset:4
	buffer_load_dword v5, v1, s[0:3], 0 offen offset:8
	;; [unrolled: 1-line block ×6, first 2 shown]
	buffer_load_dword v116, v2, s[0:3], 0 offen
	s_waitcnt vmcnt(7)
	buffer_store_dword v3, v2, s[0:3], 0 offen
	s_waitcnt vmcnt(6)
	buffer_store_dword v4, v2, s[0:3], 0 offen offset:4
	s_waitcnt vmcnt(5)
	buffer_store_dword v5, v2, s[0:3], 0 offen offset:8
	;; [unrolled: 2-line block ×6, first 2 shown]
	s_waitcnt vmcnt(0)
	buffer_store_dword v116, v1, s[0:3], 0 offen
.LBB116_390:
	global_load_dword v0, v0, s[12:13] offset:88
	s_waitcnt vmcnt(0)
	v_add_nc_u32_e32 v0, -1, v0
	v_cmp_eq_u32_e32 vcc_lo, 22, v0
	s_cbranch_vccnz .LBB116_392
; %bb.391:
	v_lshlrev_b32_e32 v0, 4, v0
	v_mov_b32_e32 v1, s43
	v_add_nc_u32_e32 v0, 16, v0
	s_clause 0x7
	buffer_load_dword v2, v0, s[0:3], 0 offen
	buffer_load_dword v3, v0, s[0:3], 0 offen offset:4
	buffer_load_dword v4, v0, s[0:3], 0 offen offset:8
	;; [unrolled: 1-line block ×6, first 2 shown]
	buffer_load_dword v115, v1, s[0:3], 0 offen
	s_waitcnt vmcnt(7)
	buffer_store_dword v2, v1, s[0:3], 0 offen
	s_waitcnt vmcnt(6)
	buffer_store_dword v3, v1, s[0:3], 0 offen offset:4
	s_waitcnt vmcnt(5)
	buffer_store_dword v4, v1, s[0:3], 0 offen offset:8
	;; [unrolled: 2-line block ×6, first 2 shown]
	s_waitcnt vmcnt(0)
	buffer_store_dword v115, v0, s[0:3], 0 offen
.LBB116_392:
	v_mov_b32_e32 v0, 0
	global_load_dword v1, v0, s[12:13] offset:84
	s_waitcnt vmcnt(0)
	v_add_nc_u32_e32 v1, -1, v1
	v_cmp_eq_u32_e32 vcc_lo, 21, v1
	s_cbranch_vccnz .LBB116_394
; %bb.393:
	v_lshlrev_b32_e32 v1, 4, v1
	v_mov_b32_e32 v2, s44
	v_add_nc_u32_e32 v1, 16, v1
	s_clause 0x7
	buffer_load_dword v3, v1, s[0:3], 0 offen
	buffer_load_dword v4, v1, s[0:3], 0 offen offset:4
	buffer_load_dword v5, v1, s[0:3], 0 offen offset:8
	;; [unrolled: 1-line block ×6, first 2 shown]
	buffer_load_dword v116, v2, s[0:3], 0 offen
	s_waitcnt vmcnt(7)
	buffer_store_dword v3, v2, s[0:3], 0 offen
	s_waitcnt vmcnt(6)
	buffer_store_dword v4, v2, s[0:3], 0 offen offset:4
	s_waitcnt vmcnt(5)
	buffer_store_dword v5, v2, s[0:3], 0 offen offset:8
	;; [unrolled: 2-line block ×6, first 2 shown]
	s_waitcnt vmcnt(0)
	buffer_store_dword v116, v1, s[0:3], 0 offen
.LBB116_394:
	global_load_dword v0, v0, s[12:13] offset:80
	s_waitcnt vmcnt(0)
	v_add_nc_u32_e32 v0, -1, v0
	v_cmp_eq_u32_e32 vcc_lo, 20, v0
	s_cbranch_vccnz .LBB116_396
; %bb.395:
	v_lshlrev_b32_e32 v0, 4, v0
	v_mov_b32_e32 v1, s45
	v_add_nc_u32_e32 v0, 16, v0
	s_clause 0x7
	buffer_load_dword v2, v0, s[0:3], 0 offen
	buffer_load_dword v3, v0, s[0:3], 0 offen offset:4
	buffer_load_dword v4, v0, s[0:3], 0 offen offset:8
	;; [unrolled: 1-line block ×6, first 2 shown]
	buffer_load_dword v115, v1, s[0:3], 0 offen
	s_waitcnt vmcnt(7)
	buffer_store_dword v2, v1, s[0:3], 0 offen
	s_waitcnt vmcnt(6)
	buffer_store_dword v3, v1, s[0:3], 0 offen offset:4
	s_waitcnt vmcnt(5)
	buffer_store_dword v4, v1, s[0:3], 0 offen offset:8
	;; [unrolled: 2-line block ×6, first 2 shown]
	s_waitcnt vmcnt(0)
	buffer_store_dword v115, v0, s[0:3], 0 offen
.LBB116_396:
	v_mov_b32_e32 v0, 0
	global_load_dword v1, v0, s[12:13] offset:76
	s_waitcnt vmcnt(0)
	v_add_nc_u32_e32 v1, -1, v1
	v_cmp_eq_u32_e32 vcc_lo, 19, v1
	s_cbranch_vccnz .LBB116_398
; %bb.397:
	v_lshlrev_b32_e32 v1, 4, v1
	v_mov_b32_e32 v2, s46
	v_add_nc_u32_e32 v1, 16, v1
	s_clause 0x7
	buffer_load_dword v3, v1, s[0:3], 0 offen
	buffer_load_dword v4, v1, s[0:3], 0 offen offset:4
	buffer_load_dword v5, v1, s[0:3], 0 offen offset:8
	;; [unrolled: 1-line block ×6, first 2 shown]
	buffer_load_dword v116, v2, s[0:3], 0 offen
	s_waitcnt vmcnt(7)
	buffer_store_dword v3, v2, s[0:3], 0 offen
	s_waitcnt vmcnt(6)
	buffer_store_dword v4, v2, s[0:3], 0 offen offset:4
	s_waitcnt vmcnt(5)
	buffer_store_dword v5, v2, s[0:3], 0 offen offset:8
	;; [unrolled: 2-line block ×6, first 2 shown]
	s_waitcnt vmcnt(0)
	buffer_store_dword v116, v1, s[0:3], 0 offen
.LBB116_398:
	global_load_dword v0, v0, s[12:13] offset:72
	s_waitcnt vmcnt(0)
	v_add_nc_u32_e32 v0, -1, v0
	v_cmp_eq_u32_e32 vcc_lo, 18, v0
	s_cbranch_vccnz .LBB116_400
; %bb.399:
	v_lshlrev_b32_e32 v0, 4, v0
	v_mov_b32_e32 v1, s47
	v_add_nc_u32_e32 v0, 16, v0
	s_clause 0x7
	buffer_load_dword v2, v0, s[0:3], 0 offen
	buffer_load_dword v3, v0, s[0:3], 0 offen offset:4
	buffer_load_dword v4, v0, s[0:3], 0 offen offset:8
	;; [unrolled: 1-line block ×6, first 2 shown]
	buffer_load_dword v115, v1, s[0:3], 0 offen
	s_waitcnt vmcnt(7)
	buffer_store_dword v2, v1, s[0:3], 0 offen
	s_waitcnt vmcnt(6)
	buffer_store_dword v3, v1, s[0:3], 0 offen offset:4
	s_waitcnt vmcnt(5)
	buffer_store_dword v4, v1, s[0:3], 0 offen offset:8
	s_waitcnt vmcnt(4)
	buffer_store_dword v5, v1, s[0:3], 0 offen offset:12
	s_waitcnt vmcnt(3)
	buffer_store_dword v6, v0, s[0:3], 0 offen offset:12
	s_waitcnt vmcnt(2)
	buffer_store_dword v7, v0, s[0:3], 0 offen offset:8
	s_waitcnt vmcnt(1)
	buffer_store_dword v8, v0, s[0:3], 0 offen offset:4
	s_waitcnt vmcnt(0)
	buffer_store_dword v115, v0, s[0:3], 0 offen
.LBB116_400:
	v_mov_b32_e32 v0, 0
	global_load_dword v1, v0, s[12:13] offset:68
	s_waitcnt vmcnt(0)
	v_add_nc_u32_e32 v1, -1, v1
	v_cmp_eq_u32_e32 vcc_lo, 17, v1
	s_cbranch_vccnz .LBB116_402
; %bb.401:
	v_lshlrev_b32_e32 v1, 4, v1
	v_mov_b32_e32 v2, s48
	v_add_nc_u32_e32 v1, 16, v1
	s_clause 0x7
	buffer_load_dword v3, v1, s[0:3], 0 offen
	buffer_load_dword v4, v1, s[0:3], 0 offen offset:4
	buffer_load_dword v5, v1, s[0:3], 0 offen offset:8
	;; [unrolled: 1-line block ×6, first 2 shown]
	buffer_load_dword v116, v2, s[0:3], 0 offen
	s_waitcnt vmcnt(7)
	buffer_store_dword v3, v2, s[0:3], 0 offen
	s_waitcnt vmcnt(6)
	buffer_store_dword v4, v2, s[0:3], 0 offen offset:4
	s_waitcnt vmcnt(5)
	buffer_store_dword v5, v2, s[0:3], 0 offen offset:8
	;; [unrolled: 2-line block ×6, first 2 shown]
	s_waitcnt vmcnt(0)
	buffer_store_dword v116, v1, s[0:3], 0 offen
.LBB116_402:
	global_load_dword v0, v0, s[12:13] offset:64
	s_waitcnt vmcnt(0)
	v_add_nc_u32_e32 v0, -1, v0
	v_cmp_eq_u32_e32 vcc_lo, 16, v0
	s_cbranch_vccnz .LBB116_404
; %bb.403:
	v_lshlrev_b32_e32 v0, 4, v0
	v_mov_b32_e32 v1, s49
	v_add_nc_u32_e32 v0, 16, v0
	s_clause 0x7
	buffer_load_dword v2, v0, s[0:3], 0 offen
	buffer_load_dword v3, v0, s[0:3], 0 offen offset:4
	buffer_load_dword v4, v0, s[0:3], 0 offen offset:8
	;; [unrolled: 1-line block ×6, first 2 shown]
	buffer_load_dword v115, v1, s[0:3], 0 offen
	s_waitcnt vmcnt(7)
	buffer_store_dword v2, v1, s[0:3], 0 offen
	s_waitcnt vmcnt(6)
	buffer_store_dword v3, v1, s[0:3], 0 offen offset:4
	s_waitcnt vmcnt(5)
	buffer_store_dword v4, v1, s[0:3], 0 offen offset:8
	;; [unrolled: 2-line block ×6, first 2 shown]
	s_waitcnt vmcnt(0)
	buffer_store_dword v115, v0, s[0:3], 0 offen
.LBB116_404:
	v_mov_b32_e32 v0, 0
	global_load_dword v1, v0, s[12:13] offset:60
	s_waitcnt vmcnt(0)
	v_add_nc_u32_e32 v1, -1, v1
	v_cmp_eq_u32_e32 vcc_lo, 15, v1
	s_cbranch_vccnz .LBB116_406
; %bb.405:
	v_lshlrev_b32_e32 v1, 4, v1
	v_mov_b32_e32 v2, s50
	v_add_nc_u32_e32 v1, 16, v1
	s_clause 0x7
	buffer_load_dword v3, v1, s[0:3], 0 offen
	buffer_load_dword v4, v1, s[0:3], 0 offen offset:4
	buffer_load_dword v5, v1, s[0:3], 0 offen offset:8
	;; [unrolled: 1-line block ×6, first 2 shown]
	buffer_load_dword v116, v2, s[0:3], 0 offen
	s_waitcnt vmcnt(7)
	buffer_store_dword v3, v2, s[0:3], 0 offen
	s_waitcnt vmcnt(6)
	buffer_store_dword v4, v2, s[0:3], 0 offen offset:4
	s_waitcnt vmcnt(5)
	buffer_store_dword v5, v2, s[0:3], 0 offen offset:8
	;; [unrolled: 2-line block ×6, first 2 shown]
	s_waitcnt vmcnt(0)
	buffer_store_dword v116, v1, s[0:3], 0 offen
.LBB116_406:
	global_load_dword v0, v0, s[12:13] offset:56
	s_waitcnt vmcnt(0)
	v_add_nc_u32_e32 v0, -1, v0
	v_cmp_eq_u32_e32 vcc_lo, 14, v0
	s_cbranch_vccnz .LBB116_408
; %bb.407:
	v_lshlrev_b32_e32 v0, 4, v0
	v_mov_b32_e32 v1, s51
	v_add_nc_u32_e32 v0, 16, v0
	s_clause 0x7
	buffer_load_dword v2, v0, s[0:3], 0 offen
	buffer_load_dword v3, v0, s[0:3], 0 offen offset:4
	buffer_load_dword v4, v0, s[0:3], 0 offen offset:8
	;; [unrolled: 1-line block ×6, first 2 shown]
	buffer_load_dword v115, v1, s[0:3], 0 offen
	s_waitcnt vmcnt(7)
	buffer_store_dword v2, v1, s[0:3], 0 offen
	s_waitcnt vmcnt(6)
	buffer_store_dword v3, v1, s[0:3], 0 offen offset:4
	s_waitcnt vmcnt(5)
	buffer_store_dword v4, v1, s[0:3], 0 offen offset:8
	;; [unrolled: 2-line block ×6, first 2 shown]
	s_waitcnt vmcnt(0)
	buffer_store_dword v115, v0, s[0:3], 0 offen
.LBB116_408:
	v_mov_b32_e32 v0, 0
	global_load_dword v1, v0, s[12:13] offset:52
	s_waitcnt vmcnt(0)
	v_add_nc_u32_e32 v1, -1, v1
	v_cmp_eq_u32_e32 vcc_lo, 13, v1
	s_cbranch_vccnz .LBB116_410
; %bb.409:
	v_lshlrev_b32_e32 v1, 4, v1
	v_mov_b32_e32 v2, s52
	v_add_nc_u32_e32 v1, 16, v1
	s_clause 0x7
	buffer_load_dword v3, v1, s[0:3], 0 offen
	buffer_load_dword v4, v1, s[0:3], 0 offen offset:4
	buffer_load_dword v5, v1, s[0:3], 0 offen offset:8
	;; [unrolled: 1-line block ×6, first 2 shown]
	buffer_load_dword v116, v2, s[0:3], 0 offen
	s_waitcnt vmcnt(7)
	buffer_store_dword v3, v2, s[0:3], 0 offen
	s_waitcnt vmcnt(6)
	buffer_store_dword v4, v2, s[0:3], 0 offen offset:4
	s_waitcnt vmcnt(5)
	buffer_store_dword v5, v2, s[0:3], 0 offen offset:8
	;; [unrolled: 2-line block ×6, first 2 shown]
	s_waitcnt vmcnt(0)
	buffer_store_dword v116, v1, s[0:3], 0 offen
.LBB116_410:
	global_load_dword v0, v0, s[12:13] offset:48
	s_waitcnt vmcnt(0)
	v_add_nc_u32_e32 v0, -1, v0
	v_cmp_eq_u32_e32 vcc_lo, 12, v0
	s_cbranch_vccnz .LBB116_412
; %bb.411:
	v_lshlrev_b32_e32 v0, 4, v0
	v_mov_b32_e32 v1, s53
	v_add_nc_u32_e32 v0, 16, v0
	s_clause 0x7
	buffer_load_dword v2, v0, s[0:3], 0 offen
	buffer_load_dword v3, v0, s[0:3], 0 offen offset:4
	buffer_load_dword v4, v0, s[0:3], 0 offen offset:8
	;; [unrolled: 1-line block ×6, first 2 shown]
	buffer_load_dword v115, v1, s[0:3], 0 offen
	s_waitcnt vmcnt(7)
	buffer_store_dword v2, v1, s[0:3], 0 offen
	s_waitcnt vmcnt(6)
	buffer_store_dword v3, v1, s[0:3], 0 offen offset:4
	s_waitcnt vmcnt(5)
	buffer_store_dword v4, v1, s[0:3], 0 offen offset:8
	;; [unrolled: 2-line block ×6, first 2 shown]
	s_waitcnt vmcnt(0)
	buffer_store_dword v115, v0, s[0:3], 0 offen
.LBB116_412:
	v_mov_b32_e32 v0, 0
	global_load_dword v1, v0, s[12:13] offset:44
	s_waitcnt vmcnt(0)
	v_add_nc_u32_e32 v1, -1, v1
	v_cmp_eq_u32_e32 vcc_lo, 11, v1
	s_cbranch_vccnz .LBB116_414
; %bb.413:
	v_lshlrev_b32_e32 v1, 4, v1
	v_mov_b32_e32 v2, s54
	v_add_nc_u32_e32 v1, 16, v1
	s_clause 0x7
	buffer_load_dword v3, v1, s[0:3], 0 offen
	buffer_load_dword v4, v1, s[0:3], 0 offen offset:4
	buffer_load_dword v5, v1, s[0:3], 0 offen offset:8
	;; [unrolled: 1-line block ×6, first 2 shown]
	buffer_load_dword v116, v2, s[0:3], 0 offen
	s_waitcnt vmcnt(7)
	buffer_store_dword v3, v2, s[0:3], 0 offen
	s_waitcnt vmcnt(6)
	buffer_store_dword v4, v2, s[0:3], 0 offen offset:4
	s_waitcnt vmcnt(5)
	buffer_store_dword v5, v2, s[0:3], 0 offen offset:8
	;; [unrolled: 2-line block ×6, first 2 shown]
	s_waitcnt vmcnt(0)
	buffer_store_dword v116, v1, s[0:3], 0 offen
.LBB116_414:
	global_load_dword v0, v0, s[12:13] offset:40
	s_waitcnt vmcnt(0)
	v_add_nc_u32_e32 v0, -1, v0
	v_cmp_eq_u32_e32 vcc_lo, 10, v0
	s_cbranch_vccnz .LBB116_416
; %bb.415:
	v_lshlrev_b32_e32 v0, 4, v0
	v_mov_b32_e32 v1, s55
	v_add_nc_u32_e32 v0, 16, v0
	s_clause 0x7
	buffer_load_dword v2, v0, s[0:3], 0 offen
	buffer_load_dword v3, v0, s[0:3], 0 offen offset:4
	buffer_load_dword v4, v0, s[0:3], 0 offen offset:8
	;; [unrolled: 1-line block ×6, first 2 shown]
	buffer_load_dword v115, v1, s[0:3], 0 offen
	s_waitcnt vmcnt(7)
	buffer_store_dword v2, v1, s[0:3], 0 offen
	s_waitcnt vmcnt(6)
	buffer_store_dword v3, v1, s[0:3], 0 offen offset:4
	s_waitcnt vmcnt(5)
	buffer_store_dword v4, v1, s[0:3], 0 offen offset:8
	s_waitcnt vmcnt(4)
	buffer_store_dword v5, v1, s[0:3], 0 offen offset:12
	s_waitcnt vmcnt(3)
	buffer_store_dword v6, v0, s[0:3], 0 offen offset:12
	s_waitcnt vmcnt(2)
	buffer_store_dword v7, v0, s[0:3], 0 offen offset:8
	s_waitcnt vmcnt(1)
	buffer_store_dword v8, v0, s[0:3], 0 offen offset:4
	s_waitcnt vmcnt(0)
	buffer_store_dword v115, v0, s[0:3], 0 offen
.LBB116_416:
	v_mov_b32_e32 v0, 0
	global_load_dword v1, v0, s[12:13] offset:36
	s_waitcnt vmcnt(0)
	v_add_nc_u32_e32 v1, -1, v1
	v_cmp_eq_u32_e32 vcc_lo, 9, v1
	s_cbranch_vccnz .LBB116_418
; %bb.417:
	v_lshlrev_b32_e32 v1, 4, v1
	v_mov_b32_e32 v2, s56
	v_add_nc_u32_e32 v1, 16, v1
	s_clause 0x7
	buffer_load_dword v3, v1, s[0:3], 0 offen
	buffer_load_dword v4, v1, s[0:3], 0 offen offset:4
	buffer_load_dword v5, v1, s[0:3], 0 offen offset:8
	;; [unrolled: 1-line block ×6, first 2 shown]
	buffer_load_dword v116, v2, s[0:3], 0 offen
	s_waitcnt vmcnt(7)
	buffer_store_dword v3, v2, s[0:3], 0 offen
	s_waitcnt vmcnt(6)
	buffer_store_dword v4, v2, s[0:3], 0 offen offset:4
	s_waitcnt vmcnt(5)
	buffer_store_dword v5, v2, s[0:3], 0 offen offset:8
	;; [unrolled: 2-line block ×6, first 2 shown]
	s_waitcnt vmcnt(0)
	buffer_store_dword v116, v1, s[0:3], 0 offen
.LBB116_418:
	global_load_dword v0, v0, s[12:13] offset:32
	s_waitcnt vmcnt(0)
	v_add_nc_u32_e32 v0, -1, v0
	v_cmp_eq_u32_e32 vcc_lo, 8, v0
	s_cbranch_vccnz .LBB116_420
; %bb.419:
	v_lshlrev_b32_e32 v0, 4, v0
	v_mov_b32_e32 v1, s57
	v_add_nc_u32_e32 v0, 16, v0
	s_clause 0x7
	buffer_load_dword v2, v0, s[0:3], 0 offen
	buffer_load_dword v3, v0, s[0:3], 0 offen offset:4
	buffer_load_dword v4, v0, s[0:3], 0 offen offset:8
	;; [unrolled: 1-line block ×6, first 2 shown]
	buffer_load_dword v115, v1, s[0:3], 0 offen
	s_waitcnt vmcnt(7)
	buffer_store_dword v2, v1, s[0:3], 0 offen
	s_waitcnt vmcnt(6)
	buffer_store_dword v3, v1, s[0:3], 0 offen offset:4
	s_waitcnt vmcnt(5)
	buffer_store_dword v4, v1, s[0:3], 0 offen offset:8
	s_waitcnt vmcnt(4)
	buffer_store_dword v5, v1, s[0:3], 0 offen offset:12
	s_waitcnt vmcnt(3)
	buffer_store_dword v6, v0, s[0:3], 0 offen offset:12
	s_waitcnt vmcnt(2)
	buffer_store_dword v7, v0, s[0:3], 0 offen offset:8
	s_waitcnt vmcnt(1)
	buffer_store_dword v8, v0, s[0:3], 0 offen offset:4
	s_waitcnt vmcnt(0)
	buffer_store_dword v115, v0, s[0:3], 0 offen
.LBB116_420:
	v_mov_b32_e32 v0, 0
	global_load_dword v1, v0, s[12:13] offset:28
	s_waitcnt vmcnt(0)
	v_add_nc_u32_e32 v1, -1, v1
	v_cmp_eq_u32_e32 vcc_lo, 7, v1
	s_cbranch_vccnz .LBB116_422
; %bb.421:
	v_lshlrev_b32_e32 v1, 4, v1
	v_mov_b32_e32 v2, s58
	v_add_nc_u32_e32 v1, 16, v1
	s_clause 0x7
	buffer_load_dword v3, v1, s[0:3], 0 offen
	buffer_load_dword v4, v1, s[0:3], 0 offen offset:4
	buffer_load_dword v5, v1, s[0:3], 0 offen offset:8
	;; [unrolled: 1-line block ×6, first 2 shown]
	buffer_load_dword v116, v2, s[0:3], 0 offen
	s_waitcnt vmcnt(7)
	buffer_store_dword v3, v2, s[0:3], 0 offen
	s_waitcnt vmcnt(6)
	buffer_store_dword v4, v2, s[0:3], 0 offen offset:4
	s_waitcnt vmcnt(5)
	buffer_store_dword v5, v2, s[0:3], 0 offen offset:8
	;; [unrolled: 2-line block ×6, first 2 shown]
	s_waitcnt vmcnt(0)
	buffer_store_dword v116, v1, s[0:3], 0 offen
.LBB116_422:
	global_load_dword v0, v0, s[12:13] offset:24
	s_waitcnt vmcnt(0)
	v_add_nc_u32_e32 v0, -1, v0
	v_cmp_eq_u32_e32 vcc_lo, 6, v0
	s_cbranch_vccnz .LBB116_424
; %bb.423:
	v_lshlrev_b32_e32 v0, 4, v0
	v_mov_b32_e32 v1, s59
	v_add_nc_u32_e32 v0, 16, v0
	s_clause 0x7
	buffer_load_dword v2, v0, s[0:3], 0 offen
	buffer_load_dword v3, v0, s[0:3], 0 offen offset:4
	buffer_load_dword v4, v0, s[0:3], 0 offen offset:8
	;; [unrolled: 1-line block ×6, first 2 shown]
	buffer_load_dword v115, v1, s[0:3], 0 offen
	s_waitcnt vmcnt(7)
	buffer_store_dword v2, v1, s[0:3], 0 offen
	s_waitcnt vmcnt(6)
	buffer_store_dword v3, v1, s[0:3], 0 offen offset:4
	s_waitcnt vmcnt(5)
	buffer_store_dword v4, v1, s[0:3], 0 offen offset:8
	;; [unrolled: 2-line block ×6, first 2 shown]
	s_waitcnt vmcnt(0)
	buffer_store_dword v115, v0, s[0:3], 0 offen
.LBB116_424:
	v_mov_b32_e32 v0, 0
	global_load_dword v1, v0, s[12:13] offset:20
	s_waitcnt vmcnt(0)
	v_add_nc_u32_e32 v1, -1, v1
	v_cmp_eq_u32_e32 vcc_lo, 5, v1
	s_cbranch_vccnz .LBB116_426
; %bb.425:
	v_lshlrev_b32_e32 v1, 4, v1
	v_mov_b32_e32 v2, s60
	v_add_nc_u32_e32 v1, 16, v1
	s_clause 0x7
	buffer_load_dword v3, v1, s[0:3], 0 offen
	buffer_load_dword v4, v1, s[0:3], 0 offen offset:4
	buffer_load_dword v5, v1, s[0:3], 0 offen offset:8
	;; [unrolled: 1-line block ×6, first 2 shown]
	buffer_load_dword v116, v2, s[0:3], 0 offen
	s_waitcnt vmcnt(7)
	buffer_store_dword v3, v2, s[0:3], 0 offen
	s_waitcnt vmcnt(6)
	buffer_store_dword v4, v2, s[0:3], 0 offen offset:4
	s_waitcnt vmcnt(5)
	buffer_store_dword v5, v2, s[0:3], 0 offen offset:8
	;; [unrolled: 2-line block ×6, first 2 shown]
	s_waitcnt vmcnt(0)
	buffer_store_dword v116, v1, s[0:3], 0 offen
.LBB116_426:
	global_load_dword v0, v0, s[12:13] offset:16
	s_waitcnt vmcnt(0)
	v_add_nc_u32_e32 v0, -1, v0
	v_cmp_eq_u32_e32 vcc_lo, 4, v0
	s_cbranch_vccnz .LBB116_428
; %bb.427:
	v_lshlrev_b32_e32 v0, 4, v0
	v_mov_b32_e32 v1, s61
	v_add_nc_u32_e32 v0, 16, v0
	s_clause 0x7
	buffer_load_dword v2, v0, s[0:3], 0 offen
	buffer_load_dword v3, v0, s[0:3], 0 offen offset:4
	buffer_load_dword v4, v0, s[0:3], 0 offen offset:8
	;; [unrolled: 1-line block ×6, first 2 shown]
	buffer_load_dword v115, v1, s[0:3], 0 offen
	s_waitcnt vmcnt(7)
	buffer_store_dword v2, v1, s[0:3], 0 offen
	s_waitcnt vmcnt(6)
	buffer_store_dword v3, v1, s[0:3], 0 offen offset:4
	s_waitcnt vmcnt(5)
	buffer_store_dword v4, v1, s[0:3], 0 offen offset:8
	;; [unrolled: 2-line block ×6, first 2 shown]
	s_waitcnt vmcnt(0)
	buffer_store_dword v115, v0, s[0:3], 0 offen
.LBB116_428:
	v_mov_b32_e32 v0, 0
	global_load_dword v1, v0, s[12:13] offset:12
	s_waitcnt vmcnt(0)
	v_add_nc_u32_e32 v1, -1, v1
	v_cmp_eq_u32_e32 vcc_lo, 3, v1
	s_cbranch_vccnz .LBB116_430
; %bb.429:
	v_lshlrev_b32_e32 v1, 4, v1
	v_mov_b32_e32 v2, s62
	v_add_nc_u32_e32 v1, 16, v1
	s_clause 0x7
	buffer_load_dword v3, v1, s[0:3], 0 offen
	buffer_load_dword v4, v1, s[0:3], 0 offen offset:4
	buffer_load_dword v5, v1, s[0:3], 0 offen offset:8
	;; [unrolled: 1-line block ×6, first 2 shown]
	buffer_load_dword v116, v2, s[0:3], 0 offen
	s_waitcnt vmcnt(7)
	buffer_store_dword v3, v2, s[0:3], 0 offen
	s_waitcnt vmcnt(6)
	buffer_store_dword v4, v2, s[0:3], 0 offen offset:4
	s_waitcnt vmcnt(5)
	buffer_store_dword v5, v2, s[0:3], 0 offen offset:8
	;; [unrolled: 2-line block ×6, first 2 shown]
	s_waitcnt vmcnt(0)
	buffer_store_dword v116, v1, s[0:3], 0 offen
.LBB116_430:
	global_load_dword v0, v0, s[12:13] offset:8
	s_waitcnt vmcnt(0)
	v_add_nc_u32_e32 v0, -1, v0
	v_cmp_eq_u32_e32 vcc_lo, 2, v0
	s_cbranch_vccnz .LBB116_432
; %bb.431:
	v_lshlrev_b32_e32 v0, 4, v0
	v_mov_b32_e32 v1, s63
	v_add_nc_u32_e32 v0, 16, v0
	s_clause 0x7
	buffer_load_dword v2, v0, s[0:3], 0 offen
	buffer_load_dword v3, v0, s[0:3], 0 offen offset:4
	buffer_load_dword v4, v0, s[0:3], 0 offen offset:8
	;; [unrolled: 1-line block ×6, first 2 shown]
	buffer_load_dword v115, v1, s[0:3], 0 offen
	s_waitcnt vmcnt(7)
	buffer_store_dword v2, v1, s[0:3], 0 offen
	s_waitcnt vmcnt(6)
	buffer_store_dword v3, v1, s[0:3], 0 offen offset:4
	s_waitcnt vmcnt(5)
	buffer_store_dword v4, v1, s[0:3], 0 offen offset:8
	;; [unrolled: 2-line block ×6, first 2 shown]
	s_waitcnt vmcnt(0)
	buffer_store_dword v115, v0, s[0:3], 0 offen
.LBB116_432:
	v_mov_b32_e32 v0, 0
	global_load_dword v1, v0, s[12:13] offset:4
	s_waitcnt vmcnt(0)
	v_add_nc_u32_e32 v1, -1, v1
	v_cmp_eq_u32_e32 vcc_lo, 1, v1
	s_cbranch_vccnz .LBB116_434
; %bb.433:
	v_lshlrev_b32_e32 v1, 4, v1
	v_mov_b32_e32 v2, s64
	v_add_nc_u32_e32 v1, 16, v1
	s_clause 0x7
	buffer_load_dword v3, v1, s[0:3], 0 offen
	buffer_load_dword v4, v1, s[0:3], 0 offen offset:4
	buffer_load_dword v5, v1, s[0:3], 0 offen offset:8
	;; [unrolled: 1-line block ×6, first 2 shown]
	buffer_load_dword v116, v2, s[0:3], 0 offen
	s_waitcnt vmcnt(7)
	buffer_store_dword v3, v2, s[0:3], 0 offen
	s_waitcnt vmcnt(6)
	buffer_store_dword v4, v2, s[0:3], 0 offen offset:4
	s_waitcnt vmcnt(5)
	buffer_store_dword v5, v2, s[0:3], 0 offen offset:8
	;; [unrolled: 2-line block ×6, first 2 shown]
	s_waitcnt vmcnt(0)
	buffer_store_dword v116, v1, s[0:3], 0 offen
.LBB116_434:
	global_load_dword v0, v0, s[12:13]
	s_waitcnt vmcnt(0)
	v_add_nc_u32_e32 v0, -1, v0
	v_cmp_eq_u32_e32 vcc_lo, 0, v0
	s_cbranch_vccnz .LBB116_436
; %bb.435:
	v_lshlrev_b32_e32 v0, 4, v0
	v_add_nc_u32_e32 v0, 16, v0
	s_clause 0x7
	buffer_load_dword v1, v0, s[0:3], 0 offen
	buffer_load_dword v2, v0, s[0:3], 0 offen offset:4
	buffer_load_dword v3, v0, s[0:3], 0 offen offset:8
	;; [unrolled: 1-line block ×3, first 2 shown]
	buffer_load_dword v5, off, s[0:3], 0 offset:28
	buffer_load_dword v6, off, s[0:3], 0 offset:24
	;; [unrolled: 1-line block ×4, first 2 shown]
	s_waitcnt vmcnt(7)
	buffer_store_dword v1, off, s[0:3], 0 offset:16
	s_waitcnt vmcnt(6)
	buffer_store_dword v2, off, s[0:3], 0 offset:20
	s_waitcnt vmcnt(5)
	buffer_store_dword v3, off, s[0:3], 0 offset:24
	s_waitcnt vmcnt(4)
	buffer_store_dword v4, off, s[0:3], 0 offset:28
	s_waitcnt vmcnt(3)
	buffer_store_dword v5, v0, s[0:3], 0 offen offset:12
	s_waitcnt vmcnt(2)
	buffer_store_dword v6, v0, s[0:3], 0 offen offset:8
	;; [unrolled: 2-line block ×3, first 2 shown]
	s_waitcnt vmcnt(0)
	buffer_store_dword v8, v0, s[0:3], 0 offen
.LBB116_436:
	s_clause 0x3
	buffer_load_dword v0, off, s[0:3], 0 offset:16
	buffer_load_dword v1, off, s[0:3], 0 offset:20
	;; [unrolled: 1-line block ×4, first 2 shown]
	v_mov_b32_e32 v4, s64
	s_waitcnt vmcnt(0)
	flat_store_dwordx4 v[9:10], v[0:3]
	s_clause 0x3
	buffer_load_dword v0, v4, s[0:3], 0 offen
	buffer_load_dword v1, v4, s[0:3], 0 offen offset:4
	buffer_load_dword v2, v4, s[0:3], 0 offen offset:8
	buffer_load_dword v3, v4, s[0:3], 0 offen offset:12
	v_mov_b32_e32 v4, s63
	s_waitcnt vmcnt(0)
	flat_store_dwordx4 v[63:64], v[0:3]
	s_clause 0x3
	buffer_load_dword v0, v4, s[0:3], 0 offen
	buffer_load_dword v1, v4, s[0:3], 0 offen offset:4
	buffer_load_dword v2, v4, s[0:3], 0 offen offset:8
	buffer_load_dword v3, v4, s[0:3], 0 offen offset:12
	;; [unrolled: 8-line block ×52, first 2 shown]
	s_waitcnt vmcnt(0)
	flat_store_dwordx4 v[113:114], v[0:3]
	s_endpgm
	.section	.rodata,"a",@progbits
	.p2align	6, 0x0
	.amdhsa_kernel _ZN9rocsolver6v33100L18getri_kernel_smallILi53E19rocblas_complex_numIdEPKPS3_EEvT1_iilPiilS8_bb
		.amdhsa_group_segment_fixed_size 1704
		.amdhsa_private_segment_fixed_size 880
		.amdhsa_kernarg_size 60
		.amdhsa_user_sgpr_count 6
		.amdhsa_user_sgpr_private_segment_buffer 1
		.amdhsa_user_sgpr_dispatch_ptr 0
		.amdhsa_user_sgpr_queue_ptr 0
		.amdhsa_user_sgpr_kernarg_segment_ptr 1
		.amdhsa_user_sgpr_dispatch_id 0
		.amdhsa_user_sgpr_flat_scratch_init 0
		.amdhsa_user_sgpr_private_segment_size 0
		.amdhsa_wavefront_size32 1
		.amdhsa_uses_dynamic_stack 0
		.amdhsa_system_sgpr_private_segment_wavefront_offset 1
		.amdhsa_system_sgpr_workgroup_id_x 1
		.amdhsa_system_sgpr_workgroup_id_y 0
		.amdhsa_system_sgpr_workgroup_id_z 0
		.amdhsa_system_sgpr_workgroup_info 0
		.amdhsa_system_vgpr_workitem_id 0
		.amdhsa_next_free_vgpr 201
		.amdhsa_next_free_sgpr 90
		.amdhsa_reserve_vcc 1
		.amdhsa_reserve_flat_scratch 0
		.amdhsa_float_round_mode_32 0
		.amdhsa_float_round_mode_16_64 0
		.amdhsa_float_denorm_mode_32 3
		.amdhsa_float_denorm_mode_16_64 3
		.amdhsa_dx10_clamp 1
		.amdhsa_ieee_mode 1
		.amdhsa_fp16_overflow 0
		.amdhsa_workgroup_processor_mode 1
		.amdhsa_memory_ordered 1
		.amdhsa_forward_progress 1
		.amdhsa_shared_vgpr_count 0
		.amdhsa_exception_fp_ieee_invalid_op 0
		.amdhsa_exception_fp_denorm_src 0
		.amdhsa_exception_fp_ieee_div_zero 0
		.amdhsa_exception_fp_ieee_overflow 0
		.amdhsa_exception_fp_ieee_underflow 0
		.amdhsa_exception_fp_ieee_inexact 0
		.amdhsa_exception_int_div_zero 0
	.end_amdhsa_kernel
	.section	.text._ZN9rocsolver6v33100L18getri_kernel_smallILi53E19rocblas_complex_numIdEPKPS3_EEvT1_iilPiilS8_bb,"axG",@progbits,_ZN9rocsolver6v33100L18getri_kernel_smallILi53E19rocblas_complex_numIdEPKPS3_EEvT1_iilPiilS8_bb,comdat
.Lfunc_end116:
	.size	_ZN9rocsolver6v33100L18getri_kernel_smallILi53E19rocblas_complex_numIdEPKPS3_EEvT1_iilPiilS8_bb, .Lfunc_end116-_ZN9rocsolver6v33100L18getri_kernel_smallILi53E19rocblas_complex_numIdEPKPS3_EEvT1_iilPiilS8_bb
                                        ; -- End function
	.set _ZN9rocsolver6v33100L18getri_kernel_smallILi53E19rocblas_complex_numIdEPKPS3_EEvT1_iilPiilS8_bb.num_vgpr, 201
	.set _ZN9rocsolver6v33100L18getri_kernel_smallILi53E19rocblas_complex_numIdEPKPS3_EEvT1_iilPiilS8_bb.num_agpr, 0
	.set _ZN9rocsolver6v33100L18getri_kernel_smallILi53E19rocblas_complex_numIdEPKPS3_EEvT1_iilPiilS8_bb.numbered_sgpr, 90
	.set _ZN9rocsolver6v33100L18getri_kernel_smallILi53E19rocblas_complex_numIdEPKPS3_EEvT1_iilPiilS8_bb.num_named_barrier, 0
	.set _ZN9rocsolver6v33100L18getri_kernel_smallILi53E19rocblas_complex_numIdEPKPS3_EEvT1_iilPiilS8_bb.private_seg_size, 880
	.set _ZN9rocsolver6v33100L18getri_kernel_smallILi53E19rocblas_complex_numIdEPKPS3_EEvT1_iilPiilS8_bb.uses_vcc, 1
	.set _ZN9rocsolver6v33100L18getri_kernel_smallILi53E19rocblas_complex_numIdEPKPS3_EEvT1_iilPiilS8_bb.uses_flat_scratch, 0
	.set _ZN9rocsolver6v33100L18getri_kernel_smallILi53E19rocblas_complex_numIdEPKPS3_EEvT1_iilPiilS8_bb.has_dyn_sized_stack, 0
	.set _ZN9rocsolver6v33100L18getri_kernel_smallILi53E19rocblas_complex_numIdEPKPS3_EEvT1_iilPiilS8_bb.has_recursion, 0
	.set _ZN9rocsolver6v33100L18getri_kernel_smallILi53E19rocblas_complex_numIdEPKPS3_EEvT1_iilPiilS8_bb.has_indirect_call, 0
	.section	.AMDGPU.csdata,"",@progbits
; Kernel info:
; codeLenInByte = 185288
; TotalNumSgprs: 92
; NumVgprs: 201
; ScratchSize: 880
; MemoryBound: 0
; FloatMode: 240
; IeeeMode: 1
; LDSByteSize: 1704 bytes/workgroup (compile time only)
; SGPRBlocks: 0
; VGPRBlocks: 25
; NumSGPRsForWavesPerEU: 92
; NumVGPRsForWavesPerEU: 201
; Occupancy: 4
; WaveLimiterHint : 1
; COMPUTE_PGM_RSRC2:SCRATCH_EN: 1
; COMPUTE_PGM_RSRC2:USER_SGPR: 6
; COMPUTE_PGM_RSRC2:TRAP_HANDLER: 0
; COMPUTE_PGM_RSRC2:TGID_X_EN: 1
; COMPUTE_PGM_RSRC2:TGID_Y_EN: 0
; COMPUTE_PGM_RSRC2:TGID_Z_EN: 0
; COMPUTE_PGM_RSRC2:TIDIG_COMP_CNT: 0
	.section	.text._ZN9rocsolver6v33100L18getri_kernel_smallILi54E19rocblas_complex_numIdEPKPS3_EEvT1_iilPiilS8_bb,"axG",@progbits,_ZN9rocsolver6v33100L18getri_kernel_smallILi54E19rocblas_complex_numIdEPKPS3_EEvT1_iilPiilS8_bb,comdat
	.globl	_ZN9rocsolver6v33100L18getri_kernel_smallILi54E19rocblas_complex_numIdEPKPS3_EEvT1_iilPiilS8_bb ; -- Begin function _ZN9rocsolver6v33100L18getri_kernel_smallILi54E19rocblas_complex_numIdEPKPS3_EEvT1_iilPiilS8_bb
	.p2align	8
	.type	_ZN9rocsolver6v33100L18getri_kernel_smallILi54E19rocblas_complex_numIdEPKPS3_EEvT1_iilPiilS8_bb,@function
_ZN9rocsolver6v33100L18getri_kernel_smallILi54E19rocblas_complex_numIdEPKPS3_EEvT1_iilPiilS8_bb: ; @_ZN9rocsolver6v33100L18getri_kernel_smallILi54E19rocblas_complex_numIdEPKPS3_EEvT1_iilPiilS8_bb
; %bb.0:
	s_add_u32 s0, s0, s7
	s_addc_u32 s1, s1, 0
	s_mov_b32 s7, exec_lo
	v_cmpx_gt_u32_e32 54, v0
	s_cbranch_execz .LBB117_230
; %bb.1:
	s_clause 0x2
	s_load_dword s16, s[4:5], 0x38
	s_load_dwordx2 s[12:13], s[4:5], 0x0
	s_load_dwordx4 s[8:11], s[4:5], 0x28
	s_waitcnt lgkmcnt(0)
	s_bitcmp1_b32 s16, 8
	s_cselect_b32 s66, -1, 0
	s_ashr_i32 s7, s6, 31
	s_lshl_b64 s[14:15], s[6:7], 3
	s_add_u32 s12, s12, s14
	s_addc_u32 s13, s13, s15
	s_load_dwordx2 s[14:15], s[12:13], 0x0
	s_bfe_u32 s12, s16, 0x10008
	s_cmp_eq_u32 s12, 0
                                        ; implicit-def: $sgpr12_sgpr13
	s_cbranch_scc1 .LBB117_3
; %bb.2:
	s_clause 0x1
	s_load_dword s12, s[4:5], 0x20
	s_load_dwordx2 s[16:17], s[4:5], 0x18
	s_mul_i32 s13, s8, s7
	s_mul_hi_u32 s18, s8, s6
	s_mul_i32 s9, s9, s6
	s_add_i32 s13, s18, s13
	s_mul_i32 s8, s8, s6
	s_add_i32 s9, s13, s9
	s_lshl_b64 s[8:9], s[8:9], 2
	s_waitcnt lgkmcnt(0)
	s_ashr_i32 s13, s12, 31
	s_add_u32 s16, s16, s8
	s_addc_u32 s17, s17, s9
	s_lshl_b64 s[8:9], s[12:13], 2
	s_add_u32 s12, s16, s8
	s_addc_u32 s13, s17, s9
.LBB117_3:
	s_clause 0x1
	s_load_dwordx2 s[8:9], s[4:5], 0x8
	s_load_dword s67, s[4:5], 0x38
	v_lshlrev_b32_e32 v119, 4, v0
	s_movk_i32 s16, 0xa0
	s_movk_i32 s17, 0xb0
	;; [unrolled: 1-line block ×17, first 2 shown]
	s_waitcnt lgkmcnt(0)
	s_ashr_i32 s5, s8, 31
	s_mov_b32 s4, s8
	v_add3_u32 v5, s9, s9, v0
	s_lshl_b64 s[4:5], s[4:5], 4
	s_movk_i32 s34, 0x1b0
	s_add_u32 s8, s14, s4
	s_addc_u32 s14, s15, s5
	v_add_co_u32 v9, s4, s8, v119
	v_add_co_ci_u32_e64 v10, null, s14, 0, s4
	s_mov_b32 s4, s9
	s_ashr_i32 s5, s9, 31
	v_ashrrev_i32_e32 v6, 31, v5
	flat_load_dwordx4 v[1:4], v[9:10]
	s_lshl_b64 s[4:5], s[4:5], 4
	s_movk_i32 s15, 0x90
	v_add_co_u32 v63, vcc_lo, v9, s4
	v_add_co_ci_u32_e64 v64, null, s5, v10, vcc_lo
	v_lshlrev_b64 v[6:7], 4, v[5:6]
	v_add_nc_u32_e32 v5, s9, v5
	s_movk_i32 s4, 0x50
	s_movk_i32 s35, 0x1c0
	s_movk_i32 s36, 0x1d0
	s_movk_i32 s68, 0x1e0
	v_add_co_u32 v61, vcc_lo, s8, v6
	v_add_co_ci_u32_e64 v62, null, s14, v7, vcc_lo
	v_ashrrev_i32_e32 v6, 31, v5
	s_movk_i32 s69, 0x1f0
	s_movk_i32 s70, 0x200
	s_movk_i32 s71, 0x210
	s_movk_i32 s72, 0x220
	v_lshlrev_b64 v[6:7], 4, v[5:6]
	v_add_nc_u32_e32 v5, s9, v5
	s_movk_i32 s73, 0x230
	s_movk_i32 s74, 0x240
	s_movk_i32 s75, 0x250
	s_movk_i32 s76, 0x260
	v_add_co_u32 v57, vcc_lo, s8, v6
	v_add_co_ci_u32_e64 v58, null, s14, v7, vcc_lo
	v_ashrrev_i32_e32 v6, 31, v5
	s_movk_i32 s77, 0x270
	s_movk_i32 s78, 0x280
	s_movk_i32 s79, 0x290
	s_movk_i32 s80, 0x2a0
	;; [unrolled: 13-line block ×3, first 2 shown]
	v_lshlrev_b64 v[6:7], 4, v[5:6]
	v_add_nc_u32_e32 v5, s9, v5
	s_movk_i32 s89, 0x330
	s_movk_i32 s90, 0x340
	;; [unrolled: 1-line block ×3, first 2 shown]
	s_add_i32 s61, s4, 16
	v_add_co_u32 v53, vcc_lo, s8, v6
	v_add_co_ci_u32_e64 v54, null, s14, v7, vcc_lo
	v_ashrrev_i32_e32 v6, 31, v5
	s_add_i32 s57, s15, 16
	s_add_i32 s56, s16, 16
	s_add_i32 s55, s17, 16
	s_add_i32 s54, s18, 16
	v_lshlrev_b64 v[6:7], 4, v[5:6]
	v_add_nc_u32_e32 v5, s9, v5
	s_add_i32 s53, s19, 16
	s_add_i32 s52, s20, 16
	s_add_i32 s51, s21, 16
	s_add_i32 s50, s22, 16
	v_add_co_u32 v51, vcc_lo, s8, v6
	v_add_co_ci_u32_e64 v52, null, s14, v7, vcc_lo
	v_ashrrev_i32_e32 v6, 31, v5
	s_add_i32 s49, s23, 16
	s_add_i32 s48, s24, 16
	s_add_i32 s47, s25, 16
	s_add_i32 s46, s26, 16
	v_lshlrev_b64 v[6:7], 4, v[5:6]
	v_add_nc_u32_e32 v5, s9, v5
	s_add_i32 s45, s27, 16
	s_add_i32 s44, s28, 16
	s_add_i32 s43, s29, 16
	;; [unrolled: 13-line block ×5, first 2 shown]
	s_add_i32 s17, s86, 16
	v_add_co_u32 v43, vcc_lo, s8, v6
	v_add_co_ci_u32_e64 v44, null, s14, v7, vcc_lo
	v_ashrrev_i32_e32 v6, 31, v5
	s_add_i32 s16, s87, 16
	s_add_i32 s15, s88, 16
	s_mov_b32 s5, -1
	s_mov_b32 s65, 32
	v_lshlrev_b64 v[6:7], 4, v[5:6]
	v_add_nc_u32_e32 v5, s9, v5
	s_mov_b32 s64, 48
	s_mov_b32 s63, 64
	s_movk_i32 s62, 0x50
	s_waitcnt vmcnt(0) lgkmcnt(0)
	buffer_store_dword v4, off, s[0:3], 0 offset:28
	buffer_store_dword v3, off, s[0:3], 0 offset:24
	buffer_store_dword v2, off, s[0:3], 0 offset:20
	buffer_store_dword v1, off, s[0:3], 0 offset:16
	flat_load_dwordx4 v[1:4], v[63:64]
	v_add_co_u32 v41, vcc_lo, s8, v6
	v_add_co_ci_u32_e64 v42, null, s14, v7, vcc_lo
	v_ashrrev_i32_e32 v6, 31, v5
	s_waitcnt vmcnt(0) lgkmcnt(0)
	buffer_store_dword v4, off, s[0:3], 0 offset:44
	buffer_store_dword v3, off, s[0:3], 0 offset:40
	buffer_store_dword v2, off, s[0:3], 0 offset:36
	buffer_store_dword v1, off, s[0:3], 0 offset:32
	flat_load_dwordx4 v[1:4], v[61:62]
	v_lshlrev_b64 v[6:7], 4, v[5:6]
	v_add_nc_u32_e32 v5, s9, v5
	s_waitcnt vmcnt(0) lgkmcnt(0)
	buffer_store_dword v4, off, s[0:3], 0 offset:60
	buffer_store_dword v3, off, s[0:3], 0 offset:56
	buffer_store_dword v2, off, s[0:3], 0 offset:52
	buffer_store_dword v1, off, s[0:3], 0 offset:48
	flat_load_dwordx4 v[1:4], v[57:58]
	v_add_co_u32 v37, vcc_lo, s8, v6
	v_add_co_ci_u32_e64 v38, null, s14, v7, vcc_lo
	v_ashrrev_i32_e32 v6, 31, v5
	s_waitcnt vmcnt(0) lgkmcnt(0)
	buffer_store_dword v4, off, s[0:3], 0 offset:76
	buffer_store_dword v3, off, s[0:3], 0 offset:72
	buffer_store_dword v2, off, s[0:3], 0 offset:68
	buffer_store_dword v1, off, s[0:3], 0 offset:64
	flat_load_dwordx4 v[1:4], v[55:56]
	v_lshlrev_b64 v[6:7], 4, v[5:6]
	v_add_nc_u32_e32 v5, s9, v5
	;; [unrolled: 17-line block ×10, first 2 shown]
	s_waitcnt vmcnt(0) lgkmcnt(0)
	buffer_store_dword v4, off, s[0:3], 0 offset:348
	buffer_store_dword v3, off, s[0:3], 0 offset:344
	;; [unrolled: 1-line block ×4, first 2 shown]
	v_add_co_u32 v19, vcc_lo, s8, v6
	v_add_co_ci_u32_e64 v20, null, s14, v7, vcc_lo
	v_ashrrev_i32_e32 v6, 31, v5
	flat_load_dwordx4 v[1:4], v[19:20]
	s_waitcnt vmcnt(0) lgkmcnt(0)
	buffer_store_dword v4, off, s[0:3], 0 offset:364
	buffer_store_dword v3, off, s[0:3], 0 offset:360
	buffer_store_dword v2, off, s[0:3], 0 offset:356
	buffer_store_dword v1, off, s[0:3], 0 offset:352
	v_lshlrev_b64 v[6:7], 4, v[5:6]
	v_add_nc_u32_e32 v5, s9, v5
	v_add_co_u32 v17, vcc_lo, s8, v6
	v_add_co_ci_u32_e64 v18, null, s14, v7, vcc_lo
	v_ashrrev_i32_e32 v6, 31, v5
	flat_load_dwordx4 v[1:4], v[17:18]
	s_waitcnt vmcnt(0) lgkmcnt(0)
	buffer_store_dword v4, off, s[0:3], 0 offset:380
	buffer_store_dword v3, off, s[0:3], 0 offset:376
	buffer_store_dword v2, off, s[0:3], 0 offset:372
	buffer_store_dword v1, off, s[0:3], 0 offset:368
	v_lshlrev_b64 v[6:7], 4, v[5:6]
	v_add_nc_u32_e32 v5, s9, v5
	v_add_co_u32 v15, vcc_lo, s8, v6
	v_add_co_ci_u32_e64 v16, null, s14, v7, vcc_lo
	v_ashrrev_i32_e32 v6, 31, v5
	flat_load_dwordx4 v[1:4], v[15:16]
	s_waitcnt vmcnt(0) lgkmcnt(0)
	buffer_store_dword v4, off, s[0:3], 0 offset:396
	buffer_store_dword v3, off, s[0:3], 0 offset:392
	buffer_store_dword v2, off, s[0:3], 0 offset:388
	buffer_store_dword v1, off, s[0:3], 0 offset:384
	v_lshlrev_b64 v[6:7], 4, v[5:6]
	v_add_nc_u32_e32 v5, s9, v5
	v_add_co_u32 v13, vcc_lo, s8, v6
	v_add_co_ci_u32_e64 v14, null, s14, v7, vcc_lo
	v_ashrrev_i32_e32 v6, 31, v5
	flat_load_dwordx4 v[1:4], v[13:14]
	s_waitcnt vmcnt(0) lgkmcnt(0)
	buffer_store_dword v4, off, s[0:3], 0 offset:412
	buffer_store_dword v3, off, s[0:3], 0 offset:408
	buffer_store_dword v2, off, s[0:3], 0 offset:404
	buffer_store_dword v1, off, s[0:3], 0 offset:400
	v_lshlrev_b64 v[6:7], 4, v[5:6]
	v_add_nc_u32_e32 v5, s9, v5
	v_add_co_u32 v11, vcc_lo, s8, v6
	v_add_co_ci_u32_e64 v12, null, s14, v7, vcc_lo
	v_ashrrev_i32_e32 v6, 31, v5
	flat_load_dwordx4 v[1:4], v[11:12]
	s_waitcnt vmcnt(0) lgkmcnt(0)
	buffer_store_dword v4, off, s[0:3], 0 offset:428
	buffer_store_dword v3, off, s[0:3], 0 offset:424
	buffer_store_dword v2, off, s[0:3], 0 offset:420
	buffer_store_dword v1, off, s[0:3], 0 offset:416
	v_lshlrev_b64 v[6:7], 4, v[5:6]
	v_add_nc_u32_e32 v5, s9, v5
	v_add_co_u32 v39, vcc_lo, s8, v6
	v_add_co_ci_u32_e64 v40, null, s14, v7, vcc_lo
	v_ashrrev_i32_e32 v6, 31, v5
	flat_load_dwordx4 v[1:4], v[39:40]
	s_waitcnt vmcnt(0) lgkmcnt(0)
	buffer_store_dword v4, off, s[0:3], 0 offset:444
	buffer_store_dword v3, off, s[0:3], 0 offset:440
	buffer_store_dword v2, off, s[0:3], 0 offset:436
	buffer_store_dword v1, off, s[0:3], 0 offset:432
	v_lshlrev_b64 v[6:7], 4, v[5:6]
	v_add_nc_u32_e32 v5, s9, v5
	v_add_co_u32 v59, vcc_lo, s8, v6
	v_add_co_ci_u32_e64 v60, null, s14, v7, vcc_lo
	v_ashrrev_i32_e32 v6, 31, v5
	flat_load_dwordx4 v[1:4], v[59:60]
	s_waitcnt vmcnt(0) lgkmcnt(0)
	buffer_store_dword v4, off, s[0:3], 0 offset:460
	buffer_store_dword v3, off, s[0:3], 0 offset:456
	buffer_store_dword v2, off, s[0:3], 0 offset:452
	buffer_store_dword v1, off, s[0:3], 0 offset:448
	v_lshlrev_b64 v[6:7], 4, v[5:6]
	v_add_nc_u32_e32 v5, s9, v5
	v_add_co_u32 v65, vcc_lo, s8, v6
	v_add_co_ci_u32_e64 v66, null, s14, v7, vcc_lo
	v_ashrrev_i32_e32 v6, 31, v5
	flat_load_dwordx4 v[1:4], v[65:66]
	s_waitcnt vmcnt(0) lgkmcnt(0)
	buffer_store_dword v4, off, s[0:3], 0 offset:476
	buffer_store_dword v3, off, s[0:3], 0 offset:472
	buffer_store_dword v2, off, s[0:3], 0 offset:468
	buffer_store_dword v1, off, s[0:3], 0 offset:464
	v_lshlrev_b64 v[6:7], 4, v[5:6]
	v_add_nc_u32_e32 v5, s9, v5
	v_add_co_u32 v67, vcc_lo, s8, v6
	v_add_co_ci_u32_e64 v68, null, s14, v7, vcc_lo
	v_ashrrev_i32_e32 v6, 31, v5
	flat_load_dwordx4 v[1:4], v[67:68]
	s_waitcnt vmcnt(0) lgkmcnt(0)
	buffer_store_dword v4, off, s[0:3], 0 offset:492
	buffer_store_dword v3, off, s[0:3], 0 offset:488
	buffer_store_dword v2, off, s[0:3], 0 offset:484
	buffer_store_dword v1, off, s[0:3], 0 offset:480
	v_lshlrev_b64 v[6:7], 4, v[5:6]
	v_add_nc_u32_e32 v5, s9, v5
	v_add_co_u32 v69, vcc_lo, s8, v6
	v_add_co_ci_u32_e64 v70, null, s14, v7, vcc_lo
	v_ashrrev_i32_e32 v6, 31, v5
	flat_load_dwordx4 v[1:4], v[69:70]
	s_waitcnt vmcnt(0) lgkmcnt(0)
	buffer_store_dword v4, off, s[0:3], 0 offset:508
	buffer_store_dword v3, off, s[0:3], 0 offset:504
	buffer_store_dword v2, off, s[0:3], 0 offset:500
	buffer_store_dword v1, off, s[0:3], 0 offset:496
	v_lshlrev_b64 v[6:7], 4, v[5:6]
	v_add_nc_u32_e32 v5, s9, v5
	v_add_co_u32 v71, vcc_lo, s8, v6
	v_add_co_ci_u32_e64 v72, null, s14, v7, vcc_lo
	v_ashrrev_i32_e32 v6, 31, v5
	flat_load_dwordx4 v[1:4], v[71:72]
	s_waitcnt vmcnt(0) lgkmcnt(0)
	buffer_store_dword v4, off, s[0:3], 0 offset:524
	buffer_store_dword v3, off, s[0:3], 0 offset:520
	buffer_store_dword v2, off, s[0:3], 0 offset:516
	buffer_store_dword v1, off, s[0:3], 0 offset:512
	v_lshlrev_b64 v[6:7], 4, v[5:6]
	v_add_nc_u32_e32 v5, s9, v5
	v_add_co_u32 v73, vcc_lo, s8, v6
	v_add_co_ci_u32_e64 v74, null, s14, v7, vcc_lo
	v_ashrrev_i32_e32 v6, 31, v5
	flat_load_dwordx4 v[1:4], v[73:74]
	s_waitcnt vmcnt(0) lgkmcnt(0)
	buffer_store_dword v4, off, s[0:3], 0 offset:540
	buffer_store_dword v3, off, s[0:3], 0 offset:536
	buffer_store_dword v2, off, s[0:3], 0 offset:532
	buffer_store_dword v1, off, s[0:3], 0 offset:528
	v_lshlrev_b64 v[6:7], 4, v[5:6]
	v_add_nc_u32_e32 v5, s9, v5
	v_add_co_u32 v75, vcc_lo, s8, v6
	v_add_co_ci_u32_e64 v76, null, s14, v7, vcc_lo
	v_ashrrev_i32_e32 v6, 31, v5
	flat_load_dwordx4 v[1:4], v[75:76]
	s_waitcnt vmcnt(0) lgkmcnt(0)
	buffer_store_dword v4, off, s[0:3], 0 offset:556
	buffer_store_dword v3, off, s[0:3], 0 offset:552
	buffer_store_dword v2, off, s[0:3], 0 offset:548
	buffer_store_dword v1, off, s[0:3], 0 offset:544
	v_lshlrev_b64 v[6:7], 4, v[5:6]
	v_add_nc_u32_e32 v5, s9, v5
	v_add_co_u32 v77, vcc_lo, s8, v6
	v_add_co_ci_u32_e64 v78, null, s14, v7, vcc_lo
	v_ashrrev_i32_e32 v6, 31, v5
	flat_load_dwordx4 v[1:4], v[77:78]
	s_waitcnt vmcnt(0) lgkmcnt(0)
	buffer_store_dword v4, off, s[0:3], 0 offset:572
	buffer_store_dword v3, off, s[0:3], 0 offset:568
	buffer_store_dword v2, off, s[0:3], 0 offset:564
	buffer_store_dword v1, off, s[0:3], 0 offset:560
	v_lshlrev_b64 v[6:7], 4, v[5:6]
	v_add_nc_u32_e32 v5, s9, v5
	v_add_co_u32 v79, vcc_lo, s8, v6
	v_add_co_ci_u32_e64 v80, null, s14, v7, vcc_lo
	v_ashrrev_i32_e32 v6, 31, v5
	flat_load_dwordx4 v[1:4], v[79:80]
	s_waitcnt vmcnt(0) lgkmcnt(0)
	buffer_store_dword v4, off, s[0:3], 0 offset:588
	buffer_store_dword v3, off, s[0:3], 0 offset:584
	buffer_store_dword v2, off, s[0:3], 0 offset:580
	buffer_store_dword v1, off, s[0:3], 0 offset:576
	v_lshlrev_b64 v[6:7], 4, v[5:6]
	v_add_nc_u32_e32 v5, s9, v5
	v_add_co_u32 v81, vcc_lo, s8, v6
	v_add_co_ci_u32_e64 v82, null, s14, v7, vcc_lo
	v_ashrrev_i32_e32 v6, 31, v5
	flat_load_dwordx4 v[1:4], v[81:82]
	s_waitcnt vmcnt(0) lgkmcnt(0)
	buffer_store_dword v4, off, s[0:3], 0 offset:604
	buffer_store_dword v3, off, s[0:3], 0 offset:600
	buffer_store_dword v2, off, s[0:3], 0 offset:596
	buffer_store_dword v1, off, s[0:3], 0 offset:592
	v_lshlrev_b64 v[6:7], 4, v[5:6]
	v_add_nc_u32_e32 v5, s9, v5
	v_add_co_u32 v83, vcc_lo, s8, v6
	v_add_co_ci_u32_e64 v84, null, s14, v7, vcc_lo
	v_ashrrev_i32_e32 v6, 31, v5
	flat_load_dwordx4 v[1:4], v[83:84]
	s_waitcnt vmcnt(0) lgkmcnt(0)
	buffer_store_dword v4, off, s[0:3], 0 offset:620
	buffer_store_dword v3, off, s[0:3], 0 offset:616
	buffer_store_dword v2, off, s[0:3], 0 offset:612
	buffer_store_dword v1, off, s[0:3], 0 offset:608
	v_lshlrev_b64 v[6:7], 4, v[5:6]
	v_add_nc_u32_e32 v5, s9, v5
	v_add_co_u32 v85, vcc_lo, s8, v6
	v_add_co_ci_u32_e64 v86, null, s14, v7, vcc_lo
	v_ashrrev_i32_e32 v6, 31, v5
	flat_load_dwordx4 v[1:4], v[85:86]
	s_waitcnt vmcnt(0) lgkmcnt(0)
	buffer_store_dword v4, off, s[0:3], 0 offset:636
	buffer_store_dword v3, off, s[0:3], 0 offset:632
	buffer_store_dword v2, off, s[0:3], 0 offset:628
	buffer_store_dword v1, off, s[0:3], 0 offset:624
	v_lshlrev_b64 v[6:7], 4, v[5:6]
	v_add_nc_u32_e32 v5, s9, v5
	v_add_co_u32 v87, vcc_lo, s8, v6
	v_add_co_ci_u32_e64 v88, null, s14, v7, vcc_lo
	v_ashrrev_i32_e32 v6, 31, v5
	flat_load_dwordx4 v[1:4], v[87:88]
	s_waitcnt vmcnt(0) lgkmcnt(0)
	buffer_store_dword v4, off, s[0:3], 0 offset:652
	buffer_store_dword v3, off, s[0:3], 0 offset:648
	buffer_store_dword v2, off, s[0:3], 0 offset:644
	buffer_store_dword v1, off, s[0:3], 0 offset:640
	v_lshlrev_b64 v[6:7], 4, v[5:6]
	v_add_nc_u32_e32 v5, s9, v5
	v_add_co_u32 v89, vcc_lo, s8, v6
	v_add_co_ci_u32_e64 v90, null, s14, v7, vcc_lo
	v_ashrrev_i32_e32 v6, 31, v5
	flat_load_dwordx4 v[1:4], v[89:90]
	s_waitcnt vmcnt(0) lgkmcnt(0)
	buffer_store_dword v4, off, s[0:3], 0 offset:668
	buffer_store_dword v3, off, s[0:3], 0 offset:664
	buffer_store_dword v2, off, s[0:3], 0 offset:660
	buffer_store_dword v1, off, s[0:3], 0 offset:656
	v_lshlrev_b64 v[6:7], 4, v[5:6]
	v_add_nc_u32_e32 v5, s9, v5
	v_add_co_u32 v91, vcc_lo, s8, v6
	v_add_co_ci_u32_e64 v92, null, s14, v7, vcc_lo
	v_ashrrev_i32_e32 v6, 31, v5
	flat_load_dwordx4 v[1:4], v[91:92]
	s_waitcnt vmcnt(0) lgkmcnt(0)
	buffer_store_dword v4, off, s[0:3], 0 offset:684
	buffer_store_dword v3, off, s[0:3], 0 offset:680
	buffer_store_dword v2, off, s[0:3], 0 offset:676
	buffer_store_dword v1, off, s[0:3], 0 offset:672
	v_lshlrev_b64 v[6:7], 4, v[5:6]
	v_add_nc_u32_e32 v5, s9, v5
	v_add_co_u32 v93, vcc_lo, s8, v6
	v_add_co_ci_u32_e64 v94, null, s14, v7, vcc_lo
	v_ashrrev_i32_e32 v6, 31, v5
	flat_load_dwordx4 v[1:4], v[93:94]
	s_waitcnt vmcnt(0) lgkmcnt(0)
	buffer_store_dword v4, off, s[0:3], 0 offset:700
	buffer_store_dword v3, off, s[0:3], 0 offset:696
	buffer_store_dword v2, off, s[0:3], 0 offset:692
	buffer_store_dword v1, off, s[0:3], 0 offset:688
	v_lshlrev_b64 v[6:7], 4, v[5:6]
	v_add_nc_u32_e32 v5, s9, v5
	v_add_co_u32 v95, vcc_lo, s8, v6
	v_add_co_ci_u32_e64 v96, null, s14, v7, vcc_lo
	v_ashrrev_i32_e32 v6, 31, v5
	flat_load_dwordx4 v[1:4], v[95:96]
	s_waitcnt vmcnt(0) lgkmcnt(0)
	buffer_store_dword v4, off, s[0:3], 0 offset:716
	buffer_store_dword v3, off, s[0:3], 0 offset:712
	buffer_store_dword v2, off, s[0:3], 0 offset:708
	buffer_store_dword v1, off, s[0:3], 0 offset:704
	v_lshlrev_b64 v[6:7], 4, v[5:6]
	v_add_nc_u32_e32 v5, s9, v5
	v_add_co_u32 v97, vcc_lo, s8, v6
	v_add_co_ci_u32_e64 v98, null, s14, v7, vcc_lo
	v_ashrrev_i32_e32 v6, 31, v5
	flat_load_dwordx4 v[1:4], v[97:98]
	s_waitcnt vmcnt(0) lgkmcnt(0)
	buffer_store_dword v4, off, s[0:3], 0 offset:732
	buffer_store_dword v3, off, s[0:3], 0 offset:728
	buffer_store_dword v2, off, s[0:3], 0 offset:724
	buffer_store_dword v1, off, s[0:3], 0 offset:720
	v_lshlrev_b64 v[6:7], 4, v[5:6]
	v_add_nc_u32_e32 v5, s9, v5
	v_add_co_u32 v99, vcc_lo, s8, v6
	v_add_co_ci_u32_e64 v100, null, s14, v7, vcc_lo
	v_ashrrev_i32_e32 v6, 31, v5
	flat_load_dwordx4 v[1:4], v[99:100]
	s_waitcnt vmcnt(0) lgkmcnt(0)
	buffer_store_dword v4, off, s[0:3], 0 offset:748
	buffer_store_dword v3, off, s[0:3], 0 offset:744
	buffer_store_dword v2, off, s[0:3], 0 offset:740
	buffer_store_dword v1, off, s[0:3], 0 offset:736
	v_lshlrev_b64 v[6:7], 4, v[5:6]
	v_add_nc_u32_e32 v5, s9, v5
	v_add_co_u32 v101, vcc_lo, s8, v6
	v_add_co_ci_u32_e64 v102, null, s14, v7, vcc_lo
	v_ashrrev_i32_e32 v6, 31, v5
	flat_load_dwordx4 v[1:4], v[101:102]
	s_waitcnt vmcnt(0) lgkmcnt(0)
	buffer_store_dword v4, off, s[0:3], 0 offset:764
	buffer_store_dword v3, off, s[0:3], 0 offset:760
	buffer_store_dword v2, off, s[0:3], 0 offset:756
	buffer_store_dword v1, off, s[0:3], 0 offset:752
	v_lshlrev_b64 v[6:7], 4, v[5:6]
	v_add_nc_u32_e32 v5, s9, v5
	v_add_co_u32 v103, vcc_lo, s8, v6
	v_add_co_ci_u32_e64 v104, null, s14, v7, vcc_lo
	v_ashrrev_i32_e32 v6, 31, v5
	flat_load_dwordx4 v[1:4], v[103:104]
	s_waitcnt vmcnt(0) lgkmcnt(0)
	buffer_store_dword v4, off, s[0:3], 0 offset:780
	buffer_store_dword v3, off, s[0:3], 0 offset:776
	buffer_store_dword v2, off, s[0:3], 0 offset:772
	buffer_store_dword v1, off, s[0:3], 0 offset:768
	v_lshlrev_b64 v[6:7], 4, v[5:6]
	v_add_nc_u32_e32 v5, s9, v5
	v_add_co_u32 v105, vcc_lo, s8, v6
	v_add_co_ci_u32_e64 v106, null, s14, v7, vcc_lo
	v_ashrrev_i32_e32 v6, 31, v5
	flat_load_dwordx4 v[1:4], v[105:106]
	s_waitcnt vmcnt(0) lgkmcnt(0)
	buffer_store_dword v4, off, s[0:3], 0 offset:796
	buffer_store_dword v3, off, s[0:3], 0 offset:792
	buffer_store_dword v2, off, s[0:3], 0 offset:788
	buffer_store_dword v1, off, s[0:3], 0 offset:784
	v_lshlrev_b64 v[6:7], 4, v[5:6]
	v_add_nc_u32_e32 v5, s9, v5
	v_add_co_u32 v107, vcc_lo, s8, v6
	v_add_co_ci_u32_e64 v108, null, s14, v7, vcc_lo
	v_ashrrev_i32_e32 v6, 31, v5
	flat_load_dwordx4 v[1:4], v[107:108]
	s_waitcnt vmcnt(0) lgkmcnt(0)
	buffer_store_dword v4, off, s[0:3], 0 offset:812
	buffer_store_dword v3, off, s[0:3], 0 offset:808
	buffer_store_dword v2, off, s[0:3], 0 offset:804
	buffer_store_dword v1, off, s[0:3], 0 offset:800
	v_lshlrev_b64 v[6:7], 4, v[5:6]
	v_add_nc_u32_e32 v5, s9, v5
	v_add_co_u32 v109, vcc_lo, s8, v6
	v_add_co_ci_u32_e64 v110, null, s14, v7, vcc_lo
	v_ashrrev_i32_e32 v6, 31, v5
	flat_load_dwordx4 v[1:4], v[109:110]
	s_waitcnt vmcnt(0) lgkmcnt(0)
	buffer_store_dword v4, off, s[0:3], 0 offset:828
	buffer_store_dword v3, off, s[0:3], 0 offset:824
	buffer_store_dword v2, off, s[0:3], 0 offset:820
	buffer_store_dword v1, off, s[0:3], 0 offset:816
	v_lshlrev_b64 v[6:7], 4, v[5:6]
	v_add_nc_u32_e32 v5, s9, v5
	v_add_co_u32 v111, vcc_lo, s8, v6
	v_add_co_ci_u32_e64 v112, null, s14, v7, vcc_lo
	v_ashrrev_i32_e32 v6, 31, v5
	flat_load_dwordx4 v[1:4], v[111:112]
	s_waitcnt vmcnt(0) lgkmcnt(0)
	buffer_store_dword v4, off, s[0:3], 0 offset:844
	buffer_store_dword v3, off, s[0:3], 0 offset:840
	buffer_store_dword v2, off, s[0:3], 0 offset:836
	buffer_store_dword v1, off, s[0:3], 0 offset:832
	v_lshlrev_b64 v[6:7], 4, v[5:6]
	v_add_nc_u32_e32 v5, s9, v5
	s_movk_i32 s9, 0x70
	s_add_i32 s59, s9, 16
	s_add_i32 s9, s90, 16
	v_add_co_u32 v113, vcc_lo, s8, v6
	v_add_co_ci_u32_e64 v114, null, s14, v7, vcc_lo
	v_ashrrev_i32_e32 v6, 31, v5
	flat_load_dwordx4 v[1:4], v[113:114]
	s_waitcnt vmcnt(0) lgkmcnt(0)
	buffer_store_dword v4, off, s[0:3], 0 offset:860
	buffer_store_dword v3, off, s[0:3], 0 offset:856
	;; [unrolled: 1-line block ×4, first 2 shown]
	v_lshlrev_b64 v[5:6], 4, v[5:6]
	v_add_co_u32 v115, vcc_lo, s8, v5
	v_add_co_ci_u32_e64 v116, null, s14, v6, vcc_lo
	s_movk_i32 s8, 0x60
	s_movk_i32 s14, 0x80
	s_add_i32 s60, s8, 16
	flat_load_dwordx4 v[1:4], v[115:116]
	s_add_i32 s58, s14, 16
	s_add_i32 s14, s89, 16
	;; [unrolled: 1-line block ×3, first 2 shown]
	s_bitcmp0_b32 s67, 0
	s_waitcnt vmcnt(0) lgkmcnt(0)
	buffer_store_dword v4, off, s[0:3], 0 offset:876
	buffer_store_dword v3, off, s[0:3], 0 offset:872
	;; [unrolled: 1-line block ×4, first 2 shown]
	s_cbranch_scc1 .LBB117_228
; %bb.4:
	v_cmp_eq_u32_e64 s4, 0, v0
	s_and_saveexec_b32 s5, s4
; %bb.5:
	v_mov_b32_e32 v1, 0
	ds_write_b32 v1, v1 offset:1728
; %bb.6:
	s_or_b32 exec_lo, exec_lo, s5
	v_lshl_add_u32 v120, v0, 4, 16
	s_waitcnt lgkmcnt(0)
	s_waitcnt_vscnt null, 0x0
	s_barrier
	buffer_gl0_inv
	s_clause 0x3
	buffer_load_dword v1, v120, s[0:3], 0 offen
	buffer_load_dword v2, v120, s[0:3], 0 offen offset:4
	buffer_load_dword v3, v120, s[0:3], 0 offen offset:8
	;; [unrolled: 1-line block ×3, first 2 shown]
	s_waitcnt vmcnt(2)
	v_cmp_eq_f64_e32 vcc_lo, 0, v[1:2]
	s_waitcnt vmcnt(0)
	v_cmp_eq_f64_e64 s5, 0, v[3:4]
	s_and_b32 s5, vcc_lo, s5
	s_and_saveexec_b32 s67, s5
	s_cbranch_execz .LBB117_10
; %bb.7:
	v_mov_b32_e32 v1, 0
	s_mov_b32 s68, 0
	ds_read_b32 v2, v1 offset:1728
	s_waitcnt lgkmcnt(0)
	v_readfirstlane_b32 s5, v2
	v_add_nc_u32_e32 v2, 1, v0
	s_cmp_eq_u32 s5, 0
	v_cmp_gt_i32_e32 vcc_lo, s5, v2
	s_cselect_b32 s69, -1, 0
	s_or_b32 s69, s69, vcc_lo
	s_and_b32 exec_lo, exec_lo, s69
	s_cbranch_execz .LBB117_10
; %bb.8:
	v_mov_b32_e32 v3, s5
.LBB117_9:                              ; =>This Inner Loop Header: Depth=1
	ds_cmpst_rtn_b32 v3, v1, v3, v2 offset:1728
	s_waitcnt lgkmcnt(0)
	v_cmp_ne_u32_e32 vcc_lo, 0, v3
	v_cmp_le_i32_e64 s5, v3, v2
	s_and_b32 s5, vcc_lo, s5
	s_and_b32 s5, exec_lo, s5
	s_or_b32 s68, s5, s68
	s_andn2_b32 exec_lo, exec_lo, s68
	s_cbranch_execnz .LBB117_9
.LBB117_10:
	s_or_b32 exec_lo, exec_lo, s67
	v_mov_b32_e32 v1, 0
	s_barrier
	buffer_gl0_inv
	ds_read_b32 v2, v1 offset:1728
	s_and_saveexec_b32 s5, s4
	s_cbranch_execz .LBB117_12
; %bb.11:
	s_lshl_b64 s[68:69], s[6:7], 2
	s_add_u32 s68, s10, s68
	s_addc_u32 s69, s11, s69
	s_waitcnt lgkmcnt(0)
	global_store_dword v1, v2, s[68:69]
.LBB117_12:
	s_or_b32 exec_lo, exec_lo, s5
	s_waitcnt lgkmcnt(0)
	v_cmp_ne_u32_e32 vcc_lo, 0, v2
	s_mov_b32 s5, 0
	s_cbranch_vccnz .LBB117_228
; %bb.13:
	s_clause 0x3
	buffer_load_dword v7, v120, s[0:3], 0 offen
	buffer_load_dword v8, v120, s[0:3], 0 offen offset:4
	buffer_load_dword v117, v120, s[0:3], 0 offen offset:8
	;; [unrolled: 1-line block ×3, first 2 shown]
                                        ; implicit-def: $vgpr5_vgpr6
                                        ; implicit-def: $vgpr3_vgpr4
	s_waitcnt vmcnt(0)
	v_cmp_ngt_f64_e64 s5, |v[7:8]|, |v[117:118]|
	s_and_saveexec_b32 s67, s5
	s_xor_b32 s5, exec_lo, s67
	s_cbranch_execz .LBB117_15
; %bb.14:
	v_div_scale_f64 v[1:2], null, v[117:118], v[117:118], v[7:8]
	v_div_scale_f64 v[121:122], vcc_lo, v[7:8], v[117:118], v[7:8]
	v_rcp_f64_e32 v[3:4], v[1:2]
	v_fma_f64 v[5:6], -v[1:2], v[3:4], 1.0
	v_fma_f64 v[3:4], v[3:4], v[5:6], v[3:4]
	v_fma_f64 v[5:6], -v[1:2], v[3:4], 1.0
	v_fma_f64 v[3:4], v[3:4], v[5:6], v[3:4]
	v_mul_f64 v[5:6], v[121:122], v[3:4]
	v_fma_f64 v[1:2], -v[1:2], v[5:6], v[121:122]
	v_div_fmas_f64 v[1:2], v[1:2], v[3:4], v[5:6]
	v_div_fixup_f64 v[1:2], v[1:2], v[117:118], v[7:8]
	v_fma_f64 v[3:4], v[7:8], v[1:2], v[117:118]
	v_div_scale_f64 v[5:6], null, v[3:4], v[3:4], 1.0
	v_div_scale_f64 v[121:122], vcc_lo, 1.0, v[3:4], 1.0
	v_rcp_f64_e32 v[7:8], v[5:6]
	v_fma_f64 v[117:118], -v[5:6], v[7:8], 1.0
	v_fma_f64 v[7:8], v[7:8], v[117:118], v[7:8]
	v_fma_f64 v[117:118], -v[5:6], v[7:8], 1.0
	v_fma_f64 v[7:8], v[7:8], v[117:118], v[7:8]
	v_mul_f64 v[117:118], v[121:122], v[7:8]
	v_fma_f64 v[5:6], -v[5:6], v[117:118], v[121:122]
	v_div_fmas_f64 v[5:6], v[5:6], v[7:8], v[117:118]
                                        ; implicit-def: $vgpr7_vgpr8
                                        ; implicit-def: $vgpr117_vgpr118
	v_div_fixup_f64 v[3:4], v[5:6], v[3:4], 1.0
	v_mul_f64 v[5:6], v[1:2], v[3:4]
	v_xor_b32_e32 v4, 0x80000000, v4
	v_xor_b32_e32 v2, 0x80000000, v6
	v_mov_b32_e32 v1, v5
.LBB117_15:
	s_andn2_saveexec_b32 s5, s5
	s_cbranch_execz .LBB117_17
; %bb.16:
	v_div_scale_f64 v[1:2], null, v[7:8], v[7:8], v[117:118]
	v_div_scale_f64 v[121:122], vcc_lo, v[117:118], v[7:8], v[117:118]
	v_rcp_f64_e32 v[3:4], v[1:2]
	v_fma_f64 v[5:6], -v[1:2], v[3:4], 1.0
	v_fma_f64 v[3:4], v[3:4], v[5:6], v[3:4]
	v_fma_f64 v[5:6], -v[1:2], v[3:4], 1.0
	v_fma_f64 v[3:4], v[3:4], v[5:6], v[3:4]
	v_mul_f64 v[5:6], v[121:122], v[3:4]
	v_fma_f64 v[1:2], -v[1:2], v[5:6], v[121:122]
	v_div_fmas_f64 v[1:2], v[1:2], v[3:4], v[5:6]
	v_div_fixup_f64 v[1:2], v[1:2], v[7:8], v[117:118]
	v_fma_f64 v[3:4], v[117:118], v[1:2], v[7:8]
	v_div_scale_f64 v[5:6], null, v[3:4], v[3:4], 1.0
	v_rcp_f64_e32 v[7:8], v[5:6]
	v_fma_f64 v[117:118], -v[5:6], v[7:8], 1.0
	v_fma_f64 v[7:8], v[7:8], v[117:118], v[7:8]
	v_fma_f64 v[117:118], -v[5:6], v[7:8], 1.0
	v_fma_f64 v[7:8], v[7:8], v[117:118], v[7:8]
	v_div_scale_f64 v[117:118], vcc_lo, 1.0, v[3:4], 1.0
	v_mul_f64 v[121:122], v[117:118], v[7:8]
	v_fma_f64 v[5:6], -v[5:6], v[121:122], v[117:118]
	v_div_fmas_f64 v[5:6], v[5:6], v[7:8], v[121:122]
	v_div_fixup_f64 v[5:6], v[5:6], v[3:4], 1.0
	v_mul_f64 v[3:4], v[1:2], -v[5:6]
	v_xor_b32_e32 v2, 0x80000000, v6
	v_mov_b32_e32 v1, v5
.LBB117_17:
	s_or_b32 exec_lo, exec_lo, s5
	v_mov_b32_e32 v7, s65
	buffer_store_dword v6, v120, s[0:3], 0 offen offset:4
	buffer_store_dword v5, v120, s[0:3], 0 offen
	buffer_store_dword v4, v120, s[0:3], 0 offen offset:12
	buffer_store_dword v3, v120, s[0:3], 0 offen offset:8
	v_xor_b32_e32 v4, 0x80000000, v4
	v_add_nc_u32_e32 v5, 0x360, v119
	s_clause 0x3
	buffer_load_dword v124, v7, s[0:3], 0 offen offset:12
	buffer_load_dword v123, v7, s[0:3], 0 offen offset:8
	;; [unrolled: 1-line block ×3, first 2 shown]
	buffer_load_dword v121, v7, s[0:3], 0 offen
	ds_write_b128 v119, v[1:4]
	s_waitcnt vmcnt(0)
	ds_write_b128 v119, v[121:124] offset:864
	s_waitcnt lgkmcnt(0)
	s_waitcnt_vscnt null, 0x0
	s_barrier
	buffer_gl0_inv
	s_and_saveexec_b32 s5, s4
	s_cbranch_execz .LBB117_19
; %bb.18:
	s_clause 0x3
	buffer_load_dword v6, v120, s[0:3], 0 offen offset:8
	buffer_load_dword v7, v120, s[0:3], 0 offen offset:12
	buffer_load_dword v117, v120, s[0:3], 0 offen
	buffer_load_dword v118, v120, s[0:3], 0 offen offset:4
	ds_read_b128 v[1:4], v5
	v_mov_b32_e32 v8, 0
	ds_read_b128 v[121:124], v8 offset:16
	s_waitcnt vmcnt(2) lgkmcnt(1)
	v_mul_f64 v[125:126], v[1:2], v[6:7]
	v_mul_f64 v[6:7], v[3:4], v[6:7]
	s_waitcnt vmcnt(0)
	v_fma_f64 v[3:4], v[3:4], v[117:118], v[125:126]
	v_fma_f64 v[1:2], v[1:2], v[117:118], -v[6:7]
	v_add_f64 v[3:4], v[3:4], 0
	v_add_f64 v[1:2], v[1:2], 0
	s_waitcnt lgkmcnt(0)
	v_mul_f64 v[6:7], v[3:4], v[123:124]
	v_mul_f64 v[117:118], v[1:2], v[123:124]
	v_fma_f64 v[1:2], v[1:2], v[121:122], -v[6:7]
	v_fma_f64 v[3:4], v[3:4], v[121:122], v[117:118]
	buffer_store_dword v1, off, s[0:3], 0 offset:32
	buffer_store_dword v2, off, s[0:3], 0 offset:36
	;; [unrolled: 1-line block ×4, first 2 shown]
.LBB117_19:
	s_or_b32 exec_lo, exec_lo, s5
	v_mov_b32_e32 v4, s64
	s_waitcnt_vscnt null, 0x0
	s_barrier
	buffer_gl0_inv
	s_mov_b32 s5, exec_lo
	s_clause 0x3
	buffer_load_dword v1, v4, s[0:3], 0 offen
	buffer_load_dword v2, v4, s[0:3], 0 offen offset:4
	buffer_load_dword v3, v4, s[0:3], 0 offen offset:8
	;; [unrolled: 1-line block ×3, first 2 shown]
	s_waitcnt vmcnt(0)
	ds_write_b128 v5, v[1:4]
	s_waitcnt lgkmcnt(0)
	s_barrier
	buffer_gl0_inv
	v_cmpx_gt_u32_e32 2, v0
	s_cbranch_execz .LBB117_23
; %bb.20:
	s_clause 0x3
	buffer_load_dword v6, v120, s[0:3], 0 offen offset:8
	buffer_load_dword v7, v120, s[0:3], 0 offen offset:12
	buffer_load_dword v117, v120, s[0:3], 0 offen
	buffer_load_dword v118, v120, s[0:3], 0 offen offset:4
	ds_read_b128 v[1:4], v5
	s_waitcnt vmcnt(2) lgkmcnt(0)
	v_mul_f64 v[120:121], v[3:4], v[6:7]
	v_mul_f64 v[6:7], v[1:2], v[6:7]
	s_waitcnt vmcnt(0)
	v_fma_f64 v[1:2], v[1:2], v[117:118], -v[120:121]
	v_fma_f64 v[3:4], v[3:4], v[117:118], v[6:7]
	v_add_f64 v[1:2], v[1:2], 0
	v_add_f64 v[3:4], v[3:4], 0
	s_and_saveexec_b32 s67, s4
	s_cbranch_execz .LBB117_22
; %bb.21:
	s_clause 0x3
	buffer_load_dword v6, off, s[0:3], 0 offset:40
	buffer_load_dword v7, off, s[0:3], 0 offset:44
	;; [unrolled: 1-line block ×4, first 2 shown]
	v_mov_b32_e32 v8, 0
	ds_read_b128 v[120:123], v8 offset:880
	s_waitcnt vmcnt(2) lgkmcnt(0)
	v_mul_f64 v[124:125], v[120:121], v[6:7]
	v_mul_f64 v[6:7], v[122:123], v[6:7]
	s_waitcnt vmcnt(0)
	v_fma_f64 v[122:123], v[122:123], v[117:118], v[124:125]
	v_fma_f64 v[6:7], v[120:121], v[117:118], -v[6:7]
	v_add_f64 v[3:4], v[3:4], v[122:123]
	v_add_f64 v[1:2], v[1:2], v[6:7]
.LBB117_22:
	s_or_b32 exec_lo, exec_lo, s67
	v_mov_b32_e32 v6, 0
	ds_read_b128 v[120:123], v6 offset:32
	s_waitcnt lgkmcnt(0)
	v_mul_f64 v[6:7], v[3:4], v[122:123]
	v_mul_f64 v[117:118], v[1:2], v[122:123]
	v_fma_f64 v[1:2], v[1:2], v[120:121], -v[6:7]
	v_fma_f64 v[3:4], v[3:4], v[120:121], v[117:118]
	buffer_store_dword v2, off, s[0:3], 0 offset:52
	buffer_store_dword v1, off, s[0:3], 0 offset:48
	;; [unrolled: 1-line block ×4, first 2 shown]
.LBB117_23:
	s_or_b32 exec_lo, exec_lo, s5
	v_mov_b32_e32 v4, s63
	s_waitcnt_vscnt null, 0x0
	s_barrier
	buffer_gl0_inv
	v_add_nc_u32_e32 v6, -1, v0
	s_clause 0x3
	buffer_load_dword v1, v4, s[0:3], 0 offen
	buffer_load_dword v2, v4, s[0:3], 0 offen offset:4
	buffer_load_dword v3, v4, s[0:3], 0 offen offset:8
	;; [unrolled: 1-line block ×3, first 2 shown]
	s_mov_b32 s4, exec_lo
	s_waitcnt vmcnt(0)
	ds_write_b128 v5, v[1:4]
	s_waitcnt lgkmcnt(0)
	s_barrier
	buffer_gl0_inv
	v_cmpx_gt_u32_e32 3, v0
	s_cbranch_execz .LBB117_27
; %bb.24:
	v_mov_b32_e32 v1, 0
	v_mov_b32_e32 v3, 0
	v_add_nc_u32_e32 v7, -1, v0
	v_add_nc_u32_e32 v8, 0x360, v119
	v_mov_b32_e32 v2, 0
	v_mov_b32_e32 v4, 0
	v_add_nc_u32_e32 v117, 16, v119
	s_mov_b32 s5, 0
	.p2align	6
.LBB117_25:                             ; =>This Inner Loop Header: Depth=1
	s_clause 0x3
	buffer_load_dword v124, v117, s[0:3], 0 offen offset:8
	buffer_load_dword v125, v117, s[0:3], 0 offen offset:12
	buffer_load_dword v126, v117, s[0:3], 0 offen
	buffer_load_dword v127, v117, s[0:3], 0 offen offset:4
	ds_read_b128 v[120:123], v8
	v_add_nc_u32_e32 v7, 1, v7
	v_add_nc_u32_e32 v8, 16, v8
	;; [unrolled: 1-line block ×3, first 2 shown]
	v_cmp_lt_u32_e32 vcc_lo, 1, v7
	s_or_b32 s5, vcc_lo, s5
	s_waitcnt vmcnt(2) lgkmcnt(0)
	v_mul_f64 v[128:129], v[122:123], v[124:125]
	v_mul_f64 v[124:125], v[120:121], v[124:125]
	s_waitcnt vmcnt(0)
	v_fma_f64 v[120:121], v[120:121], v[126:127], -v[128:129]
	v_fma_f64 v[122:123], v[122:123], v[126:127], v[124:125]
	v_add_f64 v[3:4], v[3:4], v[120:121]
	v_add_f64 v[1:2], v[1:2], v[122:123]
	s_andn2_b32 exec_lo, exec_lo, s5
	s_cbranch_execnz .LBB117_25
; %bb.26:
	s_or_b32 exec_lo, exec_lo, s5
	v_mov_b32_e32 v7, 0
	ds_read_b128 v[120:123], v7 offset:48
	s_waitcnt lgkmcnt(0)
	v_mul_f64 v[7:8], v[1:2], v[122:123]
	v_mul_f64 v[117:118], v[3:4], v[122:123]
	v_fma_f64 v[3:4], v[3:4], v[120:121], -v[7:8]
	v_fma_f64 v[1:2], v[1:2], v[120:121], v[117:118]
	buffer_store_dword v4, off, s[0:3], 0 offset:68
	buffer_store_dword v3, off, s[0:3], 0 offset:64
	;; [unrolled: 1-line block ×4, first 2 shown]
.LBB117_27:
	s_or_b32 exec_lo, exec_lo, s4
	v_mov_b32_e32 v4, s62
	s_waitcnt_vscnt null, 0x0
	s_barrier
	buffer_gl0_inv
	s_mov_b32 s4, exec_lo
	s_clause 0x3
	buffer_load_dword v1, v4, s[0:3], 0 offen
	buffer_load_dword v2, v4, s[0:3], 0 offen offset:4
	buffer_load_dword v3, v4, s[0:3], 0 offen offset:8
	;; [unrolled: 1-line block ×3, first 2 shown]
	s_waitcnt vmcnt(0)
	ds_write_b128 v5, v[1:4]
	s_waitcnt lgkmcnt(0)
	s_barrier
	buffer_gl0_inv
	v_cmpx_gt_u32_e32 4, v0
	s_cbranch_execz .LBB117_31
; %bb.28:
	v_mov_b32_e32 v1, 0
	v_mov_b32_e32 v3, 0
	v_add_nc_u32_e32 v7, -1, v0
	v_add_nc_u32_e32 v8, 0x360, v119
	v_mov_b32_e32 v2, 0
	v_mov_b32_e32 v4, 0
	v_add_nc_u32_e32 v117, 16, v119
	s_mov_b32 s5, 0
	.p2align	6
.LBB117_29:                             ; =>This Inner Loop Header: Depth=1
	s_clause 0x3
	buffer_load_dword v124, v117, s[0:3], 0 offen offset:8
	buffer_load_dword v125, v117, s[0:3], 0 offen offset:12
	buffer_load_dword v126, v117, s[0:3], 0 offen
	buffer_load_dword v127, v117, s[0:3], 0 offen offset:4
	ds_read_b128 v[120:123], v8
	v_add_nc_u32_e32 v7, 1, v7
	v_add_nc_u32_e32 v8, 16, v8
	;; [unrolled: 1-line block ×3, first 2 shown]
	v_cmp_lt_u32_e32 vcc_lo, 2, v7
	s_or_b32 s5, vcc_lo, s5
	s_waitcnt vmcnt(2) lgkmcnt(0)
	v_mul_f64 v[128:129], v[122:123], v[124:125]
	v_mul_f64 v[124:125], v[120:121], v[124:125]
	s_waitcnt vmcnt(0)
	v_fma_f64 v[120:121], v[120:121], v[126:127], -v[128:129]
	v_fma_f64 v[122:123], v[122:123], v[126:127], v[124:125]
	v_add_f64 v[3:4], v[3:4], v[120:121]
	v_add_f64 v[1:2], v[1:2], v[122:123]
	s_andn2_b32 exec_lo, exec_lo, s5
	s_cbranch_execnz .LBB117_29
; %bb.30:
	s_or_b32 exec_lo, exec_lo, s5
	v_mov_b32_e32 v7, 0
	ds_read_b128 v[120:123], v7 offset:64
	s_waitcnt lgkmcnt(0)
	v_mul_f64 v[7:8], v[1:2], v[122:123]
	v_mul_f64 v[117:118], v[3:4], v[122:123]
	v_fma_f64 v[3:4], v[3:4], v[120:121], -v[7:8]
	v_fma_f64 v[1:2], v[1:2], v[120:121], v[117:118]
	buffer_store_dword v4, off, s[0:3], 0 offset:84
	buffer_store_dword v3, off, s[0:3], 0 offset:80
	;; [unrolled: 1-line block ×4, first 2 shown]
.LBB117_31:
	s_or_b32 exec_lo, exec_lo, s4
	v_mov_b32_e32 v4, s61
	s_waitcnt_vscnt null, 0x0
	s_barrier
	buffer_gl0_inv
	s_mov_b32 s4, exec_lo
	s_clause 0x3
	buffer_load_dword v1, v4, s[0:3], 0 offen
	buffer_load_dword v2, v4, s[0:3], 0 offen offset:4
	buffer_load_dword v3, v4, s[0:3], 0 offen offset:8
	;; [unrolled: 1-line block ×3, first 2 shown]
	s_waitcnt vmcnt(0)
	ds_write_b128 v5, v[1:4]
	s_waitcnt lgkmcnt(0)
	s_barrier
	buffer_gl0_inv
	v_cmpx_gt_u32_e32 5, v0
	s_cbranch_execz .LBB117_35
; %bb.32:
	v_mov_b32_e32 v1, 0
	v_mov_b32_e32 v3, 0
	v_add_nc_u32_e32 v7, -1, v0
	v_add_nc_u32_e32 v8, 0x360, v119
	v_mov_b32_e32 v2, 0
	v_mov_b32_e32 v4, 0
	v_add_nc_u32_e32 v117, 16, v119
	s_mov_b32 s5, 0
	.p2align	6
.LBB117_33:                             ; =>This Inner Loop Header: Depth=1
	s_clause 0x3
	buffer_load_dword v124, v117, s[0:3], 0 offen offset:8
	buffer_load_dword v125, v117, s[0:3], 0 offen offset:12
	buffer_load_dword v126, v117, s[0:3], 0 offen
	buffer_load_dword v127, v117, s[0:3], 0 offen offset:4
	ds_read_b128 v[120:123], v8
	v_add_nc_u32_e32 v7, 1, v7
	v_add_nc_u32_e32 v8, 16, v8
	v_add_nc_u32_e32 v117, 16, v117
	v_cmp_lt_u32_e32 vcc_lo, 3, v7
	s_or_b32 s5, vcc_lo, s5
	s_waitcnt vmcnt(2) lgkmcnt(0)
	v_mul_f64 v[128:129], v[122:123], v[124:125]
	v_mul_f64 v[124:125], v[120:121], v[124:125]
	s_waitcnt vmcnt(0)
	v_fma_f64 v[120:121], v[120:121], v[126:127], -v[128:129]
	v_fma_f64 v[122:123], v[122:123], v[126:127], v[124:125]
	v_add_f64 v[3:4], v[3:4], v[120:121]
	v_add_f64 v[1:2], v[1:2], v[122:123]
	s_andn2_b32 exec_lo, exec_lo, s5
	s_cbranch_execnz .LBB117_33
; %bb.34:
	s_or_b32 exec_lo, exec_lo, s5
	v_mov_b32_e32 v7, 0
	ds_read_b128 v[120:123], v7 offset:80
	s_waitcnt lgkmcnt(0)
	v_mul_f64 v[7:8], v[1:2], v[122:123]
	v_mul_f64 v[117:118], v[3:4], v[122:123]
	v_fma_f64 v[3:4], v[3:4], v[120:121], -v[7:8]
	v_fma_f64 v[1:2], v[1:2], v[120:121], v[117:118]
	buffer_store_dword v4, off, s[0:3], 0 offset:100
	buffer_store_dword v3, off, s[0:3], 0 offset:96
	;; [unrolled: 1-line block ×4, first 2 shown]
.LBB117_35:
	s_or_b32 exec_lo, exec_lo, s4
	v_mov_b32_e32 v4, s60
	s_waitcnt_vscnt null, 0x0
	s_barrier
	buffer_gl0_inv
	s_mov_b32 s4, exec_lo
	s_clause 0x3
	buffer_load_dword v1, v4, s[0:3], 0 offen
	buffer_load_dword v2, v4, s[0:3], 0 offen offset:4
	buffer_load_dword v3, v4, s[0:3], 0 offen offset:8
	;; [unrolled: 1-line block ×3, first 2 shown]
	s_waitcnt vmcnt(0)
	ds_write_b128 v5, v[1:4]
	s_waitcnt lgkmcnt(0)
	s_barrier
	buffer_gl0_inv
	v_cmpx_gt_u32_e32 6, v0
	s_cbranch_execz .LBB117_39
; %bb.36:
	v_mov_b32_e32 v1, 0
	v_mov_b32_e32 v3, 0
	v_add_nc_u32_e32 v7, -1, v0
	v_add_nc_u32_e32 v8, 0x360, v119
	v_mov_b32_e32 v2, 0
	v_mov_b32_e32 v4, 0
	v_add_nc_u32_e32 v117, 16, v119
	s_mov_b32 s5, 0
	.p2align	6
.LBB117_37:                             ; =>This Inner Loop Header: Depth=1
	s_clause 0x3
	buffer_load_dword v124, v117, s[0:3], 0 offen offset:8
	buffer_load_dword v125, v117, s[0:3], 0 offen offset:12
	buffer_load_dword v126, v117, s[0:3], 0 offen
	buffer_load_dword v127, v117, s[0:3], 0 offen offset:4
	ds_read_b128 v[120:123], v8
	v_add_nc_u32_e32 v7, 1, v7
	v_add_nc_u32_e32 v8, 16, v8
	v_add_nc_u32_e32 v117, 16, v117
	v_cmp_lt_u32_e32 vcc_lo, 4, v7
	s_or_b32 s5, vcc_lo, s5
	s_waitcnt vmcnt(2) lgkmcnt(0)
	v_mul_f64 v[128:129], v[122:123], v[124:125]
	v_mul_f64 v[124:125], v[120:121], v[124:125]
	s_waitcnt vmcnt(0)
	v_fma_f64 v[120:121], v[120:121], v[126:127], -v[128:129]
	v_fma_f64 v[122:123], v[122:123], v[126:127], v[124:125]
	v_add_f64 v[3:4], v[3:4], v[120:121]
	v_add_f64 v[1:2], v[1:2], v[122:123]
	s_andn2_b32 exec_lo, exec_lo, s5
	s_cbranch_execnz .LBB117_37
; %bb.38:
	s_or_b32 exec_lo, exec_lo, s5
	v_mov_b32_e32 v7, 0
	ds_read_b128 v[120:123], v7 offset:96
	s_waitcnt lgkmcnt(0)
	v_mul_f64 v[7:8], v[1:2], v[122:123]
	v_mul_f64 v[117:118], v[3:4], v[122:123]
	v_fma_f64 v[3:4], v[3:4], v[120:121], -v[7:8]
	v_fma_f64 v[1:2], v[1:2], v[120:121], v[117:118]
	buffer_store_dword v4, off, s[0:3], 0 offset:116
	buffer_store_dword v3, off, s[0:3], 0 offset:112
	;; [unrolled: 1-line block ×4, first 2 shown]
.LBB117_39:
	s_or_b32 exec_lo, exec_lo, s4
	v_mov_b32_e32 v4, s59
	s_waitcnt_vscnt null, 0x0
	s_barrier
	buffer_gl0_inv
	s_mov_b32 s4, exec_lo
	s_clause 0x3
	buffer_load_dword v1, v4, s[0:3], 0 offen
	buffer_load_dword v2, v4, s[0:3], 0 offen offset:4
	buffer_load_dword v3, v4, s[0:3], 0 offen offset:8
	buffer_load_dword v4, v4, s[0:3], 0 offen offset:12
	s_waitcnt vmcnt(0)
	ds_write_b128 v5, v[1:4]
	s_waitcnt lgkmcnt(0)
	s_barrier
	buffer_gl0_inv
	v_cmpx_gt_u32_e32 7, v0
	s_cbranch_execz .LBB117_43
; %bb.40:
	v_mov_b32_e32 v1, 0
	v_mov_b32_e32 v3, 0
	v_add_nc_u32_e32 v7, -1, v0
	v_add_nc_u32_e32 v8, 0x360, v119
	v_mov_b32_e32 v2, 0
	v_mov_b32_e32 v4, 0
	v_add_nc_u32_e32 v117, 16, v119
	s_mov_b32 s5, 0
	.p2align	6
.LBB117_41:                             ; =>This Inner Loop Header: Depth=1
	s_clause 0x3
	buffer_load_dword v124, v117, s[0:3], 0 offen offset:8
	buffer_load_dword v125, v117, s[0:3], 0 offen offset:12
	buffer_load_dword v126, v117, s[0:3], 0 offen
	buffer_load_dword v127, v117, s[0:3], 0 offen offset:4
	ds_read_b128 v[120:123], v8
	v_add_nc_u32_e32 v7, 1, v7
	v_add_nc_u32_e32 v8, 16, v8
	v_add_nc_u32_e32 v117, 16, v117
	v_cmp_lt_u32_e32 vcc_lo, 5, v7
	s_or_b32 s5, vcc_lo, s5
	s_waitcnt vmcnt(2) lgkmcnt(0)
	v_mul_f64 v[128:129], v[122:123], v[124:125]
	v_mul_f64 v[124:125], v[120:121], v[124:125]
	s_waitcnt vmcnt(0)
	v_fma_f64 v[120:121], v[120:121], v[126:127], -v[128:129]
	v_fma_f64 v[122:123], v[122:123], v[126:127], v[124:125]
	v_add_f64 v[3:4], v[3:4], v[120:121]
	v_add_f64 v[1:2], v[1:2], v[122:123]
	s_andn2_b32 exec_lo, exec_lo, s5
	s_cbranch_execnz .LBB117_41
; %bb.42:
	s_or_b32 exec_lo, exec_lo, s5
	v_mov_b32_e32 v7, 0
	ds_read_b128 v[120:123], v7 offset:112
	s_waitcnt lgkmcnt(0)
	v_mul_f64 v[7:8], v[1:2], v[122:123]
	v_mul_f64 v[117:118], v[3:4], v[122:123]
	v_fma_f64 v[3:4], v[3:4], v[120:121], -v[7:8]
	v_fma_f64 v[1:2], v[1:2], v[120:121], v[117:118]
	buffer_store_dword v4, off, s[0:3], 0 offset:132
	buffer_store_dword v3, off, s[0:3], 0 offset:128
	;; [unrolled: 1-line block ×4, first 2 shown]
.LBB117_43:
	s_or_b32 exec_lo, exec_lo, s4
	v_mov_b32_e32 v4, s58
	s_waitcnt_vscnt null, 0x0
	s_barrier
	buffer_gl0_inv
	s_mov_b32 s4, exec_lo
	s_clause 0x3
	buffer_load_dword v1, v4, s[0:3], 0 offen
	buffer_load_dword v2, v4, s[0:3], 0 offen offset:4
	buffer_load_dword v3, v4, s[0:3], 0 offen offset:8
	;; [unrolled: 1-line block ×3, first 2 shown]
	s_waitcnt vmcnt(0)
	ds_write_b128 v5, v[1:4]
	s_waitcnt lgkmcnt(0)
	s_barrier
	buffer_gl0_inv
	v_cmpx_gt_u32_e32 8, v0
	s_cbranch_execz .LBB117_47
; %bb.44:
	v_mov_b32_e32 v1, 0
	v_mov_b32_e32 v3, 0
	v_add_nc_u32_e32 v7, -1, v0
	v_add_nc_u32_e32 v8, 0x360, v119
	v_mov_b32_e32 v2, 0
	v_mov_b32_e32 v4, 0
	v_add_nc_u32_e32 v117, 16, v119
	s_mov_b32 s5, 0
	.p2align	6
.LBB117_45:                             ; =>This Inner Loop Header: Depth=1
	s_clause 0x3
	buffer_load_dword v124, v117, s[0:3], 0 offen offset:8
	buffer_load_dword v125, v117, s[0:3], 0 offen offset:12
	buffer_load_dword v126, v117, s[0:3], 0 offen
	buffer_load_dword v127, v117, s[0:3], 0 offen offset:4
	ds_read_b128 v[120:123], v8
	v_add_nc_u32_e32 v7, 1, v7
	v_add_nc_u32_e32 v8, 16, v8
	v_add_nc_u32_e32 v117, 16, v117
	v_cmp_lt_u32_e32 vcc_lo, 6, v7
	s_or_b32 s5, vcc_lo, s5
	s_waitcnt vmcnt(2) lgkmcnt(0)
	v_mul_f64 v[128:129], v[122:123], v[124:125]
	v_mul_f64 v[124:125], v[120:121], v[124:125]
	s_waitcnt vmcnt(0)
	v_fma_f64 v[120:121], v[120:121], v[126:127], -v[128:129]
	v_fma_f64 v[122:123], v[122:123], v[126:127], v[124:125]
	v_add_f64 v[3:4], v[3:4], v[120:121]
	v_add_f64 v[1:2], v[1:2], v[122:123]
	s_andn2_b32 exec_lo, exec_lo, s5
	s_cbranch_execnz .LBB117_45
; %bb.46:
	s_or_b32 exec_lo, exec_lo, s5
	v_mov_b32_e32 v7, 0
	ds_read_b128 v[120:123], v7 offset:128
	s_waitcnt lgkmcnt(0)
	v_mul_f64 v[7:8], v[1:2], v[122:123]
	v_mul_f64 v[117:118], v[3:4], v[122:123]
	v_fma_f64 v[3:4], v[3:4], v[120:121], -v[7:8]
	v_fma_f64 v[1:2], v[1:2], v[120:121], v[117:118]
	buffer_store_dword v4, off, s[0:3], 0 offset:148
	buffer_store_dword v3, off, s[0:3], 0 offset:144
	buffer_store_dword v2, off, s[0:3], 0 offset:156
	buffer_store_dword v1, off, s[0:3], 0 offset:152
.LBB117_47:
	s_or_b32 exec_lo, exec_lo, s4
	v_mov_b32_e32 v4, s57
	s_waitcnt_vscnt null, 0x0
	s_barrier
	buffer_gl0_inv
	s_mov_b32 s4, exec_lo
	s_clause 0x3
	buffer_load_dword v1, v4, s[0:3], 0 offen
	buffer_load_dword v2, v4, s[0:3], 0 offen offset:4
	buffer_load_dword v3, v4, s[0:3], 0 offen offset:8
	;; [unrolled: 1-line block ×3, first 2 shown]
	s_waitcnt vmcnt(0)
	ds_write_b128 v5, v[1:4]
	s_waitcnt lgkmcnt(0)
	s_barrier
	buffer_gl0_inv
	v_cmpx_gt_u32_e32 9, v0
	s_cbranch_execz .LBB117_51
; %bb.48:
	v_mov_b32_e32 v1, 0
	v_mov_b32_e32 v3, 0
	v_add_nc_u32_e32 v7, -1, v0
	v_add_nc_u32_e32 v8, 0x360, v119
	v_mov_b32_e32 v2, 0
	v_mov_b32_e32 v4, 0
	v_add_nc_u32_e32 v117, 16, v119
	s_mov_b32 s5, 0
	.p2align	6
.LBB117_49:                             ; =>This Inner Loop Header: Depth=1
	s_clause 0x3
	buffer_load_dword v124, v117, s[0:3], 0 offen offset:8
	buffer_load_dword v125, v117, s[0:3], 0 offen offset:12
	buffer_load_dword v126, v117, s[0:3], 0 offen
	buffer_load_dword v127, v117, s[0:3], 0 offen offset:4
	ds_read_b128 v[120:123], v8
	v_add_nc_u32_e32 v7, 1, v7
	v_add_nc_u32_e32 v8, 16, v8
	;; [unrolled: 1-line block ×3, first 2 shown]
	v_cmp_lt_u32_e32 vcc_lo, 7, v7
	s_or_b32 s5, vcc_lo, s5
	s_waitcnt vmcnt(2) lgkmcnt(0)
	v_mul_f64 v[128:129], v[122:123], v[124:125]
	v_mul_f64 v[124:125], v[120:121], v[124:125]
	s_waitcnt vmcnt(0)
	v_fma_f64 v[120:121], v[120:121], v[126:127], -v[128:129]
	v_fma_f64 v[122:123], v[122:123], v[126:127], v[124:125]
	v_add_f64 v[3:4], v[3:4], v[120:121]
	v_add_f64 v[1:2], v[1:2], v[122:123]
	s_andn2_b32 exec_lo, exec_lo, s5
	s_cbranch_execnz .LBB117_49
; %bb.50:
	s_or_b32 exec_lo, exec_lo, s5
	v_mov_b32_e32 v7, 0
	ds_read_b128 v[120:123], v7 offset:144
	s_waitcnt lgkmcnt(0)
	v_mul_f64 v[7:8], v[1:2], v[122:123]
	v_mul_f64 v[117:118], v[3:4], v[122:123]
	v_fma_f64 v[3:4], v[3:4], v[120:121], -v[7:8]
	v_fma_f64 v[1:2], v[1:2], v[120:121], v[117:118]
	buffer_store_dword v4, off, s[0:3], 0 offset:164
	buffer_store_dword v3, off, s[0:3], 0 offset:160
	;; [unrolled: 1-line block ×4, first 2 shown]
.LBB117_51:
	s_or_b32 exec_lo, exec_lo, s4
	v_mov_b32_e32 v4, s56
	s_waitcnt_vscnt null, 0x0
	s_barrier
	buffer_gl0_inv
	s_mov_b32 s4, exec_lo
	s_clause 0x3
	buffer_load_dword v1, v4, s[0:3], 0 offen
	buffer_load_dword v2, v4, s[0:3], 0 offen offset:4
	buffer_load_dword v3, v4, s[0:3], 0 offen offset:8
	;; [unrolled: 1-line block ×3, first 2 shown]
	s_waitcnt vmcnt(0)
	ds_write_b128 v5, v[1:4]
	s_waitcnt lgkmcnt(0)
	s_barrier
	buffer_gl0_inv
	v_cmpx_gt_u32_e32 10, v0
	s_cbranch_execz .LBB117_55
; %bb.52:
	v_mov_b32_e32 v1, 0
	v_mov_b32_e32 v3, 0
	v_add_nc_u32_e32 v7, -1, v0
	v_add_nc_u32_e32 v8, 0x360, v119
	v_mov_b32_e32 v2, 0
	v_mov_b32_e32 v4, 0
	v_add_nc_u32_e32 v117, 16, v119
	s_mov_b32 s5, 0
	.p2align	6
.LBB117_53:                             ; =>This Inner Loop Header: Depth=1
	s_clause 0x3
	buffer_load_dword v124, v117, s[0:3], 0 offen offset:8
	buffer_load_dword v125, v117, s[0:3], 0 offen offset:12
	buffer_load_dword v126, v117, s[0:3], 0 offen
	buffer_load_dword v127, v117, s[0:3], 0 offen offset:4
	ds_read_b128 v[120:123], v8
	v_add_nc_u32_e32 v7, 1, v7
	v_add_nc_u32_e32 v8, 16, v8
	;; [unrolled: 1-line block ×3, first 2 shown]
	v_cmp_lt_u32_e32 vcc_lo, 8, v7
	s_or_b32 s5, vcc_lo, s5
	s_waitcnt vmcnt(2) lgkmcnt(0)
	v_mul_f64 v[128:129], v[122:123], v[124:125]
	v_mul_f64 v[124:125], v[120:121], v[124:125]
	s_waitcnt vmcnt(0)
	v_fma_f64 v[120:121], v[120:121], v[126:127], -v[128:129]
	v_fma_f64 v[122:123], v[122:123], v[126:127], v[124:125]
	v_add_f64 v[3:4], v[3:4], v[120:121]
	v_add_f64 v[1:2], v[1:2], v[122:123]
	s_andn2_b32 exec_lo, exec_lo, s5
	s_cbranch_execnz .LBB117_53
; %bb.54:
	s_or_b32 exec_lo, exec_lo, s5
	v_mov_b32_e32 v7, 0
	ds_read_b128 v[120:123], v7 offset:160
	s_waitcnt lgkmcnt(0)
	v_mul_f64 v[7:8], v[1:2], v[122:123]
	v_mul_f64 v[117:118], v[3:4], v[122:123]
	v_fma_f64 v[3:4], v[3:4], v[120:121], -v[7:8]
	v_fma_f64 v[1:2], v[1:2], v[120:121], v[117:118]
	buffer_store_dword v4, off, s[0:3], 0 offset:180
	buffer_store_dword v3, off, s[0:3], 0 offset:176
	;; [unrolled: 1-line block ×4, first 2 shown]
.LBB117_55:
	s_or_b32 exec_lo, exec_lo, s4
	v_mov_b32_e32 v4, s55
	s_waitcnt_vscnt null, 0x0
	s_barrier
	buffer_gl0_inv
	s_mov_b32 s4, exec_lo
	s_clause 0x3
	buffer_load_dword v1, v4, s[0:3], 0 offen
	buffer_load_dword v2, v4, s[0:3], 0 offen offset:4
	buffer_load_dword v3, v4, s[0:3], 0 offen offset:8
	;; [unrolled: 1-line block ×3, first 2 shown]
	s_waitcnt vmcnt(0)
	ds_write_b128 v5, v[1:4]
	s_waitcnt lgkmcnt(0)
	s_barrier
	buffer_gl0_inv
	v_cmpx_gt_u32_e32 11, v0
	s_cbranch_execz .LBB117_59
; %bb.56:
	v_mov_b32_e32 v1, 0
	v_mov_b32_e32 v3, 0
	v_add_nc_u32_e32 v7, -1, v0
	v_add_nc_u32_e32 v8, 0x360, v119
	v_mov_b32_e32 v2, 0
	v_mov_b32_e32 v4, 0
	v_add_nc_u32_e32 v117, 16, v119
	s_mov_b32 s5, 0
	.p2align	6
.LBB117_57:                             ; =>This Inner Loop Header: Depth=1
	s_clause 0x3
	buffer_load_dword v124, v117, s[0:3], 0 offen offset:8
	buffer_load_dword v125, v117, s[0:3], 0 offen offset:12
	buffer_load_dword v126, v117, s[0:3], 0 offen
	buffer_load_dword v127, v117, s[0:3], 0 offen offset:4
	ds_read_b128 v[120:123], v8
	v_add_nc_u32_e32 v7, 1, v7
	v_add_nc_u32_e32 v8, 16, v8
	;; [unrolled: 1-line block ×3, first 2 shown]
	v_cmp_lt_u32_e32 vcc_lo, 9, v7
	s_or_b32 s5, vcc_lo, s5
	s_waitcnt vmcnt(2) lgkmcnt(0)
	v_mul_f64 v[128:129], v[122:123], v[124:125]
	v_mul_f64 v[124:125], v[120:121], v[124:125]
	s_waitcnt vmcnt(0)
	v_fma_f64 v[120:121], v[120:121], v[126:127], -v[128:129]
	v_fma_f64 v[122:123], v[122:123], v[126:127], v[124:125]
	v_add_f64 v[3:4], v[3:4], v[120:121]
	v_add_f64 v[1:2], v[1:2], v[122:123]
	s_andn2_b32 exec_lo, exec_lo, s5
	s_cbranch_execnz .LBB117_57
; %bb.58:
	s_or_b32 exec_lo, exec_lo, s5
	v_mov_b32_e32 v7, 0
	ds_read_b128 v[120:123], v7 offset:176
	s_waitcnt lgkmcnt(0)
	v_mul_f64 v[7:8], v[1:2], v[122:123]
	v_mul_f64 v[117:118], v[3:4], v[122:123]
	v_fma_f64 v[3:4], v[3:4], v[120:121], -v[7:8]
	v_fma_f64 v[1:2], v[1:2], v[120:121], v[117:118]
	buffer_store_dword v4, off, s[0:3], 0 offset:196
	buffer_store_dword v3, off, s[0:3], 0 offset:192
	;; [unrolled: 1-line block ×4, first 2 shown]
.LBB117_59:
	s_or_b32 exec_lo, exec_lo, s4
	v_mov_b32_e32 v4, s54
	s_waitcnt_vscnt null, 0x0
	s_barrier
	buffer_gl0_inv
	s_mov_b32 s4, exec_lo
	s_clause 0x3
	buffer_load_dword v1, v4, s[0:3], 0 offen
	buffer_load_dword v2, v4, s[0:3], 0 offen offset:4
	buffer_load_dword v3, v4, s[0:3], 0 offen offset:8
	;; [unrolled: 1-line block ×3, first 2 shown]
	s_waitcnt vmcnt(0)
	ds_write_b128 v5, v[1:4]
	s_waitcnt lgkmcnt(0)
	s_barrier
	buffer_gl0_inv
	v_cmpx_gt_u32_e32 12, v0
	s_cbranch_execz .LBB117_63
; %bb.60:
	v_mov_b32_e32 v1, 0
	v_mov_b32_e32 v3, 0
	v_add_nc_u32_e32 v7, -1, v0
	v_add_nc_u32_e32 v8, 0x360, v119
	v_mov_b32_e32 v2, 0
	v_mov_b32_e32 v4, 0
	v_add_nc_u32_e32 v117, 16, v119
	s_mov_b32 s5, 0
	.p2align	6
.LBB117_61:                             ; =>This Inner Loop Header: Depth=1
	s_clause 0x3
	buffer_load_dword v124, v117, s[0:3], 0 offen offset:8
	buffer_load_dword v125, v117, s[0:3], 0 offen offset:12
	buffer_load_dword v126, v117, s[0:3], 0 offen
	buffer_load_dword v127, v117, s[0:3], 0 offen offset:4
	ds_read_b128 v[120:123], v8
	v_add_nc_u32_e32 v7, 1, v7
	v_add_nc_u32_e32 v8, 16, v8
	;; [unrolled: 1-line block ×3, first 2 shown]
	v_cmp_lt_u32_e32 vcc_lo, 10, v7
	s_or_b32 s5, vcc_lo, s5
	s_waitcnt vmcnt(2) lgkmcnt(0)
	v_mul_f64 v[128:129], v[122:123], v[124:125]
	v_mul_f64 v[124:125], v[120:121], v[124:125]
	s_waitcnt vmcnt(0)
	v_fma_f64 v[120:121], v[120:121], v[126:127], -v[128:129]
	v_fma_f64 v[122:123], v[122:123], v[126:127], v[124:125]
	v_add_f64 v[3:4], v[3:4], v[120:121]
	v_add_f64 v[1:2], v[1:2], v[122:123]
	s_andn2_b32 exec_lo, exec_lo, s5
	s_cbranch_execnz .LBB117_61
; %bb.62:
	s_or_b32 exec_lo, exec_lo, s5
	v_mov_b32_e32 v7, 0
	ds_read_b128 v[120:123], v7 offset:192
	s_waitcnt lgkmcnt(0)
	v_mul_f64 v[7:8], v[1:2], v[122:123]
	v_mul_f64 v[117:118], v[3:4], v[122:123]
	v_fma_f64 v[3:4], v[3:4], v[120:121], -v[7:8]
	v_fma_f64 v[1:2], v[1:2], v[120:121], v[117:118]
	buffer_store_dword v4, off, s[0:3], 0 offset:212
	buffer_store_dword v3, off, s[0:3], 0 offset:208
	;; [unrolled: 1-line block ×4, first 2 shown]
.LBB117_63:
	s_or_b32 exec_lo, exec_lo, s4
	v_mov_b32_e32 v4, s53
	s_waitcnt_vscnt null, 0x0
	s_barrier
	buffer_gl0_inv
	s_mov_b32 s4, exec_lo
	s_clause 0x3
	buffer_load_dword v1, v4, s[0:3], 0 offen
	buffer_load_dword v2, v4, s[0:3], 0 offen offset:4
	buffer_load_dword v3, v4, s[0:3], 0 offen offset:8
	;; [unrolled: 1-line block ×3, first 2 shown]
	s_waitcnt vmcnt(0)
	ds_write_b128 v5, v[1:4]
	s_waitcnt lgkmcnt(0)
	s_barrier
	buffer_gl0_inv
	v_cmpx_gt_u32_e32 13, v0
	s_cbranch_execz .LBB117_67
; %bb.64:
	v_mov_b32_e32 v1, 0
	v_mov_b32_e32 v3, 0
	v_add_nc_u32_e32 v7, -1, v0
	v_add_nc_u32_e32 v8, 0x360, v119
	v_mov_b32_e32 v2, 0
	v_mov_b32_e32 v4, 0
	v_add_nc_u32_e32 v117, 16, v119
	s_mov_b32 s5, 0
	.p2align	6
.LBB117_65:                             ; =>This Inner Loop Header: Depth=1
	s_clause 0x3
	buffer_load_dword v124, v117, s[0:3], 0 offen offset:8
	buffer_load_dword v125, v117, s[0:3], 0 offen offset:12
	buffer_load_dword v126, v117, s[0:3], 0 offen
	buffer_load_dword v127, v117, s[0:3], 0 offen offset:4
	ds_read_b128 v[120:123], v8
	v_add_nc_u32_e32 v7, 1, v7
	v_add_nc_u32_e32 v8, 16, v8
	;; [unrolled: 1-line block ×3, first 2 shown]
	v_cmp_lt_u32_e32 vcc_lo, 11, v7
	s_or_b32 s5, vcc_lo, s5
	s_waitcnt vmcnt(2) lgkmcnt(0)
	v_mul_f64 v[128:129], v[122:123], v[124:125]
	v_mul_f64 v[124:125], v[120:121], v[124:125]
	s_waitcnt vmcnt(0)
	v_fma_f64 v[120:121], v[120:121], v[126:127], -v[128:129]
	v_fma_f64 v[122:123], v[122:123], v[126:127], v[124:125]
	v_add_f64 v[3:4], v[3:4], v[120:121]
	v_add_f64 v[1:2], v[1:2], v[122:123]
	s_andn2_b32 exec_lo, exec_lo, s5
	s_cbranch_execnz .LBB117_65
; %bb.66:
	s_or_b32 exec_lo, exec_lo, s5
	v_mov_b32_e32 v7, 0
	ds_read_b128 v[120:123], v7 offset:208
	s_waitcnt lgkmcnt(0)
	v_mul_f64 v[7:8], v[1:2], v[122:123]
	v_mul_f64 v[117:118], v[3:4], v[122:123]
	v_fma_f64 v[3:4], v[3:4], v[120:121], -v[7:8]
	v_fma_f64 v[1:2], v[1:2], v[120:121], v[117:118]
	buffer_store_dword v4, off, s[0:3], 0 offset:228
	buffer_store_dword v3, off, s[0:3], 0 offset:224
	;; [unrolled: 1-line block ×4, first 2 shown]
.LBB117_67:
	s_or_b32 exec_lo, exec_lo, s4
	v_mov_b32_e32 v4, s52
	s_waitcnt_vscnt null, 0x0
	s_barrier
	buffer_gl0_inv
	s_mov_b32 s4, exec_lo
	s_clause 0x3
	buffer_load_dword v1, v4, s[0:3], 0 offen
	buffer_load_dword v2, v4, s[0:3], 0 offen offset:4
	buffer_load_dword v3, v4, s[0:3], 0 offen offset:8
	;; [unrolled: 1-line block ×3, first 2 shown]
	s_waitcnt vmcnt(0)
	ds_write_b128 v5, v[1:4]
	s_waitcnt lgkmcnt(0)
	s_barrier
	buffer_gl0_inv
	v_cmpx_gt_u32_e32 14, v0
	s_cbranch_execz .LBB117_71
; %bb.68:
	v_mov_b32_e32 v1, 0
	v_mov_b32_e32 v3, 0
	v_add_nc_u32_e32 v7, -1, v0
	v_add_nc_u32_e32 v8, 0x360, v119
	v_mov_b32_e32 v2, 0
	v_mov_b32_e32 v4, 0
	v_add_nc_u32_e32 v117, 16, v119
	s_mov_b32 s5, 0
	.p2align	6
.LBB117_69:                             ; =>This Inner Loop Header: Depth=1
	s_clause 0x3
	buffer_load_dword v124, v117, s[0:3], 0 offen offset:8
	buffer_load_dword v125, v117, s[0:3], 0 offen offset:12
	buffer_load_dword v126, v117, s[0:3], 0 offen
	buffer_load_dword v127, v117, s[0:3], 0 offen offset:4
	ds_read_b128 v[120:123], v8
	v_add_nc_u32_e32 v7, 1, v7
	v_add_nc_u32_e32 v8, 16, v8
	;; [unrolled: 1-line block ×3, first 2 shown]
	v_cmp_lt_u32_e32 vcc_lo, 12, v7
	s_or_b32 s5, vcc_lo, s5
	s_waitcnt vmcnt(2) lgkmcnt(0)
	v_mul_f64 v[128:129], v[122:123], v[124:125]
	v_mul_f64 v[124:125], v[120:121], v[124:125]
	s_waitcnt vmcnt(0)
	v_fma_f64 v[120:121], v[120:121], v[126:127], -v[128:129]
	v_fma_f64 v[122:123], v[122:123], v[126:127], v[124:125]
	v_add_f64 v[3:4], v[3:4], v[120:121]
	v_add_f64 v[1:2], v[1:2], v[122:123]
	s_andn2_b32 exec_lo, exec_lo, s5
	s_cbranch_execnz .LBB117_69
; %bb.70:
	s_or_b32 exec_lo, exec_lo, s5
	v_mov_b32_e32 v7, 0
	ds_read_b128 v[120:123], v7 offset:224
	s_waitcnt lgkmcnt(0)
	v_mul_f64 v[7:8], v[1:2], v[122:123]
	v_mul_f64 v[117:118], v[3:4], v[122:123]
	v_fma_f64 v[3:4], v[3:4], v[120:121], -v[7:8]
	v_fma_f64 v[1:2], v[1:2], v[120:121], v[117:118]
	buffer_store_dword v4, off, s[0:3], 0 offset:244
	buffer_store_dword v3, off, s[0:3], 0 offset:240
	;; [unrolled: 1-line block ×4, first 2 shown]
.LBB117_71:
	s_or_b32 exec_lo, exec_lo, s4
	v_mov_b32_e32 v4, s51
	s_waitcnt_vscnt null, 0x0
	s_barrier
	buffer_gl0_inv
	s_mov_b32 s4, exec_lo
	s_clause 0x3
	buffer_load_dword v1, v4, s[0:3], 0 offen
	buffer_load_dword v2, v4, s[0:3], 0 offen offset:4
	buffer_load_dword v3, v4, s[0:3], 0 offen offset:8
	;; [unrolled: 1-line block ×3, first 2 shown]
	s_waitcnt vmcnt(0)
	ds_write_b128 v5, v[1:4]
	s_waitcnt lgkmcnt(0)
	s_barrier
	buffer_gl0_inv
	v_cmpx_gt_u32_e32 15, v0
	s_cbranch_execz .LBB117_75
; %bb.72:
	v_mov_b32_e32 v1, 0
	v_mov_b32_e32 v3, 0
	v_add_nc_u32_e32 v7, -1, v0
	v_add_nc_u32_e32 v8, 0x360, v119
	v_mov_b32_e32 v2, 0
	v_mov_b32_e32 v4, 0
	v_add_nc_u32_e32 v117, 16, v119
	s_mov_b32 s5, 0
	.p2align	6
.LBB117_73:                             ; =>This Inner Loop Header: Depth=1
	s_clause 0x3
	buffer_load_dword v124, v117, s[0:3], 0 offen offset:8
	buffer_load_dword v125, v117, s[0:3], 0 offen offset:12
	buffer_load_dword v126, v117, s[0:3], 0 offen
	buffer_load_dword v127, v117, s[0:3], 0 offen offset:4
	ds_read_b128 v[120:123], v8
	v_add_nc_u32_e32 v7, 1, v7
	v_add_nc_u32_e32 v8, 16, v8
	v_add_nc_u32_e32 v117, 16, v117
	v_cmp_lt_u32_e32 vcc_lo, 13, v7
	s_or_b32 s5, vcc_lo, s5
	s_waitcnt vmcnt(2) lgkmcnt(0)
	v_mul_f64 v[128:129], v[122:123], v[124:125]
	v_mul_f64 v[124:125], v[120:121], v[124:125]
	s_waitcnt vmcnt(0)
	v_fma_f64 v[120:121], v[120:121], v[126:127], -v[128:129]
	v_fma_f64 v[122:123], v[122:123], v[126:127], v[124:125]
	v_add_f64 v[3:4], v[3:4], v[120:121]
	v_add_f64 v[1:2], v[1:2], v[122:123]
	s_andn2_b32 exec_lo, exec_lo, s5
	s_cbranch_execnz .LBB117_73
; %bb.74:
	s_or_b32 exec_lo, exec_lo, s5
	v_mov_b32_e32 v7, 0
	ds_read_b128 v[120:123], v7 offset:240
	s_waitcnt lgkmcnt(0)
	v_mul_f64 v[7:8], v[1:2], v[122:123]
	v_mul_f64 v[117:118], v[3:4], v[122:123]
	v_fma_f64 v[3:4], v[3:4], v[120:121], -v[7:8]
	v_fma_f64 v[1:2], v[1:2], v[120:121], v[117:118]
	buffer_store_dword v4, off, s[0:3], 0 offset:260
	buffer_store_dword v3, off, s[0:3], 0 offset:256
	buffer_store_dword v2, off, s[0:3], 0 offset:268
	buffer_store_dword v1, off, s[0:3], 0 offset:264
.LBB117_75:
	s_or_b32 exec_lo, exec_lo, s4
	v_mov_b32_e32 v4, s50
	s_waitcnt_vscnt null, 0x0
	s_barrier
	buffer_gl0_inv
	s_mov_b32 s4, exec_lo
	s_clause 0x3
	buffer_load_dword v1, v4, s[0:3], 0 offen
	buffer_load_dword v2, v4, s[0:3], 0 offen offset:4
	buffer_load_dword v3, v4, s[0:3], 0 offen offset:8
	;; [unrolled: 1-line block ×3, first 2 shown]
	s_waitcnt vmcnt(0)
	ds_write_b128 v5, v[1:4]
	s_waitcnt lgkmcnt(0)
	s_barrier
	buffer_gl0_inv
	v_cmpx_gt_u32_e32 16, v0
	s_cbranch_execz .LBB117_79
; %bb.76:
	v_mov_b32_e32 v1, 0
	v_mov_b32_e32 v3, 0
	v_add_nc_u32_e32 v7, -1, v0
	v_add_nc_u32_e32 v8, 0x360, v119
	v_mov_b32_e32 v2, 0
	v_mov_b32_e32 v4, 0
	v_add_nc_u32_e32 v117, 16, v119
	s_mov_b32 s5, 0
	.p2align	6
.LBB117_77:                             ; =>This Inner Loop Header: Depth=1
	s_clause 0x3
	buffer_load_dword v124, v117, s[0:3], 0 offen offset:8
	buffer_load_dword v125, v117, s[0:3], 0 offen offset:12
	buffer_load_dword v126, v117, s[0:3], 0 offen
	buffer_load_dword v127, v117, s[0:3], 0 offen offset:4
	ds_read_b128 v[120:123], v8
	v_add_nc_u32_e32 v7, 1, v7
	v_add_nc_u32_e32 v8, 16, v8
	;; [unrolled: 1-line block ×3, first 2 shown]
	v_cmp_lt_u32_e32 vcc_lo, 14, v7
	s_or_b32 s5, vcc_lo, s5
	s_waitcnt vmcnt(2) lgkmcnt(0)
	v_mul_f64 v[128:129], v[122:123], v[124:125]
	v_mul_f64 v[124:125], v[120:121], v[124:125]
	s_waitcnt vmcnt(0)
	v_fma_f64 v[120:121], v[120:121], v[126:127], -v[128:129]
	v_fma_f64 v[122:123], v[122:123], v[126:127], v[124:125]
	v_add_f64 v[3:4], v[3:4], v[120:121]
	v_add_f64 v[1:2], v[1:2], v[122:123]
	s_andn2_b32 exec_lo, exec_lo, s5
	s_cbranch_execnz .LBB117_77
; %bb.78:
	s_or_b32 exec_lo, exec_lo, s5
	v_mov_b32_e32 v7, 0
	ds_read_b128 v[120:123], v7 offset:256
	s_waitcnt lgkmcnt(0)
	v_mul_f64 v[7:8], v[1:2], v[122:123]
	v_mul_f64 v[117:118], v[3:4], v[122:123]
	v_fma_f64 v[3:4], v[3:4], v[120:121], -v[7:8]
	v_fma_f64 v[1:2], v[1:2], v[120:121], v[117:118]
	buffer_store_dword v4, off, s[0:3], 0 offset:276
	buffer_store_dword v3, off, s[0:3], 0 offset:272
	;; [unrolled: 1-line block ×4, first 2 shown]
.LBB117_79:
	s_or_b32 exec_lo, exec_lo, s4
	v_mov_b32_e32 v4, s49
	s_waitcnt_vscnt null, 0x0
	s_barrier
	buffer_gl0_inv
	s_mov_b32 s4, exec_lo
	s_clause 0x3
	buffer_load_dword v1, v4, s[0:3], 0 offen
	buffer_load_dword v2, v4, s[0:3], 0 offen offset:4
	buffer_load_dword v3, v4, s[0:3], 0 offen offset:8
	;; [unrolled: 1-line block ×3, first 2 shown]
	s_waitcnt vmcnt(0)
	ds_write_b128 v5, v[1:4]
	s_waitcnt lgkmcnt(0)
	s_barrier
	buffer_gl0_inv
	v_cmpx_gt_u32_e32 17, v0
	s_cbranch_execz .LBB117_83
; %bb.80:
	v_mov_b32_e32 v1, 0
	v_mov_b32_e32 v3, 0
	v_add_nc_u32_e32 v7, -1, v0
	v_add_nc_u32_e32 v8, 0x360, v119
	v_mov_b32_e32 v2, 0
	v_mov_b32_e32 v4, 0
	v_add_nc_u32_e32 v117, 16, v119
	s_mov_b32 s5, 0
	.p2align	6
.LBB117_81:                             ; =>This Inner Loop Header: Depth=1
	s_clause 0x3
	buffer_load_dword v124, v117, s[0:3], 0 offen offset:8
	buffer_load_dword v125, v117, s[0:3], 0 offen offset:12
	buffer_load_dword v126, v117, s[0:3], 0 offen
	buffer_load_dword v127, v117, s[0:3], 0 offen offset:4
	ds_read_b128 v[120:123], v8
	v_add_nc_u32_e32 v7, 1, v7
	v_add_nc_u32_e32 v8, 16, v8
	;; [unrolled: 1-line block ×3, first 2 shown]
	v_cmp_lt_u32_e32 vcc_lo, 15, v7
	s_or_b32 s5, vcc_lo, s5
	s_waitcnt vmcnt(2) lgkmcnt(0)
	v_mul_f64 v[128:129], v[122:123], v[124:125]
	v_mul_f64 v[124:125], v[120:121], v[124:125]
	s_waitcnt vmcnt(0)
	v_fma_f64 v[120:121], v[120:121], v[126:127], -v[128:129]
	v_fma_f64 v[122:123], v[122:123], v[126:127], v[124:125]
	v_add_f64 v[3:4], v[3:4], v[120:121]
	v_add_f64 v[1:2], v[1:2], v[122:123]
	s_andn2_b32 exec_lo, exec_lo, s5
	s_cbranch_execnz .LBB117_81
; %bb.82:
	s_or_b32 exec_lo, exec_lo, s5
	v_mov_b32_e32 v7, 0
	ds_read_b128 v[120:123], v7 offset:272
	s_waitcnt lgkmcnt(0)
	v_mul_f64 v[7:8], v[1:2], v[122:123]
	v_mul_f64 v[117:118], v[3:4], v[122:123]
	v_fma_f64 v[3:4], v[3:4], v[120:121], -v[7:8]
	v_fma_f64 v[1:2], v[1:2], v[120:121], v[117:118]
	buffer_store_dword v4, off, s[0:3], 0 offset:292
	buffer_store_dword v3, off, s[0:3], 0 offset:288
	;; [unrolled: 1-line block ×4, first 2 shown]
.LBB117_83:
	s_or_b32 exec_lo, exec_lo, s4
	v_mov_b32_e32 v4, s48
	s_waitcnt_vscnt null, 0x0
	s_barrier
	buffer_gl0_inv
	s_mov_b32 s4, exec_lo
	s_clause 0x3
	buffer_load_dword v1, v4, s[0:3], 0 offen
	buffer_load_dword v2, v4, s[0:3], 0 offen offset:4
	buffer_load_dword v3, v4, s[0:3], 0 offen offset:8
	;; [unrolled: 1-line block ×3, first 2 shown]
	s_waitcnt vmcnt(0)
	ds_write_b128 v5, v[1:4]
	s_waitcnt lgkmcnt(0)
	s_barrier
	buffer_gl0_inv
	v_cmpx_gt_u32_e32 18, v0
	s_cbranch_execz .LBB117_87
; %bb.84:
	v_mov_b32_e32 v1, 0
	v_mov_b32_e32 v3, 0
	v_add_nc_u32_e32 v7, -1, v0
	v_add_nc_u32_e32 v8, 0x360, v119
	v_mov_b32_e32 v2, 0
	v_mov_b32_e32 v4, 0
	v_add_nc_u32_e32 v117, 16, v119
	s_mov_b32 s5, 0
	.p2align	6
.LBB117_85:                             ; =>This Inner Loop Header: Depth=1
	s_clause 0x3
	buffer_load_dword v124, v117, s[0:3], 0 offen offset:8
	buffer_load_dword v125, v117, s[0:3], 0 offen offset:12
	buffer_load_dword v126, v117, s[0:3], 0 offen
	buffer_load_dword v127, v117, s[0:3], 0 offen offset:4
	ds_read_b128 v[120:123], v8
	v_add_nc_u32_e32 v7, 1, v7
	v_add_nc_u32_e32 v8, 16, v8
	;; [unrolled: 1-line block ×3, first 2 shown]
	v_cmp_lt_u32_e32 vcc_lo, 16, v7
	s_or_b32 s5, vcc_lo, s5
	s_waitcnt vmcnt(2) lgkmcnt(0)
	v_mul_f64 v[128:129], v[122:123], v[124:125]
	v_mul_f64 v[124:125], v[120:121], v[124:125]
	s_waitcnt vmcnt(0)
	v_fma_f64 v[120:121], v[120:121], v[126:127], -v[128:129]
	v_fma_f64 v[122:123], v[122:123], v[126:127], v[124:125]
	v_add_f64 v[3:4], v[3:4], v[120:121]
	v_add_f64 v[1:2], v[1:2], v[122:123]
	s_andn2_b32 exec_lo, exec_lo, s5
	s_cbranch_execnz .LBB117_85
; %bb.86:
	s_or_b32 exec_lo, exec_lo, s5
	v_mov_b32_e32 v7, 0
	ds_read_b128 v[120:123], v7 offset:288
	s_waitcnt lgkmcnt(0)
	v_mul_f64 v[7:8], v[1:2], v[122:123]
	v_mul_f64 v[117:118], v[3:4], v[122:123]
	v_fma_f64 v[3:4], v[3:4], v[120:121], -v[7:8]
	v_fma_f64 v[1:2], v[1:2], v[120:121], v[117:118]
	buffer_store_dword v4, off, s[0:3], 0 offset:308
	buffer_store_dword v3, off, s[0:3], 0 offset:304
	;; [unrolled: 1-line block ×4, first 2 shown]
.LBB117_87:
	s_or_b32 exec_lo, exec_lo, s4
	v_mov_b32_e32 v4, s47
	s_waitcnt_vscnt null, 0x0
	s_barrier
	buffer_gl0_inv
	s_mov_b32 s4, exec_lo
	s_clause 0x3
	buffer_load_dword v1, v4, s[0:3], 0 offen
	buffer_load_dword v2, v4, s[0:3], 0 offen offset:4
	buffer_load_dword v3, v4, s[0:3], 0 offen offset:8
	;; [unrolled: 1-line block ×3, first 2 shown]
	s_waitcnt vmcnt(0)
	ds_write_b128 v5, v[1:4]
	s_waitcnt lgkmcnt(0)
	s_barrier
	buffer_gl0_inv
	v_cmpx_gt_u32_e32 19, v0
	s_cbranch_execz .LBB117_91
; %bb.88:
	v_mov_b32_e32 v1, 0
	v_mov_b32_e32 v3, 0
	v_add_nc_u32_e32 v7, -1, v0
	v_add_nc_u32_e32 v8, 0x360, v119
	v_mov_b32_e32 v2, 0
	v_mov_b32_e32 v4, 0
	v_add_nc_u32_e32 v117, 16, v119
	s_mov_b32 s5, 0
	.p2align	6
.LBB117_89:                             ; =>This Inner Loop Header: Depth=1
	s_clause 0x3
	buffer_load_dword v124, v117, s[0:3], 0 offen offset:8
	buffer_load_dword v125, v117, s[0:3], 0 offen offset:12
	buffer_load_dword v126, v117, s[0:3], 0 offen
	buffer_load_dword v127, v117, s[0:3], 0 offen offset:4
	ds_read_b128 v[120:123], v8
	v_add_nc_u32_e32 v7, 1, v7
	v_add_nc_u32_e32 v8, 16, v8
	;; [unrolled: 1-line block ×3, first 2 shown]
	v_cmp_lt_u32_e32 vcc_lo, 17, v7
	s_or_b32 s5, vcc_lo, s5
	s_waitcnt vmcnt(2) lgkmcnt(0)
	v_mul_f64 v[128:129], v[122:123], v[124:125]
	v_mul_f64 v[124:125], v[120:121], v[124:125]
	s_waitcnt vmcnt(0)
	v_fma_f64 v[120:121], v[120:121], v[126:127], -v[128:129]
	v_fma_f64 v[122:123], v[122:123], v[126:127], v[124:125]
	v_add_f64 v[3:4], v[3:4], v[120:121]
	v_add_f64 v[1:2], v[1:2], v[122:123]
	s_andn2_b32 exec_lo, exec_lo, s5
	s_cbranch_execnz .LBB117_89
; %bb.90:
	s_or_b32 exec_lo, exec_lo, s5
	v_mov_b32_e32 v7, 0
	ds_read_b128 v[120:123], v7 offset:304
	s_waitcnt lgkmcnt(0)
	v_mul_f64 v[7:8], v[1:2], v[122:123]
	v_mul_f64 v[117:118], v[3:4], v[122:123]
	v_fma_f64 v[3:4], v[3:4], v[120:121], -v[7:8]
	v_fma_f64 v[1:2], v[1:2], v[120:121], v[117:118]
	buffer_store_dword v4, off, s[0:3], 0 offset:324
	buffer_store_dword v3, off, s[0:3], 0 offset:320
	;; [unrolled: 1-line block ×4, first 2 shown]
.LBB117_91:
	s_or_b32 exec_lo, exec_lo, s4
	v_mov_b32_e32 v4, s46
	s_waitcnt_vscnt null, 0x0
	s_barrier
	buffer_gl0_inv
	s_mov_b32 s4, exec_lo
	s_clause 0x3
	buffer_load_dword v1, v4, s[0:3], 0 offen
	buffer_load_dword v2, v4, s[0:3], 0 offen offset:4
	buffer_load_dword v3, v4, s[0:3], 0 offen offset:8
	buffer_load_dword v4, v4, s[0:3], 0 offen offset:12
	s_waitcnt vmcnt(0)
	ds_write_b128 v5, v[1:4]
	s_waitcnt lgkmcnt(0)
	s_barrier
	buffer_gl0_inv
	v_cmpx_gt_u32_e32 20, v0
	s_cbranch_execz .LBB117_95
; %bb.92:
	v_mov_b32_e32 v1, 0
	v_mov_b32_e32 v3, 0
	v_add_nc_u32_e32 v7, -1, v0
	v_add_nc_u32_e32 v8, 0x360, v119
	v_mov_b32_e32 v2, 0
	v_mov_b32_e32 v4, 0
	v_add_nc_u32_e32 v117, 16, v119
	s_mov_b32 s5, 0
	.p2align	6
.LBB117_93:                             ; =>This Inner Loop Header: Depth=1
	s_clause 0x3
	buffer_load_dword v124, v117, s[0:3], 0 offen offset:8
	buffer_load_dword v125, v117, s[0:3], 0 offen offset:12
	buffer_load_dword v126, v117, s[0:3], 0 offen
	buffer_load_dword v127, v117, s[0:3], 0 offen offset:4
	ds_read_b128 v[120:123], v8
	v_add_nc_u32_e32 v7, 1, v7
	v_add_nc_u32_e32 v8, 16, v8
	;; [unrolled: 1-line block ×3, first 2 shown]
	v_cmp_lt_u32_e32 vcc_lo, 18, v7
	s_or_b32 s5, vcc_lo, s5
	s_waitcnt vmcnt(2) lgkmcnt(0)
	v_mul_f64 v[128:129], v[122:123], v[124:125]
	v_mul_f64 v[124:125], v[120:121], v[124:125]
	s_waitcnt vmcnt(0)
	v_fma_f64 v[120:121], v[120:121], v[126:127], -v[128:129]
	v_fma_f64 v[122:123], v[122:123], v[126:127], v[124:125]
	v_add_f64 v[3:4], v[3:4], v[120:121]
	v_add_f64 v[1:2], v[1:2], v[122:123]
	s_andn2_b32 exec_lo, exec_lo, s5
	s_cbranch_execnz .LBB117_93
; %bb.94:
	s_or_b32 exec_lo, exec_lo, s5
	v_mov_b32_e32 v7, 0
	ds_read_b128 v[120:123], v7 offset:320
	s_waitcnt lgkmcnt(0)
	v_mul_f64 v[7:8], v[1:2], v[122:123]
	v_mul_f64 v[117:118], v[3:4], v[122:123]
	v_fma_f64 v[3:4], v[3:4], v[120:121], -v[7:8]
	v_fma_f64 v[1:2], v[1:2], v[120:121], v[117:118]
	buffer_store_dword v4, off, s[0:3], 0 offset:340
	buffer_store_dword v3, off, s[0:3], 0 offset:336
	;; [unrolled: 1-line block ×4, first 2 shown]
.LBB117_95:
	s_or_b32 exec_lo, exec_lo, s4
	v_mov_b32_e32 v4, s45
	s_waitcnt_vscnt null, 0x0
	s_barrier
	buffer_gl0_inv
	s_mov_b32 s4, exec_lo
	s_clause 0x3
	buffer_load_dword v1, v4, s[0:3], 0 offen
	buffer_load_dword v2, v4, s[0:3], 0 offen offset:4
	buffer_load_dword v3, v4, s[0:3], 0 offen offset:8
	;; [unrolled: 1-line block ×3, first 2 shown]
	s_waitcnt vmcnt(0)
	ds_write_b128 v5, v[1:4]
	s_waitcnt lgkmcnt(0)
	s_barrier
	buffer_gl0_inv
	v_cmpx_gt_u32_e32 21, v0
	s_cbranch_execz .LBB117_99
; %bb.96:
	v_mov_b32_e32 v1, 0
	v_mov_b32_e32 v3, 0
	v_add_nc_u32_e32 v7, -1, v0
	v_add_nc_u32_e32 v8, 0x360, v119
	v_mov_b32_e32 v2, 0
	v_mov_b32_e32 v4, 0
	v_add_nc_u32_e32 v117, 16, v119
	s_mov_b32 s5, 0
	.p2align	6
.LBB117_97:                             ; =>This Inner Loop Header: Depth=1
	s_clause 0x3
	buffer_load_dword v124, v117, s[0:3], 0 offen offset:8
	buffer_load_dword v125, v117, s[0:3], 0 offen offset:12
	buffer_load_dword v126, v117, s[0:3], 0 offen
	buffer_load_dword v127, v117, s[0:3], 0 offen offset:4
	ds_read_b128 v[120:123], v8
	v_add_nc_u32_e32 v7, 1, v7
	v_add_nc_u32_e32 v8, 16, v8
	;; [unrolled: 1-line block ×3, first 2 shown]
	v_cmp_lt_u32_e32 vcc_lo, 19, v7
	s_or_b32 s5, vcc_lo, s5
	s_waitcnt vmcnt(2) lgkmcnt(0)
	v_mul_f64 v[128:129], v[122:123], v[124:125]
	v_mul_f64 v[124:125], v[120:121], v[124:125]
	s_waitcnt vmcnt(0)
	v_fma_f64 v[120:121], v[120:121], v[126:127], -v[128:129]
	v_fma_f64 v[122:123], v[122:123], v[126:127], v[124:125]
	v_add_f64 v[3:4], v[3:4], v[120:121]
	v_add_f64 v[1:2], v[1:2], v[122:123]
	s_andn2_b32 exec_lo, exec_lo, s5
	s_cbranch_execnz .LBB117_97
; %bb.98:
	s_or_b32 exec_lo, exec_lo, s5
	v_mov_b32_e32 v7, 0
	ds_read_b128 v[120:123], v7 offset:336
	s_waitcnt lgkmcnt(0)
	v_mul_f64 v[7:8], v[1:2], v[122:123]
	v_mul_f64 v[117:118], v[3:4], v[122:123]
	v_fma_f64 v[3:4], v[3:4], v[120:121], -v[7:8]
	v_fma_f64 v[1:2], v[1:2], v[120:121], v[117:118]
	buffer_store_dword v4, off, s[0:3], 0 offset:356
	buffer_store_dword v3, off, s[0:3], 0 offset:352
	;; [unrolled: 1-line block ×4, first 2 shown]
.LBB117_99:
	s_or_b32 exec_lo, exec_lo, s4
	v_mov_b32_e32 v4, s44
	s_waitcnt_vscnt null, 0x0
	s_barrier
	buffer_gl0_inv
	s_mov_b32 s4, exec_lo
	s_clause 0x3
	buffer_load_dword v1, v4, s[0:3], 0 offen
	buffer_load_dword v2, v4, s[0:3], 0 offen offset:4
	buffer_load_dword v3, v4, s[0:3], 0 offen offset:8
	;; [unrolled: 1-line block ×3, first 2 shown]
	s_waitcnt vmcnt(0)
	ds_write_b128 v5, v[1:4]
	s_waitcnt lgkmcnt(0)
	s_barrier
	buffer_gl0_inv
	v_cmpx_gt_u32_e32 22, v0
	s_cbranch_execz .LBB117_103
; %bb.100:
	v_mov_b32_e32 v1, 0
	v_mov_b32_e32 v3, 0
	v_add_nc_u32_e32 v7, -1, v0
	v_add_nc_u32_e32 v8, 0x360, v119
	v_mov_b32_e32 v2, 0
	v_mov_b32_e32 v4, 0
	v_add_nc_u32_e32 v117, 16, v119
	s_mov_b32 s5, 0
	.p2align	6
.LBB117_101:                            ; =>This Inner Loop Header: Depth=1
	s_clause 0x3
	buffer_load_dword v124, v117, s[0:3], 0 offen offset:8
	buffer_load_dword v125, v117, s[0:3], 0 offen offset:12
	buffer_load_dword v126, v117, s[0:3], 0 offen
	buffer_load_dword v127, v117, s[0:3], 0 offen offset:4
	ds_read_b128 v[120:123], v8
	v_add_nc_u32_e32 v7, 1, v7
	v_add_nc_u32_e32 v8, 16, v8
	;; [unrolled: 1-line block ×3, first 2 shown]
	v_cmp_lt_u32_e32 vcc_lo, 20, v7
	s_or_b32 s5, vcc_lo, s5
	s_waitcnt vmcnt(2) lgkmcnt(0)
	v_mul_f64 v[128:129], v[122:123], v[124:125]
	v_mul_f64 v[124:125], v[120:121], v[124:125]
	s_waitcnt vmcnt(0)
	v_fma_f64 v[120:121], v[120:121], v[126:127], -v[128:129]
	v_fma_f64 v[122:123], v[122:123], v[126:127], v[124:125]
	v_add_f64 v[3:4], v[3:4], v[120:121]
	v_add_f64 v[1:2], v[1:2], v[122:123]
	s_andn2_b32 exec_lo, exec_lo, s5
	s_cbranch_execnz .LBB117_101
; %bb.102:
	s_or_b32 exec_lo, exec_lo, s5
	v_mov_b32_e32 v7, 0
	ds_read_b128 v[120:123], v7 offset:352
	s_waitcnt lgkmcnt(0)
	v_mul_f64 v[7:8], v[1:2], v[122:123]
	v_mul_f64 v[117:118], v[3:4], v[122:123]
	v_fma_f64 v[3:4], v[3:4], v[120:121], -v[7:8]
	v_fma_f64 v[1:2], v[1:2], v[120:121], v[117:118]
	buffer_store_dword v4, off, s[0:3], 0 offset:372
	buffer_store_dword v3, off, s[0:3], 0 offset:368
	buffer_store_dword v2, off, s[0:3], 0 offset:380
	buffer_store_dword v1, off, s[0:3], 0 offset:376
.LBB117_103:
	s_or_b32 exec_lo, exec_lo, s4
	v_mov_b32_e32 v4, s43
	s_waitcnt_vscnt null, 0x0
	s_barrier
	buffer_gl0_inv
	s_mov_b32 s4, exec_lo
	s_clause 0x3
	buffer_load_dword v1, v4, s[0:3], 0 offen
	buffer_load_dword v2, v4, s[0:3], 0 offen offset:4
	buffer_load_dword v3, v4, s[0:3], 0 offen offset:8
	;; [unrolled: 1-line block ×3, first 2 shown]
	s_waitcnt vmcnt(0)
	ds_write_b128 v5, v[1:4]
	s_waitcnt lgkmcnt(0)
	s_barrier
	buffer_gl0_inv
	v_cmpx_gt_u32_e32 23, v0
	s_cbranch_execz .LBB117_107
; %bb.104:
	v_mov_b32_e32 v1, 0
	v_mov_b32_e32 v3, 0
	v_add_nc_u32_e32 v7, -1, v0
	v_add_nc_u32_e32 v8, 0x360, v119
	v_mov_b32_e32 v2, 0
	v_mov_b32_e32 v4, 0
	v_add_nc_u32_e32 v117, 16, v119
	s_mov_b32 s5, 0
	.p2align	6
.LBB117_105:                            ; =>This Inner Loop Header: Depth=1
	s_clause 0x3
	buffer_load_dword v124, v117, s[0:3], 0 offen offset:8
	buffer_load_dword v125, v117, s[0:3], 0 offen offset:12
	buffer_load_dword v126, v117, s[0:3], 0 offen
	buffer_load_dword v127, v117, s[0:3], 0 offen offset:4
	ds_read_b128 v[120:123], v8
	v_add_nc_u32_e32 v7, 1, v7
	v_add_nc_u32_e32 v8, 16, v8
	;; [unrolled: 1-line block ×3, first 2 shown]
	v_cmp_lt_u32_e32 vcc_lo, 21, v7
	s_or_b32 s5, vcc_lo, s5
	s_waitcnt vmcnt(2) lgkmcnt(0)
	v_mul_f64 v[128:129], v[122:123], v[124:125]
	v_mul_f64 v[124:125], v[120:121], v[124:125]
	s_waitcnt vmcnt(0)
	v_fma_f64 v[120:121], v[120:121], v[126:127], -v[128:129]
	v_fma_f64 v[122:123], v[122:123], v[126:127], v[124:125]
	v_add_f64 v[3:4], v[3:4], v[120:121]
	v_add_f64 v[1:2], v[1:2], v[122:123]
	s_andn2_b32 exec_lo, exec_lo, s5
	s_cbranch_execnz .LBB117_105
; %bb.106:
	s_or_b32 exec_lo, exec_lo, s5
	v_mov_b32_e32 v7, 0
	ds_read_b128 v[120:123], v7 offset:368
	s_waitcnt lgkmcnt(0)
	v_mul_f64 v[7:8], v[1:2], v[122:123]
	v_mul_f64 v[117:118], v[3:4], v[122:123]
	v_fma_f64 v[3:4], v[3:4], v[120:121], -v[7:8]
	v_fma_f64 v[1:2], v[1:2], v[120:121], v[117:118]
	buffer_store_dword v4, off, s[0:3], 0 offset:388
	buffer_store_dword v3, off, s[0:3], 0 offset:384
	;; [unrolled: 1-line block ×4, first 2 shown]
.LBB117_107:
	s_or_b32 exec_lo, exec_lo, s4
	v_mov_b32_e32 v4, s42
	s_waitcnt_vscnt null, 0x0
	s_barrier
	buffer_gl0_inv
	s_mov_b32 s4, exec_lo
	s_clause 0x3
	buffer_load_dword v1, v4, s[0:3], 0 offen
	buffer_load_dword v2, v4, s[0:3], 0 offen offset:4
	buffer_load_dword v3, v4, s[0:3], 0 offen offset:8
	;; [unrolled: 1-line block ×3, first 2 shown]
	s_waitcnt vmcnt(0)
	ds_write_b128 v5, v[1:4]
	s_waitcnt lgkmcnt(0)
	s_barrier
	buffer_gl0_inv
	v_cmpx_gt_u32_e32 24, v0
	s_cbranch_execz .LBB117_111
; %bb.108:
	v_mov_b32_e32 v1, 0
	v_mov_b32_e32 v3, 0
	v_add_nc_u32_e32 v7, -1, v0
	v_add_nc_u32_e32 v8, 0x360, v119
	v_mov_b32_e32 v2, 0
	v_mov_b32_e32 v4, 0
	v_add_nc_u32_e32 v117, 16, v119
	s_mov_b32 s5, 0
	.p2align	6
.LBB117_109:                            ; =>This Inner Loop Header: Depth=1
	s_clause 0x3
	buffer_load_dword v124, v117, s[0:3], 0 offen offset:8
	buffer_load_dword v125, v117, s[0:3], 0 offen offset:12
	buffer_load_dword v126, v117, s[0:3], 0 offen
	buffer_load_dword v127, v117, s[0:3], 0 offen offset:4
	ds_read_b128 v[120:123], v8
	v_add_nc_u32_e32 v7, 1, v7
	v_add_nc_u32_e32 v8, 16, v8
	v_add_nc_u32_e32 v117, 16, v117
	v_cmp_lt_u32_e32 vcc_lo, 22, v7
	s_or_b32 s5, vcc_lo, s5
	s_waitcnt vmcnt(2) lgkmcnt(0)
	v_mul_f64 v[128:129], v[122:123], v[124:125]
	v_mul_f64 v[124:125], v[120:121], v[124:125]
	s_waitcnt vmcnt(0)
	v_fma_f64 v[120:121], v[120:121], v[126:127], -v[128:129]
	v_fma_f64 v[122:123], v[122:123], v[126:127], v[124:125]
	v_add_f64 v[3:4], v[3:4], v[120:121]
	v_add_f64 v[1:2], v[1:2], v[122:123]
	s_andn2_b32 exec_lo, exec_lo, s5
	s_cbranch_execnz .LBB117_109
; %bb.110:
	s_or_b32 exec_lo, exec_lo, s5
	v_mov_b32_e32 v7, 0
	ds_read_b128 v[120:123], v7 offset:384
	s_waitcnt lgkmcnt(0)
	v_mul_f64 v[7:8], v[1:2], v[122:123]
	v_mul_f64 v[117:118], v[3:4], v[122:123]
	v_fma_f64 v[3:4], v[3:4], v[120:121], -v[7:8]
	v_fma_f64 v[1:2], v[1:2], v[120:121], v[117:118]
	buffer_store_dword v4, off, s[0:3], 0 offset:404
	buffer_store_dword v3, off, s[0:3], 0 offset:400
	;; [unrolled: 1-line block ×4, first 2 shown]
.LBB117_111:
	s_or_b32 exec_lo, exec_lo, s4
	v_mov_b32_e32 v4, s41
	s_waitcnt_vscnt null, 0x0
	s_barrier
	buffer_gl0_inv
	s_mov_b32 s4, exec_lo
	s_clause 0x3
	buffer_load_dword v1, v4, s[0:3], 0 offen
	buffer_load_dword v2, v4, s[0:3], 0 offen offset:4
	buffer_load_dword v3, v4, s[0:3], 0 offen offset:8
	;; [unrolled: 1-line block ×3, first 2 shown]
	s_waitcnt vmcnt(0)
	ds_write_b128 v5, v[1:4]
	s_waitcnt lgkmcnt(0)
	s_barrier
	buffer_gl0_inv
	v_cmpx_gt_u32_e32 25, v0
	s_cbranch_execz .LBB117_115
; %bb.112:
	v_mov_b32_e32 v1, 0
	v_mov_b32_e32 v3, 0
	v_add_nc_u32_e32 v7, -1, v0
	v_add_nc_u32_e32 v8, 0x360, v119
	v_mov_b32_e32 v2, 0
	v_mov_b32_e32 v4, 0
	v_add_nc_u32_e32 v117, 16, v119
	s_mov_b32 s5, 0
	.p2align	6
.LBB117_113:                            ; =>This Inner Loop Header: Depth=1
	s_clause 0x3
	buffer_load_dword v124, v117, s[0:3], 0 offen offset:8
	buffer_load_dword v125, v117, s[0:3], 0 offen offset:12
	buffer_load_dword v126, v117, s[0:3], 0 offen
	buffer_load_dword v127, v117, s[0:3], 0 offen offset:4
	ds_read_b128 v[120:123], v8
	v_add_nc_u32_e32 v7, 1, v7
	v_add_nc_u32_e32 v8, 16, v8
	;; [unrolled: 1-line block ×3, first 2 shown]
	v_cmp_lt_u32_e32 vcc_lo, 23, v7
	s_or_b32 s5, vcc_lo, s5
	s_waitcnt vmcnt(2) lgkmcnt(0)
	v_mul_f64 v[128:129], v[122:123], v[124:125]
	v_mul_f64 v[124:125], v[120:121], v[124:125]
	s_waitcnt vmcnt(0)
	v_fma_f64 v[120:121], v[120:121], v[126:127], -v[128:129]
	v_fma_f64 v[122:123], v[122:123], v[126:127], v[124:125]
	v_add_f64 v[3:4], v[3:4], v[120:121]
	v_add_f64 v[1:2], v[1:2], v[122:123]
	s_andn2_b32 exec_lo, exec_lo, s5
	s_cbranch_execnz .LBB117_113
; %bb.114:
	s_or_b32 exec_lo, exec_lo, s5
	v_mov_b32_e32 v7, 0
	ds_read_b128 v[120:123], v7 offset:400
	s_waitcnt lgkmcnt(0)
	v_mul_f64 v[7:8], v[1:2], v[122:123]
	v_mul_f64 v[117:118], v[3:4], v[122:123]
	v_fma_f64 v[3:4], v[3:4], v[120:121], -v[7:8]
	v_fma_f64 v[1:2], v[1:2], v[120:121], v[117:118]
	buffer_store_dword v4, off, s[0:3], 0 offset:420
	buffer_store_dword v3, off, s[0:3], 0 offset:416
	;; [unrolled: 1-line block ×4, first 2 shown]
.LBB117_115:
	s_or_b32 exec_lo, exec_lo, s4
	v_mov_b32_e32 v4, s40
	s_waitcnt_vscnt null, 0x0
	s_barrier
	buffer_gl0_inv
	s_mov_b32 s4, exec_lo
	s_clause 0x3
	buffer_load_dword v1, v4, s[0:3], 0 offen
	buffer_load_dword v2, v4, s[0:3], 0 offen offset:4
	buffer_load_dword v3, v4, s[0:3], 0 offen offset:8
	;; [unrolled: 1-line block ×3, first 2 shown]
	s_waitcnt vmcnt(0)
	ds_write_b128 v5, v[1:4]
	s_waitcnt lgkmcnt(0)
	s_barrier
	buffer_gl0_inv
	v_cmpx_gt_u32_e32 26, v0
	s_cbranch_execz .LBB117_119
; %bb.116:
	v_mov_b32_e32 v1, 0
	v_mov_b32_e32 v3, 0
	v_add_nc_u32_e32 v7, -1, v0
	v_add_nc_u32_e32 v8, 0x360, v119
	v_mov_b32_e32 v2, 0
	v_mov_b32_e32 v4, 0
	v_add_nc_u32_e32 v117, 16, v119
	s_mov_b32 s5, 0
	.p2align	6
.LBB117_117:                            ; =>This Inner Loop Header: Depth=1
	s_clause 0x3
	buffer_load_dword v124, v117, s[0:3], 0 offen offset:8
	buffer_load_dword v125, v117, s[0:3], 0 offen offset:12
	buffer_load_dword v126, v117, s[0:3], 0 offen
	buffer_load_dword v127, v117, s[0:3], 0 offen offset:4
	ds_read_b128 v[120:123], v8
	v_add_nc_u32_e32 v7, 1, v7
	v_add_nc_u32_e32 v8, 16, v8
	;; [unrolled: 1-line block ×3, first 2 shown]
	v_cmp_lt_u32_e32 vcc_lo, 24, v7
	s_or_b32 s5, vcc_lo, s5
	s_waitcnt vmcnt(2) lgkmcnt(0)
	v_mul_f64 v[128:129], v[122:123], v[124:125]
	v_mul_f64 v[124:125], v[120:121], v[124:125]
	s_waitcnt vmcnt(0)
	v_fma_f64 v[120:121], v[120:121], v[126:127], -v[128:129]
	v_fma_f64 v[122:123], v[122:123], v[126:127], v[124:125]
	v_add_f64 v[3:4], v[3:4], v[120:121]
	v_add_f64 v[1:2], v[1:2], v[122:123]
	s_andn2_b32 exec_lo, exec_lo, s5
	s_cbranch_execnz .LBB117_117
; %bb.118:
	s_or_b32 exec_lo, exec_lo, s5
	v_mov_b32_e32 v7, 0
	ds_read_b128 v[120:123], v7 offset:416
	s_waitcnt lgkmcnt(0)
	v_mul_f64 v[7:8], v[1:2], v[122:123]
	v_mul_f64 v[117:118], v[3:4], v[122:123]
	v_fma_f64 v[3:4], v[3:4], v[120:121], -v[7:8]
	v_fma_f64 v[1:2], v[1:2], v[120:121], v[117:118]
	buffer_store_dword v4, off, s[0:3], 0 offset:436
	buffer_store_dword v3, off, s[0:3], 0 offset:432
	;; [unrolled: 1-line block ×4, first 2 shown]
.LBB117_119:
	s_or_b32 exec_lo, exec_lo, s4
	v_mov_b32_e32 v4, s39
	s_waitcnt_vscnt null, 0x0
	s_barrier
	buffer_gl0_inv
	s_mov_b32 s4, exec_lo
	s_clause 0x3
	buffer_load_dword v1, v4, s[0:3], 0 offen
	buffer_load_dword v2, v4, s[0:3], 0 offen offset:4
	buffer_load_dword v3, v4, s[0:3], 0 offen offset:8
	;; [unrolled: 1-line block ×3, first 2 shown]
	s_waitcnt vmcnt(0)
	ds_write_b128 v5, v[1:4]
	s_waitcnt lgkmcnt(0)
	s_barrier
	buffer_gl0_inv
	v_cmpx_gt_u32_e32 27, v0
	s_cbranch_execz .LBB117_123
; %bb.120:
	v_mov_b32_e32 v1, 0
	v_mov_b32_e32 v3, 0
	v_add_nc_u32_e32 v7, -1, v0
	v_add_nc_u32_e32 v8, 0x360, v119
	v_mov_b32_e32 v2, 0
	v_mov_b32_e32 v4, 0
	v_add_nc_u32_e32 v117, 16, v119
	s_mov_b32 s5, 0
	.p2align	6
.LBB117_121:                            ; =>This Inner Loop Header: Depth=1
	s_clause 0x3
	buffer_load_dword v124, v117, s[0:3], 0 offen offset:8
	buffer_load_dword v125, v117, s[0:3], 0 offen offset:12
	buffer_load_dword v126, v117, s[0:3], 0 offen
	buffer_load_dword v127, v117, s[0:3], 0 offen offset:4
	ds_read_b128 v[120:123], v8
	v_add_nc_u32_e32 v7, 1, v7
	v_add_nc_u32_e32 v8, 16, v8
	;; [unrolled: 1-line block ×3, first 2 shown]
	v_cmp_lt_u32_e32 vcc_lo, 25, v7
	s_or_b32 s5, vcc_lo, s5
	s_waitcnt vmcnt(2) lgkmcnt(0)
	v_mul_f64 v[128:129], v[122:123], v[124:125]
	v_mul_f64 v[124:125], v[120:121], v[124:125]
	s_waitcnt vmcnt(0)
	v_fma_f64 v[120:121], v[120:121], v[126:127], -v[128:129]
	v_fma_f64 v[122:123], v[122:123], v[126:127], v[124:125]
	v_add_f64 v[3:4], v[3:4], v[120:121]
	v_add_f64 v[1:2], v[1:2], v[122:123]
	s_andn2_b32 exec_lo, exec_lo, s5
	s_cbranch_execnz .LBB117_121
; %bb.122:
	s_or_b32 exec_lo, exec_lo, s5
	v_mov_b32_e32 v7, 0
	ds_read_b128 v[120:123], v7 offset:432
	s_waitcnt lgkmcnt(0)
	v_mul_f64 v[7:8], v[1:2], v[122:123]
	v_mul_f64 v[117:118], v[3:4], v[122:123]
	v_fma_f64 v[3:4], v[3:4], v[120:121], -v[7:8]
	v_fma_f64 v[1:2], v[1:2], v[120:121], v[117:118]
	buffer_store_dword v4, off, s[0:3], 0 offset:452
	buffer_store_dword v3, off, s[0:3], 0 offset:448
	;; [unrolled: 1-line block ×4, first 2 shown]
.LBB117_123:
	s_or_b32 exec_lo, exec_lo, s4
	v_mov_b32_e32 v4, s38
	s_waitcnt_vscnt null, 0x0
	s_barrier
	buffer_gl0_inv
	s_mov_b32 s4, exec_lo
	s_clause 0x3
	buffer_load_dword v1, v4, s[0:3], 0 offen
	buffer_load_dword v2, v4, s[0:3], 0 offen offset:4
	buffer_load_dword v3, v4, s[0:3], 0 offen offset:8
	;; [unrolled: 1-line block ×3, first 2 shown]
	s_waitcnt vmcnt(0)
	ds_write_b128 v5, v[1:4]
	s_waitcnt lgkmcnt(0)
	s_barrier
	buffer_gl0_inv
	v_cmpx_gt_u32_e32 28, v0
	s_cbranch_execz .LBB117_127
; %bb.124:
	v_mov_b32_e32 v1, 0
	v_mov_b32_e32 v3, 0
	v_add_nc_u32_e32 v7, -1, v0
	v_add_nc_u32_e32 v8, 0x360, v119
	v_mov_b32_e32 v2, 0
	v_mov_b32_e32 v4, 0
	v_add_nc_u32_e32 v117, 16, v119
	s_mov_b32 s5, 0
	.p2align	6
.LBB117_125:                            ; =>This Inner Loop Header: Depth=1
	s_clause 0x3
	buffer_load_dword v124, v117, s[0:3], 0 offen offset:8
	buffer_load_dword v125, v117, s[0:3], 0 offen offset:12
	buffer_load_dword v126, v117, s[0:3], 0 offen
	buffer_load_dword v127, v117, s[0:3], 0 offen offset:4
	ds_read_b128 v[120:123], v8
	v_add_nc_u32_e32 v7, 1, v7
	v_add_nc_u32_e32 v8, 16, v8
	;; [unrolled: 1-line block ×3, first 2 shown]
	v_cmp_lt_u32_e32 vcc_lo, 26, v7
	s_or_b32 s5, vcc_lo, s5
	s_waitcnt vmcnt(2) lgkmcnt(0)
	v_mul_f64 v[128:129], v[122:123], v[124:125]
	v_mul_f64 v[124:125], v[120:121], v[124:125]
	s_waitcnt vmcnt(0)
	v_fma_f64 v[120:121], v[120:121], v[126:127], -v[128:129]
	v_fma_f64 v[122:123], v[122:123], v[126:127], v[124:125]
	v_add_f64 v[3:4], v[3:4], v[120:121]
	v_add_f64 v[1:2], v[1:2], v[122:123]
	s_andn2_b32 exec_lo, exec_lo, s5
	s_cbranch_execnz .LBB117_125
; %bb.126:
	s_or_b32 exec_lo, exec_lo, s5
	v_mov_b32_e32 v7, 0
	ds_read_b128 v[120:123], v7 offset:448
	s_waitcnt lgkmcnt(0)
	v_mul_f64 v[7:8], v[1:2], v[122:123]
	v_mul_f64 v[117:118], v[3:4], v[122:123]
	v_fma_f64 v[3:4], v[3:4], v[120:121], -v[7:8]
	v_fma_f64 v[1:2], v[1:2], v[120:121], v[117:118]
	buffer_store_dword v4, off, s[0:3], 0 offset:468
	buffer_store_dword v3, off, s[0:3], 0 offset:464
	;; [unrolled: 1-line block ×4, first 2 shown]
.LBB117_127:
	s_or_b32 exec_lo, exec_lo, s4
	v_mov_b32_e32 v4, s37
	s_waitcnt_vscnt null, 0x0
	s_barrier
	buffer_gl0_inv
	s_mov_b32 s4, exec_lo
	s_clause 0x3
	buffer_load_dword v1, v4, s[0:3], 0 offen
	buffer_load_dword v2, v4, s[0:3], 0 offen offset:4
	buffer_load_dword v3, v4, s[0:3], 0 offen offset:8
	;; [unrolled: 1-line block ×3, first 2 shown]
	s_waitcnt vmcnt(0)
	ds_write_b128 v5, v[1:4]
	s_waitcnt lgkmcnt(0)
	s_barrier
	buffer_gl0_inv
	v_cmpx_gt_u32_e32 29, v0
	s_cbranch_execz .LBB117_131
; %bb.128:
	v_mov_b32_e32 v1, 0
	v_mov_b32_e32 v3, 0
	v_add_nc_u32_e32 v7, -1, v0
	v_add_nc_u32_e32 v8, 0x360, v119
	v_mov_b32_e32 v2, 0
	v_mov_b32_e32 v4, 0
	v_add_nc_u32_e32 v117, 16, v119
	s_mov_b32 s5, 0
	.p2align	6
.LBB117_129:                            ; =>This Inner Loop Header: Depth=1
	s_clause 0x3
	buffer_load_dword v124, v117, s[0:3], 0 offen offset:8
	buffer_load_dword v125, v117, s[0:3], 0 offen offset:12
	buffer_load_dword v126, v117, s[0:3], 0 offen
	buffer_load_dword v127, v117, s[0:3], 0 offen offset:4
	ds_read_b128 v[120:123], v8
	v_add_nc_u32_e32 v7, 1, v7
	v_add_nc_u32_e32 v8, 16, v8
	;; [unrolled: 1-line block ×3, first 2 shown]
	v_cmp_lt_u32_e32 vcc_lo, 27, v7
	s_or_b32 s5, vcc_lo, s5
	s_waitcnt vmcnt(2) lgkmcnt(0)
	v_mul_f64 v[128:129], v[122:123], v[124:125]
	v_mul_f64 v[124:125], v[120:121], v[124:125]
	s_waitcnt vmcnt(0)
	v_fma_f64 v[120:121], v[120:121], v[126:127], -v[128:129]
	v_fma_f64 v[122:123], v[122:123], v[126:127], v[124:125]
	v_add_f64 v[3:4], v[3:4], v[120:121]
	v_add_f64 v[1:2], v[1:2], v[122:123]
	s_andn2_b32 exec_lo, exec_lo, s5
	s_cbranch_execnz .LBB117_129
; %bb.130:
	s_or_b32 exec_lo, exec_lo, s5
	v_mov_b32_e32 v7, 0
	ds_read_b128 v[120:123], v7 offset:464
	s_waitcnt lgkmcnt(0)
	v_mul_f64 v[7:8], v[1:2], v[122:123]
	v_mul_f64 v[117:118], v[3:4], v[122:123]
	v_fma_f64 v[3:4], v[3:4], v[120:121], -v[7:8]
	v_fma_f64 v[1:2], v[1:2], v[120:121], v[117:118]
	buffer_store_dword v4, off, s[0:3], 0 offset:484
	buffer_store_dword v3, off, s[0:3], 0 offset:480
	;; [unrolled: 1-line block ×4, first 2 shown]
.LBB117_131:
	s_or_b32 exec_lo, exec_lo, s4
	v_mov_b32_e32 v4, s36
	s_waitcnt_vscnt null, 0x0
	s_barrier
	buffer_gl0_inv
	s_mov_b32 s4, exec_lo
	s_clause 0x3
	buffer_load_dword v1, v4, s[0:3], 0 offen
	buffer_load_dword v2, v4, s[0:3], 0 offen offset:4
	buffer_load_dword v3, v4, s[0:3], 0 offen offset:8
	;; [unrolled: 1-line block ×3, first 2 shown]
	s_waitcnt vmcnt(0)
	ds_write_b128 v5, v[1:4]
	s_waitcnt lgkmcnt(0)
	s_barrier
	buffer_gl0_inv
	v_cmpx_gt_u32_e32 30, v0
	s_cbranch_execz .LBB117_135
; %bb.132:
	v_mov_b32_e32 v1, 0
	v_mov_b32_e32 v3, 0
	v_add_nc_u32_e32 v7, -1, v0
	v_add_nc_u32_e32 v8, 0x360, v119
	v_mov_b32_e32 v2, 0
	v_mov_b32_e32 v4, 0
	v_add_nc_u32_e32 v117, 16, v119
	s_mov_b32 s5, 0
	.p2align	6
.LBB117_133:                            ; =>This Inner Loop Header: Depth=1
	s_clause 0x3
	buffer_load_dword v124, v117, s[0:3], 0 offen offset:8
	buffer_load_dword v125, v117, s[0:3], 0 offen offset:12
	buffer_load_dword v126, v117, s[0:3], 0 offen
	buffer_load_dword v127, v117, s[0:3], 0 offen offset:4
	ds_read_b128 v[120:123], v8
	v_add_nc_u32_e32 v7, 1, v7
	v_add_nc_u32_e32 v8, 16, v8
	;; [unrolled: 1-line block ×3, first 2 shown]
	v_cmp_lt_u32_e32 vcc_lo, 28, v7
	s_or_b32 s5, vcc_lo, s5
	s_waitcnt vmcnt(2) lgkmcnt(0)
	v_mul_f64 v[128:129], v[122:123], v[124:125]
	v_mul_f64 v[124:125], v[120:121], v[124:125]
	s_waitcnt vmcnt(0)
	v_fma_f64 v[120:121], v[120:121], v[126:127], -v[128:129]
	v_fma_f64 v[122:123], v[122:123], v[126:127], v[124:125]
	v_add_f64 v[3:4], v[3:4], v[120:121]
	v_add_f64 v[1:2], v[1:2], v[122:123]
	s_andn2_b32 exec_lo, exec_lo, s5
	s_cbranch_execnz .LBB117_133
; %bb.134:
	s_or_b32 exec_lo, exec_lo, s5
	v_mov_b32_e32 v7, 0
	ds_read_b128 v[120:123], v7 offset:480
	s_waitcnt lgkmcnt(0)
	v_mul_f64 v[7:8], v[1:2], v[122:123]
	v_mul_f64 v[117:118], v[3:4], v[122:123]
	v_fma_f64 v[3:4], v[3:4], v[120:121], -v[7:8]
	v_fma_f64 v[1:2], v[1:2], v[120:121], v[117:118]
	buffer_store_dword v4, off, s[0:3], 0 offset:500
	buffer_store_dword v3, off, s[0:3], 0 offset:496
	;; [unrolled: 1-line block ×4, first 2 shown]
.LBB117_135:
	s_or_b32 exec_lo, exec_lo, s4
	v_mov_b32_e32 v4, s35
	s_waitcnt_vscnt null, 0x0
	s_barrier
	buffer_gl0_inv
	s_mov_b32 s4, exec_lo
	s_clause 0x3
	buffer_load_dword v1, v4, s[0:3], 0 offen
	buffer_load_dword v2, v4, s[0:3], 0 offen offset:4
	buffer_load_dword v3, v4, s[0:3], 0 offen offset:8
	;; [unrolled: 1-line block ×3, first 2 shown]
	s_waitcnt vmcnt(0)
	ds_write_b128 v5, v[1:4]
	s_waitcnt lgkmcnt(0)
	s_barrier
	buffer_gl0_inv
	v_cmpx_gt_u32_e32 31, v0
	s_cbranch_execz .LBB117_139
; %bb.136:
	v_mov_b32_e32 v1, 0
	v_mov_b32_e32 v3, 0
	v_add_nc_u32_e32 v7, -1, v0
	v_add_nc_u32_e32 v8, 0x360, v119
	v_mov_b32_e32 v2, 0
	v_mov_b32_e32 v4, 0
	v_add_nc_u32_e32 v117, 16, v119
	s_mov_b32 s5, 0
	.p2align	6
.LBB117_137:                            ; =>This Inner Loop Header: Depth=1
	s_clause 0x3
	buffer_load_dword v124, v117, s[0:3], 0 offen offset:8
	buffer_load_dword v125, v117, s[0:3], 0 offen offset:12
	buffer_load_dword v126, v117, s[0:3], 0 offen
	buffer_load_dword v127, v117, s[0:3], 0 offen offset:4
	ds_read_b128 v[120:123], v8
	v_add_nc_u32_e32 v7, 1, v7
	v_add_nc_u32_e32 v8, 16, v8
	v_add_nc_u32_e32 v117, 16, v117
	v_cmp_lt_u32_e32 vcc_lo, 29, v7
	s_or_b32 s5, vcc_lo, s5
	s_waitcnt vmcnt(2) lgkmcnt(0)
	v_mul_f64 v[128:129], v[122:123], v[124:125]
	v_mul_f64 v[124:125], v[120:121], v[124:125]
	s_waitcnt vmcnt(0)
	v_fma_f64 v[120:121], v[120:121], v[126:127], -v[128:129]
	v_fma_f64 v[122:123], v[122:123], v[126:127], v[124:125]
	v_add_f64 v[3:4], v[3:4], v[120:121]
	v_add_f64 v[1:2], v[1:2], v[122:123]
	s_andn2_b32 exec_lo, exec_lo, s5
	s_cbranch_execnz .LBB117_137
; %bb.138:
	s_or_b32 exec_lo, exec_lo, s5
	v_mov_b32_e32 v7, 0
	ds_read_b128 v[120:123], v7 offset:496
	s_waitcnt lgkmcnt(0)
	v_mul_f64 v[7:8], v[1:2], v[122:123]
	v_mul_f64 v[117:118], v[3:4], v[122:123]
	v_fma_f64 v[3:4], v[3:4], v[120:121], -v[7:8]
	v_fma_f64 v[1:2], v[1:2], v[120:121], v[117:118]
	buffer_store_dword v4, off, s[0:3], 0 offset:516
	buffer_store_dword v3, off, s[0:3], 0 offset:512
	;; [unrolled: 1-line block ×4, first 2 shown]
.LBB117_139:
	s_or_b32 exec_lo, exec_lo, s4
	v_mov_b32_e32 v4, s34
	s_waitcnt_vscnt null, 0x0
	s_barrier
	buffer_gl0_inv
	s_mov_b32 s4, exec_lo
	s_clause 0x3
	buffer_load_dword v1, v4, s[0:3], 0 offen
	buffer_load_dword v2, v4, s[0:3], 0 offen offset:4
	buffer_load_dword v3, v4, s[0:3], 0 offen offset:8
	;; [unrolled: 1-line block ×3, first 2 shown]
	s_waitcnt vmcnt(0)
	ds_write_b128 v5, v[1:4]
	s_waitcnt lgkmcnt(0)
	s_barrier
	buffer_gl0_inv
	v_cmpx_gt_u32_e32 32, v0
	s_cbranch_execz .LBB117_143
; %bb.140:
	v_mov_b32_e32 v1, 0
	v_mov_b32_e32 v3, 0
	v_add_nc_u32_e32 v7, -1, v0
	v_add_nc_u32_e32 v8, 0x360, v119
	v_mov_b32_e32 v2, 0
	v_mov_b32_e32 v4, 0
	v_add_nc_u32_e32 v117, 16, v119
	s_mov_b32 s5, 0
	.p2align	6
.LBB117_141:                            ; =>This Inner Loop Header: Depth=1
	s_clause 0x3
	buffer_load_dword v124, v117, s[0:3], 0 offen offset:8
	buffer_load_dword v125, v117, s[0:3], 0 offen offset:12
	buffer_load_dword v126, v117, s[0:3], 0 offen
	buffer_load_dword v127, v117, s[0:3], 0 offen offset:4
	ds_read_b128 v[120:123], v8
	v_add_nc_u32_e32 v7, 1, v7
	v_add_nc_u32_e32 v8, 16, v8
	;; [unrolled: 1-line block ×3, first 2 shown]
	v_cmp_lt_u32_e32 vcc_lo, 30, v7
	s_or_b32 s5, vcc_lo, s5
	s_waitcnt vmcnt(2) lgkmcnt(0)
	v_mul_f64 v[128:129], v[122:123], v[124:125]
	v_mul_f64 v[124:125], v[120:121], v[124:125]
	s_waitcnt vmcnt(0)
	v_fma_f64 v[120:121], v[120:121], v[126:127], -v[128:129]
	v_fma_f64 v[122:123], v[122:123], v[126:127], v[124:125]
	v_add_f64 v[3:4], v[3:4], v[120:121]
	v_add_f64 v[1:2], v[1:2], v[122:123]
	s_andn2_b32 exec_lo, exec_lo, s5
	s_cbranch_execnz .LBB117_141
; %bb.142:
	s_or_b32 exec_lo, exec_lo, s5
	v_mov_b32_e32 v7, 0
	ds_read_b128 v[120:123], v7 offset:512
	s_waitcnt lgkmcnt(0)
	v_mul_f64 v[7:8], v[1:2], v[122:123]
	v_mul_f64 v[117:118], v[3:4], v[122:123]
	v_fma_f64 v[3:4], v[3:4], v[120:121], -v[7:8]
	v_fma_f64 v[1:2], v[1:2], v[120:121], v[117:118]
	buffer_store_dword v4, off, s[0:3], 0 offset:532
	buffer_store_dword v3, off, s[0:3], 0 offset:528
	;; [unrolled: 1-line block ×4, first 2 shown]
.LBB117_143:
	s_or_b32 exec_lo, exec_lo, s4
	v_mov_b32_e32 v4, s33
	s_waitcnt_vscnt null, 0x0
	s_barrier
	buffer_gl0_inv
	s_mov_b32 s4, exec_lo
	s_clause 0x3
	buffer_load_dword v1, v4, s[0:3], 0 offen
	buffer_load_dword v2, v4, s[0:3], 0 offen offset:4
	buffer_load_dword v3, v4, s[0:3], 0 offen offset:8
	;; [unrolled: 1-line block ×3, first 2 shown]
	s_waitcnt vmcnt(0)
	ds_write_b128 v5, v[1:4]
	s_waitcnt lgkmcnt(0)
	s_barrier
	buffer_gl0_inv
	v_cmpx_gt_u32_e32 33, v0
	s_cbranch_execz .LBB117_147
; %bb.144:
	v_mov_b32_e32 v1, 0
	v_mov_b32_e32 v3, 0
	v_add_nc_u32_e32 v7, -1, v0
	v_add_nc_u32_e32 v8, 0x360, v119
	v_mov_b32_e32 v2, 0
	v_mov_b32_e32 v4, 0
	v_add_nc_u32_e32 v117, 16, v119
	s_mov_b32 s5, 0
	.p2align	6
.LBB117_145:                            ; =>This Inner Loop Header: Depth=1
	s_clause 0x3
	buffer_load_dword v124, v117, s[0:3], 0 offen offset:8
	buffer_load_dword v125, v117, s[0:3], 0 offen offset:12
	buffer_load_dword v126, v117, s[0:3], 0 offen
	buffer_load_dword v127, v117, s[0:3], 0 offen offset:4
	ds_read_b128 v[120:123], v8
	v_add_nc_u32_e32 v7, 1, v7
	v_add_nc_u32_e32 v8, 16, v8
	;; [unrolled: 1-line block ×3, first 2 shown]
	v_cmp_lt_u32_e32 vcc_lo, 31, v7
	s_or_b32 s5, vcc_lo, s5
	s_waitcnt vmcnt(2) lgkmcnt(0)
	v_mul_f64 v[128:129], v[122:123], v[124:125]
	v_mul_f64 v[124:125], v[120:121], v[124:125]
	s_waitcnt vmcnt(0)
	v_fma_f64 v[120:121], v[120:121], v[126:127], -v[128:129]
	v_fma_f64 v[122:123], v[122:123], v[126:127], v[124:125]
	v_add_f64 v[3:4], v[3:4], v[120:121]
	v_add_f64 v[1:2], v[1:2], v[122:123]
	s_andn2_b32 exec_lo, exec_lo, s5
	s_cbranch_execnz .LBB117_145
; %bb.146:
	s_or_b32 exec_lo, exec_lo, s5
	v_mov_b32_e32 v7, 0
	ds_read_b128 v[120:123], v7 offset:528
	s_waitcnt lgkmcnt(0)
	v_mul_f64 v[7:8], v[1:2], v[122:123]
	v_mul_f64 v[117:118], v[3:4], v[122:123]
	v_fma_f64 v[3:4], v[3:4], v[120:121], -v[7:8]
	v_fma_f64 v[1:2], v[1:2], v[120:121], v[117:118]
	buffer_store_dword v4, off, s[0:3], 0 offset:548
	buffer_store_dword v3, off, s[0:3], 0 offset:544
	buffer_store_dword v2, off, s[0:3], 0 offset:556
	buffer_store_dword v1, off, s[0:3], 0 offset:552
.LBB117_147:
	s_or_b32 exec_lo, exec_lo, s4
	v_mov_b32_e32 v4, s31
	s_waitcnt_vscnt null, 0x0
	s_barrier
	buffer_gl0_inv
	s_mov_b32 s4, exec_lo
	s_clause 0x3
	buffer_load_dword v1, v4, s[0:3], 0 offen
	buffer_load_dword v2, v4, s[0:3], 0 offen offset:4
	buffer_load_dword v3, v4, s[0:3], 0 offen offset:8
	;; [unrolled: 1-line block ×3, first 2 shown]
	s_waitcnt vmcnt(0)
	ds_write_b128 v5, v[1:4]
	s_waitcnt lgkmcnt(0)
	s_barrier
	buffer_gl0_inv
	v_cmpx_gt_u32_e32 34, v0
	s_cbranch_execz .LBB117_151
; %bb.148:
	v_mov_b32_e32 v1, 0
	v_mov_b32_e32 v3, 0
	v_add_nc_u32_e32 v7, -1, v0
	v_add_nc_u32_e32 v8, 0x360, v119
	v_mov_b32_e32 v2, 0
	v_mov_b32_e32 v4, 0
	v_add_nc_u32_e32 v117, 16, v119
	s_mov_b32 s5, 0
	.p2align	6
.LBB117_149:                            ; =>This Inner Loop Header: Depth=1
	s_clause 0x3
	buffer_load_dword v124, v117, s[0:3], 0 offen offset:8
	buffer_load_dword v125, v117, s[0:3], 0 offen offset:12
	buffer_load_dword v126, v117, s[0:3], 0 offen
	buffer_load_dword v127, v117, s[0:3], 0 offen offset:4
	ds_read_b128 v[120:123], v8
	v_add_nc_u32_e32 v7, 1, v7
	v_add_nc_u32_e32 v8, 16, v8
	;; [unrolled: 1-line block ×3, first 2 shown]
	v_cmp_lt_u32_e32 vcc_lo, 32, v7
	s_or_b32 s5, vcc_lo, s5
	s_waitcnt vmcnt(2) lgkmcnt(0)
	v_mul_f64 v[128:129], v[122:123], v[124:125]
	v_mul_f64 v[124:125], v[120:121], v[124:125]
	s_waitcnt vmcnt(0)
	v_fma_f64 v[120:121], v[120:121], v[126:127], -v[128:129]
	v_fma_f64 v[122:123], v[122:123], v[126:127], v[124:125]
	v_add_f64 v[3:4], v[3:4], v[120:121]
	v_add_f64 v[1:2], v[1:2], v[122:123]
	s_andn2_b32 exec_lo, exec_lo, s5
	s_cbranch_execnz .LBB117_149
; %bb.150:
	s_or_b32 exec_lo, exec_lo, s5
	v_mov_b32_e32 v7, 0
	ds_read_b128 v[120:123], v7 offset:544
	s_waitcnt lgkmcnt(0)
	v_mul_f64 v[7:8], v[1:2], v[122:123]
	v_mul_f64 v[117:118], v[3:4], v[122:123]
	v_fma_f64 v[3:4], v[3:4], v[120:121], -v[7:8]
	v_fma_f64 v[1:2], v[1:2], v[120:121], v[117:118]
	buffer_store_dword v4, off, s[0:3], 0 offset:564
	buffer_store_dword v3, off, s[0:3], 0 offset:560
	;; [unrolled: 1-line block ×4, first 2 shown]
.LBB117_151:
	s_or_b32 exec_lo, exec_lo, s4
	v_mov_b32_e32 v4, s30
	s_waitcnt_vscnt null, 0x0
	s_barrier
	buffer_gl0_inv
	s_mov_b32 s4, exec_lo
	s_clause 0x3
	buffer_load_dword v1, v4, s[0:3], 0 offen
	buffer_load_dword v2, v4, s[0:3], 0 offen offset:4
	buffer_load_dword v3, v4, s[0:3], 0 offen offset:8
	;; [unrolled: 1-line block ×3, first 2 shown]
	s_waitcnt vmcnt(0)
	ds_write_b128 v5, v[1:4]
	s_waitcnt lgkmcnt(0)
	s_barrier
	buffer_gl0_inv
	v_cmpx_gt_u32_e32 35, v0
	s_cbranch_execz .LBB117_155
; %bb.152:
	v_mov_b32_e32 v1, 0
	v_mov_b32_e32 v3, 0
	v_add_nc_u32_e32 v7, -1, v0
	v_add_nc_u32_e32 v8, 0x360, v119
	v_mov_b32_e32 v2, 0
	v_mov_b32_e32 v4, 0
	v_add_nc_u32_e32 v117, 16, v119
	s_mov_b32 s5, 0
	.p2align	6
.LBB117_153:                            ; =>This Inner Loop Header: Depth=1
	s_clause 0x3
	buffer_load_dword v124, v117, s[0:3], 0 offen offset:8
	buffer_load_dword v125, v117, s[0:3], 0 offen offset:12
	buffer_load_dword v126, v117, s[0:3], 0 offen
	buffer_load_dword v127, v117, s[0:3], 0 offen offset:4
	ds_read_b128 v[120:123], v8
	v_add_nc_u32_e32 v7, 1, v7
	v_add_nc_u32_e32 v8, 16, v8
	;; [unrolled: 1-line block ×3, first 2 shown]
	v_cmp_lt_u32_e32 vcc_lo, 33, v7
	s_or_b32 s5, vcc_lo, s5
	s_waitcnt vmcnt(2) lgkmcnt(0)
	v_mul_f64 v[128:129], v[122:123], v[124:125]
	v_mul_f64 v[124:125], v[120:121], v[124:125]
	s_waitcnt vmcnt(0)
	v_fma_f64 v[120:121], v[120:121], v[126:127], -v[128:129]
	v_fma_f64 v[122:123], v[122:123], v[126:127], v[124:125]
	v_add_f64 v[3:4], v[3:4], v[120:121]
	v_add_f64 v[1:2], v[1:2], v[122:123]
	s_andn2_b32 exec_lo, exec_lo, s5
	s_cbranch_execnz .LBB117_153
; %bb.154:
	s_or_b32 exec_lo, exec_lo, s5
	v_mov_b32_e32 v7, 0
	ds_read_b128 v[120:123], v7 offset:560
	s_waitcnt lgkmcnt(0)
	v_mul_f64 v[7:8], v[1:2], v[122:123]
	v_mul_f64 v[117:118], v[3:4], v[122:123]
	v_fma_f64 v[3:4], v[3:4], v[120:121], -v[7:8]
	v_fma_f64 v[1:2], v[1:2], v[120:121], v[117:118]
	buffer_store_dword v4, off, s[0:3], 0 offset:580
	buffer_store_dword v3, off, s[0:3], 0 offset:576
	;; [unrolled: 1-line block ×4, first 2 shown]
.LBB117_155:
	s_or_b32 exec_lo, exec_lo, s4
	v_mov_b32_e32 v4, s29
	s_waitcnt_vscnt null, 0x0
	s_barrier
	buffer_gl0_inv
	s_mov_b32 s4, exec_lo
	s_clause 0x3
	buffer_load_dword v1, v4, s[0:3], 0 offen
	buffer_load_dword v2, v4, s[0:3], 0 offen offset:4
	buffer_load_dword v3, v4, s[0:3], 0 offen offset:8
	;; [unrolled: 1-line block ×3, first 2 shown]
	s_waitcnt vmcnt(0)
	ds_write_b128 v5, v[1:4]
	s_waitcnt lgkmcnt(0)
	s_barrier
	buffer_gl0_inv
	v_cmpx_gt_u32_e32 36, v0
	s_cbranch_execz .LBB117_159
; %bb.156:
	v_mov_b32_e32 v1, 0
	v_mov_b32_e32 v3, 0
	v_add_nc_u32_e32 v7, -1, v0
	v_add_nc_u32_e32 v8, 0x360, v119
	v_mov_b32_e32 v2, 0
	v_mov_b32_e32 v4, 0
	v_add_nc_u32_e32 v117, 16, v119
	s_mov_b32 s5, 0
	.p2align	6
.LBB117_157:                            ; =>This Inner Loop Header: Depth=1
	s_clause 0x3
	buffer_load_dword v124, v117, s[0:3], 0 offen offset:8
	buffer_load_dword v125, v117, s[0:3], 0 offen offset:12
	buffer_load_dword v126, v117, s[0:3], 0 offen
	buffer_load_dword v127, v117, s[0:3], 0 offen offset:4
	ds_read_b128 v[120:123], v8
	v_add_nc_u32_e32 v7, 1, v7
	v_add_nc_u32_e32 v8, 16, v8
	;; [unrolled: 1-line block ×3, first 2 shown]
	v_cmp_lt_u32_e32 vcc_lo, 34, v7
	s_or_b32 s5, vcc_lo, s5
	s_waitcnt vmcnt(2) lgkmcnt(0)
	v_mul_f64 v[128:129], v[122:123], v[124:125]
	v_mul_f64 v[124:125], v[120:121], v[124:125]
	s_waitcnt vmcnt(0)
	v_fma_f64 v[120:121], v[120:121], v[126:127], -v[128:129]
	v_fma_f64 v[122:123], v[122:123], v[126:127], v[124:125]
	v_add_f64 v[3:4], v[3:4], v[120:121]
	v_add_f64 v[1:2], v[1:2], v[122:123]
	s_andn2_b32 exec_lo, exec_lo, s5
	s_cbranch_execnz .LBB117_157
; %bb.158:
	s_or_b32 exec_lo, exec_lo, s5
	v_mov_b32_e32 v7, 0
	ds_read_b128 v[120:123], v7 offset:576
	s_waitcnt lgkmcnt(0)
	v_mul_f64 v[7:8], v[1:2], v[122:123]
	v_mul_f64 v[117:118], v[3:4], v[122:123]
	v_fma_f64 v[3:4], v[3:4], v[120:121], -v[7:8]
	v_fma_f64 v[1:2], v[1:2], v[120:121], v[117:118]
	buffer_store_dword v4, off, s[0:3], 0 offset:596
	buffer_store_dword v3, off, s[0:3], 0 offset:592
	;; [unrolled: 1-line block ×4, first 2 shown]
.LBB117_159:
	s_or_b32 exec_lo, exec_lo, s4
	v_mov_b32_e32 v4, s28
	s_waitcnt_vscnt null, 0x0
	s_barrier
	buffer_gl0_inv
	s_mov_b32 s4, exec_lo
	s_clause 0x3
	buffer_load_dword v1, v4, s[0:3], 0 offen
	buffer_load_dword v2, v4, s[0:3], 0 offen offset:4
	buffer_load_dword v3, v4, s[0:3], 0 offen offset:8
	;; [unrolled: 1-line block ×3, first 2 shown]
	s_waitcnt vmcnt(0)
	ds_write_b128 v5, v[1:4]
	s_waitcnt lgkmcnt(0)
	s_barrier
	buffer_gl0_inv
	v_cmpx_gt_u32_e32 37, v0
	s_cbranch_execz .LBB117_163
; %bb.160:
	v_mov_b32_e32 v1, 0
	v_mov_b32_e32 v3, 0
	v_add_nc_u32_e32 v7, -1, v0
	v_add_nc_u32_e32 v8, 0x360, v119
	v_mov_b32_e32 v2, 0
	v_mov_b32_e32 v4, 0
	v_add_nc_u32_e32 v117, 16, v119
	s_mov_b32 s5, 0
	.p2align	6
.LBB117_161:                            ; =>This Inner Loop Header: Depth=1
	s_clause 0x3
	buffer_load_dword v124, v117, s[0:3], 0 offen offset:8
	buffer_load_dword v125, v117, s[0:3], 0 offen offset:12
	buffer_load_dword v126, v117, s[0:3], 0 offen
	buffer_load_dword v127, v117, s[0:3], 0 offen offset:4
	ds_read_b128 v[120:123], v8
	v_add_nc_u32_e32 v7, 1, v7
	v_add_nc_u32_e32 v8, 16, v8
	;; [unrolled: 1-line block ×3, first 2 shown]
	v_cmp_lt_u32_e32 vcc_lo, 35, v7
	s_or_b32 s5, vcc_lo, s5
	s_waitcnt vmcnt(2) lgkmcnt(0)
	v_mul_f64 v[128:129], v[122:123], v[124:125]
	v_mul_f64 v[124:125], v[120:121], v[124:125]
	s_waitcnt vmcnt(0)
	v_fma_f64 v[120:121], v[120:121], v[126:127], -v[128:129]
	v_fma_f64 v[122:123], v[122:123], v[126:127], v[124:125]
	v_add_f64 v[3:4], v[3:4], v[120:121]
	v_add_f64 v[1:2], v[1:2], v[122:123]
	s_andn2_b32 exec_lo, exec_lo, s5
	s_cbranch_execnz .LBB117_161
; %bb.162:
	s_or_b32 exec_lo, exec_lo, s5
	v_mov_b32_e32 v7, 0
	ds_read_b128 v[120:123], v7 offset:592
	s_waitcnt lgkmcnt(0)
	v_mul_f64 v[7:8], v[1:2], v[122:123]
	v_mul_f64 v[117:118], v[3:4], v[122:123]
	v_fma_f64 v[3:4], v[3:4], v[120:121], -v[7:8]
	v_fma_f64 v[1:2], v[1:2], v[120:121], v[117:118]
	buffer_store_dword v4, off, s[0:3], 0 offset:612
	buffer_store_dword v3, off, s[0:3], 0 offset:608
	;; [unrolled: 1-line block ×4, first 2 shown]
.LBB117_163:
	s_or_b32 exec_lo, exec_lo, s4
	v_mov_b32_e32 v4, s27
	s_waitcnt_vscnt null, 0x0
	s_barrier
	buffer_gl0_inv
	s_mov_b32 s4, exec_lo
	s_clause 0x3
	buffer_load_dword v1, v4, s[0:3], 0 offen
	buffer_load_dword v2, v4, s[0:3], 0 offen offset:4
	buffer_load_dword v3, v4, s[0:3], 0 offen offset:8
	;; [unrolled: 1-line block ×3, first 2 shown]
	s_waitcnt vmcnt(0)
	ds_write_b128 v5, v[1:4]
	s_waitcnt lgkmcnt(0)
	s_barrier
	buffer_gl0_inv
	v_cmpx_gt_u32_e32 38, v0
	s_cbranch_execz .LBB117_167
; %bb.164:
	v_mov_b32_e32 v1, 0
	v_mov_b32_e32 v3, 0
	v_add_nc_u32_e32 v7, -1, v0
	v_add_nc_u32_e32 v8, 0x360, v119
	v_mov_b32_e32 v2, 0
	v_mov_b32_e32 v4, 0
	v_add_nc_u32_e32 v117, 16, v119
	s_mov_b32 s5, 0
	.p2align	6
.LBB117_165:                            ; =>This Inner Loop Header: Depth=1
	s_clause 0x3
	buffer_load_dword v124, v117, s[0:3], 0 offen offset:8
	buffer_load_dword v125, v117, s[0:3], 0 offen offset:12
	buffer_load_dword v126, v117, s[0:3], 0 offen
	buffer_load_dword v127, v117, s[0:3], 0 offen offset:4
	ds_read_b128 v[120:123], v8
	v_add_nc_u32_e32 v7, 1, v7
	v_add_nc_u32_e32 v8, 16, v8
	;; [unrolled: 1-line block ×3, first 2 shown]
	v_cmp_lt_u32_e32 vcc_lo, 36, v7
	s_or_b32 s5, vcc_lo, s5
	s_waitcnt vmcnt(2) lgkmcnt(0)
	v_mul_f64 v[128:129], v[122:123], v[124:125]
	v_mul_f64 v[124:125], v[120:121], v[124:125]
	s_waitcnt vmcnt(0)
	v_fma_f64 v[120:121], v[120:121], v[126:127], -v[128:129]
	v_fma_f64 v[122:123], v[122:123], v[126:127], v[124:125]
	v_add_f64 v[3:4], v[3:4], v[120:121]
	v_add_f64 v[1:2], v[1:2], v[122:123]
	s_andn2_b32 exec_lo, exec_lo, s5
	s_cbranch_execnz .LBB117_165
; %bb.166:
	s_or_b32 exec_lo, exec_lo, s5
	v_mov_b32_e32 v7, 0
	ds_read_b128 v[120:123], v7 offset:608
	s_waitcnt lgkmcnt(0)
	v_mul_f64 v[7:8], v[1:2], v[122:123]
	v_mul_f64 v[117:118], v[3:4], v[122:123]
	v_fma_f64 v[3:4], v[3:4], v[120:121], -v[7:8]
	v_fma_f64 v[1:2], v[1:2], v[120:121], v[117:118]
	buffer_store_dword v4, off, s[0:3], 0 offset:628
	buffer_store_dword v3, off, s[0:3], 0 offset:624
	;; [unrolled: 1-line block ×4, first 2 shown]
.LBB117_167:
	s_or_b32 exec_lo, exec_lo, s4
	v_mov_b32_e32 v4, s26
	s_waitcnt_vscnt null, 0x0
	s_barrier
	buffer_gl0_inv
	s_mov_b32 s4, exec_lo
	s_clause 0x3
	buffer_load_dword v1, v4, s[0:3], 0 offen
	buffer_load_dword v2, v4, s[0:3], 0 offen offset:4
	buffer_load_dword v3, v4, s[0:3], 0 offen offset:8
	;; [unrolled: 1-line block ×3, first 2 shown]
	s_waitcnt vmcnt(0)
	ds_write_b128 v5, v[1:4]
	s_waitcnt lgkmcnt(0)
	s_barrier
	buffer_gl0_inv
	v_cmpx_gt_u32_e32 39, v0
	s_cbranch_execz .LBB117_171
; %bb.168:
	v_mov_b32_e32 v1, 0
	v_mov_b32_e32 v3, 0
	v_add_nc_u32_e32 v7, -1, v0
	v_add_nc_u32_e32 v8, 0x360, v119
	v_mov_b32_e32 v2, 0
	v_mov_b32_e32 v4, 0
	v_add_nc_u32_e32 v117, 16, v119
	s_mov_b32 s5, 0
	.p2align	6
.LBB117_169:                            ; =>This Inner Loop Header: Depth=1
	s_clause 0x3
	buffer_load_dword v124, v117, s[0:3], 0 offen offset:8
	buffer_load_dword v125, v117, s[0:3], 0 offen offset:12
	buffer_load_dword v126, v117, s[0:3], 0 offen
	buffer_load_dword v127, v117, s[0:3], 0 offen offset:4
	ds_read_b128 v[120:123], v8
	v_add_nc_u32_e32 v7, 1, v7
	v_add_nc_u32_e32 v8, 16, v8
	v_add_nc_u32_e32 v117, 16, v117
	v_cmp_lt_u32_e32 vcc_lo, 37, v7
	s_or_b32 s5, vcc_lo, s5
	s_waitcnt vmcnt(2) lgkmcnt(0)
	v_mul_f64 v[128:129], v[122:123], v[124:125]
	v_mul_f64 v[124:125], v[120:121], v[124:125]
	s_waitcnt vmcnt(0)
	v_fma_f64 v[120:121], v[120:121], v[126:127], -v[128:129]
	v_fma_f64 v[122:123], v[122:123], v[126:127], v[124:125]
	v_add_f64 v[3:4], v[3:4], v[120:121]
	v_add_f64 v[1:2], v[1:2], v[122:123]
	s_andn2_b32 exec_lo, exec_lo, s5
	s_cbranch_execnz .LBB117_169
; %bb.170:
	s_or_b32 exec_lo, exec_lo, s5
	v_mov_b32_e32 v7, 0
	ds_read_b128 v[120:123], v7 offset:624
	s_waitcnt lgkmcnt(0)
	v_mul_f64 v[7:8], v[1:2], v[122:123]
	v_mul_f64 v[117:118], v[3:4], v[122:123]
	v_fma_f64 v[3:4], v[3:4], v[120:121], -v[7:8]
	v_fma_f64 v[1:2], v[1:2], v[120:121], v[117:118]
	buffer_store_dword v4, off, s[0:3], 0 offset:644
	buffer_store_dword v3, off, s[0:3], 0 offset:640
	;; [unrolled: 1-line block ×4, first 2 shown]
.LBB117_171:
	s_or_b32 exec_lo, exec_lo, s4
	v_mov_b32_e32 v4, s25
	s_waitcnt_vscnt null, 0x0
	s_barrier
	buffer_gl0_inv
	s_mov_b32 s4, exec_lo
	s_clause 0x3
	buffer_load_dword v1, v4, s[0:3], 0 offen
	buffer_load_dword v2, v4, s[0:3], 0 offen offset:4
	buffer_load_dword v3, v4, s[0:3], 0 offen offset:8
	buffer_load_dword v4, v4, s[0:3], 0 offen offset:12
	s_waitcnt vmcnt(0)
	ds_write_b128 v5, v[1:4]
	s_waitcnt lgkmcnt(0)
	s_barrier
	buffer_gl0_inv
	v_cmpx_gt_u32_e32 40, v0
	s_cbranch_execz .LBB117_175
; %bb.172:
	v_mov_b32_e32 v1, 0
	v_mov_b32_e32 v3, 0
	v_add_nc_u32_e32 v7, -1, v0
	v_add_nc_u32_e32 v8, 0x360, v119
	v_mov_b32_e32 v2, 0
	v_mov_b32_e32 v4, 0
	v_add_nc_u32_e32 v117, 16, v119
	s_mov_b32 s5, 0
	.p2align	6
.LBB117_173:                            ; =>This Inner Loop Header: Depth=1
	s_clause 0x3
	buffer_load_dword v124, v117, s[0:3], 0 offen offset:8
	buffer_load_dword v125, v117, s[0:3], 0 offen offset:12
	buffer_load_dword v126, v117, s[0:3], 0 offen
	buffer_load_dword v127, v117, s[0:3], 0 offen offset:4
	ds_read_b128 v[120:123], v8
	v_add_nc_u32_e32 v7, 1, v7
	v_add_nc_u32_e32 v8, 16, v8
	;; [unrolled: 1-line block ×3, first 2 shown]
	v_cmp_lt_u32_e32 vcc_lo, 38, v7
	s_or_b32 s5, vcc_lo, s5
	s_waitcnt vmcnt(2) lgkmcnt(0)
	v_mul_f64 v[128:129], v[122:123], v[124:125]
	v_mul_f64 v[124:125], v[120:121], v[124:125]
	s_waitcnt vmcnt(0)
	v_fma_f64 v[120:121], v[120:121], v[126:127], -v[128:129]
	v_fma_f64 v[122:123], v[122:123], v[126:127], v[124:125]
	v_add_f64 v[3:4], v[3:4], v[120:121]
	v_add_f64 v[1:2], v[1:2], v[122:123]
	s_andn2_b32 exec_lo, exec_lo, s5
	s_cbranch_execnz .LBB117_173
; %bb.174:
	s_or_b32 exec_lo, exec_lo, s5
	v_mov_b32_e32 v7, 0
	ds_read_b128 v[120:123], v7 offset:640
	s_waitcnt lgkmcnt(0)
	v_mul_f64 v[7:8], v[1:2], v[122:123]
	v_mul_f64 v[117:118], v[3:4], v[122:123]
	v_fma_f64 v[3:4], v[3:4], v[120:121], -v[7:8]
	v_fma_f64 v[1:2], v[1:2], v[120:121], v[117:118]
	buffer_store_dword v4, off, s[0:3], 0 offset:660
	buffer_store_dword v3, off, s[0:3], 0 offset:656
	;; [unrolled: 1-line block ×4, first 2 shown]
.LBB117_175:
	s_or_b32 exec_lo, exec_lo, s4
	v_mov_b32_e32 v4, s24
	s_waitcnt_vscnt null, 0x0
	s_barrier
	buffer_gl0_inv
	s_mov_b32 s4, exec_lo
	s_clause 0x3
	buffer_load_dword v1, v4, s[0:3], 0 offen
	buffer_load_dword v2, v4, s[0:3], 0 offen offset:4
	buffer_load_dword v3, v4, s[0:3], 0 offen offset:8
	;; [unrolled: 1-line block ×3, first 2 shown]
	s_waitcnt vmcnt(0)
	ds_write_b128 v5, v[1:4]
	s_waitcnt lgkmcnt(0)
	s_barrier
	buffer_gl0_inv
	v_cmpx_gt_u32_e32 41, v0
	s_cbranch_execz .LBB117_179
; %bb.176:
	v_mov_b32_e32 v1, 0
	v_mov_b32_e32 v3, 0
	v_add_nc_u32_e32 v7, -1, v0
	v_add_nc_u32_e32 v8, 0x360, v119
	v_mov_b32_e32 v2, 0
	v_mov_b32_e32 v4, 0
	v_add_nc_u32_e32 v117, 16, v119
	s_mov_b32 s5, 0
	.p2align	6
.LBB117_177:                            ; =>This Inner Loop Header: Depth=1
	s_clause 0x3
	buffer_load_dword v124, v117, s[0:3], 0 offen offset:8
	buffer_load_dword v125, v117, s[0:3], 0 offen offset:12
	buffer_load_dword v126, v117, s[0:3], 0 offen
	buffer_load_dword v127, v117, s[0:3], 0 offen offset:4
	ds_read_b128 v[120:123], v8
	v_add_nc_u32_e32 v7, 1, v7
	v_add_nc_u32_e32 v8, 16, v8
	v_add_nc_u32_e32 v117, 16, v117
	v_cmp_lt_u32_e32 vcc_lo, 39, v7
	s_or_b32 s5, vcc_lo, s5
	s_waitcnt vmcnt(2) lgkmcnt(0)
	v_mul_f64 v[128:129], v[122:123], v[124:125]
	v_mul_f64 v[124:125], v[120:121], v[124:125]
	s_waitcnt vmcnt(0)
	v_fma_f64 v[120:121], v[120:121], v[126:127], -v[128:129]
	v_fma_f64 v[122:123], v[122:123], v[126:127], v[124:125]
	v_add_f64 v[3:4], v[3:4], v[120:121]
	v_add_f64 v[1:2], v[1:2], v[122:123]
	s_andn2_b32 exec_lo, exec_lo, s5
	s_cbranch_execnz .LBB117_177
; %bb.178:
	s_or_b32 exec_lo, exec_lo, s5
	v_mov_b32_e32 v7, 0
	ds_read_b128 v[120:123], v7 offset:656
	s_waitcnt lgkmcnt(0)
	v_mul_f64 v[7:8], v[1:2], v[122:123]
	v_mul_f64 v[117:118], v[3:4], v[122:123]
	v_fma_f64 v[3:4], v[3:4], v[120:121], -v[7:8]
	v_fma_f64 v[1:2], v[1:2], v[120:121], v[117:118]
	buffer_store_dword v4, off, s[0:3], 0 offset:676
	buffer_store_dword v3, off, s[0:3], 0 offset:672
	;; [unrolled: 1-line block ×4, first 2 shown]
.LBB117_179:
	s_or_b32 exec_lo, exec_lo, s4
	v_mov_b32_e32 v4, s23
	s_waitcnt_vscnt null, 0x0
	s_barrier
	buffer_gl0_inv
	s_mov_b32 s4, exec_lo
	s_clause 0x3
	buffer_load_dword v1, v4, s[0:3], 0 offen
	buffer_load_dword v2, v4, s[0:3], 0 offen offset:4
	buffer_load_dword v3, v4, s[0:3], 0 offen offset:8
	;; [unrolled: 1-line block ×3, first 2 shown]
	s_waitcnt vmcnt(0)
	ds_write_b128 v5, v[1:4]
	s_waitcnt lgkmcnt(0)
	s_barrier
	buffer_gl0_inv
	v_cmpx_gt_u32_e32 42, v0
	s_cbranch_execz .LBB117_183
; %bb.180:
	v_mov_b32_e32 v1, 0
	v_mov_b32_e32 v3, 0
	v_add_nc_u32_e32 v7, -1, v0
	v_add_nc_u32_e32 v8, 0x360, v119
	v_mov_b32_e32 v2, 0
	v_mov_b32_e32 v4, 0
	v_add_nc_u32_e32 v117, 16, v119
	s_mov_b32 s5, 0
	.p2align	6
.LBB117_181:                            ; =>This Inner Loop Header: Depth=1
	s_clause 0x3
	buffer_load_dword v124, v117, s[0:3], 0 offen offset:8
	buffer_load_dword v125, v117, s[0:3], 0 offen offset:12
	buffer_load_dword v126, v117, s[0:3], 0 offen
	buffer_load_dword v127, v117, s[0:3], 0 offen offset:4
	ds_read_b128 v[120:123], v8
	v_add_nc_u32_e32 v7, 1, v7
	v_add_nc_u32_e32 v8, 16, v8
	;; [unrolled: 1-line block ×3, first 2 shown]
	v_cmp_lt_u32_e32 vcc_lo, 40, v7
	s_or_b32 s5, vcc_lo, s5
	s_waitcnt vmcnt(2) lgkmcnt(0)
	v_mul_f64 v[128:129], v[122:123], v[124:125]
	v_mul_f64 v[124:125], v[120:121], v[124:125]
	s_waitcnt vmcnt(0)
	v_fma_f64 v[120:121], v[120:121], v[126:127], -v[128:129]
	v_fma_f64 v[122:123], v[122:123], v[126:127], v[124:125]
	v_add_f64 v[3:4], v[3:4], v[120:121]
	v_add_f64 v[1:2], v[1:2], v[122:123]
	s_andn2_b32 exec_lo, exec_lo, s5
	s_cbranch_execnz .LBB117_181
; %bb.182:
	s_or_b32 exec_lo, exec_lo, s5
	v_mov_b32_e32 v7, 0
	ds_read_b128 v[120:123], v7 offset:672
	s_waitcnt lgkmcnt(0)
	v_mul_f64 v[7:8], v[1:2], v[122:123]
	v_mul_f64 v[117:118], v[3:4], v[122:123]
	v_fma_f64 v[3:4], v[3:4], v[120:121], -v[7:8]
	v_fma_f64 v[1:2], v[1:2], v[120:121], v[117:118]
	buffer_store_dword v4, off, s[0:3], 0 offset:692
	buffer_store_dword v3, off, s[0:3], 0 offset:688
	;; [unrolled: 1-line block ×4, first 2 shown]
.LBB117_183:
	s_or_b32 exec_lo, exec_lo, s4
	v_mov_b32_e32 v4, s22
	s_waitcnt_vscnt null, 0x0
	s_barrier
	buffer_gl0_inv
	s_mov_b32 s4, exec_lo
	s_clause 0x3
	buffer_load_dword v1, v4, s[0:3], 0 offen
	buffer_load_dword v2, v4, s[0:3], 0 offen offset:4
	buffer_load_dword v3, v4, s[0:3], 0 offen offset:8
	;; [unrolled: 1-line block ×3, first 2 shown]
	s_waitcnt vmcnt(0)
	ds_write_b128 v5, v[1:4]
	s_waitcnt lgkmcnt(0)
	s_barrier
	buffer_gl0_inv
	v_cmpx_gt_u32_e32 43, v0
	s_cbranch_execz .LBB117_187
; %bb.184:
	v_mov_b32_e32 v1, 0
	v_mov_b32_e32 v3, 0
	v_add_nc_u32_e32 v7, -1, v0
	v_add_nc_u32_e32 v8, 0x360, v119
	v_mov_b32_e32 v2, 0
	v_mov_b32_e32 v4, 0
	v_add_nc_u32_e32 v117, 16, v119
	s_mov_b32 s5, 0
	.p2align	6
.LBB117_185:                            ; =>This Inner Loop Header: Depth=1
	s_clause 0x3
	buffer_load_dword v124, v117, s[0:3], 0 offen offset:8
	buffer_load_dword v125, v117, s[0:3], 0 offen offset:12
	buffer_load_dword v126, v117, s[0:3], 0 offen
	buffer_load_dword v127, v117, s[0:3], 0 offen offset:4
	ds_read_b128 v[120:123], v8
	v_add_nc_u32_e32 v7, 1, v7
	v_add_nc_u32_e32 v8, 16, v8
	;; [unrolled: 1-line block ×3, first 2 shown]
	v_cmp_lt_u32_e32 vcc_lo, 41, v7
	s_or_b32 s5, vcc_lo, s5
	s_waitcnt vmcnt(2) lgkmcnt(0)
	v_mul_f64 v[128:129], v[122:123], v[124:125]
	v_mul_f64 v[124:125], v[120:121], v[124:125]
	s_waitcnt vmcnt(0)
	v_fma_f64 v[120:121], v[120:121], v[126:127], -v[128:129]
	v_fma_f64 v[122:123], v[122:123], v[126:127], v[124:125]
	v_add_f64 v[3:4], v[3:4], v[120:121]
	v_add_f64 v[1:2], v[1:2], v[122:123]
	s_andn2_b32 exec_lo, exec_lo, s5
	s_cbranch_execnz .LBB117_185
; %bb.186:
	s_or_b32 exec_lo, exec_lo, s5
	v_mov_b32_e32 v7, 0
	ds_read_b128 v[120:123], v7 offset:688
	s_waitcnt lgkmcnt(0)
	v_mul_f64 v[7:8], v[1:2], v[122:123]
	v_mul_f64 v[117:118], v[3:4], v[122:123]
	v_fma_f64 v[3:4], v[3:4], v[120:121], -v[7:8]
	v_fma_f64 v[1:2], v[1:2], v[120:121], v[117:118]
	buffer_store_dword v4, off, s[0:3], 0 offset:708
	buffer_store_dword v3, off, s[0:3], 0 offset:704
	;; [unrolled: 1-line block ×4, first 2 shown]
.LBB117_187:
	s_or_b32 exec_lo, exec_lo, s4
	v_mov_b32_e32 v4, s21
	s_waitcnt_vscnt null, 0x0
	s_barrier
	buffer_gl0_inv
	s_mov_b32 s4, exec_lo
	s_clause 0x3
	buffer_load_dword v1, v4, s[0:3], 0 offen
	buffer_load_dword v2, v4, s[0:3], 0 offen offset:4
	buffer_load_dword v3, v4, s[0:3], 0 offen offset:8
	buffer_load_dword v4, v4, s[0:3], 0 offen offset:12
	s_waitcnt vmcnt(0)
	ds_write_b128 v5, v[1:4]
	s_waitcnt lgkmcnt(0)
	s_barrier
	buffer_gl0_inv
	v_cmpx_gt_u32_e32 44, v0
	s_cbranch_execz .LBB117_191
; %bb.188:
	v_mov_b32_e32 v1, 0
	v_mov_b32_e32 v3, 0
	v_add_nc_u32_e32 v7, -1, v0
	v_add_nc_u32_e32 v8, 0x360, v119
	v_mov_b32_e32 v2, 0
	v_mov_b32_e32 v4, 0
	v_add_nc_u32_e32 v117, 16, v119
	s_mov_b32 s5, 0
	.p2align	6
.LBB117_189:                            ; =>This Inner Loop Header: Depth=1
	s_clause 0x3
	buffer_load_dword v124, v117, s[0:3], 0 offen offset:8
	buffer_load_dword v125, v117, s[0:3], 0 offen offset:12
	buffer_load_dword v126, v117, s[0:3], 0 offen
	buffer_load_dword v127, v117, s[0:3], 0 offen offset:4
	ds_read_b128 v[120:123], v8
	v_add_nc_u32_e32 v7, 1, v7
	v_add_nc_u32_e32 v8, 16, v8
	;; [unrolled: 1-line block ×3, first 2 shown]
	v_cmp_lt_u32_e32 vcc_lo, 42, v7
	s_or_b32 s5, vcc_lo, s5
	s_waitcnt vmcnt(2) lgkmcnt(0)
	v_mul_f64 v[128:129], v[122:123], v[124:125]
	v_mul_f64 v[124:125], v[120:121], v[124:125]
	s_waitcnt vmcnt(0)
	v_fma_f64 v[120:121], v[120:121], v[126:127], -v[128:129]
	v_fma_f64 v[122:123], v[122:123], v[126:127], v[124:125]
	v_add_f64 v[3:4], v[3:4], v[120:121]
	v_add_f64 v[1:2], v[1:2], v[122:123]
	s_andn2_b32 exec_lo, exec_lo, s5
	s_cbranch_execnz .LBB117_189
; %bb.190:
	s_or_b32 exec_lo, exec_lo, s5
	v_mov_b32_e32 v7, 0
	ds_read_b128 v[120:123], v7 offset:704
	s_waitcnt lgkmcnt(0)
	v_mul_f64 v[7:8], v[1:2], v[122:123]
	v_mul_f64 v[117:118], v[3:4], v[122:123]
	v_fma_f64 v[3:4], v[3:4], v[120:121], -v[7:8]
	v_fma_f64 v[1:2], v[1:2], v[120:121], v[117:118]
	buffer_store_dword v4, off, s[0:3], 0 offset:724
	buffer_store_dword v3, off, s[0:3], 0 offset:720
	;; [unrolled: 1-line block ×4, first 2 shown]
.LBB117_191:
	s_or_b32 exec_lo, exec_lo, s4
	v_mov_b32_e32 v4, s20
	s_waitcnt_vscnt null, 0x0
	s_barrier
	buffer_gl0_inv
	s_mov_b32 s4, exec_lo
	s_clause 0x3
	buffer_load_dword v1, v4, s[0:3], 0 offen
	buffer_load_dword v2, v4, s[0:3], 0 offen offset:4
	buffer_load_dword v3, v4, s[0:3], 0 offen offset:8
	;; [unrolled: 1-line block ×3, first 2 shown]
	s_waitcnt vmcnt(0)
	ds_write_b128 v5, v[1:4]
	s_waitcnt lgkmcnt(0)
	s_barrier
	buffer_gl0_inv
	v_cmpx_gt_u32_e32 45, v0
	s_cbranch_execz .LBB117_195
; %bb.192:
	v_mov_b32_e32 v1, 0
	v_mov_b32_e32 v3, 0
	v_add_nc_u32_e32 v7, -1, v0
	v_add_nc_u32_e32 v8, 0x360, v119
	v_mov_b32_e32 v2, 0
	v_mov_b32_e32 v4, 0
	v_add_nc_u32_e32 v117, 16, v119
	s_mov_b32 s5, 0
	.p2align	6
.LBB117_193:                            ; =>This Inner Loop Header: Depth=1
	s_clause 0x3
	buffer_load_dword v124, v117, s[0:3], 0 offen offset:8
	buffer_load_dword v125, v117, s[0:3], 0 offen offset:12
	buffer_load_dword v126, v117, s[0:3], 0 offen
	buffer_load_dword v127, v117, s[0:3], 0 offen offset:4
	ds_read_b128 v[120:123], v8
	v_add_nc_u32_e32 v7, 1, v7
	v_add_nc_u32_e32 v8, 16, v8
	;; [unrolled: 1-line block ×3, first 2 shown]
	v_cmp_lt_u32_e32 vcc_lo, 43, v7
	s_or_b32 s5, vcc_lo, s5
	s_waitcnt vmcnt(2) lgkmcnt(0)
	v_mul_f64 v[128:129], v[122:123], v[124:125]
	v_mul_f64 v[124:125], v[120:121], v[124:125]
	s_waitcnt vmcnt(0)
	v_fma_f64 v[120:121], v[120:121], v[126:127], -v[128:129]
	v_fma_f64 v[122:123], v[122:123], v[126:127], v[124:125]
	v_add_f64 v[3:4], v[3:4], v[120:121]
	v_add_f64 v[1:2], v[1:2], v[122:123]
	s_andn2_b32 exec_lo, exec_lo, s5
	s_cbranch_execnz .LBB117_193
; %bb.194:
	s_or_b32 exec_lo, exec_lo, s5
	v_mov_b32_e32 v7, 0
	ds_read_b128 v[120:123], v7 offset:720
	s_waitcnt lgkmcnt(0)
	v_mul_f64 v[7:8], v[1:2], v[122:123]
	v_mul_f64 v[117:118], v[3:4], v[122:123]
	v_fma_f64 v[3:4], v[3:4], v[120:121], -v[7:8]
	v_fma_f64 v[1:2], v[1:2], v[120:121], v[117:118]
	buffer_store_dword v4, off, s[0:3], 0 offset:740
	buffer_store_dword v3, off, s[0:3], 0 offset:736
	;; [unrolled: 1-line block ×4, first 2 shown]
.LBB117_195:
	s_or_b32 exec_lo, exec_lo, s4
	v_mov_b32_e32 v4, s19
	s_waitcnt_vscnt null, 0x0
	s_barrier
	buffer_gl0_inv
	s_mov_b32 s4, exec_lo
	s_clause 0x3
	buffer_load_dword v1, v4, s[0:3], 0 offen
	buffer_load_dword v2, v4, s[0:3], 0 offen offset:4
	buffer_load_dword v3, v4, s[0:3], 0 offen offset:8
	;; [unrolled: 1-line block ×3, first 2 shown]
	s_waitcnt vmcnt(0)
	ds_write_b128 v5, v[1:4]
	s_waitcnt lgkmcnt(0)
	s_barrier
	buffer_gl0_inv
	v_cmpx_gt_u32_e32 46, v0
	s_cbranch_execz .LBB117_199
; %bb.196:
	v_mov_b32_e32 v1, 0
	v_mov_b32_e32 v3, 0
	v_add_nc_u32_e32 v7, -1, v0
	v_add_nc_u32_e32 v8, 0x360, v119
	v_mov_b32_e32 v2, 0
	v_mov_b32_e32 v4, 0
	v_add_nc_u32_e32 v117, 16, v119
	s_mov_b32 s5, 0
	.p2align	6
.LBB117_197:                            ; =>This Inner Loop Header: Depth=1
	s_clause 0x3
	buffer_load_dword v124, v117, s[0:3], 0 offen offset:8
	buffer_load_dword v125, v117, s[0:3], 0 offen offset:12
	buffer_load_dword v126, v117, s[0:3], 0 offen
	buffer_load_dword v127, v117, s[0:3], 0 offen offset:4
	ds_read_b128 v[120:123], v8
	v_add_nc_u32_e32 v7, 1, v7
	v_add_nc_u32_e32 v8, 16, v8
	;; [unrolled: 1-line block ×3, first 2 shown]
	v_cmp_lt_u32_e32 vcc_lo, 44, v7
	s_or_b32 s5, vcc_lo, s5
	s_waitcnt vmcnt(2) lgkmcnt(0)
	v_mul_f64 v[128:129], v[122:123], v[124:125]
	v_mul_f64 v[124:125], v[120:121], v[124:125]
	s_waitcnt vmcnt(0)
	v_fma_f64 v[120:121], v[120:121], v[126:127], -v[128:129]
	v_fma_f64 v[122:123], v[122:123], v[126:127], v[124:125]
	v_add_f64 v[3:4], v[3:4], v[120:121]
	v_add_f64 v[1:2], v[1:2], v[122:123]
	s_andn2_b32 exec_lo, exec_lo, s5
	s_cbranch_execnz .LBB117_197
; %bb.198:
	s_or_b32 exec_lo, exec_lo, s5
	v_mov_b32_e32 v7, 0
	ds_read_b128 v[120:123], v7 offset:736
	s_waitcnt lgkmcnt(0)
	v_mul_f64 v[7:8], v[1:2], v[122:123]
	v_mul_f64 v[117:118], v[3:4], v[122:123]
	v_fma_f64 v[3:4], v[3:4], v[120:121], -v[7:8]
	v_fma_f64 v[1:2], v[1:2], v[120:121], v[117:118]
	buffer_store_dword v4, off, s[0:3], 0 offset:756
	buffer_store_dword v3, off, s[0:3], 0 offset:752
	;; [unrolled: 1-line block ×4, first 2 shown]
.LBB117_199:
	s_or_b32 exec_lo, exec_lo, s4
	v_mov_b32_e32 v4, s18
	s_waitcnt_vscnt null, 0x0
	s_barrier
	buffer_gl0_inv
	s_mov_b32 s4, exec_lo
	s_clause 0x3
	buffer_load_dword v1, v4, s[0:3], 0 offen
	buffer_load_dword v2, v4, s[0:3], 0 offen offset:4
	buffer_load_dword v3, v4, s[0:3], 0 offen offset:8
	;; [unrolled: 1-line block ×3, first 2 shown]
	s_waitcnt vmcnt(0)
	ds_write_b128 v5, v[1:4]
	s_waitcnt lgkmcnt(0)
	s_barrier
	buffer_gl0_inv
	v_cmpx_gt_u32_e32 47, v0
	s_cbranch_execz .LBB117_203
; %bb.200:
	v_mov_b32_e32 v1, 0
	v_mov_b32_e32 v3, 0
	v_add_nc_u32_e32 v7, -1, v0
	v_add_nc_u32_e32 v8, 0x360, v119
	v_mov_b32_e32 v2, 0
	v_mov_b32_e32 v4, 0
	v_add_nc_u32_e32 v117, 16, v119
	s_mov_b32 s5, 0
	.p2align	6
.LBB117_201:                            ; =>This Inner Loop Header: Depth=1
	s_clause 0x3
	buffer_load_dword v124, v117, s[0:3], 0 offen offset:8
	buffer_load_dword v125, v117, s[0:3], 0 offen offset:12
	buffer_load_dword v126, v117, s[0:3], 0 offen
	buffer_load_dword v127, v117, s[0:3], 0 offen offset:4
	ds_read_b128 v[120:123], v8
	v_add_nc_u32_e32 v7, 1, v7
	v_add_nc_u32_e32 v8, 16, v8
	;; [unrolled: 1-line block ×3, first 2 shown]
	v_cmp_lt_u32_e32 vcc_lo, 45, v7
	s_or_b32 s5, vcc_lo, s5
	s_waitcnt vmcnt(2) lgkmcnt(0)
	v_mul_f64 v[128:129], v[122:123], v[124:125]
	v_mul_f64 v[124:125], v[120:121], v[124:125]
	s_waitcnt vmcnt(0)
	v_fma_f64 v[120:121], v[120:121], v[126:127], -v[128:129]
	v_fma_f64 v[122:123], v[122:123], v[126:127], v[124:125]
	v_add_f64 v[3:4], v[3:4], v[120:121]
	v_add_f64 v[1:2], v[1:2], v[122:123]
	s_andn2_b32 exec_lo, exec_lo, s5
	s_cbranch_execnz .LBB117_201
; %bb.202:
	s_or_b32 exec_lo, exec_lo, s5
	v_mov_b32_e32 v7, 0
	ds_read_b128 v[120:123], v7 offset:752
	s_waitcnt lgkmcnt(0)
	v_mul_f64 v[7:8], v[1:2], v[122:123]
	v_mul_f64 v[117:118], v[3:4], v[122:123]
	v_fma_f64 v[3:4], v[3:4], v[120:121], -v[7:8]
	v_fma_f64 v[1:2], v[1:2], v[120:121], v[117:118]
	buffer_store_dword v4, off, s[0:3], 0 offset:772
	buffer_store_dword v3, off, s[0:3], 0 offset:768
	;; [unrolled: 1-line block ×4, first 2 shown]
.LBB117_203:
	s_or_b32 exec_lo, exec_lo, s4
	v_mov_b32_e32 v4, s17
	s_waitcnt_vscnt null, 0x0
	s_barrier
	buffer_gl0_inv
	s_mov_b32 s4, exec_lo
	s_clause 0x3
	buffer_load_dword v1, v4, s[0:3], 0 offen
	buffer_load_dword v2, v4, s[0:3], 0 offen offset:4
	buffer_load_dword v3, v4, s[0:3], 0 offen offset:8
	;; [unrolled: 1-line block ×3, first 2 shown]
	s_waitcnt vmcnt(0)
	ds_write_b128 v5, v[1:4]
	s_waitcnt lgkmcnt(0)
	s_barrier
	buffer_gl0_inv
	v_cmpx_gt_u32_e32 48, v0
	s_cbranch_execz .LBB117_207
; %bb.204:
	v_mov_b32_e32 v1, 0
	v_mov_b32_e32 v3, 0
	v_add_nc_u32_e32 v7, -1, v0
	v_add_nc_u32_e32 v8, 0x360, v119
	v_mov_b32_e32 v2, 0
	v_mov_b32_e32 v4, 0
	v_add_nc_u32_e32 v117, 16, v119
	s_mov_b32 s5, 0
	.p2align	6
.LBB117_205:                            ; =>This Inner Loop Header: Depth=1
	s_clause 0x3
	buffer_load_dword v124, v117, s[0:3], 0 offen offset:8
	buffer_load_dword v125, v117, s[0:3], 0 offen offset:12
	buffer_load_dword v126, v117, s[0:3], 0 offen
	buffer_load_dword v127, v117, s[0:3], 0 offen offset:4
	ds_read_b128 v[120:123], v8
	v_add_nc_u32_e32 v7, 1, v7
	v_add_nc_u32_e32 v8, 16, v8
	v_add_nc_u32_e32 v117, 16, v117
	v_cmp_lt_u32_e32 vcc_lo, 46, v7
	s_or_b32 s5, vcc_lo, s5
	s_waitcnt vmcnt(2) lgkmcnt(0)
	v_mul_f64 v[128:129], v[122:123], v[124:125]
	v_mul_f64 v[124:125], v[120:121], v[124:125]
	s_waitcnt vmcnt(0)
	v_fma_f64 v[120:121], v[120:121], v[126:127], -v[128:129]
	v_fma_f64 v[122:123], v[122:123], v[126:127], v[124:125]
	v_add_f64 v[3:4], v[3:4], v[120:121]
	v_add_f64 v[1:2], v[1:2], v[122:123]
	s_andn2_b32 exec_lo, exec_lo, s5
	s_cbranch_execnz .LBB117_205
; %bb.206:
	s_or_b32 exec_lo, exec_lo, s5
	v_mov_b32_e32 v7, 0
	ds_read_b128 v[120:123], v7 offset:768
	s_waitcnt lgkmcnt(0)
	v_mul_f64 v[7:8], v[1:2], v[122:123]
	v_mul_f64 v[117:118], v[3:4], v[122:123]
	v_fma_f64 v[3:4], v[3:4], v[120:121], -v[7:8]
	v_fma_f64 v[1:2], v[1:2], v[120:121], v[117:118]
	buffer_store_dword v4, off, s[0:3], 0 offset:788
	buffer_store_dword v3, off, s[0:3], 0 offset:784
	;; [unrolled: 1-line block ×4, first 2 shown]
.LBB117_207:
	s_or_b32 exec_lo, exec_lo, s4
	v_mov_b32_e32 v4, s16
	s_waitcnt_vscnt null, 0x0
	s_barrier
	buffer_gl0_inv
	s_mov_b32 s4, exec_lo
	s_clause 0x3
	buffer_load_dword v1, v4, s[0:3], 0 offen
	buffer_load_dword v2, v4, s[0:3], 0 offen offset:4
	buffer_load_dword v3, v4, s[0:3], 0 offen offset:8
	;; [unrolled: 1-line block ×3, first 2 shown]
	s_waitcnt vmcnt(0)
	ds_write_b128 v5, v[1:4]
	s_waitcnt lgkmcnt(0)
	s_barrier
	buffer_gl0_inv
	v_cmpx_gt_u32_e32 49, v0
	s_cbranch_execz .LBB117_211
; %bb.208:
	v_mov_b32_e32 v1, 0
	v_mov_b32_e32 v3, 0
	v_add_nc_u32_e32 v7, -1, v0
	v_add_nc_u32_e32 v8, 0x360, v119
	v_mov_b32_e32 v2, 0
	v_mov_b32_e32 v4, 0
	v_add_nc_u32_e32 v117, 16, v119
	s_mov_b32 s5, 0
	.p2align	6
.LBB117_209:                            ; =>This Inner Loop Header: Depth=1
	s_clause 0x3
	buffer_load_dword v124, v117, s[0:3], 0 offen offset:8
	buffer_load_dword v125, v117, s[0:3], 0 offen offset:12
	buffer_load_dword v126, v117, s[0:3], 0 offen
	buffer_load_dword v127, v117, s[0:3], 0 offen offset:4
	ds_read_b128 v[120:123], v8
	v_add_nc_u32_e32 v7, 1, v7
	v_add_nc_u32_e32 v8, 16, v8
	;; [unrolled: 1-line block ×3, first 2 shown]
	v_cmp_lt_u32_e32 vcc_lo, 47, v7
	s_or_b32 s5, vcc_lo, s5
	s_waitcnt vmcnt(2) lgkmcnt(0)
	v_mul_f64 v[128:129], v[122:123], v[124:125]
	v_mul_f64 v[124:125], v[120:121], v[124:125]
	s_waitcnt vmcnt(0)
	v_fma_f64 v[120:121], v[120:121], v[126:127], -v[128:129]
	v_fma_f64 v[122:123], v[122:123], v[126:127], v[124:125]
	v_add_f64 v[3:4], v[3:4], v[120:121]
	v_add_f64 v[1:2], v[1:2], v[122:123]
	s_andn2_b32 exec_lo, exec_lo, s5
	s_cbranch_execnz .LBB117_209
; %bb.210:
	s_or_b32 exec_lo, exec_lo, s5
	v_mov_b32_e32 v7, 0
	ds_read_b128 v[120:123], v7 offset:784
	s_waitcnt lgkmcnt(0)
	v_mul_f64 v[7:8], v[1:2], v[122:123]
	v_mul_f64 v[117:118], v[3:4], v[122:123]
	v_fma_f64 v[3:4], v[3:4], v[120:121], -v[7:8]
	v_fma_f64 v[1:2], v[1:2], v[120:121], v[117:118]
	buffer_store_dword v4, off, s[0:3], 0 offset:804
	buffer_store_dword v3, off, s[0:3], 0 offset:800
	;; [unrolled: 1-line block ×4, first 2 shown]
.LBB117_211:
	s_or_b32 exec_lo, exec_lo, s4
	v_mov_b32_e32 v4, s15
	s_waitcnt_vscnt null, 0x0
	s_barrier
	buffer_gl0_inv
	s_mov_b32 s4, exec_lo
	s_clause 0x3
	buffer_load_dword v1, v4, s[0:3], 0 offen
	buffer_load_dword v2, v4, s[0:3], 0 offen offset:4
	buffer_load_dword v3, v4, s[0:3], 0 offen offset:8
	;; [unrolled: 1-line block ×3, first 2 shown]
	s_waitcnt vmcnt(0)
	ds_write_b128 v5, v[1:4]
	s_waitcnt lgkmcnt(0)
	s_barrier
	buffer_gl0_inv
	v_cmpx_gt_u32_e32 50, v0
	s_cbranch_execz .LBB117_215
; %bb.212:
	v_mov_b32_e32 v1, 0
	v_mov_b32_e32 v3, 0
	v_add_nc_u32_e32 v7, -1, v0
	v_add_nc_u32_e32 v8, 0x360, v119
	v_mov_b32_e32 v2, 0
	v_mov_b32_e32 v4, 0
	v_add_nc_u32_e32 v117, 16, v119
	s_mov_b32 s5, 0
	.p2align	6
.LBB117_213:                            ; =>This Inner Loop Header: Depth=1
	s_clause 0x3
	buffer_load_dword v124, v117, s[0:3], 0 offen offset:8
	buffer_load_dword v125, v117, s[0:3], 0 offen offset:12
	buffer_load_dword v126, v117, s[0:3], 0 offen
	buffer_load_dword v127, v117, s[0:3], 0 offen offset:4
	ds_read_b128 v[120:123], v8
	v_add_nc_u32_e32 v7, 1, v7
	v_add_nc_u32_e32 v8, 16, v8
	;; [unrolled: 1-line block ×3, first 2 shown]
	v_cmp_lt_u32_e32 vcc_lo, 48, v7
	s_or_b32 s5, vcc_lo, s5
	s_waitcnt vmcnt(2) lgkmcnt(0)
	v_mul_f64 v[128:129], v[122:123], v[124:125]
	v_mul_f64 v[124:125], v[120:121], v[124:125]
	s_waitcnt vmcnt(0)
	v_fma_f64 v[120:121], v[120:121], v[126:127], -v[128:129]
	v_fma_f64 v[122:123], v[122:123], v[126:127], v[124:125]
	v_add_f64 v[3:4], v[3:4], v[120:121]
	v_add_f64 v[1:2], v[1:2], v[122:123]
	s_andn2_b32 exec_lo, exec_lo, s5
	s_cbranch_execnz .LBB117_213
; %bb.214:
	s_or_b32 exec_lo, exec_lo, s5
	v_mov_b32_e32 v7, 0
	ds_read_b128 v[120:123], v7 offset:800
	s_waitcnt lgkmcnt(0)
	v_mul_f64 v[7:8], v[1:2], v[122:123]
	v_mul_f64 v[117:118], v[3:4], v[122:123]
	v_fma_f64 v[3:4], v[3:4], v[120:121], -v[7:8]
	v_fma_f64 v[1:2], v[1:2], v[120:121], v[117:118]
	buffer_store_dword v4, off, s[0:3], 0 offset:820
	buffer_store_dword v3, off, s[0:3], 0 offset:816
	buffer_store_dword v2, off, s[0:3], 0 offset:828
	buffer_store_dword v1, off, s[0:3], 0 offset:824
.LBB117_215:
	s_or_b32 exec_lo, exec_lo, s4
	v_mov_b32_e32 v4, s14
	s_waitcnt_vscnt null, 0x0
	s_barrier
	buffer_gl0_inv
	s_mov_b32 s4, exec_lo
	s_clause 0x3
	buffer_load_dword v1, v4, s[0:3], 0 offen
	buffer_load_dword v2, v4, s[0:3], 0 offen offset:4
	buffer_load_dword v3, v4, s[0:3], 0 offen offset:8
	;; [unrolled: 1-line block ×3, first 2 shown]
	s_waitcnt vmcnt(0)
	ds_write_b128 v5, v[1:4]
	s_waitcnt lgkmcnt(0)
	s_barrier
	buffer_gl0_inv
	v_cmpx_gt_u32_e32 51, v0
	s_cbranch_execz .LBB117_219
; %bb.216:
	v_mov_b32_e32 v1, 0
	v_mov_b32_e32 v3, 0
	v_add_nc_u32_e32 v7, -1, v0
	v_add_nc_u32_e32 v8, 0x360, v119
	v_mov_b32_e32 v2, 0
	v_mov_b32_e32 v4, 0
	v_add_nc_u32_e32 v117, 16, v119
	s_mov_b32 s5, 0
	.p2align	6
.LBB117_217:                            ; =>This Inner Loop Header: Depth=1
	s_clause 0x3
	buffer_load_dword v124, v117, s[0:3], 0 offen offset:8
	buffer_load_dword v125, v117, s[0:3], 0 offen offset:12
	buffer_load_dword v126, v117, s[0:3], 0 offen
	buffer_load_dword v127, v117, s[0:3], 0 offen offset:4
	ds_read_b128 v[120:123], v8
	v_add_nc_u32_e32 v7, 1, v7
	v_add_nc_u32_e32 v8, 16, v8
	;; [unrolled: 1-line block ×3, first 2 shown]
	v_cmp_lt_u32_e32 vcc_lo, 49, v7
	s_or_b32 s5, vcc_lo, s5
	s_waitcnt vmcnt(2) lgkmcnt(0)
	v_mul_f64 v[128:129], v[122:123], v[124:125]
	v_mul_f64 v[124:125], v[120:121], v[124:125]
	s_waitcnt vmcnt(0)
	v_fma_f64 v[120:121], v[120:121], v[126:127], -v[128:129]
	v_fma_f64 v[122:123], v[122:123], v[126:127], v[124:125]
	v_add_f64 v[3:4], v[3:4], v[120:121]
	v_add_f64 v[1:2], v[1:2], v[122:123]
	s_andn2_b32 exec_lo, exec_lo, s5
	s_cbranch_execnz .LBB117_217
; %bb.218:
	s_or_b32 exec_lo, exec_lo, s5
	v_mov_b32_e32 v7, 0
	ds_read_b128 v[120:123], v7 offset:816
	s_waitcnt lgkmcnt(0)
	v_mul_f64 v[7:8], v[1:2], v[122:123]
	v_mul_f64 v[117:118], v[3:4], v[122:123]
	v_fma_f64 v[3:4], v[3:4], v[120:121], -v[7:8]
	v_fma_f64 v[1:2], v[1:2], v[120:121], v[117:118]
	buffer_store_dword v4, off, s[0:3], 0 offset:836
	buffer_store_dword v3, off, s[0:3], 0 offset:832
	;; [unrolled: 1-line block ×4, first 2 shown]
.LBB117_219:
	s_or_b32 exec_lo, exec_lo, s4
	v_mov_b32_e32 v4, s9
	s_waitcnt_vscnt null, 0x0
	s_barrier
	buffer_gl0_inv
	s_mov_b32 s4, exec_lo
	s_clause 0x3
	buffer_load_dword v1, v4, s[0:3], 0 offen
	buffer_load_dword v2, v4, s[0:3], 0 offen offset:4
	buffer_load_dword v3, v4, s[0:3], 0 offen offset:8
	;; [unrolled: 1-line block ×3, first 2 shown]
	s_waitcnt vmcnt(0)
	ds_write_b128 v5, v[1:4]
	s_waitcnt lgkmcnt(0)
	s_barrier
	buffer_gl0_inv
	v_cmpx_gt_u32_e32 52, v0
	s_cbranch_execz .LBB117_223
; %bb.220:
	v_mov_b32_e32 v1, 0
	v_mov_b32_e32 v3, 0
	v_add_nc_u32_e32 v7, -1, v0
	v_add_nc_u32_e32 v8, 0x360, v119
	v_mov_b32_e32 v2, 0
	v_mov_b32_e32 v4, 0
	v_add_nc_u32_e32 v117, 16, v119
	s_mov_b32 s5, 0
	.p2align	6
.LBB117_221:                            ; =>This Inner Loop Header: Depth=1
	s_clause 0x3
	buffer_load_dword v124, v117, s[0:3], 0 offen offset:8
	buffer_load_dword v125, v117, s[0:3], 0 offen offset:12
	buffer_load_dword v126, v117, s[0:3], 0 offen
	buffer_load_dword v127, v117, s[0:3], 0 offen offset:4
	ds_read_b128 v[120:123], v8
	v_add_nc_u32_e32 v7, 1, v7
	v_add_nc_u32_e32 v8, 16, v8
	;; [unrolled: 1-line block ×3, first 2 shown]
	v_cmp_lt_u32_e32 vcc_lo, 50, v7
	s_or_b32 s5, vcc_lo, s5
	s_waitcnt vmcnt(2) lgkmcnt(0)
	v_mul_f64 v[128:129], v[122:123], v[124:125]
	v_mul_f64 v[124:125], v[120:121], v[124:125]
	s_waitcnt vmcnt(0)
	v_fma_f64 v[120:121], v[120:121], v[126:127], -v[128:129]
	v_fma_f64 v[122:123], v[122:123], v[126:127], v[124:125]
	v_add_f64 v[3:4], v[3:4], v[120:121]
	v_add_f64 v[1:2], v[1:2], v[122:123]
	s_andn2_b32 exec_lo, exec_lo, s5
	s_cbranch_execnz .LBB117_221
; %bb.222:
	s_or_b32 exec_lo, exec_lo, s5
	v_mov_b32_e32 v7, 0
	ds_read_b128 v[120:123], v7 offset:832
	s_waitcnt lgkmcnt(0)
	v_mul_f64 v[7:8], v[1:2], v[122:123]
	v_mul_f64 v[117:118], v[3:4], v[122:123]
	v_fma_f64 v[3:4], v[3:4], v[120:121], -v[7:8]
	v_fma_f64 v[1:2], v[1:2], v[120:121], v[117:118]
	buffer_store_dword v4, off, s[0:3], 0 offset:852
	buffer_store_dword v3, off, s[0:3], 0 offset:848
	;; [unrolled: 1-line block ×4, first 2 shown]
.LBB117_223:
	s_or_b32 exec_lo, exec_lo, s4
	v_mov_b32_e32 v4, s8
	s_waitcnt_vscnt null, 0x0
	s_barrier
	buffer_gl0_inv
	s_mov_b32 s4, exec_lo
	s_clause 0x3
	buffer_load_dword v1, v4, s[0:3], 0 offen
	buffer_load_dword v2, v4, s[0:3], 0 offen offset:4
	buffer_load_dword v3, v4, s[0:3], 0 offen offset:8
	;; [unrolled: 1-line block ×3, first 2 shown]
	s_waitcnt vmcnt(0)
	ds_write_b128 v5, v[1:4]
	s_waitcnt lgkmcnt(0)
	s_barrier
	buffer_gl0_inv
	v_cmpx_ne_u32_e32 53, v0
	s_cbranch_execz .LBB117_227
; %bb.224:
	v_mov_b32_e32 v1, 0
	v_mov_b32_e32 v3, 0
	;; [unrolled: 1-line block ×4, first 2 shown]
	v_add_nc_u32_e32 v7, 16, v119
	s_mov_b32 s5, 0
	.p2align	6
.LBB117_225:                            ; =>This Inner Loop Header: Depth=1
	s_clause 0x3
	buffer_load_dword v121, v7, s[0:3], 0 offen offset:8
	buffer_load_dword v122, v7, s[0:3], 0 offen offset:12
	buffer_load_dword v123, v7, s[0:3], 0 offen
	buffer_load_dword v124, v7, s[0:3], 0 offen offset:4
	ds_read_b128 v[117:120], v5
	v_add_nc_u32_e32 v6, 1, v6
	v_add_nc_u32_e32 v5, 16, v5
	;; [unrolled: 1-line block ×3, first 2 shown]
	v_cmp_lt_u32_e32 vcc_lo, 51, v6
	s_or_b32 s5, vcc_lo, s5
	s_waitcnt vmcnt(2) lgkmcnt(0)
	v_mul_f64 v[125:126], v[119:120], v[121:122]
	v_mul_f64 v[121:122], v[117:118], v[121:122]
	s_waitcnt vmcnt(0)
	v_fma_f64 v[117:118], v[117:118], v[123:124], -v[125:126]
	v_fma_f64 v[119:120], v[119:120], v[123:124], v[121:122]
	v_add_f64 v[3:4], v[3:4], v[117:118]
	v_add_f64 v[1:2], v[1:2], v[119:120]
	s_andn2_b32 exec_lo, exec_lo, s5
	s_cbranch_execnz .LBB117_225
; %bb.226:
	s_or_b32 exec_lo, exec_lo, s5
	v_mov_b32_e32 v5, 0
	ds_read_b128 v[5:8], v5 offset:848
	s_waitcnt lgkmcnt(0)
	v_mul_f64 v[117:118], v[1:2], v[7:8]
	v_mul_f64 v[7:8], v[3:4], v[7:8]
	v_fma_f64 v[3:4], v[3:4], v[5:6], -v[117:118]
	v_fma_f64 v[1:2], v[1:2], v[5:6], v[7:8]
	buffer_store_dword v4, off, s[0:3], 0 offset:868
	buffer_store_dword v3, off, s[0:3], 0 offset:864
	;; [unrolled: 1-line block ×4, first 2 shown]
.LBB117_227:
	s_or_b32 exec_lo, exec_lo, s4
	s_mov_b32 s5, -1
	s_waitcnt_vscnt null, 0x0
	s_barrier
	buffer_gl0_inv
.LBB117_228:
	s_and_b32 vcc_lo, exec_lo, s5
	s_cbranch_vccz .LBB117_230
; %bb.229:
	s_lshl_b64 s[4:5], s[6:7], 2
	v_mov_b32_e32 v1, 0
	s_add_u32 s4, s10, s4
	s_addc_u32 s5, s11, s5
	global_load_dword v1, v1, s[4:5]
	s_waitcnt vmcnt(0)
	v_cmp_ne_u32_e32 vcc_lo, 0, v1
	s_cbranch_vccz .LBB117_231
.LBB117_230:
	s_endpgm
.LBB117_231:
	v_lshl_add_u32 v177, v0, 4, 0x360
	s_mov_b32 s4, exec_lo
	v_cmpx_eq_u32_e32 53, v0
	s_cbranch_execz .LBB117_233
; %bb.232:
	v_mov_b32_e32 v4, s9
	v_mov_b32_e32 v5, 0
	s_clause 0x3
	buffer_load_dword v1, v4, s[0:3], 0 offen
	buffer_load_dword v2, v4, s[0:3], 0 offen offset:4
	buffer_load_dword v3, v4, s[0:3], 0 offen offset:8
	;; [unrolled: 1-line block ×3, first 2 shown]
	buffer_store_dword v5, off, s[0:3], 0 offset:848
	buffer_store_dword v5, off, s[0:3], 0 offset:852
	;; [unrolled: 1-line block ×4, first 2 shown]
	s_waitcnt vmcnt(0)
	ds_write_b128 v177, v[1:4]
.LBB117_233:
	s_or_b32 exec_lo, exec_lo, s4
	s_waitcnt lgkmcnt(0)
	s_waitcnt_vscnt null, 0x0
	s_barrier
	buffer_gl0_inv
	s_clause 0x7
	buffer_load_dword v6, off, s[0:3], 0 offset:872
	buffer_load_dword v7, off, s[0:3], 0 offset:876
	;; [unrolled: 1-line block ×8, first 2 shown]
	v_mov_b32_e32 v1, 0
	s_mov_b32 s4, exec_lo
	ds_read_b128 v[2:5], v1 offset:1712
	s_waitcnt vmcnt(6) lgkmcnt(0)
	v_mul_f64 v[123:124], v[4:5], v[6:7]
	v_mul_f64 v[6:7], v[2:3], v[6:7]
	s_waitcnt vmcnt(4)
	v_fma_f64 v[2:3], v[2:3], v[117:118], -v[123:124]
	v_fma_f64 v[4:5], v[4:5], v[117:118], v[6:7]
	v_add_f64 v[2:3], v[2:3], 0
	v_add_f64 v[4:5], v[4:5], 0
	s_waitcnt vmcnt(2)
	v_add_f64 v[2:3], v[119:120], -v[2:3]
	s_waitcnt vmcnt(0)
	v_add_f64 v[4:5], v[121:122], -v[4:5]
	buffer_store_dword v2, off, s[0:3], 0 offset:848
	buffer_store_dword v3, off, s[0:3], 0 offset:852
	;; [unrolled: 1-line block ×4, first 2 shown]
	v_cmpx_lt_u32_e32 51, v0
	s_cbranch_execz .LBB117_235
; %bb.234:
	v_mov_b32_e32 v5, s14
	s_clause 0x3
	buffer_load_dword v2, v5, s[0:3], 0 offen
	buffer_load_dword v3, v5, s[0:3], 0 offen offset:4
	buffer_load_dword v4, v5, s[0:3], 0 offen offset:8
	;; [unrolled: 1-line block ×3, first 2 shown]
	buffer_store_dword v1, off, s[0:3], 0 offset:832
	buffer_store_dword v1, off, s[0:3], 0 offset:836
	;; [unrolled: 1-line block ×4, first 2 shown]
	s_waitcnt vmcnt(0)
	ds_write_b128 v177, v[2:5]
.LBB117_235:
	s_or_b32 exec_lo, exec_lo, s4
	s_waitcnt lgkmcnt(0)
	s_waitcnt_vscnt null, 0x0
	s_barrier
	buffer_gl0_inv
	s_clause 0xb
	buffer_load_dword v6, off, s[0:3], 0 offset:856
	buffer_load_dword v7, off, s[0:3], 0 offset:860
	;; [unrolled: 1-line block ×12, first 2 shown]
	ds_read_b128 v[2:5], v1 offset:1696
	ds_read_b128 v[117:120], v1 offset:1712
	s_mov_b32 s4, exec_lo
	s_waitcnt vmcnt(10) lgkmcnt(1)
	v_mul_f64 v[131:132], v[4:5], v[6:7]
	v_mul_f64 v[6:7], v[2:3], v[6:7]
	s_waitcnt vmcnt(8) lgkmcnt(0)
	v_mul_f64 v[133:134], v[119:120], v[121:122]
	v_mul_f64 v[121:122], v[117:118], v[121:122]
	s_waitcnt vmcnt(6)
	v_fma_f64 v[1:2], v[2:3], v[123:124], -v[131:132]
	v_fma_f64 v[3:4], v[4:5], v[123:124], v[6:7]
	s_waitcnt vmcnt(4)
	v_fma_f64 v[5:6], v[117:118], v[125:126], -v[133:134]
	v_fma_f64 v[7:8], v[119:120], v[125:126], v[121:122]
	v_add_f64 v[1:2], v[1:2], 0
	v_add_f64 v[3:4], v[3:4], 0
	;; [unrolled: 1-line block ×4, first 2 shown]
	s_waitcnt vmcnt(2)
	v_add_f64 v[1:2], v[127:128], -v[1:2]
	s_waitcnt vmcnt(0)
	v_add_f64 v[3:4], v[129:130], -v[3:4]
	buffer_store_dword v1, off, s[0:3], 0 offset:832
	buffer_store_dword v2, off, s[0:3], 0 offset:836
	;; [unrolled: 1-line block ×4, first 2 shown]
	v_cmpx_lt_u32_e32 50, v0
	s_cbranch_execz .LBB117_237
; %bb.236:
	v_mov_b32_e32 v4, s15
	v_mov_b32_e32 v5, 0
	s_clause 0x3
	buffer_load_dword v1, v4, s[0:3], 0 offen
	buffer_load_dword v2, v4, s[0:3], 0 offen offset:4
	buffer_load_dword v3, v4, s[0:3], 0 offen offset:8
	;; [unrolled: 1-line block ×3, first 2 shown]
	buffer_store_dword v5, off, s[0:3], 0 offset:816
	buffer_store_dword v5, off, s[0:3], 0 offset:820
	;; [unrolled: 1-line block ×4, first 2 shown]
	s_waitcnt vmcnt(0)
	ds_write_b128 v177, v[1:4]
.LBB117_237:
	s_or_b32 exec_lo, exec_lo, s4
	s_waitcnt lgkmcnt(0)
	s_waitcnt_vscnt null, 0x0
	s_barrier
	buffer_gl0_inv
	s_clause 0xf
	buffer_load_dword v6, off, s[0:3], 0 offset:840
	buffer_load_dword v7, off, s[0:3], 0 offset:844
	;; [unrolled: 1-line block ×16, first 2 shown]
	v_mov_b32_e32 v1, 0
	ds_read_b128 v[2:5], v1 offset:1680
	ds_read_b128 v[117:120], v1 offset:1696
	;; [unrolled: 1-line block ×3, first 2 shown]
	s_mov_b32 s4, exec_lo
	s_waitcnt vmcnt(14) lgkmcnt(2)
	v_mul_f64 v[139:140], v[4:5], v[6:7]
	v_mul_f64 v[6:7], v[2:3], v[6:7]
	s_waitcnt vmcnt(12) lgkmcnt(1)
	v_mul_f64 v[141:142], v[119:120], v[125:126]
	v_mul_f64 v[125:126], v[117:118], v[125:126]
	s_waitcnt vmcnt(10)
	v_fma_f64 v[2:3], v[2:3], v[127:128], -v[139:140]
	v_fma_f64 v[4:5], v[4:5], v[127:128], v[6:7]
	s_waitcnt vmcnt(8) lgkmcnt(0)
	v_mul_f64 v[127:128], v[123:124], v[129:130]
	s_waitcnt vmcnt(6)
	v_fma_f64 v[117:118], v[117:118], v[131:132], -v[141:142]
	v_mul_f64 v[6:7], v[121:122], v[129:130]
	v_fma_f64 v[119:120], v[119:120], v[131:132], v[125:126]
	v_add_f64 v[2:3], v[2:3], 0
	v_add_f64 v[4:5], v[4:5], 0
	s_waitcnt vmcnt(4)
	v_fma_f64 v[121:122], v[121:122], v[133:134], -v[127:128]
	v_fma_f64 v[6:7], v[123:124], v[133:134], v[6:7]
	v_add_f64 v[2:3], v[2:3], v[117:118]
	v_add_f64 v[4:5], v[4:5], v[119:120]
	;; [unrolled: 1-line block ×4, first 2 shown]
	s_waitcnt vmcnt(2)
	v_add_f64 v[2:3], v[135:136], -v[2:3]
	s_waitcnt vmcnt(0)
	v_add_f64 v[4:5], v[137:138], -v[4:5]
	buffer_store_dword v2, off, s[0:3], 0 offset:816
	buffer_store_dword v3, off, s[0:3], 0 offset:820
	;; [unrolled: 1-line block ×4, first 2 shown]
	v_cmpx_lt_u32_e32 49, v0
	s_cbranch_execz .LBB117_239
; %bb.238:
	v_mov_b32_e32 v5, s16
	s_clause 0x3
	buffer_load_dword v2, v5, s[0:3], 0 offen
	buffer_load_dword v3, v5, s[0:3], 0 offen offset:4
	buffer_load_dword v4, v5, s[0:3], 0 offen offset:8
	;; [unrolled: 1-line block ×3, first 2 shown]
	buffer_store_dword v1, off, s[0:3], 0 offset:800
	buffer_store_dword v1, off, s[0:3], 0 offset:804
	;; [unrolled: 1-line block ×4, first 2 shown]
	s_waitcnt vmcnt(0)
	ds_write_b128 v177, v[2:5]
.LBB117_239:
	s_or_b32 exec_lo, exec_lo, s4
	s_waitcnt lgkmcnt(0)
	s_waitcnt_vscnt null, 0x0
	s_barrier
	buffer_gl0_inv
	s_clause 0x13
	buffer_load_dword v6, off, s[0:3], 0 offset:824
	buffer_load_dword v7, off, s[0:3], 0 offset:828
	;; [unrolled: 1-line block ×20, first 2 shown]
	ds_read_b128 v[2:5], v1 offset:1664
	ds_read_b128 v[117:120], v1 offset:1680
	;; [unrolled: 1-line block ×3, first 2 shown]
	s_mov_b32 s4, exec_lo
	s_waitcnt vmcnt(18) lgkmcnt(2)
	v_mul_f64 v[143:144], v[4:5], v[6:7]
	v_mul_f64 v[6:7], v[2:3], v[6:7]
	s_waitcnt vmcnt(16) lgkmcnt(1)
	v_mul_f64 v[145:146], v[119:120], v[125:126]
	v_mul_f64 v[125:126], v[117:118], v[125:126]
	s_waitcnt vmcnt(14)
	v_fma_f64 v[143:144], v[2:3], v[127:128], -v[143:144]
	v_fma_f64 v[5:6], v[4:5], v[127:128], v[6:7]
	s_waitcnt vmcnt(12) lgkmcnt(0)
	v_mul_f64 v[7:8], v[121:122], v[129:130]
	v_mul_f64 v[127:128], v[123:124], v[129:130]
	s_waitcnt vmcnt(10)
	v_fma_f64 v[117:118], v[117:118], v[131:132], -v[145:146]
	ds_read_b128 v[1:4], v1 offset:1712
	v_fma_f64 v[119:120], v[119:120], v[131:132], v[125:126]
	v_add_f64 v[129:130], v[143:144], 0
	v_add_f64 v[5:6], v[5:6], 0
	s_waitcnt vmcnt(6)
	v_fma_f64 v[7:8], v[123:124], v[135:136], v[7:8]
	s_waitcnt lgkmcnt(0)
	v_mul_f64 v[131:132], v[3:4], v[133:134]
	v_fma_f64 v[121:122], v[121:122], v[135:136], -v[127:128]
	v_mul_f64 v[125:126], v[1:2], v[133:134]
	v_add_f64 v[117:118], v[129:130], v[117:118]
	v_add_f64 v[5:6], v[5:6], v[119:120]
	s_waitcnt vmcnt(4)
	v_fma_f64 v[1:2], v[1:2], v[137:138], -v[131:132]
	v_fma_f64 v[3:4], v[3:4], v[137:138], v[125:126]
	v_add_f64 v[117:118], v[117:118], v[121:122]
	v_add_f64 v[5:6], v[5:6], v[7:8]
	;; [unrolled: 1-line block ×4, first 2 shown]
	s_waitcnt vmcnt(2)
	v_add_f64 v[1:2], v[139:140], -v[1:2]
	s_waitcnt vmcnt(0)
	v_add_f64 v[3:4], v[141:142], -v[3:4]
	buffer_store_dword v1, off, s[0:3], 0 offset:800
	buffer_store_dword v2, off, s[0:3], 0 offset:804
	;; [unrolled: 1-line block ×4, first 2 shown]
	v_cmpx_lt_u32_e32 48, v0
	s_cbranch_execz .LBB117_241
; %bb.240:
	v_mov_b32_e32 v4, s17
	v_mov_b32_e32 v5, 0
	s_clause 0x3
	buffer_load_dword v1, v4, s[0:3], 0 offen
	buffer_load_dword v2, v4, s[0:3], 0 offen offset:4
	buffer_load_dword v3, v4, s[0:3], 0 offen offset:8
	;; [unrolled: 1-line block ×3, first 2 shown]
	buffer_store_dword v5, off, s[0:3], 0 offset:784
	buffer_store_dword v5, off, s[0:3], 0 offset:788
	;; [unrolled: 1-line block ×4, first 2 shown]
	s_waitcnt vmcnt(0)
	ds_write_b128 v177, v[1:4]
.LBB117_241:
	s_or_b32 exec_lo, exec_lo, s4
	s_waitcnt lgkmcnt(0)
	s_waitcnt_vscnt null, 0x0
	s_barrier
	buffer_gl0_inv
	s_clause 0x17
	buffer_load_dword v6, off, s[0:3], 0 offset:808
	buffer_load_dword v7, off, s[0:3], 0 offset:812
	;; [unrolled: 1-line block ×24, first 2 shown]
	v_mov_b32_e32 v1, 0
	ds_read_b128 v[2:5], v1 offset:1648
	ds_read_b128 v[117:120], v1 offset:1664
	;; [unrolled: 1-line block ×3, first 2 shown]
	s_mov_b32 s4, exec_lo
	s_waitcnt vmcnt(22) lgkmcnt(2)
	v_mul_f64 v[147:148], v[4:5], v[6:7]
	v_mul_f64 v[6:7], v[2:3], v[6:7]
	s_waitcnt vmcnt(20) lgkmcnt(1)
	v_mul_f64 v[149:150], v[119:120], v[125:126]
	v_mul_f64 v[125:126], v[117:118], v[125:126]
	s_waitcnt vmcnt(18)
	v_fma_f64 v[147:148], v[2:3], v[127:128], -v[147:148]
	v_fma_f64 v[6:7], v[4:5], v[127:128], v[6:7]
	ds_read_b128 v[2:5], v1 offset:1696
	s_waitcnt vmcnt(16) lgkmcnt(1)
	v_mul_f64 v[127:128], v[121:122], v[129:130]
	v_mul_f64 v[129:130], v[123:124], v[129:130]
	s_waitcnt vmcnt(14)
	v_fma_f64 v[149:150], v[117:118], v[131:132], -v[149:150]
	v_fma_f64 v[125:126], v[119:120], v[131:132], v[125:126]
	ds_read_b128 v[117:120], v1 offset:1712
	s_waitcnt vmcnt(10) lgkmcnt(1)
	v_mul_f64 v[131:132], v[2:3], v[133:134]
	v_add_f64 v[147:148], v[147:148], 0
	v_add_f64 v[6:7], v[6:7], 0
	v_mul_f64 v[133:134], v[4:5], v[133:134]
	s_waitcnt vmcnt(8)
	v_fma_f64 v[121:122], v[121:122], v[139:140], -v[129:130]
	v_fma_f64 v[123:124], v[123:124], v[139:140], v[127:128]
	s_waitcnt vmcnt(7) lgkmcnt(0)
	v_mul_f64 v[127:128], v[119:120], v[135:136]
	s_waitcnt vmcnt(5)
	v_fma_f64 v[4:5], v[4:5], v[141:142], v[131:132]
	v_add_f64 v[129:130], v[147:148], v[149:150]
	v_add_f64 v[6:7], v[6:7], v[125:126]
	v_fma_f64 v[2:3], v[2:3], v[141:142], -v[133:134]
	v_mul_f64 v[125:126], v[117:118], v[135:136]
	s_waitcnt vmcnt(4)
	v_fma_f64 v[117:118], v[117:118], v[137:138], -v[127:128]
	v_add_f64 v[121:122], v[129:130], v[121:122]
	v_add_f64 v[6:7], v[6:7], v[123:124]
	v_fma_f64 v[119:120], v[119:120], v[137:138], v[125:126]
	v_add_f64 v[2:3], v[121:122], v[2:3]
	v_add_f64 v[4:5], v[6:7], v[4:5]
	;; [unrolled: 1-line block ×4, first 2 shown]
	s_waitcnt vmcnt(2)
	v_add_f64 v[2:3], v[143:144], -v[2:3]
	s_waitcnt vmcnt(0)
	v_add_f64 v[4:5], v[145:146], -v[4:5]
	buffer_store_dword v3, off, s[0:3], 0 offset:788
	buffer_store_dword v2, off, s[0:3], 0 offset:784
	;; [unrolled: 1-line block ×4, first 2 shown]
	v_cmpx_lt_u32_e32 47, v0
	s_cbranch_execz .LBB117_243
; %bb.242:
	v_mov_b32_e32 v5, s18
	s_clause 0x3
	buffer_load_dword v2, v5, s[0:3], 0 offen
	buffer_load_dword v3, v5, s[0:3], 0 offen offset:4
	buffer_load_dword v4, v5, s[0:3], 0 offen offset:8
	;; [unrolled: 1-line block ×3, first 2 shown]
	buffer_store_dword v1, off, s[0:3], 0 offset:768
	buffer_store_dword v1, off, s[0:3], 0 offset:772
	buffer_store_dword v1, off, s[0:3], 0 offset:776
	buffer_store_dword v1, off, s[0:3], 0 offset:780
	s_waitcnt vmcnt(0)
	ds_write_b128 v177, v[2:5]
.LBB117_243:
	s_or_b32 exec_lo, exec_lo, s4
	s_waitcnt lgkmcnt(0)
	s_waitcnt_vscnt null, 0x0
	s_barrier
	buffer_gl0_inv
	s_clause 0x1b
	buffer_load_dword v6, off, s[0:3], 0 offset:792
	buffer_load_dword v7, off, s[0:3], 0 offset:796
	;; [unrolled: 1-line block ×28, first 2 shown]
	ds_read_b128 v[2:5], v1 offset:1632
	ds_read_b128 v[117:120], v1 offset:1648
	;; [unrolled: 1-line block ×3, first 2 shown]
	s_mov_b32 s4, exec_lo
	s_waitcnt vmcnt(26) lgkmcnt(2)
	v_mul_f64 v[151:152], v[4:5], v[6:7]
	v_mul_f64 v[6:7], v[2:3], v[6:7]
	s_waitcnt vmcnt(24) lgkmcnt(1)
	v_mul_f64 v[153:154], v[119:120], v[125:126]
	v_mul_f64 v[125:126], v[117:118], v[125:126]
	s_waitcnt vmcnt(22)
	v_fma_f64 v[151:152], v[2:3], v[127:128], -v[151:152]
	v_fma_f64 v[6:7], v[4:5], v[127:128], v[6:7]
	ds_read_b128 v[2:5], v1 offset:1680
	s_waitcnt vmcnt(20) lgkmcnt(1)
	v_mul_f64 v[127:128], v[121:122], v[129:130]
	v_mul_f64 v[129:130], v[123:124], v[129:130]
	s_waitcnt vmcnt(18)
	v_fma_f64 v[153:154], v[117:118], v[131:132], -v[153:154]
	v_fma_f64 v[125:126], v[119:120], v[131:132], v[125:126]
	ds_read_b128 v[117:120], v1 offset:1696
	s_waitcnt vmcnt(14) lgkmcnt(1)
	v_mul_f64 v[131:132], v[2:3], v[133:134]
	v_add_f64 v[151:152], v[151:152], 0
	v_add_f64 v[6:7], v[6:7], 0
	v_mul_f64 v[133:134], v[4:5], v[133:134]
	s_waitcnt vmcnt(12)
	v_fma_f64 v[129:130], v[121:122], v[139:140], -v[129:130]
	v_fma_f64 v[127:128], v[123:124], v[139:140], v[127:128]
	ds_read_b128 v[121:124], v1 offset:1712
	v_add_f64 v[151:152], v[151:152], v[153:154]
	v_add_f64 v[6:7], v[6:7], v[125:126]
	s_waitcnt vmcnt(11) lgkmcnt(1)
	v_mul_f64 v[125:126], v[117:118], v[135:136]
	v_mul_f64 v[135:136], v[119:120], v[135:136]
	s_waitcnt vmcnt(9)
	v_fma_f64 v[1:2], v[2:3], v[141:142], -v[133:134]
	v_fma_f64 v[3:4], v[4:5], v[141:142], v[131:132]
	v_add_f64 v[129:130], v[151:152], v[129:130]
	v_add_f64 v[5:6], v[6:7], v[127:128]
	s_waitcnt vmcnt(7) lgkmcnt(0)
	v_mul_f64 v[127:128], v[123:124], v[143:144]
	s_waitcnt vmcnt(6)
	v_fma_f64 v[117:118], v[117:118], v[137:138], -v[135:136]
	v_mul_f64 v[7:8], v[121:122], v[143:144]
	v_fma_f64 v[119:120], v[119:120], v[137:138], v[125:126]
	v_add_f64 v[1:2], v[129:130], v[1:2]
	v_add_f64 v[3:4], v[5:6], v[3:4]
	s_waitcnt vmcnt(4)
	v_fma_f64 v[5:6], v[121:122], v[145:146], -v[127:128]
	v_fma_f64 v[7:8], v[123:124], v[145:146], v[7:8]
	v_add_f64 v[1:2], v[1:2], v[117:118]
	v_add_f64 v[3:4], v[3:4], v[119:120]
	;; [unrolled: 1-line block ×4, first 2 shown]
	s_waitcnt vmcnt(2)
	v_add_f64 v[1:2], v[147:148], -v[1:2]
	s_waitcnt vmcnt(0)
	v_add_f64 v[3:4], v[149:150], -v[3:4]
	buffer_store_dword v2, off, s[0:3], 0 offset:772
	buffer_store_dword v1, off, s[0:3], 0 offset:768
	;; [unrolled: 1-line block ×4, first 2 shown]
	v_cmpx_lt_u32_e32 46, v0
	s_cbranch_execz .LBB117_245
; %bb.244:
	v_mov_b32_e32 v4, s19
	v_mov_b32_e32 v5, 0
	s_clause 0x3
	buffer_load_dword v1, v4, s[0:3], 0 offen
	buffer_load_dword v2, v4, s[0:3], 0 offen offset:4
	buffer_load_dword v3, v4, s[0:3], 0 offen offset:8
	;; [unrolled: 1-line block ×3, first 2 shown]
	buffer_store_dword v5, off, s[0:3], 0 offset:752
	buffer_store_dword v5, off, s[0:3], 0 offset:756
	;; [unrolled: 1-line block ×4, first 2 shown]
	s_waitcnt vmcnt(0)
	ds_write_b128 v177, v[1:4]
.LBB117_245:
	s_or_b32 exec_lo, exec_lo, s4
	s_waitcnt lgkmcnt(0)
	s_waitcnt_vscnt null, 0x0
	s_barrier
	buffer_gl0_inv
	s_clause 0x1f
	buffer_load_dword v6, off, s[0:3], 0 offset:776
	buffer_load_dword v7, off, s[0:3], 0 offset:780
	;; [unrolled: 1-line block ×32, first 2 shown]
	v_mov_b32_e32 v1, 0
	ds_read_b128 v[2:5], v1 offset:1616
	ds_read_b128 v[117:120], v1 offset:1632
	;; [unrolled: 1-line block ×3, first 2 shown]
	s_mov_b32 s4, exec_lo
	s_waitcnt vmcnt(30) lgkmcnt(2)
	v_mul_f64 v[155:156], v[4:5], v[6:7]
	v_mul_f64 v[6:7], v[2:3], v[6:7]
	s_waitcnt vmcnt(28) lgkmcnt(1)
	v_mul_f64 v[157:158], v[119:120], v[125:126]
	v_mul_f64 v[125:126], v[117:118], v[125:126]
	s_waitcnt vmcnt(26)
	v_fma_f64 v[155:156], v[2:3], v[127:128], -v[155:156]
	v_fma_f64 v[6:7], v[4:5], v[127:128], v[6:7]
	ds_read_b128 v[2:5], v1 offset:1664
	s_waitcnt vmcnt(24) lgkmcnt(1)
	v_mul_f64 v[127:128], v[121:122], v[129:130]
	v_mul_f64 v[129:130], v[123:124], v[129:130]
	s_waitcnt vmcnt(22)
	v_fma_f64 v[157:158], v[117:118], v[131:132], -v[157:158]
	v_fma_f64 v[125:126], v[119:120], v[131:132], v[125:126]
	ds_read_b128 v[117:120], v1 offset:1680
	s_waitcnt vmcnt(18) lgkmcnt(1)
	v_mul_f64 v[131:132], v[2:3], v[133:134]
	v_add_f64 v[155:156], v[155:156], 0
	v_add_f64 v[6:7], v[6:7], 0
	v_mul_f64 v[133:134], v[4:5], v[133:134]
	s_waitcnt vmcnt(16)
	v_fma_f64 v[129:130], v[121:122], v[139:140], -v[129:130]
	v_fma_f64 v[127:128], v[123:124], v[139:140], v[127:128]
	ds_read_b128 v[121:124], v1 offset:1696
	s_waitcnt vmcnt(13)
	v_fma_f64 v[131:132], v[4:5], v[141:142], v[131:132]
	v_add_f64 v[155:156], v[155:156], v[157:158]
	v_add_f64 v[6:7], v[6:7], v[125:126]
	s_waitcnt lgkmcnt(1)
	v_mul_f64 v[125:126], v[117:118], v[135:136]
	v_mul_f64 v[135:136], v[119:120], v[135:136]
	v_fma_f64 v[133:134], v[2:3], v[141:142], -v[133:134]
	s_waitcnt vmcnt(9) lgkmcnt(0)
	v_mul_f64 v[139:140], v[123:124], v[143:144]
	ds_read_b128 v[2:5], v1 offset:1712
	v_add_f64 v[129:130], v[155:156], v[129:130]
	v_add_f64 v[6:7], v[6:7], v[127:128]
	v_mul_f64 v[127:128], v[121:122], v[143:144]
	s_waitcnt vmcnt(8)
	v_fma_f64 v[117:118], v[117:118], v[137:138], -v[135:136]
	v_fma_f64 v[119:120], v[119:120], v[137:138], v[125:126]
	s_waitcnt vmcnt(5)
	v_fma_f64 v[121:122], v[121:122], v[149:150], -v[139:140]
	s_waitcnt lgkmcnt(0)
	v_mul_f64 v[125:126], v[2:3], v[145:146]
	v_add_f64 v[129:130], v[129:130], v[133:134]
	v_add_f64 v[6:7], v[6:7], v[131:132]
	v_mul_f64 v[131:132], v[4:5], v[145:146]
	v_fma_f64 v[123:124], v[123:124], v[149:150], v[127:128]
	s_waitcnt vmcnt(4)
	v_fma_f64 v[4:5], v[4:5], v[147:148], v[125:126]
	v_add_f64 v[117:118], v[129:130], v[117:118]
	v_add_f64 v[6:7], v[6:7], v[119:120]
	v_fma_f64 v[2:3], v[2:3], v[147:148], -v[131:132]
	v_add_f64 v[117:118], v[117:118], v[121:122]
	v_add_f64 v[6:7], v[6:7], v[123:124]
	;; [unrolled: 1-line block ×4, first 2 shown]
	s_waitcnt vmcnt(2)
	v_add_f64 v[2:3], v[151:152], -v[2:3]
	s_waitcnt vmcnt(0)
	v_add_f64 v[4:5], v[153:154], -v[4:5]
	buffer_store_dword v3, off, s[0:3], 0 offset:756
	buffer_store_dword v2, off, s[0:3], 0 offset:752
	;; [unrolled: 1-line block ×4, first 2 shown]
	v_cmpx_lt_u32_e32 45, v0
	s_cbranch_execz .LBB117_247
; %bb.246:
	v_mov_b32_e32 v5, s20
	s_clause 0x3
	buffer_load_dword v2, v5, s[0:3], 0 offen
	buffer_load_dword v3, v5, s[0:3], 0 offen offset:4
	buffer_load_dword v4, v5, s[0:3], 0 offen offset:8
	;; [unrolled: 1-line block ×3, first 2 shown]
	buffer_store_dword v1, off, s[0:3], 0 offset:736
	buffer_store_dword v1, off, s[0:3], 0 offset:740
	buffer_store_dword v1, off, s[0:3], 0 offset:744
	buffer_store_dword v1, off, s[0:3], 0 offset:748
	s_waitcnt vmcnt(0)
	ds_write_b128 v177, v[2:5]
.LBB117_247:
	s_or_b32 exec_lo, exec_lo, s4
	s_waitcnt lgkmcnt(0)
	s_waitcnt_vscnt null, 0x0
	s_barrier
	buffer_gl0_inv
	s_clause 0x23
	buffer_load_dword v6, off, s[0:3], 0 offset:760
	buffer_load_dword v7, off, s[0:3], 0 offset:764
	;; [unrolled: 1-line block ×36, first 2 shown]
	ds_read_b128 v[2:5], v1 offset:1600
	ds_read_b128 v[117:120], v1 offset:1616
	;; [unrolled: 1-line block ×3, first 2 shown]
	s_mov_b32 s4, exec_lo
	s_waitcnt vmcnt(34) lgkmcnt(2)
	v_mul_f64 v[159:160], v[4:5], v[6:7]
	v_mul_f64 v[6:7], v[2:3], v[6:7]
	s_waitcnt vmcnt(32) lgkmcnt(1)
	v_mul_f64 v[161:162], v[119:120], v[125:126]
	v_mul_f64 v[125:126], v[117:118], v[125:126]
	s_waitcnt vmcnt(30)
	v_fma_f64 v[159:160], v[2:3], v[127:128], -v[159:160]
	v_fma_f64 v[6:7], v[4:5], v[127:128], v[6:7]
	ds_read_b128 v[2:5], v1 offset:1648
	s_waitcnt vmcnt(28) lgkmcnt(1)
	v_mul_f64 v[127:128], v[121:122], v[129:130]
	v_mul_f64 v[129:130], v[123:124], v[129:130]
	s_waitcnt vmcnt(26)
	v_fma_f64 v[161:162], v[117:118], v[131:132], -v[161:162]
	v_fma_f64 v[125:126], v[119:120], v[131:132], v[125:126]
	ds_read_b128 v[117:120], v1 offset:1664
	s_waitcnt vmcnt(22) lgkmcnt(1)
	v_mul_f64 v[131:132], v[2:3], v[133:134]
	v_add_f64 v[159:160], v[159:160], 0
	v_add_f64 v[6:7], v[6:7], 0
	v_mul_f64 v[133:134], v[4:5], v[133:134]
	s_waitcnt vmcnt(20)
	v_fma_f64 v[129:130], v[121:122], v[139:140], -v[129:130]
	v_fma_f64 v[127:128], v[123:124], v[139:140], v[127:128]
	ds_read_b128 v[121:124], v1 offset:1680
	s_waitcnt vmcnt(17)
	v_fma_f64 v[131:132], v[4:5], v[141:142], v[131:132]
	v_add_f64 v[159:160], v[159:160], v[161:162]
	v_add_f64 v[6:7], v[6:7], v[125:126]
	s_waitcnt lgkmcnt(1)
	v_mul_f64 v[125:126], v[117:118], v[135:136]
	v_mul_f64 v[135:136], v[119:120], v[135:136]
	v_fma_f64 v[133:134], v[2:3], v[141:142], -v[133:134]
	s_waitcnt vmcnt(13) lgkmcnt(0)
	v_mul_f64 v[139:140], v[123:124], v[143:144]
	ds_read_b128 v[2:5], v1 offset:1696
	v_add_f64 v[129:130], v[159:160], v[129:130]
	v_add_f64 v[6:7], v[6:7], v[127:128]
	v_mul_f64 v[127:128], v[121:122], v[143:144]
	s_waitcnt vmcnt(12)
	v_fma_f64 v[135:136], v[117:118], v[137:138], -v[135:136]
	v_fma_f64 v[125:126], v[119:120], v[137:138], v[125:126]
	ds_read_b128 v[117:120], v1 offset:1712
	s_waitcnt vmcnt(9)
	v_fma_f64 v[121:122], v[121:122], v[149:150], -v[139:140]
	v_add_f64 v[129:130], v[129:130], v[133:134]
	v_add_f64 v[6:7], v[6:7], v[131:132]
	s_waitcnt lgkmcnt(1)
	v_mul_f64 v[133:134], v[4:5], v[145:146]
	v_mul_f64 v[131:132], v[2:3], v[145:146]
	v_fma_f64 v[123:124], v[123:124], v[149:150], v[127:128]
	s_waitcnt vmcnt(7) lgkmcnt(0)
	v_mul_f64 v[127:128], v[119:120], v[151:152]
	v_add_f64 v[129:130], v[129:130], v[135:136]
	v_add_f64 v[6:7], v[6:7], v[125:126]
	s_waitcnt vmcnt(6)
	v_fma_f64 v[1:2], v[2:3], v[147:148], -v[133:134]
	v_mul_f64 v[125:126], v[117:118], v[151:152]
	v_fma_f64 v[3:4], v[4:5], v[147:148], v[131:132]
	v_add_f64 v[121:122], v[129:130], v[121:122]
	v_add_f64 v[5:6], v[6:7], v[123:124]
	s_waitcnt vmcnt(4)
	v_fma_f64 v[7:8], v[117:118], v[153:154], -v[127:128]
	v_fma_f64 v[117:118], v[119:120], v[153:154], v[125:126]
	v_add_f64 v[1:2], v[121:122], v[1:2]
	v_add_f64 v[3:4], v[5:6], v[3:4]
	;; [unrolled: 1-line block ×4, first 2 shown]
	s_waitcnt vmcnt(2)
	v_add_f64 v[1:2], v[155:156], -v[1:2]
	s_waitcnt vmcnt(0)
	v_add_f64 v[3:4], v[157:158], -v[3:4]
	buffer_store_dword v2, off, s[0:3], 0 offset:740
	buffer_store_dword v1, off, s[0:3], 0 offset:736
	;; [unrolled: 1-line block ×4, first 2 shown]
	v_cmpx_lt_u32_e32 44, v0
	s_cbranch_execz .LBB117_249
; %bb.248:
	v_mov_b32_e32 v4, s21
	v_mov_b32_e32 v5, 0
	s_clause 0x3
	buffer_load_dword v1, v4, s[0:3], 0 offen
	buffer_load_dword v2, v4, s[0:3], 0 offen offset:4
	buffer_load_dword v3, v4, s[0:3], 0 offen offset:8
	;; [unrolled: 1-line block ×3, first 2 shown]
	buffer_store_dword v5, off, s[0:3], 0 offset:720
	buffer_store_dword v5, off, s[0:3], 0 offset:724
	;; [unrolled: 1-line block ×4, first 2 shown]
	s_waitcnt vmcnt(0)
	ds_write_b128 v177, v[1:4]
.LBB117_249:
	s_or_b32 exec_lo, exec_lo, s4
	s_waitcnt lgkmcnt(0)
	s_waitcnt_vscnt null, 0x0
	s_barrier
	buffer_gl0_inv
	s_clause 0x27
	buffer_load_dword v6, off, s[0:3], 0 offset:744
	buffer_load_dword v7, off, s[0:3], 0 offset:748
	;; [unrolled: 1-line block ×40, first 2 shown]
	v_mov_b32_e32 v1, 0
	ds_read_b128 v[2:5], v1 offset:1584
	ds_read_b128 v[117:120], v1 offset:1600
	;; [unrolled: 1-line block ×3, first 2 shown]
	s_mov_b32 s4, exec_lo
	s_waitcnt vmcnt(38) lgkmcnt(2)
	v_mul_f64 v[163:164], v[4:5], v[6:7]
	v_mul_f64 v[6:7], v[2:3], v[6:7]
	s_waitcnt vmcnt(36) lgkmcnt(1)
	v_mul_f64 v[165:166], v[119:120], v[125:126]
	v_mul_f64 v[125:126], v[117:118], v[125:126]
	s_waitcnt vmcnt(34)
	v_fma_f64 v[163:164], v[2:3], v[127:128], -v[163:164]
	v_fma_f64 v[6:7], v[4:5], v[127:128], v[6:7]
	ds_read_b128 v[2:5], v1 offset:1632
	s_waitcnt vmcnt(32) lgkmcnt(1)
	v_mul_f64 v[127:128], v[121:122], v[129:130]
	v_mul_f64 v[129:130], v[123:124], v[129:130]
	s_waitcnt vmcnt(30)
	v_fma_f64 v[165:166], v[117:118], v[131:132], -v[165:166]
	v_fma_f64 v[125:126], v[119:120], v[131:132], v[125:126]
	ds_read_b128 v[117:120], v1 offset:1648
	s_waitcnt vmcnt(26) lgkmcnt(1)
	v_mul_f64 v[131:132], v[2:3], v[133:134]
	v_add_f64 v[163:164], v[163:164], 0
	v_add_f64 v[6:7], v[6:7], 0
	v_mul_f64 v[133:134], v[4:5], v[133:134]
	s_waitcnt vmcnt(24)
	v_fma_f64 v[129:130], v[121:122], v[139:140], -v[129:130]
	v_fma_f64 v[127:128], v[123:124], v[139:140], v[127:128]
	ds_read_b128 v[121:124], v1 offset:1664
	s_waitcnt vmcnt(21)
	v_fma_f64 v[131:132], v[4:5], v[141:142], v[131:132]
	v_add_f64 v[163:164], v[163:164], v[165:166]
	v_add_f64 v[6:7], v[6:7], v[125:126]
	s_waitcnt lgkmcnt(1)
	v_mul_f64 v[125:126], v[117:118], v[135:136]
	v_mul_f64 v[135:136], v[119:120], v[135:136]
	v_fma_f64 v[133:134], v[2:3], v[141:142], -v[133:134]
	s_waitcnt vmcnt(17) lgkmcnt(0)
	v_mul_f64 v[139:140], v[123:124], v[143:144]
	ds_read_b128 v[2:5], v1 offset:1680
	v_add_f64 v[129:130], v[163:164], v[129:130]
	v_add_f64 v[6:7], v[6:7], v[127:128]
	v_mul_f64 v[127:128], v[121:122], v[143:144]
	s_waitcnt vmcnt(16)
	v_fma_f64 v[135:136], v[117:118], v[137:138], -v[135:136]
	v_fma_f64 v[125:126], v[119:120], v[137:138], v[125:126]
	ds_read_b128 v[117:120], v1 offset:1696
	s_waitcnt vmcnt(13)
	v_fma_f64 v[137:138], v[121:122], v[149:150], -v[139:140]
	v_add_f64 v[129:130], v[129:130], v[133:134]
	v_add_f64 v[6:7], v[6:7], v[131:132]
	s_waitcnt lgkmcnt(1)
	v_mul_f64 v[133:134], v[4:5], v[145:146]
	v_mul_f64 v[131:132], v[2:3], v[145:146]
	v_fma_f64 v[127:128], v[123:124], v[149:150], v[127:128]
	ds_read_b128 v[121:124], v1 offset:1712
	v_add_f64 v[129:130], v[129:130], v[135:136]
	v_add_f64 v[6:7], v[6:7], v[125:126]
	s_waitcnt vmcnt(9) lgkmcnt(1)
	v_mul_f64 v[135:136], v[119:120], v[151:152]
	s_waitcnt vmcnt(8)
	v_fma_f64 v[2:3], v[2:3], v[147:148], -v[133:134]
	v_mul_f64 v[125:126], v[117:118], v[151:152]
	v_fma_f64 v[4:5], v[4:5], v[147:148], v[131:132]
	s_waitcnt vmcnt(7) lgkmcnt(0)
	v_mul_f64 v[131:132], v[123:124], v[153:154]
	v_add_f64 v[129:130], v[129:130], v[137:138]
	v_add_f64 v[6:7], v[6:7], v[127:128]
	s_waitcnt vmcnt(5)
	v_fma_f64 v[117:118], v[117:118], v[157:158], -v[135:136]
	v_mul_f64 v[127:128], v[121:122], v[153:154]
	v_fma_f64 v[119:120], v[119:120], v[157:158], v[125:126]
	v_add_f64 v[2:3], v[129:130], v[2:3]
	v_add_f64 v[4:5], v[6:7], v[4:5]
	s_waitcnt vmcnt(4)
	v_fma_f64 v[6:7], v[121:122], v[155:156], -v[131:132]
	v_add_f64 v[2:3], v[2:3], v[117:118]
	v_fma_f64 v[117:118], v[123:124], v[155:156], v[127:128]
	v_add_f64 v[4:5], v[4:5], v[119:120]
	v_add_f64 v[2:3], v[2:3], v[6:7]
	;; [unrolled: 1-line block ×3, first 2 shown]
	s_waitcnt vmcnt(2)
	v_add_f64 v[2:3], v[159:160], -v[2:3]
	s_waitcnt vmcnt(0)
	v_add_f64 v[4:5], v[161:162], -v[4:5]
	buffer_store_dword v3, off, s[0:3], 0 offset:724
	buffer_store_dword v2, off, s[0:3], 0 offset:720
	;; [unrolled: 1-line block ×4, first 2 shown]
	v_cmpx_lt_u32_e32 43, v0
	s_cbranch_execz .LBB117_251
; %bb.250:
	v_mov_b32_e32 v5, s22
	s_clause 0x3
	buffer_load_dword v2, v5, s[0:3], 0 offen
	buffer_load_dword v3, v5, s[0:3], 0 offen offset:4
	buffer_load_dword v4, v5, s[0:3], 0 offen offset:8
	;; [unrolled: 1-line block ×3, first 2 shown]
	buffer_store_dword v1, off, s[0:3], 0 offset:704
	buffer_store_dword v1, off, s[0:3], 0 offset:708
	;; [unrolled: 1-line block ×4, first 2 shown]
	s_waitcnt vmcnt(0)
	ds_write_b128 v177, v[2:5]
.LBB117_251:
	s_or_b32 exec_lo, exec_lo, s4
	s_waitcnt lgkmcnt(0)
	s_waitcnt_vscnt null, 0x0
	s_barrier
	buffer_gl0_inv
	s_clause 0x2b
	buffer_load_dword v6, off, s[0:3], 0 offset:728
	buffer_load_dword v7, off, s[0:3], 0 offset:732
	;; [unrolled: 1-line block ×44, first 2 shown]
	ds_read_b128 v[2:5], v1 offset:1568
	ds_read_b128 v[117:120], v1 offset:1584
	;; [unrolled: 1-line block ×3, first 2 shown]
	s_mov_b32 s4, exec_lo
	s_waitcnt vmcnt(42) lgkmcnt(2)
	v_mul_f64 v[167:168], v[4:5], v[6:7]
	v_mul_f64 v[6:7], v[2:3], v[6:7]
	s_waitcnt vmcnt(40) lgkmcnt(1)
	v_mul_f64 v[169:170], v[119:120], v[125:126]
	v_mul_f64 v[125:126], v[117:118], v[125:126]
	s_waitcnt vmcnt(38)
	v_fma_f64 v[167:168], v[2:3], v[127:128], -v[167:168]
	v_fma_f64 v[6:7], v[4:5], v[127:128], v[6:7]
	ds_read_b128 v[2:5], v1 offset:1616
	s_waitcnt vmcnt(36) lgkmcnt(1)
	v_mul_f64 v[127:128], v[121:122], v[129:130]
	v_mul_f64 v[129:130], v[123:124], v[129:130]
	s_waitcnt vmcnt(34)
	v_fma_f64 v[169:170], v[117:118], v[131:132], -v[169:170]
	v_fma_f64 v[125:126], v[119:120], v[131:132], v[125:126]
	ds_read_b128 v[117:120], v1 offset:1632
	s_waitcnt vmcnt(30) lgkmcnt(1)
	v_mul_f64 v[131:132], v[2:3], v[133:134]
	v_add_f64 v[167:168], v[167:168], 0
	v_add_f64 v[6:7], v[6:7], 0
	v_mul_f64 v[133:134], v[4:5], v[133:134]
	s_waitcnt vmcnt(28)
	v_fma_f64 v[129:130], v[121:122], v[139:140], -v[129:130]
	v_fma_f64 v[127:128], v[123:124], v[139:140], v[127:128]
	ds_read_b128 v[121:124], v1 offset:1648
	s_waitcnt vmcnt(25)
	v_fma_f64 v[131:132], v[4:5], v[141:142], v[131:132]
	v_add_f64 v[167:168], v[167:168], v[169:170]
	v_add_f64 v[6:7], v[6:7], v[125:126]
	s_waitcnt lgkmcnt(1)
	v_mul_f64 v[125:126], v[117:118], v[135:136]
	v_mul_f64 v[135:136], v[119:120], v[135:136]
	v_fma_f64 v[133:134], v[2:3], v[141:142], -v[133:134]
	s_waitcnt vmcnt(21) lgkmcnt(0)
	v_mul_f64 v[139:140], v[123:124], v[143:144]
	ds_read_b128 v[2:5], v1 offset:1664
	v_add_f64 v[129:130], v[167:168], v[129:130]
	v_add_f64 v[6:7], v[6:7], v[127:128]
	v_mul_f64 v[127:128], v[121:122], v[143:144]
	s_waitcnt vmcnt(20)
	v_fma_f64 v[135:136], v[117:118], v[137:138], -v[135:136]
	v_fma_f64 v[125:126], v[119:120], v[137:138], v[125:126]
	ds_read_b128 v[117:120], v1 offset:1680
	s_waitcnt vmcnt(17)
	v_fma_f64 v[137:138], v[121:122], v[149:150], -v[139:140]
	v_add_f64 v[129:130], v[129:130], v[133:134]
	v_add_f64 v[6:7], v[6:7], v[131:132]
	s_waitcnt lgkmcnt(1)
	v_mul_f64 v[133:134], v[4:5], v[145:146]
	v_mul_f64 v[131:132], v[2:3], v[145:146]
	v_fma_f64 v[127:128], v[123:124], v[149:150], v[127:128]
	ds_read_b128 v[121:124], v1 offset:1696
	v_add_f64 v[129:130], v[129:130], v[135:136]
	v_add_f64 v[6:7], v[6:7], v[125:126]
	s_waitcnt vmcnt(13) lgkmcnt(1)
	v_mul_f64 v[135:136], v[119:120], v[151:152]
	s_waitcnt vmcnt(12)
	v_fma_f64 v[133:134], v[2:3], v[147:148], -v[133:134]
	v_mul_f64 v[125:126], v[117:118], v[151:152]
	v_fma_f64 v[131:132], v[4:5], v[147:148], v[131:132]
	ds_read_b128 v[1:4], v1 offset:1712
	v_add_f64 v[129:130], v[129:130], v[137:138]
	v_add_f64 v[5:6], v[6:7], v[127:128]
	s_waitcnt vmcnt(11) lgkmcnt(1)
	v_mul_f64 v[127:128], v[123:124], v[153:154]
	s_waitcnt vmcnt(9)
	v_fma_f64 v[117:118], v[117:118], v[157:158], -v[135:136]
	v_mul_f64 v[7:8], v[121:122], v[153:154]
	v_fma_f64 v[119:120], v[119:120], v[157:158], v[125:126]
	s_waitcnt vmcnt(7) lgkmcnt(0)
	v_mul_f64 v[125:126], v[1:2], v[159:160]
	v_add_f64 v[129:130], v[129:130], v[133:134]
	v_add_f64 v[5:6], v[5:6], v[131:132]
	v_mul_f64 v[131:132], v[3:4], v[159:160]
	s_waitcnt vmcnt(6)
	v_fma_f64 v[121:122], v[121:122], v[155:156], -v[127:128]
	v_fma_f64 v[7:8], v[123:124], v[155:156], v[7:8]
	s_waitcnt vmcnt(4)
	v_fma_f64 v[3:4], v[3:4], v[161:162], v[125:126]
	v_add_f64 v[117:118], v[129:130], v[117:118]
	v_add_f64 v[5:6], v[5:6], v[119:120]
	v_fma_f64 v[1:2], v[1:2], v[161:162], -v[131:132]
	v_add_f64 v[117:118], v[117:118], v[121:122]
	v_add_f64 v[5:6], v[5:6], v[7:8]
	;; [unrolled: 1-line block ×4, first 2 shown]
	s_waitcnt vmcnt(2)
	v_add_f64 v[1:2], v[163:164], -v[1:2]
	s_waitcnt vmcnt(0)
	v_add_f64 v[3:4], v[165:166], -v[3:4]
	buffer_store_dword v2, off, s[0:3], 0 offset:708
	buffer_store_dword v1, off, s[0:3], 0 offset:704
	;; [unrolled: 1-line block ×4, first 2 shown]
	v_cmpx_lt_u32_e32 42, v0
	s_cbranch_execz .LBB117_253
; %bb.252:
	v_mov_b32_e32 v4, s23
	v_mov_b32_e32 v5, 0
	s_clause 0x3
	buffer_load_dword v1, v4, s[0:3], 0 offen
	buffer_load_dword v2, v4, s[0:3], 0 offen offset:4
	buffer_load_dword v3, v4, s[0:3], 0 offen offset:8
	buffer_load_dword v4, v4, s[0:3], 0 offen offset:12
	buffer_store_dword v5, off, s[0:3], 0 offset:688
	buffer_store_dword v5, off, s[0:3], 0 offset:692
	;; [unrolled: 1-line block ×4, first 2 shown]
	s_waitcnt vmcnt(0)
	ds_write_b128 v177, v[1:4]
.LBB117_253:
	s_or_b32 exec_lo, exec_lo, s4
	s_waitcnt lgkmcnt(0)
	s_waitcnt_vscnt null, 0x0
	s_barrier
	buffer_gl0_inv
	s_clause 0x2f
	buffer_load_dword v6, off, s[0:3], 0 offset:712
	buffer_load_dword v7, off, s[0:3], 0 offset:716
	;; [unrolled: 1-line block ×48, first 2 shown]
	v_mov_b32_e32 v1, 0
	ds_read_b128 v[2:5], v1 offset:1552
	ds_read_b128 v[117:120], v1 offset:1568
	;; [unrolled: 1-line block ×3, first 2 shown]
	s_mov_b32 s4, exec_lo
	s_waitcnt vmcnt(46) lgkmcnt(2)
	v_mul_f64 v[171:172], v[4:5], v[6:7]
	v_mul_f64 v[6:7], v[2:3], v[6:7]
	s_waitcnt vmcnt(44) lgkmcnt(1)
	v_mul_f64 v[173:174], v[119:120], v[125:126]
	v_mul_f64 v[125:126], v[117:118], v[125:126]
	s_waitcnt vmcnt(42)
	v_fma_f64 v[171:172], v[2:3], v[127:128], -v[171:172]
	v_fma_f64 v[6:7], v[4:5], v[127:128], v[6:7]
	ds_read_b128 v[2:5], v1 offset:1600
	s_waitcnt vmcnt(40) lgkmcnt(1)
	v_mul_f64 v[127:128], v[121:122], v[129:130]
	v_mul_f64 v[129:130], v[123:124], v[129:130]
	s_waitcnt vmcnt(38)
	v_fma_f64 v[173:174], v[117:118], v[131:132], -v[173:174]
	v_fma_f64 v[125:126], v[119:120], v[131:132], v[125:126]
	ds_read_b128 v[117:120], v1 offset:1616
	s_waitcnt vmcnt(34) lgkmcnt(1)
	v_mul_f64 v[131:132], v[2:3], v[133:134]
	v_add_f64 v[171:172], v[171:172], 0
	v_add_f64 v[6:7], v[6:7], 0
	v_mul_f64 v[133:134], v[4:5], v[133:134]
	s_waitcnt vmcnt(32)
	v_fma_f64 v[129:130], v[121:122], v[139:140], -v[129:130]
	v_fma_f64 v[127:128], v[123:124], v[139:140], v[127:128]
	ds_read_b128 v[121:124], v1 offset:1632
	s_waitcnt vmcnt(29)
	v_fma_f64 v[131:132], v[4:5], v[141:142], v[131:132]
	v_add_f64 v[171:172], v[171:172], v[173:174]
	v_add_f64 v[6:7], v[6:7], v[125:126]
	s_waitcnt lgkmcnt(1)
	v_mul_f64 v[125:126], v[117:118], v[135:136]
	v_mul_f64 v[135:136], v[119:120], v[135:136]
	v_fma_f64 v[133:134], v[2:3], v[141:142], -v[133:134]
	s_waitcnt vmcnt(25) lgkmcnt(0)
	v_mul_f64 v[139:140], v[123:124], v[143:144]
	ds_read_b128 v[2:5], v1 offset:1648
	v_add_f64 v[129:130], v[171:172], v[129:130]
	v_add_f64 v[6:7], v[6:7], v[127:128]
	v_mul_f64 v[127:128], v[121:122], v[143:144]
	s_waitcnt vmcnt(24)
	v_fma_f64 v[135:136], v[117:118], v[137:138], -v[135:136]
	v_fma_f64 v[125:126], v[119:120], v[137:138], v[125:126]
	ds_read_b128 v[117:120], v1 offset:1664
	s_waitcnt vmcnt(21)
	v_fma_f64 v[137:138], v[121:122], v[149:150], -v[139:140]
	v_add_f64 v[129:130], v[129:130], v[133:134]
	v_add_f64 v[6:7], v[6:7], v[131:132]
	s_waitcnt lgkmcnt(1)
	v_mul_f64 v[133:134], v[4:5], v[145:146]
	v_mul_f64 v[131:132], v[2:3], v[145:146]
	v_fma_f64 v[127:128], v[123:124], v[149:150], v[127:128]
	ds_read_b128 v[121:124], v1 offset:1680
	v_add_f64 v[129:130], v[129:130], v[135:136]
	v_add_f64 v[6:7], v[6:7], v[125:126]
	s_waitcnt vmcnt(17) lgkmcnt(1)
	v_mul_f64 v[135:136], v[119:120], v[151:152]
	s_waitcnt vmcnt(16)
	v_fma_f64 v[133:134], v[2:3], v[147:148], -v[133:134]
	v_mul_f64 v[125:126], v[117:118], v[151:152]
	v_fma_f64 v[131:132], v[4:5], v[147:148], v[131:132]
	ds_read_b128 v[2:5], v1 offset:1696
	v_add_f64 v[129:130], v[129:130], v[137:138]
	v_add_f64 v[6:7], v[6:7], v[127:128]
	s_waitcnt vmcnt(15) lgkmcnt(1)
	v_mul_f64 v[137:138], v[123:124], v[153:154]
	s_waitcnt vmcnt(13)
	v_fma_f64 v[135:136], v[117:118], v[157:158], -v[135:136]
	;; [unrolled: 9-line block ×3, first 2 shown]
	v_mul_f64 v[131:132], v[2:3], v[159:160]
	v_fma_f64 v[123:124], v[123:124], v[155:156], v[127:128]
	s_waitcnt vmcnt(7) lgkmcnt(0)
	v_mul_f64 v[127:128], v[119:120], v[161:162]
	v_add_f64 v[129:130], v[129:130], v[135:136]
	v_add_f64 v[6:7], v[6:7], v[125:126]
	s_waitcnt vmcnt(5)
	v_fma_f64 v[2:3], v[2:3], v[165:166], -v[133:134]
	v_mul_f64 v[125:126], v[117:118], v[161:162]
	v_fma_f64 v[4:5], v[4:5], v[165:166], v[131:132]
	s_waitcnt vmcnt(4)
	v_fma_f64 v[117:118], v[117:118], v[163:164], -v[127:128]
	v_add_f64 v[121:122], v[129:130], v[121:122]
	v_add_f64 v[6:7], v[6:7], v[123:124]
	v_fma_f64 v[119:120], v[119:120], v[163:164], v[125:126]
	v_add_f64 v[2:3], v[121:122], v[2:3]
	v_add_f64 v[4:5], v[6:7], v[4:5]
	v_add_f64 v[2:3], v[2:3], v[117:118]
	v_add_f64 v[4:5], v[4:5], v[119:120]
	s_waitcnt vmcnt(2)
	v_add_f64 v[2:3], v[167:168], -v[2:3]
	s_waitcnt vmcnt(0)
	v_add_f64 v[4:5], v[169:170], -v[4:5]
	buffer_store_dword v3, off, s[0:3], 0 offset:692
	buffer_store_dword v2, off, s[0:3], 0 offset:688
	;; [unrolled: 1-line block ×4, first 2 shown]
	v_cmpx_lt_u32_e32 41, v0
	s_cbranch_execz .LBB117_255
; %bb.254:
	v_mov_b32_e32 v5, s24
	s_clause 0x3
	buffer_load_dword v2, v5, s[0:3], 0 offen
	buffer_load_dword v3, v5, s[0:3], 0 offen offset:4
	buffer_load_dword v4, v5, s[0:3], 0 offen offset:8
	;; [unrolled: 1-line block ×3, first 2 shown]
	buffer_store_dword v1, off, s[0:3], 0 offset:672
	buffer_store_dword v1, off, s[0:3], 0 offset:676
	;; [unrolled: 1-line block ×4, first 2 shown]
	s_waitcnt vmcnt(0)
	ds_write_b128 v177, v[2:5]
.LBB117_255:
	s_or_b32 exec_lo, exec_lo, s4
	s_waitcnt lgkmcnt(0)
	s_waitcnt_vscnt null, 0x0
	s_barrier
	buffer_gl0_inv
	s_clause 0x2f
	buffer_load_dword v6, off, s[0:3], 0 offset:696
	buffer_load_dword v7, off, s[0:3], 0 offset:700
	;; [unrolled: 1-line block ×48, first 2 shown]
	ds_read_b128 v[2:5], v1 offset:1536
	s_clause 0x3
	buffer_load_dword v171, off, s[0:3], 0 offset:672
	buffer_load_dword v172, off, s[0:3], 0 offset:676
	buffer_load_dword v173, off, s[0:3], 0 offset:680
	buffer_load_dword v174, off, s[0:3], 0 offset:684
	ds_read_b128 v[117:120], v1 offset:1552
	ds_read_b128 v[121:124], v1 offset:1568
	s_mov_b32 s4, exec_lo
	s_waitcnt vmcnt(50) lgkmcnt(2)
	v_mul_f64 v[175:176], v[4:5], v[6:7]
	v_mul_f64 v[6:7], v[2:3], v[6:7]
	s_waitcnt vmcnt(48) lgkmcnt(1)
	v_mul_f64 v[178:179], v[119:120], v[125:126]
	v_mul_f64 v[125:126], v[117:118], v[125:126]
	s_waitcnt vmcnt(46)
	v_fma_f64 v[175:176], v[2:3], v[127:128], -v[175:176]
	v_fma_f64 v[6:7], v[4:5], v[127:128], v[6:7]
	s_waitcnt vmcnt(44) lgkmcnt(0)
	v_mul_f64 v[127:128], v[121:122], v[129:130]
	v_mul_f64 v[129:130], v[123:124], v[129:130]
	s_waitcnt vmcnt(42)
	v_fma_f64 v[178:179], v[117:118], v[131:132], -v[178:179]
	ds_read_b128 v[2:5], v1 offset:1584
	v_fma_f64 v[125:126], v[119:120], v[131:132], v[125:126]
	ds_read_b128 v[117:120], v1 offset:1600
	v_add_f64 v[175:176], v[175:176], 0
	v_add_f64 v[6:7], v[6:7], 0
	s_waitcnt vmcnt(36)
	v_fma_f64 v[127:128], v[123:124], v[139:140], v[127:128]
	s_waitcnt lgkmcnt(1)
	v_mul_f64 v[131:132], v[2:3], v[133:134]
	v_mul_f64 v[133:134], v[4:5], v[133:134]
	v_fma_f64 v[129:130], v[121:122], v[139:140], -v[129:130]
	ds_read_b128 v[121:124], v1 offset:1616
	v_add_f64 v[175:176], v[175:176], v[178:179]
	v_add_f64 v[6:7], v[6:7], v[125:126]
	s_waitcnt vmcnt(35) lgkmcnt(1)
	v_mul_f64 v[125:126], v[117:118], v[135:136]
	v_mul_f64 v[135:136], v[119:120], v[135:136]
	s_waitcnt vmcnt(33)
	v_fma_f64 v[133:134], v[2:3], v[141:142], -v[133:134]
	v_fma_f64 v[131:132], v[4:5], v[141:142], v[131:132]
	ds_read_b128 v[2:5], v1 offset:1632
	s_waitcnt vmcnt(29) lgkmcnt(1)
	v_mul_f64 v[139:140], v[123:124], v[143:144]
	v_add_f64 v[129:130], v[175:176], v[129:130]
	v_add_f64 v[6:7], v[6:7], v[127:128]
	v_mul_f64 v[127:128], v[121:122], v[143:144]
	s_waitcnt vmcnt(28)
	v_fma_f64 v[135:136], v[117:118], v[137:138], -v[135:136]
	v_fma_f64 v[125:126], v[119:120], v[137:138], v[125:126]
	ds_read_b128 v[117:120], v1 offset:1648
	s_waitcnt vmcnt(25)
	v_fma_f64 v[137:138], v[121:122], v[149:150], -v[139:140]
	v_add_f64 v[129:130], v[129:130], v[133:134]
	v_add_f64 v[6:7], v[6:7], v[131:132]
	s_waitcnt lgkmcnt(1)
	v_mul_f64 v[133:134], v[4:5], v[145:146]
	v_mul_f64 v[131:132], v[2:3], v[145:146]
	v_fma_f64 v[127:128], v[123:124], v[149:150], v[127:128]
	ds_read_b128 v[121:124], v1 offset:1664
	v_add_f64 v[129:130], v[129:130], v[135:136]
	v_add_f64 v[6:7], v[6:7], v[125:126]
	s_waitcnt vmcnt(21) lgkmcnt(1)
	v_mul_f64 v[135:136], v[119:120], v[151:152]
	s_waitcnt vmcnt(20)
	v_fma_f64 v[133:134], v[2:3], v[147:148], -v[133:134]
	v_mul_f64 v[125:126], v[117:118], v[151:152]
	v_fma_f64 v[131:132], v[4:5], v[147:148], v[131:132]
	ds_read_b128 v[2:5], v1 offset:1680
	v_add_f64 v[129:130], v[129:130], v[137:138]
	v_add_f64 v[6:7], v[6:7], v[127:128]
	s_waitcnt vmcnt(19) lgkmcnt(1)
	v_mul_f64 v[137:138], v[123:124], v[153:154]
	s_waitcnt vmcnt(17)
	v_fma_f64 v[135:136], v[117:118], v[157:158], -v[135:136]
	;; [unrolled: 9-line block ×4, first 2 shown]
	v_mul_f64 v[125:126], v[117:118], v[161:162]
	v_fma_f64 v[3:4], v[4:5], v[165:166], v[131:132]
	v_add_f64 v[129:130], v[129:130], v[137:138]
	v_add_f64 v[5:6], v[6:7], v[127:128]
	s_waitcnt vmcnt(7) lgkmcnt(0)
	v_mul_f64 v[127:128], v[123:124], v[167:168]
	s_waitcnt vmcnt(6)
	v_fma_f64 v[117:118], v[117:118], v[163:164], -v[135:136]
	v_mul_f64 v[7:8], v[121:122], v[167:168]
	v_fma_f64 v[119:120], v[119:120], v[163:164], v[125:126]
	v_add_f64 v[1:2], v[129:130], v[1:2]
	v_add_f64 v[3:4], v[5:6], v[3:4]
	s_waitcnt vmcnt(4)
	v_fma_f64 v[5:6], v[121:122], v[169:170], -v[127:128]
	v_fma_f64 v[7:8], v[123:124], v[169:170], v[7:8]
	v_add_f64 v[1:2], v[1:2], v[117:118]
	v_add_f64 v[3:4], v[3:4], v[119:120]
	;; [unrolled: 1-line block ×4, first 2 shown]
	s_waitcnt vmcnt(2)
	v_add_f64 v[1:2], v[171:172], -v[1:2]
	s_waitcnt vmcnt(0)
	v_add_f64 v[3:4], v[173:174], -v[3:4]
	buffer_store_dword v2, off, s[0:3], 0 offset:676
	buffer_store_dword v1, off, s[0:3], 0 offset:672
	;; [unrolled: 1-line block ×4, first 2 shown]
	v_cmpx_lt_u32_e32 40, v0
	s_cbranch_execz .LBB117_257
; %bb.256:
	v_mov_b32_e32 v4, s25
	v_mov_b32_e32 v5, 0
	s_clause 0x3
	buffer_load_dword v1, v4, s[0:3], 0 offen
	buffer_load_dword v2, v4, s[0:3], 0 offen offset:4
	buffer_load_dword v3, v4, s[0:3], 0 offen offset:8
	;; [unrolled: 1-line block ×3, first 2 shown]
	buffer_store_dword v5, off, s[0:3], 0 offset:656
	buffer_store_dword v5, off, s[0:3], 0 offset:660
	;; [unrolled: 1-line block ×4, first 2 shown]
	s_waitcnt vmcnt(0)
	ds_write_b128 v177, v[1:4]
.LBB117_257:
	s_or_b32 exec_lo, exec_lo, s4
	s_waitcnt lgkmcnt(0)
	s_waitcnt_vscnt null, 0x0
	s_barrier
	buffer_gl0_inv
	s_clause 0x33
	buffer_load_dword v6, off, s[0:3], 0 offset:680
	buffer_load_dword v7, off, s[0:3], 0 offset:684
	;; [unrolled: 1-line block ×52, first 2 shown]
	v_mov_b32_e32 v1, 0
	ds_read_b128 v[2:5], v1 offset:1520
	ds_read_b128 v[117:120], v1 offset:1536
	s_clause 0x3
	buffer_load_dword v178, off, s[0:3], 0 offset:656
	buffer_load_dword v179, off, s[0:3], 0 offset:660
	;; [unrolled: 1-line block ×4, first 2 shown]
	ds_read_b128 v[121:124], v1 offset:1552
	s_mov_b32 s4, exec_lo
	s_waitcnt vmcnt(54) lgkmcnt(2)
	v_mul_f64 v[175:176], v[4:5], v[6:7]
	v_mul_f64 v[6:7], v[2:3], v[6:7]
	s_waitcnt vmcnt(52) lgkmcnt(1)
	v_mul_f64 v[182:183], v[119:120], v[125:126]
	v_mul_f64 v[125:126], v[117:118], v[125:126]
	s_waitcnt vmcnt(50)
	v_fma_f64 v[175:176], v[2:3], v[127:128], -v[175:176]
	v_fma_f64 v[6:7], v[4:5], v[127:128], v[6:7]
	ds_read_b128 v[2:5], v1 offset:1568
	s_waitcnt vmcnt(48) lgkmcnt(1)
	v_mul_f64 v[127:128], v[121:122], v[129:130]
	v_mul_f64 v[129:130], v[123:124], v[129:130]
	s_waitcnt vmcnt(46)
	v_fma_f64 v[182:183], v[117:118], v[131:132], -v[182:183]
	v_fma_f64 v[125:126], v[119:120], v[131:132], v[125:126]
	ds_read_b128 v[117:120], v1 offset:1584
	s_waitcnt vmcnt(42) lgkmcnt(1)
	v_mul_f64 v[131:132], v[2:3], v[133:134]
	v_add_f64 v[175:176], v[175:176], 0
	v_add_f64 v[6:7], v[6:7], 0
	v_mul_f64 v[133:134], v[4:5], v[133:134]
	s_waitcnt vmcnt(40)
	v_fma_f64 v[129:130], v[121:122], v[139:140], -v[129:130]
	v_fma_f64 v[127:128], v[123:124], v[139:140], v[127:128]
	ds_read_b128 v[121:124], v1 offset:1600
	s_waitcnt vmcnt(37)
	v_fma_f64 v[131:132], v[4:5], v[141:142], v[131:132]
	v_add_f64 v[175:176], v[175:176], v[182:183]
	v_add_f64 v[6:7], v[6:7], v[125:126]
	s_waitcnt lgkmcnt(1)
	v_mul_f64 v[125:126], v[117:118], v[135:136]
	v_mul_f64 v[135:136], v[119:120], v[135:136]
	v_fma_f64 v[133:134], v[2:3], v[141:142], -v[133:134]
	s_waitcnt vmcnt(33) lgkmcnt(0)
	v_mul_f64 v[139:140], v[123:124], v[143:144]
	ds_read_b128 v[2:5], v1 offset:1616
	v_add_f64 v[129:130], v[175:176], v[129:130]
	v_add_f64 v[6:7], v[6:7], v[127:128]
	v_mul_f64 v[127:128], v[121:122], v[143:144]
	s_waitcnt vmcnt(32)
	v_fma_f64 v[135:136], v[117:118], v[137:138], -v[135:136]
	v_fma_f64 v[125:126], v[119:120], v[137:138], v[125:126]
	ds_read_b128 v[117:120], v1 offset:1632
	s_waitcnt vmcnt(29)
	v_fma_f64 v[137:138], v[121:122], v[149:150], -v[139:140]
	v_add_f64 v[129:130], v[129:130], v[133:134]
	v_add_f64 v[6:7], v[6:7], v[131:132]
	s_waitcnt lgkmcnt(1)
	v_mul_f64 v[133:134], v[4:5], v[145:146]
	v_mul_f64 v[131:132], v[2:3], v[145:146]
	v_fma_f64 v[127:128], v[123:124], v[149:150], v[127:128]
	ds_read_b128 v[121:124], v1 offset:1648
	v_add_f64 v[129:130], v[129:130], v[135:136]
	v_add_f64 v[6:7], v[6:7], v[125:126]
	s_waitcnt vmcnt(25) lgkmcnt(1)
	v_mul_f64 v[135:136], v[119:120], v[151:152]
	s_waitcnt vmcnt(24)
	v_fma_f64 v[133:134], v[2:3], v[147:148], -v[133:134]
	v_mul_f64 v[125:126], v[117:118], v[151:152]
	v_fma_f64 v[131:132], v[4:5], v[147:148], v[131:132]
	ds_read_b128 v[2:5], v1 offset:1664
	v_add_f64 v[129:130], v[129:130], v[137:138]
	v_add_f64 v[6:7], v[6:7], v[127:128]
	s_waitcnt vmcnt(23) lgkmcnt(1)
	v_mul_f64 v[137:138], v[123:124], v[153:154]
	s_waitcnt vmcnt(21)
	v_fma_f64 v[135:136], v[117:118], v[157:158], -v[135:136]
	;; [unrolled: 9-line block ×5, first 2 shown]
	v_mul_f64 v[127:128], v[121:122], v[167:168]
	v_fma_f64 v[119:120], v[119:120], v[163:164], v[125:126]
	s_waitcnt vmcnt(7) lgkmcnt(0)
	v_mul_f64 v[125:126], v[2:3], v[169:170]
	v_add_f64 v[129:130], v[129:130], v[133:134]
	v_add_f64 v[6:7], v[6:7], v[131:132]
	v_mul_f64 v[131:132], v[4:5], v[169:170]
	s_waitcnt vmcnt(5)
	v_fma_f64 v[121:122], v[121:122], v[173:174], -v[137:138]
	v_fma_f64 v[123:124], v[123:124], v[173:174], v[127:128]
	s_waitcnt vmcnt(4)
	v_fma_f64 v[4:5], v[4:5], v[171:172], v[125:126]
	v_add_f64 v[117:118], v[129:130], v[117:118]
	v_add_f64 v[6:7], v[6:7], v[119:120]
	v_fma_f64 v[2:3], v[2:3], v[171:172], -v[131:132]
	v_add_f64 v[117:118], v[117:118], v[121:122]
	v_add_f64 v[6:7], v[6:7], v[123:124]
	;; [unrolled: 1-line block ×4, first 2 shown]
	s_waitcnt vmcnt(2)
	v_add_f64 v[2:3], v[178:179], -v[2:3]
	s_waitcnt vmcnt(0)
	v_add_f64 v[4:5], v[180:181], -v[4:5]
	buffer_store_dword v3, off, s[0:3], 0 offset:660
	buffer_store_dword v2, off, s[0:3], 0 offset:656
	;; [unrolled: 1-line block ×4, first 2 shown]
	v_cmpx_lt_u32_e32 39, v0
	s_cbranch_execz .LBB117_259
; %bb.258:
	v_mov_b32_e32 v5, s26
	s_clause 0x3
	buffer_load_dword v2, v5, s[0:3], 0 offen
	buffer_load_dword v3, v5, s[0:3], 0 offen offset:4
	buffer_load_dword v4, v5, s[0:3], 0 offen offset:8
	;; [unrolled: 1-line block ×3, first 2 shown]
	buffer_store_dword v1, off, s[0:3], 0 offset:640
	buffer_store_dword v1, off, s[0:3], 0 offset:644
	;; [unrolled: 1-line block ×4, first 2 shown]
	s_waitcnt vmcnt(0)
	ds_write_b128 v177, v[2:5]
.LBB117_259:
	s_or_b32 exec_lo, exec_lo, s4
	s_waitcnt lgkmcnt(0)
	s_waitcnt_vscnt null, 0x0
	s_barrier
	buffer_gl0_inv
	s_clause 0x35
	buffer_load_dword v6, off, s[0:3], 0 offset:664
	buffer_load_dword v7, off, s[0:3], 0 offset:668
	buffer_load_dword v125, off, s[0:3], 0 offset:680
	buffer_load_dword v126, off, s[0:3], 0 offset:684
	buffer_load_dword v127, off, s[0:3], 0 offset:656
	buffer_load_dword v128, off, s[0:3], 0 offset:660
	buffer_load_dword v129, off, s[0:3], 0 offset:696
	buffer_load_dword v130, off, s[0:3], 0 offset:700
	buffer_load_dword v131, off, s[0:3], 0 offset:672
	buffer_load_dword v132, off, s[0:3], 0 offset:676
	buffer_load_dword v134, off, s[0:3], 0 offset:716
	buffer_load_dword v135, off, s[0:3], 0 offset:728
	buffer_load_dword v137, off, s[0:3], 0 offset:720
	buffer_load_dword v133, off, s[0:3], 0 offset:712
	buffer_load_dword v139, off, s[0:3], 0 offset:688
	buffer_load_dword v140, off, s[0:3], 0 offset:692
	buffer_load_dword v136, off, s[0:3], 0 offset:732
	buffer_load_dword v142, off, s[0:3], 0 offset:708
	buffer_load_dword v141, off, s[0:3], 0 offset:704
	buffer_load_dword v144, off, s[0:3], 0 offset:748
	buffer_load_dword v145, off, s[0:3], 0 offset:760
	buffer_load_dword v147, off, s[0:3], 0 offset:752
	buffer_load_dword v143, off, s[0:3], 0 offset:744
	buffer_load_dword v138, off, s[0:3], 0 offset:724
	buffer_load_dword v146, off, s[0:3], 0 offset:764
	buffer_load_dword v150, off, s[0:3], 0 offset:740
	buffer_load_dword v149, off, s[0:3], 0 offset:736
	buffer_load_dword v152, off, s[0:3], 0 offset:780
	buffer_load_dword v153, off, s[0:3], 0 offset:792
	buffer_load_dword v155, off, s[0:3], 0 offset:784
	buffer_load_dword v151, off, s[0:3], 0 offset:776
	buffer_load_dword v148, off, s[0:3], 0 offset:756
	buffer_load_dword v154, off, s[0:3], 0 offset:796
	buffer_load_dword v158, off, s[0:3], 0 offset:772
	buffer_load_dword v157, off, s[0:3], 0 offset:768
	buffer_load_dword v160, off, s[0:3], 0 offset:812
	buffer_load_dword v161, off, s[0:3], 0 offset:824
	buffer_load_dword v163, off, s[0:3], 0 offset:816
	buffer_load_dword v159, off, s[0:3], 0 offset:808
	buffer_load_dword v156, off, s[0:3], 0 offset:788
	buffer_load_dword v162, off, s[0:3], 0 offset:828
	buffer_load_dword v166, off, s[0:3], 0 offset:804
	buffer_load_dword v165, off, s[0:3], 0 offset:800
	buffer_load_dword v168, off, s[0:3], 0 offset:844
	buffer_load_dword v169, off, s[0:3], 0 offset:856
	buffer_load_dword v171, off, s[0:3], 0 offset:848
	buffer_load_dword v167, off, s[0:3], 0 offset:840
	buffer_load_dword v164, off, s[0:3], 0 offset:820
	buffer_load_dword v170, off, s[0:3], 0 offset:860
	buffer_load_dword v174, off, s[0:3], 0 offset:836
	buffer_load_dword v173, off, s[0:3], 0 offset:832
	buffer_load_dword v176, off, s[0:3], 0 offset:876
	buffer_load_dword v175, off, s[0:3], 0 offset:872
	buffer_load_dword v172, off, s[0:3], 0 offset:852
	ds_read_b128 v[2:5], v1 offset:1504
	s_clause 0x1
	buffer_load_dword v179, off, s[0:3], 0 offset:868
	buffer_load_dword v178, off, s[0:3], 0 offset:864
	ds_read_b128 v[117:120], v1 offset:1520
	ds_read_b128 v[121:124], v1 offset:1536
	s_mov_b32 s4, exec_lo
	s_waitcnt vmcnt(54) lgkmcnt(2)
	v_mul_f64 v[180:181], v[4:5], v[6:7]
	v_mul_f64 v[6:7], v[2:3], v[6:7]
	s_waitcnt vmcnt(52) lgkmcnt(1)
	v_mul_f64 v[182:183], v[119:120], v[125:126]
	v_mul_f64 v[125:126], v[117:118], v[125:126]
	;; [unrolled: 3-line block ×3, first 2 shown]
	v_fma_f64 v[180:181], v[2:3], v[127:128], -v[180:181]
	v_fma_f64 v[6:7], v[4:5], v[127:128], v[6:7]
	s_clause 0x3
	buffer_load_dword v127, off, s[0:3], 0 offset:640
	buffer_load_dword v128, off, s[0:3], 0 offset:644
	;; [unrolled: 1-line block ×4, first 2 shown]
	s_waitcnt vmcnt(50)
	v_fma_f64 v[182:183], v[117:118], v[131:132], -v[182:183]
	ds_read_b128 v[2:5], v1 offset:1552
	v_fma_f64 v[125:126], v[119:120], v[131:132], v[125:126]
	ds_read_b128 v[117:120], v1 offset:1568
	s_waitcnt vmcnt(44)
	v_fma_f64 v[129:130], v[121:122], v[139:140], -v[129:130]
	v_fma_f64 v[139:140], v[123:124], v[139:140], v[186:187]
	ds_read_b128 v[121:124], v1 offset:1584
	v_add_f64 v[180:181], v[180:181], 0
	v_add_f64 v[6:7], v[6:7], 0
	s_waitcnt lgkmcnt(2)
	v_mul_f64 v[131:132], v[2:3], v[133:134]
	v_mul_f64 v[133:134], v[4:5], v[133:134]
	v_add_f64 v[180:181], v[180:181], v[182:183]
	v_add_f64 v[6:7], v[6:7], v[125:126]
	s_waitcnt vmcnt(43) lgkmcnt(1)
	v_mul_f64 v[125:126], v[117:118], v[135:136]
	v_mul_f64 v[135:136], v[119:120], v[135:136]
	s_waitcnt vmcnt(41)
	v_fma_f64 v[133:134], v[2:3], v[141:142], -v[133:134]
	v_fma_f64 v[131:132], v[4:5], v[141:142], v[131:132]
	ds_read_b128 v[2:5], v1 offset:1600
	s_waitcnt vmcnt(37) lgkmcnt(1)
	v_mul_f64 v[141:142], v[123:124], v[143:144]
	v_add_f64 v[129:130], v[180:181], v[129:130]
	v_add_f64 v[6:7], v[6:7], v[139:140]
	v_mul_f64 v[139:140], v[121:122], v[143:144]
	s_waitcnt vmcnt(36)
	v_fma_f64 v[135:136], v[117:118], v[137:138], -v[135:136]
	v_fma_f64 v[125:126], v[119:120], v[137:138], v[125:126]
	ds_read_b128 v[117:120], v1 offset:1616
	s_waitcnt vmcnt(33)
	v_fma_f64 v[137:138], v[121:122], v[149:150], -v[141:142]
	v_add_f64 v[129:130], v[129:130], v[133:134]
	v_add_f64 v[6:7], v[6:7], v[131:132]
	s_waitcnt lgkmcnt(1)
	v_mul_f64 v[133:134], v[4:5], v[145:146]
	v_mul_f64 v[131:132], v[2:3], v[145:146]
	v_add_f64 v[129:130], v[129:130], v[135:136]
	v_fma_f64 v[135:136], v[123:124], v[149:150], v[139:140]
	v_add_f64 v[6:7], v[6:7], v[125:126]
	ds_read_b128 v[121:124], v1 offset:1632
	s_waitcnt vmcnt(29) lgkmcnt(1)
	v_mul_f64 v[139:140], v[119:120], v[151:152]
	s_waitcnt vmcnt(28)
	v_fma_f64 v[133:134], v[2:3], v[147:148], -v[133:134]
	v_mul_f64 v[125:126], v[117:118], v[151:152]
	v_fma_f64 v[131:132], v[4:5], v[147:148], v[131:132]
	ds_read_b128 v[2:5], v1 offset:1648
	v_add_f64 v[129:130], v[129:130], v[137:138]
	s_waitcnt vmcnt(27) lgkmcnt(1)
	v_mul_f64 v[137:138], v[123:124], v[153:154]
	v_add_f64 v[6:7], v[6:7], v[135:136]
	v_mul_f64 v[135:136], v[121:122], v[153:154]
	s_waitcnt vmcnt(25)
	v_fma_f64 v[139:140], v[117:118], v[157:158], -v[139:140]
	v_fma_f64 v[125:126], v[119:120], v[157:158], v[125:126]
	ds_read_b128 v[117:120], v1 offset:1664
	v_add_f64 v[129:130], v[129:130], v[133:134]
	s_waitcnt vmcnt(21) lgkmcnt(1)
	v_mul_f64 v[133:134], v[4:5], v[159:160]
	v_add_f64 v[6:7], v[6:7], v[131:132]
	s_waitcnt vmcnt(20)
	v_fma_f64 v[137:138], v[121:122], v[155:156], -v[137:138]
	v_mul_f64 v[131:132], v[2:3], v[159:160]
	v_fma_f64 v[135:136], v[123:124], v[155:156], v[135:136]
	ds_read_b128 v[121:124], v1 offset:1680
	v_add_f64 v[129:130], v[129:130], v[139:140]
	s_waitcnt vmcnt(19) lgkmcnt(1)
	v_mul_f64 v[139:140], v[119:120], v[161:162]
	v_add_f64 v[6:7], v[6:7], v[125:126]
	s_waitcnt vmcnt(17)
	v_fma_f64 v[133:134], v[2:3], v[165:166], -v[133:134]
	v_mul_f64 v[125:126], v[117:118], v[161:162]
	;; [unrolled: 9-line block ×4, first 2 shown]
	v_fma_f64 v[123:124], v[123:124], v[173:174], v[135:136]
	s_waitcnt vmcnt(7) lgkmcnt(0)
	v_mul_f64 v[135:136], v[119:120], v[175:176]
	v_add_f64 v[129:130], v[129:130], v[139:140]
	s_waitcnt vmcnt(6)
	v_fma_f64 v[1:2], v[2:3], v[171:172], -v[133:134]
	v_add_f64 v[6:7], v[6:7], v[125:126]
	v_mul_f64 v[125:126], v[117:118], v[175:176]
	v_fma_f64 v[3:4], v[4:5], v[171:172], v[131:132]
	v_add_f64 v[121:122], v[129:130], v[121:122]
	v_add_f64 v[5:6], v[6:7], v[123:124]
	s_waitcnt vmcnt(4)
	v_fma_f64 v[7:8], v[117:118], v[178:179], -v[135:136]
	v_fma_f64 v[117:118], v[119:120], v[178:179], v[125:126]
	v_add_f64 v[1:2], v[121:122], v[1:2]
	v_add_f64 v[3:4], v[5:6], v[3:4]
	;; [unrolled: 1-line block ×4, first 2 shown]
	s_waitcnt vmcnt(2)
	v_add_f64 v[1:2], v[127:128], -v[1:2]
	s_waitcnt vmcnt(0)
	v_add_f64 v[3:4], v[184:185], -v[3:4]
	buffer_store_dword v2, off, s[0:3], 0 offset:644
	buffer_store_dword v1, off, s[0:3], 0 offset:640
	;; [unrolled: 1-line block ×4, first 2 shown]
	v_cmpx_lt_u32_e32 38, v0
	s_cbranch_execz .LBB117_261
; %bb.260:
	v_mov_b32_e32 v4, s27
	v_mov_b32_e32 v5, 0
	s_clause 0x3
	buffer_load_dword v1, v4, s[0:3], 0 offen
	buffer_load_dword v2, v4, s[0:3], 0 offen offset:4
	buffer_load_dword v3, v4, s[0:3], 0 offen offset:8
	;; [unrolled: 1-line block ×3, first 2 shown]
	buffer_store_dword v5, off, s[0:3], 0 offset:624
	buffer_store_dword v5, off, s[0:3], 0 offset:628
	;; [unrolled: 1-line block ×4, first 2 shown]
	s_waitcnt vmcnt(0)
	ds_write_b128 v177, v[1:4]
.LBB117_261:
	s_or_b32 exec_lo, exec_lo, s4
	s_waitcnt lgkmcnt(0)
	s_waitcnt_vscnt null, 0x0
	s_barrier
	buffer_gl0_inv
	s_clause 0x35
	buffer_load_dword v6, off, s[0:3], 0 offset:648
	buffer_load_dword v7, off, s[0:3], 0 offset:652
	;; [unrolled: 1-line block ×54, first 2 shown]
	v_mov_b32_e32 v1, 0
	s_mov_b32 s4, exec_lo
	ds_read_b128 v[2:5], v1 offset:1488
	s_clause 0x3
	buffer_load_dword v178, off, s[0:3], 0 offset:872
	buffer_load_dword v179, off, s[0:3], 0 offset:876
	;; [unrolled: 1-line block ×4, first 2 shown]
	ds_read_b128 v[117:120], v1 offset:1504
	s_clause 0x1
	buffer_load_dword v184, off, s[0:3], 0 offset:864
	buffer_load_dword v185, off, s[0:3], 0 offset:868
	ds_read_b128 v[121:124], v1 offset:1520
	s_waitcnt vmcnt(58) lgkmcnt(2)
	v_mul_f64 v[182:183], v[4:5], v[6:7]
	v_mul_f64 v[6:7], v[2:3], v[6:7]
	s_waitcnt vmcnt(56) lgkmcnt(1)
	v_mul_f64 v[186:187], v[119:120], v[125:126]
	v_mul_f64 v[125:126], v[117:118], v[125:126]
	s_waitcnt vmcnt(54)
	v_fma_f64 v[182:183], v[2:3], v[127:128], -v[182:183]
	v_fma_f64 v[6:7], v[4:5], v[127:128], v[6:7]
	ds_read_b128 v[2:5], v1 offset:1536
	s_waitcnt vmcnt(52) lgkmcnt(1)
	v_mul_f64 v[127:128], v[121:122], v[129:130]
	v_mul_f64 v[129:130], v[123:124], v[129:130]
	s_waitcnt vmcnt(50)
	v_fma_f64 v[186:187], v[117:118], v[131:132], -v[186:187]
	v_fma_f64 v[125:126], v[119:120], v[131:132], v[125:126]
	s_clause 0x3
	buffer_load_dword v131, off, s[0:3], 0 offset:624
	buffer_load_dword v132, off, s[0:3], 0 offset:628
	;; [unrolled: 1-line block ×4, first 2 shown]
	ds_read_b128 v[117:120], v1 offset:1552
	s_waitcnt vmcnt(52) lgkmcnt(1)
	v_mul_f64 v[190:191], v[2:3], v[133:134]
	v_add_f64 v[182:183], v[182:183], 0
	v_add_f64 v[6:7], v[6:7], 0
	v_mul_f64 v[133:134], v[4:5], v[133:134]
	s_waitcnt vmcnt(50)
	v_fma_f64 v[129:130], v[121:122], v[135:136], -v[129:130]
	v_fma_f64 v[127:128], v[123:124], v[135:136], v[127:128]
	ds_read_b128 v[121:124], v1 offset:1568
	s_waitcnt vmcnt(48) lgkmcnt(1)
	v_mul_f64 v[135:136], v[119:120], v[137:138]
	v_add_f64 v[182:183], v[182:183], v[186:187]
	v_add_f64 v[6:7], v[6:7], v[125:126]
	s_waitcnt vmcnt(46)
	v_fma_f64 v[133:134], v[2:3], v[139:140], -v[133:134]
	v_mul_f64 v[125:126], v[117:118], v[137:138]
	v_fma_f64 v[137:138], v[4:5], v[139:140], v[190:191]
	s_waitcnt vmcnt(44) lgkmcnt(0)
	v_mul_f64 v[139:140], v[123:124], v[141:142]
	s_waitcnt vmcnt(42)
	v_fma_f64 v[135:136], v[117:118], v[143:144], -v[135:136]
	ds_read_b128 v[2:5], v1 offset:1584
	v_add_f64 v[129:130], v[182:183], v[129:130]
	v_add_f64 v[6:7], v[6:7], v[127:128]
	v_mul_f64 v[127:128], v[121:122], v[141:142]
	v_fma_f64 v[125:126], v[119:120], v[143:144], v[125:126]
	ds_read_b128 v[117:120], v1 offset:1600
	s_waitcnt vmcnt(38)
	v_fma_f64 v[139:140], v[121:122], v[147:148], -v[139:140]
	v_add_f64 v[129:130], v[129:130], v[133:134]
	v_add_f64 v[6:7], v[6:7], v[137:138]
	s_waitcnt lgkmcnt(1)
	v_mul_f64 v[137:138], v[4:5], v[145:146]
	v_mul_f64 v[133:134], v[2:3], v[145:146]
	v_fma_f64 v[127:128], v[123:124], v[147:148], v[127:128]
	ds_read_b128 v[121:124], v1 offset:1616
	v_add_f64 v[129:130], v[129:130], v[135:136]
	v_add_f64 v[6:7], v[6:7], v[125:126]
	s_waitcnt vmcnt(36) lgkmcnt(1)
	v_mul_f64 v[135:136], v[119:120], v[149:150]
	s_waitcnt vmcnt(34)
	v_fma_f64 v[137:138], v[2:3], v[151:152], -v[137:138]
	v_mul_f64 v[125:126], v[117:118], v[149:150]
	v_fma_f64 v[133:134], v[4:5], v[151:152], v[133:134]
	ds_read_b128 v[2:5], v1 offset:1632
	v_add_f64 v[129:130], v[129:130], v[139:140]
	v_add_f64 v[6:7], v[6:7], v[127:128]
	s_waitcnt vmcnt(32) lgkmcnt(1)
	v_mul_f64 v[139:140], v[123:124], v[153:154]
	s_waitcnt vmcnt(30)
	v_fma_f64 v[135:136], v[117:118], v[155:156], -v[135:136]
	v_mul_f64 v[127:128], v[121:122], v[153:154]
	v_fma_f64 v[125:126], v[119:120], v[155:156], v[125:126]
	ds_read_b128 v[117:120], v1 offset:1648
	v_add_f64 v[129:130], v[129:130], v[137:138]
	v_add_f64 v[6:7], v[6:7], v[133:134]
	s_waitcnt vmcnt(28) lgkmcnt(1)
	v_mul_f64 v[137:138], v[4:5], v[157:158]
	s_waitcnt vmcnt(26)
	v_fma_f64 v[139:140], v[121:122], v[159:160], -v[139:140]
	v_mul_f64 v[133:134], v[2:3], v[157:158]
	v_fma_f64 v[127:128], v[123:124], v[159:160], v[127:128]
	ds_read_b128 v[121:124], v1 offset:1664
	v_add_f64 v[129:130], v[129:130], v[135:136]
	v_add_f64 v[6:7], v[6:7], v[125:126]
	s_waitcnt vmcnt(24) lgkmcnt(1)
	v_mul_f64 v[135:136], v[119:120], v[161:162]
	s_waitcnt vmcnt(22)
	v_fma_f64 v[137:138], v[2:3], v[163:164], -v[137:138]
	v_mul_f64 v[125:126], v[117:118], v[161:162]
	v_fma_f64 v[133:134], v[4:5], v[163:164], v[133:134]
	ds_read_b128 v[2:5], v1 offset:1680
	v_add_f64 v[129:130], v[129:130], v[139:140]
	v_add_f64 v[6:7], v[6:7], v[127:128]
	s_waitcnt vmcnt(20) lgkmcnt(1)
	v_mul_f64 v[139:140], v[123:124], v[165:166]
	s_waitcnt vmcnt(18)
	v_fma_f64 v[135:136], v[117:118], v[167:168], -v[135:136]
	v_mul_f64 v[127:128], v[121:122], v[165:166]
	v_fma_f64 v[125:126], v[119:120], v[167:168], v[125:126]
	ds_read_b128 v[117:120], v1 offset:1696
	v_add_f64 v[129:130], v[129:130], v[137:138]
	v_add_f64 v[6:7], v[6:7], v[133:134]
	s_waitcnt vmcnt(16) lgkmcnt(1)
	v_mul_f64 v[137:138], v[4:5], v[169:170]
	s_waitcnt vmcnt(14)
	v_fma_f64 v[139:140], v[121:122], v[171:172], -v[139:140]
	v_mul_f64 v[133:134], v[2:3], v[169:170]
	v_fma_f64 v[127:128], v[123:124], v[171:172], v[127:128]
	ds_read_b128 v[121:124], v1 offset:1712
	v_add_f64 v[129:130], v[129:130], v[135:136]
	v_add_f64 v[6:7], v[6:7], v[125:126]
	s_waitcnt vmcnt(12) lgkmcnt(1)
	v_mul_f64 v[135:136], v[119:120], v[173:174]
	s_waitcnt vmcnt(10)
	v_fma_f64 v[2:3], v[2:3], v[175:176], -v[137:138]
	v_mul_f64 v[125:126], v[117:118], v[173:174]
	v_fma_f64 v[4:5], v[4:5], v[175:176], v[133:134]
	s_waitcnt vmcnt(8) lgkmcnt(0)
	v_mul_f64 v[133:134], v[123:124], v[178:179]
	v_add_f64 v[129:130], v[129:130], v[139:140]
	v_add_f64 v[6:7], v[6:7], v[127:128]
	s_waitcnt vmcnt(6)
	v_fma_f64 v[117:118], v[117:118], v[180:181], -v[135:136]
	v_mul_f64 v[127:128], v[121:122], v[178:179]
	v_fma_f64 v[119:120], v[119:120], v[180:181], v[125:126]
	v_add_f64 v[2:3], v[129:130], v[2:3]
	v_add_f64 v[4:5], v[6:7], v[4:5]
	s_waitcnt vmcnt(4)
	v_fma_f64 v[6:7], v[121:122], v[184:185], -v[133:134]
	v_add_f64 v[2:3], v[2:3], v[117:118]
	v_fma_f64 v[117:118], v[123:124], v[184:185], v[127:128]
	v_add_f64 v[4:5], v[4:5], v[119:120]
	v_add_f64 v[2:3], v[2:3], v[6:7]
	;; [unrolled: 1-line block ×3, first 2 shown]
	s_waitcnt vmcnt(2)
	v_add_f64 v[2:3], v[131:132], -v[2:3]
	s_waitcnt vmcnt(0)
	v_add_f64 v[4:5], v[188:189], -v[4:5]
	buffer_store_dword v3, off, s[0:3], 0 offset:628
	buffer_store_dword v2, off, s[0:3], 0 offset:624
	;; [unrolled: 1-line block ×4, first 2 shown]
	v_cmpx_lt_u32_e32 37, v0
	s_cbranch_execz .LBB117_263
; %bb.262:
	v_mov_b32_e32 v5, s28
	s_clause 0x3
	buffer_load_dword v2, v5, s[0:3], 0 offen
	buffer_load_dword v3, v5, s[0:3], 0 offen offset:4
	buffer_load_dword v4, v5, s[0:3], 0 offen offset:8
	;; [unrolled: 1-line block ×3, first 2 shown]
	buffer_store_dword v1, off, s[0:3], 0 offset:608
	buffer_store_dword v1, off, s[0:3], 0 offset:612
	;; [unrolled: 1-line block ×4, first 2 shown]
	s_waitcnt vmcnt(0)
	ds_write_b128 v177, v[2:5]
.LBB117_263:
	s_or_b32 exec_lo, exec_lo, s4
	s_waitcnt lgkmcnt(0)
	s_waitcnt_vscnt null, 0x0
	s_barrier
	buffer_gl0_inv
	s_clause 0x37
	buffer_load_dword v6, off, s[0:3], 0 offset:632
	buffer_load_dword v7, off, s[0:3], 0 offset:636
	;; [unrolled: 1-line block ×56, first 2 shown]
	ds_read_b128 v[2:5], v1 offset:1472
	s_clause 0x2
	buffer_load_dword v179, off, s[0:3], 0 offset:860
	buffer_load_dword v183, off, s[0:3], 0 offset:836
	;; [unrolled: 1-line block ×3, first 2 shown]
	ds_read_b128 v[117:120], v1 offset:1488
	s_clause 0x2
	buffer_load_dword v187, off, s[0:3], 0 offset:876
	buffer_load_dword v186, off, s[0:3], 0 offset:872
	buffer_load_dword v181, off, s[0:3], 0 offset:852
	ds_read_b128 v[121:124], v1 offset:1504
	s_mov_b32 s4, exec_lo
	s_waitcnt vmcnt(60) lgkmcnt(2)
	v_mul_f64 v[184:185], v[4:5], v[6:7]
	v_mul_f64 v[6:7], v[2:3], v[6:7]
	s_waitcnt vmcnt(58) lgkmcnt(1)
	v_mul_f64 v[188:189], v[119:120], v[125:126]
	v_mul_f64 v[125:126], v[117:118], v[125:126]
	;; [unrolled: 3-line block ×3, first 2 shown]
	v_fma_f64 v[184:185], v[2:3], v[127:128], -v[184:185]
	v_fma_f64 v[6:7], v[4:5], v[127:128], v[6:7]
	s_clause 0x1
	buffer_load_dword v128, off, s[0:3], 0 offset:868
	buffer_load_dword v127, off, s[0:3], 0 offset:864
	s_waitcnt vmcnt(54)
	v_fma_f64 v[188:189], v[117:118], v[131:132], -v[188:189]
	ds_read_b128 v[2:5], v1 offset:1520
	v_fma_f64 v[125:126], v[119:120], v[131:132], v[125:126]
	ds_read_b128 v[117:120], v1 offset:1536
	s_waitcnt vmcnt(48)
	v_fma_f64 v[129:130], v[121:122], v[139:140], -v[129:130]
	v_fma_f64 v[139:140], v[123:124], v[139:140], v[190:191]
	v_add_f64 v[184:185], v[184:185], 0
	v_add_f64 v[6:7], v[6:7], 0
	s_waitcnt lgkmcnt(1)
	v_mul_f64 v[131:132], v[2:3], v[133:134]
	v_mul_f64 v[133:134], v[4:5], v[133:134]
	s_waitcnt vmcnt(47) lgkmcnt(0)
	v_mul_f64 v[190:191], v[117:118], v[135:136]
	v_mul_f64 v[135:136], v[119:120], v[135:136]
	v_add_f64 v[184:185], v[184:185], v[188:189]
	v_add_f64 v[6:7], v[6:7], v[125:126]
	s_clause 0x3
	buffer_load_dword v125, off, s[0:3], 0 offset:608
	buffer_load_dword v126, off, s[0:3], 0 offset:612
	;; [unrolled: 1-line block ×4, first 2 shown]
	s_waitcnt vmcnt(49)
	v_fma_f64 v[133:134], v[2:3], v[141:142], -v[133:134]
	ds_read_b128 v[121:124], v1 offset:1552
	v_fma_f64 v[131:132], v[4:5], v[141:142], v[131:132]
	ds_read_b128 v[2:5], v1 offset:1568
	s_waitcnt vmcnt(44)
	v_fma_f64 v[135:136], v[117:118], v[137:138], -v[135:136]
	v_add_f64 v[129:130], v[184:185], v[129:130]
	v_add_f64 v[6:7], v[6:7], v[139:140]
	s_waitcnt lgkmcnt(1)
	v_mul_f64 v[141:142], v[123:124], v[143:144]
	v_mul_f64 v[139:140], v[121:122], v[143:144]
	v_add_f64 v[129:130], v[129:130], v[133:134]
	v_fma_f64 v[133:134], v[119:120], v[137:138], v[190:191]
	v_add_f64 v[6:7], v[6:7], v[131:132]
	s_waitcnt vmcnt(43) lgkmcnt(0)
	v_mul_f64 v[137:138], v[4:5], v[145:146]
	s_waitcnt vmcnt(41)
	v_fma_f64 v[141:142], v[121:122], v[149:150], -v[141:142]
	ds_read_b128 v[117:120], v1 offset:1584
	v_mul_f64 v[131:132], v[2:3], v[145:146]
	v_add_f64 v[129:130], v[129:130], v[135:136]
	v_fma_f64 v[135:136], v[123:124], v[149:150], v[139:140]
	v_add_f64 v[6:7], v[6:7], v[133:134]
	ds_read_b128 v[121:124], v1 offset:1600
	s_waitcnt vmcnt(37) lgkmcnt(1)
	v_mul_f64 v[139:140], v[119:120], v[151:152]
	s_waitcnt vmcnt(36)
	v_fma_f64 v[137:138], v[2:3], v[147:148], -v[137:138]
	v_mul_f64 v[133:134], v[117:118], v[151:152]
	v_fma_f64 v[131:132], v[4:5], v[147:148], v[131:132]
	ds_read_b128 v[2:5], v1 offset:1616
	v_add_f64 v[129:130], v[129:130], v[141:142]
	s_waitcnt vmcnt(35) lgkmcnt(1)
	v_mul_f64 v[141:142], v[123:124], v[153:154]
	v_add_f64 v[6:7], v[6:7], v[135:136]
	v_mul_f64 v[135:136], v[121:122], v[153:154]
	s_waitcnt vmcnt(33)
	v_fma_f64 v[139:140], v[117:118], v[157:158], -v[139:140]
	v_fma_f64 v[133:134], v[119:120], v[157:158], v[133:134]
	ds_read_b128 v[117:120], v1 offset:1632
	v_add_f64 v[129:130], v[129:130], v[137:138]
	s_waitcnt vmcnt(29) lgkmcnt(1)
	v_mul_f64 v[137:138], v[4:5], v[159:160]
	v_add_f64 v[6:7], v[6:7], v[131:132]
	s_waitcnt vmcnt(28)
	v_fma_f64 v[141:142], v[121:122], v[155:156], -v[141:142]
	v_mul_f64 v[131:132], v[2:3], v[159:160]
	v_fma_f64 v[135:136], v[123:124], v[155:156], v[135:136]
	ds_read_b128 v[121:124], v1 offset:1648
	v_add_f64 v[129:130], v[129:130], v[139:140]
	s_waitcnt vmcnt(27) lgkmcnt(1)
	v_mul_f64 v[139:140], v[119:120], v[161:162]
	v_add_f64 v[6:7], v[6:7], v[133:134]
	s_waitcnt vmcnt(25)
	v_fma_f64 v[137:138], v[2:3], v[165:166], -v[137:138]
	v_mul_f64 v[133:134], v[117:118], v[161:162]
	;; [unrolled: 9-line block ×5, first 2 shown]
	v_fma_f64 v[131:132], v[4:5], v[171:172], v[131:132]
	ds_read_b128 v[1:4], v1 offset:1712
	v_add_f64 v[129:130], v[129:130], v[141:142]
	s_waitcnt vmcnt(9)
	v_fma_f64 v[117:118], v[117:118], v[182:183], -v[139:140]
	v_add_f64 v[5:6], v[6:7], v[135:136]
	s_waitcnt lgkmcnt(1)
	v_mul_f64 v[135:136], v[123:124], v[178:179]
	v_mul_f64 v[7:8], v[121:122], v[178:179]
	v_fma_f64 v[119:120], v[119:120], v[182:183], v[133:134]
	s_waitcnt vmcnt(7) lgkmcnt(0)
	v_mul_f64 v[133:134], v[3:4], v[186:187]
	v_add_f64 v[129:130], v[129:130], v[137:138]
	v_add_f64 v[5:6], v[5:6], v[131:132]
	s_waitcnt vmcnt(6)
	v_fma_f64 v[121:122], v[121:122], v[180:181], -v[135:136]
	v_mul_f64 v[131:132], v[1:2], v[186:187]
	v_fma_f64 v[7:8], v[123:124], v[180:181], v[7:8]
	v_add_f64 v[117:118], v[129:130], v[117:118]
	v_add_f64 v[5:6], v[5:6], v[119:120]
	s_waitcnt vmcnt(4)
	v_fma_f64 v[1:2], v[1:2], v[127:128], -v[133:134]
	v_fma_f64 v[3:4], v[3:4], v[127:128], v[131:132]
	v_add_f64 v[117:118], v[117:118], v[121:122]
	v_add_f64 v[5:6], v[5:6], v[7:8]
	;; [unrolled: 1-line block ×4, first 2 shown]
	s_waitcnt vmcnt(2)
	v_add_f64 v[1:2], v[125:126], -v[1:2]
	s_waitcnt vmcnt(0)
	v_add_f64 v[3:4], v[188:189], -v[3:4]
	buffer_store_dword v2, off, s[0:3], 0 offset:612
	buffer_store_dword v1, off, s[0:3], 0 offset:608
	buffer_store_dword v4, off, s[0:3], 0 offset:620
	buffer_store_dword v3, off, s[0:3], 0 offset:616
	v_cmpx_lt_u32_e32 36, v0
	s_cbranch_execz .LBB117_265
; %bb.264:
	v_mov_b32_e32 v4, s29
	v_mov_b32_e32 v5, 0
	s_clause 0x3
	buffer_load_dword v1, v4, s[0:3], 0 offen
	buffer_load_dword v2, v4, s[0:3], 0 offen offset:4
	buffer_load_dword v3, v4, s[0:3], 0 offen offset:8
	;; [unrolled: 1-line block ×3, first 2 shown]
	buffer_store_dword v5, off, s[0:3], 0 offset:592
	buffer_store_dword v5, off, s[0:3], 0 offset:596
	;; [unrolled: 1-line block ×4, first 2 shown]
	s_waitcnt vmcnt(0)
	ds_write_b128 v177, v[1:4]
.LBB117_265:
	s_or_b32 exec_lo, exec_lo, s4
	s_waitcnt lgkmcnt(0)
	s_waitcnt_vscnt null, 0x0
	s_barrier
	buffer_gl0_inv
	s_clause 0x37
	buffer_load_dword v6, off, s[0:3], 0 offset:616
	buffer_load_dword v7, off, s[0:3], 0 offset:620
	;; [unrolled: 1-line block ×56, first 2 shown]
	v_mov_b32_e32 v1, 0
	s_mov_b32 s4, exec_lo
	ds_read_b128 v[2:5], v1 offset:1456
	s_clause 0x2
	buffer_load_dword v179, off, s[0:3], 0 offset:844
	buffer_load_dword v183, off, s[0:3], 0 offset:820
	;; [unrolled: 1-line block ×3, first 2 shown]
	ds_read_b128 v[117:120], v1 offset:1472
	s_clause 0x4
	buffer_load_dword v187, off, s[0:3], 0 offset:860
	buffer_load_dword v188, off, s[0:3], 0 offset:872
	;; [unrolled: 1-line block ×5, first 2 shown]
	ds_read_b128 v[121:124], v1 offset:1488
	s_waitcnt vmcnt(62) lgkmcnt(2)
	v_mul_f64 v[184:185], v[4:5], v[6:7]
	v_mul_f64 v[6:7], v[2:3], v[6:7]
	s_waitcnt vmcnt(60) lgkmcnt(1)
	v_mul_f64 v[191:192], v[119:120], v[125:126]
	v_mul_f64 v[125:126], v[117:118], v[125:126]
	;; [unrolled: 3-line block ×3, first 2 shown]
	v_fma_f64 v[184:185], v[2:3], v[127:128], -v[184:185]
	v_fma_f64 v[6:7], v[4:5], v[127:128], v[6:7]
	s_clause 0x2
	buffer_load_dword v189, off, s[0:3], 0 offset:876
	buffer_load_dword v128, off, s[0:3], 0 offset:852
	;; [unrolled: 1-line block ×3, first 2 shown]
	s_waitcnt vmcnt(57)
	v_fma_f64 v[195:196], v[117:118], v[131:132], -v[191:192]
	ds_read_b128 v[2:5], v1 offset:1504
	v_fma_f64 v[125:126], v[119:120], v[131:132], v[125:126]
	buffer_load_dword v191, off, s[0:3], 0 offset:868
	ds_read_b128 v[117:120], v1 offset:1520
	s_waitcnt vmcnt(52)
	v_fma_f64 v[129:130], v[121:122], v[139:140], -v[129:130]
	v_fma_f64 v[139:140], v[123:124], v[139:140], v[193:194]
	ds_read_b128 v[121:124], v1 offset:1536
	v_add_f64 v[184:185], v[184:185], 0
	v_add_f64 v[6:7], v[6:7], 0
	s_waitcnt lgkmcnt(2)
	v_mul_f64 v[131:132], v[2:3], v[133:134]
	v_mul_f64 v[133:134], v[4:5], v[133:134]
	v_add_f64 v[184:185], v[184:185], v[195:196]
	v_add_f64 v[6:7], v[6:7], v[125:126]
	s_waitcnt vmcnt(51) lgkmcnt(1)
	v_mul_f64 v[125:126], v[117:118], v[135:136]
	v_mul_f64 v[135:136], v[119:120], v[135:136]
	s_waitcnt vmcnt(49)
	v_fma_f64 v[133:134], v[2:3], v[141:142], -v[133:134]
	v_fma_f64 v[131:132], v[4:5], v[141:142], v[131:132]
	v_add_f64 v[129:130], v[184:185], v[129:130]
	v_add_f64 v[6:7], v[6:7], v[139:140]
	s_clause 0x3
	buffer_load_dword v139, off, s[0:3], 0 offset:592
	buffer_load_dword v140, off, s[0:3], 0 offset:596
	;; [unrolled: 1-line block ×4, first 2 shown]
	s_waitcnt vmcnt(49) lgkmcnt(0)
	v_mul_f64 v[184:185], v[121:122], v[143:144]
	v_mul_f64 v[143:144], v[123:124], v[143:144]
	s_waitcnt vmcnt(48)
	v_fma_f64 v[135:136], v[117:118], v[137:138], -v[135:136]
	ds_read_b128 v[2:5], v1 offset:1552
	v_fma_f64 v[125:126], v[119:120], v[137:138], v[125:126]
	ds_read_b128 v[117:120], v1 offset:1568
	v_add_f64 v[129:130], v[129:130], v[133:134]
	v_add_f64 v[6:7], v[6:7], v[131:132]
	s_waitcnt vmcnt(47) lgkmcnt(1)
	v_mul_f64 v[133:134], v[4:5], v[145:146]
	s_waitcnt vmcnt(45)
	v_fma_f64 v[137:138], v[121:122], v[149:150], -v[143:144]
	v_mul_f64 v[131:132], v[2:3], v[145:146]
	s_waitcnt vmcnt(41) lgkmcnt(0)
	v_mul_f64 v[143:144], v[119:120], v[151:152]
	v_add_f64 v[129:130], v[129:130], v[135:136]
	v_fma_f64 v[135:136], v[123:124], v[149:150], v[184:185]
	v_add_f64 v[6:7], v[6:7], v[125:126]
	ds_read_b128 v[121:124], v1 offset:1584
	s_waitcnt vmcnt(40)
	v_fma_f64 v[133:134], v[2:3], v[147:148], -v[133:134]
	v_mul_f64 v[125:126], v[117:118], v[151:152]
	v_fma_f64 v[131:132], v[4:5], v[147:148], v[131:132]
	ds_read_b128 v[2:5], v1 offset:1600
	s_waitcnt vmcnt(37)
	v_fma_f64 v[143:144], v[117:118], v[157:158], -v[143:144]
	v_add_f64 v[129:130], v[129:130], v[137:138]
	s_waitcnt lgkmcnt(1)
	v_mul_f64 v[137:138], v[123:124], v[153:154]
	v_add_f64 v[6:7], v[6:7], v[135:136]
	v_mul_f64 v[135:136], v[121:122], v[153:154]
	v_fma_f64 v[125:126], v[119:120], v[157:158], v[125:126]
	ds_read_b128 v[117:120], v1 offset:1616
	v_add_f64 v[129:130], v[129:130], v[133:134]
	s_waitcnt vmcnt(33) lgkmcnt(1)
	v_mul_f64 v[133:134], v[4:5], v[159:160]
	v_add_f64 v[6:7], v[6:7], v[131:132]
	s_waitcnt vmcnt(32)
	v_fma_f64 v[137:138], v[121:122], v[155:156], -v[137:138]
	v_mul_f64 v[131:132], v[2:3], v[159:160]
	v_fma_f64 v[135:136], v[123:124], v[155:156], v[135:136]
	ds_read_b128 v[121:124], v1 offset:1632
	v_add_f64 v[129:130], v[129:130], v[143:144]
	s_waitcnt vmcnt(31) lgkmcnt(1)
	v_mul_f64 v[143:144], v[119:120], v[161:162]
	v_add_f64 v[6:7], v[6:7], v[125:126]
	s_waitcnt vmcnt(29)
	v_fma_f64 v[133:134], v[2:3], v[165:166], -v[133:134]
	;; [unrolled: 9-line block ×7, first 2 shown]
	v_mul_f64 v[131:132], v[2:3], v[186:187]
	v_fma_f64 v[123:124], v[123:124], v[180:181], v[135:136]
	v_add_f64 v[129:130], v[129:130], v[143:144]
	v_add_f64 v[6:7], v[6:7], v[125:126]
	s_waitcnt vmcnt(7) lgkmcnt(0)
	v_mul_f64 v[135:136], v[119:120], v[188:189]
	v_mul_f64 v[125:126], v[117:118], v[188:189]
	s_waitcnt vmcnt(5)
	v_fma_f64 v[2:3], v[2:3], v[127:128], -v[133:134]
	v_fma_f64 v[4:5], v[4:5], v[127:128], v[131:132]
	v_add_f64 v[121:122], v[129:130], v[121:122]
	v_add_f64 v[6:7], v[6:7], v[123:124]
	s_waitcnt vmcnt(4)
	v_fma_f64 v[117:118], v[117:118], v[190:191], -v[135:136]
	v_fma_f64 v[119:120], v[119:120], v[190:191], v[125:126]
	v_add_f64 v[2:3], v[121:122], v[2:3]
	v_add_f64 v[4:5], v[6:7], v[4:5]
	;; [unrolled: 1-line block ×4, first 2 shown]
	s_waitcnt vmcnt(2)
	v_add_f64 v[2:3], v[139:140], -v[2:3]
	s_waitcnt vmcnt(0)
	v_add_f64 v[4:5], v[141:142], -v[4:5]
	buffer_store_dword v3, off, s[0:3], 0 offset:596
	buffer_store_dword v2, off, s[0:3], 0 offset:592
	;; [unrolled: 1-line block ×4, first 2 shown]
	v_cmpx_lt_u32_e32 35, v0
	s_cbranch_execz .LBB117_267
; %bb.266:
	v_mov_b32_e32 v5, s30
	s_clause 0x3
	buffer_load_dword v2, v5, s[0:3], 0 offen
	buffer_load_dword v3, v5, s[0:3], 0 offen offset:4
	buffer_load_dword v4, v5, s[0:3], 0 offen offset:8
	buffer_load_dword v5, v5, s[0:3], 0 offen offset:12
	buffer_store_dword v1, off, s[0:3], 0 offset:576
	buffer_store_dword v1, off, s[0:3], 0 offset:580
	;; [unrolled: 1-line block ×4, first 2 shown]
	s_waitcnt vmcnt(0)
	ds_write_b128 v177, v[2:5]
.LBB117_267:
	s_or_b32 exec_lo, exec_lo, s4
	s_waitcnt lgkmcnt(0)
	s_waitcnt_vscnt null, 0x0
	s_barrier
	buffer_gl0_inv
	s_clause 0x37
	buffer_load_dword v6, off, s[0:3], 0 offset:600
	buffer_load_dword v7, off, s[0:3], 0 offset:604
	;; [unrolled: 1-line block ×56, first 2 shown]
	ds_read_b128 v[2:5], v1 offset:1440
	s_clause 0x2
	buffer_load_dword v179, off, s[0:3], 0 offset:828
	buffer_load_dword v183, off, s[0:3], 0 offset:804
	;; [unrolled: 1-line block ×3, first 2 shown]
	ds_read_b128 v[117:120], v1 offset:1456
	s_clause 0x4
	buffer_load_dword v187, off, s[0:3], 0 offset:844
	buffer_load_dword v188, off, s[0:3], 0 offset:856
	;; [unrolled: 1-line block ×5, first 2 shown]
	ds_read_b128 v[121:124], v1 offset:1472
	s_mov_b32 s4, exec_lo
	s_waitcnt vmcnt(62) lgkmcnt(2)
	v_mul_f64 v[184:185], v[4:5], v[6:7]
	v_mul_f64 v[6:7], v[2:3], v[6:7]
	s_waitcnt vmcnt(60) lgkmcnt(1)
	v_mul_f64 v[191:192], v[119:120], v[125:126]
	v_mul_f64 v[125:126], v[117:118], v[125:126]
	;; [unrolled: 3-line block ×3, first 2 shown]
	v_fma_f64 v[184:185], v[2:3], v[127:128], -v[184:185]
	v_fma_f64 v[6:7], v[4:5], v[127:128], v[6:7]
	s_clause 0x2
	buffer_load_dword v189, off, s[0:3], 0 offset:860
	buffer_load_dword v128, off, s[0:3], 0 offset:836
	buffer_load_dword v127, off, s[0:3], 0 offset:832
	s_waitcnt vmcnt(57)
	v_fma_f64 v[195:196], v[117:118], v[131:132], -v[191:192]
	ds_read_b128 v[2:5], v1 offset:1488
	v_fma_f64 v[125:126], v[119:120], v[131:132], v[125:126]
	s_clause 0x2
	buffer_load_dword v132, off, s[0:3], 0 offset:876
	buffer_load_dword v131, off, s[0:3], 0 offset:872
	;; [unrolled: 1-line block ×3, first 2 shown]
	s_waitcnt vmcnt(54)
	v_fma_f64 v[129:130], v[121:122], v[139:140], -v[129:130]
	ds_read_b128 v[117:120], v1 offset:1504
	v_fma_f64 v[139:140], v[123:124], v[139:140], v[193:194]
	v_add_f64 v[184:185], v[184:185], 0
	v_add_f64 v[6:7], v[6:7], 0
	s_waitcnt lgkmcnt(1)
	v_mul_f64 v[197:198], v[2:3], v[133:134]
	v_mul_f64 v[133:134], v[4:5], v[133:134]
	s_waitcnt vmcnt(53) lgkmcnt(0)
	v_mul_f64 v[192:193], v[117:118], v[135:136]
	v_mul_f64 v[135:136], v[119:120], v[135:136]
	v_add_f64 v[184:185], v[184:185], v[195:196]
	v_add_f64 v[6:7], v[6:7], v[125:126]
	s_clause 0x1
	buffer_load_dword v126, off, s[0:3], 0 offset:868
	buffer_load_dword v125, off, s[0:3], 0 offset:864
	s_waitcnt vmcnt(53)
	v_fma_f64 v[133:134], v[2:3], v[141:142], -v[133:134]
	ds_read_b128 v[121:124], v1 offset:1520
	v_fma_f64 v[141:142], v[4:5], v[141:142], v[197:198]
	ds_read_b128 v[2:5], v1 offset:1536
	s_waitcnt vmcnt(48)
	v_fma_f64 v[135:136], v[117:118], v[137:138], -v[135:136]
	v_add_f64 v[129:130], v[184:185], v[129:130]
	v_add_f64 v[6:7], v[6:7], v[139:140]
	s_waitcnt lgkmcnt(1)
	v_mul_f64 v[139:140], v[121:122], v[143:144]
	v_mul_f64 v[143:144], v[123:124], v[143:144]
	s_waitcnt vmcnt(47) lgkmcnt(0)
	v_mul_f64 v[184:185], v[2:3], v[145:146]
	v_mul_f64 v[145:146], v[4:5], v[145:146]
	v_add_f64 v[129:130], v[129:130], v[133:134]
	v_fma_f64 v[133:134], v[119:120], v[137:138], v[192:193]
	v_add_f64 v[6:7], v[6:7], v[141:142]
	s_clause 0x3
	buffer_load_dword v137, off, s[0:3], 0 offset:576
	buffer_load_dword v138, off, s[0:3], 0 offset:580
	buffer_load_dword v141, off, s[0:3], 0 offset:584
	buffer_load_dword v142, off, s[0:3], 0 offset:588
	s_waitcnt vmcnt(49)
	v_fma_f64 v[143:144], v[121:122], v[149:150], -v[143:144]
	ds_read_b128 v[117:120], v1 offset:1552
	s_waitcnt vmcnt(44)
	v_fma_f64 v[145:146], v[2:3], v[147:148], -v[145:146]
	v_add_f64 v[129:130], v[129:130], v[135:136]
	v_fma_f64 v[135:136], v[123:124], v[149:150], v[139:140]
	v_add_f64 v[6:7], v[6:7], v[133:134]
	ds_read_b128 v[121:124], v1 offset:1568
	s_waitcnt lgkmcnt(1)
	v_mul_f64 v[139:140], v[119:120], v[151:152]
	v_mul_f64 v[133:134], v[117:118], v[151:152]
	v_add_f64 v[129:130], v[129:130], v[143:144]
	v_fma_f64 v[143:144], v[4:5], v[147:148], v[184:185]
	v_add_f64 v[6:7], v[6:7], v[135:136]
	s_waitcnt vmcnt(43) lgkmcnt(0)
	v_mul_f64 v[147:148], v[123:124], v[153:154]
	s_waitcnt vmcnt(41)
	v_fma_f64 v[139:140], v[117:118], v[157:158], -v[139:140]
	ds_read_b128 v[2:5], v1 offset:1584
	v_mul_f64 v[135:136], v[121:122], v[153:154]
	v_fma_f64 v[133:134], v[119:120], v[157:158], v[133:134]
	ds_read_b128 v[117:120], v1 offset:1600
	v_add_f64 v[129:130], v[129:130], v[145:146]
	v_add_f64 v[6:7], v[6:7], v[143:144]
	s_waitcnt vmcnt(37) lgkmcnt(1)
	v_mul_f64 v[145:146], v[4:5], v[159:160]
	s_waitcnt vmcnt(36)
	v_fma_f64 v[147:148], v[121:122], v[155:156], -v[147:148]
	v_mul_f64 v[143:144], v[2:3], v[159:160]
	v_fma_f64 v[135:136], v[123:124], v[155:156], v[135:136]
	ds_read_b128 v[121:124], v1 offset:1616
	v_add_f64 v[129:130], v[129:130], v[139:140]
	s_waitcnt vmcnt(35) lgkmcnt(1)
	v_mul_f64 v[139:140], v[119:120], v[161:162]
	v_add_f64 v[6:7], v[6:7], v[133:134]
	s_waitcnt vmcnt(33)
	v_fma_f64 v[145:146], v[2:3], v[165:166], -v[145:146]
	v_mul_f64 v[133:134], v[117:118], v[161:162]
	v_fma_f64 v[143:144], v[4:5], v[165:166], v[143:144]
	ds_read_b128 v[2:5], v1 offset:1632
	v_add_f64 v[129:130], v[129:130], v[147:148]
	s_waitcnt vmcnt(29) lgkmcnt(1)
	v_mul_f64 v[147:148], v[123:124], v[167:168]
	v_add_f64 v[6:7], v[6:7], v[135:136]
	s_waitcnt vmcnt(28)
	v_fma_f64 v[139:140], v[117:118], v[163:164], -v[139:140]
	v_mul_f64 v[135:136], v[121:122], v[167:168]
	v_fma_f64 v[133:134], v[119:120], v[163:164], v[133:134]
	ds_read_b128 v[117:120], v1 offset:1648
	v_add_f64 v[129:130], v[129:130], v[145:146]
	s_waitcnt vmcnt(27) lgkmcnt(1)
	v_mul_f64 v[145:146], v[4:5], v[169:170]
	v_add_f64 v[6:7], v[6:7], v[143:144]
	s_waitcnt vmcnt(25)
	v_fma_f64 v[147:148], v[121:122], v[173:174], -v[147:148]
	v_mul_f64 v[143:144], v[2:3], v[169:170]
	v_fma_f64 v[135:136], v[123:124], v[173:174], v[135:136]
	ds_read_b128 v[121:124], v1 offset:1664
	v_add_f64 v[129:130], v[129:130], v[139:140]
	s_waitcnt vmcnt(21) lgkmcnt(1)
	v_mul_f64 v[139:140], v[119:120], v[175:176]
	v_add_f64 v[6:7], v[6:7], v[133:134]
	s_waitcnt vmcnt(20)
	v_fma_f64 v[145:146], v[2:3], v[171:172], -v[145:146]
	v_mul_f64 v[133:134], v[117:118], v[175:176]
	v_fma_f64 v[143:144], v[4:5], v[171:172], v[143:144]
	ds_read_b128 v[2:5], v1 offset:1680
	v_add_f64 v[129:130], v[129:130], v[147:148]
	s_waitcnt vmcnt(19) lgkmcnt(1)
	v_mul_f64 v[147:148], v[123:124], v[178:179]
	v_add_f64 v[6:7], v[6:7], v[135:136]
	s_waitcnt vmcnt(17)
	v_fma_f64 v[139:140], v[117:118], v[182:183], -v[139:140]
	v_mul_f64 v[135:136], v[121:122], v[178:179]
	v_fma_f64 v[133:134], v[119:120], v[182:183], v[133:134]
	ds_read_b128 v[117:120], v1 offset:1696
	v_add_f64 v[129:130], v[129:130], v[145:146]
	s_waitcnt vmcnt(13) lgkmcnt(1)
	v_mul_f64 v[145:146], v[4:5], v[186:187]
	v_add_f64 v[6:7], v[6:7], v[143:144]
	s_waitcnt vmcnt(12)
	v_fma_f64 v[147:148], v[121:122], v[180:181], -v[147:148]
	v_mul_f64 v[143:144], v[2:3], v[186:187]
	v_fma_f64 v[135:136], v[123:124], v[180:181], v[135:136]
	ds_read_b128 v[121:124], v1 offset:1712
	v_add_f64 v[129:130], v[129:130], v[139:140]
	v_add_f64 v[6:7], v[6:7], v[133:134]
	s_waitcnt vmcnt(11) lgkmcnt(1)
	v_mul_f64 v[139:140], v[119:120], v[188:189]
	v_mul_f64 v[133:134], v[117:118], v[188:189]
	s_waitcnt vmcnt(9)
	v_fma_f64 v[1:2], v[2:3], v[127:128], -v[145:146]
	v_fma_f64 v[3:4], v[4:5], v[127:128], v[143:144]
	s_waitcnt vmcnt(7) lgkmcnt(0)
	v_mul_f64 v[127:128], v[123:124], v[131:132]
	v_add_f64 v[129:130], v[129:130], v[147:148]
	v_add_f64 v[5:6], v[6:7], v[135:136]
	v_mul_f64 v[7:8], v[121:122], v[131:132]
	s_waitcnt vmcnt(6)
	v_fma_f64 v[117:118], v[117:118], v[190:191], -v[139:140]
	v_fma_f64 v[119:120], v[119:120], v[190:191], v[133:134]
	v_add_f64 v[1:2], v[129:130], v[1:2]
	v_add_f64 v[3:4], v[5:6], v[3:4]
	s_waitcnt vmcnt(4)
	v_fma_f64 v[5:6], v[121:122], v[125:126], -v[127:128]
	v_fma_f64 v[7:8], v[123:124], v[125:126], v[7:8]
	v_add_f64 v[1:2], v[1:2], v[117:118]
	v_add_f64 v[3:4], v[3:4], v[119:120]
	;; [unrolled: 1-line block ×4, first 2 shown]
	s_waitcnt vmcnt(2)
	v_add_f64 v[1:2], v[137:138], -v[1:2]
	s_waitcnt vmcnt(0)
	v_add_f64 v[3:4], v[141:142], -v[3:4]
	buffer_store_dword v2, off, s[0:3], 0 offset:580
	buffer_store_dword v1, off, s[0:3], 0 offset:576
	;; [unrolled: 1-line block ×4, first 2 shown]
	v_cmpx_lt_u32_e32 34, v0
	s_cbranch_execz .LBB117_269
; %bb.268:
	v_mov_b32_e32 v4, s31
	v_mov_b32_e32 v5, 0
	s_clause 0x3
	buffer_load_dword v1, v4, s[0:3], 0 offen
	buffer_load_dword v2, v4, s[0:3], 0 offen offset:4
	buffer_load_dword v3, v4, s[0:3], 0 offen offset:8
	;; [unrolled: 1-line block ×3, first 2 shown]
	buffer_store_dword v5, off, s[0:3], 0 offset:560
	buffer_store_dword v5, off, s[0:3], 0 offset:564
	;; [unrolled: 1-line block ×4, first 2 shown]
	s_waitcnt vmcnt(0)
	ds_write_b128 v177, v[1:4]
.LBB117_269:
	s_or_b32 exec_lo, exec_lo, s4
	s_waitcnt lgkmcnt(0)
	s_waitcnt_vscnt null, 0x0
	s_barrier
	buffer_gl0_inv
	s_clause 0x37
	buffer_load_dword v6, off, s[0:3], 0 offset:584
	buffer_load_dword v7, off, s[0:3], 0 offset:588
	;; [unrolled: 1-line block ×56, first 2 shown]
	v_mov_b32_e32 v1, 0
	s_mov_b32 s4, exec_lo
	ds_read_b128 v[2:5], v1 offset:1424
	s_clause 0x2
	buffer_load_dword v179, off, s[0:3], 0 offset:812
	buffer_load_dword v183, off, s[0:3], 0 offset:788
	;; [unrolled: 1-line block ×3, first 2 shown]
	ds_read_b128 v[117:120], v1 offset:1440
	s_clause 0x4
	buffer_load_dword v187, off, s[0:3], 0 offset:828
	buffer_load_dword v188, off, s[0:3], 0 offset:840
	;; [unrolled: 1-line block ×5, first 2 shown]
	ds_read_b128 v[121:124], v1 offset:1456
	s_waitcnt vmcnt(62) lgkmcnt(2)
	v_mul_f64 v[184:185], v[4:5], v[6:7]
	v_mul_f64 v[6:7], v[2:3], v[6:7]
	s_waitcnt vmcnt(60) lgkmcnt(1)
	v_mul_f64 v[191:192], v[119:120], v[125:126]
	v_mul_f64 v[125:126], v[117:118], v[125:126]
	;; [unrolled: 3-line block ×3, first 2 shown]
	v_fma_f64 v[184:185], v[2:3], v[127:128], -v[184:185]
	v_fma_f64 v[6:7], v[4:5], v[127:128], v[6:7]
	s_clause 0x2
	buffer_load_dword v189, off, s[0:3], 0 offset:844
	buffer_load_dword v128, off, s[0:3], 0 offset:820
	;; [unrolled: 1-line block ×3, first 2 shown]
	s_waitcnt vmcnt(57)
	v_fma_f64 v[195:196], v[117:118], v[131:132], -v[191:192]
	ds_read_b128 v[2:5], v1 offset:1472
	v_fma_f64 v[125:126], v[119:120], v[131:132], v[125:126]
	s_clause 0x4
	buffer_load_dword v132, off, s[0:3], 0 offset:860
	buffer_load_dword v192, off, s[0:3], 0 offset:872
	buffer_load_dword v197, off, s[0:3], 0 offset:864
	buffer_load_dword v131, off, s[0:3], 0 offset:856
	buffer_load_dword v191, off, s[0:3], 0 offset:836
	s_waitcnt vmcnt(56)
	v_fma_f64 v[129:130], v[121:122], v[139:140], -v[129:130]
	ds_read_b128 v[117:120], v1 offset:1488
	v_fma_f64 v[139:140], v[123:124], v[139:140], v[193:194]
	v_add_f64 v[184:185], v[184:185], 0
	v_add_f64 v[6:7], v[6:7], 0
	s_waitcnt lgkmcnt(1)
	v_mul_f64 v[198:199], v[2:3], v[133:134]
	v_mul_f64 v[133:134], v[4:5], v[133:134]
	v_add_f64 v[184:185], v[184:185], v[195:196]
	v_add_f64 v[6:7], v[6:7], v[125:126]
	s_clause 0x2
	buffer_load_dword v193, off, s[0:3], 0 offset:876
	buffer_load_dword v126, off, s[0:3], 0 offset:852
	;; [unrolled: 1-line block ×3, first 2 shown]
	s_waitcnt vmcnt(58) lgkmcnt(0)
	v_mul_f64 v[194:195], v[117:118], v[135:136]
	v_mul_f64 v[135:136], v[119:120], v[135:136]
	s_waitcnt vmcnt(56)
	v_fma_f64 v[133:134], v[2:3], v[141:142], -v[133:134]
	ds_read_b128 v[121:124], v1 offset:1504
	v_fma_f64 v[141:142], v[4:5], v[141:142], v[198:199]
	buffer_load_dword v198, off, s[0:3], 0 offset:868
	ds_read_b128 v[2:5], v1 offset:1520
	v_add_f64 v[129:130], v[184:185], v[129:130]
	v_add_f64 v[6:7], v[6:7], v[139:140]
	s_waitcnt vmcnt(53) lgkmcnt(1)
	v_mul_f64 v[139:140], v[121:122], v[143:144]
	v_mul_f64 v[143:144], v[123:124], v[143:144]
	s_waitcnt vmcnt(52)
	v_fma_f64 v[135:136], v[117:118], v[137:138], -v[135:136]
	v_add_f64 v[129:130], v[129:130], v[133:134]
	v_fma_f64 v[133:134], v[119:120], v[137:138], v[194:195]
	v_add_f64 v[6:7], v[6:7], v[141:142]
	s_waitcnt vmcnt(51) lgkmcnt(0)
	v_mul_f64 v[141:142], v[4:5], v[145:146]
	ds_read_b128 v[117:120], v1 offset:1536
	s_waitcnt vmcnt(49)
	v_fma_f64 v[143:144], v[121:122], v[149:150], -v[143:144]
	v_mul_f64 v[137:138], v[2:3], v[145:146]
	v_add_f64 v[129:130], v[129:130], v[135:136]
	v_fma_f64 v[135:136], v[123:124], v[149:150], v[139:140]
	v_add_f64 v[6:7], v[6:7], v[133:134]
	s_clause 0x3
	buffer_load_dword v133, off, s[0:3], 0 offset:560
	buffer_load_dword v134, off, s[0:3], 0 offset:564
	;; [unrolled: 1-line block ×4, first 2 shown]
	s_waitcnt vmcnt(49) lgkmcnt(0)
	v_mul_f64 v[149:150], v[119:120], v[151:152]
	s_waitcnt vmcnt(48)
	v_fma_f64 v[141:142], v[2:3], v[147:148], -v[141:142]
	ds_read_b128 v[121:124], v1 offset:1552
	v_mul_f64 v[145:146], v[117:118], v[151:152]
	v_fma_f64 v[137:138], v[4:5], v[147:148], v[137:138]
	ds_read_b128 v[2:5], v1 offset:1568
	v_add_f64 v[129:130], v[129:130], v[143:144]
	v_add_f64 v[6:7], v[6:7], v[135:136]
	s_waitcnt vmcnt(47) lgkmcnt(1)
	v_mul_f64 v[143:144], v[123:124], v[153:154]
	s_waitcnt vmcnt(45)
	v_fma_f64 v[147:148], v[117:118], v[157:158], -v[149:150]
	v_mul_f64 v[135:136], v[121:122], v[153:154]
	v_add_f64 v[129:130], v[129:130], v[141:142]
	v_fma_f64 v[141:142], v[119:120], v[157:158], v[145:146]
	v_add_f64 v[6:7], v[6:7], v[137:138]
	s_waitcnt vmcnt(41) lgkmcnt(0)
	v_mul_f64 v[145:146], v[4:5], v[159:160]
	s_waitcnt vmcnt(40)
	v_fma_f64 v[143:144], v[121:122], v[155:156], -v[143:144]
	ds_read_b128 v[117:120], v1 offset:1584
	v_mul_f64 v[137:138], v[2:3], v[159:160]
	v_fma_f64 v[135:136], v[123:124], v[155:156], v[135:136]
	ds_read_b128 v[121:124], v1 offset:1600
	v_add_f64 v[129:130], v[129:130], v[147:148]
	v_add_f64 v[6:7], v[6:7], v[141:142]
	s_waitcnt vmcnt(39) lgkmcnt(1)
	v_mul_f64 v[147:148], v[119:120], v[161:162]
	s_waitcnt vmcnt(37)
	v_fma_f64 v[145:146], v[2:3], v[165:166], -v[145:146]
	v_mul_f64 v[141:142], v[117:118], v[161:162]
	v_fma_f64 v[137:138], v[4:5], v[165:166], v[137:138]
	ds_read_b128 v[2:5], v1 offset:1616
	v_add_f64 v[129:130], v[129:130], v[143:144]
	s_waitcnt vmcnt(33) lgkmcnt(1)
	v_mul_f64 v[143:144], v[123:124], v[167:168]
	v_add_f64 v[6:7], v[6:7], v[135:136]
	s_waitcnt vmcnt(32)
	v_fma_f64 v[147:148], v[117:118], v[163:164], -v[147:148]
	v_mul_f64 v[135:136], v[121:122], v[167:168]
	v_fma_f64 v[141:142], v[119:120], v[163:164], v[141:142]
	ds_read_b128 v[117:120], v1 offset:1632
	v_add_f64 v[129:130], v[129:130], v[145:146]
	s_waitcnt vmcnt(31) lgkmcnt(1)
	v_mul_f64 v[145:146], v[4:5], v[169:170]
	v_add_f64 v[6:7], v[6:7], v[137:138]
	;; [unrolled: 9-line block ×5, first 2 shown]
	s_waitcnt vmcnt(16)
	v_fma_f64 v[143:144], v[121:122], v[180:181], -v[143:144]
	v_mul_f64 v[137:138], v[2:3], v[186:187]
	v_fma_f64 v[135:136], v[123:124], v[180:181], v[135:136]
	ds_read_b128 v[121:124], v1 offset:1696
	v_add_f64 v[129:130], v[129:130], v[147:148]
	v_add_f64 v[6:7], v[6:7], v[141:142]
	s_waitcnt vmcnt(15) lgkmcnt(1)
	v_mul_f64 v[147:148], v[119:120], v[188:189]
	v_mul_f64 v[141:142], v[117:118], v[188:189]
	s_waitcnt vmcnt(13)
	v_fma_f64 v[145:146], v[2:3], v[127:128], -v[145:146]
	v_fma_f64 v[127:128], v[4:5], v[127:128], v[137:138]
	ds_read_b128 v[2:5], v1 offset:1712
	v_add_f64 v[129:130], v[129:130], v[143:144]
	v_add_f64 v[6:7], v[6:7], v[135:136]
	s_waitcnt vmcnt(9) lgkmcnt(1)
	v_mul_f64 v[135:136], v[121:122], v[131:132]
	v_mul_f64 v[131:132], v[123:124], v[131:132]
	s_waitcnt vmcnt(8)
	v_fma_f64 v[117:118], v[117:118], v[190:191], -v[147:148]
	v_fma_f64 v[119:120], v[119:120], v[190:191], v[141:142]
	v_add_f64 v[129:130], v[129:130], v[145:146]
	v_add_f64 v[6:7], v[6:7], v[127:128]
	s_waitcnt vmcnt(7) lgkmcnt(0)
	v_mul_f64 v[137:138], v[4:5], v[192:193]
	v_mul_f64 v[127:128], v[2:3], v[192:193]
	s_waitcnt vmcnt(5)
	v_fma_f64 v[121:122], v[121:122], v[125:126], -v[131:132]
	v_fma_f64 v[123:124], v[123:124], v[125:126], v[135:136]
	v_add_f64 v[117:118], v[129:130], v[117:118]
	v_add_f64 v[6:7], v[6:7], v[119:120]
	s_waitcnt vmcnt(4)
	v_fma_f64 v[2:3], v[2:3], v[197:198], -v[137:138]
	v_fma_f64 v[4:5], v[4:5], v[197:198], v[127:128]
	v_add_f64 v[117:118], v[117:118], v[121:122]
	v_add_f64 v[6:7], v[6:7], v[123:124]
	;; [unrolled: 1-line block ×4, first 2 shown]
	s_waitcnt vmcnt(2)
	v_add_f64 v[2:3], v[133:134], -v[2:3]
	s_waitcnt vmcnt(0)
	v_add_f64 v[4:5], v[139:140], -v[4:5]
	buffer_store_dword v3, off, s[0:3], 0 offset:564
	buffer_store_dword v2, off, s[0:3], 0 offset:560
	;; [unrolled: 1-line block ×4, first 2 shown]
	v_cmpx_lt_u32_e32 33, v0
	s_cbranch_execz .LBB117_271
; %bb.270:
	v_mov_b32_e32 v5, s33
	s_clause 0x3
	buffer_load_dword v2, v5, s[0:3], 0 offen
	buffer_load_dword v3, v5, s[0:3], 0 offen offset:4
	buffer_load_dword v4, v5, s[0:3], 0 offen offset:8
	;; [unrolled: 1-line block ×3, first 2 shown]
	buffer_store_dword v1, off, s[0:3], 0 offset:544
	buffer_store_dword v1, off, s[0:3], 0 offset:548
	;; [unrolled: 1-line block ×4, first 2 shown]
	s_waitcnt vmcnt(0)
	ds_write_b128 v177, v[2:5]
.LBB117_271:
	s_or_b32 exec_lo, exec_lo, s4
	s_waitcnt lgkmcnt(0)
	s_waitcnt_vscnt null, 0x0
	s_barrier
	buffer_gl0_inv
	s_clause 0x37
	buffer_load_dword v6, off, s[0:3], 0 offset:568
	buffer_load_dword v7, off, s[0:3], 0 offset:572
	;; [unrolled: 1-line block ×56, first 2 shown]
	ds_read_b128 v[2:5], v1 offset:1408
	s_clause 0x2
	buffer_load_dword v179, off, s[0:3], 0 offset:796
	buffer_load_dword v183, off, s[0:3], 0 offset:772
	;; [unrolled: 1-line block ×3, first 2 shown]
	ds_read_b128 v[117:120], v1 offset:1424
	s_clause 0x4
	buffer_load_dword v187, off, s[0:3], 0 offset:812
	buffer_load_dword v188, off, s[0:3], 0 offset:824
	;; [unrolled: 1-line block ×5, first 2 shown]
	ds_read_b128 v[121:124], v1 offset:1440
	s_mov_b32 s4, exec_lo
	s_waitcnt vmcnt(62) lgkmcnt(2)
	v_mul_f64 v[184:185], v[4:5], v[6:7]
	v_mul_f64 v[6:7], v[2:3], v[6:7]
	s_waitcnt vmcnt(60) lgkmcnt(1)
	v_mul_f64 v[191:192], v[119:120], v[125:126]
	v_mul_f64 v[125:126], v[117:118], v[125:126]
	;; [unrolled: 3-line block ×3, first 2 shown]
	v_fma_f64 v[184:185], v[2:3], v[127:128], -v[184:185]
	v_fma_f64 v[6:7], v[4:5], v[127:128], v[6:7]
	s_clause 0x2
	buffer_load_dword v189, off, s[0:3], 0 offset:828
	buffer_load_dword v128, off, s[0:3], 0 offset:804
	;; [unrolled: 1-line block ×3, first 2 shown]
	s_waitcnt vmcnt(57)
	v_fma_f64 v[195:196], v[117:118], v[131:132], -v[191:192]
	ds_read_b128 v[2:5], v1 offset:1456
	v_fma_f64 v[125:126], v[119:120], v[131:132], v[125:126]
	s_clause 0x4
	buffer_load_dword v132, off, s[0:3], 0 offset:844
	buffer_load_dword v192, off, s[0:3], 0 offset:856
	;; [unrolled: 1-line block ×5, first 2 shown]
	s_waitcnt vmcnt(56)
	v_fma_f64 v[129:130], v[121:122], v[139:140], -v[129:130]
	ds_read_b128 v[117:120], v1 offset:1472
	v_fma_f64 v[139:140], v[123:124], v[139:140], v[193:194]
	v_add_f64 v[184:185], v[184:185], 0
	v_add_f64 v[6:7], v[6:7], 0
	s_waitcnt lgkmcnt(1)
	v_mul_f64 v[198:199], v[2:3], v[133:134]
	v_mul_f64 v[133:134], v[4:5], v[133:134]
	v_add_f64 v[184:185], v[184:185], v[195:196]
	v_add_f64 v[6:7], v[6:7], v[125:126]
	s_clause 0x2
	buffer_load_dword v193, off, s[0:3], 0 offset:860
	buffer_load_dword v126, off, s[0:3], 0 offset:836
	;; [unrolled: 1-line block ×3, first 2 shown]
	s_waitcnt vmcnt(58) lgkmcnt(0)
	v_mul_f64 v[194:195], v[117:118], v[135:136]
	v_mul_f64 v[135:136], v[119:120], v[135:136]
	s_waitcnt vmcnt(56)
	v_fma_f64 v[133:134], v[2:3], v[141:142], -v[133:134]
	ds_read_b128 v[121:124], v1 offset:1488
	v_fma_f64 v[141:142], v[4:5], v[141:142], v[198:199]
	v_add_f64 v[129:130], v[184:185], v[129:130]
	v_add_f64 v[6:7], v[6:7], v[139:140]
	s_clause 0x2
	buffer_load_dword v140, off, s[0:3], 0 offset:876
	buffer_load_dword v139, off, s[0:3], 0 offset:872
	;; [unrolled: 1-line block ×3, first 2 shown]
	ds_read_b128 v[2:5], v1 offset:1504
	s_waitcnt vmcnt(55) lgkmcnt(1)
	v_mul_f64 v[184:185], v[121:122], v[143:144]
	v_mul_f64 v[143:144], v[123:124], v[143:144]
	s_waitcnt vmcnt(54)
	v_fma_f64 v[135:136], v[117:118], v[137:138], -v[135:136]
	v_add_f64 v[129:130], v[129:130], v[133:134]
	v_fma_f64 v[133:134], v[119:120], v[137:138], v[194:195]
	v_add_f64 v[6:7], v[6:7], v[141:142]
	s_clause 0x1
	buffer_load_dword v138, off, s[0:3], 0 offset:868
	buffer_load_dword v137, off, s[0:3], 0 offset:864
	s_waitcnt vmcnt(55) lgkmcnt(0)
	v_mul_f64 v[141:142], v[2:3], v[145:146]
	v_mul_f64 v[145:146], v[4:5], v[145:146]
	s_waitcnt vmcnt(53)
	v_fma_f64 v[143:144], v[121:122], v[149:150], -v[143:144]
	ds_read_b128 v[117:120], v1 offset:1520
	v_add_f64 v[129:130], v[129:130], v[135:136]
	v_fma_f64 v[135:136], v[123:124], v[149:150], v[184:185]
	v_add_f64 v[6:7], v[6:7], v[133:134]
	ds_read_b128 v[121:124], v1 offset:1536
	s_waitcnt vmcnt(48)
	v_fma_f64 v[141:142], v[4:5], v[147:148], v[141:142]
	s_waitcnt lgkmcnt(1)
	v_mul_f64 v[149:150], v[119:120], v[151:152]
	v_fma_f64 v[145:146], v[2:3], v[147:148], -v[145:146]
	v_mul_f64 v[133:134], v[117:118], v[151:152]
	v_add_f64 v[129:130], v[129:130], v[143:144]
	s_waitcnt vmcnt(47) lgkmcnt(0)
	v_mul_f64 v[151:152], v[123:124], v[153:154]
	v_add_f64 v[6:7], v[6:7], v[135:136]
	s_clause 0x3
	buffer_load_dword v135, off, s[0:3], 0 offset:544
	buffer_load_dword v136, off, s[0:3], 0 offset:548
	;; [unrolled: 1-line block ×4, first 2 shown]
	ds_read_b128 v[2:5], v1 offset:1552
	s_waitcnt vmcnt(49)
	v_fma_f64 v[149:150], v[117:118], v[157:158], -v[149:150]
	v_mul_f64 v[147:148], v[121:122], v[153:154]
	v_fma_f64 v[133:134], v[119:120], v[157:158], v[133:134]
	ds_read_b128 v[117:120], v1 offset:1568
	v_add_f64 v[129:130], v[129:130], v[145:146]
	s_waitcnt vmcnt(44)
	v_fma_f64 v[151:152], v[121:122], v[155:156], -v[151:152]
	v_add_f64 v[6:7], v[6:7], v[141:142]
	s_waitcnt lgkmcnt(1)
	v_mul_f64 v[145:146], v[4:5], v[159:160]
	v_mul_f64 v[141:142], v[2:3], v[159:160]
	v_fma_f64 v[147:148], v[123:124], v[155:156], v[147:148]
	ds_read_b128 v[121:124], v1 offset:1584
	v_add_f64 v[129:130], v[129:130], v[149:150]
	s_waitcnt vmcnt(43) lgkmcnt(1)
	v_mul_f64 v[149:150], v[119:120], v[161:162]
	v_add_f64 v[6:7], v[6:7], v[133:134]
	s_waitcnt vmcnt(41)
	v_fma_f64 v[145:146], v[2:3], v[165:166], -v[145:146]
	v_mul_f64 v[133:134], v[117:118], v[161:162]
	v_fma_f64 v[141:142], v[4:5], v[165:166], v[141:142]
	ds_read_b128 v[2:5], v1 offset:1600
	v_add_f64 v[129:130], v[129:130], v[151:152]
	s_waitcnt vmcnt(37) lgkmcnt(1)
	v_mul_f64 v[151:152], v[123:124], v[167:168]
	v_add_f64 v[6:7], v[6:7], v[147:148]
	s_waitcnt vmcnt(36)
	v_fma_f64 v[149:150], v[117:118], v[163:164], -v[149:150]
	;; [unrolled: 9-line block ×6, first 2 shown]
	v_mul_f64 v[141:142], v[2:3], v[186:187]
	v_fma_f64 v[147:148], v[123:124], v[180:181], v[147:148]
	ds_read_b128 v[121:124], v1 offset:1680
	v_add_f64 v[129:130], v[129:130], v[149:150]
	v_add_f64 v[6:7], v[6:7], v[133:134]
	s_waitcnt vmcnt(19) lgkmcnt(1)
	v_mul_f64 v[149:150], v[119:120], v[188:189]
	v_mul_f64 v[133:134], v[117:118], v[188:189]
	s_waitcnt vmcnt(17)
	v_fma_f64 v[145:146], v[2:3], v[127:128], -v[145:146]
	v_fma_f64 v[127:128], v[4:5], v[127:128], v[141:142]
	ds_read_b128 v[2:5], v1 offset:1696
	s_waitcnt vmcnt(13) lgkmcnt(1)
	v_mul_f64 v[141:142], v[121:122], v[131:132]
	v_mul_f64 v[131:132], v[123:124], v[131:132]
	v_add_f64 v[129:130], v[129:130], v[151:152]
	v_add_f64 v[6:7], v[6:7], v[147:148]
	s_waitcnt vmcnt(12)
	v_fma_f64 v[147:148], v[117:118], v[190:191], -v[149:150]
	v_fma_f64 v[133:134], v[119:120], v[190:191], v[133:134]
	ds_read_b128 v[117:120], v1 offset:1712
	v_add_f64 v[129:130], v[129:130], v[145:146]
	v_add_f64 v[6:7], v[6:7], v[127:128]
	s_waitcnt vmcnt(11) lgkmcnt(1)
	v_mul_f64 v[145:146], v[4:5], v[192:193]
	v_mul_f64 v[127:128], v[2:3], v[192:193]
	s_waitcnt vmcnt(9)
	v_fma_f64 v[121:122], v[121:122], v[125:126], -v[131:132]
	v_fma_f64 v[123:124], v[123:124], v[125:126], v[141:142]
	v_add_f64 v[129:130], v[129:130], v[147:148]
	v_add_f64 v[6:7], v[6:7], v[133:134]
	s_waitcnt vmcnt(7) lgkmcnt(0)
	v_mul_f64 v[131:132], v[119:120], v[139:140]
	s_waitcnt vmcnt(6)
	v_fma_f64 v[1:2], v[2:3], v[197:198], -v[145:146]
	v_mul_f64 v[125:126], v[117:118], v[139:140]
	v_fma_f64 v[3:4], v[4:5], v[197:198], v[127:128]
	v_add_f64 v[121:122], v[129:130], v[121:122]
	v_add_f64 v[5:6], v[6:7], v[123:124]
	s_waitcnt vmcnt(4)
	v_fma_f64 v[7:8], v[117:118], v[137:138], -v[131:132]
	v_fma_f64 v[117:118], v[119:120], v[137:138], v[125:126]
	v_add_f64 v[1:2], v[121:122], v[1:2]
	v_add_f64 v[3:4], v[5:6], v[3:4]
	;; [unrolled: 1-line block ×4, first 2 shown]
	s_waitcnt vmcnt(2)
	v_add_f64 v[1:2], v[135:136], -v[1:2]
	s_waitcnt vmcnt(0)
	v_add_f64 v[3:4], v[143:144], -v[3:4]
	buffer_store_dword v2, off, s[0:3], 0 offset:548
	buffer_store_dword v1, off, s[0:3], 0 offset:544
	;; [unrolled: 1-line block ×4, first 2 shown]
	v_cmpx_lt_u32_e32 32, v0
	s_cbranch_execz .LBB117_273
; %bb.272:
	v_mov_b32_e32 v4, s34
	v_mov_b32_e32 v5, 0
	s_clause 0x3
	buffer_load_dword v1, v4, s[0:3], 0 offen
	buffer_load_dword v2, v4, s[0:3], 0 offen offset:4
	buffer_load_dword v3, v4, s[0:3], 0 offen offset:8
	;; [unrolled: 1-line block ×3, first 2 shown]
	buffer_store_dword v5, off, s[0:3], 0 offset:528
	buffer_store_dword v5, off, s[0:3], 0 offset:532
	;; [unrolled: 1-line block ×4, first 2 shown]
	s_waitcnt vmcnt(0)
	ds_write_b128 v177, v[1:4]
.LBB117_273:
	s_or_b32 exec_lo, exec_lo, s4
	s_waitcnt lgkmcnt(0)
	s_waitcnt_vscnt null, 0x0
	s_barrier
	buffer_gl0_inv
	s_clause 0x37
	buffer_load_dword v6, off, s[0:3], 0 offset:552
	buffer_load_dword v7, off, s[0:3], 0 offset:556
	;; [unrolled: 1-line block ×56, first 2 shown]
	v_mov_b32_e32 v1, 0
	s_mov_b32 s4, exec_lo
	ds_read_b128 v[2:5], v1 offset:1392
	s_clause 0x2
	buffer_load_dword v179, off, s[0:3], 0 offset:780
	buffer_load_dword v183, off, s[0:3], 0 offset:756
	;; [unrolled: 1-line block ×3, first 2 shown]
	ds_read_b128 v[117:120], v1 offset:1408
	s_clause 0x4
	buffer_load_dword v187, off, s[0:3], 0 offset:796
	buffer_load_dword v188, off, s[0:3], 0 offset:808
	;; [unrolled: 1-line block ×5, first 2 shown]
	ds_read_b128 v[121:124], v1 offset:1424
	s_waitcnt vmcnt(62) lgkmcnt(2)
	v_mul_f64 v[184:185], v[4:5], v[6:7]
	v_mul_f64 v[6:7], v[2:3], v[6:7]
	s_waitcnt vmcnt(60) lgkmcnt(1)
	v_mul_f64 v[191:192], v[119:120], v[125:126]
	v_mul_f64 v[125:126], v[117:118], v[125:126]
	;; [unrolled: 3-line block ×3, first 2 shown]
	v_fma_f64 v[184:185], v[2:3], v[127:128], -v[184:185]
	v_fma_f64 v[6:7], v[4:5], v[127:128], v[6:7]
	s_clause 0x2
	buffer_load_dword v189, off, s[0:3], 0 offset:812
	buffer_load_dword v128, off, s[0:3], 0 offset:788
	;; [unrolled: 1-line block ×3, first 2 shown]
	s_waitcnt vmcnt(57)
	v_fma_f64 v[195:196], v[117:118], v[131:132], -v[191:192]
	ds_read_b128 v[2:5], v1 offset:1440
	v_fma_f64 v[125:126], v[119:120], v[131:132], v[125:126]
	s_clause 0x4
	buffer_load_dword v132, off, s[0:3], 0 offset:828
	buffer_load_dword v192, off, s[0:3], 0 offset:840
	buffer_load_dword v197, off, s[0:3], 0 offset:832
	buffer_load_dword v131, off, s[0:3], 0 offset:824
	buffer_load_dword v191, off, s[0:3], 0 offset:804
	s_waitcnt vmcnt(56)
	v_fma_f64 v[129:130], v[121:122], v[139:140], -v[129:130]
	ds_read_b128 v[117:120], v1 offset:1456
	v_fma_f64 v[139:140], v[123:124], v[139:140], v[193:194]
	v_add_f64 v[184:185], v[184:185], 0
	v_add_f64 v[6:7], v[6:7], 0
	s_waitcnt lgkmcnt(1)
	v_mul_f64 v[198:199], v[2:3], v[133:134]
	v_mul_f64 v[133:134], v[4:5], v[133:134]
	v_add_f64 v[184:185], v[184:185], v[195:196]
	v_add_f64 v[6:7], v[6:7], v[125:126]
	s_clause 0x2
	buffer_load_dword v193, off, s[0:3], 0 offset:844
	buffer_load_dword v126, off, s[0:3], 0 offset:820
	;; [unrolled: 1-line block ×3, first 2 shown]
	s_waitcnt vmcnt(58) lgkmcnt(0)
	v_mul_f64 v[194:195], v[117:118], v[135:136]
	v_mul_f64 v[135:136], v[119:120], v[135:136]
	s_waitcnt vmcnt(56)
	v_fma_f64 v[133:134], v[2:3], v[141:142], -v[133:134]
	ds_read_b128 v[121:124], v1 offset:1472
	v_fma_f64 v[141:142], v[4:5], v[141:142], v[198:199]
	v_add_f64 v[129:130], v[184:185], v[129:130]
	v_add_f64 v[6:7], v[6:7], v[139:140]
	s_clause 0x4
	buffer_load_dword v140, off, s[0:3], 0 offset:860
	buffer_load_dword v184, off, s[0:3], 0 offset:872
	;; [unrolled: 1-line block ×5, first 2 shown]
	ds_read_b128 v[2:5], v1 offset:1488
	s_waitcnt vmcnt(57) lgkmcnt(1)
	v_mul_f64 v[200:201], v[121:122], v[143:144]
	v_mul_f64 v[143:144], v[123:124], v[143:144]
	s_waitcnt vmcnt(56)
	v_fma_f64 v[135:136], v[117:118], v[137:138], -v[135:136]
	v_add_f64 v[129:130], v[129:130], v[133:134]
	v_fma_f64 v[133:134], v[119:120], v[137:138], v[194:195]
	v_add_f64 v[6:7], v[6:7], v[141:142]
	s_clause 0x2
	buffer_load_dword v185, off, s[0:3], 0 offset:876
	buffer_load_dword v138, off, s[0:3], 0 offset:852
	;; [unrolled: 1-line block ×3, first 2 shown]
	s_waitcnt vmcnt(58) lgkmcnt(0)
	v_mul_f64 v[141:142], v[2:3], v[145:146]
	v_mul_f64 v[145:146], v[4:5], v[145:146]
	s_waitcnt vmcnt(56)
	v_fma_f64 v[143:144], v[121:122], v[149:150], -v[143:144]
	ds_read_b128 v[117:120], v1 offset:1504
	v_add_f64 v[129:130], v[129:130], v[135:136]
	v_fma_f64 v[135:136], v[123:124], v[149:150], v[200:201]
	v_add_f64 v[6:7], v[6:7], v[133:134]
	buffer_load_dword v200, off, s[0:3], 0 offset:868
	ds_read_b128 v[121:124], v1 offset:1520
	s_waitcnt vmcnt(53) lgkmcnt(1)
	v_mul_f64 v[149:150], v[119:120], v[151:152]
	s_waitcnt vmcnt(52)
	v_fma_f64 v[145:146], v[2:3], v[147:148], -v[145:146]
	v_mul_f64 v[133:134], v[117:118], v[151:152]
	v_fma_f64 v[141:142], v[4:5], v[147:148], v[141:142]
	ds_read_b128 v[2:5], v1 offset:1536
	v_add_f64 v[129:130], v[129:130], v[143:144]
	v_add_f64 v[6:7], v[6:7], v[135:136]
	s_waitcnt vmcnt(51) lgkmcnt(1)
	v_mul_f64 v[143:144], v[123:124], v[153:154]
	v_mul_f64 v[135:136], v[121:122], v[153:154]
	s_waitcnt vmcnt(49)
	v_fma_f64 v[147:148], v[117:118], v[157:158], -v[149:150]
	v_fma_f64 v[133:134], v[119:120], v[157:158], v[133:134]
	s_waitcnt vmcnt(45) lgkmcnt(0)
	v_mul_f64 v[151:152], v[4:5], v[159:160]
	v_mul_f64 v[149:150], v[2:3], v[159:160]
	v_add_f64 v[129:130], v[129:130], v[145:146]
	v_add_f64 v[6:7], v[6:7], v[141:142]
	s_clause 0x3
	buffer_load_dword v141, off, s[0:3], 0 offset:528
	buffer_load_dword v142, off, s[0:3], 0 offset:532
	;; [unrolled: 1-line block ×4, first 2 shown]
	s_waitcnt vmcnt(48)
	v_fma_f64 v[143:144], v[121:122], v[155:156], -v[143:144]
	ds_read_b128 v[117:120], v1 offset:1552
	v_fma_f64 v[135:136], v[123:124], v[155:156], v[135:136]
	ds_read_b128 v[121:124], v1 offset:1568
	s_waitcnt vmcnt(45)
	v_fma_f64 v[151:152], v[2:3], v[165:166], -v[151:152]
	v_add_f64 v[129:130], v[129:130], v[147:148]
	v_add_f64 v[6:7], v[6:7], v[133:134]
	s_waitcnt lgkmcnt(1)
	v_mul_f64 v[147:148], v[119:120], v[161:162]
	v_mul_f64 v[133:134], v[117:118], v[161:162]
	v_add_f64 v[129:130], v[129:130], v[143:144]
	v_fma_f64 v[143:144], v[4:5], v[165:166], v[149:150]
	v_add_f64 v[6:7], v[6:7], v[135:136]
	s_waitcnt vmcnt(41) lgkmcnt(0)
	v_mul_f64 v[149:150], v[123:124], v[167:168]
	s_waitcnt vmcnt(40)
	v_fma_f64 v[147:148], v[117:118], v[163:164], -v[147:148]
	ds_read_b128 v[2:5], v1 offset:1584
	v_mul_f64 v[135:136], v[121:122], v[167:168]
	v_fma_f64 v[133:134], v[119:120], v[163:164], v[133:134]
	ds_read_b128 v[117:120], v1 offset:1600
	v_add_f64 v[129:130], v[129:130], v[151:152]
	v_add_f64 v[6:7], v[6:7], v[143:144]
	s_waitcnt vmcnt(39) lgkmcnt(1)
	v_mul_f64 v[151:152], v[4:5], v[169:170]
	s_waitcnt vmcnt(37)
	v_fma_f64 v[149:150], v[121:122], v[173:174], -v[149:150]
	v_mul_f64 v[143:144], v[2:3], v[169:170]
	v_fma_f64 v[135:136], v[123:124], v[173:174], v[135:136]
	ds_read_b128 v[121:124], v1 offset:1616
	v_add_f64 v[129:130], v[129:130], v[147:148]
	s_waitcnt vmcnt(33) lgkmcnt(1)
	v_mul_f64 v[147:148], v[119:120], v[175:176]
	v_add_f64 v[6:7], v[6:7], v[133:134]
	s_waitcnt vmcnt(32)
	v_fma_f64 v[151:152], v[2:3], v[171:172], -v[151:152]
	v_mul_f64 v[133:134], v[117:118], v[175:176]
	v_fma_f64 v[143:144], v[4:5], v[171:172], v[143:144]
	ds_read_b128 v[2:5], v1 offset:1632
	v_add_f64 v[129:130], v[129:130], v[149:150]
	s_waitcnt vmcnt(31) lgkmcnt(1)
	v_mul_f64 v[149:150], v[123:124], v[178:179]
	v_add_f64 v[6:7], v[6:7], v[135:136]
	;; [unrolled: 9-line block ×3, first 2 shown]
	s_waitcnt vmcnt(24)
	v_fma_f64 v[149:150], v[121:122], v[180:181], -v[149:150]
	v_mul_f64 v[143:144], v[2:3], v[186:187]
	v_fma_f64 v[135:136], v[123:124], v[180:181], v[135:136]
	ds_read_b128 v[121:124], v1 offset:1664
	v_add_f64 v[129:130], v[129:130], v[147:148]
	v_add_f64 v[6:7], v[6:7], v[133:134]
	s_waitcnt vmcnt(23) lgkmcnt(1)
	v_mul_f64 v[147:148], v[119:120], v[188:189]
	v_mul_f64 v[133:134], v[117:118], v[188:189]
	s_waitcnt vmcnt(21)
	v_fma_f64 v[151:152], v[2:3], v[127:128], -v[151:152]
	v_fma_f64 v[127:128], v[4:5], v[127:128], v[143:144]
	ds_read_b128 v[2:5], v1 offset:1680
	v_add_f64 v[129:130], v[129:130], v[149:150]
	v_add_f64 v[6:7], v[6:7], v[135:136]
	s_waitcnt vmcnt(17) lgkmcnt(1)
	v_mul_f64 v[135:136], v[121:122], v[131:132]
	v_mul_f64 v[131:132], v[123:124], v[131:132]
	s_waitcnt vmcnt(16)
	v_fma_f64 v[143:144], v[117:118], v[190:191], -v[147:148]
	;; [unrolled: 9-line block ×3, first 2 shown]
	v_fma_f64 v[125:126], v[123:124], v[125:126], v[135:136]
	ds_read_b128 v[121:124], v1 offset:1712
	v_add_f64 v[129:130], v[129:130], v[143:144]
	v_add_f64 v[6:7], v[6:7], v[133:134]
	s_waitcnt vmcnt(9) lgkmcnt(1)
	v_mul_f64 v[135:136], v[119:120], v[139:140]
	s_waitcnt vmcnt(8)
	v_fma_f64 v[2:3], v[2:3], v[197:198], -v[147:148]
	v_mul_f64 v[133:134], v[117:118], v[139:140]
	v_fma_f64 v[4:5], v[4:5], v[197:198], v[127:128]
	v_add_f64 v[129:130], v[129:130], v[131:132]
	v_add_f64 v[6:7], v[6:7], v[125:126]
	s_waitcnt vmcnt(7) lgkmcnt(0)
	v_mul_f64 v[127:128], v[123:124], v[184:185]
	v_mul_f64 v[125:126], v[121:122], v[184:185]
	s_waitcnt vmcnt(5)
	v_fma_f64 v[117:118], v[117:118], v[137:138], -v[135:136]
	v_fma_f64 v[119:120], v[119:120], v[137:138], v[133:134]
	v_add_f64 v[2:3], v[129:130], v[2:3]
	v_add_f64 v[4:5], v[6:7], v[4:5]
	s_waitcnt vmcnt(4)
	v_fma_f64 v[6:7], v[121:122], v[199:200], -v[127:128]
	v_add_f64 v[2:3], v[2:3], v[117:118]
	v_fma_f64 v[117:118], v[123:124], v[199:200], v[125:126]
	v_add_f64 v[4:5], v[4:5], v[119:120]
	v_add_f64 v[2:3], v[2:3], v[6:7]
	;; [unrolled: 1-line block ×3, first 2 shown]
	s_waitcnt vmcnt(2)
	v_add_f64 v[2:3], v[141:142], -v[2:3]
	s_waitcnt vmcnt(0)
	v_add_f64 v[4:5], v[145:146], -v[4:5]
	buffer_store_dword v3, off, s[0:3], 0 offset:532
	buffer_store_dword v2, off, s[0:3], 0 offset:528
	;; [unrolled: 1-line block ×4, first 2 shown]
	v_cmpx_lt_u32_e32 31, v0
	s_cbranch_execz .LBB117_275
; %bb.274:
	v_mov_b32_e32 v5, s35
	s_clause 0x3
	buffer_load_dword v2, v5, s[0:3], 0 offen
	buffer_load_dword v3, v5, s[0:3], 0 offen offset:4
	buffer_load_dword v4, v5, s[0:3], 0 offen offset:8
	;; [unrolled: 1-line block ×3, first 2 shown]
	buffer_store_dword v1, off, s[0:3], 0 offset:512
	buffer_store_dword v1, off, s[0:3], 0 offset:516
	;; [unrolled: 1-line block ×4, first 2 shown]
	s_waitcnt vmcnt(0)
	ds_write_b128 v177, v[2:5]
.LBB117_275:
	s_or_b32 exec_lo, exec_lo, s4
	s_waitcnt lgkmcnt(0)
	s_waitcnt_vscnt null, 0x0
	s_barrier
	buffer_gl0_inv
	s_clause 0x37
	buffer_load_dword v6, off, s[0:3], 0 offset:536
	buffer_load_dword v7, off, s[0:3], 0 offset:540
	buffer_load_dword v125, off, s[0:3], 0 offset:552
	buffer_load_dword v126, off, s[0:3], 0 offset:556
	buffer_load_dword v127, off, s[0:3], 0 offset:528
	buffer_load_dword v128, off, s[0:3], 0 offset:532
	buffer_load_dword v129, off, s[0:3], 0 offset:568
	buffer_load_dword v130, off, s[0:3], 0 offset:572
	buffer_load_dword v131, off, s[0:3], 0 offset:544
	buffer_load_dword v132, off, s[0:3], 0 offset:548
	buffer_load_dword v134, off, s[0:3], 0 offset:588
	buffer_load_dword v135, off, s[0:3], 0 offset:600
	buffer_load_dword v137, off, s[0:3], 0 offset:592
	buffer_load_dword v133, off, s[0:3], 0 offset:584
	buffer_load_dword v139, off, s[0:3], 0 offset:560
	buffer_load_dword v140, off, s[0:3], 0 offset:564
	buffer_load_dword v136, off, s[0:3], 0 offset:604
	buffer_load_dword v142, off, s[0:3], 0 offset:580
	buffer_load_dword v141, off, s[0:3], 0 offset:576
	buffer_load_dword v144, off, s[0:3], 0 offset:620
	buffer_load_dword v145, off, s[0:3], 0 offset:632
	buffer_load_dword v147, off, s[0:3], 0 offset:624
	buffer_load_dword v143, off, s[0:3], 0 offset:616
	buffer_load_dword v138, off, s[0:3], 0 offset:596
	buffer_load_dword v146, off, s[0:3], 0 offset:636
	buffer_load_dword v150, off, s[0:3], 0 offset:612
	buffer_load_dword v149, off, s[0:3], 0 offset:608
	buffer_load_dword v152, off, s[0:3], 0 offset:652
	buffer_load_dword v153, off, s[0:3], 0 offset:664
	buffer_load_dword v155, off, s[0:3], 0 offset:656
	buffer_load_dword v151, off, s[0:3], 0 offset:648
	buffer_load_dword v148, off, s[0:3], 0 offset:628
	buffer_load_dword v154, off, s[0:3], 0 offset:668
	buffer_load_dword v158, off, s[0:3], 0 offset:644
	buffer_load_dword v157, off, s[0:3], 0 offset:640
	buffer_load_dword v160, off, s[0:3], 0 offset:684
	buffer_load_dword v161, off, s[0:3], 0 offset:696
	buffer_load_dword v163, off, s[0:3], 0 offset:688
	buffer_load_dword v159, off, s[0:3], 0 offset:680
	buffer_load_dword v156, off, s[0:3], 0 offset:660
	buffer_load_dword v162, off, s[0:3], 0 offset:700
	buffer_load_dword v166, off, s[0:3], 0 offset:676
	buffer_load_dword v165, off, s[0:3], 0 offset:672
	buffer_load_dword v168, off, s[0:3], 0 offset:716
	buffer_load_dword v169, off, s[0:3], 0 offset:728
	buffer_load_dword v171, off, s[0:3], 0 offset:720
	buffer_load_dword v167, off, s[0:3], 0 offset:712
	buffer_load_dword v164, off, s[0:3], 0 offset:692
	buffer_load_dword v170, off, s[0:3], 0 offset:732
	buffer_load_dword v174, off, s[0:3], 0 offset:708
	buffer_load_dword v173, off, s[0:3], 0 offset:704
	buffer_load_dword v176, off, s[0:3], 0 offset:748
	buffer_load_dword v178, off, s[0:3], 0 offset:760
	buffer_load_dword v180, off, s[0:3], 0 offset:752
	buffer_load_dword v175, off, s[0:3], 0 offset:744
	buffer_load_dword v172, off, s[0:3], 0 offset:724
	ds_read_b128 v[2:5], v1 offset:1376
	s_clause 0x2
	buffer_load_dword v179, off, s[0:3], 0 offset:764
	buffer_load_dword v183, off, s[0:3], 0 offset:740
	;; [unrolled: 1-line block ×3, first 2 shown]
	ds_read_b128 v[117:120], v1 offset:1392
	s_clause 0x4
	buffer_load_dword v187, off, s[0:3], 0 offset:780
	buffer_load_dword v188, off, s[0:3], 0 offset:792
	;; [unrolled: 1-line block ×5, first 2 shown]
	ds_read_b128 v[121:124], v1 offset:1408
	s_mov_b32 s4, exec_lo
	s_waitcnt vmcnt(62) lgkmcnt(2)
	v_mul_f64 v[184:185], v[4:5], v[6:7]
	v_mul_f64 v[6:7], v[2:3], v[6:7]
	s_waitcnt vmcnt(60) lgkmcnt(1)
	v_mul_f64 v[191:192], v[119:120], v[125:126]
	v_mul_f64 v[125:126], v[117:118], v[125:126]
	;; [unrolled: 3-line block ×3, first 2 shown]
	v_fma_f64 v[184:185], v[2:3], v[127:128], -v[184:185]
	v_fma_f64 v[6:7], v[4:5], v[127:128], v[6:7]
	s_clause 0x2
	buffer_load_dword v189, off, s[0:3], 0 offset:796
	buffer_load_dword v128, off, s[0:3], 0 offset:772
	;; [unrolled: 1-line block ×3, first 2 shown]
	s_waitcnt vmcnt(57)
	v_fma_f64 v[195:196], v[117:118], v[131:132], -v[191:192]
	ds_read_b128 v[2:5], v1 offset:1424
	v_fma_f64 v[125:126], v[119:120], v[131:132], v[125:126]
	s_clause 0x4
	buffer_load_dword v132, off, s[0:3], 0 offset:812
	buffer_load_dword v192, off, s[0:3], 0 offset:824
	;; [unrolled: 1-line block ×5, first 2 shown]
	s_waitcnt vmcnt(56)
	v_fma_f64 v[129:130], v[121:122], v[139:140], -v[129:130]
	ds_read_b128 v[117:120], v1 offset:1440
	v_fma_f64 v[139:140], v[123:124], v[139:140], v[193:194]
	v_add_f64 v[184:185], v[184:185], 0
	v_add_f64 v[6:7], v[6:7], 0
	s_waitcnt lgkmcnt(1)
	v_mul_f64 v[198:199], v[2:3], v[133:134]
	v_mul_f64 v[133:134], v[4:5], v[133:134]
	v_add_f64 v[184:185], v[184:185], v[195:196]
	v_add_f64 v[6:7], v[6:7], v[125:126]
	s_clause 0x2
	buffer_load_dword v193, off, s[0:3], 0 offset:828
	buffer_load_dword v126, off, s[0:3], 0 offset:804
	;; [unrolled: 1-line block ×3, first 2 shown]
	s_waitcnt vmcnt(58) lgkmcnt(0)
	v_mul_f64 v[194:195], v[117:118], v[135:136]
	v_mul_f64 v[135:136], v[119:120], v[135:136]
	s_waitcnt vmcnt(56)
	v_fma_f64 v[133:134], v[2:3], v[141:142], -v[133:134]
	ds_read_b128 v[121:124], v1 offset:1456
	v_fma_f64 v[141:142], v[4:5], v[141:142], v[198:199]
	v_add_f64 v[129:130], v[184:185], v[129:130]
	v_add_f64 v[6:7], v[6:7], v[139:140]
	s_clause 0x4
	buffer_load_dword v140, off, s[0:3], 0 offset:844
	buffer_load_dword v184, off, s[0:3], 0 offset:856
	;; [unrolled: 1-line block ×5, first 2 shown]
	ds_read_b128 v[2:5], v1 offset:1472
	s_waitcnt vmcnt(57) lgkmcnt(1)
	v_mul_f64 v[200:201], v[121:122], v[143:144]
	v_mul_f64 v[143:144], v[123:124], v[143:144]
	s_waitcnt vmcnt(56)
	v_fma_f64 v[135:136], v[117:118], v[137:138], -v[135:136]
	v_add_f64 v[129:130], v[129:130], v[133:134]
	v_fma_f64 v[133:134], v[119:120], v[137:138], v[194:195]
	v_add_f64 v[6:7], v[6:7], v[141:142]
	s_clause 0x2
	buffer_load_dword v185, off, s[0:3], 0 offset:860
	buffer_load_dword v138, off, s[0:3], 0 offset:836
	;; [unrolled: 1-line block ×3, first 2 shown]
	s_waitcnt vmcnt(58) lgkmcnt(0)
	v_mul_f64 v[141:142], v[2:3], v[145:146]
	v_mul_f64 v[145:146], v[4:5], v[145:146]
	s_waitcnt vmcnt(56)
	v_fma_f64 v[143:144], v[121:122], v[149:150], -v[143:144]
	ds_read_b128 v[117:120], v1 offset:1488
	v_add_f64 v[129:130], v[129:130], v[135:136]
	v_fma_f64 v[135:136], v[123:124], v[149:150], v[200:201]
	v_add_f64 v[6:7], v[6:7], v[133:134]
	s_clause 0x2
	buffer_load_dword v134, off, s[0:3], 0 offset:876
	buffer_load_dword v133, off, s[0:3], 0 offset:872
	;; [unrolled: 1-line block ×3, first 2 shown]
	ds_read_b128 v[121:124], v1 offset:1504
	s_waitcnt vmcnt(55) lgkmcnt(1)
	v_mul_f64 v[149:150], v[117:118], v[151:152]
	v_mul_f64 v[151:152], v[119:120], v[151:152]
	s_waitcnt vmcnt(54)
	v_fma_f64 v[145:146], v[2:3], v[147:148], -v[145:146]
	v_fma_f64 v[141:142], v[4:5], v[147:148], v[141:142]
	v_add_f64 v[129:130], v[129:130], v[143:144]
	v_add_f64 v[6:7], v[6:7], v[135:136]
	s_clause 0x1
	buffer_load_dword v136, off, s[0:3], 0 offset:868
	buffer_load_dword v135, off, s[0:3], 0 offset:864
	s_waitcnt vmcnt(55) lgkmcnt(0)
	v_mul_f64 v[147:148], v[123:124], v[153:154]
	ds_read_b128 v[2:5], v1 offset:1520
	s_waitcnt vmcnt(53)
	v_fma_f64 v[151:152], v[117:118], v[157:158], -v[151:152]
	v_mul_f64 v[143:144], v[121:122], v[153:154]
	v_add_f64 v[129:130], v[129:130], v[145:146]
	v_fma_f64 v[145:146], v[119:120], v[157:158], v[149:150]
	v_add_f64 v[6:7], v[6:7], v[141:142]
	ds_read_b128 v[117:120], v1 offset:1536
	s_waitcnt vmcnt(49) lgkmcnt(1)
	v_mul_f64 v[149:150], v[4:5], v[159:160]
	s_waitcnt vmcnt(48)
	v_fma_f64 v[147:148], v[121:122], v[155:156], -v[147:148]
	v_mul_f64 v[141:142], v[2:3], v[159:160]
	v_fma_f64 v[143:144], v[123:124], v[155:156], v[143:144]
	v_add_f64 v[129:130], v[129:130], v[151:152]
	s_waitcnt vmcnt(47) lgkmcnt(0)
	v_mul_f64 v[155:156], v[119:120], v[161:162]
	v_add_f64 v[6:7], v[6:7], v[145:146]
	s_clause 0x3
	buffer_load_dword v145, off, s[0:3], 0 offset:512
	buffer_load_dword v146, off, s[0:3], 0 offset:516
	;; [unrolled: 1-line block ×4, first 2 shown]
	s_waitcnt vmcnt(49)
	v_fma_f64 v[149:150], v[2:3], v[165:166], -v[149:150]
	ds_read_b128 v[121:124], v1 offset:1552
	v_mul_f64 v[153:154], v[117:118], v[161:162]
	v_fma_f64 v[141:142], v[4:5], v[165:166], v[141:142]
	ds_read_b128 v[2:5], v1 offset:1568
	v_add_f64 v[129:130], v[129:130], v[147:148]
	s_waitcnt vmcnt(44)
	v_fma_f64 v[155:156], v[117:118], v[163:164], -v[155:156]
	v_add_f64 v[6:7], v[6:7], v[143:144]
	s_waitcnt lgkmcnt(1)
	v_mul_f64 v[147:148], v[123:124], v[167:168]
	v_mul_f64 v[143:144], v[121:122], v[167:168]
	v_add_f64 v[129:130], v[129:130], v[149:150]
	v_fma_f64 v[149:150], v[119:120], v[163:164], v[153:154]
	v_add_f64 v[6:7], v[6:7], v[141:142]
	s_waitcnt vmcnt(43) lgkmcnt(0)
	v_mul_f64 v[153:154], v[4:5], v[169:170]
	s_waitcnt vmcnt(41)
	v_fma_f64 v[147:148], v[121:122], v[173:174], -v[147:148]
	ds_read_b128 v[117:120], v1 offset:1584
	v_mul_f64 v[141:142], v[2:3], v[169:170]
	v_fma_f64 v[143:144], v[123:124], v[173:174], v[143:144]
	ds_read_b128 v[121:124], v1 offset:1600
	v_add_f64 v[129:130], v[129:130], v[155:156]
	v_add_f64 v[6:7], v[6:7], v[149:150]
	s_waitcnt vmcnt(37) lgkmcnt(1)
	v_mul_f64 v[155:156], v[119:120], v[175:176]
	s_waitcnt vmcnt(36)
	v_fma_f64 v[153:154], v[2:3], v[171:172], -v[153:154]
	v_mul_f64 v[149:150], v[117:118], v[175:176]
	v_fma_f64 v[141:142], v[4:5], v[171:172], v[141:142]
	ds_read_b128 v[2:5], v1 offset:1616
	v_add_f64 v[129:130], v[129:130], v[147:148]
	s_waitcnt vmcnt(35) lgkmcnt(1)
	v_mul_f64 v[147:148], v[123:124], v[178:179]
	v_add_f64 v[6:7], v[6:7], v[143:144]
	s_waitcnt vmcnt(33)
	v_fma_f64 v[155:156], v[117:118], v[182:183], -v[155:156]
	v_mul_f64 v[143:144], v[121:122], v[178:179]
	v_fma_f64 v[149:150], v[119:120], v[182:183], v[149:150]
	ds_read_b128 v[117:120], v1 offset:1632
	v_add_f64 v[129:130], v[129:130], v[153:154]
	s_waitcnt vmcnt(29) lgkmcnt(1)
	v_mul_f64 v[153:154], v[4:5], v[186:187]
	v_add_f64 v[6:7], v[6:7], v[141:142]
	s_waitcnt vmcnt(28)
	v_fma_f64 v[147:148], v[121:122], v[180:181], -v[147:148]
	v_mul_f64 v[141:142], v[2:3], v[186:187]
	v_fma_f64 v[143:144], v[123:124], v[180:181], v[143:144]
	ds_read_b128 v[121:124], v1 offset:1648
	v_add_f64 v[129:130], v[129:130], v[155:156]
	v_add_f64 v[6:7], v[6:7], v[149:150]
	s_waitcnt vmcnt(27) lgkmcnt(1)
	v_mul_f64 v[155:156], v[119:120], v[188:189]
	v_mul_f64 v[149:150], v[117:118], v[188:189]
	s_waitcnt vmcnt(25)
	v_fma_f64 v[153:154], v[2:3], v[127:128], -v[153:154]
	v_fma_f64 v[127:128], v[4:5], v[127:128], v[141:142]
	ds_read_b128 v[2:5], v1 offset:1664
	s_waitcnt vmcnt(21) lgkmcnt(1)
	v_mul_f64 v[141:142], v[121:122], v[131:132]
	v_mul_f64 v[131:132], v[123:124], v[131:132]
	v_add_f64 v[129:130], v[129:130], v[147:148]
	v_add_f64 v[6:7], v[6:7], v[143:144]
	s_waitcnt vmcnt(20)
	v_fma_f64 v[143:144], v[117:118], v[190:191], -v[155:156]
	v_fma_f64 v[147:148], v[119:120], v[190:191], v[149:150]
	ds_read_b128 v[117:120], v1 offset:1680
	v_add_f64 v[129:130], v[129:130], v[153:154]
	v_add_f64 v[6:7], v[6:7], v[127:128]
	s_waitcnt vmcnt(19) lgkmcnt(1)
	v_mul_f64 v[149:150], v[4:5], v[192:193]
	v_mul_f64 v[127:128], v[2:3], v[192:193]
	s_waitcnt vmcnt(17)
	v_fma_f64 v[131:132], v[121:122], v[125:126], -v[131:132]
	v_fma_f64 v[125:126], v[123:124], v[125:126], v[141:142]
	ds_read_b128 v[121:124], v1 offset:1696
	v_add_f64 v[129:130], v[129:130], v[143:144]
	v_add_f64 v[6:7], v[6:7], v[147:148]
	s_waitcnt vmcnt(13) lgkmcnt(1)
	v_mul_f64 v[141:142], v[117:118], v[139:140]
	v_mul_f64 v[139:140], v[119:120], v[139:140]
	s_waitcnt vmcnt(12)
	v_fma_f64 v[143:144], v[2:3], v[197:198], -v[149:150]
	v_fma_f64 v[127:128], v[4:5], v[197:198], v[127:128]
	ds_read_b128 v[1:4], v1 offset:1712
	v_add_f64 v[129:130], v[129:130], v[131:132]
	v_add_f64 v[5:6], v[6:7], v[125:126]
	s_waitcnt vmcnt(11) lgkmcnt(1)
	v_mul_f64 v[125:126], v[123:124], v[184:185]
	v_mul_f64 v[7:8], v[121:122], v[184:185]
	s_waitcnt vmcnt(9)
	v_fma_f64 v[117:118], v[117:118], v[137:138], -v[139:140]
	v_fma_f64 v[119:120], v[119:120], v[137:138], v[141:142]
	v_add_f64 v[129:130], v[129:130], v[143:144]
	v_add_f64 v[5:6], v[5:6], v[127:128]
	s_waitcnt vmcnt(7) lgkmcnt(0)
	v_mul_f64 v[131:132], v[3:4], v[133:134]
	s_waitcnt vmcnt(6)
	v_fma_f64 v[121:122], v[121:122], v[199:200], -v[125:126]
	v_mul_f64 v[127:128], v[1:2], v[133:134]
	v_fma_f64 v[7:8], v[123:124], v[199:200], v[7:8]
	v_add_f64 v[117:118], v[129:130], v[117:118]
	v_add_f64 v[5:6], v[5:6], v[119:120]
	s_waitcnt vmcnt(4)
	v_fma_f64 v[1:2], v[1:2], v[135:136], -v[131:132]
	v_fma_f64 v[3:4], v[3:4], v[135:136], v[127:128]
	v_add_f64 v[117:118], v[117:118], v[121:122]
	v_add_f64 v[5:6], v[5:6], v[7:8]
	;; [unrolled: 1-line block ×4, first 2 shown]
	s_waitcnt vmcnt(2)
	v_add_f64 v[1:2], v[145:146], -v[1:2]
	s_waitcnt vmcnt(0)
	v_add_f64 v[3:4], v[151:152], -v[3:4]
	buffer_store_dword v2, off, s[0:3], 0 offset:516
	buffer_store_dword v1, off, s[0:3], 0 offset:512
	;; [unrolled: 1-line block ×4, first 2 shown]
	v_cmpx_lt_u32_e32 30, v0
	s_cbranch_execz .LBB117_277
; %bb.276:
	v_mov_b32_e32 v4, s36
	v_mov_b32_e32 v5, 0
	s_clause 0x3
	buffer_load_dword v1, v4, s[0:3], 0 offen
	buffer_load_dword v2, v4, s[0:3], 0 offen offset:4
	buffer_load_dword v3, v4, s[0:3], 0 offen offset:8
	;; [unrolled: 1-line block ×3, first 2 shown]
	buffer_store_dword v5, off, s[0:3], 0 offset:496
	buffer_store_dword v5, off, s[0:3], 0 offset:500
	buffer_store_dword v5, off, s[0:3], 0 offset:504
	buffer_store_dword v5, off, s[0:3], 0 offset:508
	s_waitcnt vmcnt(0)
	ds_write_b128 v177, v[1:4]
.LBB117_277:
	s_or_b32 exec_lo, exec_lo, s4
	s_waitcnt lgkmcnt(0)
	s_waitcnt_vscnt null, 0x0
	s_barrier
	buffer_gl0_inv
	s_clause 0x37
	buffer_load_dword v6, off, s[0:3], 0 offset:520
	buffer_load_dword v7, off, s[0:3], 0 offset:524
	;; [unrolled: 1-line block ×56, first 2 shown]
	v_mov_b32_e32 v1, 0
	s_mov_b32 s4, exec_lo
	ds_read_b128 v[2:5], v1 offset:1360
	s_clause 0x2
	buffer_load_dword v179, off, s[0:3], 0 offset:748
	buffer_load_dword v183, off, s[0:3], 0 offset:724
	;; [unrolled: 1-line block ×3, first 2 shown]
	ds_read_b128 v[117:120], v1 offset:1376
	s_clause 0x4
	buffer_load_dword v187, off, s[0:3], 0 offset:764
	buffer_load_dword v188, off, s[0:3], 0 offset:776
	;; [unrolled: 1-line block ×5, first 2 shown]
	ds_read_b128 v[121:124], v1 offset:1392
	s_waitcnt vmcnt(62) lgkmcnt(2)
	v_mul_f64 v[184:185], v[4:5], v[6:7]
	v_mul_f64 v[6:7], v[2:3], v[6:7]
	s_waitcnt vmcnt(60) lgkmcnt(1)
	v_mul_f64 v[191:192], v[119:120], v[125:126]
	v_mul_f64 v[125:126], v[117:118], v[125:126]
	;; [unrolled: 3-line block ×3, first 2 shown]
	v_fma_f64 v[184:185], v[2:3], v[127:128], -v[184:185]
	v_fma_f64 v[6:7], v[4:5], v[127:128], v[6:7]
	s_clause 0x2
	buffer_load_dword v189, off, s[0:3], 0 offset:780
	buffer_load_dword v128, off, s[0:3], 0 offset:756
	;; [unrolled: 1-line block ×3, first 2 shown]
	s_waitcnt vmcnt(57)
	v_fma_f64 v[195:196], v[117:118], v[131:132], -v[191:192]
	ds_read_b128 v[2:5], v1 offset:1408
	v_fma_f64 v[125:126], v[119:120], v[131:132], v[125:126]
	s_clause 0x4
	buffer_load_dword v132, off, s[0:3], 0 offset:796
	buffer_load_dword v192, off, s[0:3], 0 offset:808
	;; [unrolled: 1-line block ×5, first 2 shown]
	s_waitcnt vmcnt(56)
	v_fma_f64 v[129:130], v[121:122], v[139:140], -v[129:130]
	ds_read_b128 v[117:120], v1 offset:1424
	v_fma_f64 v[139:140], v[123:124], v[139:140], v[193:194]
	v_add_f64 v[184:185], v[184:185], 0
	v_add_f64 v[6:7], v[6:7], 0
	s_waitcnt lgkmcnt(1)
	v_mul_f64 v[198:199], v[2:3], v[133:134]
	v_mul_f64 v[133:134], v[4:5], v[133:134]
	v_add_f64 v[184:185], v[184:185], v[195:196]
	v_add_f64 v[6:7], v[6:7], v[125:126]
	s_clause 0x2
	buffer_load_dword v193, off, s[0:3], 0 offset:812
	buffer_load_dword v126, off, s[0:3], 0 offset:788
	;; [unrolled: 1-line block ×3, first 2 shown]
	s_waitcnt vmcnt(58) lgkmcnt(0)
	v_mul_f64 v[194:195], v[117:118], v[135:136]
	v_mul_f64 v[135:136], v[119:120], v[135:136]
	s_waitcnt vmcnt(56)
	v_fma_f64 v[133:134], v[2:3], v[141:142], -v[133:134]
	ds_read_b128 v[121:124], v1 offset:1440
	v_fma_f64 v[141:142], v[4:5], v[141:142], v[198:199]
	v_add_f64 v[129:130], v[184:185], v[129:130]
	v_add_f64 v[6:7], v[6:7], v[139:140]
	s_clause 0x4
	buffer_load_dword v140, off, s[0:3], 0 offset:828
	buffer_load_dword v184, off, s[0:3], 0 offset:840
	;; [unrolled: 1-line block ×5, first 2 shown]
	ds_read_b128 v[2:5], v1 offset:1456
	s_waitcnt vmcnt(57) lgkmcnt(1)
	v_mul_f64 v[200:201], v[121:122], v[143:144]
	v_mul_f64 v[143:144], v[123:124], v[143:144]
	s_waitcnt vmcnt(56)
	v_fma_f64 v[135:136], v[117:118], v[137:138], -v[135:136]
	v_add_f64 v[129:130], v[129:130], v[133:134]
	v_fma_f64 v[133:134], v[119:120], v[137:138], v[194:195]
	v_add_f64 v[6:7], v[6:7], v[141:142]
	s_clause 0x2
	buffer_load_dword v185, off, s[0:3], 0 offset:844
	buffer_load_dword v138, off, s[0:3], 0 offset:820
	;; [unrolled: 1-line block ×3, first 2 shown]
	s_waitcnt vmcnt(58) lgkmcnt(0)
	v_mul_f64 v[141:142], v[2:3], v[145:146]
	v_mul_f64 v[145:146], v[4:5], v[145:146]
	s_waitcnt vmcnt(56)
	v_fma_f64 v[143:144], v[121:122], v[149:150], -v[143:144]
	ds_read_b128 v[117:120], v1 offset:1472
	v_add_f64 v[129:130], v[129:130], v[135:136]
	v_fma_f64 v[135:136], v[123:124], v[149:150], v[200:201]
	v_add_f64 v[6:7], v[6:7], v[133:134]
	s_clause 0x4
	buffer_load_dword v134, off, s[0:3], 0 offset:860
	buffer_load_dword v149, off, s[0:3], 0 offset:872
	;; [unrolled: 1-line block ×5, first 2 shown]
	ds_read_b128 v[121:124], v1 offset:1488
	s_waitcnt vmcnt(57) lgkmcnt(1)
	v_mul_f64 v[195:196], v[117:118], v[151:152]
	v_mul_f64 v[151:152], v[119:120], v[151:152]
	s_waitcnt vmcnt(56)
	v_fma_f64 v[145:146], v[2:3], v[147:148], -v[145:146]
	v_fma_f64 v[141:142], v[4:5], v[147:148], v[141:142]
	v_add_f64 v[129:130], v[129:130], v[143:144]
	v_add_f64 v[6:7], v[6:7], v[135:136]
	s_clause 0x2
	buffer_load_dword v150, off, s[0:3], 0 offset:876
	buffer_load_dword v136, off, s[0:3], 0 offset:852
	;; [unrolled: 1-line block ×3, first 2 shown]
	s_waitcnt vmcnt(58) lgkmcnt(0)
	v_mul_f64 v[147:148], v[123:124], v[153:154]
	ds_read_b128 v[2:5], v1 offset:1504
	s_waitcnt vmcnt(56)
	v_fma_f64 v[151:152], v[117:118], v[157:158], -v[151:152]
	v_mul_f64 v[143:144], v[121:122], v[153:154]
	v_add_f64 v[129:130], v[129:130], v[145:146]
	v_fma_f64 v[145:146], v[119:120], v[157:158], v[195:196]
	v_add_f64 v[6:7], v[6:7], v[141:142]
	buffer_load_dword v195, off, s[0:3], 0 offset:868
	ds_read_b128 v[117:120], v1 offset:1520
	s_waitcnt vmcnt(53) lgkmcnt(1)
	v_mul_f64 v[153:154], v[4:5], v[159:160]
	s_waitcnt vmcnt(52)
	v_fma_f64 v[147:148], v[121:122], v[155:156], -v[147:148]
	v_mul_f64 v[141:142], v[2:3], v[159:160]
	v_fma_f64 v[143:144], v[123:124], v[155:156], v[143:144]
	ds_read_b128 v[121:124], v1 offset:1536
	v_add_f64 v[129:130], v[129:130], v[151:152]
	v_add_f64 v[6:7], v[6:7], v[145:146]
	s_waitcnt vmcnt(51) lgkmcnt(1)
	v_mul_f64 v[151:152], v[119:120], v[161:162]
	v_mul_f64 v[145:146], v[117:118], v[161:162]
	s_waitcnt vmcnt(49)
	v_fma_f64 v[153:154], v[2:3], v[165:166], -v[153:154]
	v_fma_f64 v[141:142], v[4:5], v[165:166], v[141:142]
	s_waitcnt vmcnt(45) lgkmcnt(0)
	v_mul_f64 v[157:158], v[123:124], v[167:168]
	v_mul_f64 v[155:156], v[121:122], v[167:168]
	v_add_f64 v[129:130], v[129:130], v[147:148]
	v_add_f64 v[6:7], v[6:7], v[143:144]
	s_clause 0x3
	buffer_load_dword v143, off, s[0:3], 0 offset:496
	buffer_load_dword v144, off, s[0:3], 0 offset:500
	;; [unrolled: 1-line block ×4, first 2 shown]
	s_waitcnt vmcnt(48)
	v_fma_f64 v[151:152], v[117:118], v[163:164], -v[151:152]
	ds_read_b128 v[2:5], v1 offset:1552
	v_fma_f64 v[145:146], v[119:120], v[163:164], v[145:146]
	ds_read_b128 v[117:120], v1 offset:1568
	s_waitcnt vmcnt(45)
	v_fma_f64 v[157:158], v[121:122], v[173:174], -v[157:158]
	v_add_f64 v[129:130], v[129:130], v[153:154]
	v_add_f64 v[6:7], v[6:7], v[141:142]
	s_waitcnt lgkmcnt(1)
	v_mul_f64 v[153:154], v[4:5], v[169:170]
	v_mul_f64 v[141:142], v[2:3], v[169:170]
	v_add_f64 v[129:130], v[129:130], v[151:152]
	v_fma_f64 v[151:152], v[123:124], v[173:174], v[155:156]
	v_add_f64 v[6:7], v[6:7], v[145:146]
	s_waitcnt vmcnt(41) lgkmcnt(0)
	v_mul_f64 v[155:156], v[119:120], v[175:176]
	s_waitcnt vmcnt(40)
	v_fma_f64 v[153:154], v[2:3], v[171:172], -v[153:154]
	ds_read_b128 v[121:124], v1 offset:1584
	v_mul_f64 v[145:146], v[117:118], v[175:176]
	v_fma_f64 v[141:142], v[4:5], v[171:172], v[141:142]
	ds_read_b128 v[2:5], v1 offset:1600
	v_add_f64 v[129:130], v[129:130], v[157:158]
	v_add_f64 v[6:7], v[6:7], v[151:152]
	s_waitcnt vmcnt(39) lgkmcnt(1)
	v_mul_f64 v[157:158], v[123:124], v[178:179]
	s_waitcnt vmcnt(37)
	v_fma_f64 v[155:156], v[117:118], v[182:183], -v[155:156]
	v_mul_f64 v[151:152], v[121:122], v[178:179]
	v_fma_f64 v[145:146], v[119:120], v[182:183], v[145:146]
	ds_read_b128 v[117:120], v1 offset:1616
	v_add_f64 v[129:130], v[129:130], v[153:154]
	s_waitcnt vmcnt(33) lgkmcnt(1)
	v_mul_f64 v[153:154], v[4:5], v[186:187]
	v_add_f64 v[6:7], v[6:7], v[141:142]
	s_waitcnt vmcnt(32)
	v_fma_f64 v[157:158], v[121:122], v[180:181], -v[157:158]
	v_mul_f64 v[141:142], v[2:3], v[186:187]
	v_fma_f64 v[151:152], v[123:124], v[180:181], v[151:152]
	ds_read_b128 v[121:124], v1 offset:1632
	v_add_f64 v[129:130], v[129:130], v[155:156]
	v_add_f64 v[6:7], v[6:7], v[145:146]
	s_waitcnt vmcnt(31) lgkmcnt(1)
	v_mul_f64 v[155:156], v[119:120], v[188:189]
	v_mul_f64 v[145:146], v[117:118], v[188:189]
	s_waitcnt vmcnt(29)
	v_fma_f64 v[153:154], v[2:3], v[127:128], -v[153:154]
	v_fma_f64 v[127:128], v[4:5], v[127:128], v[141:142]
	ds_read_b128 v[2:5], v1 offset:1648
	s_waitcnt vmcnt(25) lgkmcnt(1)
	v_mul_f64 v[141:142], v[121:122], v[131:132]
	v_mul_f64 v[131:132], v[123:124], v[131:132]
	v_add_f64 v[129:130], v[129:130], v[157:158]
	v_add_f64 v[6:7], v[6:7], v[151:152]
	s_waitcnt vmcnt(24)
	v_fma_f64 v[151:152], v[117:118], v[190:191], -v[155:156]
	v_fma_f64 v[145:146], v[119:120], v[190:191], v[145:146]
	ds_read_b128 v[117:120], v1 offset:1664
	v_add_f64 v[129:130], v[129:130], v[153:154]
	v_add_f64 v[6:7], v[6:7], v[127:128]
	s_waitcnt vmcnt(23) lgkmcnt(1)
	v_mul_f64 v[153:154], v[4:5], v[192:193]
	v_mul_f64 v[127:128], v[2:3], v[192:193]
	s_waitcnt vmcnt(21)
	v_fma_f64 v[131:132], v[121:122], v[125:126], -v[131:132]
	v_fma_f64 v[125:126], v[123:124], v[125:126], v[141:142]
	ds_read_b128 v[121:124], v1 offset:1680
	v_add_f64 v[129:130], v[129:130], v[151:152]
	v_add_f64 v[6:7], v[6:7], v[145:146]
	s_waitcnt vmcnt(17) lgkmcnt(1)
	v_mul_f64 v[141:142], v[117:118], v[139:140]
	v_mul_f64 v[139:140], v[119:120], v[139:140]
	;; [unrolled: 9-line block ×4, first 2 shown]
	s_waitcnt vmcnt(8)
	v_fma_f64 v[121:122], v[121:122], v[199:200], -v[131:132]
	v_fma_f64 v[123:124], v[123:124], v[199:200], v[125:126]
	v_add_f64 v[129:130], v[129:130], v[139:140]
	v_add_f64 v[6:7], v[6:7], v[137:138]
	s_waitcnt vmcnt(7) lgkmcnt(0)
	v_mul_f64 v[131:132], v[119:120], v[149:150]
	v_mul_f64 v[125:126], v[117:118], v[149:150]
	s_waitcnt vmcnt(5)
	v_fma_f64 v[2:3], v[2:3], v[135:136], -v[133:134]
	v_fma_f64 v[4:5], v[4:5], v[135:136], v[127:128]
	v_add_f64 v[121:122], v[129:130], v[121:122]
	v_add_f64 v[6:7], v[6:7], v[123:124]
	s_waitcnt vmcnt(4)
	v_fma_f64 v[117:118], v[117:118], v[194:195], -v[131:132]
	v_fma_f64 v[119:120], v[119:120], v[194:195], v[125:126]
	v_add_f64 v[2:3], v[121:122], v[2:3]
	v_add_f64 v[4:5], v[6:7], v[4:5]
	v_add_f64 v[2:3], v[2:3], v[117:118]
	v_add_f64 v[4:5], v[4:5], v[119:120]
	s_waitcnt vmcnt(2)
	v_add_f64 v[2:3], v[143:144], -v[2:3]
	s_waitcnt vmcnt(0)
	v_add_f64 v[4:5], v[147:148], -v[4:5]
	buffer_store_dword v3, off, s[0:3], 0 offset:500
	buffer_store_dword v2, off, s[0:3], 0 offset:496
	;; [unrolled: 1-line block ×4, first 2 shown]
	v_cmpx_lt_u32_e32 29, v0
	s_cbranch_execz .LBB117_279
; %bb.278:
	v_mov_b32_e32 v5, s37
	s_clause 0x3
	buffer_load_dword v2, v5, s[0:3], 0 offen
	buffer_load_dword v3, v5, s[0:3], 0 offen offset:4
	buffer_load_dword v4, v5, s[0:3], 0 offen offset:8
	;; [unrolled: 1-line block ×3, first 2 shown]
	buffer_store_dword v1, off, s[0:3], 0 offset:480
	buffer_store_dword v1, off, s[0:3], 0 offset:484
	;; [unrolled: 1-line block ×4, first 2 shown]
	s_waitcnt vmcnt(0)
	ds_write_b128 v177, v[2:5]
.LBB117_279:
	s_or_b32 exec_lo, exec_lo, s4
	s_waitcnt lgkmcnt(0)
	s_waitcnt_vscnt null, 0x0
	s_barrier
	buffer_gl0_inv
	s_clause 0x37
	buffer_load_dword v6, off, s[0:3], 0 offset:504
	buffer_load_dword v7, off, s[0:3], 0 offset:508
	;; [unrolled: 1-line block ×56, first 2 shown]
	ds_read_b128 v[2:5], v1 offset:1344
	s_clause 0x2
	buffer_load_dword v179, off, s[0:3], 0 offset:732
	buffer_load_dword v183, off, s[0:3], 0 offset:708
	;; [unrolled: 1-line block ×3, first 2 shown]
	ds_read_b128 v[117:120], v1 offset:1360
	s_clause 0x4
	buffer_load_dword v187, off, s[0:3], 0 offset:748
	buffer_load_dword v188, off, s[0:3], 0 offset:760
	;; [unrolled: 1-line block ×5, first 2 shown]
	ds_read_b128 v[121:124], v1 offset:1376
	s_mov_b32 s4, exec_lo
	s_waitcnt vmcnt(62) lgkmcnt(2)
	v_mul_f64 v[184:185], v[4:5], v[6:7]
	v_mul_f64 v[6:7], v[2:3], v[6:7]
	s_waitcnt vmcnt(60) lgkmcnt(1)
	v_mul_f64 v[191:192], v[119:120], v[125:126]
	v_mul_f64 v[125:126], v[117:118], v[125:126]
	;; [unrolled: 3-line block ×3, first 2 shown]
	v_fma_f64 v[184:185], v[2:3], v[127:128], -v[184:185]
	v_fma_f64 v[6:7], v[4:5], v[127:128], v[6:7]
	s_clause 0x2
	buffer_load_dword v189, off, s[0:3], 0 offset:764
	buffer_load_dword v128, off, s[0:3], 0 offset:740
	;; [unrolled: 1-line block ×3, first 2 shown]
	s_waitcnt vmcnt(57)
	v_fma_f64 v[195:196], v[117:118], v[131:132], -v[191:192]
	ds_read_b128 v[2:5], v1 offset:1392
	v_fma_f64 v[125:126], v[119:120], v[131:132], v[125:126]
	s_clause 0x4
	buffer_load_dword v132, off, s[0:3], 0 offset:780
	buffer_load_dword v192, off, s[0:3], 0 offset:792
	buffer_load_dword v197, off, s[0:3], 0 offset:784
	buffer_load_dword v131, off, s[0:3], 0 offset:776
	buffer_load_dword v191, off, s[0:3], 0 offset:756
	s_waitcnt vmcnt(56)
	v_fma_f64 v[129:130], v[121:122], v[139:140], -v[129:130]
	ds_read_b128 v[117:120], v1 offset:1408
	v_fma_f64 v[139:140], v[123:124], v[139:140], v[193:194]
	v_add_f64 v[184:185], v[184:185], 0
	v_add_f64 v[6:7], v[6:7], 0
	s_waitcnt lgkmcnt(1)
	v_mul_f64 v[198:199], v[2:3], v[133:134]
	v_mul_f64 v[133:134], v[4:5], v[133:134]
	v_add_f64 v[184:185], v[184:185], v[195:196]
	v_add_f64 v[6:7], v[6:7], v[125:126]
	s_clause 0x2
	buffer_load_dword v193, off, s[0:3], 0 offset:796
	buffer_load_dword v126, off, s[0:3], 0 offset:772
	;; [unrolled: 1-line block ×3, first 2 shown]
	s_waitcnt vmcnt(58) lgkmcnt(0)
	v_mul_f64 v[194:195], v[117:118], v[135:136]
	v_mul_f64 v[135:136], v[119:120], v[135:136]
	s_waitcnt vmcnt(56)
	v_fma_f64 v[133:134], v[2:3], v[141:142], -v[133:134]
	ds_read_b128 v[121:124], v1 offset:1424
	v_fma_f64 v[141:142], v[4:5], v[141:142], v[198:199]
	v_add_f64 v[129:130], v[184:185], v[129:130]
	v_add_f64 v[6:7], v[6:7], v[139:140]
	s_clause 0x4
	buffer_load_dword v140, off, s[0:3], 0 offset:812
	buffer_load_dword v184, off, s[0:3], 0 offset:824
	;; [unrolled: 1-line block ×5, first 2 shown]
	ds_read_b128 v[2:5], v1 offset:1440
	s_waitcnt vmcnt(57) lgkmcnt(1)
	v_mul_f64 v[200:201], v[121:122], v[143:144]
	v_mul_f64 v[143:144], v[123:124], v[143:144]
	s_waitcnt vmcnt(56)
	v_fma_f64 v[135:136], v[117:118], v[137:138], -v[135:136]
	v_add_f64 v[129:130], v[129:130], v[133:134]
	v_fma_f64 v[133:134], v[119:120], v[137:138], v[194:195]
	v_add_f64 v[6:7], v[6:7], v[141:142]
	s_clause 0x2
	buffer_load_dword v185, off, s[0:3], 0 offset:828
	buffer_load_dword v138, off, s[0:3], 0 offset:804
	;; [unrolled: 1-line block ×3, first 2 shown]
	s_waitcnt vmcnt(58) lgkmcnt(0)
	v_mul_f64 v[141:142], v[2:3], v[145:146]
	v_mul_f64 v[145:146], v[4:5], v[145:146]
	s_waitcnt vmcnt(56)
	v_fma_f64 v[143:144], v[121:122], v[149:150], -v[143:144]
	ds_read_b128 v[117:120], v1 offset:1456
	v_add_f64 v[129:130], v[129:130], v[135:136]
	v_fma_f64 v[135:136], v[123:124], v[149:150], v[200:201]
	v_add_f64 v[6:7], v[6:7], v[133:134]
	s_clause 0x4
	buffer_load_dword v134, off, s[0:3], 0 offset:844
	buffer_load_dword v149, off, s[0:3], 0 offset:856
	;; [unrolled: 1-line block ×5, first 2 shown]
	ds_read_b128 v[121:124], v1 offset:1472
	s_waitcnt vmcnt(57) lgkmcnt(1)
	v_mul_f64 v[195:196], v[117:118], v[151:152]
	v_mul_f64 v[151:152], v[119:120], v[151:152]
	s_waitcnt vmcnt(56)
	v_fma_f64 v[145:146], v[2:3], v[147:148], -v[145:146]
	v_fma_f64 v[141:142], v[4:5], v[147:148], v[141:142]
	v_add_f64 v[129:130], v[129:130], v[143:144]
	v_add_f64 v[6:7], v[6:7], v[135:136]
	s_clause 0x2
	buffer_load_dword v150, off, s[0:3], 0 offset:860
	buffer_load_dword v136, off, s[0:3], 0 offset:836
	;; [unrolled: 1-line block ×3, first 2 shown]
	s_waitcnt vmcnt(58) lgkmcnt(0)
	v_mul_f64 v[147:148], v[123:124], v[153:154]
	ds_read_b128 v[2:5], v1 offset:1488
	s_waitcnt vmcnt(56)
	v_fma_f64 v[151:152], v[117:118], v[157:158], -v[151:152]
	v_mul_f64 v[143:144], v[121:122], v[153:154]
	v_add_f64 v[129:130], v[129:130], v[145:146]
	v_fma_f64 v[145:146], v[119:120], v[157:158], v[195:196]
	v_add_f64 v[6:7], v[6:7], v[141:142]
	s_clause 0x2
	buffer_load_dword v142, off, s[0:3], 0 offset:876
	buffer_load_dword v141, off, s[0:3], 0 offset:872
	;; [unrolled: 1-line block ×3, first 2 shown]
	s_waitcnt vmcnt(55) lgkmcnt(0)
	v_mul_f64 v[157:158], v[4:5], v[159:160]
	s_waitcnt vmcnt(54)
	v_fma_f64 v[147:148], v[121:122], v[155:156], -v[147:148]
	ds_read_b128 v[117:120], v1 offset:1504
	v_mul_f64 v[153:154], v[2:3], v[159:160]
	v_fma_f64 v[143:144], v[123:124], v[155:156], v[143:144]
	v_add_f64 v[129:130], v[129:130], v[151:152]
	v_add_f64 v[6:7], v[6:7], v[145:146]
	s_clause 0x1
	buffer_load_dword v146, off, s[0:3], 0 offset:868
	buffer_load_dword v145, off, s[0:3], 0 offset:864
	s_waitcnt vmcnt(55) lgkmcnt(0)
	v_mul_f64 v[155:156], v[119:120], v[161:162]
	s_waitcnt vmcnt(53)
	v_fma_f64 v[157:158], v[2:3], v[165:166], -v[157:158]
	ds_read_b128 v[121:124], v1 offset:1520
	v_mul_f64 v[151:152], v[117:118], v[161:162]
	v_add_f64 v[129:130], v[129:130], v[147:148]
	v_fma_f64 v[147:148], v[4:5], v[165:166], v[153:154]
	v_add_f64 v[6:7], v[6:7], v[143:144]
	ds_read_b128 v[2:5], v1 offset:1536
	s_waitcnt vmcnt(49) lgkmcnt(1)
	v_mul_f64 v[153:154], v[123:124], v[167:168]
	s_waitcnt vmcnt(48)
	v_fma_f64 v[155:156], v[117:118], v[163:164], -v[155:156]
	v_mul_f64 v[143:144], v[121:122], v[167:168]
	v_fma_f64 v[151:152], v[119:120], v[163:164], v[151:152]
	v_add_f64 v[129:130], v[129:130], v[157:158]
	s_waitcnt vmcnt(47) lgkmcnt(0)
	v_mul_f64 v[161:162], v[4:5], v[169:170]
	v_add_f64 v[6:7], v[6:7], v[147:148]
	s_clause 0x3
	buffer_load_dword v147, off, s[0:3], 0 offset:480
	buffer_load_dword v148, off, s[0:3], 0 offset:484
	;; [unrolled: 1-line block ×4, first 2 shown]
	s_waitcnt vmcnt(49)
	v_fma_f64 v[153:154], v[121:122], v[173:174], -v[153:154]
	ds_read_b128 v[117:120], v1 offset:1552
	v_mul_f64 v[159:160], v[2:3], v[169:170]
	v_fma_f64 v[143:144], v[123:124], v[173:174], v[143:144]
	ds_read_b128 v[121:124], v1 offset:1568
	v_add_f64 v[129:130], v[129:130], v[155:156]
	s_waitcnt vmcnt(44)
	v_fma_f64 v[161:162], v[2:3], v[171:172], -v[161:162]
	v_add_f64 v[6:7], v[6:7], v[151:152]
	s_waitcnt lgkmcnt(1)
	v_mul_f64 v[155:156], v[119:120], v[175:176]
	v_mul_f64 v[151:152], v[117:118], v[175:176]
	v_add_f64 v[129:130], v[129:130], v[153:154]
	v_fma_f64 v[153:154], v[4:5], v[171:172], v[159:160]
	v_add_f64 v[6:7], v[6:7], v[143:144]
	s_waitcnt vmcnt(43) lgkmcnt(0)
	v_mul_f64 v[159:160], v[123:124], v[178:179]
	s_waitcnt vmcnt(41)
	v_fma_f64 v[155:156], v[117:118], v[182:183], -v[155:156]
	ds_read_b128 v[2:5], v1 offset:1584
	v_mul_f64 v[143:144], v[121:122], v[178:179]
	v_fma_f64 v[151:152], v[119:120], v[182:183], v[151:152]
	ds_read_b128 v[117:120], v1 offset:1600
	v_add_f64 v[129:130], v[129:130], v[161:162]
	v_add_f64 v[6:7], v[6:7], v[153:154]
	s_waitcnt vmcnt(37) lgkmcnt(1)
	v_mul_f64 v[161:162], v[4:5], v[186:187]
	s_waitcnt vmcnt(36)
	v_fma_f64 v[159:160], v[121:122], v[180:181], -v[159:160]
	v_mul_f64 v[153:154], v[2:3], v[186:187]
	v_fma_f64 v[143:144], v[123:124], v[180:181], v[143:144]
	ds_read_b128 v[121:124], v1 offset:1616
	v_add_f64 v[129:130], v[129:130], v[155:156]
	v_add_f64 v[6:7], v[6:7], v[151:152]
	s_waitcnt vmcnt(35) lgkmcnt(1)
	v_mul_f64 v[155:156], v[119:120], v[188:189]
	v_mul_f64 v[151:152], v[117:118], v[188:189]
	s_waitcnt vmcnt(33)
	v_fma_f64 v[161:162], v[2:3], v[127:128], -v[161:162]
	v_fma_f64 v[127:128], v[4:5], v[127:128], v[153:154]
	ds_read_b128 v[2:5], v1 offset:1632
	v_add_f64 v[129:130], v[129:130], v[159:160]
	v_add_f64 v[6:7], v[6:7], v[143:144]
	s_waitcnt vmcnt(29) lgkmcnt(1)
	v_mul_f64 v[143:144], v[121:122], v[131:132]
	v_mul_f64 v[131:132], v[123:124], v[131:132]
	s_waitcnt vmcnt(28)
	v_fma_f64 v[153:154], v[117:118], v[190:191], -v[155:156]
	;; [unrolled: 9-line block ×7, first 2 shown]
	v_fma_f64 v[3:4], v[4:5], v[135:136], v[127:128]
	v_add_f64 v[129:130], v[129:130], v[131:132]
	v_add_f64 v[5:6], v[6:7], v[125:126]
	s_waitcnt vmcnt(7) lgkmcnt(0)
	v_mul_f64 v[125:126], v[123:124], v[141:142]
	s_waitcnt vmcnt(6)
	v_fma_f64 v[117:118], v[117:118], v[194:195], -v[139:140]
	v_mul_f64 v[7:8], v[121:122], v[141:142]
	v_fma_f64 v[119:120], v[119:120], v[194:195], v[137:138]
	v_add_f64 v[1:2], v[129:130], v[1:2]
	v_add_f64 v[3:4], v[5:6], v[3:4]
	s_waitcnt vmcnt(4)
	v_fma_f64 v[5:6], v[121:122], v[145:146], -v[125:126]
	v_fma_f64 v[7:8], v[123:124], v[145:146], v[7:8]
	v_add_f64 v[1:2], v[1:2], v[117:118]
	v_add_f64 v[3:4], v[3:4], v[119:120]
	;; [unrolled: 1-line block ×4, first 2 shown]
	s_waitcnt vmcnt(2)
	v_add_f64 v[1:2], v[147:148], -v[1:2]
	s_waitcnt vmcnt(0)
	v_add_f64 v[3:4], v[157:158], -v[3:4]
	buffer_store_dword v2, off, s[0:3], 0 offset:484
	buffer_store_dword v1, off, s[0:3], 0 offset:480
	;; [unrolled: 1-line block ×4, first 2 shown]
	v_cmpx_lt_u32_e32 28, v0
	s_cbranch_execz .LBB117_281
; %bb.280:
	v_mov_b32_e32 v4, s38
	v_mov_b32_e32 v5, 0
	s_clause 0x3
	buffer_load_dword v1, v4, s[0:3], 0 offen
	buffer_load_dword v2, v4, s[0:3], 0 offen offset:4
	buffer_load_dword v3, v4, s[0:3], 0 offen offset:8
	;; [unrolled: 1-line block ×3, first 2 shown]
	buffer_store_dword v5, off, s[0:3], 0 offset:464
	buffer_store_dword v5, off, s[0:3], 0 offset:468
	;; [unrolled: 1-line block ×4, first 2 shown]
	s_waitcnt vmcnt(0)
	ds_write_b128 v177, v[1:4]
.LBB117_281:
	s_or_b32 exec_lo, exec_lo, s4
	s_waitcnt lgkmcnt(0)
	s_waitcnt_vscnt null, 0x0
	s_barrier
	buffer_gl0_inv
	s_clause 0x37
	buffer_load_dword v6, off, s[0:3], 0 offset:488
	buffer_load_dword v7, off, s[0:3], 0 offset:492
	;; [unrolled: 1-line block ×56, first 2 shown]
	v_mov_b32_e32 v1, 0
	s_mov_b32 s4, exec_lo
	ds_read_b128 v[2:5], v1 offset:1328
	s_clause 0x2
	buffer_load_dword v179, off, s[0:3], 0 offset:716
	buffer_load_dword v183, off, s[0:3], 0 offset:692
	;; [unrolled: 1-line block ×3, first 2 shown]
	ds_read_b128 v[117:120], v1 offset:1344
	s_clause 0x4
	buffer_load_dword v187, off, s[0:3], 0 offset:732
	buffer_load_dword v188, off, s[0:3], 0 offset:744
	;; [unrolled: 1-line block ×5, first 2 shown]
	ds_read_b128 v[121:124], v1 offset:1360
	s_waitcnt vmcnt(62) lgkmcnt(2)
	v_mul_f64 v[184:185], v[4:5], v[6:7]
	v_mul_f64 v[6:7], v[2:3], v[6:7]
	s_waitcnt vmcnt(60) lgkmcnt(1)
	v_mul_f64 v[191:192], v[119:120], v[125:126]
	v_mul_f64 v[125:126], v[117:118], v[125:126]
	;; [unrolled: 3-line block ×3, first 2 shown]
	v_fma_f64 v[184:185], v[2:3], v[127:128], -v[184:185]
	v_fma_f64 v[6:7], v[4:5], v[127:128], v[6:7]
	s_clause 0x2
	buffer_load_dword v189, off, s[0:3], 0 offset:748
	buffer_load_dword v128, off, s[0:3], 0 offset:724
	;; [unrolled: 1-line block ×3, first 2 shown]
	s_waitcnt vmcnt(57)
	v_fma_f64 v[195:196], v[117:118], v[131:132], -v[191:192]
	ds_read_b128 v[2:5], v1 offset:1376
	v_fma_f64 v[125:126], v[119:120], v[131:132], v[125:126]
	s_clause 0x4
	buffer_load_dword v132, off, s[0:3], 0 offset:764
	buffer_load_dword v192, off, s[0:3], 0 offset:776
	;; [unrolled: 1-line block ×5, first 2 shown]
	s_waitcnt vmcnt(56)
	v_fma_f64 v[129:130], v[121:122], v[139:140], -v[129:130]
	ds_read_b128 v[117:120], v1 offset:1392
	v_fma_f64 v[139:140], v[123:124], v[139:140], v[193:194]
	v_add_f64 v[184:185], v[184:185], 0
	v_add_f64 v[6:7], v[6:7], 0
	s_waitcnt lgkmcnt(1)
	v_mul_f64 v[198:199], v[2:3], v[133:134]
	v_mul_f64 v[133:134], v[4:5], v[133:134]
	v_add_f64 v[184:185], v[184:185], v[195:196]
	v_add_f64 v[6:7], v[6:7], v[125:126]
	s_clause 0x2
	buffer_load_dword v193, off, s[0:3], 0 offset:780
	buffer_load_dword v126, off, s[0:3], 0 offset:756
	;; [unrolled: 1-line block ×3, first 2 shown]
	s_waitcnt vmcnt(58) lgkmcnt(0)
	v_mul_f64 v[194:195], v[117:118], v[135:136]
	v_mul_f64 v[135:136], v[119:120], v[135:136]
	s_waitcnt vmcnt(56)
	v_fma_f64 v[133:134], v[2:3], v[141:142], -v[133:134]
	ds_read_b128 v[121:124], v1 offset:1408
	v_fma_f64 v[141:142], v[4:5], v[141:142], v[198:199]
	v_add_f64 v[129:130], v[184:185], v[129:130]
	v_add_f64 v[6:7], v[6:7], v[139:140]
	s_clause 0x4
	buffer_load_dword v140, off, s[0:3], 0 offset:796
	buffer_load_dword v184, off, s[0:3], 0 offset:808
	;; [unrolled: 1-line block ×5, first 2 shown]
	ds_read_b128 v[2:5], v1 offset:1424
	s_waitcnt vmcnt(57) lgkmcnt(1)
	v_mul_f64 v[200:201], v[121:122], v[143:144]
	v_mul_f64 v[143:144], v[123:124], v[143:144]
	s_waitcnt vmcnt(56)
	v_fma_f64 v[135:136], v[117:118], v[137:138], -v[135:136]
	v_add_f64 v[129:130], v[129:130], v[133:134]
	v_fma_f64 v[133:134], v[119:120], v[137:138], v[194:195]
	v_add_f64 v[6:7], v[6:7], v[141:142]
	s_clause 0x2
	buffer_load_dword v185, off, s[0:3], 0 offset:812
	buffer_load_dword v138, off, s[0:3], 0 offset:788
	;; [unrolled: 1-line block ×3, first 2 shown]
	s_waitcnt vmcnt(58) lgkmcnt(0)
	v_mul_f64 v[141:142], v[2:3], v[145:146]
	v_mul_f64 v[145:146], v[4:5], v[145:146]
	s_waitcnt vmcnt(56)
	v_fma_f64 v[143:144], v[121:122], v[149:150], -v[143:144]
	ds_read_b128 v[117:120], v1 offset:1440
	v_add_f64 v[129:130], v[129:130], v[135:136]
	v_fma_f64 v[135:136], v[123:124], v[149:150], v[200:201]
	v_add_f64 v[6:7], v[6:7], v[133:134]
	s_clause 0x4
	buffer_load_dword v134, off, s[0:3], 0 offset:828
	buffer_load_dword v149, off, s[0:3], 0 offset:840
	buffer_load_dword v194, off, s[0:3], 0 offset:832
	buffer_load_dword v133, off, s[0:3], 0 offset:824
	buffer_load_dword v200, off, s[0:3], 0 offset:804
	ds_read_b128 v[121:124], v1 offset:1456
	s_waitcnt vmcnt(57) lgkmcnt(1)
	v_mul_f64 v[195:196], v[117:118], v[151:152]
	v_mul_f64 v[151:152], v[119:120], v[151:152]
	s_waitcnt vmcnt(56)
	v_fma_f64 v[145:146], v[2:3], v[147:148], -v[145:146]
	v_fma_f64 v[141:142], v[4:5], v[147:148], v[141:142]
	v_add_f64 v[129:130], v[129:130], v[143:144]
	v_add_f64 v[6:7], v[6:7], v[135:136]
	s_clause 0x2
	buffer_load_dword v150, off, s[0:3], 0 offset:844
	buffer_load_dword v136, off, s[0:3], 0 offset:820
	;; [unrolled: 1-line block ×3, first 2 shown]
	s_waitcnt vmcnt(58) lgkmcnt(0)
	v_mul_f64 v[147:148], v[123:124], v[153:154]
	ds_read_b128 v[2:5], v1 offset:1472
	s_waitcnt vmcnt(56)
	v_fma_f64 v[151:152], v[117:118], v[157:158], -v[151:152]
	v_mul_f64 v[143:144], v[121:122], v[153:154]
	v_add_f64 v[129:130], v[129:130], v[145:146]
	v_fma_f64 v[145:146], v[119:120], v[157:158], v[195:196]
	v_add_f64 v[6:7], v[6:7], v[141:142]
	s_clause 0x4
	buffer_load_dword v142, off, s[0:3], 0 offset:860
	buffer_load_dword v153, off, s[0:3], 0 offset:872
	;; [unrolled: 1-line block ×5, first 2 shown]
	s_waitcnt vmcnt(57) lgkmcnt(0)
	v_mul_f64 v[201:202], v[2:3], v[159:160]
	v_mul_f64 v[158:159], v[4:5], v[159:160]
	s_waitcnt vmcnt(56)
	v_fma_f64 v[147:148], v[121:122], v[155:156], -v[147:148]
	ds_read_b128 v[117:120], v1 offset:1488
	v_fma_f64 v[143:144], v[123:124], v[155:156], v[143:144]
	v_add_f64 v[129:130], v[129:130], v[151:152]
	v_add_f64 v[6:7], v[6:7], v[145:146]
	s_clause 0x2
	buffer_load_dword v154, off, s[0:3], 0 offset:876
	buffer_load_dword v146, off, s[0:3], 0 offset:852
	;; [unrolled: 1-line block ×3, first 2 shown]
	ds_read_b128 v[121:124], v1 offset:1504
	s_waitcnt vmcnt(58) lgkmcnt(1)
	v_mul_f64 v[155:156], v[119:120], v[161:162]
	s_waitcnt vmcnt(56)
	v_fma_f64 v[159:160], v[2:3], v[165:166], -v[158:159]
	v_mul_f64 v[151:152], v[117:118], v[161:162]
	buffer_load_dword v158, off, s[0:3], 0 offset:868
	v_add_f64 v[129:130], v[129:130], v[147:148]
	v_fma_f64 v[147:148], v[4:5], v[165:166], v[201:202]
	v_add_f64 v[6:7], v[6:7], v[143:144]
	ds_read_b128 v[2:5], v1 offset:1520
	s_waitcnt vmcnt(53) lgkmcnt(1)
	v_mul_f64 v[161:162], v[123:124], v[167:168]
	s_waitcnt vmcnt(52)
	v_fma_f64 v[155:156], v[117:118], v[163:164], -v[155:156]
	v_mul_f64 v[143:144], v[121:122], v[167:168]
	v_fma_f64 v[151:152], v[119:120], v[163:164], v[151:152]
	ds_read_b128 v[117:120], v1 offset:1536
	v_add_f64 v[129:130], v[129:130], v[159:160]
	s_waitcnt vmcnt(51) lgkmcnt(1)
	v_mul_f64 v[159:160], v[4:5], v[169:170]
	v_add_f64 v[6:7], v[6:7], v[147:148]
	v_mul_f64 v[147:148], v[2:3], v[169:170]
	s_waitcnt vmcnt(49)
	v_fma_f64 v[161:162], v[121:122], v[173:174], -v[161:162]
	v_fma_f64 v[143:144], v[123:124], v[173:174], v[143:144]
	s_waitcnt vmcnt(45) lgkmcnt(0)
	v_mul_f64 v[165:166], v[119:120], v[175:176]
	v_mul_f64 v[163:164], v[117:118], v[175:176]
	v_add_f64 v[129:130], v[129:130], v[155:156]
	s_waitcnt vmcnt(44)
	v_fma_f64 v[159:160], v[2:3], v[171:172], -v[159:160]
	v_add_f64 v[6:7], v[6:7], v[151:152]
	s_clause 0x3
	buffer_load_dword v151, off, s[0:3], 0 offset:464
	buffer_load_dword v152, off, s[0:3], 0 offset:468
	;; [unrolled: 1-line block ×4, first 2 shown]
	ds_read_b128 v[121:124], v1 offset:1552
	v_fma_f64 v[147:148], v[4:5], v[171:172], v[147:148]
	ds_read_b128 v[2:5], v1 offset:1568
	s_waitcnt vmcnt(45)
	v_fma_f64 v[165:166], v[117:118], v[182:183], -v[165:166]
	v_add_f64 v[129:130], v[129:130], v[161:162]
	v_add_f64 v[6:7], v[6:7], v[143:144]
	s_waitcnt lgkmcnt(1)
	v_mul_f64 v[161:162], v[123:124], v[178:179]
	v_mul_f64 v[143:144], v[121:122], v[178:179]
	v_add_f64 v[129:130], v[129:130], v[159:160]
	v_fma_f64 v[159:160], v[119:120], v[182:183], v[163:164]
	v_add_f64 v[6:7], v[6:7], v[147:148]
	s_waitcnt vmcnt(41) lgkmcnt(0)
	v_mul_f64 v[163:164], v[4:5], v[186:187]
	s_waitcnt vmcnt(40)
	v_fma_f64 v[161:162], v[121:122], v[180:181], -v[161:162]
	ds_read_b128 v[117:120], v1 offset:1584
	v_mul_f64 v[147:148], v[2:3], v[186:187]
	v_fma_f64 v[143:144], v[123:124], v[180:181], v[143:144]
	ds_read_b128 v[121:124], v1 offset:1600
	v_add_f64 v[129:130], v[129:130], v[165:166]
	v_add_f64 v[6:7], v[6:7], v[159:160]
	s_waitcnt vmcnt(39) lgkmcnt(1)
	v_mul_f64 v[165:166], v[119:120], v[188:189]
	v_mul_f64 v[159:160], v[117:118], v[188:189]
	s_waitcnt vmcnt(37)
	v_fma_f64 v[163:164], v[2:3], v[127:128], -v[163:164]
	v_fma_f64 v[127:128], v[4:5], v[127:128], v[147:148]
	ds_read_b128 v[2:5], v1 offset:1616
	v_add_f64 v[129:130], v[129:130], v[161:162]
	v_add_f64 v[6:7], v[6:7], v[143:144]
	s_waitcnt vmcnt(33) lgkmcnt(1)
	v_mul_f64 v[143:144], v[121:122], v[131:132]
	v_mul_f64 v[131:132], v[123:124], v[131:132]
	s_waitcnt vmcnt(32)
	v_fma_f64 v[147:148], v[117:118], v[190:191], -v[165:166]
	;; [unrolled: 9-line block ×7, first 2 shown]
	v_fma_f64 v[127:128], v[4:5], v[135:136], v[127:128]
	ds_read_b128 v[2:5], v1 offset:1712
	v_add_f64 v[129:130], v[129:130], v[131:132]
	v_add_f64 v[6:7], v[6:7], v[125:126]
	s_waitcnt vmcnt(9) lgkmcnt(1)
	v_mul_f64 v[131:132], v[123:124], v[141:142]
	s_waitcnt vmcnt(8)
	v_fma_f64 v[117:118], v[117:118], v[194:195], -v[139:140]
	v_mul_f64 v[125:126], v[121:122], v[141:142]
	v_fma_f64 v[119:120], v[119:120], v[194:195], v[137:138]
	v_add_f64 v[129:130], v[129:130], v[133:134]
	v_add_f64 v[6:7], v[6:7], v[127:128]
	s_waitcnt vmcnt(7) lgkmcnt(0)
	v_mul_f64 v[133:134], v[4:5], v[153:154]
	v_mul_f64 v[127:128], v[2:3], v[153:154]
	s_waitcnt vmcnt(5)
	v_fma_f64 v[121:122], v[121:122], v[145:146], -v[131:132]
	v_fma_f64 v[123:124], v[123:124], v[145:146], v[125:126]
	v_add_f64 v[117:118], v[129:130], v[117:118]
	v_add_f64 v[6:7], v[6:7], v[119:120]
	s_waitcnt vmcnt(4)
	v_fma_f64 v[2:3], v[2:3], v[157:158], -v[133:134]
	v_fma_f64 v[4:5], v[4:5], v[157:158], v[127:128]
	v_add_f64 v[117:118], v[117:118], v[121:122]
	v_add_f64 v[6:7], v[6:7], v[123:124]
	;; [unrolled: 1-line block ×4, first 2 shown]
	s_waitcnt vmcnt(2)
	v_add_f64 v[2:3], v[151:152], -v[2:3]
	s_waitcnt vmcnt(0)
	v_add_f64 v[4:5], v[155:156], -v[4:5]
	buffer_store_dword v3, off, s[0:3], 0 offset:468
	buffer_store_dword v2, off, s[0:3], 0 offset:464
	;; [unrolled: 1-line block ×4, first 2 shown]
	v_cmpx_lt_u32_e32 27, v0
	s_cbranch_execz .LBB117_283
; %bb.282:
	v_mov_b32_e32 v5, s39
	s_clause 0x3
	buffer_load_dword v2, v5, s[0:3], 0 offen
	buffer_load_dword v3, v5, s[0:3], 0 offen offset:4
	buffer_load_dword v4, v5, s[0:3], 0 offen offset:8
	buffer_load_dword v5, v5, s[0:3], 0 offen offset:12
	buffer_store_dword v1, off, s[0:3], 0 offset:448
	buffer_store_dword v1, off, s[0:3], 0 offset:452
	buffer_store_dword v1, off, s[0:3], 0 offset:456
	buffer_store_dword v1, off, s[0:3], 0 offset:460
	s_waitcnt vmcnt(0)
	ds_write_b128 v177, v[2:5]
.LBB117_283:
	s_or_b32 exec_lo, exec_lo, s4
	s_waitcnt lgkmcnt(0)
	s_waitcnt_vscnt null, 0x0
	s_barrier
	buffer_gl0_inv
	s_clause 0x37
	buffer_load_dword v6, off, s[0:3], 0 offset:472
	buffer_load_dword v7, off, s[0:3], 0 offset:476
	;; [unrolled: 1-line block ×56, first 2 shown]
	ds_read_b128 v[2:5], v1 offset:1312
	s_clause 0x2
	buffer_load_dword v179, off, s[0:3], 0 offset:700
	buffer_load_dword v183, off, s[0:3], 0 offset:676
	;; [unrolled: 1-line block ×3, first 2 shown]
	ds_read_b128 v[117:120], v1 offset:1328
	s_clause 0x4
	buffer_load_dword v187, off, s[0:3], 0 offset:716
	buffer_load_dword v188, off, s[0:3], 0 offset:728
	;; [unrolled: 1-line block ×5, first 2 shown]
	ds_read_b128 v[121:124], v1 offset:1344
	s_mov_b32 s4, exec_lo
	s_waitcnt vmcnt(62) lgkmcnt(2)
	v_mul_f64 v[184:185], v[4:5], v[6:7]
	v_mul_f64 v[6:7], v[2:3], v[6:7]
	s_waitcnt vmcnt(60) lgkmcnt(1)
	v_mul_f64 v[191:192], v[119:120], v[125:126]
	v_mul_f64 v[125:126], v[117:118], v[125:126]
	;; [unrolled: 3-line block ×3, first 2 shown]
	v_fma_f64 v[184:185], v[2:3], v[127:128], -v[184:185]
	v_fma_f64 v[6:7], v[4:5], v[127:128], v[6:7]
	s_clause 0x2
	buffer_load_dword v189, off, s[0:3], 0 offset:732
	buffer_load_dword v128, off, s[0:3], 0 offset:708
	;; [unrolled: 1-line block ×3, first 2 shown]
	s_waitcnt vmcnt(57)
	v_fma_f64 v[195:196], v[117:118], v[131:132], -v[191:192]
	ds_read_b128 v[2:5], v1 offset:1360
	v_fma_f64 v[125:126], v[119:120], v[131:132], v[125:126]
	s_clause 0x4
	buffer_load_dword v132, off, s[0:3], 0 offset:748
	buffer_load_dword v192, off, s[0:3], 0 offset:760
	buffer_load_dword v197, off, s[0:3], 0 offset:752
	buffer_load_dword v131, off, s[0:3], 0 offset:744
	buffer_load_dword v191, off, s[0:3], 0 offset:724
	s_waitcnt vmcnt(56)
	v_fma_f64 v[129:130], v[121:122], v[139:140], -v[129:130]
	ds_read_b128 v[117:120], v1 offset:1376
	v_fma_f64 v[139:140], v[123:124], v[139:140], v[193:194]
	v_add_f64 v[184:185], v[184:185], 0
	v_add_f64 v[6:7], v[6:7], 0
	s_waitcnt lgkmcnt(1)
	v_mul_f64 v[198:199], v[2:3], v[133:134]
	v_mul_f64 v[133:134], v[4:5], v[133:134]
	v_add_f64 v[184:185], v[184:185], v[195:196]
	v_add_f64 v[6:7], v[6:7], v[125:126]
	s_clause 0x2
	buffer_load_dword v193, off, s[0:3], 0 offset:764
	buffer_load_dword v126, off, s[0:3], 0 offset:740
	;; [unrolled: 1-line block ×3, first 2 shown]
	s_waitcnt vmcnt(58) lgkmcnt(0)
	v_mul_f64 v[194:195], v[117:118], v[135:136]
	v_mul_f64 v[135:136], v[119:120], v[135:136]
	s_waitcnt vmcnt(56)
	v_fma_f64 v[133:134], v[2:3], v[141:142], -v[133:134]
	ds_read_b128 v[121:124], v1 offset:1392
	v_fma_f64 v[141:142], v[4:5], v[141:142], v[198:199]
	v_add_f64 v[129:130], v[184:185], v[129:130]
	v_add_f64 v[6:7], v[6:7], v[139:140]
	s_clause 0x4
	buffer_load_dword v140, off, s[0:3], 0 offset:780
	buffer_load_dword v184, off, s[0:3], 0 offset:792
	;; [unrolled: 1-line block ×5, first 2 shown]
	ds_read_b128 v[2:5], v1 offset:1408
	s_waitcnt vmcnt(57) lgkmcnt(1)
	v_mul_f64 v[200:201], v[121:122], v[143:144]
	v_mul_f64 v[143:144], v[123:124], v[143:144]
	s_waitcnt vmcnt(56)
	v_fma_f64 v[135:136], v[117:118], v[137:138], -v[135:136]
	v_add_f64 v[129:130], v[129:130], v[133:134]
	v_fma_f64 v[133:134], v[119:120], v[137:138], v[194:195]
	v_add_f64 v[6:7], v[6:7], v[141:142]
	s_clause 0x2
	buffer_load_dword v185, off, s[0:3], 0 offset:796
	buffer_load_dword v138, off, s[0:3], 0 offset:772
	;; [unrolled: 1-line block ×3, first 2 shown]
	s_waitcnt vmcnt(58) lgkmcnt(0)
	v_mul_f64 v[141:142], v[2:3], v[145:146]
	v_mul_f64 v[145:146], v[4:5], v[145:146]
	s_waitcnt vmcnt(56)
	v_fma_f64 v[143:144], v[121:122], v[149:150], -v[143:144]
	ds_read_b128 v[117:120], v1 offset:1424
	v_add_f64 v[129:130], v[129:130], v[135:136]
	v_fma_f64 v[135:136], v[123:124], v[149:150], v[200:201]
	v_add_f64 v[6:7], v[6:7], v[133:134]
	s_clause 0x4
	buffer_load_dword v134, off, s[0:3], 0 offset:812
	buffer_load_dword v149, off, s[0:3], 0 offset:824
	;; [unrolled: 1-line block ×5, first 2 shown]
	ds_read_b128 v[121:124], v1 offset:1440
	s_waitcnt vmcnt(57) lgkmcnt(1)
	v_mul_f64 v[195:196], v[117:118], v[151:152]
	v_mul_f64 v[151:152], v[119:120], v[151:152]
	s_waitcnt vmcnt(56)
	v_fma_f64 v[145:146], v[2:3], v[147:148], -v[145:146]
	v_fma_f64 v[141:142], v[4:5], v[147:148], v[141:142]
	v_add_f64 v[129:130], v[129:130], v[143:144]
	v_add_f64 v[6:7], v[6:7], v[135:136]
	s_clause 0x2
	buffer_load_dword v150, off, s[0:3], 0 offset:828
	buffer_load_dword v136, off, s[0:3], 0 offset:804
	;; [unrolled: 1-line block ×3, first 2 shown]
	s_waitcnt vmcnt(58) lgkmcnt(0)
	v_mul_f64 v[147:148], v[123:124], v[153:154]
	ds_read_b128 v[2:5], v1 offset:1456
	s_waitcnt vmcnt(56)
	v_fma_f64 v[151:152], v[117:118], v[157:158], -v[151:152]
	v_mul_f64 v[143:144], v[121:122], v[153:154]
	v_add_f64 v[129:130], v[129:130], v[145:146]
	v_fma_f64 v[145:146], v[119:120], v[157:158], v[195:196]
	v_add_f64 v[6:7], v[6:7], v[141:142]
	s_clause 0x4
	buffer_load_dword v142, off, s[0:3], 0 offset:844
	buffer_load_dword v153, off, s[0:3], 0 offset:856
	;; [unrolled: 1-line block ×5, first 2 shown]
	s_waitcnt vmcnt(57) lgkmcnt(0)
	v_mul_f64 v[201:202], v[2:3], v[159:160]
	v_mul_f64 v[158:159], v[4:5], v[159:160]
	s_waitcnt vmcnt(56)
	v_fma_f64 v[147:148], v[121:122], v[155:156], -v[147:148]
	ds_read_b128 v[117:120], v1 offset:1472
	v_fma_f64 v[143:144], v[123:124], v[155:156], v[143:144]
	v_add_f64 v[129:130], v[129:130], v[151:152]
	v_add_f64 v[6:7], v[6:7], v[145:146]
	s_clause 0x2
	buffer_load_dword v154, off, s[0:3], 0 offset:860
	buffer_load_dword v146, off, s[0:3], 0 offset:836
	buffer_load_dword v145, off, s[0:3], 0 offset:832
	ds_read_b128 v[121:124], v1 offset:1488
	s_waitcnt vmcnt(58) lgkmcnt(1)
	v_mul_f64 v[155:156], v[119:120], v[161:162]
	s_waitcnt vmcnt(56)
	v_fma_f64 v[159:160], v[2:3], v[165:166], -v[158:159]
	v_mul_f64 v[151:152], v[117:118], v[161:162]
	v_add_f64 v[129:130], v[129:130], v[147:148]
	v_fma_f64 v[147:148], v[4:5], v[165:166], v[201:202]
	v_add_f64 v[6:7], v[6:7], v[143:144]
	s_clause 0x2
	buffer_load_dword v144, off, s[0:3], 0 offset:876
	buffer_load_dword v143, off, s[0:3], 0 offset:872
	;; [unrolled: 1-line block ×3, first 2 shown]
	s_waitcnt vmcnt(55) lgkmcnt(0)
	v_mul_f64 v[165:166], v[123:124], v[167:168]
	s_waitcnt vmcnt(54)
	v_fma_f64 v[155:156], v[117:118], v[163:164], -v[155:156]
	ds_read_b128 v[2:5], v1 offset:1504
	v_mul_f64 v[161:162], v[121:122], v[167:168]
	v_fma_f64 v[151:152], v[119:120], v[163:164], v[151:152]
	v_add_f64 v[129:130], v[129:130], v[159:160]
	v_add_f64 v[6:7], v[6:7], v[147:148]
	s_clause 0x1
	buffer_load_dword v148, off, s[0:3], 0 offset:868
	buffer_load_dword v147, off, s[0:3], 0 offset:864
	s_waitcnt vmcnt(55) lgkmcnt(0)
	v_mul_f64 v[163:164], v[4:5], v[169:170]
	s_waitcnt vmcnt(53)
	v_fma_f64 v[165:166], v[121:122], v[173:174], -v[165:166]
	ds_read_b128 v[117:120], v1 offset:1520
	v_mul_f64 v[159:160], v[2:3], v[169:170]
	v_add_f64 v[129:130], v[129:130], v[155:156]
	v_fma_f64 v[155:156], v[123:124], v[173:174], v[161:162]
	v_add_f64 v[6:7], v[6:7], v[151:152]
	ds_read_b128 v[121:124], v1 offset:1536
	s_waitcnt vmcnt(49) lgkmcnt(1)
	v_mul_f64 v[161:162], v[119:120], v[175:176]
	s_waitcnt vmcnt(48)
	v_fma_f64 v[163:164], v[2:3], v[171:172], -v[163:164]
	v_mul_f64 v[151:152], v[117:118], v[175:176]
	v_fma_f64 v[159:160], v[4:5], v[171:172], v[159:160]
	v_add_f64 v[129:130], v[129:130], v[165:166]
	s_waitcnt vmcnt(47) lgkmcnt(0)
	v_mul_f64 v[169:170], v[123:124], v[178:179]
	v_add_f64 v[6:7], v[6:7], v[155:156]
	s_clause 0x3
	buffer_load_dword v155, off, s[0:3], 0 offset:448
	buffer_load_dword v156, off, s[0:3], 0 offset:452
	;; [unrolled: 1-line block ×4, first 2 shown]
	s_waitcnt vmcnt(49)
	v_fma_f64 v[161:162], v[117:118], v[182:183], -v[161:162]
	ds_read_b128 v[2:5], v1 offset:1552
	v_mul_f64 v[167:168], v[121:122], v[178:179]
	v_fma_f64 v[151:152], v[119:120], v[182:183], v[151:152]
	ds_read_b128 v[117:120], v1 offset:1568
	v_add_f64 v[129:130], v[129:130], v[163:164]
	s_waitcnt vmcnt(44)
	v_fma_f64 v[169:170], v[121:122], v[180:181], -v[169:170]
	v_add_f64 v[6:7], v[6:7], v[159:160]
	s_waitcnt lgkmcnt(1)
	v_mul_f64 v[163:164], v[4:5], v[186:187]
	v_mul_f64 v[159:160], v[2:3], v[186:187]
	v_add_f64 v[129:130], v[129:130], v[161:162]
	v_fma_f64 v[161:162], v[123:124], v[180:181], v[167:168]
	v_add_f64 v[6:7], v[6:7], v[151:152]
	ds_read_b128 v[121:124], v1 offset:1584
	s_waitcnt vmcnt(43) lgkmcnt(1)
	v_mul_f64 v[167:168], v[119:120], v[188:189]
	v_mul_f64 v[151:152], v[117:118], v[188:189]
	s_waitcnt vmcnt(41)
	v_fma_f64 v[163:164], v[2:3], v[127:128], -v[163:164]
	v_fma_f64 v[127:128], v[4:5], v[127:128], v[159:160]
	ds_read_b128 v[2:5], v1 offset:1600
	v_add_f64 v[129:130], v[129:130], v[169:170]
	s_waitcnt vmcnt(37) lgkmcnt(1)
	v_mul_f64 v[159:160], v[121:122], v[131:132]
	v_add_f64 v[6:7], v[6:7], v[161:162]
	v_mul_f64 v[131:132], v[123:124], v[131:132]
	s_waitcnt vmcnt(36)
	v_fma_f64 v[161:162], v[117:118], v[190:191], -v[167:168]
	v_fma_f64 v[151:152], v[119:120], v[190:191], v[151:152]
	ds_read_b128 v[117:120], v1 offset:1616
	v_add_f64 v[129:130], v[129:130], v[163:164]
	v_add_f64 v[6:7], v[6:7], v[127:128]
	s_waitcnt vmcnt(35) lgkmcnt(1)
	v_mul_f64 v[163:164], v[4:5], v[192:193]
	v_mul_f64 v[127:128], v[2:3], v[192:193]
	s_waitcnt vmcnt(33)
	v_fma_f64 v[131:132], v[121:122], v[125:126], -v[131:132]
	v_fma_f64 v[125:126], v[123:124], v[125:126], v[159:160]
	ds_read_b128 v[121:124], v1 offset:1632
	v_add_f64 v[129:130], v[129:130], v[161:162]
	v_add_f64 v[6:7], v[6:7], v[151:152]
	s_waitcnt vmcnt(29) lgkmcnt(1)
	v_mul_f64 v[151:152], v[117:118], v[139:140]
	;; [unrolled: 9-line block ×6, first 2 shown]
	s_waitcnt vmcnt(12)
	v_fma_f64 v[135:136], v[117:118], v[194:195], -v[139:140]
	v_mul_f64 v[125:126], v[121:122], v[141:142]
	v_add_f64 v[129:130], v[129:130], v[133:134]
	v_fma_f64 v[133:134], v[119:120], v[194:195], v[137:138]
	v_add_f64 v[6:7], v[6:7], v[127:128]
	ds_read_b128 v[117:120], v1 offset:1712
	s_waitcnt vmcnt(11) lgkmcnt(1)
	v_mul_f64 v[137:138], v[4:5], v[153:154]
	v_mul_f64 v[127:128], v[2:3], v[153:154]
	s_waitcnt vmcnt(9)
	v_fma_f64 v[121:122], v[121:122], v[145:146], -v[131:132]
	v_fma_f64 v[123:124], v[123:124], v[145:146], v[125:126]
	v_add_f64 v[129:130], v[129:130], v[135:136]
	v_add_f64 v[6:7], v[6:7], v[133:134]
	s_waitcnt vmcnt(7) lgkmcnt(0)
	v_mul_f64 v[131:132], v[119:120], v[143:144]
	s_waitcnt vmcnt(6)
	v_fma_f64 v[1:2], v[2:3], v[157:158], -v[137:138]
	v_mul_f64 v[125:126], v[117:118], v[143:144]
	v_fma_f64 v[3:4], v[4:5], v[157:158], v[127:128]
	v_add_f64 v[121:122], v[129:130], v[121:122]
	v_add_f64 v[5:6], v[6:7], v[123:124]
	s_waitcnt vmcnt(4)
	v_fma_f64 v[7:8], v[117:118], v[147:148], -v[131:132]
	v_fma_f64 v[117:118], v[119:120], v[147:148], v[125:126]
	v_add_f64 v[1:2], v[121:122], v[1:2]
	v_add_f64 v[3:4], v[5:6], v[3:4]
	v_add_f64 v[1:2], v[1:2], v[7:8]
	v_add_f64 v[3:4], v[3:4], v[117:118]
	s_waitcnt vmcnt(2)
	v_add_f64 v[1:2], v[155:156], -v[1:2]
	s_waitcnt vmcnt(0)
	v_add_f64 v[3:4], v[165:166], -v[3:4]
	buffer_store_dword v2, off, s[0:3], 0 offset:452
	buffer_store_dword v1, off, s[0:3], 0 offset:448
	;; [unrolled: 1-line block ×4, first 2 shown]
	v_cmpx_lt_u32_e32 26, v0
	s_cbranch_execz .LBB117_285
; %bb.284:
	v_mov_b32_e32 v4, s40
	v_mov_b32_e32 v5, 0
	s_clause 0x3
	buffer_load_dword v1, v4, s[0:3], 0 offen
	buffer_load_dword v2, v4, s[0:3], 0 offen offset:4
	buffer_load_dword v3, v4, s[0:3], 0 offen offset:8
	;; [unrolled: 1-line block ×3, first 2 shown]
	buffer_store_dword v5, off, s[0:3], 0 offset:432
	buffer_store_dword v5, off, s[0:3], 0 offset:436
	;; [unrolled: 1-line block ×4, first 2 shown]
	s_waitcnt vmcnt(0)
	ds_write_b128 v177, v[1:4]
.LBB117_285:
	s_or_b32 exec_lo, exec_lo, s4
	s_waitcnt lgkmcnt(0)
	s_waitcnt_vscnt null, 0x0
	s_barrier
	buffer_gl0_inv
	s_clause 0x37
	buffer_load_dword v6, off, s[0:3], 0 offset:456
	buffer_load_dword v7, off, s[0:3], 0 offset:460
	;; [unrolled: 1-line block ×56, first 2 shown]
	v_mov_b32_e32 v1, 0
	s_mov_b32 s4, exec_lo
	ds_read_b128 v[2:5], v1 offset:1296
	s_clause 0x2
	buffer_load_dword v179, off, s[0:3], 0 offset:684
	buffer_load_dword v183, off, s[0:3], 0 offset:660
	;; [unrolled: 1-line block ×3, first 2 shown]
	ds_read_b128 v[117:120], v1 offset:1312
	s_clause 0x4
	buffer_load_dword v187, off, s[0:3], 0 offset:700
	buffer_load_dword v188, off, s[0:3], 0 offset:712
	;; [unrolled: 1-line block ×5, first 2 shown]
	ds_read_b128 v[121:124], v1 offset:1328
	s_waitcnt vmcnt(62) lgkmcnt(2)
	v_mul_f64 v[184:185], v[4:5], v[6:7]
	v_mul_f64 v[6:7], v[2:3], v[6:7]
	s_waitcnt vmcnt(60) lgkmcnt(1)
	v_mul_f64 v[191:192], v[119:120], v[125:126]
	v_mul_f64 v[125:126], v[117:118], v[125:126]
	;; [unrolled: 3-line block ×3, first 2 shown]
	v_fma_f64 v[184:185], v[2:3], v[127:128], -v[184:185]
	v_fma_f64 v[6:7], v[4:5], v[127:128], v[6:7]
	s_clause 0x2
	buffer_load_dword v189, off, s[0:3], 0 offset:716
	buffer_load_dword v128, off, s[0:3], 0 offset:692
	;; [unrolled: 1-line block ×3, first 2 shown]
	s_waitcnt vmcnt(57)
	v_fma_f64 v[195:196], v[117:118], v[131:132], -v[191:192]
	ds_read_b128 v[2:5], v1 offset:1344
	v_fma_f64 v[125:126], v[119:120], v[131:132], v[125:126]
	s_clause 0x4
	buffer_load_dword v132, off, s[0:3], 0 offset:732
	buffer_load_dword v192, off, s[0:3], 0 offset:744
	buffer_load_dword v197, off, s[0:3], 0 offset:736
	buffer_load_dword v131, off, s[0:3], 0 offset:728
	buffer_load_dword v191, off, s[0:3], 0 offset:708
	s_waitcnt vmcnt(56)
	v_fma_f64 v[129:130], v[121:122], v[139:140], -v[129:130]
	ds_read_b128 v[117:120], v1 offset:1360
	v_fma_f64 v[139:140], v[123:124], v[139:140], v[193:194]
	v_add_f64 v[184:185], v[184:185], 0
	v_add_f64 v[6:7], v[6:7], 0
	s_waitcnt lgkmcnt(1)
	v_mul_f64 v[198:199], v[2:3], v[133:134]
	v_mul_f64 v[133:134], v[4:5], v[133:134]
	v_add_f64 v[184:185], v[184:185], v[195:196]
	v_add_f64 v[6:7], v[6:7], v[125:126]
	s_clause 0x2
	buffer_load_dword v193, off, s[0:3], 0 offset:748
	buffer_load_dword v126, off, s[0:3], 0 offset:724
	;; [unrolled: 1-line block ×3, first 2 shown]
	s_waitcnt vmcnt(58) lgkmcnt(0)
	v_mul_f64 v[194:195], v[117:118], v[135:136]
	v_mul_f64 v[135:136], v[119:120], v[135:136]
	s_waitcnt vmcnt(56)
	v_fma_f64 v[133:134], v[2:3], v[141:142], -v[133:134]
	ds_read_b128 v[121:124], v1 offset:1376
	v_fma_f64 v[141:142], v[4:5], v[141:142], v[198:199]
	v_add_f64 v[129:130], v[184:185], v[129:130]
	v_add_f64 v[6:7], v[6:7], v[139:140]
	s_clause 0x4
	buffer_load_dword v140, off, s[0:3], 0 offset:764
	buffer_load_dword v184, off, s[0:3], 0 offset:776
	;; [unrolled: 1-line block ×5, first 2 shown]
	ds_read_b128 v[2:5], v1 offset:1392
	s_waitcnt vmcnt(57) lgkmcnt(1)
	v_mul_f64 v[200:201], v[121:122], v[143:144]
	v_mul_f64 v[143:144], v[123:124], v[143:144]
	s_waitcnt vmcnt(56)
	v_fma_f64 v[135:136], v[117:118], v[137:138], -v[135:136]
	v_add_f64 v[129:130], v[129:130], v[133:134]
	v_fma_f64 v[133:134], v[119:120], v[137:138], v[194:195]
	v_add_f64 v[6:7], v[6:7], v[141:142]
	s_clause 0x2
	buffer_load_dword v185, off, s[0:3], 0 offset:780
	buffer_load_dword v138, off, s[0:3], 0 offset:756
	buffer_load_dword v137, off, s[0:3], 0 offset:752
	s_waitcnt vmcnt(58) lgkmcnt(0)
	v_mul_f64 v[141:142], v[2:3], v[145:146]
	v_mul_f64 v[145:146], v[4:5], v[145:146]
	s_waitcnt vmcnt(56)
	v_fma_f64 v[143:144], v[121:122], v[149:150], -v[143:144]
	ds_read_b128 v[117:120], v1 offset:1408
	v_add_f64 v[129:130], v[129:130], v[135:136]
	v_fma_f64 v[135:136], v[123:124], v[149:150], v[200:201]
	v_add_f64 v[6:7], v[6:7], v[133:134]
	s_clause 0x4
	buffer_load_dword v134, off, s[0:3], 0 offset:796
	buffer_load_dword v149, off, s[0:3], 0 offset:808
	;; [unrolled: 1-line block ×5, first 2 shown]
	ds_read_b128 v[121:124], v1 offset:1424
	s_waitcnt vmcnt(57) lgkmcnt(1)
	v_mul_f64 v[195:196], v[117:118], v[151:152]
	v_mul_f64 v[151:152], v[119:120], v[151:152]
	s_waitcnt vmcnt(56)
	v_fma_f64 v[145:146], v[2:3], v[147:148], -v[145:146]
	v_fma_f64 v[141:142], v[4:5], v[147:148], v[141:142]
	v_add_f64 v[129:130], v[129:130], v[143:144]
	v_add_f64 v[6:7], v[6:7], v[135:136]
	s_clause 0x2
	buffer_load_dword v150, off, s[0:3], 0 offset:812
	buffer_load_dword v136, off, s[0:3], 0 offset:788
	;; [unrolled: 1-line block ×3, first 2 shown]
	s_waitcnt vmcnt(58) lgkmcnt(0)
	v_mul_f64 v[147:148], v[123:124], v[153:154]
	ds_read_b128 v[2:5], v1 offset:1440
	s_waitcnt vmcnt(56)
	v_fma_f64 v[151:152], v[117:118], v[157:158], -v[151:152]
	v_mul_f64 v[143:144], v[121:122], v[153:154]
	v_add_f64 v[129:130], v[129:130], v[145:146]
	v_fma_f64 v[145:146], v[119:120], v[157:158], v[195:196]
	v_add_f64 v[6:7], v[6:7], v[141:142]
	s_clause 0x4
	buffer_load_dword v142, off, s[0:3], 0 offset:828
	buffer_load_dword v153, off, s[0:3], 0 offset:840
	;; [unrolled: 1-line block ×5, first 2 shown]
	s_waitcnt vmcnt(57) lgkmcnt(0)
	v_mul_f64 v[201:202], v[2:3], v[159:160]
	v_mul_f64 v[158:159], v[4:5], v[159:160]
	s_waitcnt vmcnt(56)
	v_fma_f64 v[147:148], v[121:122], v[155:156], -v[147:148]
	ds_read_b128 v[117:120], v1 offset:1456
	v_fma_f64 v[143:144], v[123:124], v[155:156], v[143:144]
	v_add_f64 v[129:130], v[129:130], v[151:152]
	v_add_f64 v[6:7], v[6:7], v[145:146]
	s_clause 0x2
	buffer_load_dword v154, off, s[0:3], 0 offset:844
	buffer_load_dword v146, off, s[0:3], 0 offset:820
	;; [unrolled: 1-line block ×3, first 2 shown]
	ds_read_b128 v[121:124], v1 offset:1472
	s_waitcnt vmcnt(58) lgkmcnt(1)
	v_mul_f64 v[155:156], v[119:120], v[161:162]
	s_waitcnt vmcnt(56)
	v_fma_f64 v[159:160], v[2:3], v[165:166], -v[158:159]
	v_mul_f64 v[151:152], v[117:118], v[161:162]
	v_add_f64 v[129:130], v[129:130], v[147:148]
	v_fma_f64 v[147:148], v[4:5], v[165:166], v[201:202]
	v_add_f64 v[6:7], v[6:7], v[143:144]
	s_clause 0x4
	buffer_load_dword v144, off, s[0:3], 0 offset:860
	buffer_load_dword v161, off, s[0:3], 0 offset:872
	;; [unrolled: 1-line block ×5, first 2 shown]
	s_waitcnt vmcnt(57) lgkmcnt(0)
	v_mul_f64 v[201:202], v[121:122], v[167:168]
	v_mul_f64 v[166:167], v[123:124], v[167:168]
	s_waitcnt vmcnt(56)
	v_fma_f64 v[155:156], v[117:118], v[163:164], -v[155:156]
	ds_read_b128 v[2:5], v1 offset:1488
	v_fma_f64 v[151:152], v[119:120], v[163:164], v[151:152]
	v_add_f64 v[129:130], v[129:130], v[159:160]
	v_add_f64 v[6:7], v[6:7], v[147:148]
	s_clause 0x2
	buffer_load_dword v162, off, s[0:3], 0 offset:876
	buffer_load_dword v148, off, s[0:3], 0 offset:852
	;; [unrolled: 1-line block ×3, first 2 shown]
	ds_read_b128 v[117:120], v1 offset:1504
	s_waitcnt vmcnt(58) lgkmcnt(1)
	v_mul_f64 v[163:164], v[4:5], v[169:170]
	s_waitcnt vmcnt(56)
	v_fma_f64 v[167:168], v[121:122], v[173:174], -v[166:167]
	v_mul_f64 v[159:160], v[2:3], v[169:170]
	buffer_load_dword v166, off, s[0:3], 0 offset:868
	v_add_f64 v[129:130], v[129:130], v[155:156]
	v_fma_f64 v[155:156], v[123:124], v[173:174], v[201:202]
	v_add_f64 v[6:7], v[6:7], v[151:152]
	ds_read_b128 v[121:124], v1 offset:1520
	s_waitcnt vmcnt(53) lgkmcnt(1)
	v_mul_f64 v[169:170], v[119:120], v[175:176]
	s_waitcnt vmcnt(52)
	v_fma_f64 v[163:164], v[2:3], v[171:172], -v[163:164]
	v_mul_f64 v[151:152], v[117:118], v[175:176]
	v_fma_f64 v[159:160], v[4:5], v[171:172], v[159:160]
	ds_read_b128 v[2:5], v1 offset:1536
	v_add_f64 v[129:130], v[129:130], v[167:168]
	s_waitcnt vmcnt(51) lgkmcnt(1)
	v_mul_f64 v[167:168], v[123:124], v[178:179]
	v_add_f64 v[6:7], v[6:7], v[155:156]
	v_mul_f64 v[155:156], v[121:122], v[178:179]
	s_waitcnt vmcnt(49)
	v_fma_f64 v[169:170], v[117:118], v[182:183], -v[169:170]
	v_fma_f64 v[151:152], v[119:120], v[182:183], v[151:152]
	s_waitcnt vmcnt(45) lgkmcnt(0)
	v_mul_f64 v[173:174], v[4:5], v[186:187]
	v_mul_f64 v[171:172], v[2:3], v[186:187]
	v_add_f64 v[129:130], v[129:130], v[163:164]
	s_waitcnt vmcnt(44)
	v_fma_f64 v[167:168], v[121:122], v[180:181], -v[167:168]
	v_add_f64 v[6:7], v[6:7], v[159:160]
	s_clause 0x3
	buffer_load_dword v159, off, s[0:3], 0 offset:432
	buffer_load_dword v160, off, s[0:3], 0 offset:436
	;; [unrolled: 1-line block ×4, first 2 shown]
	ds_read_b128 v[117:120], v1 offset:1552
	v_fma_f64 v[155:156], v[123:124], v[180:181], v[155:156]
	ds_read_b128 v[121:124], v1 offset:1568
	v_add_f64 v[129:130], v[129:130], v[169:170]
	v_add_f64 v[6:7], v[6:7], v[151:152]
	s_waitcnt vmcnt(47) lgkmcnt(1)
	v_mul_f64 v[169:170], v[119:120], v[188:189]
	v_mul_f64 v[151:152], v[117:118], v[188:189]
	s_waitcnt vmcnt(45)
	v_fma_f64 v[173:174], v[2:3], v[127:128], -v[173:174]
	v_fma_f64 v[127:128], v[4:5], v[127:128], v[171:172]
	ds_read_b128 v[2:5], v1 offset:1584
	v_add_f64 v[129:130], v[129:130], v[167:168]
	v_add_f64 v[6:7], v[6:7], v[155:156]
	s_waitcnt vmcnt(41) lgkmcnt(1)
	v_mul_f64 v[155:156], v[121:122], v[131:132]
	v_mul_f64 v[131:132], v[123:124], v[131:132]
	s_waitcnt vmcnt(40)
	v_fma_f64 v[167:168], v[117:118], v[190:191], -v[169:170]
	;; [unrolled: 9-line block ×7, first 2 shown]
	v_fma_f64 v[127:128], v[4:5], v[135:136], v[127:128]
	ds_read_b128 v[2:5], v1 offset:1680
	v_add_f64 v[129:130], v[129:130], v[131:132]
	v_add_f64 v[6:7], v[6:7], v[125:126]
	s_waitcnt vmcnt(17) lgkmcnt(1)
	v_mul_f64 v[131:132], v[123:124], v[141:142]
	s_waitcnt vmcnt(16)
	v_fma_f64 v[135:136], v[117:118], v[194:195], -v[139:140]
	v_mul_f64 v[125:126], v[121:122], v[141:142]
	v_add_f64 v[129:130], v[129:130], v[133:134]
	v_fma_f64 v[133:134], v[119:120], v[194:195], v[137:138]
	v_add_f64 v[6:7], v[6:7], v[127:128]
	ds_read_b128 v[117:120], v1 offset:1696
	s_waitcnt vmcnt(15) lgkmcnt(1)
	v_mul_f64 v[137:138], v[4:5], v[153:154]
	v_mul_f64 v[127:128], v[2:3], v[153:154]
	s_waitcnt vmcnt(13)
	v_fma_f64 v[131:132], v[121:122], v[145:146], -v[131:132]
	v_fma_f64 v[125:126], v[123:124], v[145:146], v[125:126]
	ds_read_b128 v[121:124], v1 offset:1712
	v_add_f64 v[129:130], v[129:130], v[135:136]
	v_add_f64 v[6:7], v[6:7], v[133:134]
	s_waitcnt vmcnt(9) lgkmcnt(1)
	v_mul_f64 v[135:136], v[119:120], v[143:144]
	s_waitcnt vmcnt(8)
	v_fma_f64 v[2:3], v[2:3], v[157:158], -v[137:138]
	v_mul_f64 v[133:134], v[117:118], v[143:144]
	v_fma_f64 v[4:5], v[4:5], v[157:158], v[127:128]
	v_add_f64 v[129:130], v[129:130], v[131:132]
	v_add_f64 v[6:7], v[6:7], v[125:126]
	s_waitcnt vmcnt(7) lgkmcnt(0)
	v_mul_f64 v[127:128], v[123:124], v[161:162]
	v_mul_f64 v[125:126], v[121:122], v[161:162]
	s_waitcnt vmcnt(5)
	v_fma_f64 v[117:118], v[117:118], v[147:148], -v[135:136]
	v_fma_f64 v[119:120], v[119:120], v[147:148], v[133:134]
	v_add_f64 v[2:3], v[129:130], v[2:3]
	v_add_f64 v[4:5], v[6:7], v[4:5]
	s_waitcnt vmcnt(4)
	v_fma_f64 v[6:7], v[121:122], v[165:166], -v[127:128]
	v_add_f64 v[2:3], v[2:3], v[117:118]
	v_fma_f64 v[117:118], v[123:124], v[165:166], v[125:126]
	v_add_f64 v[4:5], v[4:5], v[119:120]
	v_add_f64 v[2:3], v[2:3], v[6:7]
	;; [unrolled: 1-line block ×3, first 2 shown]
	s_waitcnt vmcnt(2)
	v_add_f64 v[2:3], v[159:160], -v[2:3]
	s_waitcnt vmcnt(0)
	v_add_f64 v[4:5], v[163:164], -v[4:5]
	buffer_store_dword v3, off, s[0:3], 0 offset:436
	buffer_store_dword v2, off, s[0:3], 0 offset:432
	buffer_store_dword v5, off, s[0:3], 0 offset:444
	buffer_store_dword v4, off, s[0:3], 0 offset:440
	v_cmpx_lt_u32_e32 25, v0
	s_cbranch_execz .LBB117_287
; %bb.286:
	v_mov_b32_e32 v5, s41
	s_clause 0x3
	buffer_load_dword v2, v5, s[0:3], 0 offen
	buffer_load_dword v3, v5, s[0:3], 0 offen offset:4
	buffer_load_dword v4, v5, s[0:3], 0 offen offset:8
	;; [unrolled: 1-line block ×3, first 2 shown]
	buffer_store_dword v1, off, s[0:3], 0 offset:416
	buffer_store_dword v1, off, s[0:3], 0 offset:420
	;; [unrolled: 1-line block ×4, first 2 shown]
	s_waitcnt vmcnt(0)
	ds_write_b128 v177, v[2:5]
.LBB117_287:
	s_or_b32 exec_lo, exec_lo, s4
	s_waitcnt lgkmcnt(0)
	s_waitcnt_vscnt null, 0x0
	s_barrier
	buffer_gl0_inv
	s_clause 0x37
	buffer_load_dword v6, off, s[0:3], 0 offset:440
	buffer_load_dword v7, off, s[0:3], 0 offset:444
	;; [unrolled: 1-line block ×56, first 2 shown]
	ds_read_b128 v[2:5], v1 offset:1280
	s_clause 0x2
	buffer_load_dword v179, off, s[0:3], 0 offset:668
	buffer_load_dword v183, off, s[0:3], 0 offset:644
	;; [unrolled: 1-line block ×3, first 2 shown]
	ds_read_b128 v[117:120], v1 offset:1296
	s_clause 0x4
	buffer_load_dword v187, off, s[0:3], 0 offset:684
	buffer_load_dword v188, off, s[0:3], 0 offset:696
	;; [unrolled: 1-line block ×5, first 2 shown]
	ds_read_b128 v[121:124], v1 offset:1312
	s_mov_b32 s4, exec_lo
	s_waitcnt vmcnt(62) lgkmcnt(2)
	v_mul_f64 v[184:185], v[4:5], v[6:7]
	v_mul_f64 v[6:7], v[2:3], v[6:7]
	s_waitcnt vmcnt(60) lgkmcnt(1)
	v_mul_f64 v[191:192], v[119:120], v[125:126]
	v_mul_f64 v[125:126], v[117:118], v[125:126]
	;; [unrolled: 3-line block ×3, first 2 shown]
	v_fma_f64 v[184:185], v[2:3], v[127:128], -v[184:185]
	v_fma_f64 v[6:7], v[4:5], v[127:128], v[6:7]
	s_clause 0x2
	buffer_load_dword v189, off, s[0:3], 0 offset:700
	buffer_load_dword v128, off, s[0:3], 0 offset:676
	;; [unrolled: 1-line block ×3, first 2 shown]
	s_waitcnt vmcnt(57)
	v_fma_f64 v[195:196], v[117:118], v[131:132], -v[191:192]
	ds_read_b128 v[2:5], v1 offset:1328
	v_fma_f64 v[125:126], v[119:120], v[131:132], v[125:126]
	s_clause 0x4
	buffer_load_dword v132, off, s[0:3], 0 offset:716
	buffer_load_dword v192, off, s[0:3], 0 offset:728
	;; [unrolled: 1-line block ×5, first 2 shown]
	s_waitcnt vmcnt(56)
	v_fma_f64 v[129:130], v[121:122], v[139:140], -v[129:130]
	ds_read_b128 v[117:120], v1 offset:1344
	v_fma_f64 v[139:140], v[123:124], v[139:140], v[193:194]
	v_add_f64 v[184:185], v[184:185], 0
	v_add_f64 v[6:7], v[6:7], 0
	s_waitcnt lgkmcnt(1)
	v_mul_f64 v[198:199], v[2:3], v[133:134]
	v_mul_f64 v[133:134], v[4:5], v[133:134]
	v_add_f64 v[184:185], v[184:185], v[195:196]
	v_add_f64 v[6:7], v[6:7], v[125:126]
	s_clause 0x2
	buffer_load_dword v193, off, s[0:3], 0 offset:732
	buffer_load_dword v126, off, s[0:3], 0 offset:708
	;; [unrolled: 1-line block ×3, first 2 shown]
	s_waitcnt vmcnt(58) lgkmcnt(0)
	v_mul_f64 v[194:195], v[117:118], v[135:136]
	v_mul_f64 v[135:136], v[119:120], v[135:136]
	s_waitcnt vmcnt(56)
	v_fma_f64 v[133:134], v[2:3], v[141:142], -v[133:134]
	ds_read_b128 v[121:124], v1 offset:1360
	v_fma_f64 v[141:142], v[4:5], v[141:142], v[198:199]
	v_add_f64 v[129:130], v[184:185], v[129:130]
	v_add_f64 v[6:7], v[6:7], v[139:140]
	s_clause 0x4
	buffer_load_dword v140, off, s[0:3], 0 offset:748
	buffer_load_dword v184, off, s[0:3], 0 offset:760
	;; [unrolled: 1-line block ×5, first 2 shown]
	ds_read_b128 v[2:5], v1 offset:1376
	s_waitcnt vmcnt(57) lgkmcnt(1)
	v_mul_f64 v[200:201], v[121:122], v[143:144]
	v_mul_f64 v[143:144], v[123:124], v[143:144]
	s_waitcnt vmcnt(56)
	v_fma_f64 v[135:136], v[117:118], v[137:138], -v[135:136]
	v_add_f64 v[129:130], v[129:130], v[133:134]
	v_fma_f64 v[133:134], v[119:120], v[137:138], v[194:195]
	v_add_f64 v[6:7], v[6:7], v[141:142]
	s_clause 0x2
	buffer_load_dword v185, off, s[0:3], 0 offset:764
	buffer_load_dword v138, off, s[0:3], 0 offset:740
	;; [unrolled: 1-line block ×3, first 2 shown]
	s_waitcnt vmcnt(58) lgkmcnt(0)
	v_mul_f64 v[141:142], v[2:3], v[145:146]
	v_mul_f64 v[145:146], v[4:5], v[145:146]
	s_waitcnt vmcnt(56)
	v_fma_f64 v[143:144], v[121:122], v[149:150], -v[143:144]
	ds_read_b128 v[117:120], v1 offset:1392
	v_add_f64 v[129:130], v[129:130], v[135:136]
	v_fma_f64 v[135:136], v[123:124], v[149:150], v[200:201]
	v_add_f64 v[6:7], v[6:7], v[133:134]
	s_clause 0x4
	buffer_load_dword v134, off, s[0:3], 0 offset:780
	buffer_load_dword v149, off, s[0:3], 0 offset:792
	;; [unrolled: 1-line block ×5, first 2 shown]
	ds_read_b128 v[121:124], v1 offset:1408
	s_waitcnt vmcnt(57) lgkmcnt(1)
	v_mul_f64 v[195:196], v[117:118], v[151:152]
	v_mul_f64 v[151:152], v[119:120], v[151:152]
	s_waitcnt vmcnt(56)
	v_fma_f64 v[145:146], v[2:3], v[147:148], -v[145:146]
	v_fma_f64 v[141:142], v[4:5], v[147:148], v[141:142]
	v_add_f64 v[129:130], v[129:130], v[143:144]
	v_add_f64 v[6:7], v[6:7], v[135:136]
	s_clause 0x2
	buffer_load_dword v150, off, s[0:3], 0 offset:796
	buffer_load_dword v136, off, s[0:3], 0 offset:772
	;; [unrolled: 1-line block ×3, first 2 shown]
	s_waitcnt vmcnt(58) lgkmcnt(0)
	v_mul_f64 v[147:148], v[123:124], v[153:154]
	ds_read_b128 v[2:5], v1 offset:1424
	s_waitcnt vmcnt(56)
	v_fma_f64 v[151:152], v[117:118], v[157:158], -v[151:152]
	v_mul_f64 v[143:144], v[121:122], v[153:154]
	v_add_f64 v[129:130], v[129:130], v[145:146]
	v_fma_f64 v[145:146], v[119:120], v[157:158], v[195:196]
	v_add_f64 v[6:7], v[6:7], v[141:142]
	s_clause 0x4
	buffer_load_dword v142, off, s[0:3], 0 offset:812
	buffer_load_dword v153, off, s[0:3], 0 offset:824
	;; [unrolled: 1-line block ×5, first 2 shown]
	s_waitcnt vmcnt(57) lgkmcnt(0)
	v_mul_f64 v[201:202], v[2:3], v[159:160]
	v_mul_f64 v[158:159], v[4:5], v[159:160]
	s_waitcnt vmcnt(56)
	v_fma_f64 v[147:148], v[121:122], v[155:156], -v[147:148]
	ds_read_b128 v[117:120], v1 offset:1440
	v_fma_f64 v[143:144], v[123:124], v[155:156], v[143:144]
	v_add_f64 v[129:130], v[129:130], v[151:152]
	v_add_f64 v[6:7], v[6:7], v[145:146]
	s_clause 0x2
	buffer_load_dword v154, off, s[0:3], 0 offset:828
	buffer_load_dword v146, off, s[0:3], 0 offset:804
	;; [unrolled: 1-line block ×3, first 2 shown]
	ds_read_b128 v[121:124], v1 offset:1456
	s_waitcnt vmcnt(58) lgkmcnt(1)
	v_mul_f64 v[155:156], v[119:120], v[161:162]
	s_waitcnt vmcnt(56)
	v_fma_f64 v[159:160], v[2:3], v[165:166], -v[158:159]
	v_mul_f64 v[151:152], v[117:118], v[161:162]
	v_add_f64 v[129:130], v[129:130], v[147:148]
	v_fma_f64 v[147:148], v[4:5], v[165:166], v[201:202]
	v_add_f64 v[6:7], v[6:7], v[143:144]
	s_clause 0x4
	buffer_load_dword v144, off, s[0:3], 0 offset:844
	buffer_load_dword v161, off, s[0:3], 0 offset:856
	buffer_load_dword v165, off, s[0:3], 0 offset:848
	buffer_load_dword v143, off, s[0:3], 0 offset:840
	buffer_load_dword v158, off, s[0:3], 0 offset:820
	s_waitcnt vmcnt(57) lgkmcnt(0)
	v_mul_f64 v[201:202], v[121:122], v[167:168]
	v_mul_f64 v[166:167], v[123:124], v[167:168]
	s_waitcnt vmcnt(56)
	v_fma_f64 v[155:156], v[117:118], v[163:164], -v[155:156]
	ds_read_b128 v[2:5], v1 offset:1472
	v_fma_f64 v[151:152], v[119:120], v[163:164], v[151:152]
	v_add_f64 v[129:130], v[129:130], v[159:160]
	v_add_f64 v[6:7], v[6:7], v[147:148]
	s_clause 0x2
	buffer_load_dword v162, off, s[0:3], 0 offset:860
	buffer_load_dword v148, off, s[0:3], 0 offset:836
	;; [unrolled: 1-line block ×3, first 2 shown]
	ds_read_b128 v[117:120], v1 offset:1488
	s_waitcnt vmcnt(58) lgkmcnt(1)
	v_mul_f64 v[163:164], v[4:5], v[169:170]
	s_waitcnt vmcnt(56)
	v_fma_f64 v[167:168], v[121:122], v[173:174], -v[166:167]
	v_mul_f64 v[159:160], v[2:3], v[169:170]
	v_add_f64 v[129:130], v[129:130], v[155:156]
	v_fma_f64 v[155:156], v[123:124], v[173:174], v[201:202]
	v_add_f64 v[6:7], v[6:7], v[151:152]
	s_clause 0x2
	buffer_load_dword v152, off, s[0:3], 0 offset:876
	buffer_load_dword v151, off, s[0:3], 0 offset:872
	;; [unrolled: 1-line block ×3, first 2 shown]
	s_waitcnt vmcnt(55) lgkmcnt(0)
	v_mul_f64 v[173:174], v[119:120], v[175:176]
	s_waitcnt vmcnt(54)
	v_fma_f64 v[163:164], v[2:3], v[171:172], -v[163:164]
	ds_read_b128 v[121:124], v1 offset:1504
	v_mul_f64 v[169:170], v[117:118], v[175:176]
	v_fma_f64 v[159:160], v[4:5], v[171:172], v[159:160]
	v_add_f64 v[129:130], v[129:130], v[167:168]
	v_add_f64 v[6:7], v[6:7], v[155:156]
	s_clause 0x1
	buffer_load_dword v156, off, s[0:3], 0 offset:868
	buffer_load_dword v155, off, s[0:3], 0 offset:864
	s_waitcnt vmcnt(55) lgkmcnt(0)
	v_mul_f64 v[171:172], v[123:124], v[178:179]
	s_waitcnt vmcnt(53)
	v_fma_f64 v[173:174], v[117:118], v[182:183], -v[173:174]
	ds_read_b128 v[2:5], v1 offset:1520
	v_mul_f64 v[167:168], v[121:122], v[178:179]
	v_add_f64 v[129:130], v[129:130], v[163:164]
	v_fma_f64 v[163:164], v[119:120], v[182:183], v[169:170]
	v_add_f64 v[6:7], v[6:7], v[159:160]
	ds_read_b128 v[117:120], v1 offset:1536
	s_waitcnt vmcnt(49) lgkmcnt(1)
	v_mul_f64 v[169:170], v[4:5], v[186:187]
	s_waitcnt vmcnt(48)
	v_fma_f64 v[171:172], v[121:122], v[180:181], -v[171:172]
	v_mul_f64 v[159:160], v[2:3], v[186:187]
	v_fma_f64 v[167:168], v[123:124], v[180:181], v[167:168]
	v_add_f64 v[129:130], v[129:130], v[173:174]
	v_add_f64 v[6:7], v[6:7], v[163:164]
	s_clause 0x3
	buffer_load_dword v163, off, s[0:3], 0 offset:416
	buffer_load_dword v164, off, s[0:3], 0 offset:420
	;; [unrolled: 1-line block ×4, first 2 shown]
	ds_read_b128 v[121:124], v1 offset:1552
	s_waitcnt vmcnt(51) lgkmcnt(1)
	v_mul_f64 v[178:179], v[119:120], v[188:189]
	v_mul_f64 v[175:176], v[117:118], v[188:189]
	s_waitcnt vmcnt(49)
	v_fma_f64 v[169:170], v[2:3], v[127:128], -v[169:170]
	v_fma_f64 v[127:128], v[4:5], v[127:128], v[159:160]
	ds_read_b128 v[2:5], v1 offset:1568
	v_add_f64 v[129:130], v[129:130], v[171:172]
	v_add_f64 v[6:7], v[6:7], v[167:168]
	s_waitcnt vmcnt(45) lgkmcnt(1)
	v_mul_f64 v[159:160], v[121:122], v[131:132]
	v_mul_f64 v[131:132], v[123:124], v[131:132]
	s_waitcnt vmcnt(44)
	v_fma_f64 v[167:168], v[117:118], v[190:191], -v[178:179]
	v_add_f64 v[129:130], v[129:130], v[169:170]
	v_fma_f64 v[169:170], v[119:120], v[190:191], v[175:176]
	v_add_f64 v[6:7], v[6:7], v[127:128]
	ds_read_b128 v[117:120], v1 offset:1584
	s_waitcnt vmcnt(43) lgkmcnt(1)
	v_mul_f64 v[171:172], v[4:5], v[192:193]
	v_mul_f64 v[127:128], v[2:3], v[192:193]
	s_waitcnt vmcnt(41)
	v_fma_f64 v[131:132], v[121:122], v[125:126], -v[131:132]
	v_fma_f64 v[125:126], v[123:124], v[125:126], v[159:160]
	ds_read_b128 v[121:124], v1 offset:1600
	v_add_f64 v[129:130], v[129:130], v[167:168]
	v_add_f64 v[6:7], v[6:7], v[169:170]
	s_waitcnt vmcnt(37) lgkmcnt(1)
	v_mul_f64 v[159:160], v[117:118], v[139:140]
	v_mul_f64 v[139:140], v[119:120], v[139:140]
	s_waitcnt vmcnt(36)
	v_fma_f64 v[167:168], v[2:3], v[197:198], -v[171:172]
	v_fma_f64 v[127:128], v[4:5], v[197:198], v[127:128]
	ds_read_b128 v[2:5], v1 offset:1616
	v_add_f64 v[129:130], v[129:130], v[131:132]
	v_add_f64 v[6:7], v[6:7], v[125:126]
	;; [unrolled: 9-line block ×5, first 2 shown]
	s_waitcnt vmcnt(21) lgkmcnt(1)
	v_mul_f64 v[131:132], v[123:124], v[141:142]
	s_waitcnt vmcnt(20)
	v_fma_f64 v[135:136], v[117:118], v[194:195], -v[139:140]
	v_mul_f64 v[125:126], v[121:122], v[141:142]
	v_add_f64 v[129:130], v[129:130], v[133:134]
	v_fma_f64 v[133:134], v[119:120], v[194:195], v[137:138]
	v_add_f64 v[6:7], v[6:7], v[127:128]
	ds_read_b128 v[117:120], v1 offset:1680
	s_waitcnt vmcnt(19) lgkmcnt(1)
	v_mul_f64 v[137:138], v[4:5], v[153:154]
	v_mul_f64 v[127:128], v[2:3], v[153:154]
	s_waitcnt vmcnt(17)
	v_fma_f64 v[131:132], v[121:122], v[145:146], -v[131:132]
	v_fma_f64 v[125:126], v[123:124], v[145:146], v[125:126]
	ds_read_b128 v[121:124], v1 offset:1696
	v_add_f64 v[129:130], v[129:130], v[135:136]
	v_add_f64 v[6:7], v[6:7], v[133:134]
	s_waitcnt vmcnt(13) lgkmcnt(1)
	v_mul_f64 v[135:136], v[119:120], v[143:144]
	s_waitcnt vmcnt(12)
	v_fma_f64 v[137:138], v[2:3], v[157:158], -v[137:138]
	v_mul_f64 v[133:134], v[117:118], v[143:144]
	v_fma_f64 v[127:128], v[4:5], v[157:158], v[127:128]
	ds_read_b128 v[1:4], v1 offset:1712
	v_add_f64 v[129:130], v[129:130], v[131:132]
	v_add_f64 v[5:6], v[6:7], v[125:126]
	s_waitcnt vmcnt(11) lgkmcnt(1)
	v_mul_f64 v[125:126], v[123:124], v[161:162]
	v_mul_f64 v[7:8], v[121:122], v[161:162]
	s_waitcnt vmcnt(9)
	v_fma_f64 v[117:118], v[117:118], v[147:148], -v[135:136]
	v_fma_f64 v[119:120], v[119:120], v[147:148], v[133:134]
	v_add_f64 v[129:130], v[129:130], v[137:138]
	v_add_f64 v[5:6], v[5:6], v[127:128]
	s_waitcnt vmcnt(7) lgkmcnt(0)
	v_mul_f64 v[131:132], v[3:4], v[151:152]
	s_waitcnt vmcnt(6)
	v_fma_f64 v[121:122], v[121:122], v[165:166], -v[125:126]
	v_mul_f64 v[127:128], v[1:2], v[151:152]
	v_fma_f64 v[7:8], v[123:124], v[165:166], v[7:8]
	v_add_f64 v[117:118], v[129:130], v[117:118]
	v_add_f64 v[5:6], v[5:6], v[119:120]
	s_waitcnt vmcnt(4)
	v_fma_f64 v[1:2], v[1:2], v[155:156], -v[131:132]
	v_fma_f64 v[3:4], v[3:4], v[155:156], v[127:128]
	v_add_f64 v[117:118], v[117:118], v[121:122]
	v_add_f64 v[5:6], v[5:6], v[7:8]
	;; [unrolled: 1-line block ×4, first 2 shown]
	s_waitcnt vmcnt(2)
	v_add_f64 v[1:2], v[163:164], -v[1:2]
	s_waitcnt vmcnt(0)
	v_add_f64 v[3:4], v[173:174], -v[3:4]
	buffer_store_dword v2, off, s[0:3], 0 offset:420
	buffer_store_dword v1, off, s[0:3], 0 offset:416
	;; [unrolled: 1-line block ×4, first 2 shown]
	v_cmpx_lt_u32_e32 24, v0
	s_cbranch_execz .LBB117_289
; %bb.288:
	v_mov_b32_e32 v4, s42
	v_mov_b32_e32 v5, 0
	s_clause 0x3
	buffer_load_dword v1, v4, s[0:3], 0 offen
	buffer_load_dword v2, v4, s[0:3], 0 offen offset:4
	buffer_load_dword v3, v4, s[0:3], 0 offen offset:8
	;; [unrolled: 1-line block ×3, first 2 shown]
	buffer_store_dword v5, off, s[0:3], 0 offset:400
	buffer_store_dword v5, off, s[0:3], 0 offset:404
	;; [unrolled: 1-line block ×4, first 2 shown]
	s_waitcnt vmcnt(0)
	ds_write_b128 v177, v[1:4]
.LBB117_289:
	s_or_b32 exec_lo, exec_lo, s4
	s_waitcnt lgkmcnt(0)
	s_waitcnt_vscnt null, 0x0
	s_barrier
	buffer_gl0_inv
	s_clause 0x37
	buffer_load_dword v117, off, s[0:3], 0 offset:424
	buffer_load_dword v118, off, s[0:3], 0 offset:428
	;; [unrolled: 1-line block ×56, first 2 shown]
	v_mov_b32_e32 v119, 0
	s_mov_b32 s4, exec_lo
	ds_read_b128 v[5:8], v119 offset:1264
	s_clause 0x2
	buffer_load_dword v179, off, s[0:3], 0 offset:652
	buffer_load_dword v183, off, s[0:3], 0 offset:628
	;; [unrolled: 1-line block ×3, first 2 shown]
	ds_read_b128 v[120:123], v119 offset:1280
	s_clause 0x4
	buffer_load_dword v187, off, s[0:3], 0 offset:668
	buffer_load_dword v188, off, s[0:3], 0 offset:680
	;; [unrolled: 1-line block ×5, first 2 shown]
	ds_read_b128 v[124:127], v119 offset:1296
	s_waitcnt vmcnt(62) lgkmcnt(2)
	v_mul_f64 v[184:185], v[7:8], v[117:118]
	v_mul_f64 v[117:118], v[5:6], v[117:118]
	s_waitcnt vmcnt(60) lgkmcnt(1)
	v_mul_f64 v[191:192], v[122:123], v[128:129]
	v_mul_f64 v[128:129], v[120:121], v[128:129]
	;; [unrolled: 3-line block ×3, first 2 shown]
	v_fma_f64 v[184:185], v[5:6], v[130:131], -v[184:185]
	v_fma_f64 v[117:118], v[7:8], v[130:131], v[117:118]
	s_clause 0x2
	buffer_load_dword v189, off, s[0:3], 0 offset:684
	buffer_load_dword v131, off, s[0:3], 0 offset:660
	;; [unrolled: 1-line block ×3, first 2 shown]
	s_waitcnt vmcnt(57)
	v_fma_f64 v[120:121], v[120:121], v[1:2], -v[191:192]
	ds_read_b128 v[5:8], v119 offset:1312
	v_fma_f64 v[122:123], v[122:123], v[1:2], v[128:129]
	s_clause 0x4
	buffer_load_dword v129, off, s[0:3], 0 offset:700
	buffer_load_dword v192, off, s[0:3], 0 offset:712
	;; [unrolled: 1-line block ×5, first 2 shown]
	s_waitcnt vmcnt(56)
	v_fma_f64 v[124:125], v[124:125], v[138:139], -v[195:196]
	ds_read_b128 v[1:4], v119 offset:1328
	v_fma_f64 v[126:127], v[126:127], v[138:139], v[193:194]
	s_clause 0x2
	buffer_load_dword v193, off, s[0:3], 0 offset:716
	buffer_load_dword v139, off, s[0:3], 0 offset:692
	;; [unrolled: 1-line block ×3, first 2 shown]
	v_add_f64 v[184:185], v[184:185], 0
	v_add_f64 v[117:118], v[117:118], 0
	s_waitcnt lgkmcnt(1)
	v_mul_f64 v[198:199], v[5:6], v[132:133]
	v_mul_f64 v[132:133], v[7:8], v[132:133]
	s_waitcnt vmcnt(58) lgkmcnt(0)
	v_mul_f64 v[194:195], v[1:2], v[134:135]
	v_mul_f64 v[134:135], v[3:4], v[134:135]
	v_add_f64 v[184:185], v[184:185], v[120:121]
	v_add_f64 v[117:118], v[117:118], v[122:123]
	ds_read_b128 v[120:123], v119 offset:1344
	s_waitcnt vmcnt(56)
	v_fma_f64 v[132:133], v[5:6], v[140:141], -v[132:133]
	v_fma_f64 v[140:141], v[7:8], v[140:141], v[198:199]
	s_waitcnt vmcnt(51)
	v_fma_f64 v[134:135], v[1:2], v[136:137], -v[134:135]
	s_waitcnt lgkmcnt(0)
	v_mul_f64 v[200:201], v[120:121], v[142:143]
	v_add_f64 v[124:125], v[184:185], v[124:125]
	v_add_f64 v[117:118], v[117:118], v[126:127]
	s_clause 0x4
	buffer_load_dword v127, off, s[0:3], 0 offset:732
	buffer_load_dword v184, off, s[0:3], 0 offset:744
	;; [unrolled: 1-line block ×5, first 2 shown]
	v_mul_f64 v[142:143], v[122:123], v[142:143]
	ds_read_b128 v[5:8], v119 offset:1360
	v_add_f64 v[124:125], v[124:125], v[132:133]
	v_fma_f64 v[132:133], v[3:4], v[136:137], v[194:195]
	v_add_f64 v[117:118], v[117:118], v[140:141]
	s_clause 0x2
	buffer_load_dword v185, off, s[0:3], 0 offset:748
	buffer_load_dword v137, off, s[0:3], 0 offset:724
	;; [unrolled: 1-line block ×3, first 2 shown]
	s_waitcnt vmcnt(58) lgkmcnt(0)
	v_mul_f64 v[140:141], v[5:6], v[144:145]
	v_mul_f64 v[144:145], v[7:8], v[144:145]
	s_waitcnt vmcnt(56)
	v_fma_f64 v[142:143], v[120:121], v[148:149], -v[142:143]
	ds_read_b128 v[1:4], v119 offset:1376
	v_add_f64 v[124:125], v[124:125], v[134:135]
	v_fma_f64 v[134:135], v[122:123], v[148:149], v[200:201]
	v_add_f64 v[117:118], v[117:118], v[132:133]
	s_clause 0x4
	buffer_load_dword v133, off, s[0:3], 0 offset:764
	buffer_load_dword v148, off, s[0:3], 0 offset:776
	;; [unrolled: 1-line block ×5, first 2 shown]
	ds_read_b128 v[120:123], v119 offset:1392
	s_waitcnt vmcnt(57) lgkmcnt(1)
	v_mul_f64 v[195:196], v[1:2], v[150:151]
	v_mul_f64 v[150:151], v[3:4], v[150:151]
	s_waitcnt vmcnt(56)
	v_fma_f64 v[144:145], v[5:6], v[146:147], -v[144:145]
	v_fma_f64 v[140:141], v[7:8], v[146:147], v[140:141]
	v_add_f64 v[124:125], v[124:125], v[142:143]
	v_add_f64 v[117:118], v[117:118], v[134:135]
	s_clause 0x2
	buffer_load_dword v149, off, s[0:3], 0 offset:780
	buffer_load_dword v135, off, s[0:3], 0 offset:756
	buffer_load_dword v134, off, s[0:3], 0 offset:752
	s_waitcnt vmcnt(58) lgkmcnt(0)
	v_mul_f64 v[146:147], v[122:123], v[152:153]
	ds_read_b128 v[5:8], v119 offset:1408
	s_waitcnt vmcnt(56)
	v_fma_f64 v[150:151], v[1:2], v[156:157], -v[150:151]
	v_mul_f64 v[142:143], v[120:121], v[152:153]
	v_add_f64 v[124:125], v[124:125], v[144:145]
	v_fma_f64 v[144:145], v[3:4], v[156:157], v[195:196]
	v_add_f64 v[117:118], v[117:118], v[140:141]
	s_clause 0x4
	buffer_load_dword v141, off, s[0:3], 0 offset:796
	buffer_load_dword v152, off, s[0:3], 0 offset:808
	buffer_load_dword v156, off, s[0:3], 0 offset:800
	buffer_load_dword v140, off, s[0:3], 0 offset:792
	buffer_load_dword v195, off, s[0:3], 0 offset:772
	s_waitcnt vmcnt(57) lgkmcnt(0)
	v_mul_f64 v[201:202], v[5:6], v[158:159]
	v_mul_f64 v[157:158], v[7:8], v[158:159]
	s_waitcnt vmcnt(56)
	v_fma_f64 v[146:147], v[120:121], v[154:155], -v[146:147]
	ds_read_b128 v[1:4], v119 offset:1424
	v_fma_f64 v[142:143], v[122:123], v[154:155], v[142:143]
	v_add_f64 v[124:125], v[124:125], v[150:151]
	v_add_f64 v[117:118], v[117:118], v[144:145]
	s_clause 0x2
	buffer_load_dword v153, off, s[0:3], 0 offset:812
	buffer_load_dword v145, off, s[0:3], 0 offset:788
	buffer_load_dword v144, off, s[0:3], 0 offset:784
	ds_read_b128 v[120:123], v119 offset:1440
	s_waitcnt vmcnt(58) lgkmcnt(1)
	v_mul_f64 v[154:155], v[3:4], v[160:161]
	s_waitcnt vmcnt(56)
	v_fma_f64 v[158:159], v[5:6], v[164:165], -v[157:158]
	v_mul_f64 v[150:151], v[1:2], v[160:161]
	v_add_f64 v[124:125], v[124:125], v[146:147]
	v_fma_f64 v[146:147], v[7:8], v[164:165], v[201:202]
	v_add_f64 v[117:118], v[117:118], v[142:143]
	s_clause 0x4
	buffer_load_dword v143, off, s[0:3], 0 offset:828
	buffer_load_dword v160, off, s[0:3], 0 offset:840
	buffer_load_dword v164, off, s[0:3], 0 offset:832
	buffer_load_dword v142, off, s[0:3], 0 offset:824
	buffer_load_dword v157, off, s[0:3], 0 offset:804
	s_waitcnt vmcnt(57) lgkmcnt(0)
	v_mul_f64 v[201:202], v[120:121], v[166:167]
	v_mul_f64 v[165:166], v[122:123], v[166:167]
	s_waitcnt vmcnt(56)
	v_fma_f64 v[154:155], v[1:2], v[162:163], -v[154:155]
	ds_read_b128 v[5:8], v119 offset:1456
	v_fma_f64 v[150:151], v[3:4], v[162:163], v[150:151]
	v_add_f64 v[124:125], v[124:125], v[158:159]
	v_add_f64 v[117:118], v[117:118], v[146:147]
	s_clause 0x2
	buffer_load_dword v161, off, s[0:3], 0 offset:844
	buffer_load_dword v147, off, s[0:3], 0 offset:820
	buffer_load_dword v146, off, s[0:3], 0 offset:816
	ds_read_b128 v[1:4], v119 offset:1472
	s_waitcnt vmcnt(58) lgkmcnt(1)
	v_mul_f64 v[162:163], v[7:8], v[168:169]
	;; [unrolled: 28-line block ×3, first 2 shown]
	s_waitcnt vmcnt(56)
	v_fma_f64 v[174:175], v[1:2], v[182:183], -v[173:174]
	v_mul_f64 v[166:167], v[120:121], v[178:179]
	buffer_load_dword v173, off, s[0:3], 0 offset:868
	v_add_f64 v[124:125], v[124:125], v[162:163]
	v_fma_f64 v[162:163], v[3:4], v[182:183], v[201:202]
	v_add_f64 v[117:118], v[117:118], v[158:159]
	ds_read_b128 v[1:4], v119 offset:1520
	s_waitcnt vmcnt(53) lgkmcnt(1)
	v_mul_f64 v[178:179], v[7:8], v[186:187]
	s_waitcnt vmcnt(52)
	v_fma_f64 v[170:171], v[120:121], v[180:181], -v[170:171]
	v_mul_f64 v[158:159], v[5:6], v[186:187]
	v_fma_f64 v[166:167], v[122:123], v[180:181], v[166:167]
	ds_read_b128 v[120:123], v119 offset:1536
	v_add_f64 v[124:125], v[124:125], v[174:175]
	v_add_f64 v[117:118], v[117:118], v[162:163]
	s_waitcnt vmcnt(51) lgkmcnt(1)
	v_mul_f64 v[174:175], v[3:4], v[188:189]
	v_mul_f64 v[162:163], v[1:2], v[188:189]
	s_waitcnt vmcnt(49)
	v_fma_f64 v[178:179], v[5:6], v[130:131], -v[178:179]
	v_fma_f64 v[130:131], v[7:8], v[130:131], v[158:159]
	v_add_f64 v[124:125], v[124:125], v[170:171]
	s_waitcnt vmcnt(45) lgkmcnt(0)
	v_mul_f64 v[170:171], v[120:121], v[128:129]
	v_add_f64 v[117:118], v[117:118], v[166:167]
	s_clause 0x3
	buffer_load_dword v158, off, s[0:3], 0 offset:400
	buffer_load_dword v159, off, s[0:3], 0 offset:404
	;; [unrolled: 1-line block ×4, first 2 shown]
	v_mul_f64 v[128:129], v[122:123], v[128:129]
	ds_read_b128 v[5:8], v119 offset:1552
	s_waitcnt vmcnt(48)
	v_fma_f64 v[174:175], v[1:2], v[190:191], -v[174:175]
	v_fma_f64 v[162:163], v[3:4], v[190:191], v[162:163]
	ds_read_b128 v[1:4], v119 offset:1568
	v_add_f64 v[124:125], v[124:125], v[178:179]
	v_add_f64 v[117:118], v[117:118], v[130:131]
	s_waitcnt vmcnt(47) lgkmcnt(1)
	v_mul_f64 v[178:179], v[7:8], v[192:193]
	s_waitcnt vmcnt(45)
	v_fma_f64 v[128:129], v[120:121], v[138:139], -v[128:129]
	v_mul_f64 v[130:131], v[5:6], v[192:193]
	v_fma_f64 v[138:139], v[122:123], v[138:139], v[170:171]
	ds_read_b128 v[120:123], v119 offset:1584
	v_add_f64 v[124:125], v[124:125], v[174:175]
	v_add_f64 v[117:118], v[117:118], v[162:163]
	s_waitcnt vmcnt(41) lgkmcnt(1)
	v_mul_f64 v[162:163], v[1:2], v[126:127]
	v_mul_f64 v[126:127], v[3:4], v[126:127]
	s_waitcnt vmcnt(40)
	v_fma_f64 v[170:171], v[5:6], v[197:198], -v[178:179]
	v_add_f64 v[124:125], v[124:125], v[128:129]
	v_fma_f64 v[128:129], v[7:8], v[197:198], v[130:131]
	v_add_f64 v[117:118], v[117:118], v[138:139]
	ds_read_b128 v[5:8], v119 offset:1600
	s_waitcnt vmcnt(39) lgkmcnt(1)
	v_mul_f64 v[138:139], v[122:123], v[184:185]
	v_mul_f64 v[130:131], v[120:121], v[184:185]
	s_waitcnt vmcnt(37)
	v_fma_f64 v[126:127], v[1:2], v[136:137], -v[126:127]
	v_fma_f64 v[136:137], v[3:4], v[136:137], v[162:163]
	ds_read_b128 v[1:4], v119 offset:1616
	v_add_f64 v[124:125], v[124:125], v[170:171]
	v_add_f64 v[117:118], v[117:118], v[128:129]
	s_waitcnt vmcnt(33) lgkmcnt(1)
	v_mul_f64 v[128:129], v[5:6], v[132:133]
	v_mul_f64 v[132:133], v[7:8], v[132:133]
	s_waitcnt vmcnt(32)
	v_fma_f64 v[138:139], v[120:121], v[199:200], -v[138:139]
	v_add_f64 v[124:125], v[124:125], v[126:127]
	v_fma_f64 v[126:127], v[122:123], v[199:200], v[130:131]
	v_add_f64 v[117:118], v[117:118], v[136:137]
	ds_read_b128 v[120:123], v119 offset:1632
	s_waitcnt vmcnt(31) lgkmcnt(1)
	v_mul_f64 v[136:137], v[3:4], v[148:149]
	v_mul_f64 v[130:131], v[1:2], v[148:149]
	s_waitcnt vmcnt(29)
	v_fma_f64 v[132:133], v[5:6], v[134:135], -v[132:133]
	v_fma_f64 v[128:129], v[7:8], v[134:135], v[128:129]
	ds_read_b128 v[5:8], v119 offset:1648
	v_add_f64 v[124:125], v[124:125], v[138:139]
	v_add_f64 v[117:118], v[117:118], v[126:127]
	s_waitcnt vmcnt(25) lgkmcnt(1)
	v_mul_f64 v[134:135], v[122:123], v[140:141]
	s_waitcnt vmcnt(24)
	v_fma_f64 v[136:137], v[1:2], v[194:195], -v[136:137]
	v_mul_f64 v[126:127], v[120:121], v[140:141]
	v_fma_f64 v[130:131], v[3:4], v[194:195], v[130:131]
	ds_read_b128 v[1:4], v119 offset:1664
	v_add_f64 v[124:125], v[124:125], v[132:133]
	v_add_f64 v[117:118], v[117:118], v[128:129]
	s_waitcnt vmcnt(23) lgkmcnt(1)
	v_mul_f64 v[132:133], v[7:8], v[152:153]
	v_mul_f64 v[128:129], v[5:6], v[152:153]
	s_waitcnt vmcnt(21)
	v_fma_f64 v[134:135], v[120:121], v[144:145], -v[134:135]
	v_fma_f64 v[126:127], v[122:123], v[144:145], v[126:127]
	ds_read_b128 v[120:123], v119 offset:1680
	v_add_f64 v[124:125], v[124:125], v[136:137]
	v_add_f64 v[117:118], v[117:118], v[130:131]
	s_waitcnt vmcnt(17) lgkmcnt(1)
	v_mul_f64 v[136:137], v[3:4], v[142:143]
	s_waitcnt vmcnt(16)
	v_fma_f64 v[132:133], v[5:6], v[156:157], -v[132:133]
	v_mul_f64 v[130:131], v[1:2], v[142:143]
	v_fma_f64 v[128:129], v[7:8], v[156:157], v[128:129]
	ds_read_b128 v[5:8], v119 offset:1696
	v_add_f64 v[124:125], v[124:125], v[134:135]
	v_add_f64 v[117:118], v[117:118], v[126:127]
	s_waitcnt vmcnt(15) lgkmcnt(1)
	v_mul_f64 v[134:135], v[122:123], v[160:161]
	v_mul_f64 v[126:127], v[120:121], v[160:161]
	s_waitcnt vmcnt(13)
	v_fma_f64 v[136:137], v[1:2], v[146:147], -v[136:137]
	v_fma_f64 v[130:131], v[3:4], v[146:147], v[130:131]
	ds_read_b128 v[1:4], v119 offset:1712
	v_add_f64 v[124:125], v[124:125], v[132:133]
	v_add_f64 v[117:118], v[117:118], v[128:129]
	s_waitcnt vmcnt(9) lgkmcnt(1)
	v_mul_f64 v[132:133], v[7:8], v[150:151]
	s_waitcnt vmcnt(8)
	v_fma_f64 v[120:121], v[120:121], v[164:165], -v[134:135]
	v_mul_f64 v[128:129], v[5:6], v[150:151]
	v_fma_f64 v[122:123], v[122:123], v[164:165], v[126:127]
	v_add_f64 v[124:125], v[124:125], v[136:137]
	v_add_f64 v[117:118], v[117:118], v[130:131]
	s_waitcnt vmcnt(7) lgkmcnt(0)
	v_mul_f64 v[130:131], v[3:4], v[168:169]
	v_mul_f64 v[126:127], v[1:2], v[168:169]
	s_waitcnt vmcnt(5)
	v_fma_f64 v[5:6], v[5:6], v[154:155], -v[132:133]
	v_fma_f64 v[7:8], v[7:8], v[154:155], v[128:129]
	v_add_f64 v[120:121], v[124:125], v[120:121]
	v_add_f64 v[117:118], v[117:118], v[122:123]
	s_waitcnt vmcnt(4)
	v_fma_f64 v[1:2], v[1:2], v[172:173], -v[130:131]
	v_fma_f64 v[3:4], v[3:4], v[172:173], v[126:127]
	v_add_f64 v[5:6], v[120:121], v[5:6]
	v_add_f64 v[7:8], v[117:118], v[7:8]
	v_add_f64 v[1:2], v[5:6], v[1:2]
	v_add_f64 v[3:4], v[7:8], v[3:4]
	s_waitcnt vmcnt(2)
	v_add_f64 v[1:2], v[158:159], -v[1:2]
	s_waitcnt vmcnt(0)
	v_add_f64 v[3:4], v[166:167], -v[3:4]
	buffer_store_dword v2, off, s[0:3], 0 offset:404
	buffer_store_dword v1, off, s[0:3], 0 offset:400
	;; [unrolled: 1-line block ×4, first 2 shown]
	v_cmpx_lt_u32_e32 23, v0
	s_cbranch_execz .LBB117_291
; %bb.290:
	v_mov_b32_e32 v4, s43
	s_clause 0x3
	buffer_load_dword v1, v4, s[0:3], 0 offen
	buffer_load_dword v2, v4, s[0:3], 0 offen offset:4
	buffer_load_dword v3, v4, s[0:3], 0 offen offset:8
	;; [unrolled: 1-line block ×3, first 2 shown]
	buffer_store_dword v119, off, s[0:3], 0 offset:384
	buffer_store_dword v119, off, s[0:3], 0 offset:388
	;; [unrolled: 1-line block ×4, first 2 shown]
	s_waitcnt vmcnt(0)
	ds_write_b128 v177, v[1:4]
.LBB117_291:
	s_or_b32 exec_lo, exec_lo, s4
	s_waitcnt lgkmcnt(0)
	s_waitcnt_vscnt null, 0x0
	s_barrier
	buffer_gl0_inv
	s_clause 0x37
	buffer_load_dword v117, off, s[0:3], 0 offset:408
	buffer_load_dword v118, off, s[0:3], 0 offset:412
	;; [unrolled: 1-line block ×56, first 2 shown]
	ds_read_b128 v[120:123], v119 offset:1248
	s_clause 0x2
	buffer_load_dword v179, off, s[0:3], 0 offset:636
	buffer_load_dword v183, off, s[0:3], 0 offset:612
	;; [unrolled: 1-line block ×3, first 2 shown]
	ds_read_b128 v[124:127], v119 offset:1264
	s_clause 0x4
	buffer_load_dword v187, off, s[0:3], 0 offset:652
	buffer_load_dword v188, off, s[0:3], 0 offset:664
	;; [unrolled: 1-line block ×5, first 2 shown]
	ds_read_b128 v[128:131], v119 offset:1280
	s_clause 0x2
	buffer_load_dword v189, off, s[0:3], 0 offset:668
	buffer_load_dword v194, off, s[0:3], 0 offset:644
	;; [unrolled: 1-line block ×3, first 2 shown]
	s_mov_b32 s4, exec_lo
	s_waitcnt vmcnt(62) lgkmcnt(2)
	v_mul_f64 v[184:185], v[122:123], v[117:118]
	v_mul_f64 v[117:118], v[120:121], v[117:118]
	s_waitcnt lgkmcnt(1)
	v_mul_f64 v[191:192], v[126:127], v[5:6]
	s_waitcnt vmcnt(59) lgkmcnt(0)
	v_mul_f64 v[195:196], v[130:131], v[3:4]
	v_fma_f64 v[120:121], v[120:121], v[7:8], -v[184:185]
	v_mul_f64 v[184:185], v[124:125], v[5:6]
	v_fma_f64 v[117:118], v[122:123], v[7:8], v[117:118]
	s_waitcnt vmcnt(57)
	v_fma_f64 v[124:125], v[124:125], v[1:2], -v[191:192]
	ds_read_b128 v[5:8], v119 offset:1296
	v_mul_f64 v[122:123], v[128:129], v[3:4]
	s_waitcnt vmcnt(51)
	v_fma_f64 v[128:129], v[128:129], v[138:139], -v[195:196]
	v_add_f64 v[120:121], v[120:121], 0
	v_fma_f64 v[126:127], v[126:127], v[1:2], v[184:185]
	v_add_f64 v[117:118], v[117:118], 0
	s_clause 0x4
	buffer_load_dword v185, off, s[0:3], 0 offset:684
	buffer_load_dword v197, off, s[0:3], 0 offset:696
	;; [unrolled: 1-line block ×5, first 2 shown]
	s_waitcnt lgkmcnt(0)
	v_mul_f64 v[200:201], v[5:6], v[132:133]
	v_mul_f64 v[132:133], v[7:8], v[132:133]
	ds_read_b128 v[1:4], v119 offset:1312
	v_fma_f64 v[130:131], v[130:131], v[138:139], v[122:123]
	v_add_f64 v[124:125], v[120:121], v[124:125]
	v_add_f64 v[117:118], v[117:118], v[126:127]
	s_clause 0x2
	buffer_load_dword v198, off, s[0:3], 0 offset:700
	buffer_load_dword v127, off, s[0:3], 0 offset:676
	;; [unrolled: 1-line block ×3, first 2 shown]
	s_waitcnt vmcnt(58) lgkmcnt(0)
	v_mul_f64 v[138:139], v[1:2], v[134:135]
	v_mul_f64 v[134:135], v[3:4], v[134:135]
	s_waitcnt vmcnt(56)
	v_fma_f64 v[132:133], v[5:6], v[140:141], -v[132:133]
	ds_read_b128 v[120:123], v119 offset:1328
	v_add_f64 v[124:125], v[124:125], v[128:129]
	v_fma_f64 v[128:129], v[7:8], v[140:141], v[200:201]
	v_add_f64 v[117:118], v[117:118], v[130:131]
	s_clause 0x4
	buffer_load_dword v131, off, s[0:3], 0 offset:716
	buffer_load_dword v140, off, s[0:3], 0 offset:728
	;; [unrolled: 1-line block ×5, first 2 shown]
	ds_read_b128 v[5:8], v119 offset:1344
	s_waitcnt vmcnt(57) lgkmcnt(1)
	v_mul_f64 v[201:202], v[120:121], v[142:143]
	v_mul_f64 v[142:143], v[122:123], v[142:143]
	s_waitcnt vmcnt(56)
	v_fma_f64 v[134:135], v[1:2], v[136:137], -v[134:135]
	v_add_f64 v[124:125], v[124:125], v[132:133]
	v_fma_f64 v[132:133], v[3:4], v[136:137], v[138:139]
	v_add_f64 v[117:118], v[117:118], v[128:129]
	s_clause 0x2
	buffer_load_dword v141, off, s[0:3], 0 offset:732
	buffer_load_dword v129, off, s[0:3], 0 offset:708
	;; [unrolled: 1-line block ×3, first 2 shown]
	s_waitcnt vmcnt(58) lgkmcnt(0)
	v_mul_f64 v[138:139], v[7:8], v[144:145]
	ds_read_b128 v[1:4], v119 offset:1360
	s_waitcnt vmcnt(56)
	v_fma_f64 v[142:143], v[120:121], v[148:149], -v[142:143]
	v_mul_f64 v[136:137], v[5:6], v[144:145]
	v_add_f64 v[124:125], v[124:125], v[134:135]
	v_fma_f64 v[134:135], v[122:123], v[148:149], v[201:202]
	v_add_f64 v[117:118], v[117:118], v[132:133]
	s_clause 0x4
	buffer_load_dword v133, off, s[0:3], 0 offset:748
	buffer_load_dword v144, off, s[0:3], 0 offset:760
	buffer_load_dword v148, off, s[0:3], 0 offset:752
	buffer_load_dword v132, off, s[0:3], 0 offset:744
	buffer_load_dword v196, off, s[0:3], 0 offset:724
	s_waitcnt vmcnt(57) lgkmcnt(0)
	v_mul_f64 v[201:202], v[1:2], v[150:151]
	v_mul_f64 v[149:150], v[3:4], v[150:151]
	s_waitcnt vmcnt(56)
	v_fma_f64 v[138:139], v[5:6], v[146:147], -v[138:139]
	ds_read_b128 v[120:123], v119 offset:1376
	v_fma_f64 v[136:137], v[7:8], v[146:147], v[136:137]
	v_add_f64 v[124:125], v[124:125], v[142:143]
	v_add_f64 v[117:118], v[117:118], v[134:135]
	s_clause 0x2
	buffer_load_dword v145, off, s[0:3], 0 offset:764
	buffer_load_dword v135, off, s[0:3], 0 offset:740
	buffer_load_dword v134, off, s[0:3], 0 offset:736
	ds_read_b128 v[5:8], v119 offset:1392
	s_waitcnt vmcnt(58) lgkmcnt(1)
	v_mul_f64 v[146:147], v[122:123], v[152:153]
	s_waitcnt vmcnt(56)
	v_fma_f64 v[150:151], v[1:2], v[156:157], -v[149:150]
	v_mul_f64 v[142:143], v[120:121], v[152:153]
	v_add_f64 v[124:125], v[124:125], v[138:139]
	v_fma_f64 v[138:139], v[3:4], v[156:157], v[201:202]
	v_add_f64 v[117:118], v[117:118], v[136:137]
	s_clause 0x4
	buffer_load_dword v137, off, s[0:3], 0 offset:780
	buffer_load_dword v152, off, s[0:3], 0 offset:792
	buffer_load_dword v156, off, s[0:3], 0 offset:784
	buffer_load_dword v136, off, s[0:3], 0 offset:776
	buffer_load_dword v149, off, s[0:3], 0 offset:756
	s_waitcnt vmcnt(57) lgkmcnt(0)
	v_mul_f64 v[201:202], v[5:6], v[158:159]
	v_mul_f64 v[157:158], v[7:8], v[158:159]
	s_waitcnt vmcnt(56)
	v_fma_f64 v[146:147], v[120:121], v[154:155], -v[146:147]
	ds_read_b128 v[1:4], v119 offset:1408
	v_fma_f64 v[142:143], v[122:123], v[154:155], v[142:143]
	v_add_f64 v[124:125], v[124:125], v[150:151]
	v_add_f64 v[117:118], v[117:118], v[138:139]
	s_clause 0x2
	buffer_load_dword v153, off, s[0:3], 0 offset:796
	buffer_load_dword v139, off, s[0:3], 0 offset:772
	buffer_load_dword v138, off, s[0:3], 0 offset:768
	ds_read_b128 v[120:123], v119 offset:1424
	s_waitcnt vmcnt(58) lgkmcnt(1)
	v_mul_f64 v[154:155], v[3:4], v[160:161]
	;; [unrolled: 28-line block ×4, first 2 shown]
	s_waitcnt vmcnt(56)
	v_fma_f64 v[174:175], v[1:2], v[182:183], -v[173:174]
	v_mul_f64 v[166:167], v[120:121], v[178:179]
	v_add_f64 v[124:125], v[124:125], v[162:163]
	v_fma_f64 v[162:163], v[3:4], v[182:183], v[201:202]
	v_add_f64 v[117:118], v[117:118], v[158:159]
	s_clause 0x2
	buffer_load_dword v159, off, s[0:3], 0 offset:876
	buffer_load_dword v158, off, s[0:3], 0 offset:872
	;; [unrolled: 1-line block ×3, first 2 shown]
	s_waitcnt vmcnt(55) lgkmcnt(0)
	v_mul_f64 v[182:183], v[7:8], v[186:187]
	s_waitcnt vmcnt(54)
	v_fma_f64 v[170:171], v[120:121], v[180:181], -v[170:171]
	ds_read_b128 v[1:4], v119 offset:1504
	v_mul_f64 v[178:179], v[5:6], v[186:187]
	v_fma_f64 v[166:167], v[122:123], v[180:181], v[166:167]
	v_add_f64 v[124:125], v[124:125], v[174:175]
	v_add_f64 v[117:118], v[117:118], v[162:163]
	s_clause 0x1
	buffer_load_dword v163, off, s[0:3], 0 offset:868
	buffer_load_dword v162, off, s[0:3], 0 offset:864
	s_waitcnt vmcnt(55) lgkmcnt(0)
	v_mul_f64 v[180:181], v[3:4], v[188:189]
	s_waitcnt vmcnt(53)
	v_fma_f64 v[182:183], v[5:6], v[193:194], -v[182:183]
	ds_read_b128 v[120:123], v119 offset:1520
	v_mul_f64 v[174:175], v[1:2], v[188:189]
	v_add_f64 v[124:125], v[124:125], v[170:171]
	v_fma_f64 v[170:171], v[7:8], v[193:194], v[178:179]
	v_add_f64 v[117:118], v[117:118], v[166:167]
	ds_read_b128 v[5:8], v119 offset:1536
	s_waitcnt vmcnt(49) lgkmcnt(1)
	v_mul_f64 v[178:179], v[122:123], v[184:185]
	s_waitcnt vmcnt(48)
	v_fma_f64 v[180:181], v[1:2], v[190:191], -v[180:181]
	v_mul_f64 v[166:167], v[120:121], v[184:185]
	v_fma_f64 v[174:175], v[3:4], v[190:191], v[174:175]
	v_add_f64 v[124:125], v[124:125], v[182:183]
	v_add_f64 v[117:118], v[117:118], v[170:171]
	s_clause 0x3
	buffer_load_dword v170, off, s[0:3], 0 offset:384
	buffer_load_dword v171, off, s[0:3], 0 offset:388
	;; [unrolled: 1-line block ×4, first 2 shown]
	ds_read_b128 v[1:4], v119 offset:1552
	s_waitcnt vmcnt(51) lgkmcnt(1)
	v_mul_f64 v[186:187], v[7:8], v[197:198]
	v_mul_f64 v[184:185], v[5:6], v[197:198]
	s_waitcnt vmcnt(49)
	v_fma_f64 v[178:179], v[120:121], v[126:127], -v[178:179]
	v_fma_f64 v[126:127], v[122:123], v[126:127], v[166:167]
	ds_read_b128 v[120:123], v119 offset:1568
	v_add_f64 v[124:125], v[124:125], v[180:181]
	v_add_f64 v[117:118], v[117:118], v[174:175]
	s_waitcnt vmcnt(45) lgkmcnt(1)
	v_mul_f64 v[166:167], v[1:2], v[130:131]
	v_mul_f64 v[130:131], v[3:4], v[130:131]
	s_waitcnt vmcnt(44)
	v_fma_f64 v[174:175], v[5:6], v[199:200], -v[186:187]
	v_add_f64 v[124:125], v[124:125], v[178:179]
	v_fma_f64 v[178:179], v[7:8], v[199:200], v[184:185]
	v_add_f64 v[117:118], v[117:118], v[126:127]
	ds_read_b128 v[5:8], v119 offset:1584
	s_waitcnt vmcnt(43) lgkmcnt(1)
	v_mul_f64 v[126:127], v[120:121], v[140:141]
	v_mul_f64 v[140:141], v[122:123], v[140:141]
	s_waitcnt vmcnt(41)
	v_fma_f64 v[130:131], v[1:2], v[128:129], -v[130:131]
	v_fma_f64 v[128:129], v[3:4], v[128:129], v[166:167]
	ds_read_b128 v[1:4], v119 offset:1600
	v_add_f64 v[124:125], v[124:125], v[174:175]
	v_add_f64 v[117:118], v[117:118], v[178:179]
	s_waitcnt vmcnt(37) lgkmcnt(1)
	v_mul_f64 v[166:167], v[5:6], v[132:133]
	v_mul_f64 v[132:133], v[7:8], v[132:133]
	s_waitcnt vmcnt(36)
	v_fma_f64 v[140:141], v[120:121], v[195:196], -v[140:141]
	v_fma_f64 v[126:127], v[122:123], v[195:196], v[126:127]
	ds_read_b128 v[120:123], v119 offset:1616
	v_add_f64 v[124:125], v[124:125], v[130:131]
	v_add_f64 v[117:118], v[117:118], v[128:129]
	;; [unrolled: 9-line block ×5, first 2 shown]
	s_waitcnt vmcnt(21) lgkmcnt(1)
	v_mul_f64 v[130:131], v[3:4], v[142:143]
	s_waitcnt vmcnt(20)
	v_fma_f64 v[134:135], v[5:6], v[156:157], -v[134:135]
	v_mul_f64 v[128:129], v[1:2], v[142:143]
	v_fma_f64 v[132:133], v[7:8], v[156:157], v[132:133]
	ds_read_b128 v[5:8], v119 offset:1680
	v_add_f64 v[124:125], v[124:125], v[136:137]
	v_add_f64 v[117:118], v[117:118], v[126:127]
	s_waitcnt vmcnt(19) lgkmcnt(1)
	v_mul_f64 v[136:137], v[122:123], v[160:161]
	v_mul_f64 v[126:127], v[120:121], v[160:161]
	s_waitcnt vmcnt(17)
	v_fma_f64 v[130:131], v[1:2], v[146:147], -v[130:131]
	v_fma_f64 v[128:129], v[3:4], v[146:147], v[128:129]
	ds_read_b128 v[1:4], v119 offset:1696
	v_add_f64 v[124:125], v[124:125], v[134:135]
	v_add_f64 v[117:118], v[117:118], v[132:133]
	s_waitcnt vmcnt(13) lgkmcnt(1)
	v_mul_f64 v[134:135], v[7:8], v[150:151]
	s_waitcnt vmcnt(12)
	v_fma_f64 v[136:137], v[120:121], v[164:165], -v[136:137]
	v_mul_f64 v[132:133], v[5:6], v[150:151]
	v_fma_f64 v[121:122], v[122:123], v[164:165], v[126:127]
	v_add_f64 v[124:125], v[124:125], v[130:131]
	v_add_f64 v[126:127], v[117:118], v[128:129]
	ds_read_b128 v[117:120], v119 offset:1712
	s_waitcnt vmcnt(11) lgkmcnt(1)
	v_mul_f64 v[130:131], v[3:4], v[168:169]
	v_mul_f64 v[128:129], v[1:2], v[168:169]
	s_waitcnt vmcnt(9)
	v_fma_f64 v[5:6], v[5:6], v[154:155], -v[134:135]
	v_fma_f64 v[7:8], v[7:8], v[154:155], v[132:133]
	v_add_f64 v[123:124], v[124:125], v[136:137]
	v_add_f64 v[121:122], v[126:127], v[121:122]
	s_waitcnt vmcnt(7) lgkmcnt(0)
	v_mul_f64 v[132:133], v[119:120], v[158:159]
	s_waitcnt vmcnt(6)
	v_fma_f64 v[1:2], v[1:2], v[172:173], -v[130:131]
	v_mul_f64 v[125:126], v[117:118], v[158:159]
	v_fma_f64 v[3:4], v[3:4], v[172:173], v[128:129]
	v_add_f64 v[5:6], v[123:124], v[5:6]
	v_add_f64 v[7:8], v[121:122], v[7:8]
	s_waitcnt vmcnt(4)
	v_fma_f64 v[117:118], v[117:118], v[162:163], -v[132:133]
	v_add_f64 v[1:2], v[5:6], v[1:2]
	v_fma_f64 v[5:6], v[119:120], v[162:163], v[125:126]
	v_add_f64 v[3:4], v[7:8], v[3:4]
	v_add_f64 v[1:2], v[1:2], v[117:118]
	;; [unrolled: 1-line block ×3, first 2 shown]
	s_waitcnt vmcnt(2)
	v_add_f64 v[1:2], v[170:171], -v[1:2]
	s_waitcnt vmcnt(0)
	v_add_f64 v[3:4], v[182:183], -v[3:4]
	buffer_store_dword v2, off, s[0:3], 0 offset:388
	buffer_store_dword v1, off, s[0:3], 0 offset:384
	;; [unrolled: 1-line block ×4, first 2 shown]
	v_cmpx_lt_u32_e32 22, v0
	s_cbranch_execz .LBB117_293
; %bb.292:
	v_mov_b32_e32 v4, s44
	v_mov_b32_e32 v5, 0
	s_clause 0x3
	buffer_load_dword v1, v4, s[0:3], 0 offen
	buffer_load_dword v2, v4, s[0:3], 0 offen offset:4
	buffer_load_dword v3, v4, s[0:3], 0 offen offset:8
	;; [unrolled: 1-line block ×3, first 2 shown]
	buffer_store_dword v5, off, s[0:3], 0 offset:368
	buffer_store_dword v5, off, s[0:3], 0 offset:372
	buffer_store_dword v5, off, s[0:3], 0 offset:376
	buffer_store_dword v5, off, s[0:3], 0 offset:380
	s_waitcnt vmcnt(0)
	ds_write_b128 v177, v[1:4]
.LBB117_293:
	s_or_b32 exec_lo, exec_lo, s4
	s_waitcnt lgkmcnt(0)
	s_waitcnt_vscnt null, 0x0
	s_barrier
	buffer_gl0_inv
	s_clause 0x37
	buffer_load_dword v117, off, s[0:3], 0 offset:392
	buffer_load_dword v118, off, s[0:3], 0 offset:396
	;; [unrolled: 1-line block ×56, first 2 shown]
	v_mov_b32_e32 v137, 0
	s_mov_b32 s4, exec_lo
	ds_read_b128 v[125:128], v137 offset:1232
	s_clause 0x2
	buffer_load_dword v179, off, s[0:3], 0 offset:620
	buffer_load_dword v183, off, s[0:3], 0 offset:596
	;; [unrolled: 1-line block ×3, first 2 shown]
	ds_read_b128 v[129:132], v137 offset:1248
	s_clause 0x4
	buffer_load_dword v187, off, s[0:3], 0 offset:636
	buffer_load_dword v188, off, s[0:3], 0 offset:648
	buffer_load_dword v190, off, s[0:3], 0 offset:640
	buffer_load_dword v186, off, s[0:3], 0 offset:632
	buffer_load_dword v181, off, s[0:3], 0 offset:612
	ds_read_b128 v[133:136], v137 offset:1264
	s_clause 0x2
	buffer_load_dword v189, off, s[0:3], 0 offset:652
	buffer_load_dword v194, off, s[0:3], 0 offset:628
	buffer_load_dword v193, off, s[0:3], 0 offset:624
	s_waitcnt vmcnt(62) lgkmcnt(2)
	v_mul_f64 v[184:185], v[127:128], v[117:118]
	v_mul_f64 v[117:118], v[125:126], v[117:118]
	s_waitcnt lgkmcnt(1)
	v_mul_f64 v[191:192], v[131:132], v[5:6]
	s_waitcnt vmcnt(59) lgkmcnt(0)
	v_mul_f64 v[195:196], v[135:136], v[3:4]
	v_fma_f64 v[125:126], v[125:126], v[7:8], -v[184:185]
	v_mul_f64 v[184:185], v[129:130], v[5:6]
	v_fma_f64 v[117:118], v[127:128], v[7:8], v[117:118]
	s_waitcnt vmcnt(57)
	v_fma_f64 v[129:130], v[129:130], v[1:2], -v[191:192]
	ds_read_b128 v[5:8], v137 offset:1280
	v_mul_f64 v[127:128], v[133:134], v[3:4]
	s_waitcnt vmcnt(51)
	v_fma_f64 v[133:134], v[133:134], v[140:141], -v[195:196]
	v_add_f64 v[125:126], v[125:126], 0
	v_fma_f64 v[131:132], v[131:132], v[1:2], v[184:185]
	v_add_f64 v[117:118], v[117:118], 0
	s_clause 0x4
	buffer_load_dword v185, off, s[0:3], 0 offset:668
	buffer_load_dword v197, off, s[0:3], 0 offset:680
	;; [unrolled: 1-line block ×5, first 2 shown]
	s_waitcnt lgkmcnt(0)
	v_mul_f64 v[200:201], v[5:6], v[121:122]
	v_mul_f64 v[121:122], v[7:8], v[121:122]
	ds_read_b128 v[1:4], v137 offset:1296
	v_fma_f64 v[135:136], v[135:136], v[140:141], v[127:128]
	v_add_f64 v[129:130], v[125:126], v[129:130]
	v_add_f64 v[117:118], v[117:118], v[131:132]
	s_clause 0x2
	buffer_load_dword v198, off, s[0:3], 0 offset:684
	buffer_load_dword v132, off, s[0:3], 0 offset:660
	;; [unrolled: 1-line block ×3, first 2 shown]
	s_waitcnt vmcnt(58) lgkmcnt(0)
	v_mul_f64 v[140:141], v[1:2], v[138:139]
	v_mul_f64 v[138:139], v[3:4], v[138:139]
	s_waitcnt vmcnt(56)
	v_fma_f64 v[121:122], v[5:6], v[142:143], -v[121:122]
	ds_read_b128 v[125:128], v137 offset:1312
	v_add_f64 v[129:130], v[129:130], v[133:134]
	v_fma_f64 v[133:134], v[7:8], v[142:143], v[200:201]
	v_add_f64 v[117:118], v[117:118], v[135:136]
	s_clause 0x4
	buffer_load_dword v136, off, s[0:3], 0 offset:700
	buffer_load_dword v142, off, s[0:3], 0 offset:712
	;; [unrolled: 1-line block ×5, first 2 shown]
	ds_read_b128 v[5:8], v137 offset:1328
	s_waitcnt vmcnt(57) lgkmcnt(1)
	v_mul_f64 v[201:202], v[125:126], v[144:145]
	v_mul_f64 v[144:145], v[127:128], v[144:145]
	s_waitcnt vmcnt(56)
	v_fma_f64 v[138:139], v[1:2], v[119:120], -v[138:139]
	v_fma_f64 v[119:120], v[3:4], v[119:120], v[140:141]
	v_add_f64 v[121:122], v[129:130], v[121:122]
	s_clause 0x2
	buffer_load_dword v143, off, s[0:3], 0 offset:716
	buffer_load_dword v130, off, s[0:3], 0 offset:692
	;; [unrolled: 1-line block ×3, first 2 shown]
	v_add_f64 v[117:118], v[117:118], v[133:134]
	s_waitcnt vmcnt(58) lgkmcnt(0)
	v_mul_f64 v[140:141], v[7:8], v[146:147]
	ds_read_b128 v[1:4], v137 offset:1344
	v_mul_f64 v[133:134], v[5:6], v[146:147]
	s_waitcnt vmcnt(56)
	v_fma_f64 v[125:126], v[125:126], v[148:149], -v[144:145]
	v_fma_f64 v[127:128], v[127:128], v[148:149], v[201:202]
	s_clause 0x4
	buffer_load_dword v145, off, s[0:3], 0 offset:732
	buffer_load_dword v146, off, s[0:3], 0 offset:744
	;; [unrolled: 1-line block ×5, first 2 shown]
	v_add_f64 v[121:122], v[121:122], v[138:139]
	v_add_f64 v[138:139], v[117:118], v[119:120]
	s_waitcnt vmcnt(57) lgkmcnt(0)
	v_mul_f64 v[201:202], v[1:2], v[150:151]
	v_mul_f64 v[149:150], v[3:4], v[150:151]
	s_waitcnt vmcnt(56)
	v_fma_f64 v[140:141], v[5:6], v[123:124], -v[140:141]
	ds_read_b128 v[117:120], v137 offset:1360
	v_fma_f64 v[123:124], v[7:8], v[123:124], v[133:134]
	v_add_f64 v[121:122], v[121:122], v[125:126]
	v_add_f64 v[125:126], v[138:139], v[127:128]
	s_clause 0x2
	buffer_load_dword v147, off, s[0:3], 0 offset:748
	buffer_load_dword v128, off, s[0:3], 0 offset:724
	;; [unrolled: 1-line block ×3, first 2 shown]
	s_waitcnt vmcnt(58) lgkmcnt(0)
	v_mul_f64 v[138:139], v[119:120], v[152:153]
	s_waitcnt vmcnt(56)
	v_fma_f64 v[150:151], v[1:2], v[156:157], -v[149:150]
	ds_read_b128 v[5:8], v137 offset:1376
	v_mul_f64 v[133:134], v[117:118], v[152:153]
	v_add_f64 v[121:122], v[121:122], v[140:141]
	v_fma_f64 v[140:141], v[3:4], v[156:157], v[201:202]
	v_add_f64 v[123:124], v[125:126], v[123:124]
	s_clause 0x4
	buffer_load_dword v126, off, s[0:3], 0 offset:764
	buffer_load_dword v152, off, s[0:3], 0 offset:776
	buffer_load_dword v156, off, s[0:3], 0 offset:768
	buffer_load_dword v125, off, s[0:3], 0 offset:760
	buffer_load_dword v149, off, s[0:3], 0 offset:740
	s_waitcnt vmcnt(57) lgkmcnt(0)
	v_mul_f64 v[201:202], v[5:6], v[158:159]
	v_mul_f64 v[157:158], v[7:8], v[158:159]
	s_waitcnt vmcnt(56)
	v_fma_f64 v[138:139], v[117:118], v[154:155], -v[138:139]
	ds_read_b128 v[1:4], v137 offset:1392
	v_fma_f64 v[133:134], v[119:120], v[154:155], v[133:134]
	v_add_f64 v[121:122], v[121:122], v[150:151]
	v_add_f64 v[123:124], v[123:124], v[140:141]
	s_clause 0x2
	buffer_load_dword v153, off, s[0:3], 0 offset:780
	buffer_load_dword v141, off, s[0:3], 0 offset:756
	buffer_load_dword v140, off, s[0:3], 0 offset:752
	ds_read_b128 v[117:120], v137 offset:1408
	s_waitcnt vmcnt(58) lgkmcnt(1)
	v_mul_f64 v[154:155], v[3:4], v[160:161]
	s_waitcnt vmcnt(56)
	v_fma_f64 v[158:159], v[5:6], v[164:165], -v[157:158]
	v_mul_f64 v[150:151], v[1:2], v[160:161]
	v_add_f64 v[121:122], v[121:122], v[138:139]
	v_fma_f64 v[138:139], v[7:8], v[164:165], v[201:202]
	v_add_f64 v[123:124], v[123:124], v[133:134]
	s_clause 0x4
	buffer_load_dword v134, off, s[0:3], 0 offset:796
	buffer_load_dword v160, off, s[0:3], 0 offset:808
	buffer_load_dword v164, off, s[0:3], 0 offset:800
	buffer_load_dword v133, off, s[0:3], 0 offset:792
	buffer_load_dword v157, off, s[0:3], 0 offset:772
	s_waitcnt vmcnt(57) lgkmcnt(0)
	v_mul_f64 v[201:202], v[117:118], v[166:167]
	v_mul_f64 v[165:166], v[119:120], v[166:167]
	s_waitcnt vmcnt(56)
	v_fma_f64 v[154:155], v[1:2], v[162:163], -v[154:155]
	ds_read_b128 v[5:8], v137 offset:1424
	v_fma_f64 v[150:151], v[3:4], v[162:163], v[150:151]
	v_add_f64 v[121:122], v[121:122], v[158:159]
	v_add_f64 v[123:124], v[123:124], v[138:139]
	s_clause 0x2
	buffer_load_dword v161, off, s[0:3], 0 offset:812
	buffer_load_dword v139, off, s[0:3], 0 offset:788
	buffer_load_dword v138, off, s[0:3], 0 offset:784
	ds_read_b128 v[1:4], v137 offset:1440
	s_waitcnt vmcnt(58) lgkmcnt(1)
	v_mul_f64 v[162:163], v[7:8], v[168:169]
	s_waitcnt vmcnt(56)
	v_fma_f64 v[166:167], v[117:118], v[172:173], -v[165:166]
	;; [unrolled: 28-line block ×4, first 2 shown]
	v_mul_f64 v[174:175], v[1:2], v[188:189]
	buffer_load_dword v183, off, s[0:3], 0 offset:868
	v_add_f64 v[121:122], v[121:122], v[170:171]
	v_fma_f64 v[170:171], v[7:8], v[193:194], v[201:202]
	v_add_f64 v[123:124], v[123:124], v[166:167]
	ds_read_b128 v[5:8], v137 offset:1520
	s_waitcnt vmcnt(53) lgkmcnt(1)
	v_mul_f64 v[166:167], v[117:118], v[184:185]
	v_mul_f64 v[184:185], v[119:120], v[184:185]
	s_waitcnt vmcnt(52)
	v_fma_f64 v[180:181], v[1:2], v[190:191], -v[180:181]
	v_fma_f64 v[174:175], v[3:4], v[190:191], v[174:175]
	ds_read_b128 v[1:4], v137 offset:1536
	v_add_f64 v[121:122], v[121:122], v[186:187]
	v_add_f64 v[123:124], v[123:124], v[170:171]
	s_waitcnt vmcnt(51) lgkmcnt(1)
	v_mul_f64 v[186:187], v[7:8], v[197:198]
	v_mul_f64 v[170:171], v[5:6], v[197:198]
	s_waitcnt vmcnt(49)
	v_fma_f64 v[184:185], v[117:118], v[131:132], -v[184:185]
	v_fma_f64 v[131:132], v[119:120], v[131:132], v[166:167]
	v_add_f64 v[121:122], v[121:122], v[180:181]
	v_add_f64 v[123:124], v[123:124], v[174:175]
	s_clause 0x3
	buffer_load_dword v166, off, s[0:3], 0 offset:368
	buffer_load_dword v167, off, s[0:3], 0 offset:372
	buffer_load_dword v174, off, s[0:3], 0 offset:376
	buffer_load_dword v175, off, s[0:3], 0 offset:380
	ds_read_b128 v[117:120], v137 offset:1552
	s_waitcnt vmcnt(49) lgkmcnt(1)
	v_mul_f64 v[180:181], v[1:2], v[135:136]
	v_mul_f64 v[135:136], v[3:4], v[135:136]
	s_waitcnt vmcnt(48)
	v_fma_f64 v[186:187], v[5:6], v[199:200], -v[186:187]
	v_fma_f64 v[170:171], v[7:8], v[199:200], v[170:171]
	ds_read_b128 v[5:8], v137 offset:1568
	v_add_f64 v[121:122], v[121:122], v[184:185]
	v_add_f64 v[123:124], v[123:124], v[131:132]
	s_waitcnt vmcnt(47) lgkmcnt(1)
	v_mul_f64 v[131:132], v[117:118], v[142:143]
	v_mul_f64 v[142:143], v[119:120], v[142:143]
	s_waitcnt vmcnt(45)
	v_fma_f64 v[135:136], v[1:2], v[129:130], -v[135:136]
	v_fma_f64 v[129:130], v[3:4], v[129:130], v[180:181]
	ds_read_b128 v[1:4], v137 offset:1584
	v_add_f64 v[121:122], v[121:122], v[186:187]
	v_add_f64 v[123:124], v[123:124], v[170:171]
	s_waitcnt vmcnt(41) lgkmcnt(1)
	v_mul_f64 v[170:171], v[5:6], v[144:145]
	v_mul_f64 v[144:145], v[7:8], v[144:145]
	s_waitcnt vmcnt(40)
	v_fma_f64 v[131:132], v[119:120], v[195:196], v[131:132]
	v_fma_f64 v[142:143], v[117:118], v[195:196], -v[142:143]
	ds_read_b128 v[117:120], v137 offset:1600
	v_add_f64 v[121:122], v[121:122], v[135:136]
	v_add_f64 v[123:124], v[123:124], v[129:130]
	s_waitcnt vmcnt(39) lgkmcnt(1)
	v_mul_f64 v[135:136], v[3:4], v[146:147]
	v_mul_f64 v[129:130], v[1:2], v[146:147]
	s_waitcnt vmcnt(37)
	v_fma_f64 v[144:145], v[5:6], v[127:128], -v[144:145]
	v_fma_f64 v[127:128], v[7:8], v[127:128], v[170:171]
	ds_read_b128 v[5:8], v137 offset:1616
	v_add_f64 v[121:122], v[121:122], v[142:143]
	v_add_f64 v[123:124], v[123:124], v[131:132]
	s_waitcnt vmcnt(33) lgkmcnt(1)
	v_mul_f64 v[131:132], v[117:118], v[125:126]
	v_mul_f64 v[125:126], v[119:120], v[125:126]
	s_waitcnt vmcnt(32)
	v_fma_f64 v[135:136], v[1:2], v[148:149], -v[135:136]
	v_fma_f64 v[129:130], v[3:4], v[148:149], v[129:130]
	;; [unrolled: 9-line block ×3, first 2 shown]
	ds_read_b128 v[117:120], v137 offset:1648
	v_add_f64 v[121:122], v[121:122], v[135:136]
	v_add_f64 v[123:124], v[123:124], v[129:130]
	s_waitcnt vmcnt(25) lgkmcnt(1)
	v_mul_f64 v[129:130], v[1:2], v[133:134]
	v_mul_f64 v[133:134], v[3:4], v[133:134]
	s_waitcnt vmcnt(24)
	v_fma_f64 v[135:136], v[5:6], v[156:157], -v[142:143]
	v_add_f64 v[121:122], v[121:122], v[125:126]
	v_fma_f64 v[125:126], v[7:8], v[156:157], v[127:128]
	v_add_f64 v[123:124], v[123:124], v[131:132]
	ds_read_b128 v[5:8], v137 offset:1664
	s_waitcnt vmcnt(23) lgkmcnt(1)
	v_mul_f64 v[131:132], v[119:120], v[160:161]
	v_mul_f64 v[127:128], v[117:118], v[160:161]
	s_waitcnt vmcnt(21)
	v_fma_f64 v[133:134], v[1:2], v[138:139], -v[133:134]
	v_fma_f64 v[129:130], v[3:4], v[138:139], v[129:130]
	ds_read_b128 v[1:4], v137 offset:1680
	v_add_f64 v[121:122], v[121:122], v[135:136]
	v_add_f64 v[123:124], v[123:124], v[125:126]
	s_waitcnt vmcnt(17) lgkmcnt(1)
	v_mul_f64 v[135:136], v[7:8], v[150:151]
	s_waitcnt vmcnt(16)
	v_fma_f64 v[131:132], v[117:118], v[164:165], -v[131:132]
	v_mul_f64 v[125:126], v[5:6], v[150:151]
	v_fma_f64 v[127:128], v[119:120], v[164:165], v[127:128]
	ds_read_b128 v[117:120], v137 offset:1696
	v_add_f64 v[121:122], v[121:122], v[133:134]
	v_add_f64 v[123:124], v[123:124], v[129:130]
	s_waitcnt vmcnt(15) lgkmcnt(1)
	v_mul_f64 v[133:134], v[3:4], v[168:169]
	v_mul_f64 v[129:130], v[1:2], v[168:169]
	s_waitcnt vmcnt(13)
	v_fma_f64 v[135:136], v[5:6], v[154:155], -v[135:136]
	v_fma_f64 v[125:126], v[7:8], v[154:155], v[125:126]
	ds_read_b128 v[5:8], v137 offset:1712
	v_add_f64 v[121:122], v[121:122], v[131:132]
	v_add_f64 v[123:124], v[123:124], v[127:128]
	s_waitcnt vmcnt(9) lgkmcnt(1)
	v_mul_f64 v[131:132], v[119:120], v[158:159]
	s_waitcnt vmcnt(8)
	v_fma_f64 v[1:2], v[1:2], v[172:173], -v[133:134]
	v_mul_f64 v[127:128], v[117:118], v[158:159]
	v_fma_f64 v[3:4], v[3:4], v[172:173], v[129:130]
	v_add_f64 v[121:122], v[121:122], v[135:136]
	v_add_f64 v[123:124], v[123:124], v[125:126]
	s_waitcnt vmcnt(7) lgkmcnt(0)
	v_mul_f64 v[129:130], v[7:8], v[178:179]
	v_mul_f64 v[125:126], v[5:6], v[178:179]
	s_waitcnt vmcnt(5)
	v_fma_f64 v[117:118], v[117:118], v[162:163], -v[131:132]
	v_fma_f64 v[119:120], v[119:120], v[162:163], v[127:128]
	v_add_f64 v[1:2], v[121:122], v[1:2]
	v_add_f64 v[3:4], v[123:124], v[3:4]
	s_waitcnt vmcnt(4)
	v_fma_f64 v[5:6], v[5:6], v[182:183], -v[129:130]
	v_fma_f64 v[7:8], v[7:8], v[182:183], v[125:126]
	v_add_f64 v[1:2], v[1:2], v[117:118]
	v_add_f64 v[3:4], v[3:4], v[119:120]
	;; [unrolled: 1-line block ×4, first 2 shown]
	s_waitcnt vmcnt(2)
	v_add_f64 v[1:2], v[166:167], -v[1:2]
	s_waitcnt vmcnt(0)
	v_add_f64 v[3:4], v[174:175], -v[3:4]
	buffer_store_dword v2, off, s[0:3], 0 offset:372
	buffer_store_dword v1, off, s[0:3], 0 offset:368
	buffer_store_dword v4, off, s[0:3], 0 offset:380
	buffer_store_dword v3, off, s[0:3], 0 offset:376
	v_cmpx_lt_u32_e32 21, v0
	s_cbranch_execz .LBB117_295
; %bb.294:
	v_mov_b32_e32 v4, s45
	s_clause 0x3
	buffer_load_dword v1, v4, s[0:3], 0 offen
	buffer_load_dword v2, v4, s[0:3], 0 offen offset:4
	buffer_load_dword v3, v4, s[0:3], 0 offen offset:8
	;; [unrolled: 1-line block ×3, first 2 shown]
	buffer_store_dword v137, off, s[0:3], 0 offset:352
	buffer_store_dword v137, off, s[0:3], 0 offset:356
	;; [unrolled: 1-line block ×4, first 2 shown]
	s_waitcnt vmcnt(0)
	ds_write_b128 v177, v[1:4]
.LBB117_295:
	s_or_b32 exec_lo, exec_lo, s4
	s_waitcnt lgkmcnt(0)
	s_waitcnt_vscnt null, 0x0
	s_barrier
	buffer_gl0_inv
	s_clause 0x37
	buffer_load_dword v117, off, s[0:3], 0 offset:376
	buffer_load_dword v118, off, s[0:3], 0 offset:380
	;; [unrolled: 1-line block ×56, first 2 shown]
	ds_read_b128 v[138:141], v137 offset:1216
	s_clause 0x2
	buffer_load_dword v179, off, s[0:3], 0 offset:604
	buffer_load_dword v183, off, s[0:3], 0 offset:580
	buffer_load_dword v182, off, s[0:3], 0 offset:576
	ds_read_b128 v[142:145], v137 offset:1232
	s_clause 0x4
	buffer_load_dword v187, off, s[0:3], 0 offset:620
	buffer_load_dword v188, off, s[0:3], 0 offset:632
	buffer_load_dword v190, off, s[0:3], 0 offset:624
	buffer_load_dword v186, off, s[0:3], 0 offset:616
	buffer_load_dword v181, off, s[0:3], 0 offset:596
	ds_read_b128 v[146:149], v137 offset:1248
	s_clause 0x2
	buffer_load_dword v189, off, s[0:3], 0 offset:636
	buffer_load_dword v194, off, s[0:3], 0 offset:612
	;; [unrolled: 1-line block ×3, first 2 shown]
	s_mov_b32 s4, exec_lo
	s_waitcnt vmcnt(62) lgkmcnt(2)
	v_mul_f64 v[184:185], v[140:141], v[117:118]
	v_mul_f64 v[117:118], v[138:139], v[117:118]
	s_waitcnt lgkmcnt(1)
	v_mul_f64 v[191:192], v[144:145], v[5:6]
	s_waitcnt vmcnt(59) lgkmcnt(0)
	v_mul_f64 v[195:196], v[148:149], v[3:4]
	v_fma_f64 v[138:139], v[138:139], v[7:8], -v[184:185]
	v_mul_f64 v[184:185], v[142:143], v[5:6]
	v_fma_f64 v[117:118], v[140:141], v[7:8], v[117:118]
	s_waitcnt vmcnt(57)
	v_fma_f64 v[142:143], v[142:143], v[1:2], -v[191:192]
	ds_read_b128 v[5:8], v137 offset:1264
	v_mul_f64 v[140:141], v[146:147], v[3:4]
	s_waitcnt vmcnt(51)
	v_fma_f64 v[146:147], v[146:147], v[133:134], -v[195:196]
	v_add_f64 v[138:139], v[138:139], 0
	v_fma_f64 v[144:145], v[144:145], v[1:2], v[184:185]
	v_add_f64 v[117:118], v[117:118], 0
	s_clause 0x4
	buffer_load_dword v185, off, s[0:3], 0 offset:652
	buffer_load_dword v197, off, s[0:3], 0 offset:664
	;; [unrolled: 1-line block ×5, first 2 shown]
	s_waitcnt lgkmcnt(0)
	v_mul_f64 v[200:201], v[5:6], v[121:122]
	v_mul_f64 v[121:122], v[7:8], v[121:122]
	ds_read_b128 v[1:4], v137 offset:1280
	v_fma_f64 v[133:134], v[148:149], v[133:134], v[140:141]
	v_add_f64 v[142:143], v[138:139], v[142:143]
	v_add_f64 v[117:118], v[117:118], v[144:145]
	s_clause 0x2
	buffer_load_dword v198, off, s[0:3], 0 offset:668
	buffer_load_dword v145, off, s[0:3], 0 offset:644
	;; [unrolled: 1-line block ×3, first 2 shown]
	s_waitcnt vmcnt(58) lgkmcnt(0)
	v_mul_f64 v[148:149], v[1:2], v[125:126]
	v_mul_f64 v[125:126], v[3:4], v[125:126]
	s_waitcnt vmcnt(56)
	v_fma_f64 v[121:122], v[5:6], v[127:128], -v[121:122]
	ds_read_b128 v[138:141], v137 offset:1296
	v_fma_f64 v[127:128], v[7:8], v[127:128], v[200:201]
	v_add_f64 v[142:143], v[142:143], v[146:147]
	v_add_f64 v[117:118], v[117:118], v[133:134]
	s_clause 0x4
	buffer_load_dword v134, off, s[0:3], 0 offset:684
	buffer_load_dword v146, off, s[0:3], 0 offset:696
	;; [unrolled: 1-line block ×5, first 2 shown]
	ds_read_b128 v[5:8], v137 offset:1312
	s_waitcnt vmcnt(57) lgkmcnt(1)
	v_mul_f64 v[201:202], v[138:139], v[129:130]
	v_mul_f64 v[129:130], v[140:141], v[129:130]
	s_waitcnt vmcnt(56)
	v_fma_f64 v[125:126], v[1:2], v[119:120], -v[125:126]
	v_fma_f64 v[119:120], v[3:4], v[119:120], v[148:149]
	v_add_f64 v[121:122], v[142:143], v[121:122]
	v_add_f64 v[117:118], v[117:118], v[127:128]
	s_clause 0x2
	buffer_load_dword v147, off, s[0:3], 0 offset:700
	buffer_load_dword v128, off, s[0:3], 0 offset:676
	;; [unrolled: 1-line block ×3, first 2 shown]
	s_waitcnt vmcnt(58) lgkmcnt(0)
	v_mul_f64 v[142:143], v[5:6], v[135:136]
	v_mul_f64 v[135:136], v[7:8], v[135:136]
	s_waitcnt vmcnt(56)
	v_fma_f64 v[129:130], v[138:139], v[150:151], -v[129:130]
	ds_read_b128 v[1:4], v137 offset:1328
	v_add_f64 v[121:122], v[121:122], v[125:126]
	v_fma_f64 v[125:126], v[140:141], v[150:151], v[201:202]
	v_add_f64 v[138:139], v[117:118], v[119:120]
	s_clause 0x4
	buffer_load_dword v141, off, s[0:3], 0 offset:716
	buffer_load_dword v148, off, s[0:3], 0 offset:728
	;; [unrolled: 1-line block ×5, first 2 shown]
	ds_read_b128 v[117:120], v137 offset:1344
	s_waitcnt vmcnt(57) lgkmcnt(1)
	v_mul_f64 v[201:202], v[1:2], v[152:153]
	v_mul_f64 v[151:152], v[3:4], v[152:153]
	s_waitcnt vmcnt(56)
	v_fma_f64 v[135:136], v[5:6], v[123:124], -v[135:136]
	v_fma_f64 v[123:124], v[7:8], v[123:124], v[142:143]
	v_add_f64 v[121:122], v[121:122], v[129:130]
	s_clause 0x2
	buffer_load_dword v149, off, s[0:3], 0 offset:732
	buffer_load_dword v130, off, s[0:3], 0 offset:708
	;; [unrolled: 1-line block ×3, first 2 shown]
	v_add_f64 v[125:126], v[138:139], v[125:126]
	s_waitcnt vmcnt(58) lgkmcnt(0)
	v_mul_f64 v[142:143], v[119:120], v[154:155]
	ds_read_b128 v[5:8], v137 offset:1360
	v_mul_f64 v[138:139], v[117:118], v[154:155]
	s_waitcnt vmcnt(56)
	v_fma_f64 v[152:153], v[1:2], v[156:157], -v[151:152]
	v_add_f64 v[121:122], v[121:122], v[135:136]
	v_fma_f64 v[135:136], v[3:4], v[156:157], v[201:202]
	v_add_f64 v[123:124], v[125:126], v[123:124]
	s_clause 0x4
	buffer_load_dword v126, off, s[0:3], 0 offset:748
	buffer_load_dword v154, off, s[0:3], 0 offset:760
	buffer_load_dword v156, off, s[0:3], 0 offset:752
	buffer_load_dword v125, off, s[0:3], 0 offset:744
	buffer_load_dword v151, off, s[0:3], 0 offset:724
	s_waitcnt vmcnt(57) lgkmcnt(0)
	v_mul_f64 v[201:202], v[5:6], v[158:159]
	v_mul_f64 v[157:158], v[7:8], v[158:159]
	s_waitcnt vmcnt(56)
	v_fma_f64 v[142:143], v[117:118], v[131:132], -v[142:143]
	ds_read_b128 v[1:4], v137 offset:1376
	v_fma_f64 v[131:132], v[119:120], v[131:132], v[138:139]
	v_add_f64 v[121:122], v[121:122], v[152:153]
	v_add_f64 v[123:124], v[123:124], v[135:136]
	s_clause 0x2
	buffer_load_dword v155, off, s[0:3], 0 offset:764
	buffer_load_dword v136, off, s[0:3], 0 offset:740
	buffer_load_dword v135, off, s[0:3], 0 offset:736
	ds_read_b128 v[117:120], v137 offset:1392
	s_waitcnt vmcnt(58) lgkmcnt(1)
	v_mul_f64 v[152:153], v[3:4], v[160:161]
	s_waitcnt vmcnt(56)
	v_fma_f64 v[158:159], v[5:6], v[164:165], -v[157:158]
	v_mul_f64 v[138:139], v[1:2], v[160:161]
	v_add_f64 v[121:122], v[121:122], v[142:143]
	v_fma_f64 v[142:143], v[7:8], v[164:165], v[201:202]
	v_add_f64 v[123:124], v[123:124], v[131:132]
	s_clause 0x4
	buffer_load_dword v132, off, s[0:3], 0 offset:780
	buffer_load_dword v160, off, s[0:3], 0 offset:792
	buffer_load_dword v164, off, s[0:3], 0 offset:784
	buffer_load_dword v131, off, s[0:3], 0 offset:776
	buffer_load_dword v157, off, s[0:3], 0 offset:756
	s_waitcnt vmcnt(57) lgkmcnt(0)
	v_mul_f64 v[201:202], v[117:118], v[166:167]
	v_mul_f64 v[165:166], v[119:120], v[166:167]
	s_waitcnt vmcnt(56)
	v_fma_f64 v[152:153], v[1:2], v[162:163], -v[152:153]
	ds_read_b128 v[5:8], v137 offset:1408
	v_fma_f64 v[138:139], v[3:4], v[162:163], v[138:139]
	v_add_f64 v[121:122], v[121:122], v[158:159]
	v_add_f64 v[123:124], v[123:124], v[142:143]
	s_clause 0x2
	buffer_load_dword v161, off, s[0:3], 0 offset:796
	buffer_load_dword v143, off, s[0:3], 0 offset:772
	buffer_load_dword v142, off, s[0:3], 0 offset:768
	ds_read_b128 v[1:4], v137 offset:1424
	s_waitcnt vmcnt(58) lgkmcnt(1)
	v_mul_f64 v[162:163], v[7:8], v[168:169]
	s_waitcnt vmcnt(56)
	v_fma_f64 v[166:167], v[117:118], v[172:173], -v[165:166]
	v_mul_f64 v[158:159], v[5:6], v[168:169]
	;; [unrolled: 28-line block ×4, first 2 shown]
	v_add_f64 v[121:122], v[121:122], v[170:171]
	v_fma_f64 v[170:171], v[7:8], v[193:194], v[201:202]
	v_add_f64 v[123:124], v[123:124], v[166:167]
	s_clause 0x2
	buffer_load_dword v167, off, s[0:3], 0 offset:876
	buffer_load_dword v166, off, s[0:3], 0 offset:872
	;; [unrolled: 1-line block ×3, first 2 shown]
	ds_read_b128 v[5:8], v137 offset:1504
	s_waitcnt vmcnt(55) lgkmcnt(1)
	v_mul_f64 v[188:189], v[117:118], v[184:185]
	v_mul_f64 v[184:185], v[119:120], v[184:185]
	s_waitcnt vmcnt(54)
	v_fma_f64 v[180:181], v[1:2], v[190:191], -v[180:181]
	v_fma_f64 v[174:175], v[3:4], v[190:191], v[174:175]
	v_add_f64 v[121:122], v[121:122], v[186:187]
	v_add_f64 v[123:124], v[123:124], v[170:171]
	s_clause 0x1
	buffer_load_dword v171, off, s[0:3], 0 offset:868
	buffer_load_dword v170, off, s[0:3], 0 offset:864
	ds_read_b128 v[1:4], v137 offset:1520
	s_waitcnt vmcnt(55) lgkmcnt(1)
	v_mul_f64 v[190:191], v[7:8], v[197:198]
	v_mul_f64 v[186:187], v[5:6], v[197:198]
	s_waitcnt vmcnt(53)
	v_fma_f64 v[184:185], v[117:118], v[144:145], -v[184:185]
	v_fma_f64 v[144:145], v[119:120], v[144:145], v[188:189]
	ds_read_b128 v[117:120], v137 offset:1536
	v_add_f64 v[121:122], v[121:122], v[180:181]
	v_add_f64 v[123:124], v[123:124], v[174:175]
	s_waitcnt vmcnt(49) lgkmcnt(1)
	v_mul_f64 v[174:175], v[1:2], v[133:134]
	v_mul_f64 v[133:134], v[3:4], v[133:134]
	s_waitcnt vmcnt(48)
	v_fma_f64 v[180:181], v[5:6], v[199:200], -v[190:191]
	v_add_f64 v[121:122], v[121:122], v[184:185]
	v_fma_f64 v[184:185], v[7:8], v[199:200], v[186:187]
	v_add_f64 v[123:124], v[123:124], v[144:145]
	s_clause 0x3
	buffer_load_dword v144, off, s[0:3], 0 offset:352
	buffer_load_dword v145, off, s[0:3], 0 offset:356
	;; [unrolled: 1-line block ×4, first 2 shown]
	ds_read_b128 v[5:8], v137 offset:1552
	s_waitcnt vmcnt(51) lgkmcnt(1)
	v_mul_f64 v[188:189], v[117:118], v[146:147]
	v_mul_f64 v[146:147], v[119:120], v[146:147]
	s_waitcnt vmcnt(49)
	v_fma_f64 v[133:134], v[1:2], v[127:128], -v[133:134]
	v_fma_f64 v[127:128], v[3:4], v[127:128], v[174:175]
	ds_read_b128 v[1:4], v137 offset:1568
	v_add_f64 v[121:122], v[121:122], v[180:181]
	v_add_f64 v[123:124], v[123:124], v[184:185]
	s_waitcnt vmcnt(45) lgkmcnt(1)
	v_mul_f64 v[174:175], v[5:6], v[140:141]
	v_mul_f64 v[140:141], v[7:8], v[140:141]
	s_waitcnt vmcnt(44)
	v_fma_f64 v[146:147], v[117:118], v[195:196], -v[146:147]
	v_add_f64 v[121:122], v[121:122], v[133:134]
	v_fma_f64 v[133:134], v[119:120], v[195:196], v[188:189]
	v_add_f64 v[123:124], v[123:124], v[127:128]
	ds_read_b128 v[117:120], v137 offset:1584
	s_waitcnt vmcnt(43) lgkmcnt(1)
	v_mul_f64 v[127:128], v[1:2], v[148:149]
	v_mul_f64 v[148:149], v[3:4], v[148:149]
	s_waitcnt vmcnt(41)
	v_fma_f64 v[140:141], v[5:6], v[129:130], -v[140:141]
	v_fma_f64 v[129:130], v[7:8], v[129:130], v[174:175]
	ds_read_b128 v[5:8], v137 offset:1600
	v_add_f64 v[121:122], v[121:122], v[146:147]
	v_add_f64 v[123:124], v[123:124], v[133:134]
	s_waitcnt vmcnt(37) lgkmcnt(1)
	v_mul_f64 v[133:134], v[117:118], v[125:126]
	v_mul_f64 v[125:126], v[119:120], v[125:126]
	s_waitcnt vmcnt(36)
	v_fma_f64 v[146:147], v[1:2], v[150:151], -v[148:149]
	v_fma_f64 v[127:128], v[3:4], v[150:151], v[127:128]
	ds_read_b128 v[1:4], v137 offset:1616
	v_add_f64 v[121:122], v[121:122], v[140:141]
	v_add_f64 v[123:124], v[123:124], v[129:130]
	;; [unrolled: 9-line block ×3, first 2 shown]
	s_waitcnt vmcnt(29) lgkmcnt(1)
	v_mul_f64 v[127:128], v[1:2], v[131:132]
	v_mul_f64 v[131:132], v[3:4], v[131:132]
	s_waitcnt vmcnt(28)
	v_fma_f64 v[135:136], v[5:6], v[156:157], -v[140:141]
	v_add_f64 v[121:122], v[121:122], v[125:126]
	v_fma_f64 v[125:126], v[7:8], v[156:157], v[129:130]
	v_add_f64 v[123:124], v[123:124], v[133:134]
	ds_read_b128 v[5:8], v137 offset:1648
	s_waitcnt vmcnt(27) lgkmcnt(1)
	v_mul_f64 v[133:134], v[119:120], v[160:161]
	v_mul_f64 v[129:130], v[117:118], v[160:161]
	s_waitcnt vmcnt(25)
	v_fma_f64 v[131:132], v[1:2], v[142:143], -v[131:132]
	v_fma_f64 v[127:128], v[3:4], v[142:143], v[127:128]
	ds_read_b128 v[1:4], v137 offset:1664
	v_add_f64 v[121:122], v[121:122], v[135:136]
	v_add_f64 v[123:124], v[123:124], v[125:126]
	s_waitcnt vmcnt(21) lgkmcnt(1)
	v_mul_f64 v[135:136], v[7:8], v[138:139]
	s_waitcnt vmcnt(20)
	v_fma_f64 v[133:134], v[117:118], v[164:165], -v[133:134]
	v_mul_f64 v[125:126], v[5:6], v[138:139]
	v_fma_f64 v[129:130], v[119:120], v[164:165], v[129:130]
	ds_read_b128 v[117:120], v137 offset:1680
	v_add_f64 v[121:122], v[121:122], v[131:132]
	v_add_f64 v[123:124], v[123:124], v[127:128]
	s_waitcnt vmcnt(19) lgkmcnt(1)
	v_mul_f64 v[131:132], v[3:4], v[168:169]
	v_mul_f64 v[127:128], v[1:2], v[168:169]
	s_waitcnt vmcnt(17)
	v_fma_f64 v[135:136], v[5:6], v[152:153], -v[135:136]
	v_fma_f64 v[125:126], v[7:8], v[152:153], v[125:126]
	ds_read_b128 v[5:8], v137 offset:1696
	v_add_f64 v[121:122], v[121:122], v[133:134]
	v_add_f64 v[123:124], v[123:124], v[129:130]
	s_waitcnt vmcnt(13) lgkmcnt(1)
	v_mul_f64 v[133:134], v[119:120], v[158:159]
	s_waitcnt vmcnt(12)
	v_fma_f64 v[131:132], v[1:2], v[172:173], -v[131:132]
	v_mul_f64 v[129:130], v[117:118], v[158:159]
	v_fma_f64 v[127:128], v[3:4], v[172:173], v[127:128]
	ds_read_b128 v[1:4], v137 offset:1712
	v_add_f64 v[121:122], v[121:122], v[135:136]
	v_add_f64 v[123:124], v[123:124], v[125:126]
	s_waitcnt vmcnt(11) lgkmcnt(1)
	v_mul_f64 v[135:136], v[7:8], v[178:179]
	v_mul_f64 v[125:126], v[5:6], v[178:179]
	s_waitcnt vmcnt(9)
	v_fma_f64 v[117:118], v[117:118], v[162:163], -v[133:134]
	v_fma_f64 v[119:120], v[119:120], v[162:163], v[129:130]
	v_add_f64 v[121:122], v[121:122], v[131:132]
	v_add_f64 v[123:124], v[123:124], v[127:128]
	s_waitcnt vmcnt(7) lgkmcnt(0)
	v_mul_f64 v[129:130], v[3:4], v[166:167]
	s_waitcnt vmcnt(6)
	v_fma_f64 v[5:6], v[5:6], v[182:183], -v[135:136]
	v_mul_f64 v[127:128], v[1:2], v[166:167]
	v_fma_f64 v[7:8], v[7:8], v[182:183], v[125:126]
	v_add_f64 v[117:118], v[121:122], v[117:118]
	v_add_f64 v[119:120], v[123:124], v[119:120]
	s_waitcnt vmcnt(4)
	v_fma_f64 v[1:2], v[1:2], v[170:171], -v[129:130]
	v_fma_f64 v[3:4], v[3:4], v[170:171], v[127:128]
	v_add_f64 v[5:6], v[117:118], v[5:6]
	v_add_f64 v[7:8], v[119:120], v[7:8]
	;; [unrolled: 1-line block ×4, first 2 shown]
	s_waitcnt vmcnt(2)
	v_add_f64 v[1:2], v[144:145], -v[1:2]
	s_waitcnt vmcnt(0)
	v_add_f64 v[3:4], v[186:187], -v[3:4]
	buffer_store_dword v2, off, s[0:3], 0 offset:356
	buffer_store_dword v1, off, s[0:3], 0 offset:352
	;; [unrolled: 1-line block ×4, first 2 shown]
	v_cmpx_lt_u32_e32 20, v0
	s_cbranch_execz .LBB117_297
; %bb.296:
	v_mov_b32_e32 v4, s46
	v_mov_b32_e32 v5, 0
	s_clause 0x3
	buffer_load_dword v1, v4, s[0:3], 0 offen
	buffer_load_dword v2, v4, s[0:3], 0 offen offset:4
	buffer_load_dword v3, v4, s[0:3], 0 offen offset:8
	;; [unrolled: 1-line block ×3, first 2 shown]
	buffer_store_dword v5, off, s[0:3], 0 offset:336
	buffer_store_dword v5, off, s[0:3], 0 offset:340
	;; [unrolled: 1-line block ×4, first 2 shown]
	s_waitcnt vmcnt(0)
	ds_write_b128 v177, v[1:4]
.LBB117_297:
	s_or_b32 exec_lo, exec_lo, s4
	s_waitcnt lgkmcnt(0)
	s_waitcnt_vscnt null, 0x0
	s_barrier
	buffer_gl0_inv
	s_clause 0x37
	buffer_load_dword v117, off, s[0:3], 0 offset:360
	buffer_load_dword v118, off, s[0:3], 0 offset:364
	;; [unrolled: 1-line block ×56, first 2 shown]
	v_mov_b32_e32 v159, 0
	s_mov_b32 s4, exec_lo
	ds_read_b128 v[147:150], v159 offset:1200
	s_clause 0x2
	buffer_load_dword v179, off, s[0:3], 0 offset:588
	buffer_load_dword v183, off, s[0:3], 0 offset:564
	;; [unrolled: 1-line block ×3, first 2 shown]
	ds_read_b128 v[151:154], v159 offset:1216
	s_clause 0x4
	buffer_load_dword v187, off, s[0:3], 0 offset:604
	buffer_load_dword v188, off, s[0:3], 0 offset:616
	;; [unrolled: 1-line block ×5, first 2 shown]
	ds_read_b128 v[155:158], v159 offset:1232
	s_clause 0x2
	buffer_load_dword v189, off, s[0:3], 0 offset:620
	buffer_load_dword v194, off, s[0:3], 0 offset:596
	;; [unrolled: 1-line block ×3, first 2 shown]
	s_waitcnt vmcnt(62) lgkmcnt(2)
	v_mul_f64 v[184:185], v[149:150], v[117:118]
	v_mul_f64 v[117:118], v[147:148], v[117:118]
	s_waitcnt lgkmcnt(1)
	v_mul_f64 v[191:192], v[153:154], v[5:6]
	s_waitcnt vmcnt(59) lgkmcnt(0)
	v_mul_f64 v[195:196], v[157:158], v[3:4]
	v_fma_f64 v[147:148], v[147:148], v[7:8], -v[184:185]
	v_mul_f64 v[184:185], v[151:152], v[5:6]
	v_fma_f64 v[117:118], v[149:150], v[7:8], v[117:118]
	s_waitcnt vmcnt(57)
	v_fma_f64 v[151:152], v[151:152], v[1:2], -v[191:192]
	ds_read_b128 v[5:8], v159 offset:1248
	v_mul_f64 v[149:150], v[155:156], v[3:4]
	s_waitcnt vmcnt(51)
	v_fma_f64 v[155:156], v[155:156], v[133:134], -v[195:196]
	v_add_f64 v[147:148], v[147:148], 0
	v_fma_f64 v[153:154], v[153:154], v[1:2], v[184:185]
	v_add_f64 v[117:118], v[117:118], 0
	s_clause 0x4
	buffer_load_dword v185, off, s[0:3], 0 offset:636
	buffer_load_dword v197, off, s[0:3], 0 offset:648
	;; [unrolled: 1-line block ×5, first 2 shown]
	s_waitcnt lgkmcnt(0)
	v_mul_f64 v[200:201], v[5:6], v[121:122]
	v_mul_f64 v[121:122], v[7:8], v[121:122]
	ds_read_b128 v[1:4], v159 offset:1264
	v_fma_f64 v[133:134], v[157:158], v[133:134], v[149:150]
	v_add_f64 v[151:152], v[147:148], v[151:152]
	v_add_f64 v[117:118], v[117:118], v[153:154]
	s_clause 0x2
	buffer_load_dword v198, off, s[0:3], 0 offset:652
	buffer_load_dword v154, off, s[0:3], 0 offset:628
	;; [unrolled: 1-line block ×3, first 2 shown]
	s_waitcnt vmcnt(58) lgkmcnt(0)
	v_mul_f64 v[157:158], v[1:2], v[125:126]
	v_mul_f64 v[125:126], v[3:4], v[125:126]
	s_waitcnt vmcnt(56)
	v_fma_f64 v[121:122], v[5:6], v[127:128], -v[121:122]
	ds_read_b128 v[147:150], v159 offset:1280
	v_fma_f64 v[127:128], v[7:8], v[127:128], v[200:201]
	v_add_f64 v[151:152], v[151:152], v[155:156]
	v_add_f64 v[117:118], v[117:118], v[133:134]
	s_clause 0x4
	buffer_load_dword v134, off, s[0:3], 0 offset:668
	buffer_load_dword v155, off, s[0:3], 0 offset:680
	;; [unrolled: 1-line block ×5, first 2 shown]
	ds_read_b128 v[5:8], v159 offset:1296
	s_waitcnt vmcnt(57) lgkmcnt(1)
	v_mul_f64 v[201:202], v[147:148], v[129:130]
	v_mul_f64 v[129:130], v[149:150], v[129:130]
	s_waitcnt vmcnt(56)
	v_fma_f64 v[125:126], v[1:2], v[119:120], -v[125:126]
	v_fma_f64 v[119:120], v[3:4], v[119:120], v[157:158]
	v_add_f64 v[121:122], v[151:152], v[121:122]
	v_add_f64 v[117:118], v[117:118], v[127:128]
	s_clause 0x2
	buffer_load_dword v156, off, s[0:3], 0 offset:684
	buffer_load_dword v128, off, s[0:3], 0 offset:660
	;; [unrolled: 1-line block ×3, first 2 shown]
	s_waitcnt vmcnt(58) lgkmcnt(0)
	v_mul_f64 v[151:152], v[5:6], v[135:136]
	v_mul_f64 v[135:136], v[7:8], v[135:136]
	s_waitcnt vmcnt(56)
	v_fma_f64 v[129:130], v[147:148], v[137:138], -v[129:130]
	ds_read_b128 v[1:4], v159 offset:1312
	v_add_f64 v[121:122], v[121:122], v[125:126]
	v_fma_f64 v[125:126], v[149:150], v[137:138], v[201:202]
	v_add_f64 v[137:138], v[117:118], v[119:120]
	s_clause 0x4
	buffer_load_dword v148, off, s[0:3], 0 offset:700
	buffer_load_dword v149, off, s[0:3], 0 offset:712
	buffer_load_dword v157, off, s[0:3], 0 offset:704
	buffer_load_dword v147, off, s[0:3], 0 offset:696
	buffer_load_dword v196, off, s[0:3], 0 offset:676
	ds_read_b128 v[117:120], v159 offset:1328
	s_waitcnt vmcnt(57) lgkmcnt(1)
	v_mul_f64 v[201:202], v[1:2], v[139:140]
	v_mul_f64 v[139:140], v[3:4], v[139:140]
	s_waitcnt vmcnt(56)
	v_fma_f64 v[135:136], v[5:6], v[123:124], -v[135:136]
	v_fma_f64 v[123:124], v[7:8], v[123:124], v[151:152]
	v_add_f64 v[121:122], v[121:122], v[129:130]
	s_clause 0x2
	buffer_load_dword v150, off, s[0:3], 0 offset:716
	buffer_load_dword v130, off, s[0:3], 0 offset:692
	;; [unrolled: 1-line block ×3, first 2 shown]
	v_add_f64 v[125:126], v[137:138], v[125:126]
	s_waitcnt vmcnt(58) lgkmcnt(0)
	v_mul_f64 v[137:138], v[117:118], v[143:144]
	v_mul_f64 v[143:144], v[119:120], v[143:144]
	ds_read_b128 v[5:8], v159 offset:1344
	s_waitcnt vmcnt(56)
	v_fma_f64 v[139:140], v[1:2], v[145:146], -v[139:140]
	v_add_f64 v[121:122], v[121:122], v[135:136]
	v_fma_f64 v[135:136], v[3:4], v[145:146], v[201:202]
	v_add_f64 v[123:124], v[125:126], v[123:124]
	s_clause 0x4
	buffer_load_dword v126, off, s[0:3], 0 offset:732
	buffer_load_dword v145, off, s[0:3], 0 offset:744
	;; [unrolled: 1-line block ×5, first 2 shown]
	s_waitcnt vmcnt(57) lgkmcnt(0)
	v_mul_f64 v[201:202], v[5:6], v[160:161]
	v_mul_f64 v[160:161], v[7:8], v[160:161]
	s_waitcnt vmcnt(56)
	v_fma_f64 v[143:144], v[117:118], v[131:132], -v[143:144]
	ds_read_b128 v[1:4], v159 offset:1360
	v_fma_f64 v[131:132], v[119:120], v[131:132], v[137:138]
	v_add_f64 v[121:122], v[121:122], v[139:140]
	v_add_f64 v[123:124], v[123:124], v[135:136]
	s_clause 0x2
	buffer_load_dword v146, off, s[0:3], 0 offset:748
	buffer_load_dword v136, off, s[0:3], 0 offset:724
	;; [unrolled: 1-line block ×3, first 2 shown]
	ds_read_b128 v[117:120], v159 offset:1376
	s_waitcnt vmcnt(58) lgkmcnt(1)
	v_mul_f64 v[139:140], v[3:4], v[162:163]
	s_waitcnt vmcnt(56)
	v_fma_f64 v[160:161], v[5:6], v[164:165], -v[160:161]
	v_mul_f64 v[137:138], v[1:2], v[162:163]
	v_add_f64 v[121:122], v[121:122], v[143:144]
	v_fma_f64 v[143:144], v[7:8], v[164:165], v[201:202]
	v_add_f64 v[123:124], v[123:124], v[131:132]
	s_clause 0x4
	buffer_load_dword v132, off, s[0:3], 0 offset:764
	buffer_load_dword v162, off, s[0:3], 0 offset:776
	;; [unrolled: 1-line block ×5, first 2 shown]
	s_waitcnt vmcnt(57) lgkmcnt(0)
	v_mul_f64 v[201:202], v[117:118], v[166:167]
	v_mul_f64 v[165:166], v[119:120], v[166:167]
	s_waitcnt vmcnt(56)
	v_fma_f64 v[139:140], v[1:2], v[141:142], -v[139:140]
	ds_read_b128 v[5:8], v159 offset:1392
	v_fma_f64 v[137:138], v[3:4], v[141:142], v[137:138]
	s_clause 0x2
	buffer_load_dword v163, off, s[0:3], 0 offset:780
	buffer_load_dword v142, off, s[0:3], 0 offset:756
	;; [unrolled: 1-line block ×3, first 2 shown]
	ds_read_b128 v[1:4], v159 offset:1408
	v_add_f64 v[121:122], v[121:122], v[160:161]
	v_add_f64 v[123:124], v[123:124], v[143:144]
	s_waitcnt vmcnt(58) lgkmcnt(1)
	v_mul_f64 v[160:161], v[7:8], v[168:169]
	s_waitcnt vmcnt(56)
	v_fma_f64 v[166:167], v[117:118], v[172:173], -v[165:166]
	v_mul_f64 v[143:144], v[5:6], v[168:169]
	v_add_f64 v[121:122], v[121:122], v[139:140]
	v_fma_f64 v[139:140], v[119:120], v[172:173], v[201:202]
	v_add_f64 v[123:124], v[123:124], v[137:138]
	s_clause 0x4
	buffer_load_dword v138, off, s[0:3], 0 offset:796
	buffer_load_dword v168, off, s[0:3], 0 offset:808
	;; [unrolled: 1-line block ×5, first 2 shown]
	s_waitcnt vmcnt(57) lgkmcnt(0)
	v_mul_f64 v[201:202], v[1:2], v[174:175]
	v_mul_f64 v[173:174], v[3:4], v[174:175]
	s_waitcnt vmcnt(56)
	v_fma_f64 v[160:161], v[5:6], v[170:171], -v[160:161]
	ds_read_b128 v[117:120], v159 offset:1424
	v_fma_f64 v[143:144], v[7:8], v[170:171], v[143:144]
	v_add_f64 v[121:122], v[121:122], v[166:167]
	v_add_f64 v[123:124], v[123:124], v[139:140]
	s_clause 0x2
	buffer_load_dword v169, off, s[0:3], 0 offset:812
	buffer_load_dword v140, off, s[0:3], 0 offset:788
	;; [unrolled: 1-line block ×3, first 2 shown]
	ds_read_b128 v[5:8], v159 offset:1440
	s_waitcnt vmcnt(58) lgkmcnt(1)
	v_mul_f64 v[170:171], v[119:120], v[178:179]
	s_waitcnt vmcnt(56)
	v_fma_f64 v[174:175], v[1:2], v[182:183], -v[173:174]
	v_mul_f64 v[166:167], v[117:118], v[178:179]
	v_add_f64 v[121:122], v[121:122], v[160:161]
	v_fma_f64 v[160:161], v[3:4], v[182:183], v[201:202]
	v_add_f64 v[123:124], v[123:124], v[143:144]
	s_clause 0x4
	buffer_load_dword v144, off, s[0:3], 0 offset:828
	buffer_load_dword v178, off, s[0:3], 0 offset:840
	;; [unrolled: 1-line block ×5, first 2 shown]
	s_waitcnt vmcnt(57) lgkmcnt(0)
	v_mul_f64 v[201:202], v[5:6], v[186:187]
	v_mul_f64 v[186:187], v[7:8], v[186:187]
	s_waitcnt vmcnt(56)
	v_fma_f64 v[170:171], v[117:118], v[180:181], -v[170:171]
	ds_read_b128 v[1:4], v159 offset:1456
	v_fma_f64 v[166:167], v[119:120], v[180:181], v[166:167]
	v_add_f64 v[121:122], v[121:122], v[174:175]
	v_add_f64 v[123:124], v[123:124], v[160:161]
	s_clause 0x2
	buffer_load_dword v179, off, s[0:3], 0 offset:844
	buffer_load_dword v161, off, s[0:3], 0 offset:820
	;; [unrolled: 1-line block ×3, first 2 shown]
	ds_read_b128 v[117:120], v159 offset:1472
	s_waitcnt vmcnt(58) lgkmcnt(1)
	v_mul_f64 v[180:181], v[3:4], v[188:189]
	s_waitcnt vmcnt(56)
	v_fma_f64 v[186:187], v[5:6], v[193:194], -v[186:187]
	v_mul_f64 v[174:175], v[1:2], v[188:189]
	v_add_f64 v[121:122], v[121:122], v[170:171]
	v_fma_f64 v[170:171], v[7:8], v[193:194], v[201:202]
	v_add_f64 v[123:124], v[123:124], v[166:167]
	s_clause 0x4
	buffer_load_dword v167, off, s[0:3], 0 offset:860
	buffer_load_dword v188, off, s[0:3], 0 offset:872
	buffer_load_dword v192, off, s[0:3], 0 offset:864
	buffer_load_dword v166, off, s[0:3], 0 offset:856
	buffer_load_dword v183, off, s[0:3], 0 offset:836
	ds_read_b128 v[5:8], v159 offset:1488
	s_waitcnt vmcnt(57) lgkmcnt(1)
	v_mul_f64 v[193:194], v[117:118], v[184:185]
	v_mul_f64 v[184:185], v[119:120], v[184:185]
	s_waitcnt vmcnt(56)
	v_fma_f64 v[180:181], v[1:2], v[190:191], -v[180:181]
	v_fma_f64 v[174:175], v[3:4], v[190:191], v[174:175]
	v_add_f64 v[121:122], v[121:122], v[186:187]
	v_add_f64 v[123:124], v[123:124], v[170:171]
	s_clause 0x2
	buffer_load_dword v189, off, s[0:3], 0 offset:876
	buffer_load_dword v171, off, s[0:3], 0 offset:852
	;; [unrolled: 1-line block ×3, first 2 shown]
	ds_read_b128 v[1:4], v159 offset:1504
	s_waitcnt vmcnt(58) lgkmcnt(1)
	v_mul_f64 v[190:191], v[7:8], v[197:198]
	v_mul_f64 v[186:187], v[5:6], v[197:198]
	s_waitcnt vmcnt(56)
	v_fma_f64 v[184:185], v[117:118], v[153:154], -v[184:185]
	v_fma_f64 v[153:154], v[119:120], v[153:154], v[193:194]
	buffer_load_dword v193, off, s[0:3], 0 offset:868
	ds_read_b128 v[117:120], v159 offset:1520
	v_add_f64 v[121:122], v[121:122], v[180:181]
	v_add_f64 v[123:124], v[123:124], v[174:175]
	s_waitcnt vmcnt(53) lgkmcnt(1)
	v_mul_f64 v[174:175], v[1:2], v[133:134]
	v_mul_f64 v[133:134], v[3:4], v[133:134]
	s_waitcnt vmcnt(52)
	v_fma_f64 v[180:181], v[5:6], v[199:200], -v[190:191]
	v_add_f64 v[121:122], v[121:122], v[184:185]
	v_fma_f64 v[184:185], v[7:8], v[199:200], v[186:187]
	v_add_f64 v[123:124], v[123:124], v[153:154]
	ds_read_b128 v[5:8], v159 offset:1536
	s_waitcnt vmcnt(51) lgkmcnt(1)
	v_mul_f64 v[153:154], v[117:118], v[155:156]
	v_mul_f64 v[155:156], v[119:120], v[155:156]
	s_waitcnt vmcnt(49)
	v_fma_f64 v[133:134], v[1:2], v[127:128], -v[133:134]
	v_fma_f64 v[127:128], v[3:4], v[127:128], v[174:175]
	v_add_f64 v[121:122], v[121:122], v[180:181]
	s_clause 0x3
	buffer_load_dword v174, off, s[0:3], 0 offset:336
	buffer_load_dword v175, off, s[0:3], 0 offset:340
	;; [unrolled: 1-line block ×4, first 2 shown]
	v_add_f64 v[123:124], v[123:124], v[184:185]
	ds_read_b128 v[1:4], v159 offset:1552
	s_waitcnt vmcnt(49) lgkmcnt(1)
	v_mul_f64 v[184:185], v[5:6], v[147:148]
	v_mul_f64 v[147:148], v[7:8], v[147:148]
	s_waitcnt vmcnt(48)
	v_fma_f64 v[155:156], v[117:118], v[195:196], -v[155:156]
	v_add_f64 v[121:122], v[121:122], v[133:134]
	v_fma_f64 v[133:134], v[119:120], v[195:196], v[153:154]
	v_add_f64 v[123:124], v[123:124], v[127:128]
	ds_read_b128 v[117:120], v159 offset:1568
	s_waitcnt vmcnt(47) lgkmcnt(1)
	v_mul_f64 v[127:128], v[1:2], v[149:150]
	v_mul_f64 v[149:150], v[3:4], v[149:150]
	s_waitcnt vmcnt(45)
	v_fma_f64 v[147:148], v[5:6], v[129:130], -v[147:148]
	v_fma_f64 v[129:130], v[7:8], v[129:130], v[184:185]
	ds_read_b128 v[5:8], v159 offset:1584
	v_add_f64 v[121:122], v[121:122], v[155:156]
	v_add_f64 v[123:124], v[123:124], v[133:134]
	s_waitcnt vmcnt(41) lgkmcnt(1)
	v_mul_f64 v[133:134], v[117:118], v[125:126]
	v_mul_f64 v[125:126], v[119:120], v[125:126]
	s_waitcnt vmcnt(40)
	v_fma_f64 v[149:150], v[1:2], v[157:158], -v[149:150]
	v_fma_f64 v[127:128], v[3:4], v[157:158], v[127:128]
	ds_read_b128 v[1:4], v159 offset:1600
	v_add_f64 v[121:122], v[121:122], v[147:148]
	v_add_f64 v[123:124], v[123:124], v[129:130]
	s_waitcnt vmcnt(39) lgkmcnt(1)
	v_mul_f64 v[129:130], v[5:6], v[145:146]
	v_mul_f64 v[145:146], v[7:8], v[145:146]
	s_waitcnt vmcnt(37)
	v_fma_f64 v[125:126], v[117:118], v[135:136], -v[125:126]
	v_fma_f64 v[133:134], v[119:120], v[135:136], v[133:134]
	ds_read_b128 v[117:120], v159 offset:1616
	v_add_f64 v[121:122], v[121:122], v[149:150]
	v_add_f64 v[123:124], v[123:124], v[127:128]
	s_waitcnt vmcnt(33) lgkmcnt(1)
	v_mul_f64 v[127:128], v[1:2], v[131:132]
	v_mul_f64 v[131:132], v[3:4], v[131:132]
	s_waitcnt vmcnt(32)
	v_fma_f64 v[135:136], v[5:6], v[151:152], -v[145:146]
	v_add_f64 v[121:122], v[121:122], v[125:126]
	v_fma_f64 v[125:126], v[7:8], v[151:152], v[129:130]
	v_add_f64 v[123:124], v[123:124], v[133:134]
	ds_read_b128 v[5:8], v159 offset:1632
	s_waitcnt vmcnt(31) lgkmcnt(1)
	v_mul_f64 v[133:134], v[119:120], v[162:163]
	v_mul_f64 v[129:130], v[117:118], v[162:163]
	s_waitcnt vmcnt(29)
	v_fma_f64 v[127:128], v[3:4], v[141:142], v[127:128]
	v_fma_f64 v[131:132], v[1:2], v[141:142], -v[131:132]
	ds_read_b128 v[1:4], v159 offset:1648
	v_add_f64 v[121:122], v[121:122], v[135:136]
	v_add_f64 v[123:124], v[123:124], v[125:126]
	s_waitcnt vmcnt(25) lgkmcnt(1)
	v_mul_f64 v[135:136], v[7:8], v[137:138]
	s_waitcnt vmcnt(24)
	v_fma_f64 v[133:134], v[117:118], v[164:165], -v[133:134]
	v_mul_f64 v[125:126], v[5:6], v[137:138]
	v_fma_f64 v[129:130], v[119:120], v[164:165], v[129:130]
	ds_read_b128 v[117:120], v159 offset:1664
	v_add_f64 v[121:122], v[121:122], v[131:132]
	v_add_f64 v[123:124], v[123:124], v[127:128]
	s_waitcnt vmcnt(23) lgkmcnt(1)
	v_mul_f64 v[131:132], v[3:4], v[168:169]
	v_mul_f64 v[127:128], v[1:2], v[168:169]
	s_waitcnt vmcnt(21)
	v_fma_f64 v[135:136], v[5:6], v[139:140], -v[135:136]
	v_fma_f64 v[125:126], v[7:8], v[139:140], v[125:126]
	ds_read_b128 v[5:8], v159 offset:1680
	v_add_f64 v[121:122], v[121:122], v[133:134]
	v_add_f64 v[123:124], v[123:124], v[129:130]
	s_waitcnt vmcnt(17) lgkmcnt(1)
	v_mul_f64 v[133:134], v[119:120], v[143:144]
	s_waitcnt vmcnt(16)
	v_fma_f64 v[131:132], v[1:2], v[172:173], -v[131:132]
	v_mul_f64 v[129:130], v[117:118], v[143:144]
	v_fma_f64 v[127:128], v[3:4], v[172:173], v[127:128]
	ds_read_b128 v[1:4], v159 offset:1696
	v_add_f64 v[121:122], v[121:122], v[135:136]
	v_add_f64 v[123:124], v[123:124], v[125:126]
	s_waitcnt vmcnt(15) lgkmcnt(1)
	v_mul_f64 v[135:136], v[7:8], v[178:179]
	v_mul_f64 v[125:126], v[5:6], v[178:179]
	s_waitcnt vmcnt(13)
	v_fma_f64 v[133:134], v[117:118], v[160:161], -v[133:134]
	v_fma_f64 v[129:130], v[119:120], v[160:161], v[129:130]
	ds_read_b128 v[117:120], v159 offset:1712
	v_add_f64 v[121:122], v[121:122], v[131:132]
	v_add_f64 v[123:124], v[123:124], v[127:128]
	s_waitcnt vmcnt(9) lgkmcnt(1)
	v_mul_f64 v[131:132], v[3:4], v[166:167]
	s_waitcnt vmcnt(8)
	v_fma_f64 v[5:6], v[5:6], v[182:183], -v[135:136]
	v_mul_f64 v[127:128], v[1:2], v[166:167]
	v_fma_f64 v[7:8], v[7:8], v[182:183], v[125:126]
	v_add_f64 v[121:122], v[121:122], v[133:134]
	v_add_f64 v[123:124], v[123:124], v[129:130]
	s_waitcnt vmcnt(7) lgkmcnt(0)
	v_mul_f64 v[129:130], v[119:120], v[188:189]
	v_mul_f64 v[125:126], v[117:118], v[188:189]
	s_waitcnt vmcnt(5)
	v_fma_f64 v[1:2], v[1:2], v[170:171], -v[131:132]
	v_fma_f64 v[3:4], v[3:4], v[170:171], v[127:128]
	v_add_f64 v[5:6], v[121:122], v[5:6]
	v_add_f64 v[7:8], v[123:124], v[7:8]
	s_waitcnt vmcnt(4)
	v_fma_f64 v[117:118], v[117:118], v[192:193], -v[129:130]
	v_add_f64 v[1:2], v[5:6], v[1:2]
	v_fma_f64 v[5:6], v[119:120], v[192:193], v[125:126]
	v_add_f64 v[3:4], v[7:8], v[3:4]
	v_add_f64 v[1:2], v[1:2], v[117:118]
	;; [unrolled: 1-line block ×3, first 2 shown]
	s_waitcnt vmcnt(2)
	v_add_f64 v[1:2], v[174:175], -v[1:2]
	s_waitcnt vmcnt(0)
	v_add_f64 v[3:4], v[180:181], -v[3:4]
	buffer_store_dword v2, off, s[0:3], 0 offset:340
	buffer_store_dword v1, off, s[0:3], 0 offset:336
	;; [unrolled: 1-line block ×4, first 2 shown]
	v_cmpx_lt_u32_e32 19, v0
	s_cbranch_execz .LBB117_299
; %bb.298:
	v_mov_b32_e32 v4, s47
	s_clause 0x3
	buffer_load_dword v1, v4, s[0:3], 0 offen
	buffer_load_dword v2, v4, s[0:3], 0 offen offset:4
	buffer_load_dword v3, v4, s[0:3], 0 offen offset:8
	;; [unrolled: 1-line block ×3, first 2 shown]
	buffer_store_dword v159, off, s[0:3], 0 offset:320
	buffer_store_dword v159, off, s[0:3], 0 offset:324
	;; [unrolled: 1-line block ×4, first 2 shown]
	s_waitcnt vmcnt(0)
	ds_write_b128 v177, v[1:4]
.LBB117_299:
	s_or_b32 exec_lo, exec_lo, s4
	s_waitcnt lgkmcnt(0)
	s_waitcnt_vscnt null, 0x0
	s_barrier
	buffer_gl0_inv
	s_clause 0x37
	buffer_load_dword v117, off, s[0:3], 0 offset:344
	buffer_load_dword v118, off, s[0:3], 0 offset:348
	;; [unrolled: 1-line block ×56, first 2 shown]
	ds_read_b128 v[160:163], v159 offset:1184
	s_clause 0x2
	buffer_load_dword v181, off, s[0:3], 0 offset:572
	buffer_load_dword v183, off, s[0:3], 0 offset:548
	;; [unrolled: 1-line block ×3, first 2 shown]
	ds_read_b128 v[164:167], v159 offset:1200
	s_clause 0x4
	buffer_load_dword v187, off, s[0:3], 0 offset:588
	buffer_load_dword v188, off, s[0:3], 0 offset:600
	;; [unrolled: 1-line block ×5, first 2 shown]
	ds_read_b128 v[168:171], v159 offset:1216
	s_clause 0x2
	buffer_load_dword v189, off, s[0:3], 0 offset:604
	buffer_load_dword v194, off, s[0:3], 0 offset:580
	buffer_load_dword v193, off, s[0:3], 0 offset:576
	s_mov_b32 s4, exec_lo
	s_waitcnt vmcnt(62) lgkmcnt(2)
	v_mul_f64 v[184:185], v[162:163], v[117:118]
	v_mul_f64 v[117:118], v[160:161], v[117:118]
	s_waitcnt lgkmcnt(1)
	v_mul_f64 v[191:192], v[166:167], v[5:6]
	s_waitcnt vmcnt(59) lgkmcnt(0)
	v_mul_f64 v[195:196], v[170:171], v[3:4]
	v_fma_f64 v[160:161], v[160:161], v[7:8], -v[184:185]
	v_mul_f64 v[184:185], v[164:165], v[5:6]
	v_fma_f64 v[117:118], v[162:163], v[7:8], v[117:118]
	s_waitcnt vmcnt(57)
	v_fma_f64 v[164:165], v[164:165], v[1:2], -v[191:192]
	ds_read_b128 v[5:8], v159 offset:1232
	v_mul_f64 v[162:163], v[168:169], v[3:4]
	s_waitcnt vmcnt(51)
	v_fma_f64 v[168:169], v[168:169], v[133:134], -v[195:196]
	v_add_f64 v[160:161], v[160:161], 0
	v_fma_f64 v[166:167], v[166:167], v[1:2], v[184:185]
	v_add_f64 v[117:118], v[117:118], 0
	s_clause 0x4
	buffer_load_dword v185, off, s[0:3], 0 offset:620
	buffer_load_dword v197, off, s[0:3], 0 offset:632
	;; [unrolled: 1-line block ×5, first 2 shown]
	s_waitcnt lgkmcnt(0)
	v_mul_f64 v[200:201], v[5:6], v[121:122]
	v_mul_f64 v[121:122], v[7:8], v[121:122]
	ds_read_b128 v[1:4], v159 offset:1248
	v_fma_f64 v[133:134], v[170:171], v[133:134], v[162:163]
	v_add_f64 v[164:165], v[160:161], v[164:165]
	v_add_f64 v[117:118], v[117:118], v[166:167]
	s_clause 0x2
	buffer_load_dword v198, off, s[0:3], 0 offset:636
	buffer_load_dword v167, off, s[0:3], 0 offset:612
	buffer_load_dword v166, off, s[0:3], 0 offset:608
	s_waitcnt vmcnt(58) lgkmcnt(0)
	v_mul_f64 v[170:171], v[1:2], v[125:126]
	v_mul_f64 v[125:126], v[3:4], v[125:126]
	s_waitcnt vmcnt(56)
	v_fma_f64 v[121:122], v[5:6], v[127:128], -v[121:122]
	ds_read_b128 v[160:163], v159 offset:1264
	v_fma_f64 v[127:128], v[7:8], v[127:128], v[200:201]
	v_add_f64 v[164:165], v[164:165], v[168:169]
	v_add_f64 v[117:118], v[117:118], v[133:134]
	s_clause 0x4
	buffer_load_dword v134, off, s[0:3], 0 offset:652
	buffer_load_dword v168, off, s[0:3], 0 offset:664
	;; [unrolled: 1-line block ×5, first 2 shown]
	ds_read_b128 v[5:8], v159 offset:1280
	s_waitcnt vmcnt(57) lgkmcnt(1)
	v_mul_f64 v[201:202], v[160:161], v[129:130]
	v_mul_f64 v[129:130], v[162:163], v[129:130]
	s_waitcnt vmcnt(56)
	v_fma_f64 v[125:126], v[1:2], v[119:120], -v[125:126]
	v_fma_f64 v[119:120], v[3:4], v[119:120], v[170:171]
	v_add_f64 v[121:122], v[164:165], v[121:122]
	v_add_f64 v[117:118], v[117:118], v[127:128]
	s_clause 0x2
	buffer_load_dword v169, off, s[0:3], 0 offset:668
	buffer_load_dword v128, off, s[0:3], 0 offset:644
	;; [unrolled: 1-line block ×3, first 2 shown]
	s_waitcnt vmcnt(58) lgkmcnt(0)
	v_mul_f64 v[164:165], v[5:6], v[135:136]
	v_mul_f64 v[135:136], v[7:8], v[135:136]
	s_waitcnt vmcnt(56)
	v_fma_f64 v[129:130], v[160:161], v[137:138], -v[129:130]
	ds_read_b128 v[1:4], v159 offset:1296
	v_add_f64 v[121:122], v[121:122], v[125:126]
	v_fma_f64 v[125:126], v[162:163], v[137:138], v[201:202]
	v_add_f64 v[137:138], v[117:118], v[119:120]
	s_clause 0x4
	buffer_load_dword v161, off, s[0:3], 0 offset:684
	buffer_load_dword v162, off, s[0:3], 0 offset:696
	;; [unrolled: 1-line block ×5, first 2 shown]
	ds_read_b128 v[117:120], v159 offset:1312
	s_waitcnt vmcnt(57) lgkmcnt(1)
	v_mul_f64 v[201:202], v[1:2], v[139:140]
	v_mul_f64 v[139:140], v[3:4], v[139:140]
	s_waitcnt vmcnt(56)
	v_fma_f64 v[135:136], v[5:6], v[123:124], -v[135:136]
	v_fma_f64 v[123:124], v[7:8], v[123:124], v[164:165]
	v_add_f64 v[121:122], v[121:122], v[129:130]
	s_clause 0x2
	buffer_load_dword v163, off, s[0:3], 0 offset:700
	buffer_load_dword v130, off, s[0:3], 0 offset:676
	;; [unrolled: 1-line block ×3, first 2 shown]
	v_add_f64 v[125:126], v[137:138], v[125:126]
	s_waitcnt vmcnt(58) lgkmcnt(0)
	v_mul_f64 v[137:138], v[117:118], v[143:144]
	v_mul_f64 v[143:144], v[119:120], v[143:144]
	ds_read_b128 v[5:8], v159 offset:1328
	s_waitcnt vmcnt(56)
	v_fma_f64 v[139:140], v[1:2], v[145:146], -v[139:140]
	v_add_f64 v[121:122], v[121:122], v[135:136]
	v_fma_f64 v[135:136], v[3:4], v[145:146], v[201:202]
	v_add_f64 v[123:124], v[125:126], v[123:124]
	s_clause 0x4
	buffer_load_dword v126, off, s[0:3], 0 offset:716
	buffer_load_dword v145, off, s[0:3], 0 offset:728
	;; [unrolled: 1-line block ×5, first 2 shown]
	s_waitcnt vmcnt(57) lgkmcnt(0)
	v_mul_f64 v[201:202], v[5:6], v[147:148]
	v_mul_f64 v[147:148], v[7:8], v[147:148]
	s_waitcnt vmcnt(56)
	v_fma_f64 v[143:144], v[117:118], v[131:132], -v[143:144]
	ds_read_b128 v[1:4], v159 offset:1344
	v_fma_f64 v[131:132], v[119:120], v[131:132], v[137:138]
	v_add_f64 v[121:122], v[121:122], v[139:140]
	v_add_f64 v[123:124], v[123:124], v[135:136]
	s_clause 0x2
	buffer_load_dword v146, off, s[0:3], 0 offset:732
	buffer_load_dword v136, off, s[0:3], 0 offset:708
	;; [unrolled: 1-line block ×3, first 2 shown]
	ds_read_b128 v[117:120], v159 offset:1360
	s_waitcnt vmcnt(58) lgkmcnt(1)
	v_mul_f64 v[139:140], v[3:4], v[151:152]
	s_waitcnt vmcnt(56)
	v_fma_f64 v[147:148], v[5:6], v[153:154], -v[147:148]
	v_mul_f64 v[137:138], v[1:2], v[151:152]
	v_add_f64 v[121:122], v[121:122], v[143:144]
	v_fma_f64 v[143:144], v[7:8], v[153:154], v[201:202]
	v_add_f64 v[123:124], v[123:124], v[131:132]
	s_clause 0x4
	buffer_load_dword v132, off, s[0:3], 0 offset:748
	buffer_load_dword v151, off, s[0:3], 0 offset:760
	;; [unrolled: 1-line block ×5, first 2 shown]
	s_waitcnt vmcnt(57) lgkmcnt(0)
	v_mul_f64 v[201:202], v[117:118], v[155:156]
	v_mul_f64 v[154:155], v[119:120], v[155:156]
	s_waitcnt vmcnt(56)
	v_fma_f64 v[139:140], v[1:2], v[141:142], -v[139:140]
	ds_read_b128 v[5:8], v159 offset:1376
	v_fma_f64 v[137:138], v[3:4], v[141:142], v[137:138]
	s_clause 0x2
	buffer_load_dword v152, off, s[0:3], 0 offset:764
	buffer_load_dword v142, off, s[0:3], 0 offset:740
	;; [unrolled: 1-line block ×3, first 2 shown]
	ds_read_b128 v[1:4], v159 offset:1392
	v_add_f64 v[121:122], v[121:122], v[147:148]
	v_add_f64 v[123:124], v[123:124], v[143:144]
	s_waitcnt vmcnt(58) lgkmcnt(1)
	v_mul_f64 v[147:148], v[7:8], v[172:173]
	s_waitcnt vmcnt(56)
	v_fma_f64 v[155:156], v[117:118], v[174:175], -v[154:155]
	v_mul_f64 v[143:144], v[5:6], v[172:173]
	v_add_f64 v[121:122], v[121:122], v[139:140]
	v_fma_f64 v[139:140], v[119:120], v[174:175], v[201:202]
	v_add_f64 v[123:124], v[123:124], v[137:138]
	s_clause 0x4
	buffer_load_dword v138, off, s[0:3], 0 offset:780
	buffer_load_dword v172, off, s[0:3], 0 offset:792
	;; [unrolled: 1-line block ×5, first 2 shown]
	s_waitcnt vmcnt(57) lgkmcnt(0)
	v_mul_f64 v[175:176], v[1:2], v[178:179]
	v_mul_f64 v[178:179], v[3:4], v[178:179]
	s_waitcnt vmcnt(56)
	v_fma_f64 v[147:148], v[5:6], v[149:150], -v[147:148]
	ds_read_b128 v[117:120], v159 offset:1408
	v_fma_f64 v[143:144], v[7:8], v[149:150], v[143:144]
	v_add_f64 v[121:122], v[121:122], v[155:156]
	v_add_f64 v[123:124], v[123:124], v[139:140]
	s_clause 0x2
	buffer_load_dword v173, off, s[0:3], 0 offset:796
	buffer_load_dword v140, off, s[0:3], 0 offset:772
	buffer_load_dword v139, off, s[0:3], 0 offset:768
	ds_read_b128 v[5:8], v159 offset:1424
	s_waitcnt vmcnt(58) lgkmcnt(1)
	v_mul_f64 v[155:156], v[119:120], v[180:181]
	s_waitcnt vmcnt(56)
	v_fma_f64 v[178:179], v[1:2], v[182:183], -v[178:179]
	v_mul_f64 v[149:150], v[117:118], v[180:181]
	v_add_f64 v[121:122], v[121:122], v[147:148]
	v_fma_f64 v[147:148], v[3:4], v[182:183], v[175:176]
	v_add_f64 v[123:124], v[123:124], v[143:144]
	s_clause 0x4
	buffer_load_dword v144, off, s[0:3], 0 offset:812
	buffer_load_dword v180, off, s[0:3], 0 offset:824
	;; [unrolled: 1-line block ×5, first 2 shown]
	s_waitcnt vmcnt(57) lgkmcnt(0)
	v_mul_f64 v[201:202], v[5:6], v[186:187]
	v_mul_f64 v[186:187], v[7:8], v[186:187]
	s_waitcnt vmcnt(56)
	v_fma_f64 v[155:156], v[117:118], v[157:158], -v[155:156]
	ds_read_b128 v[1:4], v159 offset:1440
	v_fma_f64 v[149:150], v[119:120], v[157:158], v[149:150]
	v_add_f64 v[121:122], v[121:122], v[178:179]
	v_add_f64 v[123:124], v[123:124], v[147:148]
	s_clause 0x2
	buffer_load_dword v181, off, s[0:3], 0 offset:828
	buffer_load_dword v148, off, s[0:3], 0 offset:804
	;; [unrolled: 1-line block ×3, first 2 shown]
	ds_read_b128 v[117:120], v159 offset:1456
	s_waitcnt vmcnt(58) lgkmcnt(1)
	v_mul_f64 v[178:179], v[3:4], v[188:189]
	s_waitcnt vmcnt(56)
	v_fma_f64 v[186:187], v[5:6], v[193:194], -v[186:187]
	v_mul_f64 v[157:158], v[1:2], v[188:189]
	v_add_f64 v[121:122], v[121:122], v[155:156]
	v_fma_f64 v[155:156], v[7:8], v[193:194], v[201:202]
	v_add_f64 v[123:124], v[123:124], v[149:150]
	s_clause 0x4
	buffer_load_dword v150, off, s[0:3], 0 offset:844
	buffer_load_dword v188, off, s[0:3], 0 offset:856
	buffer_load_dword v192, off, s[0:3], 0 offset:848
	buffer_load_dword v149, off, s[0:3], 0 offset:840
	buffer_load_dword v183, off, s[0:3], 0 offset:820
	ds_read_b128 v[5:8], v159 offset:1472
	s_waitcnt vmcnt(57) lgkmcnt(1)
	v_mul_f64 v[193:194], v[117:118], v[184:185]
	v_mul_f64 v[184:185], v[119:120], v[184:185]
	s_waitcnt vmcnt(56)
	v_fma_f64 v[178:179], v[1:2], v[190:191], -v[178:179]
	v_fma_f64 v[157:158], v[3:4], v[190:191], v[157:158]
	v_add_f64 v[121:122], v[121:122], v[186:187]
	v_add_f64 v[123:124], v[123:124], v[155:156]
	s_clause 0x2
	buffer_load_dword v189, off, s[0:3], 0 offset:860
	buffer_load_dword v156, off, s[0:3], 0 offset:836
	;; [unrolled: 1-line block ×3, first 2 shown]
	ds_read_b128 v[1:4], v159 offset:1488
	s_waitcnt vmcnt(58) lgkmcnt(1)
	v_mul_f64 v[190:191], v[7:8], v[197:198]
	v_mul_f64 v[186:187], v[5:6], v[197:198]
	s_waitcnt vmcnt(56)
	v_fma_f64 v[184:185], v[117:118], v[166:167], -v[184:185]
	v_fma_f64 v[166:167], v[119:120], v[166:167], v[193:194]
	v_add_f64 v[121:122], v[121:122], v[178:179]
	v_add_f64 v[123:124], v[123:124], v[157:158]
	s_clause 0x2
	buffer_load_dword v158, off, s[0:3], 0 offset:876
	buffer_load_dword v157, off, s[0:3], 0 offset:872
	;; [unrolled: 1-line block ×3, first 2 shown]
	ds_read_b128 v[117:120], v159 offset:1504
	s_waitcnt vmcnt(55) lgkmcnt(1)
	v_mul_f64 v[178:179], v[1:2], v[133:134]
	v_mul_f64 v[133:134], v[3:4], v[133:134]
	s_waitcnt vmcnt(54)
	v_fma_f64 v[190:191], v[5:6], v[199:200], -v[190:191]
	v_add_f64 v[121:122], v[121:122], v[184:185]
	v_fma_f64 v[184:185], v[7:8], v[199:200], v[186:187]
	v_add_f64 v[123:124], v[123:124], v[166:167]
	s_clause 0x1
	buffer_load_dword v167, off, s[0:3], 0 offset:868
	buffer_load_dword v166, off, s[0:3], 0 offset:864
	ds_read_b128 v[5:8], v159 offset:1520
	s_waitcnt vmcnt(55) lgkmcnt(1)
	v_mul_f64 v[186:187], v[117:118], v[168:169]
	v_mul_f64 v[168:169], v[119:120], v[168:169]
	s_waitcnt vmcnt(53)
	v_fma_f64 v[133:134], v[1:2], v[127:128], -v[133:134]
	v_fma_f64 v[127:128], v[3:4], v[127:128], v[178:179]
	ds_read_b128 v[1:4], v159 offset:1536
	v_add_f64 v[121:122], v[121:122], v[190:191]
	v_add_f64 v[123:124], v[123:124], v[184:185]
	s_waitcnt vmcnt(49) lgkmcnt(1)
	v_mul_f64 v[178:179], v[5:6], v[160:161]
	v_mul_f64 v[160:161], v[7:8], v[160:161]
	s_waitcnt vmcnt(48)
	v_fma_f64 v[168:169], v[117:118], v[195:196], -v[168:169]
	v_add_f64 v[121:122], v[121:122], v[133:134]
	v_fma_f64 v[133:134], v[119:120], v[195:196], v[186:187]
	v_add_f64 v[123:124], v[123:124], v[127:128]
	s_clause 0x3
	buffer_load_dword v127, off, s[0:3], 0 offset:320
	buffer_load_dword v128, off, s[0:3], 0 offset:324
	;; [unrolled: 1-line block ×4, first 2 shown]
	ds_read_b128 v[117:120], v159 offset:1552
	s_waitcnt vmcnt(51) lgkmcnt(1)
	v_mul_f64 v[186:187], v[1:2], v[162:163]
	v_mul_f64 v[162:163], v[3:4], v[162:163]
	s_waitcnt vmcnt(49)
	v_fma_f64 v[160:161], v[5:6], v[129:130], -v[160:161]
	v_fma_f64 v[129:130], v[7:8], v[129:130], v[178:179]
	ds_read_b128 v[5:8], v159 offset:1568
	v_add_f64 v[121:122], v[121:122], v[168:169]
	v_add_f64 v[123:124], v[123:124], v[133:134]
	s_waitcnt vmcnt(45) lgkmcnt(1)
	v_mul_f64 v[133:134], v[117:118], v[125:126]
	v_mul_f64 v[125:126], v[119:120], v[125:126]
	s_waitcnt vmcnt(44)
	v_fma_f64 v[162:163], v[1:2], v[170:171], -v[162:163]
	v_add_f64 v[121:122], v[121:122], v[160:161]
	v_fma_f64 v[160:161], v[3:4], v[170:171], v[186:187]
	v_add_f64 v[123:124], v[123:124], v[129:130]
	ds_read_b128 v[1:4], v159 offset:1584
	s_waitcnt vmcnt(43) lgkmcnt(1)
	v_mul_f64 v[129:130], v[5:6], v[145:146]
	v_mul_f64 v[145:146], v[7:8], v[145:146]
	s_waitcnt vmcnt(41)
	v_fma_f64 v[125:126], v[117:118], v[135:136], -v[125:126]
	v_fma_f64 v[133:134], v[119:120], v[135:136], v[133:134]
	ds_read_b128 v[117:120], v159 offset:1600
	v_add_f64 v[121:122], v[121:122], v[162:163]
	v_add_f64 v[123:124], v[123:124], v[160:161]
	s_waitcnt vmcnt(37) lgkmcnt(1)
	v_mul_f64 v[135:136], v[1:2], v[131:132]
	v_mul_f64 v[131:132], v[3:4], v[131:132]
	s_waitcnt vmcnt(36)
	v_fma_f64 v[145:146], v[5:6], v[164:165], -v[145:146]
	v_add_f64 v[121:122], v[121:122], v[125:126]
	v_fma_f64 v[125:126], v[7:8], v[164:165], v[129:130]
	v_add_f64 v[123:124], v[123:124], v[133:134]
	s_waitcnt vmcnt(35) lgkmcnt(0)
	v_mul_f64 v[133:134], v[119:120], v[151:152]
	ds_read_b128 v[5:8], v159 offset:1616
	v_mul_f64 v[129:130], v[117:118], v[151:152]
	s_waitcnt vmcnt(33)
	v_fma_f64 v[135:136], v[3:4], v[141:142], v[135:136]
	v_fma_f64 v[131:132], v[1:2], v[141:142], -v[131:132]
	ds_read_b128 v[1:4], v159 offset:1632
	v_add_f64 v[121:122], v[121:122], v[145:146]
	v_add_f64 v[123:124], v[123:124], v[125:126]
	s_waitcnt vmcnt(29) lgkmcnt(1)
	v_mul_f64 v[125:126], v[5:6], v[137:138]
	v_mul_f64 v[137:138], v[7:8], v[137:138]
	s_waitcnt vmcnt(28)
	v_fma_f64 v[133:134], v[117:118], v[153:154], -v[133:134]
	v_fma_f64 v[129:130], v[119:120], v[153:154], v[129:130]
	ds_read_b128 v[117:120], v159 offset:1648
	v_add_f64 v[121:122], v[121:122], v[131:132]
	v_add_f64 v[123:124], v[123:124], v[135:136]
	s_waitcnt vmcnt(27) lgkmcnt(1)
	v_mul_f64 v[135:136], v[3:4], v[172:173]
	v_mul_f64 v[131:132], v[1:2], v[172:173]
	s_waitcnt vmcnt(25)
	v_fma_f64 v[137:138], v[5:6], v[139:140], -v[137:138]
	v_fma_f64 v[125:126], v[7:8], v[139:140], v[125:126]
	ds_read_b128 v[5:8], v159 offset:1664
	v_add_f64 v[121:122], v[121:122], v[133:134]
	v_add_f64 v[123:124], v[123:124], v[129:130]
	s_waitcnt vmcnt(21) lgkmcnt(1)
	v_mul_f64 v[133:134], v[119:120], v[143:144]
	s_waitcnt vmcnt(20)
	v_fma_f64 v[135:136], v[1:2], v[174:175], -v[135:136]
	v_mul_f64 v[129:130], v[117:118], v[143:144]
	v_fma_f64 v[131:132], v[3:4], v[174:175], v[131:132]
	ds_read_b128 v[1:4], v159 offset:1680
	v_add_f64 v[121:122], v[121:122], v[137:138]
	v_add_f64 v[123:124], v[123:124], v[125:126]
	s_waitcnt vmcnt(19) lgkmcnt(1)
	v_mul_f64 v[137:138], v[7:8], v[180:181]
	v_mul_f64 v[125:126], v[5:6], v[180:181]
	s_waitcnt vmcnt(17)
	v_fma_f64 v[133:134], v[117:118], v[147:148], -v[133:134]
	v_fma_f64 v[129:130], v[119:120], v[147:148], v[129:130]
	ds_read_b128 v[117:120], v159 offset:1696
	v_add_f64 v[121:122], v[121:122], v[135:136]
	v_add_f64 v[123:124], v[123:124], v[131:132]
	s_waitcnt vmcnt(13) lgkmcnt(1)
	v_mul_f64 v[135:136], v[3:4], v[149:150]
	s_waitcnt vmcnt(12)
	v_fma_f64 v[137:138], v[5:6], v[182:183], -v[137:138]
	v_mul_f64 v[131:132], v[1:2], v[149:150]
	v_fma_f64 v[125:126], v[7:8], v[182:183], v[125:126]
	ds_read_b128 v[5:8], v159 offset:1712
	v_add_f64 v[121:122], v[121:122], v[133:134]
	v_add_f64 v[123:124], v[123:124], v[129:130]
	s_waitcnt vmcnt(11) lgkmcnt(1)
	v_mul_f64 v[133:134], v[119:120], v[188:189]
	v_mul_f64 v[129:130], v[117:118], v[188:189]
	s_waitcnt vmcnt(9)
	v_fma_f64 v[1:2], v[1:2], v[155:156], -v[135:136]
	v_fma_f64 v[3:4], v[3:4], v[155:156], v[131:132]
	v_add_f64 v[121:122], v[121:122], v[137:138]
	v_add_f64 v[123:124], v[123:124], v[125:126]
	s_waitcnt vmcnt(7) lgkmcnt(0)
	v_mul_f64 v[131:132], v[7:8], v[157:158]
	s_waitcnt vmcnt(6)
	v_fma_f64 v[117:118], v[117:118], v[192:193], -v[133:134]
	v_mul_f64 v[125:126], v[5:6], v[157:158]
	v_fma_f64 v[119:120], v[119:120], v[192:193], v[129:130]
	v_add_f64 v[1:2], v[121:122], v[1:2]
	v_add_f64 v[3:4], v[123:124], v[3:4]
	s_waitcnt vmcnt(4)
	v_fma_f64 v[5:6], v[5:6], v[166:167], -v[131:132]
	v_fma_f64 v[7:8], v[7:8], v[166:167], v[125:126]
	v_add_f64 v[1:2], v[1:2], v[117:118]
	v_add_f64 v[3:4], v[3:4], v[119:120]
	;; [unrolled: 1-line block ×4, first 2 shown]
	s_waitcnt vmcnt(2)
	v_add_f64 v[1:2], v[127:128], -v[1:2]
	s_waitcnt vmcnt(0)
	v_add_f64 v[3:4], v[184:185], -v[3:4]
	buffer_store_dword v2, off, s[0:3], 0 offset:324
	buffer_store_dword v1, off, s[0:3], 0 offset:320
	;; [unrolled: 1-line block ×4, first 2 shown]
	v_cmpx_lt_u32_e32 18, v0
	s_cbranch_execz .LBB117_301
; %bb.300:
	v_mov_b32_e32 v4, s48
	v_mov_b32_e32 v5, 0
	s_clause 0x3
	buffer_load_dword v1, v4, s[0:3], 0 offen
	buffer_load_dword v2, v4, s[0:3], 0 offen offset:4
	buffer_load_dword v3, v4, s[0:3], 0 offen offset:8
	buffer_load_dword v4, v4, s[0:3], 0 offen offset:12
	buffer_store_dword v5, off, s[0:3], 0 offset:304
	buffer_store_dword v5, off, s[0:3], 0 offset:308
	;; [unrolled: 1-line block ×4, first 2 shown]
	s_waitcnt vmcnt(0)
	ds_write_b128 v177, v[1:4]
.LBB117_301:
	s_or_b32 exec_lo, exec_lo, s4
	s_waitcnt lgkmcnt(0)
	s_waitcnt_vscnt null, 0x0
	s_barrier
	buffer_gl0_inv
	s_clause 0x37
	buffer_load_dword v117, off, s[0:3], 0 offset:328
	buffer_load_dword v118, off, s[0:3], 0 offset:332
	;; [unrolled: 1-line block ×56, first 2 shown]
	v_mov_b32_e32 v169, 0
	s_mov_b32 s4, exec_lo
	ds_read_b128 v[170:173], v169 offset:1168
	s_clause 0x2
	buffer_load_dword v166, off, s[0:3], 0 offset:556
	buffer_load_dword v168, off, s[0:3], 0 offset:532
	;; [unrolled: 1-line block ×3, first 2 shown]
	ds_read_b128 v[178:181], v169 offset:1184
	s_clause 0x4
	buffer_load_dword v187, off, s[0:3], 0 offset:572
	buffer_load_dword v188, off, s[0:3], 0 offset:584
	;; [unrolled: 1-line block ×5, first 2 shown]
	ds_read_b128 v[182:185], v169 offset:1200
	s_clause 0x2
	buffer_load_dword v189, off, s[0:3], 0 offset:588
	buffer_load_dword v194, off, s[0:3], 0 offset:564
	;; [unrolled: 1-line block ×3, first 2 shown]
	s_waitcnt vmcnt(62) lgkmcnt(2)
	v_mul_f64 v[174:175], v[172:173], v[117:118]
	v_mul_f64 v[117:118], v[170:171], v[117:118]
	s_waitcnt lgkmcnt(1)
	v_mul_f64 v[191:192], v[180:181], v[5:6]
	s_waitcnt vmcnt(59) lgkmcnt(0)
	v_mul_f64 v[195:196], v[184:185], v[3:4]
	v_fma_f64 v[170:171], v[170:171], v[7:8], -v[174:175]
	v_mul_f64 v[174:175], v[178:179], v[5:6]
	v_fma_f64 v[117:118], v[172:173], v[7:8], v[117:118]
	s_waitcnt vmcnt(57)
	v_fma_f64 v[178:179], v[178:179], v[1:2], -v[191:192]
	ds_read_b128 v[5:8], v169 offset:1216
	v_mul_f64 v[172:173], v[182:183], v[3:4]
	s_waitcnt vmcnt(51)
	v_fma_f64 v[182:183], v[182:183], v[133:134], -v[195:196]
	v_add_f64 v[170:171], v[170:171], 0
	v_fma_f64 v[174:175], v[180:181], v[1:2], v[174:175]
	v_add_f64 v[117:118], v[117:118], 0
	s_clause 0x4
	buffer_load_dword v181, off, s[0:3], 0 offset:604
	buffer_load_dword v197, off, s[0:3], 0 offset:616
	;; [unrolled: 1-line block ×5, first 2 shown]
	s_waitcnt lgkmcnt(0)
	v_mul_f64 v[200:201], v[5:6], v[121:122]
	v_mul_f64 v[121:122], v[7:8], v[121:122]
	ds_read_b128 v[1:4], v169 offset:1232
	v_fma_f64 v[133:134], v[184:185], v[133:134], v[172:173]
	v_add_f64 v[178:179], v[170:171], v[178:179]
	v_add_f64 v[117:118], v[117:118], v[174:175]
	s_clause 0x2
	buffer_load_dword v198, off, s[0:3], 0 offset:620
	buffer_load_dword v175, off, s[0:3], 0 offset:596
	;; [unrolled: 1-line block ×3, first 2 shown]
	s_waitcnt vmcnt(58) lgkmcnt(0)
	v_mul_f64 v[184:185], v[1:2], v[125:126]
	v_mul_f64 v[125:126], v[3:4], v[125:126]
	s_waitcnt vmcnt(56)
	v_fma_f64 v[121:122], v[5:6], v[127:128], -v[121:122]
	ds_read_b128 v[170:173], v169 offset:1248
	v_fma_f64 v[127:128], v[7:8], v[127:128], v[200:201]
	v_add_f64 v[178:179], v[178:179], v[182:183]
	v_add_f64 v[117:118], v[117:118], v[133:134]
	s_clause 0x4
	buffer_load_dword v134, off, s[0:3], 0 offset:636
	buffer_load_dword v182, off, s[0:3], 0 offset:648
	;; [unrolled: 1-line block ×5, first 2 shown]
	ds_read_b128 v[5:8], v169 offset:1264
	s_waitcnt vmcnt(57) lgkmcnt(1)
	v_mul_f64 v[201:202], v[170:171], v[129:130]
	v_mul_f64 v[129:130], v[172:173], v[129:130]
	s_waitcnt vmcnt(56)
	v_fma_f64 v[125:126], v[1:2], v[119:120], -v[125:126]
	v_fma_f64 v[119:120], v[3:4], v[119:120], v[184:185]
	v_add_f64 v[121:122], v[178:179], v[121:122]
	v_add_f64 v[117:118], v[117:118], v[127:128]
	s_clause 0x2
	buffer_load_dword v183, off, s[0:3], 0 offset:652
	buffer_load_dword v128, off, s[0:3], 0 offset:628
	;; [unrolled: 1-line block ×3, first 2 shown]
	s_waitcnt vmcnt(58) lgkmcnt(0)
	v_mul_f64 v[178:179], v[5:6], v[135:136]
	v_mul_f64 v[135:136], v[7:8], v[135:136]
	s_waitcnt vmcnt(56)
	v_fma_f64 v[129:130], v[170:171], v[137:138], -v[129:130]
	ds_read_b128 v[1:4], v169 offset:1280
	v_add_f64 v[121:122], v[121:122], v[125:126]
	v_fma_f64 v[125:126], v[172:173], v[137:138], v[201:202]
	v_add_f64 v[137:138], v[117:118], v[119:120]
	s_clause 0x4
	buffer_load_dword v171, off, s[0:3], 0 offset:668
	buffer_load_dword v172, off, s[0:3], 0 offset:680
	;; [unrolled: 1-line block ×5, first 2 shown]
	ds_read_b128 v[117:120], v169 offset:1296
	s_waitcnt vmcnt(57) lgkmcnt(1)
	v_mul_f64 v[201:202], v[1:2], v[139:140]
	v_mul_f64 v[139:140], v[3:4], v[139:140]
	s_waitcnt vmcnt(56)
	v_fma_f64 v[135:136], v[5:6], v[123:124], -v[135:136]
	v_fma_f64 v[123:124], v[7:8], v[123:124], v[178:179]
	v_add_f64 v[121:122], v[121:122], v[129:130]
	s_clause 0x2
	buffer_load_dword v173, off, s[0:3], 0 offset:684
	buffer_load_dword v130, off, s[0:3], 0 offset:660
	;; [unrolled: 1-line block ×3, first 2 shown]
	v_add_f64 v[125:126], v[137:138], v[125:126]
	s_waitcnt vmcnt(58) lgkmcnt(0)
	v_mul_f64 v[137:138], v[117:118], v[143:144]
	v_mul_f64 v[143:144], v[119:120], v[143:144]
	ds_read_b128 v[5:8], v169 offset:1312
	s_waitcnt vmcnt(56)
	v_fma_f64 v[139:140], v[1:2], v[145:146], -v[139:140]
	v_add_f64 v[121:122], v[121:122], v[135:136]
	v_fma_f64 v[135:136], v[3:4], v[145:146], v[201:202]
	v_add_f64 v[123:124], v[125:126], v[123:124]
	s_clause 0x4
	buffer_load_dword v126, off, s[0:3], 0 offset:700
	buffer_load_dword v145, off, s[0:3], 0 offset:712
	;; [unrolled: 1-line block ×5, first 2 shown]
	s_waitcnt vmcnt(57) lgkmcnt(0)
	v_mul_f64 v[201:202], v[5:6], v[147:148]
	v_mul_f64 v[147:148], v[7:8], v[147:148]
	s_waitcnt vmcnt(56)
	v_fma_f64 v[143:144], v[117:118], v[131:132], -v[143:144]
	ds_read_b128 v[1:4], v169 offset:1328
	v_fma_f64 v[131:132], v[119:120], v[131:132], v[137:138]
	v_add_f64 v[121:122], v[121:122], v[139:140]
	v_add_f64 v[123:124], v[123:124], v[135:136]
	s_clause 0x2
	buffer_load_dword v146, off, s[0:3], 0 offset:716
	buffer_load_dword v136, off, s[0:3], 0 offset:692
	;; [unrolled: 1-line block ×3, first 2 shown]
	ds_read_b128 v[117:120], v169 offset:1344
	s_waitcnt vmcnt(58) lgkmcnt(1)
	v_mul_f64 v[139:140], v[3:4], v[151:152]
	s_waitcnt vmcnt(56)
	v_fma_f64 v[147:148], v[5:6], v[153:154], -v[147:148]
	v_mul_f64 v[137:138], v[1:2], v[151:152]
	v_add_f64 v[121:122], v[121:122], v[143:144]
	v_fma_f64 v[143:144], v[7:8], v[153:154], v[201:202]
	v_add_f64 v[123:124], v[123:124], v[131:132]
	s_clause 0x4
	buffer_load_dword v132, off, s[0:3], 0 offset:732
	buffer_load_dword v151, off, s[0:3], 0 offset:744
	;; [unrolled: 1-line block ×5, first 2 shown]
	s_waitcnt vmcnt(57) lgkmcnt(0)
	v_mul_f64 v[201:202], v[117:118], v[155:156]
	v_mul_f64 v[154:155], v[119:120], v[155:156]
	s_waitcnt vmcnt(56)
	v_fma_f64 v[139:140], v[1:2], v[141:142], -v[139:140]
	ds_read_b128 v[5:8], v169 offset:1360
	v_fma_f64 v[137:138], v[3:4], v[141:142], v[137:138]
	s_clause 0x2
	buffer_load_dword v152, off, s[0:3], 0 offset:748
	buffer_load_dword v142, off, s[0:3], 0 offset:724
	;; [unrolled: 1-line block ×3, first 2 shown]
	ds_read_b128 v[1:4], v169 offset:1376
	v_add_f64 v[121:122], v[121:122], v[147:148]
	v_add_f64 v[123:124], v[123:124], v[143:144]
	s_waitcnt vmcnt(58) lgkmcnt(1)
	v_mul_f64 v[147:148], v[7:8], v[159:160]
	s_waitcnt vmcnt(56)
	v_fma_f64 v[155:156], v[117:118], v[161:162], -v[154:155]
	v_mul_f64 v[143:144], v[5:6], v[159:160]
	v_add_f64 v[121:122], v[121:122], v[139:140]
	v_fma_f64 v[139:140], v[119:120], v[161:162], v[201:202]
	v_add_f64 v[123:124], v[123:124], v[137:138]
	s_clause 0x4
	buffer_load_dword v138, off, s[0:3], 0 offset:764
	buffer_load_dword v159, off, s[0:3], 0 offset:776
	;; [unrolled: 1-line block ×5, first 2 shown]
	s_waitcnt vmcnt(57) lgkmcnt(0)
	v_mul_f64 v[201:202], v[1:2], v[163:164]
	v_mul_f64 v[162:163], v[3:4], v[163:164]
	s_waitcnt vmcnt(56)
	v_fma_f64 v[147:148], v[5:6], v[149:150], -v[147:148]
	ds_read_b128 v[117:120], v169 offset:1392
	v_fma_f64 v[143:144], v[7:8], v[149:150], v[143:144]
	v_add_f64 v[121:122], v[121:122], v[155:156]
	v_add_f64 v[123:124], v[123:124], v[139:140]
	s_clause 0x2
	buffer_load_dword v160, off, s[0:3], 0 offset:780
	buffer_load_dword v140, off, s[0:3], 0 offset:756
	;; [unrolled: 1-line block ×3, first 2 shown]
	ds_read_b128 v[5:8], v169 offset:1408
	s_waitcnt vmcnt(58) lgkmcnt(1)
	v_mul_f64 v[155:156], v[119:120], v[165:166]
	s_waitcnt vmcnt(56)
	v_fma_f64 v[163:164], v[1:2], v[167:168], -v[162:163]
	v_mul_f64 v[149:150], v[117:118], v[165:166]
	v_add_f64 v[121:122], v[121:122], v[147:148]
	v_fma_f64 v[147:148], v[3:4], v[167:168], v[201:202]
	v_add_f64 v[123:124], v[123:124], v[143:144]
	s_clause 0x4
	buffer_load_dword v144, off, s[0:3], 0 offset:796
	buffer_load_dword v165, off, s[0:3], 0 offset:808
	;; [unrolled: 1-line block ×5, first 2 shown]
	s_waitcnt vmcnt(57) lgkmcnt(0)
	v_mul_f64 v[201:202], v[5:6], v[186:187]
	v_mul_f64 v[186:187], v[7:8], v[186:187]
	s_waitcnt vmcnt(56)
	v_fma_f64 v[155:156], v[117:118], v[157:158], -v[155:156]
	ds_read_b128 v[1:4], v169 offset:1424
	v_fma_f64 v[149:150], v[119:120], v[157:158], v[149:150]
	v_add_f64 v[121:122], v[121:122], v[163:164]
	v_add_f64 v[123:124], v[123:124], v[147:148]
	s_clause 0x2
	buffer_load_dword v166, off, s[0:3], 0 offset:812
	buffer_load_dword v148, off, s[0:3], 0 offset:788
	;; [unrolled: 1-line block ×3, first 2 shown]
	ds_read_b128 v[117:120], v169 offset:1440
	s_waitcnt vmcnt(58) lgkmcnt(1)
	v_mul_f64 v[163:164], v[3:4], v[188:189]
	s_waitcnt vmcnt(56)
	v_fma_f64 v[186:187], v[5:6], v[193:194], -v[186:187]
	v_mul_f64 v[157:158], v[1:2], v[188:189]
	v_add_f64 v[121:122], v[121:122], v[155:156]
	v_fma_f64 v[155:156], v[7:8], v[193:194], v[201:202]
	v_add_f64 v[123:124], v[123:124], v[149:150]
	s_clause 0x4
	buffer_load_dword v150, off, s[0:3], 0 offset:828
	buffer_load_dword v188, off, s[0:3], 0 offset:840
	;; [unrolled: 1-line block ×5, first 2 shown]
	ds_read_b128 v[5:8], v169 offset:1456
	s_waitcnt vmcnt(57) lgkmcnt(1)
	v_mul_f64 v[193:194], v[117:118], v[180:181]
	v_mul_f64 v[180:181], v[119:120], v[180:181]
	s_waitcnt vmcnt(56)
	v_fma_f64 v[163:164], v[1:2], v[190:191], -v[163:164]
	v_fma_f64 v[157:158], v[3:4], v[190:191], v[157:158]
	v_add_f64 v[121:122], v[121:122], v[186:187]
	v_add_f64 v[123:124], v[123:124], v[155:156]
	s_clause 0x2
	buffer_load_dword v189, off, s[0:3], 0 offset:844
	buffer_load_dword v156, off, s[0:3], 0 offset:820
	;; [unrolled: 1-line block ×3, first 2 shown]
	ds_read_b128 v[1:4], v169 offset:1472
	s_waitcnt vmcnt(58) lgkmcnt(1)
	v_mul_f64 v[190:191], v[7:8], v[197:198]
	v_mul_f64 v[186:187], v[5:6], v[197:198]
	s_waitcnt vmcnt(56)
	v_fma_f64 v[180:181], v[117:118], v[174:175], -v[180:181]
	v_add_f64 v[121:122], v[121:122], v[163:164]
	v_fma_f64 v[163:164], v[119:120], v[174:175], v[193:194]
	v_add_f64 v[123:124], v[123:124], v[157:158]
	s_clause 0x4
	buffer_load_dword v158, off, s[0:3], 0 offset:860
	buffer_load_dword v174, off, s[0:3], 0 offset:872
	;; [unrolled: 1-line block ×5, first 2 shown]
	ds_read_b128 v[117:120], v169 offset:1488
	s_waitcnt vmcnt(57) lgkmcnt(1)
	v_mul_f64 v[201:202], v[1:2], v[133:134]
	v_mul_f64 v[133:134], v[3:4], v[133:134]
	s_waitcnt vmcnt(56)
	v_fma_f64 v[190:191], v[5:6], v[199:200], -v[190:191]
	v_add_f64 v[121:122], v[121:122], v[180:181]
	v_fma_f64 v[180:181], v[7:8], v[199:200], v[186:187]
	v_add_f64 v[123:124], v[123:124], v[163:164]
	s_clause 0x2
	buffer_load_dword v175, off, s[0:3], 0 offset:876
	buffer_load_dword v164, off, s[0:3], 0 offset:852
	;; [unrolled: 1-line block ×3, first 2 shown]
	ds_read_b128 v[5:8], v169 offset:1504
	buffer_load_dword v198, off, s[0:3], 0 offset:868
	s_waitcnt vmcnt(59) lgkmcnt(1)
	v_mul_f64 v[186:187], v[117:118], v[182:183]
	v_mul_f64 v[182:183], v[119:120], v[182:183]
	s_waitcnt vmcnt(57)
	v_fma_f64 v[133:134], v[1:2], v[127:128], -v[133:134]
	v_fma_f64 v[127:128], v[3:4], v[127:128], v[201:202]
	ds_read_b128 v[1:4], v169 offset:1520
	v_add_f64 v[121:122], v[121:122], v[190:191]
	v_add_f64 v[123:124], v[123:124], v[180:181]
	s_waitcnt vmcnt(53) lgkmcnt(1)
	v_mul_f64 v[180:181], v[5:6], v[170:171]
	v_mul_f64 v[170:171], v[7:8], v[170:171]
	s_waitcnt vmcnt(52)
	v_fma_f64 v[182:183], v[117:118], v[195:196], -v[182:183]
	v_add_f64 v[121:122], v[121:122], v[133:134]
	v_fma_f64 v[133:134], v[119:120], v[195:196], v[186:187]
	v_add_f64 v[123:124], v[123:124], v[127:128]
	ds_read_b128 v[117:120], v169 offset:1536
	s_waitcnt vmcnt(51) lgkmcnt(1)
	v_mul_f64 v[127:128], v[1:2], v[172:173]
	v_mul_f64 v[172:173], v[3:4], v[172:173]
	s_waitcnt vmcnt(49)
	v_fma_f64 v[170:171], v[5:6], v[129:130], -v[170:171]
	v_fma_f64 v[129:130], v[7:8], v[129:130], v[180:181]
	v_add_f64 v[121:122], v[121:122], v[182:183]
	v_add_f64 v[123:124], v[123:124], v[133:134]
	s_clause 0x3
	buffer_load_dword v133, off, s[0:3], 0 offset:304
	buffer_load_dword v134, off, s[0:3], 0 offset:308
	;; [unrolled: 1-line block ×4, first 2 shown]
	ds_read_b128 v[5:8], v169 offset:1552
	s_waitcnt vmcnt(49) lgkmcnt(1)
	v_mul_f64 v[182:183], v[117:118], v[125:126]
	v_mul_f64 v[125:126], v[119:120], v[125:126]
	s_waitcnt vmcnt(48)
	v_fma_f64 v[172:173], v[1:2], v[184:185], -v[172:173]
	v_fma_f64 v[127:128], v[3:4], v[184:185], v[127:128]
	ds_read_b128 v[1:4], v169 offset:1568
	v_add_f64 v[121:122], v[121:122], v[170:171]
	v_add_f64 v[123:124], v[123:124], v[129:130]
	s_waitcnt vmcnt(47) lgkmcnt(1)
	v_mul_f64 v[129:130], v[5:6], v[145:146]
	v_mul_f64 v[145:146], v[7:8], v[145:146]
	s_waitcnt vmcnt(45)
	v_fma_f64 v[125:126], v[117:118], v[135:136], -v[125:126]
	v_fma_f64 v[135:136], v[119:120], v[135:136], v[182:183]
	ds_read_b128 v[117:120], v169 offset:1584
	v_add_f64 v[121:122], v[121:122], v[172:173]
	v_add_f64 v[123:124], v[123:124], v[127:128]
	s_waitcnt vmcnt(41) lgkmcnt(1)
	v_mul_f64 v[127:128], v[1:2], v[131:132]
	v_mul_f64 v[131:132], v[3:4], v[131:132]
	s_waitcnt vmcnt(40)
	v_fma_f64 v[145:146], v[5:6], v[178:179], -v[145:146]
	v_add_f64 v[121:122], v[121:122], v[125:126]
	v_fma_f64 v[125:126], v[7:8], v[178:179], v[129:130]
	v_add_f64 v[123:124], v[123:124], v[135:136]
	ds_read_b128 v[5:8], v169 offset:1600
	s_waitcnt vmcnt(39) lgkmcnt(1)
	v_mul_f64 v[135:136], v[119:120], v[151:152]
	v_mul_f64 v[129:130], v[117:118], v[151:152]
	s_waitcnt vmcnt(37)
	v_fma_f64 v[127:128], v[3:4], v[141:142], v[127:128]
	v_fma_f64 v[131:132], v[1:2], v[141:142], -v[131:132]
	ds_read_b128 v[1:4], v169 offset:1616
	v_add_f64 v[121:122], v[121:122], v[145:146]
	v_add_f64 v[123:124], v[123:124], v[125:126]
	s_waitcnt vmcnt(33) lgkmcnt(1)
	v_mul_f64 v[125:126], v[5:6], v[137:138]
	v_mul_f64 v[137:138], v[7:8], v[137:138]
	s_waitcnt vmcnt(32)
	v_fma_f64 v[135:136], v[117:118], v[153:154], -v[135:136]
	v_fma_f64 v[129:130], v[119:120], v[153:154], v[129:130]
	ds_read_b128 v[117:120], v169 offset:1632
	v_add_f64 v[121:122], v[121:122], v[131:132]
	v_add_f64 v[123:124], v[123:124], v[127:128]
	s_waitcnt vmcnt(31) lgkmcnt(1)
	v_mul_f64 v[131:132], v[3:4], v[159:160]
	v_mul_f64 v[127:128], v[1:2], v[159:160]
	s_waitcnt vmcnt(29)
	v_fma_f64 v[137:138], v[5:6], v[139:140], -v[137:138]
	v_fma_f64 v[125:126], v[7:8], v[139:140], v[125:126]
	ds_read_b128 v[5:8], v169 offset:1648
	v_add_f64 v[121:122], v[121:122], v[135:136]
	v_add_f64 v[123:124], v[123:124], v[129:130]
	s_waitcnt vmcnt(25) lgkmcnt(1)
	v_mul_f64 v[135:136], v[119:120], v[143:144]
	s_waitcnt vmcnt(24)
	v_fma_f64 v[131:132], v[1:2], v[161:162], -v[131:132]
	v_mul_f64 v[129:130], v[117:118], v[143:144]
	v_fma_f64 v[127:128], v[3:4], v[161:162], v[127:128]
	ds_read_b128 v[1:4], v169 offset:1664
	v_add_f64 v[121:122], v[121:122], v[137:138]
	v_add_f64 v[123:124], v[123:124], v[125:126]
	s_waitcnt vmcnt(23) lgkmcnt(1)
	v_mul_f64 v[137:138], v[7:8], v[165:166]
	v_mul_f64 v[125:126], v[5:6], v[165:166]
	s_waitcnt vmcnt(21)
	v_fma_f64 v[135:136], v[117:118], v[147:148], -v[135:136]
	v_fma_f64 v[129:130], v[119:120], v[147:148], v[129:130]
	ds_read_b128 v[117:120], v169 offset:1680
	v_add_f64 v[121:122], v[121:122], v[131:132]
	v_add_f64 v[123:124], v[123:124], v[127:128]
	s_waitcnt vmcnt(17) lgkmcnt(1)
	v_mul_f64 v[131:132], v[3:4], v[149:150]
	s_waitcnt vmcnt(16)
	v_fma_f64 v[137:138], v[5:6], v[167:168], -v[137:138]
	v_mul_f64 v[127:128], v[1:2], v[149:150]
	;; [unrolled: 18-line block ×3, first 2 shown]
	v_fma_f64 v[119:120], v[119:120], v[192:193], v[129:130]
	v_add_f64 v[121:122], v[121:122], v[131:132]
	v_add_f64 v[123:124], v[123:124], v[127:128]
	s_waitcnt vmcnt(7) lgkmcnt(0)
	v_mul_f64 v[129:130], v[3:4], v[174:175]
	v_mul_f64 v[127:128], v[1:2], v[174:175]
	s_waitcnt vmcnt(5)
	v_fma_f64 v[5:6], v[5:6], v[163:164], -v[137:138]
	v_fma_f64 v[7:8], v[7:8], v[163:164], v[125:126]
	v_add_f64 v[117:118], v[121:122], v[117:118]
	v_add_f64 v[119:120], v[123:124], v[119:120]
	s_waitcnt vmcnt(4)
	v_fma_f64 v[1:2], v[1:2], v[197:198], -v[129:130]
	v_fma_f64 v[3:4], v[3:4], v[197:198], v[127:128]
	v_add_f64 v[5:6], v[117:118], v[5:6]
	v_add_f64 v[7:8], v[119:120], v[7:8]
	;; [unrolled: 1-line block ×4, first 2 shown]
	s_waitcnt vmcnt(2)
	v_add_f64 v[1:2], v[133:134], -v[1:2]
	s_waitcnt vmcnt(0)
	v_add_f64 v[3:4], v[180:181], -v[3:4]
	buffer_store_dword v2, off, s[0:3], 0 offset:308
	buffer_store_dword v1, off, s[0:3], 0 offset:304
	;; [unrolled: 1-line block ×4, first 2 shown]
	v_cmpx_lt_u32_e32 17, v0
	s_cbranch_execz .LBB117_303
; %bb.302:
	v_mov_b32_e32 v4, s49
	s_clause 0x3
	buffer_load_dword v1, v4, s[0:3], 0 offen
	buffer_load_dword v2, v4, s[0:3], 0 offen offset:4
	buffer_load_dword v3, v4, s[0:3], 0 offen offset:8
	buffer_load_dword v4, v4, s[0:3], 0 offen offset:12
	buffer_store_dword v169, off, s[0:3], 0 offset:288
	buffer_store_dword v169, off, s[0:3], 0 offset:292
	;; [unrolled: 1-line block ×4, first 2 shown]
	s_waitcnt vmcnt(0)
	ds_write_b128 v177, v[1:4]
.LBB117_303:
	s_or_b32 exec_lo, exec_lo, s4
	s_waitcnt lgkmcnt(0)
	s_waitcnt_vscnt null, 0x0
	s_barrier
	buffer_gl0_inv
	s_clause 0x37
	buffer_load_dword v117, off, s[0:3], 0 offset:312
	buffer_load_dword v118, off, s[0:3], 0 offset:316
	;; [unrolled: 1-line block ×56, first 2 shown]
	ds_read_b128 v[170:173], v169 offset:1152
	s_clause 0x2
	buffer_load_dword v166, off, s[0:3], 0 offset:540
	buffer_load_dword v168, off, s[0:3], 0 offset:516
	;; [unrolled: 1-line block ×3, first 2 shown]
	ds_read_b128 v[178:181], v169 offset:1168
	s_clause 0x4
	buffer_load_dword v187, off, s[0:3], 0 offset:556
	buffer_load_dword v188, off, s[0:3], 0 offset:568
	;; [unrolled: 1-line block ×5, first 2 shown]
	ds_read_b128 v[182:185], v169 offset:1184
	s_clause 0x2
	buffer_load_dword v189, off, s[0:3], 0 offset:572
	buffer_load_dword v194, off, s[0:3], 0 offset:548
	;; [unrolled: 1-line block ×3, first 2 shown]
	s_mov_b32 s4, exec_lo
	s_waitcnt vmcnt(62) lgkmcnt(2)
	v_mul_f64 v[174:175], v[172:173], v[117:118]
	v_mul_f64 v[117:118], v[170:171], v[117:118]
	s_waitcnt lgkmcnt(1)
	v_mul_f64 v[191:192], v[180:181], v[5:6]
	s_waitcnt vmcnt(59) lgkmcnt(0)
	v_mul_f64 v[195:196], v[184:185], v[3:4]
	v_fma_f64 v[170:171], v[170:171], v[7:8], -v[174:175]
	v_mul_f64 v[174:175], v[178:179], v[5:6]
	v_fma_f64 v[117:118], v[172:173], v[7:8], v[117:118]
	s_waitcnt vmcnt(57)
	v_fma_f64 v[178:179], v[178:179], v[1:2], -v[191:192]
	ds_read_b128 v[5:8], v169 offset:1200
	v_mul_f64 v[172:173], v[182:183], v[3:4]
	s_waitcnt vmcnt(51)
	v_fma_f64 v[182:183], v[182:183], v[133:134], -v[195:196]
	v_add_f64 v[170:171], v[170:171], 0
	v_fma_f64 v[174:175], v[180:181], v[1:2], v[174:175]
	v_add_f64 v[117:118], v[117:118], 0
	s_clause 0x4
	buffer_load_dword v181, off, s[0:3], 0 offset:588
	buffer_load_dword v197, off, s[0:3], 0 offset:600
	;; [unrolled: 1-line block ×5, first 2 shown]
	s_waitcnt lgkmcnt(0)
	v_mul_f64 v[200:201], v[5:6], v[121:122]
	v_mul_f64 v[121:122], v[7:8], v[121:122]
	ds_read_b128 v[1:4], v169 offset:1216
	v_fma_f64 v[133:134], v[184:185], v[133:134], v[172:173]
	v_add_f64 v[178:179], v[170:171], v[178:179]
	v_add_f64 v[117:118], v[117:118], v[174:175]
	s_clause 0x2
	buffer_load_dword v198, off, s[0:3], 0 offset:604
	buffer_load_dword v175, off, s[0:3], 0 offset:580
	;; [unrolled: 1-line block ×3, first 2 shown]
	s_waitcnt vmcnt(58) lgkmcnt(0)
	v_mul_f64 v[184:185], v[1:2], v[125:126]
	v_mul_f64 v[125:126], v[3:4], v[125:126]
	s_waitcnt vmcnt(56)
	v_fma_f64 v[121:122], v[5:6], v[127:128], -v[121:122]
	ds_read_b128 v[170:173], v169 offset:1232
	v_fma_f64 v[127:128], v[7:8], v[127:128], v[200:201]
	v_add_f64 v[178:179], v[178:179], v[182:183]
	v_add_f64 v[117:118], v[117:118], v[133:134]
	s_clause 0x4
	buffer_load_dword v134, off, s[0:3], 0 offset:620
	buffer_load_dword v182, off, s[0:3], 0 offset:632
	;; [unrolled: 1-line block ×5, first 2 shown]
	ds_read_b128 v[5:8], v169 offset:1248
	s_waitcnt vmcnt(57) lgkmcnt(1)
	v_mul_f64 v[201:202], v[170:171], v[129:130]
	v_mul_f64 v[129:130], v[172:173], v[129:130]
	s_waitcnt vmcnt(56)
	v_fma_f64 v[125:126], v[1:2], v[119:120], -v[125:126]
	v_fma_f64 v[119:120], v[3:4], v[119:120], v[184:185]
	v_add_f64 v[121:122], v[178:179], v[121:122]
	v_add_f64 v[117:118], v[117:118], v[127:128]
	s_clause 0x2
	buffer_load_dword v183, off, s[0:3], 0 offset:636
	buffer_load_dword v128, off, s[0:3], 0 offset:612
	;; [unrolled: 1-line block ×3, first 2 shown]
	s_waitcnt vmcnt(58) lgkmcnt(0)
	v_mul_f64 v[178:179], v[5:6], v[135:136]
	v_mul_f64 v[135:136], v[7:8], v[135:136]
	s_waitcnt vmcnt(56)
	v_fma_f64 v[129:130], v[170:171], v[137:138], -v[129:130]
	ds_read_b128 v[1:4], v169 offset:1264
	v_add_f64 v[121:122], v[121:122], v[125:126]
	v_fma_f64 v[125:126], v[172:173], v[137:138], v[201:202]
	v_add_f64 v[137:138], v[117:118], v[119:120]
	s_clause 0x4
	buffer_load_dword v171, off, s[0:3], 0 offset:652
	buffer_load_dword v172, off, s[0:3], 0 offset:664
	;; [unrolled: 1-line block ×5, first 2 shown]
	ds_read_b128 v[117:120], v169 offset:1280
	s_waitcnt vmcnt(57) lgkmcnt(1)
	v_mul_f64 v[201:202], v[1:2], v[139:140]
	v_mul_f64 v[139:140], v[3:4], v[139:140]
	s_waitcnt vmcnt(56)
	v_fma_f64 v[135:136], v[5:6], v[123:124], -v[135:136]
	v_fma_f64 v[123:124], v[7:8], v[123:124], v[178:179]
	v_add_f64 v[121:122], v[121:122], v[129:130]
	s_clause 0x2
	buffer_load_dword v173, off, s[0:3], 0 offset:668
	buffer_load_dword v130, off, s[0:3], 0 offset:644
	;; [unrolled: 1-line block ×3, first 2 shown]
	v_add_f64 v[125:126], v[137:138], v[125:126]
	s_waitcnt vmcnt(58) lgkmcnt(0)
	v_mul_f64 v[137:138], v[117:118], v[143:144]
	v_mul_f64 v[143:144], v[119:120], v[143:144]
	ds_read_b128 v[5:8], v169 offset:1296
	s_waitcnt vmcnt(56)
	v_fma_f64 v[139:140], v[1:2], v[145:146], -v[139:140]
	v_add_f64 v[121:122], v[121:122], v[135:136]
	v_fma_f64 v[135:136], v[3:4], v[145:146], v[201:202]
	v_add_f64 v[123:124], v[125:126], v[123:124]
	s_clause 0x4
	buffer_load_dword v126, off, s[0:3], 0 offset:684
	buffer_load_dword v145, off, s[0:3], 0 offset:696
	;; [unrolled: 1-line block ×5, first 2 shown]
	s_waitcnt vmcnt(57) lgkmcnt(0)
	v_mul_f64 v[201:202], v[5:6], v[147:148]
	v_mul_f64 v[147:148], v[7:8], v[147:148]
	s_waitcnt vmcnt(56)
	v_fma_f64 v[143:144], v[117:118], v[131:132], -v[143:144]
	ds_read_b128 v[1:4], v169 offset:1312
	v_fma_f64 v[131:132], v[119:120], v[131:132], v[137:138]
	v_add_f64 v[121:122], v[121:122], v[139:140]
	v_add_f64 v[123:124], v[123:124], v[135:136]
	s_clause 0x2
	buffer_load_dword v146, off, s[0:3], 0 offset:700
	buffer_load_dword v136, off, s[0:3], 0 offset:676
	;; [unrolled: 1-line block ×3, first 2 shown]
	ds_read_b128 v[117:120], v169 offset:1328
	s_waitcnt vmcnt(58) lgkmcnt(1)
	v_mul_f64 v[139:140], v[3:4], v[151:152]
	s_waitcnt vmcnt(56)
	v_fma_f64 v[147:148], v[5:6], v[153:154], -v[147:148]
	v_mul_f64 v[137:138], v[1:2], v[151:152]
	v_add_f64 v[121:122], v[121:122], v[143:144]
	v_fma_f64 v[143:144], v[7:8], v[153:154], v[201:202]
	v_add_f64 v[123:124], v[123:124], v[131:132]
	s_clause 0x4
	buffer_load_dword v132, off, s[0:3], 0 offset:716
	buffer_load_dword v151, off, s[0:3], 0 offset:728
	;; [unrolled: 1-line block ×5, first 2 shown]
	s_waitcnt vmcnt(57) lgkmcnt(0)
	v_mul_f64 v[201:202], v[117:118], v[155:156]
	v_mul_f64 v[154:155], v[119:120], v[155:156]
	s_waitcnt vmcnt(56)
	v_fma_f64 v[139:140], v[1:2], v[141:142], -v[139:140]
	ds_read_b128 v[5:8], v169 offset:1344
	v_fma_f64 v[137:138], v[3:4], v[141:142], v[137:138]
	s_clause 0x2
	buffer_load_dword v152, off, s[0:3], 0 offset:732
	buffer_load_dword v142, off, s[0:3], 0 offset:708
	;; [unrolled: 1-line block ×3, first 2 shown]
	ds_read_b128 v[1:4], v169 offset:1360
	v_add_f64 v[121:122], v[121:122], v[147:148]
	v_add_f64 v[123:124], v[123:124], v[143:144]
	s_waitcnt vmcnt(58) lgkmcnt(1)
	v_mul_f64 v[147:148], v[7:8], v[159:160]
	s_waitcnt vmcnt(56)
	v_fma_f64 v[155:156], v[117:118], v[161:162], -v[154:155]
	v_mul_f64 v[143:144], v[5:6], v[159:160]
	v_add_f64 v[121:122], v[121:122], v[139:140]
	v_fma_f64 v[139:140], v[119:120], v[161:162], v[201:202]
	v_add_f64 v[123:124], v[123:124], v[137:138]
	s_clause 0x4
	buffer_load_dword v138, off, s[0:3], 0 offset:748
	buffer_load_dword v159, off, s[0:3], 0 offset:760
	;; [unrolled: 1-line block ×5, first 2 shown]
	s_waitcnt vmcnt(57) lgkmcnt(0)
	v_mul_f64 v[201:202], v[1:2], v[163:164]
	v_mul_f64 v[162:163], v[3:4], v[163:164]
	s_waitcnt vmcnt(56)
	v_fma_f64 v[147:148], v[5:6], v[149:150], -v[147:148]
	ds_read_b128 v[117:120], v169 offset:1376
	v_fma_f64 v[143:144], v[7:8], v[149:150], v[143:144]
	v_add_f64 v[121:122], v[121:122], v[155:156]
	v_add_f64 v[123:124], v[123:124], v[139:140]
	s_clause 0x2
	buffer_load_dword v160, off, s[0:3], 0 offset:764
	buffer_load_dword v140, off, s[0:3], 0 offset:740
	;; [unrolled: 1-line block ×3, first 2 shown]
	ds_read_b128 v[5:8], v169 offset:1392
	s_waitcnt vmcnt(58) lgkmcnt(1)
	v_mul_f64 v[155:156], v[119:120], v[165:166]
	s_waitcnt vmcnt(56)
	v_fma_f64 v[163:164], v[1:2], v[167:168], -v[162:163]
	v_mul_f64 v[149:150], v[117:118], v[165:166]
	v_add_f64 v[121:122], v[121:122], v[147:148]
	v_fma_f64 v[147:148], v[3:4], v[167:168], v[201:202]
	v_add_f64 v[123:124], v[123:124], v[143:144]
	s_clause 0x4
	buffer_load_dword v144, off, s[0:3], 0 offset:780
	buffer_load_dword v165, off, s[0:3], 0 offset:792
	;; [unrolled: 1-line block ×5, first 2 shown]
	s_waitcnt vmcnt(57) lgkmcnt(0)
	v_mul_f64 v[201:202], v[5:6], v[186:187]
	v_mul_f64 v[186:187], v[7:8], v[186:187]
	s_waitcnt vmcnt(56)
	v_fma_f64 v[155:156], v[117:118], v[157:158], -v[155:156]
	ds_read_b128 v[1:4], v169 offset:1408
	v_fma_f64 v[149:150], v[119:120], v[157:158], v[149:150]
	v_add_f64 v[121:122], v[121:122], v[163:164]
	v_add_f64 v[123:124], v[123:124], v[147:148]
	s_clause 0x2
	buffer_load_dword v166, off, s[0:3], 0 offset:796
	buffer_load_dword v148, off, s[0:3], 0 offset:772
	buffer_load_dword v147, off, s[0:3], 0 offset:768
	ds_read_b128 v[117:120], v169 offset:1424
	s_waitcnt vmcnt(58) lgkmcnt(1)
	v_mul_f64 v[163:164], v[3:4], v[188:189]
	s_waitcnt vmcnt(56)
	v_fma_f64 v[186:187], v[5:6], v[193:194], -v[186:187]
	v_mul_f64 v[157:158], v[1:2], v[188:189]
	v_add_f64 v[121:122], v[121:122], v[155:156]
	v_fma_f64 v[155:156], v[7:8], v[193:194], v[201:202]
	v_add_f64 v[123:124], v[123:124], v[149:150]
	s_clause 0x4
	buffer_load_dword v150, off, s[0:3], 0 offset:812
	buffer_load_dword v188, off, s[0:3], 0 offset:824
	;; [unrolled: 1-line block ×5, first 2 shown]
	ds_read_b128 v[5:8], v169 offset:1440
	s_waitcnt vmcnt(57) lgkmcnt(1)
	v_mul_f64 v[193:194], v[117:118], v[180:181]
	v_mul_f64 v[180:181], v[119:120], v[180:181]
	s_waitcnt vmcnt(56)
	v_fma_f64 v[163:164], v[1:2], v[190:191], -v[163:164]
	v_fma_f64 v[157:158], v[3:4], v[190:191], v[157:158]
	v_add_f64 v[121:122], v[121:122], v[186:187]
	v_add_f64 v[123:124], v[123:124], v[155:156]
	s_clause 0x2
	buffer_load_dword v189, off, s[0:3], 0 offset:828
	buffer_load_dword v156, off, s[0:3], 0 offset:804
	;; [unrolled: 1-line block ×3, first 2 shown]
	ds_read_b128 v[1:4], v169 offset:1456
	s_waitcnt vmcnt(58) lgkmcnt(1)
	v_mul_f64 v[190:191], v[7:8], v[197:198]
	v_mul_f64 v[186:187], v[5:6], v[197:198]
	s_waitcnt vmcnt(56)
	v_fma_f64 v[180:181], v[117:118], v[174:175], -v[180:181]
	v_add_f64 v[121:122], v[121:122], v[163:164]
	v_fma_f64 v[163:164], v[119:120], v[174:175], v[193:194]
	v_add_f64 v[123:124], v[123:124], v[157:158]
	s_clause 0x4
	buffer_load_dword v158, off, s[0:3], 0 offset:844
	buffer_load_dword v174, off, s[0:3], 0 offset:856
	;; [unrolled: 1-line block ×5, first 2 shown]
	ds_read_b128 v[117:120], v169 offset:1472
	s_waitcnt vmcnt(57) lgkmcnt(1)
	v_mul_f64 v[201:202], v[1:2], v[133:134]
	v_mul_f64 v[133:134], v[3:4], v[133:134]
	s_waitcnt vmcnt(56)
	v_fma_f64 v[190:191], v[5:6], v[199:200], -v[190:191]
	v_add_f64 v[121:122], v[121:122], v[180:181]
	v_fma_f64 v[180:181], v[7:8], v[199:200], v[186:187]
	v_add_f64 v[123:124], v[123:124], v[163:164]
	s_clause 0x2
	buffer_load_dword v175, off, s[0:3], 0 offset:860
	buffer_load_dword v164, off, s[0:3], 0 offset:836
	;; [unrolled: 1-line block ×3, first 2 shown]
	ds_read_b128 v[5:8], v169 offset:1488
	s_waitcnt vmcnt(58) lgkmcnt(1)
	v_mul_f64 v[186:187], v[117:118], v[182:183]
	v_mul_f64 v[182:183], v[119:120], v[182:183]
	s_waitcnt vmcnt(56)
	v_fma_f64 v[133:134], v[1:2], v[127:128], -v[133:134]
	v_fma_f64 v[127:128], v[3:4], v[127:128], v[201:202]
	v_add_f64 v[121:122], v[121:122], v[190:191]
	v_add_f64 v[123:124], v[123:124], v[180:181]
	s_clause 0x2
	buffer_load_dword v181, off, s[0:3], 0 offset:876
	buffer_load_dword v180, off, s[0:3], 0 offset:872
	buffer_load_dword v198, off, s[0:3], 0 offset:852
	ds_read_b128 v[1:4], v169 offset:1504
	s_waitcnt vmcnt(55) lgkmcnt(1)
	v_mul_f64 v[190:191], v[5:6], v[170:171]
	v_mul_f64 v[170:171], v[7:8], v[170:171]
	s_waitcnt vmcnt(54)
	v_fma_f64 v[182:183], v[117:118], v[195:196], -v[182:183]
	v_add_f64 v[121:122], v[121:122], v[133:134]
	v_fma_f64 v[133:134], v[119:120], v[195:196], v[186:187]
	v_add_f64 v[123:124], v[123:124], v[127:128]
	s_clause 0x1
	buffer_load_dword v128, off, s[0:3], 0 offset:868
	buffer_load_dword v127, off, s[0:3], 0 offset:864
	ds_read_b128 v[117:120], v169 offset:1520
	s_waitcnt vmcnt(55) lgkmcnt(1)
	v_mul_f64 v[186:187], v[1:2], v[172:173]
	v_mul_f64 v[172:173], v[3:4], v[172:173]
	s_waitcnt vmcnt(53)
	v_fma_f64 v[170:171], v[5:6], v[129:130], -v[170:171]
	v_fma_f64 v[129:130], v[7:8], v[129:130], v[190:191]
	ds_read_b128 v[5:8], v169 offset:1536
	v_add_f64 v[121:122], v[121:122], v[182:183]
	v_add_f64 v[123:124], v[123:124], v[133:134]
	s_waitcnt vmcnt(49) lgkmcnt(1)
	v_mul_f64 v[133:134], v[117:118], v[125:126]
	v_mul_f64 v[125:126], v[119:120], v[125:126]
	s_waitcnt vmcnt(48)
	v_fma_f64 v[172:173], v[1:2], v[184:185], -v[172:173]
	v_add_f64 v[121:122], v[121:122], v[170:171]
	v_fma_f64 v[170:171], v[3:4], v[184:185], v[186:187]
	v_add_f64 v[123:124], v[123:124], v[129:130]
	s_clause 0x3
	buffer_load_dword v129, off, s[0:3], 0 offset:288
	buffer_load_dword v130, off, s[0:3], 0 offset:292
	buffer_load_dword v182, off, s[0:3], 0 offset:296
	buffer_load_dword v183, off, s[0:3], 0 offset:300
	ds_read_b128 v[1:4], v169 offset:1552
	s_waitcnt vmcnt(51) lgkmcnt(1)
	v_mul_f64 v[184:185], v[5:6], v[145:146]
	v_mul_f64 v[145:146], v[7:8], v[145:146]
	s_waitcnt vmcnt(49)
	v_fma_f64 v[125:126], v[117:118], v[135:136], -v[125:126]
	v_fma_f64 v[133:134], v[119:120], v[135:136], v[133:134]
	ds_read_b128 v[117:120], v169 offset:1568
	v_add_f64 v[121:122], v[121:122], v[172:173]
	v_add_f64 v[123:124], v[123:124], v[170:171]
	s_waitcnt vmcnt(45) lgkmcnt(1)
	v_mul_f64 v[135:136], v[1:2], v[131:132]
	v_mul_f64 v[131:132], v[3:4], v[131:132]
	s_waitcnt vmcnt(44)
	v_fma_f64 v[145:146], v[5:6], v[178:179], -v[145:146]
	v_add_f64 v[121:122], v[121:122], v[125:126]
	v_fma_f64 v[125:126], v[7:8], v[178:179], v[184:185]
	v_add_f64 v[123:124], v[123:124], v[133:134]
	s_waitcnt vmcnt(43) lgkmcnt(0)
	v_mul_f64 v[133:134], v[117:118], v[151:152]
	v_mul_f64 v[151:152], v[119:120], v[151:152]
	ds_read_b128 v[5:8], v169 offset:1584
	s_waitcnt vmcnt(41)
	v_fma_f64 v[135:136], v[3:4], v[141:142], v[135:136]
	v_fma_f64 v[131:132], v[1:2], v[141:142], -v[131:132]
	ds_read_b128 v[1:4], v169 offset:1600
	v_add_f64 v[121:122], v[121:122], v[145:146]
	v_add_f64 v[123:124], v[123:124], v[125:126]
	s_waitcnt vmcnt(37) lgkmcnt(1)
	v_mul_f64 v[125:126], v[5:6], v[137:138]
	v_mul_f64 v[137:138], v[7:8], v[137:138]
	s_waitcnt vmcnt(36)
	v_fma_f64 v[141:142], v[117:118], v[153:154], -v[151:152]
	v_add_f64 v[121:122], v[121:122], v[131:132]
	v_fma_f64 v[131:132], v[119:120], v[153:154], v[133:134]
	v_add_f64 v[123:124], v[123:124], v[135:136]
	ds_read_b128 v[117:120], v169 offset:1616
	s_waitcnt vmcnt(35) lgkmcnt(1)
	v_mul_f64 v[135:136], v[3:4], v[159:160]
	v_mul_f64 v[133:134], v[1:2], v[159:160]
	s_waitcnt vmcnt(33)
	v_fma_f64 v[137:138], v[5:6], v[139:140], -v[137:138]
	v_fma_f64 v[125:126], v[7:8], v[139:140], v[125:126]
	ds_read_b128 v[5:8], v169 offset:1632
	v_add_f64 v[121:122], v[121:122], v[141:142]
	v_add_f64 v[123:124], v[123:124], v[131:132]
	s_waitcnt vmcnt(29) lgkmcnt(1)
	v_mul_f64 v[139:140], v[119:120], v[143:144]
	s_waitcnt vmcnt(28)
	v_fma_f64 v[135:136], v[1:2], v[161:162], -v[135:136]
	v_mul_f64 v[131:132], v[117:118], v[143:144]
	v_fma_f64 v[133:134], v[3:4], v[161:162], v[133:134]
	ds_read_b128 v[1:4], v169 offset:1648
	v_add_f64 v[121:122], v[121:122], v[137:138]
	v_add_f64 v[123:124], v[123:124], v[125:126]
	s_waitcnt vmcnt(27) lgkmcnt(1)
	v_mul_f64 v[137:138], v[7:8], v[165:166]
	v_mul_f64 v[125:126], v[5:6], v[165:166]
	s_waitcnt vmcnt(25)
	v_fma_f64 v[139:140], v[117:118], v[147:148], -v[139:140]
	v_fma_f64 v[131:132], v[119:120], v[147:148], v[131:132]
	ds_read_b128 v[117:120], v169 offset:1664
	v_add_f64 v[121:122], v[121:122], v[135:136]
	v_add_f64 v[123:124], v[123:124], v[133:134]
	s_waitcnt vmcnt(21) lgkmcnt(1)
	v_mul_f64 v[135:136], v[3:4], v[149:150]
	s_waitcnt vmcnt(20)
	v_fma_f64 v[137:138], v[5:6], v[167:168], -v[137:138]
	v_mul_f64 v[133:134], v[1:2], v[149:150]
	v_fma_f64 v[125:126], v[7:8], v[167:168], v[125:126]
	ds_read_b128 v[5:8], v169 offset:1680
	v_add_f64 v[121:122], v[121:122], v[139:140]
	v_add_f64 v[123:124], v[123:124], v[131:132]
	;; [unrolled: 18-line block ×3, first 2 shown]
	s_waitcnt vmcnt(11) lgkmcnt(1)
	v_mul_f64 v[135:136], v[3:4], v[174:175]
	v_mul_f64 v[133:134], v[1:2], v[174:175]
	s_waitcnt vmcnt(9)
	v_fma_f64 v[5:6], v[5:6], v[163:164], -v[137:138]
	v_fma_f64 v[7:8], v[7:8], v[163:164], v[125:126]
	v_add_f64 v[121:122], v[121:122], v[139:140]
	v_add_f64 v[123:124], v[123:124], v[131:132]
	s_waitcnt vmcnt(7) lgkmcnt(0)
	v_mul_f64 v[131:132], v[119:120], v[180:181]
	s_waitcnt vmcnt(6)
	v_fma_f64 v[1:2], v[1:2], v[197:198], -v[135:136]
	v_mul_f64 v[125:126], v[117:118], v[180:181]
	v_fma_f64 v[3:4], v[3:4], v[197:198], v[133:134]
	v_add_f64 v[5:6], v[121:122], v[5:6]
	v_add_f64 v[7:8], v[123:124], v[7:8]
	s_waitcnt vmcnt(4)
	v_fma_f64 v[117:118], v[117:118], v[127:128], -v[131:132]
	v_add_f64 v[1:2], v[5:6], v[1:2]
	v_fma_f64 v[5:6], v[119:120], v[127:128], v[125:126]
	v_add_f64 v[3:4], v[7:8], v[3:4]
	v_add_f64 v[1:2], v[1:2], v[117:118]
	;; [unrolled: 1-line block ×3, first 2 shown]
	s_waitcnt vmcnt(2)
	v_add_f64 v[1:2], v[129:130], -v[1:2]
	s_waitcnt vmcnt(0)
	v_add_f64 v[3:4], v[182:183], -v[3:4]
	buffer_store_dword v2, off, s[0:3], 0 offset:292
	buffer_store_dword v1, off, s[0:3], 0 offset:288
	;; [unrolled: 1-line block ×4, first 2 shown]
	v_cmpx_lt_u32_e32 16, v0
	s_cbranch_execz .LBB117_305
; %bb.304:
	v_mov_b32_e32 v4, s50
	v_mov_b32_e32 v5, 0
	s_clause 0x3
	buffer_load_dword v1, v4, s[0:3], 0 offen
	buffer_load_dword v2, v4, s[0:3], 0 offen offset:4
	buffer_load_dword v3, v4, s[0:3], 0 offen offset:8
	buffer_load_dword v4, v4, s[0:3], 0 offen offset:12
	buffer_store_dword v5, off, s[0:3], 0 offset:272
	buffer_store_dword v5, off, s[0:3], 0 offset:276
	;; [unrolled: 1-line block ×4, first 2 shown]
	s_waitcnt vmcnt(0)
	ds_write_b128 v177, v[1:4]
.LBB117_305:
	s_or_b32 exec_lo, exec_lo, s4
	s_waitcnt lgkmcnt(0)
	s_waitcnt_vscnt null, 0x0
	s_barrier
	buffer_gl0_inv
	s_clause 0x37
	buffer_load_dword v117, off, s[0:3], 0 offset:296
	buffer_load_dword v118, off, s[0:3], 0 offset:300
	;; [unrolled: 1-line block ×56, first 2 shown]
	v_mov_b32_e32 v169, 0
	s_mov_b32 s4, exec_lo
	ds_read_b128 v[170:173], v169 offset:1136
	s_clause 0x2
	buffer_load_dword v166, off, s[0:3], 0 offset:524
	buffer_load_dword v168, off, s[0:3], 0 offset:500
	;; [unrolled: 1-line block ×3, first 2 shown]
	ds_read_b128 v[178:181], v169 offset:1152
	s_clause 0x4
	buffer_load_dword v187, off, s[0:3], 0 offset:540
	buffer_load_dword v188, off, s[0:3], 0 offset:552
	;; [unrolled: 1-line block ×5, first 2 shown]
	ds_read_b128 v[182:185], v169 offset:1168
	s_clause 0x2
	buffer_load_dword v189, off, s[0:3], 0 offset:556
	buffer_load_dword v194, off, s[0:3], 0 offset:532
	buffer_load_dword v193, off, s[0:3], 0 offset:528
	s_waitcnt vmcnt(62) lgkmcnt(2)
	v_mul_f64 v[174:175], v[172:173], v[117:118]
	v_mul_f64 v[117:118], v[170:171], v[117:118]
	s_waitcnt lgkmcnt(1)
	v_mul_f64 v[191:192], v[180:181], v[5:6]
	s_waitcnt vmcnt(59) lgkmcnt(0)
	v_mul_f64 v[195:196], v[184:185], v[3:4]
	v_fma_f64 v[170:171], v[170:171], v[7:8], -v[174:175]
	v_mul_f64 v[174:175], v[178:179], v[5:6]
	v_fma_f64 v[117:118], v[172:173], v[7:8], v[117:118]
	s_waitcnt vmcnt(57)
	v_fma_f64 v[178:179], v[178:179], v[1:2], -v[191:192]
	ds_read_b128 v[5:8], v169 offset:1184
	v_mul_f64 v[172:173], v[182:183], v[3:4]
	s_waitcnt vmcnt(51)
	v_fma_f64 v[182:183], v[182:183], v[133:134], -v[195:196]
	v_add_f64 v[170:171], v[170:171], 0
	v_fma_f64 v[174:175], v[180:181], v[1:2], v[174:175]
	v_add_f64 v[117:118], v[117:118], 0
	s_clause 0x4
	buffer_load_dword v181, off, s[0:3], 0 offset:572
	buffer_load_dword v197, off, s[0:3], 0 offset:584
	;; [unrolled: 1-line block ×5, first 2 shown]
	s_waitcnt lgkmcnt(0)
	v_mul_f64 v[200:201], v[5:6], v[121:122]
	v_mul_f64 v[121:122], v[7:8], v[121:122]
	ds_read_b128 v[1:4], v169 offset:1200
	v_fma_f64 v[133:134], v[184:185], v[133:134], v[172:173]
	v_add_f64 v[178:179], v[170:171], v[178:179]
	v_add_f64 v[117:118], v[117:118], v[174:175]
	s_clause 0x2
	buffer_load_dword v198, off, s[0:3], 0 offset:588
	buffer_load_dword v175, off, s[0:3], 0 offset:564
	;; [unrolled: 1-line block ×3, first 2 shown]
	s_waitcnt vmcnt(58) lgkmcnt(0)
	v_mul_f64 v[184:185], v[1:2], v[125:126]
	v_mul_f64 v[125:126], v[3:4], v[125:126]
	s_waitcnt vmcnt(56)
	v_fma_f64 v[121:122], v[5:6], v[127:128], -v[121:122]
	ds_read_b128 v[170:173], v169 offset:1216
	v_fma_f64 v[127:128], v[7:8], v[127:128], v[200:201]
	v_add_f64 v[178:179], v[178:179], v[182:183]
	v_add_f64 v[117:118], v[117:118], v[133:134]
	s_clause 0x4
	buffer_load_dword v134, off, s[0:3], 0 offset:604
	buffer_load_dword v182, off, s[0:3], 0 offset:616
	;; [unrolled: 1-line block ×5, first 2 shown]
	ds_read_b128 v[5:8], v169 offset:1232
	s_waitcnt vmcnt(57) lgkmcnt(1)
	v_mul_f64 v[201:202], v[170:171], v[129:130]
	v_mul_f64 v[129:130], v[172:173], v[129:130]
	s_waitcnt vmcnt(56)
	v_fma_f64 v[125:126], v[1:2], v[119:120], -v[125:126]
	v_fma_f64 v[119:120], v[3:4], v[119:120], v[184:185]
	v_add_f64 v[121:122], v[178:179], v[121:122]
	v_add_f64 v[117:118], v[117:118], v[127:128]
	s_clause 0x2
	buffer_load_dword v183, off, s[0:3], 0 offset:620
	buffer_load_dword v128, off, s[0:3], 0 offset:596
	buffer_load_dword v127, off, s[0:3], 0 offset:592
	s_waitcnt vmcnt(58) lgkmcnt(0)
	v_mul_f64 v[178:179], v[5:6], v[135:136]
	v_mul_f64 v[135:136], v[7:8], v[135:136]
	s_waitcnt vmcnt(56)
	v_fma_f64 v[129:130], v[170:171], v[137:138], -v[129:130]
	ds_read_b128 v[1:4], v169 offset:1248
	v_add_f64 v[121:122], v[121:122], v[125:126]
	v_fma_f64 v[125:126], v[172:173], v[137:138], v[201:202]
	v_add_f64 v[137:138], v[117:118], v[119:120]
	s_clause 0x4
	buffer_load_dword v171, off, s[0:3], 0 offset:636
	buffer_load_dword v172, off, s[0:3], 0 offset:648
	;; [unrolled: 1-line block ×5, first 2 shown]
	ds_read_b128 v[117:120], v169 offset:1264
	s_waitcnt vmcnt(57) lgkmcnt(1)
	v_mul_f64 v[201:202], v[1:2], v[139:140]
	v_mul_f64 v[139:140], v[3:4], v[139:140]
	s_waitcnt vmcnt(56)
	v_fma_f64 v[135:136], v[5:6], v[123:124], -v[135:136]
	v_fma_f64 v[123:124], v[7:8], v[123:124], v[178:179]
	v_add_f64 v[121:122], v[121:122], v[129:130]
	s_clause 0x2
	buffer_load_dword v173, off, s[0:3], 0 offset:652
	buffer_load_dword v130, off, s[0:3], 0 offset:628
	;; [unrolled: 1-line block ×3, first 2 shown]
	v_add_f64 v[125:126], v[137:138], v[125:126]
	s_waitcnt vmcnt(58) lgkmcnt(0)
	v_mul_f64 v[137:138], v[117:118], v[143:144]
	v_mul_f64 v[143:144], v[119:120], v[143:144]
	ds_read_b128 v[5:8], v169 offset:1280
	s_waitcnt vmcnt(56)
	v_fma_f64 v[139:140], v[1:2], v[145:146], -v[139:140]
	v_add_f64 v[121:122], v[121:122], v[135:136]
	v_fma_f64 v[135:136], v[3:4], v[145:146], v[201:202]
	v_add_f64 v[123:124], v[125:126], v[123:124]
	s_clause 0x4
	buffer_load_dword v126, off, s[0:3], 0 offset:668
	buffer_load_dword v145, off, s[0:3], 0 offset:680
	;; [unrolled: 1-line block ×5, first 2 shown]
	s_waitcnt vmcnt(57) lgkmcnt(0)
	v_mul_f64 v[201:202], v[5:6], v[147:148]
	v_mul_f64 v[147:148], v[7:8], v[147:148]
	s_waitcnt vmcnt(56)
	v_fma_f64 v[143:144], v[117:118], v[131:132], -v[143:144]
	ds_read_b128 v[1:4], v169 offset:1296
	v_fma_f64 v[131:132], v[119:120], v[131:132], v[137:138]
	v_add_f64 v[121:122], v[121:122], v[139:140]
	v_add_f64 v[123:124], v[123:124], v[135:136]
	s_clause 0x2
	buffer_load_dword v146, off, s[0:3], 0 offset:684
	buffer_load_dword v136, off, s[0:3], 0 offset:660
	;; [unrolled: 1-line block ×3, first 2 shown]
	ds_read_b128 v[117:120], v169 offset:1312
	s_waitcnt vmcnt(58) lgkmcnt(1)
	v_mul_f64 v[139:140], v[3:4], v[151:152]
	s_waitcnt vmcnt(56)
	v_fma_f64 v[147:148], v[5:6], v[153:154], -v[147:148]
	v_mul_f64 v[137:138], v[1:2], v[151:152]
	v_add_f64 v[121:122], v[121:122], v[143:144]
	v_fma_f64 v[143:144], v[7:8], v[153:154], v[201:202]
	v_add_f64 v[123:124], v[123:124], v[131:132]
	s_clause 0x4
	buffer_load_dword v132, off, s[0:3], 0 offset:700
	buffer_load_dword v151, off, s[0:3], 0 offset:712
	;; [unrolled: 1-line block ×5, first 2 shown]
	s_waitcnt vmcnt(57) lgkmcnt(0)
	v_mul_f64 v[201:202], v[117:118], v[155:156]
	v_mul_f64 v[154:155], v[119:120], v[155:156]
	s_waitcnt vmcnt(56)
	v_fma_f64 v[139:140], v[1:2], v[141:142], -v[139:140]
	ds_read_b128 v[5:8], v169 offset:1328
	v_fma_f64 v[137:138], v[3:4], v[141:142], v[137:138]
	s_clause 0x2
	buffer_load_dword v152, off, s[0:3], 0 offset:716
	buffer_load_dword v142, off, s[0:3], 0 offset:692
	;; [unrolled: 1-line block ×3, first 2 shown]
	ds_read_b128 v[1:4], v169 offset:1344
	v_add_f64 v[121:122], v[121:122], v[147:148]
	v_add_f64 v[123:124], v[123:124], v[143:144]
	s_waitcnt vmcnt(58) lgkmcnt(1)
	v_mul_f64 v[147:148], v[7:8], v[159:160]
	s_waitcnt vmcnt(56)
	v_fma_f64 v[155:156], v[117:118], v[161:162], -v[154:155]
	v_mul_f64 v[143:144], v[5:6], v[159:160]
	v_add_f64 v[121:122], v[121:122], v[139:140]
	v_fma_f64 v[139:140], v[119:120], v[161:162], v[201:202]
	v_add_f64 v[123:124], v[123:124], v[137:138]
	s_clause 0x4
	buffer_load_dword v138, off, s[0:3], 0 offset:732
	buffer_load_dword v159, off, s[0:3], 0 offset:744
	;; [unrolled: 1-line block ×5, first 2 shown]
	s_waitcnt vmcnt(57) lgkmcnt(0)
	v_mul_f64 v[201:202], v[1:2], v[163:164]
	v_mul_f64 v[162:163], v[3:4], v[163:164]
	s_waitcnt vmcnt(56)
	v_fma_f64 v[147:148], v[5:6], v[149:150], -v[147:148]
	ds_read_b128 v[117:120], v169 offset:1360
	v_fma_f64 v[143:144], v[7:8], v[149:150], v[143:144]
	v_add_f64 v[121:122], v[121:122], v[155:156]
	v_add_f64 v[123:124], v[123:124], v[139:140]
	s_clause 0x2
	buffer_load_dword v160, off, s[0:3], 0 offset:748
	buffer_load_dword v140, off, s[0:3], 0 offset:724
	;; [unrolled: 1-line block ×3, first 2 shown]
	ds_read_b128 v[5:8], v169 offset:1376
	s_waitcnt vmcnt(58) lgkmcnt(1)
	v_mul_f64 v[155:156], v[119:120], v[165:166]
	s_waitcnt vmcnt(56)
	v_fma_f64 v[163:164], v[1:2], v[167:168], -v[162:163]
	v_mul_f64 v[149:150], v[117:118], v[165:166]
	v_add_f64 v[121:122], v[121:122], v[147:148]
	v_fma_f64 v[147:148], v[3:4], v[167:168], v[201:202]
	v_add_f64 v[123:124], v[123:124], v[143:144]
	s_clause 0x4
	buffer_load_dword v144, off, s[0:3], 0 offset:764
	buffer_load_dword v165, off, s[0:3], 0 offset:776
	;; [unrolled: 1-line block ×5, first 2 shown]
	s_waitcnt vmcnt(57) lgkmcnt(0)
	v_mul_f64 v[201:202], v[5:6], v[186:187]
	v_mul_f64 v[186:187], v[7:8], v[186:187]
	s_waitcnt vmcnt(56)
	v_fma_f64 v[155:156], v[117:118], v[157:158], -v[155:156]
	ds_read_b128 v[1:4], v169 offset:1392
	v_fma_f64 v[149:150], v[119:120], v[157:158], v[149:150]
	v_add_f64 v[121:122], v[121:122], v[163:164]
	v_add_f64 v[123:124], v[123:124], v[147:148]
	s_clause 0x2
	buffer_load_dword v166, off, s[0:3], 0 offset:780
	buffer_load_dword v148, off, s[0:3], 0 offset:756
	;; [unrolled: 1-line block ×3, first 2 shown]
	ds_read_b128 v[117:120], v169 offset:1408
	s_waitcnt vmcnt(58) lgkmcnt(1)
	v_mul_f64 v[163:164], v[3:4], v[188:189]
	s_waitcnt vmcnt(56)
	v_fma_f64 v[186:187], v[5:6], v[193:194], -v[186:187]
	v_mul_f64 v[157:158], v[1:2], v[188:189]
	v_add_f64 v[121:122], v[121:122], v[155:156]
	v_fma_f64 v[155:156], v[7:8], v[193:194], v[201:202]
	v_add_f64 v[123:124], v[123:124], v[149:150]
	s_clause 0x4
	buffer_load_dword v150, off, s[0:3], 0 offset:796
	buffer_load_dword v188, off, s[0:3], 0 offset:808
	;; [unrolled: 1-line block ×5, first 2 shown]
	ds_read_b128 v[5:8], v169 offset:1424
	s_waitcnt vmcnt(57) lgkmcnt(1)
	v_mul_f64 v[193:194], v[117:118], v[180:181]
	v_mul_f64 v[180:181], v[119:120], v[180:181]
	s_waitcnt vmcnt(56)
	v_fma_f64 v[163:164], v[1:2], v[190:191], -v[163:164]
	v_fma_f64 v[157:158], v[3:4], v[190:191], v[157:158]
	v_add_f64 v[121:122], v[121:122], v[186:187]
	v_add_f64 v[123:124], v[123:124], v[155:156]
	s_clause 0x2
	buffer_load_dword v189, off, s[0:3], 0 offset:812
	buffer_load_dword v156, off, s[0:3], 0 offset:788
	;; [unrolled: 1-line block ×3, first 2 shown]
	ds_read_b128 v[1:4], v169 offset:1440
	s_waitcnt vmcnt(58) lgkmcnt(1)
	v_mul_f64 v[190:191], v[7:8], v[197:198]
	v_mul_f64 v[186:187], v[5:6], v[197:198]
	s_waitcnt vmcnt(56)
	v_fma_f64 v[180:181], v[117:118], v[174:175], -v[180:181]
	v_add_f64 v[121:122], v[121:122], v[163:164]
	v_fma_f64 v[163:164], v[119:120], v[174:175], v[193:194]
	v_add_f64 v[123:124], v[123:124], v[157:158]
	s_clause 0x4
	buffer_load_dword v158, off, s[0:3], 0 offset:828
	buffer_load_dword v174, off, s[0:3], 0 offset:840
	;; [unrolled: 1-line block ×5, first 2 shown]
	ds_read_b128 v[117:120], v169 offset:1456
	s_waitcnt vmcnt(57) lgkmcnt(1)
	v_mul_f64 v[201:202], v[1:2], v[133:134]
	v_mul_f64 v[133:134], v[3:4], v[133:134]
	s_waitcnt vmcnt(56)
	v_fma_f64 v[190:191], v[5:6], v[199:200], -v[190:191]
	v_add_f64 v[121:122], v[121:122], v[180:181]
	v_fma_f64 v[180:181], v[7:8], v[199:200], v[186:187]
	v_add_f64 v[123:124], v[123:124], v[163:164]
	s_clause 0x2
	buffer_load_dword v175, off, s[0:3], 0 offset:844
	buffer_load_dword v164, off, s[0:3], 0 offset:820
	;; [unrolled: 1-line block ×3, first 2 shown]
	ds_read_b128 v[5:8], v169 offset:1472
	s_waitcnt vmcnt(58) lgkmcnt(1)
	v_mul_f64 v[186:187], v[117:118], v[182:183]
	v_mul_f64 v[182:183], v[119:120], v[182:183]
	s_waitcnt vmcnt(56)
	v_fma_f64 v[133:134], v[1:2], v[127:128], -v[133:134]
	v_fma_f64 v[127:128], v[3:4], v[127:128], v[201:202]
	v_add_f64 v[121:122], v[121:122], v[190:191]
	v_add_f64 v[123:124], v[123:124], v[180:181]
	s_clause 0x4
	buffer_load_dword v181, off, s[0:3], 0 offset:860
	buffer_load_dword v190, off, s[0:3], 0 offset:872
	;; [unrolled: 1-line block ×5, first 2 shown]
	ds_read_b128 v[1:4], v169 offset:1488
	s_waitcnt vmcnt(57) lgkmcnt(1)
	v_mul_f64 v[199:200], v[5:6], v[170:171]
	v_mul_f64 v[170:171], v[7:8], v[170:171]
	s_waitcnt vmcnt(56)
	v_fma_f64 v[182:183], v[117:118], v[195:196], -v[182:183]
	v_add_f64 v[121:122], v[121:122], v[133:134]
	v_fma_f64 v[133:134], v[119:120], v[195:196], v[186:187]
	v_add_f64 v[123:124], v[123:124], v[127:128]
	s_clause 0x2
	buffer_load_dword v191, off, s[0:3], 0 offset:876
	buffer_load_dword v128, off, s[0:3], 0 offset:852
	;; [unrolled: 1-line block ×3, first 2 shown]
	ds_read_b128 v[117:120], v169 offset:1504
	buffer_load_dword v195, off, s[0:3], 0 offset:868
	s_waitcnt vmcnt(59) lgkmcnt(1)
	v_mul_f64 v[186:187], v[1:2], v[172:173]
	v_mul_f64 v[172:173], v[3:4], v[172:173]
	s_waitcnt vmcnt(57)
	v_fma_f64 v[170:171], v[5:6], v[129:130], -v[170:171]
	v_fma_f64 v[129:130], v[7:8], v[129:130], v[199:200]
	ds_read_b128 v[5:8], v169 offset:1520
	v_add_f64 v[121:122], v[121:122], v[182:183]
	v_add_f64 v[123:124], v[123:124], v[133:134]
	s_waitcnt vmcnt(53) lgkmcnt(1)
	v_mul_f64 v[133:134], v[117:118], v[125:126]
	v_mul_f64 v[125:126], v[119:120], v[125:126]
	s_waitcnt vmcnt(52)
	v_fma_f64 v[172:173], v[1:2], v[184:185], -v[172:173]
	v_add_f64 v[121:122], v[121:122], v[170:171]
	v_fma_f64 v[170:171], v[3:4], v[184:185], v[186:187]
	v_add_f64 v[123:124], v[123:124], v[129:130]
	ds_read_b128 v[1:4], v169 offset:1536
	s_waitcnt vmcnt(51) lgkmcnt(1)
	v_mul_f64 v[129:130], v[5:6], v[145:146]
	v_mul_f64 v[145:146], v[7:8], v[145:146]
	s_waitcnt vmcnt(49)
	v_fma_f64 v[125:126], v[117:118], v[135:136], -v[125:126]
	v_fma_f64 v[133:134], v[119:120], v[135:136], v[133:134]
	v_add_f64 v[121:122], v[121:122], v[172:173]
	v_add_f64 v[123:124], v[123:124], v[170:171]
	s_clause 0x3
	buffer_load_dword v135, off, s[0:3], 0 offset:272
	buffer_load_dword v136, off, s[0:3], 0 offset:276
	buffer_load_dword v170, off, s[0:3], 0 offset:280
	buffer_load_dword v171, off, s[0:3], 0 offset:284
	ds_read_b128 v[117:120], v169 offset:1552
	s_waitcnt vmcnt(49) lgkmcnt(1)
	v_mul_f64 v[172:173], v[1:2], v[131:132]
	v_mul_f64 v[131:132], v[3:4], v[131:132]
	s_waitcnt vmcnt(48)
	v_fma_f64 v[145:146], v[5:6], v[178:179], -v[145:146]
	v_add_f64 v[121:122], v[121:122], v[125:126]
	v_fma_f64 v[125:126], v[7:8], v[178:179], v[129:130]
	v_add_f64 v[123:124], v[123:124], v[133:134]
	ds_read_b128 v[5:8], v169 offset:1568
	s_waitcnt vmcnt(47) lgkmcnt(1)
	v_mul_f64 v[133:134], v[119:120], v[151:152]
	v_mul_f64 v[129:130], v[117:118], v[151:152]
	s_waitcnt vmcnt(45)
	v_fma_f64 v[131:132], v[1:2], v[141:142], -v[131:132]
	v_fma_f64 v[141:142], v[3:4], v[141:142], v[172:173]
	ds_read_b128 v[1:4], v169 offset:1584
	v_add_f64 v[121:122], v[121:122], v[145:146]
	v_add_f64 v[123:124], v[123:124], v[125:126]
	s_waitcnt vmcnt(41) lgkmcnt(1)
	v_mul_f64 v[125:126], v[5:6], v[137:138]
	v_mul_f64 v[137:138], v[7:8], v[137:138]
	s_waitcnt vmcnt(40)
	v_fma_f64 v[133:134], v[117:118], v[153:154], -v[133:134]
	v_fma_f64 v[129:130], v[119:120], v[153:154], v[129:130]
	ds_read_b128 v[117:120], v169 offset:1600
	v_add_f64 v[121:122], v[121:122], v[131:132]
	v_add_f64 v[123:124], v[123:124], v[141:142]
	;; [unrolled: 9-line block ×3, first 2 shown]
	s_waitcnt vmcnt(33) lgkmcnt(1)
	v_mul_f64 v[133:134], v[119:120], v[143:144]
	s_waitcnt vmcnt(32)
	v_fma_f64 v[139:140], v[1:2], v[161:162], -v[141:142]
	v_mul_f64 v[129:130], v[117:118], v[143:144]
	v_fma_f64 v[131:132], v[3:4], v[161:162], v[131:132]
	ds_read_b128 v[1:4], v169 offset:1632
	v_add_f64 v[121:122], v[121:122], v[137:138]
	v_add_f64 v[123:124], v[123:124], v[125:126]
	s_waitcnt vmcnt(31) lgkmcnt(1)
	v_mul_f64 v[137:138], v[7:8], v[165:166]
	v_mul_f64 v[125:126], v[5:6], v[165:166]
	s_waitcnt vmcnt(29)
	v_fma_f64 v[133:134], v[117:118], v[147:148], -v[133:134]
	v_fma_f64 v[129:130], v[119:120], v[147:148], v[129:130]
	ds_read_b128 v[117:120], v169 offset:1648
	v_add_f64 v[121:122], v[121:122], v[139:140]
	v_add_f64 v[123:124], v[123:124], v[131:132]
	s_waitcnt vmcnt(25) lgkmcnt(1)
	v_mul_f64 v[139:140], v[3:4], v[149:150]
	s_waitcnt vmcnt(24)
	v_fma_f64 v[137:138], v[5:6], v[167:168], -v[137:138]
	v_mul_f64 v[131:132], v[1:2], v[149:150]
	v_fma_f64 v[125:126], v[7:8], v[167:168], v[125:126]
	ds_read_b128 v[5:8], v169 offset:1664
	v_add_f64 v[121:122], v[121:122], v[133:134]
	v_add_f64 v[123:124], v[123:124], v[129:130]
	s_waitcnt vmcnt(23) lgkmcnt(1)
	v_mul_f64 v[133:134], v[119:120], v[188:189]
	v_mul_f64 v[129:130], v[117:118], v[188:189]
	s_waitcnt vmcnt(21)
	v_fma_f64 v[139:140], v[1:2], v[155:156], -v[139:140]
	v_fma_f64 v[131:132], v[3:4], v[155:156], v[131:132]
	ds_read_b128 v[1:4], v169 offset:1680
	v_add_f64 v[121:122], v[121:122], v[137:138]
	v_add_f64 v[123:124], v[123:124], v[125:126]
	;; [unrolled: 18-line block ×3, first 2 shown]
	s_waitcnt vmcnt(9) lgkmcnt(1)
	v_mul_f64 v[133:134], v[119:120], v[180:181]
	s_waitcnt vmcnt(8)
	v_fma_f64 v[1:2], v[1:2], v[197:198], -v[139:140]
	v_mul_f64 v[129:130], v[117:118], v[180:181]
	v_fma_f64 v[3:4], v[3:4], v[197:198], v[131:132]
	v_add_f64 v[121:122], v[121:122], v[137:138]
	v_add_f64 v[123:124], v[123:124], v[125:126]
	s_waitcnt vmcnt(7) lgkmcnt(0)
	v_mul_f64 v[131:132], v[7:8], v[190:191]
	v_mul_f64 v[125:126], v[5:6], v[190:191]
	s_waitcnt vmcnt(5)
	v_fma_f64 v[117:118], v[117:118], v[127:128], -v[133:134]
	v_fma_f64 v[119:120], v[119:120], v[127:128], v[129:130]
	v_add_f64 v[1:2], v[121:122], v[1:2]
	v_add_f64 v[3:4], v[123:124], v[3:4]
	s_waitcnt vmcnt(4)
	v_fma_f64 v[5:6], v[5:6], v[194:195], -v[131:132]
	v_fma_f64 v[7:8], v[7:8], v[194:195], v[125:126]
	v_add_f64 v[1:2], v[1:2], v[117:118]
	v_add_f64 v[3:4], v[3:4], v[119:120]
	;; [unrolled: 1-line block ×4, first 2 shown]
	s_waitcnt vmcnt(2)
	v_add_f64 v[1:2], v[135:136], -v[1:2]
	s_waitcnt vmcnt(0)
	v_add_f64 v[3:4], v[170:171], -v[3:4]
	buffer_store_dword v2, off, s[0:3], 0 offset:276
	buffer_store_dword v1, off, s[0:3], 0 offset:272
	;; [unrolled: 1-line block ×4, first 2 shown]
	v_cmpx_lt_u32_e32 15, v0
	s_cbranch_execz .LBB117_307
; %bb.306:
	v_mov_b32_e32 v4, s51
	s_clause 0x3
	buffer_load_dword v1, v4, s[0:3], 0 offen
	buffer_load_dword v2, v4, s[0:3], 0 offen offset:4
	buffer_load_dword v3, v4, s[0:3], 0 offen offset:8
	;; [unrolled: 1-line block ×3, first 2 shown]
	buffer_store_dword v169, off, s[0:3], 0 offset:256
	buffer_store_dword v169, off, s[0:3], 0 offset:260
	;; [unrolled: 1-line block ×4, first 2 shown]
	s_waitcnt vmcnt(0)
	ds_write_b128 v177, v[1:4]
.LBB117_307:
	s_or_b32 exec_lo, exec_lo, s4
	s_waitcnt lgkmcnt(0)
	s_waitcnt_vscnt null, 0x0
	s_barrier
	buffer_gl0_inv
	s_clause 0x37
	buffer_load_dword v117, off, s[0:3], 0 offset:280
	buffer_load_dword v118, off, s[0:3], 0 offset:284
	;; [unrolled: 1-line block ×56, first 2 shown]
	ds_read_b128 v[170:173], v169 offset:1120
	s_clause 0x2
	buffer_load_dword v166, off, s[0:3], 0 offset:508
	buffer_load_dword v168, off, s[0:3], 0 offset:484
	;; [unrolled: 1-line block ×3, first 2 shown]
	ds_read_b128 v[178:181], v169 offset:1136
	s_clause 0x4
	buffer_load_dword v187, off, s[0:3], 0 offset:524
	buffer_load_dword v188, off, s[0:3], 0 offset:536
	;; [unrolled: 1-line block ×5, first 2 shown]
	ds_read_b128 v[182:185], v169 offset:1152
	s_clause 0x2
	buffer_load_dword v189, off, s[0:3], 0 offset:540
	buffer_load_dword v194, off, s[0:3], 0 offset:516
	;; [unrolled: 1-line block ×3, first 2 shown]
	s_mov_b32 s4, exec_lo
	s_waitcnt vmcnt(62) lgkmcnt(2)
	v_mul_f64 v[174:175], v[172:173], v[117:118]
	v_mul_f64 v[117:118], v[170:171], v[117:118]
	s_waitcnt lgkmcnt(1)
	v_mul_f64 v[191:192], v[180:181], v[5:6]
	s_waitcnt vmcnt(59) lgkmcnt(0)
	v_mul_f64 v[195:196], v[184:185], v[3:4]
	v_fma_f64 v[170:171], v[170:171], v[7:8], -v[174:175]
	v_mul_f64 v[174:175], v[178:179], v[5:6]
	v_fma_f64 v[117:118], v[172:173], v[7:8], v[117:118]
	s_waitcnt vmcnt(57)
	v_fma_f64 v[178:179], v[178:179], v[1:2], -v[191:192]
	ds_read_b128 v[5:8], v169 offset:1168
	v_mul_f64 v[172:173], v[182:183], v[3:4]
	s_waitcnt vmcnt(51)
	v_fma_f64 v[182:183], v[182:183], v[133:134], -v[195:196]
	v_add_f64 v[170:171], v[170:171], 0
	v_fma_f64 v[174:175], v[180:181], v[1:2], v[174:175]
	v_add_f64 v[117:118], v[117:118], 0
	s_clause 0x4
	buffer_load_dword v181, off, s[0:3], 0 offset:556
	buffer_load_dword v197, off, s[0:3], 0 offset:568
	;; [unrolled: 1-line block ×5, first 2 shown]
	s_waitcnt lgkmcnt(0)
	v_mul_f64 v[200:201], v[5:6], v[121:122]
	v_mul_f64 v[121:122], v[7:8], v[121:122]
	ds_read_b128 v[1:4], v169 offset:1184
	v_fma_f64 v[133:134], v[184:185], v[133:134], v[172:173]
	v_add_f64 v[178:179], v[170:171], v[178:179]
	v_add_f64 v[117:118], v[117:118], v[174:175]
	s_clause 0x2
	buffer_load_dword v198, off, s[0:3], 0 offset:572
	buffer_load_dword v175, off, s[0:3], 0 offset:548
	;; [unrolled: 1-line block ×3, first 2 shown]
	s_waitcnt vmcnt(58) lgkmcnt(0)
	v_mul_f64 v[184:185], v[1:2], v[125:126]
	v_mul_f64 v[125:126], v[3:4], v[125:126]
	s_waitcnt vmcnt(56)
	v_fma_f64 v[121:122], v[5:6], v[127:128], -v[121:122]
	ds_read_b128 v[170:173], v169 offset:1200
	v_fma_f64 v[127:128], v[7:8], v[127:128], v[200:201]
	v_add_f64 v[178:179], v[178:179], v[182:183]
	v_add_f64 v[117:118], v[117:118], v[133:134]
	s_clause 0x4
	buffer_load_dword v134, off, s[0:3], 0 offset:588
	buffer_load_dword v182, off, s[0:3], 0 offset:600
	;; [unrolled: 1-line block ×5, first 2 shown]
	ds_read_b128 v[5:8], v169 offset:1216
	s_waitcnt vmcnt(57) lgkmcnt(1)
	v_mul_f64 v[201:202], v[170:171], v[129:130]
	v_mul_f64 v[129:130], v[172:173], v[129:130]
	s_waitcnt vmcnt(56)
	v_fma_f64 v[125:126], v[1:2], v[119:120], -v[125:126]
	v_fma_f64 v[119:120], v[3:4], v[119:120], v[184:185]
	v_add_f64 v[121:122], v[178:179], v[121:122]
	v_add_f64 v[117:118], v[117:118], v[127:128]
	s_clause 0x2
	buffer_load_dword v183, off, s[0:3], 0 offset:604
	buffer_load_dword v128, off, s[0:3], 0 offset:580
	;; [unrolled: 1-line block ×3, first 2 shown]
	s_waitcnt vmcnt(58) lgkmcnt(0)
	v_mul_f64 v[178:179], v[5:6], v[135:136]
	v_mul_f64 v[135:136], v[7:8], v[135:136]
	s_waitcnt vmcnt(56)
	v_fma_f64 v[129:130], v[170:171], v[137:138], -v[129:130]
	ds_read_b128 v[1:4], v169 offset:1232
	v_add_f64 v[121:122], v[121:122], v[125:126]
	v_fma_f64 v[125:126], v[172:173], v[137:138], v[201:202]
	v_add_f64 v[137:138], v[117:118], v[119:120]
	s_clause 0x4
	buffer_load_dword v171, off, s[0:3], 0 offset:620
	buffer_load_dword v172, off, s[0:3], 0 offset:632
	;; [unrolled: 1-line block ×5, first 2 shown]
	ds_read_b128 v[117:120], v169 offset:1248
	s_waitcnt vmcnt(57) lgkmcnt(1)
	v_mul_f64 v[201:202], v[1:2], v[139:140]
	v_mul_f64 v[139:140], v[3:4], v[139:140]
	s_waitcnt vmcnt(56)
	v_fma_f64 v[135:136], v[5:6], v[123:124], -v[135:136]
	v_fma_f64 v[123:124], v[7:8], v[123:124], v[178:179]
	v_add_f64 v[121:122], v[121:122], v[129:130]
	s_clause 0x2
	buffer_load_dword v173, off, s[0:3], 0 offset:636
	buffer_load_dword v130, off, s[0:3], 0 offset:612
	;; [unrolled: 1-line block ×3, first 2 shown]
	v_add_f64 v[125:126], v[137:138], v[125:126]
	s_waitcnt vmcnt(58) lgkmcnt(0)
	v_mul_f64 v[137:138], v[117:118], v[143:144]
	v_mul_f64 v[143:144], v[119:120], v[143:144]
	ds_read_b128 v[5:8], v169 offset:1264
	s_waitcnt vmcnt(56)
	v_fma_f64 v[139:140], v[1:2], v[145:146], -v[139:140]
	v_add_f64 v[121:122], v[121:122], v[135:136]
	v_fma_f64 v[135:136], v[3:4], v[145:146], v[201:202]
	v_add_f64 v[123:124], v[125:126], v[123:124]
	s_clause 0x4
	buffer_load_dword v126, off, s[0:3], 0 offset:652
	buffer_load_dword v145, off, s[0:3], 0 offset:664
	;; [unrolled: 1-line block ×5, first 2 shown]
	s_waitcnt vmcnt(57) lgkmcnt(0)
	v_mul_f64 v[201:202], v[5:6], v[147:148]
	v_mul_f64 v[147:148], v[7:8], v[147:148]
	s_waitcnt vmcnt(56)
	v_fma_f64 v[143:144], v[117:118], v[131:132], -v[143:144]
	ds_read_b128 v[1:4], v169 offset:1280
	v_fma_f64 v[131:132], v[119:120], v[131:132], v[137:138]
	v_add_f64 v[121:122], v[121:122], v[139:140]
	v_add_f64 v[123:124], v[123:124], v[135:136]
	s_clause 0x2
	buffer_load_dword v146, off, s[0:3], 0 offset:668
	buffer_load_dword v136, off, s[0:3], 0 offset:644
	buffer_load_dword v135, off, s[0:3], 0 offset:640
	ds_read_b128 v[117:120], v169 offset:1296
	s_waitcnt vmcnt(58) lgkmcnt(1)
	v_mul_f64 v[139:140], v[3:4], v[151:152]
	s_waitcnt vmcnt(56)
	v_fma_f64 v[147:148], v[5:6], v[153:154], -v[147:148]
	v_mul_f64 v[137:138], v[1:2], v[151:152]
	v_add_f64 v[121:122], v[121:122], v[143:144]
	v_fma_f64 v[143:144], v[7:8], v[153:154], v[201:202]
	v_add_f64 v[123:124], v[123:124], v[131:132]
	s_clause 0x4
	buffer_load_dword v132, off, s[0:3], 0 offset:684
	buffer_load_dword v151, off, s[0:3], 0 offset:696
	;; [unrolled: 1-line block ×5, first 2 shown]
	s_waitcnt vmcnt(57) lgkmcnt(0)
	v_mul_f64 v[201:202], v[117:118], v[155:156]
	v_mul_f64 v[154:155], v[119:120], v[155:156]
	s_waitcnt vmcnt(56)
	v_fma_f64 v[139:140], v[1:2], v[141:142], -v[139:140]
	ds_read_b128 v[5:8], v169 offset:1312
	v_fma_f64 v[137:138], v[3:4], v[141:142], v[137:138]
	s_clause 0x2
	buffer_load_dword v152, off, s[0:3], 0 offset:700
	buffer_load_dword v142, off, s[0:3], 0 offset:676
	;; [unrolled: 1-line block ×3, first 2 shown]
	ds_read_b128 v[1:4], v169 offset:1328
	v_add_f64 v[121:122], v[121:122], v[147:148]
	v_add_f64 v[123:124], v[123:124], v[143:144]
	s_waitcnt vmcnt(58) lgkmcnt(1)
	v_mul_f64 v[147:148], v[7:8], v[159:160]
	s_waitcnt vmcnt(56)
	v_fma_f64 v[155:156], v[117:118], v[161:162], -v[154:155]
	v_mul_f64 v[143:144], v[5:6], v[159:160]
	v_add_f64 v[121:122], v[121:122], v[139:140]
	v_fma_f64 v[139:140], v[119:120], v[161:162], v[201:202]
	v_add_f64 v[123:124], v[123:124], v[137:138]
	s_clause 0x4
	buffer_load_dword v138, off, s[0:3], 0 offset:716
	buffer_load_dword v159, off, s[0:3], 0 offset:728
	buffer_load_dword v161, off, s[0:3], 0 offset:720
	buffer_load_dword v137, off, s[0:3], 0 offset:712
	buffer_load_dword v154, off, s[0:3], 0 offset:692
	s_waitcnt vmcnt(57) lgkmcnt(0)
	v_mul_f64 v[201:202], v[1:2], v[163:164]
	v_mul_f64 v[162:163], v[3:4], v[163:164]
	s_waitcnt vmcnt(56)
	v_fma_f64 v[147:148], v[5:6], v[149:150], -v[147:148]
	ds_read_b128 v[117:120], v169 offset:1344
	v_fma_f64 v[143:144], v[7:8], v[149:150], v[143:144]
	v_add_f64 v[121:122], v[121:122], v[155:156]
	v_add_f64 v[123:124], v[123:124], v[139:140]
	s_clause 0x2
	buffer_load_dword v160, off, s[0:3], 0 offset:732
	buffer_load_dword v140, off, s[0:3], 0 offset:708
	;; [unrolled: 1-line block ×3, first 2 shown]
	ds_read_b128 v[5:8], v169 offset:1360
	s_waitcnt vmcnt(58) lgkmcnt(1)
	v_mul_f64 v[155:156], v[119:120], v[165:166]
	s_waitcnt vmcnt(56)
	v_fma_f64 v[163:164], v[1:2], v[167:168], -v[162:163]
	v_mul_f64 v[149:150], v[117:118], v[165:166]
	v_add_f64 v[121:122], v[121:122], v[147:148]
	v_fma_f64 v[147:148], v[3:4], v[167:168], v[201:202]
	v_add_f64 v[123:124], v[123:124], v[143:144]
	s_clause 0x4
	buffer_load_dword v144, off, s[0:3], 0 offset:748
	buffer_load_dword v165, off, s[0:3], 0 offset:760
	;; [unrolled: 1-line block ×5, first 2 shown]
	s_waitcnt vmcnt(57) lgkmcnt(0)
	v_mul_f64 v[201:202], v[5:6], v[186:187]
	v_mul_f64 v[186:187], v[7:8], v[186:187]
	s_waitcnt vmcnt(56)
	v_fma_f64 v[155:156], v[117:118], v[157:158], -v[155:156]
	ds_read_b128 v[1:4], v169 offset:1376
	v_fma_f64 v[149:150], v[119:120], v[157:158], v[149:150]
	v_add_f64 v[121:122], v[121:122], v[163:164]
	v_add_f64 v[123:124], v[123:124], v[147:148]
	s_clause 0x2
	buffer_load_dword v166, off, s[0:3], 0 offset:764
	buffer_load_dword v148, off, s[0:3], 0 offset:740
	;; [unrolled: 1-line block ×3, first 2 shown]
	ds_read_b128 v[117:120], v169 offset:1392
	s_waitcnt vmcnt(58) lgkmcnt(1)
	v_mul_f64 v[163:164], v[3:4], v[188:189]
	s_waitcnt vmcnt(56)
	v_fma_f64 v[186:187], v[5:6], v[193:194], -v[186:187]
	v_mul_f64 v[157:158], v[1:2], v[188:189]
	v_add_f64 v[121:122], v[121:122], v[155:156]
	v_fma_f64 v[155:156], v[7:8], v[193:194], v[201:202]
	v_add_f64 v[123:124], v[123:124], v[149:150]
	s_clause 0x4
	buffer_load_dword v150, off, s[0:3], 0 offset:780
	buffer_load_dword v188, off, s[0:3], 0 offset:792
	;; [unrolled: 1-line block ×5, first 2 shown]
	ds_read_b128 v[5:8], v169 offset:1408
	s_waitcnt vmcnt(57) lgkmcnt(1)
	v_mul_f64 v[193:194], v[117:118], v[180:181]
	v_mul_f64 v[180:181], v[119:120], v[180:181]
	s_waitcnt vmcnt(56)
	v_fma_f64 v[163:164], v[1:2], v[190:191], -v[163:164]
	v_fma_f64 v[157:158], v[3:4], v[190:191], v[157:158]
	v_add_f64 v[121:122], v[121:122], v[186:187]
	v_add_f64 v[123:124], v[123:124], v[155:156]
	s_clause 0x2
	buffer_load_dword v189, off, s[0:3], 0 offset:796
	buffer_load_dword v156, off, s[0:3], 0 offset:772
	;; [unrolled: 1-line block ×3, first 2 shown]
	ds_read_b128 v[1:4], v169 offset:1424
	s_waitcnt vmcnt(58) lgkmcnt(1)
	v_mul_f64 v[190:191], v[7:8], v[197:198]
	v_mul_f64 v[186:187], v[5:6], v[197:198]
	s_waitcnt vmcnt(56)
	v_fma_f64 v[180:181], v[117:118], v[174:175], -v[180:181]
	v_add_f64 v[121:122], v[121:122], v[163:164]
	v_fma_f64 v[163:164], v[119:120], v[174:175], v[193:194]
	v_add_f64 v[123:124], v[123:124], v[157:158]
	s_clause 0x4
	buffer_load_dword v158, off, s[0:3], 0 offset:812
	buffer_load_dword v174, off, s[0:3], 0 offset:824
	;; [unrolled: 1-line block ×5, first 2 shown]
	ds_read_b128 v[117:120], v169 offset:1440
	s_waitcnt vmcnt(57) lgkmcnt(1)
	v_mul_f64 v[201:202], v[1:2], v[133:134]
	v_mul_f64 v[133:134], v[3:4], v[133:134]
	s_waitcnt vmcnt(56)
	v_fma_f64 v[190:191], v[5:6], v[199:200], -v[190:191]
	v_add_f64 v[121:122], v[121:122], v[180:181]
	v_fma_f64 v[180:181], v[7:8], v[199:200], v[186:187]
	v_add_f64 v[123:124], v[123:124], v[163:164]
	s_clause 0x2
	buffer_load_dword v175, off, s[0:3], 0 offset:828
	buffer_load_dword v164, off, s[0:3], 0 offset:804
	;; [unrolled: 1-line block ×3, first 2 shown]
	ds_read_b128 v[5:8], v169 offset:1456
	s_waitcnt vmcnt(58) lgkmcnt(1)
	v_mul_f64 v[186:187], v[117:118], v[182:183]
	v_mul_f64 v[182:183], v[119:120], v[182:183]
	s_waitcnt vmcnt(56)
	v_fma_f64 v[133:134], v[1:2], v[127:128], -v[133:134]
	v_fma_f64 v[127:128], v[3:4], v[127:128], v[201:202]
	v_add_f64 v[121:122], v[121:122], v[190:191]
	v_add_f64 v[123:124], v[123:124], v[180:181]
	s_clause 0x4
	buffer_load_dword v181, off, s[0:3], 0 offset:844
	buffer_load_dword v190, off, s[0:3], 0 offset:856
	;; [unrolled: 1-line block ×5, first 2 shown]
	ds_read_b128 v[1:4], v169 offset:1472
	s_waitcnt vmcnt(57) lgkmcnt(1)
	v_mul_f64 v[199:200], v[5:6], v[170:171]
	v_mul_f64 v[170:171], v[7:8], v[170:171]
	s_waitcnt vmcnt(56)
	v_fma_f64 v[182:183], v[117:118], v[195:196], -v[182:183]
	v_add_f64 v[121:122], v[121:122], v[133:134]
	v_fma_f64 v[133:134], v[119:120], v[195:196], v[186:187]
	v_add_f64 v[123:124], v[123:124], v[127:128]
	s_clause 0x2
	buffer_load_dword v191, off, s[0:3], 0 offset:860
	buffer_load_dword v128, off, s[0:3], 0 offset:836
	;; [unrolled: 1-line block ×3, first 2 shown]
	ds_read_b128 v[117:120], v169 offset:1488
	s_waitcnt vmcnt(58) lgkmcnt(1)
	v_mul_f64 v[186:187], v[1:2], v[172:173]
	v_mul_f64 v[172:173], v[3:4], v[172:173]
	s_waitcnt vmcnt(56)
	v_fma_f64 v[170:171], v[5:6], v[129:130], -v[170:171]
	v_fma_f64 v[129:130], v[7:8], v[129:130], v[199:200]
	v_add_f64 v[121:122], v[121:122], v[182:183]
	v_add_f64 v[123:124], v[123:124], v[133:134]
	s_clause 0x2
	buffer_load_dword v134, off, s[0:3], 0 offset:876
	buffer_load_dword v133, off, s[0:3], 0 offset:872
	;; [unrolled: 1-line block ×3, first 2 shown]
	ds_read_b128 v[5:8], v169 offset:1504
	s_waitcnt vmcnt(55) lgkmcnt(1)
	v_mul_f64 v[182:183], v[117:118], v[125:126]
	v_mul_f64 v[125:126], v[119:120], v[125:126]
	s_waitcnt vmcnt(54)
	v_fma_f64 v[172:173], v[1:2], v[184:185], -v[172:173]
	v_add_f64 v[121:122], v[121:122], v[170:171]
	v_fma_f64 v[170:171], v[3:4], v[184:185], v[186:187]
	v_add_f64 v[123:124], v[123:124], v[129:130]
	s_clause 0x1
	buffer_load_dword v130, off, s[0:3], 0 offset:868
	buffer_load_dword v129, off, s[0:3], 0 offset:864
	ds_read_b128 v[1:4], v169 offset:1520
	s_waitcnt vmcnt(55) lgkmcnt(1)
	v_mul_f64 v[184:185], v[5:6], v[145:146]
	v_mul_f64 v[145:146], v[7:8], v[145:146]
	s_waitcnt vmcnt(53)
	v_fma_f64 v[125:126], v[117:118], v[135:136], -v[125:126]
	v_fma_f64 v[135:136], v[119:120], v[135:136], v[182:183]
	ds_read_b128 v[117:120], v169 offset:1536
	v_add_f64 v[121:122], v[121:122], v[172:173]
	v_add_f64 v[123:124], v[123:124], v[170:171]
	s_waitcnt vmcnt(49) lgkmcnt(1)
	v_mul_f64 v[170:171], v[1:2], v[131:132]
	v_mul_f64 v[131:132], v[3:4], v[131:132]
	s_waitcnt vmcnt(48)
	v_fma_f64 v[145:146], v[5:6], v[178:179], -v[145:146]
	v_add_f64 v[121:122], v[121:122], v[125:126]
	v_fma_f64 v[125:126], v[7:8], v[178:179], v[184:185]
	v_add_f64 v[123:124], v[123:124], v[135:136]
	s_clause 0x3
	buffer_load_dword v135, off, s[0:3], 0 offset:256
	buffer_load_dword v136, off, s[0:3], 0 offset:260
	;; [unrolled: 1-line block ×4, first 2 shown]
	s_waitcnt vmcnt(51) lgkmcnt(0)
	v_mul_f64 v[178:179], v[117:118], v[151:152]
	v_mul_f64 v[151:152], v[119:120], v[151:152]
	ds_read_b128 v[5:8], v169 offset:1552
	s_waitcnt vmcnt(49)
	v_fma_f64 v[131:132], v[1:2], v[141:142], -v[131:132]
	v_fma_f64 v[141:142], v[3:4], v[141:142], v[170:171]
	ds_read_b128 v[1:4], v169 offset:1568
	v_add_f64 v[121:122], v[121:122], v[145:146]
	v_add_f64 v[123:124], v[123:124], v[125:126]
	s_waitcnt vmcnt(45) lgkmcnt(1)
	v_mul_f64 v[125:126], v[5:6], v[137:138]
	v_mul_f64 v[137:138], v[7:8], v[137:138]
	s_waitcnt vmcnt(44)
	v_fma_f64 v[145:146], v[117:118], v[153:154], -v[151:152]
	v_add_f64 v[121:122], v[121:122], v[131:132]
	v_fma_f64 v[131:132], v[119:120], v[153:154], v[178:179]
	v_add_f64 v[123:124], v[123:124], v[141:142]
	ds_read_b128 v[117:120], v169 offset:1584
	s_waitcnt vmcnt(43) lgkmcnt(1)
	v_mul_f64 v[151:152], v[3:4], v[159:160]
	v_mul_f64 v[141:142], v[1:2], v[159:160]
	s_waitcnt vmcnt(41)
	v_fma_f64 v[137:138], v[5:6], v[139:140], -v[137:138]
	v_fma_f64 v[125:126], v[7:8], v[139:140], v[125:126]
	ds_read_b128 v[5:8], v169 offset:1600
	v_add_f64 v[121:122], v[121:122], v[145:146]
	v_add_f64 v[123:124], v[123:124], v[131:132]
	s_waitcnt vmcnt(37) lgkmcnt(1)
	v_mul_f64 v[131:132], v[117:118], v[143:144]
	v_mul_f64 v[139:140], v[119:120], v[143:144]
	s_waitcnt vmcnt(36)
	v_fma_f64 v[143:144], v[1:2], v[161:162], -v[151:152]
	v_add_f64 v[121:122], v[121:122], v[137:138]
	v_fma_f64 v[137:138], v[3:4], v[161:162], v[141:142]
	v_add_f64 v[123:124], v[123:124], v[125:126]
	ds_read_b128 v[1:4], v169 offset:1616
	s_waitcnt vmcnt(35) lgkmcnt(1)
	v_mul_f64 v[141:142], v[7:8], v[165:166]
	v_mul_f64 v[125:126], v[5:6], v[165:166]
	s_waitcnt vmcnt(33)
	v_fma_f64 v[139:140], v[117:118], v[147:148], -v[139:140]
	v_fma_f64 v[131:132], v[119:120], v[147:148], v[131:132]
	ds_read_b128 v[117:120], v169 offset:1632
	v_add_f64 v[121:122], v[121:122], v[143:144]
	v_add_f64 v[123:124], v[123:124], v[137:138]
	s_waitcnt vmcnt(29) lgkmcnt(1)
	v_mul_f64 v[143:144], v[3:4], v[149:150]
	s_waitcnt vmcnt(28)
	v_fma_f64 v[141:142], v[5:6], v[167:168], -v[141:142]
	v_mul_f64 v[137:138], v[1:2], v[149:150]
	v_fma_f64 v[125:126], v[7:8], v[167:168], v[125:126]
	ds_read_b128 v[5:8], v169 offset:1648
	v_add_f64 v[121:122], v[121:122], v[139:140]
	v_add_f64 v[123:124], v[123:124], v[131:132]
	s_waitcnt vmcnt(27) lgkmcnt(1)
	v_mul_f64 v[139:140], v[119:120], v[188:189]
	v_mul_f64 v[131:132], v[117:118], v[188:189]
	s_waitcnt vmcnt(25)
	v_fma_f64 v[143:144], v[1:2], v[155:156], -v[143:144]
	v_fma_f64 v[137:138], v[3:4], v[155:156], v[137:138]
	ds_read_b128 v[1:4], v169 offset:1664
	v_add_f64 v[121:122], v[121:122], v[141:142]
	v_add_f64 v[123:124], v[123:124], v[125:126]
	s_waitcnt vmcnt(21) lgkmcnt(1)
	v_mul_f64 v[141:142], v[7:8], v[157:158]
	s_waitcnt vmcnt(20)
	v_fma_f64 v[139:140], v[117:118], v[192:193], -v[139:140]
	v_mul_f64 v[125:126], v[5:6], v[157:158]
	v_fma_f64 v[131:132], v[119:120], v[192:193], v[131:132]
	ds_read_b128 v[117:120], v169 offset:1680
	v_add_f64 v[121:122], v[121:122], v[143:144]
	v_add_f64 v[123:124], v[123:124], v[137:138]
	;; [unrolled: 18-line block ×3, first 2 shown]
	s_waitcnt vmcnt(11) lgkmcnt(1)
	v_mul_f64 v[141:142], v[7:8], v[190:191]
	v_mul_f64 v[125:126], v[5:6], v[190:191]
	s_waitcnt vmcnt(9)
	v_fma_f64 v[117:118], v[117:118], v[127:128], -v[139:140]
	v_fma_f64 v[119:120], v[119:120], v[127:128], v[131:132]
	v_add_f64 v[121:122], v[121:122], v[143:144]
	v_add_f64 v[123:124], v[123:124], v[137:138]
	s_waitcnt vmcnt(7) lgkmcnt(0)
	v_mul_f64 v[131:132], v[3:4], v[133:134]
	s_waitcnt vmcnt(6)
	v_fma_f64 v[5:6], v[5:6], v[194:195], -v[141:142]
	v_mul_f64 v[127:128], v[1:2], v[133:134]
	v_fma_f64 v[7:8], v[7:8], v[194:195], v[125:126]
	v_add_f64 v[117:118], v[121:122], v[117:118]
	v_add_f64 v[119:120], v[123:124], v[119:120]
	s_waitcnt vmcnt(4)
	v_fma_f64 v[1:2], v[1:2], v[129:130], -v[131:132]
	v_fma_f64 v[3:4], v[3:4], v[129:130], v[127:128]
	v_add_f64 v[5:6], v[117:118], v[5:6]
	v_add_f64 v[7:8], v[119:120], v[7:8]
	;; [unrolled: 1-line block ×4, first 2 shown]
	s_waitcnt vmcnt(2)
	v_add_f64 v[1:2], v[135:136], -v[1:2]
	s_waitcnt vmcnt(0)
	v_add_f64 v[3:4], v[172:173], -v[3:4]
	buffer_store_dword v2, off, s[0:3], 0 offset:260
	buffer_store_dword v1, off, s[0:3], 0 offset:256
	;; [unrolled: 1-line block ×4, first 2 shown]
	v_cmpx_lt_u32_e32 14, v0
	s_cbranch_execz .LBB117_309
; %bb.308:
	v_mov_b32_e32 v4, s52
	v_mov_b32_e32 v5, 0
	s_clause 0x3
	buffer_load_dword v1, v4, s[0:3], 0 offen
	buffer_load_dword v2, v4, s[0:3], 0 offen offset:4
	buffer_load_dword v3, v4, s[0:3], 0 offen offset:8
	;; [unrolled: 1-line block ×3, first 2 shown]
	buffer_store_dword v5, off, s[0:3], 0 offset:240
	buffer_store_dword v5, off, s[0:3], 0 offset:244
	;; [unrolled: 1-line block ×4, first 2 shown]
	s_waitcnt vmcnt(0)
	ds_write_b128 v177, v[1:4]
.LBB117_309:
	s_or_b32 exec_lo, exec_lo, s4
	s_waitcnt lgkmcnt(0)
	s_waitcnt_vscnt null, 0x0
	s_barrier
	buffer_gl0_inv
	s_clause 0x37
	buffer_load_dword v117, off, s[0:3], 0 offset:264
	buffer_load_dword v118, off, s[0:3], 0 offset:268
	;; [unrolled: 1-line block ×56, first 2 shown]
	v_mov_b32_e32 v169, 0
	s_mov_b32 s4, exec_lo
	ds_read_b128 v[170:173], v169 offset:1104
	s_clause 0x2
	buffer_load_dword v166, off, s[0:3], 0 offset:492
	buffer_load_dword v168, off, s[0:3], 0 offset:468
	;; [unrolled: 1-line block ×3, first 2 shown]
	ds_read_b128 v[178:181], v169 offset:1120
	s_clause 0x4
	buffer_load_dword v187, off, s[0:3], 0 offset:508
	buffer_load_dword v188, off, s[0:3], 0 offset:520
	;; [unrolled: 1-line block ×5, first 2 shown]
	ds_read_b128 v[182:185], v169 offset:1136
	s_clause 0x2
	buffer_load_dword v189, off, s[0:3], 0 offset:524
	buffer_load_dword v194, off, s[0:3], 0 offset:500
	;; [unrolled: 1-line block ×3, first 2 shown]
	s_waitcnt vmcnt(62) lgkmcnt(2)
	v_mul_f64 v[174:175], v[172:173], v[117:118]
	v_mul_f64 v[117:118], v[170:171], v[117:118]
	s_waitcnt lgkmcnt(1)
	v_mul_f64 v[191:192], v[180:181], v[5:6]
	s_waitcnt vmcnt(59) lgkmcnt(0)
	v_mul_f64 v[195:196], v[184:185], v[3:4]
	v_fma_f64 v[170:171], v[170:171], v[7:8], -v[174:175]
	v_mul_f64 v[174:175], v[178:179], v[5:6]
	v_fma_f64 v[117:118], v[172:173], v[7:8], v[117:118]
	s_waitcnt vmcnt(57)
	v_fma_f64 v[178:179], v[178:179], v[1:2], -v[191:192]
	ds_read_b128 v[5:8], v169 offset:1152
	v_mul_f64 v[172:173], v[182:183], v[3:4]
	s_waitcnt vmcnt(51)
	v_fma_f64 v[182:183], v[182:183], v[133:134], -v[195:196]
	v_add_f64 v[170:171], v[170:171], 0
	v_fma_f64 v[174:175], v[180:181], v[1:2], v[174:175]
	v_add_f64 v[117:118], v[117:118], 0
	s_clause 0x4
	buffer_load_dword v181, off, s[0:3], 0 offset:540
	buffer_load_dword v197, off, s[0:3], 0 offset:552
	;; [unrolled: 1-line block ×5, first 2 shown]
	s_waitcnt lgkmcnt(0)
	v_mul_f64 v[200:201], v[5:6], v[121:122]
	v_mul_f64 v[121:122], v[7:8], v[121:122]
	ds_read_b128 v[1:4], v169 offset:1168
	v_fma_f64 v[133:134], v[184:185], v[133:134], v[172:173]
	v_add_f64 v[178:179], v[170:171], v[178:179]
	v_add_f64 v[117:118], v[117:118], v[174:175]
	s_clause 0x2
	buffer_load_dword v198, off, s[0:3], 0 offset:556
	buffer_load_dword v175, off, s[0:3], 0 offset:532
	buffer_load_dword v174, off, s[0:3], 0 offset:528
	s_waitcnt vmcnt(58) lgkmcnt(0)
	v_mul_f64 v[184:185], v[1:2], v[125:126]
	v_mul_f64 v[125:126], v[3:4], v[125:126]
	s_waitcnt vmcnt(56)
	v_fma_f64 v[121:122], v[5:6], v[127:128], -v[121:122]
	ds_read_b128 v[170:173], v169 offset:1184
	v_fma_f64 v[127:128], v[7:8], v[127:128], v[200:201]
	v_add_f64 v[178:179], v[178:179], v[182:183]
	v_add_f64 v[117:118], v[117:118], v[133:134]
	s_clause 0x4
	buffer_load_dword v134, off, s[0:3], 0 offset:572
	buffer_load_dword v182, off, s[0:3], 0 offset:584
	;; [unrolled: 1-line block ×5, first 2 shown]
	ds_read_b128 v[5:8], v169 offset:1200
	s_waitcnt vmcnt(57) lgkmcnt(1)
	v_mul_f64 v[201:202], v[170:171], v[129:130]
	v_mul_f64 v[129:130], v[172:173], v[129:130]
	s_waitcnt vmcnt(56)
	v_fma_f64 v[125:126], v[1:2], v[119:120], -v[125:126]
	v_fma_f64 v[119:120], v[3:4], v[119:120], v[184:185]
	v_add_f64 v[121:122], v[178:179], v[121:122]
	v_add_f64 v[117:118], v[117:118], v[127:128]
	s_clause 0x2
	buffer_load_dword v183, off, s[0:3], 0 offset:588
	buffer_load_dword v128, off, s[0:3], 0 offset:564
	;; [unrolled: 1-line block ×3, first 2 shown]
	s_waitcnt vmcnt(58) lgkmcnt(0)
	v_mul_f64 v[178:179], v[5:6], v[135:136]
	v_mul_f64 v[135:136], v[7:8], v[135:136]
	s_waitcnt vmcnt(56)
	v_fma_f64 v[129:130], v[170:171], v[137:138], -v[129:130]
	ds_read_b128 v[1:4], v169 offset:1216
	v_add_f64 v[121:122], v[121:122], v[125:126]
	v_fma_f64 v[125:126], v[172:173], v[137:138], v[201:202]
	v_add_f64 v[137:138], v[117:118], v[119:120]
	s_clause 0x4
	buffer_load_dword v171, off, s[0:3], 0 offset:604
	buffer_load_dword v172, off, s[0:3], 0 offset:616
	;; [unrolled: 1-line block ×5, first 2 shown]
	ds_read_b128 v[117:120], v169 offset:1232
	s_waitcnt vmcnt(57) lgkmcnt(1)
	v_mul_f64 v[201:202], v[1:2], v[139:140]
	v_mul_f64 v[139:140], v[3:4], v[139:140]
	s_waitcnt vmcnt(56)
	v_fma_f64 v[135:136], v[5:6], v[123:124], -v[135:136]
	v_fma_f64 v[123:124], v[7:8], v[123:124], v[178:179]
	v_add_f64 v[121:122], v[121:122], v[129:130]
	s_clause 0x2
	buffer_load_dword v173, off, s[0:3], 0 offset:620
	buffer_load_dword v130, off, s[0:3], 0 offset:596
	;; [unrolled: 1-line block ×3, first 2 shown]
	v_add_f64 v[125:126], v[137:138], v[125:126]
	s_waitcnt vmcnt(58) lgkmcnt(0)
	v_mul_f64 v[137:138], v[117:118], v[143:144]
	v_mul_f64 v[143:144], v[119:120], v[143:144]
	ds_read_b128 v[5:8], v169 offset:1248
	s_waitcnt vmcnt(56)
	v_fma_f64 v[139:140], v[1:2], v[145:146], -v[139:140]
	v_add_f64 v[121:122], v[121:122], v[135:136]
	v_fma_f64 v[135:136], v[3:4], v[145:146], v[201:202]
	v_add_f64 v[123:124], v[125:126], v[123:124]
	s_clause 0x4
	buffer_load_dword v126, off, s[0:3], 0 offset:636
	buffer_load_dword v145, off, s[0:3], 0 offset:648
	;; [unrolled: 1-line block ×5, first 2 shown]
	s_waitcnt vmcnt(57) lgkmcnt(0)
	v_mul_f64 v[201:202], v[5:6], v[147:148]
	v_mul_f64 v[147:148], v[7:8], v[147:148]
	s_waitcnt vmcnt(56)
	v_fma_f64 v[143:144], v[117:118], v[131:132], -v[143:144]
	ds_read_b128 v[1:4], v169 offset:1264
	v_fma_f64 v[131:132], v[119:120], v[131:132], v[137:138]
	v_add_f64 v[121:122], v[121:122], v[139:140]
	v_add_f64 v[123:124], v[123:124], v[135:136]
	s_clause 0x2
	buffer_load_dword v146, off, s[0:3], 0 offset:652
	buffer_load_dword v136, off, s[0:3], 0 offset:628
	;; [unrolled: 1-line block ×3, first 2 shown]
	ds_read_b128 v[117:120], v169 offset:1280
	s_waitcnt vmcnt(58) lgkmcnt(1)
	v_mul_f64 v[139:140], v[3:4], v[151:152]
	s_waitcnt vmcnt(56)
	v_fma_f64 v[147:148], v[5:6], v[153:154], -v[147:148]
	v_mul_f64 v[137:138], v[1:2], v[151:152]
	v_add_f64 v[121:122], v[121:122], v[143:144]
	v_fma_f64 v[143:144], v[7:8], v[153:154], v[201:202]
	v_add_f64 v[123:124], v[123:124], v[131:132]
	s_clause 0x4
	buffer_load_dword v132, off, s[0:3], 0 offset:668
	buffer_load_dword v151, off, s[0:3], 0 offset:680
	buffer_load_dword v153, off, s[0:3], 0 offset:672
	buffer_load_dword v131, off, s[0:3], 0 offset:664
	buffer_load_dword v179, off, s[0:3], 0 offset:644
	s_waitcnt vmcnt(57) lgkmcnt(0)
	v_mul_f64 v[201:202], v[117:118], v[155:156]
	v_mul_f64 v[154:155], v[119:120], v[155:156]
	s_waitcnt vmcnt(56)
	v_fma_f64 v[139:140], v[1:2], v[141:142], -v[139:140]
	ds_read_b128 v[5:8], v169 offset:1296
	v_fma_f64 v[137:138], v[3:4], v[141:142], v[137:138]
	s_clause 0x2
	buffer_load_dword v152, off, s[0:3], 0 offset:684
	buffer_load_dword v142, off, s[0:3], 0 offset:660
	buffer_load_dword v141, off, s[0:3], 0 offset:656
	ds_read_b128 v[1:4], v169 offset:1312
	v_add_f64 v[121:122], v[121:122], v[147:148]
	v_add_f64 v[123:124], v[123:124], v[143:144]
	s_waitcnt vmcnt(58) lgkmcnt(1)
	v_mul_f64 v[147:148], v[7:8], v[159:160]
	s_waitcnt vmcnt(56)
	v_fma_f64 v[155:156], v[117:118], v[161:162], -v[154:155]
	v_mul_f64 v[143:144], v[5:6], v[159:160]
	v_add_f64 v[121:122], v[121:122], v[139:140]
	v_fma_f64 v[139:140], v[119:120], v[161:162], v[201:202]
	v_add_f64 v[123:124], v[123:124], v[137:138]
	s_clause 0x4
	buffer_load_dword v138, off, s[0:3], 0 offset:700
	buffer_load_dword v159, off, s[0:3], 0 offset:712
	;; [unrolled: 1-line block ×5, first 2 shown]
	s_waitcnt vmcnt(57) lgkmcnt(0)
	v_mul_f64 v[201:202], v[1:2], v[163:164]
	v_mul_f64 v[162:163], v[3:4], v[163:164]
	s_waitcnt vmcnt(56)
	v_fma_f64 v[147:148], v[5:6], v[149:150], -v[147:148]
	ds_read_b128 v[117:120], v169 offset:1328
	v_fma_f64 v[143:144], v[7:8], v[149:150], v[143:144]
	v_add_f64 v[121:122], v[121:122], v[155:156]
	v_add_f64 v[123:124], v[123:124], v[139:140]
	s_clause 0x2
	buffer_load_dword v160, off, s[0:3], 0 offset:716
	buffer_load_dword v140, off, s[0:3], 0 offset:692
	;; [unrolled: 1-line block ×3, first 2 shown]
	ds_read_b128 v[5:8], v169 offset:1344
	s_waitcnt vmcnt(58) lgkmcnt(1)
	v_mul_f64 v[155:156], v[119:120], v[165:166]
	s_waitcnt vmcnt(56)
	v_fma_f64 v[163:164], v[1:2], v[167:168], -v[162:163]
	v_mul_f64 v[149:150], v[117:118], v[165:166]
	v_add_f64 v[121:122], v[121:122], v[147:148]
	v_fma_f64 v[147:148], v[3:4], v[167:168], v[201:202]
	v_add_f64 v[123:124], v[123:124], v[143:144]
	s_clause 0x4
	buffer_load_dword v144, off, s[0:3], 0 offset:732
	buffer_load_dword v165, off, s[0:3], 0 offset:744
	;; [unrolled: 1-line block ×5, first 2 shown]
	s_waitcnt vmcnt(57) lgkmcnt(0)
	v_mul_f64 v[201:202], v[5:6], v[186:187]
	v_mul_f64 v[186:187], v[7:8], v[186:187]
	s_waitcnt vmcnt(56)
	v_fma_f64 v[155:156], v[117:118], v[157:158], -v[155:156]
	ds_read_b128 v[1:4], v169 offset:1360
	v_fma_f64 v[149:150], v[119:120], v[157:158], v[149:150]
	v_add_f64 v[121:122], v[121:122], v[163:164]
	v_add_f64 v[123:124], v[123:124], v[147:148]
	s_clause 0x2
	buffer_load_dword v166, off, s[0:3], 0 offset:748
	buffer_load_dword v148, off, s[0:3], 0 offset:724
	;; [unrolled: 1-line block ×3, first 2 shown]
	ds_read_b128 v[117:120], v169 offset:1376
	s_waitcnt vmcnt(58) lgkmcnt(1)
	v_mul_f64 v[163:164], v[3:4], v[188:189]
	s_waitcnt vmcnt(56)
	v_fma_f64 v[186:187], v[5:6], v[193:194], -v[186:187]
	v_mul_f64 v[157:158], v[1:2], v[188:189]
	v_add_f64 v[121:122], v[121:122], v[155:156]
	v_fma_f64 v[155:156], v[7:8], v[193:194], v[201:202]
	v_add_f64 v[123:124], v[123:124], v[149:150]
	s_clause 0x4
	buffer_load_dword v150, off, s[0:3], 0 offset:764
	buffer_load_dword v188, off, s[0:3], 0 offset:776
	;; [unrolled: 1-line block ×5, first 2 shown]
	ds_read_b128 v[5:8], v169 offset:1392
	s_waitcnt vmcnt(57) lgkmcnt(1)
	v_mul_f64 v[193:194], v[117:118], v[180:181]
	v_mul_f64 v[180:181], v[119:120], v[180:181]
	s_waitcnt vmcnt(56)
	v_fma_f64 v[163:164], v[1:2], v[190:191], -v[163:164]
	v_fma_f64 v[157:158], v[3:4], v[190:191], v[157:158]
	v_add_f64 v[121:122], v[121:122], v[186:187]
	v_add_f64 v[123:124], v[123:124], v[155:156]
	s_clause 0x2
	buffer_load_dword v189, off, s[0:3], 0 offset:780
	buffer_load_dword v156, off, s[0:3], 0 offset:756
	;; [unrolled: 1-line block ×3, first 2 shown]
	ds_read_b128 v[1:4], v169 offset:1408
	s_waitcnt vmcnt(58) lgkmcnt(1)
	v_mul_f64 v[190:191], v[7:8], v[197:198]
	v_mul_f64 v[186:187], v[5:6], v[197:198]
	s_waitcnt vmcnt(56)
	v_fma_f64 v[180:181], v[117:118], v[174:175], -v[180:181]
	v_add_f64 v[121:122], v[121:122], v[163:164]
	v_fma_f64 v[163:164], v[119:120], v[174:175], v[193:194]
	v_add_f64 v[123:124], v[123:124], v[157:158]
	s_clause 0x4
	buffer_load_dword v158, off, s[0:3], 0 offset:796
	buffer_load_dword v174, off, s[0:3], 0 offset:808
	;; [unrolled: 1-line block ×5, first 2 shown]
	ds_read_b128 v[117:120], v169 offset:1424
	s_waitcnt vmcnt(57) lgkmcnt(1)
	v_mul_f64 v[201:202], v[1:2], v[133:134]
	v_mul_f64 v[133:134], v[3:4], v[133:134]
	s_waitcnt vmcnt(56)
	v_fma_f64 v[190:191], v[5:6], v[199:200], -v[190:191]
	v_add_f64 v[121:122], v[121:122], v[180:181]
	v_fma_f64 v[180:181], v[7:8], v[199:200], v[186:187]
	v_add_f64 v[123:124], v[123:124], v[163:164]
	s_clause 0x2
	buffer_load_dword v175, off, s[0:3], 0 offset:812
	buffer_load_dword v164, off, s[0:3], 0 offset:788
	;; [unrolled: 1-line block ×3, first 2 shown]
	ds_read_b128 v[5:8], v169 offset:1440
	s_waitcnt vmcnt(58) lgkmcnt(1)
	v_mul_f64 v[186:187], v[117:118], v[182:183]
	v_mul_f64 v[182:183], v[119:120], v[182:183]
	s_waitcnt vmcnt(56)
	v_fma_f64 v[133:134], v[1:2], v[127:128], -v[133:134]
	v_fma_f64 v[127:128], v[3:4], v[127:128], v[201:202]
	v_add_f64 v[121:122], v[121:122], v[190:191]
	v_add_f64 v[123:124], v[123:124], v[180:181]
	s_clause 0x4
	buffer_load_dword v181, off, s[0:3], 0 offset:828
	buffer_load_dword v190, off, s[0:3], 0 offset:840
	;; [unrolled: 1-line block ×5, first 2 shown]
	ds_read_b128 v[1:4], v169 offset:1456
	s_waitcnt vmcnt(57) lgkmcnt(1)
	v_mul_f64 v[199:200], v[5:6], v[170:171]
	v_mul_f64 v[170:171], v[7:8], v[170:171]
	s_waitcnt vmcnt(56)
	v_fma_f64 v[182:183], v[117:118], v[195:196], -v[182:183]
	v_add_f64 v[121:122], v[121:122], v[133:134]
	v_fma_f64 v[133:134], v[119:120], v[195:196], v[186:187]
	v_add_f64 v[123:124], v[123:124], v[127:128]
	s_clause 0x2
	buffer_load_dword v191, off, s[0:3], 0 offset:844
	buffer_load_dword v128, off, s[0:3], 0 offset:820
	;; [unrolled: 1-line block ×3, first 2 shown]
	ds_read_b128 v[117:120], v169 offset:1472
	s_waitcnt vmcnt(58) lgkmcnt(1)
	v_mul_f64 v[186:187], v[1:2], v[172:173]
	v_mul_f64 v[172:173], v[3:4], v[172:173]
	s_waitcnt vmcnt(56)
	v_fma_f64 v[170:171], v[5:6], v[129:130], -v[170:171]
	v_fma_f64 v[129:130], v[7:8], v[129:130], v[199:200]
	v_add_f64 v[121:122], v[121:122], v[182:183]
	v_add_f64 v[123:124], v[123:124], v[133:134]
	s_clause 0x4
	buffer_load_dword v134, off, s[0:3], 0 offset:860
	buffer_load_dword v182, off, s[0:3], 0 offset:872
	;; [unrolled: 1-line block ×5, first 2 shown]
	ds_read_b128 v[5:8], v169 offset:1488
	s_waitcnt vmcnt(57) lgkmcnt(1)
	v_mul_f64 v[200:201], v[117:118], v[125:126]
	v_mul_f64 v[125:126], v[119:120], v[125:126]
	s_waitcnt vmcnt(56)
	v_fma_f64 v[172:173], v[1:2], v[184:185], -v[172:173]
	v_add_f64 v[121:122], v[121:122], v[170:171]
	v_fma_f64 v[170:171], v[3:4], v[184:185], v[186:187]
	v_add_f64 v[123:124], v[123:124], v[129:130]
	s_clause 0x2
	buffer_load_dword v183, off, s[0:3], 0 offset:876
	buffer_load_dword v130, off, s[0:3], 0 offset:852
	;; [unrolled: 1-line block ×3, first 2 shown]
	ds_read_b128 v[1:4], v169 offset:1504
	s_waitcnt vmcnt(58) lgkmcnt(1)
	v_mul_f64 v[184:185], v[5:6], v[145:146]
	v_mul_f64 v[145:146], v[7:8], v[145:146]
	s_waitcnt vmcnt(56)
	v_fma_f64 v[125:126], v[117:118], v[135:136], -v[125:126]
	v_fma_f64 v[135:136], v[119:120], v[135:136], v[200:201]
	buffer_load_dword v200, off, s[0:3], 0 offset:868
	ds_read_b128 v[117:120], v169 offset:1520
	v_add_f64 v[121:122], v[121:122], v[172:173]
	v_add_f64 v[123:124], v[123:124], v[170:171]
	s_waitcnt vmcnt(53) lgkmcnt(1)
	v_mul_f64 v[170:171], v[1:2], v[131:132]
	v_mul_f64 v[131:132], v[3:4], v[131:132]
	s_waitcnt vmcnt(52)
	v_fma_f64 v[145:146], v[5:6], v[178:179], -v[145:146]
	v_add_f64 v[121:122], v[121:122], v[125:126]
	v_fma_f64 v[125:126], v[7:8], v[178:179], v[184:185]
	v_add_f64 v[123:124], v[123:124], v[135:136]
	s_waitcnt vmcnt(51) lgkmcnt(0)
	v_mul_f64 v[135:136], v[117:118], v[151:152]
	v_mul_f64 v[151:152], v[119:120], v[151:152]
	ds_read_b128 v[5:8], v169 offset:1536
	s_waitcnt vmcnt(49)
	v_fma_f64 v[131:132], v[1:2], v[141:142], -v[131:132]
	v_fma_f64 v[141:142], v[3:4], v[141:142], v[170:171]
	v_add_f64 v[121:122], v[121:122], v[145:146]
	v_add_f64 v[123:124], v[123:124], v[125:126]
	s_clause 0x3
	buffer_load_dword v125, off, s[0:3], 0 offset:240
	buffer_load_dword v126, off, s[0:3], 0 offset:244
	;; [unrolled: 1-line block ×4, first 2 shown]
	ds_read_b128 v[1:4], v169 offset:1552
	s_waitcnt vmcnt(49) lgkmcnt(1)
	v_mul_f64 v[170:171], v[5:6], v[137:138]
	v_mul_f64 v[137:138], v[7:8], v[137:138]
	s_waitcnt vmcnt(48)
	v_fma_f64 v[151:152], v[117:118], v[153:154], -v[151:152]
	v_add_f64 v[121:122], v[121:122], v[131:132]
	v_fma_f64 v[131:132], v[119:120], v[153:154], v[135:136]
	v_add_f64 v[123:124], v[123:124], v[141:142]
	ds_read_b128 v[117:120], v169 offset:1568
	s_waitcnt vmcnt(47) lgkmcnt(1)
	v_mul_f64 v[141:142], v[3:4], v[159:160]
	v_mul_f64 v[135:136], v[1:2], v[159:160]
	s_waitcnt vmcnt(45)
	v_fma_f64 v[137:138], v[5:6], v[139:140], -v[137:138]
	v_fma_f64 v[139:140], v[7:8], v[139:140], v[170:171]
	ds_read_b128 v[5:8], v169 offset:1584
	v_add_f64 v[121:122], v[121:122], v[151:152]
	v_add_f64 v[123:124], v[123:124], v[131:132]
	s_waitcnt vmcnt(41) lgkmcnt(1)
	v_mul_f64 v[131:132], v[117:118], v[143:144]
	v_mul_f64 v[143:144], v[119:120], v[143:144]
	s_waitcnt vmcnt(40)
	v_fma_f64 v[141:142], v[1:2], v[161:162], -v[141:142]
	v_fma_f64 v[135:136], v[3:4], v[161:162], v[135:136]
	ds_read_b128 v[1:4], v169 offset:1600
	v_add_f64 v[121:122], v[121:122], v[137:138]
	v_add_f64 v[123:124], v[123:124], v[139:140]
	s_waitcnt vmcnt(39) lgkmcnt(1)
	v_mul_f64 v[139:140], v[7:8], v[165:166]
	v_mul_f64 v[137:138], v[5:6], v[165:166]
	s_waitcnt vmcnt(37)
	v_fma_f64 v[143:144], v[117:118], v[147:148], -v[143:144]
	v_fma_f64 v[131:132], v[119:120], v[147:148], v[131:132]
	ds_read_b128 v[117:120], v169 offset:1616
	v_add_f64 v[121:122], v[121:122], v[141:142]
	v_add_f64 v[123:124], v[123:124], v[135:136]
	s_waitcnt vmcnt(33) lgkmcnt(1)
	v_mul_f64 v[141:142], v[3:4], v[149:150]
	s_waitcnt vmcnt(32)
	v_fma_f64 v[139:140], v[5:6], v[167:168], -v[139:140]
	v_mul_f64 v[135:136], v[1:2], v[149:150]
	v_fma_f64 v[137:138], v[7:8], v[167:168], v[137:138]
	ds_read_b128 v[5:8], v169 offset:1632
	v_add_f64 v[121:122], v[121:122], v[143:144]
	v_add_f64 v[123:124], v[123:124], v[131:132]
	s_waitcnt vmcnt(31) lgkmcnt(1)
	v_mul_f64 v[143:144], v[119:120], v[188:189]
	v_mul_f64 v[131:132], v[117:118], v[188:189]
	s_waitcnt vmcnt(29)
	v_fma_f64 v[141:142], v[1:2], v[155:156], -v[141:142]
	v_fma_f64 v[135:136], v[3:4], v[155:156], v[135:136]
	ds_read_b128 v[1:4], v169 offset:1648
	v_add_f64 v[121:122], v[121:122], v[139:140]
	v_add_f64 v[123:124], v[123:124], v[137:138]
	s_waitcnt vmcnt(25) lgkmcnt(1)
	v_mul_f64 v[139:140], v[7:8], v[157:158]
	s_waitcnt vmcnt(24)
	v_fma_f64 v[143:144], v[117:118], v[192:193], -v[143:144]
	v_mul_f64 v[137:138], v[5:6], v[157:158]
	v_fma_f64 v[131:132], v[119:120], v[192:193], v[131:132]
	ds_read_b128 v[117:120], v169 offset:1664
	v_add_f64 v[121:122], v[121:122], v[141:142]
	v_add_f64 v[123:124], v[123:124], v[135:136]
	s_waitcnt vmcnt(23) lgkmcnt(1)
	v_mul_f64 v[141:142], v[3:4], v[174:175]
	v_mul_f64 v[135:136], v[1:2], v[174:175]
	s_waitcnt vmcnt(21)
	v_fma_f64 v[139:140], v[5:6], v[163:164], -v[139:140]
	v_fma_f64 v[137:138], v[7:8], v[163:164], v[137:138]
	ds_read_b128 v[5:8], v169 offset:1680
	v_add_f64 v[121:122], v[121:122], v[143:144]
	v_add_f64 v[123:124], v[123:124], v[131:132]
	;; [unrolled: 18-line block ×3, first 2 shown]
	s_waitcnt vmcnt(9) lgkmcnt(1)
	v_mul_f64 v[131:132], v[1:2], v[133:134]
	v_mul_f64 v[133:134], v[3:4], v[133:134]
	s_waitcnt vmcnt(8)
	v_fma_f64 v[5:6], v[5:6], v[194:195], -v[139:140]
	v_fma_f64 v[7:8], v[7:8], v[194:195], v[137:138]
	v_add_f64 v[121:122], v[121:122], v[143:144]
	v_add_f64 v[123:124], v[123:124], v[127:128]
	s_waitcnt vmcnt(7) lgkmcnt(0)
	v_mul_f64 v[135:136], v[119:120], v[182:183]
	v_mul_f64 v[127:128], v[117:118], v[182:183]
	s_waitcnt vmcnt(5)
	v_fma_f64 v[1:2], v[1:2], v[129:130], -v[133:134]
	v_fma_f64 v[3:4], v[3:4], v[129:130], v[131:132]
	v_add_f64 v[5:6], v[121:122], v[5:6]
	v_add_f64 v[7:8], v[123:124], v[7:8]
	s_waitcnt vmcnt(4)
	v_fma_f64 v[117:118], v[117:118], v[199:200], -v[135:136]
	v_add_f64 v[1:2], v[5:6], v[1:2]
	v_fma_f64 v[5:6], v[119:120], v[199:200], v[127:128]
	v_add_f64 v[3:4], v[7:8], v[3:4]
	v_add_f64 v[1:2], v[1:2], v[117:118]
	;; [unrolled: 1-line block ×3, first 2 shown]
	s_waitcnt vmcnt(2)
	v_add_f64 v[1:2], v[125:126], -v[1:2]
	s_waitcnt vmcnt(0)
	v_add_f64 v[3:4], v[145:146], -v[3:4]
	buffer_store_dword v2, off, s[0:3], 0 offset:244
	buffer_store_dword v1, off, s[0:3], 0 offset:240
	;; [unrolled: 1-line block ×4, first 2 shown]
	v_cmpx_lt_u32_e32 13, v0
	s_cbranch_execz .LBB117_311
; %bb.310:
	v_mov_b32_e32 v4, s53
	s_clause 0x3
	buffer_load_dword v1, v4, s[0:3], 0 offen
	buffer_load_dword v2, v4, s[0:3], 0 offen offset:4
	buffer_load_dword v3, v4, s[0:3], 0 offen offset:8
	;; [unrolled: 1-line block ×3, first 2 shown]
	buffer_store_dword v169, off, s[0:3], 0 offset:224
	buffer_store_dword v169, off, s[0:3], 0 offset:228
	;; [unrolled: 1-line block ×4, first 2 shown]
	s_waitcnt vmcnt(0)
	ds_write_b128 v177, v[1:4]
.LBB117_311:
	s_or_b32 exec_lo, exec_lo, s4
	s_waitcnt lgkmcnt(0)
	s_waitcnt_vscnt null, 0x0
	s_barrier
	buffer_gl0_inv
	s_clause 0x37
	buffer_load_dword v117, off, s[0:3], 0 offset:248
	buffer_load_dword v118, off, s[0:3], 0 offset:252
	;; [unrolled: 1-line block ×56, first 2 shown]
	ds_read_b128 v[170:173], v169 offset:1088
	s_clause 0x2
	buffer_load_dword v166, off, s[0:3], 0 offset:476
	buffer_load_dword v168, off, s[0:3], 0 offset:452
	;; [unrolled: 1-line block ×3, first 2 shown]
	ds_read_b128 v[178:181], v169 offset:1104
	s_clause 0x4
	buffer_load_dword v187, off, s[0:3], 0 offset:492
	buffer_load_dword v188, off, s[0:3], 0 offset:504
	;; [unrolled: 1-line block ×5, first 2 shown]
	ds_read_b128 v[182:185], v169 offset:1120
	s_clause 0x2
	buffer_load_dword v189, off, s[0:3], 0 offset:508
	buffer_load_dword v194, off, s[0:3], 0 offset:484
	;; [unrolled: 1-line block ×3, first 2 shown]
	s_mov_b32 s4, exec_lo
	s_waitcnt vmcnt(62) lgkmcnt(2)
	v_mul_f64 v[174:175], v[172:173], v[117:118]
	v_mul_f64 v[117:118], v[170:171], v[117:118]
	s_waitcnt lgkmcnt(1)
	v_mul_f64 v[191:192], v[180:181], v[5:6]
	s_waitcnt vmcnt(59) lgkmcnt(0)
	v_mul_f64 v[195:196], v[184:185], v[3:4]
	v_fma_f64 v[170:171], v[170:171], v[7:8], -v[174:175]
	v_mul_f64 v[174:175], v[178:179], v[5:6]
	v_fma_f64 v[117:118], v[172:173], v[7:8], v[117:118]
	s_waitcnt vmcnt(57)
	v_fma_f64 v[178:179], v[178:179], v[1:2], -v[191:192]
	ds_read_b128 v[5:8], v169 offset:1136
	v_mul_f64 v[172:173], v[182:183], v[3:4]
	s_waitcnt vmcnt(51)
	v_fma_f64 v[182:183], v[182:183], v[133:134], -v[195:196]
	v_add_f64 v[170:171], v[170:171], 0
	v_fma_f64 v[174:175], v[180:181], v[1:2], v[174:175]
	v_add_f64 v[117:118], v[117:118], 0
	s_clause 0x4
	buffer_load_dword v181, off, s[0:3], 0 offset:524
	buffer_load_dword v197, off, s[0:3], 0 offset:536
	;; [unrolled: 1-line block ×5, first 2 shown]
	s_waitcnt lgkmcnt(0)
	v_mul_f64 v[200:201], v[5:6], v[121:122]
	v_mul_f64 v[121:122], v[7:8], v[121:122]
	ds_read_b128 v[1:4], v169 offset:1152
	v_fma_f64 v[133:134], v[184:185], v[133:134], v[172:173]
	v_add_f64 v[178:179], v[170:171], v[178:179]
	v_add_f64 v[117:118], v[117:118], v[174:175]
	s_clause 0x2
	buffer_load_dword v198, off, s[0:3], 0 offset:540
	buffer_load_dword v175, off, s[0:3], 0 offset:516
	;; [unrolled: 1-line block ×3, first 2 shown]
	s_waitcnt vmcnt(58) lgkmcnt(0)
	v_mul_f64 v[184:185], v[1:2], v[125:126]
	v_mul_f64 v[125:126], v[3:4], v[125:126]
	s_waitcnt vmcnt(56)
	v_fma_f64 v[121:122], v[5:6], v[127:128], -v[121:122]
	ds_read_b128 v[170:173], v169 offset:1168
	v_fma_f64 v[127:128], v[7:8], v[127:128], v[200:201]
	v_add_f64 v[178:179], v[178:179], v[182:183]
	v_add_f64 v[117:118], v[117:118], v[133:134]
	s_clause 0x4
	buffer_load_dword v134, off, s[0:3], 0 offset:556
	buffer_load_dword v182, off, s[0:3], 0 offset:568
	;; [unrolled: 1-line block ×5, first 2 shown]
	ds_read_b128 v[5:8], v169 offset:1184
	s_waitcnt vmcnt(57) lgkmcnt(1)
	v_mul_f64 v[201:202], v[170:171], v[129:130]
	v_mul_f64 v[129:130], v[172:173], v[129:130]
	s_waitcnt vmcnt(56)
	v_fma_f64 v[125:126], v[1:2], v[119:120], -v[125:126]
	v_fma_f64 v[119:120], v[3:4], v[119:120], v[184:185]
	v_add_f64 v[121:122], v[178:179], v[121:122]
	v_add_f64 v[117:118], v[117:118], v[127:128]
	s_clause 0x2
	buffer_load_dword v183, off, s[0:3], 0 offset:572
	buffer_load_dword v128, off, s[0:3], 0 offset:548
	;; [unrolled: 1-line block ×3, first 2 shown]
	s_waitcnt vmcnt(58) lgkmcnt(0)
	v_mul_f64 v[178:179], v[5:6], v[135:136]
	v_mul_f64 v[135:136], v[7:8], v[135:136]
	s_waitcnt vmcnt(56)
	v_fma_f64 v[129:130], v[170:171], v[137:138], -v[129:130]
	ds_read_b128 v[1:4], v169 offset:1200
	v_add_f64 v[121:122], v[121:122], v[125:126]
	v_fma_f64 v[125:126], v[172:173], v[137:138], v[201:202]
	v_add_f64 v[137:138], v[117:118], v[119:120]
	s_clause 0x4
	buffer_load_dword v171, off, s[0:3], 0 offset:588
	buffer_load_dword v172, off, s[0:3], 0 offset:600
	;; [unrolled: 1-line block ×5, first 2 shown]
	ds_read_b128 v[117:120], v169 offset:1216
	s_waitcnt vmcnt(57) lgkmcnt(1)
	v_mul_f64 v[201:202], v[1:2], v[139:140]
	v_mul_f64 v[139:140], v[3:4], v[139:140]
	s_waitcnt vmcnt(56)
	v_fma_f64 v[135:136], v[5:6], v[123:124], -v[135:136]
	v_fma_f64 v[123:124], v[7:8], v[123:124], v[178:179]
	v_add_f64 v[121:122], v[121:122], v[129:130]
	s_clause 0x2
	buffer_load_dword v173, off, s[0:3], 0 offset:604
	buffer_load_dword v130, off, s[0:3], 0 offset:580
	;; [unrolled: 1-line block ×3, first 2 shown]
	v_add_f64 v[125:126], v[137:138], v[125:126]
	s_waitcnt vmcnt(58) lgkmcnt(0)
	v_mul_f64 v[137:138], v[117:118], v[143:144]
	v_mul_f64 v[143:144], v[119:120], v[143:144]
	ds_read_b128 v[5:8], v169 offset:1232
	s_waitcnt vmcnt(56)
	v_fma_f64 v[139:140], v[1:2], v[145:146], -v[139:140]
	v_add_f64 v[121:122], v[121:122], v[135:136]
	v_fma_f64 v[135:136], v[3:4], v[145:146], v[201:202]
	v_add_f64 v[123:124], v[125:126], v[123:124]
	s_clause 0x4
	buffer_load_dword v126, off, s[0:3], 0 offset:620
	buffer_load_dword v145, off, s[0:3], 0 offset:632
	;; [unrolled: 1-line block ×5, first 2 shown]
	s_waitcnt vmcnt(57) lgkmcnt(0)
	v_mul_f64 v[201:202], v[5:6], v[147:148]
	v_mul_f64 v[147:148], v[7:8], v[147:148]
	s_waitcnt vmcnt(56)
	v_fma_f64 v[143:144], v[117:118], v[131:132], -v[143:144]
	ds_read_b128 v[1:4], v169 offset:1248
	v_fma_f64 v[131:132], v[119:120], v[131:132], v[137:138]
	v_add_f64 v[121:122], v[121:122], v[139:140]
	v_add_f64 v[123:124], v[123:124], v[135:136]
	s_clause 0x2
	buffer_load_dword v146, off, s[0:3], 0 offset:636
	buffer_load_dword v136, off, s[0:3], 0 offset:612
	;; [unrolled: 1-line block ×3, first 2 shown]
	ds_read_b128 v[117:120], v169 offset:1264
	s_waitcnt vmcnt(58) lgkmcnt(1)
	v_mul_f64 v[139:140], v[3:4], v[151:152]
	s_waitcnt vmcnt(56)
	v_fma_f64 v[147:148], v[5:6], v[153:154], -v[147:148]
	v_mul_f64 v[137:138], v[1:2], v[151:152]
	v_add_f64 v[121:122], v[121:122], v[143:144]
	v_fma_f64 v[143:144], v[7:8], v[153:154], v[201:202]
	v_add_f64 v[123:124], v[123:124], v[131:132]
	s_clause 0x4
	buffer_load_dword v132, off, s[0:3], 0 offset:652
	buffer_load_dword v151, off, s[0:3], 0 offset:664
	;; [unrolled: 1-line block ×5, first 2 shown]
	s_waitcnt vmcnt(57) lgkmcnt(0)
	v_mul_f64 v[201:202], v[117:118], v[155:156]
	v_mul_f64 v[154:155], v[119:120], v[155:156]
	s_waitcnt vmcnt(56)
	v_fma_f64 v[139:140], v[1:2], v[141:142], -v[139:140]
	ds_read_b128 v[5:8], v169 offset:1280
	v_fma_f64 v[137:138], v[3:4], v[141:142], v[137:138]
	s_clause 0x2
	buffer_load_dword v152, off, s[0:3], 0 offset:668
	buffer_load_dword v142, off, s[0:3], 0 offset:644
	;; [unrolled: 1-line block ×3, first 2 shown]
	ds_read_b128 v[1:4], v169 offset:1296
	v_add_f64 v[121:122], v[121:122], v[147:148]
	v_add_f64 v[123:124], v[123:124], v[143:144]
	s_waitcnt vmcnt(58) lgkmcnt(1)
	v_mul_f64 v[147:148], v[7:8], v[159:160]
	s_waitcnt vmcnt(56)
	v_fma_f64 v[155:156], v[117:118], v[161:162], -v[154:155]
	v_mul_f64 v[143:144], v[5:6], v[159:160]
	v_add_f64 v[121:122], v[121:122], v[139:140]
	v_fma_f64 v[139:140], v[119:120], v[161:162], v[201:202]
	v_add_f64 v[123:124], v[123:124], v[137:138]
	s_clause 0x4
	buffer_load_dword v138, off, s[0:3], 0 offset:684
	buffer_load_dword v159, off, s[0:3], 0 offset:696
	;; [unrolled: 1-line block ×5, first 2 shown]
	s_waitcnt vmcnt(57) lgkmcnt(0)
	v_mul_f64 v[201:202], v[1:2], v[163:164]
	v_mul_f64 v[162:163], v[3:4], v[163:164]
	s_waitcnt vmcnt(56)
	v_fma_f64 v[147:148], v[5:6], v[149:150], -v[147:148]
	ds_read_b128 v[117:120], v169 offset:1312
	v_fma_f64 v[143:144], v[7:8], v[149:150], v[143:144]
	v_add_f64 v[121:122], v[121:122], v[155:156]
	v_add_f64 v[123:124], v[123:124], v[139:140]
	s_clause 0x2
	buffer_load_dword v160, off, s[0:3], 0 offset:700
	buffer_load_dword v140, off, s[0:3], 0 offset:676
	buffer_load_dword v139, off, s[0:3], 0 offset:672
	ds_read_b128 v[5:8], v169 offset:1328
	s_waitcnt vmcnt(58) lgkmcnt(1)
	v_mul_f64 v[155:156], v[119:120], v[165:166]
	s_waitcnt vmcnt(56)
	v_fma_f64 v[163:164], v[1:2], v[167:168], -v[162:163]
	v_mul_f64 v[149:150], v[117:118], v[165:166]
	v_add_f64 v[121:122], v[121:122], v[147:148]
	v_fma_f64 v[147:148], v[3:4], v[167:168], v[201:202]
	v_add_f64 v[123:124], v[123:124], v[143:144]
	s_clause 0x4
	buffer_load_dword v144, off, s[0:3], 0 offset:716
	buffer_load_dword v165, off, s[0:3], 0 offset:728
	;; [unrolled: 1-line block ×5, first 2 shown]
	s_waitcnt vmcnt(57) lgkmcnt(0)
	v_mul_f64 v[201:202], v[5:6], v[186:187]
	v_mul_f64 v[186:187], v[7:8], v[186:187]
	s_waitcnt vmcnt(56)
	v_fma_f64 v[155:156], v[117:118], v[157:158], -v[155:156]
	ds_read_b128 v[1:4], v169 offset:1344
	v_fma_f64 v[149:150], v[119:120], v[157:158], v[149:150]
	v_add_f64 v[121:122], v[121:122], v[163:164]
	v_add_f64 v[123:124], v[123:124], v[147:148]
	s_clause 0x2
	buffer_load_dword v166, off, s[0:3], 0 offset:732
	buffer_load_dword v148, off, s[0:3], 0 offset:708
	buffer_load_dword v147, off, s[0:3], 0 offset:704
	ds_read_b128 v[117:120], v169 offset:1360
	s_waitcnt vmcnt(58) lgkmcnt(1)
	v_mul_f64 v[163:164], v[3:4], v[188:189]
	s_waitcnt vmcnt(56)
	v_fma_f64 v[186:187], v[5:6], v[193:194], -v[186:187]
	v_mul_f64 v[157:158], v[1:2], v[188:189]
	v_add_f64 v[121:122], v[121:122], v[155:156]
	v_fma_f64 v[155:156], v[7:8], v[193:194], v[201:202]
	v_add_f64 v[123:124], v[123:124], v[149:150]
	s_clause 0x4
	buffer_load_dword v150, off, s[0:3], 0 offset:748
	buffer_load_dword v188, off, s[0:3], 0 offset:760
	;; [unrolled: 1-line block ×5, first 2 shown]
	ds_read_b128 v[5:8], v169 offset:1376
	s_waitcnt vmcnt(57) lgkmcnt(1)
	v_mul_f64 v[193:194], v[117:118], v[180:181]
	v_mul_f64 v[180:181], v[119:120], v[180:181]
	s_waitcnt vmcnt(56)
	v_fma_f64 v[163:164], v[1:2], v[190:191], -v[163:164]
	v_fma_f64 v[157:158], v[3:4], v[190:191], v[157:158]
	v_add_f64 v[121:122], v[121:122], v[186:187]
	v_add_f64 v[123:124], v[123:124], v[155:156]
	s_clause 0x2
	buffer_load_dword v189, off, s[0:3], 0 offset:764
	buffer_load_dword v156, off, s[0:3], 0 offset:740
	;; [unrolled: 1-line block ×3, first 2 shown]
	ds_read_b128 v[1:4], v169 offset:1392
	s_waitcnt vmcnt(58) lgkmcnt(1)
	v_mul_f64 v[190:191], v[7:8], v[197:198]
	v_mul_f64 v[186:187], v[5:6], v[197:198]
	s_waitcnt vmcnt(56)
	v_fma_f64 v[180:181], v[117:118], v[174:175], -v[180:181]
	v_add_f64 v[121:122], v[121:122], v[163:164]
	v_fma_f64 v[163:164], v[119:120], v[174:175], v[193:194]
	v_add_f64 v[123:124], v[123:124], v[157:158]
	s_clause 0x4
	buffer_load_dword v158, off, s[0:3], 0 offset:780
	buffer_load_dword v174, off, s[0:3], 0 offset:792
	buffer_load_dword v197, off, s[0:3], 0 offset:784
	buffer_load_dword v157, off, s[0:3], 0 offset:776
	buffer_load_dword v193, off, s[0:3], 0 offset:756
	ds_read_b128 v[117:120], v169 offset:1408
	s_waitcnt vmcnt(57) lgkmcnt(1)
	v_mul_f64 v[201:202], v[1:2], v[133:134]
	v_mul_f64 v[133:134], v[3:4], v[133:134]
	s_waitcnt vmcnt(56)
	v_fma_f64 v[190:191], v[5:6], v[199:200], -v[190:191]
	v_add_f64 v[121:122], v[121:122], v[180:181]
	v_fma_f64 v[180:181], v[7:8], v[199:200], v[186:187]
	v_add_f64 v[123:124], v[123:124], v[163:164]
	s_clause 0x2
	buffer_load_dword v175, off, s[0:3], 0 offset:796
	buffer_load_dword v164, off, s[0:3], 0 offset:772
	buffer_load_dword v163, off, s[0:3], 0 offset:768
	ds_read_b128 v[5:8], v169 offset:1424
	s_waitcnt vmcnt(58) lgkmcnt(1)
	v_mul_f64 v[186:187], v[117:118], v[182:183]
	v_mul_f64 v[182:183], v[119:120], v[182:183]
	s_waitcnt vmcnt(56)
	v_fma_f64 v[133:134], v[1:2], v[127:128], -v[133:134]
	v_fma_f64 v[127:128], v[3:4], v[127:128], v[201:202]
	v_add_f64 v[121:122], v[121:122], v[190:191]
	v_add_f64 v[123:124], v[123:124], v[180:181]
	s_clause 0x4
	buffer_load_dword v181, off, s[0:3], 0 offset:812
	buffer_load_dword v190, off, s[0:3], 0 offset:824
	buffer_load_dword v194, off, s[0:3], 0 offset:816
	buffer_load_dword v180, off, s[0:3], 0 offset:808
	buffer_load_dword v198, off, s[0:3], 0 offset:788
	ds_read_b128 v[1:4], v169 offset:1440
	s_waitcnt vmcnt(57) lgkmcnt(1)
	v_mul_f64 v[199:200], v[5:6], v[170:171]
	v_mul_f64 v[170:171], v[7:8], v[170:171]
	s_waitcnt vmcnt(56)
	v_fma_f64 v[182:183], v[117:118], v[195:196], -v[182:183]
	v_add_f64 v[121:122], v[121:122], v[133:134]
	v_fma_f64 v[133:134], v[119:120], v[195:196], v[186:187]
	v_add_f64 v[123:124], v[123:124], v[127:128]
	s_clause 0x2
	buffer_load_dword v191, off, s[0:3], 0 offset:828
	buffer_load_dword v128, off, s[0:3], 0 offset:804
	buffer_load_dword v127, off, s[0:3], 0 offset:800
	ds_read_b128 v[117:120], v169 offset:1456
	s_waitcnt vmcnt(58) lgkmcnt(1)
	v_mul_f64 v[186:187], v[1:2], v[172:173]
	v_mul_f64 v[172:173], v[3:4], v[172:173]
	s_waitcnt vmcnt(56)
	v_fma_f64 v[170:171], v[5:6], v[129:130], -v[170:171]
	v_fma_f64 v[129:130], v[7:8], v[129:130], v[199:200]
	v_add_f64 v[121:122], v[121:122], v[182:183]
	;; [unrolled: 28-line block ×3, first 2 shown]
	v_add_f64 v[123:124], v[123:124], v[170:171]
	s_clause 0x2
	buffer_load_dword v171, off, s[0:3], 0 offset:876
	buffer_load_dword v170, off, s[0:3], 0 offset:872
	;; [unrolled: 1-line block ×3, first 2 shown]
	ds_read_b128 v[117:120], v169 offset:1504
	s_waitcnt vmcnt(55) lgkmcnt(1)
	v_mul_f64 v[172:173], v[1:2], v[131:132]
	v_mul_f64 v[131:132], v[3:4], v[131:132]
	s_waitcnt vmcnt(54)
	v_fma_f64 v[145:146], v[5:6], v[178:179], -v[145:146]
	v_add_f64 v[121:122], v[121:122], v[125:126]
	v_fma_f64 v[125:126], v[7:8], v[178:179], v[184:185]
	v_add_f64 v[123:124], v[123:124], v[135:136]
	s_clause 0x1
	buffer_load_dword v136, off, s[0:3], 0 offset:868
	buffer_load_dword v135, off, s[0:3], 0 offset:864
	s_waitcnt vmcnt(55) lgkmcnt(0)
	v_mul_f64 v[178:179], v[117:118], v[151:152]
	v_mul_f64 v[151:152], v[119:120], v[151:152]
	ds_read_b128 v[5:8], v169 offset:1520
	s_waitcnt vmcnt(53)
	v_fma_f64 v[131:132], v[1:2], v[141:142], -v[131:132]
	v_fma_f64 v[141:142], v[3:4], v[141:142], v[172:173]
	ds_read_b128 v[1:4], v169 offset:1536
	v_add_f64 v[121:122], v[121:122], v[145:146]
	v_add_f64 v[123:124], v[123:124], v[125:126]
	s_waitcnt vmcnt(49) lgkmcnt(1)
	v_mul_f64 v[125:126], v[5:6], v[137:138]
	v_mul_f64 v[137:138], v[7:8], v[137:138]
	s_waitcnt vmcnt(48)
	v_fma_f64 v[145:146], v[117:118], v[153:154], -v[151:152]
	v_add_f64 v[121:122], v[121:122], v[131:132]
	v_fma_f64 v[131:132], v[119:120], v[153:154], v[178:179]
	v_add_f64 v[123:124], v[123:124], v[141:142]
	s_clause 0x3
	buffer_load_dword v141, off, s[0:3], 0 offset:224
	buffer_load_dword v142, off, s[0:3], 0 offset:228
	;; [unrolled: 1-line block ×4, first 2 shown]
	ds_read_b128 v[117:120], v169 offset:1552
	s_waitcnt vmcnt(51) lgkmcnt(1)
	v_mul_f64 v[153:154], v[1:2], v[159:160]
	v_mul_f64 v[159:160], v[3:4], v[159:160]
	s_waitcnt vmcnt(49)
	v_fma_f64 v[137:138], v[5:6], v[139:140], -v[137:138]
	v_fma_f64 v[125:126], v[7:8], v[139:140], v[125:126]
	ds_read_b128 v[5:8], v169 offset:1568
	v_add_f64 v[121:122], v[121:122], v[145:146]
	v_add_f64 v[123:124], v[123:124], v[131:132]
	s_waitcnt vmcnt(45) lgkmcnt(1)
	v_mul_f64 v[131:132], v[117:118], v[143:144]
	v_mul_f64 v[139:140], v[119:120], v[143:144]
	s_waitcnt vmcnt(44)
	v_fma_f64 v[143:144], v[1:2], v[161:162], -v[159:160]
	v_add_f64 v[121:122], v[121:122], v[137:138]
	v_fma_f64 v[137:138], v[3:4], v[161:162], v[153:154]
	v_add_f64 v[123:124], v[123:124], v[125:126]
	ds_read_b128 v[1:4], v169 offset:1584
	s_waitcnt vmcnt(43) lgkmcnt(1)
	v_mul_f64 v[145:146], v[7:8], v[165:166]
	v_mul_f64 v[125:126], v[5:6], v[165:166]
	s_waitcnt vmcnt(41)
	v_fma_f64 v[139:140], v[117:118], v[147:148], -v[139:140]
	v_fma_f64 v[131:132], v[119:120], v[147:148], v[131:132]
	ds_read_b128 v[117:120], v169 offset:1600
	v_add_f64 v[121:122], v[121:122], v[143:144]
	v_add_f64 v[123:124], v[123:124], v[137:138]
	s_waitcnt vmcnt(37) lgkmcnt(1)
	v_mul_f64 v[143:144], v[3:4], v[149:150]
	s_waitcnt vmcnt(36)
	v_fma_f64 v[145:146], v[5:6], v[167:168], -v[145:146]
	v_mul_f64 v[137:138], v[1:2], v[149:150]
	v_fma_f64 v[125:126], v[7:8], v[167:168], v[125:126]
	ds_read_b128 v[5:8], v169 offset:1616
	v_add_f64 v[121:122], v[121:122], v[139:140]
	v_add_f64 v[123:124], v[123:124], v[131:132]
	s_waitcnt vmcnt(35) lgkmcnt(1)
	v_mul_f64 v[139:140], v[119:120], v[188:189]
	v_mul_f64 v[131:132], v[117:118], v[188:189]
	s_waitcnt vmcnt(33)
	v_fma_f64 v[143:144], v[1:2], v[155:156], -v[143:144]
	v_fma_f64 v[137:138], v[3:4], v[155:156], v[137:138]
	ds_read_b128 v[1:4], v169 offset:1632
	v_add_f64 v[121:122], v[121:122], v[145:146]
	v_add_f64 v[123:124], v[123:124], v[125:126]
	s_waitcnt vmcnt(29) lgkmcnt(1)
	v_mul_f64 v[145:146], v[7:8], v[157:158]
	s_waitcnt vmcnt(28)
	v_fma_f64 v[139:140], v[117:118], v[192:193], -v[139:140]
	v_mul_f64 v[125:126], v[5:6], v[157:158]
	v_fma_f64 v[131:132], v[119:120], v[192:193], v[131:132]
	ds_read_b128 v[117:120], v169 offset:1648
	v_add_f64 v[121:122], v[121:122], v[143:144]
	v_add_f64 v[123:124], v[123:124], v[137:138]
	;; [unrolled: 18-line block ×3, first 2 shown]
	s_waitcnt vmcnt(19) lgkmcnt(1)
	v_mul_f64 v[145:146], v[7:8], v[190:191]
	v_mul_f64 v[125:126], v[5:6], v[190:191]
	s_waitcnt vmcnt(17)
	v_fma_f64 v[139:140], v[117:118], v[127:128], -v[139:140]
	v_fma_f64 v[127:128], v[119:120], v[127:128], v[131:132]
	ds_read_b128 v[117:120], v169 offset:1696
	v_add_f64 v[121:122], v[121:122], v[143:144]
	v_add_f64 v[123:124], v[123:124], v[137:138]
	s_waitcnt vmcnt(13) lgkmcnt(1)
	v_mul_f64 v[131:132], v[1:2], v[133:134]
	v_mul_f64 v[133:134], v[3:4], v[133:134]
	s_waitcnt vmcnt(12)
	v_fma_f64 v[137:138], v[5:6], v[194:195], -v[145:146]
	v_fma_f64 v[125:126], v[7:8], v[194:195], v[125:126]
	ds_read_b128 v[5:8], v169 offset:1712
	v_add_f64 v[121:122], v[121:122], v[139:140]
	v_add_f64 v[123:124], v[123:124], v[127:128]
	s_waitcnt vmcnt(11) lgkmcnt(1)
	v_mul_f64 v[139:140], v[119:120], v[182:183]
	v_mul_f64 v[127:128], v[117:118], v[182:183]
	s_waitcnt vmcnt(9)
	v_fma_f64 v[1:2], v[1:2], v[129:130], -v[133:134]
	v_fma_f64 v[3:4], v[3:4], v[129:130], v[131:132]
	v_add_f64 v[121:122], v[121:122], v[137:138]
	v_add_f64 v[123:124], v[123:124], v[125:126]
	s_waitcnt vmcnt(7) lgkmcnt(0)
	v_mul_f64 v[129:130], v[7:8], v[170:171]
	s_waitcnt vmcnt(6)
	v_fma_f64 v[117:118], v[117:118], v[199:200], -v[139:140]
	v_mul_f64 v[125:126], v[5:6], v[170:171]
	v_fma_f64 v[119:120], v[119:120], v[199:200], v[127:128]
	v_add_f64 v[1:2], v[121:122], v[1:2]
	v_add_f64 v[3:4], v[123:124], v[3:4]
	s_waitcnt vmcnt(4)
	v_fma_f64 v[5:6], v[5:6], v[135:136], -v[129:130]
	v_fma_f64 v[7:8], v[7:8], v[135:136], v[125:126]
	v_add_f64 v[1:2], v[1:2], v[117:118]
	v_add_f64 v[3:4], v[3:4], v[119:120]
	;; [unrolled: 1-line block ×4, first 2 shown]
	s_waitcnt vmcnt(2)
	v_add_f64 v[1:2], v[141:142], -v[1:2]
	s_waitcnt vmcnt(0)
	v_add_f64 v[3:4], v[151:152], -v[3:4]
	buffer_store_dword v2, off, s[0:3], 0 offset:228
	buffer_store_dword v1, off, s[0:3], 0 offset:224
	;; [unrolled: 1-line block ×4, first 2 shown]
	v_cmpx_lt_u32_e32 12, v0
	s_cbranch_execz .LBB117_313
; %bb.312:
	v_mov_b32_e32 v4, s54
	v_mov_b32_e32 v5, 0
	s_clause 0x3
	buffer_load_dword v1, v4, s[0:3], 0 offen
	buffer_load_dword v2, v4, s[0:3], 0 offen offset:4
	buffer_load_dword v3, v4, s[0:3], 0 offen offset:8
	;; [unrolled: 1-line block ×3, first 2 shown]
	buffer_store_dword v5, off, s[0:3], 0 offset:208
	buffer_store_dword v5, off, s[0:3], 0 offset:212
	;; [unrolled: 1-line block ×4, first 2 shown]
	s_waitcnt vmcnt(0)
	ds_write_b128 v177, v[1:4]
.LBB117_313:
	s_or_b32 exec_lo, exec_lo, s4
	s_waitcnt lgkmcnt(0)
	s_waitcnt_vscnt null, 0x0
	s_barrier
	buffer_gl0_inv
	s_clause 0x37
	buffer_load_dword v117, off, s[0:3], 0 offset:232
	buffer_load_dword v118, off, s[0:3], 0 offset:236
	;; [unrolled: 1-line block ×56, first 2 shown]
	v_mov_b32_e32 v169, 0
	s_mov_b32 s4, exec_lo
	ds_read_b128 v[170:173], v169 offset:1072
	s_clause 0x2
	buffer_load_dword v166, off, s[0:3], 0 offset:460
	buffer_load_dword v168, off, s[0:3], 0 offset:436
	;; [unrolled: 1-line block ×3, first 2 shown]
	ds_read_b128 v[178:181], v169 offset:1088
	s_clause 0x4
	buffer_load_dword v187, off, s[0:3], 0 offset:476
	buffer_load_dword v188, off, s[0:3], 0 offset:488
	;; [unrolled: 1-line block ×5, first 2 shown]
	ds_read_b128 v[182:185], v169 offset:1104
	s_clause 0x2
	buffer_load_dword v189, off, s[0:3], 0 offset:492
	buffer_load_dword v194, off, s[0:3], 0 offset:468
	;; [unrolled: 1-line block ×3, first 2 shown]
	s_waitcnt vmcnt(62) lgkmcnt(2)
	v_mul_f64 v[174:175], v[172:173], v[117:118]
	v_mul_f64 v[117:118], v[170:171], v[117:118]
	s_waitcnt lgkmcnt(1)
	v_mul_f64 v[191:192], v[180:181], v[5:6]
	s_waitcnt vmcnt(59) lgkmcnt(0)
	v_mul_f64 v[195:196], v[184:185], v[3:4]
	v_fma_f64 v[170:171], v[170:171], v[7:8], -v[174:175]
	v_mul_f64 v[174:175], v[178:179], v[5:6]
	v_fma_f64 v[117:118], v[172:173], v[7:8], v[117:118]
	s_waitcnt vmcnt(57)
	v_fma_f64 v[178:179], v[178:179], v[1:2], -v[191:192]
	ds_read_b128 v[5:8], v169 offset:1120
	v_mul_f64 v[172:173], v[182:183], v[3:4]
	s_waitcnt vmcnt(51)
	v_fma_f64 v[182:183], v[182:183], v[133:134], -v[195:196]
	v_add_f64 v[170:171], v[170:171], 0
	v_fma_f64 v[174:175], v[180:181], v[1:2], v[174:175]
	v_add_f64 v[117:118], v[117:118], 0
	s_clause 0x4
	buffer_load_dword v181, off, s[0:3], 0 offset:508
	buffer_load_dword v197, off, s[0:3], 0 offset:520
	;; [unrolled: 1-line block ×5, first 2 shown]
	s_waitcnt lgkmcnt(0)
	v_mul_f64 v[200:201], v[5:6], v[121:122]
	v_mul_f64 v[121:122], v[7:8], v[121:122]
	ds_read_b128 v[1:4], v169 offset:1136
	v_fma_f64 v[133:134], v[184:185], v[133:134], v[172:173]
	v_add_f64 v[178:179], v[170:171], v[178:179]
	v_add_f64 v[117:118], v[117:118], v[174:175]
	s_clause 0x2
	buffer_load_dword v198, off, s[0:3], 0 offset:524
	buffer_load_dword v175, off, s[0:3], 0 offset:500
	;; [unrolled: 1-line block ×3, first 2 shown]
	s_waitcnt vmcnt(58) lgkmcnt(0)
	v_mul_f64 v[184:185], v[1:2], v[125:126]
	v_mul_f64 v[125:126], v[3:4], v[125:126]
	s_waitcnt vmcnt(56)
	v_fma_f64 v[121:122], v[5:6], v[127:128], -v[121:122]
	ds_read_b128 v[170:173], v169 offset:1152
	v_fma_f64 v[127:128], v[7:8], v[127:128], v[200:201]
	v_add_f64 v[178:179], v[178:179], v[182:183]
	v_add_f64 v[117:118], v[117:118], v[133:134]
	s_clause 0x4
	buffer_load_dword v134, off, s[0:3], 0 offset:540
	buffer_load_dword v182, off, s[0:3], 0 offset:552
	;; [unrolled: 1-line block ×5, first 2 shown]
	ds_read_b128 v[5:8], v169 offset:1168
	s_waitcnt vmcnt(57) lgkmcnt(1)
	v_mul_f64 v[201:202], v[170:171], v[129:130]
	v_mul_f64 v[129:130], v[172:173], v[129:130]
	s_waitcnt vmcnt(56)
	v_fma_f64 v[125:126], v[1:2], v[119:120], -v[125:126]
	v_fma_f64 v[119:120], v[3:4], v[119:120], v[184:185]
	v_add_f64 v[121:122], v[178:179], v[121:122]
	v_add_f64 v[117:118], v[117:118], v[127:128]
	s_clause 0x2
	buffer_load_dword v183, off, s[0:3], 0 offset:556
	buffer_load_dword v128, off, s[0:3], 0 offset:532
	;; [unrolled: 1-line block ×3, first 2 shown]
	s_waitcnt vmcnt(58) lgkmcnt(0)
	v_mul_f64 v[178:179], v[5:6], v[135:136]
	v_mul_f64 v[135:136], v[7:8], v[135:136]
	s_waitcnt vmcnt(56)
	v_fma_f64 v[129:130], v[170:171], v[137:138], -v[129:130]
	ds_read_b128 v[1:4], v169 offset:1184
	v_add_f64 v[121:122], v[121:122], v[125:126]
	v_fma_f64 v[125:126], v[172:173], v[137:138], v[201:202]
	v_add_f64 v[137:138], v[117:118], v[119:120]
	s_clause 0x4
	buffer_load_dword v171, off, s[0:3], 0 offset:572
	buffer_load_dword v172, off, s[0:3], 0 offset:584
	;; [unrolled: 1-line block ×5, first 2 shown]
	ds_read_b128 v[117:120], v169 offset:1200
	s_waitcnt vmcnt(57) lgkmcnt(1)
	v_mul_f64 v[201:202], v[1:2], v[139:140]
	v_mul_f64 v[139:140], v[3:4], v[139:140]
	s_waitcnt vmcnt(56)
	v_fma_f64 v[135:136], v[5:6], v[123:124], -v[135:136]
	v_fma_f64 v[123:124], v[7:8], v[123:124], v[178:179]
	v_add_f64 v[121:122], v[121:122], v[129:130]
	s_clause 0x2
	buffer_load_dword v173, off, s[0:3], 0 offset:588
	buffer_load_dword v130, off, s[0:3], 0 offset:564
	buffer_load_dword v129, off, s[0:3], 0 offset:560
	v_add_f64 v[125:126], v[137:138], v[125:126]
	s_waitcnt vmcnt(58) lgkmcnt(0)
	v_mul_f64 v[137:138], v[117:118], v[143:144]
	v_mul_f64 v[143:144], v[119:120], v[143:144]
	ds_read_b128 v[5:8], v169 offset:1216
	s_waitcnt vmcnt(56)
	v_fma_f64 v[139:140], v[1:2], v[145:146], -v[139:140]
	v_add_f64 v[121:122], v[121:122], v[135:136]
	v_fma_f64 v[135:136], v[3:4], v[145:146], v[201:202]
	v_add_f64 v[123:124], v[125:126], v[123:124]
	s_clause 0x4
	buffer_load_dword v126, off, s[0:3], 0 offset:604
	buffer_load_dword v145, off, s[0:3], 0 offset:616
	;; [unrolled: 1-line block ×5, first 2 shown]
	s_waitcnt vmcnt(57) lgkmcnt(0)
	v_mul_f64 v[201:202], v[5:6], v[147:148]
	v_mul_f64 v[147:148], v[7:8], v[147:148]
	s_waitcnt vmcnt(56)
	v_fma_f64 v[143:144], v[117:118], v[131:132], -v[143:144]
	ds_read_b128 v[1:4], v169 offset:1232
	v_fma_f64 v[131:132], v[119:120], v[131:132], v[137:138]
	v_add_f64 v[121:122], v[121:122], v[139:140]
	v_add_f64 v[123:124], v[123:124], v[135:136]
	s_clause 0x2
	buffer_load_dword v146, off, s[0:3], 0 offset:620
	buffer_load_dword v136, off, s[0:3], 0 offset:596
	buffer_load_dword v135, off, s[0:3], 0 offset:592
	ds_read_b128 v[117:120], v169 offset:1248
	s_waitcnt vmcnt(58) lgkmcnt(1)
	v_mul_f64 v[139:140], v[3:4], v[151:152]
	s_waitcnt vmcnt(56)
	v_fma_f64 v[147:148], v[5:6], v[153:154], -v[147:148]
	v_mul_f64 v[137:138], v[1:2], v[151:152]
	v_add_f64 v[121:122], v[121:122], v[143:144]
	v_fma_f64 v[143:144], v[7:8], v[153:154], v[201:202]
	v_add_f64 v[123:124], v[123:124], v[131:132]
	s_clause 0x4
	buffer_load_dword v132, off, s[0:3], 0 offset:636
	buffer_load_dword v151, off, s[0:3], 0 offset:648
	;; [unrolled: 1-line block ×5, first 2 shown]
	s_waitcnt vmcnt(57) lgkmcnt(0)
	v_mul_f64 v[201:202], v[117:118], v[155:156]
	v_mul_f64 v[154:155], v[119:120], v[155:156]
	s_waitcnt vmcnt(56)
	v_fma_f64 v[139:140], v[1:2], v[141:142], -v[139:140]
	ds_read_b128 v[5:8], v169 offset:1264
	v_fma_f64 v[137:138], v[3:4], v[141:142], v[137:138]
	s_clause 0x2
	buffer_load_dword v152, off, s[0:3], 0 offset:652
	buffer_load_dword v142, off, s[0:3], 0 offset:628
	;; [unrolled: 1-line block ×3, first 2 shown]
	ds_read_b128 v[1:4], v169 offset:1280
	v_add_f64 v[121:122], v[121:122], v[147:148]
	v_add_f64 v[123:124], v[123:124], v[143:144]
	s_waitcnt vmcnt(58) lgkmcnt(1)
	v_mul_f64 v[147:148], v[7:8], v[159:160]
	s_waitcnt vmcnt(56)
	v_fma_f64 v[155:156], v[117:118], v[161:162], -v[154:155]
	v_mul_f64 v[143:144], v[5:6], v[159:160]
	v_add_f64 v[121:122], v[121:122], v[139:140]
	v_fma_f64 v[139:140], v[119:120], v[161:162], v[201:202]
	v_add_f64 v[123:124], v[123:124], v[137:138]
	s_clause 0x4
	buffer_load_dword v138, off, s[0:3], 0 offset:668
	buffer_load_dword v159, off, s[0:3], 0 offset:680
	;; [unrolled: 1-line block ×5, first 2 shown]
	s_waitcnt vmcnt(57) lgkmcnt(0)
	v_mul_f64 v[201:202], v[1:2], v[163:164]
	v_mul_f64 v[162:163], v[3:4], v[163:164]
	s_waitcnt vmcnt(56)
	v_fma_f64 v[147:148], v[5:6], v[149:150], -v[147:148]
	ds_read_b128 v[117:120], v169 offset:1296
	v_fma_f64 v[143:144], v[7:8], v[149:150], v[143:144]
	v_add_f64 v[121:122], v[121:122], v[155:156]
	v_add_f64 v[123:124], v[123:124], v[139:140]
	s_clause 0x2
	buffer_load_dword v160, off, s[0:3], 0 offset:684
	buffer_load_dword v140, off, s[0:3], 0 offset:660
	;; [unrolled: 1-line block ×3, first 2 shown]
	ds_read_b128 v[5:8], v169 offset:1312
	s_waitcnt vmcnt(58) lgkmcnt(1)
	v_mul_f64 v[155:156], v[119:120], v[165:166]
	s_waitcnt vmcnt(56)
	v_fma_f64 v[163:164], v[1:2], v[167:168], -v[162:163]
	v_mul_f64 v[149:150], v[117:118], v[165:166]
	v_add_f64 v[121:122], v[121:122], v[147:148]
	v_fma_f64 v[147:148], v[3:4], v[167:168], v[201:202]
	v_add_f64 v[123:124], v[123:124], v[143:144]
	s_clause 0x4
	buffer_load_dword v144, off, s[0:3], 0 offset:700
	buffer_load_dword v165, off, s[0:3], 0 offset:712
	;; [unrolled: 1-line block ×5, first 2 shown]
	s_waitcnt vmcnt(57) lgkmcnt(0)
	v_mul_f64 v[201:202], v[5:6], v[186:187]
	v_mul_f64 v[186:187], v[7:8], v[186:187]
	s_waitcnt vmcnt(56)
	v_fma_f64 v[155:156], v[117:118], v[157:158], -v[155:156]
	ds_read_b128 v[1:4], v169 offset:1328
	v_fma_f64 v[149:150], v[119:120], v[157:158], v[149:150]
	v_add_f64 v[121:122], v[121:122], v[163:164]
	v_add_f64 v[123:124], v[123:124], v[147:148]
	s_clause 0x2
	buffer_load_dword v166, off, s[0:3], 0 offset:716
	buffer_load_dword v148, off, s[0:3], 0 offset:692
	;; [unrolled: 1-line block ×3, first 2 shown]
	ds_read_b128 v[117:120], v169 offset:1344
	s_waitcnt vmcnt(58) lgkmcnt(1)
	v_mul_f64 v[163:164], v[3:4], v[188:189]
	s_waitcnt vmcnt(56)
	v_fma_f64 v[186:187], v[5:6], v[193:194], -v[186:187]
	v_mul_f64 v[157:158], v[1:2], v[188:189]
	v_add_f64 v[121:122], v[121:122], v[155:156]
	v_fma_f64 v[155:156], v[7:8], v[193:194], v[201:202]
	v_add_f64 v[123:124], v[123:124], v[149:150]
	s_clause 0x4
	buffer_load_dword v150, off, s[0:3], 0 offset:732
	buffer_load_dword v188, off, s[0:3], 0 offset:744
	;; [unrolled: 1-line block ×5, first 2 shown]
	ds_read_b128 v[5:8], v169 offset:1360
	s_waitcnt vmcnt(57) lgkmcnt(1)
	v_mul_f64 v[193:194], v[117:118], v[180:181]
	v_mul_f64 v[180:181], v[119:120], v[180:181]
	s_waitcnt vmcnt(56)
	v_fma_f64 v[163:164], v[1:2], v[190:191], -v[163:164]
	v_fma_f64 v[157:158], v[3:4], v[190:191], v[157:158]
	v_add_f64 v[121:122], v[121:122], v[186:187]
	v_add_f64 v[123:124], v[123:124], v[155:156]
	s_clause 0x2
	buffer_load_dword v189, off, s[0:3], 0 offset:748
	buffer_load_dword v156, off, s[0:3], 0 offset:724
	;; [unrolled: 1-line block ×3, first 2 shown]
	ds_read_b128 v[1:4], v169 offset:1376
	s_waitcnt vmcnt(58) lgkmcnt(1)
	v_mul_f64 v[190:191], v[7:8], v[197:198]
	v_mul_f64 v[186:187], v[5:6], v[197:198]
	s_waitcnt vmcnt(56)
	v_fma_f64 v[180:181], v[117:118], v[174:175], -v[180:181]
	v_add_f64 v[121:122], v[121:122], v[163:164]
	v_fma_f64 v[163:164], v[119:120], v[174:175], v[193:194]
	v_add_f64 v[123:124], v[123:124], v[157:158]
	s_clause 0x4
	buffer_load_dword v158, off, s[0:3], 0 offset:764
	buffer_load_dword v174, off, s[0:3], 0 offset:776
	buffer_load_dword v197, off, s[0:3], 0 offset:768
	buffer_load_dword v157, off, s[0:3], 0 offset:760
	buffer_load_dword v193, off, s[0:3], 0 offset:740
	ds_read_b128 v[117:120], v169 offset:1392
	s_waitcnt vmcnt(57) lgkmcnt(1)
	v_mul_f64 v[201:202], v[1:2], v[133:134]
	v_mul_f64 v[133:134], v[3:4], v[133:134]
	s_waitcnt vmcnt(56)
	v_fma_f64 v[190:191], v[5:6], v[199:200], -v[190:191]
	v_add_f64 v[121:122], v[121:122], v[180:181]
	v_fma_f64 v[180:181], v[7:8], v[199:200], v[186:187]
	v_add_f64 v[123:124], v[123:124], v[163:164]
	s_clause 0x2
	buffer_load_dword v175, off, s[0:3], 0 offset:780
	buffer_load_dword v164, off, s[0:3], 0 offset:756
	buffer_load_dword v163, off, s[0:3], 0 offset:752
	ds_read_b128 v[5:8], v169 offset:1408
	s_waitcnt vmcnt(58) lgkmcnt(1)
	v_mul_f64 v[186:187], v[117:118], v[182:183]
	v_mul_f64 v[182:183], v[119:120], v[182:183]
	s_waitcnt vmcnt(56)
	v_fma_f64 v[133:134], v[1:2], v[127:128], -v[133:134]
	v_fma_f64 v[127:128], v[3:4], v[127:128], v[201:202]
	v_add_f64 v[121:122], v[121:122], v[190:191]
	v_add_f64 v[123:124], v[123:124], v[180:181]
	s_clause 0x4
	buffer_load_dword v181, off, s[0:3], 0 offset:796
	buffer_load_dword v190, off, s[0:3], 0 offset:808
	buffer_load_dword v194, off, s[0:3], 0 offset:800
	buffer_load_dword v180, off, s[0:3], 0 offset:792
	buffer_load_dword v198, off, s[0:3], 0 offset:772
	ds_read_b128 v[1:4], v169 offset:1424
	s_waitcnt vmcnt(57) lgkmcnt(1)
	v_mul_f64 v[199:200], v[5:6], v[170:171]
	v_mul_f64 v[170:171], v[7:8], v[170:171]
	s_waitcnt vmcnt(56)
	v_fma_f64 v[182:183], v[117:118], v[195:196], -v[182:183]
	v_add_f64 v[121:122], v[121:122], v[133:134]
	v_fma_f64 v[133:134], v[119:120], v[195:196], v[186:187]
	v_add_f64 v[123:124], v[123:124], v[127:128]
	s_clause 0x2
	buffer_load_dword v191, off, s[0:3], 0 offset:812
	buffer_load_dword v128, off, s[0:3], 0 offset:788
	buffer_load_dword v127, off, s[0:3], 0 offset:784
	ds_read_b128 v[117:120], v169 offset:1440
	s_waitcnt vmcnt(58) lgkmcnt(1)
	v_mul_f64 v[186:187], v[1:2], v[172:173]
	v_mul_f64 v[172:173], v[3:4], v[172:173]
	s_waitcnt vmcnt(56)
	v_fma_f64 v[170:171], v[5:6], v[129:130], -v[170:171]
	v_fma_f64 v[129:130], v[7:8], v[129:130], v[199:200]
	v_add_f64 v[121:122], v[121:122], v[182:183]
	;; [unrolled: 28-line block ×3, first 2 shown]
	v_add_f64 v[123:124], v[123:124], v[170:171]
	s_clause 0x4
	buffer_load_dword v171, off, s[0:3], 0 offset:860
	buffer_load_dword v172, off, s[0:3], 0 offset:872
	;; [unrolled: 1-line block ×5, first 2 shown]
	ds_read_b128 v[117:120], v169 offset:1488
	s_waitcnt vmcnt(57) lgkmcnt(1)
	v_mul_f64 v[201:202], v[1:2], v[131:132]
	v_mul_f64 v[131:132], v[3:4], v[131:132]
	s_waitcnt vmcnt(56)
	v_fma_f64 v[145:146], v[5:6], v[178:179], -v[145:146]
	v_add_f64 v[121:122], v[121:122], v[125:126]
	v_fma_f64 v[125:126], v[7:8], v[178:179], v[184:185]
	v_add_f64 v[123:124], v[123:124], v[135:136]
	s_clause 0x2
	buffer_load_dword v173, off, s[0:3], 0 offset:876
	buffer_load_dword v136, off, s[0:3], 0 offset:852
	;; [unrolled: 1-line block ×3, first 2 shown]
	s_waitcnt vmcnt(58) lgkmcnt(0)
	v_mul_f64 v[178:179], v[117:118], v[151:152]
	v_mul_f64 v[151:152], v[119:120], v[151:152]
	ds_read_b128 v[5:8], v169 offset:1504
	buffer_load_dword v187, off, s[0:3], 0 offset:868
	s_waitcnt vmcnt(57)
	v_fma_f64 v[131:132], v[1:2], v[141:142], -v[131:132]
	v_fma_f64 v[141:142], v[3:4], v[141:142], v[201:202]
	ds_read_b128 v[1:4], v169 offset:1520
	v_add_f64 v[121:122], v[121:122], v[145:146]
	v_add_f64 v[123:124], v[123:124], v[125:126]
	s_waitcnt vmcnt(53) lgkmcnt(1)
	v_mul_f64 v[125:126], v[5:6], v[137:138]
	v_mul_f64 v[137:138], v[7:8], v[137:138]
	s_waitcnt vmcnt(52)
	v_fma_f64 v[145:146], v[117:118], v[153:154], -v[151:152]
	v_add_f64 v[121:122], v[121:122], v[131:132]
	v_fma_f64 v[131:132], v[119:120], v[153:154], v[178:179]
	v_add_f64 v[123:124], v[123:124], v[141:142]
	ds_read_b128 v[117:120], v169 offset:1536
	s_waitcnt vmcnt(51) lgkmcnt(1)
	v_mul_f64 v[151:152], v[3:4], v[159:160]
	v_mul_f64 v[141:142], v[1:2], v[159:160]
	s_waitcnt vmcnt(49)
	v_fma_f64 v[137:138], v[5:6], v[139:140], -v[137:138]
	v_fma_f64 v[125:126], v[7:8], v[139:140], v[125:126]
	v_add_f64 v[121:122], v[121:122], v[145:146]
	v_add_f64 v[123:124], v[123:124], v[131:132]
	s_clause 0x3
	buffer_load_dword v131, off, s[0:3], 0 offset:208
	buffer_load_dword v132, off, s[0:3], 0 offset:212
	;; [unrolled: 1-line block ×4, first 2 shown]
	ds_read_b128 v[5:8], v169 offset:1552
	s_waitcnt vmcnt(49) lgkmcnt(1)
	v_mul_f64 v[145:146], v[117:118], v[143:144]
	v_mul_f64 v[143:144], v[119:120], v[143:144]
	s_waitcnt vmcnt(48)
	v_fma_f64 v[151:152], v[1:2], v[161:162], -v[151:152]
	v_add_f64 v[121:122], v[121:122], v[137:138]
	v_fma_f64 v[137:138], v[3:4], v[161:162], v[141:142]
	v_add_f64 v[123:124], v[123:124], v[125:126]
	ds_read_b128 v[1:4], v169 offset:1568
	s_waitcnt vmcnt(47) lgkmcnt(1)
	v_mul_f64 v[141:142], v[7:8], v[165:166]
	v_mul_f64 v[125:126], v[5:6], v[165:166]
	s_waitcnt vmcnt(45)
	v_fma_f64 v[143:144], v[117:118], v[147:148], -v[143:144]
	v_fma_f64 v[145:146], v[119:120], v[147:148], v[145:146]
	ds_read_b128 v[117:120], v169 offset:1584
	v_add_f64 v[121:122], v[121:122], v[151:152]
	v_add_f64 v[123:124], v[123:124], v[137:138]
	s_waitcnt vmcnt(41) lgkmcnt(1)
	v_mul_f64 v[147:148], v[3:4], v[149:150]
	s_waitcnt vmcnt(40)
	v_fma_f64 v[141:142], v[5:6], v[167:168], -v[141:142]
	v_mul_f64 v[137:138], v[1:2], v[149:150]
	v_fma_f64 v[125:126], v[7:8], v[167:168], v[125:126]
	ds_read_b128 v[5:8], v169 offset:1600
	v_add_f64 v[121:122], v[121:122], v[143:144]
	v_add_f64 v[123:124], v[123:124], v[145:146]
	s_waitcnt vmcnt(39) lgkmcnt(1)
	v_mul_f64 v[145:146], v[119:120], v[188:189]
	v_mul_f64 v[143:144], v[117:118], v[188:189]
	s_waitcnt vmcnt(37)
	v_fma_f64 v[147:148], v[1:2], v[155:156], -v[147:148]
	v_fma_f64 v[137:138], v[3:4], v[155:156], v[137:138]
	ds_read_b128 v[1:4], v169 offset:1616
	v_add_f64 v[121:122], v[121:122], v[141:142]
	v_add_f64 v[123:124], v[123:124], v[125:126]
	s_waitcnt vmcnt(33) lgkmcnt(1)
	v_mul_f64 v[141:142], v[7:8], v[157:158]
	s_waitcnt vmcnt(32)
	v_fma_f64 v[145:146], v[117:118], v[192:193], -v[145:146]
	v_mul_f64 v[125:126], v[5:6], v[157:158]
	v_fma_f64 v[143:144], v[119:120], v[192:193], v[143:144]
	ds_read_b128 v[117:120], v169 offset:1632
	v_add_f64 v[121:122], v[121:122], v[147:148]
	v_add_f64 v[123:124], v[123:124], v[137:138]
	;; [unrolled: 18-line block ×3, first 2 shown]
	s_waitcnt vmcnt(23) lgkmcnt(1)
	v_mul_f64 v[141:142], v[7:8], v[190:191]
	v_mul_f64 v[125:126], v[5:6], v[190:191]
	s_waitcnt vmcnt(21)
	v_fma_f64 v[145:146], v[117:118], v[127:128], -v[145:146]
	v_fma_f64 v[127:128], v[119:120], v[127:128], v[143:144]
	ds_read_b128 v[117:120], v169 offset:1680
	v_add_f64 v[121:122], v[121:122], v[147:148]
	v_add_f64 v[123:124], v[123:124], v[137:138]
	s_waitcnt vmcnt(17) lgkmcnt(1)
	v_mul_f64 v[137:138], v[1:2], v[133:134]
	v_mul_f64 v[133:134], v[3:4], v[133:134]
	s_waitcnt vmcnt(16)
	v_fma_f64 v[141:142], v[5:6], v[194:195], -v[141:142]
	v_fma_f64 v[125:126], v[7:8], v[194:195], v[125:126]
	ds_read_b128 v[5:8], v169 offset:1696
	v_add_f64 v[121:122], v[121:122], v[145:146]
	v_add_f64 v[123:124], v[123:124], v[127:128]
	;; [unrolled: 9-line block ×3, first 2 shown]
	s_waitcnt vmcnt(9) lgkmcnt(1)
	v_mul_f64 v[137:138], v[7:8], v[170:171]
	s_waitcnt vmcnt(8)
	v_fma_f64 v[117:118], v[117:118], v[199:200], -v[143:144]
	v_mul_f64 v[125:126], v[5:6], v[170:171]
	v_fma_f64 v[119:120], v[119:120], v[199:200], v[127:128]
	v_add_f64 v[121:122], v[121:122], v[133:134]
	v_add_f64 v[123:124], v[123:124], v[129:130]
	s_waitcnt vmcnt(7) lgkmcnt(0)
	v_mul_f64 v[129:130], v[3:4], v[172:173]
	v_mul_f64 v[127:128], v[1:2], v[172:173]
	s_waitcnt vmcnt(5)
	v_fma_f64 v[5:6], v[5:6], v[135:136], -v[137:138]
	v_fma_f64 v[7:8], v[7:8], v[135:136], v[125:126]
	v_add_f64 v[117:118], v[121:122], v[117:118]
	v_add_f64 v[119:120], v[123:124], v[119:120]
	s_waitcnt vmcnt(4)
	v_fma_f64 v[1:2], v[1:2], v[186:187], -v[129:130]
	v_fma_f64 v[3:4], v[3:4], v[186:187], v[127:128]
	v_add_f64 v[5:6], v[117:118], v[5:6]
	v_add_f64 v[7:8], v[119:120], v[7:8]
	;; [unrolled: 1-line block ×4, first 2 shown]
	s_waitcnt vmcnt(2)
	v_add_f64 v[1:2], v[131:132], -v[1:2]
	s_waitcnt vmcnt(0)
	v_add_f64 v[3:4], v[139:140], -v[3:4]
	buffer_store_dword v2, off, s[0:3], 0 offset:212
	buffer_store_dword v1, off, s[0:3], 0 offset:208
	;; [unrolled: 1-line block ×4, first 2 shown]
	v_cmpx_lt_u32_e32 11, v0
	s_cbranch_execz .LBB117_315
; %bb.314:
	v_mov_b32_e32 v4, s55
	s_clause 0x3
	buffer_load_dword v1, v4, s[0:3], 0 offen
	buffer_load_dword v2, v4, s[0:3], 0 offen offset:4
	buffer_load_dword v3, v4, s[0:3], 0 offen offset:8
	;; [unrolled: 1-line block ×3, first 2 shown]
	buffer_store_dword v169, off, s[0:3], 0 offset:192
	buffer_store_dword v169, off, s[0:3], 0 offset:196
	;; [unrolled: 1-line block ×4, first 2 shown]
	s_waitcnt vmcnt(0)
	ds_write_b128 v177, v[1:4]
.LBB117_315:
	s_or_b32 exec_lo, exec_lo, s4
	s_waitcnt lgkmcnt(0)
	s_waitcnt_vscnt null, 0x0
	s_barrier
	buffer_gl0_inv
	s_clause 0x37
	buffer_load_dword v117, off, s[0:3], 0 offset:216
	buffer_load_dword v118, off, s[0:3], 0 offset:220
	buffer_load_dword v5, off, s[0:3], 0 offset:232
	buffer_load_dword v6, off, s[0:3], 0 offset:236
	buffer_load_dword v7, off, s[0:3], 0 offset:208
	buffer_load_dword v8, off, s[0:3], 0 offset:212
	buffer_load_dword v3, off, s[0:3], 0 offset:248
	buffer_load_dword v4, off, s[0:3], 0 offset:252
	buffer_load_dword v1, off, s[0:3], 0 offset:224
	buffer_load_dword v2, off, s[0:3], 0 offset:228
	buffer_load_dword v122, off, s[0:3], 0 offset:268
	buffer_load_dword v125, off, s[0:3], 0 offset:280
	buffer_load_dword v119, off, s[0:3], 0 offset:272
	buffer_load_dword v121, off, s[0:3], 0 offset:264
	buffer_load_dword v133, off, s[0:3], 0 offset:240
	buffer_load_dword v134, off, s[0:3], 0 offset:244
	buffer_load_dword v126, off, s[0:3], 0 offset:284
	buffer_load_dword v128, off, s[0:3], 0 offset:260
	buffer_load_dword v127, off, s[0:3], 0 offset:256
	buffer_load_dword v130, off, s[0:3], 0 offset:300
	buffer_load_dword v135, off, s[0:3], 0 offset:312
	buffer_load_dword v123, off, s[0:3], 0 offset:304
	buffer_load_dword v129, off, s[0:3], 0 offset:296
	buffer_load_dword v120, off, s[0:3], 0 offset:276
	buffer_load_dword v136, off, s[0:3], 0 offset:316
	buffer_load_dword v138, off, s[0:3], 0 offset:292
	buffer_load_dword v137, off, s[0:3], 0 offset:288
	buffer_load_dword v140, off, s[0:3], 0 offset:332
	buffer_load_dword v143, off, s[0:3], 0 offset:344
	buffer_load_dword v131, off, s[0:3], 0 offset:336
	buffer_load_dword v139, off, s[0:3], 0 offset:328
	buffer_load_dword v124, off, s[0:3], 0 offset:308
	buffer_load_dword v144, off, s[0:3], 0 offset:348
	buffer_load_dword v146, off, s[0:3], 0 offset:324
	buffer_load_dword v145, off, s[0:3], 0 offset:320
	buffer_load_dword v148, off, s[0:3], 0 offset:364
	buffer_load_dword v151, off, s[0:3], 0 offset:376
	buffer_load_dword v141, off, s[0:3], 0 offset:368
	buffer_load_dword v147, off, s[0:3], 0 offset:360
	buffer_load_dword v132, off, s[0:3], 0 offset:340
	buffer_load_dword v152, off, s[0:3], 0 offset:380
	buffer_load_dword v154, off, s[0:3], 0 offset:356
	buffer_load_dword v153, off, s[0:3], 0 offset:352
	buffer_load_dword v156, off, s[0:3], 0 offset:396
	buffer_load_dword v159, off, s[0:3], 0 offset:408
	buffer_load_dword v149, off, s[0:3], 0 offset:400
	buffer_load_dword v155, off, s[0:3], 0 offset:392
	buffer_load_dword v142, off, s[0:3], 0 offset:372
	buffer_load_dword v160, off, s[0:3], 0 offset:412
	buffer_load_dword v162, off, s[0:3], 0 offset:388
	buffer_load_dword v161, off, s[0:3], 0 offset:384
	buffer_load_dword v164, off, s[0:3], 0 offset:428
	buffer_load_dword v165, off, s[0:3], 0 offset:440
	buffer_load_dword v157, off, s[0:3], 0 offset:432
	buffer_load_dword v163, off, s[0:3], 0 offset:424
	buffer_load_dword v150, off, s[0:3], 0 offset:404
	ds_read_b128 v[170:173], v169 offset:1056
	s_clause 0x2
	buffer_load_dword v166, off, s[0:3], 0 offset:444
	buffer_load_dword v168, off, s[0:3], 0 offset:420
	;; [unrolled: 1-line block ×3, first 2 shown]
	ds_read_b128 v[178:181], v169 offset:1072
	s_clause 0x4
	buffer_load_dword v187, off, s[0:3], 0 offset:460
	buffer_load_dword v188, off, s[0:3], 0 offset:472
	;; [unrolled: 1-line block ×5, first 2 shown]
	ds_read_b128 v[182:185], v169 offset:1088
	s_clause 0x2
	buffer_load_dword v189, off, s[0:3], 0 offset:476
	buffer_load_dword v194, off, s[0:3], 0 offset:452
	;; [unrolled: 1-line block ×3, first 2 shown]
	s_mov_b32 s4, exec_lo
	s_waitcnt vmcnt(62) lgkmcnt(2)
	v_mul_f64 v[174:175], v[172:173], v[117:118]
	v_mul_f64 v[117:118], v[170:171], v[117:118]
	s_waitcnt lgkmcnt(1)
	v_mul_f64 v[191:192], v[180:181], v[5:6]
	s_waitcnt vmcnt(59) lgkmcnt(0)
	v_mul_f64 v[195:196], v[184:185], v[3:4]
	v_fma_f64 v[170:171], v[170:171], v[7:8], -v[174:175]
	v_mul_f64 v[174:175], v[178:179], v[5:6]
	v_fma_f64 v[117:118], v[172:173], v[7:8], v[117:118]
	s_waitcnt vmcnt(57)
	v_fma_f64 v[178:179], v[178:179], v[1:2], -v[191:192]
	ds_read_b128 v[5:8], v169 offset:1104
	v_mul_f64 v[172:173], v[182:183], v[3:4]
	s_waitcnt vmcnt(51)
	v_fma_f64 v[182:183], v[182:183], v[133:134], -v[195:196]
	v_add_f64 v[170:171], v[170:171], 0
	v_fma_f64 v[174:175], v[180:181], v[1:2], v[174:175]
	v_add_f64 v[117:118], v[117:118], 0
	s_clause 0x4
	buffer_load_dword v181, off, s[0:3], 0 offset:492
	buffer_load_dword v197, off, s[0:3], 0 offset:504
	;; [unrolled: 1-line block ×5, first 2 shown]
	s_waitcnt lgkmcnt(0)
	v_mul_f64 v[200:201], v[5:6], v[121:122]
	v_mul_f64 v[121:122], v[7:8], v[121:122]
	ds_read_b128 v[1:4], v169 offset:1120
	v_fma_f64 v[133:134], v[184:185], v[133:134], v[172:173]
	v_add_f64 v[178:179], v[170:171], v[178:179]
	v_add_f64 v[117:118], v[117:118], v[174:175]
	s_clause 0x2
	buffer_load_dword v198, off, s[0:3], 0 offset:508
	buffer_load_dword v175, off, s[0:3], 0 offset:484
	;; [unrolled: 1-line block ×3, first 2 shown]
	s_waitcnt vmcnt(58) lgkmcnt(0)
	v_mul_f64 v[184:185], v[1:2], v[125:126]
	v_mul_f64 v[125:126], v[3:4], v[125:126]
	s_waitcnt vmcnt(56)
	v_fma_f64 v[121:122], v[5:6], v[127:128], -v[121:122]
	ds_read_b128 v[170:173], v169 offset:1136
	v_fma_f64 v[127:128], v[7:8], v[127:128], v[200:201]
	v_add_f64 v[178:179], v[178:179], v[182:183]
	v_add_f64 v[117:118], v[117:118], v[133:134]
	s_clause 0x4
	buffer_load_dword v134, off, s[0:3], 0 offset:524
	buffer_load_dword v182, off, s[0:3], 0 offset:536
	;; [unrolled: 1-line block ×5, first 2 shown]
	ds_read_b128 v[5:8], v169 offset:1152
	s_waitcnt vmcnt(57) lgkmcnt(1)
	v_mul_f64 v[201:202], v[170:171], v[129:130]
	v_mul_f64 v[129:130], v[172:173], v[129:130]
	s_waitcnt vmcnt(56)
	v_fma_f64 v[125:126], v[1:2], v[119:120], -v[125:126]
	v_fma_f64 v[119:120], v[3:4], v[119:120], v[184:185]
	v_add_f64 v[121:122], v[178:179], v[121:122]
	v_add_f64 v[117:118], v[117:118], v[127:128]
	s_clause 0x2
	buffer_load_dword v183, off, s[0:3], 0 offset:540
	buffer_load_dword v128, off, s[0:3], 0 offset:516
	;; [unrolled: 1-line block ×3, first 2 shown]
	s_waitcnt vmcnt(58) lgkmcnt(0)
	v_mul_f64 v[178:179], v[5:6], v[135:136]
	v_mul_f64 v[135:136], v[7:8], v[135:136]
	s_waitcnt vmcnt(56)
	v_fma_f64 v[129:130], v[170:171], v[137:138], -v[129:130]
	ds_read_b128 v[1:4], v169 offset:1168
	v_add_f64 v[121:122], v[121:122], v[125:126]
	v_fma_f64 v[125:126], v[172:173], v[137:138], v[201:202]
	v_add_f64 v[137:138], v[117:118], v[119:120]
	s_clause 0x4
	buffer_load_dword v171, off, s[0:3], 0 offset:556
	buffer_load_dword v172, off, s[0:3], 0 offset:568
	;; [unrolled: 1-line block ×5, first 2 shown]
	ds_read_b128 v[117:120], v169 offset:1184
	s_waitcnt vmcnt(57) lgkmcnt(1)
	v_mul_f64 v[201:202], v[1:2], v[139:140]
	v_mul_f64 v[139:140], v[3:4], v[139:140]
	s_waitcnt vmcnt(56)
	v_fma_f64 v[135:136], v[5:6], v[123:124], -v[135:136]
	v_fma_f64 v[123:124], v[7:8], v[123:124], v[178:179]
	v_add_f64 v[121:122], v[121:122], v[129:130]
	s_clause 0x2
	buffer_load_dword v173, off, s[0:3], 0 offset:572
	buffer_load_dword v130, off, s[0:3], 0 offset:548
	;; [unrolled: 1-line block ×3, first 2 shown]
	v_add_f64 v[125:126], v[137:138], v[125:126]
	s_waitcnt vmcnt(58) lgkmcnt(0)
	v_mul_f64 v[137:138], v[117:118], v[143:144]
	v_mul_f64 v[143:144], v[119:120], v[143:144]
	ds_read_b128 v[5:8], v169 offset:1200
	s_waitcnt vmcnt(56)
	v_fma_f64 v[139:140], v[1:2], v[145:146], -v[139:140]
	v_add_f64 v[121:122], v[121:122], v[135:136]
	v_fma_f64 v[135:136], v[3:4], v[145:146], v[201:202]
	v_add_f64 v[123:124], v[125:126], v[123:124]
	s_clause 0x4
	buffer_load_dword v126, off, s[0:3], 0 offset:588
	buffer_load_dword v145, off, s[0:3], 0 offset:600
	;; [unrolled: 1-line block ×5, first 2 shown]
	s_waitcnt vmcnt(57) lgkmcnt(0)
	v_mul_f64 v[201:202], v[5:6], v[147:148]
	v_mul_f64 v[147:148], v[7:8], v[147:148]
	s_waitcnt vmcnt(56)
	v_fma_f64 v[143:144], v[117:118], v[131:132], -v[143:144]
	ds_read_b128 v[1:4], v169 offset:1216
	v_fma_f64 v[131:132], v[119:120], v[131:132], v[137:138]
	v_add_f64 v[121:122], v[121:122], v[139:140]
	v_add_f64 v[123:124], v[123:124], v[135:136]
	s_clause 0x2
	buffer_load_dword v146, off, s[0:3], 0 offset:604
	buffer_load_dword v136, off, s[0:3], 0 offset:580
	;; [unrolled: 1-line block ×3, first 2 shown]
	ds_read_b128 v[117:120], v169 offset:1232
	s_waitcnt vmcnt(58) lgkmcnt(1)
	v_mul_f64 v[139:140], v[3:4], v[151:152]
	s_waitcnt vmcnt(56)
	v_fma_f64 v[147:148], v[5:6], v[153:154], -v[147:148]
	v_mul_f64 v[137:138], v[1:2], v[151:152]
	v_add_f64 v[121:122], v[121:122], v[143:144]
	v_fma_f64 v[143:144], v[7:8], v[153:154], v[201:202]
	v_add_f64 v[123:124], v[123:124], v[131:132]
	s_clause 0x4
	buffer_load_dword v132, off, s[0:3], 0 offset:620
	buffer_load_dword v151, off, s[0:3], 0 offset:632
	;; [unrolled: 1-line block ×5, first 2 shown]
	s_waitcnt vmcnt(57) lgkmcnt(0)
	v_mul_f64 v[201:202], v[117:118], v[155:156]
	v_mul_f64 v[154:155], v[119:120], v[155:156]
	s_waitcnt vmcnt(56)
	v_fma_f64 v[139:140], v[1:2], v[141:142], -v[139:140]
	ds_read_b128 v[5:8], v169 offset:1248
	v_fma_f64 v[137:138], v[3:4], v[141:142], v[137:138]
	s_clause 0x2
	buffer_load_dword v152, off, s[0:3], 0 offset:636
	buffer_load_dword v142, off, s[0:3], 0 offset:612
	;; [unrolled: 1-line block ×3, first 2 shown]
	ds_read_b128 v[1:4], v169 offset:1264
	v_add_f64 v[121:122], v[121:122], v[147:148]
	v_add_f64 v[123:124], v[123:124], v[143:144]
	s_waitcnt vmcnt(58) lgkmcnt(1)
	v_mul_f64 v[147:148], v[7:8], v[159:160]
	s_waitcnt vmcnt(56)
	v_fma_f64 v[155:156], v[117:118], v[161:162], -v[154:155]
	v_mul_f64 v[143:144], v[5:6], v[159:160]
	v_add_f64 v[121:122], v[121:122], v[139:140]
	v_fma_f64 v[139:140], v[119:120], v[161:162], v[201:202]
	v_add_f64 v[123:124], v[123:124], v[137:138]
	s_clause 0x4
	buffer_load_dword v138, off, s[0:3], 0 offset:652
	buffer_load_dword v159, off, s[0:3], 0 offset:664
	;; [unrolled: 1-line block ×5, first 2 shown]
	s_waitcnt vmcnt(57) lgkmcnt(0)
	v_mul_f64 v[201:202], v[1:2], v[163:164]
	v_mul_f64 v[162:163], v[3:4], v[163:164]
	s_waitcnt vmcnt(56)
	v_fma_f64 v[147:148], v[5:6], v[149:150], -v[147:148]
	ds_read_b128 v[117:120], v169 offset:1280
	v_fma_f64 v[143:144], v[7:8], v[149:150], v[143:144]
	v_add_f64 v[121:122], v[121:122], v[155:156]
	v_add_f64 v[123:124], v[123:124], v[139:140]
	s_clause 0x2
	buffer_load_dword v160, off, s[0:3], 0 offset:668
	buffer_load_dword v140, off, s[0:3], 0 offset:644
	;; [unrolled: 1-line block ×3, first 2 shown]
	ds_read_b128 v[5:8], v169 offset:1296
	s_waitcnt vmcnt(58) lgkmcnt(1)
	v_mul_f64 v[155:156], v[119:120], v[165:166]
	s_waitcnt vmcnt(56)
	v_fma_f64 v[163:164], v[1:2], v[167:168], -v[162:163]
	v_mul_f64 v[149:150], v[117:118], v[165:166]
	v_add_f64 v[121:122], v[121:122], v[147:148]
	v_fma_f64 v[147:148], v[3:4], v[167:168], v[201:202]
	v_add_f64 v[123:124], v[123:124], v[143:144]
	s_clause 0x4
	buffer_load_dword v144, off, s[0:3], 0 offset:684
	buffer_load_dword v165, off, s[0:3], 0 offset:696
	;; [unrolled: 1-line block ×5, first 2 shown]
	s_waitcnt vmcnt(57) lgkmcnt(0)
	v_mul_f64 v[201:202], v[5:6], v[186:187]
	v_mul_f64 v[186:187], v[7:8], v[186:187]
	s_waitcnt vmcnt(56)
	v_fma_f64 v[155:156], v[117:118], v[157:158], -v[155:156]
	ds_read_b128 v[1:4], v169 offset:1312
	v_fma_f64 v[149:150], v[119:120], v[157:158], v[149:150]
	v_add_f64 v[121:122], v[121:122], v[163:164]
	v_add_f64 v[123:124], v[123:124], v[147:148]
	s_clause 0x2
	buffer_load_dword v166, off, s[0:3], 0 offset:700
	buffer_load_dword v148, off, s[0:3], 0 offset:676
	;; [unrolled: 1-line block ×3, first 2 shown]
	ds_read_b128 v[117:120], v169 offset:1328
	s_waitcnt vmcnt(58) lgkmcnt(1)
	v_mul_f64 v[163:164], v[3:4], v[188:189]
	s_waitcnt vmcnt(56)
	v_fma_f64 v[186:187], v[5:6], v[193:194], -v[186:187]
	v_mul_f64 v[157:158], v[1:2], v[188:189]
	v_add_f64 v[121:122], v[121:122], v[155:156]
	v_fma_f64 v[155:156], v[7:8], v[193:194], v[201:202]
	v_add_f64 v[123:124], v[123:124], v[149:150]
	s_clause 0x4
	buffer_load_dword v150, off, s[0:3], 0 offset:716
	buffer_load_dword v188, off, s[0:3], 0 offset:728
	;; [unrolled: 1-line block ×5, first 2 shown]
	ds_read_b128 v[5:8], v169 offset:1344
	s_waitcnt vmcnt(57) lgkmcnt(1)
	v_mul_f64 v[193:194], v[117:118], v[180:181]
	v_mul_f64 v[180:181], v[119:120], v[180:181]
	s_waitcnt vmcnt(56)
	v_fma_f64 v[163:164], v[1:2], v[190:191], -v[163:164]
	v_fma_f64 v[157:158], v[3:4], v[190:191], v[157:158]
	v_add_f64 v[121:122], v[121:122], v[186:187]
	v_add_f64 v[123:124], v[123:124], v[155:156]
	s_clause 0x2
	buffer_load_dword v189, off, s[0:3], 0 offset:732
	buffer_load_dword v156, off, s[0:3], 0 offset:708
	;; [unrolled: 1-line block ×3, first 2 shown]
	ds_read_b128 v[1:4], v169 offset:1360
	s_waitcnt vmcnt(58) lgkmcnt(1)
	v_mul_f64 v[190:191], v[7:8], v[197:198]
	v_mul_f64 v[186:187], v[5:6], v[197:198]
	s_waitcnt vmcnt(56)
	v_fma_f64 v[180:181], v[117:118], v[174:175], -v[180:181]
	v_add_f64 v[121:122], v[121:122], v[163:164]
	v_fma_f64 v[163:164], v[119:120], v[174:175], v[193:194]
	v_add_f64 v[123:124], v[123:124], v[157:158]
	s_clause 0x4
	buffer_load_dword v158, off, s[0:3], 0 offset:748
	buffer_load_dword v174, off, s[0:3], 0 offset:760
	buffer_load_dword v197, off, s[0:3], 0 offset:752
	buffer_load_dword v157, off, s[0:3], 0 offset:744
	buffer_load_dword v193, off, s[0:3], 0 offset:724
	ds_read_b128 v[117:120], v169 offset:1376
	s_waitcnt vmcnt(57) lgkmcnt(1)
	v_mul_f64 v[201:202], v[1:2], v[133:134]
	v_mul_f64 v[133:134], v[3:4], v[133:134]
	s_waitcnt vmcnt(56)
	v_fma_f64 v[190:191], v[5:6], v[199:200], -v[190:191]
	v_add_f64 v[121:122], v[121:122], v[180:181]
	v_fma_f64 v[180:181], v[7:8], v[199:200], v[186:187]
	v_add_f64 v[123:124], v[123:124], v[163:164]
	s_clause 0x2
	buffer_load_dword v175, off, s[0:3], 0 offset:764
	buffer_load_dword v164, off, s[0:3], 0 offset:740
	buffer_load_dword v163, off, s[0:3], 0 offset:736
	ds_read_b128 v[5:8], v169 offset:1392
	s_waitcnt vmcnt(58) lgkmcnt(1)
	v_mul_f64 v[186:187], v[117:118], v[182:183]
	v_mul_f64 v[182:183], v[119:120], v[182:183]
	s_waitcnt vmcnt(56)
	v_fma_f64 v[133:134], v[1:2], v[127:128], -v[133:134]
	v_fma_f64 v[127:128], v[3:4], v[127:128], v[201:202]
	v_add_f64 v[121:122], v[121:122], v[190:191]
	v_add_f64 v[123:124], v[123:124], v[180:181]
	s_clause 0x4
	buffer_load_dword v181, off, s[0:3], 0 offset:780
	buffer_load_dword v190, off, s[0:3], 0 offset:792
	buffer_load_dword v194, off, s[0:3], 0 offset:784
	buffer_load_dword v180, off, s[0:3], 0 offset:776
	buffer_load_dword v198, off, s[0:3], 0 offset:756
	ds_read_b128 v[1:4], v169 offset:1408
	s_waitcnt vmcnt(57) lgkmcnt(1)
	v_mul_f64 v[199:200], v[5:6], v[170:171]
	v_mul_f64 v[170:171], v[7:8], v[170:171]
	s_waitcnt vmcnt(56)
	v_fma_f64 v[182:183], v[117:118], v[195:196], -v[182:183]
	v_add_f64 v[121:122], v[121:122], v[133:134]
	v_fma_f64 v[133:134], v[119:120], v[195:196], v[186:187]
	v_add_f64 v[123:124], v[123:124], v[127:128]
	s_clause 0x2
	buffer_load_dword v191, off, s[0:3], 0 offset:796
	buffer_load_dword v128, off, s[0:3], 0 offset:772
	buffer_load_dword v127, off, s[0:3], 0 offset:768
	ds_read_b128 v[117:120], v169 offset:1424
	s_waitcnt vmcnt(58) lgkmcnt(1)
	v_mul_f64 v[186:187], v[1:2], v[172:173]
	v_mul_f64 v[172:173], v[3:4], v[172:173]
	s_waitcnt vmcnt(56)
	v_fma_f64 v[170:171], v[5:6], v[129:130], -v[170:171]
	v_fma_f64 v[129:130], v[7:8], v[129:130], v[199:200]
	v_add_f64 v[121:122], v[121:122], v[182:183]
	;; [unrolled: 28-line block ×3, first 2 shown]
	v_add_f64 v[123:124], v[123:124], v[170:171]
	s_clause 0x4
	buffer_load_dword v171, off, s[0:3], 0 offset:844
	buffer_load_dword v172, off, s[0:3], 0 offset:856
	;; [unrolled: 1-line block ×5, first 2 shown]
	ds_read_b128 v[117:120], v169 offset:1472
	s_waitcnt vmcnt(57) lgkmcnt(1)
	v_mul_f64 v[201:202], v[1:2], v[131:132]
	v_mul_f64 v[131:132], v[3:4], v[131:132]
	s_waitcnt vmcnt(56)
	v_fma_f64 v[145:146], v[5:6], v[178:179], -v[145:146]
	v_add_f64 v[121:122], v[121:122], v[125:126]
	v_fma_f64 v[125:126], v[7:8], v[178:179], v[184:185]
	v_add_f64 v[123:124], v[123:124], v[135:136]
	s_clause 0x2
	buffer_load_dword v173, off, s[0:3], 0 offset:860
	buffer_load_dword v136, off, s[0:3], 0 offset:836
	;; [unrolled: 1-line block ×3, first 2 shown]
	s_waitcnt vmcnt(58) lgkmcnt(0)
	v_mul_f64 v[178:179], v[117:118], v[151:152]
	v_mul_f64 v[151:152], v[119:120], v[151:152]
	ds_read_b128 v[5:8], v169 offset:1488
	s_waitcnt vmcnt(56)
	v_fma_f64 v[131:132], v[1:2], v[141:142], -v[131:132]
	v_fma_f64 v[141:142], v[3:4], v[141:142], v[201:202]
	v_add_f64 v[121:122], v[121:122], v[145:146]
	v_add_f64 v[123:124], v[123:124], v[125:126]
	s_clause 0x2
	buffer_load_dword v126, off, s[0:3], 0 offset:876
	buffer_load_dword v125, off, s[0:3], 0 offset:872
	;; [unrolled: 1-line block ×3, first 2 shown]
	ds_read_b128 v[1:4], v169 offset:1504
	s_waitcnt vmcnt(55) lgkmcnt(1)
	v_mul_f64 v[145:146], v[5:6], v[137:138]
	v_mul_f64 v[137:138], v[7:8], v[137:138]
	s_waitcnt vmcnt(54)
	v_fma_f64 v[151:152], v[117:118], v[153:154], -v[151:152]
	v_add_f64 v[121:122], v[121:122], v[131:132]
	v_fma_f64 v[131:132], v[119:120], v[153:154], v[178:179]
	v_add_f64 v[123:124], v[123:124], v[141:142]
	s_clause 0x1
	buffer_load_dword v142, off, s[0:3], 0 offset:868
	buffer_load_dword v141, off, s[0:3], 0 offset:864
	ds_read_b128 v[117:120], v169 offset:1520
	s_waitcnt vmcnt(55) lgkmcnt(1)
	v_mul_f64 v[153:154], v[1:2], v[159:160]
	v_mul_f64 v[159:160], v[3:4], v[159:160]
	s_waitcnt vmcnt(53)
	v_fma_f64 v[137:138], v[5:6], v[139:140], -v[137:138]
	v_fma_f64 v[139:140], v[7:8], v[139:140], v[145:146]
	ds_read_b128 v[5:8], v169 offset:1536
	v_add_f64 v[121:122], v[121:122], v[151:152]
	v_add_f64 v[123:124], v[123:124], v[131:132]
	s_waitcnt vmcnt(49) lgkmcnt(1)
	v_mul_f64 v[131:132], v[117:118], v[143:144]
	v_mul_f64 v[143:144], v[119:120], v[143:144]
	s_waitcnt vmcnt(48)
	v_fma_f64 v[145:146], v[1:2], v[161:162], -v[159:160]
	v_add_f64 v[121:122], v[121:122], v[137:138]
	v_fma_f64 v[137:138], v[3:4], v[161:162], v[153:154]
	v_add_f64 v[123:124], v[123:124], v[139:140]
	s_clause 0x3
	buffer_load_dword v139, off, s[0:3], 0 offset:192
	buffer_load_dword v140, off, s[0:3], 0 offset:196
	;; [unrolled: 1-line block ×4, first 2 shown]
	ds_read_b128 v[1:4], v169 offset:1552
	s_waitcnt vmcnt(51) lgkmcnt(1)
	v_mul_f64 v[159:160], v[7:8], v[165:166]
	v_mul_f64 v[153:154], v[5:6], v[165:166]
	s_waitcnt vmcnt(49)
	v_fma_f64 v[143:144], v[117:118], v[147:148], -v[143:144]
	v_fma_f64 v[131:132], v[119:120], v[147:148], v[131:132]
	ds_read_b128 v[117:120], v169 offset:1568
	v_add_f64 v[121:122], v[121:122], v[145:146]
	v_add_f64 v[123:124], v[123:124], v[137:138]
	s_waitcnt vmcnt(45) lgkmcnt(1)
	v_mul_f64 v[145:146], v[3:4], v[149:150]
	s_waitcnt vmcnt(44)
	v_fma_f64 v[147:148], v[5:6], v[167:168], -v[159:160]
	v_mul_f64 v[137:138], v[1:2], v[149:150]
	v_add_f64 v[121:122], v[121:122], v[143:144]
	v_fma_f64 v[143:144], v[7:8], v[167:168], v[153:154]
	v_add_f64 v[123:124], v[123:124], v[131:132]
	ds_read_b128 v[5:8], v169 offset:1584
	s_waitcnt vmcnt(43) lgkmcnt(1)
	v_mul_f64 v[149:150], v[119:120], v[188:189]
	v_mul_f64 v[131:132], v[117:118], v[188:189]
	s_waitcnt vmcnt(41)
	v_fma_f64 v[145:146], v[1:2], v[155:156], -v[145:146]
	v_fma_f64 v[137:138], v[3:4], v[155:156], v[137:138]
	ds_read_b128 v[1:4], v169 offset:1600
	v_add_f64 v[121:122], v[121:122], v[147:148]
	v_add_f64 v[123:124], v[123:124], v[143:144]
	s_waitcnt vmcnt(37) lgkmcnt(1)
	v_mul_f64 v[147:148], v[7:8], v[157:158]
	s_waitcnt vmcnt(36)
	v_fma_f64 v[149:150], v[117:118], v[192:193], -v[149:150]
	v_mul_f64 v[143:144], v[5:6], v[157:158]
	v_fma_f64 v[131:132], v[119:120], v[192:193], v[131:132]
	ds_read_b128 v[117:120], v169 offset:1616
	v_add_f64 v[121:122], v[121:122], v[145:146]
	v_add_f64 v[123:124], v[123:124], v[137:138]
	s_waitcnt vmcnt(35) lgkmcnt(1)
	v_mul_f64 v[145:146], v[3:4], v[174:175]
	v_mul_f64 v[137:138], v[1:2], v[174:175]
	s_waitcnt vmcnt(33)
	v_fma_f64 v[147:148], v[5:6], v[163:164], -v[147:148]
	v_fma_f64 v[143:144], v[7:8], v[163:164], v[143:144]
	ds_read_b128 v[5:8], v169 offset:1632
	v_add_f64 v[121:122], v[121:122], v[149:150]
	v_add_f64 v[123:124], v[123:124], v[131:132]
	s_waitcnt vmcnt(29) lgkmcnt(1)
	v_mul_f64 v[149:150], v[119:120], v[180:181]
	s_waitcnt vmcnt(28)
	v_fma_f64 v[145:146], v[1:2], v[197:198], -v[145:146]
	v_mul_f64 v[131:132], v[117:118], v[180:181]
	v_fma_f64 v[137:138], v[3:4], v[197:198], v[137:138]
	ds_read_b128 v[1:4], v169 offset:1648
	v_add_f64 v[121:122], v[121:122], v[147:148]
	v_add_f64 v[123:124], v[123:124], v[143:144]
	s_waitcnt vmcnt(27) lgkmcnt(1)
	v_mul_f64 v[147:148], v[7:8], v[190:191]
	v_mul_f64 v[143:144], v[5:6], v[190:191]
	s_waitcnt vmcnt(25)
	v_fma_f64 v[149:150], v[117:118], v[127:128], -v[149:150]
	v_fma_f64 v[127:128], v[119:120], v[127:128], v[131:132]
	ds_read_b128 v[117:120], v169 offset:1664
	v_add_f64 v[121:122], v[121:122], v[145:146]
	v_add_f64 v[123:124], v[123:124], v[137:138]
	s_waitcnt vmcnt(21) lgkmcnt(1)
	v_mul_f64 v[131:132], v[1:2], v[133:134]
	v_mul_f64 v[133:134], v[3:4], v[133:134]
	s_waitcnt vmcnt(20)
	v_fma_f64 v[137:138], v[5:6], v[194:195], -v[147:148]
	;; [unrolled: 9-line block ×3, first 2 shown]
	v_fma_f64 v[129:130], v[3:4], v[129:130], v[131:132]
	ds_read_b128 v[1:4], v169 offset:1696
	v_add_f64 v[121:122], v[121:122], v[137:138]
	v_add_f64 v[123:124], v[123:124], v[143:144]
	s_waitcnt vmcnt(13) lgkmcnt(1)
	v_mul_f64 v[137:138], v[7:8], v[170:171]
	s_waitcnt vmcnt(12)
	v_fma_f64 v[143:144], v[117:118], v[199:200], -v[145:146]
	v_mul_f64 v[131:132], v[5:6], v[170:171]
	v_fma_f64 v[127:128], v[119:120], v[199:200], v[127:128]
	ds_read_b128 v[117:120], v169 offset:1712
	v_add_f64 v[121:122], v[121:122], v[133:134]
	v_add_f64 v[123:124], v[123:124], v[129:130]
	s_waitcnt vmcnt(11) lgkmcnt(1)
	v_mul_f64 v[133:134], v[3:4], v[172:173]
	v_mul_f64 v[129:130], v[1:2], v[172:173]
	s_waitcnt vmcnt(9)
	v_fma_f64 v[5:6], v[5:6], v[135:136], -v[137:138]
	v_fma_f64 v[7:8], v[7:8], v[135:136], v[131:132]
	v_add_f64 v[121:122], v[121:122], v[143:144]
	v_add_f64 v[123:124], v[123:124], v[127:128]
	s_waitcnt vmcnt(7) lgkmcnt(0)
	v_mul_f64 v[127:128], v[117:118], v[125:126]
	v_mul_f64 v[125:126], v[119:120], v[125:126]
	s_waitcnt vmcnt(6)
	v_fma_f64 v[1:2], v[1:2], v[186:187], -v[133:134]
	v_fma_f64 v[3:4], v[3:4], v[186:187], v[129:130]
	v_add_f64 v[5:6], v[121:122], v[5:6]
	v_add_f64 v[7:8], v[123:124], v[7:8]
	s_waitcnt vmcnt(4)
	v_fma_f64 v[117:118], v[117:118], v[141:142], -v[125:126]
	v_add_f64 v[1:2], v[5:6], v[1:2]
	v_fma_f64 v[5:6], v[119:120], v[141:142], v[127:128]
	v_add_f64 v[3:4], v[7:8], v[3:4]
	v_add_f64 v[1:2], v[1:2], v[117:118]
	;; [unrolled: 1-line block ×3, first 2 shown]
	s_waitcnt vmcnt(2)
	v_add_f64 v[1:2], v[139:140], -v[1:2]
	s_waitcnt vmcnt(0)
	v_add_f64 v[3:4], v[151:152], -v[3:4]
	buffer_store_dword v2, off, s[0:3], 0 offset:196
	buffer_store_dword v1, off, s[0:3], 0 offset:192
	;; [unrolled: 1-line block ×4, first 2 shown]
	v_cmpx_lt_u32_e32 10, v0
	s_cbranch_execz .LBB117_317
; %bb.316:
	v_mov_b32_e32 v4, s56
	v_mov_b32_e32 v5, 0
	s_clause 0x3
	buffer_load_dword v1, v4, s[0:3], 0 offen
	buffer_load_dword v2, v4, s[0:3], 0 offen offset:4
	buffer_load_dword v3, v4, s[0:3], 0 offen offset:8
	;; [unrolled: 1-line block ×3, first 2 shown]
	buffer_store_dword v5, off, s[0:3], 0 offset:176
	buffer_store_dword v5, off, s[0:3], 0 offset:180
	;; [unrolled: 1-line block ×4, first 2 shown]
	s_waitcnt vmcnt(0)
	ds_write_b128 v177, v[1:4]
.LBB117_317:
	s_or_b32 exec_lo, exec_lo, s4
	s_waitcnt lgkmcnt(0)
	s_waitcnt_vscnt null, 0x0
	s_barrier
	buffer_gl0_inv
	s_clause 0x37
	buffer_load_dword v117, off, s[0:3], 0 offset:200
	buffer_load_dword v118, off, s[0:3], 0 offset:204
	;; [unrolled: 1-line block ×56, first 2 shown]
	v_mov_b32_e32 v169, 0
	s_mov_b32 s4, exec_lo
	ds_read_b128 v[170:173], v169 offset:1040
	s_clause 0x2
	buffer_load_dword v166, off, s[0:3], 0 offset:428
	buffer_load_dword v168, off, s[0:3], 0 offset:404
	;; [unrolled: 1-line block ×3, first 2 shown]
	ds_read_b128 v[178:181], v169 offset:1056
	s_clause 0x4
	buffer_load_dword v187, off, s[0:3], 0 offset:444
	buffer_load_dword v188, off, s[0:3], 0 offset:456
	;; [unrolled: 1-line block ×5, first 2 shown]
	ds_read_b128 v[182:185], v169 offset:1072
	s_clause 0x2
	buffer_load_dword v189, off, s[0:3], 0 offset:460
	buffer_load_dword v194, off, s[0:3], 0 offset:436
	;; [unrolled: 1-line block ×3, first 2 shown]
	s_waitcnt vmcnt(62) lgkmcnt(2)
	v_mul_f64 v[174:175], v[172:173], v[117:118]
	v_mul_f64 v[117:118], v[170:171], v[117:118]
	s_waitcnt lgkmcnt(1)
	v_mul_f64 v[191:192], v[180:181], v[5:6]
	s_waitcnt vmcnt(59) lgkmcnt(0)
	v_mul_f64 v[195:196], v[184:185], v[3:4]
	v_fma_f64 v[170:171], v[170:171], v[7:8], -v[174:175]
	v_mul_f64 v[174:175], v[178:179], v[5:6]
	v_fma_f64 v[117:118], v[172:173], v[7:8], v[117:118]
	s_waitcnt vmcnt(57)
	v_fma_f64 v[178:179], v[178:179], v[1:2], -v[191:192]
	ds_read_b128 v[5:8], v169 offset:1088
	v_mul_f64 v[172:173], v[182:183], v[3:4]
	s_waitcnt vmcnt(51)
	v_fma_f64 v[182:183], v[182:183], v[133:134], -v[195:196]
	v_add_f64 v[170:171], v[170:171], 0
	v_fma_f64 v[174:175], v[180:181], v[1:2], v[174:175]
	v_add_f64 v[117:118], v[117:118], 0
	s_clause 0x4
	buffer_load_dword v181, off, s[0:3], 0 offset:476
	buffer_load_dword v197, off, s[0:3], 0 offset:488
	;; [unrolled: 1-line block ×5, first 2 shown]
	s_waitcnt lgkmcnt(0)
	v_mul_f64 v[200:201], v[5:6], v[121:122]
	v_mul_f64 v[121:122], v[7:8], v[121:122]
	ds_read_b128 v[1:4], v169 offset:1104
	v_fma_f64 v[133:134], v[184:185], v[133:134], v[172:173]
	v_add_f64 v[178:179], v[170:171], v[178:179]
	v_add_f64 v[117:118], v[117:118], v[174:175]
	s_clause 0x2
	buffer_load_dword v198, off, s[0:3], 0 offset:492
	buffer_load_dword v175, off, s[0:3], 0 offset:468
	;; [unrolled: 1-line block ×3, first 2 shown]
	s_waitcnt vmcnt(58) lgkmcnt(0)
	v_mul_f64 v[184:185], v[1:2], v[125:126]
	v_mul_f64 v[125:126], v[3:4], v[125:126]
	s_waitcnt vmcnt(56)
	v_fma_f64 v[121:122], v[5:6], v[127:128], -v[121:122]
	ds_read_b128 v[170:173], v169 offset:1120
	v_fma_f64 v[127:128], v[7:8], v[127:128], v[200:201]
	v_add_f64 v[178:179], v[178:179], v[182:183]
	v_add_f64 v[117:118], v[117:118], v[133:134]
	s_clause 0x4
	buffer_load_dword v134, off, s[0:3], 0 offset:508
	buffer_load_dword v182, off, s[0:3], 0 offset:520
	;; [unrolled: 1-line block ×5, first 2 shown]
	ds_read_b128 v[5:8], v169 offset:1136
	s_waitcnt vmcnt(57) lgkmcnt(1)
	v_mul_f64 v[201:202], v[170:171], v[129:130]
	v_mul_f64 v[129:130], v[172:173], v[129:130]
	s_waitcnt vmcnt(56)
	v_fma_f64 v[125:126], v[1:2], v[119:120], -v[125:126]
	v_fma_f64 v[119:120], v[3:4], v[119:120], v[184:185]
	v_add_f64 v[121:122], v[178:179], v[121:122]
	v_add_f64 v[117:118], v[117:118], v[127:128]
	s_clause 0x2
	buffer_load_dword v183, off, s[0:3], 0 offset:524
	buffer_load_dword v128, off, s[0:3], 0 offset:500
	;; [unrolled: 1-line block ×3, first 2 shown]
	s_waitcnt vmcnt(58) lgkmcnt(0)
	v_mul_f64 v[178:179], v[5:6], v[135:136]
	v_mul_f64 v[135:136], v[7:8], v[135:136]
	s_waitcnt vmcnt(56)
	v_fma_f64 v[129:130], v[170:171], v[137:138], -v[129:130]
	ds_read_b128 v[1:4], v169 offset:1152
	v_add_f64 v[121:122], v[121:122], v[125:126]
	v_fma_f64 v[125:126], v[172:173], v[137:138], v[201:202]
	v_add_f64 v[137:138], v[117:118], v[119:120]
	s_clause 0x4
	buffer_load_dword v171, off, s[0:3], 0 offset:540
	buffer_load_dword v172, off, s[0:3], 0 offset:552
	;; [unrolled: 1-line block ×5, first 2 shown]
	ds_read_b128 v[117:120], v169 offset:1168
	s_waitcnt vmcnt(57) lgkmcnt(1)
	v_mul_f64 v[201:202], v[1:2], v[139:140]
	v_mul_f64 v[139:140], v[3:4], v[139:140]
	s_waitcnt vmcnt(56)
	v_fma_f64 v[135:136], v[5:6], v[123:124], -v[135:136]
	v_fma_f64 v[123:124], v[7:8], v[123:124], v[178:179]
	v_add_f64 v[121:122], v[121:122], v[129:130]
	s_clause 0x2
	buffer_load_dword v173, off, s[0:3], 0 offset:556
	buffer_load_dword v130, off, s[0:3], 0 offset:532
	;; [unrolled: 1-line block ×3, first 2 shown]
	v_add_f64 v[125:126], v[137:138], v[125:126]
	s_waitcnt vmcnt(58) lgkmcnt(0)
	v_mul_f64 v[137:138], v[117:118], v[143:144]
	v_mul_f64 v[143:144], v[119:120], v[143:144]
	ds_read_b128 v[5:8], v169 offset:1184
	s_waitcnt vmcnt(56)
	v_fma_f64 v[139:140], v[1:2], v[145:146], -v[139:140]
	v_add_f64 v[121:122], v[121:122], v[135:136]
	v_fma_f64 v[135:136], v[3:4], v[145:146], v[201:202]
	v_add_f64 v[123:124], v[125:126], v[123:124]
	s_clause 0x4
	buffer_load_dword v126, off, s[0:3], 0 offset:572
	buffer_load_dword v145, off, s[0:3], 0 offset:584
	;; [unrolled: 1-line block ×5, first 2 shown]
	s_waitcnt vmcnt(57) lgkmcnt(0)
	v_mul_f64 v[201:202], v[5:6], v[147:148]
	v_mul_f64 v[147:148], v[7:8], v[147:148]
	s_waitcnt vmcnt(56)
	v_fma_f64 v[143:144], v[117:118], v[131:132], -v[143:144]
	ds_read_b128 v[1:4], v169 offset:1200
	v_fma_f64 v[131:132], v[119:120], v[131:132], v[137:138]
	v_add_f64 v[121:122], v[121:122], v[139:140]
	v_add_f64 v[123:124], v[123:124], v[135:136]
	s_clause 0x2
	buffer_load_dword v146, off, s[0:3], 0 offset:588
	buffer_load_dword v136, off, s[0:3], 0 offset:564
	;; [unrolled: 1-line block ×3, first 2 shown]
	ds_read_b128 v[117:120], v169 offset:1216
	s_waitcnt vmcnt(58) lgkmcnt(1)
	v_mul_f64 v[139:140], v[3:4], v[151:152]
	s_waitcnt vmcnt(56)
	v_fma_f64 v[147:148], v[5:6], v[153:154], -v[147:148]
	v_mul_f64 v[137:138], v[1:2], v[151:152]
	v_add_f64 v[121:122], v[121:122], v[143:144]
	v_fma_f64 v[143:144], v[7:8], v[153:154], v[201:202]
	v_add_f64 v[123:124], v[123:124], v[131:132]
	s_clause 0x4
	buffer_load_dword v132, off, s[0:3], 0 offset:604
	buffer_load_dword v151, off, s[0:3], 0 offset:616
	;; [unrolled: 1-line block ×5, first 2 shown]
	s_waitcnt vmcnt(57) lgkmcnt(0)
	v_mul_f64 v[201:202], v[117:118], v[155:156]
	v_mul_f64 v[154:155], v[119:120], v[155:156]
	s_waitcnt vmcnt(56)
	v_fma_f64 v[139:140], v[1:2], v[141:142], -v[139:140]
	ds_read_b128 v[5:8], v169 offset:1232
	v_fma_f64 v[137:138], v[3:4], v[141:142], v[137:138]
	s_clause 0x2
	buffer_load_dword v152, off, s[0:3], 0 offset:620
	buffer_load_dword v142, off, s[0:3], 0 offset:596
	;; [unrolled: 1-line block ×3, first 2 shown]
	ds_read_b128 v[1:4], v169 offset:1248
	v_add_f64 v[121:122], v[121:122], v[147:148]
	v_add_f64 v[123:124], v[123:124], v[143:144]
	s_waitcnt vmcnt(58) lgkmcnt(1)
	v_mul_f64 v[147:148], v[7:8], v[159:160]
	s_waitcnt vmcnt(56)
	v_fma_f64 v[155:156], v[117:118], v[161:162], -v[154:155]
	v_mul_f64 v[143:144], v[5:6], v[159:160]
	v_add_f64 v[121:122], v[121:122], v[139:140]
	v_fma_f64 v[139:140], v[119:120], v[161:162], v[201:202]
	v_add_f64 v[123:124], v[123:124], v[137:138]
	s_clause 0x4
	buffer_load_dword v138, off, s[0:3], 0 offset:636
	buffer_load_dword v159, off, s[0:3], 0 offset:648
	;; [unrolled: 1-line block ×5, first 2 shown]
	s_waitcnt vmcnt(57) lgkmcnt(0)
	v_mul_f64 v[201:202], v[1:2], v[163:164]
	v_mul_f64 v[162:163], v[3:4], v[163:164]
	s_waitcnt vmcnt(56)
	v_fma_f64 v[147:148], v[5:6], v[149:150], -v[147:148]
	ds_read_b128 v[117:120], v169 offset:1264
	v_fma_f64 v[143:144], v[7:8], v[149:150], v[143:144]
	v_add_f64 v[121:122], v[121:122], v[155:156]
	v_add_f64 v[123:124], v[123:124], v[139:140]
	s_clause 0x2
	buffer_load_dword v160, off, s[0:3], 0 offset:652
	buffer_load_dword v140, off, s[0:3], 0 offset:628
	;; [unrolled: 1-line block ×3, first 2 shown]
	ds_read_b128 v[5:8], v169 offset:1280
	s_waitcnt vmcnt(58) lgkmcnt(1)
	v_mul_f64 v[155:156], v[119:120], v[165:166]
	s_waitcnt vmcnt(56)
	v_fma_f64 v[163:164], v[1:2], v[167:168], -v[162:163]
	v_mul_f64 v[149:150], v[117:118], v[165:166]
	v_add_f64 v[121:122], v[121:122], v[147:148]
	v_fma_f64 v[147:148], v[3:4], v[167:168], v[201:202]
	v_add_f64 v[123:124], v[123:124], v[143:144]
	s_clause 0x4
	buffer_load_dword v144, off, s[0:3], 0 offset:668
	buffer_load_dword v165, off, s[0:3], 0 offset:680
	;; [unrolled: 1-line block ×5, first 2 shown]
	s_waitcnt vmcnt(57) lgkmcnt(0)
	v_mul_f64 v[201:202], v[5:6], v[186:187]
	v_mul_f64 v[186:187], v[7:8], v[186:187]
	s_waitcnt vmcnt(56)
	v_fma_f64 v[155:156], v[117:118], v[157:158], -v[155:156]
	ds_read_b128 v[1:4], v169 offset:1296
	v_fma_f64 v[149:150], v[119:120], v[157:158], v[149:150]
	v_add_f64 v[121:122], v[121:122], v[163:164]
	v_add_f64 v[123:124], v[123:124], v[147:148]
	s_clause 0x2
	buffer_load_dword v166, off, s[0:3], 0 offset:684
	buffer_load_dword v148, off, s[0:3], 0 offset:660
	;; [unrolled: 1-line block ×3, first 2 shown]
	ds_read_b128 v[117:120], v169 offset:1312
	s_waitcnt vmcnt(58) lgkmcnt(1)
	v_mul_f64 v[163:164], v[3:4], v[188:189]
	s_waitcnt vmcnt(56)
	v_fma_f64 v[186:187], v[5:6], v[193:194], -v[186:187]
	v_mul_f64 v[157:158], v[1:2], v[188:189]
	v_add_f64 v[121:122], v[121:122], v[155:156]
	v_fma_f64 v[155:156], v[7:8], v[193:194], v[201:202]
	v_add_f64 v[123:124], v[123:124], v[149:150]
	s_clause 0x4
	buffer_load_dword v150, off, s[0:3], 0 offset:700
	buffer_load_dword v188, off, s[0:3], 0 offset:712
	;; [unrolled: 1-line block ×5, first 2 shown]
	ds_read_b128 v[5:8], v169 offset:1328
	s_waitcnt vmcnt(57) lgkmcnt(1)
	v_mul_f64 v[193:194], v[117:118], v[180:181]
	v_mul_f64 v[180:181], v[119:120], v[180:181]
	s_waitcnt vmcnt(56)
	v_fma_f64 v[163:164], v[1:2], v[190:191], -v[163:164]
	v_fma_f64 v[157:158], v[3:4], v[190:191], v[157:158]
	v_add_f64 v[121:122], v[121:122], v[186:187]
	v_add_f64 v[123:124], v[123:124], v[155:156]
	s_clause 0x2
	buffer_load_dword v189, off, s[0:3], 0 offset:716
	buffer_load_dword v156, off, s[0:3], 0 offset:692
	;; [unrolled: 1-line block ×3, first 2 shown]
	ds_read_b128 v[1:4], v169 offset:1344
	s_waitcnt vmcnt(58) lgkmcnt(1)
	v_mul_f64 v[190:191], v[7:8], v[197:198]
	v_mul_f64 v[186:187], v[5:6], v[197:198]
	s_waitcnt vmcnt(56)
	v_fma_f64 v[180:181], v[117:118], v[174:175], -v[180:181]
	v_add_f64 v[121:122], v[121:122], v[163:164]
	v_fma_f64 v[163:164], v[119:120], v[174:175], v[193:194]
	v_add_f64 v[123:124], v[123:124], v[157:158]
	s_clause 0x4
	buffer_load_dword v158, off, s[0:3], 0 offset:732
	buffer_load_dword v174, off, s[0:3], 0 offset:744
	buffer_load_dword v197, off, s[0:3], 0 offset:736
	buffer_load_dword v157, off, s[0:3], 0 offset:728
	buffer_load_dword v193, off, s[0:3], 0 offset:708
	ds_read_b128 v[117:120], v169 offset:1360
	s_waitcnt vmcnt(57) lgkmcnt(1)
	v_mul_f64 v[201:202], v[1:2], v[133:134]
	v_mul_f64 v[133:134], v[3:4], v[133:134]
	s_waitcnt vmcnt(56)
	v_fma_f64 v[190:191], v[5:6], v[199:200], -v[190:191]
	v_add_f64 v[121:122], v[121:122], v[180:181]
	v_fma_f64 v[180:181], v[7:8], v[199:200], v[186:187]
	v_add_f64 v[123:124], v[123:124], v[163:164]
	s_clause 0x2
	buffer_load_dword v175, off, s[0:3], 0 offset:748
	buffer_load_dword v164, off, s[0:3], 0 offset:724
	buffer_load_dword v163, off, s[0:3], 0 offset:720
	ds_read_b128 v[5:8], v169 offset:1376
	s_waitcnt vmcnt(58) lgkmcnt(1)
	v_mul_f64 v[186:187], v[117:118], v[182:183]
	v_mul_f64 v[182:183], v[119:120], v[182:183]
	s_waitcnt vmcnt(56)
	v_fma_f64 v[133:134], v[1:2], v[127:128], -v[133:134]
	v_fma_f64 v[127:128], v[3:4], v[127:128], v[201:202]
	v_add_f64 v[121:122], v[121:122], v[190:191]
	v_add_f64 v[123:124], v[123:124], v[180:181]
	s_clause 0x4
	buffer_load_dword v181, off, s[0:3], 0 offset:764
	buffer_load_dword v190, off, s[0:3], 0 offset:776
	buffer_load_dword v194, off, s[0:3], 0 offset:768
	buffer_load_dword v180, off, s[0:3], 0 offset:760
	buffer_load_dword v198, off, s[0:3], 0 offset:740
	ds_read_b128 v[1:4], v169 offset:1392
	s_waitcnt vmcnt(57) lgkmcnt(1)
	v_mul_f64 v[199:200], v[5:6], v[170:171]
	v_mul_f64 v[170:171], v[7:8], v[170:171]
	s_waitcnt vmcnt(56)
	v_fma_f64 v[182:183], v[117:118], v[195:196], -v[182:183]
	v_add_f64 v[121:122], v[121:122], v[133:134]
	v_fma_f64 v[133:134], v[119:120], v[195:196], v[186:187]
	v_add_f64 v[123:124], v[123:124], v[127:128]
	s_clause 0x2
	buffer_load_dword v191, off, s[0:3], 0 offset:780
	buffer_load_dword v128, off, s[0:3], 0 offset:756
	buffer_load_dword v127, off, s[0:3], 0 offset:752
	ds_read_b128 v[117:120], v169 offset:1408
	s_waitcnt vmcnt(58) lgkmcnt(1)
	v_mul_f64 v[186:187], v[1:2], v[172:173]
	v_mul_f64 v[172:173], v[3:4], v[172:173]
	s_waitcnt vmcnt(56)
	v_fma_f64 v[170:171], v[5:6], v[129:130], -v[170:171]
	v_fma_f64 v[129:130], v[7:8], v[129:130], v[199:200]
	v_add_f64 v[121:122], v[121:122], v[182:183]
	;; [unrolled: 28-line block ×3, first 2 shown]
	v_add_f64 v[123:124], v[123:124], v[170:171]
	s_clause 0x4
	buffer_load_dword v171, off, s[0:3], 0 offset:828
	buffer_load_dword v172, off, s[0:3], 0 offset:840
	buffer_load_dword v186, off, s[0:3], 0 offset:832
	buffer_load_dword v170, off, s[0:3], 0 offset:824
	buffer_load_dword v200, off, s[0:3], 0 offset:804
	ds_read_b128 v[117:120], v169 offset:1456
	s_waitcnt vmcnt(57) lgkmcnt(1)
	v_mul_f64 v[201:202], v[1:2], v[131:132]
	v_mul_f64 v[131:132], v[3:4], v[131:132]
	s_waitcnt vmcnt(56)
	v_fma_f64 v[145:146], v[5:6], v[178:179], -v[145:146]
	v_add_f64 v[121:122], v[121:122], v[125:126]
	v_fma_f64 v[125:126], v[7:8], v[178:179], v[184:185]
	v_add_f64 v[123:124], v[123:124], v[135:136]
	s_clause 0x2
	buffer_load_dword v173, off, s[0:3], 0 offset:844
	buffer_load_dword v136, off, s[0:3], 0 offset:820
	;; [unrolled: 1-line block ×3, first 2 shown]
	s_waitcnt vmcnt(58) lgkmcnt(0)
	v_mul_f64 v[178:179], v[117:118], v[151:152]
	v_mul_f64 v[151:152], v[119:120], v[151:152]
	ds_read_b128 v[5:8], v169 offset:1472
	s_waitcnt vmcnt(56)
	v_fma_f64 v[131:132], v[1:2], v[141:142], -v[131:132]
	v_fma_f64 v[141:142], v[3:4], v[141:142], v[201:202]
	v_add_f64 v[121:122], v[121:122], v[145:146]
	v_add_f64 v[123:124], v[123:124], v[125:126]
	s_clause 0x4
	buffer_load_dword v126, off, s[0:3], 0 offset:860
	buffer_load_dword v145, off, s[0:3], 0 offset:872
	buffer_load_dword v184, off, s[0:3], 0 offset:864
	buffer_load_dword v125, off, s[0:3], 0 offset:856
	buffer_load_dword v187, off, s[0:3], 0 offset:836
	ds_read_b128 v[1:4], v169 offset:1488
	s_waitcnt vmcnt(57) lgkmcnt(1)
	v_mul_f64 v[201:202], v[5:6], v[137:138]
	v_mul_f64 v[137:138], v[7:8], v[137:138]
	s_waitcnt vmcnt(56)
	v_fma_f64 v[151:152], v[117:118], v[153:154], -v[151:152]
	v_add_f64 v[121:122], v[121:122], v[131:132]
	v_fma_f64 v[131:132], v[119:120], v[153:154], v[178:179]
	v_add_f64 v[123:124], v[123:124], v[141:142]
	s_clause 0x2
	buffer_load_dword v146, off, s[0:3], 0 offset:876
	buffer_load_dword v142, off, s[0:3], 0 offset:852
	buffer_load_dword v141, off, s[0:3], 0 offset:848
	ds_read_b128 v[117:120], v169 offset:1504
	buffer_load_dword v185, off, s[0:3], 0 offset:868
	s_waitcnt vmcnt(59) lgkmcnt(1)
	v_mul_f64 v[153:154], v[1:2], v[159:160]
	v_mul_f64 v[159:160], v[3:4], v[159:160]
	s_waitcnt vmcnt(57)
	v_fma_f64 v[137:138], v[5:6], v[139:140], -v[137:138]
	v_fma_f64 v[139:140], v[7:8], v[139:140], v[201:202]
	ds_read_b128 v[5:8], v169 offset:1520
	v_add_f64 v[121:122], v[121:122], v[151:152]
	v_add_f64 v[123:124], v[123:124], v[131:132]
	s_waitcnt vmcnt(53) lgkmcnt(1)
	v_mul_f64 v[131:132], v[117:118], v[143:144]
	v_mul_f64 v[143:144], v[119:120], v[143:144]
	s_waitcnt vmcnt(52)
	v_fma_f64 v[151:152], v[1:2], v[161:162], -v[159:160]
	v_add_f64 v[121:122], v[121:122], v[137:138]
	v_fma_f64 v[137:138], v[3:4], v[161:162], v[153:154]
	v_add_f64 v[123:124], v[123:124], v[139:140]
	ds_read_b128 v[1:4], v169 offset:1536
	s_waitcnt vmcnt(51) lgkmcnt(1)
	v_mul_f64 v[153:154], v[7:8], v[165:166]
	v_mul_f64 v[139:140], v[5:6], v[165:166]
	s_waitcnt vmcnt(49)
	v_fma_f64 v[143:144], v[117:118], v[147:148], -v[143:144]
	v_fma_f64 v[131:132], v[119:120], v[147:148], v[131:132]
	v_add_f64 v[121:122], v[121:122], v[151:152]
	v_add_f64 v[123:124], v[123:124], v[137:138]
	s_clause 0x3
	buffer_load_dword v137, off, s[0:3], 0 offset:176
	buffer_load_dword v138, off, s[0:3], 0 offset:180
	;; [unrolled: 1-line block ×4, first 2 shown]
	ds_read_b128 v[117:120], v169 offset:1552
	s_waitcnt vmcnt(49) lgkmcnt(1)
	v_mul_f64 v[151:152], v[1:2], v[149:150]
	v_mul_f64 v[149:150], v[3:4], v[149:150]
	s_waitcnt vmcnt(48)
	v_fma_f64 v[153:154], v[5:6], v[167:168], -v[153:154]
	v_fma_f64 v[139:140], v[7:8], v[167:168], v[139:140]
	ds_read_b128 v[5:8], v169 offset:1568
	v_add_f64 v[121:122], v[121:122], v[143:144]
	v_add_f64 v[123:124], v[123:124], v[131:132]
	s_waitcnt vmcnt(47) lgkmcnt(1)
	v_mul_f64 v[143:144], v[119:120], v[188:189]
	v_mul_f64 v[131:132], v[117:118], v[188:189]
	s_waitcnt vmcnt(45)
	v_fma_f64 v[149:150], v[1:2], v[155:156], -v[149:150]
	v_fma_f64 v[151:152], v[3:4], v[155:156], v[151:152]
	ds_read_b128 v[1:4], v169 offset:1584
	v_add_f64 v[121:122], v[121:122], v[153:154]
	v_add_f64 v[123:124], v[123:124], v[139:140]
	s_waitcnt vmcnt(41) lgkmcnt(1)
	v_mul_f64 v[153:154], v[7:8], v[157:158]
	s_waitcnt vmcnt(40)
	v_fma_f64 v[143:144], v[117:118], v[192:193], -v[143:144]
	v_mul_f64 v[139:140], v[5:6], v[157:158]
	v_fma_f64 v[131:132], v[119:120], v[192:193], v[131:132]
	ds_read_b128 v[117:120], v169 offset:1600
	v_add_f64 v[121:122], v[121:122], v[149:150]
	v_add_f64 v[123:124], v[123:124], v[151:152]
	s_waitcnt vmcnt(39) lgkmcnt(1)
	v_mul_f64 v[151:152], v[3:4], v[174:175]
	v_mul_f64 v[149:150], v[1:2], v[174:175]
	s_waitcnt vmcnt(37)
	v_fma_f64 v[153:154], v[5:6], v[163:164], -v[153:154]
	v_fma_f64 v[139:140], v[7:8], v[163:164], v[139:140]
	ds_read_b128 v[5:8], v169 offset:1616
	v_add_f64 v[121:122], v[121:122], v[143:144]
	v_add_f64 v[123:124], v[123:124], v[131:132]
	s_waitcnt vmcnt(33) lgkmcnt(1)
	v_mul_f64 v[143:144], v[119:120], v[180:181]
	s_waitcnt vmcnt(32)
	v_fma_f64 v[151:152], v[1:2], v[197:198], -v[151:152]
	v_mul_f64 v[131:132], v[117:118], v[180:181]
	v_fma_f64 v[149:150], v[3:4], v[197:198], v[149:150]
	ds_read_b128 v[1:4], v169 offset:1632
	v_add_f64 v[121:122], v[121:122], v[153:154]
	v_add_f64 v[123:124], v[123:124], v[139:140]
	s_waitcnt vmcnt(31) lgkmcnt(1)
	v_mul_f64 v[153:154], v[7:8], v[190:191]
	v_mul_f64 v[139:140], v[5:6], v[190:191]
	s_waitcnt vmcnt(29)
	v_fma_f64 v[143:144], v[117:118], v[127:128], -v[143:144]
	v_fma_f64 v[127:128], v[119:120], v[127:128], v[131:132]
	ds_read_b128 v[117:120], v169 offset:1648
	v_add_f64 v[121:122], v[121:122], v[151:152]
	v_add_f64 v[123:124], v[123:124], v[149:150]
	s_waitcnt vmcnt(25) lgkmcnt(1)
	v_mul_f64 v[131:132], v[1:2], v[133:134]
	v_mul_f64 v[133:134], v[3:4], v[133:134]
	s_waitcnt vmcnt(24)
	v_fma_f64 v[149:150], v[5:6], v[194:195], -v[153:154]
	;; [unrolled: 9-line block ×3, first 2 shown]
	v_fma_f64 v[129:130], v[3:4], v[129:130], v[131:132]
	ds_read_b128 v[1:4], v169 offset:1680
	v_add_f64 v[121:122], v[121:122], v[149:150]
	v_add_f64 v[123:124], v[123:124], v[139:140]
	s_waitcnt vmcnt(17) lgkmcnt(1)
	v_mul_f64 v[139:140], v[7:8], v[170:171]
	s_waitcnt vmcnt(16)
	v_fma_f64 v[143:144], v[117:118], v[199:200], -v[143:144]
	v_mul_f64 v[131:132], v[5:6], v[170:171]
	v_fma_f64 v[127:128], v[119:120], v[199:200], v[127:128]
	ds_read_b128 v[117:120], v169 offset:1696
	v_add_f64 v[121:122], v[121:122], v[133:134]
	v_add_f64 v[123:124], v[123:124], v[129:130]
	s_waitcnt vmcnt(15) lgkmcnt(1)
	v_mul_f64 v[133:134], v[3:4], v[172:173]
	v_mul_f64 v[129:130], v[1:2], v[172:173]
	s_waitcnt vmcnt(13)
	v_fma_f64 v[139:140], v[5:6], v[135:136], -v[139:140]
	v_fma_f64 v[131:132], v[7:8], v[135:136], v[131:132]
	ds_read_b128 v[5:8], v169 offset:1712
	v_add_f64 v[121:122], v[121:122], v[143:144]
	v_add_f64 v[123:124], v[123:124], v[127:128]
	s_waitcnt vmcnt(9) lgkmcnt(1)
	v_mul_f64 v[127:128], v[117:118], v[125:126]
	v_mul_f64 v[125:126], v[119:120], v[125:126]
	s_waitcnt vmcnt(8)
	v_fma_f64 v[1:2], v[1:2], v[186:187], -v[133:134]
	v_fma_f64 v[3:4], v[3:4], v[186:187], v[129:130]
	v_add_f64 v[121:122], v[121:122], v[139:140]
	v_add_f64 v[123:124], v[123:124], v[131:132]
	s_waitcnt vmcnt(7) lgkmcnt(0)
	v_mul_f64 v[131:132], v[7:8], v[145:146]
	v_mul_f64 v[129:130], v[5:6], v[145:146]
	s_waitcnt vmcnt(5)
	v_fma_f64 v[117:118], v[117:118], v[141:142], -v[125:126]
	v_fma_f64 v[119:120], v[119:120], v[141:142], v[127:128]
	v_add_f64 v[1:2], v[121:122], v[1:2]
	v_add_f64 v[3:4], v[123:124], v[3:4]
	s_waitcnt vmcnt(4)
	v_fma_f64 v[5:6], v[5:6], v[184:185], -v[131:132]
	v_fma_f64 v[7:8], v[7:8], v[184:185], v[129:130]
	v_add_f64 v[1:2], v[1:2], v[117:118]
	v_add_f64 v[3:4], v[3:4], v[119:120]
	;; [unrolled: 1-line block ×4, first 2 shown]
	s_waitcnt vmcnt(2)
	v_add_f64 v[1:2], v[137:138], -v[1:2]
	s_waitcnt vmcnt(0)
	v_add_f64 v[3:4], v[147:148], -v[3:4]
	buffer_store_dword v2, off, s[0:3], 0 offset:180
	buffer_store_dword v1, off, s[0:3], 0 offset:176
	;; [unrolled: 1-line block ×4, first 2 shown]
	v_cmpx_lt_u32_e32 9, v0
	s_cbranch_execz .LBB117_319
; %bb.318:
	v_mov_b32_e32 v4, s57
	s_clause 0x3
	buffer_load_dword v1, v4, s[0:3], 0 offen
	buffer_load_dword v2, v4, s[0:3], 0 offen offset:4
	buffer_load_dword v3, v4, s[0:3], 0 offen offset:8
	buffer_load_dword v4, v4, s[0:3], 0 offen offset:12
	buffer_store_dword v169, off, s[0:3], 0 offset:160
	buffer_store_dword v169, off, s[0:3], 0 offset:164
	;; [unrolled: 1-line block ×4, first 2 shown]
	s_waitcnt vmcnt(0)
	ds_write_b128 v177, v[1:4]
.LBB117_319:
	s_or_b32 exec_lo, exec_lo, s4
	s_waitcnt lgkmcnt(0)
	s_waitcnt_vscnt null, 0x0
	s_barrier
	buffer_gl0_inv
	s_clause 0x37
	buffer_load_dword v117, off, s[0:3], 0 offset:184
	buffer_load_dword v118, off, s[0:3], 0 offset:188
	;; [unrolled: 1-line block ×56, first 2 shown]
	ds_read_b128 v[170:173], v169 offset:1024
	s_clause 0x2
	buffer_load_dword v166, off, s[0:3], 0 offset:412
	buffer_load_dword v168, off, s[0:3], 0 offset:388
	;; [unrolled: 1-line block ×3, first 2 shown]
	ds_read_b128 v[178:181], v169 offset:1040
	s_clause 0x4
	buffer_load_dword v187, off, s[0:3], 0 offset:428
	buffer_load_dword v188, off, s[0:3], 0 offset:440
	;; [unrolled: 1-line block ×5, first 2 shown]
	ds_read_b128 v[182:185], v169 offset:1056
	s_clause 0x2
	buffer_load_dword v189, off, s[0:3], 0 offset:444
	buffer_load_dword v194, off, s[0:3], 0 offset:420
	;; [unrolled: 1-line block ×3, first 2 shown]
	s_mov_b32 s4, exec_lo
	s_waitcnt vmcnt(62) lgkmcnt(2)
	v_mul_f64 v[174:175], v[172:173], v[117:118]
	v_mul_f64 v[117:118], v[170:171], v[117:118]
	s_waitcnt lgkmcnt(1)
	v_mul_f64 v[191:192], v[180:181], v[5:6]
	s_waitcnt vmcnt(59) lgkmcnt(0)
	v_mul_f64 v[195:196], v[184:185], v[3:4]
	v_fma_f64 v[170:171], v[170:171], v[7:8], -v[174:175]
	v_mul_f64 v[174:175], v[178:179], v[5:6]
	v_fma_f64 v[117:118], v[172:173], v[7:8], v[117:118]
	s_waitcnt vmcnt(57)
	v_fma_f64 v[178:179], v[178:179], v[1:2], -v[191:192]
	ds_read_b128 v[5:8], v169 offset:1072
	v_mul_f64 v[172:173], v[182:183], v[3:4]
	s_waitcnt vmcnt(51)
	v_fma_f64 v[182:183], v[182:183], v[133:134], -v[195:196]
	v_add_f64 v[170:171], v[170:171], 0
	v_fma_f64 v[174:175], v[180:181], v[1:2], v[174:175]
	v_add_f64 v[117:118], v[117:118], 0
	s_clause 0x4
	buffer_load_dword v181, off, s[0:3], 0 offset:460
	buffer_load_dword v197, off, s[0:3], 0 offset:472
	;; [unrolled: 1-line block ×5, first 2 shown]
	s_waitcnt lgkmcnt(0)
	v_mul_f64 v[200:201], v[5:6], v[121:122]
	v_mul_f64 v[121:122], v[7:8], v[121:122]
	ds_read_b128 v[1:4], v169 offset:1088
	v_fma_f64 v[133:134], v[184:185], v[133:134], v[172:173]
	v_add_f64 v[178:179], v[170:171], v[178:179]
	v_add_f64 v[117:118], v[117:118], v[174:175]
	s_clause 0x2
	buffer_load_dword v198, off, s[0:3], 0 offset:476
	buffer_load_dword v175, off, s[0:3], 0 offset:452
	;; [unrolled: 1-line block ×3, first 2 shown]
	s_waitcnt vmcnt(58) lgkmcnt(0)
	v_mul_f64 v[184:185], v[1:2], v[125:126]
	v_mul_f64 v[125:126], v[3:4], v[125:126]
	s_waitcnt vmcnt(56)
	v_fma_f64 v[121:122], v[5:6], v[127:128], -v[121:122]
	ds_read_b128 v[170:173], v169 offset:1104
	v_fma_f64 v[127:128], v[7:8], v[127:128], v[200:201]
	v_add_f64 v[178:179], v[178:179], v[182:183]
	v_add_f64 v[117:118], v[117:118], v[133:134]
	s_clause 0x4
	buffer_load_dword v134, off, s[0:3], 0 offset:492
	buffer_load_dword v182, off, s[0:3], 0 offset:504
	buffer_load_dword v195, off, s[0:3], 0 offset:496
	buffer_load_dword v133, off, s[0:3], 0 offset:488
	buffer_load_dword v200, off, s[0:3], 0 offset:468
	ds_read_b128 v[5:8], v169 offset:1120
	s_waitcnt vmcnt(57) lgkmcnt(1)
	v_mul_f64 v[201:202], v[170:171], v[129:130]
	v_mul_f64 v[129:130], v[172:173], v[129:130]
	s_waitcnt vmcnt(56)
	v_fma_f64 v[125:126], v[1:2], v[119:120], -v[125:126]
	v_fma_f64 v[119:120], v[3:4], v[119:120], v[184:185]
	v_add_f64 v[121:122], v[178:179], v[121:122]
	v_add_f64 v[117:118], v[117:118], v[127:128]
	s_clause 0x2
	buffer_load_dword v183, off, s[0:3], 0 offset:508
	buffer_load_dword v128, off, s[0:3], 0 offset:484
	buffer_load_dword v127, off, s[0:3], 0 offset:480
	s_waitcnt vmcnt(58) lgkmcnt(0)
	v_mul_f64 v[178:179], v[5:6], v[135:136]
	v_mul_f64 v[135:136], v[7:8], v[135:136]
	s_waitcnt vmcnt(56)
	v_fma_f64 v[129:130], v[170:171], v[137:138], -v[129:130]
	ds_read_b128 v[1:4], v169 offset:1136
	v_add_f64 v[121:122], v[121:122], v[125:126]
	v_fma_f64 v[125:126], v[172:173], v[137:138], v[201:202]
	v_add_f64 v[137:138], v[117:118], v[119:120]
	s_clause 0x4
	buffer_load_dword v171, off, s[0:3], 0 offset:524
	buffer_load_dword v172, off, s[0:3], 0 offset:536
	;; [unrolled: 1-line block ×5, first 2 shown]
	ds_read_b128 v[117:120], v169 offset:1152
	s_waitcnt vmcnt(57) lgkmcnt(1)
	v_mul_f64 v[201:202], v[1:2], v[139:140]
	v_mul_f64 v[139:140], v[3:4], v[139:140]
	s_waitcnt vmcnt(56)
	v_fma_f64 v[135:136], v[5:6], v[123:124], -v[135:136]
	v_fma_f64 v[123:124], v[7:8], v[123:124], v[178:179]
	v_add_f64 v[121:122], v[121:122], v[129:130]
	s_clause 0x2
	buffer_load_dword v173, off, s[0:3], 0 offset:540
	buffer_load_dword v130, off, s[0:3], 0 offset:516
	;; [unrolled: 1-line block ×3, first 2 shown]
	v_add_f64 v[125:126], v[137:138], v[125:126]
	s_waitcnt vmcnt(58) lgkmcnt(0)
	v_mul_f64 v[137:138], v[117:118], v[143:144]
	v_mul_f64 v[143:144], v[119:120], v[143:144]
	ds_read_b128 v[5:8], v169 offset:1168
	s_waitcnt vmcnt(56)
	v_fma_f64 v[139:140], v[1:2], v[145:146], -v[139:140]
	v_add_f64 v[121:122], v[121:122], v[135:136]
	v_fma_f64 v[135:136], v[3:4], v[145:146], v[201:202]
	v_add_f64 v[123:124], v[125:126], v[123:124]
	s_clause 0x4
	buffer_load_dword v126, off, s[0:3], 0 offset:556
	buffer_load_dword v145, off, s[0:3], 0 offset:568
	;; [unrolled: 1-line block ×5, first 2 shown]
	s_waitcnt vmcnt(57) lgkmcnt(0)
	v_mul_f64 v[201:202], v[5:6], v[147:148]
	v_mul_f64 v[147:148], v[7:8], v[147:148]
	s_waitcnt vmcnt(56)
	v_fma_f64 v[143:144], v[117:118], v[131:132], -v[143:144]
	ds_read_b128 v[1:4], v169 offset:1184
	v_fma_f64 v[131:132], v[119:120], v[131:132], v[137:138]
	v_add_f64 v[121:122], v[121:122], v[139:140]
	v_add_f64 v[123:124], v[123:124], v[135:136]
	s_clause 0x2
	buffer_load_dword v146, off, s[0:3], 0 offset:572
	buffer_load_dword v136, off, s[0:3], 0 offset:548
	;; [unrolled: 1-line block ×3, first 2 shown]
	ds_read_b128 v[117:120], v169 offset:1200
	s_waitcnt vmcnt(58) lgkmcnt(1)
	v_mul_f64 v[139:140], v[3:4], v[151:152]
	s_waitcnt vmcnt(56)
	v_fma_f64 v[147:148], v[5:6], v[153:154], -v[147:148]
	v_mul_f64 v[137:138], v[1:2], v[151:152]
	v_add_f64 v[121:122], v[121:122], v[143:144]
	v_fma_f64 v[143:144], v[7:8], v[153:154], v[201:202]
	v_add_f64 v[123:124], v[123:124], v[131:132]
	s_clause 0x4
	buffer_load_dword v132, off, s[0:3], 0 offset:588
	buffer_load_dword v151, off, s[0:3], 0 offset:600
	;; [unrolled: 1-line block ×5, first 2 shown]
	s_waitcnt vmcnt(57) lgkmcnt(0)
	v_mul_f64 v[201:202], v[117:118], v[155:156]
	v_mul_f64 v[154:155], v[119:120], v[155:156]
	s_waitcnt vmcnt(56)
	v_fma_f64 v[139:140], v[1:2], v[141:142], -v[139:140]
	ds_read_b128 v[5:8], v169 offset:1216
	v_fma_f64 v[137:138], v[3:4], v[141:142], v[137:138]
	s_clause 0x2
	buffer_load_dword v152, off, s[0:3], 0 offset:604
	buffer_load_dword v142, off, s[0:3], 0 offset:580
	;; [unrolled: 1-line block ×3, first 2 shown]
	ds_read_b128 v[1:4], v169 offset:1232
	v_add_f64 v[121:122], v[121:122], v[147:148]
	v_add_f64 v[123:124], v[123:124], v[143:144]
	s_waitcnt vmcnt(58) lgkmcnt(1)
	v_mul_f64 v[147:148], v[7:8], v[159:160]
	s_waitcnt vmcnt(56)
	v_fma_f64 v[155:156], v[117:118], v[161:162], -v[154:155]
	v_mul_f64 v[143:144], v[5:6], v[159:160]
	v_add_f64 v[121:122], v[121:122], v[139:140]
	v_fma_f64 v[139:140], v[119:120], v[161:162], v[201:202]
	v_add_f64 v[123:124], v[123:124], v[137:138]
	s_clause 0x4
	buffer_load_dword v138, off, s[0:3], 0 offset:620
	buffer_load_dword v159, off, s[0:3], 0 offset:632
	;; [unrolled: 1-line block ×5, first 2 shown]
	s_waitcnt vmcnt(57) lgkmcnt(0)
	v_mul_f64 v[201:202], v[1:2], v[163:164]
	v_mul_f64 v[162:163], v[3:4], v[163:164]
	s_waitcnt vmcnt(56)
	v_fma_f64 v[147:148], v[5:6], v[149:150], -v[147:148]
	ds_read_b128 v[117:120], v169 offset:1248
	v_fma_f64 v[143:144], v[7:8], v[149:150], v[143:144]
	v_add_f64 v[121:122], v[121:122], v[155:156]
	v_add_f64 v[123:124], v[123:124], v[139:140]
	s_clause 0x2
	buffer_load_dword v160, off, s[0:3], 0 offset:636
	buffer_load_dword v140, off, s[0:3], 0 offset:612
	;; [unrolled: 1-line block ×3, first 2 shown]
	ds_read_b128 v[5:8], v169 offset:1264
	s_waitcnt vmcnt(58) lgkmcnt(1)
	v_mul_f64 v[155:156], v[119:120], v[165:166]
	s_waitcnt vmcnt(56)
	v_fma_f64 v[163:164], v[1:2], v[167:168], -v[162:163]
	v_mul_f64 v[149:150], v[117:118], v[165:166]
	v_add_f64 v[121:122], v[121:122], v[147:148]
	v_fma_f64 v[147:148], v[3:4], v[167:168], v[201:202]
	v_add_f64 v[123:124], v[123:124], v[143:144]
	s_clause 0x4
	buffer_load_dword v144, off, s[0:3], 0 offset:652
	buffer_load_dword v165, off, s[0:3], 0 offset:664
	;; [unrolled: 1-line block ×5, first 2 shown]
	s_waitcnt vmcnt(57) lgkmcnt(0)
	v_mul_f64 v[201:202], v[5:6], v[186:187]
	v_mul_f64 v[186:187], v[7:8], v[186:187]
	s_waitcnt vmcnt(56)
	v_fma_f64 v[155:156], v[117:118], v[157:158], -v[155:156]
	ds_read_b128 v[1:4], v169 offset:1280
	v_fma_f64 v[149:150], v[119:120], v[157:158], v[149:150]
	v_add_f64 v[121:122], v[121:122], v[163:164]
	v_add_f64 v[123:124], v[123:124], v[147:148]
	s_clause 0x2
	buffer_load_dword v166, off, s[0:3], 0 offset:668
	buffer_load_dword v148, off, s[0:3], 0 offset:644
	buffer_load_dword v147, off, s[0:3], 0 offset:640
	ds_read_b128 v[117:120], v169 offset:1296
	s_waitcnt vmcnt(58) lgkmcnt(1)
	v_mul_f64 v[163:164], v[3:4], v[188:189]
	s_waitcnt vmcnt(56)
	v_fma_f64 v[186:187], v[5:6], v[193:194], -v[186:187]
	v_mul_f64 v[157:158], v[1:2], v[188:189]
	v_add_f64 v[121:122], v[121:122], v[155:156]
	v_fma_f64 v[155:156], v[7:8], v[193:194], v[201:202]
	v_add_f64 v[123:124], v[123:124], v[149:150]
	s_clause 0x4
	buffer_load_dword v150, off, s[0:3], 0 offset:684
	buffer_load_dword v188, off, s[0:3], 0 offset:696
	;; [unrolled: 1-line block ×5, first 2 shown]
	ds_read_b128 v[5:8], v169 offset:1312
	s_waitcnt vmcnt(57) lgkmcnt(1)
	v_mul_f64 v[193:194], v[117:118], v[180:181]
	v_mul_f64 v[180:181], v[119:120], v[180:181]
	s_waitcnt vmcnt(56)
	v_fma_f64 v[163:164], v[1:2], v[190:191], -v[163:164]
	v_fma_f64 v[157:158], v[3:4], v[190:191], v[157:158]
	v_add_f64 v[121:122], v[121:122], v[186:187]
	v_add_f64 v[123:124], v[123:124], v[155:156]
	s_clause 0x2
	buffer_load_dword v189, off, s[0:3], 0 offset:700
	buffer_load_dword v156, off, s[0:3], 0 offset:676
	;; [unrolled: 1-line block ×3, first 2 shown]
	ds_read_b128 v[1:4], v169 offset:1328
	s_waitcnt vmcnt(58) lgkmcnt(1)
	v_mul_f64 v[190:191], v[7:8], v[197:198]
	v_mul_f64 v[186:187], v[5:6], v[197:198]
	s_waitcnt vmcnt(56)
	v_fma_f64 v[180:181], v[117:118], v[174:175], -v[180:181]
	v_add_f64 v[121:122], v[121:122], v[163:164]
	v_fma_f64 v[163:164], v[119:120], v[174:175], v[193:194]
	v_add_f64 v[123:124], v[123:124], v[157:158]
	s_clause 0x4
	buffer_load_dword v158, off, s[0:3], 0 offset:716
	buffer_load_dword v174, off, s[0:3], 0 offset:728
	buffer_load_dword v197, off, s[0:3], 0 offset:720
	buffer_load_dword v157, off, s[0:3], 0 offset:712
	buffer_load_dword v193, off, s[0:3], 0 offset:692
	ds_read_b128 v[117:120], v169 offset:1344
	s_waitcnt vmcnt(57) lgkmcnt(1)
	v_mul_f64 v[201:202], v[1:2], v[133:134]
	v_mul_f64 v[133:134], v[3:4], v[133:134]
	s_waitcnt vmcnt(56)
	v_fma_f64 v[190:191], v[5:6], v[199:200], -v[190:191]
	v_add_f64 v[121:122], v[121:122], v[180:181]
	v_fma_f64 v[180:181], v[7:8], v[199:200], v[186:187]
	v_add_f64 v[123:124], v[123:124], v[163:164]
	s_clause 0x2
	buffer_load_dword v175, off, s[0:3], 0 offset:732
	buffer_load_dword v164, off, s[0:3], 0 offset:708
	buffer_load_dword v163, off, s[0:3], 0 offset:704
	ds_read_b128 v[5:8], v169 offset:1360
	s_waitcnt vmcnt(58) lgkmcnt(1)
	v_mul_f64 v[186:187], v[117:118], v[182:183]
	v_mul_f64 v[182:183], v[119:120], v[182:183]
	s_waitcnt vmcnt(56)
	v_fma_f64 v[133:134], v[1:2], v[127:128], -v[133:134]
	v_fma_f64 v[127:128], v[3:4], v[127:128], v[201:202]
	v_add_f64 v[121:122], v[121:122], v[190:191]
	v_add_f64 v[123:124], v[123:124], v[180:181]
	s_clause 0x4
	buffer_load_dword v181, off, s[0:3], 0 offset:748
	buffer_load_dword v190, off, s[0:3], 0 offset:760
	buffer_load_dword v194, off, s[0:3], 0 offset:752
	buffer_load_dword v180, off, s[0:3], 0 offset:744
	buffer_load_dword v198, off, s[0:3], 0 offset:724
	ds_read_b128 v[1:4], v169 offset:1376
	s_waitcnt vmcnt(57) lgkmcnt(1)
	v_mul_f64 v[199:200], v[5:6], v[170:171]
	v_mul_f64 v[170:171], v[7:8], v[170:171]
	s_waitcnt vmcnt(56)
	v_fma_f64 v[182:183], v[117:118], v[195:196], -v[182:183]
	v_add_f64 v[121:122], v[121:122], v[133:134]
	v_fma_f64 v[133:134], v[119:120], v[195:196], v[186:187]
	v_add_f64 v[123:124], v[123:124], v[127:128]
	s_clause 0x2
	buffer_load_dword v191, off, s[0:3], 0 offset:764
	buffer_load_dword v128, off, s[0:3], 0 offset:740
	buffer_load_dword v127, off, s[0:3], 0 offset:736
	ds_read_b128 v[117:120], v169 offset:1392
	s_waitcnt vmcnt(58) lgkmcnt(1)
	v_mul_f64 v[186:187], v[1:2], v[172:173]
	v_mul_f64 v[172:173], v[3:4], v[172:173]
	s_waitcnt vmcnt(56)
	v_fma_f64 v[170:171], v[5:6], v[129:130], -v[170:171]
	v_fma_f64 v[129:130], v[7:8], v[129:130], v[199:200]
	v_add_f64 v[121:122], v[121:122], v[182:183]
	;; [unrolled: 28-line block ×3, first 2 shown]
	v_add_f64 v[123:124], v[123:124], v[170:171]
	s_clause 0x4
	buffer_load_dword v171, off, s[0:3], 0 offset:812
	buffer_load_dword v172, off, s[0:3], 0 offset:824
	;; [unrolled: 1-line block ×5, first 2 shown]
	ds_read_b128 v[117:120], v169 offset:1440
	s_waitcnt vmcnt(57) lgkmcnt(1)
	v_mul_f64 v[201:202], v[1:2], v[131:132]
	v_mul_f64 v[131:132], v[3:4], v[131:132]
	s_waitcnt vmcnt(56)
	v_fma_f64 v[145:146], v[5:6], v[178:179], -v[145:146]
	v_add_f64 v[121:122], v[121:122], v[125:126]
	v_fma_f64 v[125:126], v[7:8], v[178:179], v[184:185]
	v_add_f64 v[123:124], v[123:124], v[135:136]
	s_clause 0x2
	buffer_load_dword v173, off, s[0:3], 0 offset:828
	buffer_load_dword v136, off, s[0:3], 0 offset:804
	;; [unrolled: 1-line block ×3, first 2 shown]
	s_waitcnt vmcnt(58) lgkmcnt(0)
	v_mul_f64 v[178:179], v[117:118], v[151:152]
	v_mul_f64 v[151:152], v[119:120], v[151:152]
	ds_read_b128 v[5:8], v169 offset:1456
	s_waitcnt vmcnt(56)
	v_fma_f64 v[131:132], v[1:2], v[141:142], -v[131:132]
	v_fma_f64 v[141:142], v[3:4], v[141:142], v[201:202]
	v_add_f64 v[121:122], v[121:122], v[145:146]
	v_add_f64 v[123:124], v[123:124], v[125:126]
	s_clause 0x4
	buffer_load_dword v126, off, s[0:3], 0 offset:844
	buffer_load_dword v145, off, s[0:3], 0 offset:856
	buffer_load_dword v184, off, s[0:3], 0 offset:848
	buffer_load_dword v125, off, s[0:3], 0 offset:840
	buffer_load_dword v187, off, s[0:3], 0 offset:820
	ds_read_b128 v[1:4], v169 offset:1472
	s_waitcnt vmcnt(57) lgkmcnt(1)
	v_mul_f64 v[201:202], v[5:6], v[137:138]
	v_mul_f64 v[137:138], v[7:8], v[137:138]
	s_waitcnt vmcnt(56)
	v_fma_f64 v[151:152], v[117:118], v[153:154], -v[151:152]
	v_add_f64 v[121:122], v[121:122], v[131:132]
	v_fma_f64 v[131:132], v[119:120], v[153:154], v[178:179]
	v_add_f64 v[123:124], v[123:124], v[141:142]
	s_clause 0x2
	buffer_load_dword v146, off, s[0:3], 0 offset:860
	buffer_load_dword v142, off, s[0:3], 0 offset:836
	;; [unrolled: 1-line block ×3, first 2 shown]
	ds_read_b128 v[117:120], v169 offset:1488
	s_waitcnt vmcnt(58) lgkmcnt(1)
	v_mul_f64 v[153:154], v[1:2], v[159:160]
	v_mul_f64 v[159:160], v[3:4], v[159:160]
	s_waitcnt vmcnt(56)
	v_fma_f64 v[137:138], v[5:6], v[139:140], -v[137:138]
	v_fma_f64 v[139:140], v[7:8], v[139:140], v[201:202]
	v_add_f64 v[121:122], v[121:122], v[151:152]
	v_add_f64 v[123:124], v[123:124], v[131:132]
	s_clause 0x2
	buffer_load_dword v132, off, s[0:3], 0 offset:876
	buffer_load_dword v131, off, s[0:3], 0 offset:872
	buffer_load_dword v185, off, s[0:3], 0 offset:852
	ds_read_b128 v[5:8], v169 offset:1504
	s_waitcnt vmcnt(55) lgkmcnt(1)
	v_mul_f64 v[151:152], v[117:118], v[143:144]
	v_mul_f64 v[143:144], v[119:120], v[143:144]
	s_waitcnt vmcnt(54)
	v_fma_f64 v[159:160], v[1:2], v[161:162], -v[159:160]
	v_add_f64 v[121:122], v[121:122], v[137:138]
	v_fma_f64 v[137:138], v[3:4], v[161:162], v[153:154]
	v_add_f64 v[123:124], v[123:124], v[139:140]
	s_clause 0x1
	buffer_load_dword v140, off, s[0:3], 0 offset:868
	buffer_load_dword v139, off, s[0:3], 0 offset:864
	ds_read_b128 v[1:4], v169 offset:1520
	s_waitcnt vmcnt(55) lgkmcnt(1)
	v_mul_f64 v[161:162], v[7:8], v[165:166]
	v_mul_f64 v[153:154], v[5:6], v[165:166]
	s_waitcnt vmcnt(53)
	v_fma_f64 v[143:144], v[117:118], v[147:148], -v[143:144]
	v_fma_f64 v[147:148], v[119:120], v[147:148], v[151:152]
	ds_read_b128 v[117:120], v169 offset:1536
	v_add_f64 v[121:122], v[121:122], v[159:160]
	v_add_f64 v[123:124], v[123:124], v[137:138]
	s_waitcnt vmcnt(49) lgkmcnt(1)
	v_mul_f64 v[137:138], v[1:2], v[149:150]
	v_mul_f64 v[149:150], v[3:4], v[149:150]
	s_waitcnt vmcnt(48)
	v_fma_f64 v[151:152], v[5:6], v[167:168], -v[161:162]
	v_add_f64 v[121:122], v[121:122], v[143:144]
	v_fma_f64 v[143:144], v[7:8], v[167:168], v[153:154]
	v_add_f64 v[123:124], v[123:124], v[147:148]
	s_clause 0x3
	buffer_load_dword v147, off, s[0:3], 0 offset:160
	buffer_load_dword v148, off, s[0:3], 0 offset:164
	;; [unrolled: 1-line block ×4, first 2 shown]
	ds_read_b128 v[5:8], v169 offset:1552
	s_waitcnt vmcnt(51) lgkmcnt(1)
	v_mul_f64 v[161:162], v[119:120], v[188:189]
	v_mul_f64 v[159:160], v[117:118], v[188:189]
	s_waitcnt vmcnt(49)
	v_fma_f64 v[149:150], v[1:2], v[155:156], -v[149:150]
	v_fma_f64 v[137:138], v[3:4], v[155:156], v[137:138]
	ds_read_b128 v[1:4], v169 offset:1568
	v_add_f64 v[121:122], v[121:122], v[151:152]
	v_add_f64 v[123:124], v[123:124], v[143:144]
	s_waitcnt vmcnt(45) lgkmcnt(1)
	v_mul_f64 v[151:152], v[7:8], v[157:158]
	s_waitcnt vmcnt(44)
	v_fma_f64 v[155:156], v[117:118], v[192:193], -v[161:162]
	v_mul_f64 v[143:144], v[5:6], v[157:158]
	v_add_f64 v[121:122], v[121:122], v[149:150]
	v_fma_f64 v[149:150], v[119:120], v[192:193], v[159:160]
	v_add_f64 v[123:124], v[123:124], v[137:138]
	ds_read_b128 v[117:120], v169 offset:1584
	s_waitcnt vmcnt(43) lgkmcnt(1)
	v_mul_f64 v[157:158], v[3:4], v[174:175]
	v_mul_f64 v[137:138], v[1:2], v[174:175]
	s_waitcnt vmcnt(41)
	v_fma_f64 v[151:152], v[5:6], v[163:164], -v[151:152]
	v_fma_f64 v[143:144], v[7:8], v[163:164], v[143:144]
	ds_read_b128 v[5:8], v169 offset:1600
	v_add_f64 v[121:122], v[121:122], v[155:156]
	v_add_f64 v[123:124], v[123:124], v[149:150]
	s_waitcnt vmcnt(37) lgkmcnt(1)
	v_mul_f64 v[155:156], v[119:120], v[180:181]
	s_waitcnt vmcnt(36)
	v_fma_f64 v[157:158], v[1:2], v[197:198], -v[157:158]
	v_mul_f64 v[149:150], v[117:118], v[180:181]
	v_fma_f64 v[137:138], v[3:4], v[197:198], v[137:138]
	ds_read_b128 v[1:4], v169 offset:1616
	v_add_f64 v[121:122], v[121:122], v[151:152]
	v_add_f64 v[123:124], v[123:124], v[143:144]
	s_waitcnt vmcnt(35) lgkmcnt(1)
	v_mul_f64 v[151:152], v[7:8], v[190:191]
	v_mul_f64 v[143:144], v[5:6], v[190:191]
	s_waitcnt vmcnt(33)
	v_fma_f64 v[155:156], v[117:118], v[127:128], -v[155:156]
	v_fma_f64 v[127:128], v[119:120], v[127:128], v[149:150]
	ds_read_b128 v[117:120], v169 offset:1632
	v_add_f64 v[121:122], v[121:122], v[157:158]
	v_add_f64 v[123:124], v[123:124], v[137:138]
	s_waitcnt vmcnt(29) lgkmcnt(1)
	v_mul_f64 v[137:138], v[1:2], v[133:134]
	v_mul_f64 v[133:134], v[3:4], v[133:134]
	s_waitcnt vmcnt(28)
	v_fma_f64 v[149:150], v[5:6], v[194:195], -v[151:152]
	;; [unrolled: 9-line block ×3, first 2 shown]
	v_fma_f64 v[129:130], v[3:4], v[129:130], v[137:138]
	ds_read_b128 v[1:4], v169 offset:1664
	v_add_f64 v[121:122], v[121:122], v[149:150]
	v_add_f64 v[123:124], v[123:124], v[143:144]
	s_waitcnt vmcnt(21) lgkmcnt(1)
	v_mul_f64 v[143:144], v[7:8], v[170:171]
	s_waitcnt vmcnt(20)
	v_fma_f64 v[149:150], v[117:118], v[199:200], -v[151:152]
	v_mul_f64 v[137:138], v[5:6], v[170:171]
	v_fma_f64 v[127:128], v[119:120], v[199:200], v[127:128]
	ds_read_b128 v[117:120], v169 offset:1680
	v_add_f64 v[121:122], v[121:122], v[133:134]
	v_add_f64 v[123:124], v[123:124], v[129:130]
	s_waitcnt vmcnt(19) lgkmcnt(1)
	v_mul_f64 v[133:134], v[3:4], v[172:173]
	v_mul_f64 v[129:130], v[1:2], v[172:173]
	s_waitcnt vmcnt(17)
	v_fma_f64 v[143:144], v[5:6], v[135:136], -v[143:144]
	v_fma_f64 v[135:136], v[7:8], v[135:136], v[137:138]
	ds_read_b128 v[5:8], v169 offset:1696
	v_add_f64 v[121:122], v[121:122], v[149:150]
	v_add_f64 v[123:124], v[123:124], v[127:128]
	s_waitcnt vmcnt(13) lgkmcnt(1)
	v_mul_f64 v[127:128], v[117:118], v[125:126]
	v_mul_f64 v[125:126], v[119:120], v[125:126]
	s_waitcnt vmcnt(12)
	v_fma_f64 v[133:134], v[1:2], v[186:187], -v[133:134]
	;; [unrolled: 9-line block ×3, first 2 shown]
	v_fma_f64 v[119:120], v[119:120], v[141:142], v[127:128]
	v_add_f64 v[121:122], v[121:122], v[133:134]
	v_add_f64 v[123:124], v[123:124], v[129:130]
	s_waitcnt vmcnt(7) lgkmcnt(0)
	v_mul_f64 v[127:128], v[3:4], v[131:132]
	s_waitcnt vmcnt(6)
	v_fma_f64 v[5:6], v[5:6], v[184:185], -v[137:138]
	v_mul_f64 v[125:126], v[1:2], v[131:132]
	v_fma_f64 v[7:8], v[7:8], v[184:185], v[135:136]
	v_add_f64 v[117:118], v[121:122], v[117:118]
	v_add_f64 v[119:120], v[123:124], v[119:120]
	s_waitcnt vmcnt(4)
	v_fma_f64 v[1:2], v[1:2], v[139:140], -v[127:128]
	v_fma_f64 v[3:4], v[3:4], v[139:140], v[125:126]
	v_add_f64 v[5:6], v[117:118], v[5:6]
	v_add_f64 v[7:8], v[119:120], v[7:8]
	;; [unrolled: 1-line block ×4, first 2 shown]
	s_waitcnt vmcnt(2)
	v_add_f64 v[1:2], v[147:148], -v[1:2]
	s_waitcnt vmcnt(0)
	v_add_f64 v[3:4], v[153:154], -v[3:4]
	buffer_store_dword v2, off, s[0:3], 0 offset:164
	buffer_store_dword v1, off, s[0:3], 0 offset:160
	;; [unrolled: 1-line block ×4, first 2 shown]
	v_cmpx_lt_u32_e32 8, v0
	s_cbranch_execz .LBB117_321
; %bb.320:
	v_mov_b32_e32 v4, s58
	v_mov_b32_e32 v5, 0
	s_clause 0x3
	buffer_load_dword v1, v4, s[0:3], 0 offen
	buffer_load_dword v2, v4, s[0:3], 0 offen offset:4
	buffer_load_dword v3, v4, s[0:3], 0 offen offset:8
	;; [unrolled: 1-line block ×3, first 2 shown]
	buffer_store_dword v5, off, s[0:3], 0 offset:144
	buffer_store_dword v5, off, s[0:3], 0 offset:148
	;; [unrolled: 1-line block ×4, first 2 shown]
	s_waitcnt vmcnt(0)
	ds_write_b128 v177, v[1:4]
.LBB117_321:
	s_or_b32 exec_lo, exec_lo, s4
	s_waitcnt lgkmcnt(0)
	s_waitcnt_vscnt null, 0x0
	s_barrier
	buffer_gl0_inv
	s_clause 0x37
	buffer_load_dword v121, off, s[0:3], 0 offset:168
	buffer_load_dword v122, off, s[0:3], 0 offset:172
	;; [unrolled: 1-line block ×56, first 2 shown]
	v_mov_b32_e32 v178, 0
	s_mov_b32 s4, exec_lo
	ds_read_b128 v[173:176], v178 offset:1008
	s_clause 0x2
	buffer_load_dword v170, off, s[0:3], 0 offset:396
	buffer_load_dword v172, off, s[0:3], 0 offset:372
	;; [unrolled: 1-line block ×3, first 2 shown]
	ds_read_b128 v[1:4], v178 offset:1024
	s_clause 0x4
	buffer_load_dword v186, off, s[0:3], 0 offset:412
	buffer_load_dword v187, off, s[0:3], 0 offset:424
	;; [unrolled: 1-line block ×5, first 2 shown]
	ds_read_b128 v[179:182], v178 offset:1040
	s_waitcnt vmcnt(62) lgkmcnt(2)
	v_mul_f64 v[183:184], v[175:176], v[121:122]
	v_mul_f64 v[121:122], v[173:174], v[121:122]
	s_waitcnt vmcnt(60) lgkmcnt(1)
	v_mul_f64 v[190:191], v[3:4], v[117:118]
	s_waitcnt vmcnt(56) lgkmcnt(0)
	v_mul_f64 v[192:193], v[179:180], v[7:8]
	v_mul_f64 v[7:8], v[181:182], v[7:8]
	v_fma_f64 v[173:174], v[173:174], v[119:120], -v[183:184]
	v_mul_f64 v[183:184], v[1:2], v[117:118]
	v_fma_f64 v[121:122], v[175:176], v[119:120], v[121:122]
	s_clause 0x2
	buffer_load_dword v188, off, s[0:3], 0 offset:428
	buffer_load_dword v176, off, s[0:3], 0 offset:404
	;; [unrolled: 1-line block ×3, first 2 shown]
	s_waitcnt vmcnt(57)
	v_fma_f64 v[194:195], v[1:2], v[5:6], -v[190:191]
	ds_read_b128 v[117:120], v178 offset:1056
	s_waitcnt vmcnt(51)
	v_fma_f64 v[179:180], v[179:180], v[137:138], -v[7:8]
	v_fma_f64 v[137:138], v[181:182], v[137:138], v[192:193]
	v_add_f64 v[173:174], v[173:174], 0
	v_fma_f64 v[5:6], v[3:4], v[5:6], v[183:184]
	v_add_f64 v[121:122], v[121:122], 0
	s_clause 0x4
	buffer_load_dword v184, off, s[0:3], 0 offset:444
	buffer_load_dword v191, off, s[0:3], 0 offset:456
	;; [unrolled: 1-line block ×5, first 2 shown]
	s_waitcnt lgkmcnt(0)
	v_mul_f64 v[197:198], v[117:118], v[125:126]
	v_mul_f64 v[125:126], v[119:120], v[125:126]
	ds_read_b128 v[1:4], v178 offset:1072
	s_clause 0x2
	buffer_load_dword v192, off, s[0:3], 0 offset:460
	buffer_load_dword v182, off, s[0:3], 0 offset:436
	;; [unrolled: 1-line block ×3, first 2 shown]
	v_add_f64 v[173:174], v[173:174], v[194:195]
	v_add_f64 v[121:122], v[121:122], v[5:6]
	ds_read_b128 v[5:8], v178 offset:1088
	s_waitcnt vmcnt(58) lgkmcnt(1)
	v_mul_f64 v[193:194], v[1:2], v[129:130]
	v_mul_f64 v[129:130], v[3:4], v[129:130]
	s_waitcnt vmcnt(56)
	v_fma_f64 v[125:126], v[117:118], v[131:132], -v[125:126]
	v_fma_f64 v[131:132], v[119:120], v[131:132], v[197:198]
	v_add_f64 v[173:174], v[173:174], v[179:180]
	s_waitcnt vmcnt(52) lgkmcnt(0)
	v_mul_f64 v[199:200], v[5:6], v[133:134]
	v_add_f64 v[121:122], v[121:122], v[137:138]
	s_clause 0x4
	buffer_load_dword v138, off, s[0:3], 0 offset:476
	buffer_load_dword v179, off, s[0:3], 0 offset:488
	;; [unrolled: 1-line block ×5, first 2 shown]
	v_mul_f64 v[133:134], v[7:8], v[133:134]
	s_waitcnt vmcnt(56)
	v_fma_f64 v[129:130], v[1:2], v[123:124], -v[129:130]
	ds_read_b128 v[117:120], v178 offset:1104
	v_fma_f64 v[123:124], v[3:4], v[123:124], v[193:194]
	v_add_f64 v[125:126], v[173:174], v[125:126]
	v_add_f64 v[121:122], v[121:122], v[131:132]
	s_clause 0x2
	buffer_load_dword v180, off, s[0:3], 0 offset:492
	buffer_load_dword v132, off, s[0:3], 0 offset:468
	buffer_load_dword v131, off, s[0:3], 0 offset:464
	s_waitcnt vmcnt(58) lgkmcnt(0)
	v_mul_f64 v[173:174], v[117:118], v[139:140]
	v_mul_f64 v[139:140], v[119:120], v[139:140]
	s_waitcnt vmcnt(56)
	v_fma_f64 v[133:134], v[5:6], v[141:142], -v[133:134]
	ds_read_b128 v[1:4], v178 offset:1120
	v_add_f64 v[125:126], v[125:126], v[129:130]
	v_fma_f64 v[129:130], v[7:8], v[141:142], v[199:200]
	v_add_f64 v[121:122], v[121:122], v[123:124]
	s_clause 0x4
	buffer_load_dword v124, off, s[0:3], 0 offset:508
	buffer_load_dword v141, off, s[0:3], 0 offset:520
	;; [unrolled: 1-line block ×5, first 2 shown]
	ds_read_b128 v[5:8], v178 offset:1136
	s_waitcnt vmcnt(57) lgkmcnt(1)
	v_mul_f64 v[194:195], v[1:2], v[143:144]
	v_mul_f64 v[143:144], v[3:4], v[143:144]
	s_waitcnt vmcnt(56)
	v_fma_f64 v[139:140], v[117:118], v[127:128], -v[139:140]
	v_fma_f64 v[127:128], v[119:120], v[127:128], v[173:174]
	v_add_f64 v[125:126], v[125:126], v[133:134]
	v_add_f64 v[121:122], v[121:122], v[129:130]
	s_clause 0x2
	buffer_load_dword v142, off, s[0:3], 0 offset:524
	buffer_load_dword v130, off, s[0:3], 0 offset:500
	;; [unrolled: 1-line block ×3, first 2 shown]
	s_waitcnt vmcnt(58) lgkmcnt(0)
	v_mul_f64 v[133:134], v[5:6], v[147:148]
	v_mul_f64 v[147:148], v[7:8], v[147:148]
	s_waitcnt vmcnt(56)
	v_fma_f64 v[143:144], v[1:2], v[149:150], -v[143:144]
	ds_read_b128 v[117:120], v178 offset:1152
	v_add_f64 v[125:126], v[125:126], v[139:140]
	v_fma_f64 v[139:140], v[3:4], v[149:150], v[194:195]
	v_add_f64 v[121:122], v[121:122], v[127:128]
	s_clause 0x4
	buffer_load_dword v128, off, s[0:3], 0 offset:540
	buffer_load_dword v149, off, s[0:3], 0 offset:552
	;; [unrolled: 1-line block ×5, first 2 shown]
	ds_read_b128 v[1:4], v178 offset:1168
	s_waitcnt vmcnt(57) lgkmcnt(1)
	v_mul_f64 v[200:201], v[117:118], v[151:152]
	v_mul_f64 v[151:152], v[119:120], v[151:152]
	s_waitcnt vmcnt(56)
	v_fma_f64 v[147:148], v[5:6], v[135:136], -v[147:148]
	v_fma_f64 v[133:134], v[7:8], v[135:136], v[133:134]
	s_clause 0x2
	buffer_load_dword v150, off, s[0:3], 0 offset:556
	buffer_load_dword v136, off, s[0:3], 0 offset:532
	;; [unrolled: 1-line block ×3, first 2 shown]
	ds_read_b128 v[5:8], v178 offset:1184
	v_add_f64 v[125:126], v[125:126], v[143:144]
	v_add_f64 v[121:122], v[121:122], v[139:140]
	s_waitcnt vmcnt(58) lgkmcnt(1)
	v_mul_f64 v[143:144], v[3:4], v[155:156]
	v_mul_f64 v[139:140], v[1:2], v[155:156]
	s_waitcnt vmcnt(56)
	v_fma_f64 v[151:152], v[117:118], v[157:158], -v[151:152]
	v_add_f64 v[125:126], v[125:126], v[147:148]
	v_fma_f64 v[147:148], v[119:120], v[157:158], v[200:201]
	v_add_f64 v[121:122], v[121:122], v[133:134]
	s_clause 0x4
	buffer_load_dword v134, off, s[0:3], 0 offset:572
	buffer_load_dword v155, off, s[0:3], 0 offset:584
	;; [unrolled: 1-line block ×5, first 2 shown]
	s_waitcnt vmcnt(57) lgkmcnt(0)
	v_mul_f64 v[200:201], v[5:6], v[159:160]
	v_mul_f64 v[158:159], v[7:8], v[159:160]
	s_waitcnt vmcnt(56)
	v_fma_f64 v[143:144], v[1:2], v[145:146], -v[143:144]
	ds_read_b128 v[117:120], v178 offset:1200
	v_fma_f64 v[139:140], v[3:4], v[145:146], v[139:140]
	s_clause 0x2
	buffer_load_dword v156, off, s[0:3], 0 offset:588
	buffer_load_dword v146, off, s[0:3], 0 offset:564
	;; [unrolled: 1-line block ×3, first 2 shown]
	ds_read_b128 v[1:4], v178 offset:1216
	v_add_f64 v[125:126], v[125:126], v[151:152]
	v_add_f64 v[121:122], v[121:122], v[147:148]
	s_waitcnt vmcnt(58) lgkmcnt(1)
	v_mul_f64 v[151:152], v[119:120], v[163:164]
	s_waitcnt vmcnt(56)
	v_fma_f64 v[159:160], v[5:6], v[165:166], -v[158:159]
	v_mul_f64 v[147:148], v[117:118], v[163:164]
	v_add_f64 v[125:126], v[125:126], v[143:144]
	v_fma_f64 v[143:144], v[7:8], v[165:166], v[200:201]
	v_add_f64 v[121:122], v[121:122], v[139:140]
	s_clause 0x4
	buffer_load_dword v140, off, s[0:3], 0 offset:604
	buffer_load_dword v163, off, s[0:3], 0 offset:616
	;; [unrolled: 1-line block ×5, first 2 shown]
	s_waitcnt vmcnt(57) lgkmcnt(0)
	v_mul_f64 v[200:201], v[1:2], v[167:168]
	v_mul_f64 v[166:167], v[3:4], v[167:168]
	s_waitcnt vmcnt(56)
	v_fma_f64 v[151:152], v[117:118], v[153:154], -v[151:152]
	ds_read_b128 v[5:8], v178 offset:1232
	v_fma_f64 v[147:148], v[119:120], v[153:154], v[147:148]
	v_add_f64 v[125:126], v[125:126], v[159:160]
	v_add_f64 v[121:122], v[121:122], v[143:144]
	s_clause 0x2
	buffer_load_dword v164, off, s[0:3], 0 offset:620
	buffer_load_dword v144, off, s[0:3], 0 offset:596
	;; [unrolled: 1-line block ×3, first 2 shown]
	ds_read_b128 v[117:120], v178 offset:1248
	s_waitcnt vmcnt(58) lgkmcnt(1)
	v_mul_f64 v[159:160], v[7:8], v[169:170]
	s_waitcnt vmcnt(56)
	v_fma_f64 v[167:168], v[1:2], v[171:172], -v[166:167]
	v_mul_f64 v[153:154], v[5:6], v[169:170]
	v_add_f64 v[125:126], v[125:126], v[151:152]
	v_fma_f64 v[151:152], v[3:4], v[171:172], v[200:201]
	v_add_f64 v[121:122], v[121:122], v[147:148]
	s_clause 0x4
	buffer_load_dword v148, off, s[0:3], 0 offset:636
	buffer_load_dword v169, off, s[0:3], 0 offset:648
	;; [unrolled: 1-line block ×5, first 2 shown]
	s_waitcnt vmcnt(57) lgkmcnt(0)
	v_mul_f64 v[200:201], v[117:118], v[185:186]
	v_mul_f64 v[185:186], v[119:120], v[185:186]
	s_waitcnt vmcnt(56)
	v_fma_f64 v[159:160], v[5:6], v[161:162], -v[159:160]
	ds_read_b128 v[1:4], v178 offset:1264
	v_fma_f64 v[153:154], v[7:8], v[161:162], v[153:154]
	v_add_f64 v[125:126], v[125:126], v[167:168]
	v_add_f64 v[121:122], v[121:122], v[151:152]
	s_clause 0x2
	buffer_load_dword v170, off, s[0:3], 0 offset:652
	buffer_load_dword v152, off, s[0:3], 0 offset:628
	;; [unrolled: 1-line block ×3, first 2 shown]
	ds_read_b128 v[5:8], v178 offset:1280
	s_waitcnt vmcnt(58) lgkmcnt(1)
	v_mul_f64 v[167:168], v[3:4], v[187:188]
	v_mul_f64 v[161:162], v[1:2], v[187:188]
	s_waitcnt vmcnt(56)
	v_fma_f64 v[185:186], v[117:118], v[175:176], -v[185:186]
	v_add_f64 v[125:126], v[125:126], v[159:160]
	v_fma_f64 v[159:160], v[119:120], v[175:176], v[200:201]
	v_add_f64 v[121:122], v[121:122], v[153:154]
	s_clause 0x4
	buffer_load_dword v154, off, s[0:3], 0 offset:668
	buffer_load_dword v175, off, s[0:3], 0 offset:680
	;; [unrolled: 1-line block ×5, first 2 shown]
	ds_read_b128 v[117:120], v178 offset:1296
	s_waitcnt vmcnt(57) lgkmcnt(1)
	v_mul_f64 v[200:201], v[5:6], v[183:184]
	v_mul_f64 v[183:184], v[7:8], v[183:184]
	s_waitcnt vmcnt(56)
	v_fma_f64 v[167:168], v[1:2], v[189:190], -v[167:168]
	v_fma_f64 v[161:162], v[3:4], v[189:190], v[161:162]
	v_add_f64 v[125:126], v[125:126], v[185:186]
	v_add_f64 v[121:122], v[121:122], v[159:160]
	s_clause 0x2
	buffer_load_dword v176, off, s[0:3], 0 offset:684
	buffer_load_dword v160, off, s[0:3], 0 offset:660
	;; [unrolled: 1-line block ×3, first 2 shown]
	s_waitcnt vmcnt(58) lgkmcnt(0)
	v_mul_f64 v[189:190], v[119:120], v[191:192]
	ds_read_b128 v[1:4], v178 offset:1312
	v_mul_f64 v[185:186], v[117:118], v[191:192]
	s_waitcnt vmcnt(56)
	v_fma_f64 v[183:184], v[5:6], v[181:182], -v[183:184]
	v_add_f64 v[125:126], v[125:126], v[167:168]
	v_fma_f64 v[167:168], v[7:8], v[181:182], v[200:201]
	v_add_f64 v[121:122], v[121:122], v[161:162]
	s_clause 0x4
	buffer_load_dword v162, off, s[0:3], 0 offset:700
	buffer_load_dword v181, off, s[0:3], 0 offset:712
	;; [unrolled: 1-line block ×5, first 2 shown]
	ds_read_b128 v[5:8], v178 offset:1328
	s_waitcnt vmcnt(57) lgkmcnt(1)
	v_mul_f64 v[200:201], v[1:2], v[137:138]
	v_mul_f64 v[137:138], v[3:4], v[137:138]
	s_waitcnt vmcnt(56)
	v_fma_f64 v[189:190], v[117:118], v[196:197], -v[189:190]
	v_add_f64 v[125:126], v[125:126], v[183:184]
	v_fma_f64 v[183:184], v[119:120], v[196:197], v[185:186]
	v_add_f64 v[121:122], v[121:122], v[167:168]
	s_clause 0x2
	buffer_load_dword v182, off, s[0:3], 0 offset:716
	buffer_load_dword v168, off, s[0:3], 0 offset:692
	;; [unrolled: 1-line block ×3, first 2 shown]
	ds_read_b128 v[117:120], v178 offset:1344
	s_waitcnt vmcnt(58) lgkmcnt(1)
	v_mul_f64 v[185:186], v[5:6], v[179:180]
	v_mul_f64 v[179:180], v[7:8], v[179:180]
	s_waitcnt vmcnt(56)
	v_fma_f64 v[137:138], v[1:2], v[131:132], -v[137:138]
	v_fma_f64 v[131:132], v[3:4], v[131:132], v[200:201]
	v_add_f64 v[125:126], v[125:126], v[189:190]
	v_add_f64 v[121:122], v[121:122], v[183:184]
	s_clause 0x4
	buffer_load_dword v184, off, s[0:3], 0 offset:732
	buffer_load_dword v189, off, s[0:3], 0 offset:744
	;; [unrolled: 1-line block ×5, first 2 shown]
	ds_read_b128 v[1:4], v178 offset:1360
	s_waitcnt vmcnt(57) lgkmcnt(1)
	v_mul_f64 v[196:197], v[117:118], v[123:124]
	v_mul_f64 v[123:124], v[119:120], v[123:124]
	s_waitcnt vmcnt(56)
	v_fma_f64 v[179:180], v[5:6], v[198:199], -v[179:180]
	v_add_f64 v[125:126], v[125:126], v[137:138]
	v_fma_f64 v[137:138], v[7:8], v[198:199], v[185:186]
	v_add_f64 v[121:122], v[121:122], v[131:132]
	s_clause 0x2
	buffer_load_dword v190, off, s[0:3], 0 offset:748
	buffer_load_dword v132, off, s[0:3], 0 offset:724
	;; [unrolled: 1-line block ×3, first 2 shown]
	ds_read_b128 v[5:8], v178 offset:1376
	s_waitcnt vmcnt(58) lgkmcnt(1)
	v_mul_f64 v[185:186], v[1:2], v[141:142]
	v_mul_f64 v[141:142], v[3:4], v[141:142]
	s_waitcnt vmcnt(56)
	v_fma_f64 v[123:124], v[117:118], v[129:130], -v[123:124]
	v_fma_f64 v[129:130], v[119:120], v[129:130], v[196:197]
	v_add_f64 v[125:126], v[125:126], v[179:180]
	v_add_f64 v[121:122], v[121:122], v[137:138]
	s_clause 0x4
	buffer_load_dword v138, off, s[0:3], 0 offset:764
	buffer_load_dword v179, off, s[0:3], 0 offset:776
	;; [unrolled: 1-line block ×5, first 2 shown]
	ds_read_b128 v[117:120], v178 offset:1392
	s_waitcnt vmcnt(57) lgkmcnt(1)
	v_mul_f64 v[198:199], v[5:6], v[127:128]
	v_mul_f64 v[127:128], v[7:8], v[127:128]
	s_waitcnt vmcnt(56)
	v_fma_f64 v[141:142], v[1:2], v[193:194], -v[141:142]
	v_add_f64 v[123:124], v[125:126], v[123:124]
	v_fma_f64 v[125:126], v[3:4], v[193:194], v[185:186]
	v_add_f64 v[121:122], v[121:122], v[129:130]
	s_clause 0x2
	buffer_load_dword v180, off, s[0:3], 0 offset:780
	buffer_load_dword v130, off, s[0:3], 0 offset:756
	;; [unrolled: 1-line block ×3, first 2 shown]
	s_waitcnt vmcnt(58) lgkmcnt(0)
	v_mul_f64 v[185:186], v[117:118], v[149:150]
	v_mul_f64 v[149:150], v[119:120], v[149:150]
	ds_read_b128 v[1:4], v178 offset:1408
	s_waitcnt vmcnt(56)
	v_fma_f64 v[127:128], v[5:6], v[135:136], -v[127:128]
	v_fma_f64 v[135:136], v[7:8], v[135:136], v[198:199]
	v_add_f64 v[123:124], v[123:124], v[141:142]
	v_add_f64 v[121:122], v[121:122], v[125:126]
	s_clause 0x4
	buffer_load_dword v126, off, s[0:3], 0 offset:796
	buffer_load_dword v141, off, s[0:3], 0 offset:808
	buffer_load_dword v193, off, s[0:3], 0 offset:800
	buffer_load_dword v125, off, s[0:3], 0 offset:792
	buffer_load_dword v198, off, s[0:3], 0 offset:772
	ds_read_b128 v[5:8], v178 offset:1424
	s_waitcnt vmcnt(57) lgkmcnt(1)
	v_mul_f64 v[199:200], v[1:2], v[133:134]
	v_mul_f64 v[133:134], v[3:4], v[133:134]
	s_waitcnt vmcnt(56)
	v_fma_f64 v[149:150], v[117:118], v[173:174], -v[149:150]
	v_add_f64 v[123:124], v[123:124], v[127:128]
	v_fma_f64 v[127:128], v[119:120], v[173:174], v[185:186]
	v_add_f64 v[121:122], v[121:122], v[135:136]
	s_clause 0x2
	buffer_load_dword v142, off, s[0:3], 0 offset:812
	buffer_load_dword v136, off, s[0:3], 0 offset:788
	;; [unrolled: 1-line block ×3, first 2 shown]
	s_waitcnt vmcnt(58) lgkmcnt(0)
	v_mul_f64 v[173:174], v[5:6], v[155:156]
	v_mul_f64 v[155:156], v[7:8], v[155:156]
	ds_read_b128 v[117:120], v178 offset:1440
	s_waitcnt vmcnt(56)
	v_fma_f64 v[133:134], v[1:2], v[145:146], -v[133:134]
	v_fma_f64 v[145:146], v[3:4], v[145:146], v[199:200]
	v_add_f64 v[123:124], v[123:124], v[149:150]
	v_add_f64 v[121:122], v[121:122], v[127:128]
	s_clause 0x4
	buffer_load_dword v128, off, s[0:3], 0 offset:828
	buffer_load_dword v149, off, s[0:3], 0 offset:840
	;; [unrolled: 1-line block ×5, first 2 shown]
	ds_read_b128 v[1:4], v178 offset:1456
	s_waitcnt vmcnt(57) lgkmcnt(1)
	v_mul_f64 v[199:200], v[117:118], v[139:140]
	v_mul_f64 v[139:140], v[119:120], v[139:140]
	s_waitcnt vmcnt(56)
	v_fma_f64 v[155:156], v[5:6], v[157:158], -v[155:156]
	v_add_f64 v[123:124], v[123:124], v[133:134]
	v_fma_f64 v[133:134], v[7:8], v[157:158], v[173:174]
	v_add_f64 v[121:122], v[121:122], v[145:146]
	s_clause 0x2
	buffer_load_dword v150, off, s[0:3], 0 offset:844
	buffer_load_dword v146, off, s[0:3], 0 offset:820
	;; [unrolled: 1-line block ×3, first 2 shown]
	ds_read_b128 v[5:8], v178 offset:1472
	s_waitcnt vmcnt(58) lgkmcnt(1)
	v_mul_f64 v[157:158], v[1:2], v[163:164]
	v_mul_f64 v[163:164], v[3:4], v[163:164]
	s_waitcnt vmcnt(56)
	v_fma_f64 v[139:140], v[117:118], v[143:144], -v[139:140]
	v_fma_f64 v[143:144], v[119:120], v[143:144], v[199:200]
	v_add_f64 v[123:124], v[123:124], v[155:156]
	v_add_f64 v[121:122], v[121:122], v[133:134]
	s_clause 0x4
	buffer_load_dword v134, off, s[0:3], 0 offset:860
	buffer_load_dword v155, off, s[0:3], 0 offset:872
	;; [unrolled: 1-line block ×5, first 2 shown]
	ds_read_b128 v[117:120], v178 offset:1488
	s_waitcnt vmcnt(57) lgkmcnt(1)
	v_mul_f64 v[199:200], v[5:6], v[147:148]
	v_mul_f64 v[147:148], v[7:8], v[147:148]
	s_waitcnt vmcnt(56)
	v_fma_f64 v[163:164], v[1:2], v[165:166], -v[163:164]
	v_add_f64 v[123:124], v[123:124], v[139:140]
	v_fma_f64 v[139:140], v[3:4], v[165:166], v[157:158]
	v_add_f64 v[121:122], v[121:122], v[143:144]
	s_clause 0x2
	buffer_load_dword v156, off, s[0:3], 0 offset:876
	buffer_load_dword v144, off, s[0:3], 0 offset:852
	;; [unrolled: 1-line block ×3, first 2 shown]
	ds_read_b128 v[1:4], v178 offset:1504
	buffer_load_dword v174, off, s[0:3], 0 offset:868
	s_waitcnt vmcnt(59) lgkmcnt(1)
	v_mul_f64 v[165:166], v[119:120], v[169:170]
	v_mul_f64 v[157:158], v[117:118], v[169:170]
	s_waitcnt vmcnt(57)
	v_fma_f64 v[147:148], v[5:6], v[151:152], -v[147:148]
	v_fma_f64 v[151:152], v[7:8], v[151:152], v[199:200]
	ds_read_b128 v[5:8], v178 offset:1520
	v_add_f64 v[123:124], v[123:124], v[163:164]
	v_add_f64 v[121:122], v[121:122], v[139:140]
	s_waitcnt vmcnt(53) lgkmcnt(1)
	v_mul_f64 v[139:140], v[1:2], v[153:154]
	v_mul_f64 v[153:154], v[3:4], v[153:154]
	s_waitcnt vmcnt(52)
	v_fma_f64 v[163:164], v[117:118], v[171:172], -v[165:166]
	v_add_f64 v[123:124], v[123:124], v[147:148]
	v_fma_f64 v[147:148], v[119:120], v[171:172], v[157:158]
	v_add_f64 v[121:122], v[121:122], v[151:152]
	ds_read_b128 v[117:120], v178 offset:1536
	s_waitcnt vmcnt(51) lgkmcnt(1)
	v_mul_f64 v[157:158], v[7:8], v[175:176]
	v_mul_f64 v[151:152], v[5:6], v[175:176]
	s_waitcnt vmcnt(49)
	v_fma_f64 v[153:154], v[1:2], v[159:160], -v[153:154]
	v_fma_f64 v[139:140], v[3:4], v[159:160], v[139:140]
	v_add_f64 v[123:124], v[123:124], v[163:164]
	v_add_f64 v[121:122], v[121:122], v[147:148]
	s_clause 0x3
	buffer_load_dword v147, off, s[0:3], 0 offset:144
	buffer_load_dword v148, off, s[0:3], 0 offset:148
	;; [unrolled: 1-line block ×4, first 2 shown]
	ds_read_b128 v[1:4], v178 offset:1552
	s_waitcnt vmcnt(49) lgkmcnt(1)
	v_mul_f64 v[163:164], v[117:118], v[161:162]
	v_mul_f64 v[161:162], v[119:120], v[161:162]
	s_waitcnt vmcnt(48)
	v_fma_f64 v[157:158], v[5:6], v[187:188], -v[157:158]
	v_fma_f64 v[151:152], v[7:8], v[187:188], v[151:152]
	ds_read_b128 v[5:8], v178 offset:1568
	v_add_f64 v[123:124], v[123:124], v[153:154]
	v_add_f64 v[121:122], v[121:122], v[139:140]
	s_waitcnt vmcnt(47) lgkmcnt(1)
	v_mul_f64 v[153:154], v[3:4], v[181:182]
	v_mul_f64 v[139:140], v[1:2], v[181:182]
	s_waitcnt vmcnt(45)
	v_fma_f64 v[161:162], v[117:118], v[167:168], -v[161:162]
	v_add_f64 v[123:124], v[123:124], v[157:158]
	v_fma_f64 v[157:158], v[119:120], v[167:168], v[163:164]
	v_add_f64 v[121:122], v[121:122], v[151:152]
	ds_read_b128 v[117:120], v178 offset:1584
	s_waitcnt vmcnt(41) lgkmcnt(1)
	v_mul_f64 v[163:164], v[7:8], v[183:184]
	s_waitcnt vmcnt(40)
	v_fma_f64 v[153:154], v[1:2], v[191:192], -v[153:154]
	v_mul_f64 v[151:152], v[5:6], v[183:184]
	v_fma_f64 v[139:140], v[3:4], v[191:192], v[139:140]
	ds_read_b128 v[1:4], v178 offset:1600
	v_add_f64 v[123:124], v[123:124], v[161:162]
	v_add_f64 v[121:122], v[121:122], v[157:158]
	s_waitcnt vmcnt(39) lgkmcnt(1)
	v_mul_f64 v[161:162], v[119:120], v[189:190]
	v_mul_f64 v[157:158], v[117:118], v[189:190]
	s_waitcnt vmcnt(37)
	v_fma_f64 v[163:164], v[5:6], v[131:132], -v[163:164]
	v_fma_f64 v[131:132], v[7:8], v[131:132], v[151:152]
	ds_read_b128 v[5:8], v178 offset:1616
	v_add_f64 v[123:124], v[123:124], v[153:154]
	v_add_f64 v[121:122], v[121:122], v[139:140]
	s_waitcnt vmcnt(33) lgkmcnt(1)
	v_mul_f64 v[139:140], v[1:2], v[137:138]
	v_mul_f64 v[137:138], v[3:4], v[137:138]
	s_waitcnt vmcnt(32)
	v_fma_f64 v[151:152], v[117:118], v[195:196], -v[161:162]
	;; [unrolled: 9-line block ×6, first 2 shown]
	v_add_f64 v[123:124], v[123:124], v[125:126]
	v_fma_f64 v[125:126], v[3:4], v[193:194], v[129:130]
	v_add_f64 v[121:122], v[121:122], v[135:136]
	ds_read_b128 v[1:4], v178 offset:1696
	s_waitcnt vmcnt(15) lgkmcnt(1)
	v_mul_f64 v[135:136], v[119:120], v[149:150]
	v_mul_f64 v[129:130], v[117:118], v[149:150]
	s_waitcnt vmcnt(13)
	v_fma_f64 v[127:128], v[5:6], v[145:146], -v[127:128]
	v_fma_f64 v[131:132], v[7:8], v[145:146], v[131:132]
	ds_read_b128 v[5:8], v178 offset:1712
	v_add_f64 v[123:124], v[123:124], v[137:138]
	v_add_f64 v[121:122], v[121:122], v[125:126]
	s_waitcnt vmcnt(9) lgkmcnt(1)
	v_mul_f64 v[125:126], v[1:2], v[133:134]
	v_mul_f64 v[133:134], v[3:4], v[133:134]
	s_waitcnt vmcnt(8)
	v_fma_f64 v[117:118], v[117:118], v[185:186], -v[135:136]
	v_fma_f64 v[119:120], v[119:120], v[185:186], v[129:130]
	v_add_f64 v[123:124], v[123:124], v[127:128]
	v_add_f64 v[121:122], v[121:122], v[131:132]
	s_waitcnt vmcnt(7) lgkmcnt(0)
	v_mul_f64 v[129:130], v[7:8], v[155:156]
	v_mul_f64 v[127:128], v[5:6], v[155:156]
	s_waitcnt vmcnt(5)
	v_fma_f64 v[1:2], v[1:2], v[143:144], -v[133:134]
	v_fma_f64 v[3:4], v[3:4], v[143:144], v[125:126]
	v_add_f64 v[117:118], v[123:124], v[117:118]
	v_add_f64 v[119:120], v[121:122], v[119:120]
	s_waitcnt vmcnt(4)
	v_fma_f64 v[5:6], v[5:6], v[173:174], -v[129:130]
	v_fma_f64 v[7:8], v[7:8], v[173:174], v[127:128]
	v_add_f64 v[1:2], v[117:118], v[1:2]
	v_add_f64 v[3:4], v[119:120], v[3:4]
	;; [unrolled: 1-line block ×4, first 2 shown]
	s_waitcnt vmcnt(2)
	v_add_f64 v[1:2], v[147:148], -v[1:2]
	s_waitcnt vmcnt(0)
	v_add_f64 v[3:4], v[159:160], -v[3:4]
	buffer_store_dword v2, off, s[0:3], 0 offset:148
	buffer_store_dword v1, off, s[0:3], 0 offset:144
	;; [unrolled: 1-line block ×4, first 2 shown]
	v_cmpx_lt_u32_e32 7, v0
	s_cbranch_execz .LBB117_323
; %bb.322:
	v_mov_b32_e32 v4, s59
	s_clause 0x3
	buffer_load_dword v1, v4, s[0:3], 0 offen
	buffer_load_dword v2, v4, s[0:3], 0 offen offset:4
	buffer_load_dword v3, v4, s[0:3], 0 offen offset:8
	;; [unrolled: 1-line block ×3, first 2 shown]
	buffer_store_dword v178, off, s[0:3], 0 offset:128
	buffer_store_dword v178, off, s[0:3], 0 offset:132
	;; [unrolled: 1-line block ×4, first 2 shown]
	s_waitcnt vmcnt(0)
	ds_write_b128 v177, v[1:4]
.LBB117_323:
	s_or_b32 exec_lo, exec_lo, s4
	s_waitcnt lgkmcnt(0)
	s_waitcnt_vscnt null, 0x0
	s_barrier
	buffer_gl0_inv
	s_clause 0x37
	buffer_load_dword v125, off, s[0:3], 0 offset:152
	buffer_load_dword v126, off, s[0:3], 0 offset:156
	;; [unrolled: 1-line block ×56, first 2 shown]
	ds_read_b128 v[5:8], v178 offset:992
	s_clause 0x2
	buffer_load_dword v174, off, s[0:3], 0 offset:380
	buffer_load_dword v176, off, s[0:3], 0 offset:356
	;; [unrolled: 1-line block ×3, first 2 shown]
	ds_read_b128 v[1:4], v178 offset:1008
	s_clause 0x4
	buffer_load_dword v186, off, s[0:3], 0 offset:396
	buffer_load_dword v187, off, s[0:3], 0 offset:408
	;; [unrolled: 1-line block ×5, first 2 shown]
	ds_read_b128 v[179:182], v178 offset:1024
	s_mov_b32 s4, exec_lo
	s_waitcnt vmcnt(62) lgkmcnt(2)
	v_mul_f64 v[183:184], v[7:8], v[125:126]
	v_mul_f64 v[125:126], v[5:6], v[125:126]
	s_waitcnt vmcnt(60) lgkmcnt(1)
	v_mul_f64 v[190:191], v[3:4], v[121:122]
	v_mul_f64 v[121:122], v[1:2], v[121:122]
	;; [unrolled: 3-line block ×3, first 2 shown]
	v_fma_f64 v[183:184], v[5:6], v[123:124], -v[183:184]
	v_fma_f64 v[123:124], v[7:8], v[123:124], v[125:126]
	s_clause 0x2
	buffer_load_dword v188, off, s[0:3], 0 offset:412
	buffer_load_dword v126, off, s[0:3], 0 offset:388
	;; [unrolled: 1-line block ×3, first 2 shown]
	s_waitcnt vmcnt(57)
	v_fma_f64 v[194:195], v[1:2], v[117:118], -v[190:191]
	ds_read_b128 v[5:8], v178 offset:1040
	v_fma_f64 v[117:118], v[3:4], v[117:118], v[121:122]
	s_waitcnt vmcnt(51)
	v_fma_f64 v[179:180], v[179:180], v[141:142], -v[119:120]
	v_fma_f64 v[141:142], v[181:182], v[141:142], v[192:193]
	v_add_f64 v[183:184], v[183:184], 0
	v_add_f64 v[121:122], v[123:124], 0
	s_clause 0x4
	buffer_load_dword v124, off, s[0:3], 0 offset:428
	buffer_load_dword v191, off, s[0:3], 0 offset:440
	;; [unrolled: 1-line block ×5, first 2 shown]
	s_waitcnt lgkmcnt(0)
	v_mul_f64 v[197:198], v[5:6], v[129:130]
	v_mul_f64 v[129:130], v[7:8], v[129:130]
	ds_read_b128 v[1:4], v178 offset:1056
	s_clause 0x2
	buffer_load_dword v192, off, s[0:3], 0 offset:444
	buffer_load_dword v182, off, s[0:3], 0 offset:420
	;; [unrolled: 1-line block ×3, first 2 shown]
	v_add_f64 v[183:184], v[183:184], v[194:195]
	v_add_f64 v[121:122], v[121:122], v[117:118]
	ds_read_b128 v[117:120], v178 offset:1072
	s_waitcnt vmcnt(58) lgkmcnt(1)
	v_mul_f64 v[193:194], v[1:2], v[133:134]
	v_mul_f64 v[133:134], v[3:4], v[133:134]
	s_waitcnt vmcnt(56)
	v_fma_f64 v[129:130], v[5:6], v[135:136], -v[129:130]
	v_fma_f64 v[135:136], v[7:8], v[135:136], v[197:198]
	s_waitcnt vmcnt(52) lgkmcnt(0)
	v_mul_f64 v[199:200], v[117:118], v[137:138]
	v_add_f64 v[179:180], v[183:184], v[179:180]
	v_add_f64 v[121:122], v[121:122], v[141:142]
	s_clause 0x4
	buffer_load_dword v142, off, s[0:3], 0 offset:460
	buffer_load_dword v183, off, s[0:3], 0 offset:472
	buffer_load_dword v198, off, s[0:3], 0 offset:464
	buffer_load_dword v141, off, s[0:3], 0 offset:456
	buffer_load_dword v197, off, s[0:3], 0 offset:436
	v_mul_f64 v[137:138], v[119:120], v[137:138]
	s_waitcnt vmcnt(56)
	v_fma_f64 v[133:134], v[1:2], v[127:128], -v[133:134]
	ds_read_b128 v[5:8], v178 offset:1088
	v_fma_f64 v[127:128], v[3:4], v[127:128], v[193:194]
	v_add_f64 v[129:130], v[179:180], v[129:130]
	v_add_f64 v[121:122], v[121:122], v[135:136]
	s_clause 0x2
	buffer_load_dword v184, off, s[0:3], 0 offset:476
	buffer_load_dword v136, off, s[0:3], 0 offset:452
	;; [unrolled: 1-line block ×3, first 2 shown]
	s_waitcnt vmcnt(58) lgkmcnt(0)
	v_mul_f64 v[179:180], v[5:6], v[143:144]
	v_mul_f64 v[143:144], v[7:8], v[143:144]
	s_waitcnt vmcnt(56)
	v_fma_f64 v[137:138], v[117:118], v[145:146], -v[137:138]
	ds_read_b128 v[1:4], v178 offset:1104
	v_add_f64 v[129:130], v[129:130], v[133:134]
	v_fma_f64 v[133:134], v[119:120], v[145:146], v[199:200]
	v_add_f64 v[121:122], v[121:122], v[127:128]
	s_clause 0x4
	buffer_load_dword v128, off, s[0:3], 0 offset:492
	buffer_load_dword v145, off, s[0:3], 0 offset:504
	;; [unrolled: 1-line block ×5, first 2 shown]
	s_waitcnt vmcnt(57) lgkmcnt(0)
	v_mul_f64 v[194:195], v[1:2], v[147:148]
	v_mul_f64 v[147:148], v[3:4], v[147:148]
	s_waitcnt vmcnt(56)
	v_fma_f64 v[143:144], v[5:6], v[131:132], -v[143:144]
	ds_read_b128 v[117:120], v178 offset:1120
	v_fma_f64 v[131:132], v[7:8], v[131:132], v[179:180]
	v_add_f64 v[129:130], v[129:130], v[137:138]
	v_add_f64 v[121:122], v[121:122], v[133:134]
	s_clause 0x2
	buffer_load_dword v146, off, s[0:3], 0 offset:508
	buffer_load_dword v134, off, s[0:3], 0 offset:484
	;; [unrolled: 1-line block ×3, first 2 shown]
	ds_read_b128 v[5:8], v178 offset:1136
	s_waitcnt vmcnt(58) lgkmcnt(1)
	v_mul_f64 v[137:138], v[117:118], v[151:152]
	v_mul_f64 v[151:152], v[119:120], v[151:152]
	s_waitcnt vmcnt(56)
	v_fma_f64 v[147:148], v[1:2], v[153:154], -v[147:148]
	v_add_f64 v[129:130], v[129:130], v[143:144]
	v_fma_f64 v[143:144], v[3:4], v[153:154], v[194:195]
	v_add_f64 v[121:122], v[121:122], v[131:132]
	s_clause 0x4
	buffer_load_dword v132, off, s[0:3], 0 offset:524
	buffer_load_dword v153, off, s[0:3], 0 offset:536
	;; [unrolled: 1-line block ×5, first 2 shown]
	s_waitcnt vmcnt(57) lgkmcnt(0)
	v_mul_f64 v[200:201], v[5:6], v[155:156]
	v_mul_f64 v[155:156], v[7:8], v[155:156]
	s_waitcnt vmcnt(56)
	v_fma_f64 v[151:152], v[117:118], v[139:140], -v[151:152]
	ds_read_b128 v[1:4], v178 offset:1152
	v_fma_f64 v[137:138], v[119:120], v[139:140], v[137:138]
	s_clause 0x2
	buffer_load_dword v154, off, s[0:3], 0 offset:540
	buffer_load_dword v140, off, s[0:3], 0 offset:516
	;; [unrolled: 1-line block ×3, first 2 shown]
	ds_read_b128 v[117:120], v178 offset:1168
	v_add_f64 v[129:130], v[129:130], v[147:148]
	v_add_f64 v[121:122], v[121:122], v[143:144]
	s_waitcnt vmcnt(58) lgkmcnt(1)
	v_mul_f64 v[147:148], v[3:4], v[159:160]
	s_waitcnt vmcnt(56)
	v_fma_f64 v[155:156], v[5:6], v[161:162], -v[155:156]
	v_mul_f64 v[143:144], v[1:2], v[159:160]
	v_add_f64 v[129:130], v[129:130], v[151:152]
	v_fma_f64 v[151:152], v[7:8], v[161:162], v[200:201]
	v_add_f64 v[121:122], v[121:122], v[137:138]
	s_clause 0x4
	buffer_load_dword v138, off, s[0:3], 0 offset:556
	buffer_load_dword v159, off, s[0:3], 0 offset:568
	;; [unrolled: 1-line block ×5, first 2 shown]
	s_waitcnt vmcnt(57) lgkmcnt(0)
	v_mul_f64 v[200:201], v[117:118], v[163:164]
	v_mul_f64 v[162:163], v[119:120], v[163:164]
	s_waitcnt vmcnt(56)
	v_fma_f64 v[147:148], v[1:2], v[149:150], -v[147:148]
	ds_read_b128 v[5:8], v178 offset:1184
	v_fma_f64 v[143:144], v[3:4], v[149:150], v[143:144]
	s_clause 0x2
	buffer_load_dword v160, off, s[0:3], 0 offset:572
	buffer_load_dword v150, off, s[0:3], 0 offset:548
	;; [unrolled: 1-line block ×3, first 2 shown]
	ds_read_b128 v[1:4], v178 offset:1200
	v_add_f64 v[129:130], v[129:130], v[155:156]
	v_add_f64 v[121:122], v[121:122], v[151:152]
	s_waitcnt vmcnt(58) lgkmcnt(1)
	v_mul_f64 v[155:156], v[7:8], v[167:168]
	s_waitcnt vmcnt(56)
	v_fma_f64 v[163:164], v[117:118], v[169:170], -v[162:163]
	v_mul_f64 v[151:152], v[5:6], v[167:168]
	v_add_f64 v[129:130], v[129:130], v[147:148]
	v_fma_f64 v[147:148], v[119:120], v[169:170], v[200:201]
	v_add_f64 v[121:122], v[121:122], v[143:144]
	s_clause 0x4
	buffer_load_dword v144, off, s[0:3], 0 offset:588
	buffer_load_dword v167, off, s[0:3], 0 offset:600
	;; [unrolled: 1-line block ×5, first 2 shown]
	s_waitcnt vmcnt(57) lgkmcnt(0)
	v_mul_f64 v[200:201], v[1:2], v[171:172]
	v_mul_f64 v[170:171], v[3:4], v[171:172]
	s_waitcnt vmcnt(56)
	v_fma_f64 v[155:156], v[5:6], v[157:158], -v[155:156]
	ds_read_b128 v[117:120], v178 offset:1216
	v_fma_f64 v[151:152], v[7:8], v[157:158], v[151:152]
	v_add_f64 v[129:130], v[129:130], v[163:164]
	v_add_f64 v[121:122], v[121:122], v[147:148]
	s_clause 0x2
	buffer_load_dword v168, off, s[0:3], 0 offset:604
	buffer_load_dword v148, off, s[0:3], 0 offset:580
	;; [unrolled: 1-line block ×3, first 2 shown]
	ds_read_b128 v[5:8], v178 offset:1232
	s_waitcnt vmcnt(58) lgkmcnt(1)
	v_mul_f64 v[163:164], v[119:120], v[173:174]
	s_waitcnt vmcnt(56)
	v_fma_f64 v[171:172], v[1:2], v[175:176], -v[170:171]
	v_mul_f64 v[157:158], v[117:118], v[173:174]
	v_add_f64 v[129:130], v[129:130], v[155:156]
	v_fma_f64 v[155:156], v[3:4], v[175:176], v[200:201]
	v_add_f64 v[121:122], v[121:122], v[151:152]
	s_clause 0x4
	buffer_load_dword v152, off, s[0:3], 0 offset:620
	buffer_load_dword v173, off, s[0:3], 0 offset:632
	;; [unrolled: 1-line block ×5, first 2 shown]
	s_waitcnt vmcnt(57) lgkmcnt(0)
	v_mul_f64 v[200:201], v[5:6], v[185:186]
	v_mul_f64 v[185:186], v[7:8], v[185:186]
	s_waitcnt vmcnt(56)
	v_fma_f64 v[163:164], v[117:118], v[165:166], -v[163:164]
	ds_read_b128 v[1:4], v178 offset:1248
	v_fma_f64 v[157:158], v[119:120], v[165:166], v[157:158]
	v_add_f64 v[129:130], v[129:130], v[171:172]
	v_add_f64 v[121:122], v[121:122], v[155:156]
	s_clause 0x2
	buffer_load_dword v174, off, s[0:3], 0 offset:636
	buffer_load_dword v156, off, s[0:3], 0 offset:612
	;; [unrolled: 1-line block ×3, first 2 shown]
	ds_read_b128 v[117:120], v178 offset:1264
	s_waitcnt vmcnt(58) lgkmcnt(1)
	v_mul_f64 v[171:172], v[3:4], v[187:188]
	v_mul_f64 v[165:166], v[1:2], v[187:188]
	s_waitcnt vmcnt(56)
	v_fma_f64 v[185:186], v[5:6], v[125:126], -v[185:186]
	v_fma_f64 v[125:126], v[7:8], v[125:126], v[200:201]
	v_add_f64 v[129:130], v[129:130], v[163:164]
	v_add_f64 v[121:122], v[121:122], v[157:158]
	s_clause 0x4
	buffer_load_dword v158, off, s[0:3], 0 offset:652
	buffer_load_dword v163, off, s[0:3], 0 offset:664
	;; [unrolled: 1-line block ×5, first 2 shown]
	ds_read_b128 v[5:8], v178 offset:1280
	s_waitcnt vmcnt(57) lgkmcnt(1)
	v_mul_f64 v[200:201], v[117:118], v[123:124]
	v_mul_f64 v[123:124], v[119:120], v[123:124]
	s_waitcnt vmcnt(56)
	v_fma_f64 v[171:172], v[1:2], v[189:190], -v[171:172]
	v_fma_f64 v[165:166], v[3:4], v[189:190], v[165:166]
	v_add_f64 v[129:130], v[129:130], v[185:186]
	v_add_f64 v[121:122], v[121:122], v[125:126]
	s_clause 0x2
	buffer_load_dword v164, off, s[0:3], 0 offset:668
	buffer_load_dword v126, off, s[0:3], 0 offset:644
	;; [unrolled: 1-line block ×3, first 2 shown]
	s_waitcnt vmcnt(58) lgkmcnt(0)
	v_mul_f64 v[189:190], v[7:8], v[191:192]
	ds_read_b128 v[1:4], v178 offset:1296
	v_mul_f64 v[185:186], v[5:6], v[191:192]
	s_waitcnt vmcnt(56)
	v_fma_f64 v[123:124], v[117:118], v[181:182], -v[123:124]
	v_add_f64 v[129:130], v[129:130], v[171:172]
	v_fma_f64 v[171:172], v[119:120], v[181:182], v[200:201]
	v_add_f64 v[121:122], v[121:122], v[165:166]
	s_clause 0x4
	buffer_load_dword v166, off, s[0:3], 0 offset:684
	buffer_load_dword v181, off, s[0:3], 0 offset:696
	;; [unrolled: 1-line block ×5, first 2 shown]
	ds_read_b128 v[117:120], v178 offset:1312
	s_waitcnt vmcnt(57) lgkmcnt(1)
	v_mul_f64 v[200:201], v[1:2], v[141:142]
	v_mul_f64 v[141:142], v[3:4], v[141:142]
	s_waitcnt vmcnt(56)
	v_fma_f64 v[189:190], v[5:6], v[196:197], -v[189:190]
	v_add_f64 v[123:124], v[129:130], v[123:124]
	v_fma_f64 v[129:130], v[7:8], v[196:197], v[185:186]
	v_add_f64 v[121:122], v[121:122], v[171:172]
	s_clause 0x2
	buffer_load_dword v182, off, s[0:3], 0 offset:700
	buffer_load_dword v172, off, s[0:3], 0 offset:676
	;; [unrolled: 1-line block ×3, first 2 shown]
	ds_read_b128 v[5:8], v178 offset:1328
	s_waitcnt vmcnt(58) lgkmcnt(1)
	v_mul_f64 v[185:186], v[117:118], v[183:184]
	v_mul_f64 v[183:184], v[119:120], v[183:184]
	s_waitcnt vmcnt(56)
	v_fma_f64 v[141:142], v[1:2], v[135:136], -v[141:142]
	v_fma_f64 v[135:136], v[3:4], v[135:136], v[200:201]
	v_add_f64 v[123:124], v[123:124], v[189:190]
	v_add_f64 v[121:122], v[121:122], v[129:130]
	s_clause 0x4
	buffer_load_dword v130, off, s[0:3], 0 offset:716
	buffer_load_dword v189, off, s[0:3], 0 offset:728
	;; [unrolled: 1-line block ×5, first 2 shown]
	ds_read_b128 v[1:4], v178 offset:1344
	s_waitcnt vmcnt(57) lgkmcnt(1)
	v_mul_f64 v[196:197], v[5:6], v[127:128]
	v_mul_f64 v[127:128], v[7:8], v[127:128]
	s_waitcnt vmcnt(56)
	v_fma_f64 v[183:184], v[117:118], v[198:199], -v[183:184]
	v_add_f64 v[123:124], v[123:124], v[141:142]
	v_fma_f64 v[141:142], v[119:120], v[198:199], v[185:186]
	v_add_f64 v[121:122], v[121:122], v[135:136]
	s_clause 0x2
	buffer_load_dword v190, off, s[0:3], 0 offset:732
	buffer_load_dword v136, off, s[0:3], 0 offset:708
	;; [unrolled: 1-line block ×3, first 2 shown]
	ds_read_b128 v[117:120], v178 offset:1360
	s_waitcnt vmcnt(58) lgkmcnt(1)
	v_mul_f64 v[185:186], v[1:2], v[145:146]
	v_mul_f64 v[145:146], v[3:4], v[145:146]
	s_waitcnt vmcnt(56)
	v_fma_f64 v[127:128], v[5:6], v[133:134], -v[127:128]
	v_fma_f64 v[133:134], v[7:8], v[133:134], v[196:197]
	v_add_f64 v[123:124], v[123:124], v[183:184]
	v_add_f64 v[121:122], v[121:122], v[141:142]
	s_clause 0x4
	buffer_load_dword v142, off, s[0:3], 0 offset:748
	buffer_load_dword v183, off, s[0:3], 0 offset:760
	;; [unrolled: 1-line block ×5, first 2 shown]
	ds_read_b128 v[5:8], v178 offset:1376
	s_waitcnt vmcnt(57) lgkmcnt(1)
	v_mul_f64 v[198:199], v[117:118], v[131:132]
	v_mul_f64 v[131:132], v[119:120], v[131:132]
	s_waitcnt vmcnt(56)
	v_fma_f64 v[145:146], v[1:2], v[193:194], -v[145:146]
	v_add_f64 v[123:124], v[123:124], v[127:128]
	v_fma_f64 v[127:128], v[3:4], v[193:194], v[185:186]
	v_add_f64 v[121:122], v[121:122], v[133:134]
	s_clause 0x2
	buffer_load_dword v184, off, s[0:3], 0 offset:764
	buffer_load_dword v134, off, s[0:3], 0 offset:740
	;; [unrolled: 1-line block ×3, first 2 shown]
	s_waitcnt vmcnt(58) lgkmcnt(0)
	v_mul_f64 v[185:186], v[5:6], v[153:154]
	v_mul_f64 v[153:154], v[7:8], v[153:154]
	ds_read_b128 v[1:4], v178 offset:1392
	s_waitcnt vmcnt(56)
	v_fma_f64 v[131:132], v[117:118], v[139:140], -v[131:132]
	v_fma_f64 v[139:140], v[119:120], v[139:140], v[198:199]
	v_add_f64 v[123:124], v[123:124], v[145:146]
	v_add_f64 v[121:122], v[121:122], v[127:128]
	s_clause 0x4
	buffer_load_dword v128, off, s[0:3], 0 offset:780
	buffer_load_dword v145, off, s[0:3], 0 offset:792
	;; [unrolled: 1-line block ×5, first 2 shown]
	ds_read_b128 v[117:120], v178 offset:1408
	s_waitcnt vmcnt(57) lgkmcnt(1)
	v_mul_f64 v[199:200], v[1:2], v[137:138]
	v_mul_f64 v[137:138], v[3:4], v[137:138]
	s_waitcnt vmcnt(56)
	v_fma_f64 v[153:154], v[5:6], v[179:180], -v[153:154]
	v_add_f64 v[123:124], v[123:124], v[131:132]
	v_fma_f64 v[131:132], v[7:8], v[179:180], v[185:186]
	v_add_f64 v[121:122], v[121:122], v[139:140]
	s_clause 0x2
	buffer_load_dword v146, off, s[0:3], 0 offset:796
	buffer_load_dword v140, off, s[0:3], 0 offset:772
	;; [unrolled: 1-line block ×3, first 2 shown]
	s_waitcnt vmcnt(58) lgkmcnt(0)
	v_mul_f64 v[179:180], v[117:118], v[159:160]
	v_mul_f64 v[159:160], v[119:120], v[159:160]
	ds_read_b128 v[5:8], v178 offset:1424
	s_waitcnt vmcnt(56)
	v_fma_f64 v[137:138], v[1:2], v[149:150], -v[137:138]
	v_fma_f64 v[149:150], v[3:4], v[149:150], v[199:200]
	v_add_f64 v[123:124], v[123:124], v[153:154]
	v_add_f64 v[121:122], v[121:122], v[131:132]
	s_clause 0x4
	buffer_load_dword v132, off, s[0:3], 0 offset:812
	buffer_load_dword v153, off, s[0:3], 0 offset:824
	;; [unrolled: 1-line block ×5, first 2 shown]
	ds_read_b128 v[1:4], v178 offset:1440
	s_waitcnt vmcnt(57) lgkmcnt(1)
	v_mul_f64 v[199:200], v[5:6], v[143:144]
	v_mul_f64 v[143:144], v[7:8], v[143:144]
	s_waitcnt vmcnt(56)
	v_fma_f64 v[159:160], v[117:118], v[161:162], -v[159:160]
	v_add_f64 v[123:124], v[123:124], v[137:138]
	v_fma_f64 v[137:138], v[119:120], v[161:162], v[179:180]
	v_add_f64 v[121:122], v[121:122], v[149:150]
	s_clause 0x2
	buffer_load_dword v154, off, s[0:3], 0 offset:828
	buffer_load_dword v150, off, s[0:3], 0 offset:804
	;; [unrolled: 1-line block ×3, first 2 shown]
	ds_read_b128 v[117:120], v178 offset:1456
	s_waitcnt vmcnt(58) lgkmcnt(1)
	v_mul_f64 v[161:162], v[1:2], v[167:168]
	v_mul_f64 v[167:168], v[3:4], v[167:168]
	s_waitcnt vmcnt(56)
	v_fma_f64 v[143:144], v[5:6], v[147:148], -v[143:144]
	v_fma_f64 v[147:148], v[7:8], v[147:148], v[199:200]
	v_add_f64 v[123:124], v[123:124], v[159:160]
	v_add_f64 v[121:122], v[121:122], v[137:138]
	s_clause 0x4
	buffer_load_dword v138, off, s[0:3], 0 offset:844
	buffer_load_dword v159, off, s[0:3], 0 offset:856
	;; [unrolled: 1-line block ×5, first 2 shown]
	ds_read_b128 v[5:8], v178 offset:1472
	s_waitcnt vmcnt(57) lgkmcnt(1)
	v_mul_f64 v[199:200], v[117:118], v[151:152]
	v_mul_f64 v[151:152], v[119:120], v[151:152]
	s_waitcnt vmcnt(56)
	v_fma_f64 v[167:168], v[1:2], v[169:170], -v[167:168]
	v_add_f64 v[123:124], v[123:124], v[143:144]
	v_fma_f64 v[143:144], v[3:4], v[169:170], v[161:162]
	v_add_f64 v[121:122], v[121:122], v[147:148]
	s_clause 0x2
	buffer_load_dword v160, off, s[0:3], 0 offset:860
	buffer_load_dword v148, off, s[0:3], 0 offset:836
	;; [unrolled: 1-line block ×3, first 2 shown]
	ds_read_b128 v[1:4], v178 offset:1488
	s_waitcnt vmcnt(58) lgkmcnt(1)
	v_mul_f64 v[169:170], v[7:8], v[173:174]
	v_mul_f64 v[161:162], v[5:6], v[173:174]
	s_waitcnt vmcnt(56)
	v_fma_f64 v[151:152], v[117:118], v[155:156], -v[151:152]
	v_fma_f64 v[155:156], v[119:120], v[155:156], v[199:200]
	v_add_f64 v[123:124], v[123:124], v[167:168]
	v_add_f64 v[121:122], v[121:122], v[143:144]
	s_clause 0x2
	buffer_load_dword v144, off, s[0:3], 0 offset:876
	buffer_load_dword v143, off, s[0:3], 0 offset:872
	;; [unrolled: 1-line block ×3, first 2 shown]
	ds_read_b128 v[117:120], v178 offset:1504
	s_waitcnt vmcnt(55) lgkmcnt(1)
	v_mul_f64 v[167:168], v[1:2], v[157:158]
	v_mul_f64 v[157:158], v[3:4], v[157:158]
	s_waitcnt vmcnt(54)
	v_fma_f64 v[169:170], v[5:6], v[175:176], -v[169:170]
	v_add_f64 v[123:124], v[123:124], v[151:152]
	v_fma_f64 v[151:152], v[7:8], v[175:176], v[161:162]
	v_add_f64 v[121:122], v[121:122], v[155:156]
	s_clause 0x1
	buffer_load_dword v156, off, s[0:3], 0 offset:868
	buffer_load_dword v155, off, s[0:3], 0 offset:864
	ds_read_b128 v[5:8], v178 offset:1520
	s_waitcnt vmcnt(55) lgkmcnt(1)
	v_mul_f64 v[161:162], v[117:118], v[163:164]
	v_mul_f64 v[163:164], v[119:120], v[163:164]
	s_waitcnt vmcnt(53)
	v_fma_f64 v[157:158], v[1:2], v[125:126], -v[157:158]
	v_fma_f64 v[125:126], v[3:4], v[125:126], v[167:168]
	ds_read_b128 v[1:4], v178 offset:1536
	v_add_f64 v[123:124], v[123:124], v[169:170]
	v_add_f64 v[121:122], v[121:122], v[151:152]
	s_waitcnt vmcnt(49) lgkmcnt(1)
	v_mul_f64 v[151:152], v[5:6], v[165:166]
	v_mul_f64 v[165:166], v[7:8], v[165:166]
	s_waitcnt vmcnt(48)
	v_fma_f64 v[163:164], v[117:118], v[187:188], -v[163:164]
	v_add_f64 v[123:124], v[123:124], v[157:158]
	v_fma_f64 v[157:158], v[119:120], v[187:188], v[161:162]
	v_add_f64 v[121:122], v[121:122], v[125:126]
	s_clause 0x3
	buffer_load_dword v125, off, s[0:3], 0 offset:128
	buffer_load_dword v126, off, s[0:3], 0 offset:132
	buffer_load_dword v161, off, s[0:3], 0 offset:136
	buffer_load_dword v162, off, s[0:3], 0 offset:140
	ds_read_b128 v[117:120], v178 offset:1552
	s_waitcnt vmcnt(51) lgkmcnt(1)
	v_mul_f64 v[169:170], v[3:4], v[181:182]
	v_mul_f64 v[167:168], v[1:2], v[181:182]
	s_waitcnt vmcnt(49)
	v_fma_f64 v[165:166], v[5:6], v[171:172], -v[165:166]
	v_fma_f64 v[151:152], v[7:8], v[171:172], v[151:152]
	ds_read_b128 v[5:8], v178 offset:1568
	v_add_f64 v[123:124], v[123:124], v[163:164]
	v_add_f64 v[121:122], v[121:122], v[157:158]
	s_waitcnt vmcnt(45) lgkmcnt(1)
	v_mul_f64 v[157:158], v[117:118], v[129:130]
	v_mul_f64 v[129:130], v[119:120], v[129:130]
	s_waitcnt vmcnt(44)
	v_fma_f64 v[163:164], v[1:2], v[191:192], -v[169:170]
	v_add_f64 v[123:124], v[123:124], v[165:166]
	v_fma_f64 v[165:166], v[3:4], v[191:192], v[167:168]
	v_add_f64 v[121:122], v[121:122], v[151:152]
	ds_read_b128 v[1:4], v178 offset:1584
	s_waitcnt vmcnt(43) lgkmcnt(1)
	v_mul_f64 v[167:168], v[7:8], v[189:190]
	v_mul_f64 v[151:152], v[5:6], v[189:190]
	s_waitcnt vmcnt(41)
	v_fma_f64 v[129:130], v[117:118], v[135:136], -v[129:130]
	v_fma_f64 v[135:136], v[119:120], v[135:136], v[157:158]
	ds_read_b128 v[117:120], v178 offset:1600
	v_add_f64 v[123:124], v[123:124], v[163:164]
	v_add_f64 v[121:122], v[121:122], v[165:166]
	s_waitcnt vmcnt(37) lgkmcnt(1)
	v_mul_f64 v[157:158], v[1:2], v[141:142]
	v_mul_f64 v[141:142], v[3:4], v[141:142]
	s_waitcnt vmcnt(36)
	v_fma_f64 v[163:164], v[5:6], v[195:196], -v[167:168]
	v_add_f64 v[123:124], v[123:124], v[129:130]
	v_fma_f64 v[129:130], v[7:8], v[195:196], v[151:152]
	v_add_f64 v[121:122], v[121:122], v[135:136]
	ds_read_b128 v[5:8], v178 offset:1616
	s_waitcnt vmcnt(35) lgkmcnt(1)
	v_mul_f64 v[151:152], v[119:120], v[183:184]
	v_mul_f64 v[135:136], v[117:118], v[183:184]
	s_waitcnt vmcnt(33)
	v_fma_f64 v[141:142], v[1:2], v[133:134], -v[141:142]
	v_fma_f64 v[133:134], v[3:4], v[133:134], v[157:158]
	ds_read_b128 v[1:4], v178 offset:1632
	v_add_f64 v[123:124], v[123:124], v[163:164]
	v_add_f64 v[121:122], v[121:122], v[129:130]
	s_waitcnt vmcnt(29) lgkmcnt(1)
	v_mul_f64 v[129:130], v[5:6], v[127:128]
	v_mul_f64 v[127:128], v[7:8], v[127:128]
	s_waitcnt vmcnt(28)
	v_fma_f64 v[151:152], v[117:118], v[197:198], -v[151:152]
	v_fma_f64 v[135:136], v[119:120], v[197:198], v[135:136]
	ds_read_b128 v[117:120], v178 offset:1648
	v_add_f64 v[123:124], v[123:124], v[141:142]
	v_add_f64 v[121:122], v[121:122], v[133:134]
	;; [unrolled: 9-line block ×3, first 2 shown]
	s_waitcnt vmcnt(21) lgkmcnt(1)
	v_mul_f64 v[135:136], v[117:118], v[131:132]
	v_mul_f64 v[131:132], v[119:120], v[131:132]
	s_waitcnt vmcnt(20)
	v_fma_f64 v[139:140], v[1:2], v[193:194], -v[141:142]
	v_add_f64 v[123:124], v[123:124], v[127:128]
	v_fma_f64 v[127:128], v[3:4], v[193:194], v[133:134]
	v_add_f64 v[121:122], v[121:122], v[129:130]
	ds_read_b128 v[1:4], v178 offset:1680
	s_waitcnt vmcnt(19) lgkmcnt(1)
	v_mul_f64 v[133:134], v[7:8], v[153:154]
	v_mul_f64 v[129:130], v[5:6], v[153:154]
	s_waitcnt vmcnt(17)
	v_fma_f64 v[131:132], v[117:118], v[149:150], -v[131:132]
	v_fma_f64 v[135:136], v[119:120], v[149:150], v[135:136]
	ds_read_b128 v[117:120], v178 offset:1696
	v_add_f64 v[123:124], v[123:124], v[139:140]
	v_add_f64 v[121:122], v[121:122], v[127:128]
	s_waitcnt vmcnt(13) lgkmcnt(1)
	v_mul_f64 v[127:128], v[1:2], v[137:138]
	v_mul_f64 v[137:138], v[3:4], v[137:138]
	s_waitcnt vmcnt(12)
	v_fma_f64 v[133:134], v[5:6], v[185:186], -v[133:134]
	v_fma_f64 v[129:130], v[7:8], v[185:186], v[129:130]
	ds_read_b128 v[5:8], v178 offset:1712
	v_add_f64 v[123:124], v[123:124], v[131:132]
	v_add_f64 v[121:122], v[121:122], v[135:136]
	s_waitcnt vmcnt(11) lgkmcnt(1)
	v_mul_f64 v[135:136], v[119:120], v[159:160]
	v_mul_f64 v[131:132], v[117:118], v[159:160]
	s_waitcnt vmcnt(9)
	v_fma_f64 v[1:2], v[1:2], v[147:148], -v[137:138]
	v_fma_f64 v[3:4], v[3:4], v[147:148], v[127:128]
	v_add_f64 v[123:124], v[123:124], v[133:134]
	v_add_f64 v[121:122], v[121:122], v[129:130]
	s_waitcnt vmcnt(7) lgkmcnt(0)
	v_mul_f64 v[129:130], v[7:8], v[143:144]
	s_waitcnt vmcnt(6)
	v_fma_f64 v[117:118], v[117:118], v[179:180], -v[135:136]
	v_mul_f64 v[127:128], v[5:6], v[143:144]
	v_fma_f64 v[119:120], v[119:120], v[179:180], v[131:132]
	v_add_f64 v[1:2], v[123:124], v[1:2]
	v_add_f64 v[3:4], v[121:122], v[3:4]
	s_waitcnt vmcnt(4)
	v_fma_f64 v[5:6], v[5:6], v[155:156], -v[129:130]
	v_fma_f64 v[7:8], v[7:8], v[155:156], v[127:128]
	v_add_f64 v[1:2], v[1:2], v[117:118]
	v_add_f64 v[3:4], v[3:4], v[119:120]
	;; [unrolled: 1-line block ×4, first 2 shown]
	s_waitcnt vmcnt(2)
	v_add_f64 v[1:2], v[125:126], -v[1:2]
	s_waitcnt vmcnt(0)
	v_add_f64 v[3:4], v[161:162], -v[3:4]
	buffer_store_dword v2, off, s[0:3], 0 offset:132
	buffer_store_dword v1, off, s[0:3], 0 offset:128
	;; [unrolled: 1-line block ×4, first 2 shown]
	v_cmpx_lt_u32_e32 6, v0
	s_cbranch_execz .LBB117_325
; %bb.324:
	v_mov_b32_e32 v4, s60
	v_mov_b32_e32 v5, 0
	s_clause 0x3
	buffer_load_dword v1, v4, s[0:3], 0 offen
	buffer_load_dword v2, v4, s[0:3], 0 offen offset:4
	buffer_load_dword v3, v4, s[0:3], 0 offen offset:8
	;; [unrolled: 1-line block ×3, first 2 shown]
	buffer_store_dword v5, off, s[0:3], 0 offset:112
	buffer_store_dword v5, off, s[0:3], 0 offset:116
	;; [unrolled: 1-line block ×4, first 2 shown]
	s_waitcnt vmcnt(0)
	ds_write_b128 v177, v[1:4]
.LBB117_325:
	s_or_b32 exec_lo, exec_lo, s4
	s_waitcnt lgkmcnt(0)
	s_waitcnt_vscnt null, 0x0
	s_barrier
	buffer_gl0_inv
	s_clause 0x37
	buffer_load_dword v125, off, s[0:3], 0 offset:136
	buffer_load_dword v126, off, s[0:3], 0 offset:140
	buffer_load_dword v121, off, s[0:3], 0 offset:152
	buffer_load_dword v122, off, s[0:3], 0 offset:156
	buffer_load_dword v123, off, s[0:3], 0 offset:128
	buffer_load_dword v124, off, s[0:3], 0 offset:132
	buffer_load_dword v119, off, s[0:3], 0 offset:168
	buffer_load_dword v120, off, s[0:3], 0 offset:172
	buffer_load_dword v117, off, s[0:3], 0 offset:144
	buffer_load_dword v118, off, s[0:3], 0 offset:148
	buffer_load_dword v130, off, s[0:3], 0 offset:188
	buffer_load_dword v133, off, s[0:3], 0 offset:200
	buffer_load_dword v127, off, s[0:3], 0 offset:192
	buffer_load_dword v129, off, s[0:3], 0 offset:184
	buffer_load_dword v141, off, s[0:3], 0 offset:160
	buffer_load_dword v142, off, s[0:3], 0 offset:164
	buffer_load_dword v134, off, s[0:3], 0 offset:204
	buffer_load_dword v136, off, s[0:3], 0 offset:180
	buffer_load_dword v135, off, s[0:3], 0 offset:176
	buffer_load_dword v138, off, s[0:3], 0 offset:220
	buffer_load_dword v143, off, s[0:3], 0 offset:232
	buffer_load_dword v131, off, s[0:3], 0 offset:224
	buffer_load_dword v137, off, s[0:3], 0 offset:216
	buffer_load_dword v128, off, s[0:3], 0 offset:196
	buffer_load_dword v144, off, s[0:3], 0 offset:236
	buffer_load_dword v146, off, s[0:3], 0 offset:212
	buffer_load_dword v145, off, s[0:3], 0 offset:208
	buffer_load_dword v148, off, s[0:3], 0 offset:252
	buffer_load_dword v151, off, s[0:3], 0 offset:264
	buffer_load_dword v139, off, s[0:3], 0 offset:256
	buffer_load_dword v147, off, s[0:3], 0 offset:248
	buffer_load_dword v132, off, s[0:3], 0 offset:228
	buffer_load_dword v152, off, s[0:3], 0 offset:268
	buffer_load_dword v154, off, s[0:3], 0 offset:244
	buffer_load_dword v153, off, s[0:3], 0 offset:240
	buffer_load_dword v156, off, s[0:3], 0 offset:284
	buffer_load_dword v159, off, s[0:3], 0 offset:296
	buffer_load_dword v149, off, s[0:3], 0 offset:288
	buffer_load_dword v155, off, s[0:3], 0 offset:280
	buffer_load_dword v140, off, s[0:3], 0 offset:260
	buffer_load_dword v160, off, s[0:3], 0 offset:300
	buffer_load_dword v162, off, s[0:3], 0 offset:276
	buffer_load_dword v161, off, s[0:3], 0 offset:272
	buffer_load_dword v164, off, s[0:3], 0 offset:316
	buffer_load_dword v167, off, s[0:3], 0 offset:328
	buffer_load_dword v157, off, s[0:3], 0 offset:320
	buffer_load_dword v163, off, s[0:3], 0 offset:312
	buffer_load_dword v150, off, s[0:3], 0 offset:292
	buffer_load_dword v168, off, s[0:3], 0 offset:332
	buffer_load_dword v170, off, s[0:3], 0 offset:308
	buffer_load_dword v169, off, s[0:3], 0 offset:304
	buffer_load_dword v172, off, s[0:3], 0 offset:348
	buffer_load_dword v173, off, s[0:3], 0 offset:360
	buffer_load_dword v165, off, s[0:3], 0 offset:352
	buffer_load_dword v171, off, s[0:3], 0 offset:344
	buffer_load_dword v158, off, s[0:3], 0 offset:324
	v_mov_b32_e32 v178, 0
	s_mov_b32 s4, exec_lo
	ds_read_b128 v[5:8], v178 offset:976
	s_clause 0x2
	buffer_load_dword v174, off, s[0:3], 0 offset:364
	buffer_load_dword v176, off, s[0:3], 0 offset:340
	;; [unrolled: 1-line block ×3, first 2 shown]
	ds_read_b128 v[1:4], v178 offset:992
	s_clause 0x4
	buffer_load_dword v186, off, s[0:3], 0 offset:380
	buffer_load_dword v187, off, s[0:3], 0 offset:392
	;; [unrolled: 1-line block ×5, first 2 shown]
	ds_read_b128 v[179:182], v178 offset:1008
	s_waitcnt vmcnt(62) lgkmcnt(2)
	v_mul_f64 v[183:184], v[7:8], v[125:126]
	v_mul_f64 v[125:126], v[5:6], v[125:126]
	s_waitcnt vmcnt(60) lgkmcnt(1)
	v_mul_f64 v[190:191], v[3:4], v[121:122]
	v_mul_f64 v[121:122], v[1:2], v[121:122]
	;; [unrolled: 3-line block ×3, first 2 shown]
	v_fma_f64 v[183:184], v[5:6], v[123:124], -v[183:184]
	v_fma_f64 v[123:124], v[7:8], v[123:124], v[125:126]
	s_clause 0x2
	buffer_load_dword v188, off, s[0:3], 0 offset:396
	buffer_load_dword v126, off, s[0:3], 0 offset:372
	buffer_load_dword v125, off, s[0:3], 0 offset:368
	s_waitcnt vmcnt(57)
	v_fma_f64 v[194:195], v[1:2], v[117:118], -v[190:191]
	ds_read_b128 v[5:8], v178 offset:1024
	v_fma_f64 v[117:118], v[3:4], v[117:118], v[121:122]
	s_waitcnt vmcnt(51)
	v_fma_f64 v[179:180], v[179:180], v[141:142], -v[119:120]
	v_fma_f64 v[141:142], v[181:182], v[141:142], v[192:193]
	v_add_f64 v[183:184], v[183:184], 0
	v_add_f64 v[121:122], v[123:124], 0
	s_clause 0x4
	buffer_load_dword v124, off, s[0:3], 0 offset:412
	buffer_load_dword v191, off, s[0:3], 0 offset:424
	;; [unrolled: 1-line block ×5, first 2 shown]
	s_waitcnt lgkmcnt(0)
	v_mul_f64 v[197:198], v[5:6], v[129:130]
	v_mul_f64 v[129:130], v[7:8], v[129:130]
	ds_read_b128 v[1:4], v178 offset:1040
	s_clause 0x2
	buffer_load_dword v192, off, s[0:3], 0 offset:428
	buffer_load_dword v182, off, s[0:3], 0 offset:404
	;; [unrolled: 1-line block ×3, first 2 shown]
	v_add_f64 v[183:184], v[183:184], v[194:195]
	v_add_f64 v[121:122], v[121:122], v[117:118]
	ds_read_b128 v[117:120], v178 offset:1056
	s_waitcnt vmcnt(58) lgkmcnt(1)
	v_mul_f64 v[193:194], v[1:2], v[133:134]
	v_mul_f64 v[133:134], v[3:4], v[133:134]
	s_waitcnt vmcnt(56)
	v_fma_f64 v[129:130], v[5:6], v[135:136], -v[129:130]
	v_fma_f64 v[135:136], v[7:8], v[135:136], v[197:198]
	s_waitcnt vmcnt(52) lgkmcnt(0)
	v_mul_f64 v[199:200], v[117:118], v[137:138]
	v_add_f64 v[179:180], v[183:184], v[179:180]
	v_add_f64 v[121:122], v[121:122], v[141:142]
	s_clause 0x4
	buffer_load_dword v142, off, s[0:3], 0 offset:444
	buffer_load_dword v183, off, s[0:3], 0 offset:456
	;; [unrolled: 1-line block ×5, first 2 shown]
	v_mul_f64 v[137:138], v[119:120], v[137:138]
	s_waitcnt vmcnt(56)
	v_fma_f64 v[133:134], v[1:2], v[127:128], -v[133:134]
	ds_read_b128 v[5:8], v178 offset:1072
	v_fma_f64 v[127:128], v[3:4], v[127:128], v[193:194]
	v_add_f64 v[129:130], v[179:180], v[129:130]
	v_add_f64 v[121:122], v[121:122], v[135:136]
	s_clause 0x2
	buffer_load_dword v184, off, s[0:3], 0 offset:460
	buffer_load_dword v136, off, s[0:3], 0 offset:436
	;; [unrolled: 1-line block ×3, first 2 shown]
	s_waitcnt vmcnt(58) lgkmcnt(0)
	v_mul_f64 v[179:180], v[5:6], v[143:144]
	v_mul_f64 v[143:144], v[7:8], v[143:144]
	s_waitcnt vmcnt(56)
	v_fma_f64 v[137:138], v[117:118], v[145:146], -v[137:138]
	ds_read_b128 v[1:4], v178 offset:1088
	v_add_f64 v[129:130], v[129:130], v[133:134]
	v_fma_f64 v[133:134], v[119:120], v[145:146], v[199:200]
	v_add_f64 v[121:122], v[121:122], v[127:128]
	s_clause 0x4
	buffer_load_dword v128, off, s[0:3], 0 offset:476
	buffer_load_dword v145, off, s[0:3], 0 offset:488
	;; [unrolled: 1-line block ×5, first 2 shown]
	s_waitcnt vmcnt(57) lgkmcnt(0)
	v_mul_f64 v[194:195], v[1:2], v[147:148]
	v_mul_f64 v[147:148], v[3:4], v[147:148]
	s_waitcnt vmcnt(56)
	v_fma_f64 v[143:144], v[5:6], v[131:132], -v[143:144]
	ds_read_b128 v[117:120], v178 offset:1104
	v_fma_f64 v[131:132], v[7:8], v[131:132], v[179:180]
	v_add_f64 v[129:130], v[129:130], v[137:138]
	v_add_f64 v[121:122], v[121:122], v[133:134]
	s_clause 0x2
	buffer_load_dword v146, off, s[0:3], 0 offset:492
	buffer_load_dword v134, off, s[0:3], 0 offset:468
	;; [unrolled: 1-line block ×3, first 2 shown]
	ds_read_b128 v[5:8], v178 offset:1120
	s_waitcnt vmcnt(58) lgkmcnt(1)
	v_mul_f64 v[137:138], v[117:118], v[151:152]
	v_mul_f64 v[151:152], v[119:120], v[151:152]
	s_waitcnt vmcnt(56)
	v_fma_f64 v[147:148], v[1:2], v[153:154], -v[147:148]
	v_add_f64 v[129:130], v[129:130], v[143:144]
	v_fma_f64 v[143:144], v[3:4], v[153:154], v[194:195]
	v_add_f64 v[121:122], v[121:122], v[131:132]
	s_clause 0x4
	buffer_load_dword v132, off, s[0:3], 0 offset:508
	buffer_load_dword v153, off, s[0:3], 0 offset:520
	;; [unrolled: 1-line block ×5, first 2 shown]
	s_waitcnt vmcnt(57) lgkmcnt(0)
	v_mul_f64 v[200:201], v[5:6], v[155:156]
	v_mul_f64 v[155:156], v[7:8], v[155:156]
	s_waitcnt vmcnt(56)
	v_fma_f64 v[151:152], v[117:118], v[139:140], -v[151:152]
	ds_read_b128 v[1:4], v178 offset:1136
	v_fma_f64 v[137:138], v[119:120], v[139:140], v[137:138]
	s_clause 0x2
	buffer_load_dword v154, off, s[0:3], 0 offset:524
	buffer_load_dword v140, off, s[0:3], 0 offset:500
	;; [unrolled: 1-line block ×3, first 2 shown]
	ds_read_b128 v[117:120], v178 offset:1152
	v_add_f64 v[129:130], v[129:130], v[147:148]
	v_add_f64 v[121:122], v[121:122], v[143:144]
	s_waitcnt vmcnt(58) lgkmcnt(1)
	v_mul_f64 v[147:148], v[3:4], v[159:160]
	s_waitcnt vmcnt(56)
	v_fma_f64 v[155:156], v[5:6], v[161:162], -v[155:156]
	v_mul_f64 v[143:144], v[1:2], v[159:160]
	v_add_f64 v[129:130], v[129:130], v[151:152]
	v_fma_f64 v[151:152], v[7:8], v[161:162], v[200:201]
	v_add_f64 v[121:122], v[121:122], v[137:138]
	s_clause 0x4
	buffer_load_dword v138, off, s[0:3], 0 offset:540
	buffer_load_dword v159, off, s[0:3], 0 offset:552
	;; [unrolled: 1-line block ×5, first 2 shown]
	s_waitcnt vmcnt(57) lgkmcnt(0)
	v_mul_f64 v[200:201], v[117:118], v[163:164]
	v_mul_f64 v[162:163], v[119:120], v[163:164]
	s_waitcnt vmcnt(56)
	v_fma_f64 v[147:148], v[1:2], v[149:150], -v[147:148]
	ds_read_b128 v[5:8], v178 offset:1168
	v_fma_f64 v[143:144], v[3:4], v[149:150], v[143:144]
	s_clause 0x2
	buffer_load_dword v160, off, s[0:3], 0 offset:556
	buffer_load_dword v150, off, s[0:3], 0 offset:532
	;; [unrolled: 1-line block ×3, first 2 shown]
	ds_read_b128 v[1:4], v178 offset:1184
	v_add_f64 v[129:130], v[129:130], v[155:156]
	v_add_f64 v[121:122], v[121:122], v[151:152]
	s_waitcnt vmcnt(58) lgkmcnt(1)
	v_mul_f64 v[155:156], v[7:8], v[167:168]
	s_waitcnt vmcnt(56)
	v_fma_f64 v[163:164], v[117:118], v[169:170], -v[162:163]
	v_mul_f64 v[151:152], v[5:6], v[167:168]
	v_add_f64 v[129:130], v[129:130], v[147:148]
	v_fma_f64 v[147:148], v[119:120], v[169:170], v[200:201]
	v_add_f64 v[121:122], v[121:122], v[143:144]
	s_clause 0x4
	buffer_load_dword v144, off, s[0:3], 0 offset:572
	buffer_load_dword v167, off, s[0:3], 0 offset:584
	buffer_load_dword v169, off, s[0:3], 0 offset:576
	buffer_load_dword v143, off, s[0:3], 0 offset:568
	buffer_load_dword v162, off, s[0:3], 0 offset:548
	s_waitcnt vmcnt(57) lgkmcnt(0)
	v_mul_f64 v[200:201], v[1:2], v[171:172]
	v_mul_f64 v[170:171], v[3:4], v[171:172]
	s_waitcnt vmcnt(56)
	v_fma_f64 v[155:156], v[5:6], v[157:158], -v[155:156]
	ds_read_b128 v[117:120], v178 offset:1200
	v_fma_f64 v[151:152], v[7:8], v[157:158], v[151:152]
	v_add_f64 v[129:130], v[129:130], v[163:164]
	v_add_f64 v[121:122], v[121:122], v[147:148]
	s_clause 0x2
	buffer_load_dword v168, off, s[0:3], 0 offset:588
	buffer_load_dword v148, off, s[0:3], 0 offset:564
	;; [unrolled: 1-line block ×3, first 2 shown]
	ds_read_b128 v[5:8], v178 offset:1216
	s_waitcnt vmcnt(58) lgkmcnt(1)
	v_mul_f64 v[163:164], v[119:120], v[173:174]
	s_waitcnt vmcnt(56)
	v_fma_f64 v[171:172], v[1:2], v[175:176], -v[170:171]
	v_mul_f64 v[157:158], v[117:118], v[173:174]
	v_add_f64 v[129:130], v[129:130], v[155:156]
	v_fma_f64 v[155:156], v[3:4], v[175:176], v[200:201]
	v_add_f64 v[121:122], v[121:122], v[151:152]
	s_clause 0x4
	buffer_load_dword v152, off, s[0:3], 0 offset:604
	buffer_load_dword v173, off, s[0:3], 0 offset:616
	;; [unrolled: 1-line block ×5, first 2 shown]
	s_waitcnt vmcnt(57) lgkmcnt(0)
	v_mul_f64 v[200:201], v[5:6], v[185:186]
	v_mul_f64 v[185:186], v[7:8], v[185:186]
	s_waitcnt vmcnt(56)
	v_fma_f64 v[163:164], v[117:118], v[165:166], -v[163:164]
	ds_read_b128 v[1:4], v178 offset:1232
	v_fma_f64 v[157:158], v[119:120], v[165:166], v[157:158]
	v_add_f64 v[129:130], v[129:130], v[171:172]
	v_add_f64 v[121:122], v[121:122], v[155:156]
	s_clause 0x2
	buffer_load_dword v174, off, s[0:3], 0 offset:620
	buffer_load_dword v156, off, s[0:3], 0 offset:596
	;; [unrolled: 1-line block ×3, first 2 shown]
	ds_read_b128 v[117:120], v178 offset:1248
	s_waitcnt vmcnt(58) lgkmcnt(1)
	v_mul_f64 v[171:172], v[3:4], v[187:188]
	v_mul_f64 v[165:166], v[1:2], v[187:188]
	s_waitcnt vmcnt(56)
	v_fma_f64 v[185:186], v[5:6], v[125:126], -v[185:186]
	v_fma_f64 v[125:126], v[7:8], v[125:126], v[200:201]
	v_add_f64 v[129:130], v[129:130], v[163:164]
	v_add_f64 v[121:122], v[121:122], v[157:158]
	s_clause 0x4
	buffer_load_dword v158, off, s[0:3], 0 offset:636
	buffer_load_dword v163, off, s[0:3], 0 offset:648
	;; [unrolled: 1-line block ×5, first 2 shown]
	ds_read_b128 v[5:8], v178 offset:1264
	s_waitcnt vmcnt(57) lgkmcnt(1)
	v_mul_f64 v[200:201], v[117:118], v[123:124]
	v_mul_f64 v[123:124], v[119:120], v[123:124]
	s_waitcnt vmcnt(56)
	v_fma_f64 v[171:172], v[1:2], v[189:190], -v[171:172]
	v_fma_f64 v[165:166], v[3:4], v[189:190], v[165:166]
	v_add_f64 v[129:130], v[129:130], v[185:186]
	v_add_f64 v[121:122], v[121:122], v[125:126]
	s_clause 0x2
	buffer_load_dword v164, off, s[0:3], 0 offset:652
	buffer_load_dword v126, off, s[0:3], 0 offset:628
	;; [unrolled: 1-line block ×3, first 2 shown]
	s_waitcnt vmcnt(58) lgkmcnt(0)
	v_mul_f64 v[189:190], v[7:8], v[191:192]
	ds_read_b128 v[1:4], v178 offset:1280
	v_mul_f64 v[185:186], v[5:6], v[191:192]
	s_waitcnt vmcnt(56)
	v_fma_f64 v[123:124], v[117:118], v[181:182], -v[123:124]
	v_add_f64 v[129:130], v[129:130], v[171:172]
	v_fma_f64 v[171:172], v[119:120], v[181:182], v[200:201]
	v_add_f64 v[121:122], v[121:122], v[165:166]
	s_clause 0x4
	buffer_load_dword v166, off, s[0:3], 0 offset:668
	buffer_load_dword v181, off, s[0:3], 0 offset:680
	;; [unrolled: 1-line block ×5, first 2 shown]
	ds_read_b128 v[117:120], v178 offset:1296
	s_waitcnt vmcnt(57) lgkmcnt(1)
	v_mul_f64 v[200:201], v[1:2], v[141:142]
	v_mul_f64 v[141:142], v[3:4], v[141:142]
	s_waitcnt vmcnt(56)
	v_fma_f64 v[189:190], v[5:6], v[196:197], -v[189:190]
	v_add_f64 v[123:124], v[129:130], v[123:124]
	v_fma_f64 v[129:130], v[7:8], v[196:197], v[185:186]
	v_add_f64 v[121:122], v[121:122], v[171:172]
	s_clause 0x2
	buffer_load_dword v182, off, s[0:3], 0 offset:684
	buffer_load_dword v172, off, s[0:3], 0 offset:660
	buffer_load_dword v171, off, s[0:3], 0 offset:656
	ds_read_b128 v[5:8], v178 offset:1312
	s_waitcnt vmcnt(58) lgkmcnt(1)
	v_mul_f64 v[185:186], v[117:118], v[183:184]
	v_mul_f64 v[183:184], v[119:120], v[183:184]
	s_waitcnt vmcnt(56)
	v_fma_f64 v[141:142], v[1:2], v[135:136], -v[141:142]
	v_fma_f64 v[135:136], v[3:4], v[135:136], v[200:201]
	v_add_f64 v[123:124], v[123:124], v[189:190]
	v_add_f64 v[121:122], v[121:122], v[129:130]
	s_clause 0x4
	buffer_load_dword v130, off, s[0:3], 0 offset:700
	buffer_load_dword v189, off, s[0:3], 0 offset:712
	;; [unrolled: 1-line block ×5, first 2 shown]
	ds_read_b128 v[1:4], v178 offset:1328
	s_waitcnt vmcnt(57) lgkmcnt(1)
	v_mul_f64 v[196:197], v[5:6], v[127:128]
	v_mul_f64 v[127:128], v[7:8], v[127:128]
	s_waitcnt vmcnt(56)
	v_fma_f64 v[183:184], v[117:118], v[198:199], -v[183:184]
	v_add_f64 v[123:124], v[123:124], v[141:142]
	v_fma_f64 v[141:142], v[119:120], v[198:199], v[185:186]
	v_add_f64 v[121:122], v[121:122], v[135:136]
	s_clause 0x2
	buffer_load_dword v190, off, s[0:3], 0 offset:716
	buffer_load_dword v136, off, s[0:3], 0 offset:692
	;; [unrolled: 1-line block ×3, first 2 shown]
	ds_read_b128 v[117:120], v178 offset:1344
	s_waitcnt vmcnt(58) lgkmcnt(1)
	v_mul_f64 v[185:186], v[1:2], v[145:146]
	v_mul_f64 v[145:146], v[3:4], v[145:146]
	s_waitcnt vmcnt(56)
	v_fma_f64 v[127:128], v[5:6], v[133:134], -v[127:128]
	v_fma_f64 v[133:134], v[7:8], v[133:134], v[196:197]
	v_add_f64 v[123:124], v[123:124], v[183:184]
	v_add_f64 v[121:122], v[121:122], v[141:142]
	s_clause 0x4
	buffer_load_dword v142, off, s[0:3], 0 offset:732
	buffer_load_dword v183, off, s[0:3], 0 offset:744
	;; [unrolled: 1-line block ×5, first 2 shown]
	ds_read_b128 v[5:8], v178 offset:1360
	s_waitcnt vmcnt(57) lgkmcnt(1)
	v_mul_f64 v[198:199], v[117:118], v[131:132]
	v_mul_f64 v[131:132], v[119:120], v[131:132]
	s_waitcnt vmcnt(56)
	v_fma_f64 v[145:146], v[1:2], v[193:194], -v[145:146]
	v_add_f64 v[123:124], v[123:124], v[127:128]
	v_fma_f64 v[127:128], v[3:4], v[193:194], v[185:186]
	v_add_f64 v[121:122], v[121:122], v[133:134]
	s_clause 0x2
	buffer_load_dword v184, off, s[0:3], 0 offset:748
	buffer_load_dword v134, off, s[0:3], 0 offset:724
	;; [unrolled: 1-line block ×3, first 2 shown]
	s_waitcnt vmcnt(58) lgkmcnt(0)
	v_mul_f64 v[185:186], v[5:6], v[153:154]
	v_mul_f64 v[153:154], v[7:8], v[153:154]
	ds_read_b128 v[1:4], v178 offset:1376
	s_waitcnt vmcnt(56)
	v_fma_f64 v[131:132], v[117:118], v[139:140], -v[131:132]
	v_fma_f64 v[139:140], v[119:120], v[139:140], v[198:199]
	v_add_f64 v[123:124], v[123:124], v[145:146]
	v_add_f64 v[121:122], v[121:122], v[127:128]
	s_clause 0x4
	buffer_load_dword v128, off, s[0:3], 0 offset:764
	buffer_load_dword v145, off, s[0:3], 0 offset:776
	;; [unrolled: 1-line block ×5, first 2 shown]
	ds_read_b128 v[117:120], v178 offset:1392
	s_waitcnt vmcnt(57) lgkmcnt(1)
	v_mul_f64 v[199:200], v[1:2], v[137:138]
	v_mul_f64 v[137:138], v[3:4], v[137:138]
	s_waitcnt vmcnt(56)
	v_fma_f64 v[153:154], v[5:6], v[179:180], -v[153:154]
	v_add_f64 v[123:124], v[123:124], v[131:132]
	v_fma_f64 v[131:132], v[7:8], v[179:180], v[185:186]
	v_add_f64 v[121:122], v[121:122], v[139:140]
	s_clause 0x2
	buffer_load_dword v146, off, s[0:3], 0 offset:780
	buffer_load_dword v140, off, s[0:3], 0 offset:756
	;; [unrolled: 1-line block ×3, first 2 shown]
	s_waitcnt vmcnt(58) lgkmcnt(0)
	v_mul_f64 v[179:180], v[117:118], v[159:160]
	v_mul_f64 v[159:160], v[119:120], v[159:160]
	ds_read_b128 v[5:8], v178 offset:1408
	s_waitcnt vmcnt(56)
	v_fma_f64 v[137:138], v[1:2], v[149:150], -v[137:138]
	v_fma_f64 v[149:150], v[3:4], v[149:150], v[199:200]
	v_add_f64 v[123:124], v[123:124], v[153:154]
	v_add_f64 v[121:122], v[121:122], v[131:132]
	s_clause 0x4
	buffer_load_dword v132, off, s[0:3], 0 offset:796
	buffer_load_dword v153, off, s[0:3], 0 offset:808
	;; [unrolled: 1-line block ×5, first 2 shown]
	ds_read_b128 v[1:4], v178 offset:1424
	s_waitcnt vmcnt(57) lgkmcnt(1)
	v_mul_f64 v[199:200], v[5:6], v[143:144]
	v_mul_f64 v[143:144], v[7:8], v[143:144]
	s_waitcnt vmcnt(56)
	v_fma_f64 v[159:160], v[117:118], v[161:162], -v[159:160]
	v_add_f64 v[123:124], v[123:124], v[137:138]
	v_fma_f64 v[137:138], v[119:120], v[161:162], v[179:180]
	v_add_f64 v[121:122], v[121:122], v[149:150]
	s_clause 0x2
	buffer_load_dword v154, off, s[0:3], 0 offset:812
	buffer_load_dword v150, off, s[0:3], 0 offset:788
	;; [unrolled: 1-line block ×3, first 2 shown]
	ds_read_b128 v[117:120], v178 offset:1440
	s_waitcnt vmcnt(58) lgkmcnt(1)
	v_mul_f64 v[161:162], v[1:2], v[167:168]
	v_mul_f64 v[167:168], v[3:4], v[167:168]
	s_waitcnt vmcnt(56)
	v_fma_f64 v[143:144], v[5:6], v[147:148], -v[143:144]
	v_fma_f64 v[147:148], v[7:8], v[147:148], v[199:200]
	v_add_f64 v[123:124], v[123:124], v[159:160]
	v_add_f64 v[121:122], v[121:122], v[137:138]
	s_clause 0x4
	buffer_load_dword v138, off, s[0:3], 0 offset:828
	buffer_load_dword v159, off, s[0:3], 0 offset:840
	;; [unrolled: 1-line block ×5, first 2 shown]
	ds_read_b128 v[5:8], v178 offset:1456
	s_waitcnt vmcnt(57) lgkmcnt(1)
	v_mul_f64 v[199:200], v[117:118], v[151:152]
	v_mul_f64 v[151:152], v[119:120], v[151:152]
	s_waitcnt vmcnt(56)
	v_fma_f64 v[167:168], v[1:2], v[169:170], -v[167:168]
	v_add_f64 v[123:124], v[123:124], v[143:144]
	v_fma_f64 v[143:144], v[3:4], v[169:170], v[161:162]
	v_add_f64 v[121:122], v[121:122], v[147:148]
	s_clause 0x2
	buffer_load_dword v160, off, s[0:3], 0 offset:844
	buffer_load_dword v148, off, s[0:3], 0 offset:820
	;; [unrolled: 1-line block ×3, first 2 shown]
	ds_read_b128 v[1:4], v178 offset:1472
	s_waitcnt vmcnt(58) lgkmcnt(1)
	v_mul_f64 v[169:170], v[7:8], v[173:174]
	v_mul_f64 v[161:162], v[5:6], v[173:174]
	s_waitcnt vmcnt(56)
	v_fma_f64 v[151:152], v[117:118], v[155:156], -v[151:152]
	v_fma_f64 v[155:156], v[119:120], v[155:156], v[199:200]
	v_add_f64 v[123:124], v[123:124], v[167:168]
	v_add_f64 v[121:122], v[121:122], v[143:144]
	s_clause 0x4
	buffer_load_dword v144, off, s[0:3], 0 offset:860
	buffer_load_dword v167, off, s[0:3], 0 offset:872
	;; [unrolled: 1-line block ×5, first 2 shown]
	ds_read_b128 v[117:120], v178 offset:1488
	s_waitcnt vmcnt(57) lgkmcnt(1)
	v_mul_f64 v[199:200], v[1:2], v[157:158]
	v_mul_f64 v[157:158], v[3:4], v[157:158]
	s_waitcnt vmcnt(56)
	v_fma_f64 v[169:170], v[5:6], v[175:176], -v[169:170]
	v_add_f64 v[123:124], v[123:124], v[151:152]
	v_fma_f64 v[151:152], v[7:8], v[175:176], v[161:162]
	v_add_f64 v[121:122], v[121:122], v[155:156]
	s_clause 0x2
	buffer_load_dword v168, off, s[0:3], 0 offset:876
	buffer_load_dword v156, off, s[0:3], 0 offset:852
	;; [unrolled: 1-line block ×3, first 2 shown]
	ds_read_b128 v[5:8], v178 offset:1504
	buffer_load_dword v174, off, s[0:3], 0 offset:868
	s_waitcnt vmcnt(59) lgkmcnt(1)
	v_mul_f64 v[161:162], v[117:118], v[163:164]
	v_mul_f64 v[163:164], v[119:120], v[163:164]
	s_waitcnt vmcnt(57)
	v_fma_f64 v[157:158], v[1:2], v[125:126], -v[157:158]
	v_fma_f64 v[125:126], v[3:4], v[125:126], v[199:200]
	ds_read_b128 v[1:4], v178 offset:1520
	v_add_f64 v[123:124], v[123:124], v[169:170]
	v_add_f64 v[121:122], v[121:122], v[151:152]
	s_waitcnt vmcnt(53) lgkmcnt(1)
	v_mul_f64 v[151:152], v[5:6], v[165:166]
	v_mul_f64 v[165:166], v[7:8], v[165:166]
	s_waitcnt vmcnt(52)
	v_fma_f64 v[163:164], v[117:118], v[187:188], -v[163:164]
	v_add_f64 v[123:124], v[123:124], v[157:158]
	v_fma_f64 v[157:158], v[119:120], v[187:188], v[161:162]
	v_add_f64 v[121:122], v[121:122], v[125:126]
	ds_read_b128 v[117:120], v178 offset:1536
	s_waitcnt vmcnt(51) lgkmcnt(1)
	v_mul_f64 v[161:162], v[3:4], v[181:182]
	v_mul_f64 v[125:126], v[1:2], v[181:182]
	s_waitcnt vmcnt(49)
	v_fma_f64 v[165:166], v[5:6], v[171:172], -v[165:166]
	v_fma_f64 v[151:152], v[7:8], v[171:172], v[151:152]
	v_add_f64 v[123:124], v[123:124], v[163:164]
	v_add_f64 v[121:122], v[121:122], v[157:158]
	s_clause 0x3
	buffer_load_dword v157, off, s[0:3], 0 offset:112
	buffer_load_dword v158, off, s[0:3], 0 offset:116
	;; [unrolled: 1-line block ×4, first 2 shown]
	ds_read_b128 v[5:8], v178 offset:1552
	s_waitcnt vmcnt(49) lgkmcnt(1)
	v_mul_f64 v[169:170], v[117:118], v[129:130]
	v_mul_f64 v[129:130], v[119:120], v[129:130]
	s_waitcnt vmcnt(48)
	v_fma_f64 v[161:162], v[1:2], v[191:192], -v[161:162]
	v_fma_f64 v[125:126], v[3:4], v[191:192], v[125:126]
	ds_read_b128 v[1:4], v178 offset:1568
	v_add_f64 v[123:124], v[123:124], v[165:166]
	v_add_f64 v[121:122], v[121:122], v[151:152]
	s_waitcnt vmcnt(47) lgkmcnt(1)
	v_mul_f64 v[165:166], v[7:8], v[189:190]
	v_mul_f64 v[151:152], v[5:6], v[189:190]
	s_waitcnt vmcnt(45)
	v_fma_f64 v[129:130], v[117:118], v[135:136], -v[129:130]
	v_fma_f64 v[135:136], v[119:120], v[135:136], v[169:170]
	ds_read_b128 v[117:120], v178 offset:1584
	v_add_f64 v[123:124], v[123:124], v[161:162]
	v_add_f64 v[121:122], v[121:122], v[125:126]
	s_waitcnt vmcnt(41) lgkmcnt(1)
	v_mul_f64 v[125:126], v[1:2], v[141:142]
	v_mul_f64 v[141:142], v[3:4], v[141:142]
	s_waitcnt vmcnt(40)
	v_fma_f64 v[161:162], v[5:6], v[195:196], -v[165:166]
	v_add_f64 v[123:124], v[123:124], v[129:130]
	v_fma_f64 v[129:130], v[7:8], v[195:196], v[151:152]
	v_add_f64 v[121:122], v[121:122], v[135:136]
	ds_read_b128 v[5:8], v178 offset:1600
	s_waitcnt vmcnt(39) lgkmcnt(1)
	v_mul_f64 v[151:152], v[119:120], v[183:184]
	v_mul_f64 v[135:136], v[117:118], v[183:184]
	s_waitcnt vmcnt(37)
	v_fma_f64 v[141:142], v[1:2], v[133:134], -v[141:142]
	v_fma_f64 v[125:126], v[3:4], v[133:134], v[125:126]
	ds_read_b128 v[1:4], v178 offset:1616
	v_add_f64 v[123:124], v[123:124], v[161:162]
	v_add_f64 v[121:122], v[121:122], v[129:130]
	s_waitcnt vmcnt(33) lgkmcnt(1)
	v_mul_f64 v[129:130], v[5:6], v[127:128]
	v_mul_f64 v[127:128], v[7:8], v[127:128]
	s_waitcnt vmcnt(32)
	v_fma_f64 v[133:134], v[117:118], v[197:198], -v[151:152]
	v_fma_f64 v[135:136], v[119:120], v[197:198], v[135:136]
	ds_read_b128 v[117:120], v178 offset:1632
	v_add_f64 v[123:124], v[123:124], v[141:142]
	v_add_f64 v[121:122], v[121:122], v[125:126]
	;; [unrolled: 9-line block ×5, first 2 shown]
	s_waitcnt vmcnt(17) lgkmcnt(1)
	v_mul_f64 v[135:136], v[3:4], v[137:138]
	s_waitcnt vmcnt(16)
	v_fma_f64 v[129:130], v[5:6], v[185:186], -v[129:130]
	v_mul_f64 v[125:126], v[1:2], v[137:138]
	v_fma_f64 v[127:128], v[7:8], v[185:186], v[127:128]
	ds_read_b128 v[5:8], v178 offset:1696
	v_add_f64 v[123:124], v[123:124], v[131:132]
	v_add_f64 v[121:122], v[121:122], v[133:134]
	s_waitcnt vmcnt(15) lgkmcnt(1)
	v_mul_f64 v[133:134], v[119:120], v[159:160]
	v_mul_f64 v[131:132], v[117:118], v[159:160]
	s_waitcnt vmcnt(13)
	v_fma_f64 v[135:136], v[1:2], v[147:148], -v[135:136]
	v_fma_f64 v[125:126], v[3:4], v[147:148], v[125:126]
	ds_read_b128 v[1:4], v178 offset:1712
	v_add_f64 v[123:124], v[123:124], v[129:130]
	v_add_f64 v[121:122], v[121:122], v[127:128]
	s_waitcnt vmcnt(9) lgkmcnt(1)
	v_mul_f64 v[129:130], v[7:8], v[143:144]
	s_waitcnt vmcnt(8)
	v_fma_f64 v[117:118], v[117:118], v[179:180], -v[133:134]
	v_mul_f64 v[127:128], v[5:6], v[143:144]
	v_fma_f64 v[119:120], v[119:120], v[179:180], v[131:132]
	v_add_f64 v[123:124], v[123:124], v[135:136]
	v_add_f64 v[121:122], v[121:122], v[125:126]
	s_waitcnt vmcnt(7) lgkmcnt(0)
	v_mul_f64 v[131:132], v[3:4], v[167:168]
	v_mul_f64 v[125:126], v[1:2], v[167:168]
	s_waitcnt vmcnt(5)
	v_fma_f64 v[5:6], v[5:6], v[155:156], -v[129:130]
	v_fma_f64 v[7:8], v[7:8], v[155:156], v[127:128]
	v_add_f64 v[117:118], v[123:124], v[117:118]
	v_add_f64 v[119:120], v[121:122], v[119:120]
	s_waitcnt vmcnt(4)
	v_fma_f64 v[1:2], v[1:2], v[173:174], -v[131:132]
	v_fma_f64 v[3:4], v[3:4], v[173:174], v[125:126]
	v_add_f64 v[5:6], v[117:118], v[5:6]
	v_add_f64 v[7:8], v[119:120], v[7:8]
	;; [unrolled: 1-line block ×4, first 2 shown]
	s_waitcnt vmcnt(2)
	v_add_f64 v[1:2], v[157:158], -v[1:2]
	s_waitcnt vmcnt(0)
	v_add_f64 v[3:4], v[163:164], -v[3:4]
	buffer_store_dword v2, off, s[0:3], 0 offset:116
	buffer_store_dword v1, off, s[0:3], 0 offset:112
	;; [unrolled: 1-line block ×4, first 2 shown]
	v_cmpx_lt_u32_e32 5, v0
	s_cbranch_execz .LBB117_327
; %bb.326:
	v_mov_b32_e32 v4, s61
	s_clause 0x3
	buffer_load_dword v1, v4, s[0:3], 0 offen
	buffer_load_dword v2, v4, s[0:3], 0 offen offset:4
	buffer_load_dword v3, v4, s[0:3], 0 offen offset:8
	;; [unrolled: 1-line block ×3, first 2 shown]
	buffer_store_dword v178, off, s[0:3], 0 offset:96
	buffer_store_dword v178, off, s[0:3], 0 offset:100
	;; [unrolled: 1-line block ×4, first 2 shown]
	s_waitcnt vmcnt(0)
	ds_write_b128 v177, v[1:4]
.LBB117_327:
	s_or_b32 exec_lo, exec_lo, s4
	s_waitcnt lgkmcnt(0)
	s_waitcnt_vscnt null, 0x0
	s_barrier
	buffer_gl0_inv
	s_clause 0x37
	buffer_load_dword v125, off, s[0:3], 0 offset:120
	buffer_load_dword v126, off, s[0:3], 0 offset:124
	;; [unrolled: 1-line block ×56, first 2 shown]
	ds_read_b128 v[5:8], v178 offset:960
	s_clause 0x2
	buffer_load_dword v174, off, s[0:3], 0 offset:348
	buffer_load_dword v176, off, s[0:3], 0 offset:324
	;; [unrolled: 1-line block ×3, first 2 shown]
	ds_read_b128 v[1:4], v178 offset:976
	s_clause 0x4
	buffer_load_dword v186, off, s[0:3], 0 offset:364
	buffer_load_dword v187, off, s[0:3], 0 offset:376
	;; [unrolled: 1-line block ×5, first 2 shown]
	ds_read_b128 v[179:182], v178 offset:992
	s_mov_b32 s4, exec_lo
	s_waitcnt vmcnt(62) lgkmcnt(2)
	v_mul_f64 v[183:184], v[7:8], v[125:126]
	v_mul_f64 v[125:126], v[5:6], v[125:126]
	s_waitcnt vmcnt(60) lgkmcnt(1)
	v_mul_f64 v[190:191], v[3:4], v[121:122]
	v_mul_f64 v[121:122], v[1:2], v[121:122]
	;; [unrolled: 3-line block ×3, first 2 shown]
	v_fma_f64 v[183:184], v[5:6], v[123:124], -v[183:184]
	v_fma_f64 v[123:124], v[7:8], v[123:124], v[125:126]
	s_clause 0x2
	buffer_load_dword v188, off, s[0:3], 0 offset:380
	buffer_load_dword v126, off, s[0:3], 0 offset:356
	;; [unrolled: 1-line block ×3, first 2 shown]
	s_waitcnt vmcnt(57)
	v_fma_f64 v[194:195], v[1:2], v[117:118], -v[190:191]
	ds_read_b128 v[5:8], v178 offset:1008
	v_fma_f64 v[117:118], v[3:4], v[117:118], v[121:122]
	s_waitcnt vmcnt(51)
	v_fma_f64 v[179:180], v[179:180], v[141:142], -v[119:120]
	v_fma_f64 v[141:142], v[181:182], v[141:142], v[192:193]
	v_add_f64 v[183:184], v[183:184], 0
	v_add_f64 v[121:122], v[123:124], 0
	s_clause 0x4
	buffer_load_dword v124, off, s[0:3], 0 offset:396
	buffer_load_dword v191, off, s[0:3], 0 offset:408
	;; [unrolled: 1-line block ×5, first 2 shown]
	s_waitcnt lgkmcnt(0)
	v_mul_f64 v[197:198], v[5:6], v[129:130]
	v_mul_f64 v[129:130], v[7:8], v[129:130]
	ds_read_b128 v[1:4], v178 offset:1024
	s_clause 0x2
	buffer_load_dword v192, off, s[0:3], 0 offset:412
	buffer_load_dword v182, off, s[0:3], 0 offset:388
	;; [unrolled: 1-line block ×3, first 2 shown]
	v_add_f64 v[183:184], v[183:184], v[194:195]
	v_add_f64 v[121:122], v[121:122], v[117:118]
	ds_read_b128 v[117:120], v178 offset:1040
	s_waitcnt vmcnt(58) lgkmcnt(1)
	v_mul_f64 v[193:194], v[1:2], v[133:134]
	v_mul_f64 v[133:134], v[3:4], v[133:134]
	s_waitcnt vmcnt(56)
	v_fma_f64 v[129:130], v[5:6], v[135:136], -v[129:130]
	v_fma_f64 v[135:136], v[7:8], v[135:136], v[197:198]
	s_waitcnt vmcnt(52) lgkmcnt(0)
	v_mul_f64 v[199:200], v[117:118], v[137:138]
	v_add_f64 v[179:180], v[183:184], v[179:180]
	v_add_f64 v[121:122], v[121:122], v[141:142]
	s_clause 0x4
	buffer_load_dword v142, off, s[0:3], 0 offset:428
	buffer_load_dword v183, off, s[0:3], 0 offset:440
	;; [unrolled: 1-line block ×5, first 2 shown]
	v_mul_f64 v[137:138], v[119:120], v[137:138]
	s_waitcnt vmcnt(56)
	v_fma_f64 v[133:134], v[1:2], v[127:128], -v[133:134]
	ds_read_b128 v[5:8], v178 offset:1056
	v_fma_f64 v[127:128], v[3:4], v[127:128], v[193:194]
	v_add_f64 v[129:130], v[179:180], v[129:130]
	v_add_f64 v[121:122], v[121:122], v[135:136]
	s_clause 0x2
	buffer_load_dword v184, off, s[0:3], 0 offset:444
	buffer_load_dword v136, off, s[0:3], 0 offset:420
	;; [unrolled: 1-line block ×3, first 2 shown]
	s_waitcnt vmcnt(58) lgkmcnt(0)
	v_mul_f64 v[179:180], v[5:6], v[143:144]
	v_mul_f64 v[143:144], v[7:8], v[143:144]
	s_waitcnt vmcnt(56)
	v_fma_f64 v[137:138], v[117:118], v[145:146], -v[137:138]
	ds_read_b128 v[1:4], v178 offset:1072
	v_add_f64 v[129:130], v[129:130], v[133:134]
	v_fma_f64 v[133:134], v[119:120], v[145:146], v[199:200]
	v_add_f64 v[121:122], v[121:122], v[127:128]
	s_clause 0x4
	buffer_load_dword v128, off, s[0:3], 0 offset:460
	buffer_load_dword v145, off, s[0:3], 0 offset:472
	;; [unrolled: 1-line block ×5, first 2 shown]
	s_waitcnt vmcnt(57) lgkmcnt(0)
	v_mul_f64 v[194:195], v[1:2], v[147:148]
	v_mul_f64 v[147:148], v[3:4], v[147:148]
	s_waitcnt vmcnt(56)
	v_fma_f64 v[143:144], v[5:6], v[131:132], -v[143:144]
	ds_read_b128 v[117:120], v178 offset:1088
	v_fma_f64 v[131:132], v[7:8], v[131:132], v[179:180]
	v_add_f64 v[129:130], v[129:130], v[137:138]
	v_add_f64 v[121:122], v[121:122], v[133:134]
	s_clause 0x2
	buffer_load_dword v146, off, s[0:3], 0 offset:476
	buffer_load_dword v134, off, s[0:3], 0 offset:452
	;; [unrolled: 1-line block ×3, first 2 shown]
	ds_read_b128 v[5:8], v178 offset:1104
	s_waitcnt vmcnt(58) lgkmcnt(1)
	v_mul_f64 v[137:138], v[117:118], v[151:152]
	v_mul_f64 v[151:152], v[119:120], v[151:152]
	s_waitcnt vmcnt(56)
	v_fma_f64 v[147:148], v[1:2], v[153:154], -v[147:148]
	v_add_f64 v[129:130], v[129:130], v[143:144]
	v_fma_f64 v[143:144], v[3:4], v[153:154], v[194:195]
	v_add_f64 v[121:122], v[121:122], v[131:132]
	s_clause 0x4
	buffer_load_dword v132, off, s[0:3], 0 offset:492
	buffer_load_dword v153, off, s[0:3], 0 offset:504
	;; [unrolled: 1-line block ×5, first 2 shown]
	s_waitcnt vmcnt(57) lgkmcnt(0)
	v_mul_f64 v[200:201], v[5:6], v[155:156]
	v_mul_f64 v[155:156], v[7:8], v[155:156]
	s_waitcnt vmcnt(56)
	v_fma_f64 v[151:152], v[117:118], v[139:140], -v[151:152]
	ds_read_b128 v[1:4], v178 offset:1120
	v_fma_f64 v[137:138], v[119:120], v[139:140], v[137:138]
	s_clause 0x2
	buffer_load_dword v154, off, s[0:3], 0 offset:508
	buffer_load_dword v140, off, s[0:3], 0 offset:484
	;; [unrolled: 1-line block ×3, first 2 shown]
	ds_read_b128 v[117:120], v178 offset:1136
	v_add_f64 v[129:130], v[129:130], v[147:148]
	v_add_f64 v[121:122], v[121:122], v[143:144]
	s_waitcnt vmcnt(58) lgkmcnt(1)
	v_mul_f64 v[147:148], v[3:4], v[159:160]
	s_waitcnt vmcnt(56)
	v_fma_f64 v[155:156], v[5:6], v[161:162], -v[155:156]
	v_mul_f64 v[143:144], v[1:2], v[159:160]
	v_add_f64 v[129:130], v[129:130], v[151:152]
	v_fma_f64 v[151:152], v[7:8], v[161:162], v[200:201]
	v_add_f64 v[121:122], v[121:122], v[137:138]
	s_clause 0x4
	buffer_load_dword v138, off, s[0:3], 0 offset:524
	buffer_load_dword v159, off, s[0:3], 0 offset:536
	buffer_load_dword v161, off, s[0:3], 0 offset:528
	buffer_load_dword v137, off, s[0:3], 0 offset:520
	buffer_load_dword v180, off, s[0:3], 0 offset:500
	s_waitcnt vmcnt(57) lgkmcnt(0)
	v_mul_f64 v[200:201], v[117:118], v[163:164]
	v_mul_f64 v[162:163], v[119:120], v[163:164]
	s_waitcnt vmcnt(56)
	v_fma_f64 v[147:148], v[1:2], v[149:150], -v[147:148]
	ds_read_b128 v[5:8], v178 offset:1152
	v_fma_f64 v[143:144], v[3:4], v[149:150], v[143:144]
	s_clause 0x2
	buffer_load_dword v160, off, s[0:3], 0 offset:540
	buffer_load_dword v150, off, s[0:3], 0 offset:516
	;; [unrolled: 1-line block ×3, first 2 shown]
	ds_read_b128 v[1:4], v178 offset:1168
	v_add_f64 v[129:130], v[129:130], v[155:156]
	v_add_f64 v[121:122], v[121:122], v[151:152]
	s_waitcnt vmcnt(58) lgkmcnt(1)
	v_mul_f64 v[155:156], v[7:8], v[167:168]
	s_waitcnt vmcnt(56)
	v_fma_f64 v[163:164], v[117:118], v[169:170], -v[162:163]
	v_mul_f64 v[151:152], v[5:6], v[167:168]
	v_add_f64 v[129:130], v[129:130], v[147:148]
	v_fma_f64 v[147:148], v[119:120], v[169:170], v[200:201]
	v_add_f64 v[121:122], v[121:122], v[143:144]
	s_clause 0x4
	buffer_load_dword v144, off, s[0:3], 0 offset:556
	buffer_load_dword v167, off, s[0:3], 0 offset:568
	;; [unrolled: 1-line block ×5, first 2 shown]
	s_waitcnt vmcnt(57) lgkmcnt(0)
	v_mul_f64 v[200:201], v[1:2], v[171:172]
	v_mul_f64 v[170:171], v[3:4], v[171:172]
	s_waitcnt vmcnt(56)
	v_fma_f64 v[155:156], v[5:6], v[157:158], -v[155:156]
	ds_read_b128 v[117:120], v178 offset:1184
	v_fma_f64 v[151:152], v[7:8], v[157:158], v[151:152]
	v_add_f64 v[129:130], v[129:130], v[163:164]
	v_add_f64 v[121:122], v[121:122], v[147:148]
	s_clause 0x2
	buffer_load_dword v168, off, s[0:3], 0 offset:572
	buffer_load_dword v148, off, s[0:3], 0 offset:548
	;; [unrolled: 1-line block ×3, first 2 shown]
	ds_read_b128 v[5:8], v178 offset:1200
	s_waitcnt vmcnt(58) lgkmcnt(1)
	v_mul_f64 v[163:164], v[119:120], v[173:174]
	s_waitcnt vmcnt(56)
	v_fma_f64 v[171:172], v[1:2], v[175:176], -v[170:171]
	v_mul_f64 v[157:158], v[117:118], v[173:174]
	v_add_f64 v[129:130], v[129:130], v[155:156]
	v_fma_f64 v[155:156], v[3:4], v[175:176], v[200:201]
	v_add_f64 v[121:122], v[121:122], v[151:152]
	s_clause 0x4
	buffer_load_dword v152, off, s[0:3], 0 offset:588
	buffer_load_dword v173, off, s[0:3], 0 offset:600
	;; [unrolled: 1-line block ×5, first 2 shown]
	s_waitcnt vmcnt(57) lgkmcnt(0)
	v_mul_f64 v[200:201], v[5:6], v[185:186]
	v_mul_f64 v[185:186], v[7:8], v[185:186]
	s_waitcnt vmcnt(56)
	v_fma_f64 v[163:164], v[117:118], v[165:166], -v[163:164]
	ds_read_b128 v[1:4], v178 offset:1216
	v_fma_f64 v[157:158], v[119:120], v[165:166], v[157:158]
	v_add_f64 v[129:130], v[129:130], v[171:172]
	v_add_f64 v[121:122], v[121:122], v[155:156]
	s_clause 0x2
	buffer_load_dword v174, off, s[0:3], 0 offset:604
	buffer_load_dword v156, off, s[0:3], 0 offset:580
	;; [unrolled: 1-line block ×3, first 2 shown]
	ds_read_b128 v[117:120], v178 offset:1232
	s_waitcnt vmcnt(58) lgkmcnt(1)
	v_mul_f64 v[171:172], v[3:4], v[187:188]
	v_mul_f64 v[165:166], v[1:2], v[187:188]
	s_waitcnt vmcnt(56)
	v_fma_f64 v[185:186], v[5:6], v[125:126], -v[185:186]
	v_fma_f64 v[125:126], v[7:8], v[125:126], v[200:201]
	v_add_f64 v[129:130], v[129:130], v[163:164]
	v_add_f64 v[121:122], v[121:122], v[157:158]
	s_clause 0x4
	buffer_load_dword v158, off, s[0:3], 0 offset:620
	buffer_load_dword v163, off, s[0:3], 0 offset:632
	;; [unrolled: 1-line block ×5, first 2 shown]
	ds_read_b128 v[5:8], v178 offset:1248
	s_waitcnt vmcnt(57) lgkmcnt(1)
	v_mul_f64 v[200:201], v[117:118], v[123:124]
	v_mul_f64 v[123:124], v[119:120], v[123:124]
	s_waitcnt vmcnt(56)
	v_fma_f64 v[171:172], v[1:2], v[189:190], -v[171:172]
	v_fma_f64 v[165:166], v[3:4], v[189:190], v[165:166]
	v_add_f64 v[129:130], v[129:130], v[185:186]
	v_add_f64 v[121:122], v[121:122], v[125:126]
	s_clause 0x2
	buffer_load_dword v164, off, s[0:3], 0 offset:636
	buffer_load_dword v126, off, s[0:3], 0 offset:612
	;; [unrolled: 1-line block ×3, first 2 shown]
	s_waitcnt vmcnt(58) lgkmcnt(0)
	v_mul_f64 v[189:190], v[7:8], v[191:192]
	ds_read_b128 v[1:4], v178 offset:1264
	v_mul_f64 v[185:186], v[5:6], v[191:192]
	s_waitcnt vmcnt(56)
	v_fma_f64 v[123:124], v[117:118], v[181:182], -v[123:124]
	v_add_f64 v[129:130], v[129:130], v[171:172]
	v_fma_f64 v[171:172], v[119:120], v[181:182], v[200:201]
	v_add_f64 v[121:122], v[121:122], v[165:166]
	s_clause 0x4
	buffer_load_dword v166, off, s[0:3], 0 offset:652
	buffer_load_dword v181, off, s[0:3], 0 offset:664
	buffer_load_dword v191, off, s[0:3], 0 offset:656
	buffer_load_dword v165, off, s[0:3], 0 offset:648
	buffer_load_dword v188, off, s[0:3], 0 offset:628
	ds_read_b128 v[117:120], v178 offset:1280
	s_waitcnt vmcnt(57) lgkmcnt(1)
	v_mul_f64 v[200:201], v[1:2], v[141:142]
	v_mul_f64 v[141:142], v[3:4], v[141:142]
	s_waitcnt vmcnt(56)
	v_fma_f64 v[189:190], v[5:6], v[196:197], -v[189:190]
	v_add_f64 v[123:124], v[129:130], v[123:124]
	v_fma_f64 v[129:130], v[7:8], v[196:197], v[185:186]
	v_add_f64 v[121:122], v[121:122], v[171:172]
	s_clause 0x2
	buffer_load_dword v182, off, s[0:3], 0 offset:668
	buffer_load_dword v172, off, s[0:3], 0 offset:644
	;; [unrolled: 1-line block ×3, first 2 shown]
	ds_read_b128 v[5:8], v178 offset:1296
	s_waitcnt vmcnt(58) lgkmcnt(1)
	v_mul_f64 v[185:186], v[117:118], v[183:184]
	v_mul_f64 v[183:184], v[119:120], v[183:184]
	s_waitcnt vmcnt(56)
	v_fma_f64 v[141:142], v[1:2], v[135:136], -v[141:142]
	v_fma_f64 v[135:136], v[3:4], v[135:136], v[200:201]
	v_add_f64 v[123:124], v[123:124], v[189:190]
	v_add_f64 v[121:122], v[121:122], v[129:130]
	s_clause 0x4
	buffer_load_dword v130, off, s[0:3], 0 offset:684
	buffer_load_dword v189, off, s[0:3], 0 offset:696
	;; [unrolled: 1-line block ×5, first 2 shown]
	ds_read_b128 v[1:4], v178 offset:1312
	s_waitcnt vmcnt(57) lgkmcnt(1)
	v_mul_f64 v[196:197], v[5:6], v[127:128]
	v_mul_f64 v[127:128], v[7:8], v[127:128]
	s_waitcnt vmcnt(56)
	v_fma_f64 v[183:184], v[117:118], v[198:199], -v[183:184]
	v_add_f64 v[123:124], v[123:124], v[141:142]
	v_fma_f64 v[141:142], v[119:120], v[198:199], v[185:186]
	v_add_f64 v[121:122], v[121:122], v[135:136]
	s_clause 0x2
	buffer_load_dword v190, off, s[0:3], 0 offset:700
	buffer_load_dword v136, off, s[0:3], 0 offset:676
	;; [unrolled: 1-line block ×3, first 2 shown]
	ds_read_b128 v[117:120], v178 offset:1328
	s_waitcnt vmcnt(58) lgkmcnt(1)
	v_mul_f64 v[185:186], v[1:2], v[145:146]
	v_mul_f64 v[145:146], v[3:4], v[145:146]
	s_waitcnt vmcnt(56)
	v_fma_f64 v[127:128], v[5:6], v[133:134], -v[127:128]
	v_fma_f64 v[133:134], v[7:8], v[133:134], v[196:197]
	v_add_f64 v[123:124], v[123:124], v[183:184]
	v_add_f64 v[121:122], v[121:122], v[141:142]
	s_clause 0x4
	buffer_load_dword v142, off, s[0:3], 0 offset:716
	buffer_load_dword v183, off, s[0:3], 0 offset:728
	;; [unrolled: 1-line block ×5, first 2 shown]
	ds_read_b128 v[5:8], v178 offset:1344
	s_waitcnt vmcnt(57) lgkmcnt(1)
	v_mul_f64 v[198:199], v[117:118], v[131:132]
	v_mul_f64 v[131:132], v[119:120], v[131:132]
	s_waitcnt vmcnt(56)
	v_fma_f64 v[145:146], v[1:2], v[193:194], -v[145:146]
	v_add_f64 v[123:124], v[123:124], v[127:128]
	v_fma_f64 v[127:128], v[3:4], v[193:194], v[185:186]
	v_add_f64 v[121:122], v[121:122], v[133:134]
	s_clause 0x2
	buffer_load_dword v184, off, s[0:3], 0 offset:732
	buffer_load_dword v134, off, s[0:3], 0 offset:708
	;; [unrolled: 1-line block ×3, first 2 shown]
	s_waitcnt vmcnt(58) lgkmcnt(0)
	v_mul_f64 v[185:186], v[5:6], v[153:154]
	v_mul_f64 v[153:154], v[7:8], v[153:154]
	ds_read_b128 v[1:4], v178 offset:1360
	s_waitcnt vmcnt(56)
	v_fma_f64 v[131:132], v[117:118], v[139:140], -v[131:132]
	v_fma_f64 v[139:140], v[119:120], v[139:140], v[198:199]
	v_add_f64 v[123:124], v[123:124], v[145:146]
	v_add_f64 v[121:122], v[121:122], v[127:128]
	s_clause 0x4
	buffer_load_dword v128, off, s[0:3], 0 offset:748
	buffer_load_dword v145, off, s[0:3], 0 offset:760
	;; [unrolled: 1-line block ×5, first 2 shown]
	ds_read_b128 v[117:120], v178 offset:1376
	s_waitcnt vmcnt(57) lgkmcnt(1)
	v_mul_f64 v[199:200], v[1:2], v[137:138]
	v_mul_f64 v[137:138], v[3:4], v[137:138]
	s_waitcnt vmcnt(56)
	v_fma_f64 v[153:154], v[5:6], v[179:180], -v[153:154]
	v_add_f64 v[123:124], v[123:124], v[131:132]
	v_fma_f64 v[131:132], v[7:8], v[179:180], v[185:186]
	v_add_f64 v[121:122], v[121:122], v[139:140]
	s_clause 0x2
	buffer_load_dword v146, off, s[0:3], 0 offset:764
	buffer_load_dword v140, off, s[0:3], 0 offset:740
	;; [unrolled: 1-line block ×3, first 2 shown]
	s_waitcnt vmcnt(58) lgkmcnt(0)
	v_mul_f64 v[179:180], v[117:118], v[159:160]
	v_mul_f64 v[159:160], v[119:120], v[159:160]
	ds_read_b128 v[5:8], v178 offset:1392
	s_waitcnt vmcnt(56)
	v_fma_f64 v[137:138], v[1:2], v[149:150], -v[137:138]
	v_fma_f64 v[149:150], v[3:4], v[149:150], v[199:200]
	v_add_f64 v[123:124], v[123:124], v[153:154]
	v_add_f64 v[121:122], v[121:122], v[131:132]
	s_clause 0x4
	buffer_load_dword v132, off, s[0:3], 0 offset:780
	buffer_load_dword v153, off, s[0:3], 0 offset:792
	buffer_load_dword v185, off, s[0:3], 0 offset:784
	buffer_load_dword v131, off, s[0:3], 0 offset:776
	buffer_load_dword v194, off, s[0:3], 0 offset:756
	ds_read_b128 v[1:4], v178 offset:1408
	s_waitcnt vmcnt(57) lgkmcnt(1)
	v_mul_f64 v[199:200], v[5:6], v[143:144]
	v_mul_f64 v[143:144], v[7:8], v[143:144]
	s_waitcnt vmcnt(56)
	v_fma_f64 v[159:160], v[117:118], v[161:162], -v[159:160]
	v_add_f64 v[123:124], v[123:124], v[137:138]
	v_fma_f64 v[137:138], v[119:120], v[161:162], v[179:180]
	v_add_f64 v[121:122], v[121:122], v[149:150]
	s_clause 0x2
	buffer_load_dword v154, off, s[0:3], 0 offset:796
	buffer_load_dword v150, off, s[0:3], 0 offset:772
	buffer_load_dword v149, off, s[0:3], 0 offset:768
	ds_read_b128 v[117:120], v178 offset:1424
	s_waitcnt vmcnt(58) lgkmcnt(1)
	v_mul_f64 v[161:162], v[1:2], v[167:168]
	v_mul_f64 v[167:168], v[3:4], v[167:168]
	s_waitcnt vmcnt(56)
	v_fma_f64 v[143:144], v[5:6], v[147:148], -v[143:144]
	v_fma_f64 v[147:148], v[7:8], v[147:148], v[199:200]
	v_add_f64 v[123:124], v[123:124], v[159:160]
	v_add_f64 v[121:122], v[121:122], v[137:138]
	s_clause 0x4
	buffer_load_dword v138, off, s[0:3], 0 offset:812
	buffer_load_dword v159, off, s[0:3], 0 offset:824
	buffer_load_dword v179, off, s[0:3], 0 offset:816
	buffer_load_dword v137, off, s[0:3], 0 offset:808
	buffer_load_dword v186, off, s[0:3], 0 offset:788
	ds_read_b128 v[5:8], v178 offset:1440
	s_waitcnt vmcnt(57) lgkmcnt(1)
	v_mul_f64 v[199:200], v[117:118], v[151:152]
	v_mul_f64 v[151:152], v[119:120], v[151:152]
	s_waitcnt vmcnt(56)
	v_fma_f64 v[167:168], v[1:2], v[169:170], -v[167:168]
	v_add_f64 v[123:124], v[123:124], v[143:144]
	v_fma_f64 v[143:144], v[3:4], v[169:170], v[161:162]
	v_add_f64 v[121:122], v[121:122], v[147:148]
	s_clause 0x2
	buffer_load_dword v160, off, s[0:3], 0 offset:828
	buffer_load_dword v148, off, s[0:3], 0 offset:804
	buffer_load_dword v147, off, s[0:3], 0 offset:800
	ds_read_b128 v[1:4], v178 offset:1456
	s_waitcnt vmcnt(58) lgkmcnt(1)
	v_mul_f64 v[169:170], v[7:8], v[173:174]
	v_mul_f64 v[161:162], v[5:6], v[173:174]
	;; [unrolled: 28-line block ×3, first 2 shown]
	s_waitcnt vmcnt(56)
	v_fma_f64 v[157:158], v[1:2], v[125:126], -v[157:158]
	v_fma_f64 v[125:126], v[3:4], v[125:126], v[199:200]
	v_add_f64 v[123:124], v[123:124], v[169:170]
	v_add_f64 v[121:122], v[121:122], v[151:152]
	s_clause 0x2
	buffer_load_dword v152, off, s[0:3], 0 offset:876
	buffer_load_dword v151, off, s[0:3], 0 offset:872
	;; [unrolled: 1-line block ×3, first 2 shown]
	ds_read_b128 v[1:4], v178 offset:1504
	s_waitcnt vmcnt(55) lgkmcnt(1)
	v_mul_f64 v[169:170], v[5:6], v[165:166]
	v_mul_f64 v[165:166], v[7:8], v[165:166]
	s_waitcnt vmcnt(54)
	v_fma_f64 v[163:164], v[117:118], v[187:188], -v[163:164]
	v_add_f64 v[123:124], v[123:124], v[157:158]
	v_fma_f64 v[157:158], v[119:120], v[187:188], v[161:162]
	v_add_f64 v[121:122], v[121:122], v[125:126]
	s_clause 0x1
	buffer_load_dword v126, off, s[0:3], 0 offset:868
	buffer_load_dword v125, off, s[0:3], 0 offset:864
	ds_read_b128 v[117:120], v178 offset:1520
	s_waitcnt vmcnt(55) lgkmcnt(1)
	v_mul_f64 v[175:176], v[3:4], v[181:182]
	v_mul_f64 v[161:162], v[1:2], v[181:182]
	s_waitcnt vmcnt(53)
	v_fma_f64 v[165:166], v[5:6], v[171:172], -v[165:166]
	v_add_f64 v[123:124], v[123:124], v[163:164]
	v_fma_f64 v[163:164], v[7:8], v[171:172], v[169:170]
	v_add_f64 v[121:122], v[121:122], v[157:158]
	ds_read_b128 v[5:8], v178 offset:1536
	s_waitcnt vmcnt(49) lgkmcnt(1)
	v_mul_f64 v[157:158], v[117:118], v[129:130]
	v_mul_f64 v[129:130], v[119:120], v[129:130]
	s_waitcnt vmcnt(48)
	v_fma_f64 v[169:170], v[1:2], v[191:192], -v[175:176]
	v_fma_f64 v[161:162], v[3:4], v[191:192], v[161:162]
	v_add_f64 v[123:124], v[123:124], v[165:166]
	v_add_f64 v[121:122], v[121:122], v[163:164]
	s_clause 0x3
	buffer_load_dword v163, off, s[0:3], 0 offset:96
	buffer_load_dword v164, off, s[0:3], 0 offset:100
	;; [unrolled: 1-line block ×4, first 2 shown]
	ds_read_b128 v[1:4], v178 offset:1552
	s_waitcnt vmcnt(51) lgkmcnt(1)
	v_mul_f64 v[175:176], v[7:8], v[189:190]
	v_mul_f64 v[171:172], v[5:6], v[189:190]
	s_waitcnt vmcnt(49)
	v_fma_f64 v[129:130], v[117:118], v[135:136], -v[129:130]
	v_fma_f64 v[135:136], v[119:120], v[135:136], v[157:158]
	ds_read_b128 v[117:120], v178 offset:1568
	v_add_f64 v[123:124], v[123:124], v[169:170]
	v_add_f64 v[121:122], v[121:122], v[161:162]
	s_waitcnt vmcnt(45) lgkmcnt(1)
	v_mul_f64 v[157:158], v[1:2], v[141:142]
	v_mul_f64 v[141:142], v[3:4], v[141:142]
	s_waitcnt vmcnt(44)
	v_fma_f64 v[161:162], v[5:6], v[195:196], -v[175:176]
	v_add_f64 v[123:124], v[123:124], v[129:130]
	v_fma_f64 v[129:130], v[7:8], v[195:196], v[171:172]
	v_add_f64 v[121:122], v[121:122], v[135:136]
	ds_read_b128 v[5:8], v178 offset:1584
	s_waitcnt vmcnt(43) lgkmcnt(1)
	v_mul_f64 v[169:170], v[119:120], v[183:184]
	v_mul_f64 v[135:136], v[117:118], v[183:184]
	s_waitcnt vmcnt(41)
	v_fma_f64 v[141:142], v[1:2], v[133:134], -v[141:142]
	v_fma_f64 v[133:134], v[3:4], v[133:134], v[157:158]
	ds_read_b128 v[1:4], v178 offset:1600
	v_add_f64 v[123:124], v[123:124], v[161:162]
	v_add_f64 v[121:122], v[121:122], v[129:130]
	s_waitcnt vmcnt(37) lgkmcnt(1)
	v_mul_f64 v[129:130], v[5:6], v[127:128]
	v_mul_f64 v[127:128], v[7:8], v[127:128]
	s_waitcnt vmcnt(36)
	v_fma_f64 v[157:158], v[117:118], v[197:198], -v[169:170]
	v_fma_f64 v[135:136], v[119:120], v[197:198], v[135:136]
	ds_read_b128 v[117:120], v178 offset:1616
	v_add_f64 v[123:124], v[123:124], v[141:142]
	v_add_f64 v[121:122], v[121:122], v[133:134]
	;; [unrolled: 9-line block ×3, first 2 shown]
	s_waitcnt vmcnt(29) lgkmcnt(1)
	v_mul_f64 v[135:136], v[117:118], v[131:132]
	v_mul_f64 v[131:132], v[119:120], v[131:132]
	s_waitcnt vmcnt(28)
	v_fma_f64 v[139:140], v[1:2], v[193:194], -v[141:142]
	v_add_f64 v[123:124], v[123:124], v[127:128]
	v_fma_f64 v[127:128], v[3:4], v[193:194], v[133:134]
	v_add_f64 v[121:122], v[121:122], v[129:130]
	ds_read_b128 v[1:4], v178 offset:1648
	s_waitcnt vmcnt(27) lgkmcnt(1)
	v_mul_f64 v[133:134], v[7:8], v[153:154]
	v_mul_f64 v[129:130], v[5:6], v[153:154]
	s_waitcnt vmcnt(25)
	v_fma_f64 v[131:132], v[117:118], v[149:150], -v[131:132]
	v_fma_f64 v[135:136], v[119:120], v[149:150], v[135:136]
	ds_read_b128 v[117:120], v178 offset:1664
	v_add_f64 v[123:124], v[123:124], v[139:140]
	v_add_f64 v[121:122], v[121:122], v[127:128]
	s_waitcnt vmcnt(21) lgkmcnt(1)
	v_mul_f64 v[127:128], v[1:2], v[137:138]
	v_mul_f64 v[137:138], v[3:4], v[137:138]
	s_waitcnt vmcnt(20)
	v_fma_f64 v[133:134], v[5:6], v[185:186], -v[133:134]
	v_fma_f64 v[129:130], v[7:8], v[185:186], v[129:130]
	ds_read_b128 v[5:8], v178 offset:1680
	v_add_f64 v[123:124], v[123:124], v[131:132]
	v_add_f64 v[121:122], v[121:122], v[135:136]
	;; [unrolled: 9-line block ×3, first 2 shown]
	s_waitcnt vmcnt(13) lgkmcnt(1)
	v_mul_f64 v[133:134], v[7:8], v[143:144]
	s_waitcnt vmcnt(12)
	v_fma_f64 v[135:136], v[117:118], v[179:180], -v[135:136]
	v_mul_f64 v[129:130], v[5:6], v[143:144]
	v_fma_f64 v[131:132], v[119:120], v[179:180], v[131:132]
	ds_read_b128 v[117:120], v178 offset:1712
	v_add_f64 v[123:124], v[123:124], v[137:138]
	v_add_f64 v[121:122], v[121:122], v[127:128]
	s_waitcnt vmcnt(11) lgkmcnt(1)
	v_mul_f64 v[137:138], v[3:4], v[167:168]
	v_mul_f64 v[127:128], v[1:2], v[167:168]
	s_waitcnt vmcnt(9)
	v_fma_f64 v[5:6], v[5:6], v[155:156], -v[133:134]
	v_fma_f64 v[7:8], v[7:8], v[155:156], v[129:130]
	v_add_f64 v[123:124], v[123:124], v[135:136]
	v_add_f64 v[121:122], v[121:122], v[131:132]
	s_waitcnt vmcnt(7) lgkmcnt(0)
	v_mul_f64 v[131:132], v[119:120], v[151:152]
	s_waitcnt vmcnt(6)
	v_fma_f64 v[1:2], v[1:2], v[173:174], -v[137:138]
	v_mul_f64 v[129:130], v[117:118], v[151:152]
	v_fma_f64 v[3:4], v[3:4], v[173:174], v[127:128]
	v_add_f64 v[5:6], v[123:124], v[5:6]
	v_add_f64 v[7:8], v[121:122], v[7:8]
	s_waitcnt vmcnt(4)
	v_fma_f64 v[117:118], v[117:118], v[125:126], -v[131:132]
	v_add_f64 v[1:2], v[5:6], v[1:2]
	v_fma_f64 v[5:6], v[119:120], v[125:126], v[129:130]
	v_add_f64 v[3:4], v[7:8], v[3:4]
	v_add_f64 v[1:2], v[1:2], v[117:118]
	;; [unrolled: 1-line block ×3, first 2 shown]
	s_waitcnt vmcnt(2)
	v_add_f64 v[1:2], v[163:164], -v[1:2]
	s_waitcnt vmcnt(0)
	v_add_f64 v[3:4], v[165:166], -v[3:4]
	buffer_store_dword v2, off, s[0:3], 0 offset:100
	buffer_store_dword v1, off, s[0:3], 0 offset:96
	;; [unrolled: 1-line block ×4, first 2 shown]
	v_cmpx_lt_u32_e32 4, v0
	s_cbranch_execz .LBB117_329
; %bb.328:
	v_mov_b32_e32 v4, s62
	v_mov_b32_e32 v5, 0
	s_clause 0x3
	buffer_load_dword v1, v4, s[0:3], 0 offen
	buffer_load_dword v2, v4, s[0:3], 0 offen offset:4
	buffer_load_dword v3, v4, s[0:3], 0 offen offset:8
	;; [unrolled: 1-line block ×3, first 2 shown]
	buffer_store_dword v5, off, s[0:3], 0 offset:80
	buffer_store_dword v5, off, s[0:3], 0 offset:84
	buffer_store_dword v5, off, s[0:3], 0 offset:88
	buffer_store_dword v5, off, s[0:3], 0 offset:92
	s_waitcnt vmcnt(0)
	ds_write_b128 v177, v[1:4]
.LBB117_329:
	s_or_b32 exec_lo, exec_lo, s4
	s_waitcnt lgkmcnt(0)
	s_waitcnt_vscnt null, 0x0
	s_barrier
	buffer_gl0_inv
	s_clause 0x37
	buffer_load_dword v125, off, s[0:3], 0 offset:104
	buffer_load_dword v126, off, s[0:3], 0 offset:108
	;; [unrolled: 1-line block ×56, first 2 shown]
	v_mov_b32_e32 v178, 0
	s_mov_b32 s4, exec_lo
	ds_read_b128 v[5:8], v178 offset:944
	s_clause 0x2
	buffer_load_dword v174, off, s[0:3], 0 offset:332
	buffer_load_dword v176, off, s[0:3], 0 offset:308
	;; [unrolled: 1-line block ×3, first 2 shown]
	ds_read_b128 v[1:4], v178 offset:960
	s_clause 0x4
	buffer_load_dword v186, off, s[0:3], 0 offset:348
	buffer_load_dword v187, off, s[0:3], 0 offset:360
	;; [unrolled: 1-line block ×5, first 2 shown]
	ds_read_b128 v[179:182], v178 offset:976
	s_waitcnt vmcnt(62) lgkmcnt(2)
	v_mul_f64 v[183:184], v[7:8], v[125:126]
	v_mul_f64 v[125:126], v[5:6], v[125:126]
	s_waitcnt vmcnt(60) lgkmcnt(1)
	v_mul_f64 v[190:191], v[3:4], v[121:122]
	v_mul_f64 v[121:122], v[1:2], v[121:122]
	;; [unrolled: 3-line block ×3, first 2 shown]
	v_fma_f64 v[183:184], v[5:6], v[123:124], -v[183:184]
	v_fma_f64 v[123:124], v[7:8], v[123:124], v[125:126]
	s_clause 0x2
	buffer_load_dword v188, off, s[0:3], 0 offset:364
	buffer_load_dword v126, off, s[0:3], 0 offset:340
	;; [unrolled: 1-line block ×3, first 2 shown]
	s_waitcnt vmcnt(57)
	v_fma_f64 v[194:195], v[1:2], v[117:118], -v[190:191]
	ds_read_b128 v[5:8], v178 offset:992
	v_fma_f64 v[117:118], v[3:4], v[117:118], v[121:122]
	s_waitcnt vmcnt(51)
	v_fma_f64 v[179:180], v[179:180], v[141:142], -v[119:120]
	v_fma_f64 v[141:142], v[181:182], v[141:142], v[192:193]
	v_add_f64 v[183:184], v[183:184], 0
	v_add_f64 v[121:122], v[123:124], 0
	s_clause 0x4
	buffer_load_dword v124, off, s[0:3], 0 offset:380
	buffer_load_dword v191, off, s[0:3], 0 offset:392
	;; [unrolled: 1-line block ×5, first 2 shown]
	s_waitcnt lgkmcnt(0)
	v_mul_f64 v[197:198], v[5:6], v[129:130]
	v_mul_f64 v[129:130], v[7:8], v[129:130]
	ds_read_b128 v[1:4], v178 offset:1008
	s_clause 0x2
	buffer_load_dword v192, off, s[0:3], 0 offset:396
	buffer_load_dword v182, off, s[0:3], 0 offset:372
	;; [unrolled: 1-line block ×3, first 2 shown]
	v_add_f64 v[183:184], v[183:184], v[194:195]
	v_add_f64 v[121:122], v[121:122], v[117:118]
	ds_read_b128 v[117:120], v178 offset:1024
	s_waitcnt vmcnt(58) lgkmcnt(1)
	v_mul_f64 v[193:194], v[1:2], v[133:134]
	v_mul_f64 v[133:134], v[3:4], v[133:134]
	s_waitcnt vmcnt(56)
	v_fma_f64 v[129:130], v[5:6], v[135:136], -v[129:130]
	v_fma_f64 v[135:136], v[7:8], v[135:136], v[197:198]
	s_waitcnt vmcnt(52) lgkmcnt(0)
	v_mul_f64 v[199:200], v[117:118], v[137:138]
	v_add_f64 v[179:180], v[183:184], v[179:180]
	v_add_f64 v[121:122], v[121:122], v[141:142]
	s_clause 0x4
	buffer_load_dword v142, off, s[0:3], 0 offset:412
	buffer_load_dword v183, off, s[0:3], 0 offset:424
	;; [unrolled: 1-line block ×5, first 2 shown]
	v_mul_f64 v[137:138], v[119:120], v[137:138]
	s_waitcnt vmcnt(56)
	v_fma_f64 v[133:134], v[1:2], v[127:128], -v[133:134]
	ds_read_b128 v[5:8], v178 offset:1040
	v_fma_f64 v[127:128], v[3:4], v[127:128], v[193:194]
	v_add_f64 v[129:130], v[179:180], v[129:130]
	v_add_f64 v[121:122], v[121:122], v[135:136]
	s_clause 0x2
	buffer_load_dword v184, off, s[0:3], 0 offset:428
	buffer_load_dword v136, off, s[0:3], 0 offset:404
	;; [unrolled: 1-line block ×3, first 2 shown]
	s_waitcnt vmcnt(58) lgkmcnt(0)
	v_mul_f64 v[179:180], v[5:6], v[143:144]
	v_mul_f64 v[143:144], v[7:8], v[143:144]
	s_waitcnt vmcnt(56)
	v_fma_f64 v[137:138], v[117:118], v[145:146], -v[137:138]
	ds_read_b128 v[1:4], v178 offset:1056
	v_add_f64 v[129:130], v[129:130], v[133:134]
	v_fma_f64 v[133:134], v[119:120], v[145:146], v[199:200]
	v_add_f64 v[121:122], v[121:122], v[127:128]
	s_clause 0x4
	buffer_load_dword v128, off, s[0:3], 0 offset:444
	buffer_load_dword v145, off, s[0:3], 0 offset:456
	buffer_load_dword v193, off, s[0:3], 0 offset:448
	buffer_load_dword v127, off, s[0:3], 0 offset:440
	buffer_load_dword v199, off, s[0:3], 0 offset:420
	s_waitcnt vmcnt(57) lgkmcnt(0)
	v_mul_f64 v[194:195], v[1:2], v[147:148]
	v_mul_f64 v[147:148], v[3:4], v[147:148]
	s_waitcnt vmcnt(56)
	v_fma_f64 v[143:144], v[5:6], v[131:132], -v[143:144]
	ds_read_b128 v[117:120], v178 offset:1072
	v_fma_f64 v[131:132], v[7:8], v[131:132], v[179:180]
	v_add_f64 v[129:130], v[129:130], v[137:138]
	v_add_f64 v[121:122], v[121:122], v[133:134]
	s_clause 0x2
	buffer_load_dword v146, off, s[0:3], 0 offset:460
	buffer_load_dword v134, off, s[0:3], 0 offset:436
	;; [unrolled: 1-line block ×3, first 2 shown]
	ds_read_b128 v[5:8], v178 offset:1088
	s_waitcnt vmcnt(58) lgkmcnt(1)
	v_mul_f64 v[137:138], v[117:118], v[151:152]
	v_mul_f64 v[151:152], v[119:120], v[151:152]
	s_waitcnt vmcnt(56)
	v_fma_f64 v[147:148], v[1:2], v[153:154], -v[147:148]
	v_add_f64 v[129:130], v[129:130], v[143:144]
	v_fma_f64 v[143:144], v[3:4], v[153:154], v[194:195]
	v_add_f64 v[121:122], v[121:122], v[131:132]
	s_clause 0x4
	buffer_load_dword v132, off, s[0:3], 0 offset:476
	buffer_load_dword v153, off, s[0:3], 0 offset:488
	;; [unrolled: 1-line block ×5, first 2 shown]
	s_waitcnt vmcnt(57) lgkmcnt(0)
	v_mul_f64 v[200:201], v[5:6], v[155:156]
	v_mul_f64 v[155:156], v[7:8], v[155:156]
	s_waitcnt vmcnt(56)
	v_fma_f64 v[151:152], v[117:118], v[139:140], -v[151:152]
	ds_read_b128 v[1:4], v178 offset:1104
	v_fma_f64 v[137:138], v[119:120], v[139:140], v[137:138]
	s_clause 0x2
	buffer_load_dword v154, off, s[0:3], 0 offset:492
	buffer_load_dword v140, off, s[0:3], 0 offset:468
	;; [unrolled: 1-line block ×3, first 2 shown]
	ds_read_b128 v[117:120], v178 offset:1120
	v_add_f64 v[129:130], v[129:130], v[147:148]
	v_add_f64 v[121:122], v[121:122], v[143:144]
	s_waitcnt vmcnt(58) lgkmcnt(1)
	v_mul_f64 v[147:148], v[3:4], v[159:160]
	s_waitcnt vmcnt(56)
	v_fma_f64 v[155:156], v[5:6], v[161:162], -v[155:156]
	v_mul_f64 v[143:144], v[1:2], v[159:160]
	v_add_f64 v[129:130], v[129:130], v[151:152]
	v_fma_f64 v[151:152], v[7:8], v[161:162], v[200:201]
	v_add_f64 v[121:122], v[121:122], v[137:138]
	s_clause 0x4
	buffer_load_dword v138, off, s[0:3], 0 offset:508
	buffer_load_dword v159, off, s[0:3], 0 offset:520
	;; [unrolled: 1-line block ×5, first 2 shown]
	s_waitcnt vmcnt(57) lgkmcnt(0)
	v_mul_f64 v[200:201], v[117:118], v[163:164]
	v_mul_f64 v[162:163], v[119:120], v[163:164]
	s_waitcnt vmcnt(56)
	v_fma_f64 v[147:148], v[1:2], v[149:150], -v[147:148]
	ds_read_b128 v[5:8], v178 offset:1136
	v_fma_f64 v[143:144], v[3:4], v[149:150], v[143:144]
	s_clause 0x2
	buffer_load_dword v160, off, s[0:3], 0 offset:524
	buffer_load_dword v150, off, s[0:3], 0 offset:500
	;; [unrolled: 1-line block ×3, first 2 shown]
	ds_read_b128 v[1:4], v178 offset:1152
	v_add_f64 v[129:130], v[129:130], v[155:156]
	v_add_f64 v[121:122], v[121:122], v[151:152]
	s_waitcnt vmcnt(58) lgkmcnt(1)
	v_mul_f64 v[155:156], v[7:8], v[167:168]
	s_waitcnt vmcnt(56)
	v_fma_f64 v[163:164], v[117:118], v[169:170], -v[162:163]
	v_mul_f64 v[151:152], v[5:6], v[167:168]
	v_add_f64 v[129:130], v[129:130], v[147:148]
	v_fma_f64 v[147:148], v[119:120], v[169:170], v[200:201]
	v_add_f64 v[121:122], v[121:122], v[143:144]
	s_clause 0x4
	buffer_load_dword v144, off, s[0:3], 0 offset:540
	buffer_load_dword v167, off, s[0:3], 0 offset:552
	buffer_load_dword v169, off, s[0:3], 0 offset:544
	buffer_load_dword v143, off, s[0:3], 0 offset:536
	buffer_load_dword v162, off, s[0:3], 0 offset:516
	s_waitcnt vmcnt(57) lgkmcnt(0)
	v_mul_f64 v[200:201], v[1:2], v[171:172]
	v_mul_f64 v[170:171], v[3:4], v[171:172]
	s_waitcnt vmcnt(56)
	v_fma_f64 v[155:156], v[5:6], v[157:158], -v[155:156]
	ds_read_b128 v[117:120], v178 offset:1168
	v_fma_f64 v[151:152], v[7:8], v[157:158], v[151:152]
	v_add_f64 v[129:130], v[129:130], v[163:164]
	v_add_f64 v[121:122], v[121:122], v[147:148]
	s_clause 0x2
	buffer_load_dword v168, off, s[0:3], 0 offset:556
	buffer_load_dword v148, off, s[0:3], 0 offset:532
	;; [unrolled: 1-line block ×3, first 2 shown]
	ds_read_b128 v[5:8], v178 offset:1184
	s_waitcnt vmcnt(58) lgkmcnt(1)
	v_mul_f64 v[163:164], v[119:120], v[173:174]
	s_waitcnt vmcnt(56)
	v_fma_f64 v[171:172], v[1:2], v[175:176], -v[170:171]
	v_mul_f64 v[157:158], v[117:118], v[173:174]
	v_add_f64 v[129:130], v[129:130], v[155:156]
	v_fma_f64 v[155:156], v[3:4], v[175:176], v[200:201]
	v_add_f64 v[121:122], v[121:122], v[151:152]
	s_clause 0x4
	buffer_load_dword v152, off, s[0:3], 0 offset:572
	buffer_load_dword v173, off, s[0:3], 0 offset:584
	;; [unrolled: 1-line block ×5, first 2 shown]
	s_waitcnt vmcnt(57) lgkmcnt(0)
	v_mul_f64 v[200:201], v[5:6], v[185:186]
	v_mul_f64 v[185:186], v[7:8], v[185:186]
	s_waitcnt vmcnt(56)
	v_fma_f64 v[163:164], v[117:118], v[165:166], -v[163:164]
	ds_read_b128 v[1:4], v178 offset:1200
	v_fma_f64 v[157:158], v[119:120], v[165:166], v[157:158]
	v_add_f64 v[129:130], v[129:130], v[171:172]
	v_add_f64 v[121:122], v[121:122], v[155:156]
	s_clause 0x2
	buffer_load_dword v174, off, s[0:3], 0 offset:588
	buffer_load_dword v156, off, s[0:3], 0 offset:564
	;; [unrolled: 1-line block ×3, first 2 shown]
	ds_read_b128 v[117:120], v178 offset:1216
	s_waitcnt vmcnt(58) lgkmcnt(1)
	v_mul_f64 v[171:172], v[3:4], v[187:188]
	v_mul_f64 v[165:166], v[1:2], v[187:188]
	s_waitcnt vmcnt(56)
	v_fma_f64 v[185:186], v[5:6], v[125:126], -v[185:186]
	v_fma_f64 v[125:126], v[7:8], v[125:126], v[200:201]
	v_add_f64 v[129:130], v[129:130], v[163:164]
	v_add_f64 v[121:122], v[121:122], v[157:158]
	s_clause 0x4
	buffer_load_dword v158, off, s[0:3], 0 offset:604
	buffer_load_dword v163, off, s[0:3], 0 offset:616
	;; [unrolled: 1-line block ×5, first 2 shown]
	ds_read_b128 v[5:8], v178 offset:1232
	s_waitcnt vmcnt(57) lgkmcnt(1)
	v_mul_f64 v[200:201], v[117:118], v[123:124]
	v_mul_f64 v[123:124], v[119:120], v[123:124]
	s_waitcnt vmcnt(56)
	v_fma_f64 v[171:172], v[1:2], v[189:190], -v[171:172]
	v_fma_f64 v[165:166], v[3:4], v[189:190], v[165:166]
	v_add_f64 v[129:130], v[129:130], v[185:186]
	v_add_f64 v[121:122], v[121:122], v[125:126]
	s_clause 0x2
	buffer_load_dword v164, off, s[0:3], 0 offset:620
	buffer_load_dword v126, off, s[0:3], 0 offset:596
	;; [unrolled: 1-line block ×3, first 2 shown]
	s_waitcnt vmcnt(58) lgkmcnt(0)
	v_mul_f64 v[189:190], v[7:8], v[191:192]
	ds_read_b128 v[1:4], v178 offset:1248
	v_mul_f64 v[185:186], v[5:6], v[191:192]
	s_waitcnt vmcnt(56)
	v_fma_f64 v[123:124], v[117:118], v[181:182], -v[123:124]
	v_add_f64 v[129:130], v[129:130], v[171:172]
	v_fma_f64 v[171:172], v[119:120], v[181:182], v[200:201]
	v_add_f64 v[121:122], v[121:122], v[165:166]
	s_clause 0x4
	buffer_load_dword v166, off, s[0:3], 0 offset:636
	buffer_load_dword v181, off, s[0:3], 0 offset:648
	;; [unrolled: 1-line block ×5, first 2 shown]
	ds_read_b128 v[117:120], v178 offset:1264
	s_waitcnt vmcnt(57) lgkmcnt(1)
	v_mul_f64 v[200:201], v[1:2], v[141:142]
	v_mul_f64 v[141:142], v[3:4], v[141:142]
	s_waitcnt vmcnt(56)
	v_fma_f64 v[189:190], v[5:6], v[196:197], -v[189:190]
	v_add_f64 v[123:124], v[129:130], v[123:124]
	v_fma_f64 v[129:130], v[7:8], v[196:197], v[185:186]
	v_add_f64 v[121:122], v[121:122], v[171:172]
	s_clause 0x2
	buffer_load_dword v182, off, s[0:3], 0 offset:652
	buffer_load_dword v172, off, s[0:3], 0 offset:628
	;; [unrolled: 1-line block ×3, first 2 shown]
	ds_read_b128 v[5:8], v178 offset:1280
	s_waitcnt vmcnt(58) lgkmcnt(1)
	v_mul_f64 v[185:186], v[117:118], v[183:184]
	v_mul_f64 v[183:184], v[119:120], v[183:184]
	s_waitcnt vmcnt(56)
	v_fma_f64 v[141:142], v[1:2], v[135:136], -v[141:142]
	v_fma_f64 v[135:136], v[3:4], v[135:136], v[200:201]
	v_add_f64 v[123:124], v[123:124], v[189:190]
	v_add_f64 v[121:122], v[121:122], v[129:130]
	s_clause 0x4
	buffer_load_dword v130, off, s[0:3], 0 offset:668
	buffer_load_dword v189, off, s[0:3], 0 offset:680
	;; [unrolled: 1-line block ×5, first 2 shown]
	ds_read_b128 v[1:4], v178 offset:1296
	s_waitcnt vmcnt(57) lgkmcnt(1)
	v_mul_f64 v[196:197], v[5:6], v[127:128]
	v_mul_f64 v[127:128], v[7:8], v[127:128]
	s_waitcnt vmcnt(56)
	v_fma_f64 v[183:184], v[117:118], v[198:199], -v[183:184]
	v_add_f64 v[123:124], v[123:124], v[141:142]
	v_fma_f64 v[141:142], v[119:120], v[198:199], v[185:186]
	v_add_f64 v[121:122], v[121:122], v[135:136]
	s_clause 0x2
	buffer_load_dword v190, off, s[0:3], 0 offset:684
	buffer_load_dword v136, off, s[0:3], 0 offset:660
	buffer_load_dword v135, off, s[0:3], 0 offset:656
	ds_read_b128 v[117:120], v178 offset:1312
	s_waitcnt vmcnt(58) lgkmcnt(1)
	v_mul_f64 v[185:186], v[1:2], v[145:146]
	v_mul_f64 v[145:146], v[3:4], v[145:146]
	s_waitcnt vmcnt(56)
	v_fma_f64 v[127:128], v[5:6], v[133:134], -v[127:128]
	v_fma_f64 v[133:134], v[7:8], v[133:134], v[196:197]
	v_add_f64 v[123:124], v[123:124], v[183:184]
	v_add_f64 v[121:122], v[121:122], v[141:142]
	s_clause 0x4
	buffer_load_dword v142, off, s[0:3], 0 offset:700
	buffer_load_dword v183, off, s[0:3], 0 offset:712
	;; [unrolled: 1-line block ×5, first 2 shown]
	ds_read_b128 v[5:8], v178 offset:1328
	s_waitcnt vmcnt(57) lgkmcnt(1)
	v_mul_f64 v[198:199], v[117:118], v[131:132]
	v_mul_f64 v[131:132], v[119:120], v[131:132]
	s_waitcnt vmcnt(56)
	v_fma_f64 v[145:146], v[1:2], v[193:194], -v[145:146]
	v_add_f64 v[123:124], v[123:124], v[127:128]
	v_fma_f64 v[127:128], v[3:4], v[193:194], v[185:186]
	v_add_f64 v[121:122], v[121:122], v[133:134]
	s_clause 0x2
	buffer_load_dword v184, off, s[0:3], 0 offset:716
	buffer_load_dword v134, off, s[0:3], 0 offset:692
	;; [unrolled: 1-line block ×3, first 2 shown]
	s_waitcnt vmcnt(58) lgkmcnt(0)
	v_mul_f64 v[185:186], v[5:6], v[153:154]
	v_mul_f64 v[153:154], v[7:8], v[153:154]
	ds_read_b128 v[1:4], v178 offset:1344
	s_waitcnt vmcnt(56)
	v_fma_f64 v[131:132], v[117:118], v[139:140], -v[131:132]
	v_fma_f64 v[139:140], v[119:120], v[139:140], v[198:199]
	v_add_f64 v[123:124], v[123:124], v[145:146]
	v_add_f64 v[121:122], v[121:122], v[127:128]
	s_clause 0x4
	buffer_load_dword v128, off, s[0:3], 0 offset:732
	buffer_load_dword v145, off, s[0:3], 0 offset:744
	;; [unrolled: 1-line block ×5, first 2 shown]
	ds_read_b128 v[117:120], v178 offset:1360
	s_waitcnt vmcnt(57) lgkmcnt(1)
	v_mul_f64 v[199:200], v[1:2], v[137:138]
	v_mul_f64 v[137:138], v[3:4], v[137:138]
	s_waitcnt vmcnt(56)
	v_fma_f64 v[153:154], v[5:6], v[179:180], -v[153:154]
	v_add_f64 v[123:124], v[123:124], v[131:132]
	v_fma_f64 v[131:132], v[7:8], v[179:180], v[185:186]
	v_add_f64 v[121:122], v[121:122], v[139:140]
	s_clause 0x2
	buffer_load_dword v146, off, s[0:3], 0 offset:748
	buffer_load_dword v140, off, s[0:3], 0 offset:724
	buffer_load_dword v139, off, s[0:3], 0 offset:720
	s_waitcnt vmcnt(58) lgkmcnt(0)
	v_mul_f64 v[179:180], v[117:118], v[159:160]
	v_mul_f64 v[159:160], v[119:120], v[159:160]
	ds_read_b128 v[5:8], v178 offset:1376
	s_waitcnt vmcnt(56)
	v_fma_f64 v[137:138], v[1:2], v[149:150], -v[137:138]
	v_fma_f64 v[149:150], v[3:4], v[149:150], v[199:200]
	v_add_f64 v[123:124], v[123:124], v[153:154]
	v_add_f64 v[121:122], v[121:122], v[131:132]
	s_clause 0x4
	buffer_load_dword v132, off, s[0:3], 0 offset:764
	buffer_load_dword v153, off, s[0:3], 0 offset:776
	buffer_load_dword v185, off, s[0:3], 0 offset:768
	buffer_load_dword v131, off, s[0:3], 0 offset:760
	buffer_load_dword v194, off, s[0:3], 0 offset:740
	ds_read_b128 v[1:4], v178 offset:1392
	s_waitcnt vmcnt(57) lgkmcnt(1)
	v_mul_f64 v[199:200], v[5:6], v[143:144]
	v_mul_f64 v[143:144], v[7:8], v[143:144]
	s_waitcnt vmcnt(56)
	v_fma_f64 v[159:160], v[117:118], v[161:162], -v[159:160]
	v_add_f64 v[123:124], v[123:124], v[137:138]
	v_fma_f64 v[137:138], v[119:120], v[161:162], v[179:180]
	v_add_f64 v[121:122], v[121:122], v[149:150]
	s_clause 0x2
	buffer_load_dword v154, off, s[0:3], 0 offset:780
	buffer_load_dword v150, off, s[0:3], 0 offset:756
	buffer_load_dword v149, off, s[0:3], 0 offset:752
	ds_read_b128 v[117:120], v178 offset:1408
	s_waitcnt vmcnt(58) lgkmcnt(1)
	v_mul_f64 v[161:162], v[1:2], v[167:168]
	v_mul_f64 v[167:168], v[3:4], v[167:168]
	s_waitcnt vmcnt(56)
	v_fma_f64 v[143:144], v[5:6], v[147:148], -v[143:144]
	v_fma_f64 v[147:148], v[7:8], v[147:148], v[199:200]
	v_add_f64 v[123:124], v[123:124], v[159:160]
	v_add_f64 v[121:122], v[121:122], v[137:138]
	s_clause 0x4
	buffer_load_dword v138, off, s[0:3], 0 offset:796
	buffer_load_dword v159, off, s[0:3], 0 offset:808
	buffer_load_dword v179, off, s[0:3], 0 offset:800
	buffer_load_dword v137, off, s[0:3], 0 offset:792
	buffer_load_dword v186, off, s[0:3], 0 offset:772
	ds_read_b128 v[5:8], v178 offset:1424
	s_waitcnt vmcnt(57) lgkmcnt(1)
	v_mul_f64 v[199:200], v[117:118], v[151:152]
	v_mul_f64 v[151:152], v[119:120], v[151:152]
	s_waitcnt vmcnt(56)
	v_fma_f64 v[167:168], v[1:2], v[169:170], -v[167:168]
	v_add_f64 v[123:124], v[123:124], v[143:144]
	v_fma_f64 v[143:144], v[3:4], v[169:170], v[161:162]
	v_add_f64 v[121:122], v[121:122], v[147:148]
	s_clause 0x2
	buffer_load_dword v160, off, s[0:3], 0 offset:812
	buffer_load_dword v148, off, s[0:3], 0 offset:788
	buffer_load_dword v147, off, s[0:3], 0 offset:784
	ds_read_b128 v[1:4], v178 offset:1440
	s_waitcnt vmcnt(58) lgkmcnt(1)
	v_mul_f64 v[169:170], v[7:8], v[173:174]
	v_mul_f64 v[161:162], v[5:6], v[173:174]
	;; [unrolled: 28-line block ×3, first 2 shown]
	s_waitcnt vmcnt(56)
	v_fma_f64 v[157:158], v[1:2], v[125:126], -v[157:158]
	v_fma_f64 v[125:126], v[3:4], v[125:126], v[199:200]
	v_add_f64 v[123:124], v[123:124], v[169:170]
	v_add_f64 v[121:122], v[121:122], v[151:152]
	s_clause 0x4
	buffer_load_dword v152, off, s[0:3], 0 offset:860
	buffer_load_dword v169, off, s[0:3], 0 offset:872
	;; [unrolled: 1-line block ×5, first 2 shown]
	ds_read_b128 v[1:4], v178 offset:1488
	s_waitcnt vmcnt(57) lgkmcnt(1)
	v_mul_f64 v[199:200], v[5:6], v[165:166]
	v_mul_f64 v[165:166], v[7:8], v[165:166]
	s_waitcnt vmcnt(56)
	v_fma_f64 v[163:164], v[117:118], v[187:188], -v[163:164]
	v_add_f64 v[123:124], v[123:124], v[157:158]
	v_fma_f64 v[157:158], v[119:120], v[187:188], v[161:162]
	v_add_f64 v[121:122], v[121:122], v[125:126]
	s_clause 0x2
	buffer_load_dword v170, off, s[0:3], 0 offset:876
	buffer_load_dword v126, off, s[0:3], 0 offset:852
	buffer_load_dword v125, off, s[0:3], 0 offset:848
	ds_read_b128 v[117:120], v178 offset:1504
	buffer_load_dword v176, off, s[0:3], 0 offset:868
	s_waitcnt vmcnt(59) lgkmcnt(1)
	v_mul_f64 v[161:162], v[1:2], v[181:182]
	v_mul_f64 v[181:182], v[3:4], v[181:182]
	s_waitcnt vmcnt(57)
	v_fma_f64 v[165:166], v[5:6], v[171:172], -v[165:166]
	v_add_f64 v[123:124], v[123:124], v[163:164]
	v_fma_f64 v[163:164], v[7:8], v[171:172], v[199:200]
	v_add_f64 v[121:122], v[121:122], v[157:158]
	ds_read_b128 v[5:8], v178 offset:1520
	s_waitcnt vmcnt(53) lgkmcnt(1)
	v_mul_f64 v[157:158], v[117:118], v[129:130]
	v_mul_f64 v[129:130], v[119:120], v[129:130]
	s_waitcnt vmcnt(52)
	v_fma_f64 v[171:172], v[1:2], v[191:192], -v[181:182]
	v_fma_f64 v[161:162], v[3:4], v[191:192], v[161:162]
	ds_read_b128 v[1:4], v178 offset:1536
	v_add_f64 v[123:124], v[123:124], v[165:166]
	v_add_f64 v[121:122], v[121:122], v[163:164]
	s_waitcnt vmcnt(51) lgkmcnt(1)
	v_mul_f64 v[165:166], v[7:8], v[189:190]
	v_mul_f64 v[163:164], v[5:6], v[189:190]
	s_waitcnt vmcnt(49)
	v_fma_f64 v[129:130], v[117:118], v[135:136], -v[129:130]
	v_fma_f64 v[135:136], v[119:120], v[135:136], v[157:158]
	v_add_f64 v[123:124], v[123:124], v[171:172]
	v_add_f64 v[121:122], v[121:122], v[161:162]
	s_clause 0x3
	buffer_load_dword v157, off, s[0:3], 0 offset:80
	buffer_load_dword v158, off, s[0:3], 0 offset:84
	;; [unrolled: 1-line block ×4, first 2 shown]
	ds_read_b128 v[117:120], v178 offset:1552
	s_waitcnt vmcnt(49) lgkmcnt(1)
	v_mul_f64 v[171:172], v[1:2], v[141:142]
	v_mul_f64 v[141:142], v[3:4], v[141:142]
	s_waitcnt vmcnt(48)
	v_fma_f64 v[165:166], v[5:6], v[195:196], -v[165:166]
	v_add_f64 v[123:124], v[123:124], v[129:130]
	v_fma_f64 v[129:130], v[7:8], v[195:196], v[163:164]
	v_add_f64 v[121:122], v[121:122], v[135:136]
	ds_read_b128 v[5:8], v178 offset:1568
	s_waitcnt vmcnt(47) lgkmcnt(1)
	v_mul_f64 v[163:164], v[119:120], v[183:184]
	v_mul_f64 v[135:136], v[117:118], v[183:184]
	s_waitcnt vmcnt(45)
	v_fma_f64 v[141:142], v[1:2], v[133:134], -v[141:142]
	v_fma_f64 v[133:134], v[3:4], v[133:134], v[171:172]
	ds_read_b128 v[1:4], v178 offset:1584
	v_add_f64 v[123:124], v[123:124], v[165:166]
	v_add_f64 v[121:122], v[121:122], v[129:130]
	s_waitcnt vmcnt(41) lgkmcnt(1)
	v_mul_f64 v[129:130], v[5:6], v[127:128]
	v_mul_f64 v[127:128], v[7:8], v[127:128]
	s_waitcnt vmcnt(40)
	v_fma_f64 v[163:164], v[117:118], v[197:198], -v[163:164]
	v_fma_f64 v[135:136], v[119:120], v[197:198], v[135:136]
	ds_read_b128 v[117:120], v178 offset:1600
	v_add_f64 v[123:124], v[123:124], v[141:142]
	v_add_f64 v[121:122], v[121:122], v[133:134]
	;; [unrolled: 9-line block ×3, first 2 shown]
	s_waitcnt vmcnt(33) lgkmcnt(1)
	v_mul_f64 v[135:136], v[117:118], v[131:132]
	v_mul_f64 v[131:132], v[119:120], v[131:132]
	s_waitcnt vmcnt(32)
	v_fma_f64 v[139:140], v[1:2], v[193:194], -v[141:142]
	v_add_f64 v[123:124], v[123:124], v[127:128]
	v_fma_f64 v[127:128], v[3:4], v[193:194], v[133:134]
	v_add_f64 v[121:122], v[121:122], v[129:130]
	ds_read_b128 v[1:4], v178 offset:1632
	s_waitcnt vmcnt(31) lgkmcnt(1)
	v_mul_f64 v[133:134], v[7:8], v[153:154]
	v_mul_f64 v[129:130], v[5:6], v[153:154]
	s_waitcnt vmcnt(29)
	v_fma_f64 v[131:132], v[117:118], v[149:150], -v[131:132]
	v_fma_f64 v[135:136], v[119:120], v[149:150], v[135:136]
	ds_read_b128 v[117:120], v178 offset:1648
	v_add_f64 v[123:124], v[123:124], v[139:140]
	v_add_f64 v[121:122], v[121:122], v[127:128]
	s_waitcnt vmcnt(25) lgkmcnt(1)
	v_mul_f64 v[127:128], v[1:2], v[137:138]
	v_mul_f64 v[137:138], v[3:4], v[137:138]
	s_waitcnt vmcnt(24)
	v_fma_f64 v[133:134], v[5:6], v[185:186], -v[133:134]
	v_fma_f64 v[129:130], v[7:8], v[185:186], v[129:130]
	ds_read_b128 v[5:8], v178 offset:1664
	v_add_f64 v[123:124], v[123:124], v[131:132]
	v_add_f64 v[121:122], v[121:122], v[135:136]
	;; [unrolled: 9-line block ×3, first 2 shown]
	s_waitcnt vmcnt(17) lgkmcnt(1)
	v_mul_f64 v[133:134], v[7:8], v[143:144]
	s_waitcnt vmcnt(16)
	v_fma_f64 v[135:136], v[117:118], v[179:180], -v[135:136]
	v_mul_f64 v[129:130], v[5:6], v[143:144]
	v_fma_f64 v[131:132], v[119:120], v[179:180], v[131:132]
	ds_read_b128 v[117:120], v178 offset:1696
	v_add_f64 v[123:124], v[123:124], v[137:138]
	v_add_f64 v[121:122], v[121:122], v[127:128]
	s_waitcnt vmcnt(15) lgkmcnt(1)
	v_mul_f64 v[137:138], v[3:4], v[167:168]
	v_mul_f64 v[127:128], v[1:2], v[167:168]
	s_waitcnt vmcnt(13)
	v_fma_f64 v[133:134], v[5:6], v[155:156], -v[133:134]
	v_fma_f64 v[129:130], v[7:8], v[155:156], v[129:130]
	ds_read_b128 v[5:8], v178 offset:1712
	v_add_f64 v[123:124], v[123:124], v[135:136]
	v_add_f64 v[121:122], v[121:122], v[131:132]
	s_waitcnt vmcnt(9) lgkmcnt(1)
	v_mul_f64 v[135:136], v[119:120], v[151:152]
	s_waitcnt vmcnt(8)
	v_fma_f64 v[1:2], v[1:2], v[173:174], -v[137:138]
	v_mul_f64 v[131:132], v[117:118], v[151:152]
	v_fma_f64 v[3:4], v[3:4], v[173:174], v[127:128]
	v_add_f64 v[123:124], v[123:124], v[133:134]
	v_add_f64 v[121:122], v[121:122], v[129:130]
	s_waitcnt vmcnt(7) lgkmcnt(0)
	v_mul_f64 v[129:130], v[7:8], v[169:170]
	v_mul_f64 v[127:128], v[5:6], v[169:170]
	s_waitcnt vmcnt(5)
	v_fma_f64 v[117:118], v[117:118], v[125:126], -v[135:136]
	v_fma_f64 v[119:120], v[119:120], v[125:126], v[131:132]
	v_add_f64 v[1:2], v[123:124], v[1:2]
	v_add_f64 v[3:4], v[121:122], v[3:4]
	s_waitcnt vmcnt(4)
	v_fma_f64 v[5:6], v[5:6], v[175:176], -v[129:130]
	v_fma_f64 v[7:8], v[7:8], v[175:176], v[127:128]
	v_add_f64 v[1:2], v[1:2], v[117:118]
	v_add_f64 v[3:4], v[3:4], v[119:120]
	;; [unrolled: 1-line block ×4, first 2 shown]
	s_waitcnt vmcnt(2)
	v_add_f64 v[1:2], v[157:158], -v[1:2]
	s_waitcnt vmcnt(0)
	v_add_f64 v[3:4], v[161:162], -v[3:4]
	buffer_store_dword v2, off, s[0:3], 0 offset:84
	buffer_store_dword v1, off, s[0:3], 0 offset:80
	buffer_store_dword v4, off, s[0:3], 0 offset:92
	buffer_store_dword v3, off, s[0:3], 0 offset:88
	v_cmpx_lt_u32_e32 3, v0
	s_cbranch_execz .LBB117_331
; %bb.330:
	v_mov_b32_e32 v4, s63
	s_clause 0x3
	buffer_load_dword v1, v4, s[0:3], 0 offen
	buffer_load_dword v2, v4, s[0:3], 0 offen offset:4
	buffer_load_dword v3, v4, s[0:3], 0 offen offset:8
	;; [unrolled: 1-line block ×3, first 2 shown]
	buffer_store_dword v178, off, s[0:3], 0 offset:64
	buffer_store_dword v178, off, s[0:3], 0 offset:68
	;; [unrolled: 1-line block ×4, first 2 shown]
	s_waitcnt vmcnt(0)
	ds_write_b128 v177, v[1:4]
.LBB117_331:
	s_or_b32 exec_lo, exec_lo, s4
	s_waitcnt lgkmcnt(0)
	s_waitcnt_vscnt null, 0x0
	s_barrier
	buffer_gl0_inv
	s_clause 0x37
	buffer_load_dword v125, off, s[0:3], 0 offset:88
	buffer_load_dword v126, off, s[0:3], 0 offset:92
	;; [unrolled: 1-line block ×56, first 2 shown]
	ds_read_b128 v[5:8], v178 offset:928
	s_clause 0x2
	buffer_load_dword v174, off, s[0:3], 0 offset:316
	buffer_load_dword v176, off, s[0:3], 0 offset:292
	;; [unrolled: 1-line block ×3, first 2 shown]
	ds_read_b128 v[1:4], v178 offset:944
	s_clause 0x4
	buffer_load_dword v186, off, s[0:3], 0 offset:332
	buffer_load_dword v187, off, s[0:3], 0 offset:344
	;; [unrolled: 1-line block ×5, first 2 shown]
	ds_read_b128 v[179:182], v178 offset:960
	s_mov_b32 s4, exec_lo
	s_waitcnt vmcnt(62) lgkmcnt(2)
	v_mul_f64 v[183:184], v[7:8], v[125:126]
	v_mul_f64 v[125:126], v[5:6], v[125:126]
	s_waitcnt vmcnt(60) lgkmcnt(1)
	v_mul_f64 v[190:191], v[3:4], v[121:122]
	v_mul_f64 v[121:122], v[1:2], v[121:122]
	;; [unrolled: 3-line block ×3, first 2 shown]
	v_fma_f64 v[183:184], v[5:6], v[123:124], -v[183:184]
	v_fma_f64 v[123:124], v[7:8], v[123:124], v[125:126]
	s_clause 0x2
	buffer_load_dword v188, off, s[0:3], 0 offset:348
	buffer_load_dword v126, off, s[0:3], 0 offset:324
	;; [unrolled: 1-line block ×3, first 2 shown]
	s_waitcnt vmcnt(57)
	v_fma_f64 v[194:195], v[1:2], v[117:118], -v[190:191]
	ds_read_b128 v[5:8], v178 offset:976
	v_fma_f64 v[117:118], v[3:4], v[117:118], v[121:122]
	s_waitcnt vmcnt(51)
	v_fma_f64 v[179:180], v[179:180], v[141:142], -v[119:120]
	v_fma_f64 v[141:142], v[181:182], v[141:142], v[192:193]
	v_add_f64 v[183:184], v[183:184], 0
	v_add_f64 v[121:122], v[123:124], 0
	s_clause 0x4
	buffer_load_dword v124, off, s[0:3], 0 offset:364
	buffer_load_dword v191, off, s[0:3], 0 offset:376
	;; [unrolled: 1-line block ×5, first 2 shown]
	s_waitcnt lgkmcnt(0)
	v_mul_f64 v[197:198], v[5:6], v[129:130]
	v_mul_f64 v[129:130], v[7:8], v[129:130]
	ds_read_b128 v[1:4], v178 offset:992
	s_clause 0x2
	buffer_load_dword v192, off, s[0:3], 0 offset:380
	buffer_load_dword v182, off, s[0:3], 0 offset:356
	;; [unrolled: 1-line block ×3, first 2 shown]
	v_add_f64 v[183:184], v[183:184], v[194:195]
	v_add_f64 v[121:122], v[121:122], v[117:118]
	ds_read_b128 v[117:120], v178 offset:1008
	s_waitcnt vmcnt(58) lgkmcnt(1)
	v_mul_f64 v[193:194], v[1:2], v[133:134]
	v_mul_f64 v[133:134], v[3:4], v[133:134]
	s_waitcnt vmcnt(56)
	v_fma_f64 v[129:130], v[5:6], v[135:136], -v[129:130]
	v_fma_f64 v[135:136], v[7:8], v[135:136], v[197:198]
	s_waitcnt vmcnt(52) lgkmcnt(0)
	v_mul_f64 v[199:200], v[117:118], v[137:138]
	v_add_f64 v[179:180], v[183:184], v[179:180]
	v_add_f64 v[121:122], v[121:122], v[141:142]
	s_clause 0x4
	buffer_load_dword v142, off, s[0:3], 0 offset:396
	buffer_load_dword v183, off, s[0:3], 0 offset:408
	;; [unrolled: 1-line block ×5, first 2 shown]
	v_mul_f64 v[137:138], v[119:120], v[137:138]
	s_waitcnt vmcnt(56)
	v_fma_f64 v[133:134], v[1:2], v[127:128], -v[133:134]
	ds_read_b128 v[5:8], v178 offset:1024
	v_fma_f64 v[127:128], v[3:4], v[127:128], v[193:194]
	v_add_f64 v[129:130], v[179:180], v[129:130]
	v_add_f64 v[121:122], v[121:122], v[135:136]
	s_clause 0x2
	buffer_load_dword v184, off, s[0:3], 0 offset:412
	buffer_load_dword v136, off, s[0:3], 0 offset:388
	;; [unrolled: 1-line block ×3, first 2 shown]
	s_waitcnt vmcnt(58) lgkmcnt(0)
	v_mul_f64 v[179:180], v[5:6], v[143:144]
	v_mul_f64 v[143:144], v[7:8], v[143:144]
	s_waitcnt vmcnt(56)
	v_fma_f64 v[137:138], v[117:118], v[145:146], -v[137:138]
	ds_read_b128 v[1:4], v178 offset:1040
	v_add_f64 v[129:130], v[129:130], v[133:134]
	v_fma_f64 v[133:134], v[119:120], v[145:146], v[199:200]
	v_add_f64 v[121:122], v[121:122], v[127:128]
	s_clause 0x4
	buffer_load_dword v128, off, s[0:3], 0 offset:428
	buffer_load_dword v145, off, s[0:3], 0 offset:440
	;; [unrolled: 1-line block ×5, first 2 shown]
	s_waitcnt vmcnt(57) lgkmcnt(0)
	v_mul_f64 v[194:195], v[1:2], v[147:148]
	v_mul_f64 v[147:148], v[3:4], v[147:148]
	s_waitcnt vmcnt(56)
	v_fma_f64 v[143:144], v[5:6], v[131:132], -v[143:144]
	ds_read_b128 v[117:120], v178 offset:1056
	v_fma_f64 v[131:132], v[7:8], v[131:132], v[179:180]
	v_add_f64 v[129:130], v[129:130], v[137:138]
	v_add_f64 v[121:122], v[121:122], v[133:134]
	s_clause 0x2
	buffer_load_dword v146, off, s[0:3], 0 offset:444
	buffer_load_dword v134, off, s[0:3], 0 offset:420
	buffer_load_dword v133, off, s[0:3], 0 offset:416
	ds_read_b128 v[5:8], v178 offset:1072
	s_waitcnt vmcnt(58) lgkmcnt(1)
	v_mul_f64 v[137:138], v[117:118], v[151:152]
	v_mul_f64 v[151:152], v[119:120], v[151:152]
	s_waitcnt vmcnt(56)
	v_fma_f64 v[147:148], v[1:2], v[153:154], -v[147:148]
	v_add_f64 v[129:130], v[129:130], v[143:144]
	v_fma_f64 v[143:144], v[3:4], v[153:154], v[194:195]
	v_add_f64 v[121:122], v[121:122], v[131:132]
	s_clause 0x4
	buffer_load_dword v132, off, s[0:3], 0 offset:460
	buffer_load_dword v153, off, s[0:3], 0 offset:472
	;; [unrolled: 1-line block ×5, first 2 shown]
	s_waitcnt vmcnt(57) lgkmcnt(0)
	v_mul_f64 v[200:201], v[5:6], v[155:156]
	v_mul_f64 v[155:156], v[7:8], v[155:156]
	s_waitcnt vmcnt(56)
	v_fma_f64 v[151:152], v[117:118], v[139:140], -v[151:152]
	ds_read_b128 v[1:4], v178 offset:1088
	v_fma_f64 v[137:138], v[119:120], v[139:140], v[137:138]
	s_clause 0x2
	buffer_load_dword v154, off, s[0:3], 0 offset:476
	buffer_load_dword v140, off, s[0:3], 0 offset:452
	;; [unrolled: 1-line block ×3, first 2 shown]
	ds_read_b128 v[117:120], v178 offset:1104
	v_add_f64 v[129:130], v[129:130], v[147:148]
	v_add_f64 v[121:122], v[121:122], v[143:144]
	s_waitcnt vmcnt(58) lgkmcnt(1)
	v_mul_f64 v[147:148], v[3:4], v[159:160]
	s_waitcnt vmcnt(56)
	v_fma_f64 v[155:156], v[5:6], v[161:162], -v[155:156]
	v_mul_f64 v[143:144], v[1:2], v[159:160]
	v_add_f64 v[129:130], v[129:130], v[151:152]
	v_fma_f64 v[151:152], v[7:8], v[161:162], v[200:201]
	v_add_f64 v[121:122], v[121:122], v[137:138]
	s_clause 0x4
	buffer_load_dword v138, off, s[0:3], 0 offset:492
	buffer_load_dword v159, off, s[0:3], 0 offset:504
	;; [unrolled: 1-line block ×5, first 2 shown]
	s_waitcnt vmcnt(57) lgkmcnt(0)
	v_mul_f64 v[200:201], v[117:118], v[163:164]
	v_mul_f64 v[162:163], v[119:120], v[163:164]
	s_waitcnt vmcnt(56)
	v_fma_f64 v[147:148], v[1:2], v[149:150], -v[147:148]
	ds_read_b128 v[5:8], v178 offset:1120
	v_fma_f64 v[143:144], v[3:4], v[149:150], v[143:144]
	s_clause 0x2
	buffer_load_dword v160, off, s[0:3], 0 offset:508
	buffer_load_dword v150, off, s[0:3], 0 offset:484
	;; [unrolled: 1-line block ×3, first 2 shown]
	ds_read_b128 v[1:4], v178 offset:1136
	v_add_f64 v[129:130], v[129:130], v[155:156]
	v_add_f64 v[121:122], v[121:122], v[151:152]
	s_waitcnt vmcnt(58) lgkmcnt(1)
	v_mul_f64 v[155:156], v[7:8], v[167:168]
	s_waitcnt vmcnt(56)
	v_fma_f64 v[163:164], v[117:118], v[169:170], -v[162:163]
	v_mul_f64 v[151:152], v[5:6], v[167:168]
	v_add_f64 v[129:130], v[129:130], v[147:148]
	v_fma_f64 v[147:148], v[119:120], v[169:170], v[200:201]
	v_add_f64 v[121:122], v[121:122], v[143:144]
	s_clause 0x4
	buffer_load_dword v144, off, s[0:3], 0 offset:524
	buffer_load_dword v167, off, s[0:3], 0 offset:536
	;; [unrolled: 1-line block ×5, first 2 shown]
	s_waitcnt vmcnt(57) lgkmcnt(0)
	v_mul_f64 v[200:201], v[1:2], v[171:172]
	v_mul_f64 v[170:171], v[3:4], v[171:172]
	s_waitcnt vmcnt(56)
	v_fma_f64 v[155:156], v[5:6], v[157:158], -v[155:156]
	ds_read_b128 v[117:120], v178 offset:1152
	v_fma_f64 v[151:152], v[7:8], v[157:158], v[151:152]
	v_add_f64 v[129:130], v[129:130], v[163:164]
	v_add_f64 v[121:122], v[121:122], v[147:148]
	s_clause 0x2
	buffer_load_dword v168, off, s[0:3], 0 offset:540
	buffer_load_dword v148, off, s[0:3], 0 offset:516
	;; [unrolled: 1-line block ×3, first 2 shown]
	ds_read_b128 v[5:8], v178 offset:1168
	s_waitcnt vmcnt(58) lgkmcnt(1)
	v_mul_f64 v[163:164], v[119:120], v[173:174]
	s_waitcnt vmcnt(56)
	v_fma_f64 v[171:172], v[1:2], v[175:176], -v[170:171]
	v_mul_f64 v[157:158], v[117:118], v[173:174]
	v_add_f64 v[129:130], v[129:130], v[155:156]
	v_fma_f64 v[155:156], v[3:4], v[175:176], v[200:201]
	v_add_f64 v[121:122], v[121:122], v[151:152]
	s_clause 0x4
	buffer_load_dword v152, off, s[0:3], 0 offset:556
	buffer_load_dword v173, off, s[0:3], 0 offset:568
	;; [unrolled: 1-line block ×5, first 2 shown]
	s_waitcnt vmcnt(57) lgkmcnt(0)
	v_mul_f64 v[200:201], v[5:6], v[185:186]
	v_mul_f64 v[185:186], v[7:8], v[185:186]
	s_waitcnt vmcnt(56)
	v_fma_f64 v[163:164], v[117:118], v[165:166], -v[163:164]
	ds_read_b128 v[1:4], v178 offset:1184
	v_fma_f64 v[157:158], v[119:120], v[165:166], v[157:158]
	v_add_f64 v[129:130], v[129:130], v[171:172]
	v_add_f64 v[121:122], v[121:122], v[155:156]
	s_clause 0x2
	buffer_load_dword v174, off, s[0:3], 0 offset:572
	buffer_load_dword v156, off, s[0:3], 0 offset:548
	;; [unrolled: 1-line block ×3, first 2 shown]
	ds_read_b128 v[117:120], v178 offset:1200
	s_waitcnt vmcnt(58) lgkmcnt(1)
	v_mul_f64 v[171:172], v[3:4], v[187:188]
	v_mul_f64 v[165:166], v[1:2], v[187:188]
	s_waitcnt vmcnt(56)
	v_fma_f64 v[185:186], v[5:6], v[125:126], -v[185:186]
	v_fma_f64 v[125:126], v[7:8], v[125:126], v[200:201]
	v_add_f64 v[129:130], v[129:130], v[163:164]
	v_add_f64 v[121:122], v[121:122], v[157:158]
	s_clause 0x4
	buffer_load_dword v158, off, s[0:3], 0 offset:588
	buffer_load_dword v163, off, s[0:3], 0 offset:600
	;; [unrolled: 1-line block ×5, first 2 shown]
	ds_read_b128 v[5:8], v178 offset:1216
	s_waitcnt vmcnt(57) lgkmcnt(1)
	v_mul_f64 v[200:201], v[117:118], v[123:124]
	v_mul_f64 v[123:124], v[119:120], v[123:124]
	s_waitcnt vmcnt(56)
	v_fma_f64 v[171:172], v[1:2], v[189:190], -v[171:172]
	v_fma_f64 v[165:166], v[3:4], v[189:190], v[165:166]
	v_add_f64 v[129:130], v[129:130], v[185:186]
	v_add_f64 v[121:122], v[121:122], v[125:126]
	s_clause 0x2
	buffer_load_dword v164, off, s[0:3], 0 offset:604
	buffer_load_dword v126, off, s[0:3], 0 offset:580
	;; [unrolled: 1-line block ×3, first 2 shown]
	s_waitcnt vmcnt(58) lgkmcnt(0)
	v_mul_f64 v[189:190], v[7:8], v[191:192]
	ds_read_b128 v[1:4], v178 offset:1232
	v_mul_f64 v[185:186], v[5:6], v[191:192]
	s_waitcnt vmcnt(56)
	v_fma_f64 v[123:124], v[117:118], v[181:182], -v[123:124]
	v_add_f64 v[129:130], v[129:130], v[171:172]
	v_fma_f64 v[171:172], v[119:120], v[181:182], v[200:201]
	v_add_f64 v[121:122], v[121:122], v[165:166]
	s_clause 0x4
	buffer_load_dword v166, off, s[0:3], 0 offset:620
	buffer_load_dword v181, off, s[0:3], 0 offset:632
	;; [unrolled: 1-line block ×5, first 2 shown]
	ds_read_b128 v[117:120], v178 offset:1248
	s_waitcnt vmcnt(57) lgkmcnt(1)
	v_mul_f64 v[200:201], v[1:2], v[141:142]
	v_mul_f64 v[141:142], v[3:4], v[141:142]
	s_waitcnt vmcnt(56)
	v_fma_f64 v[189:190], v[5:6], v[196:197], -v[189:190]
	v_add_f64 v[123:124], v[129:130], v[123:124]
	v_fma_f64 v[129:130], v[7:8], v[196:197], v[185:186]
	v_add_f64 v[121:122], v[121:122], v[171:172]
	s_clause 0x2
	buffer_load_dword v182, off, s[0:3], 0 offset:636
	buffer_load_dword v172, off, s[0:3], 0 offset:612
	;; [unrolled: 1-line block ×3, first 2 shown]
	ds_read_b128 v[5:8], v178 offset:1264
	s_waitcnt vmcnt(58) lgkmcnt(1)
	v_mul_f64 v[185:186], v[117:118], v[183:184]
	v_mul_f64 v[183:184], v[119:120], v[183:184]
	s_waitcnt vmcnt(56)
	v_fma_f64 v[141:142], v[1:2], v[135:136], -v[141:142]
	v_fma_f64 v[135:136], v[3:4], v[135:136], v[200:201]
	v_add_f64 v[123:124], v[123:124], v[189:190]
	v_add_f64 v[121:122], v[121:122], v[129:130]
	s_clause 0x4
	buffer_load_dword v130, off, s[0:3], 0 offset:652
	buffer_load_dword v189, off, s[0:3], 0 offset:664
	;; [unrolled: 1-line block ×5, first 2 shown]
	ds_read_b128 v[1:4], v178 offset:1280
	s_waitcnt vmcnt(57) lgkmcnt(1)
	v_mul_f64 v[196:197], v[5:6], v[127:128]
	v_mul_f64 v[127:128], v[7:8], v[127:128]
	s_waitcnt vmcnt(56)
	v_fma_f64 v[183:184], v[117:118], v[198:199], -v[183:184]
	v_add_f64 v[123:124], v[123:124], v[141:142]
	v_fma_f64 v[141:142], v[119:120], v[198:199], v[185:186]
	v_add_f64 v[121:122], v[121:122], v[135:136]
	s_clause 0x2
	buffer_load_dword v190, off, s[0:3], 0 offset:668
	buffer_load_dword v136, off, s[0:3], 0 offset:644
	;; [unrolled: 1-line block ×3, first 2 shown]
	ds_read_b128 v[117:120], v178 offset:1296
	s_waitcnt vmcnt(58) lgkmcnt(1)
	v_mul_f64 v[185:186], v[1:2], v[145:146]
	v_mul_f64 v[145:146], v[3:4], v[145:146]
	s_waitcnt vmcnt(56)
	v_fma_f64 v[127:128], v[5:6], v[133:134], -v[127:128]
	v_fma_f64 v[133:134], v[7:8], v[133:134], v[196:197]
	v_add_f64 v[123:124], v[123:124], v[183:184]
	v_add_f64 v[121:122], v[121:122], v[141:142]
	s_clause 0x4
	buffer_load_dword v142, off, s[0:3], 0 offset:684
	buffer_load_dword v183, off, s[0:3], 0 offset:696
	;; [unrolled: 1-line block ×5, first 2 shown]
	ds_read_b128 v[5:8], v178 offset:1312
	s_waitcnt vmcnt(57) lgkmcnt(1)
	v_mul_f64 v[198:199], v[117:118], v[131:132]
	v_mul_f64 v[131:132], v[119:120], v[131:132]
	s_waitcnt vmcnt(56)
	v_fma_f64 v[145:146], v[1:2], v[193:194], -v[145:146]
	v_add_f64 v[123:124], v[123:124], v[127:128]
	v_fma_f64 v[127:128], v[3:4], v[193:194], v[185:186]
	v_add_f64 v[121:122], v[121:122], v[133:134]
	s_clause 0x2
	buffer_load_dword v184, off, s[0:3], 0 offset:700
	buffer_load_dword v134, off, s[0:3], 0 offset:676
	;; [unrolled: 1-line block ×3, first 2 shown]
	s_waitcnt vmcnt(58) lgkmcnt(0)
	v_mul_f64 v[185:186], v[5:6], v[153:154]
	v_mul_f64 v[153:154], v[7:8], v[153:154]
	ds_read_b128 v[1:4], v178 offset:1328
	s_waitcnt vmcnt(56)
	v_fma_f64 v[131:132], v[117:118], v[139:140], -v[131:132]
	v_fma_f64 v[139:140], v[119:120], v[139:140], v[198:199]
	v_add_f64 v[123:124], v[123:124], v[145:146]
	v_add_f64 v[121:122], v[121:122], v[127:128]
	s_clause 0x4
	buffer_load_dword v128, off, s[0:3], 0 offset:716
	buffer_load_dword v145, off, s[0:3], 0 offset:728
	;; [unrolled: 1-line block ×5, first 2 shown]
	ds_read_b128 v[117:120], v178 offset:1344
	s_waitcnt vmcnt(57) lgkmcnt(1)
	v_mul_f64 v[199:200], v[1:2], v[137:138]
	v_mul_f64 v[137:138], v[3:4], v[137:138]
	s_waitcnt vmcnt(56)
	v_fma_f64 v[153:154], v[5:6], v[179:180], -v[153:154]
	v_add_f64 v[123:124], v[123:124], v[131:132]
	v_fma_f64 v[131:132], v[7:8], v[179:180], v[185:186]
	v_add_f64 v[121:122], v[121:122], v[139:140]
	s_clause 0x2
	buffer_load_dword v146, off, s[0:3], 0 offset:732
	buffer_load_dword v140, off, s[0:3], 0 offset:708
	;; [unrolled: 1-line block ×3, first 2 shown]
	s_waitcnt vmcnt(58) lgkmcnt(0)
	v_mul_f64 v[179:180], v[117:118], v[159:160]
	v_mul_f64 v[159:160], v[119:120], v[159:160]
	ds_read_b128 v[5:8], v178 offset:1360
	s_waitcnt vmcnt(56)
	v_fma_f64 v[137:138], v[1:2], v[149:150], -v[137:138]
	v_fma_f64 v[149:150], v[3:4], v[149:150], v[199:200]
	v_add_f64 v[123:124], v[123:124], v[153:154]
	v_add_f64 v[121:122], v[121:122], v[131:132]
	s_clause 0x4
	buffer_load_dword v132, off, s[0:3], 0 offset:748
	buffer_load_dword v153, off, s[0:3], 0 offset:760
	buffer_load_dword v185, off, s[0:3], 0 offset:752
	buffer_load_dword v131, off, s[0:3], 0 offset:744
	buffer_load_dword v194, off, s[0:3], 0 offset:724
	ds_read_b128 v[1:4], v178 offset:1376
	s_waitcnt vmcnt(57) lgkmcnt(1)
	v_mul_f64 v[199:200], v[5:6], v[143:144]
	v_mul_f64 v[143:144], v[7:8], v[143:144]
	s_waitcnt vmcnt(56)
	v_fma_f64 v[159:160], v[117:118], v[161:162], -v[159:160]
	v_add_f64 v[123:124], v[123:124], v[137:138]
	v_fma_f64 v[137:138], v[119:120], v[161:162], v[179:180]
	v_add_f64 v[121:122], v[121:122], v[149:150]
	s_clause 0x2
	buffer_load_dword v154, off, s[0:3], 0 offset:764
	buffer_load_dword v150, off, s[0:3], 0 offset:740
	buffer_load_dword v149, off, s[0:3], 0 offset:736
	ds_read_b128 v[117:120], v178 offset:1392
	s_waitcnt vmcnt(58) lgkmcnt(1)
	v_mul_f64 v[161:162], v[1:2], v[167:168]
	v_mul_f64 v[167:168], v[3:4], v[167:168]
	s_waitcnt vmcnt(56)
	v_fma_f64 v[143:144], v[5:6], v[147:148], -v[143:144]
	v_fma_f64 v[147:148], v[7:8], v[147:148], v[199:200]
	v_add_f64 v[123:124], v[123:124], v[159:160]
	v_add_f64 v[121:122], v[121:122], v[137:138]
	s_clause 0x4
	buffer_load_dword v138, off, s[0:3], 0 offset:780
	buffer_load_dword v159, off, s[0:3], 0 offset:792
	buffer_load_dword v179, off, s[0:3], 0 offset:784
	buffer_load_dword v137, off, s[0:3], 0 offset:776
	buffer_load_dword v186, off, s[0:3], 0 offset:756
	ds_read_b128 v[5:8], v178 offset:1408
	s_waitcnt vmcnt(57) lgkmcnt(1)
	v_mul_f64 v[199:200], v[117:118], v[151:152]
	v_mul_f64 v[151:152], v[119:120], v[151:152]
	s_waitcnt vmcnt(56)
	v_fma_f64 v[167:168], v[1:2], v[169:170], -v[167:168]
	v_add_f64 v[123:124], v[123:124], v[143:144]
	v_fma_f64 v[143:144], v[3:4], v[169:170], v[161:162]
	v_add_f64 v[121:122], v[121:122], v[147:148]
	s_clause 0x2
	buffer_load_dword v160, off, s[0:3], 0 offset:796
	buffer_load_dword v148, off, s[0:3], 0 offset:772
	buffer_load_dword v147, off, s[0:3], 0 offset:768
	ds_read_b128 v[1:4], v178 offset:1424
	s_waitcnt vmcnt(58) lgkmcnt(1)
	v_mul_f64 v[169:170], v[7:8], v[173:174]
	v_mul_f64 v[161:162], v[5:6], v[173:174]
	;; [unrolled: 28-line block ×4, first 2 shown]
	s_waitcnt vmcnt(56)
	v_fma_f64 v[165:166], v[5:6], v[171:172], -v[165:166]
	v_add_f64 v[123:124], v[123:124], v[163:164]
	v_fma_f64 v[163:164], v[7:8], v[171:172], v[199:200]
	v_add_f64 v[121:122], v[121:122], v[157:158]
	s_clause 0x2
	buffer_load_dword v158, off, s[0:3], 0 offset:876
	buffer_load_dword v157, off, s[0:3], 0 offset:872
	;; [unrolled: 1-line block ×3, first 2 shown]
	ds_read_b128 v[5:8], v178 offset:1504
	s_waitcnt vmcnt(55) lgkmcnt(1)
	v_mul_f64 v[171:172], v[117:118], v[129:130]
	v_mul_f64 v[129:130], v[119:120], v[129:130]
	s_waitcnt vmcnt(54)
	v_fma_f64 v[181:182], v[1:2], v[191:192], -v[181:182]
	v_fma_f64 v[161:162], v[3:4], v[191:192], v[161:162]
	v_add_f64 v[123:124], v[123:124], v[165:166]
	v_add_f64 v[121:122], v[121:122], v[163:164]
	s_clause 0x1
	buffer_load_dword v164, off, s[0:3], 0 offset:868
	buffer_load_dword v163, off, s[0:3], 0 offset:864
	ds_read_b128 v[1:4], v178 offset:1520
	s_waitcnt vmcnt(55) lgkmcnt(1)
	v_mul_f64 v[187:188], v[7:8], v[189:190]
	v_mul_f64 v[165:166], v[5:6], v[189:190]
	s_waitcnt vmcnt(53)
	v_fma_f64 v[129:130], v[117:118], v[135:136], -v[129:130]
	v_fma_f64 v[135:136], v[119:120], v[135:136], v[171:172]
	ds_read_b128 v[117:120], v178 offset:1536
	v_add_f64 v[123:124], v[123:124], v[181:182]
	v_add_f64 v[121:122], v[121:122], v[161:162]
	s_waitcnt vmcnt(49) lgkmcnt(1)
	v_mul_f64 v[161:162], v[1:2], v[141:142]
	v_mul_f64 v[141:142], v[3:4], v[141:142]
	s_waitcnt vmcnt(48)
	v_fma_f64 v[171:172], v[5:6], v[195:196], -v[187:188]
	v_add_f64 v[123:124], v[123:124], v[129:130]
	v_fma_f64 v[129:130], v[7:8], v[195:196], v[165:166]
	v_add_f64 v[121:122], v[121:122], v[135:136]
	s_clause 0x3
	buffer_load_dword v135, off, s[0:3], 0 offset:64
	buffer_load_dword v136, off, s[0:3], 0 offset:68
	;; [unrolled: 1-line block ×4, first 2 shown]
	ds_read_b128 v[5:8], v178 offset:1552
	s_waitcnt vmcnt(51) lgkmcnt(1)
	v_mul_f64 v[181:182], v[117:118], v[183:184]
	v_mul_f64 v[183:184], v[119:120], v[183:184]
	s_waitcnt vmcnt(49)
	v_fma_f64 v[141:142], v[1:2], v[133:134], -v[141:142]
	v_fma_f64 v[133:134], v[3:4], v[133:134], v[161:162]
	ds_read_b128 v[1:4], v178 offset:1568
	v_add_f64 v[123:124], v[123:124], v[171:172]
	v_add_f64 v[121:122], v[121:122], v[129:130]
	s_waitcnt vmcnt(45) lgkmcnt(1)
	v_mul_f64 v[129:130], v[5:6], v[127:128]
	v_mul_f64 v[127:128], v[7:8], v[127:128]
	s_waitcnt vmcnt(44)
	v_fma_f64 v[161:162], v[117:118], v[197:198], -v[183:184]
	v_add_f64 v[123:124], v[123:124], v[141:142]
	v_fma_f64 v[141:142], v[119:120], v[197:198], v[181:182]
	v_add_f64 v[121:122], v[121:122], v[133:134]
	ds_read_b128 v[117:120], v178 offset:1584
	s_waitcnt vmcnt(43) lgkmcnt(1)
	v_mul_f64 v[133:134], v[1:2], v[145:146]
	v_mul_f64 v[145:146], v[3:4], v[145:146]
	s_waitcnt vmcnt(41)
	v_fma_f64 v[127:128], v[5:6], v[139:140], -v[127:128]
	v_fma_f64 v[129:130], v[7:8], v[139:140], v[129:130]
	ds_read_b128 v[5:8], v178 offset:1600
	v_add_f64 v[123:124], v[123:124], v[161:162]
	v_add_f64 v[121:122], v[121:122], v[141:142]
	s_waitcnt vmcnt(37) lgkmcnt(1)
	v_mul_f64 v[139:140], v[117:118], v[131:132]
	v_mul_f64 v[131:132], v[119:120], v[131:132]
	s_waitcnt vmcnt(36)
	v_fma_f64 v[141:142], v[1:2], v[193:194], -v[145:146]
	v_add_f64 v[123:124], v[123:124], v[127:128]
	v_fma_f64 v[127:128], v[3:4], v[193:194], v[133:134]
	v_add_f64 v[121:122], v[121:122], v[129:130]
	ds_read_b128 v[1:4], v178 offset:1616
	s_waitcnt vmcnt(35) lgkmcnt(1)
	v_mul_f64 v[133:134], v[7:8], v[153:154]
	v_mul_f64 v[129:130], v[5:6], v[153:154]
	s_waitcnt vmcnt(33)
	v_fma_f64 v[131:132], v[117:118], v[149:150], -v[131:132]
	v_fma_f64 v[139:140], v[119:120], v[149:150], v[139:140]
	ds_read_b128 v[117:120], v178 offset:1632
	v_add_f64 v[123:124], v[123:124], v[141:142]
	v_add_f64 v[121:122], v[121:122], v[127:128]
	s_waitcnt vmcnt(29) lgkmcnt(1)
	v_mul_f64 v[127:128], v[1:2], v[137:138]
	v_mul_f64 v[137:138], v[3:4], v[137:138]
	s_waitcnt vmcnt(28)
	v_fma_f64 v[133:134], v[5:6], v[185:186], -v[133:134]
	v_fma_f64 v[129:130], v[7:8], v[185:186], v[129:130]
	ds_read_b128 v[5:8], v178 offset:1648
	v_add_f64 v[123:124], v[123:124], v[131:132]
	v_add_f64 v[121:122], v[121:122], v[139:140]
	;; [unrolled: 9-line block ×3, first 2 shown]
	s_waitcnt vmcnt(21) lgkmcnt(1)
	v_mul_f64 v[133:134], v[7:8], v[143:144]
	s_waitcnt vmcnt(20)
	v_fma_f64 v[139:140], v[117:118], v[179:180], -v[139:140]
	v_mul_f64 v[129:130], v[5:6], v[143:144]
	v_fma_f64 v[131:132], v[119:120], v[179:180], v[131:132]
	ds_read_b128 v[117:120], v178 offset:1680
	v_add_f64 v[123:124], v[123:124], v[137:138]
	v_add_f64 v[121:122], v[121:122], v[127:128]
	s_waitcnt vmcnt(19) lgkmcnt(1)
	v_mul_f64 v[137:138], v[3:4], v[167:168]
	v_mul_f64 v[127:128], v[1:2], v[167:168]
	s_waitcnt vmcnt(17)
	v_fma_f64 v[133:134], v[5:6], v[155:156], -v[133:134]
	v_fma_f64 v[129:130], v[7:8], v[155:156], v[129:130]
	ds_read_b128 v[5:8], v178 offset:1696
	v_add_f64 v[123:124], v[123:124], v[139:140]
	v_add_f64 v[121:122], v[121:122], v[131:132]
	s_waitcnt vmcnt(13) lgkmcnt(1)
	v_mul_f64 v[139:140], v[119:120], v[151:152]
	s_waitcnt vmcnt(12)
	v_fma_f64 v[137:138], v[1:2], v[173:174], -v[137:138]
	v_mul_f64 v[131:132], v[117:118], v[151:152]
	v_fma_f64 v[127:128], v[3:4], v[173:174], v[127:128]
	ds_read_b128 v[1:4], v178 offset:1712
	v_add_f64 v[123:124], v[123:124], v[133:134]
	v_add_f64 v[121:122], v[121:122], v[129:130]
	s_waitcnt vmcnt(11) lgkmcnt(1)
	v_mul_f64 v[133:134], v[7:8], v[169:170]
	v_mul_f64 v[129:130], v[5:6], v[169:170]
	s_waitcnt vmcnt(9)
	v_fma_f64 v[117:118], v[117:118], v[125:126], -v[139:140]
	v_fma_f64 v[119:120], v[119:120], v[125:126], v[131:132]
	v_add_f64 v[123:124], v[123:124], v[137:138]
	v_add_f64 v[121:122], v[121:122], v[127:128]
	s_waitcnt vmcnt(7) lgkmcnt(0)
	v_mul_f64 v[127:128], v[3:4], v[157:158]
	s_waitcnt vmcnt(6)
	v_fma_f64 v[5:6], v[5:6], v[175:176], -v[133:134]
	v_mul_f64 v[125:126], v[1:2], v[157:158]
	v_fma_f64 v[7:8], v[7:8], v[175:176], v[129:130]
	v_add_f64 v[117:118], v[123:124], v[117:118]
	v_add_f64 v[119:120], v[121:122], v[119:120]
	s_waitcnt vmcnt(4)
	v_fma_f64 v[1:2], v[1:2], v[163:164], -v[127:128]
	v_fma_f64 v[3:4], v[3:4], v[163:164], v[125:126]
	v_add_f64 v[5:6], v[117:118], v[5:6]
	v_add_f64 v[7:8], v[119:120], v[7:8]
	;; [unrolled: 1-line block ×4, first 2 shown]
	s_waitcnt vmcnt(2)
	v_add_f64 v[1:2], v[135:136], -v[1:2]
	s_waitcnt vmcnt(0)
	v_add_f64 v[3:4], v[165:166], -v[3:4]
	buffer_store_dword v2, off, s[0:3], 0 offset:68
	buffer_store_dword v1, off, s[0:3], 0 offset:64
	;; [unrolled: 1-line block ×4, first 2 shown]
	v_cmpx_lt_u32_e32 2, v0
	s_cbranch_execz .LBB117_333
; %bb.332:
	v_mov_b32_e32 v4, s64
	v_mov_b32_e32 v5, 0
	s_clause 0x3
	buffer_load_dword v1, v4, s[0:3], 0 offen
	buffer_load_dword v2, v4, s[0:3], 0 offen offset:4
	buffer_load_dword v3, v4, s[0:3], 0 offen offset:8
	;; [unrolled: 1-line block ×3, first 2 shown]
	buffer_store_dword v5, off, s[0:3], 0 offset:48
	buffer_store_dword v5, off, s[0:3], 0 offset:52
	;; [unrolled: 1-line block ×4, first 2 shown]
	s_waitcnt vmcnt(0)
	ds_write_b128 v177, v[1:4]
.LBB117_333:
	s_or_b32 exec_lo, exec_lo, s4
	s_waitcnt lgkmcnt(0)
	s_waitcnt_vscnt null, 0x0
	s_barrier
	buffer_gl0_inv
	s_clause 0x37
	buffer_load_dword v125, off, s[0:3], 0 offset:72
	buffer_load_dword v126, off, s[0:3], 0 offset:76
	;; [unrolled: 1-line block ×56, first 2 shown]
	v_mov_b32_e32 v178, 0
	s_mov_b32 s4, exec_lo
	ds_read_b128 v[5:8], v178 offset:912
	s_clause 0x2
	buffer_load_dword v174, off, s[0:3], 0 offset:300
	buffer_load_dword v176, off, s[0:3], 0 offset:276
	;; [unrolled: 1-line block ×3, first 2 shown]
	ds_read_b128 v[1:4], v178 offset:928
	s_clause 0x4
	buffer_load_dword v186, off, s[0:3], 0 offset:316
	buffer_load_dword v187, off, s[0:3], 0 offset:328
	;; [unrolled: 1-line block ×5, first 2 shown]
	ds_read_b128 v[179:182], v178 offset:944
	s_waitcnt vmcnt(62) lgkmcnt(2)
	v_mul_f64 v[183:184], v[7:8], v[125:126]
	v_mul_f64 v[125:126], v[5:6], v[125:126]
	s_waitcnt vmcnt(60) lgkmcnt(1)
	v_mul_f64 v[190:191], v[3:4], v[121:122]
	v_mul_f64 v[121:122], v[1:2], v[121:122]
	;; [unrolled: 3-line block ×3, first 2 shown]
	v_fma_f64 v[183:184], v[5:6], v[123:124], -v[183:184]
	v_fma_f64 v[123:124], v[7:8], v[123:124], v[125:126]
	s_clause 0x2
	buffer_load_dword v188, off, s[0:3], 0 offset:332
	buffer_load_dword v126, off, s[0:3], 0 offset:308
	;; [unrolled: 1-line block ×3, first 2 shown]
	s_waitcnt vmcnt(57)
	v_fma_f64 v[194:195], v[1:2], v[117:118], -v[190:191]
	ds_read_b128 v[5:8], v178 offset:960
	v_fma_f64 v[117:118], v[3:4], v[117:118], v[121:122]
	s_waitcnt vmcnt(51)
	v_fma_f64 v[179:180], v[179:180], v[141:142], -v[119:120]
	v_fma_f64 v[141:142], v[181:182], v[141:142], v[192:193]
	v_add_f64 v[183:184], v[183:184], 0
	v_add_f64 v[121:122], v[123:124], 0
	s_clause 0x4
	buffer_load_dword v124, off, s[0:3], 0 offset:348
	buffer_load_dword v191, off, s[0:3], 0 offset:360
	;; [unrolled: 1-line block ×5, first 2 shown]
	s_waitcnt lgkmcnt(0)
	v_mul_f64 v[197:198], v[5:6], v[129:130]
	v_mul_f64 v[129:130], v[7:8], v[129:130]
	ds_read_b128 v[1:4], v178 offset:976
	s_clause 0x2
	buffer_load_dword v192, off, s[0:3], 0 offset:364
	buffer_load_dword v182, off, s[0:3], 0 offset:340
	;; [unrolled: 1-line block ×3, first 2 shown]
	v_add_f64 v[183:184], v[183:184], v[194:195]
	v_add_f64 v[121:122], v[121:122], v[117:118]
	ds_read_b128 v[117:120], v178 offset:992
	s_waitcnt vmcnt(58) lgkmcnt(1)
	v_mul_f64 v[193:194], v[1:2], v[133:134]
	v_mul_f64 v[133:134], v[3:4], v[133:134]
	s_waitcnt vmcnt(56)
	v_fma_f64 v[129:130], v[5:6], v[135:136], -v[129:130]
	v_fma_f64 v[135:136], v[7:8], v[135:136], v[197:198]
	s_waitcnt vmcnt(52) lgkmcnt(0)
	v_mul_f64 v[199:200], v[117:118], v[137:138]
	v_add_f64 v[179:180], v[183:184], v[179:180]
	v_add_f64 v[121:122], v[121:122], v[141:142]
	s_clause 0x4
	buffer_load_dword v142, off, s[0:3], 0 offset:380
	buffer_load_dword v183, off, s[0:3], 0 offset:392
	;; [unrolled: 1-line block ×5, first 2 shown]
	v_mul_f64 v[137:138], v[119:120], v[137:138]
	s_waitcnt vmcnt(56)
	v_fma_f64 v[133:134], v[1:2], v[127:128], -v[133:134]
	ds_read_b128 v[5:8], v178 offset:1008
	v_fma_f64 v[127:128], v[3:4], v[127:128], v[193:194]
	v_add_f64 v[129:130], v[179:180], v[129:130]
	v_add_f64 v[121:122], v[121:122], v[135:136]
	s_clause 0x2
	buffer_load_dword v184, off, s[0:3], 0 offset:396
	buffer_load_dword v136, off, s[0:3], 0 offset:372
	;; [unrolled: 1-line block ×3, first 2 shown]
	s_waitcnt vmcnt(58) lgkmcnt(0)
	v_mul_f64 v[179:180], v[5:6], v[143:144]
	v_mul_f64 v[143:144], v[7:8], v[143:144]
	s_waitcnt vmcnt(56)
	v_fma_f64 v[137:138], v[117:118], v[145:146], -v[137:138]
	ds_read_b128 v[1:4], v178 offset:1024
	v_add_f64 v[129:130], v[129:130], v[133:134]
	v_fma_f64 v[133:134], v[119:120], v[145:146], v[199:200]
	v_add_f64 v[121:122], v[121:122], v[127:128]
	s_clause 0x4
	buffer_load_dword v128, off, s[0:3], 0 offset:412
	buffer_load_dword v145, off, s[0:3], 0 offset:424
	buffer_load_dword v193, off, s[0:3], 0 offset:416
	buffer_load_dword v127, off, s[0:3], 0 offset:408
	buffer_load_dword v199, off, s[0:3], 0 offset:388
	s_waitcnt vmcnt(57) lgkmcnt(0)
	v_mul_f64 v[194:195], v[1:2], v[147:148]
	v_mul_f64 v[147:148], v[3:4], v[147:148]
	s_waitcnt vmcnt(56)
	v_fma_f64 v[143:144], v[5:6], v[131:132], -v[143:144]
	ds_read_b128 v[117:120], v178 offset:1040
	v_fma_f64 v[131:132], v[7:8], v[131:132], v[179:180]
	v_add_f64 v[129:130], v[129:130], v[137:138]
	v_add_f64 v[121:122], v[121:122], v[133:134]
	s_clause 0x2
	buffer_load_dword v146, off, s[0:3], 0 offset:428
	buffer_load_dword v134, off, s[0:3], 0 offset:404
	;; [unrolled: 1-line block ×3, first 2 shown]
	ds_read_b128 v[5:8], v178 offset:1056
	s_waitcnt vmcnt(58) lgkmcnt(1)
	v_mul_f64 v[137:138], v[117:118], v[151:152]
	v_mul_f64 v[151:152], v[119:120], v[151:152]
	s_waitcnt vmcnt(56)
	v_fma_f64 v[147:148], v[1:2], v[153:154], -v[147:148]
	v_add_f64 v[129:130], v[129:130], v[143:144]
	v_fma_f64 v[143:144], v[3:4], v[153:154], v[194:195]
	v_add_f64 v[121:122], v[121:122], v[131:132]
	s_clause 0x4
	buffer_load_dword v132, off, s[0:3], 0 offset:444
	buffer_load_dword v153, off, s[0:3], 0 offset:456
	buffer_load_dword v179, off, s[0:3], 0 offset:448
	buffer_load_dword v131, off, s[0:3], 0 offset:440
	buffer_load_dword v194, off, s[0:3], 0 offset:420
	s_waitcnt vmcnt(57) lgkmcnt(0)
	v_mul_f64 v[200:201], v[5:6], v[155:156]
	v_mul_f64 v[155:156], v[7:8], v[155:156]
	s_waitcnt vmcnt(56)
	v_fma_f64 v[151:152], v[117:118], v[139:140], -v[151:152]
	ds_read_b128 v[1:4], v178 offset:1072
	v_fma_f64 v[137:138], v[119:120], v[139:140], v[137:138]
	s_clause 0x2
	buffer_load_dword v154, off, s[0:3], 0 offset:460
	buffer_load_dword v140, off, s[0:3], 0 offset:436
	;; [unrolled: 1-line block ×3, first 2 shown]
	ds_read_b128 v[117:120], v178 offset:1088
	v_add_f64 v[129:130], v[129:130], v[147:148]
	v_add_f64 v[121:122], v[121:122], v[143:144]
	s_waitcnt vmcnt(58) lgkmcnt(1)
	v_mul_f64 v[147:148], v[3:4], v[159:160]
	s_waitcnt vmcnt(56)
	v_fma_f64 v[155:156], v[5:6], v[161:162], -v[155:156]
	v_mul_f64 v[143:144], v[1:2], v[159:160]
	v_add_f64 v[129:130], v[129:130], v[151:152]
	v_fma_f64 v[151:152], v[7:8], v[161:162], v[200:201]
	v_add_f64 v[121:122], v[121:122], v[137:138]
	s_clause 0x4
	buffer_load_dword v138, off, s[0:3], 0 offset:476
	buffer_load_dword v159, off, s[0:3], 0 offset:488
	;; [unrolled: 1-line block ×5, first 2 shown]
	s_waitcnt vmcnt(57) lgkmcnt(0)
	v_mul_f64 v[200:201], v[117:118], v[163:164]
	v_mul_f64 v[162:163], v[119:120], v[163:164]
	s_waitcnt vmcnt(56)
	v_fma_f64 v[147:148], v[1:2], v[149:150], -v[147:148]
	ds_read_b128 v[5:8], v178 offset:1104
	v_fma_f64 v[143:144], v[3:4], v[149:150], v[143:144]
	s_clause 0x2
	buffer_load_dword v160, off, s[0:3], 0 offset:492
	buffer_load_dword v150, off, s[0:3], 0 offset:468
	;; [unrolled: 1-line block ×3, first 2 shown]
	ds_read_b128 v[1:4], v178 offset:1120
	v_add_f64 v[129:130], v[129:130], v[155:156]
	v_add_f64 v[121:122], v[121:122], v[151:152]
	s_waitcnt vmcnt(58) lgkmcnt(1)
	v_mul_f64 v[155:156], v[7:8], v[167:168]
	s_waitcnt vmcnt(56)
	v_fma_f64 v[163:164], v[117:118], v[169:170], -v[162:163]
	v_mul_f64 v[151:152], v[5:6], v[167:168]
	v_add_f64 v[129:130], v[129:130], v[147:148]
	v_fma_f64 v[147:148], v[119:120], v[169:170], v[200:201]
	v_add_f64 v[121:122], v[121:122], v[143:144]
	s_clause 0x4
	buffer_load_dword v144, off, s[0:3], 0 offset:508
	buffer_load_dword v167, off, s[0:3], 0 offset:520
	;; [unrolled: 1-line block ×5, first 2 shown]
	s_waitcnt vmcnt(57) lgkmcnt(0)
	v_mul_f64 v[200:201], v[1:2], v[171:172]
	v_mul_f64 v[170:171], v[3:4], v[171:172]
	s_waitcnt vmcnt(56)
	v_fma_f64 v[155:156], v[5:6], v[157:158], -v[155:156]
	ds_read_b128 v[117:120], v178 offset:1136
	v_fma_f64 v[151:152], v[7:8], v[157:158], v[151:152]
	v_add_f64 v[129:130], v[129:130], v[163:164]
	v_add_f64 v[121:122], v[121:122], v[147:148]
	s_clause 0x2
	buffer_load_dword v168, off, s[0:3], 0 offset:524
	buffer_load_dword v148, off, s[0:3], 0 offset:500
	;; [unrolled: 1-line block ×3, first 2 shown]
	ds_read_b128 v[5:8], v178 offset:1152
	s_waitcnt vmcnt(58) lgkmcnt(1)
	v_mul_f64 v[163:164], v[119:120], v[173:174]
	s_waitcnt vmcnt(56)
	v_fma_f64 v[171:172], v[1:2], v[175:176], -v[170:171]
	v_mul_f64 v[157:158], v[117:118], v[173:174]
	v_add_f64 v[129:130], v[129:130], v[155:156]
	v_fma_f64 v[155:156], v[3:4], v[175:176], v[200:201]
	v_add_f64 v[121:122], v[121:122], v[151:152]
	s_clause 0x4
	buffer_load_dword v152, off, s[0:3], 0 offset:540
	buffer_load_dword v173, off, s[0:3], 0 offset:552
	;; [unrolled: 1-line block ×5, first 2 shown]
	s_waitcnt vmcnt(57) lgkmcnt(0)
	v_mul_f64 v[200:201], v[5:6], v[185:186]
	v_mul_f64 v[185:186], v[7:8], v[185:186]
	s_waitcnt vmcnt(56)
	v_fma_f64 v[163:164], v[117:118], v[165:166], -v[163:164]
	ds_read_b128 v[1:4], v178 offset:1168
	v_fma_f64 v[157:158], v[119:120], v[165:166], v[157:158]
	v_add_f64 v[129:130], v[129:130], v[171:172]
	v_add_f64 v[121:122], v[121:122], v[155:156]
	s_clause 0x2
	buffer_load_dword v174, off, s[0:3], 0 offset:556
	buffer_load_dword v156, off, s[0:3], 0 offset:532
	;; [unrolled: 1-line block ×3, first 2 shown]
	ds_read_b128 v[117:120], v178 offset:1184
	s_waitcnt vmcnt(58) lgkmcnt(1)
	v_mul_f64 v[171:172], v[3:4], v[187:188]
	v_mul_f64 v[165:166], v[1:2], v[187:188]
	s_waitcnt vmcnt(56)
	v_fma_f64 v[185:186], v[5:6], v[125:126], -v[185:186]
	v_fma_f64 v[125:126], v[7:8], v[125:126], v[200:201]
	v_add_f64 v[129:130], v[129:130], v[163:164]
	v_add_f64 v[121:122], v[121:122], v[157:158]
	s_clause 0x4
	buffer_load_dword v158, off, s[0:3], 0 offset:572
	buffer_load_dword v163, off, s[0:3], 0 offset:584
	;; [unrolled: 1-line block ×5, first 2 shown]
	ds_read_b128 v[5:8], v178 offset:1200
	s_waitcnt vmcnt(57) lgkmcnt(1)
	v_mul_f64 v[200:201], v[117:118], v[123:124]
	v_mul_f64 v[123:124], v[119:120], v[123:124]
	s_waitcnt vmcnt(56)
	v_fma_f64 v[171:172], v[1:2], v[189:190], -v[171:172]
	v_fma_f64 v[165:166], v[3:4], v[189:190], v[165:166]
	v_add_f64 v[129:130], v[129:130], v[185:186]
	v_add_f64 v[121:122], v[121:122], v[125:126]
	s_clause 0x2
	buffer_load_dword v164, off, s[0:3], 0 offset:588
	buffer_load_dword v126, off, s[0:3], 0 offset:564
	;; [unrolled: 1-line block ×3, first 2 shown]
	s_waitcnt vmcnt(58) lgkmcnt(0)
	v_mul_f64 v[189:190], v[7:8], v[191:192]
	ds_read_b128 v[1:4], v178 offset:1216
	v_mul_f64 v[185:186], v[5:6], v[191:192]
	s_waitcnt vmcnt(56)
	v_fma_f64 v[123:124], v[117:118], v[181:182], -v[123:124]
	v_add_f64 v[129:130], v[129:130], v[171:172]
	v_fma_f64 v[171:172], v[119:120], v[181:182], v[200:201]
	v_add_f64 v[121:122], v[121:122], v[165:166]
	s_clause 0x4
	buffer_load_dword v166, off, s[0:3], 0 offset:604
	buffer_load_dword v181, off, s[0:3], 0 offset:616
	;; [unrolled: 1-line block ×5, first 2 shown]
	ds_read_b128 v[117:120], v178 offset:1232
	s_waitcnt vmcnt(57) lgkmcnt(1)
	v_mul_f64 v[200:201], v[1:2], v[141:142]
	v_mul_f64 v[141:142], v[3:4], v[141:142]
	s_waitcnt vmcnt(56)
	v_fma_f64 v[189:190], v[5:6], v[196:197], -v[189:190]
	v_add_f64 v[123:124], v[129:130], v[123:124]
	v_fma_f64 v[129:130], v[7:8], v[196:197], v[185:186]
	v_add_f64 v[121:122], v[121:122], v[171:172]
	s_clause 0x2
	buffer_load_dword v182, off, s[0:3], 0 offset:620
	buffer_load_dword v172, off, s[0:3], 0 offset:596
	buffer_load_dword v171, off, s[0:3], 0 offset:592
	ds_read_b128 v[5:8], v178 offset:1248
	s_waitcnt vmcnt(58) lgkmcnt(1)
	v_mul_f64 v[185:186], v[117:118], v[183:184]
	v_mul_f64 v[183:184], v[119:120], v[183:184]
	s_waitcnt vmcnt(56)
	v_fma_f64 v[141:142], v[1:2], v[135:136], -v[141:142]
	v_fma_f64 v[135:136], v[3:4], v[135:136], v[200:201]
	v_add_f64 v[123:124], v[123:124], v[189:190]
	v_add_f64 v[121:122], v[121:122], v[129:130]
	s_clause 0x4
	buffer_load_dword v130, off, s[0:3], 0 offset:636
	buffer_load_dword v189, off, s[0:3], 0 offset:648
	;; [unrolled: 1-line block ×5, first 2 shown]
	ds_read_b128 v[1:4], v178 offset:1264
	s_waitcnt vmcnt(57) lgkmcnt(1)
	v_mul_f64 v[196:197], v[5:6], v[127:128]
	v_mul_f64 v[127:128], v[7:8], v[127:128]
	s_waitcnt vmcnt(56)
	v_fma_f64 v[183:184], v[117:118], v[198:199], -v[183:184]
	v_add_f64 v[123:124], v[123:124], v[141:142]
	v_fma_f64 v[141:142], v[119:120], v[198:199], v[185:186]
	v_add_f64 v[121:122], v[121:122], v[135:136]
	s_clause 0x2
	buffer_load_dword v190, off, s[0:3], 0 offset:652
	buffer_load_dword v136, off, s[0:3], 0 offset:628
	;; [unrolled: 1-line block ×3, first 2 shown]
	ds_read_b128 v[117:120], v178 offset:1280
	s_waitcnt vmcnt(58) lgkmcnt(1)
	v_mul_f64 v[185:186], v[1:2], v[145:146]
	v_mul_f64 v[145:146], v[3:4], v[145:146]
	s_waitcnt vmcnt(56)
	v_fma_f64 v[127:128], v[5:6], v[133:134], -v[127:128]
	v_fma_f64 v[133:134], v[7:8], v[133:134], v[196:197]
	v_add_f64 v[123:124], v[123:124], v[183:184]
	v_add_f64 v[121:122], v[121:122], v[141:142]
	s_clause 0x4
	buffer_load_dword v142, off, s[0:3], 0 offset:668
	buffer_load_dword v183, off, s[0:3], 0 offset:680
	;; [unrolled: 1-line block ×5, first 2 shown]
	ds_read_b128 v[5:8], v178 offset:1296
	s_waitcnt vmcnt(57) lgkmcnt(1)
	v_mul_f64 v[198:199], v[117:118], v[131:132]
	v_mul_f64 v[131:132], v[119:120], v[131:132]
	s_waitcnt vmcnt(56)
	v_fma_f64 v[145:146], v[1:2], v[193:194], -v[145:146]
	v_add_f64 v[123:124], v[123:124], v[127:128]
	v_fma_f64 v[127:128], v[3:4], v[193:194], v[185:186]
	v_add_f64 v[121:122], v[121:122], v[133:134]
	s_clause 0x2
	buffer_load_dword v184, off, s[0:3], 0 offset:684
	buffer_load_dword v134, off, s[0:3], 0 offset:660
	;; [unrolled: 1-line block ×3, first 2 shown]
	s_waitcnt vmcnt(58) lgkmcnt(0)
	v_mul_f64 v[185:186], v[5:6], v[153:154]
	v_mul_f64 v[153:154], v[7:8], v[153:154]
	ds_read_b128 v[1:4], v178 offset:1312
	s_waitcnt vmcnt(56)
	v_fma_f64 v[131:132], v[117:118], v[139:140], -v[131:132]
	v_fma_f64 v[139:140], v[119:120], v[139:140], v[198:199]
	v_add_f64 v[123:124], v[123:124], v[145:146]
	v_add_f64 v[121:122], v[121:122], v[127:128]
	s_clause 0x4
	buffer_load_dword v128, off, s[0:3], 0 offset:700
	buffer_load_dword v145, off, s[0:3], 0 offset:712
	buffer_load_dword v193, off, s[0:3], 0 offset:704
	buffer_load_dword v127, off, s[0:3], 0 offset:696
	buffer_load_dword v198, off, s[0:3], 0 offset:676
	ds_read_b128 v[117:120], v178 offset:1328
	s_waitcnt vmcnt(57) lgkmcnt(1)
	v_mul_f64 v[199:200], v[1:2], v[137:138]
	v_mul_f64 v[137:138], v[3:4], v[137:138]
	s_waitcnt vmcnt(56)
	v_fma_f64 v[153:154], v[5:6], v[179:180], -v[153:154]
	v_add_f64 v[123:124], v[123:124], v[131:132]
	v_fma_f64 v[131:132], v[7:8], v[179:180], v[185:186]
	v_add_f64 v[121:122], v[121:122], v[139:140]
	s_clause 0x2
	buffer_load_dword v146, off, s[0:3], 0 offset:716
	buffer_load_dword v140, off, s[0:3], 0 offset:692
	;; [unrolled: 1-line block ×3, first 2 shown]
	s_waitcnt vmcnt(58) lgkmcnt(0)
	v_mul_f64 v[179:180], v[117:118], v[159:160]
	v_mul_f64 v[159:160], v[119:120], v[159:160]
	ds_read_b128 v[5:8], v178 offset:1344
	s_waitcnt vmcnt(56)
	v_fma_f64 v[137:138], v[1:2], v[149:150], -v[137:138]
	v_fma_f64 v[149:150], v[3:4], v[149:150], v[199:200]
	v_add_f64 v[123:124], v[123:124], v[153:154]
	v_add_f64 v[121:122], v[121:122], v[131:132]
	s_clause 0x4
	buffer_load_dword v132, off, s[0:3], 0 offset:732
	buffer_load_dword v153, off, s[0:3], 0 offset:744
	buffer_load_dword v185, off, s[0:3], 0 offset:736
	buffer_load_dword v131, off, s[0:3], 0 offset:728
	buffer_load_dword v194, off, s[0:3], 0 offset:708
	ds_read_b128 v[1:4], v178 offset:1360
	s_waitcnt vmcnt(57) lgkmcnt(1)
	v_mul_f64 v[199:200], v[5:6], v[143:144]
	v_mul_f64 v[143:144], v[7:8], v[143:144]
	s_waitcnt vmcnt(56)
	v_fma_f64 v[159:160], v[117:118], v[161:162], -v[159:160]
	v_add_f64 v[123:124], v[123:124], v[137:138]
	v_fma_f64 v[137:138], v[119:120], v[161:162], v[179:180]
	v_add_f64 v[121:122], v[121:122], v[149:150]
	s_clause 0x2
	buffer_load_dword v154, off, s[0:3], 0 offset:748
	buffer_load_dword v150, off, s[0:3], 0 offset:724
	buffer_load_dword v149, off, s[0:3], 0 offset:720
	ds_read_b128 v[117:120], v178 offset:1376
	s_waitcnt vmcnt(58) lgkmcnt(1)
	v_mul_f64 v[161:162], v[1:2], v[167:168]
	v_mul_f64 v[167:168], v[3:4], v[167:168]
	s_waitcnt vmcnt(56)
	v_fma_f64 v[143:144], v[5:6], v[147:148], -v[143:144]
	v_fma_f64 v[147:148], v[7:8], v[147:148], v[199:200]
	v_add_f64 v[123:124], v[123:124], v[159:160]
	v_add_f64 v[121:122], v[121:122], v[137:138]
	s_clause 0x4
	buffer_load_dword v138, off, s[0:3], 0 offset:764
	buffer_load_dword v159, off, s[0:3], 0 offset:776
	buffer_load_dword v179, off, s[0:3], 0 offset:768
	buffer_load_dword v137, off, s[0:3], 0 offset:760
	buffer_load_dword v186, off, s[0:3], 0 offset:740
	ds_read_b128 v[5:8], v178 offset:1392
	s_waitcnt vmcnt(57) lgkmcnt(1)
	v_mul_f64 v[199:200], v[117:118], v[151:152]
	v_mul_f64 v[151:152], v[119:120], v[151:152]
	s_waitcnt vmcnt(56)
	v_fma_f64 v[167:168], v[1:2], v[169:170], -v[167:168]
	v_add_f64 v[123:124], v[123:124], v[143:144]
	v_fma_f64 v[143:144], v[3:4], v[169:170], v[161:162]
	v_add_f64 v[121:122], v[121:122], v[147:148]
	s_clause 0x2
	buffer_load_dword v160, off, s[0:3], 0 offset:780
	buffer_load_dword v148, off, s[0:3], 0 offset:756
	buffer_load_dword v147, off, s[0:3], 0 offset:752
	ds_read_b128 v[1:4], v178 offset:1408
	s_waitcnt vmcnt(58) lgkmcnt(1)
	v_mul_f64 v[169:170], v[7:8], v[173:174]
	v_mul_f64 v[161:162], v[5:6], v[173:174]
	;; [unrolled: 28-line block ×4, first 2 shown]
	s_waitcnt vmcnt(56)
	v_fma_f64 v[165:166], v[5:6], v[171:172], -v[165:166]
	v_add_f64 v[123:124], v[123:124], v[163:164]
	v_fma_f64 v[163:164], v[7:8], v[171:172], v[199:200]
	v_add_f64 v[121:122], v[121:122], v[157:158]
	s_clause 0x4
	buffer_load_dword v158, off, s[0:3], 0 offset:860
	buffer_load_dword v171, off, s[0:3], 0 offset:872
	;; [unrolled: 1-line block ×5, first 2 shown]
	ds_read_b128 v[5:8], v178 offset:1488
	s_waitcnt vmcnt(57) lgkmcnt(1)
	v_mul_f64 v[199:200], v[117:118], v[129:130]
	v_mul_f64 v[129:130], v[119:120], v[129:130]
	s_waitcnt vmcnt(56)
	v_fma_f64 v[181:182], v[1:2], v[191:192], -v[181:182]
	v_fma_f64 v[161:162], v[3:4], v[191:192], v[161:162]
	v_add_f64 v[123:124], v[123:124], v[165:166]
	v_add_f64 v[121:122], v[121:122], v[163:164]
	s_clause 0x2
	buffer_load_dword v172, off, s[0:3], 0 offset:876
	buffer_load_dword v164, off, s[0:3], 0 offset:852
	;; [unrolled: 1-line block ×3, first 2 shown]
	ds_read_b128 v[1:4], v178 offset:1504
	buffer_load_dword v188, off, s[0:3], 0 offset:868
	s_waitcnt vmcnt(59) lgkmcnt(1)
	v_mul_f64 v[165:166], v[5:6], v[189:190]
	v_mul_f64 v[189:190], v[7:8], v[189:190]
	s_waitcnt vmcnt(57)
	v_fma_f64 v[129:130], v[117:118], v[135:136], -v[129:130]
	v_fma_f64 v[135:136], v[119:120], v[135:136], v[199:200]
	ds_read_b128 v[117:120], v178 offset:1520
	v_add_f64 v[123:124], v[123:124], v[181:182]
	v_add_f64 v[121:122], v[121:122], v[161:162]
	s_waitcnt vmcnt(53) lgkmcnt(1)
	v_mul_f64 v[161:162], v[1:2], v[141:142]
	v_mul_f64 v[141:142], v[3:4], v[141:142]
	s_waitcnt vmcnt(52)
	v_fma_f64 v[181:182], v[5:6], v[195:196], -v[189:190]
	v_add_f64 v[123:124], v[123:124], v[129:130]
	v_fma_f64 v[129:130], v[7:8], v[195:196], v[165:166]
	v_add_f64 v[121:122], v[121:122], v[135:136]
	ds_read_b128 v[5:8], v178 offset:1536
	s_waitcnt vmcnt(51) lgkmcnt(1)
	v_mul_f64 v[165:166], v[119:120], v[183:184]
	v_mul_f64 v[135:136], v[117:118], v[183:184]
	s_waitcnt vmcnt(49)
	v_fma_f64 v[141:142], v[1:2], v[133:134], -v[141:142]
	v_fma_f64 v[133:134], v[3:4], v[133:134], v[161:162]
	v_add_f64 v[123:124], v[123:124], v[181:182]
	v_add_f64 v[121:122], v[121:122], v[129:130]
	s_clause 0x3
	buffer_load_dword v129, off, s[0:3], 0 offset:48
	buffer_load_dword v130, off, s[0:3], 0 offset:52
	;; [unrolled: 1-line block ×4, first 2 shown]
	ds_read_b128 v[1:4], v178 offset:1552
	s_waitcnt vmcnt(49) lgkmcnt(1)
	v_mul_f64 v[181:182], v[5:6], v[127:128]
	v_mul_f64 v[127:128], v[7:8], v[127:128]
	s_waitcnt vmcnt(48)
	v_fma_f64 v[165:166], v[117:118], v[197:198], -v[165:166]
	v_fma_f64 v[135:136], v[119:120], v[197:198], v[135:136]
	ds_read_b128 v[117:120], v178 offset:1568
	v_add_f64 v[123:124], v[123:124], v[141:142]
	v_add_f64 v[121:122], v[121:122], v[133:134]
	s_waitcnt vmcnt(47) lgkmcnt(1)
	v_mul_f64 v[141:142], v[3:4], v[145:146]
	v_mul_f64 v[133:134], v[1:2], v[145:146]
	s_waitcnt vmcnt(45)
	v_fma_f64 v[127:128], v[5:6], v[139:140], -v[127:128]
	v_fma_f64 v[139:140], v[7:8], v[139:140], v[181:182]
	ds_read_b128 v[5:8], v178 offset:1584
	v_add_f64 v[123:124], v[123:124], v[165:166]
	v_add_f64 v[121:122], v[121:122], v[135:136]
	s_waitcnt vmcnt(41) lgkmcnt(1)
	v_mul_f64 v[135:136], v[117:118], v[131:132]
	v_mul_f64 v[131:132], v[119:120], v[131:132]
	s_waitcnt vmcnt(40)
	v_fma_f64 v[141:142], v[1:2], v[193:194], -v[141:142]
	v_add_f64 v[123:124], v[123:124], v[127:128]
	v_fma_f64 v[127:128], v[3:4], v[193:194], v[133:134]
	v_add_f64 v[121:122], v[121:122], v[139:140]
	ds_read_b128 v[1:4], v178 offset:1600
	s_waitcnt vmcnt(39) lgkmcnt(1)
	v_mul_f64 v[139:140], v[7:8], v[153:154]
	v_mul_f64 v[133:134], v[5:6], v[153:154]
	s_waitcnt vmcnt(37)
	v_fma_f64 v[131:132], v[117:118], v[149:150], -v[131:132]
	v_fma_f64 v[135:136], v[119:120], v[149:150], v[135:136]
	ds_read_b128 v[117:120], v178 offset:1616
	v_add_f64 v[123:124], v[123:124], v[141:142]
	v_add_f64 v[121:122], v[121:122], v[127:128]
	s_waitcnt vmcnt(33) lgkmcnt(1)
	v_mul_f64 v[127:128], v[1:2], v[137:138]
	v_mul_f64 v[137:138], v[3:4], v[137:138]
	s_waitcnt vmcnt(32)
	v_fma_f64 v[139:140], v[5:6], v[185:186], -v[139:140]
	v_add_f64 v[123:124], v[123:124], v[131:132]
	v_fma_f64 v[131:132], v[7:8], v[185:186], v[133:134]
	v_add_f64 v[121:122], v[121:122], v[135:136]
	ds_read_b128 v[5:8], v178 offset:1632
	s_waitcnt vmcnt(31) lgkmcnt(1)
	v_mul_f64 v[135:136], v[119:120], v[159:160]
	v_mul_f64 v[133:134], v[117:118], v[159:160]
	s_waitcnt vmcnt(29)
	v_fma_f64 v[137:138], v[1:2], v[147:148], -v[137:138]
	v_fma_f64 v[127:128], v[3:4], v[147:148], v[127:128]
	ds_read_b128 v[1:4], v178 offset:1648
	v_add_f64 v[123:124], v[123:124], v[139:140]
	v_add_f64 v[121:122], v[121:122], v[131:132]
	s_waitcnt vmcnt(25) lgkmcnt(1)
	v_mul_f64 v[139:140], v[7:8], v[143:144]
	s_waitcnt vmcnt(24)
	v_fma_f64 v[135:136], v[117:118], v[179:180], -v[135:136]
	v_mul_f64 v[131:132], v[5:6], v[143:144]
	v_fma_f64 v[133:134], v[119:120], v[179:180], v[133:134]
	ds_read_b128 v[117:120], v178 offset:1664
	v_add_f64 v[123:124], v[123:124], v[137:138]
	v_add_f64 v[121:122], v[121:122], v[127:128]
	s_waitcnt vmcnt(23) lgkmcnt(1)
	v_mul_f64 v[137:138], v[3:4], v[167:168]
	v_mul_f64 v[127:128], v[1:2], v[167:168]
	s_waitcnt vmcnt(21)
	v_fma_f64 v[139:140], v[5:6], v[155:156], -v[139:140]
	v_fma_f64 v[131:132], v[7:8], v[155:156], v[131:132]
	ds_read_b128 v[5:8], v178 offset:1680
	v_add_f64 v[123:124], v[123:124], v[135:136]
	v_add_f64 v[121:122], v[121:122], v[133:134]
	s_waitcnt vmcnt(17) lgkmcnt(1)
	v_mul_f64 v[135:136], v[119:120], v[151:152]
	s_waitcnt vmcnt(16)
	v_fma_f64 v[137:138], v[1:2], v[173:174], -v[137:138]
	v_mul_f64 v[133:134], v[117:118], v[151:152]
	v_fma_f64 v[127:128], v[3:4], v[173:174], v[127:128]
	ds_read_b128 v[1:4], v178 offset:1696
	v_add_f64 v[123:124], v[123:124], v[139:140]
	v_add_f64 v[121:122], v[121:122], v[131:132]
	s_waitcnt vmcnt(15) lgkmcnt(1)
	v_mul_f64 v[139:140], v[7:8], v[169:170]
	v_mul_f64 v[131:132], v[5:6], v[169:170]
	s_waitcnt vmcnt(13)
	v_fma_f64 v[135:136], v[117:118], v[125:126], -v[135:136]
	v_fma_f64 v[125:126], v[119:120], v[125:126], v[133:134]
	ds_read_b128 v[117:120], v178 offset:1712
	v_add_f64 v[123:124], v[123:124], v[137:138]
	v_add_f64 v[121:122], v[121:122], v[127:128]
	s_waitcnt vmcnt(9) lgkmcnt(1)
	v_mul_f64 v[133:134], v[3:4], v[157:158]
	s_waitcnt vmcnt(8)
	v_fma_f64 v[5:6], v[5:6], v[175:176], -v[139:140]
	v_mul_f64 v[127:128], v[1:2], v[157:158]
	v_fma_f64 v[7:8], v[7:8], v[175:176], v[131:132]
	v_add_f64 v[123:124], v[123:124], v[135:136]
	v_add_f64 v[121:122], v[121:122], v[125:126]
	s_waitcnt vmcnt(7) lgkmcnt(0)
	v_mul_f64 v[131:132], v[119:120], v[171:172]
	v_mul_f64 v[125:126], v[117:118], v[171:172]
	s_waitcnt vmcnt(5)
	v_fma_f64 v[1:2], v[1:2], v[163:164], -v[133:134]
	v_fma_f64 v[3:4], v[3:4], v[163:164], v[127:128]
	v_add_f64 v[5:6], v[123:124], v[5:6]
	v_add_f64 v[7:8], v[121:122], v[7:8]
	s_waitcnt vmcnt(4)
	v_fma_f64 v[117:118], v[117:118], v[187:188], -v[131:132]
	v_add_f64 v[1:2], v[5:6], v[1:2]
	v_fma_f64 v[5:6], v[119:120], v[187:188], v[125:126]
	v_add_f64 v[3:4], v[7:8], v[3:4]
	v_add_f64 v[1:2], v[1:2], v[117:118]
	;; [unrolled: 1-line block ×3, first 2 shown]
	s_waitcnt vmcnt(2)
	v_add_f64 v[1:2], v[129:130], -v[1:2]
	s_waitcnt vmcnt(0)
	v_add_f64 v[3:4], v[161:162], -v[3:4]
	buffer_store_dword v2, off, s[0:3], 0 offset:52
	buffer_store_dword v1, off, s[0:3], 0 offset:48
	;; [unrolled: 1-line block ×4, first 2 shown]
	v_cmpx_lt_u32_e32 1, v0
	s_cbranch_execz .LBB117_335
; %bb.334:
	v_mov_b32_e32 v4, s65
	s_clause 0x3
	buffer_load_dword v1, v4, s[0:3], 0 offen
	buffer_load_dword v2, v4, s[0:3], 0 offen offset:4
	buffer_load_dword v3, v4, s[0:3], 0 offen offset:8
	;; [unrolled: 1-line block ×3, first 2 shown]
	buffer_store_dword v178, off, s[0:3], 0 offset:32
	buffer_store_dword v178, off, s[0:3], 0 offset:36
	;; [unrolled: 1-line block ×4, first 2 shown]
	s_waitcnt vmcnt(0)
	ds_write_b128 v177, v[1:4]
.LBB117_335:
	s_or_b32 exec_lo, exec_lo, s4
	s_waitcnt lgkmcnt(0)
	s_waitcnt_vscnt null, 0x0
	s_barrier
	buffer_gl0_inv
	s_clause 0x37
	buffer_load_dword v125, off, s[0:3], 0 offset:56
	buffer_load_dword v126, off, s[0:3], 0 offset:60
	;; [unrolled: 1-line block ×56, first 2 shown]
	ds_read_b128 v[5:8], v178 offset:896
	s_clause 0x2
	buffer_load_dword v174, off, s[0:3], 0 offset:284
	buffer_load_dword v176, off, s[0:3], 0 offset:260
	buffer_load_dword v175, off, s[0:3], 0 offset:256
	ds_read_b128 v[1:4], v178 offset:912
	s_clause 0x4
	buffer_load_dword v186, off, s[0:3], 0 offset:300
	buffer_load_dword v187, off, s[0:3], 0 offset:312
	buffer_load_dword v189, off, s[0:3], 0 offset:304
	buffer_load_dword v185, off, s[0:3], 0 offset:296
	buffer_load_dword v166, off, s[0:3], 0 offset:276
	ds_read_b128 v[179:182], v178 offset:928
	s_mov_b32 s4, exec_lo
	s_waitcnt vmcnt(62) lgkmcnt(2)
	v_mul_f64 v[183:184], v[7:8], v[125:126]
	v_mul_f64 v[125:126], v[5:6], v[125:126]
	s_waitcnt vmcnt(60) lgkmcnt(1)
	v_mul_f64 v[190:191], v[3:4], v[121:122]
	v_mul_f64 v[121:122], v[1:2], v[121:122]
	;; [unrolled: 3-line block ×3, first 2 shown]
	v_fma_f64 v[183:184], v[5:6], v[123:124], -v[183:184]
	v_fma_f64 v[123:124], v[7:8], v[123:124], v[125:126]
	s_clause 0x2
	buffer_load_dword v188, off, s[0:3], 0 offset:316
	buffer_load_dword v126, off, s[0:3], 0 offset:292
	;; [unrolled: 1-line block ×3, first 2 shown]
	s_waitcnt vmcnt(57)
	v_fma_f64 v[194:195], v[1:2], v[117:118], -v[190:191]
	ds_read_b128 v[5:8], v178 offset:944
	v_fma_f64 v[117:118], v[3:4], v[117:118], v[121:122]
	s_waitcnt vmcnt(51)
	v_fma_f64 v[179:180], v[179:180], v[141:142], -v[119:120]
	v_fma_f64 v[141:142], v[181:182], v[141:142], v[192:193]
	v_add_f64 v[183:184], v[183:184], 0
	v_add_f64 v[121:122], v[123:124], 0
	s_clause 0x4
	buffer_load_dword v124, off, s[0:3], 0 offset:332
	buffer_load_dword v191, off, s[0:3], 0 offset:344
	;; [unrolled: 1-line block ×5, first 2 shown]
	s_waitcnt lgkmcnt(0)
	v_mul_f64 v[197:198], v[5:6], v[129:130]
	v_mul_f64 v[129:130], v[7:8], v[129:130]
	ds_read_b128 v[1:4], v178 offset:960
	s_clause 0x2
	buffer_load_dword v192, off, s[0:3], 0 offset:348
	buffer_load_dword v182, off, s[0:3], 0 offset:324
	;; [unrolled: 1-line block ×3, first 2 shown]
	v_add_f64 v[183:184], v[183:184], v[194:195]
	v_add_f64 v[121:122], v[121:122], v[117:118]
	ds_read_b128 v[117:120], v178 offset:976
	s_waitcnt vmcnt(58) lgkmcnt(1)
	v_mul_f64 v[193:194], v[1:2], v[133:134]
	v_mul_f64 v[133:134], v[3:4], v[133:134]
	s_waitcnt vmcnt(56)
	v_fma_f64 v[129:130], v[5:6], v[135:136], -v[129:130]
	v_fma_f64 v[135:136], v[7:8], v[135:136], v[197:198]
	s_waitcnt vmcnt(52) lgkmcnt(0)
	v_mul_f64 v[199:200], v[117:118], v[137:138]
	v_add_f64 v[179:180], v[183:184], v[179:180]
	v_add_f64 v[121:122], v[121:122], v[141:142]
	s_clause 0x4
	buffer_load_dword v142, off, s[0:3], 0 offset:364
	buffer_load_dword v183, off, s[0:3], 0 offset:376
	;; [unrolled: 1-line block ×5, first 2 shown]
	v_mul_f64 v[137:138], v[119:120], v[137:138]
	s_waitcnt vmcnt(56)
	v_fma_f64 v[133:134], v[1:2], v[127:128], -v[133:134]
	ds_read_b128 v[5:8], v178 offset:992
	v_fma_f64 v[127:128], v[3:4], v[127:128], v[193:194]
	v_add_f64 v[129:130], v[179:180], v[129:130]
	v_add_f64 v[121:122], v[121:122], v[135:136]
	s_clause 0x2
	buffer_load_dword v184, off, s[0:3], 0 offset:380
	buffer_load_dword v136, off, s[0:3], 0 offset:356
	;; [unrolled: 1-line block ×3, first 2 shown]
	s_waitcnt vmcnt(58) lgkmcnt(0)
	v_mul_f64 v[179:180], v[5:6], v[143:144]
	v_mul_f64 v[143:144], v[7:8], v[143:144]
	s_waitcnt vmcnt(56)
	v_fma_f64 v[137:138], v[117:118], v[145:146], -v[137:138]
	ds_read_b128 v[1:4], v178 offset:1008
	v_add_f64 v[129:130], v[129:130], v[133:134]
	v_fma_f64 v[133:134], v[119:120], v[145:146], v[199:200]
	v_add_f64 v[121:122], v[121:122], v[127:128]
	s_clause 0x4
	buffer_load_dword v128, off, s[0:3], 0 offset:396
	buffer_load_dword v145, off, s[0:3], 0 offset:408
	;; [unrolled: 1-line block ×5, first 2 shown]
	s_waitcnt vmcnt(57) lgkmcnt(0)
	v_mul_f64 v[194:195], v[1:2], v[147:148]
	v_mul_f64 v[147:148], v[3:4], v[147:148]
	s_waitcnt vmcnt(56)
	v_fma_f64 v[143:144], v[5:6], v[131:132], -v[143:144]
	ds_read_b128 v[117:120], v178 offset:1024
	v_fma_f64 v[131:132], v[7:8], v[131:132], v[179:180]
	v_add_f64 v[129:130], v[129:130], v[137:138]
	v_add_f64 v[121:122], v[121:122], v[133:134]
	s_clause 0x2
	buffer_load_dword v146, off, s[0:3], 0 offset:412
	buffer_load_dword v134, off, s[0:3], 0 offset:388
	;; [unrolled: 1-line block ×3, first 2 shown]
	ds_read_b128 v[5:8], v178 offset:1040
	s_waitcnt vmcnt(58) lgkmcnt(1)
	v_mul_f64 v[137:138], v[117:118], v[151:152]
	v_mul_f64 v[151:152], v[119:120], v[151:152]
	s_waitcnt vmcnt(56)
	v_fma_f64 v[147:148], v[1:2], v[153:154], -v[147:148]
	v_add_f64 v[129:130], v[129:130], v[143:144]
	v_fma_f64 v[143:144], v[3:4], v[153:154], v[194:195]
	v_add_f64 v[121:122], v[121:122], v[131:132]
	s_clause 0x4
	buffer_load_dword v132, off, s[0:3], 0 offset:428
	buffer_load_dword v153, off, s[0:3], 0 offset:440
	buffer_load_dword v179, off, s[0:3], 0 offset:432
	buffer_load_dword v131, off, s[0:3], 0 offset:424
	buffer_load_dword v194, off, s[0:3], 0 offset:404
	s_waitcnt vmcnt(57) lgkmcnt(0)
	v_mul_f64 v[200:201], v[5:6], v[155:156]
	v_mul_f64 v[155:156], v[7:8], v[155:156]
	s_waitcnt vmcnt(56)
	v_fma_f64 v[151:152], v[117:118], v[139:140], -v[151:152]
	ds_read_b128 v[1:4], v178 offset:1056
	v_fma_f64 v[137:138], v[119:120], v[139:140], v[137:138]
	s_clause 0x2
	buffer_load_dword v154, off, s[0:3], 0 offset:444
	buffer_load_dword v140, off, s[0:3], 0 offset:420
	;; [unrolled: 1-line block ×3, first 2 shown]
	ds_read_b128 v[117:120], v178 offset:1072
	v_add_f64 v[129:130], v[129:130], v[147:148]
	v_add_f64 v[121:122], v[121:122], v[143:144]
	s_waitcnt vmcnt(58) lgkmcnt(1)
	v_mul_f64 v[147:148], v[3:4], v[159:160]
	s_waitcnt vmcnt(56)
	v_fma_f64 v[155:156], v[5:6], v[161:162], -v[155:156]
	v_mul_f64 v[143:144], v[1:2], v[159:160]
	v_add_f64 v[129:130], v[129:130], v[151:152]
	v_fma_f64 v[151:152], v[7:8], v[161:162], v[200:201]
	v_add_f64 v[121:122], v[121:122], v[137:138]
	s_clause 0x4
	buffer_load_dword v138, off, s[0:3], 0 offset:460
	buffer_load_dword v159, off, s[0:3], 0 offset:472
	;; [unrolled: 1-line block ×5, first 2 shown]
	s_waitcnt vmcnt(57) lgkmcnt(0)
	v_mul_f64 v[200:201], v[117:118], v[163:164]
	v_mul_f64 v[162:163], v[119:120], v[163:164]
	s_waitcnt vmcnt(56)
	v_fma_f64 v[147:148], v[1:2], v[149:150], -v[147:148]
	ds_read_b128 v[5:8], v178 offset:1088
	v_fma_f64 v[143:144], v[3:4], v[149:150], v[143:144]
	s_clause 0x2
	buffer_load_dword v160, off, s[0:3], 0 offset:476
	buffer_load_dword v150, off, s[0:3], 0 offset:452
	;; [unrolled: 1-line block ×3, first 2 shown]
	ds_read_b128 v[1:4], v178 offset:1104
	v_add_f64 v[129:130], v[129:130], v[155:156]
	v_add_f64 v[121:122], v[121:122], v[151:152]
	s_waitcnt vmcnt(58) lgkmcnt(1)
	v_mul_f64 v[155:156], v[7:8], v[167:168]
	s_waitcnt vmcnt(56)
	v_fma_f64 v[163:164], v[117:118], v[169:170], -v[162:163]
	v_mul_f64 v[151:152], v[5:6], v[167:168]
	v_add_f64 v[129:130], v[129:130], v[147:148]
	v_fma_f64 v[147:148], v[119:120], v[169:170], v[200:201]
	v_add_f64 v[121:122], v[121:122], v[143:144]
	s_clause 0x4
	buffer_load_dword v144, off, s[0:3], 0 offset:492
	buffer_load_dword v167, off, s[0:3], 0 offset:504
	;; [unrolled: 1-line block ×5, first 2 shown]
	s_waitcnt vmcnt(57) lgkmcnt(0)
	v_mul_f64 v[200:201], v[1:2], v[171:172]
	v_mul_f64 v[170:171], v[3:4], v[171:172]
	s_waitcnt vmcnt(56)
	v_fma_f64 v[155:156], v[5:6], v[157:158], -v[155:156]
	ds_read_b128 v[117:120], v178 offset:1120
	v_fma_f64 v[151:152], v[7:8], v[157:158], v[151:152]
	v_add_f64 v[129:130], v[129:130], v[163:164]
	v_add_f64 v[121:122], v[121:122], v[147:148]
	s_clause 0x2
	buffer_load_dword v168, off, s[0:3], 0 offset:508
	buffer_load_dword v148, off, s[0:3], 0 offset:484
	;; [unrolled: 1-line block ×3, first 2 shown]
	ds_read_b128 v[5:8], v178 offset:1136
	s_waitcnt vmcnt(58) lgkmcnt(1)
	v_mul_f64 v[163:164], v[119:120], v[173:174]
	s_waitcnt vmcnt(56)
	v_fma_f64 v[171:172], v[1:2], v[175:176], -v[170:171]
	v_mul_f64 v[157:158], v[117:118], v[173:174]
	v_add_f64 v[129:130], v[129:130], v[155:156]
	v_fma_f64 v[155:156], v[3:4], v[175:176], v[200:201]
	v_add_f64 v[121:122], v[121:122], v[151:152]
	s_clause 0x4
	buffer_load_dword v152, off, s[0:3], 0 offset:524
	buffer_load_dword v173, off, s[0:3], 0 offset:536
	;; [unrolled: 1-line block ×5, first 2 shown]
	s_waitcnt vmcnt(57) lgkmcnt(0)
	v_mul_f64 v[200:201], v[5:6], v[185:186]
	v_mul_f64 v[185:186], v[7:8], v[185:186]
	s_waitcnt vmcnt(56)
	v_fma_f64 v[163:164], v[117:118], v[165:166], -v[163:164]
	ds_read_b128 v[1:4], v178 offset:1152
	v_fma_f64 v[157:158], v[119:120], v[165:166], v[157:158]
	v_add_f64 v[129:130], v[129:130], v[171:172]
	v_add_f64 v[121:122], v[121:122], v[155:156]
	s_clause 0x2
	buffer_load_dword v174, off, s[0:3], 0 offset:540
	buffer_load_dword v156, off, s[0:3], 0 offset:516
	;; [unrolled: 1-line block ×3, first 2 shown]
	ds_read_b128 v[117:120], v178 offset:1168
	s_waitcnt vmcnt(58) lgkmcnt(1)
	v_mul_f64 v[171:172], v[3:4], v[187:188]
	v_mul_f64 v[165:166], v[1:2], v[187:188]
	s_waitcnt vmcnt(56)
	v_fma_f64 v[185:186], v[5:6], v[125:126], -v[185:186]
	v_fma_f64 v[125:126], v[7:8], v[125:126], v[200:201]
	v_add_f64 v[129:130], v[129:130], v[163:164]
	v_add_f64 v[121:122], v[121:122], v[157:158]
	s_clause 0x4
	buffer_load_dword v158, off, s[0:3], 0 offset:556
	buffer_load_dword v163, off, s[0:3], 0 offset:568
	;; [unrolled: 1-line block ×5, first 2 shown]
	ds_read_b128 v[5:8], v178 offset:1184
	s_waitcnt vmcnt(57) lgkmcnt(1)
	v_mul_f64 v[200:201], v[117:118], v[123:124]
	v_mul_f64 v[123:124], v[119:120], v[123:124]
	s_waitcnt vmcnt(56)
	v_fma_f64 v[171:172], v[1:2], v[189:190], -v[171:172]
	v_fma_f64 v[165:166], v[3:4], v[189:190], v[165:166]
	v_add_f64 v[129:130], v[129:130], v[185:186]
	v_add_f64 v[121:122], v[121:122], v[125:126]
	s_clause 0x2
	buffer_load_dword v164, off, s[0:3], 0 offset:572
	buffer_load_dword v126, off, s[0:3], 0 offset:548
	;; [unrolled: 1-line block ×3, first 2 shown]
	s_waitcnt vmcnt(58) lgkmcnt(0)
	v_mul_f64 v[189:190], v[7:8], v[191:192]
	ds_read_b128 v[1:4], v178 offset:1200
	v_mul_f64 v[185:186], v[5:6], v[191:192]
	s_waitcnt vmcnt(56)
	v_fma_f64 v[123:124], v[117:118], v[181:182], -v[123:124]
	v_add_f64 v[129:130], v[129:130], v[171:172]
	v_fma_f64 v[171:172], v[119:120], v[181:182], v[200:201]
	v_add_f64 v[121:122], v[121:122], v[165:166]
	s_clause 0x4
	buffer_load_dword v166, off, s[0:3], 0 offset:588
	buffer_load_dword v181, off, s[0:3], 0 offset:600
	;; [unrolled: 1-line block ×5, first 2 shown]
	ds_read_b128 v[117:120], v178 offset:1216
	s_waitcnt vmcnt(57) lgkmcnt(1)
	v_mul_f64 v[200:201], v[1:2], v[141:142]
	v_mul_f64 v[141:142], v[3:4], v[141:142]
	s_waitcnt vmcnt(56)
	v_fma_f64 v[189:190], v[5:6], v[196:197], -v[189:190]
	v_add_f64 v[123:124], v[129:130], v[123:124]
	v_fma_f64 v[129:130], v[7:8], v[196:197], v[185:186]
	v_add_f64 v[121:122], v[121:122], v[171:172]
	s_clause 0x2
	buffer_load_dword v182, off, s[0:3], 0 offset:604
	buffer_load_dword v172, off, s[0:3], 0 offset:580
	buffer_load_dword v171, off, s[0:3], 0 offset:576
	ds_read_b128 v[5:8], v178 offset:1232
	s_waitcnt vmcnt(58) lgkmcnt(1)
	v_mul_f64 v[185:186], v[117:118], v[183:184]
	v_mul_f64 v[183:184], v[119:120], v[183:184]
	s_waitcnt vmcnt(56)
	v_fma_f64 v[141:142], v[1:2], v[135:136], -v[141:142]
	v_fma_f64 v[135:136], v[3:4], v[135:136], v[200:201]
	v_add_f64 v[123:124], v[123:124], v[189:190]
	v_add_f64 v[121:122], v[121:122], v[129:130]
	s_clause 0x4
	buffer_load_dword v130, off, s[0:3], 0 offset:620
	buffer_load_dword v189, off, s[0:3], 0 offset:632
	;; [unrolled: 1-line block ×5, first 2 shown]
	ds_read_b128 v[1:4], v178 offset:1248
	s_waitcnt vmcnt(57) lgkmcnt(1)
	v_mul_f64 v[196:197], v[5:6], v[127:128]
	v_mul_f64 v[127:128], v[7:8], v[127:128]
	s_waitcnt vmcnt(56)
	v_fma_f64 v[183:184], v[117:118], v[198:199], -v[183:184]
	v_add_f64 v[123:124], v[123:124], v[141:142]
	v_fma_f64 v[141:142], v[119:120], v[198:199], v[185:186]
	v_add_f64 v[121:122], v[121:122], v[135:136]
	s_clause 0x2
	buffer_load_dword v190, off, s[0:3], 0 offset:636
	buffer_load_dword v136, off, s[0:3], 0 offset:612
	;; [unrolled: 1-line block ×3, first 2 shown]
	ds_read_b128 v[117:120], v178 offset:1264
	s_waitcnt vmcnt(58) lgkmcnt(1)
	v_mul_f64 v[185:186], v[1:2], v[145:146]
	v_mul_f64 v[145:146], v[3:4], v[145:146]
	s_waitcnt vmcnt(56)
	v_fma_f64 v[127:128], v[5:6], v[133:134], -v[127:128]
	v_fma_f64 v[133:134], v[7:8], v[133:134], v[196:197]
	v_add_f64 v[123:124], v[123:124], v[183:184]
	v_add_f64 v[121:122], v[121:122], v[141:142]
	s_clause 0x4
	buffer_load_dword v142, off, s[0:3], 0 offset:652
	buffer_load_dword v183, off, s[0:3], 0 offset:664
	;; [unrolled: 1-line block ×5, first 2 shown]
	ds_read_b128 v[5:8], v178 offset:1280
	s_waitcnt vmcnt(57) lgkmcnt(1)
	v_mul_f64 v[198:199], v[117:118], v[131:132]
	v_mul_f64 v[131:132], v[119:120], v[131:132]
	s_waitcnt vmcnt(56)
	v_fma_f64 v[145:146], v[1:2], v[193:194], -v[145:146]
	v_add_f64 v[123:124], v[123:124], v[127:128]
	v_fma_f64 v[127:128], v[3:4], v[193:194], v[185:186]
	v_add_f64 v[121:122], v[121:122], v[133:134]
	s_clause 0x2
	buffer_load_dword v184, off, s[0:3], 0 offset:668
	buffer_load_dword v134, off, s[0:3], 0 offset:644
	buffer_load_dword v133, off, s[0:3], 0 offset:640
	s_waitcnt vmcnt(58) lgkmcnt(0)
	v_mul_f64 v[185:186], v[5:6], v[153:154]
	v_mul_f64 v[153:154], v[7:8], v[153:154]
	ds_read_b128 v[1:4], v178 offset:1296
	s_waitcnt vmcnt(56)
	v_fma_f64 v[131:132], v[117:118], v[139:140], -v[131:132]
	v_fma_f64 v[139:140], v[119:120], v[139:140], v[198:199]
	v_add_f64 v[123:124], v[123:124], v[145:146]
	v_add_f64 v[121:122], v[121:122], v[127:128]
	s_clause 0x4
	buffer_load_dword v128, off, s[0:3], 0 offset:684
	buffer_load_dword v145, off, s[0:3], 0 offset:696
	;; [unrolled: 1-line block ×5, first 2 shown]
	ds_read_b128 v[117:120], v178 offset:1312
	s_waitcnt vmcnt(57) lgkmcnt(1)
	v_mul_f64 v[199:200], v[1:2], v[137:138]
	v_mul_f64 v[137:138], v[3:4], v[137:138]
	s_waitcnt vmcnt(56)
	v_fma_f64 v[153:154], v[5:6], v[179:180], -v[153:154]
	v_add_f64 v[123:124], v[123:124], v[131:132]
	v_fma_f64 v[131:132], v[7:8], v[179:180], v[185:186]
	v_add_f64 v[121:122], v[121:122], v[139:140]
	s_clause 0x2
	buffer_load_dword v146, off, s[0:3], 0 offset:700
	buffer_load_dword v140, off, s[0:3], 0 offset:676
	;; [unrolled: 1-line block ×3, first 2 shown]
	s_waitcnt vmcnt(58) lgkmcnt(0)
	v_mul_f64 v[179:180], v[117:118], v[159:160]
	v_mul_f64 v[159:160], v[119:120], v[159:160]
	ds_read_b128 v[5:8], v178 offset:1328
	s_waitcnt vmcnt(56)
	v_fma_f64 v[137:138], v[1:2], v[149:150], -v[137:138]
	v_fma_f64 v[149:150], v[3:4], v[149:150], v[199:200]
	v_add_f64 v[123:124], v[123:124], v[153:154]
	v_add_f64 v[121:122], v[121:122], v[131:132]
	s_clause 0x4
	buffer_load_dword v132, off, s[0:3], 0 offset:716
	buffer_load_dword v153, off, s[0:3], 0 offset:728
	buffer_load_dword v185, off, s[0:3], 0 offset:720
	buffer_load_dword v131, off, s[0:3], 0 offset:712
	buffer_load_dword v194, off, s[0:3], 0 offset:692
	ds_read_b128 v[1:4], v178 offset:1344
	s_waitcnt vmcnt(57) lgkmcnt(1)
	v_mul_f64 v[199:200], v[5:6], v[143:144]
	v_mul_f64 v[143:144], v[7:8], v[143:144]
	s_waitcnt vmcnt(56)
	v_fma_f64 v[159:160], v[117:118], v[161:162], -v[159:160]
	v_add_f64 v[123:124], v[123:124], v[137:138]
	v_fma_f64 v[137:138], v[119:120], v[161:162], v[179:180]
	v_add_f64 v[121:122], v[121:122], v[149:150]
	s_clause 0x2
	buffer_load_dword v154, off, s[0:3], 0 offset:732
	buffer_load_dword v150, off, s[0:3], 0 offset:708
	buffer_load_dword v149, off, s[0:3], 0 offset:704
	ds_read_b128 v[117:120], v178 offset:1360
	s_waitcnt vmcnt(58) lgkmcnt(1)
	v_mul_f64 v[161:162], v[1:2], v[167:168]
	v_mul_f64 v[167:168], v[3:4], v[167:168]
	s_waitcnt vmcnt(56)
	v_fma_f64 v[143:144], v[5:6], v[147:148], -v[143:144]
	v_fma_f64 v[147:148], v[7:8], v[147:148], v[199:200]
	v_add_f64 v[123:124], v[123:124], v[159:160]
	v_add_f64 v[121:122], v[121:122], v[137:138]
	s_clause 0x4
	buffer_load_dword v138, off, s[0:3], 0 offset:748
	buffer_load_dword v159, off, s[0:3], 0 offset:760
	buffer_load_dword v179, off, s[0:3], 0 offset:752
	buffer_load_dword v137, off, s[0:3], 0 offset:744
	buffer_load_dword v186, off, s[0:3], 0 offset:724
	ds_read_b128 v[5:8], v178 offset:1376
	s_waitcnt vmcnt(57) lgkmcnt(1)
	v_mul_f64 v[199:200], v[117:118], v[151:152]
	v_mul_f64 v[151:152], v[119:120], v[151:152]
	s_waitcnt vmcnt(56)
	v_fma_f64 v[167:168], v[1:2], v[169:170], -v[167:168]
	v_add_f64 v[123:124], v[123:124], v[143:144]
	v_fma_f64 v[143:144], v[3:4], v[169:170], v[161:162]
	v_add_f64 v[121:122], v[121:122], v[147:148]
	s_clause 0x2
	buffer_load_dword v160, off, s[0:3], 0 offset:764
	buffer_load_dword v148, off, s[0:3], 0 offset:740
	buffer_load_dword v147, off, s[0:3], 0 offset:736
	ds_read_b128 v[1:4], v178 offset:1392
	s_waitcnt vmcnt(58) lgkmcnt(1)
	v_mul_f64 v[169:170], v[7:8], v[173:174]
	v_mul_f64 v[161:162], v[5:6], v[173:174]
	;; [unrolled: 28-line block ×4, first 2 shown]
	s_waitcnt vmcnt(56)
	v_fma_f64 v[165:166], v[5:6], v[171:172], -v[165:166]
	v_add_f64 v[123:124], v[123:124], v[163:164]
	v_fma_f64 v[163:164], v[7:8], v[171:172], v[199:200]
	v_add_f64 v[121:122], v[121:122], v[157:158]
	s_clause 0x4
	buffer_load_dword v158, off, s[0:3], 0 offset:844
	buffer_load_dword v171, off, s[0:3], 0 offset:856
	;; [unrolled: 1-line block ×5, first 2 shown]
	ds_read_b128 v[5:8], v178 offset:1472
	s_waitcnt vmcnt(57) lgkmcnt(1)
	v_mul_f64 v[199:200], v[117:118], v[129:130]
	v_mul_f64 v[129:130], v[119:120], v[129:130]
	s_waitcnt vmcnt(56)
	v_fma_f64 v[181:182], v[1:2], v[191:192], -v[181:182]
	v_fma_f64 v[161:162], v[3:4], v[191:192], v[161:162]
	v_add_f64 v[123:124], v[123:124], v[165:166]
	v_add_f64 v[121:122], v[121:122], v[163:164]
	s_clause 0x2
	buffer_load_dword v172, off, s[0:3], 0 offset:860
	buffer_load_dword v164, off, s[0:3], 0 offset:836
	;; [unrolled: 1-line block ×3, first 2 shown]
	ds_read_b128 v[1:4], v178 offset:1488
	s_waitcnt vmcnt(58) lgkmcnt(1)
	v_mul_f64 v[165:166], v[5:6], v[189:190]
	v_mul_f64 v[189:190], v[7:8], v[189:190]
	s_waitcnt vmcnt(56)
	v_fma_f64 v[129:130], v[117:118], v[135:136], -v[129:130]
	v_fma_f64 v[135:136], v[119:120], v[135:136], v[199:200]
	v_add_f64 v[123:124], v[123:124], v[181:182]
	v_add_f64 v[121:122], v[121:122], v[161:162]
	s_clause 0x2
	buffer_load_dword v162, off, s[0:3], 0 offset:876
	buffer_load_dword v161, off, s[0:3], 0 offset:872
	;; [unrolled: 1-line block ×3, first 2 shown]
	ds_read_b128 v[117:120], v178 offset:1504
	s_waitcnt vmcnt(55) lgkmcnt(1)
	v_mul_f64 v[181:182], v[1:2], v[141:142]
	v_mul_f64 v[141:142], v[3:4], v[141:142]
	s_waitcnt vmcnt(54)
	v_fma_f64 v[189:190], v[5:6], v[195:196], -v[189:190]
	v_add_f64 v[123:124], v[123:124], v[129:130]
	v_fma_f64 v[129:130], v[7:8], v[195:196], v[165:166]
	v_add_f64 v[121:122], v[121:122], v[135:136]
	s_clause 0x1
	buffer_load_dword v136, off, s[0:3], 0 offset:868
	buffer_load_dword v135, off, s[0:3], 0 offset:864
	ds_read_b128 v[5:8], v178 offset:1520
	s_waitcnt vmcnt(55) lgkmcnt(1)
	v_mul_f64 v[165:166], v[117:118], v[183:184]
	v_mul_f64 v[183:184], v[119:120], v[183:184]
	s_waitcnt vmcnt(53)
	v_fma_f64 v[141:142], v[1:2], v[133:134], -v[141:142]
	v_fma_f64 v[133:134], v[3:4], v[133:134], v[181:182]
	ds_read_b128 v[1:4], v178 offset:1536
	v_add_f64 v[123:124], v[123:124], v[189:190]
	v_add_f64 v[121:122], v[121:122], v[129:130]
	s_waitcnt vmcnt(49) lgkmcnt(1)
	v_mul_f64 v[129:130], v[5:6], v[127:128]
	v_mul_f64 v[127:128], v[7:8], v[127:128]
	s_waitcnt vmcnt(48)
	v_fma_f64 v[181:182], v[117:118], v[197:198], -v[183:184]
	v_add_f64 v[123:124], v[123:124], v[141:142]
	v_fma_f64 v[141:142], v[119:120], v[197:198], v[165:166]
	v_add_f64 v[121:122], v[121:122], v[133:134]
	s_clause 0x3
	buffer_load_dword v133, off, s[0:3], 0 offset:32
	buffer_load_dword v134, off, s[0:3], 0 offset:36
	;; [unrolled: 1-line block ×4, first 2 shown]
	ds_read_b128 v[117:120], v178 offset:1552
	s_waitcnt vmcnt(51) lgkmcnt(1)
	v_mul_f64 v[183:184], v[1:2], v[145:146]
	v_mul_f64 v[145:146], v[3:4], v[145:146]
	s_waitcnt vmcnt(49)
	v_fma_f64 v[127:128], v[5:6], v[139:140], -v[127:128]
	v_fma_f64 v[129:130], v[7:8], v[139:140], v[129:130]
	ds_read_b128 v[5:8], v178 offset:1568
	v_add_f64 v[123:124], v[123:124], v[181:182]
	v_add_f64 v[121:122], v[121:122], v[141:142]
	s_waitcnt vmcnt(45) lgkmcnt(1)
	v_mul_f64 v[139:140], v[117:118], v[131:132]
	v_mul_f64 v[131:132], v[119:120], v[131:132]
	s_waitcnt vmcnt(44)
	v_fma_f64 v[141:142], v[1:2], v[193:194], -v[145:146]
	v_add_f64 v[123:124], v[123:124], v[127:128]
	v_fma_f64 v[127:128], v[3:4], v[193:194], v[183:184]
	v_add_f64 v[121:122], v[121:122], v[129:130]
	ds_read_b128 v[1:4], v178 offset:1584
	s_waitcnt vmcnt(43) lgkmcnt(1)
	v_mul_f64 v[145:146], v[7:8], v[153:154]
	v_mul_f64 v[129:130], v[5:6], v[153:154]
	s_waitcnt vmcnt(41)
	v_fma_f64 v[131:132], v[117:118], v[149:150], -v[131:132]
	v_fma_f64 v[139:140], v[119:120], v[149:150], v[139:140]
	ds_read_b128 v[117:120], v178 offset:1600
	v_add_f64 v[123:124], v[123:124], v[141:142]
	v_add_f64 v[121:122], v[121:122], v[127:128]
	s_waitcnt vmcnt(37) lgkmcnt(1)
	v_mul_f64 v[127:128], v[1:2], v[137:138]
	v_mul_f64 v[137:138], v[3:4], v[137:138]
	s_waitcnt vmcnt(36)
	v_fma_f64 v[141:142], v[5:6], v[185:186], -v[145:146]
	v_fma_f64 v[129:130], v[7:8], v[185:186], v[129:130]
	ds_read_b128 v[5:8], v178 offset:1616
	v_add_f64 v[123:124], v[123:124], v[131:132]
	v_add_f64 v[121:122], v[121:122], v[139:140]
	;; [unrolled: 9-line block ×3, first 2 shown]
	s_waitcnt vmcnt(29) lgkmcnt(1)
	v_mul_f64 v[141:142], v[7:8], v[143:144]
	s_waitcnt vmcnt(28)
	v_fma_f64 v[139:140], v[117:118], v[179:180], -v[139:140]
	v_mul_f64 v[129:130], v[5:6], v[143:144]
	v_fma_f64 v[131:132], v[119:120], v[179:180], v[131:132]
	ds_read_b128 v[117:120], v178 offset:1648
	v_add_f64 v[123:124], v[123:124], v[137:138]
	v_add_f64 v[121:122], v[121:122], v[127:128]
	s_waitcnt vmcnt(27) lgkmcnt(1)
	v_mul_f64 v[137:138], v[3:4], v[167:168]
	v_mul_f64 v[127:128], v[1:2], v[167:168]
	s_waitcnt vmcnt(25)
	v_fma_f64 v[141:142], v[5:6], v[155:156], -v[141:142]
	v_fma_f64 v[129:130], v[7:8], v[155:156], v[129:130]
	ds_read_b128 v[5:8], v178 offset:1664
	v_add_f64 v[123:124], v[123:124], v[139:140]
	v_add_f64 v[121:122], v[121:122], v[131:132]
	s_waitcnt vmcnt(21) lgkmcnt(1)
	v_mul_f64 v[139:140], v[119:120], v[151:152]
	s_waitcnt vmcnt(20)
	v_fma_f64 v[137:138], v[1:2], v[173:174], -v[137:138]
	v_mul_f64 v[131:132], v[117:118], v[151:152]
	v_fma_f64 v[127:128], v[3:4], v[173:174], v[127:128]
	ds_read_b128 v[1:4], v178 offset:1680
	v_add_f64 v[123:124], v[123:124], v[141:142]
	v_add_f64 v[121:122], v[121:122], v[129:130]
	s_waitcnt vmcnt(19) lgkmcnt(1)
	v_mul_f64 v[141:142], v[7:8], v[169:170]
	v_mul_f64 v[129:130], v[5:6], v[169:170]
	s_waitcnt vmcnt(17)
	v_fma_f64 v[139:140], v[117:118], v[125:126], -v[139:140]
	v_fma_f64 v[125:126], v[119:120], v[125:126], v[131:132]
	ds_read_b128 v[117:120], v178 offset:1696
	v_add_f64 v[123:124], v[123:124], v[137:138]
	v_add_f64 v[121:122], v[121:122], v[127:128]
	s_waitcnt vmcnt(13) lgkmcnt(1)
	v_mul_f64 v[131:132], v[3:4], v[157:158]
	s_waitcnt vmcnt(12)
	v_fma_f64 v[137:138], v[5:6], v[175:176], -v[141:142]
	v_mul_f64 v[127:128], v[1:2], v[157:158]
	v_fma_f64 v[129:130], v[7:8], v[175:176], v[129:130]
	ds_read_b128 v[5:8], v178 offset:1712
	v_add_f64 v[123:124], v[123:124], v[139:140]
	v_add_f64 v[121:122], v[121:122], v[125:126]
	s_waitcnt vmcnt(11) lgkmcnt(1)
	v_mul_f64 v[139:140], v[119:120], v[171:172]
	v_mul_f64 v[125:126], v[117:118], v[171:172]
	s_waitcnt vmcnt(9)
	v_fma_f64 v[1:2], v[1:2], v[163:164], -v[131:132]
	v_fma_f64 v[3:4], v[3:4], v[163:164], v[127:128]
	v_add_f64 v[123:124], v[123:124], v[137:138]
	v_add_f64 v[121:122], v[121:122], v[129:130]
	s_waitcnt vmcnt(7) lgkmcnt(0)
	v_mul_f64 v[129:130], v[7:8], v[161:162]
	s_waitcnt vmcnt(6)
	v_fma_f64 v[117:118], v[117:118], v[187:188], -v[139:140]
	v_mul_f64 v[127:128], v[5:6], v[161:162]
	v_fma_f64 v[119:120], v[119:120], v[187:188], v[125:126]
	v_add_f64 v[1:2], v[123:124], v[1:2]
	v_add_f64 v[3:4], v[121:122], v[3:4]
	s_waitcnt vmcnt(4)
	v_fma_f64 v[5:6], v[5:6], v[135:136], -v[129:130]
	v_fma_f64 v[7:8], v[7:8], v[135:136], v[127:128]
	v_add_f64 v[1:2], v[1:2], v[117:118]
	v_add_f64 v[3:4], v[3:4], v[119:120]
	;; [unrolled: 1-line block ×4, first 2 shown]
	s_waitcnt vmcnt(2)
	v_add_f64 v[1:2], v[133:134], -v[1:2]
	s_waitcnt vmcnt(0)
	v_add_f64 v[3:4], v[165:166], -v[3:4]
	buffer_store_dword v2, off, s[0:3], 0 offset:36
	buffer_store_dword v1, off, s[0:3], 0 offset:32
	;; [unrolled: 1-line block ×4, first 2 shown]
	v_cmpx_ne_u32_e32 0, v0
	s_cbranch_execz .LBB117_337
; %bb.336:
	s_clause 0x3
	buffer_load_dword v0, off, s[0:3], 0 offset:16
	buffer_load_dword v1, off, s[0:3], 0 offset:20
	;; [unrolled: 1-line block ×4, first 2 shown]
	v_mov_b32_e32 v4, 0
	buffer_store_dword v4, off, s[0:3], 0 offset:16
	buffer_store_dword v4, off, s[0:3], 0 offset:20
	;; [unrolled: 1-line block ×4, first 2 shown]
	s_waitcnt vmcnt(0)
	ds_write_b128 v177, v[0:3]
.LBB117_337:
	s_or_b32 exec_lo, exec_lo, s4
	s_waitcnt lgkmcnt(0)
	s_waitcnt_vscnt null, 0x0
	s_barrier
	buffer_gl0_inv
	s_clause 0x37
	buffer_load_dword v125, off, s[0:3], 0 offset:40
	buffer_load_dword v126, off, s[0:3], 0 offset:44
	buffer_load_dword v121, off, s[0:3], 0 offset:56
	buffer_load_dword v122, off, s[0:3], 0 offset:60
	buffer_load_dword v123, off, s[0:3], 0 offset:32
	buffer_load_dword v124, off, s[0:3], 0 offset:36
	buffer_load_dword v119, off, s[0:3], 0 offset:72
	buffer_load_dword v120, off, s[0:3], 0 offset:76
	buffer_load_dword v117, off, s[0:3], 0 offset:48
	buffer_load_dword v118, off, s[0:3], 0 offset:52
	buffer_load_dword v130, off, s[0:3], 0 offset:92
	buffer_load_dword v133, off, s[0:3], 0 offset:104
	buffer_load_dword v127, off, s[0:3], 0 offset:96
	buffer_load_dword v129, off, s[0:3], 0 offset:88
	buffer_load_dword v141, off, s[0:3], 0 offset:64
	buffer_load_dword v142, off, s[0:3], 0 offset:68
	buffer_load_dword v134, off, s[0:3], 0 offset:108
	buffer_load_dword v136, off, s[0:3], 0 offset:84
	buffer_load_dword v135, off, s[0:3], 0 offset:80
	buffer_load_dword v138, off, s[0:3], 0 offset:124
	buffer_load_dword v143, off, s[0:3], 0 offset:136
	buffer_load_dword v131, off, s[0:3], 0 offset:128
	buffer_load_dword v137, off, s[0:3], 0 offset:120
	buffer_load_dword v128, off, s[0:3], 0 offset:100
	buffer_load_dword v144, off, s[0:3], 0 offset:140
	buffer_load_dword v146, off, s[0:3], 0 offset:116
	buffer_load_dword v145, off, s[0:3], 0 offset:112
	buffer_load_dword v148, off, s[0:3], 0 offset:156
	buffer_load_dword v151, off, s[0:3], 0 offset:168
	buffer_load_dword v139, off, s[0:3], 0 offset:160
	buffer_load_dword v147, off, s[0:3], 0 offset:152
	buffer_load_dword v132, off, s[0:3], 0 offset:132
	buffer_load_dword v152, off, s[0:3], 0 offset:172
	buffer_load_dword v154, off, s[0:3], 0 offset:148
	buffer_load_dword v153, off, s[0:3], 0 offset:144
	buffer_load_dword v156, off, s[0:3], 0 offset:188
	buffer_load_dword v159, off, s[0:3], 0 offset:200
	buffer_load_dword v149, off, s[0:3], 0 offset:192
	buffer_load_dword v155, off, s[0:3], 0 offset:184
	buffer_load_dword v140, off, s[0:3], 0 offset:164
	buffer_load_dword v160, off, s[0:3], 0 offset:204
	buffer_load_dword v162, off, s[0:3], 0 offset:180
	buffer_load_dword v161, off, s[0:3], 0 offset:176
	buffer_load_dword v164, off, s[0:3], 0 offset:220
	buffer_load_dword v167, off, s[0:3], 0 offset:232
	buffer_load_dword v157, off, s[0:3], 0 offset:224
	buffer_load_dword v163, off, s[0:3], 0 offset:216
	buffer_load_dword v150, off, s[0:3], 0 offset:196
	buffer_load_dword v168, off, s[0:3], 0 offset:236
	buffer_load_dword v170, off, s[0:3], 0 offset:212
	buffer_load_dword v169, off, s[0:3], 0 offset:208
	buffer_load_dword v172, off, s[0:3], 0 offset:252
	buffer_load_dword v173, off, s[0:3], 0 offset:264
	buffer_load_dword v165, off, s[0:3], 0 offset:256
	buffer_load_dword v171, off, s[0:3], 0 offset:248
	buffer_load_dword v158, off, s[0:3], 0 offset:228
	v_mov_b32_e32 v8, 0
	s_and_b32 vcc_lo, exec_lo, s66
	ds_read_b128 v[4:7], v8 offset:880
	s_clause 0x2
	buffer_load_dword v174, off, s[0:3], 0 offset:268
	buffer_load_dword v176, off, s[0:3], 0 offset:244
	;; [unrolled: 1-line block ×3, first 2 shown]
	ds_read_b128 v[0:3], v8 offset:896
	s_clause 0x4
	buffer_load_dword v184, off, s[0:3], 0 offset:284
	buffer_load_dword v185, off, s[0:3], 0 offset:296
	;; [unrolled: 1-line block ×5, first 2 shown]
	ds_read_b128 v[177:180], v8 offset:912
	s_waitcnt vmcnt(62) lgkmcnt(2)
	v_mul_f64 v[181:182], v[6:7], v[125:126]
	v_mul_f64 v[125:126], v[4:5], v[125:126]
	s_waitcnt vmcnt(60) lgkmcnt(1)
	v_mul_f64 v[188:189], v[2:3], v[121:122]
	v_mul_f64 v[121:122], v[0:1], v[121:122]
	;; [unrolled: 3-line block ×3, first 2 shown]
	v_fma_f64 v[181:182], v[4:5], v[123:124], -v[181:182]
	v_fma_f64 v[123:124], v[6:7], v[123:124], v[125:126]
	s_clause 0x2
	buffer_load_dword v186, off, s[0:3], 0 offset:300
	buffer_load_dword v126, off, s[0:3], 0 offset:276
	;; [unrolled: 1-line block ×3, first 2 shown]
	s_waitcnt vmcnt(57)
	v_fma_f64 v[192:193], v[0:1], v[117:118], -v[188:189]
	ds_read_b128 v[4:7], v8 offset:928
	v_fma_f64 v[117:118], v[2:3], v[117:118], v[121:122]
	s_waitcnt vmcnt(51)
	v_fma_f64 v[177:178], v[177:178], v[141:142], -v[119:120]
	v_fma_f64 v[141:142], v[179:180], v[141:142], v[190:191]
	v_add_f64 v[181:182], v[181:182], 0
	v_add_f64 v[121:122], v[123:124], 0
	s_clause 0x4
	buffer_load_dword v124, off, s[0:3], 0 offset:316
	buffer_load_dword v189, off, s[0:3], 0 offset:328
	;; [unrolled: 1-line block ×5, first 2 shown]
	s_waitcnt lgkmcnt(0)
	v_mul_f64 v[195:196], v[4:5], v[129:130]
	v_mul_f64 v[129:130], v[6:7], v[129:130]
	ds_read_b128 v[0:3], v8 offset:944
	s_clause 0x2
	buffer_load_dword v190, off, s[0:3], 0 offset:332
	buffer_load_dword v180, off, s[0:3], 0 offset:308
	buffer_load_dword v179, off, s[0:3], 0 offset:304
	v_add_f64 v[181:182], v[181:182], v[192:193]
	v_add_f64 v[121:122], v[121:122], v[117:118]
	ds_read_b128 v[117:120], v8 offset:960
	s_waitcnt vmcnt(58) lgkmcnt(1)
	v_mul_f64 v[191:192], v[0:1], v[133:134]
	v_mul_f64 v[133:134], v[2:3], v[133:134]
	s_waitcnt vmcnt(56)
	v_fma_f64 v[129:130], v[4:5], v[135:136], -v[129:130]
	v_fma_f64 v[135:136], v[6:7], v[135:136], v[195:196]
	s_waitcnt vmcnt(52) lgkmcnt(0)
	v_mul_f64 v[197:198], v[117:118], v[137:138]
	v_add_f64 v[177:178], v[181:182], v[177:178]
	v_add_f64 v[121:122], v[121:122], v[141:142]
	s_clause 0x4
	buffer_load_dword v142, off, s[0:3], 0 offset:348
	buffer_load_dword v181, off, s[0:3], 0 offset:360
	;; [unrolled: 1-line block ×5, first 2 shown]
	v_mul_f64 v[137:138], v[119:120], v[137:138]
	s_waitcnt vmcnt(56)
	v_fma_f64 v[133:134], v[0:1], v[127:128], -v[133:134]
	ds_read_b128 v[4:7], v8 offset:976
	v_fma_f64 v[127:128], v[2:3], v[127:128], v[191:192]
	v_add_f64 v[129:130], v[177:178], v[129:130]
	v_add_f64 v[121:122], v[121:122], v[135:136]
	s_clause 0x2
	buffer_load_dword v182, off, s[0:3], 0 offset:364
	buffer_load_dword v136, off, s[0:3], 0 offset:340
	;; [unrolled: 1-line block ×3, first 2 shown]
	s_waitcnt vmcnt(58) lgkmcnt(0)
	v_mul_f64 v[177:178], v[4:5], v[143:144]
	v_mul_f64 v[143:144], v[6:7], v[143:144]
	s_waitcnt vmcnt(56)
	v_fma_f64 v[137:138], v[117:118], v[145:146], -v[137:138]
	ds_read_b128 v[0:3], v8 offset:992
	v_add_f64 v[129:130], v[129:130], v[133:134]
	v_fma_f64 v[133:134], v[119:120], v[145:146], v[197:198]
	v_add_f64 v[121:122], v[121:122], v[127:128]
	s_clause 0x4
	buffer_load_dword v128, off, s[0:3], 0 offset:380
	buffer_load_dword v145, off, s[0:3], 0 offset:392
	;; [unrolled: 1-line block ×5, first 2 shown]
	s_waitcnt vmcnt(57) lgkmcnt(0)
	v_mul_f64 v[192:193], v[0:1], v[147:148]
	v_mul_f64 v[147:148], v[2:3], v[147:148]
	s_waitcnt vmcnt(56)
	v_fma_f64 v[143:144], v[4:5], v[131:132], -v[143:144]
	ds_read_b128 v[117:120], v8 offset:1008
	v_fma_f64 v[131:132], v[6:7], v[131:132], v[177:178]
	v_add_f64 v[129:130], v[129:130], v[137:138]
	v_add_f64 v[121:122], v[121:122], v[133:134]
	s_clause 0x2
	buffer_load_dword v146, off, s[0:3], 0 offset:396
	buffer_load_dword v134, off, s[0:3], 0 offset:372
	;; [unrolled: 1-line block ×3, first 2 shown]
	ds_read_b128 v[4:7], v8 offset:1024
	s_waitcnt vmcnt(58) lgkmcnt(1)
	v_mul_f64 v[137:138], v[117:118], v[151:152]
	v_mul_f64 v[151:152], v[119:120], v[151:152]
	s_waitcnt vmcnt(56)
	v_fma_f64 v[147:148], v[0:1], v[153:154], -v[147:148]
	v_add_f64 v[129:130], v[129:130], v[143:144]
	v_fma_f64 v[143:144], v[2:3], v[153:154], v[192:193]
	v_add_f64 v[121:122], v[121:122], v[131:132]
	s_clause 0x4
	buffer_load_dword v132, off, s[0:3], 0 offset:412
	buffer_load_dword v153, off, s[0:3], 0 offset:424
	buffer_load_dword v177, off, s[0:3], 0 offset:416
	buffer_load_dword v131, off, s[0:3], 0 offset:408
	buffer_load_dword v192, off, s[0:3], 0 offset:388
	s_waitcnt vmcnt(57) lgkmcnt(0)
	v_mul_f64 v[198:199], v[4:5], v[155:156]
	v_mul_f64 v[155:156], v[6:7], v[155:156]
	s_waitcnt vmcnt(56)
	v_fma_f64 v[151:152], v[117:118], v[139:140], -v[151:152]
	ds_read_b128 v[0:3], v8 offset:1040
	v_fma_f64 v[137:138], v[119:120], v[139:140], v[137:138]
	s_clause 0x2
	buffer_load_dword v154, off, s[0:3], 0 offset:428
	buffer_load_dword v140, off, s[0:3], 0 offset:404
	;; [unrolled: 1-line block ×3, first 2 shown]
	ds_read_b128 v[117:120], v8 offset:1056
	v_add_f64 v[129:130], v[129:130], v[147:148]
	v_add_f64 v[121:122], v[121:122], v[143:144]
	s_waitcnt vmcnt(58) lgkmcnt(1)
	v_mul_f64 v[147:148], v[2:3], v[159:160]
	s_waitcnt vmcnt(56)
	v_fma_f64 v[155:156], v[4:5], v[161:162], -v[155:156]
	v_mul_f64 v[143:144], v[0:1], v[159:160]
	v_add_f64 v[129:130], v[129:130], v[151:152]
	v_fma_f64 v[151:152], v[6:7], v[161:162], v[198:199]
	v_add_f64 v[121:122], v[121:122], v[137:138]
	s_clause 0x4
	buffer_load_dword v138, off, s[0:3], 0 offset:444
	buffer_load_dword v159, off, s[0:3], 0 offset:456
	;; [unrolled: 1-line block ×5, first 2 shown]
	s_waitcnt vmcnt(57) lgkmcnt(0)
	v_mul_f64 v[198:199], v[117:118], v[163:164]
	v_mul_f64 v[162:163], v[119:120], v[163:164]
	s_waitcnt vmcnt(56)
	v_fma_f64 v[147:148], v[0:1], v[149:150], -v[147:148]
	ds_read_b128 v[4:7], v8 offset:1072
	v_fma_f64 v[143:144], v[2:3], v[149:150], v[143:144]
	s_clause 0x2
	buffer_load_dword v160, off, s[0:3], 0 offset:460
	buffer_load_dword v150, off, s[0:3], 0 offset:436
	;; [unrolled: 1-line block ×3, first 2 shown]
	ds_read_b128 v[0:3], v8 offset:1088
	v_add_f64 v[129:130], v[129:130], v[155:156]
	v_add_f64 v[121:122], v[121:122], v[151:152]
	s_waitcnt vmcnt(58) lgkmcnt(1)
	v_mul_f64 v[155:156], v[6:7], v[167:168]
	s_waitcnt vmcnt(56)
	v_fma_f64 v[163:164], v[117:118], v[169:170], -v[162:163]
	v_mul_f64 v[151:152], v[4:5], v[167:168]
	v_add_f64 v[129:130], v[129:130], v[147:148]
	v_fma_f64 v[147:148], v[119:120], v[169:170], v[198:199]
	v_add_f64 v[121:122], v[121:122], v[143:144]
	s_clause 0x4
	buffer_load_dword v144, off, s[0:3], 0 offset:476
	buffer_load_dword v167, off, s[0:3], 0 offset:488
	;; [unrolled: 1-line block ×5, first 2 shown]
	s_waitcnt vmcnt(57) lgkmcnt(0)
	v_mul_f64 v[198:199], v[0:1], v[171:172]
	v_mul_f64 v[170:171], v[2:3], v[171:172]
	s_waitcnt vmcnt(56)
	v_fma_f64 v[155:156], v[4:5], v[157:158], -v[155:156]
	ds_read_b128 v[117:120], v8 offset:1104
	v_fma_f64 v[151:152], v[6:7], v[157:158], v[151:152]
	v_add_f64 v[129:130], v[129:130], v[163:164]
	v_add_f64 v[121:122], v[121:122], v[147:148]
	s_clause 0x2
	buffer_load_dword v168, off, s[0:3], 0 offset:492
	buffer_load_dword v148, off, s[0:3], 0 offset:468
	;; [unrolled: 1-line block ×3, first 2 shown]
	ds_read_b128 v[4:7], v8 offset:1120
	s_waitcnt vmcnt(58) lgkmcnt(1)
	v_mul_f64 v[163:164], v[119:120], v[173:174]
	s_waitcnt vmcnt(56)
	v_fma_f64 v[171:172], v[0:1], v[175:176], -v[170:171]
	v_mul_f64 v[157:158], v[117:118], v[173:174]
	v_add_f64 v[129:130], v[129:130], v[155:156]
	v_fma_f64 v[155:156], v[2:3], v[175:176], v[198:199]
	v_add_f64 v[121:122], v[121:122], v[151:152]
	s_clause 0x4
	buffer_load_dword v152, off, s[0:3], 0 offset:508
	buffer_load_dword v173, off, s[0:3], 0 offset:520
	;; [unrolled: 1-line block ×5, first 2 shown]
	s_waitcnt vmcnt(57) lgkmcnt(0)
	v_mul_f64 v[198:199], v[4:5], v[183:184]
	v_mul_f64 v[183:184], v[6:7], v[183:184]
	s_waitcnt vmcnt(56)
	v_fma_f64 v[163:164], v[117:118], v[165:166], -v[163:164]
	ds_read_b128 v[0:3], v8 offset:1136
	v_fma_f64 v[157:158], v[119:120], v[165:166], v[157:158]
	v_add_f64 v[129:130], v[129:130], v[171:172]
	v_add_f64 v[121:122], v[121:122], v[155:156]
	s_clause 0x2
	buffer_load_dword v174, off, s[0:3], 0 offset:524
	buffer_load_dword v156, off, s[0:3], 0 offset:500
	buffer_load_dword v155, off, s[0:3], 0 offset:496
	ds_read_b128 v[117:120], v8 offset:1152
	s_waitcnt vmcnt(58) lgkmcnt(1)
	v_mul_f64 v[171:172], v[2:3], v[185:186]
	v_mul_f64 v[165:166], v[0:1], v[185:186]
	s_waitcnt vmcnt(56)
	v_fma_f64 v[183:184], v[4:5], v[125:126], -v[183:184]
	v_fma_f64 v[125:126], v[6:7], v[125:126], v[198:199]
	v_add_f64 v[129:130], v[129:130], v[163:164]
	v_add_f64 v[121:122], v[121:122], v[157:158]
	s_clause 0x4
	buffer_load_dword v158, off, s[0:3], 0 offset:540
	buffer_load_dword v163, off, s[0:3], 0 offset:552
	;; [unrolled: 1-line block ×5, first 2 shown]
	ds_read_b128 v[4:7], v8 offset:1168
	s_waitcnt vmcnt(57) lgkmcnt(1)
	v_mul_f64 v[198:199], v[117:118], v[123:124]
	v_mul_f64 v[123:124], v[119:120], v[123:124]
	s_waitcnt vmcnt(56)
	v_fma_f64 v[171:172], v[0:1], v[187:188], -v[171:172]
	v_fma_f64 v[165:166], v[2:3], v[187:188], v[165:166]
	v_add_f64 v[129:130], v[129:130], v[183:184]
	v_add_f64 v[121:122], v[121:122], v[125:126]
	s_clause 0x2
	buffer_load_dword v164, off, s[0:3], 0 offset:556
	buffer_load_dword v126, off, s[0:3], 0 offset:532
	;; [unrolled: 1-line block ×3, first 2 shown]
	s_waitcnt vmcnt(58) lgkmcnt(0)
	v_mul_f64 v[187:188], v[6:7], v[189:190]
	ds_read_b128 v[0:3], v8 offset:1184
	v_mul_f64 v[183:184], v[4:5], v[189:190]
	s_waitcnt vmcnt(56)
	v_fma_f64 v[123:124], v[117:118], v[179:180], -v[123:124]
	v_add_f64 v[129:130], v[129:130], v[171:172]
	v_fma_f64 v[171:172], v[119:120], v[179:180], v[198:199]
	v_add_f64 v[121:122], v[121:122], v[165:166]
	s_clause 0x4
	buffer_load_dword v166, off, s[0:3], 0 offset:572
	buffer_load_dword v179, off, s[0:3], 0 offset:584
	;; [unrolled: 1-line block ×5, first 2 shown]
	ds_read_b128 v[117:120], v8 offset:1200
	s_waitcnt vmcnt(57) lgkmcnt(1)
	v_mul_f64 v[198:199], v[0:1], v[141:142]
	v_mul_f64 v[141:142], v[2:3], v[141:142]
	s_waitcnt vmcnt(56)
	v_fma_f64 v[187:188], v[4:5], v[194:195], -v[187:188]
	v_add_f64 v[123:124], v[129:130], v[123:124]
	v_fma_f64 v[129:130], v[6:7], v[194:195], v[183:184]
	v_add_f64 v[121:122], v[121:122], v[171:172]
	s_clause 0x2
	buffer_load_dword v180, off, s[0:3], 0 offset:588
	buffer_load_dword v172, off, s[0:3], 0 offset:564
	;; [unrolled: 1-line block ×3, first 2 shown]
	ds_read_b128 v[4:7], v8 offset:1216
	s_waitcnt vmcnt(58) lgkmcnt(1)
	v_mul_f64 v[183:184], v[117:118], v[181:182]
	v_mul_f64 v[181:182], v[119:120], v[181:182]
	s_waitcnt vmcnt(56)
	v_fma_f64 v[141:142], v[0:1], v[135:136], -v[141:142]
	v_fma_f64 v[135:136], v[2:3], v[135:136], v[198:199]
	v_add_f64 v[123:124], v[123:124], v[187:188]
	v_add_f64 v[121:122], v[121:122], v[129:130]
	s_clause 0x4
	buffer_load_dword v130, off, s[0:3], 0 offset:604
	buffer_load_dword v187, off, s[0:3], 0 offset:616
	;; [unrolled: 1-line block ×5, first 2 shown]
	ds_read_b128 v[0:3], v8 offset:1232
	s_waitcnt vmcnt(57) lgkmcnt(1)
	v_mul_f64 v[194:195], v[4:5], v[127:128]
	v_mul_f64 v[127:128], v[6:7], v[127:128]
	s_waitcnt vmcnt(56)
	v_fma_f64 v[181:182], v[117:118], v[196:197], -v[181:182]
	v_add_f64 v[123:124], v[123:124], v[141:142]
	v_fma_f64 v[141:142], v[119:120], v[196:197], v[183:184]
	v_add_f64 v[121:122], v[121:122], v[135:136]
	s_clause 0x2
	buffer_load_dword v188, off, s[0:3], 0 offset:620
	buffer_load_dword v136, off, s[0:3], 0 offset:596
	;; [unrolled: 1-line block ×3, first 2 shown]
	ds_read_b128 v[117:120], v8 offset:1248
	s_waitcnt vmcnt(58) lgkmcnt(1)
	v_mul_f64 v[183:184], v[0:1], v[145:146]
	v_mul_f64 v[145:146], v[2:3], v[145:146]
	s_waitcnt vmcnt(56)
	v_fma_f64 v[127:128], v[4:5], v[133:134], -v[127:128]
	v_fma_f64 v[133:134], v[6:7], v[133:134], v[194:195]
	v_add_f64 v[123:124], v[123:124], v[181:182]
	v_add_f64 v[121:122], v[121:122], v[141:142]
	s_clause 0x4
	buffer_load_dword v142, off, s[0:3], 0 offset:636
	buffer_load_dword v181, off, s[0:3], 0 offset:648
	;; [unrolled: 1-line block ×5, first 2 shown]
	ds_read_b128 v[4:7], v8 offset:1264
	s_waitcnt vmcnt(57) lgkmcnt(1)
	v_mul_f64 v[196:197], v[117:118], v[131:132]
	v_mul_f64 v[131:132], v[119:120], v[131:132]
	s_waitcnt vmcnt(56)
	v_fma_f64 v[145:146], v[0:1], v[191:192], -v[145:146]
	v_add_f64 v[123:124], v[123:124], v[127:128]
	v_fma_f64 v[127:128], v[2:3], v[191:192], v[183:184]
	v_add_f64 v[121:122], v[121:122], v[133:134]
	s_clause 0x2
	buffer_load_dword v182, off, s[0:3], 0 offset:652
	buffer_load_dword v134, off, s[0:3], 0 offset:628
	buffer_load_dword v133, off, s[0:3], 0 offset:624
	s_waitcnt vmcnt(58) lgkmcnt(0)
	v_mul_f64 v[183:184], v[4:5], v[153:154]
	v_mul_f64 v[153:154], v[6:7], v[153:154]
	ds_read_b128 v[0:3], v8 offset:1280
	s_waitcnt vmcnt(56)
	v_fma_f64 v[131:132], v[117:118], v[139:140], -v[131:132]
	v_fma_f64 v[139:140], v[119:120], v[139:140], v[196:197]
	v_add_f64 v[123:124], v[123:124], v[145:146]
	v_add_f64 v[121:122], v[121:122], v[127:128]
	s_clause 0x4
	buffer_load_dword v128, off, s[0:3], 0 offset:668
	buffer_load_dword v145, off, s[0:3], 0 offset:680
	;; [unrolled: 1-line block ×5, first 2 shown]
	ds_read_b128 v[117:120], v8 offset:1296
	s_waitcnt vmcnt(57) lgkmcnt(1)
	v_mul_f64 v[197:198], v[0:1], v[137:138]
	v_mul_f64 v[137:138], v[2:3], v[137:138]
	s_waitcnt vmcnt(56)
	v_fma_f64 v[153:154], v[4:5], v[177:178], -v[153:154]
	v_add_f64 v[123:124], v[123:124], v[131:132]
	v_fma_f64 v[131:132], v[6:7], v[177:178], v[183:184]
	v_add_f64 v[121:122], v[121:122], v[139:140]
	s_clause 0x2
	buffer_load_dword v146, off, s[0:3], 0 offset:684
	buffer_load_dword v140, off, s[0:3], 0 offset:660
	;; [unrolled: 1-line block ×3, first 2 shown]
	s_waitcnt vmcnt(58) lgkmcnt(0)
	v_mul_f64 v[177:178], v[117:118], v[159:160]
	v_mul_f64 v[159:160], v[119:120], v[159:160]
	ds_read_b128 v[4:7], v8 offset:1312
	s_waitcnt vmcnt(56)
	v_fma_f64 v[137:138], v[0:1], v[149:150], -v[137:138]
	v_fma_f64 v[149:150], v[2:3], v[149:150], v[197:198]
	v_add_f64 v[123:124], v[123:124], v[153:154]
	v_add_f64 v[121:122], v[121:122], v[131:132]
	s_clause 0x4
	buffer_load_dword v132, off, s[0:3], 0 offset:700
	buffer_load_dword v153, off, s[0:3], 0 offset:712
	buffer_load_dword v183, off, s[0:3], 0 offset:704
	buffer_load_dword v131, off, s[0:3], 0 offset:696
	buffer_load_dword v192, off, s[0:3], 0 offset:676
	ds_read_b128 v[0:3], v8 offset:1328
	s_waitcnt vmcnt(57) lgkmcnt(1)
	v_mul_f64 v[197:198], v[4:5], v[143:144]
	v_mul_f64 v[143:144], v[6:7], v[143:144]
	s_waitcnt vmcnt(56)
	v_fma_f64 v[159:160], v[117:118], v[161:162], -v[159:160]
	v_add_f64 v[123:124], v[123:124], v[137:138]
	v_fma_f64 v[137:138], v[119:120], v[161:162], v[177:178]
	v_add_f64 v[121:122], v[121:122], v[149:150]
	s_clause 0x2
	buffer_load_dword v154, off, s[0:3], 0 offset:716
	buffer_load_dword v150, off, s[0:3], 0 offset:692
	buffer_load_dword v149, off, s[0:3], 0 offset:688
	ds_read_b128 v[117:120], v8 offset:1344
	s_waitcnt vmcnt(58) lgkmcnt(1)
	v_mul_f64 v[161:162], v[0:1], v[167:168]
	v_mul_f64 v[167:168], v[2:3], v[167:168]
	s_waitcnt vmcnt(56)
	v_fma_f64 v[143:144], v[4:5], v[147:148], -v[143:144]
	v_fma_f64 v[147:148], v[6:7], v[147:148], v[197:198]
	v_add_f64 v[123:124], v[123:124], v[159:160]
	v_add_f64 v[121:122], v[121:122], v[137:138]
	s_clause 0x4
	buffer_load_dword v138, off, s[0:3], 0 offset:732
	buffer_load_dword v159, off, s[0:3], 0 offset:744
	buffer_load_dword v177, off, s[0:3], 0 offset:736
	buffer_load_dword v137, off, s[0:3], 0 offset:728
	buffer_load_dword v184, off, s[0:3], 0 offset:708
	ds_read_b128 v[4:7], v8 offset:1360
	s_waitcnt vmcnt(57) lgkmcnt(1)
	v_mul_f64 v[197:198], v[117:118], v[151:152]
	v_mul_f64 v[151:152], v[119:120], v[151:152]
	s_waitcnt vmcnt(56)
	v_fma_f64 v[167:168], v[0:1], v[169:170], -v[167:168]
	v_add_f64 v[123:124], v[123:124], v[143:144]
	v_fma_f64 v[143:144], v[2:3], v[169:170], v[161:162]
	v_add_f64 v[121:122], v[121:122], v[147:148]
	s_clause 0x2
	buffer_load_dword v160, off, s[0:3], 0 offset:748
	buffer_load_dword v148, off, s[0:3], 0 offset:724
	buffer_load_dword v147, off, s[0:3], 0 offset:720
	ds_read_b128 v[0:3], v8 offset:1376
	s_waitcnt vmcnt(58) lgkmcnt(1)
	v_mul_f64 v[169:170], v[6:7], v[173:174]
	v_mul_f64 v[161:162], v[4:5], v[173:174]
	;; [unrolled: 28-line block ×4, first 2 shown]
	s_waitcnt vmcnt(56)
	v_fma_f64 v[165:166], v[4:5], v[171:172], -v[165:166]
	v_add_f64 v[123:124], v[123:124], v[163:164]
	v_fma_f64 v[163:164], v[6:7], v[171:172], v[197:198]
	v_add_f64 v[121:122], v[121:122], v[157:158]
	s_clause 0x4
	buffer_load_dword v158, off, s[0:3], 0 offset:828
	buffer_load_dword v171, off, s[0:3], 0 offset:840
	buffer_load_dword v185, off, s[0:3], 0 offset:832
	buffer_load_dword v157, off, s[0:3], 0 offset:824
	buffer_load_dword v176, off, s[0:3], 0 offset:804
	ds_read_b128 v[4:7], v8 offset:1456
	s_waitcnt vmcnt(57) lgkmcnt(1)
	v_mul_f64 v[197:198], v[117:118], v[129:130]
	v_mul_f64 v[129:130], v[119:120], v[129:130]
	s_waitcnt vmcnt(56)
	v_fma_f64 v[179:180], v[0:1], v[189:190], -v[179:180]
	v_fma_f64 v[161:162], v[2:3], v[189:190], v[161:162]
	v_add_f64 v[123:124], v[123:124], v[165:166]
	v_add_f64 v[121:122], v[121:122], v[163:164]
	s_clause 0x2
	buffer_load_dword v172, off, s[0:3], 0 offset:844
	buffer_load_dword v164, off, s[0:3], 0 offset:820
	;; [unrolled: 1-line block ×3, first 2 shown]
	ds_read_b128 v[0:3], v8 offset:1472
	s_waitcnt vmcnt(58) lgkmcnt(1)
	v_mul_f64 v[165:166], v[4:5], v[187:188]
	v_mul_f64 v[187:188], v[6:7], v[187:188]
	s_waitcnt vmcnt(56)
	v_fma_f64 v[129:130], v[117:118], v[135:136], -v[129:130]
	v_fma_f64 v[135:136], v[119:120], v[135:136], v[197:198]
	v_add_f64 v[123:124], v[123:124], v[179:180]
	v_add_f64 v[121:122], v[121:122], v[161:162]
	s_clause 0x4
	buffer_load_dword v162, off, s[0:3], 0 offset:860
	buffer_load_dword v179, off, s[0:3], 0 offset:872
	buffer_load_dword v189, off, s[0:3], 0 offset:864
	buffer_load_dword v161, off, s[0:3], 0 offset:856
	buffer_load_dword v186, off, s[0:3], 0 offset:836
	ds_read_b128 v[117:120], v8 offset:1488
	s_waitcnt vmcnt(57) lgkmcnt(1)
	v_mul_f64 v[197:198], v[0:1], v[141:142]
	v_mul_f64 v[141:142], v[2:3], v[141:142]
	s_waitcnt vmcnt(56)
	v_fma_f64 v[187:188], v[4:5], v[193:194], -v[187:188]
	v_add_f64 v[123:124], v[123:124], v[129:130]
	v_fma_f64 v[129:130], v[6:7], v[193:194], v[165:166]
	v_add_f64 v[121:122], v[121:122], v[135:136]
	s_clause 0x2
	buffer_load_dword v180, off, s[0:3], 0 offset:876
	buffer_load_dword v136, off, s[0:3], 0 offset:852
	;; [unrolled: 1-line block ×3, first 2 shown]
	ds_read_b128 v[4:7], v8 offset:1504
	buffer_load_dword v190, off, s[0:3], 0 offset:868
	s_waitcnt vmcnt(59) lgkmcnt(1)
	v_mul_f64 v[165:166], v[117:118], v[181:182]
	v_mul_f64 v[181:182], v[119:120], v[181:182]
	s_waitcnt vmcnt(57)
	v_fma_f64 v[141:142], v[0:1], v[133:134], -v[141:142]
	v_fma_f64 v[133:134], v[2:3], v[133:134], v[197:198]
	ds_read_b128 v[0:3], v8 offset:1520
	v_add_f64 v[123:124], v[123:124], v[187:188]
	v_add_f64 v[121:122], v[121:122], v[129:130]
	s_waitcnt vmcnt(53) lgkmcnt(1)
	v_mul_f64 v[129:130], v[4:5], v[127:128]
	v_mul_f64 v[127:128], v[6:7], v[127:128]
	s_waitcnt vmcnt(52)
	v_fma_f64 v[181:182], v[117:118], v[195:196], -v[181:182]
	v_add_f64 v[123:124], v[123:124], v[141:142]
	v_fma_f64 v[141:142], v[119:120], v[195:196], v[165:166]
	v_add_f64 v[121:122], v[121:122], v[133:134]
	ds_read_b128 v[117:120], v8 offset:1536
	s_waitcnt vmcnt(51) lgkmcnt(1)
	v_mul_f64 v[133:134], v[0:1], v[145:146]
	v_mul_f64 v[145:146], v[2:3], v[145:146]
	s_waitcnt vmcnt(49)
	v_fma_f64 v[127:128], v[4:5], v[139:140], -v[127:128]
	v_fma_f64 v[129:130], v[6:7], v[139:140], v[129:130]
	v_add_f64 v[123:124], v[123:124], v[181:182]
	v_add_f64 v[121:122], v[121:122], v[141:142]
	s_clause 0x3
	buffer_load_dword v139, off, s[0:3], 0 offset:16
	buffer_load_dword v140, off, s[0:3], 0 offset:20
	;; [unrolled: 1-line block ×4, first 2 shown]
	ds_read_b128 v[4:7], v8 offset:1552
	s_waitcnt vmcnt(49) lgkmcnt(1)
	v_mul_f64 v[165:166], v[117:118], v[131:132]
	v_mul_f64 v[131:132], v[119:120], v[131:132]
	s_waitcnt vmcnt(48)
	v_fma_f64 v[145:146], v[0:1], v[191:192], -v[145:146]
	v_add_f64 v[123:124], v[123:124], v[127:128]
	v_fma_f64 v[127:128], v[2:3], v[191:192], v[133:134]
	v_add_f64 v[121:122], v[121:122], v[129:130]
	ds_read_b128 v[0:3], v8 offset:1568
	s_waitcnt vmcnt(47) lgkmcnt(1)
	v_mul_f64 v[133:134], v[6:7], v[153:154]
	v_mul_f64 v[129:130], v[4:5], v[153:154]
	s_waitcnt vmcnt(45)
	v_fma_f64 v[131:132], v[117:118], v[149:150], -v[131:132]
	v_add_f64 v[123:124], v[123:124], v[145:146]
	v_fma_f64 v[145:146], v[119:120], v[149:150], v[165:166]
	v_add_f64 v[121:122], v[121:122], v[127:128]
	ds_read_b128 v[117:120], v8 offset:1584
	s_waitcnt vmcnt(41) lgkmcnt(1)
	v_mul_f64 v[127:128], v[0:1], v[137:138]
	v_mul_f64 v[137:138], v[2:3], v[137:138]
	s_waitcnt vmcnt(40)
	v_fma_f64 v[133:134], v[4:5], v[183:184], -v[133:134]
	v_fma_f64 v[129:130], v[6:7], v[183:184], v[129:130]
	ds_read_b128 v[4:7], v8 offset:1600
	v_add_f64 v[123:124], v[123:124], v[131:132]
	v_add_f64 v[121:122], v[121:122], v[145:146]
	s_waitcnt vmcnt(39) lgkmcnt(1)
	v_mul_f64 v[145:146], v[119:120], v[159:160]
	v_mul_f64 v[131:132], v[117:118], v[159:160]
	s_waitcnt vmcnt(37)
	v_fma_f64 v[137:138], v[0:1], v[147:148], -v[137:138]
	v_fma_f64 v[127:128], v[2:3], v[147:148], v[127:128]
	ds_read_b128 v[0:3], v8 offset:1616
	v_add_f64 v[123:124], v[123:124], v[133:134]
	v_add_f64 v[121:122], v[121:122], v[129:130]
	;; [unrolled: 9-line block ×4, first 2 shown]
	s_waitcnt vmcnt(25) lgkmcnt(1)
	v_mul_f64 v[143:144], v[119:120], v[151:152]
	s_waitcnt vmcnt(24)
	v_fma_f64 v[137:138], v[0:1], v[173:174], -v[137:138]
	v_mul_f64 v[131:132], v[117:118], v[151:152]
	v_fma_f64 v[127:128], v[2:3], v[173:174], v[127:128]
	ds_read_b128 v[0:3], v8 offset:1664
	v_add_f64 v[123:124], v[123:124], v[133:134]
	v_add_f64 v[121:122], v[121:122], v[129:130]
	s_waitcnt vmcnt(23) lgkmcnt(1)
	v_mul_f64 v[133:134], v[6:7], v[169:170]
	v_mul_f64 v[129:130], v[4:5], v[169:170]
	s_waitcnt vmcnt(21)
	v_fma_f64 v[143:144], v[117:118], v[125:126], -v[143:144]
	v_fma_f64 v[125:126], v[119:120], v[125:126], v[131:132]
	ds_read_b128 v[117:120], v8 offset:1680
	v_add_f64 v[123:124], v[123:124], v[137:138]
	v_add_f64 v[121:122], v[121:122], v[127:128]
	s_waitcnt vmcnt(17) lgkmcnt(1)
	v_mul_f64 v[131:132], v[2:3], v[157:158]
	s_waitcnt vmcnt(16)
	v_fma_f64 v[133:134], v[4:5], v[175:176], -v[133:134]
	v_mul_f64 v[127:128], v[0:1], v[157:158]
	v_fma_f64 v[129:130], v[6:7], v[175:176], v[129:130]
	ds_read_b128 v[4:7], v8 offset:1696
	v_add_f64 v[123:124], v[123:124], v[143:144]
	v_add_f64 v[121:122], v[121:122], v[125:126]
	s_waitcnt vmcnt(15) lgkmcnt(1)
	v_mul_f64 v[137:138], v[119:120], v[171:172]
	v_mul_f64 v[125:126], v[117:118], v[171:172]
	s_waitcnt vmcnt(13)
	v_fma_f64 v[131:132], v[0:1], v[163:164], -v[131:132]
	v_fma_f64 v[127:128], v[2:3], v[163:164], v[127:128]
	ds_read_b128 v[0:3], v8 offset:1712
	v_add_f64 v[123:124], v[123:124], v[133:134]
	v_add_f64 v[121:122], v[121:122], v[129:130]
	s_waitcnt vmcnt(9) lgkmcnt(1)
	v_mul_f64 v[133:134], v[6:7], v[161:162]
	s_waitcnt vmcnt(8)
	v_fma_f64 v[117:118], v[117:118], v[185:186], -v[137:138]
	v_mul_f64 v[129:130], v[4:5], v[161:162]
	v_fma_f64 v[119:120], v[119:120], v[185:186], v[125:126]
	v_add_f64 v[123:124], v[123:124], v[131:132]
	v_add_f64 v[121:122], v[121:122], v[127:128]
	s_waitcnt vmcnt(7) lgkmcnt(0)
	v_mul_f64 v[127:128], v[2:3], v[179:180]
	v_mul_f64 v[125:126], v[0:1], v[179:180]
	s_waitcnt vmcnt(5)
	v_fma_f64 v[4:5], v[4:5], v[135:136], -v[133:134]
	v_fma_f64 v[6:7], v[6:7], v[135:136], v[129:130]
	v_add_f64 v[117:118], v[123:124], v[117:118]
	v_add_f64 v[119:120], v[121:122], v[119:120]
	s_waitcnt vmcnt(4)
	v_fma_f64 v[0:1], v[0:1], v[189:190], -v[127:128]
	v_fma_f64 v[2:3], v[2:3], v[189:190], v[125:126]
	v_add_f64 v[4:5], v[117:118], v[4:5]
	v_add_f64 v[6:7], v[119:120], v[6:7]
	;; [unrolled: 1-line block ×4, first 2 shown]
	s_waitcnt vmcnt(2)
	v_add_f64 v[0:1], v[139:140], -v[0:1]
	s_waitcnt vmcnt(0)
	v_add_f64 v[2:3], v[141:142], -v[2:3]
	buffer_store_dword v1, off, s[0:3], 0 offset:20
	buffer_store_dword v0, off, s[0:3], 0 offset:16
	;; [unrolled: 1-line block ×4, first 2 shown]
	s_cbranch_vccz .LBB117_444
; %bb.338:
	global_load_dword v0, v8, s[12:13] offset:208
	s_waitcnt vmcnt(0)
	v_add_nc_u32_e32 v0, -1, v0
	v_cmp_ne_u32_e32 vcc_lo, 52, v0
	s_cbranch_vccz .LBB117_340
; %bb.339:
	v_lshlrev_b32_e32 v0, 4, v0
	v_mov_b32_e32 v1, s9
	v_add_nc_u32_e32 v0, 16, v0
	s_clause 0x7
	buffer_load_dword v2, v0, s[0:3], 0 offen
	buffer_load_dword v3, v0, s[0:3], 0 offen offset:4
	buffer_load_dword v4, v0, s[0:3], 0 offen offset:8
	;; [unrolled: 1-line block ×6, first 2 shown]
	buffer_load_dword v117, v1, s[0:3], 0 offen
	s_waitcnt vmcnt(7)
	buffer_store_dword v2, v1, s[0:3], 0 offen
	s_waitcnt vmcnt(6)
	buffer_store_dword v3, v1, s[0:3], 0 offen offset:4
	s_waitcnt vmcnt(5)
	buffer_store_dword v4, v1, s[0:3], 0 offen offset:8
	;; [unrolled: 2-line block ×6, first 2 shown]
	s_waitcnt vmcnt(0)
	buffer_store_dword v117, v0, s[0:3], 0 offen
.LBB117_340:
	v_mov_b32_e32 v0, 0
	global_load_dword v1, v0, s[12:13] offset:204
	s_waitcnt vmcnt(0)
	v_add_nc_u32_e32 v1, -1, v1
	v_cmp_eq_u32_e32 vcc_lo, 51, v1
	s_cbranch_vccnz .LBB117_342
; %bb.341:
	v_lshlrev_b32_e32 v1, 4, v1
	v_mov_b32_e32 v2, s14
	v_add_nc_u32_e32 v1, 16, v1
	s_clause 0x7
	buffer_load_dword v3, v1, s[0:3], 0 offen
	buffer_load_dword v4, v1, s[0:3], 0 offen offset:4
	buffer_load_dword v5, v1, s[0:3], 0 offen offset:8
	;; [unrolled: 1-line block ×6, first 2 shown]
	buffer_load_dword v118, v2, s[0:3], 0 offen
	s_waitcnt vmcnt(7)
	buffer_store_dword v3, v2, s[0:3], 0 offen
	s_waitcnt vmcnt(6)
	buffer_store_dword v4, v2, s[0:3], 0 offen offset:4
	s_waitcnt vmcnt(5)
	buffer_store_dword v5, v2, s[0:3], 0 offen offset:8
	;; [unrolled: 2-line block ×6, first 2 shown]
	s_waitcnt vmcnt(0)
	buffer_store_dword v118, v1, s[0:3], 0 offen
.LBB117_342:
	global_load_dword v0, v0, s[12:13] offset:200
	s_waitcnt vmcnt(0)
	v_add_nc_u32_e32 v0, -1, v0
	v_cmp_eq_u32_e32 vcc_lo, 50, v0
	s_cbranch_vccnz .LBB117_344
; %bb.343:
	v_lshlrev_b32_e32 v0, 4, v0
	v_mov_b32_e32 v1, s15
	v_add_nc_u32_e32 v0, 16, v0
	s_clause 0x7
	buffer_load_dword v2, v0, s[0:3], 0 offen
	buffer_load_dword v3, v0, s[0:3], 0 offen offset:4
	buffer_load_dword v4, v0, s[0:3], 0 offen offset:8
	;; [unrolled: 1-line block ×6, first 2 shown]
	buffer_load_dword v117, v1, s[0:3], 0 offen
	s_waitcnt vmcnt(7)
	buffer_store_dword v2, v1, s[0:3], 0 offen
	s_waitcnt vmcnt(6)
	buffer_store_dword v3, v1, s[0:3], 0 offen offset:4
	s_waitcnt vmcnt(5)
	buffer_store_dword v4, v1, s[0:3], 0 offen offset:8
	;; [unrolled: 2-line block ×6, first 2 shown]
	s_waitcnt vmcnt(0)
	buffer_store_dword v117, v0, s[0:3], 0 offen
.LBB117_344:
	v_mov_b32_e32 v0, 0
	global_load_dword v1, v0, s[12:13] offset:196
	s_waitcnt vmcnt(0)
	v_add_nc_u32_e32 v1, -1, v1
	v_cmp_eq_u32_e32 vcc_lo, 49, v1
	s_cbranch_vccnz .LBB117_346
; %bb.345:
	v_lshlrev_b32_e32 v1, 4, v1
	v_mov_b32_e32 v2, s16
	v_add_nc_u32_e32 v1, 16, v1
	s_clause 0x7
	buffer_load_dword v3, v1, s[0:3], 0 offen
	buffer_load_dword v4, v1, s[0:3], 0 offen offset:4
	buffer_load_dword v5, v1, s[0:3], 0 offen offset:8
	;; [unrolled: 1-line block ×6, first 2 shown]
	buffer_load_dword v118, v2, s[0:3], 0 offen
	s_waitcnt vmcnt(7)
	buffer_store_dword v3, v2, s[0:3], 0 offen
	s_waitcnt vmcnt(6)
	buffer_store_dword v4, v2, s[0:3], 0 offen offset:4
	s_waitcnt vmcnt(5)
	buffer_store_dword v5, v2, s[0:3], 0 offen offset:8
	;; [unrolled: 2-line block ×6, first 2 shown]
	s_waitcnt vmcnt(0)
	buffer_store_dword v118, v1, s[0:3], 0 offen
.LBB117_346:
	global_load_dword v0, v0, s[12:13] offset:192
	s_waitcnt vmcnt(0)
	v_add_nc_u32_e32 v0, -1, v0
	v_cmp_eq_u32_e32 vcc_lo, 48, v0
	s_cbranch_vccnz .LBB117_348
; %bb.347:
	v_lshlrev_b32_e32 v0, 4, v0
	v_mov_b32_e32 v1, s17
	v_add_nc_u32_e32 v0, 16, v0
	s_clause 0x7
	buffer_load_dword v2, v0, s[0:3], 0 offen
	buffer_load_dword v3, v0, s[0:3], 0 offen offset:4
	buffer_load_dword v4, v0, s[0:3], 0 offen offset:8
	;; [unrolled: 1-line block ×6, first 2 shown]
	buffer_load_dword v117, v1, s[0:3], 0 offen
	s_waitcnt vmcnt(7)
	buffer_store_dword v2, v1, s[0:3], 0 offen
	s_waitcnt vmcnt(6)
	buffer_store_dword v3, v1, s[0:3], 0 offen offset:4
	s_waitcnt vmcnt(5)
	buffer_store_dword v4, v1, s[0:3], 0 offen offset:8
	;; [unrolled: 2-line block ×6, first 2 shown]
	s_waitcnt vmcnt(0)
	buffer_store_dword v117, v0, s[0:3], 0 offen
.LBB117_348:
	v_mov_b32_e32 v0, 0
	global_load_dword v1, v0, s[12:13] offset:188
	s_waitcnt vmcnt(0)
	v_add_nc_u32_e32 v1, -1, v1
	v_cmp_eq_u32_e32 vcc_lo, 47, v1
	s_cbranch_vccnz .LBB117_350
; %bb.349:
	v_lshlrev_b32_e32 v1, 4, v1
	v_mov_b32_e32 v2, s18
	v_add_nc_u32_e32 v1, 16, v1
	s_clause 0x7
	buffer_load_dword v3, v1, s[0:3], 0 offen
	buffer_load_dword v4, v1, s[0:3], 0 offen offset:4
	buffer_load_dword v5, v1, s[0:3], 0 offen offset:8
	;; [unrolled: 1-line block ×6, first 2 shown]
	buffer_load_dword v118, v2, s[0:3], 0 offen
	s_waitcnt vmcnt(7)
	buffer_store_dword v3, v2, s[0:3], 0 offen
	s_waitcnt vmcnt(6)
	buffer_store_dword v4, v2, s[0:3], 0 offen offset:4
	s_waitcnt vmcnt(5)
	buffer_store_dword v5, v2, s[0:3], 0 offen offset:8
	;; [unrolled: 2-line block ×6, first 2 shown]
	s_waitcnt vmcnt(0)
	buffer_store_dword v118, v1, s[0:3], 0 offen
.LBB117_350:
	global_load_dword v0, v0, s[12:13] offset:184
	s_waitcnt vmcnt(0)
	v_add_nc_u32_e32 v0, -1, v0
	v_cmp_eq_u32_e32 vcc_lo, 46, v0
	s_cbranch_vccnz .LBB117_352
; %bb.351:
	v_lshlrev_b32_e32 v0, 4, v0
	v_mov_b32_e32 v1, s19
	v_add_nc_u32_e32 v0, 16, v0
	s_clause 0x7
	buffer_load_dword v2, v0, s[0:3], 0 offen
	buffer_load_dword v3, v0, s[0:3], 0 offen offset:4
	buffer_load_dword v4, v0, s[0:3], 0 offen offset:8
	;; [unrolled: 1-line block ×6, first 2 shown]
	buffer_load_dword v117, v1, s[0:3], 0 offen
	s_waitcnt vmcnt(7)
	buffer_store_dword v2, v1, s[0:3], 0 offen
	s_waitcnt vmcnt(6)
	buffer_store_dword v3, v1, s[0:3], 0 offen offset:4
	s_waitcnt vmcnt(5)
	buffer_store_dword v4, v1, s[0:3], 0 offen offset:8
	s_waitcnt vmcnt(4)
	buffer_store_dword v5, v1, s[0:3], 0 offen offset:12
	s_waitcnt vmcnt(3)
	buffer_store_dword v6, v0, s[0:3], 0 offen offset:12
	s_waitcnt vmcnt(2)
	buffer_store_dword v7, v0, s[0:3], 0 offen offset:8
	s_waitcnt vmcnt(1)
	buffer_store_dword v8, v0, s[0:3], 0 offen offset:4
	s_waitcnt vmcnt(0)
	buffer_store_dword v117, v0, s[0:3], 0 offen
.LBB117_352:
	v_mov_b32_e32 v0, 0
	global_load_dword v1, v0, s[12:13] offset:180
	s_waitcnt vmcnt(0)
	v_add_nc_u32_e32 v1, -1, v1
	v_cmp_eq_u32_e32 vcc_lo, 45, v1
	s_cbranch_vccnz .LBB117_354
; %bb.353:
	v_lshlrev_b32_e32 v1, 4, v1
	v_mov_b32_e32 v2, s20
	v_add_nc_u32_e32 v1, 16, v1
	s_clause 0x7
	buffer_load_dword v3, v1, s[0:3], 0 offen
	buffer_load_dword v4, v1, s[0:3], 0 offen offset:4
	buffer_load_dword v5, v1, s[0:3], 0 offen offset:8
	;; [unrolled: 1-line block ×6, first 2 shown]
	buffer_load_dword v118, v2, s[0:3], 0 offen
	s_waitcnt vmcnt(7)
	buffer_store_dword v3, v2, s[0:3], 0 offen
	s_waitcnt vmcnt(6)
	buffer_store_dword v4, v2, s[0:3], 0 offen offset:4
	s_waitcnt vmcnt(5)
	buffer_store_dword v5, v2, s[0:3], 0 offen offset:8
	;; [unrolled: 2-line block ×6, first 2 shown]
	s_waitcnt vmcnt(0)
	buffer_store_dword v118, v1, s[0:3], 0 offen
.LBB117_354:
	global_load_dword v0, v0, s[12:13] offset:176
	s_waitcnt vmcnt(0)
	v_add_nc_u32_e32 v0, -1, v0
	v_cmp_eq_u32_e32 vcc_lo, 44, v0
	s_cbranch_vccnz .LBB117_356
; %bb.355:
	v_lshlrev_b32_e32 v0, 4, v0
	v_mov_b32_e32 v1, s21
	v_add_nc_u32_e32 v0, 16, v0
	s_clause 0x7
	buffer_load_dword v2, v0, s[0:3], 0 offen
	buffer_load_dword v3, v0, s[0:3], 0 offen offset:4
	buffer_load_dword v4, v0, s[0:3], 0 offen offset:8
	;; [unrolled: 1-line block ×6, first 2 shown]
	buffer_load_dword v117, v1, s[0:3], 0 offen
	s_waitcnt vmcnt(7)
	buffer_store_dword v2, v1, s[0:3], 0 offen
	s_waitcnt vmcnt(6)
	buffer_store_dword v3, v1, s[0:3], 0 offen offset:4
	s_waitcnt vmcnt(5)
	buffer_store_dword v4, v1, s[0:3], 0 offen offset:8
	;; [unrolled: 2-line block ×6, first 2 shown]
	s_waitcnt vmcnt(0)
	buffer_store_dword v117, v0, s[0:3], 0 offen
.LBB117_356:
	v_mov_b32_e32 v0, 0
	global_load_dword v1, v0, s[12:13] offset:172
	s_waitcnt vmcnt(0)
	v_add_nc_u32_e32 v1, -1, v1
	v_cmp_eq_u32_e32 vcc_lo, 43, v1
	s_cbranch_vccnz .LBB117_358
; %bb.357:
	v_lshlrev_b32_e32 v1, 4, v1
	v_mov_b32_e32 v2, s22
	v_add_nc_u32_e32 v1, 16, v1
	s_clause 0x7
	buffer_load_dword v3, v1, s[0:3], 0 offen
	buffer_load_dword v4, v1, s[0:3], 0 offen offset:4
	buffer_load_dword v5, v1, s[0:3], 0 offen offset:8
	;; [unrolled: 1-line block ×6, first 2 shown]
	buffer_load_dword v118, v2, s[0:3], 0 offen
	s_waitcnt vmcnt(7)
	buffer_store_dword v3, v2, s[0:3], 0 offen
	s_waitcnt vmcnt(6)
	buffer_store_dword v4, v2, s[0:3], 0 offen offset:4
	s_waitcnt vmcnt(5)
	buffer_store_dword v5, v2, s[0:3], 0 offen offset:8
	;; [unrolled: 2-line block ×6, first 2 shown]
	s_waitcnt vmcnt(0)
	buffer_store_dword v118, v1, s[0:3], 0 offen
.LBB117_358:
	global_load_dword v0, v0, s[12:13] offset:168
	s_waitcnt vmcnt(0)
	v_add_nc_u32_e32 v0, -1, v0
	v_cmp_eq_u32_e32 vcc_lo, 42, v0
	s_cbranch_vccnz .LBB117_360
; %bb.359:
	v_lshlrev_b32_e32 v0, 4, v0
	v_mov_b32_e32 v1, s23
	v_add_nc_u32_e32 v0, 16, v0
	s_clause 0x7
	buffer_load_dword v2, v0, s[0:3], 0 offen
	buffer_load_dword v3, v0, s[0:3], 0 offen offset:4
	buffer_load_dword v4, v0, s[0:3], 0 offen offset:8
	;; [unrolled: 1-line block ×6, first 2 shown]
	buffer_load_dword v117, v1, s[0:3], 0 offen
	s_waitcnt vmcnt(7)
	buffer_store_dword v2, v1, s[0:3], 0 offen
	s_waitcnt vmcnt(6)
	buffer_store_dword v3, v1, s[0:3], 0 offen offset:4
	s_waitcnt vmcnt(5)
	buffer_store_dword v4, v1, s[0:3], 0 offen offset:8
	;; [unrolled: 2-line block ×6, first 2 shown]
	s_waitcnt vmcnt(0)
	buffer_store_dword v117, v0, s[0:3], 0 offen
.LBB117_360:
	v_mov_b32_e32 v0, 0
	global_load_dword v1, v0, s[12:13] offset:164
	s_waitcnt vmcnt(0)
	v_add_nc_u32_e32 v1, -1, v1
	v_cmp_eq_u32_e32 vcc_lo, 41, v1
	s_cbranch_vccnz .LBB117_362
; %bb.361:
	v_lshlrev_b32_e32 v1, 4, v1
	v_mov_b32_e32 v2, s24
	v_add_nc_u32_e32 v1, 16, v1
	s_clause 0x7
	buffer_load_dword v3, v1, s[0:3], 0 offen
	buffer_load_dword v4, v1, s[0:3], 0 offen offset:4
	buffer_load_dword v5, v1, s[0:3], 0 offen offset:8
	;; [unrolled: 1-line block ×6, first 2 shown]
	buffer_load_dword v118, v2, s[0:3], 0 offen
	s_waitcnt vmcnt(7)
	buffer_store_dword v3, v2, s[0:3], 0 offen
	s_waitcnt vmcnt(6)
	buffer_store_dword v4, v2, s[0:3], 0 offen offset:4
	s_waitcnt vmcnt(5)
	buffer_store_dword v5, v2, s[0:3], 0 offen offset:8
	s_waitcnt vmcnt(4)
	buffer_store_dword v6, v2, s[0:3], 0 offen offset:12
	s_waitcnt vmcnt(3)
	buffer_store_dword v7, v1, s[0:3], 0 offen offset:12
	s_waitcnt vmcnt(2)
	buffer_store_dword v8, v1, s[0:3], 0 offen offset:8
	s_waitcnt vmcnt(1)
	buffer_store_dword v117, v1, s[0:3], 0 offen offset:4
	s_waitcnt vmcnt(0)
	buffer_store_dword v118, v1, s[0:3], 0 offen
.LBB117_362:
	global_load_dword v0, v0, s[12:13] offset:160
	s_waitcnt vmcnt(0)
	v_add_nc_u32_e32 v0, -1, v0
	v_cmp_eq_u32_e32 vcc_lo, 40, v0
	s_cbranch_vccnz .LBB117_364
; %bb.363:
	v_lshlrev_b32_e32 v0, 4, v0
	v_mov_b32_e32 v1, s25
	v_add_nc_u32_e32 v0, 16, v0
	s_clause 0x7
	buffer_load_dword v2, v0, s[0:3], 0 offen
	buffer_load_dword v3, v0, s[0:3], 0 offen offset:4
	buffer_load_dword v4, v0, s[0:3], 0 offen offset:8
	;; [unrolled: 1-line block ×6, first 2 shown]
	buffer_load_dword v117, v1, s[0:3], 0 offen
	s_waitcnt vmcnt(7)
	buffer_store_dword v2, v1, s[0:3], 0 offen
	s_waitcnt vmcnt(6)
	buffer_store_dword v3, v1, s[0:3], 0 offen offset:4
	s_waitcnt vmcnt(5)
	buffer_store_dword v4, v1, s[0:3], 0 offen offset:8
	;; [unrolled: 2-line block ×6, first 2 shown]
	s_waitcnt vmcnt(0)
	buffer_store_dword v117, v0, s[0:3], 0 offen
.LBB117_364:
	v_mov_b32_e32 v0, 0
	global_load_dword v1, v0, s[12:13] offset:156
	s_waitcnt vmcnt(0)
	v_add_nc_u32_e32 v1, -1, v1
	v_cmp_eq_u32_e32 vcc_lo, 39, v1
	s_cbranch_vccnz .LBB117_366
; %bb.365:
	v_lshlrev_b32_e32 v1, 4, v1
	v_mov_b32_e32 v2, s26
	v_add_nc_u32_e32 v1, 16, v1
	s_clause 0x7
	buffer_load_dword v3, v1, s[0:3], 0 offen
	buffer_load_dword v4, v1, s[0:3], 0 offen offset:4
	buffer_load_dword v5, v1, s[0:3], 0 offen offset:8
	buffer_load_dword v6, v1, s[0:3], 0 offen offset:12
	buffer_load_dword v7, v2, s[0:3], 0 offen offset:12
	buffer_load_dword v8, v2, s[0:3], 0 offen offset:8
	buffer_load_dword v117, v2, s[0:3], 0 offen offset:4
	buffer_load_dword v118, v2, s[0:3], 0 offen
	s_waitcnt vmcnt(7)
	buffer_store_dword v3, v2, s[0:3], 0 offen
	s_waitcnt vmcnt(6)
	buffer_store_dword v4, v2, s[0:3], 0 offen offset:4
	s_waitcnt vmcnt(5)
	buffer_store_dword v5, v2, s[0:3], 0 offen offset:8
	;; [unrolled: 2-line block ×6, first 2 shown]
	s_waitcnt vmcnt(0)
	buffer_store_dword v118, v1, s[0:3], 0 offen
.LBB117_366:
	global_load_dword v0, v0, s[12:13] offset:152
	s_waitcnt vmcnt(0)
	v_add_nc_u32_e32 v0, -1, v0
	v_cmp_eq_u32_e32 vcc_lo, 38, v0
	s_cbranch_vccnz .LBB117_368
; %bb.367:
	v_lshlrev_b32_e32 v0, 4, v0
	v_mov_b32_e32 v1, s27
	v_add_nc_u32_e32 v0, 16, v0
	s_clause 0x7
	buffer_load_dword v2, v0, s[0:3], 0 offen
	buffer_load_dword v3, v0, s[0:3], 0 offen offset:4
	buffer_load_dword v4, v0, s[0:3], 0 offen offset:8
	buffer_load_dword v5, v0, s[0:3], 0 offen offset:12
	buffer_load_dword v6, v1, s[0:3], 0 offen offset:12
	buffer_load_dword v7, v1, s[0:3], 0 offen offset:8
	buffer_load_dword v8, v1, s[0:3], 0 offen offset:4
	buffer_load_dword v117, v1, s[0:3], 0 offen
	s_waitcnt vmcnt(7)
	buffer_store_dword v2, v1, s[0:3], 0 offen
	s_waitcnt vmcnt(6)
	buffer_store_dword v3, v1, s[0:3], 0 offen offset:4
	s_waitcnt vmcnt(5)
	buffer_store_dword v4, v1, s[0:3], 0 offen offset:8
	;; [unrolled: 2-line block ×6, first 2 shown]
	s_waitcnt vmcnt(0)
	buffer_store_dword v117, v0, s[0:3], 0 offen
.LBB117_368:
	v_mov_b32_e32 v0, 0
	global_load_dword v1, v0, s[12:13] offset:148
	s_waitcnt vmcnt(0)
	v_add_nc_u32_e32 v1, -1, v1
	v_cmp_eq_u32_e32 vcc_lo, 37, v1
	s_cbranch_vccnz .LBB117_370
; %bb.369:
	v_lshlrev_b32_e32 v1, 4, v1
	v_mov_b32_e32 v2, s28
	v_add_nc_u32_e32 v1, 16, v1
	s_clause 0x7
	buffer_load_dword v3, v1, s[0:3], 0 offen
	buffer_load_dword v4, v1, s[0:3], 0 offen offset:4
	buffer_load_dword v5, v1, s[0:3], 0 offen offset:8
	;; [unrolled: 1-line block ×6, first 2 shown]
	buffer_load_dword v118, v2, s[0:3], 0 offen
	s_waitcnt vmcnt(7)
	buffer_store_dword v3, v2, s[0:3], 0 offen
	s_waitcnt vmcnt(6)
	buffer_store_dword v4, v2, s[0:3], 0 offen offset:4
	s_waitcnt vmcnt(5)
	buffer_store_dword v5, v2, s[0:3], 0 offen offset:8
	;; [unrolled: 2-line block ×6, first 2 shown]
	s_waitcnt vmcnt(0)
	buffer_store_dword v118, v1, s[0:3], 0 offen
.LBB117_370:
	global_load_dword v0, v0, s[12:13] offset:144
	s_waitcnt vmcnt(0)
	v_add_nc_u32_e32 v0, -1, v0
	v_cmp_eq_u32_e32 vcc_lo, 36, v0
	s_cbranch_vccnz .LBB117_372
; %bb.371:
	v_lshlrev_b32_e32 v0, 4, v0
	v_mov_b32_e32 v1, s29
	v_add_nc_u32_e32 v0, 16, v0
	s_clause 0x7
	buffer_load_dword v2, v0, s[0:3], 0 offen
	buffer_load_dword v3, v0, s[0:3], 0 offen offset:4
	buffer_load_dword v4, v0, s[0:3], 0 offen offset:8
	;; [unrolled: 1-line block ×6, first 2 shown]
	buffer_load_dword v117, v1, s[0:3], 0 offen
	s_waitcnt vmcnt(7)
	buffer_store_dword v2, v1, s[0:3], 0 offen
	s_waitcnt vmcnt(6)
	buffer_store_dword v3, v1, s[0:3], 0 offen offset:4
	s_waitcnt vmcnt(5)
	buffer_store_dword v4, v1, s[0:3], 0 offen offset:8
	;; [unrolled: 2-line block ×6, first 2 shown]
	s_waitcnt vmcnt(0)
	buffer_store_dword v117, v0, s[0:3], 0 offen
.LBB117_372:
	v_mov_b32_e32 v0, 0
	global_load_dword v1, v0, s[12:13] offset:140
	s_waitcnt vmcnt(0)
	v_add_nc_u32_e32 v1, -1, v1
	v_cmp_eq_u32_e32 vcc_lo, 35, v1
	s_cbranch_vccnz .LBB117_374
; %bb.373:
	v_lshlrev_b32_e32 v1, 4, v1
	v_mov_b32_e32 v2, s30
	v_add_nc_u32_e32 v1, 16, v1
	s_clause 0x7
	buffer_load_dword v3, v1, s[0:3], 0 offen
	buffer_load_dword v4, v1, s[0:3], 0 offen offset:4
	buffer_load_dword v5, v1, s[0:3], 0 offen offset:8
	;; [unrolled: 1-line block ×6, first 2 shown]
	buffer_load_dword v118, v2, s[0:3], 0 offen
	s_waitcnt vmcnt(7)
	buffer_store_dword v3, v2, s[0:3], 0 offen
	s_waitcnt vmcnt(6)
	buffer_store_dword v4, v2, s[0:3], 0 offen offset:4
	s_waitcnt vmcnt(5)
	buffer_store_dword v5, v2, s[0:3], 0 offen offset:8
	;; [unrolled: 2-line block ×6, first 2 shown]
	s_waitcnt vmcnt(0)
	buffer_store_dword v118, v1, s[0:3], 0 offen
.LBB117_374:
	global_load_dword v0, v0, s[12:13] offset:136
	s_waitcnt vmcnt(0)
	v_add_nc_u32_e32 v0, -1, v0
	v_cmp_eq_u32_e32 vcc_lo, 34, v0
	s_cbranch_vccnz .LBB117_376
; %bb.375:
	v_lshlrev_b32_e32 v0, 4, v0
	v_mov_b32_e32 v1, s31
	v_add_nc_u32_e32 v0, 16, v0
	s_clause 0x7
	buffer_load_dword v2, v0, s[0:3], 0 offen
	buffer_load_dword v3, v0, s[0:3], 0 offen offset:4
	buffer_load_dword v4, v0, s[0:3], 0 offen offset:8
	;; [unrolled: 1-line block ×6, first 2 shown]
	buffer_load_dword v117, v1, s[0:3], 0 offen
	s_waitcnt vmcnt(7)
	buffer_store_dword v2, v1, s[0:3], 0 offen
	s_waitcnt vmcnt(6)
	buffer_store_dword v3, v1, s[0:3], 0 offen offset:4
	s_waitcnt vmcnt(5)
	buffer_store_dword v4, v1, s[0:3], 0 offen offset:8
	;; [unrolled: 2-line block ×6, first 2 shown]
	s_waitcnt vmcnt(0)
	buffer_store_dword v117, v0, s[0:3], 0 offen
.LBB117_376:
	v_mov_b32_e32 v0, 0
	global_load_dword v1, v0, s[12:13] offset:132
	s_waitcnt vmcnt(0)
	v_add_nc_u32_e32 v1, -1, v1
	v_cmp_eq_u32_e32 vcc_lo, 33, v1
	s_cbranch_vccnz .LBB117_378
; %bb.377:
	v_lshlrev_b32_e32 v1, 4, v1
	v_mov_b32_e32 v2, s33
	v_add_nc_u32_e32 v1, 16, v1
	s_clause 0x7
	buffer_load_dword v3, v1, s[0:3], 0 offen
	buffer_load_dword v4, v1, s[0:3], 0 offen offset:4
	buffer_load_dword v5, v1, s[0:3], 0 offen offset:8
	;; [unrolled: 1-line block ×6, first 2 shown]
	buffer_load_dword v118, v2, s[0:3], 0 offen
	s_waitcnt vmcnt(7)
	buffer_store_dword v3, v2, s[0:3], 0 offen
	s_waitcnt vmcnt(6)
	buffer_store_dword v4, v2, s[0:3], 0 offen offset:4
	s_waitcnt vmcnt(5)
	buffer_store_dword v5, v2, s[0:3], 0 offen offset:8
	;; [unrolled: 2-line block ×6, first 2 shown]
	s_waitcnt vmcnt(0)
	buffer_store_dword v118, v1, s[0:3], 0 offen
.LBB117_378:
	global_load_dword v0, v0, s[12:13] offset:128
	s_waitcnt vmcnt(0)
	v_add_nc_u32_e32 v0, -1, v0
	v_cmp_eq_u32_e32 vcc_lo, 32, v0
	s_cbranch_vccnz .LBB117_380
; %bb.379:
	v_lshlrev_b32_e32 v0, 4, v0
	v_mov_b32_e32 v1, s34
	v_add_nc_u32_e32 v0, 16, v0
	s_clause 0x7
	buffer_load_dword v2, v0, s[0:3], 0 offen
	buffer_load_dword v3, v0, s[0:3], 0 offen offset:4
	buffer_load_dword v4, v0, s[0:3], 0 offen offset:8
	;; [unrolled: 1-line block ×6, first 2 shown]
	buffer_load_dword v117, v1, s[0:3], 0 offen
	s_waitcnt vmcnt(7)
	buffer_store_dword v2, v1, s[0:3], 0 offen
	s_waitcnt vmcnt(6)
	buffer_store_dword v3, v1, s[0:3], 0 offen offset:4
	s_waitcnt vmcnt(5)
	buffer_store_dword v4, v1, s[0:3], 0 offen offset:8
	;; [unrolled: 2-line block ×6, first 2 shown]
	s_waitcnt vmcnt(0)
	buffer_store_dword v117, v0, s[0:3], 0 offen
.LBB117_380:
	v_mov_b32_e32 v0, 0
	global_load_dword v1, v0, s[12:13] offset:124
	s_waitcnt vmcnt(0)
	v_add_nc_u32_e32 v1, -1, v1
	v_cmp_eq_u32_e32 vcc_lo, 31, v1
	s_cbranch_vccnz .LBB117_382
; %bb.381:
	v_lshlrev_b32_e32 v1, 4, v1
	v_mov_b32_e32 v2, s35
	v_add_nc_u32_e32 v1, 16, v1
	s_clause 0x7
	buffer_load_dword v3, v1, s[0:3], 0 offen
	buffer_load_dword v4, v1, s[0:3], 0 offen offset:4
	buffer_load_dword v5, v1, s[0:3], 0 offen offset:8
	;; [unrolled: 1-line block ×6, first 2 shown]
	buffer_load_dword v118, v2, s[0:3], 0 offen
	s_waitcnt vmcnt(7)
	buffer_store_dword v3, v2, s[0:3], 0 offen
	s_waitcnt vmcnt(6)
	buffer_store_dword v4, v2, s[0:3], 0 offen offset:4
	s_waitcnt vmcnt(5)
	buffer_store_dword v5, v2, s[0:3], 0 offen offset:8
	;; [unrolled: 2-line block ×6, first 2 shown]
	s_waitcnt vmcnt(0)
	buffer_store_dword v118, v1, s[0:3], 0 offen
.LBB117_382:
	global_load_dword v0, v0, s[12:13] offset:120
	s_waitcnt vmcnt(0)
	v_add_nc_u32_e32 v0, -1, v0
	v_cmp_eq_u32_e32 vcc_lo, 30, v0
	s_cbranch_vccnz .LBB117_384
; %bb.383:
	v_lshlrev_b32_e32 v0, 4, v0
	v_mov_b32_e32 v1, s36
	v_add_nc_u32_e32 v0, 16, v0
	s_clause 0x7
	buffer_load_dword v2, v0, s[0:3], 0 offen
	buffer_load_dword v3, v0, s[0:3], 0 offen offset:4
	buffer_load_dword v4, v0, s[0:3], 0 offen offset:8
	;; [unrolled: 1-line block ×6, first 2 shown]
	buffer_load_dword v117, v1, s[0:3], 0 offen
	s_waitcnt vmcnt(7)
	buffer_store_dword v2, v1, s[0:3], 0 offen
	s_waitcnt vmcnt(6)
	buffer_store_dword v3, v1, s[0:3], 0 offen offset:4
	s_waitcnt vmcnt(5)
	buffer_store_dword v4, v1, s[0:3], 0 offen offset:8
	;; [unrolled: 2-line block ×6, first 2 shown]
	s_waitcnt vmcnt(0)
	buffer_store_dword v117, v0, s[0:3], 0 offen
.LBB117_384:
	v_mov_b32_e32 v0, 0
	global_load_dword v1, v0, s[12:13] offset:116
	s_waitcnt vmcnt(0)
	v_add_nc_u32_e32 v1, -1, v1
	v_cmp_eq_u32_e32 vcc_lo, 29, v1
	s_cbranch_vccnz .LBB117_386
; %bb.385:
	v_lshlrev_b32_e32 v1, 4, v1
	v_mov_b32_e32 v2, s37
	v_add_nc_u32_e32 v1, 16, v1
	s_clause 0x7
	buffer_load_dword v3, v1, s[0:3], 0 offen
	buffer_load_dword v4, v1, s[0:3], 0 offen offset:4
	buffer_load_dword v5, v1, s[0:3], 0 offen offset:8
	;; [unrolled: 1-line block ×6, first 2 shown]
	buffer_load_dword v118, v2, s[0:3], 0 offen
	s_waitcnt vmcnt(7)
	buffer_store_dword v3, v2, s[0:3], 0 offen
	s_waitcnt vmcnt(6)
	buffer_store_dword v4, v2, s[0:3], 0 offen offset:4
	s_waitcnt vmcnt(5)
	buffer_store_dword v5, v2, s[0:3], 0 offen offset:8
	;; [unrolled: 2-line block ×6, first 2 shown]
	s_waitcnt vmcnt(0)
	buffer_store_dword v118, v1, s[0:3], 0 offen
.LBB117_386:
	global_load_dword v0, v0, s[12:13] offset:112
	s_waitcnt vmcnt(0)
	v_add_nc_u32_e32 v0, -1, v0
	v_cmp_eq_u32_e32 vcc_lo, 28, v0
	s_cbranch_vccnz .LBB117_388
; %bb.387:
	v_lshlrev_b32_e32 v0, 4, v0
	v_mov_b32_e32 v1, s38
	v_add_nc_u32_e32 v0, 16, v0
	s_clause 0x7
	buffer_load_dword v2, v0, s[0:3], 0 offen
	buffer_load_dword v3, v0, s[0:3], 0 offen offset:4
	buffer_load_dword v4, v0, s[0:3], 0 offen offset:8
	;; [unrolled: 1-line block ×6, first 2 shown]
	buffer_load_dword v117, v1, s[0:3], 0 offen
	s_waitcnt vmcnt(7)
	buffer_store_dword v2, v1, s[0:3], 0 offen
	s_waitcnt vmcnt(6)
	buffer_store_dword v3, v1, s[0:3], 0 offen offset:4
	s_waitcnt vmcnt(5)
	buffer_store_dword v4, v1, s[0:3], 0 offen offset:8
	;; [unrolled: 2-line block ×6, first 2 shown]
	s_waitcnt vmcnt(0)
	buffer_store_dword v117, v0, s[0:3], 0 offen
.LBB117_388:
	v_mov_b32_e32 v0, 0
	global_load_dword v1, v0, s[12:13] offset:108
	s_waitcnt vmcnt(0)
	v_add_nc_u32_e32 v1, -1, v1
	v_cmp_eq_u32_e32 vcc_lo, 27, v1
	s_cbranch_vccnz .LBB117_390
; %bb.389:
	v_lshlrev_b32_e32 v1, 4, v1
	v_mov_b32_e32 v2, s39
	v_add_nc_u32_e32 v1, 16, v1
	s_clause 0x7
	buffer_load_dword v3, v1, s[0:3], 0 offen
	buffer_load_dword v4, v1, s[0:3], 0 offen offset:4
	buffer_load_dword v5, v1, s[0:3], 0 offen offset:8
	;; [unrolled: 1-line block ×6, first 2 shown]
	buffer_load_dword v118, v2, s[0:3], 0 offen
	s_waitcnt vmcnt(7)
	buffer_store_dword v3, v2, s[0:3], 0 offen
	s_waitcnt vmcnt(6)
	buffer_store_dword v4, v2, s[0:3], 0 offen offset:4
	s_waitcnt vmcnt(5)
	buffer_store_dword v5, v2, s[0:3], 0 offen offset:8
	;; [unrolled: 2-line block ×6, first 2 shown]
	s_waitcnt vmcnt(0)
	buffer_store_dword v118, v1, s[0:3], 0 offen
.LBB117_390:
	global_load_dword v0, v0, s[12:13] offset:104
	s_waitcnt vmcnt(0)
	v_add_nc_u32_e32 v0, -1, v0
	v_cmp_eq_u32_e32 vcc_lo, 26, v0
	s_cbranch_vccnz .LBB117_392
; %bb.391:
	v_lshlrev_b32_e32 v0, 4, v0
	v_mov_b32_e32 v1, s40
	v_add_nc_u32_e32 v0, 16, v0
	s_clause 0x7
	buffer_load_dword v2, v0, s[0:3], 0 offen
	buffer_load_dword v3, v0, s[0:3], 0 offen offset:4
	buffer_load_dword v4, v0, s[0:3], 0 offen offset:8
	;; [unrolled: 1-line block ×6, first 2 shown]
	buffer_load_dword v117, v1, s[0:3], 0 offen
	s_waitcnt vmcnt(7)
	buffer_store_dword v2, v1, s[0:3], 0 offen
	s_waitcnt vmcnt(6)
	buffer_store_dword v3, v1, s[0:3], 0 offen offset:4
	s_waitcnt vmcnt(5)
	buffer_store_dword v4, v1, s[0:3], 0 offen offset:8
	;; [unrolled: 2-line block ×6, first 2 shown]
	s_waitcnt vmcnt(0)
	buffer_store_dword v117, v0, s[0:3], 0 offen
.LBB117_392:
	v_mov_b32_e32 v0, 0
	global_load_dword v1, v0, s[12:13] offset:100
	s_waitcnt vmcnt(0)
	v_add_nc_u32_e32 v1, -1, v1
	v_cmp_eq_u32_e32 vcc_lo, 25, v1
	s_cbranch_vccnz .LBB117_394
; %bb.393:
	v_lshlrev_b32_e32 v1, 4, v1
	v_mov_b32_e32 v2, s41
	v_add_nc_u32_e32 v1, 16, v1
	s_clause 0x7
	buffer_load_dword v3, v1, s[0:3], 0 offen
	buffer_load_dword v4, v1, s[0:3], 0 offen offset:4
	buffer_load_dword v5, v1, s[0:3], 0 offen offset:8
	;; [unrolled: 1-line block ×6, first 2 shown]
	buffer_load_dword v118, v2, s[0:3], 0 offen
	s_waitcnt vmcnt(7)
	buffer_store_dword v3, v2, s[0:3], 0 offen
	s_waitcnt vmcnt(6)
	buffer_store_dword v4, v2, s[0:3], 0 offen offset:4
	s_waitcnt vmcnt(5)
	buffer_store_dword v5, v2, s[0:3], 0 offen offset:8
	;; [unrolled: 2-line block ×6, first 2 shown]
	s_waitcnt vmcnt(0)
	buffer_store_dword v118, v1, s[0:3], 0 offen
.LBB117_394:
	global_load_dword v0, v0, s[12:13] offset:96
	s_waitcnt vmcnt(0)
	v_add_nc_u32_e32 v0, -1, v0
	v_cmp_eq_u32_e32 vcc_lo, 24, v0
	s_cbranch_vccnz .LBB117_396
; %bb.395:
	v_lshlrev_b32_e32 v0, 4, v0
	v_mov_b32_e32 v1, s42
	v_add_nc_u32_e32 v0, 16, v0
	s_clause 0x7
	buffer_load_dword v2, v0, s[0:3], 0 offen
	buffer_load_dword v3, v0, s[0:3], 0 offen offset:4
	buffer_load_dword v4, v0, s[0:3], 0 offen offset:8
	;; [unrolled: 1-line block ×6, first 2 shown]
	buffer_load_dword v117, v1, s[0:3], 0 offen
	s_waitcnt vmcnt(7)
	buffer_store_dword v2, v1, s[0:3], 0 offen
	s_waitcnt vmcnt(6)
	buffer_store_dword v3, v1, s[0:3], 0 offen offset:4
	s_waitcnt vmcnt(5)
	buffer_store_dword v4, v1, s[0:3], 0 offen offset:8
	s_waitcnt vmcnt(4)
	buffer_store_dword v5, v1, s[0:3], 0 offen offset:12
	s_waitcnt vmcnt(3)
	buffer_store_dword v6, v0, s[0:3], 0 offen offset:12
	s_waitcnt vmcnt(2)
	buffer_store_dword v7, v0, s[0:3], 0 offen offset:8
	s_waitcnt vmcnt(1)
	buffer_store_dword v8, v0, s[0:3], 0 offen offset:4
	s_waitcnt vmcnt(0)
	buffer_store_dword v117, v0, s[0:3], 0 offen
.LBB117_396:
	v_mov_b32_e32 v0, 0
	global_load_dword v1, v0, s[12:13] offset:92
	s_waitcnt vmcnt(0)
	v_add_nc_u32_e32 v1, -1, v1
	v_cmp_eq_u32_e32 vcc_lo, 23, v1
	s_cbranch_vccnz .LBB117_398
; %bb.397:
	v_lshlrev_b32_e32 v1, 4, v1
	v_mov_b32_e32 v2, s43
	v_add_nc_u32_e32 v1, 16, v1
	s_clause 0x7
	buffer_load_dword v3, v1, s[0:3], 0 offen
	buffer_load_dword v4, v1, s[0:3], 0 offen offset:4
	buffer_load_dword v5, v1, s[0:3], 0 offen offset:8
	;; [unrolled: 1-line block ×6, first 2 shown]
	buffer_load_dword v118, v2, s[0:3], 0 offen
	s_waitcnt vmcnt(7)
	buffer_store_dword v3, v2, s[0:3], 0 offen
	s_waitcnt vmcnt(6)
	buffer_store_dword v4, v2, s[0:3], 0 offen offset:4
	s_waitcnt vmcnt(5)
	buffer_store_dword v5, v2, s[0:3], 0 offen offset:8
	;; [unrolled: 2-line block ×6, first 2 shown]
	s_waitcnt vmcnt(0)
	buffer_store_dword v118, v1, s[0:3], 0 offen
.LBB117_398:
	global_load_dword v0, v0, s[12:13] offset:88
	s_waitcnt vmcnt(0)
	v_add_nc_u32_e32 v0, -1, v0
	v_cmp_eq_u32_e32 vcc_lo, 22, v0
	s_cbranch_vccnz .LBB117_400
; %bb.399:
	v_lshlrev_b32_e32 v0, 4, v0
	v_mov_b32_e32 v1, s44
	v_add_nc_u32_e32 v0, 16, v0
	s_clause 0x7
	buffer_load_dword v2, v0, s[0:3], 0 offen
	buffer_load_dword v3, v0, s[0:3], 0 offen offset:4
	buffer_load_dword v4, v0, s[0:3], 0 offen offset:8
	;; [unrolled: 1-line block ×6, first 2 shown]
	buffer_load_dword v117, v1, s[0:3], 0 offen
	s_waitcnt vmcnt(7)
	buffer_store_dword v2, v1, s[0:3], 0 offen
	s_waitcnt vmcnt(6)
	buffer_store_dword v3, v1, s[0:3], 0 offen offset:4
	s_waitcnt vmcnt(5)
	buffer_store_dword v4, v1, s[0:3], 0 offen offset:8
	;; [unrolled: 2-line block ×6, first 2 shown]
	s_waitcnt vmcnt(0)
	buffer_store_dword v117, v0, s[0:3], 0 offen
.LBB117_400:
	v_mov_b32_e32 v0, 0
	global_load_dword v1, v0, s[12:13] offset:84
	s_waitcnt vmcnt(0)
	v_add_nc_u32_e32 v1, -1, v1
	v_cmp_eq_u32_e32 vcc_lo, 21, v1
	s_cbranch_vccnz .LBB117_402
; %bb.401:
	v_lshlrev_b32_e32 v1, 4, v1
	v_mov_b32_e32 v2, s45
	v_add_nc_u32_e32 v1, 16, v1
	s_clause 0x7
	buffer_load_dword v3, v1, s[0:3], 0 offen
	buffer_load_dword v4, v1, s[0:3], 0 offen offset:4
	buffer_load_dword v5, v1, s[0:3], 0 offen offset:8
	;; [unrolled: 1-line block ×6, first 2 shown]
	buffer_load_dword v118, v2, s[0:3], 0 offen
	s_waitcnt vmcnt(7)
	buffer_store_dword v3, v2, s[0:3], 0 offen
	s_waitcnt vmcnt(6)
	buffer_store_dword v4, v2, s[0:3], 0 offen offset:4
	s_waitcnt vmcnt(5)
	buffer_store_dword v5, v2, s[0:3], 0 offen offset:8
	;; [unrolled: 2-line block ×6, first 2 shown]
	s_waitcnt vmcnt(0)
	buffer_store_dword v118, v1, s[0:3], 0 offen
.LBB117_402:
	global_load_dword v0, v0, s[12:13] offset:80
	s_waitcnt vmcnt(0)
	v_add_nc_u32_e32 v0, -1, v0
	v_cmp_eq_u32_e32 vcc_lo, 20, v0
	s_cbranch_vccnz .LBB117_404
; %bb.403:
	v_lshlrev_b32_e32 v0, 4, v0
	v_mov_b32_e32 v1, s46
	v_add_nc_u32_e32 v0, 16, v0
	s_clause 0x7
	buffer_load_dword v2, v0, s[0:3], 0 offen
	buffer_load_dword v3, v0, s[0:3], 0 offen offset:4
	buffer_load_dword v4, v0, s[0:3], 0 offen offset:8
	;; [unrolled: 1-line block ×6, first 2 shown]
	buffer_load_dword v117, v1, s[0:3], 0 offen
	s_waitcnt vmcnt(7)
	buffer_store_dword v2, v1, s[0:3], 0 offen
	s_waitcnt vmcnt(6)
	buffer_store_dword v3, v1, s[0:3], 0 offen offset:4
	s_waitcnt vmcnt(5)
	buffer_store_dword v4, v1, s[0:3], 0 offen offset:8
	;; [unrolled: 2-line block ×6, first 2 shown]
	s_waitcnt vmcnt(0)
	buffer_store_dword v117, v0, s[0:3], 0 offen
.LBB117_404:
	v_mov_b32_e32 v0, 0
	global_load_dword v1, v0, s[12:13] offset:76
	s_waitcnt vmcnt(0)
	v_add_nc_u32_e32 v1, -1, v1
	v_cmp_eq_u32_e32 vcc_lo, 19, v1
	s_cbranch_vccnz .LBB117_406
; %bb.405:
	v_lshlrev_b32_e32 v1, 4, v1
	v_mov_b32_e32 v2, s47
	v_add_nc_u32_e32 v1, 16, v1
	s_clause 0x7
	buffer_load_dword v3, v1, s[0:3], 0 offen
	buffer_load_dword v4, v1, s[0:3], 0 offen offset:4
	buffer_load_dword v5, v1, s[0:3], 0 offen offset:8
	buffer_load_dword v6, v1, s[0:3], 0 offen offset:12
	buffer_load_dword v7, v2, s[0:3], 0 offen offset:12
	buffer_load_dword v8, v2, s[0:3], 0 offen offset:8
	buffer_load_dword v117, v2, s[0:3], 0 offen offset:4
	buffer_load_dword v118, v2, s[0:3], 0 offen
	s_waitcnt vmcnt(7)
	buffer_store_dword v3, v2, s[0:3], 0 offen
	s_waitcnt vmcnt(6)
	buffer_store_dword v4, v2, s[0:3], 0 offen offset:4
	s_waitcnt vmcnt(5)
	buffer_store_dword v5, v2, s[0:3], 0 offen offset:8
	;; [unrolled: 2-line block ×6, first 2 shown]
	s_waitcnt vmcnt(0)
	buffer_store_dword v118, v1, s[0:3], 0 offen
.LBB117_406:
	global_load_dword v0, v0, s[12:13] offset:72
	s_waitcnt vmcnt(0)
	v_add_nc_u32_e32 v0, -1, v0
	v_cmp_eq_u32_e32 vcc_lo, 18, v0
	s_cbranch_vccnz .LBB117_408
; %bb.407:
	v_lshlrev_b32_e32 v0, 4, v0
	v_mov_b32_e32 v1, s48
	v_add_nc_u32_e32 v0, 16, v0
	s_clause 0x7
	buffer_load_dword v2, v0, s[0:3], 0 offen
	buffer_load_dword v3, v0, s[0:3], 0 offen offset:4
	buffer_load_dword v4, v0, s[0:3], 0 offen offset:8
	;; [unrolled: 1-line block ×6, first 2 shown]
	buffer_load_dword v117, v1, s[0:3], 0 offen
	s_waitcnt vmcnt(7)
	buffer_store_dword v2, v1, s[0:3], 0 offen
	s_waitcnt vmcnt(6)
	buffer_store_dword v3, v1, s[0:3], 0 offen offset:4
	s_waitcnt vmcnt(5)
	buffer_store_dword v4, v1, s[0:3], 0 offen offset:8
	;; [unrolled: 2-line block ×6, first 2 shown]
	s_waitcnt vmcnt(0)
	buffer_store_dword v117, v0, s[0:3], 0 offen
.LBB117_408:
	v_mov_b32_e32 v0, 0
	global_load_dword v1, v0, s[12:13] offset:68
	s_waitcnt vmcnt(0)
	v_add_nc_u32_e32 v1, -1, v1
	v_cmp_eq_u32_e32 vcc_lo, 17, v1
	s_cbranch_vccnz .LBB117_410
; %bb.409:
	v_lshlrev_b32_e32 v1, 4, v1
	v_mov_b32_e32 v2, s49
	v_add_nc_u32_e32 v1, 16, v1
	s_clause 0x7
	buffer_load_dword v3, v1, s[0:3], 0 offen
	buffer_load_dword v4, v1, s[0:3], 0 offen offset:4
	buffer_load_dword v5, v1, s[0:3], 0 offen offset:8
	buffer_load_dword v6, v1, s[0:3], 0 offen offset:12
	buffer_load_dword v7, v2, s[0:3], 0 offen offset:12
	buffer_load_dword v8, v2, s[0:3], 0 offen offset:8
	buffer_load_dword v117, v2, s[0:3], 0 offen offset:4
	buffer_load_dword v118, v2, s[0:3], 0 offen
	s_waitcnt vmcnt(7)
	buffer_store_dword v3, v2, s[0:3], 0 offen
	s_waitcnt vmcnt(6)
	buffer_store_dword v4, v2, s[0:3], 0 offen offset:4
	s_waitcnt vmcnt(5)
	buffer_store_dword v5, v2, s[0:3], 0 offen offset:8
	;; [unrolled: 2-line block ×6, first 2 shown]
	s_waitcnt vmcnt(0)
	buffer_store_dword v118, v1, s[0:3], 0 offen
.LBB117_410:
	global_load_dword v0, v0, s[12:13] offset:64
	s_waitcnt vmcnt(0)
	v_add_nc_u32_e32 v0, -1, v0
	v_cmp_eq_u32_e32 vcc_lo, 16, v0
	s_cbranch_vccnz .LBB117_412
; %bb.411:
	v_lshlrev_b32_e32 v0, 4, v0
	v_mov_b32_e32 v1, s50
	v_add_nc_u32_e32 v0, 16, v0
	s_clause 0x7
	buffer_load_dword v2, v0, s[0:3], 0 offen
	buffer_load_dword v3, v0, s[0:3], 0 offen offset:4
	buffer_load_dword v4, v0, s[0:3], 0 offen offset:8
	;; [unrolled: 1-line block ×6, first 2 shown]
	buffer_load_dword v117, v1, s[0:3], 0 offen
	s_waitcnt vmcnt(7)
	buffer_store_dword v2, v1, s[0:3], 0 offen
	s_waitcnt vmcnt(6)
	buffer_store_dword v3, v1, s[0:3], 0 offen offset:4
	s_waitcnt vmcnt(5)
	buffer_store_dword v4, v1, s[0:3], 0 offen offset:8
	;; [unrolled: 2-line block ×6, first 2 shown]
	s_waitcnt vmcnt(0)
	buffer_store_dword v117, v0, s[0:3], 0 offen
.LBB117_412:
	v_mov_b32_e32 v0, 0
	global_load_dword v1, v0, s[12:13] offset:60
	s_waitcnt vmcnt(0)
	v_add_nc_u32_e32 v1, -1, v1
	v_cmp_eq_u32_e32 vcc_lo, 15, v1
	s_cbranch_vccnz .LBB117_414
; %bb.413:
	v_lshlrev_b32_e32 v1, 4, v1
	v_mov_b32_e32 v2, s51
	v_add_nc_u32_e32 v1, 16, v1
	s_clause 0x7
	buffer_load_dword v3, v1, s[0:3], 0 offen
	buffer_load_dword v4, v1, s[0:3], 0 offen offset:4
	buffer_load_dword v5, v1, s[0:3], 0 offen offset:8
	;; [unrolled: 1-line block ×6, first 2 shown]
	buffer_load_dword v118, v2, s[0:3], 0 offen
	s_waitcnt vmcnt(7)
	buffer_store_dword v3, v2, s[0:3], 0 offen
	s_waitcnt vmcnt(6)
	buffer_store_dword v4, v2, s[0:3], 0 offen offset:4
	s_waitcnt vmcnt(5)
	buffer_store_dword v5, v2, s[0:3], 0 offen offset:8
	;; [unrolled: 2-line block ×6, first 2 shown]
	s_waitcnt vmcnt(0)
	buffer_store_dword v118, v1, s[0:3], 0 offen
.LBB117_414:
	global_load_dword v0, v0, s[12:13] offset:56
	s_waitcnt vmcnt(0)
	v_add_nc_u32_e32 v0, -1, v0
	v_cmp_eq_u32_e32 vcc_lo, 14, v0
	s_cbranch_vccnz .LBB117_416
; %bb.415:
	v_lshlrev_b32_e32 v0, 4, v0
	v_mov_b32_e32 v1, s52
	v_add_nc_u32_e32 v0, 16, v0
	s_clause 0x7
	buffer_load_dword v2, v0, s[0:3], 0 offen
	buffer_load_dword v3, v0, s[0:3], 0 offen offset:4
	buffer_load_dword v4, v0, s[0:3], 0 offen offset:8
	;; [unrolled: 1-line block ×6, first 2 shown]
	buffer_load_dword v117, v1, s[0:3], 0 offen
	s_waitcnt vmcnt(7)
	buffer_store_dword v2, v1, s[0:3], 0 offen
	s_waitcnt vmcnt(6)
	buffer_store_dword v3, v1, s[0:3], 0 offen offset:4
	s_waitcnt vmcnt(5)
	buffer_store_dword v4, v1, s[0:3], 0 offen offset:8
	;; [unrolled: 2-line block ×6, first 2 shown]
	s_waitcnt vmcnt(0)
	buffer_store_dword v117, v0, s[0:3], 0 offen
.LBB117_416:
	v_mov_b32_e32 v0, 0
	global_load_dword v1, v0, s[12:13] offset:52
	s_waitcnt vmcnt(0)
	v_add_nc_u32_e32 v1, -1, v1
	v_cmp_eq_u32_e32 vcc_lo, 13, v1
	s_cbranch_vccnz .LBB117_418
; %bb.417:
	v_lshlrev_b32_e32 v1, 4, v1
	v_mov_b32_e32 v2, s53
	v_add_nc_u32_e32 v1, 16, v1
	s_clause 0x7
	buffer_load_dword v3, v1, s[0:3], 0 offen
	buffer_load_dword v4, v1, s[0:3], 0 offen offset:4
	buffer_load_dword v5, v1, s[0:3], 0 offen offset:8
	;; [unrolled: 1-line block ×6, first 2 shown]
	buffer_load_dword v118, v2, s[0:3], 0 offen
	s_waitcnt vmcnt(7)
	buffer_store_dword v3, v2, s[0:3], 0 offen
	s_waitcnt vmcnt(6)
	buffer_store_dword v4, v2, s[0:3], 0 offen offset:4
	s_waitcnt vmcnt(5)
	buffer_store_dword v5, v2, s[0:3], 0 offen offset:8
	;; [unrolled: 2-line block ×6, first 2 shown]
	s_waitcnt vmcnt(0)
	buffer_store_dword v118, v1, s[0:3], 0 offen
.LBB117_418:
	global_load_dword v0, v0, s[12:13] offset:48
	s_waitcnt vmcnt(0)
	v_add_nc_u32_e32 v0, -1, v0
	v_cmp_eq_u32_e32 vcc_lo, 12, v0
	s_cbranch_vccnz .LBB117_420
; %bb.419:
	v_lshlrev_b32_e32 v0, 4, v0
	v_mov_b32_e32 v1, s54
	v_add_nc_u32_e32 v0, 16, v0
	s_clause 0x7
	buffer_load_dword v2, v0, s[0:3], 0 offen
	buffer_load_dword v3, v0, s[0:3], 0 offen offset:4
	buffer_load_dword v4, v0, s[0:3], 0 offen offset:8
	;; [unrolled: 1-line block ×6, first 2 shown]
	buffer_load_dword v117, v1, s[0:3], 0 offen
	s_waitcnt vmcnt(7)
	buffer_store_dword v2, v1, s[0:3], 0 offen
	s_waitcnt vmcnt(6)
	buffer_store_dword v3, v1, s[0:3], 0 offen offset:4
	s_waitcnt vmcnt(5)
	buffer_store_dword v4, v1, s[0:3], 0 offen offset:8
	;; [unrolled: 2-line block ×6, first 2 shown]
	s_waitcnt vmcnt(0)
	buffer_store_dword v117, v0, s[0:3], 0 offen
.LBB117_420:
	v_mov_b32_e32 v0, 0
	global_load_dword v1, v0, s[12:13] offset:44
	s_waitcnt vmcnt(0)
	v_add_nc_u32_e32 v1, -1, v1
	v_cmp_eq_u32_e32 vcc_lo, 11, v1
	s_cbranch_vccnz .LBB117_422
; %bb.421:
	v_lshlrev_b32_e32 v1, 4, v1
	v_mov_b32_e32 v2, s55
	v_add_nc_u32_e32 v1, 16, v1
	s_clause 0x7
	buffer_load_dword v3, v1, s[0:3], 0 offen
	buffer_load_dword v4, v1, s[0:3], 0 offen offset:4
	buffer_load_dword v5, v1, s[0:3], 0 offen offset:8
	;; [unrolled: 1-line block ×6, first 2 shown]
	buffer_load_dword v118, v2, s[0:3], 0 offen
	s_waitcnt vmcnt(7)
	buffer_store_dword v3, v2, s[0:3], 0 offen
	s_waitcnt vmcnt(6)
	buffer_store_dword v4, v2, s[0:3], 0 offen offset:4
	s_waitcnt vmcnt(5)
	buffer_store_dword v5, v2, s[0:3], 0 offen offset:8
	;; [unrolled: 2-line block ×6, first 2 shown]
	s_waitcnt vmcnt(0)
	buffer_store_dword v118, v1, s[0:3], 0 offen
.LBB117_422:
	global_load_dword v0, v0, s[12:13] offset:40
	s_waitcnt vmcnt(0)
	v_add_nc_u32_e32 v0, -1, v0
	v_cmp_eq_u32_e32 vcc_lo, 10, v0
	s_cbranch_vccnz .LBB117_424
; %bb.423:
	v_lshlrev_b32_e32 v0, 4, v0
	v_mov_b32_e32 v1, s56
	v_add_nc_u32_e32 v0, 16, v0
	s_clause 0x7
	buffer_load_dword v2, v0, s[0:3], 0 offen
	buffer_load_dword v3, v0, s[0:3], 0 offen offset:4
	buffer_load_dword v4, v0, s[0:3], 0 offen offset:8
	buffer_load_dword v5, v0, s[0:3], 0 offen offset:12
	buffer_load_dword v6, v1, s[0:3], 0 offen offset:12
	buffer_load_dword v7, v1, s[0:3], 0 offen offset:8
	buffer_load_dword v8, v1, s[0:3], 0 offen offset:4
	buffer_load_dword v117, v1, s[0:3], 0 offen
	s_waitcnt vmcnt(7)
	buffer_store_dword v2, v1, s[0:3], 0 offen
	s_waitcnt vmcnt(6)
	buffer_store_dword v3, v1, s[0:3], 0 offen offset:4
	s_waitcnt vmcnt(5)
	buffer_store_dword v4, v1, s[0:3], 0 offen offset:8
	;; [unrolled: 2-line block ×6, first 2 shown]
	s_waitcnt vmcnt(0)
	buffer_store_dword v117, v0, s[0:3], 0 offen
.LBB117_424:
	v_mov_b32_e32 v0, 0
	global_load_dword v1, v0, s[12:13] offset:36
	s_waitcnt vmcnt(0)
	v_add_nc_u32_e32 v1, -1, v1
	v_cmp_eq_u32_e32 vcc_lo, 9, v1
	s_cbranch_vccnz .LBB117_426
; %bb.425:
	v_lshlrev_b32_e32 v1, 4, v1
	v_mov_b32_e32 v2, s57
	v_add_nc_u32_e32 v1, 16, v1
	s_clause 0x7
	buffer_load_dword v3, v1, s[0:3], 0 offen
	buffer_load_dword v4, v1, s[0:3], 0 offen offset:4
	buffer_load_dword v5, v1, s[0:3], 0 offen offset:8
	;; [unrolled: 1-line block ×6, first 2 shown]
	buffer_load_dword v118, v2, s[0:3], 0 offen
	s_waitcnt vmcnt(7)
	buffer_store_dword v3, v2, s[0:3], 0 offen
	s_waitcnt vmcnt(6)
	buffer_store_dword v4, v2, s[0:3], 0 offen offset:4
	s_waitcnt vmcnt(5)
	buffer_store_dword v5, v2, s[0:3], 0 offen offset:8
	;; [unrolled: 2-line block ×6, first 2 shown]
	s_waitcnt vmcnt(0)
	buffer_store_dword v118, v1, s[0:3], 0 offen
.LBB117_426:
	global_load_dword v0, v0, s[12:13] offset:32
	s_waitcnt vmcnt(0)
	v_add_nc_u32_e32 v0, -1, v0
	v_cmp_eq_u32_e32 vcc_lo, 8, v0
	s_cbranch_vccnz .LBB117_428
; %bb.427:
	v_lshlrev_b32_e32 v0, 4, v0
	v_mov_b32_e32 v1, s58
	v_add_nc_u32_e32 v0, 16, v0
	s_clause 0x7
	buffer_load_dword v2, v0, s[0:3], 0 offen
	buffer_load_dword v3, v0, s[0:3], 0 offen offset:4
	buffer_load_dword v4, v0, s[0:3], 0 offen offset:8
	;; [unrolled: 1-line block ×6, first 2 shown]
	buffer_load_dword v117, v1, s[0:3], 0 offen
	s_waitcnt vmcnt(7)
	buffer_store_dword v2, v1, s[0:3], 0 offen
	s_waitcnt vmcnt(6)
	buffer_store_dword v3, v1, s[0:3], 0 offen offset:4
	s_waitcnt vmcnt(5)
	buffer_store_dword v4, v1, s[0:3], 0 offen offset:8
	;; [unrolled: 2-line block ×6, first 2 shown]
	s_waitcnt vmcnt(0)
	buffer_store_dword v117, v0, s[0:3], 0 offen
.LBB117_428:
	v_mov_b32_e32 v0, 0
	global_load_dword v1, v0, s[12:13] offset:28
	s_waitcnt vmcnt(0)
	v_add_nc_u32_e32 v1, -1, v1
	v_cmp_eq_u32_e32 vcc_lo, 7, v1
	s_cbranch_vccnz .LBB117_430
; %bb.429:
	v_lshlrev_b32_e32 v1, 4, v1
	v_mov_b32_e32 v2, s59
	v_add_nc_u32_e32 v1, 16, v1
	s_clause 0x7
	buffer_load_dword v3, v1, s[0:3], 0 offen
	buffer_load_dword v4, v1, s[0:3], 0 offen offset:4
	buffer_load_dword v5, v1, s[0:3], 0 offen offset:8
	;; [unrolled: 1-line block ×6, first 2 shown]
	buffer_load_dword v118, v2, s[0:3], 0 offen
	s_waitcnt vmcnt(7)
	buffer_store_dword v3, v2, s[0:3], 0 offen
	s_waitcnt vmcnt(6)
	buffer_store_dword v4, v2, s[0:3], 0 offen offset:4
	s_waitcnt vmcnt(5)
	buffer_store_dword v5, v2, s[0:3], 0 offen offset:8
	;; [unrolled: 2-line block ×6, first 2 shown]
	s_waitcnt vmcnt(0)
	buffer_store_dword v118, v1, s[0:3], 0 offen
.LBB117_430:
	global_load_dword v0, v0, s[12:13] offset:24
	s_waitcnt vmcnt(0)
	v_add_nc_u32_e32 v0, -1, v0
	v_cmp_eq_u32_e32 vcc_lo, 6, v0
	s_cbranch_vccnz .LBB117_432
; %bb.431:
	v_lshlrev_b32_e32 v0, 4, v0
	v_mov_b32_e32 v1, s60
	v_add_nc_u32_e32 v0, 16, v0
	s_clause 0x7
	buffer_load_dword v2, v0, s[0:3], 0 offen
	buffer_load_dword v3, v0, s[0:3], 0 offen offset:4
	buffer_load_dword v4, v0, s[0:3], 0 offen offset:8
	;; [unrolled: 1-line block ×6, first 2 shown]
	buffer_load_dword v117, v1, s[0:3], 0 offen
	s_waitcnt vmcnt(7)
	buffer_store_dword v2, v1, s[0:3], 0 offen
	s_waitcnt vmcnt(6)
	buffer_store_dword v3, v1, s[0:3], 0 offen offset:4
	s_waitcnt vmcnt(5)
	buffer_store_dword v4, v1, s[0:3], 0 offen offset:8
	s_waitcnt vmcnt(4)
	buffer_store_dword v5, v1, s[0:3], 0 offen offset:12
	s_waitcnt vmcnt(3)
	buffer_store_dword v6, v0, s[0:3], 0 offen offset:12
	s_waitcnt vmcnt(2)
	buffer_store_dword v7, v0, s[0:3], 0 offen offset:8
	s_waitcnt vmcnt(1)
	buffer_store_dword v8, v0, s[0:3], 0 offen offset:4
	s_waitcnt vmcnt(0)
	buffer_store_dword v117, v0, s[0:3], 0 offen
.LBB117_432:
	v_mov_b32_e32 v0, 0
	global_load_dword v1, v0, s[12:13] offset:20
	s_waitcnt vmcnt(0)
	v_add_nc_u32_e32 v1, -1, v1
	v_cmp_eq_u32_e32 vcc_lo, 5, v1
	s_cbranch_vccnz .LBB117_434
; %bb.433:
	v_lshlrev_b32_e32 v1, 4, v1
	v_mov_b32_e32 v2, s61
	v_add_nc_u32_e32 v1, 16, v1
	s_clause 0x7
	buffer_load_dword v3, v1, s[0:3], 0 offen
	buffer_load_dword v4, v1, s[0:3], 0 offen offset:4
	buffer_load_dword v5, v1, s[0:3], 0 offen offset:8
	;; [unrolled: 1-line block ×6, first 2 shown]
	buffer_load_dword v118, v2, s[0:3], 0 offen
	s_waitcnt vmcnt(7)
	buffer_store_dword v3, v2, s[0:3], 0 offen
	s_waitcnt vmcnt(6)
	buffer_store_dword v4, v2, s[0:3], 0 offen offset:4
	s_waitcnt vmcnt(5)
	buffer_store_dword v5, v2, s[0:3], 0 offen offset:8
	;; [unrolled: 2-line block ×6, first 2 shown]
	s_waitcnt vmcnt(0)
	buffer_store_dword v118, v1, s[0:3], 0 offen
.LBB117_434:
	global_load_dword v0, v0, s[12:13] offset:16
	s_waitcnt vmcnt(0)
	v_add_nc_u32_e32 v0, -1, v0
	v_cmp_eq_u32_e32 vcc_lo, 4, v0
	s_cbranch_vccnz .LBB117_436
; %bb.435:
	v_lshlrev_b32_e32 v0, 4, v0
	v_mov_b32_e32 v1, s62
	v_add_nc_u32_e32 v0, 16, v0
	s_clause 0x7
	buffer_load_dword v2, v0, s[0:3], 0 offen
	buffer_load_dword v3, v0, s[0:3], 0 offen offset:4
	buffer_load_dword v4, v0, s[0:3], 0 offen offset:8
	;; [unrolled: 1-line block ×6, first 2 shown]
	buffer_load_dword v117, v1, s[0:3], 0 offen
	s_waitcnt vmcnt(7)
	buffer_store_dword v2, v1, s[0:3], 0 offen
	s_waitcnt vmcnt(6)
	buffer_store_dword v3, v1, s[0:3], 0 offen offset:4
	s_waitcnt vmcnt(5)
	buffer_store_dword v4, v1, s[0:3], 0 offen offset:8
	s_waitcnt vmcnt(4)
	buffer_store_dword v5, v1, s[0:3], 0 offen offset:12
	s_waitcnt vmcnt(3)
	buffer_store_dword v6, v0, s[0:3], 0 offen offset:12
	s_waitcnt vmcnt(2)
	buffer_store_dword v7, v0, s[0:3], 0 offen offset:8
	s_waitcnt vmcnt(1)
	buffer_store_dword v8, v0, s[0:3], 0 offen offset:4
	s_waitcnt vmcnt(0)
	buffer_store_dword v117, v0, s[0:3], 0 offen
.LBB117_436:
	v_mov_b32_e32 v0, 0
	global_load_dword v1, v0, s[12:13] offset:12
	s_waitcnt vmcnt(0)
	v_add_nc_u32_e32 v1, -1, v1
	v_cmp_eq_u32_e32 vcc_lo, 3, v1
	s_cbranch_vccnz .LBB117_438
; %bb.437:
	v_lshlrev_b32_e32 v1, 4, v1
	v_mov_b32_e32 v2, s63
	v_add_nc_u32_e32 v1, 16, v1
	s_clause 0x7
	buffer_load_dword v3, v1, s[0:3], 0 offen
	buffer_load_dword v4, v1, s[0:3], 0 offen offset:4
	buffer_load_dword v5, v1, s[0:3], 0 offen offset:8
	;; [unrolled: 1-line block ×6, first 2 shown]
	buffer_load_dword v118, v2, s[0:3], 0 offen
	s_waitcnt vmcnt(7)
	buffer_store_dword v3, v2, s[0:3], 0 offen
	s_waitcnt vmcnt(6)
	buffer_store_dword v4, v2, s[0:3], 0 offen offset:4
	s_waitcnt vmcnt(5)
	buffer_store_dword v5, v2, s[0:3], 0 offen offset:8
	;; [unrolled: 2-line block ×6, first 2 shown]
	s_waitcnt vmcnt(0)
	buffer_store_dword v118, v1, s[0:3], 0 offen
.LBB117_438:
	global_load_dword v0, v0, s[12:13] offset:8
	s_waitcnt vmcnt(0)
	v_add_nc_u32_e32 v0, -1, v0
	v_cmp_eq_u32_e32 vcc_lo, 2, v0
	s_cbranch_vccnz .LBB117_440
; %bb.439:
	v_lshlrev_b32_e32 v0, 4, v0
	v_mov_b32_e32 v1, s64
	v_add_nc_u32_e32 v0, 16, v0
	s_clause 0x7
	buffer_load_dword v2, v0, s[0:3], 0 offen
	buffer_load_dword v3, v0, s[0:3], 0 offen offset:4
	buffer_load_dword v4, v0, s[0:3], 0 offen offset:8
	;; [unrolled: 1-line block ×6, first 2 shown]
	buffer_load_dword v117, v1, s[0:3], 0 offen
	s_waitcnt vmcnt(7)
	buffer_store_dword v2, v1, s[0:3], 0 offen
	s_waitcnt vmcnt(6)
	buffer_store_dword v3, v1, s[0:3], 0 offen offset:4
	s_waitcnt vmcnt(5)
	buffer_store_dword v4, v1, s[0:3], 0 offen offset:8
	;; [unrolled: 2-line block ×6, first 2 shown]
	s_waitcnt vmcnt(0)
	buffer_store_dword v117, v0, s[0:3], 0 offen
.LBB117_440:
	v_mov_b32_e32 v0, 0
	global_load_dword v1, v0, s[12:13] offset:4
	s_waitcnt vmcnt(0)
	v_add_nc_u32_e32 v1, -1, v1
	v_cmp_eq_u32_e32 vcc_lo, 1, v1
	s_cbranch_vccnz .LBB117_442
; %bb.441:
	v_lshlrev_b32_e32 v1, 4, v1
	v_mov_b32_e32 v2, s65
	v_add_nc_u32_e32 v1, 16, v1
	s_clause 0x7
	buffer_load_dword v3, v1, s[0:3], 0 offen
	buffer_load_dword v4, v1, s[0:3], 0 offen offset:4
	buffer_load_dword v5, v1, s[0:3], 0 offen offset:8
	;; [unrolled: 1-line block ×6, first 2 shown]
	buffer_load_dword v118, v2, s[0:3], 0 offen
	s_waitcnt vmcnt(7)
	buffer_store_dword v3, v2, s[0:3], 0 offen
	s_waitcnt vmcnt(6)
	buffer_store_dword v4, v2, s[0:3], 0 offen offset:4
	s_waitcnt vmcnt(5)
	buffer_store_dword v5, v2, s[0:3], 0 offen offset:8
	;; [unrolled: 2-line block ×6, first 2 shown]
	s_waitcnt vmcnt(0)
	buffer_store_dword v118, v1, s[0:3], 0 offen
.LBB117_442:
	global_load_dword v0, v0, s[12:13]
	s_waitcnt vmcnt(0)
	v_add_nc_u32_e32 v0, -1, v0
	v_cmp_eq_u32_e32 vcc_lo, 0, v0
	s_cbranch_vccnz .LBB117_444
; %bb.443:
	v_lshlrev_b32_e32 v0, 4, v0
	v_add_nc_u32_e32 v0, 16, v0
	s_clause 0x7
	buffer_load_dword v1, v0, s[0:3], 0 offen
	buffer_load_dword v2, v0, s[0:3], 0 offen offset:4
	buffer_load_dword v3, v0, s[0:3], 0 offen offset:8
	;; [unrolled: 1-line block ×3, first 2 shown]
	buffer_load_dword v5, off, s[0:3], 0 offset:28
	buffer_load_dword v6, off, s[0:3], 0 offset:24
	;; [unrolled: 1-line block ×4, first 2 shown]
	s_waitcnt vmcnt(7)
	buffer_store_dword v1, off, s[0:3], 0 offset:16
	s_waitcnt vmcnt(6)
	buffer_store_dword v2, off, s[0:3], 0 offset:20
	;; [unrolled: 2-line block ×4, first 2 shown]
	s_waitcnt vmcnt(3)
	buffer_store_dword v5, v0, s[0:3], 0 offen offset:12
	s_waitcnt vmcnt(2)
	buffer_store_dword v6, v0, s[0:3], 0 offen offset:8
	;; [unrolled: 2-line block ×3, first 2 shown]
	s_waitcnt vmcnt(0)
	buffer_store_dword v8, v0, s[0:3], 0 offen
.LBB117_444:
	s_clause 0x3
	buffer_load_dword v0, off, s[0:3], 0 offset:16
	buffer_load_dword v1, off, s[0:3], 0 offset:20
	;; [unrolled: 1-line block ×4, first 2 shown]
	v_mov_b32_e32 v4, s65
	s_waitcnt vmcnt(0)
	flat_store_dwordx4 v[9:10], v[0:3]
	s_clause 0x3
	buffer_load_dword v0, v4, s[0:3], 0 offen
	buffer_load_dword v1, v4, s[0:3], 0 offen offset:4
	buffer_load_dword v2, v4, s[0:3], 0 offen offset:8
	buffer_load_dword v3, v4, s[0:3], 0 offen offset:12
	v_mov_b32_e32 v4, s64
	s_waitcnt vmcnt(0)
	flat_store_dwordx4 v[63:64], v[0:3]
	s_clause 0x3
	buffer_load_dword v0, v4, s[0:3], 0 offen
	buffer_load_dword v1, v4, s[0:3], 0 offen offset:4
	buffer_load_dword v2, v4, s[0:3], 0 offen offset:8
	buffer_load_dword v3, v4, s[0:3], 0 offen offset:12
	;; [unrolled: 8-line block ×53, first 2 shown]
	s_waitcnt vmcnt(0)
	flat_store_dwordx4 v[115:116], v[0:3]
	s_endpgm
	.section	.rodata,"a",@progbits
	.p2align	6, 0x0
	.amdhsa_kernel _ZN9rocsolver6v33100L18getri_kernel_smallILi54E19rocblas_complex_numIdEPKPS3_EEvT1_iilPiilS8_bb
		.amdhsa_group_segment_fixed_size 1736
		.amdhsa_private_segment_fixed_size 896
		.amdhsa_kernarg_size 60
		.amdhsa_user_sgpr_count 6
		.amdhsa_user_sgpr_private_segment_buffer 1
		.amdhsa_user_sgpr_dispatch_ptr 0
		.amdhsa_user_sgpr_queue_ptr 0
		.amdhsa_user_sgpr_kernarg_segment_ptr 1
		.amdhsa_user_sgpr_dispatch_id 0
		.amdhsa_user_sgpr_flat_scratch_init 0
		.amdhsa_user_sgpr_private_segment_size 0
		.amdhsa_wavefront_size32 1
		.amdhsa_uses_dynamic_stack 0
		.amdhsa_system_sgpr_private_segment_wavefront_offset 1
		.amdhsa_system_sgpr_workgroup_id_x 1
		.amdhsa_system_sgpr_workgroup_id_y 0
		.amdhsa_system_sgpr_workgroup_id_z 0
		.amdhsa_system_sgpr_workgroup_info 0
		.amdhsa_system_vgpr_workitem_id 0
		.amdhsa_next_free_vgpr 203
		.amdhsa_next_free_sgpr 92
		.amdhsa_reserve_vcc 1
		.amdhsa_reserve_flat_scratch 0
		.amdhsa_float_round_mode_32 0
		.amdhsa_float_round_mode_16_64 0
		.amdhsa_float_denorm_mode_32 3
		.amdhsa_float_denorm_mode_16_64 3
		.amdhsa_dx10_clamp 1
		.amdhsa_ieee_mode 1
		.amdhsa_fp16_overflow 0
		.amdhsa_workgroup_processor_mode 1
		.amdhsa_memory_ordered 1
		.amdhsa_forward_progress 1
		.amdhsa_shared_vgpr_count 0
		.amdhsa_exception_fp_ieee_invalid_op 0
		.amdhsa_exception_fp_denorm_src 0
		.amdhsa_exception_fp_ieee_div_zero 0
		.amdhsa_exception_fp_ieee_overflow 0
		.amdhsa_exception_fp_ieee_underflow 0
		.amdhsa_exception_fp_ieee_inexact 0
		.amdhsa_exception_int_div_zero 0
	.end_amdhsa_kernel
	.section	.text._ZN9rocsolver6v33100L18getri_kernel_smallILi54E19rocblas_complex_numIdEPKPS3_EEvT1_iilPiilS8_bb,"axG",@progbits,_ZN9rocsolver6v33100L18getri_kernel_smallILi54E19rocblas_complex_numIdEPKPS3_EEvT1_iilPiilS8_bb,comdat
.Lfunc_end117:
	.size	_ZN9rocsolver6v33100L18getri_kernel_smallILi54E19rocblas_complex_numIdEPKPS3_EEvT1_iilPiilS8_bb, .Lfunc_end117-_ZN9rocsolver6v33100L18getri_kernel_smallILi54E19rocblas_complex_numIdEPKPS3_EEvT1_iilPiilS8_bb
                                        ; -- End function
	.set _ZN9rocsolver6v33100L18getri_kernel_smallILi54E19rocblas_complex_numIdEPKPS3_EEvT1_iilPiilS8_bb.num_vgpr, 203
	.set _ZN9rocsolver6v33100L18getri_kernel_smallILi54E19rocblas_complex_numIdEPKPS3_EEvT1_iilPiilS8_bb.num_agpr, 0
	.set _ZN9rocsolver6v33100L18getri_kernel_smallILi54E19rocblas_complex_numIdEPKPS3_EEvT1_iilPiilS8_bb.numbered_sgpr, 92
	.set _ZN9rocsolver6v33100L18getri_kernel_smallILi54E19rocblas_complex_numIdEPKPS3_EEvT1_iilPiilS8_bb.num_named_barrier, 0
	.set _ZN9rocsolver6v33100L18getri_kernel_smallILi54E19rocblas_complex_numIdEPKPS3_EEvT1_iilPiilS8_bb.private_seg_size, 896
	.set _ZN9rocsolver6v33100L18getri_kernel_smallILi54E19rocblas_complex_numIdEPKPS3_EEvT1_iilPiilS8_bb.uses_vcc, 1
	.set _ZN9rocsolver6v33100L18getri_kernel_smallILi54E19rocblas_complex_numIdEPKPS3_EEvT1_iilPiilS8_bb.uses_flat_scratch, 0
	.set _ZN9rocsolver6v33100L18getri_kernel_smallILi54E19rocblas_complex_numIdEPKPS3_EEvT1_iilPiilS8_bb.has_dyn_sized_stack, 0
	.set _ZN9rocsolver6v33100L18getri_kernel_smallILi54E19rocblas_complex_numIdEPKPS3_EEvT1_iilPiilS8_bb.has_recursion, 0
	.set _ZN9rocsolver6v33100L18getri_kernel_smallILi54E19rocblas_complex_numIdEPKPS3_EEvT1_iilPiilS8_bb.has_indirect_call, 0
	.section	.AMDGPU.csdata,"",@progbits
; Kernel info:
; codeLenInByte = 191452
; TotalNumSgprs: 94
; NumVgprs: 203
; ScratchSize: 896
; MemoryBound: 0
; FloatMode: 240
; IeeeMode: 1
; LDSByteSize: 1736 bytes/workgroup (compile time only)
; SGPRBlocks: 0
; VGPRBlocks: 25
; NumSGPRsForWavesPerEU: 94
; NumVGPRsForWavesPerEU: 203
; Occupancy: 4
; WaveLimiterHint : 1
; COMPUTE_PGM_RSRC2:SCRATCH_EN: 1
; COMPUTE_PGM_RSRC2:USER_SGPR: 6
; COMPUTE_PGM_RSRC2:TRAP_HANDLER: 0
; COMPUTE_PGM_RSRC2:TGID_X_EN: 1
; COMPUTE_PGM_RSRC2:TGID_Y_EN: 0
; COMPUTE_PGM_RSRC2:TGID_Z_EN: 0
; COMPUTE_PGM_RSRC2:TIDIG_COMP_CNT: 0
	.section	.text._ZN9rocsolver6v33100L18getri_kernel_smallILi55E19rocblas_complex_numIdEPKPS3_EEvT1_iilPiilS8_bb,"axG",@progbits,_ZN9rocsolver6v33100L18getri_kernel_smallILi55E19rocblas_complex_numIdEPKPS3_EEvT1_iilPiilS8_bb,comdat
	.globl	_ZN9rocsolver6v33100L18getri_kernel_smallILi55E19rocblas_complex_numIdEPKPS3_EEvT1_iilPiilS8_bb ; -- Begin function _ZN9rocsolver6v33100L18getri_kernel_smallILi55E19rocblas_complex_numIdEPKPS3_EEvT1_iilPiilS8_bb
	.p2align	8
	.type	_ZN9rocsolver6v33100L18getri_kernel_smallILi55E19rocblas_complex_numIdEPKPS3_EEvT1_iilPiilS8_bb,@function
_ZN9rocsolver6v33100L18getri_kernel_smallILi55E19rocblas_complex_numIdEPKPS3_EEvT1_iilPiilS8_bb: ; @_ZN9rocsolver6v33100L18getri_kernel_smallILi55E19rocblas_complex_numIdEPKPS3_EEvT1_iilPiilS8_bb
; %bb.0:
	s_add_u32 s0, s0, s7
	s_addc_u32 s1, s1, 0
	s_mov_b32 s7, exec_lo
	v_cmpx_gt_u32_e32 55, v0
	s_cbranch_execz .LBB118_234
; %bb.1:
	s_clause 0x2
	s_load_dword s16, s[4:5], 0x38
	s_load_dwordx2 s[12:13], s[4:5], 0x0
	s_load_dwordx4 s[8:11], s[4:5], 0x28
	s_waitcnt lgkmcnt(0)
	s_bitcmp1_b32 s16, 8
	s_cselect_b32 s67, -1, 0
	s_ashr_i32 s7, s6, 31
	s_lshl_b64 s[14:15], s[6:7], 3
	s_add_u32 s12, s12, s14
	s_addc_u32 s13, s13, s15
	s_load_dwordx2 s[14:15], s[12:13], 0x0
	s_bfe_u32 s12, s16, 0x10008
	s_cmp_eq_u32 s12, 0
                                        ; implicit-def: $sgpr12_sgpr13
	s_cbranch_scc1 .LBB118_3
; %bb.2:
	s_clause 0x1
	s_load_dword s12, s[4:5], 0x20
	s_load_dwordx2 s[16:17], s[4:5], 0x18
	s_mul_i32 s13, s8, s7
	s_mul_hi_u32 s18, s8, s6
	s_mul_i32 s9, s9, s6
	s_add_i32 s13, s18, s13
	s_mul_i32 s8, s8, s6
	s_add_i32 s9, s13, s9
	s_lshl_b64 s[8:9], s[8:9], 2
	s_waitcnt lgkmcnt(0)
	s_ashr_i32 s13, s12, 31
	s_add_u32 s16, s16, s8
	s_addc_u32 s17, s17, s9
	s_lshl_b64 s[8:9], s[12:13], 2
	s_add_u32 s12, s16, s8
	s_addc_u32 s13, s17, s9
.LBB118_3:
	s_clause 0x1
	s_load_dwordx2 s[8:9], s[4:5], 0x8
	s_load_dword s68, s[4:5], 0x38
	v_lshlrev_b32_e32 v121, 4, v0
	s_movk_i32 s16, 0xa0
	s_movk_i32 s17, 0xb0
	;; [unrolled: 1-line block ×17, first 2 shown]
	s_waitcnt lgkmcnt(0)
	s_ashr_i32 s5, s8, 31
	s_mov_b32 s4, s8
	v_add3_u32 v5, s9, s9, v0
	s_lshl_b64 s[4:5], s[4:5], 4
	s_movk_i32 s34, 0x1b0
	s_add_u32 s8, s14, s4
	s_addc_u32 s14, s15, s5
	v_add_co_u32 v9, s4, s8, v121
	v_add_co_ci_u32_e64 v10, null, s14, 0, s4
	s_mov_b32 s4, s9
	s_ashr_i32 s5, s9, 31
	v_ashrrev_i32_e32 v6, 31, v5
	flat_load_dwordx4 v[1:4], v[9:10]
	s_lshl_b64 s[4:5], s[4:5], 4
	s_movk_i32 s15, 0x90
	v_add_co_u32 v63, vcc_lo, v9, s4
	v_add_co_ci_u32_e64 v64, null, s5, v10, vcc_lo
	v_lshlrev_b64 v[6:7], 4, v[5:6]
	v_add_nc_u32_e32 v5, s9, v5
	s_movk_i32 s4, 0x50
	s_movk_i32 s35, 0x1c0
	s_movk_i32 s36, 0x1d0
	s_movk_i32 s37, 0x1e0
	v_add_co_u32 v61, vcc_lo, s8, v6
	v_add_co_ci_u32_e64 v62, null, s14, v7, vcc_lo
	v_ashrrev_i32_e32 v6, 31, v5
	s_movk_i32 s69, 0x1f0
	s_movk_i32 s70, 0x200
	s_movk_i32 s71, 0x210
	s_movk_i32 s72, 0x220
	v_lshlrev_b64 v[6:7], 4, v[5:6]
	v_add_nc_u32_e32 v5, s9, v5
	s_movk_i32 s73, 0x230
	s_movk_i32 s74, 0x240
	s_movk_i32 s75, 0x250
	s_movk_i32 s76, 0x260
	v_add_co_u32 v57, vcc_lo, s8, v6
	v_add_co_ci_u32_e64 v58, null, s14, v7, vcc_lo
	v_ashrrev_i32_e32 v6, 31, v5
	s_movk_i32 s77, 0x270
	s_movk_i32 s78, 0x280
	s_movk_i32 s79, 0x290
	s_movk_i32 s80, 0x2a0
	;; [unrolled: 13-line block ×3, first 2 shown]
	v_lshlrev_b64 v[6:7], 4, v[5:6]
	v_add_nc_u32_e32 v5, s9, v5
	s_movk_i32 s89, 0x330
	s_movk_i32 s90, 0x340
	;; [unrolled: 1-line block ×4, first 2 shown]
	v_add_co_u32 v53, vcc_lo, s8, v6
	v_add_co_ci_u32_e64 v54, null, s14, v7, vcc_lo
	v_ashrrev_i32_e32 v6, 31, v5
	s_add_i32 s62, s4, 16
	s_add_i32 s58, s15, 16
	s_add_i32 s57, s16, 16
	s_add_i32 s56, s17, 16
	v_lshlrev_b64 v[6:7], 4, v[5:6]
	v_add_nc_u32_e32 v5, s9, v5
	s_add_i32 s55, s18, 16
	s_add_i32 s54, s19, 16
	s_add_i32 s53, s20, 16
	s_add_i32 s52, s21, 16
	v_add_co_u32 v51, vcc_lo, s8, v6
	v_add_co_ci_u32_e64 v52, null, s14, v7, vcc_lo
	v_ashrrev_i32_e32 v6, 31, v5
	s_add_i32 s51, s22, 16
	s_add_i32 s50, s23, 16
	s_add_i32 s49, s24, 16
	s_add_i32 s48, s25, 16
	v_lshlrev_b64 v[6:7], 4, v[5:6]
	v_add_nc_u32_e32 v5, s9, v5
	s_add_i32 s47, s26, 16
	s_add_i32 s46, s27, 16
	s_add_i32 s45, s28, 16
	s_add_i32 s44, s29, 16
	;; [unrolled: 13-line block ×5, first 2 shown]
	v_add_co_u32 v43, vcc_lo, s8, v6
	v_add_co_ci_u32_e64 v44, null, s14, v7, vcc_lo
	v_ashrrev_i32_e32 v6, 31, v5
	s_add_i32 s18, s86, 16
	s_add_i32 s17, s87, 16
	;; [unrolled: 1-line block ×4, first 2 shown]
	v_lshlrev_b64 v[6:7], 4, v[5:6]
	v_add_nc_u32_e32 v5, s9, v5
	s_mov_b32 s5, -1
	s_mov_b32 s66, 32
	s_mov_b32 s65, 48
	;; [unrolled: 1-line block ×3, first 2 shown]
	v_add_co_u32 v41, vcc_lo, s8, v6
	v_add_co_ci_u32_e64 v42, null, s14, v7, vcc_lo
	v_ashrrev_i32_e32 v6, 31, v5
	s_movk_i32 s63, 0x50
	s_waitcnt vmcnt(0) lgkmcnt(0)
	buffer_store_dword v4, off, s[0:3], 0 offset:28
	buffer_store_dword v3, off, s[0:3], 0 offset:24
	buffer_store_dword v2, off, s[0:3], 0 offset:20
	buffer_store_dword v1, off, s[0:3], 0 offset:16
	flat_load_dwordx4 v[1:4], v[63:64]
	v_lshlrev_b64 v[6:7], 4, v[5:6]
	v_add_nc_u32_e32 v5, s9, v5
	s_waitcnt vmcnt(0) lgkmcnt(0)
	buffer_store_dword v4, off, s[0:3], 0 offset:44
	buffer_store_dword v3, off, s[0:3], 0 offset:40
	buffer_store_dword v2, off, s[0:3], 0 offset:36
	buffer_store_dword v1, off, s[0:3], 0 offset:32
	flat_load_dwordx4 v[1:4], v[61:62]
	v_add_co_u32 v37, vcc_lo, s8, v6
	v_add_co_ci_u32_e64 v38, null, s14, v7, vcc_lo
	v_ashrrev_i32_e32 v6, 31, v5
	s_waitcnt vmcnt(0) lgkmcnt(0)
	buffer_store_dword v4, off, s[0:3], 0 offset:60
	buffer_store_dword v3, off, s[0:3], 0 offset:56
	buffer_store_dword v2, off, s[0:3], 0 offset:52
	buffer_store_dword v1, off, s[0:3], 0 offset:48
	flat_load_dwordx4 v[1:4], v[57:58]
	v_lshlrev_b64 v[6:7], 4, v[5:6]
	v_add_nc_u32_e32 v5, s9, v5
	s_waitcnt vmcnt(0) lgkmcnt(0)
	buffer_store_dword v4, off, s[0:3], 0 offset:76
	buffer_store_dword v3, off, s[0:3], 0 offset:72
	buffer_store_dword v2, off, s[0:3], 0 offset:68
	buffer_store_dword v1, off, s[0:3], 0 offset:64
	flat_load_dwordx4 v[1:4], v[55:56]
	v_add_co_u32 v35, vcc_lo, s8, v6
	v_add_co_ci_u32_e64 v36, null, s14, v7, vcc_lo
	v_ashrrev_i32_e32 v6, 31, v5
	;; [unrolled: 17-line block ×10, first 2 shown]
	s_waitcnt vmcnt(0) lgkmcnt(0)
	buffer_store_dword v4, off, s[0:3], 0 offset:348
	buffer_store_dword v3, off, s[0:3], 0 offset:344
	;; [unrolled: 1-line block ×4, first 2 shown]
	flat_load_dwordx4 v[1:4], v[19:20]
	v_lshlrev_b64 v[6:7], 4, v[5:6]
	v_add_nc_u32_e32 v5, s9, v5
	s_waitcnt vmcnt(0) lgkmcnt(0)
	buffer_store_dword v4, off, s[0:3], 0 offset:364
	buffer_store_dword v3, off, s[0:3], 0 offset:360
	;; [unrolled: 1-line block ×4, first 2 shown]
	v_add_co_u32 v17, vcc_lo, s8, v6
	v_add_co_ci_u32_e64 v18, null, s14, v7, vcc_lo
	v_ashrrev_i32_e32 v6, 31, v5
	flat_load_dwordx4 v[1:4], v[17:18]
	s_waitcnt vmcnt(0) lgkmcnt(0)
	buffer_store_dword v4, off, s[0:3], 0 offset:380
	buffer_store_dword v3, off, s[0:3], 0 offset:376
	buffer_store_dword v2, off, s[0:3], 0 offset:372
	buffer_store_dword v1, off, s[0:3], 0 offset:368
	v_lshlrev_b64 v[6:7], 4, v[5:6]
	v_add_nc_u32_e32 v5, s9, v5
	v_add_co_u32 v15, vcc_lo, s8, v6
	v_add_co_ci_u32_e64 v16, null, s14, v7, vcc_lo
	v_ashrrev_i32_e32 v6, 31, v5
	flat_load_dwordx4 v[1:4], v[15:16]
	s_waitcnt vmcnt(0) lgkmcnt(0)
	buffer_store_dword v4, off, s[0:3], 0 offset:396
	buffer_store_dword v3, off, s[0:3], 0 offset:392
	buffer_store_dword v2, off, s[0:3], 0 offset:388
	buffer_store_dword v1, off, s[0:3], 0 offset:384
	v_lshlrev_b64 v[6:7], 4, v[5:6]
	v_add_nc_u32_e32 v5, s9, v5
	;; [unrolled: 11-line block ×31, first 2 shown]
	s_movk_i32 s9, 0x70
	s_add_i32 s60, s9, 16
	s_add_i32 s9, s91, 16
	v_add_co_u32 v115, vcc_lo, s8, v6
	v_add_co_ci_u32_e64 v116, null, s14, v7, vcc_lo
	v_ashrrev_i32_e32 v6, 31, v5
	flat_load_dwordx4 v[1:4], v[115:116]
	s_waitcnt vmcnt(0) lgkmcnt(0)
	buffer_store_dword v4, off, s[0:3], 0 offset:876
	buffer_store_dword v3, off, s[0:3], 0 offset:872
	;; [unrolled: 1-line block ×4, first 2 shown]
	v_lshlrev_b64 v[5:6], 4, v[5:6]
	v_add_co_u32 v117, vcc_lo, s8, v5
	v_add_co_ci_u32_e64 v118, null, s14, v6, vcc_lo
	s_movk_i32 s8, 0x60
	s_movk_i32 s14, 0x80
	s_add_i32 s61, s8, 16
	flat_load_dwordx4 v[1:4], v[117:118]
	s_add_i32 s59, s14, 16
	s_add_i32 s14, s90, 16
	;; [unrolled: 1-line block ×3, first 2 shown]
	s_bitcmp0_b32 s68, 0
	s_waitcnt vmcnt(0) lgkmcnt(0)
	buffer_store_dword v4, off, s[0:3], 0 offset:892
	buffer_store_dword v3, off, s[0:3], 0 offset:888
	;; [unrolled: 1-line block ×4, first 2 shown]
	s_cbranch_scc1 .LBB118_232
; %bb.4:
	v_cmp_eq_u32_e64 s4, 0, v0
	s_and_saveexec_b32 s5, s4
; %bb.5:
	v_mov_b32_e32 v1, 0
	ds_write_b32 v1, v1 offset:1760
; %bb.6:
	s_or_b32 exec_lo, exec_lo, s5
	v_lshl_add_u32 v122, v0, 4, 16
	s_waitcnt lgkmcnt(0)
	s_waitcnt_vscnt null, 0x0
	s_barrier
	buffer_gl0_inv
	s_clause 0x3
	buffer_load_dword v1, v122, s[0:3], 0 offen
	buffer_load_dword v2, v122, s[0:3], 0 offen offset:4
	buffer_load_dword v3, v122, s[0:3], 0 offen offset:8
	;; [unrolled: 1-line block ×3, first 2 shown]
	s_waitcnt vmcnt(2)
	v_cmp_eq_f64_e32 vcc_lo, 0, v[1:2]
	s_waitcnt vmcnt(0)
	v_cmp_eq_f64_e64 s5, 0, v[3:4]
	s_and_b32 s5, vcc_lo, s5
	s_and_saveexec_b32 s68, s5
	s_cbranch_execz .LBB118_10
; %bb.7:
	v_mov_b32_e32 v1, 0
	s_mov_b32 s69, 0
	ds_read_b32 v2, v1 offset:1760
	s_waitcnt lgkmcnt(0)
	v_readfirstlane_b32 s5, v2
	v_add_nc_u32_e32 v2, 1, v0
	s_cmp_eq_u32 s5, 0
	v_cmp_gt_i32_e32 vcc_lo, s5, v2
	s_cselect_b32 s70, -1, 0
	s_or_b32 s70, s70, vcc_lo
	s_and_b32 exec_lo, exec_lo, s70
	s_cbranch_execz .LBB118_10
; %bb.8:
	v_mov_b32_e32 v3, s5
.LBB118_9:                              ; =>This Inner Loop Header: Depth=1
	ds_cmpst_rtn_b32 v3, v1, v3, v2 offset:1760
	s_waitcnt lgkmcnt(0)
	v_cmp_ne_u32_e32 vcc_lo, 0, v3
	v_cmp_le_i32_e64 s5, v3, v2
	s_and_b32 s5, vcc_lo, s5
	s_and_b32 s5, exec_lo, s5
	s_or_b32 s69, s5, s69
	s_andn2_b32 exec_lo, exec_lo, s69
	s_cbranch_execnz .LBB118_9
.LBB118_10:
	s_or_b32 exec_lo, exec_lo, s68
	v_mov_b32_e32 v1, 0
	s_barrier
	buffer_gl0_inv
	ds_read_b32 v2, v1 offset:1760
	s_and_saveexec_b32 s5, s4
	s_cbranch_execz .LBB118_12
; %bb.11:
	s_lshl_b64 s[68:69], s[6:7], 2
	s_add_u32 s68, s10, s68
	s_addc_u32 s69, s11, s69
	s_waitcnt lgkmcnt(0)
	global_store_dword v1, v2, s[68:69]
.LBB118_12:
	s_or_b32 exec_lo, exec_lo, s5
	s_waitcnt lgkmcnt(0)
	v_cmp_ne_u32_e32 vcc_lo, 0, v2
	s_mov_b32 s5, 0
	s_cbranch_vccnz .LBB118_232
; %bb.13:
	s_clause 0x3
	buffer_load_dword v7, v122, s[0:3], 0 offen
	buffer_load_dword v8, v122, s[0:3], 0 offen offset:4
	buffer_load_dword v119, v122, s[0:3], 0 offen offset:8
	;; [unrolled: 1-line block ×3, first 2 shown]
                                        ; implicit-def: $vgpr5_vgpr6
                                        ; implicit-def: $vgpr3_vgpr4
	s_waitcnt vmcnt(0)
	v_cmp_ngt_f64_e64 s5, |v[7:8]|, |v[119:120]|
	s_and_saveexec_b32 s68, s5
	s_xor_b32 s5, exec_lo, s68
	s_cbranch_execz .LBB118_15
; %bb.14:
	v_div_scale_f64 v[1:2], null, v[119:120], v[119:120], v[7:8]
	v_div_scale_f64 v[123:124], vcc_lo, v[7:8], v[119:120], v[7:8]
	v_rcp_f64_e32 v[3:4], v[1:2]
	v_fma_f64 v[5:6], -v[1:2], v[3:4], 1.0
	v_fma_f64 v[3:4], v[3:4], v[5:6], v[3:4]
	v_fma_f64 v[5:6], -v[1:2], v[3:4], 1.0
	v_fma_f64 v[3:4], v[3:4], v[5:6], v[3:4]
	v_mul_f64 v[5:6], v[123:124], v[3:4]
	v_fma_f64 v[1:2], -v[1:2], v[5:6], v[123:124]
	v_div_fmas_f64 v[1:2], v[1:2], v[3:4], v[5:6]
	v_div_fixup_f64 v[1:2], v[1:2], v[119:120], v[7:8]
	v_fma_f64 v[3:4], v[7:8], v[1:2], v[119:120]
	v_div_scale_f64 v[5:6], null, v[3:4], v[3:4], 1.0
	v_div_scale_f64 v[123:124], vcc_lo, 1.0, v[3:4], 1.0
	v_rcp_f64_e32 v[7:8], v[5:6]
	v_fma_f64 v[119:120], -v[5:6], v[7:8], 1.0
	v_fma_f64 v[7:8], v[7:8], v[119:120], v[7:8]
	v_fma_f64 v[119:120], -v[5:6], v[7:8], 1.0
	v_fma_f64 v[7:8], v[7:8], v[119:120], v[7:8]
	v_mul_f64 v[119:120], v[123:124], v[7:8]
	v_fma_f64 v[5:6], -v[5:6], v[119:120], v[123:124]
	v_div_fmas_f64 v[5:6], v[5:6], v[7:8], v[119:120]
                                        ; implicit-def: $vgpr7_vgpr8
                                        ; implicit-def: $vgpr119_vgpr120
	v_div_fixup_f64 v[3:4], v[5:6], v[3:4], 1.0
	v_mul_f64 v[5:6], v[1:2], v[3:4]
	v_xor_b32_e32 v4, 0x80000000, v4
	v_xor_b32_e32 v2, 0x80000000, v6
	v_mov_b32_e32 v1, v5
.LBB118_15:
	s_andn2_saveexec_b32 s5, s5
	s_cbranch_execz .LBB118_17
; %bb.16:
	v_div_scale_f64 v[1:2], null, v[7:8], v[7:8], v[119:120]
	v_div_scale_f64 v[123:124], vcc_lo, v[119:120], v[7:8], v[119:120]
	v_rcp_f64_e32 v[3:4], v[1:2]
	v_fma_f64 v[5:6], -v[1:2], v[3:4], 1.0
	v_fma_f64 v[3:4], v[3:4], v[5:6], v[3:4]
	v_fma_f64 v[5:6], -v[1:2], v[3:4], 1.0
	v_fma_f64 v[3:4], v[3:4], v[5:6], v[3:4]
	v_mul_f64 v[5:6], v[123:124], v[3:4]
	v_fma_f64 v[1:2], -v[1:2], v[5:6], v[123:124]
	v_div_fmas_f64 v[1:2], v[1:2], v[3:4], v[5:6]
	v_div_fixup_f64 v[1:2], v[1:2], v[7:8], v[119:120]
	v_fma_f64 v[3:4], v[119:120], v[1:2], v[7:8]
	v_div_scale_f64 v[5:6], null, v[3:4], v[3:4], 1.0
	v_rcp_f64_e32 v[7:8], v[5:6]
	v_fma_f64 v[119:120], -v[5:6], v[7:8], 1.0
	v_fma_f64 v[7:8], v[7:8], v[119:120], v[7:8]
	v_fma_f64 v[119:120], -v[5:6], v[7:8], 1.0
	v_fma_f64 v[7:8], v[7:8], v[119:120], v[7:8]
	v_div_scale_f64 v[119:120], vcc_lo, 1.0, v[3:4], 1.0
	v_mul_f64 v[123:124], v[119:120], v[7:8]
	v_fma_f64 v[5:6], -v[5:6], v[123:124], v[119:120]
	v_div_fmas_f64 v[5:6], v[5:6], v[7:8], v[123:124]
	v_div_fixup_f64 v[5:6], v[5:6], v[3:4], 1.0
	v_mul_f64 v[3:4], v[1:2], -v[5:6]
	v_xor_b32_e32 v2, 0x80000000, v6
	v_mov_b32_e32 v1, v5
.LBB118_17:
	s_or_b32 exec_lo, exec_lo, s5
	v_mov_b32_e32 v7, s66
	buffer_store_dword v6, v122, s[0:3], 0 offen offset:4
	buffer_store_dword v5, v122, s[0:3], 0 offen
	buffer_store_dword v4, v122, s[0:3], 0 offen offset:12
	buffer_store_dword v3, v122, s[0:3], 0 offen offset:8
	v_xor_b32_e32 v4, 0x80000000, v4
	v_add_nc_u32_e32 v5, 0x370, v121
	s_clause 0x3
	buffer_load_dword v126, v7, s[0:3], 0 offen offset:12
	buffer_load_dword v125, v7, s[0:3], 0 offen offset:8
	;; [unrolled: 1-line block ×3, first 2 shown]
	buffer_load_dword v123, v7, s[0:3], 0 offen
	ds_write_b128 v121, v[1:4]
	s_waitcnt vmcnt(0)
	ds_write_b128 v121, v[123:126] offset:880
	s_waitcnt lgkmcnt(0)
	s_waitcnt_vscnt null, 0x0
	s_barrier
	buffer_gl0_inv
	s_and_saveexec_b32 s5, s4
	s_cbranch_execz .LBB118_19
; %bb.18:
	s_clause 0x3
	buffer_load_dword v6, v122, s[0:3], 0 offen offset:8
	buffer_load_dword v7, v122, s[0:3], 0 offen offset:12
	buffer_load_dword v119, v122, s[0:3], 0 offen
	buffer_load_dword v120, v122, s[0:3], 0 offen offset:4
	ds_read_b128 v[1:4], v5
	v_mov_b32_e32 v8, 0
	ds_read_b128 v[123:126], v8 offset:16
	s_waitcnt vmcnt(2) lgkmcnt(1)
	v_mul_f64 v[127:128], v[1:2], v[6:7]
	v_mul_f64 v[6:7], v[3:4], v[6:7]
	s_waitcnt vmcnt(0)
	v_fma_f64 v[3:4], v[3:4], v[119:120], v[127:128]
	v_fma_f64 v[1:2], v[1:2], v[119:120], -v[6:7]
	v_add_f64 v[3:4], v[3:4], 0
	v_add_f64 v[1:2], v[1:2], 0
	s_waitcnt lgkmcnt(0)
	v_mul_f64 v[6:7], v[3:4], v[125:126]
	v_mul_f64 v[119:120], v[1:2], v[125:126]
	v_fma_f64 v[1:2], v[1:2], v[123:124], -v[6:7]
	v_fma_f64 v[3:4], v[3:4], v[123:124], v[119:120]
	buffer_store_dword v1, off, s[0:3], 0 offset:32
	buffer_store_dword v2, off, s[0:3], 0 offset:36
	;; [unrolled: 1-line block ×4, first 2 shown]
.LBB118_19:
	s_or_b32 exec_lo, exec_lo, s5
	v_mov_b32_e32 v4, s65
	s_waitcnt_vscnt null, 0x0
	s_barrier
	buffer_gl0_inv
	s_mov_b32 s5, exec_lo
	s_clause 0x3
	buffer_load_dword v1, v4, s[0:3], 0 offen
	buffer_load_dword v2, v4, s[0:3], 0 offen offset:4
	buffer_load_dword v3, v4, s[0:3], 0 offen offset:8
	;; [unrolled: 1-line block ×3, first 2 shown]
	s_waitcnt vmcnt(0)
	ds_write_b128 v5, v[1:4]
	s_waitcnt lgkmcnt(0)
	s_barrier
	buffer_gl0_inv
	v_cmpx_gt_u32_e32 2, v0
	s_cbranch_execz .LBB118_23
; %bb.20:
	s_clause 0x3
	buffer_load_dword v6, v122, s[0:3], 0 offen offset:8
	buffer_load_dword v7, v122, s[0:3], 0 offen offset:12
	buffer_load_dword v119, v122, s[0:3], 0 offen
	buffer_load_dword v120, v122, s[0:3], 0 offen offset:4
	ds_read_b128 v[1:4], v5
	s_waitcnt vmcnt(2) lgkmcnt(0)
	v_mul_f64 v[122:123], v[3:4], v[6:7]
	v_mul_f64 v[6:7], v[1:2], v[6:7]
	s_waitcnt vmcnt(0)
	v_fma_f64 v[1:2], v[1:2], v[119:120], -v[122:123]
	v_fma_f64 v[3:4], v[3:4], v[119:120], v[6:7]
	v_add_f64 v[1:2], v[1:2], 0
	v_add_f64 v[3:4], v[3:4], 0
	s_and_saveexec_b32 s68, s4
	s_cbranch_execz .LBB118_22
; %bb.21:
	s_clause 0x3
	buffer_load_dword v6, off, s[0:3], 0 offset:40
	buffer_load_dword v7, off, s[0:3], 0 offset:44
	;; [unrolled: 1-line block ×4, first 2 shown]
	v_mov_b32_e32 v8, 0
	ds_read_b128 v[122:125], v8 offset:896
	s_waitcnt vmcnt(2) lgkmcnt(0)
	v_mul_f64 v[126:127], v[122:123], v[6:7]
	v_mul_f64 v[6:7], v[124:125], v[6:7]
	s_waitcnt vmcnt(0)
	v_fma_f64 v[124:125], v[124:125], v[119:120], v[126:127]
	v_fma_f64 v[6:7], v[122:123], v[119:120], -v[6:7]
	v_add_f64 v[3:4], v[3:4], v[124:125]
	v_add_f64 v[1:2], v[1:2], v[6:7]
.LBB118_22:
	s_or_b32 exec_lo, exec_lo, s68
	v_mov_b32_e32 v6, 0
	ds_read_b128 v[122:125], v6 offset:32
	s_waitcnt lgkmcnt(0)
	v_mul_f64 v[6:7], v[3:4], v[124:125]
	v_mul_f64 v[119:120], v[1:2], v[124:125]
	v_fma_f64 v[1:2], v[1:2], v[122:123], -v[6:7]
	v_fma_f64 v[3:4], v[3:4], v[122:123], v[119:120]
	buffer_store_dword v2, off, s[0:3], 0 offset:52
	buffer_store_dword v1, off, s[0:3], 0 offset:48
	;; [unrolled: 1-line block ×4, first 2 shown]
.LBB118_23:
	s_or_b32 exec_lo, exec_lo, s5
	v_mov_b32_e32 v4, s64
	s_waitcnt_vscnt null, 0x0
	s_barrier
	buffer_gl0_inv
	v_add_nc_u32_e32 v6, -1, v0
	s_clause 0x3
	buffer_load_dword v1, v4, s[0:3], 0 offen
	buffer_load_dword v2, v4, s[0:3], 0 offen offset:4
	buffer_load_dword v3, v4, s[0:3], 0 offen offset:8
	;; [unrolled: 1-line block ×3, first 2 shown]
	s_mov_b32 s4, exec_lo
	s_waitcnt vmcnt(0)
	ds_write_b128 v5, v[1:4]
	s_waitcnt lgkmcnt(0)
	s_barrier
	buffer_gl0_inv
	v_cmpx_gt_u32_e32 3, v0
	s_cbranch_execz .LBB118_27
; %bb.24:
	v_mov_b32_e32 v1, 0
	v_mov_b32_e32 v3, 0
	v_add_nc_u32_e32 v7, -1, v0
	v_add_nc_u32_e32 v8, 0x370, v121
	v_mov_b32_e32 v2, 0
	v_mov_b32_e32 v4, 0
	v_add_nc_u32_e32 v119, 16, v121
	s_mov_b32 s5, 0
	.p2align	6
.LBB118_25:                             ; =>This Inner Loop Header: Depth=1
	s_clause 0x3
	buffer_load_dword v126, v119, s[0:3], 0 offen offset:8
	buffer_load_dword v127, v119, s[0:3], 0 offen offset:12
	buffer_load_dword v128, v119, s[0:3], 0 offen
	buffer_load_dword v129, v119, s[0:3], 0 offen offset:4
	ds_read_b128 v[122:125], v8
	v_add_nc_u32_e32 v7, 1, v7
	v_add_nc_u32_e32 v8, 16, v8
	;; [unrolled: 1-line block ×3, first 2 shown]
	v_cmp_lt_u32_e32 vcc_lo, 1, v7
	s_or_b32 s5, vcc_lo, s5
	s_waitcnt vmcnt(2) lgkmcnt(0)
	v_mul_f64 v[130:131], v[124:125], v[126:127]
	v_mul_f64 v[126:127], v[122:123], v[126:127]
	s_waitcnt vmcnt(0)
	v_fma_f64 v[122:123], v[122:123], v[128:129], -v[130:131]
	v_fma_f64 v[124:125], v[124:125], v[128:129], v[126:127]
	v_add_f64 v[3:4], v[3:4], v[122:123]
	v_add_f64 v[1:2], v[1:2], v[124:125]
	s_andn2_b32 exec_lo, exec_lo, s5
	s_cbranch_execnz .LBB118_25
; %bb.26:
	s_or_b32 exec_lo, exec_lo, s5
	v_mov_b32_e32 v7, 0
	ds_read_b128 v[122:125], v7 offset:48
	s_waitcnt lgkmcnt(0)
	v_mul_f64 v[7:8], v[1:2], v[124:125]
	v_mul_f64 v[119:120], v[3:4], v[124:125]
	v_fma_f64 v[3:4], v[3:4], v[122:123], -v[7:8]
	v_fma_f64 v[1:2], v[1:2], v[122:123], v[119:120]
	buffer_store_dword v4, off, s[0:3], 0 offset:68
	buffer_store_dword v3, off, s[0:3], 0 offset:64
	buffer_store_dword v2, off, s[0:3], 0 offset:76
	buffer_store_dword v1, off, s[0:3], 0 offset:72
.LBB118_27:
	s_or_b32 exec_lo, exec_lo, s4
	v_mov_b32_e32 v4, s63
	s_waitcnt_vscnt null, 0x0
	s_barrier
	buffer_gl0_inv
	s_mov_b32 s4, exec_lo
	s_clause 0x3
	buffer_load_dword v1, v4, s[0:3], 0 offen
	buffer_load_dword v2, v4, s[0:3], 0 offen offset:4
	buffer_load_dword v3, v4, s[0:3], 0 offen offset:8
	;; [unrolled: 1-line block ×3, first 2 shown]
	s_waitcnt vmcnt(0)
	ds_write_b128 v5, v[1:4]
	s_waitcnt lgkmcnt(0)
	s_barrier
	buffer_gl0_inv
	v_cmpx_gt_u32_e32 4, v0
	s_cbranch_execz .LBB118_31
; %bb.28:
	v_mov_b32_e32 v1, 0
	v_mov_b32_e32 v3, 0
	v_add_nc_u32_e32 v7, -1, v0
	v_add_nc_u32_e32 v8, 0x370, v121
	v_mov_b32_e32 v2, 0
	v_mov_b32_e32 v4, 0
	v_add_nc_u32_e32 v119, 16, v121
	s_mov_b32 s5, 0
	.p2align	6
.LBB118_29:                             ; =>This Inner Loop Header: Depth=1
	s_clause 0x3
	buffer_load_dword v126, v119, s[0:3], 0 offen offset:8
	buffer_load_dword v127, v119, s[0:3], 0 offen offset:12
	buffer_load_dword v128, v119, s[0:3], 0 offen
	buffer_load_dword v129, v119, s[0:3], 0 offen offset:4
	ds_read_b128 v[122:125], v8
	v_add_nc_u32_e32 v7, 1, v7
	v_add_nc_u32_e32 v8, 16, v8
	;; [unrolled: 1-line block ×3, first 2 shown]
	v_cmp_lt_u32_e32 vcc_lo, 2, v7
	s_or_b32 s5, vcc_lo, s5
	s_waitcnt vmcnt(2) lgkmcnt(0)
	v_mul_f64 v[130:131], v[124:125], v[126:127]
	v_mul_f64 v[126:127], v[122:123], v[126:127]
	s_waitcnt vmcnt(0)
	v_fma_f64 v[122:123], v[122:123], v[128:129], -v[130:131]
	v_fma_f64 v[124:125], v[124:125], v[128:129], v[126:127]
	v_add_f64 v[3:4], v[3:4], v[122:123]
	v_add_f64 v[1:2], v[1:2], v[124:125]
	s_andn2_b32 exec_lo, exec_lo, s5
	s_cbranch_execnz .LBB118_29
; %bb.30:
	s_or_b32 exec_lo, exec_lo, s5
	v_mov_b32_e32 v7, 0
	ds_read_b128 v[122:125], v7 offset:64
	s_waitcnt lgkmcnt(0)
	v_mul_f64 v[7:8], v[1:2], v[124:125]
	v_mul_f64 v[119:120], v[3:4], v[124:125]
	v_fma_f64 v[3:4], v[3:4], v[122:123], -v[7:8]
	v_fma_f64 v[1:2], v[1:2], v[122:123], v[119:120]
	buffer_store_dword v4, off, s[0:3], 0 offset:84
	buffer_store_dword v3, off, s[0:3], 0 offset:80
	;; [unrolled: 1-line block ×4, first 2 shown]
.LBB118_31:
	s_or_b32 exec_lo, exec_lo, s4
	v_mov_b32_e32 v4, s62
	s_waitcnt_vscnt null, 0x0
	s_barrier
	buffer_gl0_inv
	s_mov_b32 s4, exec_lo
	s_clause 0x3
	buffer_load_dword v1, v4, s[0:3], 0 offen
	buffer_load_dword v2, v4, s[0:3], 0 offen offset:4
	buffer_load_dword v3, v4, s[0:3], 0 offen offset:8
	;; [unrolled: 1-line block ×3, first 2 shown]
	s_waitcnt vmcnt(0)
	ds_write_b128 v5, v[1:4]
	s_waitcnt lgkmcnt(0)
	s_barrier
	buffer_gl0_inv
	v_cmpx_gt_u32_e32 5, v0
	s_cbranch_execz .LBB118_35
; %bb.32:
	v_mov_b32_e32 v1, 0
	v_mov_b32_e32 v3, 0
	v_add_nc_u32_e32 v7, -1, v0
	v_add_nc_u32_e32 v8, 0x370, v121
	v_mov_b32_e32 v2, 0
	v_mov_b32_e32 v4, 0
	v_add_nc_u32_e32 v119, 16, v121
	s_mov_b32 s5, 0
	.p2align	6
.LBB118_33:                             ; =>This Inner Loop Header: Depth=1
	s_clause 0x3
	buffer_load_dword v126, v119, s[0:3], 0 offen offset:8
	buffer_load_dword v127, v119, s[0:3], 0 offen offset:12
	buffer_load_dword v128, v119, s[0:3], 0 offen
	buffer_load_dword v129, v119, s[0:3], 0 offen offset:4
	ds_read_b128 v[122:125], v8
	v_add_nc_u32_e32 v7, 1, v7
	v_add_nc_u32_e32 v8, 16, v8
	;; [unrolled: 1-line block ×3, first 2 shown]
	v_cmp_lt_u32_e32 vcc_lo, 3, v7
	s_or_b32 s5, vcc_lo, s5
	s_waitcnt vmcnt(2) lgkmcnt(0)
	v_mul_f64 v[130:131], v[124:125], v[126:127]
	v_mul_f64 v[126:127], v[122:123], v[126:127]
	s_waitcnt vmcnt(0)
	v_fma_f64 v[122:123], v[122:123], v[128:129], -v[130:131]
	v_fma_f64 v[124:125], v[124:125], v[128:129], v[126:127]
	v_add_f64 v[3:4], v[3:4], v[122:123]
	v_add_f64 v[1:2], v[1:2], v[124:125]
	s_andn2_b32 exec_lo, exec_lo, s5
	s_cbranch_execnz .LBB118_33
; %bb.34:
	s_or_b32 exec_lo, exec_lo, s5
	v_mov_b32_e32 v7, 0
	ds_read_b128 v[122:125], v7 offset:80
	s_waitcnt lgkmcnt(0)
	v_mul_f64 v[7:8], v[1:2], v[124:125]
	v_mul_f64 v[119:120], v[3:4], v[124:125]
	v_fma_f64 v[3:4], v[3:4], v[122:123], -v[7:8]
	v_fma_f64 v[1:2], v[1:2], v[122:123], v[119:120]
	buffer_store_dword v4, off, s[0:3], 0 offset:100
	buffer_store_dword v3, off, s[0:3], 0 offset:96
	;; [unrolled: 1-line block ×4, first 2 shown]
.LBB118_35:
	s_or_b32 exec_lo, exec_lo, s4
	v_mov_b32_e32 v4, s61
	s_waitcnt_vscnt null, 0x0
	s_barrier
	buffer_gl0_inv
	s_mov_b32 s4, exec_lo
	s_clause 0x3
	buffer_load_dword v1, v4, s[0:3], 0 offen
	buffer_load_dword v2, v4, s[0:3], 0 offen offset:4
	buffer_load_dword v3, v4, s[0:3], 0 offen offset:8
	;; [unrolled: 1-line block ×3, first 2 shown]
	s_waitcnt vmcnt(0)
	ds_write_b128 v5, v[1:4]
	s_waitcnt lgkmcnt(0)
	s_barrier
	buffer_gl0_inv
	v_cmpx_gt_u32_e32 6, v0
	s_cbranch_execz .LBB118_39
; %bb.36:
	v_mov_b32_e32 v1, 0
	v_mov_b32_e32 v3, 0
	v_add_nc_u32_e32 v7, -1, v0
	v_add_nc_u32_e32 v8, 0x370, v121
	v_mov_b32_e32 v2, 0
	v_mov_b32_e32 v4, 0
	v_add_nc_u32_e32 v119, 16, v121
	s_mov_b32 s5, 0
	.p2align	6
.LBB118_37:                             ; =>This Inner Loop Header: Depth=1
	s_clause 0x3
	buffer_load_dword v126, v119, s[0:3], 0 offen offset:8
	buffer_load_dword v127, v119, s[0:3], 0 offen offset:12
	buffer_load_dword v128, v119, s[0:3], 0 offen
	buffer_load_dword v129, v119, s[0:3], 0 offen offset:4
	ds_read_b128 v[122:125], v8
	v_add_nc_u32_e32 v7, 1, v7
	v_add_nc_u32_e32 v8, 16, v8
	;; [unrolled: 1-line block ×3, first 2 shown]
	v_cmp_lt_u32_e32 vcc_lo, 4, v7
	s_or_b32 s5, vcc_lo, s5
	s_waitcnt vmcnt(2) lgkmcnt(0)
	v_mul_f64 v[130:131], v[124:125], v[126:127]
	v_mul_f64 v[126:127], v[122:123], v[126:127]
	s_waitcnt vmcnt(0)
	v_fma_f64 v[122:123], v[122:123], v[128:129], -v[130:131]
	v_fma_f64 v[124:125], v[124:125], v[128:129], v[126:127]
	v_add_f64 v[3:4], v[3:4], v[122:123]
	v_add_f64 v[1:2], v[1:2], v[124:125]
	s_andn2_b32 exec_lo, exec_lo, s5
	s_cbranch_execnz .LBB118_37
; %bb.38:
	s_or_b32 exec_lo, exec_lo, s5
	v_mov_b32_e32 v7, 0
	ds_read_b128 v[122:125], v7 offset:96
	s_waitcnt lgkmcnt(0)
	v_mul_f64 v[7:8], v[1:2], v[124:125]
	v_mul_f64 v[119:120], v[3:4], v[124:125]
	v_fma_f64 v[3:4], v[3:4], v[122:123], -v[7:8]
	v_fma_f64 v[1:2], v[1:2], v[122:123], v[119:120]
	buffer_store_dword v4, off, s[0:3], 0 offset:116
	buffer_store_dword v3, off, s[0:3], 0 offset:112
	;; [unrolled: 1-line block ×4, first 2 shown]
.LBB118_39:
	s_or_b32 exec_lo, exec_lo, s4
	v_mov_b32_e32 v4, s60
	s_waitcnt_vscnt null, 0x0
	s_barrier
	buffer_gl0_inv
	s_mov_b32 s4, exec_lo
	s_clause 0x3
	buffer_load_dword v1, v4, s[0:3], 0 offen
	buffer_load_dword v2, v4, s[0:3], 0 offen offset:4
	buffer_load_dword v3, v4, s[0:3], 0 offen offset:8
	;; [unrolled: 1-line block ×3, first 2 shown]
	s_waitcnt vmcnt(0)
	ds_write_b128 v5, v[1:4]
	s_waitcnt lgkmcnt(0)
	s_barrier
	buffer_gl0_inv
	v_cmpx_gt_u32_e32 7, v0
	s_cbranch_execz .LBB118_43
; %bb.40:
	v_mov_b32_e32 v1, 0
	v_mov_b32_e32 v3, 0
	v_add_nc_u32_e32 v7, -1, v0
	v_add_nc_u32_e32 v8, 0x370, v121
	v_mov_b32_e32 v2, 0
	v_mov_b32_e32 v4, 0
	v_add_nc_u32_e32 v119, 16, v121
	s_mov_b32 s5, 0
	.p2align	6
.LBB118_41:                             ; =>This Inner Loop Header: Depth=1
	s_clause 0x3
	buffer_load_dword v126, v119, s[0:3], 0 offen offset:8
	buffer_load_dword v127, v119, s[0:3], 0 offen offset:12
	buffer_load_dword v128, v119, s[0:3], 0 offen
	buffer_load_dword v129, v119, s[0:3], 0 offen offset:4
	ds_read_b128 v[122:125], v8
	v_add_nc_u32_e32 v7, 1, v7
	v_add_nc_u32_e32 v8, 16, v8
	;; [unrolled: 1-line block ×3, first 2 shown]
	v_cmp_lt_u32_e32 vcc_lo, 5, v7
	s_or_b32 s5, vcc_lo, s5
	s_waitcnt vmcnt(2) lgkmcnt(0)
	v_mul_f64 v[130:131], v[124:125], v[126:127]
	v_mul_f64 v[126:127], v[122:123], v[126:127]
	s_waitcnt vmcnt(0)
	v_fma_f64 v[122:123], v[122:123], v[128:129], -v[130:131]
	v_fma_f64 v[124:125], v[124:125], v[128:129], v[126:127]
	v_add_f64 v[3:4], v[3:4], v[122:123]
	v_add_f64 v[1:2], v[1:2], v[124:125]
	s_andn2_b32 exec_lo, exec_lo, s5
	s_cbranch_execnz .LBB118_41
; %bb.42:
	s_or_b32 exec_lo, exec_lo, s5
	v_mov_b32_e32 v7, 0
	ds_read_b128 v[122:125], v7 offset:112
	s_waitcnt lgkmcnt(0)
	v_mul_f64 v[7:8], v[1:2], v[124:125]
	v_mul_f64 v[119:120], v[3:4], v[124:125]
	v_fma_f64 v[3:4], v[3:4], v[122:123], -v[7:8]
	v_fma_f64 v[1:2], v[1:2], v[122:123], v[119:120]
	buffer_store_dword v4, off, s[0:3], 0 offset:132
	buffer_store_dword v3, off, s[0:3], 0 offset:128
	;; [unrolled: 1-line block ×4, first 2 shown]
.LBB118_43:
	s_or_b32 exec_lo, exec_lo, s4
	v_mov_b32_e32 v4, s59
	s_waitcnt_vscnt null, 0x0
	s_barrier
	buffer_gl0_inv
	s_mov_b32 s4, exec_lo
	s_clause 0x3
	buffer_load_dword v1, v4, s[0:3], 0 offen
	buffer_load_dword v2, v4, s[0:3], 0 offen offset:4
	buffer_load_dword v3, v4, s[0:3], 0 offen offset:8
	;; [unrolled: 1-line block ×3, first 2 shown]
	s_waitcnt vmcnt(0)
	ds_write_b128 v5, v[1:4]
	s_waitcnt lgkmcnt(0)
	s_barrier
	buffer_gl0_inv
	v_cmpx_gt_u32_e32 8, v0
	s_cbranch_execz .LBB118_47
; %bb.44:
	v_mov_b32_e32 v1, 0
	v_mov_b32_e32 v3, 0
	v_add_nc_u32_e32 v7, -1, v0
	v_add_nc_u32_e32 v8, 0x370, v121
	v_mov_b32_e32 v2, 0
	v_mov_b32_e32 v4, 0
	v_add_nc_u32_e32 v119, 16, v121
	s_mov_b32 s5, 0
	.p2align	6
.LBB118_45:                             ; =>This Inner Loop Header: Depth=1
	s_clause 0x3
	buffer_load_dword v126, v119, s[0:3], 0 offen offset:8
	buffer_load_dword v127, v119, s[0:3], 0 offen offset:12
	buffer_load_dword v128, v119, s[0:3], 0 offen
	buffer_load_dword v129, v119, s[0:3], 0 offen offset:4
	ds_read_b128 v[122:125], v8
	v_add_nc_u32_e32 v7, 1, v7
	v_add_nc_u32_e32 v8, 16, v8
	;; [unrolled: 1-line block ×3, first 2 shown]
	v_cmp_lt_u32_e32 vcc_lo, 6, v7
	s_or_b32 s5, vcc_lo, s5
	s_waitcnt vmcnt(2) lgkmcnt(0)
	v_mul_f64 v[130:131], v[124:125], v[126:127]
	v_mul_f64 v[126:127], v[122:123], v[126:127]
	s_waitcnt vmcnt(0)
	v_fma_f64 v[122:123], v[122:123], v[128:129], -v[130:131]
	v_fma_f64 v[124:125], v[124:125], v[128:129], v[126:127]
	v_add_f64 v[3:4], v[3:4], v[122:123]
	v_add_f64 v[1:2], v[1:2], v[124:125]
	s_andn2_b32 exec_lo, exec_lo, s5
	s_cbranch_execnz .LBB118_45
; %bb.46:
	s_or_b32 exec_lo, exec_lo, s5
	v_mov_b32_e32 v7, 0
	ds_read_b128 v[122:125], v7 offset:128
	s_waitcnt lgkmcnt(0)
	v_mul_f64 v[7:8], v[1:2], v[124:125]
	v_mul_f64 v[119:120], v[3:4], v[124:125]
	v_fma_f64 v[3:4], v[3:4], v[122:123], -v[7:8]
	v_fma_f64 v[1:2], v[1:2], v[122:123], v[119:120]
	buffer_store_dword v4, off, s[0:3], 0 offset:148
	buffer_store_dword v3, off, s[0:3], 0 offset:144
	;; [unrolled: 1-line block ×4, first 2 shown]
.LBB118_47:
	s_or_b32 exec_lo, exec_lo, s4
	v_mov_b32_e32 v4, s58
	s_waitcnt_vscnt null, 0x0
	s_barrier
	buffer_gl0_inv
	s_mov_b32 s4, exec_lo
	s_clause 0x3
	buffer_load_dword v1, v4, s[0:3], 0 offen
	buffer_load_dword v2, v4, s[0:3], 0 offen offset:4
	buffer_load_dword v3, v4, s[0:3], 0 offen offset:8
	;; [unrolled: 1-line block ×3, first 2 shown]
	s_waitcnt vmcnt(0)
	ds_write_b128 v5, v[1:4]
	s_waitcnt lgkmcnt(0)
	s_barrier
	buffer_gl0_inv
	v_cmpx_gt_u32_e32 9, v0
	s_cbranch_execz .LBB118_51
; %bb.48:
	v_mov_b32_e32 v1, 0
	v_mov_b32_e32 v3, 0
	v_add_nc_u32_e32 v7, -1, v0
	v_add_nc_u32_e32 v8, 0x370, v121
	v_mov_b32_e32 v2, 0
	v_mov_b32_e32 v4, 0
	v_add_nc_u32_e32 v119, 16, v121
	s_mov_b32 s5, 0
	.p2align	6
.LBB118_49:                             ; =>This Inner Loop Header: Depth=1
	s_clause 0x3
	buffer_load_dword v126, v119, s[0:3], 0 offen offset:8
	buffer_load_dword v127, v119, s[0:3], 0 offen offset:12
	buffer_load_dword v128, v119, s[0:3], 0 offen
	buffer_load_dword v129, v119, s[0:3], 0 offen offset:4
	ds_read_b128 v[122:125], v8
	v_add_nc_u32_e32 v7, 1, v7
	v_add_nc_u32_e32 v8, 16, v8
	;; [unrolled: 1-line block ×3, first 2 shown]
	v_cmp_lt_u32_e32 vcc_lo, 7, v7
	s_or_b32 s5, vcc_lo, s5
	s_waitcnt vmcnt(2) lgkmcnt(0)
	v_mul_f64 v[130:131], v[124:125], v[126:127]
	v_mul_f64 v[126:127], v[122:123], v[126:127]
	s_waitcnt vmcnt(0)
	v_fma_f64 v[122:123], v[122:123], v[128:129], -v[130:131]
	v_fma_f64 v[124:125], v[124:125], v[128:129], v[126:127]
	v_add_f64 v[3:4], v[3:4], v[122:123]
	v_add_f64 v[1:2], v[1:2], v[124:125]
	s_andn2_b32 exec_lo, exec_lo, s5
	s_cbranch_execnz .LBB118_49
; %bb.50:
	s_or_b32 exec_lo, exec_lo, s5
	v_mov_b32_e32 v7, 0
	ds_read_b128 v[122:125], v7 offset:144
	s_waitcnt lgkmcnt(0)
	v_mul_f64 v[7:8], v[1:2], v[124:125]
	v_mul_f64 v[119:120], v[3:4], v[124:125]
	v_fma_f64 v[3:4], v[3:4], v[122:123], -v[7:8]
	v_fma_f64 v[1:2], v[1:2], v[122:123], v[119:120]
	buffer_store_dword v4, off, s[0:3], 0 offset:164
	buffer_store_dword v3, off, s[0:3], 0 offset:160
	;; [unrolled: 1-line block ×4, first 2 shown]
.LBB118_51:
	s_or_b32 exec_lo, exec_lo, s4
	v_mov_b32_e32 v4, s57
	s_waitcnt_vscnt null, 0x0
	s_barrier
	buffer_gl0_inv
	s_mov_b32 s4, exec_lo
	s_clause 0x3
	buffer_load_dword v1, v4, s[0:3], 0 offen
	buffer_load_dword v2, v4, s[0:3], 0 offen offset:4
	buffer_load_dword v3, v4, s[0:3], 0 offen offset:8
	buffer_load_dword v4, v4, s[0:3], 0 offen offset:12
	s_waitcnt vmcnt(0)
	ds_write_b128 v5, v[1:4]
	s_waitcnt lgkmcnt(0)
	s_barrier
	buffer_gl0_inv
	v_cmpx_gt_u32_e32 10, v0
	s_cbranch_execz .LBB118_55
; %bb.52:
	v_mov_b32_e32 v1, 0
	v_mov_b32_e32 v3, 0
	v_add_nc_u32_e32 v7, -1, v0
	v_add_nc_u32_e32 v8, 0x370, v121
	v_mov_b32_e32 v2, 0
	v_mov_b32_e32 v4, 0
	v_add_nc_u32_e32 v119, 16, v121
	s_mov_b32 s5, 0
	.p2align	6
.LBB118_53:                             ; =>This Inner Loop Header: Depth=1
	s_clause 0x3
	buffer_load_dword v126, v119, s[0:3], 0 offen offset:8
	buffer_load_dword v127, v119, s[0:3], 0 offen offset:12
	buffer_load_dword v128, v119, s[0:3], 0 offen
	buffer_load_dword v129, v119, s[0:3], 0 offen offset:4
	ds_read_b128 v[122:125], v8
	v_add_nc_u32_e32 v7, 1, v7
	v_add_nc_u32_e32 v8, 16, v8
	;; [unrolled: 1-line block ×3, first 2 shown]
	v_cmp_lt_u32_e32 vcc_lo, 8, v7
	s_or_b32 s5, vcc_lo, s5
	s_waitcnt vmcnt(2) lgkmcnt(0)
	v_mul_f64 v[130:131], v[124:125], v[126:127]
	v_mul_f64 v[126:127], v[122:123], v[126:127]
	s_waitcnt vmcnt(0)
	v_fma_f64 v[122:123], v[122:123], v[128:129], -v[130:131]
	v_fma_f64 v[124:125], v[124:125], v[128:129], v[126:127]
	v_add_f64 v[3:4], v[3:4], v[122:123]
	v_add_f64 v[1:2], v[1:2], v[124:125]
	s_andn2_b32 exec_lo, exec_lo, s5
	s_cbranch_execnz .LBB118_53
; %bb.54:
	s_or_b32 exec_lo, exec_lo, s5
	v_mov_b32_e32 v7, 0
	ds_read_b128 v[122:125], v7 offset:160
	s_waitcnt lgkmcnt(0)
	v_mul_f64 v[7:8], v[1:2], v[124:125]
	v_mul_f64 v[119:120], v[3:4], v[124:125]
	v_fma_f64 v[3:4], v[3:4], v[122:123], -v[7:8]
	v_fma_f64 v[1:2], v[1:2], v[122:123], v[119:120]
	buffer_store_dword v4, off, s[0:3], 0 offset:180
	buffer_store_dword v3, off, s[0:3], 0 offset:176
	;; [unrolled: 1-line block ×4, first 2 shown]
.LBB118_55:
	s_or_b32 exec_lo, exec_lo, s4
	v_mov_b32_e32 v4, s56
	s_waitcnt_vscnt null, 0x0
	s_barrier
	buffer_gl0_inv
	s_mov_b32 s4, exec_lo
	s_clause 0x3
	buffer_load_dword v1, v4, s[0:3], 0 offen
	buffer_load_dword v2, v4, s[0:3], 0 offen offset:4
	buffer_load_dword v3, v4, s[0:3], 0 offen offset:8
	;; [unrolled: 1-line block ×3, first 2 shown]
	s_waitcnt vmcnt(0)
	ds_write_b128 v5, v[1:4]
	s_waitcnt lgkmcnt(0)
	s_barrier
	buffer_gl0_inv
	v_cmpx_gt_u32_e32 11, v0
	s_cbranch_execz .LBB118_59
; %bb.56:
	v_mov_b32_e32 v1, 0
	v_mov_b32_e32 v3, 0
	v_add_nc_u32_e32 v7, -1, v0
	v_add_nc_u32_e32 v8, 0x370, v121
	v_mov_b32_e32 v2, 0
	v_mov_b32_e32 v4, 0
	v_add_nc_u32_e32 v119, 16, v121
	s_mov_b32 s5, 0
	.p2align	6
.LBB118_57:                             ; =>This Inner Loop Header: Depth=1
	s_clause 0x3
	buffer_load_dword v126, v119, s[0:3], 0 offen offset:8
	buffer_load_dword v127, v119, s[0:3], 0 offen offset:12
	buffer_load_dword v128, v119, s[0:3], 0 offen
	buffer_load_dword v129, v119, s[0:3], 0 offen offset:4
	ds_read_b128 v[122:125], v8
	v_add_nc_u32_e32 v7, 1, v7
	v_add_nc_u32_e32 v8, 16, v8
	;; [unrolled: 1-line block ×3, first 2 shown]
	v_cmp_lt_u32_e32 vcc_lo, 9, v7
	s_or_b32 s5, vcc_lo, s5
	s_waitcnt vmcnt(2) lgkmcnt(0)
	v_mul_f64 v[130:131], v[124:125], v[126:127]
	v_mul_f64 v[126:127], v[122:123], v[126:127]
	s_waitcnt vmcnt(0)
	v_fma_f64 v[122:123], v[122:123], v[128:129], -v[130:131]
	v_fma_f64 v[124:125], v[124:125], v[128:129], v[126:127]
	v_add_f64 v[3:4], v[3:4], v[122:123]
	v_add_f64 v[1:2], v[1:2], v[124:125]
	s_andn2_b32 exec_lo, exec_lo, s5
	s_cbranch_execnz .LBB118_57
; %bb.58:
	s_or_b32 exec_lo, exec_lo, s5
	v_mov_b32_e32 v7, 0
	ds_read_b128 v[122:125], v7 offset:176
	s_waitcnt lgkmcnt(0)
	v_mul_f64 v[7:8], v[1:2], v[124:125]
	v_mul_f64 v[119:120], v[3:4], v[124:125]
	v_fma_f64 v[3:4], v[3:4], v[122:123], -v[7:8]
	v_fma_f64 v[1:2], v[1:2], v[122:123], v[119:120]
	buffer_store_dword v4, off, s[0:3], 0 offset:196
	buffer_store_dword v3, off, s[0:3], 0 offset:192
	;; [unrolled: 1-line block ×4, first 2 shown]
.LBB118_59:
	s_or_b32 exec_lo, exec_lo, s4
	v_mov_b32_e32 v4, s55
	s_waitcnt_vscnt null, 0x0
	s_barrier
	buffer_gl0_inv
	s_mov_b32 s4, exec_lo
	s_clause 0x3
	buffer_load_dword v1, v4, s[0:3], 0 offen
	buffer_load_dword v2, v4, s[0:3], 0 offen offset:4
	buffer_load_dword v3, v4, s[0:3], 0 offen offset:8
	;; [unrolled: 1-line block ×3, first 2 shown]
	s_waitcnt vmcnt(0)
	ds_write_b128 v5, v[1:4]
	s_waitcnt lgkmcnt(0)
	s_barrier
	buffer_gl0_inv
	v_cmpx_gt_u32_e32 12, v0
	s_cbranch_execz .LBB118_63
; %bb.60:
	v_mov_b32_e32 v1, 0
	v_mov_b32_e32 v3, 0
	v_add_nc_u32_e32 v7, -1, v0
	v_add_nc_u32_e32 v8, 0x370, v121
	v_mov_b32_e32 v2, 0
	v_mov_b32_e32 v4, 0
	v_add_nc_u32_e32 v119, 16, v121
	s_mov_b32 s5, 0
	.p2align	6
.LBB118_61:                             ; =>This Inner Loop Header: Depth=1
	s_clause 0x3
	buffer_load_dword v126, v119, s[0:3], 0 offen offset:8
	buffer_load_dword v127, v119, s[0:3], 0 offen offset:12
	buffer_load_dword v128, v119, s[0:3], 0 offen
	buffer_load_dword v129, v119, s[0:3], 0 offen offset:4
	ds_read_b128 v[122:125], v8
	v_add_nc_u32_e32 v7, 1, v7
	v_add_nc_u32_e32 v8, 16, v8
	;; [unrolled: 1-line block ×3, first 2 shown]
	v_cmp_lt_u32_e32 vcc_lo, 10, v7
	s_or_b32 s5, vcc_lo, s5
	s_waitcnt vmcnt(2) lgkmcnt(0)
	v_mul_f64 v[130:131], v[124:125], v[126:127]
	v_mul_f64 v[126:127], v[122:123], v[126:127]
	s_waitcnt vmcnt(0)
	v_fma_f64 v[122:123], v[122:123], v[128:129], -v[130:131]
	v_fma_f64 v[124:125], v[124:125], v[128:129], v[126:127]
	v_add_f64 v[3:4], v[3:4], v[122:123]
	v_add_f64 v[1:2], v[1:2], v[124:125]
	s_andn2_b32 exec_lo, exec_lo, s5
	s_cbranch_execnz .LBB118_61
; %bb.62:
	s_or_b32 exec_lo, exec_lo, s5
	v_mov_b32_e32 v7, 0
	ds_read_b128 v[122:125], v7 offset:192
	s_waitcnt lgkmcnt(0)
	v_mul_f64 v[7:8], v[1:2], v[124:125]
	v_mul_f64 v[119:120], v[3:4], v[124:125]
	v_fma_f64 v[3:4], v[3:4], v[122:123], -v[7:8]
	v_fma_f64 v[1:2], v[1:2], v[122:123], v[119:120]
	buffer_store_dword v4, off, s[0:3], 0 offset:212
	buffer_store_dword v3, off, s[0:3], 0 offset:208
	;; [unrolled: 1-line block ×4, first 2 shown]
.LBB118_63:
	s_or_b32 exec_lo, exec_lo, s4
	v_mov_b32_e32 v4, s54
	s_waitcnt_vscnt null, 0x0
	s_barrier
	buffer_gl0_inv
	s_mov_b32 s4, exec_lo
	s_clause 0x3
	buffer_load_dword v1, v4, s[0:3], 0 offen
	buffer_load_dword v2, v4, s[0:3], 0 offen offset:4
	buffer_load_dword v3, v4, s[0:3], 0 offen offset:8
	;; [unrolled: 1-line block ×3, first 2 shown]
	s_waitcnt vmcnt(0)
	ds_write_b128 v5, v[1:4]
	s_waitcnt lgkmcnt(0)
	s_barrier
	buffer_gl0_inv
	v_cmpx_gt_u32_e32 13, v0
	s_cbranch_execz .LBB118_67
; %bb.64:
	v_mov_b32_e32 v1, 0
	v_mov_b32_e32 v3, 0
	v_add_nc_u32_e32 v7, -1, v0
	v_add_nc_u32_e32 v8, 0x370, v121
	v_mov_b32_e32 v2, 0
	v_mov_b32_e32 v4, 0
	v_add_nc_u32_e32 v119, 16, v121
	s_mov_b32 s5, 0
	.p2align	6
.LBB118_65:                             ; =>This Inner Loop Header: Depth=1
	s_clause 0x3
	buffer_load_dword v126, v119, s[0:3], 0 offen offset:8
	buffer_load_dword v127, v119, s[0:3], 0 offen offset:12
	buffer_load_dword v128, v119, s[0:3], 0 offen
	buffer_load_dword v129, v119, s[0:3], 0 offen offset:4
	ds_read_b128 v[122:125], v8
	v_add_nc_u32_e32 v7, 1, v7
	v_add_nc_u32_e32 v8, 16, v8
	;; [unrolled: 1-line block ×3, first 2 shown]
	v_cmp_lt_u32_e32 vcc_lo, 11, v7
	s_or_b32 s5, vcc_lo, s5
	s_waitcnt vmcnt(2) lgkmcnt(0)
	v_mul_f64 v[130:131], v[124:125], v[126:127]
	v_mul_f64 v[126:127], v[122:123], v[126:127]
	s_waitcnt vmcnt(0)
	v_fma_f64 v[122:123], v[122:123], v[128:129], -v[130:131]
	v_fma_f64 v[124:125], v[124:125], v[128:129], v[126:127]
	v_add_f64 v[3:4], v[3:4], v[122:123]
	v_add_f64 v[1:2], v[1:2], v[124:125]
	s_andn2_b32 exec_lo, exec_lo, s5
	s_cbranch_execnz .LBB118_65
; %bb.66:
	s_or_b32 exec_lo, exec_lo, s5
	v_mov_b32_e32 v7, 0
	ds_read_b128 v[122:125], v7 offset:208
	s_waitcnt lgkmcnt(0)
	v_mul_f64 v[7:8], v[1:2], v[124:125]
	v_mul_f64 v[119:120], v[3:4], v[124:125]
	v_fma_f64 v[3:4], v[3:4], v[122:123], -v[7:8]
	v_fma_f64 v[1:2], v[1:2], v[122:123], v[119:120]
	buffer_store_dword v4, off, s[0:3], 0 offset:228
	buffer_store_dword v3, off, s[0:3], 0 offset:224
	;; [unrolled: 1-line block ×4, first 2 shown]
.LBB118_67:
	s_or_b32 exec_lo, exec_lo, s4
	v_mov_b32_e32 v4, s53
	s_waitcnt_vscnt null, 0x0
	s_barrier
	buffer_gl0_inv
	s_mov_b32 s4, exec_lo
	s_clause 0x3
	buffer_load_dword v1, v4, s[0:3], 0 offen
	buffer_load_dword v2, v4, s[0:3], 0 offen offset:4
	buffer_load_dword v3, v4, s[0:3], 0 offen offset:8
	buffer_load_dword v4, v4, s[0:3], 0 offen offset:12
	s_waitcnt vmcnt(0)
	ds_write_b128 v5, v[1:4]
	s_waitcnt lgkmcnt(0)
	s_barrier
	buffer_gl0_inv
	v_cmpx_gt_u32_e32 14, v0
	s_cbranch_execz .LBB118_71
; %bb.68:
	v_mov_b32_e32 v1, 0
	v_mov_b32_e32 v3, 0
	v_add_nc_u32_e32 v7, -1, v0
	v_add_nc_u32_e32 v8, 0x370, v121
	v_mov_b32_e32 v2, 0
	v_mov_b32_e32 v4, 0
	v_add_nc_u32_e32 v119, 16, v121
	s_mov_b32 s5, 0
	.p2align	6
.LBB118_69:                             ; =>This Inner Loop Header: Depth=1
	s_clause 0x3
	buffer_load_dword v126, v119, s[0:3], 0 offen offset:8
	buffer_load_dword v127, v119, s[0:3], 0 offen offset:12
	buffer_load_dword v128, v119, s[0:3], 0 offen
	buffer_load_dword v129, v119, s[0:3], 0 offen offset:4
	ds_read_b128 v[122:125], v8
	v_add_nc_u32_e32 v7, 1, v7
	v_add_nc_u32_e32 v8, 16, v8
	v_add_nc_u32_e32 v119, 16, v119
	v_cmp_lt_u32_e32 vcc_lo, 12, v7
	s_or_b32 s5, vcc_lo, s5
	s_waitcnt vmcnt(2) lgkmcnt(0)
	v_mul_f64 v[130:131], v[124:125], v[126:127]
	v_mul_f64 v[126:127], v[122:123], v[126:127]
	s_waitcnt vmcnt(0)
	v_fma_f64 v[122:123], v[122:123], v[128:129], -v[130:131]
	v_fma_f64 v[124:125], v[124:125], v[128:129], v[126:127]
	v_add_f64 v[3:4], v[3:4], v[122:123]
	v_add_f64 v[1:2], v[1:2], v[124:125]
	s_andn2_b32 exec_lo, exec_lo, s5
	s_cbranch_execnz .LBB118_69
; %bb.70:
	s_or_b32 exec_lo, exec_lo, s5
	v_mov_b32_e32 v7, 0
	ds_read_b128 v[122:125], v7 offset:224
	s_waitcnt lgkmcnt(0)
	v_mul_f64 v[7:8], v[1:2], v[124:125]
	v_mul_f64 v[119:120], v[3:4], v[124:125]
	v_fma_f64 v[3:4], v[3:4], v[122:123], -v[7:8]
	v_fma_f64 v[1:2], v[1:2], v[122:123], v[119:120]
	buffer_store_dword v4, off, s[0:3], 0 offset:244
	buffer_store_dword v3, off, s[0:3], 0 offset:240
	buffer_store_dword v2, off, s[0:3], 0 offset:252
	buffer_store_dword v1, off, s[0:3], 0 offset:248
.LBB118_71:
	s_or_b32 exec_lo, exec_lo, s4
	v_mov_b32_e32 v4, s52
	s_waitcnt_vscnt null, 0x0
	s_barrier
	buffer_gl0_inv
	s_mov_b32 s4, exec_lo
	s_clause 0x3
	buffer_load_dword v1, v4, s[0:3], 0 offen
	buffer_load_dword v2, v4, s[0:3], 0 offen offset:4
	buffer_load_dword v3, v4, s[0:3], 0 offen offset:8
	;; [unrolled: 1-line block ×3, first 2 shown]
	s_waitcnt vmcnt(0)
	ds_write_b128 v5, v[1:4]
	s_waitcnt lgkmcnt(0)
	s_barrier
	buffer_gl0_inv
	v_cmpx_gt_u32_e32 15, v0
	s_cbranch_execz .LBB118_75
; %bb.72:
	v_mov_b32_e32 v1, 0
	v_mov_b32_e32 v3, 0
	v_add_nc_u32_e32 v7, -1, v0
	v_add_nc_u32_e32 v8, 0x370, v121
	v_mov_b32_e32 v2, 0
	v_mov_b32_e32 v4, 0
	v_add_nc_u32_e32 v119, 16, v121
	s_mov_b32 s5, 0
	.p2align	6
.LBB118_73:                             ; =>This Inner Loop Header: Depth=1
	s_clause 0x3
	buffer_load_dword v126, v119, s[0:3], 0 offen offset:8
	buffer_load_dword v127, v119, s[0:3], 0 offen offset:12
	buffer_load_dword v128, v119, s[0:3], 0 offen
	buffer_load_dword v129, v119, s[0:3], 0 offen offset:4
	ds_read_b128 v[122:125], v8
	v_add_nc_u32_e32 v7, 1, v7
	v_add_nc_u32_e32 v8, 16, v8
	;; [unrolled: 1-line block ×3, first 2 shown]
	v_cmp_lt_u32_e32 vcc_lo, 13, v7
	s_or_b32 s5, vcc_lo, s5
	s_waitcnt vmcnt(2) lgkmcnt(0)
	v_mul_f64 v[130:131], v[124:125], v[126:127]
	v_mul_f64 v[126:127], v[122:123], v[126:127]
	s_waitcnt vmcnt(0)
	v_fma_f64 v[122:123], v[122:123], v[128:129], -v[130:131]
	v_fma_f64 v[124:125], v[124:125], v[128:129], v[126:127]
	v_add_f64 v[3:4], v[3:4], v[122:123]
	v_add_f64 v[1:2], v[1:2], v[124:125]
	s_andn2_b32 exec_lo, exec_lo, s5
	s_cbranch_execnz .LBB118_73
; %bb.74:
	s_or_b32 exec_lo, exec_lo, s5
	v_mov_b32_e32 v7, 0
	ds_read_b128 v[122:125], v7 offset:240
	s_waitcnt lgkmcnt(0)
	v_mul_f64 v[7:8], v[1:2], v[124:125]
	v_mul_f64 v[119:120], v[3:4], v[124:125]
	v_fma_f64 v[3:4], v[3:4], v[122:123], -v[7:8]
	v_fma_f64 v[1:2], v[1:2], v[122:123], v[119:120]
	buffer_store_dword v4, off, s[0:3], 0 offset:260
	buffer_store_dword v3, off, s[0:3], 0 offset:256
	;; [unrolled: 1-line block ×4, first 2 shown]
.LBB118_75:
	s_or_b32 exec_lo, exec_lo, s4
	v_mov_b32_e32 v4, s51
	s_waitcnt_vscnt null, 0x0
	s_barrier
	buffer_gl0_inv
	s_mov_b32 s4, exec_lo
	s_clause 0x3
	buffer_load_dword v1, v4, s[0:3], 0 offen
	buffer_load_dword v2, v4, s[0:3], 0 offen offset:4
	buffer_load_dword v3, v4, s[0:3], 0 offen offset:8
	;; [unrolled: 1-line block ×3, first 2 shown]
	s_waitcnt vmcnt(0)
	ds_write_b128 v5, v[1:4]
	s_waitcnt lgkmcnt(0)
	s_barrier
	buffer_gl0_inv
	v_cmpx_gt_u32_e32 16, v0
	s_cbranch_execz .LBB118_79
; %bb.76:
	v_mov_b32_e32 v1, 0
	v_mov_b32_e32 v3, 0
	v_add_nc_u32_e32 v7, -1, v0
	v_add_nc_u32_e32 v8, 0x370, v121
	v_mov_b32_e32 v2, 0
	v_mov_b32_e32 v4, 0
	v_add_nc_u32_e32 v119, 16, v121
	s_mov_b32 s5, 0
	.p2align	6
.LBB118_77:                             ; =>This Inner Loop Header: Depth=1
	s_clause 0x3
	buffer_load_dword v126, v119, s[0:3], 0 offen offset:8
	buffer_load_dword v127, v119, s[0:3], 0 offen offset:12
	buffer_load_dword v128, v119, s[0:3], 0 offen
	buffer_load_dword v129, v119, s[0:3], 0 offen offset:4
	ds_read_b128 v[122:125], v8
	v_add_nc_u32_e32 v7, 1, v7
	v_add_nc_u32_e32 v8, 16, v8
	v_add_nc_u32_e32 v119, 16, v119
	v_cmp_lt_u32_e32 vcc_lo, 14, v7
	s_or_b32 s5, vcc_lo, s5
	s_waitcnt vmcnt(2) lgkmcnt(0)
	v_mul_f64 v[130:131], v[124:125], v[126:127]
	v_mul_f64 v[126:127], v[122:123], v[126:127]
	s_waitcnt vmcnt(0)
	v_fma_f64 v[122:123], v[122:123], v[128:129], -v[130:131]
	v_fma_f64 v[124:125], v[124:125], v[128:129], v[126:127]
	v_add_f64 v[3:4], v[3:4], v[122:123]
	v_add_f64 v[1:2], v[1:2], v[124:125]
	s_andn2_b32 exec_lo, exec_lo, s5
	s_cbranch_execnz .LBB118_77
; %bb.78:
	s_or_b32 exec_lo, exec_lo, s5
	v_mov_b32_e32 v7, 0
	ds_read_b128 v[122:125], v7 offset:256
	s_waitcnt lgkmcnt(0)
	v_mul_f64 v[7:8], v[1:2], v[124:125]
	v_mul_f64 v[119:120], v[3:4], v[124:125]
	v_fma_f64 v[3:4], v[3:4], v[122:123], -v[7:8]
	v_fma_f64 v[1:2], v[1:2], v[122:123], v[119:120]
	buffer_store_dword v4, off, s[0:3], 0 offset:276
	buffer_store_dword v3, off, s[0:3], 0 offset:272
	;; [unrolled: 1-line block ×4, first 2 shown]
.LBB118_79:
	s_or_b32 exec_lo, exec_lo, s4
	v_mov_b32_e32 v4, s50
	s_waitcnt_vscnt null, 0x0
	s_barrier
	buffer_gl0_inv
	s_mov_b32 s4, exec_lo
	s_clause 0x3
	buffer_load_dword v1, v4, s[0:3], 0 offen
	buffer_load_dword v2, v4, s[0:3], 0 offen offset:4
	buffer_load_dword v3, v4, s[0:3], 0 offen offset:8
	buffer_load_dword v4, v4, s[0:3], 0 offen offset:12
	s_waitcnt vmcnt(0)
	ds_write_b128 v5, v[1:4]
	s_waitcnt lgkmcnt(0)
	s_barrier
	buffer_gl0_inv
	v_cmpx_gt_u32_e32 17, v0
	s_cbranch_execz .LBB118_83
; %bb.80:
	v_mov_b32_e32 v1, 0
	v_mov_b32_e32 v3, 0
	v_add_nc_u32_e32 v7, -1, v0
	v_add_nc_u32_e32 v8, 0x370, v121
	v_mov_b32_e32 v2, 0
	v_mov_b32_e32 v4, 0
	v_add_nc_u32_e32 v119, 16, v121
	s_mov_b32 s5, 0
	.p2align	6
.LBB118_81:                             ; =>This Inner Loop Header: Depth=1
	s_clause 0x3
	buffer_load_dword v126, v119, s[0:3], 0 offen offset:8
	buffer_load_dword v127, v119, s[0:3], 0 offen offset:12
	buffer_load_dword v128, v119, s[0:3], 0 offen
	buffer_load_dword v129, v119, s[0:3], 0 offen offset:4
	ds_read_b128 v[122:125], v8
	v_add_nc_u32_e32 v7, 1, v7
	v_add_nc_u32_e32 v8, 16, v8
	;; [unrolled: 1-line block ×3, first 2 shown]
	v_cmp_lt_u32_e32 vcc_lo, 15, v7
	s_or_b32 s5, vcc_lo, s5
	s_waitcnt vmcnt(2) lgkmcnt(0)
	v_mul_f64 v[130:131], v[124:125], v[126:127]
	v_mul_f64 v[126:127], v[122:123], v[126:127]
	s_waitcnt vmcnt(0)
	v_fma_f64 v[122:123], v[122:123], v[128:129], -v[130:131]
	v_fma_f64 v[124:125], v[124:125], v[128:129], v[126:127]
	v_add_f64 v[3:4], v[3:4], v[122:123]
	v_add_f64 v[1:2], v[1:2], v[124:125]
	s_andn2_b32 exec_lo, exec_lo, s5
	s_cbranch_execnz .LBB118_81
; %bb.82:
	s_or_b32 exec_lo, exec_lo, s5
	v_mov_b32_e32 v7, 0
	ds_read_b128 v[122:125], v7 offset:272
	s_waitcnt lgkmcnt(0)
	v_mul_f64 v[7:8], v[1:2], v[124:125]
	v_mul_f64 v[119:120], v[3:4], v[124:125]
	v_fma_f64 v[3:4], v[3:4], v[122:123], -v[7:8]
	v_fma_f64 v[1:2], v[1:2], v[122:123], v[119:120]
	buffer_store_dword v4, off, s[0:3], 0 offset:292
	buffer_store_dword v3, off, s[0:3], 0 offset:288
	;; [unrolled: 1-line block ×4, first 2 shown]
.LBB118_83:
	s_or_b32 exec_lo, exec_lo, s4
	v_mov_b32_e32 v4, s49
	s_waitcnt_vscnt null, 0x0
	s_barrier
	buffer_gl0_inv
	s_mov_b32 s4, exec_lo
	s_clause 0x3
	buffer_load_dword v1, v4, s[0:3], 0 offen
	buffer_load_dword v2, v4, s[0:3], 0 offen offset:4
	buffer_load_dword v3, v4, s[0:3], 0 offen offset:8
	buffer_load_dword v4, v4, s[0:3], 0 offen offset:12
	s_waitcnt vmcnt(0)
	ds_write_b128 v5, v[1:4]
	s_waitcnt lgkmcnt(0)
	s_barrier
	buffer_gl0_inv
	v_cmpx_gt_u32_e32 18, v0
	s_cbranch_execz .LBB118_87
; %bb.84:
	v_mov_b32_e32 v1, 0
	v_mov_b32_e32 v3, 0
	v_add_nc_u32_e32 v7, -1, v0
	v_add_nc_u32_e32 v8, 0x370, v121
	v_mov_b32_e32 v2, 0
	v_mov_b32_e32 v4, 0
	v_add_nc_u32_e32 v119, 16, v121
	s_mov_b32 s5, 0
	.p2align	6
.LBB118_85:                             ; =>This Inner Loop Header: Depth=1
	s_clause 0x3
	buffer_load_dword v126, v119, s[0:3], 0 offen offset:8
	buffer_load_dword v127, v119, s[0:3], 0 offen offset:12
	buffer_load_dword v128, v119, s[0:3], 0 offen
	buffer_load_dword v129, v119, s[0:3], 0 offen offset:4
	ds_read_b128 v[122:125], v8
	v_add_nc_u32_e32 v7, 1, v7
	v_add_nc_u32_e32 v8, 16, v8
	;; [unrolled: 1-line block ×3, first 2 shown]
	v_cmp_lt_u32_e32 vcc_lo, 16, v7
	s_or_b32 s5, vcc_lo, s5
	s_waitcnt vmcnt(2) lgkmcnt(0)
	v_mul_f64 v[130:131], v[124:125], v[126:127]
	v_mul_f64 v[126:127], v[122:123], v[126:127]
	s_waitcnt vmcnt(0)
	v_fma_f64 v[122:123], v[122:123], v[128:129], -v[130:131]
	v_fma_f64 v[124:125], v[124:125], v[128:129], v[126:127]
	v_add_f64 v[3:4], v[3:4], v[122:123]
	v_add_f64 v[1:2], v[1:2], v[124:125]
	s_andn2_b32 exec_lo, exec_lo, s5
	s_cbranch_execnz .LBB118_85
; %bb.86:
	s_or_b32 exec_lo, exec_lo, s5
	v_mov_b32_e32 v7, 0
	ds_read_b128 v[122:125], v7 offset:288
	s_waitcnt lgkmcnt(0)
	v_mul_f64 v[7:8], v[1:2], v[124:125]
	v_mul_f64 v[119:120], v[3:4], v[124:125]
	v_fma_f64 v[3:4], v[3:4], v[122:123], -v[7:8]
	v_fma_f64 v[1:2], v[1:2], v[122:123], v[119:120]
	buffer_store_dword v4, off, s[0:3], 0 offset:308
	buffer_store_dword v3, off, s[0:3], 0 offset:304
	;; [unrolled: 1-line block ×4, first 2 shown]
.LBB118_87:
	s_or_b32 exec_lo, exec_lo, s4
	v_mov_b32_e32 v4, s48
	s_waitcnt_vscnt null, 0x0
	s_barrier
	buffer_gl0_inv
	s_mov_b32 s4, exec_lo
	s_clause 0x3
	buffer_load_dword v1, v4, s[0:3], 0 offen
	buffer_load_dword v2, v4, s[0:3], 0 offen offset:4
	buffer_load_dword v3, v4, s[0:3], 0 offen offset:8
	;; [unrolled: 1-line block ×3, first 2 shown]
	s_waitcnt vmcnt(0)
	ds_write_b128 v5, v[1:4]
	s_waitcnt lgkmcnt(0)
	s_barrier
	buffer_gl0_inv
	v_cmpx_gt_u32_e32 19, v0
	s_cbranch_execz .LBB118_91
; %bb.88:
	v_mov_b32_e32 v1, 0
	v_mov_b32_e32 v3, 0
	v_add_nc_u32_e32 v7, -1, v0
	v_add_nc_u32_e32 v8, 0x370, v121
	v_mov_b32_e32 v2, 0
	v_mov_b32_e32 v4, 0
	v_add_nc_u32_e32 v119, 16, v121
	s_mov_b32 s5, 0
	.p2align	6
.LBB118_89:                             ; =>This Inner Loop Header: Depth=1
	s_clause 0x3
	buffer_load_dword v126, v119, s[0:3], 0 offen offset:8
	buffer_load_dword v127, v119, s[0:3], 0 offen offset:12
	buffer_load_dword v128, v119, s[0:3], 0 offen
	buffer_load_dword v129, v119, s[0:3], 0 offen offset:4
	ds_read_b128 v[122:125], v8
	v_add_nc_u32_e32 v7, 1, v7
	v_add_nc_u32_e32 v8, 16, v8
	;; [unrolled: 1-line block ×3, first 2 shown]
	v_cmp_lt_u32_e32 vcc_lo, 17, v7
	s_or_b32 s5, vcc_lo, s5
	s_waitcnt vmcnt(2) lgkmcnt(0)
	v_mul_f64 v[130:131], v[124:125], v[126:127]
	v_mul_f64 v[126:127], v[122:123], v[126:127]
	s_waitcnt vmcnt(0)
	v_fma_f64 v[122:123], v[122:123], v[128:129], -v[130:131]
	v_fma_f64 v[124:125], v[124:125], v[128:129], v[126:127]
	v_add_f64 v[3:4], v[3:4], v[122:123]
	v_add_f64 v[1:2], v[1:2], v[124:125]
	s_andn2_b32 exec_lo, exec_lo, s5
	s_cbranch_execnz .LBB118_89
; %bb.90:
	s_or_b32 exec_lo, exec_lo, s5
	v_mov_b32_e32 v7, 0
	ds_read_b128 v[122:125], v7 offset:304
	s_waitcnt lgkmcnt(0)
	v_mul_f64 v[7:8], v[1:2], v[124:125]
	v_mul_f64 v[119:120], v[3:4], v[124:125]
	v_fma_f64 v[3:4], v[3:4], v[122:123], -v[7:8]
	v_fma_f64 v[1:2], v[1:2], v[122:123], v[119:120]
	buffer_store_dword v4, off, s[0:3], 0 offset:324
	buffer_store_dword v3, off, s[0:3], 0 offset:320
	;; [unrolled: 1-line block ×4, first 2 shown]
.LBB118_91:
	s_or_b32 exec_lo, exec_lo, s4
	v_mov_b32_e32 v4, s47
	s_waitcnt_vscnt null, 0x0
	s_barrier
	buffer_gl0_inv
	s_mov_b32 s4, exec_lo
	s_clause 0x3
	buffer_load_dword v1, v4, s[0:3], 0 offen
	buffer_load_dword v2, v4, s[0:3], 0 offen offset:4
	buffer_load_dword v3, v4, s[0:3], 0 offen offset:8
	;; [unrolled: 1-line block ×3, first 2 shown]
	s_waitcnt vmcnt(0)
	ds_write_b128 v5, v[1:4]
	s_waitcnt lgkmcnt(0)
	s_barrier
	buffer_gl0_inv
	v_cmpx_gt_u32_e32 20, v0
	s_cbranch_execz .LBB118_95
; %bb.92:
	v_mov_b32_e32 v1, 0
	v_mov_b32_e32 v3, 0
	v_add_nc_u32_e32 v7, -1, v0
	v_add_nc_u32_e32 v8, 0x370, v121
	v_mov_b32_e32 v2, 0
	v_mov_b32_e32 v4, 0
	v_add_nc_u32_e32 v119, 16, v121
	s_mov_b32 s5, 0
	.p2align	6
.LBB118_93:                             ; =>This Inner Loop Header: Depth=1
	s_clause 0x3
	buffer_load_dword v126, v119, s[0:3], 0 offen offset:8
	buffer_load_dword v127, v119, s[0:3], 0 offen offset:12
	buffer_load_dword v128, v119, s[0:3], 0 offen
	buffer_load_dword v129, v119, s[0:3], 0 offen offset:4
	ds_read_b128 v[122:125], v8
	v_add_nc_u32_e32 v7, 1, v7
	v_add_nc_u32_e32 v8, 16, v8
	;; [unrolled: 1-line block ×3, first 2 shown]
	v_cmp_lt_u32_e32 vcc_lo, 18, v7
	s_or_b32 s5, vcc_lo, s5
	s_waitcnt vmcnt(2) lgkmcnt(0)
	v_mul_f64 v[130:131], v[124:125], v[126:127]
	v_mul_f64 v[126:127], v[122:123], v[126:127]
	s_waitcnt vmcnt(0)
	v_fma_f64 v[122:123], v[122:123], v[128:129], -v[130:131]
	v_fma_f64 v[124:125], v[124:125], v[128:129], v[126:127]
	v_add_f64 v[3:4], v[3:4], v[122:123]
	v_add_f64 v[1:2], v[1:2], v[124:125]
	s_andn2_b32 exec_lo, exec_lo, s5
	s_cbranch_execnz .LBB118_93
; %bb.94:
	s_or_b32 exec_lo, exec_lo, s5
	v_mov_b32_e32 v7, 0
	ds_read_b128 v[122:125], v7 offset:320
	s_waitcnt lgkmcnt(0)
	v_mul_f64 v[7:8], v[1:2], v[124:125]
	v_mul_f64 v[119:120], v[3:4], v[124:125]
	v_fma_f64 v[3:4], v[3:4], v[122:123], -v[7:8]
	v_fma_f64 v[1:2], v[1:2], v[122:123], v[119:120]
	buffer_store_dword v4, off, s[0:3], 0 offset:340
	buffer_store_dword v3, off, s[0:3], 0 offset:336
	;; [unrolled: 1-line block ×4, first 2 shown]
.LBB118_95:
	s_or_b32 exec_lo, exec_lo, s4
	v_mov_b32_e32 v4, s46
	s_waitcnt_vscnt null, 0x0
	s_barrier
	buffer_gl0_inv
	s_mov_b32 s4, exec_lo
	s_clause 0x3
	buffer_load_dword v1, v4, s[0:3], 0 offen
	buffer_load_dword v2, v4, s[0:3], 0 offen offset:4
	buffer_load_dword v3, v4, s[0:3], 0 offen offset:8
	;; [unrolled: 1-line block ×3, first 2 shown]
	s_waitcnt vmcnt(0)
	ds_write_b128 v5, v[1:4]
	s_waitcnt lgkmcnt(0)
	s_barrier
	buffer_gl0_inv
	v_cmpx_gt_u32_e32 21, v0
	s_cbranch_execz .LBB118_99
; %bb.96:
	v_mov_b32_e32 v1, 0
	v_mov_b32_e32 v3, 0
	v_add_nc_u32_e32 v7, -1, v0
	v_add_nc_u32_e32 v8, 0x370, v121
	v_mov_b32_e32 v2, 0
	v_mov_b32_e32 v4, 0
	v_add_nc_u32_e32 v119, 16, v121
	s_mov_b32 s5, 0
	.p2align	6
.LBB118_97:                             ; =>This Inner Loop Header: Depth=1
	s_clause 0x3
	buffer_load_dword v126, v119, s[0:3], 0 offen offset:8
	buffer_load_dword v127, v119, s[0:3], 0 offen offset:12
	buffer_load_dword v128, v119, s[0:3], 0 offen
	buffer_load_dword v129, v119, s[0:3], 0 offen offset:4
	ds_read_b128 v[122:125], v8
	v_add_nc_u32_e32 v7, 1, v7
	v_add_nc_u32_e32 v8, 16, v8
	;; [unrolled: 1-line block ×3, first 2 shown]
	v_cmp_lt_u32_e32 vcc_lo, 19, v7
	s_or_b32 s5, vcc_lo, s5
	s_waitcnt vmcnt(2) lgkmcnt(0)
	v_mul_f64 v[130:131], v[124:125], v[126:127]
	v_mul_f64 v[126:127], v[122:123], v[126:127]
	s_waitcnt vmcnt(0)
	v_fma_f64 v[122:123], v[122:123], v[128:129], -v[130:131]
	v_fma_f64 v[124:125], v[124:125], v[128:129], v[126:127]
	v_add_f64 v[3:4], v[3:4], v[122:123]
	v_add_f64 v[1:2], v[1:2], v[124:125]
	s_andn2_b32 exec_lo, exec_lo, s5
	s_cbranch_execnz .LBB118_97
; %bb.98:
	s_or_b32 exec_lo, exec_lo, s5
	v_mov_b32_e32 v7, 0
	ds_read_b128 v[122:125], v7 offset:336
	s_waitcnt lgkmcnt(0)
	v_mul_f64 v[7:8], v[1:2], v[124:125]
	v_mul_f64 v[119:120], v[3:4], v[124:125]
	v_fma_f64 v[3:4], v[3:4], v[122:123], -v[7:8]
	v_fma_f64 v[1:2], v[1:2], v[122:123], v[119:120]
	buffer_store_dword v4, off, s[0:3], 0 offset:356
	buffer_store_dword v3, off, s[0:3], 0 offset:352
	;; [unrolled: 1-line block ×4, first 2 shown]
.LBB118_99:
	s_or_b32 exec_lo, exec_lo, s4
	v_mov_b32_e32 v4, s45
	s_waitcnt_vscnt null, 0x0
	s_barrier
	buffer_gl0_inv
	s_mov_b32 s4, exec_lo
	s_clause 0x3
	buffer_load_dword v1, v4, s[0:3], 0 offen
	buffer_load_dword v2, v4, s[0:3], 0 offen offset:4
	buffer_load_dword v3, v4, s[0:3], 0 offen offset:8
	;; [unrolled: 1-line block ×3, first 2 shown]
	s_waitcnt vmcnt(0)
	ds_write_b128 v5, v[1:4]
	s_waitcnt lgkmcnt(0)
	s_barrier
	buffer_gl0_inv
	v_cmpx_gt_u32_e32 22, v0
	s_cbranch_execz .LBB118_103
; %bb.100:
	v_mov_b32_e32 v1, 0
	v_mov_b32_e32 v3, 0
	v_add_nc_u32_e32 v7, -1, v0
	v_add_nc_u32_e32 v8, 0x370, v121
	v_mov_b32_e32 v2, 0
	v_mov_b32_e32 v4, 0
	v_add_nc_u32_e32 v119, 16, v121
	s_mov_b32 s5, 0
	.p2align	6
.LBB118_101:                            ; =>This Inner Loop Header: Depth=1
	s_clause 0x3
	buffer_load_dword v126, v119, s[0:3], 0 offen offset:8
	buffer_load_dword v127, v119, s[0:3], 0 offen offset:12
	buffer_load_dword v128, v119, s[0:3], 0 offen
	buffer_load_dword v129, v119, s[0:3], 0 offen offset:4
	ds_read_b128 v[122:125], v8
	v_add_nc_u32_e32 v7, 1, v7
	v_add_nc_u32_e32 v8, 16, v8
	;; [unrolled: 1-line block ×3, first 2 shown]
	v_cmp_lt_u32_e32 vcc_lo, 20, v7
	s_or_b32 s5, vcc_lo, s5
	s_waitcnt vmcnt(2) lgkmcnt(0)
	v_mul_f64 v[130:131], v[124:125], v[126:127]
	v_mul_f64 v[126:127], v[122:123], v[126:127]
	s_waitcnt vmcnt(0)
	v_fma_f64 v[122:123], v[122:123], v[128:129], -v[130:131]
	v_fma_f64 v[124:125], v[124:125], v[128:129], v[126:127]
	v_add_f64 v[3:4], v[3:4], v[122:123]
	v_add_f64 v[1:2], v[1:2], v[124:125]
	s_andn2_b32 exec_lo, exec_lo, s5
	s_cbranch_execnz .LBB118_101
; %bb.102:
	s_or_b32 exec_lo, exec_lo, s5
	v_mov_b32_e32 v7, 0
	ds_read_b128 v[122:125], v7 offset:352
	s_waitcnt lgkmcnt(0)
	v_mul_f64 v[7:8], v[1:2], v[124:125]
	v_mul_f64 v[119:120], v[3:4], v[124:125]
	v_fma_f64 v[3:4], v[3:4], v[122:123], -v[7:8]
	v_fma_f64 v[1:2], v[1:2], v[122:123], v[119:120]
	buffer_store_dword v4, off, s[0:3], 0 offset:372
	buffer_store_dword v3, off, s[0:3], 0 offset:368
	;; [unrolled: 1-line block ×4, first 2 shown]
.LBB118_103:
	s_or_b32 exec_lo, exec_lo, s4
	v_mov_b32_e32 v4, s44
	s_waitcnt_vscnt null, 0x0
	s_barrier
	buffer_gl0_inv
	s_mov_b32 s4, exec_lo
	s_clause 0x3
	buffer_load_dword v1, v4, s[0:3], 0 offen
	buffer_load_dword v2, v4, s[0:3], 0 offen offset:4
	buffer_load_dword v3, v4, s[0:3], 0 offen offset:8
	;; [unrolled: 1-line block ×3, first 2 shown]
	s_waitcnt vmcnt(0)
	ds_write_b128 v5, v[1:4]
	s_waitcnt lgkmcnt(0)
	s_barrier
	buffer_gl0_inv
	v_cmpx_gt_u32_e32 23, v0
	s_cbranch_execz .LBB118_107
; %bb.104:
	v_mov_b32_e32 v1, 0
	v_mov_b32_e32 v3, 0
	v_add_nc_u32_e32 v7, -1, v0
	v_add_nc_u32_e32 v8, 0x370, v121
	v_mov_b32_e32 v2, 0
	v_mov_b32_e32 v4, 0
	v_add_nc_u32_e32 v119, 16, v121
	s_mov_b32 s5, 0
	.p2align	6
.LBB118_105:                            ; =>This Inner Loop Header: Depth=1
	s_clause 0x3
	buffer_load_dword v126, v119, s[0:3], 0 offen offset:8
	buffer_load_dword v127, v119, s[0:3], 0 offen offset:12
	buffer_load_dword v128, v119, s[0:3], 0 offen
	buffer_load_dword v129, v119, s[0:3], 0 offen offset:4
	ds_read_b128 v[122:125], v8
	v_add_nc_u32_e32 v7, 1, v7
	v_add_nc_u32_e32 v8, 16, v8
	;; [unrolled: 1-line block ×3, first 2 shown]
	v_cmp_lt_u32_e32 vcc_lo, 21, v7
	s_or_b32 s5, vcc_lo, s5
	s_waitcnt vmcnt(2) lgkmcnt(0)
	v_mul_f64 v[130:131], v[124:125], v[126:127]
	v_mul_f64 v[126:127], v[122:123], v[126:127]
	s_waitcnt vmcnt(0)
	v_fma_f64 v[122:123], v[122:123], v[128:129], -v[130:131]
	v_fma_f64 v[124:125], v[124:125], v[128:129], v[126:127]
	v_add_f64 v[3:4], v[3:4], v[122:123]
	v_add_f64 v[1:2], v[1:2], v[124:125]
	s_andn2_b32 exec_lo, exec_lo, s5
	s_cbranch_execnz .LBB118_105
; %bb.106:
	s_or_b32 exec_lo, exec_lo, s5
	v_mov_b32_e32 v7, 0
	ds_read_b128 v[122:125], v7 offset:368
	s_waitcnt lgkmcnt(0)
	v_mul_f64 v[7:8], v[1:2], v[124:125]
	v_mul_f64 v[119:120], v[3:4], v[124:125]
	v_fma_f64 v[3:4], v[3:4], v[122:123], -v[7:8]
	v_fma_f64 v[1:2], v[1:2], v[122:123], v[119:120]
	buffer_store_dword v4, off, s[0:3], 0 offset:388
	buffer_store_dword v3, off, s[0:3], 0 offset:384
	;; [unrolled: 1-line block ×4, first 2 shown]
.LBB118_107:
	s_or_b32 exec_lo, exec_lo, s4
	v_mov_b32_e32 v4, s43
	s_waitcnt_vscnt null, 0x0
	s_barrier
	buffer_gl0_inv
	s_mov_b32 s4, exec_lo
	s_clause 0x3
	buffer_load_dword v1, v4, s[0:3], 0 offen
	buffer_load_dword v2, v4, s[0:3], 0 offen offset:4
	buffer_load_dword v3, v4, s[0:3], 0 offen offset:8
	;; [unrolled: 1-line block ×3, first 2 shown]
	s_waitcnt vmcnt(0)
	ds_write_b128 v5, v[1:4]
	s_waitcnt lgkmcnt(0)
	s_barrier
	buffer_gl0_inv
	v_cmpx_gt_u32_e32 24, v0
	s_cbranch_execz .LBB118_111
; %bb.108:
	v_mov_b32_e32 v1, 0
	v_mov_b32_e32 v3, 0
	v_add_nc_u32_e32 v7, -1, v0
	v_add_nc_u32_e32 v8, 0x370, v121
	v_mov_b32_e32 v2, 0
	v_mov_b32_e32 v4, 0
	v_add_nc_u32_e32 v119, 16, v121
	s_mov_b32 s5, 0
	.p2align	6
.LBB118_109:                            ; =>This Inner Loop Header: Depth=1
	s_clause 0x3
	buffer_load_dword v126, v119, s[0:3], 0 offen offset:8
	buffer_load_dword v127, v119, s[0:3], 0 offen offset:12
	buffer_load_dword v128, v119, s[0:3], 0 offen
	buffer_load_dword v129, v119, s[0:3], 0 offen offset:4
	ds_read_b128 v[122:125], v8
	v_add_nc_u32_e32 v7, 1, v7
	v_add_nc_u32_e32 v8, 16, v8
	v_add_nc_u32_e32 v119, 16, v119
	v_cmp_lt_u32_e32 vcc_lo, 22, v7
	s_or_b32 s5, vcc_lo, s5
	s_waitcnt vmcnt(2) lgkmcnt(0)
	v_mul_f64 v[130:131], v[124:125], v[126:127]
	v_mul_f64 v[126:127], v[122:123], v[126:127]
	s_waitcnt vmcnt(0)
	v_fma_f64 v[122:123], v[122:123], v[128:129], -v[130:131]
	v_fma_f64 v[124:125], v[124:125], v[128:129], v[126:127]
	v_add_f64 v[3:4], v[3:4], v[122:123]
	v_add_f64 v[1:2], v[1:2], v[124:125]
	s_andn2_b32 exec_lo, exec_lo, s5
	s_cbranch_execnz .LBB118_109
; %bb.110:
	s_or_b32 exec_lo, exec_lo, s5
	v_mov_b32_e32 v7, 0
	ds_read_b128 v[122:125], v7 offset:384
	s_waitcnt lgkmcnt(0)
	v_mul_f64 v[7:8], v[1:2], v[124:125]
	v_mul_f64 v[119:120], v[3:4], v[124:125]
	v_fma_f64 v[3:4], v[3:4], v[122:123], -v[7:8]
	v_fma_f64 v[1:2], v[1:2], v[122:123], v[119:120]
	buffer_store_dword v4, off, s[0:3], 0 offset:404
	buffer_store_dword v3, off, s[0:3], 0 offset:400
	;; [unrolled: 1-line block ×4, first 2 shown]
.LBB118_111:
	s_or_b32 exec_lo, exec_lo, s4
	v_mov_b32_e32 v4, s42
	s_waitcnt_vscnt null, 0x0
	s_barrier
	buffer_gl0_inv
	s_mov_b32 s4, exec_lo
	s_clause 0x3
	buffer_load_dword v1, v4, s[0:3], 0 offen
	buffer_load_dword v2, v4, s[0:3], 0 offen offset:4
	buffer_load_dword v3, v4, s[0:3], 0 offen offset:8
	;; [unrolled: 1-line block ×3, first 2 shown]
	s_waitcnt vmcnt(0)
	ds_write_b128 v5, v[1:4]
	s_waitcnt lgkmcnt(0)
	s_barrier
	buffer_gl0_inv
	v_cmpx_gt_u32_e32 25, v0
	s_cbranch_execz .LBB118_115
; %bb.112:
	v_mov_b32_e32 v1, 0
	v_mov_b32_e32 v3, 0
	v_add_nc_u32_e32 v7, -1, v0
	v_add_nc_u32_e32 v8, 0x370, v121
	v_mov_b32_e32 v2, 0
	v_mov_b32_e32 v4, 0
	v_add_nc_u32_e32 v119, 16, v121
	s_mov_b32 s5, 0
	.p2align	6
.LBB118_113:                            ; =>This Inner Loop Header: Depth=1
	s_clause 0x3
	buffer_load_dword v126, v119, s[0:3], 0 offen offset:8
	buffer_load_dword v127, v119, s[0:3], 0 offen offset:12
	buffer_load_dword v128, v119, s[0:3], 0 offen
	buffer_load_dword v129, v119, s[0:3], 0 offen offset:4
	ds_read_b128 v[122:125], v8
	v_add_nc_u32_e32 v7, 1, v7
	v_add_nc_u32_e32 v8, 16, v8
	;; [unrolled: 1-line block ×3, first 2 shown]
	v_cmp_lt_u32_e32 vcc_lo, 23, v7
	s_or_b32 s5, vcc_lo, s5
	s_waitcnt vmcnt(2) lgkmcnt(0)
	v_mul_f64 v[130:131], v[124:125], v[126:127]
	v_mul_f64 v[126:127], v[122:123], v[126:127]
	s_waitcnt vmcnt(0)
	v_fma_f64 v[122:123], v[122:123], v[128:129], -v[130:131]
	v_fma_f64 v[124:125], v[124:125], v[128:129], v[126:127]
	v_add_f64 v[3:4], v[3:4], v[122:123]
	v_add_f64 v[1:2], v[1:2], v[124:125]
	s_andn2_b32 exec_lo, exec_lo, s5
	s_cbranch_execnz .LBB118_113
; %bb.114:
	s_or_b32 exec_lo, exec_lo, s5
	v_mov_b32_e32 v7, 0
	ds_read_b128 v[122:125], v7 offset:400
	s_waitcnt lgkmcnt(0)
	v_mul_f64 v[7:8], v[1:2], v[124:125]
	v_mul_f64 v[119:120], v[3:4], v[124:125]
	v_fma_f64 v[3:4], v[3:4], v[122:123], -v[7:8]
	v_fma_f64 v[1:2], v[1:2], v[122:123], v[119:120]
	buffer_store_dword v4, off, s[0:3], 0 offset:420
	buffer_store_dword v3, off, s[0:3], 0 offset:416
	buffer_store_dword v2, off, s[0:3], 0 offset:428
	buffer_store_dword v1, off, s[0:3], 0 offset:424
.LBB118_115:
	s_or_b32 exec_lo, exec_lo, s4
	v_mov_b32_e32 v4, s41
	s_waitcnt_vscnt null, 0x0
	s_barrier
	buffer_gl0_inv
	s_mov_b32 s4, exec_lo
	s_clause 0x3
	buffer_load_dword v1, v4, s[0:3], 0 offen
	buffer_load_dword v2, v4, s[0:3], 0 offen offset:4
	buffer_load_dword v3, v4, s[0:3], 0 offen offset:8
	;; [unrolled: 1-line block ×3, first 2 shown]
	s_waitcnt vmcnt(0)
	ds_write_b128 v5, v[1:4]
	s_waitcnt lgkmcnt(0)
	s_barrier
	buffer_gl0_inv
	v_cmpx_gt_u32_e32 26, v0
	s_cbranch_execz .LBB118_119
; %bb.116:
	v_mov_b32_e32 v1, 0
	v_mov_b32_e32 v3, 0
	v_add_nc_u32_e32 v7, -1, v0
	v_add_nc_u32_e32 v8, 0x370, v121
	v_mov_b32_e32 v2, 0
	v_mov_b32_e32 v4, 0
	v_add_nc_u32_e32 v119, 16, v121
	s_mov_b32 s5, 0
	.p2align	6
.LBB118_117:                            ; =>This Inner Loop Header: Depth=1
	s_clause 0x3
	buffer_load_dword v126, v119, s[0:3], 0 offen offset:8
	buffer_load_dword v127, v119, s[0:3], 0 offen offset:12
	buffer_load_dword v128, v119, s[0:3], 0 offen
	buffer_load_dword v129, v119, s[0:3], 0 offen offset:4
	ds_read_b128 v[122:125], v8
	v_add_nc_u32_e32 v7, 1, v7
	v_add_nc_u32_e32 v8, 16, v8
	;; [unrolled: 1-line block ×3, first 2 shown]
	v_cmp_lt_u32_e32 vcc_lo, 24, v7
	s_or_b32 s5, vcc_lo, s5
	s_waitcnt vmcnt(2) lgkmcnt(0)
	v_mul_f64 v[130:131], v[124:125], v[126:127]
	v_mul_f64 v[126:127], v[122:123], v[126:127]
	s_waitcnt vmcnt(0)
	v_fma_f64 v[122:123], v[122:123], v[128:129], -v[130:131]
	v_fma_f64 v[124:125], v[124:125], v[128:129], v[126:127]
	v_add_f64 v[3:4], v[3:4], v[122:123]
	v_add_f64 v[1:2], v[1:2], v[124:125]
	s_andn2_b32 exec_lo, exec_lo, s5
	s_cbranch_execnz .LBB118_117
; %bb.118:
	s_or_b32 exec_lo, exec_lo, s5
	v_mov_b32_e32 v7, 0
	ds_read_b128 v[122:125], v7 offset:416
	s_waitcnt lgkmcnt(0)
	v_mul_f64 v[7:8], v[1:2], v[124:125]
	v_mul_f64 v[119:120], v[3:4], v[124:125]
	v_fma_f64 v[3:4], v[3:4], v[122:123], -v[7:8]
	v_fma_f64 v[1:2], v[1:2], v[122:123], v[119:120]
	buffer_store_dword v4, off, s[0:3], 0 offset:436
	buffer_store_dword v3, off, s[0:3], 0 offset:432
	;; [unrolled: 1-line block ×4, first 2 shown]
.LBB118_119:
	s_or_b32 exec_lo, exec_lo, s4
	v_mov_b32_e32 v4, s40
	s_waitcnt_vscnt null, 0x0
	s_barrier
	buffer_gl0_inv
	s_mov_b32 s4, exec_lo
	s_clause 0x3
	buffer_load_dword v1, v4, s[0:3], 0 offen
	buffer_load_dword v2, v4, s[0:3], 0 offen offset:4
	buffer_load_dword v3, v4, s[0:3], 0 offen offset:8
	;; [unrolled: 1-line block ×3, first 2 shown]
	s_waitcnt vmcnt(0)
	ds_write_b128 v5, v[1:4]
	s_waitcnt lgkmcnt(0)
	s_barrier
	buffer_gl0_inv
	v_cmpx_gt_u32_e32 27, v0
	s_cbranch_execz .LBB118_123
; %bb.120:
	v_mov_b32_e32 v1, 0
	v_mov_b32_e32 v3, 0
	v_add_nc_u32_e32 v7, -1, v0
	v_add_nc_u32_e32 v8, 0x370, v121
	v_mov_b32_e32 v2, 0
	v_mov_b32_e32 v4, 0
	v_add_nc_u32_e32 v119, 16, v121
	s_mov_b32 s5, 0
	.p2align	6
.LBB118_121:                            ; =>This Inner Loop Header: Depth=1
	s_clause 0x3
	buffer_load_dword v126, v119, s[0:3], 0 offen offset:8
	buffer_load_dword v127, v119, s[0:3], 0 offen offset:12
	buffer_load_dword v128, v119, s[0:3], 0 offen
	buffer_load_dword v129, v119, s[0:3], 0 offen offset:4
	ds_read_b128 v[122:125], v8
	v_add_nc_u32_e32 v7, 1, v7
	v_add_nc_u32_e32 v8, 16, v8
	;; [unrolled: 1-line block ×3, first 2 shown]
	v_cmp_lt_u32_e32 vcc_lo, 25, v7
	s_or_b32 s5, vcc_lo, s5
	s_waitcnt vmcnt(2) lgkmcnt(0)
	v_mul_f64 v[130:131], v[124:125], v[126:127]
	v_mul_f64 v[126:127], v[122:123], v[126:127]
	s_waitcnt vmcnt(0)
	v_fma_f64 v[122:123], v[122:123], v[128:129], -v[130:131]
	v_fma_f64 v[124:125], v[124:125], v[128:129], v[126:127]
	v_add_f64 v[3:4], v[3:4], v[122:123]
	v_add_f64 v[1:2], v[1:2], v[124:125]
	s_andn2_b32 exec_lo, exec_lo, s5
	s_cbranch_execnz .LBB118_121
; %bb.122:
	s_or_b32 exec_lo, exec_lo, s5
	v_mov_b32_e32 v7, 0
	ds_read_b128 v[122:125], v7 offset:432
	s_waitcnt lgkmcnt(0)
	v_mul_f64 v[7:8], v[1:2], v[124:125]
	v_mul_f64 v[119:120], v[3:4], v[124:125]
	v_fma_f64 v[3:4], v[3:4], v[122:123], -v[7:8]
	v_fma_f64 v[1:2], v[1:2], v[122:123], v[119:120]
	buffer_store_dword v4, off, s[0:3], 0 offset:452
	buffer_store_dword v3, off, s[0:3], 0 offset:448
	;; [unrolled: 1-line block ×4, first 2 shown]
.LBB118_123:
	s_or_b32 exec_lo, exec_lo, s4
	v_mov_b32_e32 v4, s39
	s_waitcnt_vscnt null, 0x0
	s_barrier
	buffer_gl0_inv
	s_mov_b32 s4, exec_lo
	s_clause 0x3
	buffer_load_dword v1, v4, s[0:3], 0 offen
	buffer_load_dword v2, v4, s[0:3], 0 offen offset:4
	buffer_load_dword v3, v4, s[0:3], 0 offen offset:8
	;; [unrolled: 1-line block ×3, first 2 shown]
	s_waitcnt vmcnt(0)
	ds_write_b128 v5, v[1:4]
	s_waitcnt lgkmcnt(0)
	s_barrier
	buffer_gl0_inv
	v_cmpx_gt_u32_e32 28, v0
	s_cbranch_execz .LBB118_127
; %bb.124:
	v_mov_b32_e32 v1, 0
	v_mov_b32_e32 v3, 0
	v_add_nc_u32_e32 v7, -1, v0
	v_add_nc_u32_e32 v8, 0x370, v121
	v_mov_b32_e32 v2, 0
	v_mov_b32_e32 v4, 0
	v_add_nc_u32_e32 v119, 16, v121
	s_mov_b32 s5, 0
	.p2align	6
.LBB118_125:                            ; =>This Inner Loop Header: Depth=1
	s_clause 0x3
	buffer_load_dword v126, v119, s[0:3], 0 offen offset:8
	buffer_load_dword v127, v119, s[0:3], 0 offen offset:12
	buffer_load_dword v128, v119, s[0:3], 0 offen
	buffer_load_dword v129, v119, s[0:3], 0 offen offset:4
	ds_read_b128 v[122:125], v8
	v_add_nc_u32_e32 v7, 1, v7
	v_add_nc_u32_e32 v8, 16, v8
	;; [unrolled: 1-line block ×3, first 2 shown]
	v_cmp_lt_u32_e32 vcc_lo, 26, v7
	s_or_b32 s5, vcc_lo, s5
	s_waitcnt vmcnt(2) lgkmcnt(0)
	v_mul_f64 v[130:131], v[124:125], v[126:127]
	v_mul_f64 v[126:127], v[122:123], v[126:127]
	s_waitcnt vmcnt(0)
	v_fma_f64 v[122:123], v[122:123], v[128:129], -v[130:131]
	v_fma_f64 v[124:125], v[124:125], v[128:129], v[126:127]
	v_add_f64 v[3:4], v[3:4], v[122:123]
	v_add_f64 v[1:2], v[1:2], v[124:125]
	s_andn2_b32 exec_lo, exec_lo, s5
	s_cbranch_execnz .LBB118_125
; %bb.126:
	s_or_b32 exec_lo, exec_lo, s5
	v_mov_b32_e32 v7, 0
	ds_read_b128 v[122:125], v7 offset:448
	s_waitcnt lgkmcnt(0)
	v_mul_f64 v[7:8], v[1:2], v[124:125]
	v_mul_f64 v[119:120], v[3:4], v[124:125]
	v_fma_f64 v[3:4], v[3:4], v[122:123], -v[7:8]
	v_fma_f64 v[1:2], v[1:2], v[122:123], v[119:120]
	buffer_store_dword v4, off, s[0:3], 0 offset:468
	buffer_store_dword v3, off, s[0:3], 0 offset:464
	;; [unrolled: 1-line block ×4, first 2 shown]
.LBB118_127:
	s_or_b32 exec_lo, exec_lo, s4
	v_mov_b32_e32 v4, s38
	s_waitcnt_vscnt null, 0x0
	s_barrier
	buffer_gl0_inv
	s_mov_b32 s4, exec_lo
	s_clause 0x3
	buffer_load_dword v1, v4, s[0:3], 0 offen
	buffer_load_dword v2, v4, s[0:3], 0 offen offset:4
	buffer_load_dword v3, v4, s[0:3], 0 offen offset:8
	;; [unrolled: 1-line block ×3, first 2 shown]
	s_waitcnt vmcnt(0)
	ds_write_b128 v5, v[1:4]
	s_waitcnt lgkmcnt(0)
	s_barrier
	buffer_gl0_inv
	v_cmpx_gt_u32_e32 29, v0
	s_cbranch_execz .LBB118_131
; %bb.128:
	v_mov_b32_e32 v1, 0
	v_mov_b32_e32 v3, 0
	v_add_nc_u32_e32 v7, -1, v0
	v_add_nc_u32_e32 v8, 0x370, v121
	v_mov_b32_e32 v2, 0
	v_mov_b32_e32 v4, 0
	v_add_nc_u32_e32 v119, 16, v121
	s_mov_b32 s5, 0
	.p2align	6
.LBB118_129:                            ; =>This Inner Loop Header: Depth=1
	s_clause 0x3
	buffer_load_dword v126, v119, s[0:3], 0 offen offset:8
	buffer_load_dword v127, v119, s[0:3], 0 offen offset:12
	buffer_load_dword v128, v119, s[0:3], 0 offen
	buffer_load_dword v129, v119, s[0:3], 0 offen offset:4
	ds_read_b128 v[122:125], v8
	v_add_nc_u32_e32 v7, 1, v7
	v_add_nc_u32_e32 v8, 16, v8
	;; [unrolled: 1-line block ×3, first 2 shown]
	v_cmp_lt_u32_e32 vcc_lo, 27, v7
	s_or_b32 s5, vcc_lo, s5
	s_waitcnt vmcnt(2) lgkmcnt(0)
	v_mul_f64 v[130:131], v[124:125], v[126:127]
	v_mul_f64 v[126:127], v[122:123], v[126:127]
	s_waitcnt vmcnt(0)
	v_fma_f64 v[122:123], v[122:123], v[128:129], -v[130:131]
	v_fma_f64 v[124:125], v[124:125], v[128:129], v[126:127]
	v_add_f64 v[3:4], v[3:4], v[122:123]
	v_add_f64 v[1:2], v[1:2], v[124:125]
	s_andn2_b32 exec_lo, exec_lo, s5
	s_cbranch_execnz .LBB118_129
; %bb.130:
	s_or_b32 exec_lo, exec_lo, s5
	v_mov_b32_e32 v7, 0
	ds_read_b128 v[122:125], v7 offset:464
	s_waitcnt lgkmcnt(0)
	v_mul_f64 v[7:8], v[1:2], v[124:125]
	v_mul_f64 v[119:120], v[3:4], v[124:125]
	v_fma_f64 v[3:4], v[3:4], v[122:123], -v[7:8]
	v_fma_f64 v[1:2], v[1:2], v[122:123], v[119:120]
	buffer_store_dword v4, off, s[0:3], 0 offset:484
	buffer_store_dword v3, off, s[0:3], 0 offset:480
	;; [unrolled: 1-line block ×4, first 2 shown]
.LBB118_131:
	s_or_b32 exec_lo, exec_lo, s4
	v_mov_b32_e32 v4, s37
	s_waitcnt_vscnt null, 0x0
	s_barrier
	buffer_gl0_inv
	s_mov_b32 s4, exec_lo
	s_clause 0x3
	buffer_load_dword v1, v4, s[0:3], 0 offen
	buffer_load_dword v2, v4, s[0:3], 0 offen offset:4
	buffer_load_dword v3, v4, s[0:3], 0 offen offset:8
	;; [unrolled: 1-line block ×3, first 2 shown]
	s_waitcnt vmcnt(0)
	ds_write_b128 v5, v[1:4]
	s_waitcnt lgkmcnt(0)
	s_barrier
	buffer_gl0_inv
	v_cmpx_gt_u32_e32 30, v0
	s_cbranch_execz .LBB118_135
; %bb.132:
	v_mov_b32_e32 v1, 0
	v_mov_b32_e32 v3, 0
	v_add_nc_u32_e32 v7, -1, v0
	v_add_nc_u32_e32 v8, 0x370, v121
	v_mov_b32_e32 v2, 0
	v_mov_b32_e32 v4, 0
	v_add_nc_u32_e32 v119, 16, v121
	s_mov_b32 s5, 0
	.p2align	6
.LBB118_133:                            ; =>This Inner Loop Header: Depth=1
	s_clause 0x3
	buffer_load_dword v126, v119, s[0:3], 0 offen offset:8
	buffer_load_dword v127, v119, s[0:3], 0 offen offset:12
	buffer_load_dword v128, v119, s[0:3], 0 offen
	buffer_load_dword v129, v119, s[0:3], 0 offen offset:4
	ds_read_b128 v[122:125], v8
	v_add_nc_u32_e32 v7, 1, v7
	v_add_nc_u32_e32 v8, 16, v8
	v_add_nc_u32_e32 v119, 16, v119
	v_cmp_lt_u32_e32 vcc_lo, 28, v7
	s_or_b32 s5, vcc_lo, s5
	s_waitcnt vmcnt(2) lgkmcnt(0)
	v_mul_f64 v[130:131], v[124:125], v[126:127]
	v_mul_f64 v[126:127], v[122:123], v[126:127]
	s_waitcnt vmcnt(0)
	v_fma_f64 v[122:123], v[122:123], v[128:129], -v[130:131]
	v_fma_f64 v[124:125], v[124:125], v[128:129], v[126:127]
	v_add_f64 v[3:4], v[3:4], v[122:123]
	v_add_f64 v[1:2], v[1:2], v[124:125]
	s_andn2_b32 exec_lo, exec_lo, s5
	s_cbranch_execnz .LBB118_133
; %bb.134:
	s_or_b32 exec_lo, exec_lo, s5
	v_mov_b32_e32 v7, 0
	ds_read_b128 v[122:125], v7 offset:480
	s_waitcnt lgkmcnt(0)
	v_mul_f64 v[7:8], v[1:2], v[124:125]
	v_mul_f64 v[119:120], v[3:4], v[124:125]
	v_fma_f64 v[3:4], v[3:4], v[122:123], -v[7:8]
	v_fma_f64 v[1:2], v[1:2], v[122:123], v[119:120]
	buffer_store_dword v4, off, s[0:3], 0 offset:500
	buffer_store_dword v3, off, s[0:3], 0 offset:496
	buffer_store_dword v2, off, s[0:3], 0 offset:508
	buffer_store_dword v1, off, s[0:3], 0 offset:504
.LBB118_135:
	s_or_b32 exec_lo, exec_lo, s4
	v_mov_b32_e32 v4, s36
	s_waitcnt_vscnt null, 0x0
	s_barrier
	buffer_gl0_inv
	s_mov_b32 s4, exec_lo
	s_clause 0x3
	buffer_load_dword v1, v4, s[0:3], 0 offen
	buffer_load_dword v2, v4, s[0:3], 0 offen offset:4
	buffer_load_dword v3, v4, s[0:3], 0 offen offset:8
	;; [unrolled: 1-line block ×3, first 2 shown]
	s_waitcnt vmcnt(0)
	ds_write_b128 v5, v[1:4]
	s_waitcnt lgkmcnt(0)
	s_barrier
	buffer_gl0_inv
	v_cmpx_gt_u32_e32 31, v0
	s_cbranch_execz .LBB118_139
; %bb.136:
	v_mov_b32_e32 v1, 0
	v_mov_b32_e32 v3, 0
	v_add_nc_u32_e32 v7, -1, v0
	v_add_nc_u32_e32 v8, 0x370, v121
	v_mov_b32_e32 v2, 0
	v_mov_b32_e32 v4, 0
	v_add_nc_u32_e32 v119, 16, v121
	s_mov_b32 s5, 0
	.p2align	6
.LBB118_137:                            ; =>This Inner Loop Header: Depth=1
	s_clause 0x3
	buffer_load_dword v126, v119, s[0:3], 0 offen offset:8
	buffer_load_dword v127, v119, s[0:3], 0 offen offset:12
	buffer_load_dword v128, v119, s[0:3], 0 offen
	buffer_load_dword v129, v119, s[0:3], 0 offen offset:4
	ds_read_b128 v[122:125], v8
	v_add_nc_u32_e32 v7, 1, v7
	v_add_nc_u32_e32 v8, 16, v8
	;; [unrolled: 1-line block ×3, first 2 shown]
	v_cmp_lt_u32_e32 vcc_lo, 29, v7
	s_or_b32 s5, vcc_lo, s5
	s_waitcnt vmcnt(2) lgkmcnt(0)
	v_mul_f64 v[130:131], v[124:125], v[126:127]
	v_mul_f64 v[126:127], v[122:123], v[126:127]
	s_waitcnt vmcnt(0)
	v_fma_f64 v[122:123], v[122:123], v[128:129], -v[130:131]
	v_fma_f64 v[124:125], v[124:125], v[128:129], v[126:127]
	v_add_f64 v[3:4], v[3:4], v[122:123]
	v_add_f64 v[1:2], v[1:2], v[124:125]
	s_andn2_b32 exec_lo, exec_lo, s5
	s_cbranch_execnz .LBB118_137
; %bb.138:
	s_or_b32 exec_lo, exec_lo, s5
	v_mov_b32_e32 v7, 0
	ds_read_b128 v[122:125], v7 offset:496
	s_waitcnt lgkmcnt(0)
	v_mul_f64 v[7:8], v[1:2], v[124:125]
	v_mul_f64 v[119:120], v[3:4], v[124:125]
	v_fma_f64 v[3:4], v[3:4], v[122:123], -v[7:8]
	v_fma_f64 v[1:2], v[1:2], v[122:123], v[119:120]
	buffer_store_dword v4, off, s[0:3], 0 offset:516
	buffer_store_dword v3, off, s[0:3], 0 offset:512
	;; [unrolled: 1-line block ×4, first 2 shown]
.LBB118_139:
	s_or_b32 exec_lo, exec_lo, s4
	v_mov_b32_e32 v4, s35
	s_waitcnt_vscnt null, 0x0
	s_barrier
	buffer_gl0_inv
	s_mov_b32 s4, exec_lo
	s_clause 0x3
	buffer_load_dword v1, v4, s[0:3], 0 offen
	buffer_load_dword v2, v4, s[0:3], 0 offen offset:4
	buffer_load_dword v3, v4, s[0:3], 0 offen offset:8
	;; [unrolled: 1-line block ×3, first 2 shown]
	s_waitcnt vmcnt(0)
	ds_write_b128 v5, v[1:4]
	s_waitcnt lgkmcnt(0)
	s_barrier
	buffer_gl0_inv
	v_cmpx_gt_u32_e32 32, v0
	s_cbranch_execz .LBB118_143
; %bb.140:
	v_mov_b32_e32 v1, 0
	v_mov_b32_e32 v3, 0
	v_add_nc_u32_e32 v7, -1, v0
	v_add_nc_u32_e32 v8, 0x370, v121
	v_mov_b32_e32 v2, 0
	v_mov_b32_e32 v4, 0
	v_add_nc_u32_e32 v119, 16, v121
	s_mov_b32 s5, 0
	.p2align	6
.LBB118_141:                            ; =>This Inner Loop Header: Depth=1
	s_clause 0x3
	buffer_load_dword v126, v119, s[0:3], 0 offen offset:8
	buffer_load_dword v127, v119, s[0:3], 0 offen offset:12
	buffer_load_dword v128, v119, s[0:3], 0 offen
	buffer_load_dword v129, v119, s[0:3], 0 offen offset:4
	ds_read_b128 v[122:125], v8
	v_add_nc_u32_e32 v7, 1, v7
	v_add_nc_u32_e32 v8, 16, v8
	;; [unrolled: 1-line block ×3, first 2 shown]
	v_cmp_lt_u32_e32 vcc_lo, 30, v7
	s_or_b32 s5, vcc_lo, s5
	s_waitcnt vmcnt(2) lgkmcnt(0)
	v_mul_f64 v[130:131], v[124:125], v[126:127]
	v_mul_f64 v[126:127], v[122:123], v[126:127]
	s_waitcnt vmcnt(0)
	v_fma_f64 v[122:123], v[122:123], v[128:129], -v[130:131]
	v_fma_f64 v[124:125], v[124:125], v[128:129], v[126:127]
	v_add_f64 v[3:4], v[3:4], v[122:123]
	v_add_f64 v[1:2], v[1:2], v[124:125]
	s_andn2_b32 exec_lo, exec_lo, s5
	s_cbranch_execnz .LBB118_141
; %bb.142:
	s_or_b32 exec_lo, exec_lo, s5
	v_mov_b32_e32 v7, 0
	ds_read_b128 v[122:125], v7 offset:512
	s_waitcnt lgkmcnt(0)
	v_mul_f64 v[7:8], v[1:2], v[124:125]
	v_mul_f64 v[119:120], v[3:4], v[124:125]
	v_fma_f64 v[3:4], v[3:4], v[122:123], -v[7:8]
	v_fma_f64 v[1:2], v[1:2], v[122:123], v[119:120]
	buffer_store_dword v4, off, s[0:3], 0 offset:532
	buffer_store_dword v3, off, s[0:3], 0 offset:528
	;; [unrolled: 1-line block ×4, first 2 shown]
.LBB118_143:
	s_or_b32 exec_lo, exec_lo, s4
	v_mov_b32_e32 v4, s34
	s_waitcnt_vscnt null, 0x0
	s_barrier
	buffer_gl0_inv
	s_mov_b32 s4, exec_lo
	s_clause 0x3
	buffer_load_dword v1, v4, s[0:3], 0 offen
	buffer_load_dword v2, v4, s[0:3], 0 offen offset:4
	buffer_load_dword v3, v4, s[0:3], 0 offen offset:8
	;; [unrolled: 1-line block ×3, first 2 shown]
	s_waitcnt vmcnt(0)
	ds_write_b128 v5, v[1:4]
	s_waitcnt lgkmcnt(0)
	s_barrier
	buffer_gl0_inv
	v_cmpx_gt_u32_e32 33, v0
	s_cbranch_execz .LBB118_147
; %bb.144:
	v_mov_b32_e32 v1, 0
	v_mov_b32_e32 v3, 0
	v_add_nc_u32_e32 v7, -1, v0
	v_add_nc_u32_e32 v8, 0x370, v121
	v_mov_b32_e32 v2, 0
	v_mov_b32_e32 v4, 0
	v_add_nc_u32_e32 v119, 16, v121
	s_mov_b32 s5, 0
	.p2align	6
.LBB118_145:                            ; =>This Inner Loop Header: Depth=1
	s_clause 0x3
	buffer_load_dword v126, v119, s[0:3], 0 offen offset:8
	buffer_load_dword v127, v119, s[0:3], 0 offen offset:12
	buffer_load_dword v128, v119, s[0:3], 0 offen
	buffer_load_dword v129, v119, s[0:3], 0 offen offset:4
	ds_read_b128 v[122:125], v8
	v_add_nc_u32_e32 v7, 1, v7
	v_add_nc_u32_e32 v8, 16, v8
	;; [unrolled: 1-line block ×3, first 2 shown]
	v_cmp_lt_u32_e32 vcc_lo, 31, v7
	s_or_b32 s5, vcc_lo, s5
	s_waitcnt vmcnt(2) lgkmcnt(0)
	v_mul_f64 v[130:131], v[124:125], v[126:127]
	v_mul_f64 v[126:127], v[122:123], v[126:127]
	s_waitcnt vmcnt(0)
	v_fma_f64 v[122:123], v[122:123], v[128:129], -v[130:131]
	v_fma_f64 v[124:125], v[124:125], v[128:129], v[126:127]
	v_add_f64 v[3:4], v[3:4], v[122:123]
	v_add_f64 v[1:2], v[1:2], v[124:125]
	s_andn2_b32 exec_lo, exec_lo, s5
	s_cbranch_execnz .LBB118_145
; %bb.146:
	s_or_b32 exec_lo, exec_lo, s5
	v_mov_b32_e32 v7, 0
	ds_read_b128 v[122:125], v7 offset:528
	s_waitcnt lgkmcnt(0)
	v_mul_f64 v[7:8], v[1:2], v[124:125]
	v_mul_f64 v[119:120], v[3:4], v[124:125]
	v_fma_f64 v[3:4], v[3:4], v[122:123], -v[7:8]
	v_fma_f64 v[1:2], v[1:2], v[122:123], v[119:120]
	buffer_store_dword v4, off, s[0:3], 0 offset:548
	buffer_store_dword v3, off, s[0:3], 0 offset:544
	;; [unrolled: 1-line block ×4, first 2 shown]
.LBB118_147:
	s_or_b32 exec_lo, exec_lo, s4
	v_mov_b32_e32 v4, s33
	s_waitcnt_vscnt null, 0x0
	s_barrier
	buffer_gl0_inv
	s_mov_b32 s4, exec_lo
	s_clause 0x3
	buffer_load_dword v1, v4, s[0:3], 0 offen
	buffer_load_dword v2, v4, s[0:3], 0 offen offset:4
	buffer_load_dword v3, v4, s[0:3], 0 offen offset:8
	;; [unrolled: 1-line block ×3, first 2 shown]
	s_waitcnt vmcnt(0)
	ds_write_b128 v5, v[1:4]
	s_waitcnt lgkmcnt(0)
	s_barrier
	buffer_gl0_inv
	v_cmpx_gt_u32_e32 34, v0
	s_cbranch_execz .LBB118_151
; %bb.148:
	v_mov_b32_e32 v1, 0
	v_mov_b32_e32 v3, 0
	v_add_nc_u32_e32 v7, -1, v0
	v_add_nc_u32_e32 v8, 0x370, v121
	v_mov_b32_e32 v2, 0
	v_mov_b32_e32 v4, 0
	v_add_nc_u32_e32 v119, 16, v121
	s_mov_b32 s5, 0
	.p2align	6
.LBB118_149:                            ; =>This Inner Loop Header: Depth=1
	s_clause 0x3
	buffer_load_dword v126, v119, s[0:3], 0 offen offset:8
	buffer_load_dword v127, v119, s[0:3], 0 offen offset:12
	buffer_load_dword v128, v119, s[0:3], 0 offen
	buffer_load_dword v129, v119, s[0:3], 0 offen offset:4
	ds_read_b128 v[122:125], v8
	v_add_nc_u32_e32 v7, 1, v7
	v_add_nc_u32_e32 v8, 16, v8
	v_add_nc_u32_e32 v119, 16, v119
	v_cmp_lt_u32_e32 vcc_lo, 32, v7
	s_or_b32 s5, vcc_lo, s5
	s_waitcnt vmcnt(2) lgkmcnt(0)
	v_mul_f64 v[130:131], v[124:125], v[126:127]
	v_mul_f64 v[126:127], v[122:123], v[126:127]
	s_waitcnt vmcnt(0)
	v_fma_f64 v[122:123], v[122:123], v[128:129], -v[130:131]
	v_fma_f64 v[124:125], v[124:125], v[128:129], v[126:127]
	v_add_f64 v[3:4], v[3:4], v[122:123]
	v_add_f64 v[1:2], v[1:2], v[124:125]
	s_andn2_b32 exec_lo, exec_lo, s5
	s_cbranch_execnz .LBB118_149
; %bb.150:
	s_or_b32 exec_lo, exec_lo, s5
	v_mov_b32_e32 v7, 0
	ds_read_b128 v[122:125], v7 offset:544
	s_waitcnt lgkmcnt(0)
	v_mul_f64 v[7:8], v[1:2], v[124:125]
	v_mul_f64 v[119:120], v[3:4], v[124:125]
	v_fma_f64 v[3:4], v[3:4], v[122:123], -v[7:8]
	v_fma_f64 v[1:2], v[1:2], v[122:123], v[119:120]
	buffer_store_dword v4, off, s[0:3], 0 offset:564
	buffer_store_dword v3, off, s[0:3], 0 offset:560
	;; [unrolled: 1-line block ×4, first 2 shown]
.LBB118_151:
	s_or_b32 exec_lo, exec_lo, s4
	v_mov_b32_e32 v4, s31
	s_waitcnt_vscnt null, 0x0
	s_barrier
	buffer_gl0_inv
	s_mov_b32 s4, exec_lo
	s_clause 0x3
	buffer_load_dword v1, v4, s[0:3], 0 offen
	buffer_load_dword v2, v4, s[0:3], 0 offen offset:4
	buffer_load_dword v3, v4, s[0:3], 0 offen offset:8
	;; [unrolled: 1-line block ×3, first 2 shown]
	s_waitcnt vmcnt(0)
	ds_write_b128 v5, v[1:4]
	s_waitcnt lgkmcnt(0)
	s_barrier
	buffer_gl0_inv
	v_cmpx_gt_u32_e32 35, v0
	s_cbranch_execz .LBB118_155
; %bb.152:
	v_mov_b32_e32 v1, 0
	v_mov_b32_e32 v3, 0
	v_add_nc_u32_e32 v7, -1, v0
	v_add_nc_u32_e32 v8, 0x370, v121
	v_mov_b32_e32 v2, 0
	v_mov_b32_e32 v4, 0
	v_add_nc_u32_e32 v119, 16, v121
	s_mov_b32 s5, 0
	.p2align	6
.LBB118_153:                            ; =>This Inner Loop Header: Depth=1
	s_clause 0x3
	buffer_load_dword v126, v119, s[0:3], 0 offen offset:8
	buffer_load_dword v127, v119, s[0:3], 0 offen offset:12
	buffer_load_dword v128, v119, s[0:3], 0 offen
	buffer_load_dword v129, v119, s[0:3], 0 offen offset:4
	ds_read_b128 v[122:125], v8
	v_add_nc_u32_e32 v7, 1, v7
	v_add_nc_u32_e32 v8, 16, v8
	v_add_nc_u32_e32 v119, 16, v119
	v_cmp_lt_u32_e32 vcc_lo, 33, v7
	s_or_b32 s5, vcc_lo, s5
	s_waitcnt vmcnt(2) lgkmcnt(0)
	v_mul_f64 v[130:131], v[124:125], v[126:127]
	v_mul_f64 v[126:127], v[122:123], v[126:127]
	s_waitcnt vmcnt(0)
	v_fma_f64 v[122:123], v[122:123], v[128:129], -v[130:131]
	v_fma_f64 v[124:125], v[124:125], v[128:129], v[126:127]
	v_add_f64 v[3:4], v[3:4], v[122:123]
	v_add_f64 v[1:2], v[1:2], v[124:125]
	s_andn2_b32 exec_lo, exec_lo, s5
	s_cbranch_execnz .LBB118_153
; %bb.154:
	s_or_b32 exec_lo, exec_lo, s5
	v_mov_b32_e32 v7, 0
	ds_read_b128 v[122:125], v7 offset:560
	s_waitcnt lgkmcnt(0)
	v_mul_f64 v[7:8], v[1:2], v[124:125]
	v_mul_f64 v[119:120], v[3:4], v[124:125]
	v_fma_f64 v[3:4], v[3:4], v[122:123], -v[7:8]
	v_fma_f64 v[1:2], v[1:2], v[122:123], v[119:120]
	buffer_store_dword v4, off, s[0:3], 0 offset:580
	buffer_store_dword v3, off, s[0:3], 0 offset:576
	;; [unrolled: 1-line block ×4, first 2 shown]
.LBB118_155:
	s_or_b32 exec_lo, exec_lo, s4
	v_mov_b32_e32 v4, s30
	s_waitcnt_vscnt null, 0x0
	s_barrier
	buffer_gl0_inv
	s_mov_b32 s4, exec_lo
	s_clause 0x3
	buffer_load_dword v1, v4, s[0:3], 0 offen
	buffer_load_dword v2, v4, s[0:3], 0 offen offset:4
	buffer_load_dword v3, v4, s[0:3], 0 offen offset:8
	buffer_load_dword v4, v4, s[0:3], 0 offen offset:12
	s_waitcnt vmcnt(0)
	ds_write_b128 v5, v[1:4]
	s_waitcnt lgkmcnt(0)
	s_barrier
	buffer_gl0_inv
	v_cmpx_gt_u32_e32 36, v0
	s_cbranch_execz .LBB118_159
; %bb.156:
	v_mov_b32_e32 v1, 0
	v_mov_b32_e32 v3, 0
	v_add_nc_u32_e32 v7, -1, v0
	v_add_nc_u32_e32 v8, 0x370, v121
	v_mov_b32_e32 v2, 0
	v_mov_b32_e32 v4, 0
	v_add_nc_u32_e32 v119, 16, v121
	s_mov_b32 s5, 0
	.p2align	6
.LBB118_157:                            ; =>This Inner Loop Header: Depth=1
	s_clause 0x3
	buffer_load_dword v126, v119, s[0:3], 0 offen offset:8
	buffer_load_dword v127, v119, s[0:3], 0 offen offset:12
	buffer_load_dword v128, v119, s[0:3], 0 offen
	buffer_load_dword v129, v119, s[0:3], 0 offen offset:4
	ds_read_b128 v[122:125], v8
	v_add_nc_u32_e32 v7, 1, v7
	v_add_nc_u32_e32 v8, 16, v8
	;; [unrolled: 1-line block ×3, first 2 shown]
	v_cmp_lt_u32_e32 vcc_lo, 34, v7
	s_or_b32 s5, vcc_lo, s5
	s_waitcnt vmcnt(2) lgkmcnt(0)
	v_mul_f64 v[130:131], v[124:125], v[126:127]
	v_mul_f64 v[126:127], v[122:123], v[126:127]
	s_waitcnt vmcnt(0)
	v_fma_f64 v[122:123], v[122:123], v[128:129], -v[130:131]
	v_fma_f64 v[124:125], v[124:125], v[128:129], v[126:127]
	v_add_f64 v[3:4], v[3:4], v[122:123]
	v_add_f64 v[1:2], v[1:2], v[124:125]
	s_andn2_b32 exec_lo, exec_lo, s5
	s_cbranch_execnz .LBB118_157
; %bb.158:
	s_or_b32 exec_lo, exec_lo, s5
	v_mov_b32_e32 v7, 0
	ds_read_b128 v[122:125], v7 offset:576
	s_waitcnt lgkmcnt(0)
	v_mul_f64 v[7:8], v[1:2], v[124:125]
	v_mul_f64 v[119:120], v[3:4], v[124:125]
	v_fma_f64 v[3:4], v[3:4], v[122:123], -v[7:8]
	v_fma_f64 v[1:2], v[1:2], v[122:123], v[119:120]
	buffer_store_dword v4, off, s[0:3], 0 offset:596
	buffer_store_dword v3, off, s[0:3], 0 offset:592
	;; [unrolled: 1-line block ×4, first 2 shown]
.LBB118_159:
	s_or_b32 exec_lo, exec_lo, s4
	v_mov_b32_e32 v4, s29
	s_waitcnt_vscnt null, 0x0
	s_barrier
	buffer_gl0_inv
	s_mov_b32 s4, exec_lo
	s_clause 0x3
	buffer_load_dword v1, v4, s[0:3], 0 offen
	buffer_load_dword v2, v4, s[0:3], 0 offen offset:4
	buffer_load_dword v3, v4, s[0:3], 0 offen offset:8
	;; [unrolled: 1-line block ×3, first 2 shown]
	s_waitcnt vmcnt(0)
	ds_write_b128 v5, v[1:4]
	s_waitcnt lgkmcnt(0)
	s_barrier
	buffer_gl0_inv
	v_cmpx_gt_u32_e32 37, v0
	s_cbranch_execz .LBB118_163
; %bb.160:
	v_mov_b32_e32 v1, 0
	v_mov_b32_e32 v3, 0
	v_add_nc_u32_e32 v7, -1, v0
	v_add_nc_u32_e32 v8, 0x370, v121
	v_mov_b32_e32 v2, 0
	v_mov_b32_e32 v4, 0
	v_add_nc_u32_e32 v119, 16, v121
	s_mov_b32 s5, 0
	.p2align	6
.LBB118_161:                            ; =>This Inner Loop Header: Depth=1
	s_clause 0x3
	buffer_load_dword v126, v119, s[0:3], 0 offen offset:8
	buffer_load_dword v127, v119, s[0:3], 0 offen offset:12
	buffer_load_dword v128, v119, s[0:3], 0 offen
	buffer_load_dword v129, v119, s[0:3], 0 offen offset:4
	ds_read_b128 v[122:125], v8
	v_add_nc_u32_e32 v7, 1, v7
	v_add_nc_u32_e32 v8, 16, v8
	;; [unrolled: 1-line block ×3, first 2 shown]
	v_cmp_lt_u32_e32 vcc_lo, 35, v7
	s_or_b32 s5, vcc_lo, s5
	s_waitcnt vmcnt(2) lgkmcnt(0)
	v_mul_f64 v[130:131], v[124:125], v[126:127]
	v_mul_f64 v[126:127], v[122:123], v[126:127]
	s_waitcnt vmcnt(0)
	v_fma_f64 v[122:123], v[122:123], v[128:129], -v[130:131]
	v_fma_f64 v[124:125], v[124:125], v[128:129], v[126:127]
	v_add_f64 v[3:4], v[3:4], v[122:123]
	v_add_f64 v[1:2], v[1:2], v[124:125]
	s_andn2_b32 exec_lo, exec_lo, s5
	s_cbranch_execnz .LBB118_161
; %bb.162:
	s_or_b32 exec_lo, exec_lo, s5
	v_mov_b32_e32 v7, 0
	ds_read_b128 v[122:125], v7 offset:592
	s_waitcnt lgkmcnt(0)
	v_mul_f64 v[7:8], v[1:2], v[124:125]
	v_mul_f64 v[119:120], v[3:4], v[124:125]
	v_fma_f64 v[3:4], v[3:4], v[122:123], -v[7:8]
	v_fma_f64 v[1:2], v[1:2], v[122:123], v[119:120]
	buffer_store_dword v4, off, s[0:3], 0 offset:612
	buffer_store_dword v3, off, s[0:3], 0 offset:608
	;; [unrolled: 1-line block ×4, first 2 shown]
.LBB118_163:
	s_or_b32 exec_lo, exec_lo, s4
	v_mov_b32_e32 v4, s28
	s_waitcnt_vscnt null, 0x0
	s_barrier
	buffer_gl0_inv
	s_mov_b32 s4, exec_lo
	s_clause 0x3
	buffer_load_dword v1, v4, s[0:3], 0 offen
	buffer_load_dword v2, v4, s[0:3], 0 offen offset:4
	buffer_load_dword v3, v4, s[0:3], 0 offen offset:8
	;; [unrolled: 1-line block ×3, first 2 shown]
	s_waitcnt vmcnt(0)
	ds_write_b128 v5, v[1:4]
	s_waitcnt lgkmcnt(0)
	s_barrier
	buffer_gl0_inv
	v_cmpx_gt_u32_e32 38, v0
	s_cbranch_execz .LBB118_167
; %bb.164:
	v_mov_b32_e32 v1, 0
	v_mov_b32_e32 v3, 0
	v_add_nc_u32_e32 v7, -1, v0
	v_add_nc_u32_e32 v8, 0x370, v121
	v_mov_b32_e32 v2, 0
	v_mov_b32_e32 v4, 0
	v_add_nc_u32_e32 v119, 16, v121
	s_mov_b32 s5, 0
	.p2align	6
.LBB118_165:                            ; =>This Inner Loop Header: Depth=1
	s_clause 0x3
	buffer_load_dword v126, v119, s[0:3], 0 offen offset:8
	buffer_load_dword v127, v119, s[0:3], 0 offen offset:12
	buffer_load_dword v128, v119, s[0:3], 0 offen
	buffer_load_dword v129, v119, s[0:3], 0 offen offset:4
	ds_read_b128 v[122:125], v8
	v_add_nc_u32_e32 v7, 1, v7
	v_add_nc_u32_e32 v8, 16, v8
	;; [unrolled: 1-line block ×3, first 2 shown]
	v_cmp_lt_u32_e32 vcc_lo, 36, v7
	s_or_b32 s5, vcc_lo, s5
	s_waitcnt vmcnt(2) lgkmcnt(0)
	v_mul_f64 v[130:131], v[124:125], v[126:127]
	v_mul_f64 v[126:127], v[122:123], v[126:127]
	s_waitcnt vmcnt(0)
	v_fma_f64 v[122:123], v[122:123], v[128:129], -v[130:131]
	v_fma_f64 v[124:125], v[124:125], v[128:129], v[126:127]
	v_add_f64 v[3:4], v[3:4], v[122:123]
	v_add_f64 v[1:2], v[1:2], v[124:125]
	s_andn2_b32 exec_lo, exec_lo, s5
	s_cbranch_execnz .LBB118_165
; %bb.166:
	s_or_b32 exec_lo, exec_lo, s5
	v_mov_b32_e32 v7, 0
	ds_read_b128 v[122:125], v7 offset:608
	s_waitcnt lgkmcnt(0)
	v_mul_f64 v[7:8], v[1:2], v[124:125]
	v_mul_f64 v[119:120], v[3:4], v[124:125]
	v_fma_f64 v[3:4], v[3:4], v[122:123], -v[7:8]
	v_fma_f64 v[1:2], v[1:2], v[122:123], v[119:120]
	buffer_store_dword v4, off, s[0:3], 0 offset:628
	buffer_store_dword v3, off, s[0:3], 0 offset:624
	;; [unrolled: 1-line block ×4, first 2 shown]
.LBB118_167:
	s_or_b32 exec_lo, exec_lo, s4
	v_mov_b32_e32 v4, s27
	s_waitcnt_vscnt null, 0x0
	s_barrier
	buffer_gl0_inv
	s_mov_b32 s4, exec_lo
	s_clause 0x3
	buffer_load_dword v1, v4, s[0:3], 0 offen
	buffer_load_dword v2, v4, s[0:3], 0 offen offset:4
	buffer_load_dword v3, v4, s[0:3], 0 offen offset:8
	;; [unrolled: 1-line block ×3, first 2 shown]
	s_waitcnt vmcnt(0)
	ds_write_b128 v5, v[1:4]
	s_waitcnt lgkmcnt(0)
	s_barrier
	buffer_gl0_inv
	v_cmpx_gt_u32_e32 39, v0
	s_cbranch_execz .LBB118_171
; %bb.168:
	v_mov_b32_e32 v1, 0
	v_mov_b32_e32 v3, 0
	v_add_nc_u32_e32 v7, -1, v0
	v_add_nc_u32_e32 v8, 0x370, v121
	v_mov_b32_e32 v2, 0
	v_mov_b32_e32 v4, 0
	v_add_nc_u32_e32 v119, 16, v121
	s_mov_b32 s5, 0
	.p2align	6
.LBB118_169:                            ; =>This Inner Loop Header: Depth=1
	s_clause 0x3
	buffer_load_dword v126, v119, s[0:3], 0 offen offset:8
	buffer_load_dword v127, v119, s[0:3], 0 offen offset:12
	buffer_load_dword v128, v119, s[0:3], 0 offen
	buffer_load_dword v129, v119, s[0:3], 0 offen offset:4
	ds_read_b128 v[122:125], v8
	v_add_nc_u32_e32 v7, 1, v7
	v_add_nc_u32_e32 v8, 16, v8
	v_add_nc_u32_e32 v119, 16, v119
	v_cmp_lt_u32_e32 vcc_lo, 37, v7
	s_or_b32 s5, vcc_lo, s5
	s_waitcnt vmcnt(2) lgkmcnt(0)
	v_mul_f64 v[130:131], v[124:125], v[126:127]
	v_mul_f64 v[126:127], v[122:123], v[126:127]
	s_waitcnt vmcnt(0)
	v_fma_f64 v[122:123], v[122:123], v[128:129], -v[130:131]
	v_fma_f64 v[124:125], v[124:125], v[128:129], v[126:127]
	v_add_f64 v[3:4], v[3:4], v[122:123]
	v_add_f64 v[1:2], v[1:2], v[124:125]
	s_andn2_b32 exec_lo, exec_lo, s5
	s_cbranch_execnz .LBB118_169
; %bb.170:
	s_or_b32 exec_lo, exec_lo, s5
	v_mov_b32_e32 v7, 0
	ds_read_b128 v[122:125], v7 offset:624
	s_waitcnt lgkmcnt(0)
	v_mul_f64 v[7:8], v[1:2], v[124:125]
	v_mul_f64 v[119:120], v[3:4], v[124:125]
	v_fma_f64 v[3:4], v[3:4], v[122:123], -v[7:8]
	v_fma_f64 v[1:2], v[1:2], v[122:123], v[119:120]
	buffer_store_dword v4, off, s[0:3], 0 offset:644
	buffer_store_dword v3, off, s[0:3], 0 offset:640
	;; [unrolled: 1-line block ×4, first 2 shown]
.LBB118_171:
	s_or_b32 exec_lo, exec_lo, s4
	v_mov_b32_e32 v4, s26
	s_waitcnt_vscnt null, 0x0
	s_barrier
	buffer_gl0_inv
	s_mov_b32 s4, exec_lo
	s_clause 0x3
	buffer_load_dword v1, v4, s[0:3], 0 offen
	buffer_load_dword v2, v4, s[0:3], 0 offen offset:4
	buffer_load_dword v3, v4, s[0:3], 0 offen offset:8
	;; [unrolled: 1-line block ×3, first 2 shown]
	s_waitcnt vmcnt(0)
	ds_write_b128 v5, v[1:4]
	s_waitcnt lgkmcnt(0)
	s_barrier
	buffer_gl0_inv
	v_cmpx_gt_u32_e32 40, v0
	s_cbranch_execz .LBB118_175
; %bb.172:
	v_mov_b32_e32 v1, 0
	v_mov_b32_e32 v3, 0
	v_add_nc_u32_e32 v7, -1, v0
	v_add_nc_u32_e32 v8, 0x370, v121
	v_mov_b32_e32 v2, 0
	v_mov_b32_e32 v4, 0
	v_add_nc_u32_e32 v119, 16, v121
	s_mov_b32 s5, 0
	.p2align	6
.LBB118_173:                            ; =>This Inner Loop Header: Depth=1
	s_clause 0x3
	buffer_load_dword v126, v119, s[0:3], 0 offen offset:8
	buffer_load_dword v127, v119, s[0:3], 0 offen offset:12
	buffer_load_dword v128, v119, s[0:3], 0 offen
	buffer_load_dword v129, v119, s[0:3], 0 offen offset:4
	ds_read_b128 v[122:125], v8
	v_add_nc_u32_e32 v7, 1, v7
	v_add_nc_u32_e32 v8, 16, v8
	;; [unrolled: 1-line block ×3, first 2 shown]
	v_cmp_lt_u32_e32 vcc_lo, 38, v7
	s_or_b32 s5, vcc_lo, s5
	s_waitcnt vmcnt(2) lgkmcnt(0)
	v_mul_f64 v[130:131], v[124:125], v[126:127]
	v_mul_f64 v[126:127], v[122:123], v[126:127]
	s_waitcnt vmcnt(0)
	v_fma_f64 v[122:123], v[122:123], v[128:129], -v[130:131]
	v_fma_f64 v[124:125], v[124:125], v[128:129], v[126:127]
	v_add_f64 v[3:4], v[3:4], v[122:123]
	v_add_f64 v[1:2], v[1:2], v[124:125]
	s_andn2_b32 exec_lo, exec_lo, s5
	s_cbranch_execnz .LBB118_173
; %bb.174:
	s_or_b32 exec_lo, exec_lo, s5
	v_mov_b32_e32 v7, 0
	ds_read_b128 v[122:125], v7 offset:640
	s_waitcnt lgkmcnt(0)
	v_mul_f64 v[7:8], v[1:2], v[124:125]
	v_mul_f64 v[119:120], v[3:4], v[124:125]
	v_fma_f64 v[3:4], v[3:4], v[122:123], -v[7:8]
	v_fma_f64 v[1:2], v[1:2], v[122:123], v[119:120]
	buffer_store_dword v4, off, s[0:3], 0 offset:660
	buffer_store_dword v3, off, s[0:3], 0 offset:656
	;; [unrolled: 1-line block ×4, first 2 shown]
.LBB118_175:
	s_or_b32 exec_lo, exec_lo, s4
	v_mov_b32_e32 v4, s25
	s_waitcnt_vscnt null, 0x0
	s_barrier
	buffer_gl0_inv
	s_mov_b32 s4, exec_lo
	s_clause 0x3
	buffer_load_dword v1, v4, s[0:3], 0 offen
	buffer_load_dword v2, v4, s[0:3], 0 offen offset:4
	buffer_load_dword v3, v4, s[0:3], 0 offen offset:8
	;; [unrolled: 1-line block ×3, first 2 shown]
	s_waitcnt vmcnt(0)
	ds_write_b128 v5, v[1:4]
	s_waitcnt lgkmcnt(0)
	s_barrier
	buffer_gl0_inv
	v_cmpx_gt_u32_e32 41, v0
	s_cbranch_execz .LBB118_179
; %bb.176:
	v_mov_b32_e32 v1, 0
	v_mov_b32_e32 v3, 0
	v_add_nc_u32_e32 v7, -1, v0
	v_add_nc_u32_e32 v8, 0x370, v121
	v_mov_b32_e32 v2, 0
	v_mov_b32_e32 v4, 0
	v_add_nc_u32_e32 v119, 16, v121
	s_mov_b32 s5, 0
	.p2align	6
.LBB118_177:                            ; =>This Inner Loop Header: Depth=1
	s_clause 0x3
	buffer_load_dword v126, v119, s[0:3], 0 offen offset:8
	buffer_load_dword v127, v119, s[0:3], 0 offen offset:12
	buffer_load_dword v128, v119, s[0:3], 0 offen
	buffer_load_dword v129, v119, s[0:3], 0 offen offset:4
	ds_read_b128 v[122:125], v8
	v_add_nc_u32_e32 v7, 1, v7
	v_add_nc_u32_e32 v8, 16, v8
	v_add_nc_u32_e32 v119, 16, v119
	v_cmp_lt_u32_e32 vcc_lo, 39, v7
	s_or_b32 s5, vcc_lo, s5
	s_waitcnt vmcnt(2) lgkmcnt(0)
	v_mul_f64 v[130:131], v[124:125], v[126:127]
	v_mul_f64 v[126:127], v[122:123], v[126:127]
	s_waitcnt vmcnt(0)
	v_fma_f64 v[122:123], v[122:123], v[128:129], -v[130:131]
	v_fma_f64 v[124:125], v[124:125], v[128:129], v[126:127]
	v_add_f64 v[3:4], v[3:4], v[122:123]
	v_add_f64 v[1:2], v[1:2], v[124:125]
	s_andn2_b32 exec_lo, exec_lo, s5
	s_cbranch_execnz .LBB118_177
; %bb.178:
	s_or_b32 exec_lo, exec_lo, s5
	v_mov_b32_e32 v7, 0
	ds_read_b128 v[122:125], v7 offset:656
	s_waitcnt lgkmcnt(0)
	v_mul_f64 v[7:8], v[1:2], v[124:125]
	v_mul_f64 v[119:120], v[3:4], v[124:125]
	v_fma_f64 v[3:4], v[3:4], v[122:123], -v[7:8]
	v_fma_f64 v[1:2], v[1:2], v[122:123], v[119:120]
	buffer_store_dword v4, off, s[0:3], 0 offset:676
	buffer_store_dword v3, off, s[0:3], 0 offset:672
	;; [unrolled: 1-line block ×4, first 2 shown]
.LBB118_179:
	s_or_b32 exec_lo, exec_lo, s4
	v_mov_b32_e32 v4, s24
	s_waitcnt_vscnt null, 0x0
	s_barrier
	buffer_gl0_inv
	s_mov_b32 s4, exec_lo
	s_clause 0x3
	buffer_load_dword v1, v4, s[0:3], 0 offen
	buffer_load_dword v2, v4, s[0:3], 0 offen offset:4
	buffer_load_dword v3, v4, s[0:3], 0 offen offset:8
	;; [unrolled: 1-line block ×3, first 2 shown]
	s_waitcnt vmcnt(0)
	ds_write_b128 v5, v[1:4]
	s_waitcnt lgkmcnt(0)
	s_barrier
	buffer_gl0_inv
	v_cmpx_gt_u32_e32 42, v0
	s_cbranch_execz .LBB118_183
; %bb.180:
	v_mov_b32_e32 v1, 0
	v_mov_b32_e32 v3, 0
	v_add_nc_u32_e32 v7, -1, v0
	v_add_nc_u32_e32 v8, 0x370, v121
	v_mov_b32_e32 v2, 0
	v_mov_b32_e32 v4, 0
	v_add_nc_u32_e32 v119, 16, v121
	s_mov_b32 s5, 0
	.p2align	6
.LBB118_181:                            ; =>This Inner Loop Header: Depth=1
	s_clause 0x3
	buffer_load_dword v126, v119, s[0:3], 0 offen offset:8
	buffer_load_dword v127, v119, s[0:3], 0 offen offset:12
	buffer_load_dword v128, v119, s[0:3], 0 offen
	buffer_load_dword v129, v119, s[0:3], 0 offen offset:4
	ds_read_b128 v[122:125], v8
	v_add_nc_u32_e32 v7, 1, v7
	v_add_nc_u32_e32 v8, 16, v8
	;; [unrolled: 1-line block ×3, first 2 shown]
	v_cmp_lt_u32_e32 vcc_lo, 40, v7
	s_or_b32 s5, vcc_lo, s5
	s_waitcnt vmcnt(2) lgkmcnt(0)
	v_mul_f64 v[130:131], v[124:125], v[126:127]
	v_mul_f64 v[126:127], v[122:123], v[126:127]
	s_waitcnt vmcnt(0)
	v_fma_f64 v[122:123], v[122:123], v[128:129], -v[130:131]
	v_fma_f64 v[124:125], v[124:125], v[128:129], v[126:127]
	v_add_f64 v[3:4], v[3:4], v[122:123]
	v_add_f64 v[1:2], v[1:2], v[124:125]
	s_andn2_b32 exec_lo, exec_lo, s5
	s_cbranch_execnz .LBB118_181
; %bb.182:
	s_or_b32 exec_lo, exec_lo, s5
	v_mov_b32_e32 v7, 0
	ds_read_b128 v[122:125], v7 offset:672
	s_waitcnt lgkmcnt(0)
	v_mul_f64 v[7:8], v[1:2], v[124:125]
	v_mul_f64 v[119:120], v[3:4], v[124:125]
	v_fma_f64 v[3:4], v[3:4], v[122:123], -v[7:8]
	v_fma_f64 v[1:2], v[1:2], v[122:123], v[119:120]
	buffer_store_dword v4, off, s[0:3], 0 offset:692
	buffer_store_dword v3, off, s[0:3], 0 offset:688
	;; [unrolled: 1-line block ×4, first 2 shown]
.LBB118_183:
	s_or_b32 exec_lo, exec_lo, s4
	v_mov_b32_e32 v4, s23
	s_waitcnt_vscnt null, 0x0
	s_barrier
	buffer_gl0_inv
	s_mov_b32 s4, exec_lo
	s_clause 0x3
	buffer_load_dword v1, v4, s[0:3], 0 offen
	buffer_load_dword v2, v4, s[0:3], 0 offen offset:4
	buffer_load_dword v3, v4, s[0:3], 0 offen offset:8
	;; [unrolled: 1-line block ×3, first 2 shown]
	s_waitcnt vmcnt(0)
	ds_write_b128 v5, v[1:4]
	s_waitcnt lgkmcnt(0)
	s_barrier
	buffer_gl0_inv
	v_cmpx_gt_u32_e32 43, v0
	s_cbranch_execz .LBB118_187
; %bb.184:
	v_mov_b32_e32 v1, 0
	v_mov_b32_e32 v3, 0
	v_add_nc_u32_e32 v7, -1, v0
	v_add_nc_u32_e32 v8, 0x370, v121
	v_mov_b32_e32 v2, 0
	v_mov_b32_e32 v4, 0
	v_add_nc_u32_e32 v119, 16, v121
	s_mov_b32 s5, 0
	.p2align	6
.LBB118_185:                            ; =>This Inner Loop Header: Depth=1
	s_clause 0x3
	buffer_load_dword v126, v119, s[0:3], 0 offen offset:8
	buffer_load_dword v127, v119, s[0:3], 0 offen offset:12
	buffer_load_dword v128, v119, s[0:3], 0 offen
	buffer_load_dword v129, v119, s[0:3], 0 offen offset:4
	ds_read_b128 v[122:125], v8
	v_add_nc_u32_e32 v7, 1, v7
	v_add_nc_u32_e32 v8, 16, v8
	;; [unrolled: 1-line block ×3, first 2 shown]
	v_cmp_lt_u32_e32 vcc_lo, 41, v7
	s_or_b32 s5, vcc_lo, s5
	s_waitcnt vmcnt(2) lgkmcnt(0)
	v_mul_f64 v[130:131], v[124:125], v[126:127]
	v_mul_f64 v[126:127], v[122:123], v[126:127]
	s_waitcnt vmcnt(0)
	v_fma_f64 v[122:123], v[122:123], v[128:129], -v[130:131]
	v_fma_f64 v[124:125], v[124:125], v[128:129], v[126:127]
	v_add_f64 v[3:4], v[3:4], v[122:123]
	v_add_f64 v[1:2], v[1:2], v[124:125]
	s_andn2_b32 exec_lo, exec_lo, s5
	s_cbranch_execnz .LBB118_185
; %bb.186:
	s_or_b32 exec_lo, exec_lo, s5
	v_mov_b32_e32 v7, 0
	ds_read_b128 v[122:125], v7 offset:688
	s_waitcnt lgkmcnt(0)
	v_mul_f64 v[7:8], v[1:2], v[124:125]
	v_mul_f64 v[119:120], v[3:4], v[124:125]
	v_fma_f64 v[3:4], v[3:4], v[122:123], -v[7:8]
	v_fma_f64 v[1:2], v[1:2], v[122:123], v[119:120]
	buffer_store_dword v4, off, s[0:3], 0 offset:708
	buffer_store_dword v3, off, s[0:3], 0 offset:704
	;; [unrolled: 1-line block ×4, first 2 shown]
.LBB118_187:
	s_or_b32 exec_lo, exec_lo, s4
	v_mov_b32_e32 v4, s22
	s_waitcnt_vscnt null, 0x0
	s_barrier
	buffer_gl0_inv
	s_mov_b32 s4, exec_lo
	s_clause 0x3
	buffer_load_dword v1, v4, s[0:3], 0 offen
	buffer_load_dword v2, v4, s[0:3], 0 offen offset:4
	buffer_load_dword v3, v4, s[0:3], 0 offen offset:8
	;; [unrolled: 1-line block ×3, first 2 shown]
	s_waitcnt vmcnt(0)
	ds_write_b128 v5, v[1:4]
	s_waitcnt lgkmcnt(0)
	s_barrier
	buffer_gl0_inv
	v_cmpx_gt_u32_e32 44, v0
	s_cbranch_execz .LBB118_191
; %bb.188:
	v_mov_b32_e32 v1, 0
	v_mov_b32_e32 v3, 0
	v_add_nc_u32_e32 v7, -1, v0
	v_add_nc_u32_e32 v8, 0x370, v121
	v_mov_b32_e32 v2, 0
	v_mov_b32_e32 v4, 0
	v_add_nc_u32_e32 v119, 16, v121
	s_mov_b32 s5, 0
	.p2align	6
.LBB118_189:                            ; =>This Inner Loop Header: Depth=1
	s_clause 0x3
	buffer_load_dword v126, v119, s[0:3], 0 offen offset:8
	buffer_load_dword v127, v119, s[0:3], 0 offen offset:12
	buffer_load_dword v128, v119, s[0:3], 0 offen
	buffer_load_dword v129, v119, s[0:3], 0 offen offset:4
	ds_read_b128 v[122:125], v8
	v_add_nc_u32_e32 v7, 1, v7
	v_add_nc_u32_e32 v8, 16, v8
	;; [unrolled: 1-line block ×3, first 2 shown]
	v_cmp_lt_u32_e32 vcc_lo, 42, v7
	s_or_b32 s5, vcc_lo, s5
	s_waitcnt vmcnt(2) lgkmcnt(0)
	v_mul_f64 v[130:131], v[124:125], v[126:127]
	v_mul_f64 v[126:127], v[122:123], v[126:127]
	s_waitcnt vmcnt(0)
	v_fma_f64 v[122:123], v[122:123], v[128:129], -v[130:131]
	v_fma_f64 v[124:125], v[124:125], v[128:129], v[126:127]
	v_add_f64 v[3:4], v[3:4], v[122:123]
	v_add_f64 v[1:2], v[1:2], v[124:125]
	s_andn2_b32 exec_lo, exec_lo, s5
	s_cbranch_execnz .LBB118_189
; %bb.190:
	s_or_b32 exec_lo, exec_lo, s5
	v_mov_b32_e32 v7, 0
	ds_read_b128 v[122:125], v7 offset:704
	s_waitcnt lgkmcnt(0)
	v_mul_f64 v[7:8], v[1:2], v[124:125]
	v_mul_f64 v[119:120], v[3:4], v[124:125]
	v_fma_f64 v[3:4], v[3:4], v[122:123], -v[7:8]
	v_fma_f64 v[1:2], v[1:2], v[122:123], v[119:120]
	buffer_store_dword v4, off, s[0:3], 0 offset:724
	buffer_store_dword v3, off, s[0:3], 0 offset:720
	;; [unrolled: 1-line block ×4, first 2 shown]
.LBB118_191:
	s_or_b32 exec_lo, exec_lo, s4
	v_mov_b32_e32 v4, s21
	s_waitcnt_vscnt null, 0x0
	s_barrier
	buffer_gl0_inv
	s_mov_b32 s4, exec_lo
	s_clause 0x3
	buffer_load_dword v1, v4, s[0:3], 0 offen
	buffer_load_dword v2, v4, s[0:3], 0 offen offset:4
	buffer_load_dword v3, v4, s[0:3], 0 offen offset:8
	;; [unrolled: 1-line block ×3, first 2 shown]
	s_waitcnt vmcnt(0)
	ds_write_b128 v5, v[1:4]
	s_waitcnt lgkmcnt(0)
	s_barrier
	buffer_gl0_inv
	v_cmpx_gt_u32_e32 45, v0
	s_cbranch_execz .LBB118_195
; %bb.192:
	v_mov_b32_e32 v1, 0
	v_mov_b32_e32 v3, 0
	v_add_nc_u32_e32 v7, -1, v0
	v_add_nc_u32_e32 v8, 0x370, v121
	v_mov_b32_e32 v2, 0
	v_mov_b32_e32 v4, 0
	v_add_nc_u32_e32 v119, 16, v121
	s_mov_b32 s5, 0
	.p2align	6
.LBB118_193:                            ; =>This Inner Loop Header: Depth=1
	s_clause 0x3
	buffer_load_dword v126, v119, s[0:3], 0 offen offset:8
	buffer_load_dword v127, v119, s[0:3], 0 offen offset:12
	buffer_load_dword v128, v119, s[0:3], 0 offen
	buffer_load_dword v129, v119, s[0:3], 0 offen offset:4
	ds_read_b128 v[122:125], v8
	v_add_nc_u32_e32 v7, 1, v7
	v_add_nc_u32_e32 v8, 16, v8
	v_add_nc_u32_e32 v119, 16, v119
	v_cmp_lt_u32_e32 vcc_lo, 43, v7
	s_or_b32 s5, vcc_lo, s5
	s_waitcnt vmcnt(2) lgkmcnt(0)
	v_mul_f64 v[130:131], v[124:125], v[126:127]
	v_mul_f64 v[126:127], v[122:123], v[126:127]
	s_waitcnt vmcnt(0)
	v_fma_f64 v[122:123], v[122:123], v[128:129], -v[130:131]
	v_fma_f64 v[124:125], v[124:125], v[128:129], v[126:127]
	v_add_f64 v[3:4], v[3:4], v[122:123]
	v_add_f64 v[1:2], v[1:2], v[124:125]
	s_andn2_b32 exec_lo, exec_lo, s5
	s_cbranch_execnz .LBB118_193
; %bb.194:
	s_or_b32 exec_lo, exec_lo, s5
	v_mov_b32_e32 v7, 0
	ds_read_b128 v[122:125], v7 offset:720
	s_waitcnt lgkmcnt(0)
	v_mul_f64 v[7:8], v[1:2], v[124:125]
	v_mul_f64 v[119:120], v[3:4], v[124:125]
	v_fma_f64 v[3:4], v[3:4], v[122:123], -v[7:8]
	v_fma_f64 v[1:2], v[1:2], v[122:123], v[119:120]
	buffer_store_dword v4, off, s[0:3], 0 offset:740
	buffer_store_dword v3, off, s[0:3], 0 offset:736
	;; [unrolled: 1-line block ×4, first 2 shown]
.LBB118_195:
	s_or_b32 exec_lo, exec_lo, s4
	v_mov_b32_e32 v4, s20
	s_waitcnt_vscnt null, 0x0
	s_barrier
	buffer_gl0_inv
	s_mov_b32 s4, exec_lo
	s_clause 0x3
	buffer_load_dword v1, v4, s[0:3], 0 offen
	buffer_load_dword v2, v4, s[0:3], 0 offen offset:4
	buffer_load_dword v3, v4, s[0:3], 0 offen offset:8
	;; [unrolled: 1-line block ×3, first 2 shown]
	s_waitcnt vmcnt(0)
	ds_write_b128 v5, v[1:4]
	s_waitcnt lgkmcnt(0)
	s_barrier
	buffer_gl0_inv
	v_cmpx_gt_u32_e32 46, v0
	s_cbranch_execz .LBB118_199
; %bb.196:
	v_mov_b32_e32 v1, 0
	v_mov_b32_e32 v3, 0
	v_add_nc_u32_e32 v7, -1, v0
	v_add_nc_u32_e32 v8, 0x370, v121
	v_mov_b32_e32 v2, 0
	v_mov_b32_e32 v4, 0
	v_add_nc_u32_e32 v119, 16, v121
	s_mov_b32 s5, 0
	.p2align	6
.LBB118_197:                            ; =>This Inner Loop Header: Depth=1
	s_clause 0x3
	buffer_load_dword v126, v119, s[0:3], 0 offen offset:8
	buffer_load_dword v127, v119, s[0:3], 0 offen offset:12
	buffer_load_dword v128, v119, s[0:3], 0 offen
	buffer_load_dword v129, v119, s[0:3], 0 offen offset:4
	ds_read_b128 v[122:125], v8
	v_add_nc_u32_e32 v7, 1, v7
	v_add_nc_u32_e32 v8, 16, v8
	;; [unrolled: 1-line block ×3, first 2 shown]
	v_cmp_lt_u32_e32 vcc_lo, 44, v7
	s_or_b32 s5, vcc_lo, s5
	s_waitcnt vmcnt(2) lgkmcnt(0)
	v_mul_f64 v[130:131], v[124:125], v[126:127]
	v_mul_f64 v[126:127], v[122:123], v[126:127]
	s_waitcnt vmcnt(0)
	v_fma_f64 v[122:123], v[122:123], v[128:129], -v[130:131]
	v_fma_f64 v[124:125], v[124:125], v[128:129], v[126:127]
	v_add_f64 v[3:4], v[3:4], v[122:123]
	v_add_f64 v[1:2], v[1:2], v[124:125]
	s_andn2_b32 exec_lo, exec_lo, s5
	s_cbranch_execnz .LBB118_197
; %bb.198:
	s_or_b32 exec_lo, exec_lo, s5
	v_mov_b32_e32 v7, 0
	ds_read_b128 v[122:125], v7 offset:736
	s_waitcnt lgkmcnt(0)
	v_mul_f64 v[7:8], v[1:2], v[124:125]
	v_mul_f64 v[119:120], v[3:4], v[124:125]
	v_fma_f64 v[3:4], v[3:4], v[122:123], -v[7:8]
	v_fma_f64 v[1:2], v[1:2], v[122:123], v[119:120]
	buffer_store_dword v4, off, s[0:3], 0 offset:756
	buffer_store_dword v3, off, s[0:3], 0 offset:752
	;; [unrolled: 1-line block ×4, first 2 shown]
.LBB118_199:
	s_or_b32 exec_lo, exec_lo, s4
	v_mov_b32_e32 v4, s19
	s_waitcnt_vscnt null, 0x0
	s_barrier
	buffer_gl0_inv
	s_mov_b32 s4, exec_lo
	s_clause 0x3
	buffer_load_dword v1, v4, s[0:3], 0 offen
	buffer_load_dword v2, v4, s[0:3], 0 offen offset:4
	buffer_load_dword v3, v4, s[0:3], 0 offen offset:8
	;; [unrolled: 1-line block ×3, first 2 shown]
	s_waitcnt vmcnt(0)
	ds_write_b128 v5, v[1:4]
	s_waitcnt lgkmcnt(0)
	s_barrier
	buffer_gl0_inv
	v_cmpx_gt_u32_e32 47, v0
	s_cbranch_execz .LBB118_203
; %bb.200:
	v_mov_b32_e32 v1, 0
	v_mov_b32_e32 v3, 0
	v_add_nc_u32_e32 v7, -1, v0
	v_add_nc_u32_e32 v8, 0x370, v121
	v_mov_b32_e32 v2, 0
	v_mov_b32_e32 v4, 0
	v_add_nc_u32_e32 v119, 16, v121
	s_mov_b32 s5, 0
	.p2align	6
.LBB118_201:                            ; =>This Inner Loop Header: Depth=1
	s_clause 0x3
	buffer_load_dword v126, v119, s[0:3], 0 offen offset:8
	buffer_load_dword v127, v119, s[0:3], 0 offen offset:12
	buffer_load_dword v128, v119, s[0:3], 0 offen
	buffer_load_dword v129, v119, s[0:3], 0 offen offset:4
	ds_read_b128 v[122:125], v8
	v_add_nc_u32_e32 v7, 1, v7
	v_add_nc_u32_e32 v8, 16, v8
	;; [unrolled: 1-line block ×3, first 2 shown]
	v_cmp_lt_u32_e32 vcc_lo, 45, v7
	s_or_b32 s5, vcc_lo, s5
	s_waitcnt vmcnt(2) lgkmcnt(0)
	v_mul_f64 v[130:131], v[124:125], v[126:127]
	v_mul_f64 v[126:127], v[122:123], v[126:127]
	s_waitcnt vmcnt(0)
	v_fma_f64 v[122:123], v[122:123], v[128:129], -v[130:131]
	v_fma_f64 v[124:125], v[124:125], v[128:129], v[126:127]
	v_add_f64 v[3:4], v[3:4], v[122:123]
	v_add_f64 v[1:2], v[1:2], v[124:125]
	s_andn2_b32 exec_lo, exec_lo, s5
	s_cbranch_execnz .LBB118_201
; %bb.202:
	s_or_b32 exec_lo, exec_lo, s5
	v_mov_b32_e32 v7, 0
	ds_read_b128 v[122:125], v7 offset:752
	s_waitcnt lgkmcnt(0)
	v_mul_f64 v[7:8], v[1:2], v[124:125]
	v_mul_f64 v[119:120], v[3:4], v[124:125]
	v_fma_f64 v[3:4], v[3:4], v[122:123], -v[7:8]
	v_fma_f64 v[1:2], v[1:2], v[122:123], v[119:120]
	buffer_store_dword v4, off, s[0:3], 0 offset:772
	buffer_store_dword v3, off, s[0:3], 0 offset:768
	;; [unrolled: 1-line block ×4, first 2 shown]
.LBB118_203:
	s_or_b32 exec_lo, exec_lo, s4
	v_mov_b32_e32 v4, s18
	s_waitcnt_vscnt null, 0x0
	s_barrier
	buffer_gl0_inv
	s_mov_b32 s4, exec_lo
	s_clause 0x3
	buffer_load_dword v1, v4, s[0:3], 0 offen
	buffer_load_dword v2, v4, s[0:3], 0 offen offset:4
	buffer_load_dword v3, v4, s[0:3], 0 offen offset:8
	;; [unrolled: 1-line block ×3, first 2 shown]
	s_waitcnt vmcnt(0)
	ds_write_b128 v5, v[1:4]
	s_waitcnt lgkmcnt(0)
	s_barrier
	buffer_gl0_inv
	v_cmpx_gt_u32_e32 48, v0
	s_cbranch_execz .LBB118_207
; %bb.204:
	v_mov_b32_e32 v1, 0
	v_mov_b32_e32 v3, 0
	v_add_nc_u32_e32 v7, -1, v0
	v_add_nc_u32_e32 v8, 0x370, v121
	v_mov_b32_e32 v2, 0
	v_mov_b32_e32 v4, 0
	v_add_nc_u32_e32 v119, 16, v121
	s_mov_b32 s5, 0
	.p2align	6
.LBB118_205:                            ; =>This Inner Loop Header: Depth=1
	s_clause 0x3
	buffer_load_dword v126, v119, s[0:3], 0 offen offset:8
	buffer_load_dword v127, v119, s[0:3], 0 offen offset:12
	buffer_load_dword v128, v119, s[0:3], 0 offen
	buffer_load_dword v129, v119, s[0:3], 0 offen offset:4
	ds_read_b128 v[122:125], v8
	v_add_nc_u32_e32 v7, 1, v7
	v_add_nc_u32_e32 v8, 16, v8
	;; [unrolled: 1-line block ×3, first 2 shown]
	v_cmp_lt_u32_e32 vcc_lo, 46, v7
	s_or_b32 s5, vcc_lo, s5
	s_waitcnt vmcnt(2) lgkmcnt(0)
	v_mul_f64 v[130:131], v[124:125], v[126:127]
	v_mul_f64 v[126:127], v[122:123], v[126:127]
	s_waitcnt vmcnt(0)
	v_fma_f64 v[122:123], v[122:123], v[128:129], -v[130:131]
	v_fma_f64 v[124:125], v[124:125], v[128:129], v[126:127]
	v_add_f64 v[3:4], v[3:4], v[122:123]
	v_add_f64 v[1:2], v[1:2], v[124:125]
	s_andn2_b32 exec_lo, exec_lo, s5
	s_cbranch_execnz .LBB118_205
; %bb.206:
	s_or_b32 exec_lo, exec_lo, s5
	v_mov_b32_e32 v7, 0
	ds_read_b128 v[122:125], v7 offset:768
	s_waitcnt lgkmcnt(0)
	v_mul_f64 v[7:8], v[1:2], v[124:125]
	v_mul_f64 v[119:120], v[3:4], v[124:125]
	v_fma_f64 v[3:4], v[3:4], v[122:123], -v[7:8]
	v_fma_f64 v[1:2], v[1:2], v[122:123], v[119:120]
	buffer_store_dword v4, off, s[0:3], 0 offset:788
	buffer_store_dword v3, off, s[0:3], 0 offset:784
	;; [unrolled: 1-line block ×4, first 2 shown]
.LBB118_207:
	s_or_b32 exec_lo, exec_lo, s4
	v_mov_b32_e32 v4, s17
	s_waitcnt_vscnt null, 0x0
	s_barrier
	buffer_gl0_inv
	s_mov_b32 s4, exec_lo
	s_clause 0x3
	buffer_load_dword v1, v4, s[0:3], 0 offen
	buffer_load_dword v2, v4, s[0:3], 0 offen offset:4
	buffer_load_dword v3, v4, s[0:3], 0 offen offset:8
	buffer_load_dword v4, v4, s[0:3], 0 offen offset:12
	s_waitcnt vmcnt(0)
	ds_write_b128 v5, v[1:4]
	s_waitcnt lgkmcnt(0)
	s_barrier
	buffer_gl0_inv
	v_cmpx_gt_u32_e32 49, v0
	s_cbranch_execz .LBB118_211
; %bb.208:
	v_mov_b32_e32 v1, 0
	v_mov_b32_e32 v3, 0
	v_add_nc_u32_e32 v7, -1, v0
	v_add_nc_u32_e32 v8, 0x370, v121
	v_mov_b32_e32 v2, 0
	v_mov_b32_e32 v4, 0
	v_add_nc_u32_e32 v119, 16, v121
	s_mov_b32 s5, 0
	.p2align	6
.LBB118_209:                            ; =>This Inner Loop Header: Depth=1
	s_clause 0x3
	buffer_load_dword v126, v119, s[0:3], 0 offen offset:8
	buffer_load_dword v127, v119, s[0:3], 0 offen offset:12
	buffer_load_dword v128, v119, s[0:3], 0 offen
	buffer_load_dword v129, v119, s[0:3], 0 offen offset:4
	ds_read_b128 v[122:125], v8
	v_add_nc_u32_e32 v7, 1, v7
	v_add_nc_u32_e32 v8, 16, v8
	;; [unrolled: 1-line block ×3, first 2 shown]
	v_cmp_lt_u32_e32 vcc_lo, 47, v7
	s_or_b32 s5, vcc_lo, s5
	s_waitcnt vmcnt(2) lgkmcnt(0)
	v_mul_f64 v[130:131], v[124:125], v[126:127]
	v_mul_f64 v[126:127], v[122:123], v[126:127]
	s_waitcnt vmcnt(0)
	v_fma_f64 v[122:123], v[122:123], v[128:129], -v[130:131]
	v_fma_f64 v[124:125], v[124:125], v[128:129], v[126:127]
	v_add_f64 v[3:4], v[3:4], v[122:123]
	v_add_f64 v[1:2], v[1:2], v[124:125]
	s_andn2_b32 exec_lo, exec_lo, s5
	s_cbranch_execnz .LBB118_209
; %bb.210:
	s_or_b32 exec_lo, exec_lo, s5
	v_mov_b32_e32 v7, 0
	ds_read_b128 v[122:125], v7 offset:784
	s_waitcnt lgkmcnt(0)
	v_mul_f64 v[7:8], v[1:2], v[124:125]
	v_mul_f64 v[119:120], v[3:4], v[124:125]
	v_fma_f64 v[3:4], v[3:4], v[122:123], -v[7:8]
	v_fma_f64 v[1:2], v[1:2], v[122:123], v[119:120]
	buffer_store_dword v4, off, s[0:3], 0 offset:804
	buffer_store_dword v3, off, s[0:3], 0 offset:800
	;; [unrolled: 1-line block ×4, first 2 shown]
.LBB118_211:
	s_or_b32 exec_lo, exec_lo, s4
	v_mov_b32_e32 v4, s16
	s_waitcnt_vscnt null, 0x0
	s_barrier
	buffer_gl0_inv
	s_mov_b32 s4, exec_lo
	s_clause 0x3
	buffer_load_dword v1, v4, s[0:3], 0 offen
	buffer_load_dword v2, v4, s[0:3], 0 offen offset:4
	buffer_load_dword v3, v4, s[0:3], 0 offen offset:8
	;; [unrolled: 1-line block ×3, first 2 shown]
	s_waitcnt vmcnt(0)
	ds_write_b128 v5, v[1:4]
	s_waitcnt lgkmcnt(0)
	s_barrier
	buffer_gl0_inv
	v_cmpx_gt_u32_e32 50, v0
	s_cbranch_execz .LBB118_215
; %bb.212:
	v_mov_b32_e32 v1, 0
	v_mov_b32_e32 v3, 0
	v_add_nc_u32_e32 v7, -1, v0
	v_add_nc_u32_e32 v8, 0x370, v121
	v_mov_b32_e32 v2, 0
	v_mov_b32_e32 v4, 0
	v_add_nc_u32_e32 v119, 16, v121
	s_mov_b32 s5, 0
	.p2align	6
.LBB118_213:                            ; =>This Inner Loop Header: Depth=1
	s_clause 0x3
	buffer_load_dword v126, v119, s[0:3], 0 offen offset:8
	buffer_load_dword v127, v119, s[0:3], 0 offen offset:12
	buffer_load_dword v128, v119, s[0:3], 0 offen
	buffer_load_dword v129, v119, s[0:3], 0 offen offset:4
	ds_read_b128 v[122:125], v8
	v_add_nc_u32_e32 v7, 1, v7
	v_add_nc_u32_e32 v8, 16, v8
	;; [unrolled: 1-line block ×3, first 2 shown]
	v_cmp_lt_u32_e32 vcc_lo, 48, v7
	s_or_b32 s5, vcc_lo, s5
	s_waitcnt vmcnt(2) lgkmcnt(0)
	v_mul_f64 v[130:131], v[124:125], v[126:127]
	v_mul_f64 v[126:127], v[122:123], v[126:127]
	s_waitcnt vmcnt(0)
	v_fma_f64 v[122:123], v[122:123], v[128:129], -v[130:131]
	v_fma_f64 v[124:125], v[124:125], v[128:129], v[126:127]
	v_add_f64 v[3:4], v[3:4], v[122:123]
	v_add_f64 v[1:2], v[1:2], v[124:125]
	s_andn2_b32 exec_lo, exec_lo, s5
	s_cbranch_execnz .LBB118_213
; %bb.214:
	s_or_b32 exec_lo, exec_lo, s5
	v_mov_b32_e32 v7, 0
	ds_read_b128 v[122:125], v7 offset:800
	s_waitcnt lgkmcnt(0)
	v_mul_f64 v[7:8], v[1:2], v[124:125]
	v_mul_f64 v[119:120], v[3:4], v[124:125]
	v_fma_f64 v[3:4], v[3:4], v[122:123], -v[7:8]
	v_fma_f64 v[1:2], v[1:2], v[122:123], v[119:120]
	buffer_store_dword v4, off, s[0:3], 0 offset:820
	buffer_store_dword v3, off, s[0:3], 0 offset:816
	buffer_store_dword v2, off, s[0:3], 0 offset:828
	buffer_store_dword v1, off, s[0:3], 0 offset:824
.LBB118_215:
	s_or_b32 exec_lo, exec_lo, s4
	v_mov_b32_e32 v4, s15
	s_waitcnt_vscnt null, 0x0
	s_barrier
	buffer_gl0_inv
	s_mov_b32 s4, exec_lo
	s_clause 0x3
	buffer_load_dword v1, v4, s[0:3], 0 offen
	buffer_load_dword v2, v4, s[0:3], 0 offen offset:4
	buffer_load_dword v3, v4, s[0:3], 0 offen offset:8
	;; [unrolled: 1-line block ×3, first 2 shown]
	s_waitcnt vmcnt(0)
	ds_write_b128 v5, v[1:4]
	s_waitcnt lgkmcnt(0)
	s_barrier
	buffer_gl0_inv
	v_cmpx_gt_u32_e32 51, v0
	s_cbranch_execz .LBB118_219
; %bb.216:
	v_mov_b32_e32 v1, 0
	v_mov_b32_e32 v3, 0
	v_add_nc_u32_e32 v7, -1, v0
	v_add_nc_u32_e32 v8, 0x370, v121
	v_mov_b32_e32 v2, 0
	v_mov_b32_e32 v4, 0
	v_add_nc_u32_e32 v119, 16, v121
	s_mov_b32 s5, 0
	.p2align	6
.LBB118_217:                            ; =>This Inner Loop Header: Depth=1
	s_clause 0x3
	buffer_load_dword v126, v119, s[0:3], 0 offen offset:8
	buffer_load_dword v127, v119, s[0:3], 0 offen offset:12
	buffer_load_dword v128, v119, s[0:3], 0 offen
	buffer_load_dword v129, v119, s[0:3], 0 offen offset:4
	ds_read_b128 v[122:125], v8
	v_add_nc_u32_e32 v7, 1, v7
	v_add_nc_u32_e32 v8, 16, v8
	;; [unrolled: 1-line block ×3, first 2 shown]
	v_cmp_lt_u32_e32 vcc_lo, 49, v7
	s_or_b32 s5, vcc_lo, s5
	s_waitcnt vmcnt(2) lgkmcnt(0)
	v_mul_f64 v[130:131], v[124:125], v[126:127]
	v_mul_f64 v[126:127], v[122:123], v[126:127]
	s_waitcnt vmcnt(0)
	v_fma_f64 v[122:123], v[122:123], v[128:129], -v[130:131]
	v_fma_f64 v[124:125], v[124:125], v[128:129], v[126:127]
	v_add_f64 v[3:4], v[3:4], v[122:123]
	v_add_f64 v[1:2], v[1:2], v[124:125]
	s_andn2_b32 exec_lo, exec_lo, s5
	s_cbranch_execnz .LBB118_217
; %bb.218:
	s_or_b32 exec_lo, exec_lo, s5
	v_mov_b32_e32 v7, 0
	ds_read_b128 v[122:125], v7 offset:816
	s_waitcnt lgkmcnt(0)
	v_mul_f64 v[7:8], v[1:2], v[124:125]
	v_mul_f64 v[119:120], v[3:4], v[124:125]
	v_fma_f64 v[3:4], v[3:4], v[122:123], -v[7:8]
	v_fma_f64 v[1:2], v[1:2], v[122:123], v[119:120]
	buffer_store_dword v4, off, s[0:3], 0 offset:836
	buffer_store_dword v3, off, s[0:3], 0 offset:832
	;; [unrolled: 1-line block ×4, first 2 shown]
.LBB118_219:
	s_or_b32 exec_lo, exec_lo, s4
	v_mov_b32_e32 v4, s14
	s_waitcnt_vscnt null, 0x0
	s_barrier
	buffer_gl0_inv
	s_mov_b32 s4, exec_lo
	s_clause 0x3
	buffer_load_dword v1, v4, s[0:3], 0 offen
	buffer_load_dword v2, v4, s[0:3], 0 offen offset:4
	buffer_load_dword v3, v4, s[0:3], 0 offen offset:8
	;; [unrolled: 1-line block ×3, first 2 shown]
	s_waitcnt vmcnt(0)
	ds_write_b128 v5, v[1:4]
	s_waitcnt lgkmcnt(0)
	s_barrier
	buffer_gl0_inv
	v_cmpx_gt_u32_e32 52, v0
	s_cbranch_execz .LBB118_223
; %bb.220:
	v_mov_b32_e32 v1, 0
	v_mov_b32_e32 v3, 0
	v_add_nc_u32_e32 v7, -1, v0
	v_add_nc_u32_e32 v8, 0x370, v121
	v_mov_b32_e32 v2, 0
	v_mov_b32_e32 v4, 0
	v_add_nc_u32_e32 v119, 16, v121
	s_mov_b32 s5, 0
	.p2align	6
.LBB118_221:                            ; =>This Inner Loop Header: Depth=1
	s_clause 0x3
	buffer_load_dword v126, v119, s[0:3], 0 offen offset:8
	buffer_load_dword v127, v119, s[0:3], 0 offen offset:12
	buffer_load_dword v128, v119, s[0:3], 0 offen
	buffer_load_dword v129, v119, s[0:3], 0 offen offset:4
	ds_read_b128 v[122:125], v8
	v_add_nc_u32_e32 v7, 1, v7
	v_add_nc_u32_e32 v8, 16, v8
	;; [unrolled: 1-line block ×3, first 2 shown]
	v_cmp_lt_u32_e32 vcc_lo, 50, v7
	s_or_b32 s5, vcc_lo, s5
	s_waitcnt vmcnt(2) lgkmcnt(0)
	v_mul_f64 v[130:131], v[124:125], v[126:127]
	v_mul_f64 v[126:127], v[122:123], v[126:127]
	s_waitcnt vmcnt(0)
	v_fma_f64 v[122:123], v[122:123], v[128:129], -v[130:131]
	v_fma_f64 v[124:125], v[124:125], v[128:129], v[126:127]
	v_add_f64 v[3:4], v[3:4], v[122:123]
	v_add_f64 v[1:2], v[1:2], v[124:125]
	s_andn2_b32 exec_lo, exec_lo, s5
	s_cbranch_execnz .LBB118_221
; %bb.222:
	s_or_b32 exec_lo, exec_lo, s5
	v_mov_b32_e32 v7, 0
	ds_read_b128 v[122:125], v7 offset:832
	s_waitcnt lgkmcnt(0)
	v_mul_f64 v[7:8], v[1:2], v[124:125]
	v_mul_f64 v[119:120], v[3:4], v[124:125]
	v_fma_f64 v[3:4], v[3:4], v[122:123], -v[7:8]
	v_fma_f64 v[1:2], v[1:2], v[122:123], v[119:120]
	buffer_store_dword v4, off, s[0:3], 0 offset:852
	buffer_store_dword v3, off, s[0:3], 0 offset:848
	;; [unrolled: 1-line block ×4, first 2 shown]
.LBB118_223:
	s_or_b32 exec_lo, exec_lo, s4
	v_mov_b32_e32 v4, s9
	s_waitcnt_vscnt null, 0x0
	s_barrier
	buffer_gl0_inv
	s_mov_b32 s4, exec_lo
	s_clause 0x3
	buffer_load_dword v1, v4, s[0:3], 0 offen
	buffer_load_dword v2, v4, s[0:3], 0 offen offset:4
	buffer_load_dword v3, v4, s[0:3], 0 offen offset:8
	;; [unrolled: 1-line block ×3, first 2 shown]
	s_waitcnt vmcnt(0)
	ds_write_b128 v5, v[1:4]
	s_waitcnt lgkmcnt(0)
	s_barrier
	buffer_gl0_inv
	v_cmpx_gt_u32_e32 53, v0
	s_cbranch_execz .LBB118_227
; %bb.224:
	v_mov_b32_e32 v1, 0
	v_mov_b32_e32 v3, 0
	v_add_nc_u32_e32 v7, -1, v0
	v_add_nc_u32_e32 v8, 0x370, v121
	v_mov_b32_e32 v2, 0
	v_mov_b32_e32 v4, 0
	v_add_nc_u32_e32 v119, 16, v121
	s_mov_b32 s5, 0
	.p2align	6
.LBB118_225:                            ; =>This Inner Loop Header: Depth=1
	s_clause 0x3
	buffer_load_dword v126, v119, s[0:3], 0 offen offset:8
	buffer_load_dword v127, v119, s[0:3], 0 offen offset:12
	buffer_load_dword v128, v119, s[0:3], 0 offen
	buffer_load_dword v129, v119, s[0:3], 0 offen offset:4
	ds_read_b128 v[122:125], v8
	v_add_nc_u32_e32 v7, 1, v7
	v_add_nc_u32_e32 v8, 16, v8
	;; [unrolled: 1-line block ×3, first 2 shown]
	v_cmp_lt_u32_e32 vcc_lo, 51, v7
	s_or_b32 s5, vcc_lo, s5
	s_waitcnt vmcnt(2) lgkmcnt(0)
	v_mul_f64 v[130:131], v[124:125], v[126:127]
	v_mul_f64 v[126:127], v[122:123], v[126:127]
	s_waitcnt vmcnt(0)
	v_fma_f64 v[122:123], v[122:123], v[128:129], -v[130:131]
	v_fma_f64 v[124:125], v[124:125], v[128:129], v[126:127]
	v_add_f64 v[3:4], v[3:4], v[122:123]
	v_add_f64 v[1:2], v[1:2], v[124:125]
	s_andn2_b32 exec_lo, exec_lo, s5
	s_cbranch_execnz .LBB118_225
; %bb.226:
	s_or_b32 exec_lo, exec_lo, s5
	v_mov_b32_e32 v7, 0
	ds_read_b128 v[122:125], v7 offset:848
	s_waitcnt lgkmcnt(0)
	v_mul_f64 v[7:8], v[1:2], v[124:125]
	v_mul_f64 v[119:120], v[3:4], v[124:125]
	v_fma_f64 v[3:4], v[3:4], v[122:123], -v[7:8]
	v_fma_f64 v[1:2], v[1:2], v[122:123], v[119:120]
	buffer_store_dword v4, off, s[0:3], 0 offset:868
	buffer_store_dword v3, off, s[0:3], 0 offset:864
	;; [unrolled: 1-line block ×4, first 2 shown]
.LBB118_227:
	s_or_b32 exec_lo, exec_lo, s4
	v_mov_b32_e32 v4, s8
	s_waitcnt_vscnt null, 0x0
	s_barrier
	buffer_gl0_inv
	s_mov_b32 s4, exec_lo
	s_clause 0x3
	buffer_load_dword v1, v4, s[0:3], 0 offen
	buffer_load_dword v2, v4, s[0:3], 0 offen offset:4
	buffer_load_dword v3, v4, s[0:3], 0 offen offset:8
	;; [unrolled: 1-line block ×3, first 2 shown]
	s_waitcnt vmcnt(0)
	ds_write_b128 v5, v[1:4]
	s_waitcnt lgkmcnt(0)
	s_barrier
	buffer_gl0_inv
	v_cmpx_ne_u32_e32 54, v0
	s_cbranch_execz .LBB118_231
; %bb.228:
	v_mov_b32_e32 v1, 0
	v_mov_b32_e32 v3, 0
	;; [unrolled: 1-line block ×4, first 2 shown]
	v_add_nc_u32_e32 v7, 16, v121
	s_mov_b32 s5, 0
	.p2align	6
.LBB118_229:                            ; =>This Inner Loop Header: Depth=1
	s_clause 0x3
	buffer_load_dword v123, v7, s[0:3], 0 offen offset:8
	buffer_load_dword v124, v7, s[0:3], 0 offen offset:12
	buffer_load_dword v125, v7, s[0:3], 0 offen
	buffer_load_dword v126, v7, s[0:3], 0 offen offset:4
	ds_read_b128 v[119:122], v5
	v_add_nc_u32_e32 v6, 1, v6
	v_add_nc_u32_e32 v5, 16, v5
	;; [unrolled: 1-line block ×3, first 2 shown]
	v_cmp_lt_u32_e32 vcc_lo, 52, v6
	s_or_b32 s5, vcc_lo, s5
	s_waitcnt vmcnt(2) lgkmcnt(0)
	v_mul_f64 v[127:128], v[121:122], v[123:124]
	v_mul_f64 v[123:124], v[119:120], v[123:124]
	s_waitcnt vmcnt(0)
	v_fma_f64 v[119:120], v[119:120], v[125:126], -v[127:128]
	v_fma_f64 v[121:122], v[121:122], v[125:126], v[123:124]
	v_add_f64 v[3:4], v[3:4], v[119:120]
	v_add_f64 v[1:2], v[1:2], v[121:122]
	s_andn2_b32 exec_lo, exec_lo, s5
	s_cbranch_execnz .LBB118_229
; %bb.230:
	s_or_b32 exec_lo, exec_lo, s5
	v_mov_b32_e32 v5, 0
	ds_read_b128 v[5:8], v5 offset:864
	s_waitcnt lgkmcnt(0)
	v_mul_f64 v[119:120], v[1:2], v[7:8]
	v_mul_f64 v[7:8], v[3:4], v[7:8]
	v_fma_f64 v[3:4], v[3:4], v[5:6], -v[119:120]
	v_fma_f64 v[1:2], v[1:2], v[5:6], v[7:8]
	buffer_store_dword v4, off, s[0:3], 0 offset:884
	buffer_store_dword v3, off, s[0:3], 0 offset:880
	;; [unrolled: 1-line block ×4, first 2 shown]
.LBB118_231:
	s_or_b32 exec_lo, exec_lo, s4
	s_mov_b32 s5, -1
	s_waitcnt_vscnt null, 0x0
	s_barrier
	buffer_gl0_inv
.LBB118_232:
	s_and_b32 vcc_lo, exec_lo, s5
	s_cbranch_vccz .LBB118_234
; %bb.233:
	s_lshl_b64 s[4:5], s[6:7], 2
	v_mov_b32_e32 v1, 0
	s_add_u32 s4, s10, s4
	s_addc_u32 s5, s11, s5
	global_load_dword v1, v1, s[4:5]
	s_waitcnt vmcnt(0)
	v_cmp_ne_u32_e32 vcc_lo, 0, v1
	s_cbranch_vccz .LBB118_235
.LBB118_234:
	s_endpgm
.LBB118_235:
	v_lshl_add_u32 v179, v0, 4, 0x370
	s_mov_b32 s4, exec_lo
	v_cmpx_eq_u32_e32 54, v0
	s_cbranch_execz .LBB118_237
; %bb.236:
	v_mov_b32_e32 v4, s9
	v_mov_b32_e32 v5, 0
	s_clause 0x3
	buffer_load_dword v1, v4, s[0:3], 0 offen
	buffer_load_dword v2, v4, s[0:3], 0 offen offset:4
	buffer_load_dword v3, v4, s[0:3], 0 offen offset:8
	;; [unrolled: 1-line block ×3, first 2 shown]
	buffer_store_dword v5, off, s[0:3], 0 offset:864
	buffer_store_dword v5, off, s[0:3], 0 offset:868
	buffer_store_dword v5, off, s[0:3], 0 offset:872
	buffer_store_dword v5, off, s[0:3], 0 offset:876
	s_waitcnt vmcnt(0)
	ds_write_b128 v179, v[1:4]
.LBB118_237:
	s_or_b32 exec_lo, exec_lo, s4
	s_waitcnt lgkmcnt(0)
	s_waitcnt_vscnt null, 0x0
	s_barrier
	buffer_gl0_inv
	s_clause 0x7
	buffer_load_dword v6, off, s[0:3], 0 offset:888
	buffer_load_dword v7, off, s[0:3], 0 offset:892
	;; [unrolled: 1-line block ×8, first 2 shown]
	v_mov_b32_e32 v1, 0
	s_mov_b32 s4, exec_lo
	ds_read_b128 v[2:5], v1 offset:1744
	s_waitcnt vmcnt(6) lgkmcnt(0)
	v_mul_f64 v[125:126], v[4:5], v[6:7]
	v_mul_f64 v[6:7], v[2:3], v[6:7]
	s_waitcnt vmcnt(4)
	v_fma_f64 v[2:3], v[2:3], v[119:120], -v[125:126]
	v_fma_f64 v[4:5], v[4:5], v[119:120], v[6:7]
	v_add_f64 v[2:3], v[2:3], 0
	v_add_f64 v[4:5], v[4:5], 0
	s_waitcnt vmcnt(2)
	v_add_f64 v[2:3], v[121:122], -v[2:3]
	s_waitcnt vmcnt(0)
	v_add_f64 v[4:5], v[123:124], -v[4:5]
	buffer_store_dword v2, off, s[0:3], 0 offset:864
	buffer_store_dword v3, off, s[0:3], 0 offset:868
	;; [unrolled: 1-line block ×4, first 2 shown]
	v_cmpx_lt_u32_e32 52, v0
	s_cbranch_execz .LBB118_239
; %bb.238:
	v_mov_b32_e32 v5, s14
	s_clause 0x3
	buffer_load_dword v2, v5, s[0:3], 0 offen
	buffer_load_dword v3, v5, s[0:3], 0 offen offset:4
	buffer_load_dword v4, v5, s[0:3], 0 offen offset:8
	;; [unrolled: 1-line block ×3, first 2 shown]
	buffer_store_dword v1, off, s[0:3], 0 offset:848
	buffer_store_dword v1, off, s[0:3], 0 offset:852
	;; [unrolled: 1-line block ×4, first 2 shown]
	s_waitcnt vmcnt(0)
	ds_write_b128 v179, v[2:5]
.LBB118_239:
	s_or_b32 exec_lo, exec_lo, s4
	s_waitcnt lgkmcnt(0)
	s_waitcnt_vscnt null, 0x0
	s_barrier
	buffer_gl0_inv
	s_clause 0xb
	buffer_load_dword v6, off, s[0:3], 0 offset:872
	buffer_load_dword v7, off, s[0:3], 0 offset:876
	;; [unrolled: 1-line block ×12, first 2 shown]
	ds_read_b128 v[2:5], v1 offset:1728
	ds_read_b128 v[119:122], v1 offset:1744
	s_mov_b32 s4, exec_lo
	s_waitcnt vmcnt(10) lgkmcnt(1)
	v_mul_f64 v[133:134], v[4:5], v[6:7]
	v_mul_f64 v[6:7], v[2:3], v[6:7]
	s_waitcnt vmcnt(8) lgkmcnt(0)
	v_mul_f64 v[135:136], v[121:122], v[123:124]
	v_mul_f64 v[123:124], v[119:120], v[123:124]
	s_waitcnt vmcnt(6)
	v_fma_f64 v[1:2], v[2:3], v[125:126], -v[133:134]
	v_fma_f64 v[3:4], v[4:5], v[125:126], v[6:7]
	s_waitcnt vmcnt(4)
	v_fma_f64 v[5:6], v[119:120], v[127:128], -v[135:136]
	v_fma_f64 v[7:8], v[121:122], v[127:128], v[123:124]
	v_add_f64 v[1:2], v[1:2], 0
	v_add_f64 v[3:4], v[3:4], 0
	;; [unrolled: 1-line block ×4, first 2 shown]
	s_waitcnt vmcnt(2)
	v_add_f64 v[1:2], v[129:130], -v[1:2]
	s_waitcnt vmcnt(0)
	v_add_f64 v[3:4], v[131:132], -v[3:4]
	buffer_store_dword v1, off, s[0:3], 0 offset:848
	buffer_store_dword v2, off, s[0:3], 0 offset:852
	;; [unrolled: 1-line block ×4, first 2 shown]
	v_cmpx_lt_u32_e32 51, v0
	s_cbranch_execz .LBB118_241
; %bb.240:
	v_mov_b32_e32 v4, s15
	v_mov_b32_e32 v5, 0
	s_clause 0x3
	buffer_load_dword v1, v4, s[0:3], 0 offen
	buffer_load_dword v2, v4, s[0:3], 0 offen offset:4
	buffer_load_dword v3, v4, s[0:3], 0 offen offset:8
	;; [unrolled: 1-line block ×3, first 2 shown]
	buffer_store_dword v5, off, s[0:3], 0 offset:832
	buffer_store_dword v5, off, s[0:3], 0 offset:836
	;; [unrolled: 1-line block ×4, first 2 shown]
	s_waitcnt vmcnt(0)
	ds_write_b128 v179, v[1:4]
.LBB118_241:
	s_or_b32 exec_lo, exec_lo, s4
	s_waitcnt lgkmcnt(0)
	s_waitcnt_vscnt null, 0x0
	s_barrier
	buffer_gl0_inv
	s_clause 0xf
	buffer_load_dword v6, off, s[0:3], 0 offset:856
	buffer_load_dword v7, off, s[0:3], 0 offset:860
	;; [unrolled: 1-line block ×16, first 2 shown]
	v_mov_b32_e32 v1, 0
	ds_read_b128 v[2:5], v1 offset:1712
	ds_read_b128 v[119:122], v1 offset:1728
	;; [unrolled: 1-line block ×3, first 2 shown]
	s_mov_b32 s4, exec_lo
	s_waitcnt vmcnt(14) lgkmcnt(2)
	v_mul_f64 v[141:142], v[4:5], v[6:7]
	v_mul_f64 v[6:7], v[2:3], v[6:7]
	s_waitcnt vmcnt(12) lgkmcnt(1)
	v_mul_f64 v[143:144], v[121:122], v[127:128]
	v_mul_f64 v[127:128], v[119:120], v[127:128]
	s_waitcnt vmcnt(10)
	v_fma_f64 v[2:3], v[2:3], v[129:130], -v[141:142]
	v_fma_f64 v[4:5], v[4:5], v[129:130], v[6:7]
	s_waitcnt vmcnt(8) lgkmcnt(0)
	v_mul_f64 v[129:130], v[125:126], v[131:132]
	s_waitcnt vmcnt(6)
	v_fma_f64 v[119:120], v[119:120], v[133:134], -v[143:144]
	v_mul_f64 v[6:7], v[123:124], v[131:132]
	v_fma_f64 v[121:122], v[121:122], v[133:134], v[127:128]
	v_add_f64 v[2:3], v[2:3], 0
	v_add_f64 v[4:5], v[4:5], 0
	s_waitcnt vmcnt(4)
	v_fma_f64 v[123:124], v[123:124], v[135:136], -v[129:130]
	v_fma_f64 v[6:7], v[125:126], v[135:136], v[6:7]
	v_add_f64 v[2:3], v[2:3], v[119:120]
	v_add_f64 v[4:5], v[4:5], v[121:122]
	;; [unrolled: 1-line block ×4, first 2 shown]
	s_waitcnt vmcnt(2)
	v_add_f64 v[2:3], v[137:138], -v[2:3]
	s_waitcnt vmcnt(0)
	v_add_f64 v[4:5], v[139:140], -v[4:5]
	buffer_store_dword v2, off, s[0:3], 0 offset:832
	buffer_store_dword v3, off, s[0:3], 0 offset:836
	;; [unrolled: 1-line block ×4, first 2 shown]
	v_cmpx_lt_u32_e32 50, v0
	s_cbranch_execz .LBB118_243
; %bb.242:
	v_mov_b32_e32 v5, s16
	s_clause 0x3
	buffer_load_dword v2, v5, s[0:3], 0 offen
	buffer_load_dword v3, v5, s[0:3], 0 offen offset:4
	buffer_load_dword v4, v5, s[0:3], 0 offen offset:8
	;; [unrolled: 1-line block ×3, first 2 shown]
	buffer_store_dword v1, off, s[0:3], 0 offset:816
	buffer_store_dword v1, off, s[0:3], 0 offset:820
	;; [unrolled: 1-line block ×4, first 2 shown]
	s_waitcnt vmcnt(0)
	ds_write_b128 v179, v[2:5]
.LBB118_243:
	s_or_b32 exec_lo, exec_lo, s4
	s_waitcnt lgkmcnt(0)
	s_waitcnt_vscnt null, 0x0
	s_barrier
	buffer_gl0_inv
	s_clause 0x13
	buffer_load_dword v6, off, s[0:3], 0 offset:840
	buffer_load_dword v7, off, s[0:3], 0 offset:844
	buffer_load_dword v127, off, s[0:3], 0 offset:856
	buffer_load_dword v128, off, s[0:3], 0 offset:860
	buffer_load_dword v129, off, s[0:3], 0 offset:832
	buffer_load_dword v130, off, s[0:3], 0 offset:836
	buffer_load_dword v131, off, s[0:3], 0 offset:872
	buffer_load_dword v132, off, s[0:3], 0 offset:876
	buffer_load_dword v133, off, s[0:3], 0 offset:848
	buffer_load_dword v134, off, s[0:3], 0 offset:852
	buffer_load_dword v136, off, s[0:3], 0 offset:892
	buffer_load_dword v135, off, s[0:3], 0 offset:888
	buffer_load_dword v137, off, s[0:3], 0 offset:864
	buffer_load_dword v138, off, s[0:3], 0 offset:868
	buffer_load_dword v140, off, s[0:3], 0 offset:884
	buffer_load_dword v139, off, s[0:3], 0 offset:880
	buffer_load_dword v141, off, s[0:3], 0 offset:816
	buffer_load_dword v142, off, s[0:3], 0 offset:820
	buffer_load_dword v143, off, s[0:3], 0 offset:824
	buffer_load_dword v144, off, s[0:3], 0 offset:828
	ds_read_b128 v[2:5], v1 offset:1696
	ds_read_b128 v[119:122], v1 offset:1712
	;; [unrolled: 1-line block ×3, first 2 shown]
	s_mov_b32 s4, exec_lo
	s_waitcnt vmcnt(18) lgkmcnt(2)
	v_mul_f64 v[145:146], v[4:5], v[6:7]
	v_mul_f64 v[6:7], v[2:3], v[6:7]
	s_waitcnt vmcnt(16) lgkmcnt(1)
	v_mul_f64 v[147:148], v[121:122], v[127:128]
	v_mul_f64 v[127:128], v[119:120], v[127:128]
	s_waitcnt vmcnt(14)
	v_fma_f64 v[145:146], v[2:3], v[129:130], -v[145:146]
	v_fma_f64 v[5:6], v[4:5], v[129:130], v[6:7]
	s_waitcnt vmcnt(12) lgkmcnt(0)
	v_mul_f64 v[7:8], v[123:124], v[131:132]
	v_mul_f64 v[129:130], v[125:126], v[131:132]
	s_waitcnt vmcnt(10)
	v_fma_f64 v[119:120], v[119:120], v[133:134], -v[147:148]
	ds_read_b128 v[1:4], v1 offset:1744
	v_fma_f64 v[121:122], v[121:122], v[133:134], v[127:128]
	v_add_f64 v[131:132], v[145:146], 0
	v_add_f64 v[5:6], v[5:6], 0
	s_waitcnt vmcnt(6)
	v_fma_f64 v[7:8], v[125:126], v[137:138], v[7:8]
	s_waitcnt lgkmcnt(0)
	v_mul_f64 v[133:134], v[3:4], v[135:136]
	v_fma_f64 v[123:124], v[123:124], v[137:138], -v[129:130]
	v_mul_f64 v[127:128], v[1:2], v[135:136]
	v_add_f64 v[119:120], v[131:132], v[119:120]
	v_add_f64 v[5:6], v[5:6], v[121:122]
	s_waitcnt vmcnt(4)
	v_fma_f64 v[1:2], v[1:2], v[139:140], -v[133:134]
	v_fma_f64 v[3:4], v[3:4], v[139:140], v[127:128]
	v_add_f64 v[119:120], v[119:120], v[123:124]
	v_add_f64 v[5:6], v[5:6], v[7:8]
	;; [unrolled: 1-line block ×4, first 2 shown]
	s_waitcnt vmcnt(2)
	v_add_f64 v[1:2], v[141:142], -v[1:2]
	s_waitcnt vmcnt(0)
	v_add_f64 v[3:4], v[143:144], -v[3:4]
	buffer_store_dword v1, off, s[0:3], 0 offset:816
	buffer_store_dword v2, off, s[0:3], 0 offset:820
	;; [unrolled: 1-line block ×4, first 2 shown]
	v_cmpx_lt_u32_e32 49, v0
	s_cbranch_execz .LBB118_245
; %bb.244:
	v_mov_b32_e32 v4, s17
	v_mov_b32_e32 v5, 0
	s_clause 0x3
	buffer_load_dword v1, v4, s[0:3], 0 offen
	buffer_load_dword v2, v4, s[0:3], 0 offen offset:4
	buffer_load_dword v3, v4, s[0:3], 0 offen offset:8
	;; [unrolled: 1-line block ×3, first 2 shown]
	buffer_store_dword v5, off, s[0:3], 0 offset:800
	buffer_store_dword v5, off, s[0:3], 0 offset:804
	;; [unrolled: 1-line block ×4, first 2 shown]
	s_waitcnt vmcnt(0)
	ds_write_b128 v179, v[1:4]
.LBB118_245:
	s_or_b32 exec_lo, exec_lo, s4
	s_waitcnt lgkmcnt(0)
	s_waitcnt_vscnt null, 0x0
	s_barrier
	buffer_gl0_inv
	s_clause 0x17
	buffer_load_dword v6, off, s[0:3], 0 offset:824
	buffer_load_dword v7, off, s[0:3], 0 offset:828
	;; [unrolled: 1-line block ×24, first 2 shown]
	v_mov_b32_e32 v1, 0
	ds_read_b128 v[2:5], v1 offset:1680
	ds_read_b128 v[119:122], v1 offset:1696
	;; [unrolled: 1-line block ×3, first 2 shown]
	s_mov_b32 s4, exec_lo
	s_waitcnt vmcnt(22) lgkmcnt(2)
	v_mul_f64 v[149:150], v[4:5], v[6:7]
	v_mul_f64 v[6:7], v[2:3], v[6:7]
	s_waitcnt vmcnt(20) lgkmcnt(1)
	v_mul_f64 v[151:152], v[121:122], v[127:128]
	v_mul_f64 v[127:128], v[119:120], v[127:128]
	s_waitcnt vmcnt(18)
	v_fma_f64 v[149:150], v[2:3], v[129:130], -v[149:150]
	v_fma_f64 v[6:7], v[4:5], v[129:130], v[6:7]
	ds_read_b128 v[2:5], v1 offset:1728
	s_waitcnt vmcnt(16) lgkmcnt(1)
	v_mul_f64 v[129:130], v[123:124], v[131:132]
	v_mul_f64 v[131:132], v[125:126], v[131:132]
	s_waitcnt vmcnt(14)
	v_fma_f64 v[151:152], v[119:120], v[133:134], -v[151:152]
	v_fma_f64 v[127:128], v[121:122], v[133:134], v[127:128]
	ds_read_b128 v[119:122], v1 offset:1744
	s_waitcnt vmcnt(10) lgkmcnt(1)
	v_mul_f64 v[133:134], v[2:3], v[135:136]
	v_add_f64 v[149:150], v[149:150], 0
	v_add_f64 v[6:7], v[6:7], 0
	v_mul_f64 v[135:136], v[4:5], v[135:136]
	s_waitcnt vmcnt(8)
	v_fma_f64 v[123:124], v[123:124], v[141:142], -v[131:132]
	v_fma_f64 v[125:126], v[125:126], v[141:142], v[129:130]
	s_waitcnt vmcnt(7) lgkmcnt(0)
	v_mul_f64 v[129:130], v[121:122], v[137:138]
	s_waitcnt vmcnt(5)
	v_fma_f64 v[4:5], v[4:5], v[143:144], v[133:134]
	v_add_f64 v[131:132], v[149:150], v[151:152]
	v_add_f64 v[6:7], v[6:7], v[127:128]
	v_fma_f64 v[2:3], v[2:3], v[143:144], -v[135:136]
	v_mul_f64 v[127:128], v[119:120], v[137:138]
	s_waitcnt vmcnt(4)
	v_fma_f64 v[119:120], v[119:120], v[139:140], -v[129:130]
	v_add_f64 v[123:124], v[131:132], v[123:124]
	v_add_f64 v[6:7], v[6:7], v[125:126]
	v_fma_f64 v[121:122], v[121:122], v[139:140], v[127:128]
	v_add_f64 v[2:3], v[123:124], v[2:3]
	v_add_f64 v[4:5], v[6:7], v[4:5]
	;; [unrolled: 1-line block ×4, first 2 shown]
	s_waitcnt vmcnt(2)
	v_add_f64 v[2:3], v[145:146], -v[2:3]
	s_waitcnt vmcnt(0)
	v_add_f64 v[4:5], v[147:148], -v[4:5]
	buffer_store_dword v3, off, s[0:3], 0 offset:804
	buffer_store_dword v2, off, s[0:3], 0 offset:800
	;; [unrolled: 1-line block ×4, first 2 shown]
	v_cmpx_lt_u32_e32 48, v0
	s_cbranch_execz .LBB118_247
; %bb.246:
	v_mov_b32_e32 v5, s18
	s_clause 0x3
	buffer_load_dword v2, v5, s[0:3], 0 offen
	buffer_load_dword v3, v5, s[0:3], 0 offen offset:4
	buffer_load_dword v4, v5, s[0:3], 0 offen offset:8
	;; [unrolled: 1-line block ×3, first 2 shown]
	buffer_store_dword v1, off, s[0:3], 0 offset:784
	buffer_store_dword v1, off, s[0:3], 0 offset:788
	;; [unrolled: 1-line block ×4, first 2 shown]
	s_waitcnt vmcnt(0)
	ds_write_b128 v179, v[2:5]
.LBB118_247:
	s_or_b32 exec_lo, exec_lo, s4
	s_waitcnt lgkmcnt(0)
	s_waitcnt_vscnt null, 0x0
	s_barrier
	buffer_gl0_inv
	s_clause 0x1b
	buffer_load_dword v6, off, s[0:3], 0 offset:808
	buffer_load_dword v7, off, s[0:3], 0 offset:812
	;; [unrolled: 1-line block ×28, first 2 shown]
	ds_read_b128 v[2:5], v1 offset:1664
	ds_read_b128 v[119:122], v1 offset:1680
	;; [unrolled: 1-line block ×3, first 2 shown]
	s_mov_b32 s4, exec_lo
	s_waitcnt vmcnt(26) lgkmcnt(2)
	v_mul_f64 v[153:154], v[4:5], v[6:7]
	v_mul_f64 v[6:7], v[2:3], v[6:7]
	s_waitcnt vmcnt(24) lgkmcnt(1)
	v_mul_f64 v[155:156], v[121:122], v[127:128]
	v_mul_f64 v[127:128], v[119:120], v[127:128]
	s_waitcnt vmcnt(22)
	v_fma_f64 v[153:154], v[2:3], v[129:130], -v[153:154]
	v_fma_f64 v[6:7], v[4:5], v[129:130], v[6:7]
	ds_read_b128 v[2:5], v1 offset:1712
	s_waitcnt vmcnt(20) lgkmcnt(1)
	v_mul_f64 v[129:130], v[123:124], v[131:132]
	v_mul_f64 v[131:132], v[125:126], v[131:132]
	s_waitcnt vmcnt(18)
	v_fma_f64 v[155:156], v[119:120], v[133:134], -v[155:156]
	v_fma_f64 v[127:128], v[121:122], v[133:134], v[127:128]
	ds_read_b128 v[119:122], v1 offset:1728
	s_waitcnt vmcnt(14) lgkmcnt(1)
	v_mul_f64 v[133:134], v[2:3], v[135:136]
	v_add_f64 v[153:154], v[153:154], 0
	v_add_f64 v[6:7], v[6:7], 0
	v_mul_f64 v[135:136], v[4:5], v[135:136]
	s_waitcnt vmcnt(12)
	v_fma_f64 v[131:132], v[123:124], v[141:142], -v[131:132]
	v_fma_f64 v[129:130], v[125:126], v[141:142], v[129:130]
	ds_read_b128 v[123:126], v1 offset:1744
	v_add_f64 v[153:154], v[153:154], v[155:156]
	v_add_f64 v[6:7], v[6:7], v[127:128]
	s_waitcnt vmcnt(11) lgkmcnt(1)
	v_mul_f64 v[127:128], v[119:120], v[137:138]
	v_mul_f64 v[137:138], v[121:122], v[137:138]
	s_waitcnt vmcnt(9)
	v_fma_f64 v[1:2], v[2:3], v[143:144], -v[135:136]
	v_fma_f64 v[3:4], v[4:5], v[143:144], v[133:134]
	v_add_f64 v[131:132], v[153:154], v[131:132]
	v_add_f64 v[5:6], v[6:7], v[129:130]
	s_waitcnt vmcnt(7) lgkmcnt(0)
	v_mul_f64 v[129:130], v[125:126], v[145:146]
	s_waitcnt vmcnt(6)
	v_fma_f64 v[119:120], v[119:120], v[139:140], -v[137:138]
	v_mul_f64 v[7:8], v[123:124], v[145:146]
	v_fma_f64 v[121:122], v[121:122], v[139:140], v[127:128]
	v_add_f64 v[1:2], v[131:132], v[1:2]
	v_add_f64 v[3:4], v[5:6], v[3:4]
	s_waitcnt vmcnt(4)
	v_fma_f64 v[5:6], v[123:124], v[147:148], -v[129:130]
	v_fma_f64 v[7:8], v[125:126], v[147:148], v[7:8]
	v_add_f64 v[1:2], v[1:2], v[119:120]
	v_add_f64 v[3:4], v[3:4], v[121:122]
	v_add_f64 v[1:2], v[1:2], v[5:6]
	v_add_f64 v[3:4], v[3:4], v[7:8]
	s_waitcnt vmcnt(2)
	v_add_f64 v[1:2], v[149:150], -v[1:2]
	s_waitcnt vmcnt(0)
	v_add_f64 v[3:4], v[151:152], -v[3:4]
	buffer_store_dword v2, off, s[0:3], 0 offset:788
	buffer_store_dword v1, off, s[0:3], 0 offset:784
	buffer_store_dword v4, off, s[0:3], 0 offset:796
	buffer_store_dword v3, off, s[0:3], 0 offset:792
	v_cmpx_lt_u32_e32 47, v0
	s_cbranch_execz .LBB118_249
; %bb.248:
	v_mov_b32_e32 v4, s19
	v_mov_b32_e32 v5, 0
	s_clause 0x3
	buffer_load_dword v1, v4, s[0:3], 0 offen
	buffer_load_dword v2, v4, s[0:3], 0 offen offset:4
	buffer_load_dword v3, v4, s[0:3], 0 offen offset:8
	;; [unrolled: 1-line block ×3, first 2 shown]
	buffer_store_dword v5, off, s[0:3], 0 offset:768
	buffer_store_dword v5, off, s[0:3], 0 offset:772
	;; [unrolled: 1-line block ×4, first 2 shown]
	s_waitcnt vmcnt(0)
	ds_write_b128 v179, v[1:4]
.LBB118_249:
	s_or_b32 exec_lo, exec_lo, s4
	s_waitcnt lgkmcnt(0)
	s_waitcnt_vscnt null, 0x0
	s_barrier
	buffer_gl0_inv
	s_clause 0x1f
	buffer_load_dword v6, off, s[0:3], 0 offset:792
	buffer_load_dword v7, off, s[0:3], 0 offset:796
	;; [unrolled: 1-line block ×32, first 2 shown]
	v_mov_b32_e32 v1, 0
	ds_read_b128 v[2:5], v1 offset:1648
	ds_read_b128 v[119:122], v1 offset:1664
	;; [unrolled: 1-line block ×3, first 2 shown]
	s_mov_b32 s4, exec_lo
	s_waitcnt vmcnt(30) lgkmcnt(2)
	v_mul_f64 v[157:158], v[4:5], v[6:7]
	v_mul_f64 v[6:7], v[2:3], v[6:7]
	s_waitcnt vmcnt(28) lgkmcnt(1)
	v_mul_f64 v[159:160], v[121:122], v[127:128]
	v_mul_f64 v[127:128], v[119:120], v[127:128]
	s_waitcnt vmcnt(26)
	v_fma_f64 v[157:158], v[2:3], v[129:130], -v[157:158]
	v_fma_f64 v[6:7], v[4:5], v[129:130], v[6:7]
	ds_read_b128 v[2:5], v1 offset:1696
	s_waitcnt vmcnt(24) lgkmcnt(1)
	v_mul_f64 v[129:130], v[123:124], v[131:132]
	v_mul_f64 v[131:132], v[125:126], v[131:132]
	s_waitcnt vmcnt(22)
	v_fma_f64 v[159:160], v[119:120], v[133:134], -v[159:160]
	v_fma_f64 v[127:128], v[121:122], v[133:134], v[127:128]
	ds_read_b128 v[119:122], v1 offset:1712
	s_waitcnt vmcnt(18) lgkmcnt(1)
	v_mul_f64 v[133:134], v[2:3], v[135:136]
	v_add_f64 v[157:158], v[157:158], 0
	v_add_f64 v[6:7], v[6:7], 0
	v_mul_f64 v[135:136], v[4:5], v[135:136]
	s_waitcnt vmcnt(16)
	v_fma_f64 v[131:132], v[123:124], v[141:142], -v[131:132]
	v_fma_f64 v[129:130], v[125:126], v[141:142], v[129:130]
	ds_read_b128 v[123:126], v1 offset:1728
	s_waitcnt vmcnt(13)
	v_fma_f64 v[133:134], v[4:5], v[143:144], v[133:134]
	v_add_f64 v[157:158], v[157:158], v[159:160]
	v_add_f64 v[6:7], v[6:7], v[127:128]
	s_waitcnt lgkmcnt(1)
	v_mul_f64 v[127:128], v[119:120], v[137:138]
	v_mul_f64 v[137:138], v[121:122], v[137:138]
	v_fma_f64 v[135:136], v[2:3], v[143:144], -v[135:136]
	s_waitcnt vmcnt(9) lgkmcnt(0)
	v_mul_f64 v[141:142], v[125:126], v[145:146]
	ds_read_b128 v[2:5], v1 offset:1744
	v_add_f64 v[131:132], v[157:158], v[131:132]
	v_add_f64 v[6:7], v[6:7], v[129:130]
	v_mul_f64 v[129:130], v[123:124], v[145:146]
	s_waitcnt vmcnt(8)
	v_fma_f64 v[119:120], v[119:120], v[139:140], -v[137:138]
	v_fma_f64 v[121:122], v[121:122], v[139:140], v[127:128]
	s_waitcnt vmcnt(5)
	v_fma_f64 v[123:124], v[123:124], v[151:152], -v[141:142]
	s_waitcnt lgkmcnt(0)
	v_mul_f64 v[127:128], v[2:3], v[147:148]
	v_add_f64 v[131:132], v[131:132], v[135:136]
	v_add_f64 v[6:7], v[6:7], v[133:134]
	v_mul_f64 v[133:134], v[4:5], v[147:148]
	v_fma_f64 v[125:126], v[125:126], v[151:152], v[129:130]
	s_waitcnt vmcnt(4)
	v_fma_f64 v[4:5], v[4:5], v[149:150], v[127:128]
	v_add_f64 v[119:120], v[131:132], v[119:120]
	v_add_f64 v[6:7], v[6:7], v[121:122]
	v_fma_f64 v[2:3], v[2:3], v[149:150], -v[133:134]
	v_add_f64 v[119:120], v[119:120], v[123:124]
	v_add_f64 v[6:7], v[6:7], v[125:126]
	;; [unrolled: 1-line block ×4, first 2 shown]
	s_waitcnt vmcnt(2)
	v_add_f64 v[2:3], v[153:154], -v[2:3]
	s_waitcnt vmcnt(0)
	v_add_f64 v[4:5], v[155:156], -v[4:5]
	buffer_store_dword v3, off, s[0:3], 0 offset:772
	buffer_store_dword v2, off, s[0:3], 0 offset:768
	;; [unrolled: 1-line block ×4, first 2 shown]
	v_cmpx_lt_u32_e32 46, v0
	s_cbranch_execz .LBB118_251
; %bb.250:
	v_mov_b32_e32 v5, s20
	s_clause 0x3
	buffer_load_dword v2, v5, s[0:3], 0 offen
	buffer_load_dword v3, v5, s[0:3], 0 offen offset:4
	buffer_load_dword v4, v5, s[0:3], 0 offen offset:8
	;; [unrolled: 1-line block ×3, first 2 shown]
	buffer_store_dword v1, off, s[0:3], 0 offset:752
	buffer_store_dword v1, off, s[0:3], 0 offset:756
	;; [unrolled: 1-line block ×4, first 2 shown]
	s_waitcnt vmcnt(0)
	ds_write_b128 v179, v[2:5]
.LBB118_251:
	s_or_b32 exec_lo, exec_lo, s4
	s_waitcnt lgkmcnt(0)
	s_waitcnt_vscnt null, 0x0
	s_barrier
	buffer_gl0_inv
	s_clause 0x23
	buffer_load_dword v6, off, s[0:3], 0 offset:776
	buffer_load_dword v7, off, s[0:3], 0 offset:780
	buffer_load_dword v127, off, s[0:3], 0 offset:792
	buffer_load_dword v128, off, s[0:3], 0 offset:796
	buffer_load_dword v129, off, s[0:3], 0 offset:768
	buffer_load_dword v130, off, s[0:3], 0 offset:772
	buffer_load_dword v131, off, s[0:3], 0 offset:808
	buffer_load_dword v132, off, s[0:3], 0 offset:812
	buffer_load_dword v133, off, s[0:3], 0 offset:784
	buffer_load_dword v134, off, s[0:3], 0 offset:788
	buffer_load_dword v136, off, s[0:3], 0 offset:828
	buffer_load_dword v137, off, s[0:3], 0 offset:840
	buffer_load_dword v139, off, s[0:3], 0 offset:832
	buffer_load_dword v135, off, s[0:3], 0 offset:824
	buffer_load_dword v141, off, s[0:3], 0 offset:800
	buffer_load_dword v142, off, s[0:3], 0 offset:804
	buffer_load_dword v138, off, s[0:3], 0 offset:844
	buffer_load_dword v144, off, s[0:3], 0 offset:820
	buffer_load_dword v143, off, s[0:3], 0 offset:816
	buffer_load_dword v146, off, s[0:3], 0 offset:860
	buffer_load_dword v147, off, s[0:3], 0 offset:872
	buffer_load_dword v149, off, s[0:3], 0 offset:864
	buffer_load_dword v145, off, s[0:3], 0 offset:856
	buffer_load_dword v140, off, s[0:3], 0 offset:836
	buffer_load_dword v148, off, s[0:3], 0 offset:876
	buffer_load_dword v152, off, s[0:3], 0 offset:852
	buffer_load_dword v151, off, s[0:3], 0 offset:848
	buffer_load_dword v154, off, s[0:3], 0 offset:892
	buffer_load_dword v153, off, s[0:3], 0 offset:888
	buffer_load_dword v150, off, s[0:3], 0 offset:868
	buffer_load_dword v156, off, s[0:3], 0 offset:884
	buffer_load_dword v155, off, s[0:3], 0 offset:880
	buffer_load_dword v157, off, s[0:3], 0 offset:752
	buffer_load_dword v158, off, s[0:3], 0 offset:756
	buffer_load_dword v159, off, s[0:3], 0 offset:760
	buffer_load_dword v160, off, s[0:3], 0 offset:764
	ds_read_b128 v[2:5], v1 offset:1632
	ds_read_b128 v[119:122], v1 offset:1648
	ds_read_b128 v[123:126], v1 offset:1664
	s_mov_b32 s4, exec_lo
	s_waitcnt vmcnt(34) lgkmcnt(2)
	v_mul_f64 v[161:162], v[4:5], v[6:7]
	v_mul_f64 v[6:7], v[2:3], v[6:7]
	s_waitcnt vmcnt(32) lgkmcnt(1)
	v_mul_f64 v[163:164], v[121:122], v[127:128]
	v_mul_f64 v[127:128], v[119:120], v[127:128]
	s_waitcnt vmcnt(30)
	v_fma_f64 v[161:162], v[2:3], v[129:130], -v[161:162]
	v_fma_f64 v[6:7], v[4:5], v[129:130], v[6:7]
	ds_read_b128 v[2:5], v1 offset:1680
	s_waitcnt vmcnt(28) lgkmcnt(1)
	v_mul_f64 v[129:130], v[123:124], v[131:132]
	v_mul_f64 v[131:132], v[125:126], v[131:132]
	s_waitcnt vmcnt(26)
	v_fma_f64 v[163:164], v[119:120], v[133:134], -v[163:164]
	v_fma_f64 v[127:128], v[121:122], v[133:134], v[127:128]
	ds_read_b128 v[119:122], v1 offset:1696
	s_waitcnt vmcnt(22) lgkmcnt(1)
	v_mul_f64 v[133:134], v[2:3], v[135:136]
	v_add_f64 v[161:162], v[161:162], 0
	v_add_f64 v[6:7], v[6:7], 0
	v_mul_f64 v[135:136], v[4:5], v[135:136]
	s_waitcnt vmcnt(20)
	v_fma_f64 v[131:132], v[123:124], v[141:142], -v[131:132]
	v_fma_f64 v[129:130], v[125:126], v[141:142], v[129:130]
	ds_read_b128 v[123:126], v1 offset:1712
	s_waitcnt vmcnt(17)
	v_fma_f64 v[133:134], v[4:5], v[143:144], v[133:134]
	v_add_f64 v[161:162], v[161:162], v[163:164]
	v_add_f64 v[6:7], v[6:7], v[127:128]
	s_waitcnt lgkmcnt(1)
	v_mul_f64 v[127:128], v[119:120], v[137:138]
	v_mul_f64 v[137:138], v[121:122], v[137:138]
	v_fma_f64 v[135:136], v[2:3], v[143:144], -v[135:136]
	s_waitcnt vmcnt(13) lgkmcnt(0)
	v_mul_f64 v[141:142], v[125:126], v[145:146]
	ds_read_b128 v[2:5], v1 offset:1728
	v_add_f64 v[131:132], v[161:162], v[131:132]
	v_add_f64 v[6:7], v[6:7], v[129:130]
	v_mul_f64 v[129:130], v[123:124], v[145:146]
	s_waitcnt vmcnt(12)
	v_fma_f64 v[137:138], v[119:120], v[139:140], -v[137:138]
	v_fma_f64 v[127:128], v[121:122], v[139:140], v[127:128]
	ds_read_b128 v[119:122], v1 offset:1744
	s_waitcnt vmcnt(9)
	v_fma_f64 v[123:124], v[123:124], v[151:152], -v[141:142]
	v_add_f64 v[131:132], v[131:132], v[135:136]
	v_add_f64 v[6:7], v[6:7], v[133:134]
	s_waitcnt lgkmcnt(1)
	v_mul_f64 v[135:136], v[4:5], v[147:148]
	v_mul_f64 v[133:134], v[2:3], v[147:148]
	v_fma_f64 v[125:126], v[125:126], v[151:152], v[129:130]
	s_waitcnt vmcnt(7) lgkmcnt(0)
	v_mul_f64 v[129:130], v[121:122], v[153:154]
	v_add_f64 v[131:132], v[131:132], v[137:138]
	v_add_f64 v[6:7], v[6:7], v[127:128]
	s_waitcnt vmcnt(6)
	v_fma_f64 v[1:2], v[2:3], v[149:150], -v[135:136]
	v_mul_f64 v[127:128], v[119:120], v[153:154]
	v_fma_f64 v[3:4], v[4:5], v[149:150], v[133:134]
	v_add_f64 v[123:124], v[131:132], v[123:124]
	v_add_f64 v[5:6], v[6:7], v[125:126]
	s_waitcnt vmcnt(4)
	v_fma_f64 v[7:8], v[119:120], v[155:156], -v[129:130]
	v_fma_f64 v[119:120], v[121:122], v[155:156], v[127:128]
	v_add_f64 v[1:2], v[123:124], v[1:2]
	v_add_f64 v[3:4], v[5:6], v[3:4]
	;; [unrolled: 1-line block ×4, first 2 shown]
	s_waitcnt vmcnt(2)
	v_add_f64 v[1:2], v[157:158], -v[1:2]
	s_waitcnt vmcnt(0)
	v_add_f64 v[3:4], v[159:160], -v[3:4]
	buffer_store_dword v2, off, s[0:3], 0 offset:756
	buffer_store_dword v1, off, s[0:3], 0 offset:752
	;; [unrolled: 1-line block ×4, first 2 shown]
	v_cmpx_lt_u32_e32 45, v0
	s_cbranch_execz .LBB118_253
; %bb.252:
	v_mov_b32_e32 v4, s21
	v_mov_b32_e32 v5, 0
	s_clause 0x3
	buffer_load_dword v1, v4, s[0:3], 0 offen
	buffer_load_dword v2, v4, s[0:3], 0 offen offset:4
	buffer_load_dword v3, v4, s[0:3], 0 offen offset:8
	;; [unrolled: 1-line block ×3, first 2 shown]
	buffer_store_dword v5, off, s[0:3], 0 offset:736
	buffer_store_dword v5, off, s[0:3], 0 offset:740
	;; [unrolled: 1-line block ×4, first 2 shown]
	s_waitcnt vmcnt(0)
	ds_write_b128 v179, v[1:4]
.LBB118_253:
	s_or_b32 exec_lo, exec_lo, s4
	s_waitcnt lgkmcnt(0)
	s_waitcnt_vscnt null, 0x0
	s_barrier
	buffer_gl0_inv
	s_clause 0x27
	buffer_load_dword v6, off, s[0:3], 0 offset:760
	buffer_load_dword v7, off, s[0:3], 0 offset:764
	;; [unrolled: 1-line block ×40, first 2 shown]
	v_mov_b32_e32 v1, 0
	ds_read_b128 v[2:5], v1 offset:1616
	ds_read_b128 v[119:122], v1 offset:1632
	ds_read_b128 v[123:126], v1 offset:1648
	s_mov_b32 s4, exec_lo
	s_waitcnt vmcnt(38) lgkmcnt(2)
	v_mul_f64 v[165:166], v[4:5], v[6:7]
	v_mul_f64 v[6:7], v[2:3], v[6:7]
	s_waitcnt vmcnt(36) lgkmcnt(1)
	v_mul_f64 v[167:168], v[121:122], v[127:128]
	v_mul_f64 v[127:128], v[119:120], v[127:128]
	s_waitcnt vmcnt(34)
	v_fma_f64 v[165:166], v[2:3], v[129:130], -v[165:166]
	v_fma_f64 v[6:7], v[4:5], v[129:130], v[6:7]
	ds_read_b128 v[2:5], v1 offset:1664
	s_waitcnt vmcnt(32) lgkmcnt(1)
	v_mul_f64 v[129:130], v[123:124], v[131:132]
	v_mul_f64 v[131:132], v[125:126], v[131:132]
	s_waitcnt vmcnt(30)
	v_fma_f64 v[167:168], v[119:120], v[133:134], -v[167:168]
	v_fma_f64 v[127:128], v[121:122], v[133:134], v[127:128]
	ds_read_b128 v[119:122], v1 offset:1680
	s_waitcnt vmcnt(26) lgkmcnt(1)
	v_mul_f64 v[133:134], v[2:3], v[135:136]
	v_add_f64 v[165:166], v[165:166], 0
	v_add_f64 v[6:7], v[6:7], 0
	v_mul_f64 v[135:136], v[4:5], v[135:136]
	s_waitcnt vmcnt(24)
	v_fma_f64 v[131:132], v[123:124], v[141:142], -v[131:132]
	v_fma_f64 v[129:130], v[125:126], v[141:142], v[129:130]
	ds_read_b128 v[123:126], v1 offset:1696
	s_waitcnt vmcnt(21)
	v_fma_f64 v[133:134], v[4:5], v[143:144], v[133:134]
	v_add_f64 v[165:166], v[165:166], v[167:168]
	v_add_f64 v[6:7], v[6:7], v[127:128]
	s_waitcnt lgkmcnt(1)
	v_mul_f64 v[127:128], v[119:120], v[137:138]
	v_mul_f64 v[137:138], v[121:122], v[137:138]
	v_fma_f64 v[135:136], v[2:3], v[143:144], -v[135:136]
	s_waitcnt vmcnt(17) lgkmcnt(0)
	v_mul_f64 v[141:142], v[125:126], v[145:146]
	ds_read_b128 v[2:5], v1 offset:1712
	v_add_f64 v[131:132], v[165:166], v[131:132]
	v_add_f64 v[6:7], v[6:7], v[129:130]
	v_mul_f64 v[129:130], v[123:124], v[145:146]
	s_waitcnt vmcnt(16)
	v_fma_f64 v[137:138], v[119:120], v[139:140], -v[137:138]
	v_fma_f64 v[127:128], v[121:122], v[139:140], v[127:128]
	ds_read_b128 v[119:122], v1 offset:1728
	s_waitcnt vmcnt(13)
	v_fma_f64 v[139:140], v[123:124], v[151:152], -v[141:142]
	v_add_f64 v[131:132], v[131:132], v[135:136]
	v_add_f64 v[6:7], v[6:7], v[133:134]
	s_waitcnt lgkmcnt(1)
	v_mul_f64 v[135:136], v[4:5], v[147:148]
	v_mul_f64 v[133:134], v[2:3], v[147:148]
	v_fma_f64 v[129:130], v[125:126], v[151:152], v[129:130]
	ds_read_b128 v[123:126], v1 offset:1744
	v_add_f64 v[131:132], v[131:132], v[137:138]
	v_add_f64 v[6:7], v[6:7], v[127:128]
	s_waitcnt vmcnt(9) lgkmcnt(1)
	v_mul_f64 v[137:138], v[121:122], v[153:154]
	s_waitcnt vmcnt(8)
	v_fma_f64 v[2:3], v[2:3], v[149:150], -v[135:136]
	v_mul_f64 v[127:128], v[119:120], v[153:154]
	v_fma_f64 v[4:5], v[4:5], v[149:150], v[133:134]
	s_waitcnt vmcnt(7) lgkmcnt(0)
	v_mul_f64 v[133:134], v[125:126], v[155:156]
	v_add_f64 v[131:132], v[131:132], v[139:140]
	v_add_f64 v[6:7], v[6:7], v[129:130]
	s_waitcnt vmcnt(5)
	v_fma_f64 v[119:120], v[119:120], v[159:160], -v[137:138]
	v_mul_f64 v[129:130], v[123:124], v[155:156]
	v_fma_f64 v[121:122], v[121:122], v[159:160], v[127:128]
	v_add_f64 v[2:3], v[131:132], v[2:3]
	v_add_f64 v[4:5], v[6:7], v[4:5]
	s_waitcnt vmcnt(4)
	v_fma_f64 v[6:7], v[123:124], v[157:158], -v[133:134]
	v_add_f64 v[2:3], v[2:3], v[119:120]
	v_fma_f64 v[119:120], v[125:126], v[157:158], v[129:130]
	v_add_f64 v[4:5], v[4:5], v[121:122]
	v_add_f64 v[2:3], v[2:3], v[6:7]
	v_add_f64 v[4:5], v[4:5], v[119:120]
	s_waitcnt vmcnt(2)
	v_add_f64 v[2:3], v[161:162], -v[2:3]
	s_waitcnt vmcnt(0)
	v_add_f64 v[4:5], v[163:164], -v[4:5]
	buffer_store_dword v3, off, s[0:3], 0 offset:740
	buffer_store_dword v2, off, s[0:3], 0 offset:736
	;; [unrolled: 1-line block ×4, first 2 shown]
	v_cmpx_lt_u32_e32 44, v0
	s_cbranch_execz .LBB118_255
; %bb.254:
	v_mov_b32_e32 v5, s22
	s_clause 0x3
	buffer_load_dword v2, v5, s[0:3], 0 offen
	buffer_load_dword v3, v5, s[0:3], 0 offen offset:4
	buffer_load_dword v4, v5, s[0:3], 0 offen offset:8
	;; [unrolled: 1-line block ×3, first 2 shown]
	buffer_store_dword v1, off, s[0:3], 0 offset:720
	buffer_store_dword v1, off, s[0:3], 0 offset:724
	;; [unrolled: 1-line block ×4, first 2 shown]
	s_waitcnt vmcnt(0)
	ds_write_b128 v179, v[2:5]
.LBB118_255:
	s_or_b32 exec_lo, exec_lo, s4
	s_waitcnt lgkmcnt(0)
	s_waitcnt_vscnt null, 0x0
	s_barrier
	buffer_gl0_inv
	s_clause 0x2b
	buffer_load_dword v6, off, s[0:3], 0 offset:744
	buffer_load_dword v7, off, s[0:3], 0 offset:748
	;; [unrolled: 1-line block ×44, first 2 shown]
	ds_read_b128 v[2:5], v1 offset:1600
	ds_read_b128 v[119:122], v1 offset:1616
	;; [unrolled: 1-line block ×3, first 2 shown]
	s_mov_b32 s4, exec_lo
	s_waitcnt vmcnt(42) lgkmcnt(2)
	v_mul_f64 v[169:170], v[4:5], v[6:7]
	v_mul_f64 v[6:7], v[2:3], v[6:7]
	s_waitcnt vmcnt(40) lgkmcnt(1)
	v_mul_f64 v[171:172], v[121:122], v[127:128]
	v_mul_f64 v[127:128], v[119:120], v[127:128]
	s_waitcnt vmcnt(38)
	v_fma_f64 v[169:170], v[2:3], v[129:130], -v[169:170]
	v_fma_f64 v[6:7], v[4:5], v[129:130], v[6:7]
	ds_read_b128 v[2:5], v1 offset:1648
	s_waitcnt vmcnt(36) lgkmcnt(1)
	v_mul_f64 v[129:130], v[123:124], v[131:132]
	v_mul_f64 v[131:132], v[125:126], v[131:132]
	s_waitcnt vmcnt(34)
	v_fma_f64 v[171:172], v[119:120], v[133:134], -v[171:172]
	v_fma_f64 v[127:128], v[121:122], v[133:134], v[127:128]
	ds_read_b128 v[119:122], v1 offset:1664
	s_waitcnt vmcnt(30) lgkmcnt(1)
	v_mul_f64 v[133:134], v[2:3], v[135:136]
	v_add_f64 v[169:170], v[169:170], 0
	v_add_f64 v[6:7], v[6:7], 0
	v_mul_f64 v[135:136], v[4:5], v[135:136]
	s_waitcnt vmcnt(28)
	v_fma_f64 v[131:132], v[123:124], v[141:142], -v[131:132]
	v_fma_f64 v[129:130], v[125:126], v[141:142], v[129:130]
	ds_read_b128 v[123:126], v1 offset:1680
	s_waitcnt vmcnt(25)
	v_fma_f64 v[133:134], v[4:5], v[143:144], v[133:134]
	v_add_f64 v[169:170], v[169:170], v[171:172]
	v_add_f64 v[6:7], v[6:7], v[127:128]
	s_waitcnt lgkmcnt(1)
	v_mul_f64 v[127:128], v[119:120], v[137:138]
	v_mul_f64 v[137:138], v[121:122], v[137:138]
	v_fma_f64 v[135:136], v[2:3], v[143:144], -v[135:136]
	s_waitcnt vmcnt(21) lgkmcnt(0)
	v_mul_f64 v[141:142], v[125:126], v[145:146]
	ds_read_b128 v[2:5], v1 offset:1696
	v_add_f64 v[131:132], v[169:170], v[131:132]
	v_add_f64 v[6:7], v[6:7], v[129:130]
	v_mul_f64 v[129:130], v[123:124], v[145:146]
	s_waitcnt vmcnt(20)
	v_fma_f64 v[137:138], v[119:120], v[139:140], -v[137:138]
	v_fma_f64 v[127:128], v[121:122], v[139:140], v[127:128]
	ds_read_b128 v[119:122], v1 offset:1712
	s_waitcnt vmcnt(17)
	v_fma_f64 v[139:140], v[123:124], v[151:152], -v[141:142]
	v_add_f64 v[131:132], v[131:132], v[135:136]
	v_add_f64 v[6:7], v[6:7], v[133:134]
	s_waitcnt lgkmcnt(1)
	v_mul_f64 v[135:136], v[4:5], v[147:148]
	v_mul_f64 v[133:134], v[2:3], v[147:148]
	v_fma_f64 v[129:130], v[125:126], v[151:152], v[129:130]
	ds_read_b128 v[123:126], v1 offset:1728
	v_add_f64 v[131:132], v[131:132], v[137:138]
	v_add_f64 v[6:7], v[6:7], v[127:128]
	s_waitcnt vmcnt(13) lgkmcnt(1)
	v_mul_f64 v[137:138], v[121:122], v[153:154]
	s_waitcnt vmcnt(12)
	v_fma_f64 v[135:136], v[2:3], v[149:150], -v[135:136]
	v_mul_f64 v[127:128], v[119:120], v[153:154]
	v_fma_f64 v[133:134], v[4:5], v[149:150], v[133:134]
	ds_read_b128 v[1:4], v1 offset:1744
	v_add_f64 v[131:132], v[131:132], v[139:140]
	v_add_f64 v[5:6], v[6:7], v[129:130]
	s_waitcnt vmcnt(11) lgkmcnt(1)
	v_mul_f64 v[129:130], v[125:126], v[155:156]
	s_waitcnt vmcnt(9)
	v_fma_f64 v[119:120], v[119:120], v[159:160], -v[137:138]
	v_mul_f64 v[7:8], v[123:124], v[155:156]
	v_fma_f64 v[121:122], v[121:122], v[159:160], v[127:128]
	s_waitcnt vmcnt(7) lgkmcnt(0)
	v_mul_f64 v[127:128], v[1:2], v[161:162]
	v_add_f64 v[131:132], v[131:132], v[135:136]
	v_add_f64 v[5:6], v[5:6], v[133:134]
	v_mul_f64 v[133:134], v[3:4], v[161:162]
	s_waitcnt vmcnt(6)
	v_fma_f64 v[123:124], v[123:124], v[157:158], -v[129:130]
	v_fma_f64 v[7:8], v[125:126], v[157:158], v[7:8]
	s_waitcnt vmcnt(4)
	v_fma_f64 v[3:4], v[3:4], v[163:164], v[127:128]
	v_add_f64 v[119:120], v[131:132], v[119:120]
	v_add_f64 v[5:6], v[5:6], v[121:122]
	v_fma_f64 v[1:2], v[1:2], v[163:164], -v[133:134]
	v_add_f64 v[119:120], v[119:120], v[123:124]
	v_add_f64 v[5:6], v[5:6], v[7:8]
	;; [unrolled: 1-line block ×4, first 2 shown]
	s_waitcnt vmcnt(2)
	v_add_f64 v[1:2], v[165:166], -v[1:2]
	s_waitcnt vmcnt(0)
	v_add_f64 v[3:4], v[167:168], -v[3:4]
	buffer_store_dword v2, off, s[0:3], 0 offset:724
	buffer_store_dword v1, off, s[0:3], 0 offset:720
	;; [unrolled: 1-line block ×4, first 2 shown]
	v_cmpx_lt_u32_e32 43, v0
	s_cbranch_execz .LBB118_257
; %bb.256:
	v_mov_b32_e32 v4, s23
	v_mov_b32_e32 v5, 0
	s_clause 0x3
	buffer_load_dword v1, v4, s[0:3], 0 offen
	buffer_load_dword v2, v4, s[0:3], 0 offen offset:4
	buffer_load_dword v3, v4, s[0:3], 0 offen offset:8
	;; [unrolled: 1-line block ×3, first 2 shown]
	buffer_store_dword v5, off, s[0:3], 0 offset:704
	buffer_store_dword v5, off, s[0:3], 0 offset:708
	;; [unrolled: 1-line block ×4, first 2 shown]
	s_waitcnt vmcnt(0)
	ds_write_b128 v179, v[1:4]
.LBB118_257:
	s_or_b32 exec_lo, exec_lo, s4
	s_waitcnt lgkmcnt(0)
	s_waitcnt_vscnt null, 0x0
	s_barrier
	buffer_gl0_inv
	s_clause 0x2f
	buffer_load_dword v6, off, s[0:3], 0 offset:728
	buffer_load_dword v7, off, s[0:3], 0 offset:732
	;; [unrolled: 1-line block ×48, first 2 shown]
	v_mov_b32_e32 v1, 0
	ds_read_b128 v[2:5], v1 offset:1584
	ds_read_b128 v[119:122], v1 offset:1600
	;; [unrolled: 1-line block ×3, first 2 shown]
	s_mov_b32 s4, exec_lo
	s_waitcnt vmcnt(46) lgkmcnt(2)
	v_mul_f64 v[173:174], v[4:5], v[6:7]
	v_mul_f64 v[6:7], v[2:3], v[6:7]
	s_waitcnt vmcnt(44) lgkmcnt(1)
	v_mul_f64 v[175:176], v[121:122], v[127:128]
	v_mul_f64 v[127:128], v[119:120], v[127:128]
	s_waitcnt vmcnt(42)
	v_fma_f64 v[173:174], v[2:3], v[129:130], -v[173:174]
	v_fma_f64 v[6:7], v[4:5], v[129:130], v[6:7]
	ds_read_b128 v[2:5], v1 offset:1632
	s_waitcnt vmcnt(40) lgkmcnt(1)
	v_mul_f64 v[129:130], v[123:124], v[131:132]
	v_mul_f64 v[131:132], v[125:126], v[131:132]
	s_waitcnt vmcnt(38)
	v_fma_f64 v[175:176], v[119:120], v[133:134], -v[175:176]
	v_fma_f64 v[127:128], v[121:122], v[133:134], v[127:128]
	ds_read_b128 v[119:122], v1 offset:1648
	s_waitcnt vmcnt(34) lgkmcnt(1)
	v_mul_f64 v[133:134], v[2:3], v[135:136]
	v_add_f64 v[173:174], v[173:174], 0
	v_add_f64 v[6:7], v[6:7], 0
	v_mul_f64 v[135:136], v[4:5], v[135:136]
	s_waitcnt vmcnt(32)
	v_fma_f64 v[131:132], v[123:124], v[141:142], -v[131:132]
	v_fma_f64 v[129:130], v[125:126], v[141:142], v[129:130]
	ds_read_b128 v[123:126], v1 offset:1664
	s_waitcnt vmcnt(29)
	v_fma_f64 v[133:134], v[4:5], v[143:144], v[133:134]
	v_add_f64 v[173:174], v[173:174], v[175:176]
	v_add_f64 v[6:7], v[6:7], v[127:128]
	s_waitcnt lgkmcnt(1)
	v_mul_f64 v[127:128], v[119:120], v[137:138]
	v_mul_f64 v[137:138], v[121:122], v[137:138]
	v_fma_f64 v[135:136], v[2:3], v[143:144], -v[135:136]
	s_waitcnt vmcnt(25) lgkmcnt(0)
	v_mul_f64 v[141:142], v[125:126], v[145:146]
	ds_read_b128 v[2:5], v1 offset:1680
	v_add_f64 v[131:132], v[173:174], v[131:132]
	v_add_f64 v[6:7], v[6:7], v[129:130]
	v_mul_f64 v[129:130], v[123:124], v[145:146]
	s_waitcnt vmcnt(24)
	v_fma_f64 v[137:138], v[119:120], v[139:140], -v[137:138]
	v_fma_f64 v[127:128], v[121:122], v[139:140], v[127:128]
	ds_read_b128 v[119:122], v1 offset:1696
	s_waitcnt vmcnt(21)
	v_fma_f64 v[139:140], v[123:124], v[151:152], -v[141:142]
	v_add_f64 v[131:132], v[131:132], v[135:136]
	v_add_f64 v[6:7], v[6:7], v[133:134]
	s_waitcnt lgkmcnt(1)
	v_mul_f64 v[135:136], v[4:5], v[147:148]
	v_mul_f64 v[133:134], v[2:3], v[147:148]
	v_fma_f64 v[129:130], v[125:126], v[151:152], v[129:130]
	ds_read_b128 v[123:126], v1 offset:1712
	v_add_f64 v[131:132], v[131:132], v[137:138]
	v_add_f64 v[6:7], v[6:7], v[127:128]
	s_waitcnt vmcnt(17) lgkmcnt(1)
	v_mul_f64 v[137:138], v[121:122], v[153:154]
	s_waitcnt vmcnt(16)
	v_fma_f64 v[135:136], v[2:3], v[149:150], -v[135:136]
	v_mul_f64 v[127:128], v[119:120], v[153:154]
	v_fma_f64 v[133:134], v[4:5], v[149:150], v[133:134]
	ds_read_b128 v[2:5], v1 offset:1728
	v_add_f64 v[131:132], v[131:132], v[139:140]
	v_add_f64 v[6:7], v[6:7], v[129:130]
	s_waitcnt vmcnt(15) lgkmcnt(1)
	v_mul_f64 v[139:140], v[125:126], v[155:156]
	s_waitcnt vmcnt(13)
	v_fma_f64 v[137:138], v[119:120], v[159:160], -v[137:138]
	;; [unrolled: 9-line block ×3, first 2 shown]
	v_mul_f64 v[133:134], v[2:3], v[161:162]
	v_fma_f64 v[125:126], v[125:126], v[157:158], v[129:130]
	s_waitcnt vmcnt(7) lgkmcnt(0)
	v_mul_f64 v[129:130], v[121:122], v[163:164]
	v_add_f64 v[131:132], v[131:132], v[137:138]
	v_add_f64 v[6:7], v[6:7], v[127:128]
	s_waitcnt vmcnt(5)
	v_fma_f64 v[2:3], v[2:3], v[167:168], -v[135:136]
	v_mul_f64 v[127:128], v[119:120], v[163:164]
	v_fma_f64 v[4:5], v[4:5], v[167:168], v[133:134]
	s_waitcnt vmcnt(4)
	v_fma_f64 v[119:120], v[119:120], v[165:166], -v[129:130]
	v_add_f64 v[123:124], v[131:132], v[123:124]
	v_add_f64 v[6:7], v[6:7], v[125:126]
	v_fma_f64 v[121:122], v[121:122], v[165:166], v[127:128]
	v_add_f64 v[2:3], v[123:124], v[2:3]
	v_add_f64 v[4:5], v[6:7], v[4:5]
	;; [unrolled: 1-line block ×4, first 2 shown]
	s_waitcnt vmcnt(2)
	v_add_f64 v[2:3], v[169:170], -v[2:3]
	s_waitcnt vmcnt(0)
	v_add_f64 v[4:5], v[171:172], -v[4:5]
	buffer_store_dword v3, off, s[0:3], 0 offset:708
	buffer_store_dword v2, off, s[0:3], 0 offset:704
	buffer_store_dword v5, off, s[0:3], 0 offset:716
	buffer_store_dword v4, off, s[0:3], 0 offset:712
	v_cmpx_lt_u32_e32 42, v0
	s_cbranch_execz .LBB118_259
; %bb.258:
	v_mov_b32_e32 v5, s24
	s_clause 0x3
	buffer_load_dword v2, v5, s[0:3], 0 offen
	buffer_load_dword v3, v5, s[0:3], 0 offen offset:4
	buffer_load_dword v4, v5, s[0:3], 0 offen offset:8
	;; [unrolled: 1-line block ×3, first 2 shown]
	buffer_store_dword v1, off, s[0:3], 0 offset:688
	buffer_store_dword v1, off, s[0:3], 0 offset:692
	;; [unrolled: 1-line block ×4, first 2 shown]
	s_waitcnt vmcnt(0)
	ds_write_b128 v179, v[2:5]
.LBB118_259:
	s_or_b32 exec_lo, exec_lo, s4
	s_waitcnt lgkmcnt(0)
	s_waitcnt_vscnt null, 0x0
	s_barrier
	buffer_gl0_inv
	s_clause 0x2f
	buffer_load_dword v6, off, s[0:3], 0 offset:712
	buffer_load_dword v7, off, s[0:3], 0 offset:716
	;; [unrolled: 1-line block ×48, first 2 shown]
	ds_read_b128 v[2:5], v1 offset:1568
	s_clause 0x3
	buffer_load_dword v173, off, s[0:3], 0 offset:688
	buffer_load_dword v174, off, s[0:3], 0 offset:692
	;; [unrolled: 1-line block ×4, first 2 shown]
	ds_read_b128 v[119:122], v1 offset:1584
	ds_read_b128 v[123:126], v1 offset:1600
	s_mov_b32 s4, exec_lo
	s_waitcnt vmcnt(50) lgkmcnt(2)
	v_mul_f64 v[177:178], v[4:5], v[6:7]
	v_mul_f64 v[6:7], v[2:3], v[6:7]
	s_waitcnt vmcnt(48) lgkmcnt(1)
	v_mul_f64 v[180:181], v[121:122], v[127:128]
	v_mul_f64 v[127:128], v[119:120], v[127:128]
	s_waitcnt vmcnt(46)
	v_fma_f64 v[177:178], v[2:3], v[129:130], -v[177:178]
	v_fma_f64 v[6:7], v[4:5], v[129:130], v[6:7]
	s_waitcnt vmcnt(44) lgkmcnt(0)
	v_mul_f64 v[129:130], v[123:124], v[131:132]
	v_mul_f64 v[131:132], v[125:126], v[131:132]
	s_waitcnt vmcnt(42)
	v_fma_f64 v[180:181], v[119:120], v[133:134], -v[180:181]
	ds_read_b128 v[2:5], v1 offset:1616
	v_fma_f64 v[127:128], v[121:122], v[133:134], v[127:128]
	ds_read_b128 v[119:122], v1 offset:1632
	v_add_f64 v[177:178], v[177:178], 0
	v_add_f64 v[6:7], v[6:7], 0
	s_waitcnt vmcnt(36)
	v_fma_f64 v[129:130], v[125:126], v[141:142], v[129:130]
	s_waitcnt lgkmcnt(1)
	v_mul_f64 v[133:134], v[2:3], v[135:136]
	v_mul_f64 v[135:136], v[4:5], v[135:136]
	v_fma_f64 v[131:132], v[123:124], v[141:142], -v[131:132]
	ds_read_b128 v[123:126], v1 offset:1648
	v_add_f64 v[177:178], v[177:178], v[180:181]
	v_add_f64 v[6:7], v[6:7], v[127:128]
	s_waitcnt vmcnt(35) lgkmcnt(1)
	v_mul_f64 v[127:128], v[119:120], v[137:138]
	v_mul_f64 v[137:138], v[121:122], v[137:138]
	s_waitcnt vmcnt(33)
	v_fma_f64 v[135:136], v[2:3], v[143:144], -v[135:136]
	v_fma_f64 v[133:134], v[4:5], v[143:144], v[133:134]
	ds_read_b128 v[2:5], v1 offset:1664
	s_waitcnt vmcnt(29) lgkmcnt(1)
	v_mul_f64 v[141:142], v[125:126], v[145:146]
	v_add_f64 v[131:132], v[177:178], v[131:132]
	v_add_f64 v[6:7], v[6:7], v[129:130]
	v_mul_f64 v[129:130], v[123:124], v[145:146]
	s_waitcnt vmcnt(28)
	v_fma_f64 v[137:138], v[119:120], v[139:140], -v[137:138]
	v_fma_f64 v[127:128], v[121:122], v[139:140], v[127:128]
	ds_read_b128 v[119:122], v1 offset:1680
	s_waitcnt vmcnt(25)
	v_fma_f64 v[139:140], v[123:124], v[151:152], -v[141:142]
	v_add_f64 v[131:132], v[131:132], v[135:136]
	v_add_f64 v[6:7], v[6:7], v[133:134]
	s_waitcnt lgkmcnt(1)
	v_mul_f64 v[135:136], v[4:5], v[147:148]
	v_mul_f64 v[133:134], v[2:3], v[147:148]
	v_fma_f64 v[129:130], v[125:126], v[151:152], v[129:130]
	ds_read_b128 v[123:126], v1 offset:1696
	v_add_f64 v[131:132], v[131:132], v[137:138]
	v_add_f64 v[6:7], v[6:7], v[127:128]
	s_waitcnt vmcnt(21) lgkmcnt(1)
	v_mul_f64 v[137:138], v[121:122], v[153:154]
	s_waitcnt vmcnt(20)
	v_fma_f64 v[135:136], v[2:3], v[149:150], -v[135:136]
	v_mul_f64 v[127:128], v[119:120], v[153:154]
	v_fma_f64 v[133:134], v[4:5], v[149:150], v[133:134]
	ds_read_b128 v[2:5], v1 offset:1712
	v_add_f64 v[131:132], v[131:132], v[139:140]
	v_add_f64 v[6:7], v[6:7], v[129:130]
	s_waitcnt vmcnt(19) lgkmcnt(1)
	v_mul_f64 v[139:140], v[125:126], v[155:156]
	s_waitcnt vmcnt(17)
	v_fma_f64 v[137:138], v[119:120], v[159:160], -v[137:138]
	;; [unrolled: 9-line block ×4, first 2 shown]
	v_mul_f64 v[127:128], v[119:120], v[163:164]
	v_fma_f64 v[3:4], v[4:5], v[167:168], v[133:134]
	v_add_f64 v[131:132], v[131:132], v[139:140]
	v_add_f64 v[5:6], v[6:7], v[129:130]
	s_waitcnt vmcnt(7) lgkmcnt(0)
	v_mul_f64 v[129:130], v[125:126], v[169:170]
	s_waitcnt vmcnt(6)
	v_fma_f64 v[119:120], v[119:120], v[165:166], -v[137:138]
	v_mul_f64 v[7:8], v[123:124], v[169:170]
	v_fma_f64 v[121:122], v[121:122], v[165:166], v[127:128]
	v_add_f64 v[1:2], v[131:132], v[1:2]
	v_add_f64 v[3:4], v[5:6], v[3:4]
	s_waitcnt vmcnt(4)
	v_fma_f64 v[5:6], v[123:124], v[171:172], -v[129:130]
	v_fma_f64 v[7:8], v[125:126], v[171:172], v[7:8]
	v_add_f64 v[1:2], v[1:2], v[119:120]
	v_add_f64 v[3:4], v[3:4], v[121:122]
	;; [unrolled: 1-line block ×4, first 2 shown]
	s_waitcnt vmcnt(2)
	v_add_f64 v[1:2], v[173:174], -v[1:2]
	s_waitcnt vmcnt(0)
	v_add_f64 v[3:4], v[175:176], -v[3:4]
	buffer_store_dword v2, off, s[0:3], 0 offset:692
	buffer_store_dword v1, off, s[0:3], 0 offset:688
	;; [unrolled: 1-line block ×4, first 2 shown]
	v_cmpx_lt_u32_e32 41, v0
	s_cbranch_execz .LBB118_261
; %bb.260:
	v_mov_b32_e32 v4, s25
	v_mov_b32_e32 v5, 0
	s_clause 0x3
	buffer_load_dword v1, v4, s[0:3], 0 offen
	buffer_load_dword v2, v4, s[0:3], 0 offen offset:4
	buffer_load_dword v3, v4, s[0:3], 0 offen offset:8
	;; [unrolled: 1-line block ×3, first 2 shown]
	buffer_store_dword v5, off, s[0:3], 0 offset:672
	buffer_store_dword v5, off, s[0:3], 0 offset:676
	;; [unrolled: 1-line block ×4, first 2 shown]
	s_waitcnt vmcnt(0)
	ds_write_b128 v179, v[1:4]
.LBB118_261:
	s_or_b32 exec_lo, exec_lo, s4
	s_waitcnt lgkmcnt(0)
	s_waitcnt_vscnt null, 0x0
	s_barrier
	buffer_gl0_inv
	s_clause 0x33
	buffer_load_dword v6, off, s[0:3], 0 offset:696
	buffer_load_dword v7, off, s[0:3], 0 offset:700
	;; [unrolled: 1-line block ×52, first 2 shown]
	v_mov_b32_e32 v1, 0
	ds_read_b128 v[2:5], v1 offset:1552
	ds_read_b128 v[119:122], v1 offset:1568
	s_clause 0x3
	buffer_load_dword v180, off, s[0:3], 0 offset:672
	buffer_load_dword v181, off, s[0:3], 0 offset:676
	buffer_load_dword v182, off, s[0:3], 0 offset:680
	buffer_load_dword v183, off, s[0:3], 0 offset:684
	ds_read_b128 v[123:126], v1 offset:1584
	s_mov_b32 s4, exec_lo
	s_waitcnt vmcnt(54) lgkmcnt(2)
	v_mul_f64 v[177:178], v[4:5], v[6:7]
	v_mul_f64 v[6:7], v[2:3], v[6:7]
	s_waitcnt vmcnt(52) lgkmcnt(1)
	v_mul_f64 v[184:185], v[121:122], v[127:128]
	v_mul_f64 v[127:128], v[119:120], v[127:128]
	s_waitcnt vmcnt(50)
	v_fma_f64 v[177:178], v[2:3], v[129:130], -v[177:178]
	v_fma_f64 v[6:7], v[4:5], v[129:130], v[6:7]
	ds_read_b128 v[2:5], v1 offset:1600
	s_waitcnt vmcnt(48) lgkmcnt(1)
	v_mul_f64 v[129:130], v[123:124], v[131:132]
	v_mul_f64 v[131:132], v[125:126], v[131:132]
	s_waitcnt vmcnt(46)
	v_fma_f64 v[184:185], v[119:120], v[133:134], -v[184:185]
	v_fma_f64 v[127:128], v[121:122], v[133:134], v[127:128]
	ds_read_b128 v[119:122], v1 offset:1616
	s_waitcnt vmcnt(42) lgkmcnt(1)
	v_mul_f64 v[133:134], v[2:3], v[135:136]
	v_add_f64 v[177:178], v[177:178], 0
	v_add_f64 v[6:7], v[6:7], 0
	v_mul_f64 v[135:136], v[4:5], v[135:136]
	s_waitcnt vmcnt(40)
	v_fma_f64 v[131:132], v[123:124], v[141:142], -v[131:132]
	v_fma_f64 v[129:130], v[125:126], v[141:142], v[129:130]
	ds_read_b128 v[123:126], v1 offset:1632
	s_waitcnt vmcnt(37)
	v_fma_f64 v[133:134], v[4:5], v[143:144], v[133:134]
	v_add_f64 v[177:178], v[177:178], v[184:185]
	v_add_f64 v[6:7], v[6:7], v[127:128]
	s_waitcnt lgkmcnt(1)
	v_mul_f64 v[127:128], v[119:120], v[137:138]
	v_mul_f64 v[137:138], v[121:122], v[137:138]
	v_fma_f64 v[135:136], v[2:3], v[143:144], -v[135:136]
	s_waitcnt vmcnt(33) lgkmcnt(0)
	v_mul_f64 v[141:142], v[125:126], v[145:146]
	ds_read_b128 v[2:5], v1 offset:1648
	v_add_f64 v[131:132], v[177:178], v[131:132]
	v_add_f64 v[6:7], v[6:7], v[129:130]
	v_mul_f64 v[129:130], v[123:124], v[145:146]
	s_waitcnt vmcnt(32)
	v_fma_f64 v[137:138], v[119:120], v[139:140], -v[137:138]
	v_fma_f64 v[127:128], v[121:122], v[139:140], v[127:128]
	ds_read_b128 v[119:122], v1 offset:1664
	s_waitcnt vmcnt(29)
	v_fma_f64 v[139:140], v[123:124], v[151:152], -v[141:142]
	v_add_f64 v[131:132], v[131:132], v[135:136]
	v_add_f64 v[6:7], v[6:7], v[133:134]
	s_waitcnt lgkmcnt(1)
	v_mul_f64 v[135:136], v[4:5], v[147:148]
	v_mul_f64 v[133:134], v[2:3], v[147:148]
	v_fma_f64 v[129:130], v[125:126], v[151:152], v[129:130]
	ds_read_b128 v[123:126], v1 offset:1680
	v_add_f64 v[131:132], v[131:132], v[137:138]
	v_add_f64 v[6:7], v[6:7], v[127:128]
	s_waitcnt vmcnt(25) lgkmcnt(1)
	v_mul_f64 v[137:138], v[121:122], v[153:154]
	s_waitcnt vmcnt(24)
	v_fma_f64 v[135:136], v[2:3], v[149:150], -v[135:136]
	v_mul_f64 v[127:128], v[119:120], v[153:154]
	v_fma_f64 v[133:134], v[4:5], v[149:150], v[133:134]
	ds_read_b128 v[2:5], v1 offset:1696
	v_add_f64 v[131:132], v[131:132], v[139:140]
	v_add_f64 v[6:7], v[6:7], v[129:130]
	s_waitcnt vmcnt(23) lgkmcnt(1)
	v_mul_f64 v[139:140], v[125:126], v[155:156]
	s_waitcnt vmcnt(21)
	v_fma_f64 v[137:138], v[119:120], v[159:160], -v[137:138]
	;; [unrolled: 9-line block ×5, first 2 shown]
	v_mul_f64 v[129:130], v[123:124], v[169:170]
	v_fma_f64 v[121:122], v[121:122], v[165:166], v[127:128]
	s_waitcnt vmcnt(7) lgkmcnt(0)
	v_mul_f64 v[127:128], v[2:3], v[171:172]
	v_add_f64 v[131:132], v[131:132], v[135:136]
	v_add_f64 v[6:7], v[6:7], v[133:134]
	v_mul_f64 v[133:134], v[4:5], v[171:172]
	s_waitcnt vmcnt(5)
	v_fma_f64 v[123:124], v[123:124], v[175:176], -v[139:140]
	v_fma_f64 v[125:126], v[125:126], v[175:176], v[129:130]
	s_waitcnt vmcnt(4)
	v_fma_f64 v[4:5], v[4:5], v[173:174], v[127:128]
	v_add_f64 v[119:120], v[131:132], v[119:120]
	v_add_f64 v[6:7], v[6:7], v[121:122]
	v_fma_f64 v[2:3], v[2:3], v[173:174], -v[133:134]
	v_add_f64 v[119:120], v[119:120], v[123:124]
	v_add_f64 v[6:7], v[6:7], v[125:126]
	;; [unrolled: 1-line block ×4, first 2 shown]
	s_waitcnt vmcnt(2)
	v_add_f64 v[2:3], v[180:181], -v[2:3]
	s_waitcnt vmcnt(0)
	v_add_f64 v[4:5], v[182:183], -v[4:5]
	buffer_store_dword v3, off, s[0:3], 0 offset:676
	buffer_store_dword v2, off, s[0:3], 0 offset:672
	;; [unrolled: 1-line block ×4, first 2 shown]
	v_cmpx_lt_u32_e32 40, v0
	s_cbranch_execz .LBB118_263
; %bb.262:
	v_mov_b32_e32 v5, s26
	s_clause 0x3
	buffer_load_dword v2, v5, s[0:3], 0 offen
	buffer_load_dword v3, v5, s[0:3], 0 offen offset:4
	buffer_load_dword v4, v5, s[0:3], 0 offen offset:8
	buffer_load_dword v5, v5, s[0:3], 0 offen offset:12
	buffer_store_dword v1, off, s[0:3], 0 offset:656
	buffer_store_dword v1, off, s[0:3], 0 offset:660
	;; [unrolled: 1-line block ×4, first 2 shown]
	s_waitcnt vmcnt(0)
	ds_write_b128 v179, v[2:5]
.LBB118_263:
	s_or_b32 exec_lo, exec_lo, s4
	s_waitcnt lgkmcnt(0)
	s_waitcnt_vscnt null, 0x0
	s_barrier
	buffer_gl0_inv
	s_clause 0x35
	buffer_load_dword v6, off, s[0:3], 0 offset:680
	buffer_load_dword v7, off, s[0:3], 0 offset:684
	;; [unrolled: 1-line block ×54, first 2 shown]
	ds_read_b128 v[2:5], v1 offset:1536
	s_clause 0x1
	buffer_load_dword v181, off, s[0:3], 0 offset:884
	buffer_load_dword v180, off, s[0:3], 0 offset:880
	ds_read_b128 v[119:122], v1 offset:1552
	ds_read_b128 v[123:126], v1 offset:1568
	s_mov_b32 s4, exec_lo
	s_waitcnt vmcnt(54) lgkmcnt(2)
	v_mul_f64 v[182:183], v[4:5], v[6:7]
	v_mul_f64 v[6:7], v[2:3], v[6:7]
	s_waitcnt vmcnt(52) lgkmcnt(1)
	v_mul_f64 v[184:185], v[121:122], v[127:128]
	v_mul_f64 v[127:128], v[119:120], v[127:128]
	s_waitcnt vmcnt(48) lgkmcnt(0)
	v_mul_f64 v[188:189], v[123:124], v[131:132]
	v_mul_f64 v[131:132], v[125:126], v[131:132]
	v_fma_f64 v[182:183], v[2:3], v[129:130], -v[182:183]
	v_fma_f64 v[6:7], v[4:5], v[129:130], v[6:7]
	s_clause 0x3
	buffer_load_dword v129, off, s[0:3], 0 offset:656
	buffer_load_dword v130, off, s[0:3], 0 offset:660
	;; [unrolled: 1-line block ×4, first 2 shown]
	s_waitcnt vmcnt(50)
	v_fma_f64 v[184:185], v[119:120], v[133:134], -v[184:185]
	ds_read_b128 v[2:5], v1 offset:1584
	v_fma_f64 v[127:128], v[121:122], v[133:134], v[127:128]
	ds_read_b128 v[119:122], v1 offset:1600
	s_waitcnt vmcnt(44)
	v_fma_f64 v[131:132], v[123:124], v[141:142], -v[131:132]
	v_fma_f64 v[141:142], v[125:126], v[141:142], v[188:189]
	ds_read_b128 v[123:126], v1 offset:1616
	v_add_f64 v[182:183], v[182:183], 0
	v_add_f64 v[6:7], v[6:7], 0
	s_waitcnt lgkmcnt(2)
	v_mul_f64 v[133:134], v[2:3], v[135:136]
	v_mul_f64 v[135:136], v[4:5], v[135:136]
	v_add_f64 v[182:183], v[182:183], v[184:185]
	v_add_f64 v[6:7], v[6:7], v[127:128]
	s_waitcnt vmcnt(43) lgkmcnt(1)
	v_mul_f64 v[127:128], v[119:120], v[137:138]
	v_mul_f64 v[137:138], v[121:122], v[137:138]
	s_waitcnt vmcnt(41)
	v_fma_f64 v[135:136], v[2:3], v[143:144], -v[135:136]
	v_fma_f64 v[133:134], v[4:5], v[143:144], v[133:134]
	ds_read_b128 v[2:5], v1 offset:1632
	s_waitcnt vmcnt(37) lgkmcnt(1)
	v_mul_f64 v[143:144], v[125:126], v[145:146]
	v_add_f64 v[131:132], v[182:183], v[131:132]
	v_add_f64 v[6:7], v[6:7], v[141:142]
	v_mul_f64 v[141:142], v[123:124], v[145:146]
	s_waitcnt vmcnt(36)
	v_fma_f64 v[137:138], v[119:120], v[139:140], -v[137:138]
	v_fma_f64 v[127:128], v[121:122], v[139:140], v[127:128]
	ds_read_b128 v[119:122], v1 offset:1648
	s_waitcnt vmcnt(33)
	v_fma_f64 v[139:140], v[123:124], v[151:152], -v[143:144]
	v_add_f64 v[131:132], v[131:132], v[135:136]
	v_add_f64 v[6:7], v[6:7], v[133:134]
	s_waitcnt lgkmcnt(1)
	v_mul_f64 v[135:136], v[4:5], v[147:148]
	v_mul_f64 v[133:134], v[2:3], v[147:148]
	v_add_f64 v[131:132], v[131:132], v[137:138]
	v_fma_f64 v[137:138], v[125:126], v[151:152], v[141:142]
	v_add_f64 v[6:7], v[6:7], v[127:128]
	ds_read_b128 v[123:126], v1 offset:1664
	s_waitcnt vmcnt(29) lgkmcnt(1)
	v_mul_f64 v[141:142], v[121:122], v[153:154]
	s_waitcnt vmcnt(28)
	v_fma_f64 v[135:136], v[2:3], v[149:150], -v[135:136]
	v_mul_f64 v[127:128], v[119:120], v[153:154]
	v_fma_f64 v[133:134], v[4:5], v[149:150], v[133:134]
	ds_read_b128 v[2:5], v1 offset:1680
	v_add_f64 v[131:132], v[131:132], v[139:140]
	s_waitcnt vmcnt(27) lgkmcnt(1)
	v_mul_f64 v[139:140], v[125:126], v[155:156]
	v_add_f64 v[6:7], v[6:7], v[137:138]
	v_mul_f64 v[137:138], v[123:124], v[155:156]
	s_waitcnt vmcnt(25)
	v_fma_f64 v[141:142], v[119:120], v[159:160], -v[141:142]
	v_fma_f64 v[127:128], v[121:122], v[159:160], v[127:128]
	ds_read_b128 v[119:122], v1 offset:1696
	v_add_f64 v[131:132], v[131:132], v[135:136]
	s_waitcnt vmcnt(21) lgkmcnt(1)
	v_mul_f64 v[135:136], v[4:5], v[161:162]
	v_add_f64 v[6:7], v[6:7], v[133:134]
	s_waitcnt vmcnt(20)
	v_fma_f64 v[139:140], v[123:124], v[157:158], -v[139:140]
	v_mul_f64 v[133:134], v[2:3], v[161:162]
	v_fma_f64 v[137:138], v[125:126], v[157:158], v[137:138]
	ds_read_b128 v[123:126], v1 offset:1712
	v_add_f64 v[131:132], v[131:132], v[141:142]
	s_waitcnt vmcnt(19) lgkmcnt(1)
	v_mul_f64 v[141:142], v[121:122], v[163:164]
	v_add_f64 v[6:7], v[6:7], v[127:128]
	s_waitcnt vmcnt(17)
	v_fma_f64 v[135:136], v[2:3], v[167:168], -v[135:136]
	v_mul_f64 v[127:128], v[119:120], v[163:164]
	;; [unrolled: 9-line block ×4, first 2 shown]
	v_fma_f64 v[125:126], v[125:126], v[175:176], v[137:138]
	s_waitcnt vmcnt(7) lgkmcnt(0)
	v_mul_f64 v[137:138], v[121:122], v[177:178]
	v_add_f64 v[131:132], v[131:132], v[141:142]
	s_waitcnt vmcnt(6)
	v_fma_f64 v[1:2], v[2:3], v[173:174], -v[135:136]
	v_add_f64 v[6:7], v[6:7], v[127:128]
	v_mul_f64 v[127:128], v[119:120], v[177:178]
	v_fma_f64 v[3:4], v[4:5], v[173:174], v[133:134]
	v_add_f64 v[123:124], v[131:132], v[123:124]
	v_add_f64 v[5:6], v[6:7], v[125:126]
	s_waitcnt vmcnt(4)
	v_fma_f64 v[7:8], v[119:120], v[180:181], -v[137:138]
	v_fma_f64 v[119:120], v[121:122], v[180:181], v[127:128]
	v_add_f64 v[1:2], v[123:124], v[1:2]
	v_add_f64 v[3:4], v[5:6], v[3:4]
	;; [unrolled: 1-line block ×4, first 2 shown]
	s_waitcnt vmcnt(2)
	v_add_f64 v[1:2], v[129:130], -v[1:2]
	s_waitcnt vmcnt(0)
	v_add_f64 v[3:4], v[186:187], -v[3:4]
	buffer_store_dword v2, off, s[0:3], 0 offset:660
	buffer_store_dword v1, off, s[0:3], 0 offset:656
	;; [unrolled: 1-line block ×4, first 2 shown]
	v_cmpx_lt_u32_e32 39, v0
	s_cbranch_execz .LBB118_265
; %bb.264:
	v_mov_b32_e32 v4, s27
	v_mov_b32_e32 v5, 0
	s_clause 0x3
	buffer_load_dword v1, v4, s[0:3], 0 offen
	buffer_load_dword v2, v4, s[0:3], 0 offen offset:4
	buffer_load_dword v3, v4, s[0:3], 0 offen offset:8
	;; [unrolled: 1-line block ×3, first 2 shown]
	buffer_store_dword v5, off, s[0:3], 0 offset:640
	buffer_store_dword v5, off, s[0:3], 0 offset:644
	;; [unrolled: 1-line block ×4, first 2 shown]
	s_waitcnt vmcnt(0)
	ds_write_b128 v179, v[1:4]
.LBB118_265:
	s_or_b32 exec_lo, exec_lo, s4
	s_waitcnt lgkmcnt(0)
	s_waitcnt_vscnt null, 0x0
	s_barrier
	buffer_gl0_inv
	s_clause 0x35
	buffer_load_dword v6, off, s[0:3], 0 offset:664
	buffer_load_dword v7, off, s[0:3], 0 offset:668
	;; [unrolled: 1-line block ×54, first 2 shown]
	v_mov_b32_e32 v1, 0
	s_mov_b32 s4, exec_lo
	ds_read_b128 v[2:5], v1 offset:1520
	s_clause 0x3
	buffer_load_dword v180, off, s[0:3], 0 offset:888
	buffer_load_dword v181, off, s[0:3], 0 offset:892
	;; [unrolled: 1-line block ×4, first 2 shown]
	ds_read_b128 v[119:122], v1 offset:1536
	s_clause 0x1
	buffer_load_dword v186, off, s[0:3], 0 offset:880
	buffer_load_dword v187, off, s[0:3], 0 offset:884
	ds_read_b128 v[123:126], v1 offset:1552
	s_waitcnt vmcnt(58) lgkmcnt(2)
	v_mul_f64 v[184:185], v[4:5], v[6:7]
	v_mul_f64 v[6:7], v[2:3], v[6:7]
	s_waitcnt vmcnt(56) lgkmcnt(1)
	v_mul_f64 v[188:189], v[121:122], v[127:128]
	v_mul_f64 v[127:128], v[119:120], v[127:128]
	s_waitcnt vmcnt(54)
	v_fma_f64 v[184:185], v[2:3], v[129:130], -v[184:185]
	v_fma_f64 v[6:7], v[4:5], v[129:130], v[6:7]
	ds_read_b128 v[2:5], v1 offset:1568
	s_waitcnt vmcnt(52) lgkmcnt(1)
	v_mul_f64 v[129:130], v[123:124], v[131:132]
	v_mul_f64 v[131:132], v[125:126], v[131:132]
	s_waitcnt vmcnt(50)
	v_fma_f64 v[188:189], v[119:120], v[133:134], -v[188:189]
	v_fma_f64 v[127:128], v[121:122], v[133:134], v[127:128]
	s_clause 0x3
	buffer_load_dword v133, off, s[0:3], 0 offset:640
	buffer_load_dword v134, off, s[0:3], 0 offset:644
	;; [unrolled: 1-line block ×4, first 2 shown]
	ds_read_b128 v[119:122], v1 offset:1584
	s_waitcnt vmcnt(52) lgkmcnt(1)
	v_mul_f64 v[192:193], v[2:3], v[135:136]
	v_add_f64 v[184:185], v[184:185], 0
	v_add_f64 v[6:7], v[6:7], 0
	v_mul_f64 v[135:136], v[4:5], v[135:136]
	s_waitcnt vmcnt(50)
	v_fma_f64 v[131:132], v[123:124], v[137:138], -v[131:132]
	v_fma_f64 v[129:130], v[125:126], v[137:138], v[129:130]
	ds_read_b128 v[123:126], v1 offset:1600
	s_waitcnt vmcnt(48) lgkmcnt(1)
	v_mul_f64 v[137:138], v[121:122], v[139:140]
	v_add_f64 v[184:185], v[184:185], v[188:189]
	v_add_f64 v[6:7], v[6:7], v[127:128]
	s_waitcnt vmcnt(46)
	v_fma_f64 v[135:136], v[2:3], v[141:142], -v[135:136]
	v_mul_f64 v[127:128], v[119:120], v[139:140]
	v_fma_f64 v[139:140], v[4:5], v[141:142], v[192:193]
	s_waitcnt vmcnt(44) lgkmcnt(0)
	v_mul_f64 v[141:142], v[125:126], v[143:144]
	s_waitcnt vmcnt(42)
	v_fma_f64 v[137:138], v[119:120], v[145:146], -v[137:138]
	ds_read_b128 v[2:5], v1 offset:1616
	v_add_f64 v[131:132], v[184:185], v[131:132]
	v_add_f64 v[6:7], v[6:7], v[129:130]
	v_mul_f64 v[129:130], v[123:124], v[143:144]
	v_fma_f64 v[127:128], v[121:122], v[145:146], v[127:128]
	ds_read_b128 v[119:122], v1 offset:1632
	s_waitcnt vmcnt(38)
	v_fma_f64 v[141:142], v[123:124], v[149:150], -v[141:142]
	v_add_f64 v[131:132], v[131:132], v[135:136]
	v_add_f64 v[6:7], v[6:7], v[139:140]
	s_waitcnt lgkmcnt(1)
	v_mul_f64 v[139:140], v[4:5], v[147:148]
	v_mul_f64 v[135:136], v[2:3], v[147:148]
	v_fma_f64 v[129:130], v[125:126], v[149:150], v[129:130]
	ds_read_b128 v[123:126], v1 offset:1648
	v_add_f64 v[131:132], v[131:132], v[137:138]
	v_add_f64 v[6:7], v[6:7], v[127:128]
	s_waitcnt vmcnt(36) lgkmcnt(1)
	v_mul_f64 v[137:138], v[121:122], v[151:152]
	s_waitcnt vmcnt(34)
	v_fma_f64 v[139:140], v[2:3], v[153:154], -v[139:140]
	v_mul_f64 v[127:128], v[119:120], v[151:152]
	v_fma_f64 v[135:136], v[4:5], v[153:154], v[135:136]
	ds_read_b128 v[2:5], v1 offset:1664
	v_add_f64 v[131:132], v[131:132], v[141:142]
	v_add_f64 v[6:7], v[6:7], v[129:130]
	s_waitcnt vmcnt(32) lgkmcnt(1)
	v_mul_f64 v[141:142], v[125:126], v[155:156]
	s_waitcnt vmcnt(30)
	v_fma_f64 v[137:138], v[119:120], v[157:158], -v[137:138]
	;; [unrolled: 9-line block ×7, first 2 shown]
	v_mul_f64 v[127:128], v[119:120], v[175:176]
	v_fma_f64 v[4:5], v[4:5], v[177:178], v[135:136]
	s_waitcnt vmcnt(8) lgkmcnt(0)
	v_mul_f64 v[135:136], v[125:126], v[180:181]
	v_add_f64 v[131:132], v[131:132], v[141:142]
	v_add_f64 v[6:7], v[6:7], v[129:130]
	s_waitcnt vmcnt(6)
	v_fma_f64 v[119:120], v[119:120], v[182:183], -v[137:138]
	v_mul_f64 v[129:130], v[123:124], v[180:181]
	v_fma_f64 v[121:122], v[121:122], v[182:183], v[127:128]
	v_add_f64 v[2:3], v[131:132], v[2:3]
	v_add_f64 v[4:5], v[6:7], v[4:5]
	s_waitcnt vmcnt(4)
	v_fma_f64 v[6:7], v[123:124], v[186:187], -v[135:136]
	v_add_f64 v[2:3], v[2:3], v[119:120]
	v_fma_f64 v[119:120], v[125:126], v[186:187], v[129:130]
	v_add_f64 v[4:5], v[4:5], v[121:122]
	v_add_f64 v[2:3], v[2:3], v[6:7]
	;; [unrolled: 1-line block ×3, first 2 shown]
	s_waitcnt vmcnt(2)
	v_add_f64 v[2:3], v[133:134], -v[2:3]
	s_waitcnt vmcnt(0)
	v_add_f64 v[4:5], v[190:191], -v[4:5]
	buffer_store_dword v3, off, s[0:3], 0 offset:644
	buffer_store_dword v2, off, s[0:3], 0 offset:640
	buffer_store_dword v5, off, s[0:3], 0 offset:652
	buffer_store_dword v4, off, s[0:3], 0 offset:648
	v_cmpx_lt_u32_e32 38, v0
	s_cbranch_execz .LBB118_267
; %bb.266:
	v_mov_b32_e32 v5, s28
	s_clause 0x3
	buffer_load_dword v2, v5, s[0:3], 0 offen
	buffer_load_dword v3, v5, s[0:3], 0 offen offset:4
	buffer_load_dword v4, v5, s[0:3], 0 offen offset:8
	;; [unrolled: 1-line block ×3, first 2 shown]
	buffer_store_dword v1, off, s[0:3], 0 offset:624
	buffer_store_dword v1, off, s[0:3], 0 offset:628
	;; [unrolled: 1-line block ×4, first 2 shown]
	s_waitcnt vmcnt(0)
	ds_write_b128 v179, v[2:5]
.LBB118_267:
	s_or_b32 exec_lo, exec_lo, s4
	s_waitcnt lgkmcnt(0)
	s_waitcnt_vscnt null, 0x0
	s_barrier
	buffer_gl0_inv
	s_clause 0x37
	buffer_load_dword v6, off, s[0:3], 0 offset:648
	buffer_load_dword v7, off, s[0:3], 0 offset:652
	;; [unrolled: 1-line block ×56, first 2 shown]
	ds_read_b128 v[2:5], v1 offset:1504
	s_clause 0x2
	buffer_load_dword v181, off, s[0:3], 0 offset:876
	buffer_load_dword v185, off, s[0:3], 0 offset:852
	buffer_load_dword v184, off, s[0:3], 0 offset:848
	ds_read_b128 v[119:122], v1 offset:1520
	s_clause 0x2
	buffer_load_dword v189, off, s[0:3], 0 offset:892
	buffer_load_dword v188, off, s[0:3], 0 offset:888
	;; [unrolled: 1-line block ×3, first 2 shown]
	ds_read_b128 v[123:126], v1 offset:1536
	s_mov_b32 s4, exec_lo
	s_waitcnt vmcnt(60) lgkmcnt(2)
	v_mul_f64 v[186:187], v[4:5], v[6:7]
	v_mul_f64 v[6:7], v[2:3], v[6:7]
	s_waitcnt vmcnt(58) lgkmcnt(1)
	v_mul_f64 v[190:191], v[121:122], v[127:128]
	v_mul_f64 v[127:128], v[119:120], v[127:128]
	;; [unrolled: 3-line block ×3, first 2 shown]
	v_fma_f64 v[186:187], v[2:3], v[129:130], -v[186:187]
	v_fma_f64 v[6:7], v[4:5], v[129:130], v[6:7]
	s_clause 0x1
	buffer_load_dword v130, off, s[0:3], 0 offset:884
	buffer_load_dword v129, off, s[0:3], 0 offset:880
	s_waitcnt vmcnt(54)
	v_fma_f64 v[190:191], v[119:120], v[133:134], -v[190:191]
	ds_read_b128 v[2:5], v1 offset:1552
	v_fma_f64 v[127:128], v[121:122], v[133:134], v[127:128]
	ds_read_b128 v[119:122], v1 offset:1568
	s_waitcnt vmcnt(48)
	v_fma_f64 v[131:132], v[123:124], v[141:142], -v[131:132]
	v_fma_f64 v[141:142], v[125:126], v[141:142], v[192:193]
	v_add_f64 v[186:187], v[186:187], 0
	v_add_f64 v[6:7], v[6:7], 0
	s_waitcnt lgkmcnt(1)
	v_mul_f64 v[133:134], v[2:3], v[135:136]
	v_mul_f64 v[135:136], v[4:5], v[135:136]
	s_waitcnt vmcnt(47) lgkmcnt(0)
	v_mul_f64 v[192:193], v[119:120], v[137:138]
	v_mul_f64 v[137:138], v[121:122], v[137:138]
	v_add_f64 v[186:187], v[186:187], v[190:191]
	v_add_f64 v[6:7], v[6:7], v[127:128]
	s_clause 0x3
	buffer_load_dword v127, off, s[0:3], 0 offset:624
	buffer_load_dword v128, off, s[0:3], 0 offset:628
	;; [unrolled: 1-line block ×4, first 2 shown]
	s_waitcnt vmcnt(49)
	v_fma_f64 v[135:136], v[2:3], v[143:144], -v[135:136]
	ds_read_b128 v[123:126], v1 offset:1584
	v_fma_f64 v[133:134], v[4:5], v[143:144], v[133:134]
	ds_read_b128 v[2:5], v1 offset:1600
	s_waitcnt vmcnt(44)
	v_fma_f64 v[137:138], v[119:120], v[139:140], -v[137:138]
	v_add_f64 v[131:132], v[186:187], v[131:132]
	v_add_f64 v[6:7], v[6:7], v[141:142]
	s_waitcnt lgkmcnt(1)
	v_mul_f64 v[143:144], v[125:126], v[145:146]
	v_mul_f64 v[141:142], v[123:124], v[145:146]
	v_add_f64 v[131:132], v[131:132], v[135:136]
	v_fma_f64 v[135:136], v[121:122], v[139:140], v[192:193]
	v_add_f64 v[6:7], v[6:7], v[133:134]
	s_waitcnt vmcnt(43) lgkmcnt(0)
	v_mul_f64 v[139:140], v[4:5], v[147:148]
	s_waitcnt vmcnt(41)
	v_fma_f64 v[143:144], v[123:124], v[151:152], -v[143:144]
	ds_read_b128 v[119:122], v1 offset:1616
	v_mul_f64 v[133:134], v[2:3], v[147:148]
	v_add_f64 v[131:132], v[131:132], v[137:138]
	v_fma_f64 v[137:138], v[125:126], v[151:152], v[141:142]
	v_add_f64 v[6:7], v[6:7], v[135:136]
	ds_read_b128 v[123:126], v1 offset:1632
	s_waitcnt vmcnt(37) lgkmcnt(1)
	v_mul_f64 v[141:142], v[121:122], v[153:154]
	s_waitcnt vmcnt(36)
	v_fma_f64 v[139:140], v[2:3], v[149:150], -v[139:140]
	v_mul_f64 v[135:136], v[119:120], v[153:154]
	v_fma_f64 v[133:134], v[4:5], v[149:150], v[133:134]
	ds_read_b128 v[2:5], v1 offset:1648
	v_add_f64 v[131:132], v[131:132], v[143:144]
	s_waitcnt vmcnt(35) lgkmcnt(1)
	v_mul_f64 v[143:144], v[125:126], v[155:156]
	v_add_f64 v[6:7], v[6:7], v[137:138]
	v_mul_f64 v[137:138], v[123:124], v[155:156]
	s_waitcnt vmcnt(33)
	v_fma_f64 v[141:142], v[119:120], v[159:160], -v[141:142]
	v_fma_f64 v[135:136], v[121:122], v[159:160], v[135:136]
	ds_read_b128 v[119:122], v1 offset:1664
	v_add_f64 v[131:132], v[131:132], v[139:140]
	s_waitcnt vmcnt(29) lgkmcnt(1)
	v_mul_f64 v[139:140], v[4:5], v[161:162]
	v_add_f64 v[6:7], v[6:7], v[133:134]
	s_waitcnt vmcnt(28)
	v_fma_f64 v[143:144], v[123:124], v[157:158], -v[143:144]
	v_mul_f64 v[133:134], v[2:3], v[161:162]
	v_fma_f64 v[137:138], v[125:126], v[157:158], v[137:138]
	ds_read_b128 v[123:126], v1 offset:1680
	v_add_f64 v[131:132], v[131:132], v[141:142]
	s_waitcnt vmcnt(27) lgkmcnt(1)
	v_mul_f64 v[141:142], v[121:122], v[163:164]
	v_add_f64 v[6:7], v[6:7], v[135:136]
	s_waitcnt vmcnt(25)
	v_fma_f64 v[139:140], v[2:3], v[167:168], -v[139:140]
	v_mul_f64 v[135:136], v[119:120], v[163:164]
	;; [unrolled: 9-line block ×5, first 2 shown]
	v_fma_f64 v[133:134], v[4:5], v[173:174], v[133:134]
	ds_read_b128 v[1:4], v1 offset:1744
	v_add_f64 v[131:132], v[131:132], v[143:144]
	s_waitcnt vmcnt(9)
	v_fma_f64 v[119:120], v[119:120], v[184:185], -v[141:142]
	v_add_f64 v[5:6], v[6:7], v[137:138]
	s_waitcnt lgkmcnt(1)
	v_mul_f64 v[137:138], v[125:126], v[180:181]
	v_mul_f64 v[7:8], v[123:124], v[180:181]
	v_fma_f64 v[121:122], v[121:122], v[184:185], v[135:136]
	s_waitcnt vmcnt(7) lgkmcnt(0)
	v_mul_f64 v[135:136], v[3:4], v[188:189]
	v_add_f64 v[131:132], v[131:132], v[139:140]
	v_add_f64 v[5:6], v[5:6], v[133:134]
	s_waitcnt vmcnt(6)
	v_fma_f64 v[123:124], v[123:124], v[182:183], -v[137:138]
	v_mul_f64 v[133:134], v[1:2], v[188:189]
	v_fma_f64 v[7:8], v[125:126], v[182:183], v[7:8]
	v_add_f64 v[119:120], v[131:132], v[119:120]
	v_add_f64 v[5:6], v[5:6], v[121:122]
	s_waitcnt vmcnt(4)
	v_fma_f64 v[1:2], v[1:2], v[129:130], -v[135:136]
	v_fma_f64 v[3:4], v[3:4], v[129:130], v[133:134]
	v_add_f64 v[119:120], v[119:120], v[123:124]
	v_add_f64 v[5:6], v[5:6], v[7:8]
	;; [unrolled: 1-line block ×4, first 2 shown]
	s_waitcnt vmcnt(2)
	v_add_f64 v[1:2], v[127:128], -v[1:2]
	s_waitcnt vmcnt(0)
	v_add_f64 v[3:4], v[190:191], -v[3:4]
	buffer_store_dword v2, off, s[0:3], 0 offset:628
	buffer_store_dword v1, off, s[0:3], 0 offset:624
	buffer_store_dword v4, off, s[0:3], 0 offset:636
	buffer_store_dword v3, off, s[0:3], 0 offset:632
	v_cmpx_lt_u32_e32 37, v0
	s_cbranch_execz .LBB118_269
; %bb.268:
	v_mov_b32_e32 v4, s29
	v_mov_b32_e32 v5, 0
	s_clause 0x3
	buffer_load_dword v1, v4, s[0:3], 0 offen
	buffer_load_dword v2, v4, s[0:3], 0 offen offset:4
	buffer_load_dword v3, v4, s[0:3], 0 offen offset:8
	buffer_load_dword v4, v4, s[0:3], 0 offen offset:12
	buffer_store_dword v5, off, s[0:3], 0 offset:608
	buffer_store_dword v5, off, s[0:3], 0 offset:612
	;; [unrolled: 1-line block ×4, first 2 shown]
	s_waitcnt vmcnt(0)
	ds_write_b128 v179, v[1:4]
.LBB118_269:
	s_or_b32 exec_lo, exec_lo, s4
	s_waitcnt lgkmcnt(0)
	s_waitcnt_vscnt null, 0x0
	s_barrier
	buffer_gl0_inv
	s_clause 0x37
	buffer_load_dword v6, off, s[0:3], 0 offset:632
	buffer_load_dword v7, off, s[0:3], 0 offset:636
	;; [unrolled: 1-line block ×56, first 2 shown]
	v_mov_b32_e32 v1, 0
	s_mov_b32 s4, exec_lo
	ds_read_b128 v[2:5], v1 offset:1488
	s_clause 0x2
	buffer_load_dword v181, off, s[0:3], 0 offset:860
	buffer_load_dword v185, off, s[0:3], 0 offset:836
	;; [unrolled: 1-line block ×3, first 2 shown]
	ds_read_b128 v[119:122], v1 offset:1504
	s_clause 0x4
	buffer_load_dword v189, off, s[0:3], 0 offset:876
	buffer_load_dword v190, off, s[0:3], 0 offset:888
	;; [unrolled: 1-line block ×5, first 2 shown]
	ds_read_b128 v[123:126], v1 offset:1520
	s_waitcnt vmcnt(62) lgkmcnt(2)
	v_mul_f64 v[186:187], v[4:5], v[6:7]
	v_mul_f64 v[6:7], v[2:3], v[6:7]
	s_waitcnt vmcnt(60) lgkmcnt(1)
	v_mul_f64 v[193:194], v[121:122], v[127:128]
	v_mul_f64 v[127:128], v[119:120], v[127:128]
	;; [unrolled: 3-line block ×3, first 2 shown]
	v_fma_f64 v[186:187], v[2:3], v[129:130], -v[186:187]
	v_fma_f64 v[6:7], v[4:5], v[129:130], v[6:7]
	s_clause 0x2
	buffer_load_dword v191, off, s[0:3], 0 offset:892
	buffer_load_dword v130, off, s[0:3], 0 offset:868
	;; [unrolled: 1-line block ×3, first 2 shown]
	s_waitcnt vmcnt(57)
	v_fma_f64 v[197:198], v[119:120], v[133:134], -v[193:194]
	ds_read_b128 v[2:5], v1 offset:1536
	v_fma_f64 v[127:128], v[121:122], v[133:134], v[127:128]
	buffer_load_dword v193, off, s[0:3], 0 offset:884
	ds_read_b128 v[119:122], v1 offset:1552
	s_waitcnt vmcnt(52)
	v_fma_f64 v[131:132], v[123:124], v[141:142], -v[131:132]
	v_fma_f64 v[141:142], v[125:126], v[141:142], v[195:196]
	ds_read_b128 v[123:126], v1 offset:1568
	v_add_f64 v[186:187], v[186:187], 0
	v_add_f64 v[6:7], v[6:7], 0
	s_waitcnt lgkmcnt(2)
	v_mul_f64 v[133:134], v[2:3], v[135:136]
	v_mul_f64 v[135:136], v[4:5], v[135:136]
	v_add_f64 v[186:187], v[186:187], v[197:198]
	v_add_f64 v[6:7], v[6:7], v[127:128]
	s_waitcnt vmcnt(51) lgkmcnt(1)
	v_mul_f64 v[127:128], v[119:120], v[137:138]
	v_mul_f64 v[137:138], v[121:122], v[137:138]
	s_waitcnt vmcnt(49)
	v_fma_f64 v[135:136], v[2:3], v[143:144], -v[135:136]
	v_fma_f64 v[133:134], v[4:5], v[143:144], v[133:134]
	v_add_f64 v[131:132], v[186:187], v[131:132]
	v_add_f64 v[6:7], v[6:7], v[141:142]
	s_clause 0x3
	buffer_load_dword v141, off, s[0:3], 0 offset:608
	buffer_load_dword v142, off, s[0:3], 0 offset:612
	;; [unrolled: 1-line block ×4, first 2 shown]
	s_waitcnt vmcnt(49) lgkmcnt(0)
	v_mul_f64 v[186:187], v[123:124], v[145:146]
	v_mul_f64 v[145:146], v[125:126], v[145:146]
	s_waitcnt vmcnt(48)
	v_fma_f64 v[137:138], v[119:120], v[139:140], -v[137:138]
	ds_read_b128 v[2:5], v1 offset:1584
	v_fma_f64 v[127:128], v[121:122], v[139:140], v[127:128]
	ds_read_b128 v[119:122], v1 offset:1600
	v_add_f64 v[131:132], v[131:132], v[135:136]
	v_add_f64 v[6:7], v[6:7], v[133:134]
	s_waitcnt vmcnt(47) lgkmcnt(1)
	v_mul_f64 v[135:136], v[4:5], v[147:148]
	s_waitcnt vmcnt(45)
	v_fma_f64 v[139:140], v[123:124], v[151:152], -v[145:146]
	v_mul_f64 v[133:134], v[2:3], v[147:148]
	s_waitcnt vmcnt(41) lgkmcnt(0)
	v_mul_f64 v[145:146], v[121:122], v[153:154]
	v_add_f64 v[131:132], v[131:132], v[137:138]
	v_fma_f64 v[137:138], v[125:126], v[151:152], v[186:187]
	v_add_f64 v[6:7], v[6:7], v[127:128]
	ds_read_b128 v[123:126], v1 offset:1616
	s_waitcnt vmcnt(40)
	v_fma_f64 v[135:136], v[2:3], v[149:150], -v[135:136]
	v_mul_f64 v[127:128], v[119:120], v[153:154]
	v_fma_f64 v[133:134], v[4:5], v[149:150], v[133:134]
	ds_read_b128 v[2:5], v1 offset:1632
	s_waitcnt vmcnt(37)
	v_fma_f64 v[145:146], v[119:120], v[159:160], -v[145:146]
	v_add_f64 v[131:132], v[131:132], v[139:140]
	s_waitcnt lgkmcnt(1)
	v_mul_f64 v[139:140], v[125:126], v[155:156]
	v_add_f64 v[6:7], v[6:7], v[137:138]
	v_mul_f64 v[137:138], v[123:124], v[155:156]
	v_fma_f64 v[127:128], v[121:122], v[159:160], v[127:128]
	ds_read_b128 v[119:122], v1 offset:1648
	v_add_f64 v[131:132], v[131:132], v[135:136]
	s_waitcnt vmcnt(33) lgkmcnt(1)
	v_mul_f64 v[135:136], v[4:5], v[161:162]
	v_add_f64 v[6:7], v[6:7], v[133:134]
	s_waitcnt vmcnt(32)
	v_fma_f64 v[139:140], v[123:124], v[157:158], -v[139:140]
	v_mul_f64 v[133:134], v[2:3], v[161:162]
	v_fma_f64 v[137:138], v[125:126], v[157:158], v[137:138]
	ds_read_b128 v[123:126], v1 offset:1664
	v_add_f64 v[131:132], v[131:132], v[145:146]
	s_waitcnt vmcnt(31) lgkmcnt(1)
	v_mul_f64 v[145:146], v[121:122], v[163:164]
	v_add_f64 v[6:7], v[6:7], v[127:128]
	s_waitcnt vmcnt(29)
	v_fma_f64 v[135:136], v[2:3], v[167:168], -v[135:136]
	;; [unrolled: 9-line block ×7, first 2 shown]
	v_mul_f64 v[133:134], v[2:3], v[188:189]
	v_fma_f64 v[125:126], v[125:126], v[182:183], v[137:138]
	v_add_f64 v[131:132], v[131:132], v[145:146]
	v_add_f64 v[6:7], v[6:7], v[127:128]
	s_waitcnt vmcnt(7) lgkmcnt(0)
	v_mul_f64 v[137:138], v[121:122], v[190:191]
	v_mul_f64 v[127:128], v[119:120], v[190:191]
	s_waitcnt vmcnt(5)
	v_fma_f64 v[2:3], v[2:3], v[129:130], -v[135:136]
	v_fma_f64 v[4:5], v[4:5], v[129:130], v[133:134]
	v_add_f64 v[123:124], v[131:132], v[123:124]
	v_add_f64 v[6:7], v[6:7], v[125:126]
	s_waitcnt vmcnt(4)
	v_fma_f64 v[119:120], v[119:120], v[192:193], -v[137:138]
	v_fma_f64 v[121:122], v[121:122], v[192:193], v[127:128]
	v_add_f64 v[2:3], v[123:124], v[2:3]
	v_add_f64 v[4:5], v[6:7], v[4:5]
	;; [unrolled: 1-line block ×4, first 2 shown]
	s_waitcnt vmcnt(2)
	v_add_f64 v[2:3], v[141:142], -v[2:3]
	s_waitcnt vmcnt(0)
	v_add_f64 v[4:5], v[143:144], -v[4:5]
	buffer_store_dword v3, off, s[0:3], 0 offset:612
	buffer_store_dword v2, off, s[0:3], 0 offset:608
	;; [unrolled: 1-line block ×4, first 2 shown]
	v_cmpx_lt_u32_e32 36, v0
	s_cbranch_execz .LBB118_271
; %bb.270:
	v_mov_b32_e32 v5, s30
	s_clause 0x3
	buffer_load_dword v2, v5, s[0:3], 0 offen
	buffer_load_dword v3, v5, s[0:3], 0 offen offset:4
	buffer_load_dword v4, v5, s[0:3], 0 offen offset:8
	buffer_load_dword v5, v5, s[0:3], 0 offen offset:12
	buffer_store_dword v1, off, s[0:3], 0 offset:592
	buffer_store_dword v1, off, s[0:3], 0 offset:596
	;; [unrolled: 1-line block ×4, first 2 shown]
	s_waitcnt vmcnt(0)
	ds_write_b128 v179, v[2:5]
.LBB118_271:
	s_or_b32 exec_lo, exec_lo, s4
	s_waitcnt lgkmcnt(0)
	s_waitcnt_vscnt null, 0x0
	s_barrier
	buffer_gl0_inv
	s_clause 0x37
	buffer_load_dword v6, off, s[0:3], 0 offset:616
	buffer_load_dword v7, off, s[0:3], 0 offset:620
	;; [unrolled: 1-line block ×56, first 2 shown]
	ds_read_b128 v[2:5], v1 offset:1472
	s_clause 0x2
	buffer_load_dword v181, off, s[0:3], 0 offset:844
	buffer_load_dword v185, off, s[0:3], 0 offset:820
	;; [unrolled: 1-line block ×3, first 2 shown]
	ds_read_b128 v[119:122], v1 offset:1488
	s_clause 0x4
	buffer_load_dword v189, off, s[0:3], 0 offset:860
	buffer_load_dword v190, off, s[0:3], 0 offset:872
	;; [unrolled: 1-line block ×5, first 2 shown]
	ds_read_b128 v[123:126], v1 offset:1504
	s_mov_b32 s4, exec_lo
	s_waitcnt vmcnt(62) lgkmcnt(2)
	v_mul_f64 v[186:187], v[4:5], v[6:7]
	v_mul_f64 v[6:7], v[2:3], v[6:7]
	s_waitcnt vmcnt(60) lgkmcnt(1)
	v_mul_f64 v[193:194], v[121:122], v[127:128]
	v_mul_f64 v[127:128], v[119:120], v[127:128]
	;; [unrolled: 3-line block ×3, first 2 shown]
	v_fma_f64 v[186:187], v[2:3], v[129:130], -v[186:187]
	v_fma_f64 v[6:7], v[4:5], v[129:130], v[6:7]
	s_clause 0x2
	buffer_load_dword v191, off, s[0:3], 0 offset:876
	buffer_load_dword v130, off, s[0:3], 0 offset:852
	;; [unrolled: 1-line block ×3, first 2 shown]
	s_waitcnt vmcnt(57)
	v_fma_f64 v[197:198], v[119:120], v[133:134], -v[193:194]
	ds_read_b128 v[2:5], v1 offset:1520
	v_fma_f64 v[127:128], v[121:122], v[133:134], v[127:128]
	s_clause 0x2
	buffer_load_dword v134, off, s[0:3], 0 offset:892
	buffer_load_dword v133, off, s[0:3], 0 offset:888
	;; [unrolled: 1-line block ×3, first 2 shown]
	s_waitcnt vmcnt(54)
	v_fma_f64 v[131:132], v[123:124], v[141:142], -v[131:132]
	ds_read_b128 v[119:122], v1 offset:1536
	v_fma_f64 v[141:142], v[125:126], v[141:142], v[195:196]
	v_add_f64 v[186:187], v[186:187], 0
	v_add_f64 v[6:7], v[6:7], 0
	s_waitcnt lgkmcnt(1)
	v_mul_f64 v[199:200], v[2:3], v[135:136]
	v_mul_f64 v[135:136], v[4:5], v[135:136]
	s_waitcnt vmcnt(53) lgkmcnt(0)
	v_mul_f64 v[194:195], v[119:120], v[137:138]
	v_mul_f64 v[137:138], v[121:122], v[137:138]
	v_add_f64 v[186:187], v[186:187], v[197:198]
	v_add_f64 v[6:7], v[6:7], v[127:128]
	s_clause 0x1
	buffer_load_dword v128, off, s[0:3], 0 offset:884
	buffer_load_dword v127, off, s[0:3], 0 offset:880
	s_waitcnt vmcnt(53)
	v_fma_f64 v[135:136], v[2:3], v[143:144], -v[135:136]
	ds_read_b128 v[123:126], v1 offset:1552
	v_fma_f64 v[143:144], v[4:5], v[143:144], v[199:200]
	ds_read_b128 v[2:5], v1 offset:1568
	s_waitcnt vmcnt(48)
	v_fma_f64 v[137:138], v[119:120], v[139:140], -v[137:138]
	v_add_f64 v[131:132], v[186:187], v[131:132]
	v_add_f64 v[6:7], v[6:7], v[141:142]
	s_waitcnt lgkmcnt(1)
	v_mul_f64 v[141:142], v[123:124], v[145:146]
	v_mul_f64 v[145:146], v[125:126], v[145:146]
	s_waitcnt vmcnt(47) lgkmcnt(0)
	v_mul_f64 v[186:187], v[2:3], v[147:148]
	v_mul_f64 v[147:148], v[4:5], v[147:148]
	v_add_f64 v[131:132], v[131:132], v[135:136]
	v_fma_f64 v[135:136], v[121:122], v[139:140], v[194:195]
	v_add_f64 v[6:7], v[6:7], v[143:144]
	s_clause 0x3
	buffer_load_dword v139, off, s[0:3], 0 offset:592
	buffer_load_dword v140, off, s[0:3], 0 offset:596
	;; [unrolled: 1-line block ×4, first 2 shown]
	s_waitcnt vmcnt(49)
	v_fma_f64 v[145:146], v[123:124], v[151:152], -v[145:146]
	ds_read_b128 v[119:122], v1 offset:1584
	s_waitcnt vmcnt(44)
	v_fma_f64 v[147:148], v[2:3], v[149:150], -v[147:148]
	v_add_f64 v[131:132], v[131:132], v[137:138]
	v_fma_f64 v[137:138], v[125:126], v[151:152], v[141:142]
	v_add_f64 v[6:7], v[6:7], v[135:136]
	ds_read_b128 v[123:126], v1 offset:1600
	s_waitcnt lgkmcnt(1)
	v_mul_f64 v[141:142], v[121:122], v[153:154]
	v_mul_f64 v[135:136], v[119:120], v[153:154]
	v_add_f64 v[131:132], v[131:132], v[145:146]
	v_fma_f64 v[145:146], v[4:5], v[149:150], v[186:187]
	v_add_f64 v[6:7], v[6:7], v[137:138]
	s_waitcnt vmcnt(43) lgkmcnt(0)
	v_mul_f64 v[149:150], v[125:126], v[155:156]
	s_waitcnt vmcnt(41)
	v_fma_f64 v[141:142], v[119:120], v[159:160], -v[141:142]
	ds_read_b128 v[2:5], v1 offset:1616
	v_mul_f64 v[137:138], v[123:124], v[155:156]
	v_fma_f64 v[135:136], v[121:122], v[159:160], v[135:136]
	ds_read_b128 v[119:122], v1 offset:1632
	v_add_f64 v[131:132], v[131:132], v[147:148]
	v_add_f64 v[6:7], v[6:7], v[145:146]
	s_waitcnt vmcnt(37) lgkmcnt(1)
	v_mul_f64 v[147:148], v[4:5], v[161:162]
	s_waitcnt vmcnt(36)
	v_fma_f64 v[149:150], v[123:124], v[157:158], -v[149:150]
	v_mul_f64 v[145:146], v[2:3], v[161:162]
	v_fma_f64 v[137:138], v[125:126], v[157:158], v[137:138]
	ds_read_b128 v[123:126], v1 offset:1648
	v_add_f64 v[131:132], v[131:132], v[141:142]
	s_waitcnt vmcnt(35) lgkmcnt(1)
	v_mul_f64 v[141:142], v[121:122], v[163:164]
	v_add_f64 v[6:7], v[6:7], v[135:136]
	s_waitcnt vmcnt(33)
	v_fma_f64 v[147:148], v[2:3], v[167:168], -v[147:148]
	v_mul_f64 v[135:136], v[119:120], v[163:164]
	v_fma_f64 v[145:146], v[4:5], v[167:168], v[145:146]
	ds_read_b128 v[2:5], v1 offset:1664
	v_add_f64 v[131:132], v[131:132], v[149:150]
	s_waitcnt vmcnt(29) lgkmcnt(1)
	v_mul_f64 v[149:150], v[125:126], v[169:170]
	v_add_f64 v[6:7], v[6:7], v[137:138]
	;; [unrolled: 9-line block ×6, first 2 shown]
	s_waitcnt vmcnt(12)
	v_fma_f64 v[149:150], v[123:124], v[182:183], -v[149:150]
	v_mul_f64 v[145:146], v[2:3], v[188:189]
	v_fma_f64 v[137:138], v[125:126], v[182:183], v[137:138]
	ds_read_b128 v[123:126], v1 offset:1744
	v_add_f64 v[131:132], v[131:132], v[141:142]
	v_add_f64 v[6:7], v[6:7], v[135:136]
	s_waitcnt vmcnt(11) lgkmcnt(1)
	v_mul_f64 v[141:142], v[121:122], v[190:191]
	v_mul_f64 v[135:136], v[119:120], v[190:191]
	s_waitcnt vmcnt(9)
	v_fma_f64 v[1:2], v[2:3], v[129:130], -v[147:148]
	v_fma_f64 v[3:4], v[4:5], v[129:130], v[145:146]
	s_waitcnt vmcnt(7) lgkmcnt(0)
	v_mul_f64 v[129:130], v[125:126], v[133:134]
	v_add_f64 v[131:132], v[131:132], v[149:150]
	v_add_f64 v[5:6], v[6:7], v[137:138]
	v_mul_f64 v[7:8], v[123:124], v[133:134]
	s_waitcnt vmcnt(6)
	v_fma_f64 v[119:120], v[119:120], v[192:193], -v[141:142]
	v_fma_f64 v[121:122], v[121:122], v[192:193], v[135:136]
	v_add_f64 v[1:2], v[131:132], v[1:2]
	v_add_f64 v[3:4], v[5:6], v[3:4]
	s_waitcnt vmcnt(4)
	v_fma_f64 v[5:6], v[123:124], v[127:128], -v[129:130]
	v_fma_f64 v[7:8], v[125:126], v[127:128], v[7:8]
	v_add_f64 v[1:2], v[1:2], v[119:120]
	v_add_f64 v[3:4], v[3:4], v[121:122]
	;; [unrolled: 1-line block ×4, first 2 shown]
	s_waitcnt vmcnt(2)
	v_add_f64 v[1:2], v[139:140], -v[1:2]
	s_waitcnt vmcnt(0)
	v_add_f64 v[3:4], v[143:144], -v[3:4]
	buffer_store_dword v2, off, s[0:3], 0 offset:596
	buffer_store_dword v1, off, s[0:3], 0 offset:592
	;; [unrolled: 1-line block ×4, first 2 shown]
	v_cmpx_lt_u32_e32 35, v0
	s_cbranch_execz .LBB118_273
; %bb.272:
	v_mov_b32_e32 v4, s31
	v_mov_b32_e32 v5, 0
	s_clause 0x3
	buffer_load_dword v1, v4, s[0:3], 0 offen
	buffer_load_dword v2, v4, s[0:3], 0 offen offset:4
	buffer_load_dword v3, v4, s[0:3], 0 offen offset:8
	;; [unrolled: 1-line block ×3, first 2 shown]
	buffer_store_dword v5, off, s[0:3], 0 offset:576
	buffer_store_dword v5, off, s[0:3], 0 offset:580
	;; [unrolled: 1-line block ×4, first 2 shown]
	s_waitcnt vmcnt(0)
	ds_write_b128 v179, v[1:4]
.LBB118_273:
	s_or_b32 exec_lo, exec_lo, s4
	s_waitcnt lgkmcnt(0)
	s_waitcnt_vscnt null, 0x0
	s_barrier
	buffer_gl0_inv
	s_clause 0x37
	buffer_load_dword v6, off, s[0:3], 0 offset:600
	buffer_load_dword v7, off, s[0:3], 0 offset:604
	;; [unrolled: 1-line block ×56, first 2 shown]
	v_mov_b32_e32 v1, 0
	s_mov_b32 s4, exec_lo
	ds_read_b128 v[2:5], v1 offset:1456
	s_clause 0x2
	buffer_load_dword v181, off, s[0:3], 0 offset:828
	buffer_load_dword v185, off, s[0:3], 0 offset:804
	;; [unrolled: 1-line block ×3, first 2 shown]
	ds_read_b128 v[119:122], v1 offset:1472
	s_clause 0x4
	buffer_load_dword v189, off, s[0:3], 0 offset:844
	buffer_load_dword v190, off, s[0:3], 0 offset:856
	;; [unrolled: 1-line block ×5, first 2 shown]
	ds_read_b128 v[123:126], v1 offset:1488
	s_waitcnt vmcnt(62) lgkmcnt(2)
	v_mul_f64 v[186:187], v[4:5], v[6:7]
	v_mul_f64 v[6:7], v[2:3], v[6:7]
	s_waitcnt vmcnt(60) lgkmcnt(1)
	v_mul_f64 v[193:194], v[121:122], v[127:128]
	v_mul_f64 v[127:128], v[119:120], v[127:128]
	;; [unrolled: 3-line block ×3, first 2 shown]
	v_fma_f64 v[186:187], v[2:3], v[129:130], -v[186:187]
	v_fma_f64 v[6:7], v[4:5], v[129:130], v[6:7]
	s_clause 0x2
	buffer_load_dword v191, off, s[0:3], 0 offset:860
	buffer_load_dword v130, off, s[0:3], 0 offset:836
	;; [unrolled: 1-line block ×3, first 2 shown]
	s_waitcnt vmcnt(57)
	v_fma_f64 v[197:198], v[119:120], v[133:134], -v[193:194]
	ds_read_b128 v[2:5], v1 offset:1504
	v_fma_f64 v[127:128], v[121:122], v[133:134], v[127:128]
	s_clause 0x4
	buffer_load_dword v134, off, s[0:3], 0 offset:876
	buffer_load_dword v194, off, s[0:3], 0 offset:888
	;; [unrolled: 1-line block ×5, first 2 shown]
	s_waitcnt vmcnt(56)
	v_fma_f64 v[131:132], v[123:124], v[141:142], -v[131:132]
	ds_read_b128 v[119:122], v1 offset:1520
	v_fma_f64 v[141:142], v[125:126], v[141:142], v[195:196]
	v_add_f64 v[186:187], v[186:187], 0
	v_add_f64 v[6:7], v[6:7], 0
	s_waitcnt lgkmcnt(1)
	v_mul_f64 v[200:201], v[2:3], v[135:136]
	v_mul_f64 v[135:136], v[4:5], v[135:136]
	v_add_f64 v[186:187], v[186:187], v[197:198]
	v_add_f64 v[6:7], v[6:7], v[127:128]
	s_clause 0x2
	buffer_load_dword v195, off, s[0:3], 0 offset:892
	buffer_load_dword v128, off, s[0:3], 0 offset:868
	buffer_load_dword v127, off, s[0:3], 0 offset:864
	s_waitcnt vmcnt(58) lgkmcnt(0)
	v_mul_f64 v[196:197], v[119:120], v[137:138]
	v_mul_f64 v[137:138], v[121:122], v[137:138]
	s_waitcnt vmcnt(56)
	v_fma_f64 v[135:136], v[2:3], v[143:144], -v[135:136]
	ds_read_b128 v[123:126], v1 offset:1536
	v_fma_f64 v[143:144], v[4:5], v[143:144], v[200:201]
	buffer_load_dword v200, off, s[0:3], 0 offset:884
	ds_read_b128 v[2:5], v1 offset:1552
	v_add_f64 v[131:132], v[186:187], v[131:132]
	v_add_f64 v[6:7], v[6:7], v[141:142]
	s_waitcnt vmcnt(53) lgkmcnt(1)
	v_mul_f64 v[141:142], v[123:124], v[145:146]
	v_mul_f64 v[145:146], v[125:126], v[145:146]
	s_waitcnt vmcnt(52)
	v_fma_f64 v[137:138], v[119:120], v[139:140], -v[137:138]
	v_add_f64 v[131:132], v[131:132], v[135:136]
	v_fma_f64 v[135:136], v[121:122], v[139:140], v[196:197]
	v_add_f64 v[6:7], v[6:7], v[143:144]
	s_waitcnt vmcnt(51) lgkmcnt(0)
	v_mul_f64 v[143:144], v[4:5], v[147:148]
	ds_read_b128 v[119:122], v1 offset:1568
	s_waitcnt vmcnt(49)
	v_fma_f64 v[145:146], v[123:124], v[151:152], -v[145:146]
	v_mul_f64 v[139:140], v[2:3], v[147:148]
	v_add_f64 v[131:132], v[131:132], v[137:138]
	v_fma_f64 v[137:138], v[125:126], v[151:152], v[141:142]
	v_add_f64 v[6:7], v[6:7], v[135:136]
	s_clause 0x3
	buffer_load_dword v135, off, s[0:3], 0 offset:576
	buffer_load_dword v136, off, s[0:3], 0 offset:580
	;; [unrolled: 1-line block ×4, first 2 shown]
	s_waitcnt vmcnt(49) lgkmcnt(0)
	v_mul_f64 v[151:152], v[121:122], v[153:154]
	s_waitcnt vmcnt(48)
	v_fma_f64 v[143:144], v[2:3], v[149:150], -v[143:144]
	ds_read_b128 v[123:126], v1 offset:1584
	v_mul_f64 v[147:148], v[119:120], v[153:154]
	v_fma_f64 v[139:140], v[4:5], v[149:150], v[139:140]
	ds_read_b128 v[2:5], v1 offset:1600
	v_add_f64 v[131:132], v[131:132], v[145:146]
	v_add_f64 v[6:7], v[6:7], v[137:138]
	s_waitcnt vmcnt(47) lgkmcnt(1)
	v_mul_f64 v[145:146], v[125:126], v[155:156]
	s_waitcnt vmcnt(45)
	v_fma_f64 v[149:150], v[119:120], v[159:160], -v[151:152]
	v_mul_f64 v[137:138], v[123:124], v[155:156]
	v_add_f64 v[131:132], v[131:132], v[143:144]
	v_fma_f64 v[143:144], v[121:122], v[159:160], v[147:148]
	v_add_f64 v[6:7], v[6:7], v[139:140]
	s_waitcnt vmcnt(41) lgkmcnt(0)
	v_mul_f64 v[147:148], v[4:5], v[161:162]
	s_waitcnt vmcnt(40)
	v_fma_f64 v[145:146], v[123:124], v[157:158], -v[145:146]
	ds_read_b128 v[119:122], v1 offset:1616
	v_mul_f64 v[139:140], v[2:3], v[161:162]
	v_fma_f64 v[137:138], v[125:126], v[157:158], v[137:138]
	ds_read_b128 v[123:126], v1 offset:1632
	v_add_f64 v[131:132], v[131:132], v[149:150]
	v_add_f64 v[6:7], v[6:7], v[143:144]
	s_waitcnt vmcnt(39) lgkmcnt(1)
	v_mul_f64 v[149:150], v[121:122], v[163:164]
	s_waitcnt vmcnt(37)
	v_fma_f64 v[147:148], v[2:3], v[167:168], -v[147:148]
	v_mul_f64 v[143:144], v[119:120], v[163:164]
	v_fma_f64 v[139:140], v[4:5], v[167:168], v[139:140]
	ds_read_b128 v[2:5], v1 offset:1648
	v_add_f64 v[131:132], v[131:132], v[145:146]
	s_waitcnt vmcnt(33) lgkmcnt(1)
	v_mul_f64 v[145:146], v[125:126], v[169:170]
	v_add_f64 v[6:7], v[6:7], v[137:138]
	s_waitcnt vmcnt(32)
	v_fma_f64 v[149:150], v[119:120], v[165:166], -v[149:150]
	v_mul_f64 v[137:138], v[123:124], v[169:170]
	v_fma_f64 v[143:144], v[121:122], v[165:166], v[143:144]
	ds_read_b128 v[119:122], v1 offset:1664
	v_add_f64 v[131:132], v[131:132], v[147:148]
	s_waitcnt vmcnt(31) lgkmcnt(1)
	v_mul_f64 v[147:148], v[4:5], v[171:172]
	v_add_f64 v[6:7], v[6:7], v[139:140]
	;; [unrolled: 9-line block ×5, first 2 shown]
	s_waitcnt vmcnt(16)
	v_fma_f64 v[145:146], v[123:124], v[182:183], -v[145:146]
	v_mul_f64 v[139:140], v[2:3], v[188:189]
	v_fma_f64 v[137:138], v[125:126], v[182:183], v[137:138]
	ds_read_b128 v[123:126], v1 offset:1728
	v_add_f64 v[131:132], v[131:132], v[149:150]
	v_add_f64 v[6:7], v[6:7], v[143:144]
	s_waitcnt vmcnt(15) lgkmcnt(1)
	v_mul_f64 v[149:150], v[121:122], v[190:191]
	v_mul_f64 v[143:144], v[119:120], v[190:191]
	s_waitcnt vmcnt(13)
	v_fma_f64 v[147:148], v[2:3], v[129:130], -v[147:148]
	v_fma_f64 v[129:130], v[4:5], v[129:130], v[139:140]
	ds_read_b128 v[2:5], v1 offset:1744
	v_add_f64 v[131:132], v[131:132], v[145:146]
	v_add_f64 v[6:7], v[6:7], v[137:138]
	s_waitcnt vmcnt(9) lgkmcnt(1)
	v_mul_f64 v[137:138], v[123:124], v[133:134]
	v_mul_f64 v[133:134], v[125:126], v[133:134]
	s_waitcnt vmcnt(8)
	v_fma_f64 v[119:120], v[119:120], v[192:193], -v[149:150]
	v_fma_f64 v[121:122], v[121:122], v[192:193], v[143:144]
	v_add_f64 v[131:132], v[131:132], v[147:148]
	v_add_f64 v[6:7], v[6:7], v[129:130]
	s_waitcnt vmcnt(7) lgkmcnt(0)
	v_mul_f64 v[139:140], v[4:5], v[194:195]
	v_mul_f64 v[129:130], v[2:3], v[194:195]
	s_waitcnt vmcnt(5)
	v_fma_f64 v[123:124], v[123:124], v[127:128], -v[133:134]
	v_fma_f64 v[125:126], v[125:126], v[127:128], v[137:138]
	v_add_f64 v[119:120], v[131:132], v[119:120]
	v_add_f64 v[6:7], v[6:7], v[121:122]
	s_waitcnt vmcnt(4)
	v_fma_f64 v[2:3], v[2:3], v[199:200], -v[139:140]
	v_fma_f64 v[4:5], v[4:5], v[199:200], v[129:130]
	v_add_f64 v[119:120], v[119:120], v[123:124]
	v_add_f64 v[6:7], v[6:7], v[125:126]
	;; [unrolled: 1-line block ×4, first 2 shown]
	s_waitcnt vmcnt(2)
	v_add_f64 v[2:3], v[135:136], -v[2:3]
	s_waitcnt vmcnt(0)
	v_add_f64 v[4:5], v[141:142], -v[4:5]
	buffer_store_dword v3, off, s[0:3], 0 offset:580
	buffer_store_dword v2, off, s[0:3], 0 offset:576
	;; [unrolled: 1-line block ×4, first 2 shown]
	v_cmpx_lt_u32_e32 34, v0
	s_cbranch_execz .LBB118_275
; %bb.274:
	v_mov_b32_e32 v5, s33
	s_clause 0x3
	buffer_load_dword v2, v5, s[0:3], 0 offen
	buffer_load_dword v3, v5, s[0:3], 0 offen offset:4
	buffer_load_dword v4, v5, s[0:3], 0 offen offset:8
	;; [unrolled: 1-line block ×3, first 2 shown]
	buffer_store_dword v1, off, s[0:3], 0 offset:560
	buffer_store_dword v1, off, s[0:3], 0 offset:564
	;; [unrolled: 1-line block ×4, first 2 shown]
	s_waitcnt vmcnt(0)
	ds_write_b128 v179, v[2:5]
.LBB118_275:
	s_or_b32 exec_lo, exec_lo, s4
	s_waitcnt lgkmcnt(0)
	s_waitcnt_vscnt null, 0x0
	s_barrier
	buffer_gl0_inv
	s_clause 0x37
	buffer_load_dword v6, off, s[0:3], 0 offset:584
	buffer_load_dword v7, off, s[0:3], 0 offset:588
	;; [unrolled: 1-line block ×56, first 2 shown]
	ds_read_b128 v[2:5], v1 offset:1440
	s_clause 0x2
	buffer_load_dword v181, off, s[0:3], 0 offset:812
	buffer_load_dword v185, off, s[0:3], 0 offset:788
	;; [unrolled: 1-line block ×3, first 2 shown]
	ds_read_b128 v[119:122], v1 offset:1456
	s_clause 0x4
	buffer_load_dword v189, off, s[0:3], 0 offset:828
	buffer_load_dword v190, off, s[0:3], 0 offset:840
	;; [unrolled: 1-line block ×5, first 2 shown]
	ds_read_b128 v[123:126], v1 offset:1472
	s_mov_b32 s4, exec_lo
	s_waitcnt vmcnt(62) lgkmcnt(2)
	v_mul_f64 v[186:187], v[4:5], v[6:7]
	v_mul_f64 v[6:7], v[2:3], v[6:7]
	s_waitcnt vmcnt(60) lgkmcnt(1)
	v_mul_f64 v[193:194], v[121:122], v[127:128]
	v_mul_f64 v[127:128], v[119:120], v[127:128]
	;; [unrolled: 3-line block ×3, first 2 shown]
	v_fma_f64 v[186:187], v[2:3], v[129:130], -v[186:187]
	v_fma_f64 v[6:7], v[4:5], v[129:130], v[6:7]
	s_clause 0x2
	buffer_load_dword v191, off, s[0:3], 0 offset:844
	buffer_load_dword v130, off, s[0:3], 0 offset:820
	;; [unrolled: 1-line block ×3, first 2 shown]
	s_waitcnt vmcnt(57)
	v_fma_f64 v[197:198], v[119:120], v[133:134], -v[193:194]
	ds_read_b128 v[2:5], v1 offset:1488
	v_fma_f64 v[127:128], v[121:122], v[133:134], v[127:128]
	s_clause 0x4
	buffer_load_dword v134, off, s[0:3], 0 offset:860
	buffer_load_dword v194, off, s[0:3], 0 offset:872
	;; [unrolled: 1-line block ×5, first 2 shown]
	s_waitcnt vmcnt(56)
	v_fma_f64 v[131:132], v[123:124], v[141:142], -v[131:132]
	ds_read_b128 v[119:122], v1 offset:1504
	v_fma_f64 v[141:142], v[125:126], v[141:142], v[195:196]
	v_add_f64 v[186:187], v[186:187], 0
	v_add_f64 v[6:7], v[6:7], 0
	s_waitcnt lgkmcnt(1)
	v_mul_f64 v[200:201], v[2:3], v[135:136]
	v_mul_f64 v[135:136], v[4:5], v[135:136]
	v_add_f64 v[186:187], v[186:187], v[197:198]
	v_add_f64 v[6:7], v[6:7], v[127:128]
	s_clause 0x2
	buffer_load_dword v195, off, s[0:3], 0 offset:876
	buffer_load_dword v128, off, s[0:3], 0 offset:852
	;; [unrolled: 1-line block ×3, first 2 shown]
	s_waitcnt vmcnt(58) lgkmcnt(0)
	v_mul_f64 v[196:197], v[119:120], v[137:138]
	v_mul_f64 v[137:138], v[121:122], v[137:138]
	s_waitcnt vmcnt(56)
	v_fma_f64 v[135:136], v[2:3], v[143:144], -v[135:136]
	ds_read_b128 v[123:126], v1 offset:1520
	v_fma_f64 v[143:144], v[4:5], v[143:144], v[200:201]
	v_add_f64 v[131:132], v[186:187], v[131:132]
	v_add_f64 v[6:7], v[6:7], v[141:142]
	s_clause 0x2
	buffer_load_dword v142, off, s[0:3], 0 offset:892
	buffer_load_dword v141, off, s[0:3], 0 offset:888
	;; [unrolled: 1-line block ×3, first 2 shown]
	ds_read_b128 v[2:5], v1 offset:1536
	s_waitcnt vmcnt(55) lgkmcnt(1)
	v_mul_f64 v[186:187], v[123:124], v[145:146]
	v_mul_f64 v[145:146], v[125:126], v[145:146]
	s_waitcnt vmcnt(54)
	v_fma_f64 v[137:138], v[119:120], v[139:140], -v[137:138]
	v_add_f64 v[131:132], v[131:132], v[135:136]
	v_fma_f64 v[135:136], v[121:122], v[139:140], v[196:197]
	v_add_f64 v[6:7], v[6:7], v[143:144]
	s_clause 0x1
	buffer_load_dword v140, off, s[0:3], 0 offset:884
	buffer_load_dword v139, off, s[0:3], 0 offset:880
	s_waitcnt vmcnt(55) lgkmcnt(0)
	v_mul_f64 v[143:144], v[2:3], v[147:148]
	v_mul_f64 v[147:148], v[4:5], v[147:148]
	s_waitcnt vmcnt(53)
	v_fma_f64 v[145:146], v[123:124], v[151:152], -v[145:146]
	ds_read_b128 v[119:122], v1 offset:1552
	v_add_f64 v[131:132], v[131:132], v[137:138]
	v_fma_f64 v[137:138], v[125:126], v[151:152], v[186:187]
	v_add_f64 v[6:7], v[6:7], v[135:136]
	ds_read_b128 v[123:126], v1 offset:1568
	s_waitcnt vmcnt(48)
	v_fma_f64 v[143:144], v[4:5], v[149:150], v[143:144]
	s_waitcnt lgkmcnt(1)
	v_mul_f64 v[151:152], v[121:122], v[153:154]
	v_fma_f64 v[147:148], v[2:3], v[149:150], -v[147:148]
	v_mul_f64 v[135:136], v[119:120], v[153:154]
	v_add_f64 v[131:132], v[131:132], v[145:146]
	s_waitcnt vmcnt(47) lgkmcnt(0)
	v_mul_f64 v[153:154], v[125:126], v[155:156]
	v_add_f64 v[6:7], v[6:7], v[137:138]
	s_clause 0x3
	buffer_load_dword v137, off, s[0:3], 0 offset:560
	buffer_load_dword v138, off, s[0:3], 0 offset:564
	;; [unrolled: 1-line block ×4, first 2 shown]
	ds_read_b128 v[2:5], v1 offset:1584
	s_waitcnt vmcnt(49)
	v_fma_f64 v[151:152], v[119:120], v[159:160], -v[151:152]
	v_mul_f64 v[149:150], v[123:124], v[155:156]
	v_fma_f64 v[135:136], v[121:122], v[159:160], v[135:136]
	ds_read_b128 v[119:122], v1 offset:1600
	v_add_f64 v[131:132], v[131:132], v[147:148]
	s_waitcnt vmcnt(44)
	v_fma_f64 v[153:154], v[123:124], v[157:158], -v[153:154]
	v_add_f64 v[6:7], v[6:7], v[143:144]
	s_waitcnt lgkmcnt(1)
	v_mul_f64 v[147:148], v[4:5], v[161:162]
	v_mul_f64 v[143:144], v[2:3], v[161:162]
	v_fma_f64 v[149:150], v[125:126], v[157:158], v[149:150]
	ds_read_b128 v[123:126], v1 offset:1616
	v_add_f64 v[131:132], v[131:132], v[151:152]
	s_waitcnt vmcnt(43) lgkmcnt(1)
	v_mul_f64 v[151:152], v[121:122], v[163:164]
	v_add_f64 v[6:7], v[6:7], v[135:136]
	s_waitcnt vmcnt(41)
	v_fma_f64 v[147:148], v[2:3], v[167:168], -v[147:148]
	v_mul_f64 v[135:136], v[119:120], v[163:164]
	v_fma_f64 v[143:144], v[4:5], v[167:168], v[143:144]
	ds_read_b128 v[2:5], v1 offset:1632
	v_add_f64 v[131:132], v[131:132], v[153:154]
	s_waitcnt vmcnt(37) lgkmcnt(1)
	v_mul_f64 v[153:154], v[125:126], v[169:170]
	v_add_f64 v[6:7], v[6:7], v[149:150]
	s_waitcnt vmcnt(36)
	v_fma_f64 v[151:152], v[119:120], v[165:166], -v[151:152]
	;; [unrolled: 9-line block ×6, first 2 shown]
	v_mul_f64 v[143:144], v[2:3], v[188:189]
	v_fma_f64 v[149:150], v[125:126], v[182:183], v[149:150]
	ds_read_b128 v[123:126], v1 offset:1712
	v_add_f64 v[131:132], v[131:132], v[151:152]
	v_add_f64 v[6:7], v[6:7], v[135:136]
	s_waitcnt vmcnt(19) lgkmcnt(1)
	v_mul_f64 v[151:152], v[121:122], v[190:191]
	v_mul_f64 v[135:136], v[119:120], v[190:191]
	s_waitcnt vmcnt(17)
	v_fma_f64 v[147:148], v[2:3], v[129:130], -v[147:148]
	v_fma_f64 v[129:130], v[4:5], v[129:130], v[143:144]
	ds_read_b128 v[2:5], v1 offset:1728
	s_waitcnt vmcnt(13) lgkmcnt(1)
	v_mul_f64 v[143:144], v[123:124], v[133:134]
	v_mul_f64 v[133:134], v[125:126], v[133:134]
	v_add_f64 v[131:132], v[131:132], v[153:154]
	v_add_f64 v[6:7], v[6:7], v[149:150]
	s_waitcnt vmcnt(12)
	v_fma_f64 v[149:150], v[119:120], v[192:193], -v[151:152]
	v_fma_f64 v[135:136], v[121:122], v[192:193], v[135:136]
	ds_read_b128 v[119:122], v1 offset:1744
	v_add_f64 v[131:132], v[131:132], v[147:148]
	v_add_f64 v[6:7], v[6:7], v[129:130]
	s_waitcnt vmcnt(11) lgkmcnt(1)
	v_mul_f64 v[147:148], v[4:5], v[194:195]
	v_mul_f64 v[129:130], v[2:3], v[194:195]
	s_waitcnt vmcnt(9)
	v_fma_f64 v[123:124], v[123:124], v[127:128], -v[133:134]
	v_fma_f64 v[125:126], v[125:126], v[127:128], v[143:144]
	v_add_f64 v[131:132], v[131:132], v[149:150]
	v_add_f64 v[6:7], v[6:7], v[135:136]
	s_waitcnt vmcnt(7) lgkmcnt(0)
	v_mul_f64 v[133:134], v[121:122], v[141:142]
	s_waitcnt vmcnt(6)
	v_fma_f64 v[1:2], v[2:3], v[199:200], -v[147:148]
	v_mul_f64 v[127:128], v[119:120], v[141:142]
	v_fma_f64 v[3:4], v[4:5], v[199:200], v[129:130]
	v_add_f64 v[123:124], v[131:132], v[123:124]
	v_add_f64 v[5:6], v[6:7], v[125:126]
	s_waitcnt vmcnt(4)
	v_fma_f64 v[7:8], v[119:120], v[139:140], -v[133:134]
	v_fma_f64 v[119:120], v[121:122], v[139:140], v[127:128]
	v_add_f64 v[1:2], v[123:124], v[1:2]
	v_add_f64 v[3:4], v[5:6], v[3:4]
	;; [unrolled: 1-line block ×4, first 2 shown]
	s_waitcnt vmcnt(2)
	v_add_f64 v[1:2], v[137:138], -v[1:2]
	s_waitcnt vmcnt(0)
	v_add_f64 v[3:4], v[145:146], -v[3:4]
	buffer_store_dword v2, off, s[0:3], 0 offset:564
	buffer_store_dword v1, off, s[0:3], 0 offset:560
	buffer_store_dword v4, off, s[0:3], 0 offset:572
	buffer_store_dword v3, off, s[0:3], 0 offset:568
	v_cmpx_lt_u32_e32 33, v0
	s_cbranch_execz .LBB118_277
; %bb.276:
	v_mov_b32_e32 v4, s34
	v_mov_b32_e32 v5, 0
	s_clause 0x3
	buffer_load_dword v1, v4, s[0:3], 0 offen
	buffer_load_dword v2, v4, s[0:3], 0 offen offset:4
	buffer_load_dword v3, v4, s[0:3], 0 offen offset:8
	;; [unrolled: 1-line block ×3, first 2 shown]
	buffer_store_dword v5, off, s[0:3], 0 offset:544
	buffer_store_dword v5, off, s[0:3], 0 offset:548
	;; [unrolled: 1-line block ×4, first 2 shown]
	s_waitcnt vmcnt(0)
	ds_write_b128 v179, v[1:4]
.LBB118_277:
	s_or_b32 exec_lo, exec_lo, s4
	s_waitcnt lgkmcnt(0)
	s_waitcnt_vscnt null, 0x0
	s_barrier
	buffer_gl0_inv
	s_clause 0x37
	buffer_load_dword v6, off, s[0:3], 0 offset:568
	buffer_load_dword v7, off, s[0:3], 0 offset:572
	;; [unrolled: 1-line block ×56, first 2 shown]
	v_mov_b32_e32 v1, 0
	s_mov_b32 s4, exec_lo
	ds_read_b128 v[2:5], v1 offset:1424
	s_clause 0x2
	buffer_load_dword v181, off, s[0:3], 0 offset:796
	buffer_load_dword v185, off, s[0:3], 0 offset:772
	;; [unrolled: 1-line block ×3, first 2 shown]
	ds_read_b128 v[119:122], v1 offset:1440
	s_clause 0x4
	buffer_load_dword v189, off, s[0:3], 0 offset:812
	buffer_load_dword v190, off, s[0:3], 0 offset:824
	;; [unrolled: 1-line block ×5, first 2 shown]
	ds_read_b128 v[123:126], v1 offset:1456
	s_waitcnt vmcnt(62) lgkmcnt(2)
	v_mul_f64 v[186:187], v[4:5], v[6:7]
	v_mul_f64 v[6:7], v[2:3], v[6:7]
	s_waitcnt vmcnt(60) lgkmcnt(1)
	v_mul_f64 v[193:194], v[121:122], v[127:128]
	v_mul_f64 v[127:128], v[119:120], v[127:128]
	;; [unrolled: 3-line block ×3, first 2 shown]
	v_fma_f64 v[186:187], v[2:3], v[129:130], -v[186:187]
	v_fma_f64 v[6:7], v[4:5], v[129:130], v[6:7]
	s_clause 0x2
	buffer_load_dword v191, off, s[0:3], 0 offset:828
	buffer_load_dword v130, off, s[0:3], 0 offset:804
	;; [unrolled: 1-line block ×3, first 2 shown]
	s_waitcnt vmcnt(57)
	v_fma_f64 v[197:198], v[119:120], v[133:134], -v[193:194]
	ds_read_b128 v[2:5], v1 offset:1472
	v_fma_f64 v[127:128], v[121:122], v[133:134], v[127:128]
	s_clause 0x4
	buffer_load_dword v134, off, s[0:3], 0 offset:844
	buffer_load_dword v194, off, s[0:3], 0 offset:856
	;; [unrolled: 1-line block ×5, first 2 shown]
	s_waitcnt vmcnt(56)
	v_fma_f64 v[131:132], v[123:124], v[141:142], -v[131:132]
	ds_read_b128 v[119:122], v1 offset:1488
	v_fma_f64 v[141:142], v[125:126], v[141:142], v[195:196]
	v_add_f64 v[186:187], v[186:187], 0
	v_add_f64 v[6:7], v[6:7], 0
	s_waitcnt lgkmcnt(1)
	v_mul_f64 v[200:201], v[2:3], v[135:136]
	v_mul_f64 v[135:136], v[4:5], v[135:136]
	v_add_f64 v[186:187], v[186:187], v[197:198]
	v_add_f64 v[6:7], v[6:7], v[127:128]
	s_clause 0x2
	buffer_load_dword v195, off, s[0:3], 0 offset:860
	buffer_load_dword v128, off, s[0:3], 0 offset:836
	;; [unrolled: 1-line block ×3, first 2 shown]
	s_waitcnt vmcnt(58) lgkmcnt(0)
	v_mul_f64 v[196:197], v[119:120], v[137:138]
	v_mul_f64 v[137:138], v[121:122], v[137:138]
	s_waitcnt vmcnt(56)
	v_fma_f64 v[135:136], v[2:3], v[143:144], -v[135:136]
	ds_read_b128 v[123:126], v1 offset:1504
	v_fma_f64 v[143:144], v[4:5], v[143:144], v[200:201]
	v_add_f64 v[131:132], v[186:187], v[131:132]
	v_add_f64 v[6:7], v[6:7], v[141:142]
	s_clause 0x4
	buffer_load_dword v142, off, s[0:3], 0 offset:876
	buffer_load_dword v186, off, s[0:3], 0 offset:888
	;; [unrolled: 1-line block ×5, first 2 shown]
	ds_read_b128 v[2:5], v1 offset:1520
	s_waitcnt vmcnt(57) lgkmcnt(1)
	v_mul_f64 v[202:203], v[123:124], v[145:146]
	v_mul_f64 v[145:146], v[125:126], v[145:146]
	s_waitcnt vmcnt(56)
	v_fma_f64 v[137:138], v[119:120], v[139:140], -v[137:138]
	v_add_f64 v[131:132], v[131:132], v[135:136]
	v_fma_f64 v[135:136], v[121:122], v[139:140], v[196:197]
	v_add_f64 v[6:7], v[6:7], v[143:144]
	s_clause 0x2
	buffer_load_dword v187, off, s[0:3], 0 offset:892
	buffer_load_dword v140, off, s[0:3], 0 offset:868
	;; [unrolled: 1-line block ×3, first 2 shown]
	s_waitcnt vmcnt(58) lgkmcnt(0)
	v_mul_f64 v[143:144], v[2:3], v[147:148]
	v_mul_f64 v[147:148], v[4:5], v[147:148]
	s_waitcnt vmcnt(56)
	v_fma_f64 v[145:146], v[123:124], v[151:152], -v[145:146]
	ds_read_b128 v[119:122], v1 offset:1536
	v_add_f64 v[131:132], v[131:132], v[137:138]
	v_fma_f64 v[137:138], v[125:126], v[151:152], v[202:203]
	v_add_f64 v[6:7], v[6:7], v[135:136]
	buffer_load_dword v202, off, s[0:3], 0 offset:884
	ds_read_b128 v[123:126], v1 offset:1552
	s_waitcnt vmcnt(53) lgkmcnt(1)
	v_mul_f64 v[151:152], v[121:122], v[153:154]
	s_waitcnt vmcnt(52)
	v_fma_f64 v[147:148], v[2:3], v[149:150], -v[147:148]
	v_mul_f64 v[135:136], v[119:120], v[153:154]
	v_fma_f64 v[143:144], v[4:5], v[149:150], v[143:144]
	ds_read_b128 v[2:5], v1 offset:1568
	v_add_f64 v[131:132], v[131:132], v[145:146]
	v_add_f64 v[6:7], v[6:7], v[137:138]
	s_waitcnt vmcnt(51) lgkmcnt(1)
	v_mul_f64 v[145:146], v[125:126], v[155:156]
	v_mul_f64 v[137:138], v[123:124], v[155:156]
	s_waitcnt vmcnt(49)
	v_fma_f64 v[149:150], v[119:120], v[159:160], -v[151:152]
	v_fma_f64 v[135:136], v[121:122], v[159:160], v[135:136]
	s_waitcnt vmcnt(45) lgkmcnt(0)
	v_mul_f64 v[153:154], v[4:5], v[161:162]
	v_mul_f64 v[151:152], v[2:3], v[161:162]
	v_add_f64 v[131:132], v[131:132], v[147:148]
	v_add_f64 v[6:7], v[6:7], v[143:144]
	s_clause 0x3
	buffer_load_dword v143, off, s[0:3], 0 offset:544
	buffer_load_dword v144, off, s[0:3], 0 offset:548
	;; [unrolled: 1-line block ×4, first 2 shown]
	s_waitcnt vmcnt(48)
	v_fma_f64 v[145:146], v[123:124], v[157:158], -v[145:146]
	ds_read_b128 v[119:122], v1 offset:1584
	v_fma_f64 v[137:138], v[125:126], v[157:158], v[137:138]
	ds_read_b128 v[123:126], v1 offset:1600
	s_waitcnt vmcnt(45)
	v_fma_f64 v[153:154], v[2:3], v[167:168], -v[153:154]
	v_add_f64 v[131:132], v[131:132], v[149:150]
	v_add_f64 v[6:7], v[6:7], v[135:136]
	s_waitcnt lgkmcnt(1)
	v_mul_f64 v[149:150], v[121:122], v[163:164]
	v_mul_f64 v[135:136], v[119:120], v[163:164]
	v_add_f64 v[131:132], v[131:132], v[145:146]
	v_fma_f64 v[145:146], v[4:5], v[167:168], v[151:152]
	v_add_f64 v[6:7], v[6:7], v[137:138]
	s_waitcnt vmcnt(41) lgkmcnt(0)
	v_mul_f64 v[151:152], v[125:126], v[169:170]
	s_waitcnt vmcnt(40)
	v_fma_f64 v[149:150], v[119:120], v[165:166], -v[149:150]
	ds_read_b128 v[2:5], v1 offset:1616
	v_mul_f64 v[137:138], v[123:124], v[169:170]
	v_fma_f64 v[135:136], v[121:122], v[165:166], v[135:136]
	ds_read_b128 v[119:122], v1 offset:1632
	v_add_f64 v[131:132], v[131:132], v[153:154]
	v_add_f64 v[6:7], v[6:7], v[145:146]
	s_waitcnt vmcnt(39) lgkmcnt(1)
	v_mul_f64 v[153:154], v[4:5], v[171:172]
	s_waitcnt vmcnt(37)
	v_fma_f64 v[151:152], v[123:124], v[175:176], -v[151:152]
	v_mul_f64 v[145:146], v[2:3], v[171:172]
	v_fma_f64 v[137:138], v[125:126], v[175:176], v[137:138]
	ds_read_b128 v[123:126], v1 offset:1648
	v_add_f64 v[131:132], v[131:132], v[149:150]
	s_waitcnt vmcnt(33) lgkmcnt(1)
	v_mul_f64 v[149:150], v[121:122], v[177:178]
	v_add_f64 v[6:7], v[6:7], v[135:136]
	s_waitcnt vmcnt(32)
	v_fma_f64 v[153:154], v[2:3], v[173:174], -v[153:154]
	v_mul_f64 v[135:136], v[119:120], v[177:178]
	v_fma_f64 v[145:146], v[4:5], v[173:174], v[145:146]
	ds_read_b128 v[2:5], v1 offset:1664
	v_add_f64 v[131:132], v[131:132], v[151:152]
	s_waitcnt vmcnt(31) lgkmcnt(1)
	v_mul_f64 v[151:152], v[125:126], v[180:181]
	v_add_f64 v[6:7], v[6:7], v[137:138]
	;; [unrolled: 9-line block ×3, first 2 shown]
	s_waitcnt vmcnt(24)
	v_fma_f64 v[151:152], v[123:124], v[182:183], -v[151:152]
	v_mul_f64 v[145:146], v[2:3], v[188:189]
	v_fma_f64 v[137:138], v[125:126], v[182:183], v[137:138]
	ds_read_b128 v[123:126], v1 offset:1696
	v_add_f64 v[131:132], v[131:132], v[149:150]
	v_add_f64 v[6:7], v[6:7], v[135:136]
	s_waitcnt vmcnt(23) lgkmcnt(1)
	v_mul_f64 v[149:150], v[121:122], v[190:191]
	v_mul_f64 v[135:136], v[119:120], v[190:191]
	s_waitcnt vmcnt(21)
	v_fma_f64 v[153:154], v[2:3], v[129:130], -v[153:154]
	v_fma_f64 v[129:130], v[4:5], v[129:130], v[145:146]
	ds_read_b128 v[2:5], v1 offset:1712
	v_add_f64 v[131:132], v[131:132], v[151:152]
	v_add_f64 v[6:7], v[6:7], v[137:138]
	s_waitcnt vmcnt(17) lgkmcnt(1)
	v_mul_f64 v[137:138], v[123:124], v[133:134]
	v_mul_f64 v[133:134], v[125:126], v[133:134]
	s_waitcnt vmcnt(16)
	v_fma_f64 v[145:146], v[119:120], v[192:193], -v[149:150]
	;; [unrolled: 9-line block ×3, first 2 shown]
	v_fma_f64 v[127:128], v[125:126], v[127:128], v[137:138]
	ds_read_b128 v[123:126], v1 offset:1744
	v_add_f64 v[131:132], v[131:132], v[145:146]
	v_add_f64 v[6:7], v[6:7], v[135:136]
	s_waitcnt vmcnt(9) lgkmcnt(1)
	v_mul_f64 v[137:138], v[121:122], v[141:142]
	s_waitcnt vmcnt(8)
	v_fma_f64 v[2:3], v[2:3], v[199:200], -v[149:150]
	v_mul_f64 v[135:136], v[119:120], v[141:142]
	v_fma_f64 v[4:5], v[4:5], v[199:200], v[129:130]
	v_add_f64 v[131:132], v[131:132], v[133:134]
	v_add_f64 v[6:7], v[6:7], v[127:128]
	s_waitcnt vmcnt(7) lgkmcnt(0)
	v_mul_f64 v[129:130], v[125:126], v[186:187]
	v_mul_f64 v[127:128], v[123:124], v[186:187]
	s_waitcnt vmcnt(5)
	v_fma_f64 v[119:120], v[119:120], v[139:140], -v[137:138]
	v_fma_f64 v[121:122], v[121:122], v[139:140], v[135:136]
	v_add_f64 v[2:3], v[131:132], v[2:3]
	v_add_f64 v[4:5], v[6:7], v[4:5]
	s_waitcnt vmcnt(4)
	v_fma_f64 v[6:7], v[123:124], v[201:202], -v[129:130]
	v_add_f64 v[2:3], v[2:3], v[119:120]
	v_fma_f64 v[119:120], v[125:126], v[201:202], v[127:128]
	v_add_f64 v[4:5], v[4:5], v[121:122]
	v_add_f64 v[2:3], v[2:3], v[6:7]
	;; [unrolled: 1-line block ×3, first 2 shown]
	s_waitcnt vmcnt(2)
	v_add_f64 v[2:3], v[143:144], -v[2:3]
	s_waitcnt vmcnt(0)
	v_add_f64 v[4:5], v[147:148], -v[4:5]
	buffer_store_dword v3, off, s[0:3], 0 offset:548
	buffer_store_dword v2, off, s[0:3], 0 offset:544
	;; [unrolled: 1-line block ×4, first 2 shown]
	v_cmpx_lt_u32_e32 32, v0
	s_cbranch_execz .LBB118_279
; %bb.278:
	v_mov_b32_e32 v5, s35
	s_clause 0x3
	buffer_load_dword v2, v5, s[0:3], 0 offen
	buffer_load_dword v3, v5, s[0:3], 0 offen offset:4
	buffer_load_dword v4, v5, s[0:3], 0 offen offset:8
	;; [unrolled: 1-line block ×3, first 2 shown]
	buffer_store_dword v1, off, s[0:3], 0 offset:528
	buffer_store_dword v1, off, s[0:3], 0 offset:532
	;; [unrolled: 1-line block ×4, first 2 shown]
	s_waitcnt vmcnt(0)
	ds_write_b128 v179, v[2:5]
.LBB118_279:
	s_or_b32 exec_lo, exec_lo, s4
	s_waitcnt lgkmcnt(0)
	s_waitcnt_vscnt null, 0x0
	s_barrier
	buffer_gl0_inv
	s_clause 0x37
	buffer_load_dword v6, off, s[0:3], 0 offset:552
	buffer_load_dword v7, off, s[0:3], 0 offset:556
	;; [unrolled: 1-line block ×56, first 2 shown]
	ds_read_b128 v[2:5], v1 offset:1408
	s_clause 0x2
	buffer_load_dword v181, off, s[0:3], 0 offset:780
	buffer_load_dword v185, off, s[0:3], 0 offset:756
	;; [unrolled: 1-line block ×3, first 2 shown]
	ds_read_b128 v[119:122], v1 offset:1424
	s_clause 0x4
	buffer_load_dword v189, off, s[0:3], 0 offset:796
	buffer_load_dword v190, off, s[0:3], 0 offset:808
	;; [unrolled: 1-line block ×5, first 2 shown]
	ds_read_b128 v[123:126], v1 offset:1440
	s_mov_b32 s4, exec_lo
	s_waitcnt vmcnt(62) lgkmcnt(2)
	v_mul_f64 v[186:187], v[4:5], v[6:7]
	v_mul_f64 v[6:7], v[2:3], v[6:7]
	s_waitcnt vmcnt(60) lgkmcnt(1)
	v_mul_f64 v[193:194], v[121:122], v[127:128]
	v_mul_f64 v[127:128], v[119:120], v[127:128]
	;; [unrolled: 3-line block ×3, first 2 shown]
	v_fma_f64 v[186:187], v[2:3], v[129:130], -v[186:187]
	v_fma_f64 v[6:7], v[4:5], v[129:130], v[6:7]
	s_clause 0x2
	buffer_load_dword v191, off, s[0:3], 0 offset:812
	buffer_load_dword v130, off, s[0:3], 0 offset:788
	;; [unrolled: 1-line block ×3, first 2 shown]
	s_waitcnt vmcnt(57)
	v_fma_f64 v[197:198], v[119:120], v[133:134], -v[193:194]
	ds_read_b128 v[2:5], v1 offset:1456
	v_fma_f64 v[127:128], v[121:122], v[133:134], v[127:128]
	s_clause 0x4
	buffer_load_dword v134, off, s[0:3], 0 offset:828
	buffer_load_dword v194, off, s[0:3], 0 offset:840
	;; [unrolled: 1-line block ×5, first 2 shown]
	s_waitcnt vmcnt(56)
	v_fma_f64 v[131:132], v[123:124], v[141:142], -v[131:132]
	ds_read_b128 v[119:122], v1 offset:1472
	v_fma_f64 v[141:142], v[125:126], v[141:142], v[195:196]
	v_add_f64 v[186:187], v[186:187], 0
	v_add_f64 v[6:7], v[6:7], 0
	s_waitcnt lgkmcnt(1)
	v_mul_f64 v[200:201], v[2:3], v[135:136]
	v_mul_f64 v[135:136], v[4:5], v[135:136]
	v_add_f64 v[186:187], v[186:187], v[197:198]
	v_add_f64 v[6:7], v[6:7], v[127:128]
	s_clause 0x2
	buffer_load_dword v195, off, s[0:3], 0 offset:844
	buffer_load_dword v128, off, s[0:3], 0 offset:820
	;; [unrolled: 1-line block ×3, first 2 shown]
	s_waitcnt vmcnt(58) lgkmcnt(0)
	v_mul_f64 v[196:197], v[119:120], v[137:138]
	v_mul_f64 v[137:138], v[121:122], v[137:138]
	s_waitcnt vmcnt(56)
	v_fma_f64 v[135:136], v[2:3], v[143:144], -v[135:136]
	ds_read_b128 v[123:126], v1 offset:1488
	v_fma_f64 v[143:144], v[4:5], v[143:144], v[200:201]
	v_add_f64 v[131:132], v[186:187], v[131:132]
	v_add_f64 v[6:7], v[6:7], v[141:142]
	s_clause 0x4
	buffer_load_dword v142, off, s[0:3], 0 offset:860
	buffer_load_dword v186, off, s[0:3], 0 offset:872
	;; [unrolled: 1-line block ×5, first 2 shown]
	ds_read_b128 v[2:5], v1 offset:1504
	s_waitcnt vmcnt(57) lgkmcnt(1)
	v_mul_f64 v[202:203], v[123:124], v[145:146]
	v_mul_f64 v[145:146], v[125:126], v[145:146]
	s_waitcnt vmcnt(56)
	v_fma_f64 v[137:138], v[119:120], v[139:140], -v[137:138]
	v_add_f64 v[131:132], v[131:132], v[135:136]
	v_fma_f64 v[135:136], v[121:122], v[139:140], v[196:197]
	v_add_f64 v[6:7], v[6:7], v[143:144]
	s_clause 0x2
	buffer_load_dword v187, off, s[0:3], 0 offset:876
	buffer_load_dword v140, off, s[0:3], 0 offset:852
	buffer_load_dword v139, off, s[0:3], 0 offset:848
	s_waitcnt vmcnt(58) lgkmcnt(0)
	v_mul_f64 v[143:144], v[2:3], v[147:148]
	v_mul_f64 v[147:148], v[4:5], v[147:148]
	s_waitcnt vmcnt(56)
	v_fma_f64 v[145:146], v[123:124], v[151:152], -v[145:146]
	ds_read_b128 v[119:122], v1 offset:1520
	v_add_f64 v[131:132], v[131:132], v[137:138]
	v_fma_f64 v[137:138], v[125:126], v[151:152], v[202:203]
	v_add_f64 v[6:7], v[6:7], v[135:136]
	s_clause 0x2
	buffer_load_dword v136, off, s[0:3], 0 offset:892
	buffer_load_dword v135, off, s[0:3], 0 offset:888
	;; [unrolled: 1-line block ×3, first 2 shown]
	ds_read_b128 v[123:126], v1 offset:1536
	s_waitcnt vmcnt(55) lgkmcnt(1)
	v_mul_f64 v[151:152], v[119:120], v[153:154]
	v_mul_f64 v[153:154], v[121:122], v[153:154]
	s_waitcnt vmcnt(54)
	v_fma_f64 v[147:148], v[2:3], v[149:150], -v[147:148]
	v_fma_f64 v[143:144], v[4:5], v[149:150], v[143:144]
	v_add_f64 v[131:132], v[131:132], v[145:146]
	v_add_f64 v[6:7], v[6:7], v[137:138]
	s_clause 0x1
	buffer_load_dword v138, off, s[0:3], 0 offset:884
	buffer_load_dword v137, off, s[0:3], 0 offset:880
	s_waitcnt vmcnt(55) lgkmcnt(0)
	v_mul_f64 v[149:150], v[125:126], v[155:156]
	ds_read_b128 v[2:5], v1 offset:1552
	s_waitcnt vmcnt(53)
	v_fma_f64 v[153:154], v[119:120], v[159:160], -v[153:154]
	v_mul_f64 v[145:146], v[123:124], v[155:156]
	v_add_f64 v[131:132], v[131:132], v[147:148]
	v_fma_f64 v[147:148], v[121:122], v[159:160], v[151:152]
	v_add_f64 v[6:7], v[6:7], v[143:144]
	ds_read_b128 v[119:122], v1 offset:1568
	s_waitcnt vmcnt(49) lgkmcnt(1)
	v_mul_f64 v[151:152], v[4:5], v[161:162]
	s_waitcnt vmcnt(48)
	v_fma_f64 v[149:150], v[123:124], v[157:158], -v[149:150]
	v_mul_f64 v[143:144], v[2:3], v[161:162]
	v_fma_f64 v[145:146], v[125:126], v[157:158], v[145:146]
	v_add_f64 v[131:132], v[131:132], v[153:154]
	s_waitcnt vmcnt(47) lgkmcnt(0)
	v_mul_f64 v[157:158], v[121:122], v[163:164]
	v_add_f64 v[6:7], v[6:7], v[147:148]
	s_clause 0x3
	buffer_load_dword v147, off, s[0:3], 0 offset:528
	buffer_load_dword v148, off, s[0:3], 0 offset:532
	;; [unrolled: 1-line block ×4, first 2 shown]
	s_waitcnt vmcnt(49)
	v_fma_f64 v[151:152], v[2:3], v[167:168], -v[151:152]
	ds_read_b128 v[123:126], v1 offset:1584
	v_mul_f64 v[155:156], v[119:120], v[163:164]
	v_fma_f64 v[143:144], v[4:5], v[167:168], v[143:144]
	ds_read_b128 v[2:5], v1 offset:1600
	v_add_f64 v[131:132], v[131:132], v[149:150]
	s_waitcnt vmcnt(44)
	v_fma_f64 v[157:158], v[119:120], v[165:166], -v[157:158]
	v_add_f64 v[6:7], v[6:7], v[145:146]
	s_waitcnt lgkmcnt(1)
	v_mul_f64 v[149:150], v[125:126], v[169:170]
	v_mul_f64 v[145:146], v[123:124], v[169:170]
	v_add_f64 v[131:132], v[131:132], v[151:152]
	v_fma_f64 v[151:152], v[121:122], v[165:166], v[155:156]
	v_add_f64 v[6:7], v[6:7], v[143:144]
	s_waitcnt vmcnt(43) lgkmcnt(0)
	v_mul_f64 v[155:156], v[4:5], v[171:172]
	s_waitcnt vmcnt(41)
	v_fma_f64 v[149:150], v[123:124], v[175:176], -v[149:150]
	ds_read_b128 v[119:122], v1 offset:1616
	v_mul_f64 v[143:144], v[2:3], v[171:172]
	v_fma_f64 v[145:146], v[125:126], v[175:176], v[145:146]
	ds_read_b128 v[123:126], v1 offset:1632
	v_add_f64 v[131:132], v[131:132], v[157:158]
	v_add_f64 v[6:7], v[6:7], v[151:152]
	s_waitcnt vmcnt(37) lgkmcnt(1)
	v_mul_f64 v[157:158], v[121:122], v[177:178]
	s_waitcnt vmcnt(36)
	v_fma_f64 v[155:156], v[2:3], v[173:174], -v[155:156]
	v_mul_f64 v[151:152], v[119:120], v[177:178]
	v_fma_f64 v[143:144], v[4:5], v[173:174], v[143:144]
	ds_read_b128 v[2:5], v1 offset:1648
	v_add_f64 v[131:132], v[131:132], v[149:150]
	s_waitcnt vmcnt(35) lgkmcnt(1)
	v_mul_f64 v[149:150], v[125:126], v[180:181]
	v_add_f64 v[6:7], v[6:7], v[145:146]
	s_waitcnt vmcnt(33)
	v_fma_f64 v[157:158], v[119:120], v[184:185], -v[157:158]
	v_mul_f64 v[145:146], v[123:124], v[180:181]
	v_fma_f64 v[151:152], v[121:122], v[184:185], v[151:152]
	ds_read_b128 v[119:122], v1 offset:1664
	v_add_f64 v[131:132], v[131:132], v[155:156]
	s_waitcnt vmcnt(29) lgkmcnt(1)
	v_mul_f64 v[155:156], v[4:5], v[188:189]
	v_add_f64 v[6:7], v[6:7], v[143:144]
	s_waitcnt vmcnt(28)
	v_fma_f64 v[149:150], v[123:124], v[182:183], -v[149:150]
	v_mul_f64 v[143:144], v[2:3], v[188:189]
	v_fma_f64 v[145:146], v[125:126], v[182:183], v[145:146]
	ds_read_b128 v[123:126], v1 offset:1680
	v_add_f64 v[131:132], v[131:132], v[157:158]
	v_add_f64 v[6:7], v[6:7], v[151:152]
	s_waitcnt vmcnt(27) lgkmcnt(1)
	v_mul_f64 v[157:158], v[121:122], v[190:191]
	v_mul_f64 v[151:152], v[119:120], v[190:191]
	s_waitcnt vmcnt(25)
	v_fma_f64 v[155:156], v[2:3], v[129:130], -v[155:156]
	v_fma_f64 v[129:130], v[4:5], v[129:130], v[143:144]
	ds_read_b128 v[2:5], v1 offset:1696
	s_waitcnt vmcnt(21) lgkmcnt(1)
	v_mul_f64 v[143:144], v[123:124], v[133:134]
	v_mul_f64 v[133:134], v[125:126], v[133:134]
	v_add_f64 v[131:132], v[131:132], v[149:150]
	v_add_f64 v[6:7], v[6:7], v[145:146]
	s_waitcnt vmcnt(20)
	v_fma_f64 v[145:146], v[119:120], v[192:193], -v[157:158]
	v_fma_f64 v[149:150], v[121:122], v[192:193], v[151:152]
	ds_read_b128 v[119:122], v1 offset:1712
	v_add_f64 v[131:132], v[131:132], v[155:156]
	v_add_f64 v[6:7], v[6:7], v[129:130]
	s_waitcnt vmcnt(19) lgkmcnt(1)
	v_mul_f64 v[151:152], v[4:5], v[194:195]
	v_mul_f64 v[129:130], v[2:3], v[194:195]
	s_waitcnt vmcnt(17)
	v_fma_f64 v[133:134], v[123:124], v[127:128], -v[133:134]
	v_fma_f64 v[127:128], v[125:126], v[127:128], v[143:144]
	ds_read_b128 v[123:126], v1 offset:1728
	v_add_f64 v[131:132], v[131:132], v[145:146]
	v_add_f64 v[6:7], v[6:7], v[149:150]
	s_waitcnt vmcnt(13) lgkmcnt(1)
	v_mul_f64 v[143:144], v[119:120], v[141:142]
	v_mul_f64 v[141:142], v[121:122], v[141:142]
	;; [unrolled: 9-line block ×3, first 2 shown]
	s_waitcnt vmcnt(9)
	v_fma_f64 v[119:120], v[119:120], v[139:140], -v[141:142]
	v_fma_f64 v[121:122], v[121:122], v[139:140], v[143:144]
	v_add_f64 v[131:132], v[131:132], v[145:146]
	v_add_f64 v[5:6], v[5:6], v[129:130]
	s_waitcnt vmcnt(7) lgkmcnt(0)
	v_mul_f64 v[133:134], v[3:4], v[135:136]
	s_waitcnt vmcnt(6)
	v_fma_f64 v[123:124], v[123:124], v[201:202], -v[127:128]
	v_mul_f64 v[129:130], v[1:2], v[135:136]
	v_fma_f64 v[7:8], v[125:126], v[201:202], v[7:8]
	v_add_f64 v[119:120], v[131:132], v[119:120]
	v_add_f64 v[5:6], v[5:6], v[121:122]
	s_waitcnt vmcnt(4)
	v_fma_f64 v[1:2], v[1:2], v[137:138], -v[133:134]
	v_fma_f64 v[3:4], v[3:4], v[137:138], v[129:130]
	v_add_f64 v[119:120], v[119:120], v[123:124]
	v_add_f64 v[5:6], v[5:6], v[7:8]
	;; [unrolled: 1-line block ×4, first 2 shown]
	s_waitcnt vmcnt(2)
	v_add_f64 v[1:2], v[147:148], -v[1:2]
	s_waitcnt vmcnt(0)
	v_add_f64 v[3:4], v[153:154], -v[3:4]
	buffer_store_dword v2, off, s[0:3], 0 offset:532
	buffer_store_dword v1, off, s[0:3], 0 offset:528
	buffer_store_dword v4, off, s[0:3], 0 offset:540
	buffer_store_dword v3, off, s[0:3], 0 offset:536
	v_cmpx_lt_u32_e32 31, v0
	s_cbranch_execz .LBB118_281
; %bb.280:
	v_mov_b32_e32 v4, s36
	v_mov_b32_e32 v5, 0
	s_clause 0x3
	buffer_load_dword v1, v4, s[0:3], 0 offen
	buffer_load_dword v2, v4, s[0:3], 0 offen offset:4
	buffer_load_dword v3, v4, s[0:3], 0 offen offset:8
	;; [unrolled: 1-line block ×3, first 2 shown]
	buffer_store_dword v5, off, s[0:3], 0 offset:512
	buffer_store_dword v5, off, s[0:3], 0 offset:516
	;; [unrolled: 1-line block ×4, first 2 shown]
	s_waitcnt vmcnt(0)
	ds_write_b128 v179, v[1:4]
.LBB118_281:
	s_or_b32 exec_lo, exec_lo, s4
	s_waitcnt lgkmcnt(0)
	s_waitcnt_vscnt null, 0x0
	s_barrier
	buffer_gl0_inv
	s_clause 0x37
	buffer_load_dword v6, off, s[0:3], 0 offset:536
	buffer_load_dword v7, off, s[0:3], 0 offset:540
	;; [unrolled: 1-line block ×56, first 2 shown]
	v_mov_b32_e32 v1, 0
	s_mov_b32 s4, exec_lo
	ds_read_b128 v[2:5], v1 offset:1392
	s_clause 0x2
	buffer_load_dword v181, off, s[0:3], 0 offset:764
	buffer_load_dword v185, off, s[0:3], 0 offset:740
	buffer_load_dword v184, off, s[0:3], 0 offset:736
	ds_read_b128 v[119:122], v1 offset:1408
	s_clause 0x4
	buffer_load_dword v189, off, s[0:3], 0 offset:780
	buffer_load_dword v190, off, s[0:3], 0 offset:792
	;; [unrolled: 1-line block ×5, first 2 shown]
	ds_read_b128 v[123:126], v1 offset:1424
	s_waitcnt vmcnt(62) lgkmcnt(2)
	v_mul_f64 v[186:187], v[4:5], v[6:7]
	v_mul_f64 v[6:7], v[2:3], v[6:7]
	s_waitcnt vmcnt(60) lgkmcnt(1)
	v_mul_f64 v[193:194], v[121:122], v[127:128]
	v_mul_f64 v[127:128], v[119:120], v[127:128]
	;; [unrolled: 3-line block ×3, first 2 shown]
	v_fma_f64 v[186:187], v[2:3], v[129:130], -v[186:187]
	v_fma_f64 v[6:7], v[4:5], v[129:130], v[6:7]
	s_clause 0x2
	buffer_load_dword v191, off, s[0:3], 0 offset:796
	buffer_load_dword v130, off, s[0:3], 0 offset:772
	;; [unrolled: 1-line block ×3, first 2 shown]
	s_waitcnt vmcnt(57)
	v_fma_f64 v[197:198], v[119:120], v[133:134], -v[193:194]
	ds_read_b128 v[2:5], v1 offset:1440
	v_fma_f64 v[127:128], v[121:122], v[133:134], v[127:128]
	s_clause 0x4
	buffer_load_dword v134, off, s[0:3], 0 offset:812
	buffer_load_dword v194, off, s[0:3], 0 offset:824
	;; [unrolled: 1-line block ×5, first 2 shown]
	s_waitcnt vmcnt(56)
	v_fma_f64 v[131:132], v[123:124], v[141:142], -v[131:132]
	ds_read_b128 v[119:122], v1 offset:1456
	v_fma_f64 v[141:142], v[125:126], v[141:142], v[195:196]
	v_add_f64 v[186:187], v[186:187], 0
	v_add_f64 v[6:7], v[6:7], 0
	s_waitcnt lgkmcnt(1)
	v_mul_f64 v[200:201], v[2:3], v[135:136]
	v_mul_f64 v[135:136], v[4:5], v[135:136]
	v_add_f64 v[186:187], v[186:187], v[197:198]
	v_add_f64 v[6:7], v[6:7], v[127:128]
	s_clause 0x2
	buffer_load_dword v195, off, s[0:3], 0 offset:828
	buffer_load_dword v128, off, s[0:3], 0 offset:804
	;; [unrolled: 1-line block ×3, first 2 shown]
	s_waitcnt vmcnt(58) lgkmcnt(0)
	v_mul_f64 v[196:197], v[119:120], v[137:138]
	v_mul_f64 v[137:138], v[121:122], v[137:138]
	s_waitcnt vmcnt(56)
	v_fma_f64 v[135:136], v[2:3], v[143:144], -v[135:136]
	ds_read_b128 v[123:126], v1 offset:1472
	v_fma_f64 v[143:144], v[4:5], v[143:144], v[200:201]
	v_add_f64 v[131:132], v[186:187], v[131:132]
	v_add_f64 v[6:7], v[6:7], v[141:142]
	s_clause 0x4
	buffer_load_dword v142, off, s[0:3], 0 offset:844
	buffer_load_dword v186, off, s[0:3], 0 offset:856
	;; [unrolled: 1-line block ×5, first 2 shown]
	ds_read_b128 v[2:5], v1 offset:1488
	s_waitcnt vmcnt(57) lgkmcnt(1)
	v_mul_f64 v[202:203], v[123:124], v[145:146]
	v_mul_f64 v[145:146], v[125:126], v[145:146]
	s_waitcnt vmcnt(56)
	v_fma_f64 v[137:138], v[119:120], v[139:140], -v[137:138]
	v_add_f64 v[131:132], v[131:132], v[135:136]
	v_fma_f64 v[135:136], v[121:122], v[139:140], v[196:197]
	v_add_f64 v[6:7], v[6:7], v[143:144]
	s_clause 0x2
	buffer_load_dword v187, off, s[0:3], 0 offset:860
	buffer_load_dword v140, off, s[0:3], 0 offset:836
	buffer_load_dword v139, off, s[0:3], 0 offset:832
	s_waitcnt vmcnt(58) lgkmcnt(0)
	v_mul_f64 v[143:144], v[2:3], v[147:148]
	v_mul_f64 v[147:148], v[4:5], v[147:148]
	s_waitcnt vmcnt(56)
	v_fma_f64 v[145:146], v[123:124], v[151:152], -v[145:146]
	ds_read_b128 v[119:122], v1 offset:1504
	v_add_f64 v[131:132], v[131:132], v[137:138]
	v_fma_f64 v[137:138], v[125:126], v[151:152], v[202:203]
	v_add_f64 v[6:7], v[6:7], v[135:136]
	s_clause 0x4
	buffer_load_dword v136, off, s[0:3], 0 offset:876
	buffer_load_dword v151, off, s[0:3], 0 offset:888
	;; [unrolled: 1-line block ×5, first 2 shown]
	ds_read_b128 v[123:126], v1 offset:1520
	s_waitcnt vmcnt(57) lgkmcnt(1)
	v_mul_f64 v[197:198], v[119:120], v[153:154]
	v_mul_f64 v[153:154], v[121:122], v[153:154]
	s_waitcnt vmcnt(56)
	v_fma_f64 v[147:148], v[2:3], v[149:150], -v[147:148]
	v_fma_f64 v[143:144], v[4:5], v[149:150], v[143:144]
	v_add_f64 v[131:132], v[131:132], v[145:146]
	v_add_f64 v[6:7], v[6:7], v[137:138]
	s_clause 0x2
	buffer_load_dword v152, off, s[0:3], 0 offset:892
	buffer_load_dword v138, off, s[0:3], 0 offset:868
	;; [unrolled: 1-line block ×3, first 2 shown]
	s_waitcnt vmcnt(58) lgkmcnt(0)
	v_mul_f64 v[149:150], v[125:126], v[155:156]
	ds_read_b128 v[2:5], v1 offset:1536
	s_waitcnt vmcnt(56)
	v_fma_f64 v[153:154], v[119:120], v[159:160], -v[153:154]
	v_mul_f64 v[145:146], v[123:124], v[155:156]
	v_add_f64 v[131:132], v[131:132], v[147:148]
	v_fma_f64 v[147:148], v[121:122], v[159:160], v[197:198]
	v_add_f64 v[6:7], v[6:7], v[143:144]
	buffer_load_dword v197, off, s[0:3], 0 offset:884
	ds_read_b128 v[119:122], v1 offset:1552
	s_waitcnt vmcnt(53) lgkmcnt(1)
	v_mul_f64 v[155:156], v[4:5], v[161:162]
	s_waitcnt vmcnt(52)
	v_fma_f64 v[149:150], v[123:124], v[157:158], -v[149:150]
	v_mul_f64 v[143:144], v[2:3], v[161:162]
	v_fma_f64 v[145:146], v[125:126], v[157:158], v[145:146]
	ds_read_b128 v[123:126], v1 offset:1568
	v_add_f64 v[131:132], v[131:132], v[153:154]
	v_add_f64 v[6:7], v[6:7], v[147:148]
	s_waitcnt vmcnt(51) lgkmcnt(1)
	v_mul_f64 v[153:154], v[121:122], v[163:164]
	v_mul_f64 v[147:148], v[119:120], v[163:164]
	s_waitcnt vmcnt(49)
	v_fma_f64 v[155:156], v[2:3], v[167:168], -v[155:156]
	v_fma_f64 v[143:144], v[4:5], v[167:168], v[143:144]
	s_waitcnt vmcnt(45) lgkmcnt(0)
	v_mul_f64 v[159:160], v[125:126], v[169:170]
	v_mul_f64 v[157:158], v[123:124], v[169:170]
	v_add_f64 v[131:132], v[131:132], v[149:150]
	v_add_f64 v[6:7], v[6:7], v[145:146]
	s_clause 0x3
	buffer_load_dword v145, off, s[0:3], 0 offset:512
	buffer_load_dword v146, off, s[0:3], 0 offset:516
	;; [unrolled: 1-line block ×4, first 2 shown]
	s_waitcnt vmcnt(48)
	v_fma_f64 v[153:154], v[119:120], v[165:166], -v[153:154]
	ds_read_b128 v[2:5], v1 offset:1584
	v_fma_f64 v[147:148], v[121:122], v[165:166], v[147:148]
	ds_read_b128 v[119:122], v1 offset:1600
	s_waitcnt vmcnt(45)
	v_fma_f64 v[159:160], v[123:124], v[175:176], -v[159:160]
	v_add_f64 v[131:132], v[131:132], v[155:156]
	v_add_f64 v[6:7], v[6:7], v[143:144]
	s_waitcnt lgkmcnt(1)
	v_mul_f64 v[155:156], v[4:5], v[171:172]
	v_mul_f64 v[143:144], v[2:3], v[171:172]
	v_add_f64 v[131:132], v[131:132], v[153:154]
	v_fma_f64 v[153:154], v[125:126], v[175:176], v[157:158]
	v_add_f64 v[6:7], v[6:7], v[147:148]
	s_waitcnt vmcnt(41) lgkmcnt(0)
	v_mul_f64 v[157:158], v[121:122], v[177:178]
	s_waitcnt vmcnt(40)
	v_fma_f64 v[155:156], v[2:3], v[173:174], -v[155:156]
	ds_read_b128 v[123:126], v1 offset:1616
	v_mul_f64 v[147:148], v[119:120], v[177:178]
	v_fma_f64 v[143:144], v[4:5], v[173:174], v[143:144]
	ds_read_b128 v[2:5], v1 offset:1632
	v_add_f64 v[131:132], v[131:132], v[159:160]
	v_add_f64 v[6:7], v[6:7], v[153:154]
	s_waitcnt vmcnt(39) lgkmcnt(1)
	v_mul_f64 v[159:160], v[125:126], v[180:181]
	s_waitcnt vmcnt(37)
	v_fma_f64 v[157:158], v[119:120], v[184:185], -v[157:158]
	v_mul_f64 v[153:154], v[123:124], v[180:181]
	v_fma_f64 v[147:148], v[121:122], v[184:185], v[147:148]
	ds_read_b128 v[119:122], v1 offset:1648
	v_add_f64 v[131:132], v[131:132], v[155:156]
	s_waitcnt vmcnt(33) lgkmcnt(1)
	v_mul_f64 v[155:156], v[4:5], v[188:189]
	v_add_f64 v[6:7], v[6:7], v[143:144]
	s_waitcnt vmcnt(32)
	v_fma_f64 v[159:160], v[123:124], v[182:183], -v[159:160]
	v_mul_f64 v[143:144], v[2:3], v[188:189]
	v_fma_f64 v[153:154], v[125:126], v[182:183], v[153:154]
	ds_read_b128 v[123:126], v1 offset:1664
	v_add_f64 v[131:132], v[131:132], v[157:158]
	v_add_f64 v[6:7], v[6:7], v[147:148]
	s_waitcnt vmcnt(31) lgkmcnt(1)
	v_mul_f64 v[157:158], v[121:122], v[190:191]
	v_mul_f64 v[147:148], v[119:120], v[190:191]
	s_waitcnt vmcnt(29)
	v_fma_f64 v[155:156], v[2:3], v[129:130], -v[155:156]
	v_fma_f64 v[129:130], v[4:5], v[129:130], v[143:144]
	ds_read_b128 v[2:5], v1 offset:1680
	s_waitcnt vmcnt(25) lgkmcnt(1)
	v_mul_f64 v[143:144], v[123:124], v[133:134]
	v_mul_f64 v[133:134], v[125:126], v[133:134]
	v_add_f64 v[131:132], v[131:132], v[159:160]
	v_add_f64 v[6:7], v[6:7], v[153:154]
	s_waitcnt vmcnt(24)
	v_fma_f64 v[153:154], v[119:120], v[192:193], -v[157:158]
	v_fma_f64 v[147:148], v[121:122], v[192:193], v[147:148]
	ds_read_b128 v[119:122], v1 offset:1696
	v_add_f64 v[131:132], v[131:132], v[155:156]
	v_add_f64 v[6:7], v[6:7], v[129:130]
	s_waitcnt vmcnt(23) lgkmcnt(1)
	v_mul_f64 v[155:156], v[4:5], v[194:195]
	v_mul_f64 v[129:130], v[2:3], v[194:195]
	s_waitcnt vmcnt(21)
	v_fma_f64 v[133:134], v[123:124], v[127:128], -v[133:134]
	v_fma_f64 v[127:128], v[125:126], v[127:128], v[143:144]
	ds_read_b128 v[123:126], v1 offset:1712
	v_add_f64 v[131:132], v[131:132], v[153:154]
	v_add_f64 v[6:7], v[6:7], v[147:148]
	s_waitcnt vmcnt(17) lgkmcnt(1)
	v_mul_f64 v[143:144], v[119:120], v[141:142]
	v_mul_f64 v[141:142], v[121:122], v[141:142]
	;; [unrolled: 9-line block ×4, first 2 shown]
	s_waitcnt vmcnt(8)
	v_fma_f64 v[123:124], v[123:124], v[201:202], -v[133:134]
	v_fma_f64 v[125:126], v[125:126], v[201:202], v[127:128]
	v_add_f64 v[131:132], v[131:132], v[141:142]
	v_add_f64 v[6:7], v[6:7], v[139:140]
	s_waitcnt vmcnt(7) lgkmcnt(0)
	v_mul_f64 v[133:134], v[121:122], v[151:152]
	v_mul_f64 v[127:128], v[119:120], v[151:152]
	s_waitcnt vmcnt(5)
	v_fma_f64 v[2:3], v[2:3], v[137:138], -v[135:136]
	v_fma_f64 v[4:5], v[4:5], v[137:138], v[129:130]
	v_add_f64 v[123:124], v[131:132], v[123:124]
	v_add_f64 v[6:7], v[6:7], v[125:126]
	s_waitcnt vmcnt(4)
	v_fma_f64 v[119:120], v[119:120], v[196:197], -v[133:134]
	v_fma_f64 v[121:122], v[121:122], v[196:197], v[127:128]
	v_add_f64 v[2:3], v[123:124], v[2:3]
	v_add_f64 v[4:5], v[6:7], v[4:5]
	;; [unrolled: 1-line block ×4, first 2 shown]
	s_waitcnt vmcnt(2)
	v_add_f64 v[2:3], v[145:146], -v[2:3]
	s_waitcnt vmcnt(0)
	v_add_f64 v[4:5], v[149:150], -v[4:5]
	buffer_store_dword v3, off, s[0:3], 0 offset:516
	buffer_store_dword v2, off, s[0:3], 0 offset:512
	;; [unrolled: 1-line block ×4, first 2 shown]
	v_cmpx_lt_u32_e32 30, v0
	s_cbranch_execz .LBB118_283
; %bb.282:
	v_mov_b32_e32 v5, s37
	s_clause 0x3
	buffer_load_dword v2, v5, s[0:3], 0 offen
	buffer_load_dword v3, v5, s[0:3], 0 offen offset:4
	buffer_load_dword v4, v5, s[0:3], 0 offen offset:8
	;; [unrolled: 1-line block ×3, first 2 shown]
	buffer_store_dword v1, off, s[0:3], 0 offset:496
	buffer_store_dword v1, off, s[0:3], 0 offset:500
	;; [unrolled: 1-line block ×4, first 2 shown]
	s_waitcnt vmcnt(0)
	ds_write_b128 v179, v[2:5]
.LBB118_283:
	s_or_b32 exec_lo, exec_lo, s4
	s_waitcnt lgkmcnt(0)
	s_waitcnt_vscnt null, 0x0
	s_barrier
	buffer_gl0_inv
	s_clause 0x37
	buffer_load_dword v6, off, s[0:3], 0 offset:520
	buffer_load_dword v7, off, s[0:3], 0 offset:524
	;; [unrolled: 1-line block ×56, first 2 shown]
	ds_read_b128 v[2:5], v1 offset:1376
	s_clause 0x2
	buffer_load_dword v181, off, s[0:3], 0 offset:748
	buffer_load_dword v185, off, s[0:3], 0 offset:724
	;; [unrolled: 1-line block ×3, first 2 shown]
	ds_read_b128 v[119:122], v1 offset:1392
	s_clause 0x4
	buffer_load_dword v189, off, s[0:3], 0 offset:764
	buffer_load_dword v190, off, s[0:3], 0 offset:776
	;; [unrolled: 1-line block ×5, first 2 shown]
	ds_read_b128 v[123:126], v1 offset:1408
	s_mov_b32 s4, exec_lo
	s_waitcnt vmcnt(62) lgkmcnt(2)
	v_mul_f64 v[186:187], v[4:5], v[6:7]
	v_mul_f64 v[6:7], v[2:3], v[6:7]
	s_waitcnt vmcnt(60) lgkmcnt(1)
	v_mul_f64 v[193:194], v[121:122], v[127:128]
	v_mul_f64 v[127:128], v[119:120], v[127:128]
	;; [unrolled: 3-line block ×3, first 2 shown]
	v_fma_f64 v[186:187], v[2:3], v[129:130], -v[186:187]
	v_fma_f64 v[6:7], v[4:5], v[129:130], v[6:7]
	s_clause 0x2
	buffer_load_dword v191, off, s[0:3], 0 offset:780
	buffer_load_dword v130, off, s[0:3], 0 offset:756
	;; [unrolled: 1-line block ×3, first 2 shown]
	s_waitcnt vmcnt(57)
	v_fma_f64 v[197:198], v[119:120], v[133:134], -v[193:194]
	ds_read_b128 v[2:5], v1 offset:1424
	v_fma_f64 v[127:128], v[121:122], v[133:134], v[127:128]
	s_clause 0x4
	buffer_load_dword v134, off, s[0:3], 0 offset:796
	buffer_load_dword v194, off, s[0:3], 0 offset:808
	;; [unrolled: 1-line block ×5, first 2 shown]
	s_waitcnt vmcnt(56)
	v_fma_f64 v[131:132], v[123:124], v[141:142], -v[131:132]
	ds_read_b128 v[119:122], v1 offset:1440
	v_fma_f64 v[141:142], v[125:126], v[141:142], v[195:196]
	v_add_f64 v[186:187], v[186:187], 0
	v_add_f64 v[6:7], v[6:7], 0
	s_waitcnt lgkmcnt(1)
	v_mul_f64 v[200:201], v[2:3], v[135:136]
	v_mul_f64 v[135:136], v[4:5], v[135:136]
	v_add_f64 v[186:187], v[186:187], v[197:198]
	v_add_f64 v[6:7], v[6:7], v[127:128]
	s_clause 0x2
	buffer_load_dword v195, off, s[0:3], 0 offset:812
	buffer_load_dword v128, off, s[0:3], 0 offset:788
	;; [unrolled: 1-line block ×3, first 2 shown]
	s_waitcnt vmcnt(58) lgkmcnt(0)
	v_mul_f64 v[196:197], v[119:120], v[137:138]
	v_mul_f64 v[137:138], v[121:122], v[137:138]
	s_waitcnt vmcnt(56)
	v_fma_f64 v[135:136], v[2:3], v[143:144], -v[135:136]
	ds_read_b128 v[123:126], v1 offset:1456
	v_fma_f64 v[143:144], v[4:5], v[143:144], v[200:201]
	v_add_f64 v[131:132], v[186:187], v[131:132]
	v_add_f64 v[6:7], v[6:7], v[141:142]
	s_clause 0x4
	buffer_load_dword v142, off, s[0:3], 0 offset:828
	buffer_load_dword v186, off, s[0:3], 0 offset:840
	buffer_load_dword v201, off, s[0:3], 0 offset:832
	buffer_load_dword v141, off, s[0:3], 0 offset:824
	buffer_load_dword v200, off, s[0:3], 0 offset:804
	ds_read_b128 v[2:5], v1 offset:1472
	s_waitcnt vmcnt(57) lgkmcnt(1)
	v_mul_f64 v[202:203], v[123:124], v[145:146]
	v_mul_f64 v[145:146], v[125:126], v[145:146]
	s_waitcnt vmcnt(56)
	v_fma_f64 v[137:138], v[119:120], v[139:140], -v[137:138]
	v_add_f64 v[131:132], v[131:132], v[135:136]
	v_fma_f64 v[135:136], v[121:122], v[139:140], v[196:197]
	v_add_f64 v[6:7], v[6:7], v[143:144]
	s_clause 0x2
	buffer_load_dword v187, off, s[0:3], 0 offset:844
	buffer_load_dword v140, off, s[0:3], 0 offset:820
	;; [unrolled: 1-line block ×3, first 2 shown]
	s_waitcnt vmcnt(58) lgkmcnt(0)
	v_mul_f64 v[143:144], v[2:3], v[147:148]
	v_mul_f64 v[147:148], v[4:5], v[147:148]
	s_waitcnt vmcnt(56)
	v_fma_f64 v[145:146], v[123:124], v[151:152], -v[145:146]
	ds_read_b128 v[119:122], v1 offset:1488
	v_add_f64 v[131:132], v[131:132], v[137:138]
	v_fma_f64 v[137:138], v[125:126], v[151:152], v[202:203]
	v_add_f64 v[6:7], v[6:7], v[135:136]
	s_clause 0x4
	buffer_load_dword v136, off, s[0:3], 0 offset:860
	buffer_load_dword v151, off, s[0:3], 0 offset:872
	;; [unrolled: 1-line block ×5, first 2 shown]
	ds_read_b128 v[123:126], v1 offset:1504
	s_waitcnt vmcnt(57) lgkmcnt(1)
	v_mul_f64 v[197:198], v[119:120], v[153:154]
	v_mul_f64 v[153:154], v[121:122], v[153:154]
	s_waitcnt vmcnt(56)
	v_fma_f64 v[147:148], v[2:3], v[149:150], -v[147:148]
	v_fma_f64 v[143:144], v[4:5], v[149:150], v[143:144]
	v_add_f64 v[131:132], v[131:132], v[145:146]
	v_add_f64 v[6:7], v[6:7], v[137:138]
	s_clause 0x2
	buffer_load_dword v152, off, s[0:3], 0 offset:876
	buffer_load_dword v138, off, s[0:3], 0 offset:852
	;; [unrolled: 1-line block ×3, first 2 shown]
	s_waitcnt vmcnt(58) lgkmcnt(0)
	v_mul_f64 v[149:150], v[125:126], v[155:156]
	ds_read_b128 v[2:5], v1 offset:1520
	s_waitcnt vmcnt(56)
	v_fma_f64 v[153:154], v[119:120], v[159:160], -v[153:154]
	v_mul_f64 v[145:146], v[123:124], v[155:156]
	v_add_f64 v[131:132], v[131:132], v[147:148]
	v_fma_f64 v[147:148], v[121:122], v[159:160], v[197:198]
	v_add_f64 v[6:7], v[6:7], v[143:144]
	s_clause 0x2
	buffer_load_dword v144, off, s[0:3], 0 offset:892
	buffer_load_dword v143, off, s[0:3], 0 offset:888
	;; [unrolled: 1-line block ×3, first 2 shown]
	s_waitcnt vmcnt(55) lgkmcnt(0)
	v_mul_f64 v[159:160], v[4:5], v[161:162]
	s_waitcnt vmcnt(54)
	v_fma_f64 v[149:150], v[123:124], v[157:158], -v[149:150]
	ds_read_b128 v[119:122], v1 offset:1536
	v_mul_f64 v[155:156], v[2:3], v[161:162]
	v_fma_f64 v[145:146], v[125:126], v[157:158], v[145:146]
	v_add_f64 v[131:132], v[131:132], v[153:154]
	v_add_f64 v[6:7], v[6:7], v[147:148]
	s_clause 0x1
	buffer_load_dword v148, off, s[0:3], 0 offset:884
	buffer_load_dword v147, off, s[0:3], 0 offset:880
	s_waitcnt vmcnt(55) lgkmcnt(0)
	v_mul_f64 v[157:158], v[121:122], v[163:164]
	s_waitcnt vmcnt(53)
	v_fma_f64 v[159:160], v[2:3], v[167:168], -v[159:160]
	ds_read_b128 v[123:126], v1 offset:1552
	v_mul_f64 v[153:154], v[119:120], v[163:164]
	v_add_f64 v[131:132], v[131:132], v[149:150]
	v_fma_f64 v[149:150], v[4:5], v[167:168], v[155:156]
	v_add_f64 v[6:7], v[6:7], v[145:146]
	ds_read_b128 v[2:5], v1 offset:1568
	s_waitcnt vmcnt(49) lgkmcnt(1)
	v_mul_f64 v[155:156], v[125:126], v[169:170]
	s_waitcnt vmcnt(48)
	v_fma_f64 v[157:158], v[119:120], v[165:166], -v[157:158]
	v_mul_f64 v[145:146], v[123:124], v[169:170]
	v_fma_f64 v[153:154], v[121:122], v[165:166], v[153:154]
	v_add_f64 v[131:132], v[131:132], v[159:160]
	s_waitcnt vmcnt(47) lgkmcnt(0)
	v_mul_f64 v[163:164], v[4:5], v[171:172]
	v_add_f64 v[6:7], v[6:7], v[149:150]
	s_clause 0x3
	buffer_load_dword v149, off, s[0:3], 0 offset:496
	buffer_load_dword v150, off, s[0:3], 0 offset:500
	;; [unrolled: 1-line block ×4, first 2 shown]
	s_waitcnt vmcnt(49)
	v_fma_f64 v[155:156], v[123:124], v[175:176], -v[155:156]
	ds_read_b128 v[119:122], v1 offset:1584
	v_mul_f64 v[161:162], v[2:3], v[171:172]
	v_fma_f64 v[145:146], v[125:126], v[175:176], v[145:146]
	ds_read_b128 v[123:126], v1 offset:1600
	v_add_f64 v[131:132], v[131:132], v[157:158]
	s_waitcnt vmcnt(44)
	v_fma_f64 v[163:164], v[2:3], v[173:174], -v[163:164]
	v_add_f64 v[6:7], v[6:7], v[153:154]
	s_waitcnt lgkmcnt(1)
	v_mul_f64 v[157:158], v[121:122], v[177:178]
	v_mul_f64 v[153:154], v[119:120], v[177:178]
	v_add_f64 v[131:132], v[131:132], v[155:156]
	v_fma_f64 v[155:156], v[4:5], v[173:174], v[161:162]
	v_add_f64 v[6:7], v[6:7], v[145:146]
	s_waitcnt vmcnt(43) lgkmcnt(0)
	v_mul_f64 v[161:162], v[125:126], v[180:181]
	s_waitcnt vmcnt(41)
	v_fma_f64 v[157:158], v[119:120], v[184:185], -v[157:158]
	ds_read_b128 v[2:5], v1 offset:1616
	v_mul_f64 v[145:146], v[123:124], v[180:181]
	v_fma_f64 v[153:154], v[121:122], v[184:185], v[153:154]
	ds_read_b128 v[119:122], v1 offset:1632
	v_add_f64 v[131:132], v[131:132], v[163:164]
	v_add_f64 v[6:7], v[6:7], v[155:156]
	s_waitcnt vmcnt(37) lgkmcnt(1)
	v_mul_f64 v[163:164], v[4:5], v[188:189]
	s_waitcnt vmcnt(36)
	v_fma_f64 v[161:162], v[123:124], v[182:183], -v[161:162]
	v_mul_f64 v[155:156], v[2:3], v[188:189]
	v_fma_f64 v[145:146], v[125:126], v[182:183], v[145:146]
	ds_read_b128 v[123:126], v1 offset:1648
	v_add_f64 v[131:132], v[131:132], v[157:158]
	v_add_f64 v[6:7], v[6:7], v[153:154]
	s_waitcnt vmcnt(35) lgkmcnt(1)
	v_mul_f64 v[157:158], v[121:122], v[190:191]
	v_mul_f64 v[153:154], v[119:120], v[190:191]
	s_waitcnt vmcnt(33)
	v_fma_f64 v[163:164], v[2:3], v[129:130], -v[163:164]
	v_fma_f64 v[129:130], v[4:5], v[129:130], v[155:156]
	ds_read_b128 v[2:5], v1 offset:1664
	v_add_f64 v[131:132], v[131:132], v[161:162]
	v_add_f64 v[6:7], v[6:7], v[145:146]
	s_waitcnt vmcnt(29) lgkmcnt(1)
	v_mul_f64 v[145:146], v[123:124], v[133:134]
	v_mul_f64 v[133:134], v[125:126], v[133:134]
	s_waitcnt vmcnt(28)
	v_fma_f64 v[155:156], v[119:120], v[192:193], -v[157:158]
	v_fma_f64 v[153:154], v[121:122], v[192:193], v[153:154]
	ds_read_b128 v[119:122], v1 offset:1680
	v_add_f64 v[131:132], v[131:132], v[163:164]
	v_add_f64 v[6:7], v[6:7], v[129:130]
	s_waitcnt vmcnt(27) lgkmcnt(1)
	v_mul_f64 v[157:158], v[4:5], v[194:195]
	v_mul_f64 v[129:130], v[2:3], v[194:195]
	s_waitcnt vmcnt(25)
	v_fma_f64 v[133:134], v[123:124], v[127:128], -v[133:134]
	v_fma_f64 v[127:128], v[125:126], v[127:128], v[145:146]
	ds_read_b128 v[123:126], v1 offset:1696
	v_add_f64 v[131:132], v[131:132], v[155:156]
	v_add_f64 v[6:7], v[6:7], v[153:154]
	s_waitcnt vmcnt(21) lgkmcnt(1)
	v_mul_f64 v[145:146], v[119:120], v[141:142]
	v_mul_f64 v[141:142], v[121:122], v[141:142]
	s_waitcnt vmcnt(20)
	v_fma_f64 v[153:154], v[2:3], v[199:200], -v[157:158]
	v_fma_f64 v[129:130], v[4:5], v[199:200], v[129:130]
	ds_read_b128 v[2:5], v1 offset:1712
	v_add_f64 v[131:132], v[131:132], v[133:134]
	v_add_f64 v[6:7], v[6:7], v[127:128]
	s_waitcnt vmcnt(19) lgkmcnt(1)
	v_mul_f64 v[133:134], v[125:126], v[186:187]
	v_mul_f64 v[127:128], v[123:124], v[186:187]
	s_waitcnt vmcnt(17)
	v_fma_f64 v[141:142], v[119:120], v[139:140], -v[141:142]
	v_fma_f64 v[139:140], v[121:122], v[139:140], v[145:146]
	ds_read_b128 v[119:122], v1 offset:1728
	v_add_f64 v[131:132], v[131:132], v[153:154]
	v_add_f64 v[6:7], v[6:7], v[129:130]
	s_waitcnt vmcnt(13) lgkmcnt(1)
	v_mul_f64 v[129:130], v[2:3], v[135:136]
	v_mul_f64 v[135:136], v[4:5], v[135:136]
	s_waitcnt vmcnt(12)
	v_fma_f64 v[133:134], v[123:124], v[201:202], -v[133:134]
	v_fma_f64 v[127:128], v[125:126], v[201:202], v[127:128]
	ds_read_b128 v[123:126], v1 offset:1744
	v_add_f64 v[131:132], v[131:132], v[141:142]
	v_add_f64 v[6:7], v[6:7], v[139:140]
	s_waitcnt vmcnt(11) lgkmcnt(1)
	v_mul_f64 v[141:142], v[121:122], v[151:152]
	v_mul_f64 v[139:140], v[119:120], v[151:152]
	s_waitcnt vmcnt(9)
	v_fma_f64 v[1:2], v[2:3], v[137:138], -v[135:136]
	v_fma_f64 v[3:4], v[4:5], v[137:138], v[129:130]
	v_add_f64 v[131:132], v[131:132], v[133:134]
	v_add_f64 v[5:6], v[6:7], v[127:128]
	s_waitcnt vmcnt(7) lgkmcnt(0)
	v_mul_f64 v[127:128], v[125:126], v[143:144]
	s_waitcnt vmcnt(6)
	v_fma_f64 v[119:120], v[119:120], v[196:197], -v[141:142]
	v_mul_f64 v[7:8], v[123:124], v[143:144]
	v_fma_f64 v[121:122], v[121:122], v[196:197], v[139:140]
	v_add_f64 v[1:2], v[131:132], v[1:2]
	v_add_f64 v[3:4], v[5:6], v[3:4]
	s_waitcnt vmcnt(4)
	v_fma_f64 v[5:6], v[123:124], v[147:148], -v[127:128]
	v_fma_f64 v[7:8], v[125:126], v[147:148], v[7:8]
	v_add_f64 v[1:2], v[1:2], v[119:120]
	v_add_f64 v[3:4], v[3:4], v[121:122]
	;; [unrolled: 1-line block ×4, first 2 shown]
	s_waitcnt vmcnt(2)
	v_add_f64 v[1:2], v[149:150], -v[1:2]
	s_waitcnt vmcnt(0)
	v_add_f64 v[3:4], v[159:160], -v[3:4]
	buffer_store_dword v2, off, s[0:3], 0 offset:500
	buffer_store_dword v1, off, s[0:3], 0 offset:496
	;; [unrolled: 1-line block ×4, first 2 shown]
	v_cmpx_lt_u32_e32 29, v0
	s_cbranch_execz .LBB118_285
; %bb.284:
	v_mov_b32_e32 v4, s38
	v_mov_b32_e32 v5, 0
	s_clause 0x3
	buffer_load_dword v1, v4, s[0:3], 0 offen
	buffer_load_dword v2, v4, s[0:3], 0 offen offset:4
	buffer_load_dword v3, v4, s[0:3], 0 offen offset:8
	;; [unrolled: 1-line block ×3, first 2 shown]
	buffer_store_dword v5, off, s[0:3], 0 offset:480
	buffer_store_dword v5, off, s[0:3], 0 offset:484
	;; [unrolled: 1-line block ×4, first 2 shown]
	s_waitcnt vmcnt(0)
	ds_write_b128 v179, v[1:4]
.LBB118_285:
	s_or_b32 exec_lo, exec_lo, s4
	s_waitcnt lgkmcnt(0)
	s_waitcnt_vscnt null, 0x0
	s_barrier
	buffer_gl0_inv
	s_clause 0x37
	buffer_load_dword v6, off, s[0:3], 0 offset:504
	buffer_load_dword v7, off, s[0:3], 0 offset:508
	;; [unrolled: 1-line block ×56, first 2 shown]
	v_mov_b32_e32 v1, 0
	s_mov_b32 s4, exec_lo
	ds_read_b128 v[2:5], v1 offset:1360
	s_clause 0x2
	buffer_load_dword v181, off, s[0:3], 0 offset:732
	buffer_load_dword v185, off, s[0:3], 0 offset:708
	;; [unrolled: 1-line block ×3, first 2 shown]
	ds_read_b128 v[119:122], v1 offset:1376
	s_clause 0x4
	buffer_load_dword v189, off, s[0:3], 0 offset:748
	buffer_load_dword v190, off, s[0:3], 0 offset:760
	;; [unrolled: 1-line block ×5, first 2 shown]
	ds_read_b128 v[123:126], v1 offset:1392
	s_waitcnt vmcnt(62) lgkmcnt(2)
	v_mul_f64 v[186:187], v[4:5], v[6:7]
	v_mul_f64 v[6:7], v[2:3], v[6:7]
	s_waitcnt vmcnt(60) lgkmcnt(1)
	v_mul_f64 v[193:194], v[121:122], v[127:128]
	v_mul_f64 v[127:128], v[119:120], v[127:128]
	;; [unrolled: 3-line block ×3, first 2 shown]
	v_fma_f64 v[186:187], v[2:3], v[129:130], -v[186:187]
	v_fma_f64 v[6:7], v[4:5], v[129:130], v[6:7]
	s_clause 0x2
	buffer_load_dword v191, off, s[0:3], 0 offset:764
	buffer_load_dword v130, off, s[0:3], 0 offset:740
	;; [unrolled: 1-line block ×3, first 2 shown]
	s_waitcnt vmcnt(57)
	v_fma_f64 v[197:198], v[119:120], v[133:134], -v[193:194]
	ds_read_b128 v[2:5], v1 offset:1408
	v_fma_f64 v[127:128], v[121:122], v[133:134], v[127:128]
	s_clause 0x4
	buffer_load_dword v134, off, s[0:3], 0 offset:780
	buffer_load_dword v194, off, s[0:3], 0 offset:792
	;; [unrolled: 1-line block ×5, first 2 shown]
	s_waitcnt vmcnt(56)
	v_fma_f64 v[131:132], v[123:124], v[141:142], -v[131:132]
	ds_read_b128 v[119:122], v1 offset:1424
	v_fma_f64 v[141:142], v[125:126], v[141:142], v[195:196]
	v_add_f64 v[186:187], v[186:187], 0
	v_add_f64 v[6:7], v[6:7], 0
	s_waitcnt lgkmcnt(1)
	v_mul_f64 v[200:201], v[2:3], v[135:136]
	v_mul_f64 v[135:136], v[4:5], v[135:136]
	v_add_f64 v[186:187], v[186:187], v[197:198]
	v_add_f64 v[6:7], v[6:7], v[127:128]
	s_clause 0x2
	buffer_load_dword v195, off, s[0:3], 0 offset:796
	buffer_load_dword v128, off, s[0:3], 0 offset:772
	;; [unrolled: 1-line block ×3, first 2 shown]
	s_waitcnt vmcnt(58) lgkmcnt(0)
	v_mul_f64 v[196:197], v[119:120], v[137:138]
	v_mul_f64 v[137:138], v[121:122], v[137:138]
	s_waitcnt vmcnt(56)
	v_fma_f64 v[135:136], v[2:3], v[143:144], -v[135:136]
	ds_read_b128 v[123:126], v1 offset:1440
	v_fma_f64 v[143:144], v[4:5], v[143:144], v[200:201]
	v_add_f64 v[131:132], v[186:187], v[131:132]
	v_add_f64 v[6:7], v[6:7], v[141:142]
	s_clause 0x4
	buffer_load_dword v142, off, s[0:3], 0 offset:812
	buffer_load_dword v186, off, s[0:3], 0 offset:824
	;; [unrolled: 1-line block ×5, first 2 shown]
	ds_read_b128 v[2:5], v1 offset:1456
	s_waitcnt vmcnt(57) lgkmcnt(1)
	v_mul_f64 v[202:203], v[123:124], v[145:146]
	v_mul_f64 v[145:146], v[125:126], v[145:146]
	s_waitcnt vmcnt(56)
	v_fma_f64 v[137:138], v[119:120], v[139:140], -v[137:138]
	v_add_f64 v[131:132], v[131:132], v[135:136]
	v_fma_f64 v[135:136], v[121:122], v[139:140], v[196:197]
	v_add_f64 v[6:7], v[6:7], v[143:144]
	s_clause 0x2
	buffer_load_dword v187, off, s[0:3], 0 offset:828
	buffer_load_dword v140, off, s[0:3], 0 offset:804
	;; [unrolled: 1-line block ×3, first 2 shown]
	s_waitcnt vmcnt(58) lgkmcnt(0)
	v_mul_f64 v[143:144], v[2:3], v[147:148]
	v_mul_f64 v[147:148], v[4:5], v[147:148]
	s_waitcnt vmcnt(56)
	v_fma_f64 v[145:146], v[123:124], v[151:152], -v[145:146]
	ds_read_b128 v[119:122], v1 offset:1472
	v_add_f64 v[131:132], v[131:132], v[137:138]
	v_fma_f64 v[137:138], v[125:126], v[151:152], v[202:203]
	v_add_f64 v[6:7], v[6:7], v[135:136]
	s_clause 0x4
	buffer_load_dword v136, off, s[0:3], 0 offset:844
	buffer_load_dword v151, off, s[0:3], 0 offset:856
	;; [unrolled: 1-line block ×5, first 2 shown]
	ds_read_b128 v[123:126], v1 offset:1488
	s_waitcnt vmcnt(57) lgkmcnt(1)
	v_mul_f64 v[197:198], v[119:120], v[153:154]
	v_mul_f64 v[153:154], v[121:122], v[153:154]
	s_waitcnt vmcnt(56)
	v_fma_f64 v[147:148], v[2:3], v[149:150], -v[147:148]
	v_fma_f64 v[143:144], v[4:5], v[149:150], v[143:144]
	v_add_f64 v[131:132], v[131:132], v[145:146]
	v_add_f64 v[6:7], v[6:7], v[137:138]
	s_clause 0x2
	buffer_load_dword v152, off, s[0:3], 0 offset:860
	buffer_load_dword v138, off, s[0:3], 0 offset:836
	;; [unrolled: 1-line block ×3, first 2 shown]
	s_waitcnt vmcnt(58) lgkmcnt(0)
	v_mul_f64 v[149:150], v[125:126], v[155:156]
	ds_read_b128 v[2:5], v1 offset:1504
	s_waitcnt vmcnt(56)
	v_fma_f64 v[153:154], v[119:120], v[159:160], -v[153:154]
	v_mul_f64 v[145:146], v[123:124], v[155:156]
	v_add_f64 v[131:132], v[131:132], v[147:148]
	v_fma_f64 v[147:148], v[121:122], v[159:160], v[197:198]
	v_add_f64 v[6:7], v[6:7], v[143:144]
	s_clause 0x4
	buffer_load_dword v144, off, s[0:3], 0 offset:876
	buffer_load_dword v155, off, s[0:3], 0 offset:888
	;; [unrolled: 1-line block ×5, first 2 shown]
	s_waitcnt vmcnt(57) lgkmcnt(0)
	v_mul_f64 v[203:204], v[2:3], v[161:162]
	v_mul_f64 v[160:161], v[4:5], v[161:162]
	s_waitcnt vmcnt(56)
	v_fma_f64 v[149:150], v[123:124], v[157:158], -v[149:150]
	ds_read_b128 v[119:122], v1 offset:1520
	v_fma_f64 v[145:146], v[125:126], v[157:158], v[145:146]
	v_add_f64 v[131:132], v[131:132], v[153:154]
	v_add_f64 v[6:7], v[6:7], v[147:148]
	s_clause 0x2
	buffer_load_dword v156, off, s[0:3], 0 offset:892
	buffer_load_dword v148, off, s[0:3], 0 offset:868
	;; [unrolled: 1-line block ×3, first 2 shown]
	ds_read_b128 v[123:126], v1 offset:1536
	s_waitcnt vmcnt(58) lgkmcnt(1)
	v_mul_f64 v[157:158], v[121:122], v[163:164]
	s_waitcnt vmcnt(56)
	v_fma_f64 v[161:162], v[2:3], v[167:168], -v[160:161]
	v_mul_f64 v[153:154], v[119:120], v[163:164]
	buffer_load_dword v160, off, s[0:3], 0 offset:884
	v_add_f64 v[131:132], v[131:132], v[149:150]
	v_fma_f64 v[149:150], v[4:5], v[167:168], v[203:204]
	v_add_f64 v[6:7], v[6:7], v[145:146]
	ds_read_b128 v[2:5], v1 offset:1552
	s_waitcnt vmcnt(53) lgkmcnt(1)
	v_mul_f64 v[163:164], v[125:126], v[169:170]
	s_waitcnt vmcnt(52)
	v_fma_f64 v[157:158], v[119:120], v[165:166], -v[157:158]
	v_mul_f64 v[145:146], v[123:124], v[169:170]
	v_fma_f64 v[153:154], v[121:122], v[165:166], v[153:154]
	ds_read_b128 v[119:122], v1 offset:1568
	v_add_f64 v[131:132], v[131:132], v[161:162]
	s_waitcnt vmcnt(51) lgkmcnt(1)
	v_mul_f64 v[161:162], v[4:5], v[171:172]
	v_add_f64 v[6:7], v[6:7], v[149:150]
	v_mul_f64 v[149:150], v[2:3], v[171:172]
	s_waitcnt vmcnt(49)
	v_fma_f64 v[163:164], v[123:124], v[175:176], -v[163:164]
	v_fma_f64 v[145:146], v[125:126], v[175:176], v[145:146]
	s_waitcnt vmcnt(45) lgkmcnt(0)
	v_mul_f64 v[167:168], v[121:122], v[177:178]
	v_mul_f64 v[165:166], v[119:120], v[177:178]
	v_add_f64 v[131:132], v[131:132], v[157:158]
	s_waitcnt vmcnt(44)
	v_fma_f64 v[161:162], v[2:3], v[173:174], -v[161:162]
	v_add_f64 v[6:7], v[6:7], v[153:154]
	s_clause 0x3
	buffer_load_dword v153, off, s[0:3], 0 offset:480
	buffer_load_dword v154, off, s[0:3], 0 offset:484
	;; [unrolled: 1-line block ×4, first 2 shown]
	ds_read_b128 v[123:126], v1 offset:1584
	v_fma_f64 v[149:150], v[4:5], v[173:174], v[149:150]
	ds_read_b128 v[2:5], v1 offset:1600
	s_waitcnt vmcnt(45)
	v_fma_f64 v[167:168], v[119:120], v[184:185], -v[167:168]
	v_add_f64 v[131:132], v[131:132], v[163:164]
	v_add_f64 v[6:7], v[6:7], v[145:146]
	s_waitcnt lgkmcnt(1)
	v_mul_f64 v[163:164], v[125:126], v[180:181]
	v_mul_f64 v[145:146], v[123:124], v[180:181]
	v_add_f64 v[131:132], v[131:132], v[161:162]
	v_fma_f64 v[161:162], v[121:122], v[184:185], v[165:166]
	v_add_f64 v[6:7], v[6:7], v[149:150]
	s_waitcnt vmcnt(41) lgkmcnt(0)
	v_mul_f64 v[165:166], v[4:5], v[188:189]
	s_waitcnt vmcnt(40)
	v_fma_f64 v[163:164], v[123:124], v[182:183], -v[163:164]
	ds_read_b128 v[119:122], v1 offset:1616
	v_mul_f64 v[149:150], v[2:3], v[188:189]
	v_fma_f64 v[145:146], v[125:126], v[182:183], v[145:146]
	ds_read_b128 v[123:126], v1 offset:1632
	v_add_f64 v[131:132], v[131:132], v[167:168]
	v_add_f64 v[6:7], v[6:7], v[161:162]
	s_waitcnt vmcnt(39) lgkmcnt(1)
	v_mul_f64 v[167:168], v[121:122], v[190:191]
	v_mul_f64 v[161:162], v[119:120], v[190:191]
	s_waitcnt vmcnt(37)
	v_fma_f64 v[165:166], v[2:3], v[129:130], -v[165:166]
	v_fma_f64 v[129:130], v[4:5], v[129:130], v[149:150]
	ds_read_b128 v[2:5], v1 offset:1648
	v_add_f64 v[131:132], v[131:132], v[163:164]
	v_add_f64 v[6:7], v[6:7], v[145:146]
	s_waitcnt vmcnt(33) lgkmcnt(1)
	v_mul_f64 v[145:146], v[123:124], v[133:134]
	v_mul_f64 v[133:134], v[125:126], v[133:134]
	s_waitcnt vmcnt(32)
	v_fma_f64 v[149:150], v[119:120], v[192:193], -v[167:168]
	;; [unrolled: 9-line block ×7, first 2 shown]
	v_fma_f64 v[129:130], v[4:5], v[137:138], v[129:130]
	ds_read_b128 v[2:5], v1 offset:1744
	v_add_f64 v[131:132], v[131:132], v[133:134]
	v_add_f64 v[6:7], v[6:7], v[127:128]
	s_waitcnt vmcnt(9) lgkmcnt(1)
	v_mul_f64 v[133:134], v[125:126], v[143:144]
	s_waitcnt vmcnt(8)
	v_fma_f64 v[119:120], v[119:120], v[196:197], -v[141:142]
	v_mul_f64 v[127:128], v[123:124], v[143:144]
	v_fma_f64 v[121:122], v[121:122], v[196:197], v[139:140]
	v_add_f64 v[131:132], v[131:132], v[135:136]
	v_add_f64 v[6:7], v[6:7], v[129:130]
	s_waitcnt vmcnt(7) lgkmcnt(0)
	v_mul_f64 v[135:136], v[4:5], v[155:156]
	v_mul_f64 v[129:130], v[2:3], v[155:156]
	s_waitcnt vmcnt(5)
	v_fma_f64 v[123:124], v[123:124], v[147:148], -v[133:134]
	v_fma_f64 v[125:126], v[125:126], v[147:148], v[127:128]
	v_add_f64 v[119:120], v[131:132], v[119:120]
	v_add_f64 v[6:7], v[6:7], v[121:122]
	s_waitcnt vmcnt(4)
	v_fma_f64 v[2:3], v[2:3], v[159:160], -v[135:136]
	v_fma_f64 v[4:5], v[4:5], v[159:160], v[129:130]
	v_add_f64 v[119:120], v[119:120], v[123:124]
	v_add_f64 v[6:7], v[6:7], v[125:126]
	;; [unrolled: 1-line block ×4, first 2 shown]
	s_waitcnt vmcnt(2)
	v_add_f64 v[2:3], v[153:154], -v[2:3]
	s_waitcnt vmcnt(0)
	v_add_f64 v[4:5], v[157:158], -v[4:5]
	buffer_store_dword v3, off, s[0:3], 0 offset:484
	buffer_store_dword v2, off, s[0:3], 0 offset:480
	;; [unrolled: 1-line block ×4, first 2 shown]
	v_cmpx_lt_u32_e32 28, v0
	s_cbranch_execz .LBB118_287
; %bb.286:
	v_mov_b32_e32 v5, s39
	s_clause 0x3
	buffer_load_dword v2, v5, s[0:3], 0 offen
	buffer_load_dword v3, v5, s[0:3], 0 offen offset:4
	buffer_load_dword v4, v5, s[0:3], 0 offen offset:8
	;; [unrolled: 1-line block ×3, first 2 shown]
	buffer_store_dword v1, off, s[0:3], 0 offset:464
	buffer_store_dword v1, off, s[0:3], 0 offset:468
	;; [unrolled: 1-line block ×4, first 2 shown]
	s_waitcnt vmcnt(0)
	ds_write_b128 v179, v[2:5]
.LBB118_287:
	s_or_b32 exec_lo, exec_lo, s4
	s_waitcnt lgkmcnt(0)
	s_waitcnt_vscnt null, 0x0
	s_barrier
	buffer_gl0_inv
	s_clause 0x37
	buffer_load_dword v6, off, s[0:3], 0 offset:488
	buffer_load_dword v7, off, s[0:3], 0 offset:492
	;; [unrolled: 1-line block ×56, first 2 shown]
	ds_read_b128 v[2:5], v1 offset:1344
	s_clause 0x2
	buffer_load_dword v181, off, s[0:3], 0 offset:716
	buffer_load_dword v185, off, s[0:3], 0 offset:692
	;; [unrolled: 1-line block ×3, first 2 shown]
	ds_read_b128 v[119:122], v1 offset:1360
	s_clause 0x4
	buffer_load_dword v189, off, s[0:3], 0 offset:732
	buffer_load_dword v190, off, s[0:3], 0 offset:744
	;; [unrolled: 1-line block ×5, first 2 shown]
	ds_read_b128 v[123:126], v1 offset:1376
	s_mov_b32 s4, exec_lo
	s_waitcnt vmcnt(62) lgkmcnt(2)
	v_mul_f64 v[186:187], v[4:5], v[6:7]
	v_mul_f64 v[6:7], v[2:3], v[6:7]
	s_waitcnt vmcnt(60) lgkmcnt(1)
	v_mul_f64 v[193:194], v[121:122], v[127:128]
	v_mul_f64 v[127:128], v[119:120], v[127:128]
	;; [unrolled: 3-line block ×3, first 2 shown]
	v_fma_f64 v[186:187], v[2:3], v[129:130], -v[186:187]
	v_fma_f64 v[6:7], v[4:5], v[129:130], v[6:7]
	s_clause 0x2
	buffer_load_dword v191, off, s[0:3], 0 offset:748
	buffer_load_dword v130, off, s[0:3], 0 offset:724
	;; [unrolled: 1-line block ×3, first 2 shown]
	s_waitcnt vmcnt(57)
	v_fma_f64 v[197:198], v[119:120], v[133:134], -v[193:194]
	ds_read_b128 v[2:5], v1 offset:1392
	v_fma_f64 v[127:128], v[121:122], v[133:134], v[127:128]
	s_clause 0x4
	buffer_load_dword v134, off, s[0:3], 0 offset:764
	buffer_load_dword v194, off, s[0:3], 0 offset:776
	buffer_load_dword v199, off, s[0:3], 0 offset:768
	buffer_load_dword v133, off, s[0:3], 0 offset:760
	buffer_load_dword v193, off, s[0:3], 0 offset:740
	s_waitcnt vmcnt(56)
	v_fma_f64 v[131:132], v[123:124], v[141:142], -v[131:132]
	ds_read_b128 v[119:122], v1 offset:1408
	v_fma_f64 v[141:142], v[125:126], v[141:142], v[195:196]
	v_add_f64 v[186:187], v[186:187], 0
	v_add_f64 v[6:7], v[6:7], 0
	s_waitcnt lgkmcnt(1)
	v_mul_f64 v[200:201], v[2:3], v[135:136]
	v_mul_f64 v[135:136], v[4:5], v[135:136]
	v_add_f64 v[186:187], v[186:187], v[197:198]
	v_add_f64 v[6:7], v[6:7], v[127:128]
	s_clause 0x2
	buffer_load_dword v195, off, s[0:3], 0 offset:780
	buffer_load_dword v128, off, s[0:3], 0 offset:756
	;; [unrolled: 1-line block ×3, first 2 shown]
	s_waitcnt vmcnt(58) lgkmcnt(0)
	v_mul_f64 v[196:197], v[119:120], v[137:138]
	v_mul_f64 v[137:138], v[121:122], v[137:138]
	s_waitcnt vmcnt(56)
	v_fma_f64 v[135:136], v[2:3], v[143:144], -v[135:136]
	ds_read_b128 v[123:126], v1 offset:1424
	v_fma_f64 v[143:144], v[4:5], v[143:144], v[200:201]
	v_add_f64 v[131:132], v[186:187], v[131:132]
	v_add_f64 v[6:7], v[6:7], v[141:142]
	s_clause 0x4
	buffer_load_dword v142, off, s[0:3], 0 offset:796
	buffer_load_dword v186, off, s[0:3], 0 offset:808
	;; [unrolled: 1-line block ×5, first 2 shown]
	ds_read_b128 v[2:5], v1 offset:1440
	s_waitcnt vmcnt(57) lgkmcnt(1)
	v_mul_f64 v[202:203], v[123:124], v[145:146]
	v_mul_f64 v[145:146], v[125:126], v[145:146]
	s_waitcnt vmcnt(56)
	v_fma_f64 v[137:138], v[119:120], v[139:140], -v[137:138]
	v_add_f64 v[131:132], v[131:132], v[135:136]
	v_fma_f64 v[135:136], v[121:122], v[139:140], v[196:197]
	v_add_f64 v[6:7], v[6:7], v[143:144]
	s_clause 0x2
	buffer_load_dword v187, off, s[0:3], 0 offset:812
	buffer_load_dword v140, off, s[0:3], 0 offset:788
	;; [unrolled: 1-line block ×3, first 2 shown]
	s_waitcnt vmcnt(58) lgkmcnt(0)
	v_mul_f64 v[143:144], v[2:3], v[147:148]
	v_mul_f64 v[147:148], v[4:5], v[147:148]
	s_waitcnt vmcnt(56)
	v_fma_f64 v[145:146], v[123:124], v[151:152], -v[145:146]
	ds_read_b128 v[119:122], v1 offset:1456
	v_add_f64 v[131:132], v[131:132], v[137:138]
	v_fma_f64 v[137:138], v[125:126], v[151:152], v[202:203]
	v_add_f64 v[6:7], v[6:7], v[135:136]
	s_clause 0x4
	buffer_load_dword v136, off, s[0:3], 0 offset:828
	buffer_load_dword v151, off, s[0:3], 0 offset:840
	;; [unrolled: 1-line block ×5, first 2 shown]
	ds_read_b128 v[123:126], v1 offset:1472
	s_waitcnt vmcnt(57) lgkmcnt(1)
	v_mul_f64 v[197:198], v[119:120], v[153:154]
	v_mul_f64 v[153:154], v[121:122], v[153:154]
	s_waitcnt vmcnt(56)
	v_fma_f64 v[147:148], v[2:3], v[149:150], -v[147:148]
	v_fma_f64 v[143:144], v[4:5], v[149:150], v[143:144]
	v_add_f64 v[131:132], v[131:132], v[145:146]
	v_add_f64 v[6:7], v[6:7], v[137:138]
	s_clause 0x2
	buffer_load_dword v152, off, s[0:3], 0 offset:844
	buffer_load_dword v138, off, s[0:3], 0 offset:820
	;; [unrolled: 1-line block ×3, first 2 shown]
	s_waitcnt vmcnt(58) lgkmcnt(0)
	v_mul_f64 v[149:150], v[125:126], v[155:156]
	ds_read_b128 v[2:5], v1 offset:1488
	s_waitcnt vmcnt(56)
	v_fma_f64 v[153:154], v[119:120], v[159:160], -v[153:154]
	v_mul_f64 v[145:146], v[123:124], v[155:156]
	v_add_f64 v[131:132], v[131:132], v[147:148]
	v_fma_f64 v[147:148], v[121:122], v[159:160], v[197:198]
	v_add_f64 v[6:7], v[6:7], v[143:144]
	s_clause 0x4
	buffer_load_dword v144, off, s[0:3], 0 offset:860
	buffer_load_dword v155, off, s[0:3], 0 offset:872
	;; [unrolled: 1-line block ×5, first 2 shown]
	s_waitcnt vmcnt(57) lgkmcnt(0)
	v_mul_f64 v[203:204], v[2:3], v[161:162]
	v_mul_f64 v[160:161], v[4:5], v[161:162]
	s_waitcnt vmcnt(56)
	v_fma_f64 v[149:150], v[123:124], v[157:158], -v[149:150]
	ds_read_b128 v[119:122], v1 offset:1504
	v_fma_f64 v[145:146], v[125:126], v[157:158], v[145:146]
	v_add_f64 v[131:132], v[131:132], v[153:154]
	v_add_f64 v[6:7], v[6:7], v[147:148]
	s_clause 0x2
	buffer_load_dword v156, off, s[0:3], 0 offset:876
	buffer_load_dword v148, off, s[0:3], 0 offset:852
	buffer_load_dword v147, off, s[0:3], 0 offset:848
	ds_read_b128 v[123:126], v1 offset:1520
	s_waitcnt vmcnt(58) lgkmcnt(1)
	v_mul_f64 v[157:158], v[121:122], v[163:164]
	s_waitcnt vmcnt(56)
	v_fma_f64 v[161:162], v[2:3], v[167:168], -v[160:161]
	v_mul_f64 v[153:154], v[119:120], v[163:164]
	v_add_f64 v[131:132], v[131:132], v[149:150]
	v_fma_f64 v[149:150], v[4:5], v[167:168], v[203:204]
	v_add_f64 v[6:7], v[6:7], v[145:146]
	s_clause 0x2
	buffer_load_dword v146, off, s[0:3], 0 offset:892
	buffer_load_dword v145, off, s[0:3], 0 offset:888
	;; [unrolled: 1-line block ×3, first 2 shown]
	s_waitcnt vmcnt(55) lgkmcnt(0)
	v_mul_f64 v[167:168], v[125:126], v[169:170]
	s_waitcnt vmcnt(54)
	v_fma_f64 v[157:158], v[119:120], v[165:166], -v[157:158]
	ds_read_b128 v[2:5], v1 offset:1536
	v_mul_f64 v[163:164], v[123:124], v[169:170]
	v_fma_f64 v[153:154], v[121:122], v[165:166], v[153:154]
	v_add_f64 v[131:132], v[131:132], v[161:162]
	v_add_f64 v[6:7], v[6:7], v[149:150]
	s_clause 0x1
	buffer_load_dword v150, off, s[0:3], 0 offset:884
	buffer_load_dword v149, off, s[0:3], 0 offset:880
	s_waitcnt vmcnt(55) lgkmcnt(0)
	v_mul_f64 v[165:166], v[4:5], v[171:172]
	s_waitcnt vmcnt(53)
	v_fma_f64 v[167:168], v[123:124], v[175:176], -v[167:168]
	ds_read_b128 v[119:122], v1 offset:1552
	v_mul_f64 v[161:162], v[2:3], v[171:172]
	v_add_f64 v[131:132], v[131:132], v[157:158]
	v_fma_f64 v[157:158], v[125:126], v[175:176], v[163:164]
	v_add_f64 v[6:7], v[6:7], v[153:154]
	ds_read_b128 v[123:126], v1 offset:1568
	s_waitcnt vmcnt(49) lgkmcnt(1)
	v_mul_f64 v[163:164], v[121:122], v[177:178]
	s_waitcnt vmcnt(48)
	v_fma_f64 v[165:166], v[2:3], v[173:174], -v[165:166]
	v_mul_f64 v[153:154], v[119:120], v[177:178]
	v_fma_f64 v[161:162], v[4:5], v[173:174], v[161:162]
	v_add_f64 v[131:132], v[131:132], v[167:168]
	s_waitcnt vmcnt(47) lgkmcnt(0)
	v_mul_f64 v[171:172], v[125:126], v[180:181]
	v_add_f64 v[6:7], v[6:7], v[157:158]
	s_clause 0x3
	buffer_load_dword v157, off, s[0:3], 0 offset:464
	buffer_load_dword v158, off, s[0:3], 0 offset:468
	;; [unrolled: 1-line block ×4, first 2 shown]
	s_waitcnt vmcnt(49)
	v_fma_f64 v[163:164], v[119:120], v[184:185], -v[163:164]
	ds_read_b128 v[2:5], v1 offset:1584
	v_mul_f64 v[169:170], v[123:124], v[180:181]
	v_fma_f64 v[153:154], v[121:122], v[184:185], v[153:154]
	ds_read_b128 v[119:122], v1 offset:1600
	v_add_f64 v[131:132], v[131:132], v[165:166]
	s_waitcnt vmcnt(44)
	v_fma_f64 v[171:172], v[123:124], v[182:183], -v[171:172]
	v_add_f64 v[6:7], v[6:7], v[161:162]
	s_waitcnt lgkmcnt(1)
	v_mul_f64 v[165:166], v[4:5], v[188:189]
	v_mul_f64 v[161:162], v[2:3], v[188:189]
	v_add_f64 v[131:132], v[131:132], v[163:164]
	v_fma_f64 v[163:164], v[125:126], v[182:183], v[169:170]
	v_add_f64 v[6:7], v[6:7], v[153:154]
	ds_read_b128 v[123:126], v1 offset:1616
	s_waitcnt vmcnt(43) lgkmcnt(1)
	v_mul_f64 v[169:170], v[121:122], v[190:191]
	v_mul_f64 v[153:154], v[119:120], v[190:191]
	s_waitcnt vmcnt(41)
	v_fma_f64 v[165:166], v[2:3], v[129:130], -v[165:166]
	v_fma_f64 v[129:130], v[4:5], v[129:130], v[161:162]
	ds_read_b128 v[2:5], v1 offset:1632
	v_add_f64 v[131:132], v[131:132], v[171:172]
	s_waitcnt vmcnt(37) lgkmcnt(1)
	v_mul_f64 v[161:162], v[123:124], v[133:134]
	v_add_f64 v[6:7], v[6:7], v[163:164]
	v_mul_f64 v[133:134], v[125:126], v[133:134]
	s_waitcnt vmcnt(36)
	v_fma_f64 v[163:164], v[119:120], v[192:193], -v[169:170]
	v_fma_f64 v[153:154], v[121:122], v[192:193], v[153:154]
	ds_read_b128 v[119:122], v1 offset:1648
	v_add_f64 v[131:132], v[131:132], v[165:166]
	v_add_f64 v[6:7], v[6:7], v[129:130]
	s_waitcnt vmcnt(35) lgkmcnt(1)
	v_mul_f64 v[165:166], v[4:5], v[194:195]
	v_mul_f64 v[129:130], v[2:3], v[194:195]
	s_waitcnt vmcnt(33)
	v_fma_f64 v[133:134], v[123:124], v[127:128], -v[133:134]
	v_fma_f64 v[127:128], v[125:126], v[127:128], v[161:162]
	ds_read_b128 v[123:126], v1 offset:1664
	v_add_f64 v[131:132], v[131:132], v[163:164]
	v_add_f64 v[6:7], v[6:7], v[153:154]
	s_waitcnt vmcnt(29) lgkmcnt(1)
	v_mul_f64 v[153:154], v[119:120], v[141:142]
	;; [unrolled: 9-line block ×6, first 2 shown]
	s_waitcnt vmcnt(12)
	v_fma_f64 v[137:138], v[119:120], v[196:197], -v[141:142]
	v_mul_f64 v[127:128], v[123:124], v[143:144]
	v_add_f64 v[131:132], v[131:132], v[135:136]
	v_fma_f64 v[135:136], v[121:122], v[196:197], v[139:140]
	v_add_f64 v[6:7], v[6:7], v[129:130]
	ds_read_b128 v[119:122], v1 offset:1744
	s_waitcnt vmcnt(11) lgkmcnt(1)
	v_mul_f64 v[139:140], v[4:5], v[155:156]
	v_mul_f64 v[129:130], v[2:3], v[155:156]
	s_waitcnt vmcnt(9)
	v_fma_f64 v[123:124], v[123:124], v[147:148], -v[133:134]
	v_fma_f64 v[125:126], v[125:126], v[147:148], v[127:128]
	v_add_f64 v[131:132], v[131:132], v[137:138]
	v_add_f64 v[6:7], v[6:7], v[135:136]
	s_waitcnt vmcnt(7) lgkmcnt(0)
	v_mul_f64 v[133:134], v[121:122], v[145:146]
	s_waitcnt vmcnt(6)
	v_fma_f64 v[1:2], v[2:3], v[159:160], -v[139:140]
	v_mul_f64 v[127:128], v[119:120], v[145:146]
	v_fma_f64 v[3:4], v[4:5], v[159:160], v[129:130]
	v_add_f64 v[123:124], v[131:132], v[123:124]
	v_add_f64 v[5:6], v[6:7], v[125:126]
	s_waitcnt vmcnt(4)
	v_fma_f64 v[7:8], v[119:120], v[149:150], -v[133:134]
	v_fma_f64 v[119:120], v[121:122], v[149:150], v[127:128]
	v_add_f64 v[1:2], v[123:124], v[1:2]
	v_add_f64 v[3:4], v[5:6], v[3:4]
	;; [unrolled: 1-line block ×4, first 2 shown]
	s_waitcnt vmcnt(2)
	v_add_f64 v[1:2], v[157:158], -v[1:2]
	s_waitcnt vmcnt(0)
	v_add_f64 v[3:4], v[167:168], -v[3:4]
	buffer_store_dword v2, off, s[0:3], 0 offset:468
	buffer_store_dword v1, off, s[0:3], 0 offset:464
	;; [unrolled: 1-line block ×4, first 2 shown]
	v_cmpx_lt_u32_e32 27, v0
	s_cbranch_execz .LBB118_289
; %bb.288:
	v_mov_b32_e32 v4, s40
	v_mov_b32_e32 v5, 0
	s_clause 0x3
	buffer_load_dword v1, v4, s[0:3], 0 offen
	buffer_load_dword v2, v4, s[0:3], 0 offen offset:4
	buffer_load_dword v3, v4, s[0:3], 0 offen offset:8
	;; [unrolled: 1-line block ×3, first 2 shown]
	buffer_store_dword v5, off, s[0:3], 0 offset:448
	buffer_store_dword v5, off, s[0:3], 0 offset:452
	;; [unrolled: 1-line block ×4, first 2 shown]
	s_waitcnt vmcnt(0)
	ds_write_b128 v179, v[1:4]
.LBB118_289:
	s_or_b32 exec_lo, exec_lo, s4
	s_waitcnt lgkmcnt(0)
	s_waitcnt_vscnt null, 0x0
	s_barrier
	buffer_gl0_inv
	s_clause 0x37
	buffer_load_dword v6, off, s[0:3], 0 offset:472
	buffer_load_dword v7, off, s[0:3], 0 offset:476
	;; [unrolled: 1-line block ×56, first 2 shown]
	v_mov_b32_e32 v1, 0
	s_mov_b32 s4, exec_lo
	ds_read_b128 v[2:5], v1 offset:1328
	s_clause 0x2
	buffer_load_dword v181, off, s[0:3], 0 offset:700
	buffer_load_dword v185, off, s[0:3], 0 offset:676
	buffer_load_dword v184, off, s[0:3], 0 offset:672
	ds_read_b128 v[119:122], v1 offset:1344
	s_clause 0x4
	buffer_load_dword v189, off, s[0:3], 0 offset:716
	buffer_load_dword v190, off, s[0:3], 0 offset:728
	;; [unrolled: 1-line block ×5, first 2 shown]
	ds_read_b128 v[123:126], v1 offset:1360
	s_waitcnt vmcnt(62) lgkmcnt(2)
	v_mul_f64 v[186:187], v[4:5], v[6:7]
	v_mul_f64 v[6:7], v[2:3], v[6:7]
	s_waitcnt vmcnt(60) lgkmcnt(1)
	v_mul_f64 v[193:194], v[121:122], v[127:128]
	v_mul_f64 v[127:128], v[119:120], v[127:128]
	s_waitcnt vmcnt(56) lgkmcnt(0)
	v_mul_f64 v[195:196], v[123:124], v[131:132]
	v_mul_f64 v[131:132], v[125:126], v[131:132]
	v_fma_f64 v[186:187], v[2:3], v[129:130], -v[186:187]
	v_fma_f64 v[6:7], v[4:5], v[129:130], v[6:7]
	s_clause 0x2
	buffer_load_dword v191, off, s[0:3], 0 offset:732
	buffer_load_dword v130, off, s[0:3], 0 offset:708
	buffer_load_dword v129, off, s[0:3], 0 offset:704
	s_waitcnt vmcnt(57)
	v_fma_f64 v[197:198], v[119:120], v[133:134], -v[193:194]
	ds_read_b128 v[2:5], v1 offset:1376
	v_fma_f64 v[127:128], v[121:122], v[133:134], v[127:128]
	s_clause 0x4
	buffer_load_dword v134, off, s[0:3], 0 offset:748
	buffer_load_dword v194, off, s[0:3], 0 offset:760
	;; [unrolled: 1-line block ×5, first 2 shown]
	s_waitcnt vmcnt(56)
	v_fma_f64 v[131:132], v[123:124], v[141:142], -v[131:132]
	ds_read_b128 v[119:122], v1 offset:1392
	v_fma_f64 v[141:142], v[125:126], v[141:142], v[195:196]
	v_add_f64 v[186:187], v[186:187], 0
	v_add_f64 v[6:7], v[6:7], 0
	s_waitcnt lgkmcnt(1)
	v_mul_f64 v[200:201], v[2:3], v[135:136]
	v_mul_f64 v[135:136], v[4:5], v[135:136]
	v_add_f64 v[186:187], v[186:187], v[197:198]
	v_add_f64 v[6:7], v[6:7], v[127:128]
	s_clause 0x2
	buffer_load_dword v195, off, s[0:3], 0 offset:764
	buffer_load_dword v128, off, s[0:3], 0 offset:740
	;; [unrolled: 1-line block ×3, first 2 shown]
	s_waitcnt vmcnt(58) lgkmcnt(0)
	v_mul_f64 v[196:197], v[119:120], v[137:138]
	v_mul_f64 v[137:138], v[121:122], v[137:138]
	s_waitcnt vmcnt(56)
	v_fma_f64 v[135:136], v[2:3], v[143:144], -v[135:136]
	ds_read_b128 v[123:126], v1 offset:1408
	v_fma_f64 v[143:144], v[4:5], v[143:144], v[200:201]
	v_add_f64 v[131:132], v[186:187], v[131:132]
	v_add_f64 v[6:7], v[6:7], v[141:142]
	s_clause 0x4
	buffer_load_dword v142, off, s[0:3], 0 offset:780
	buffer_load_dword v186, off, s[0:3], 0 offset:792
	;; [unrolled: 1-line block ×5, first 2 shown]
	ds_read_b128 v[2:5], v1 offset:1424
	s_waitcnt vmcnt(57) lgkmcnt(1)
	v_mul_f64 v[202:203], v[123:124], v[145:146]
	v_mul_f64 v[145:146], v[125:126], v[145:146]
	s_waitcnt vmcnt(56)
	v_fma_f64 v[137:138], v[119:120], v[139:140], -v[137:138]
	v_add_f64 v[131:132], v[131:132], v[135:136]
	v_fma_f64 v[135:136], v[121:122], v[139:140], v[196:197]
	v_add_f64 v[6:7], v[6:7], v[143:144]
	s_clause 0x2
	buffer_load_dword v187, off, s[0:3], 0 offset:796
	buffer_load_dword v140, off, s[0:3], 0 offset:772
	;; [unrolled: 1-line block ×3, first 2 shown]
	s_waitcnt vmcnt(58) lgkmcnt(0)
	v_mul_f64 v[143:144], v[2:3], v[147:148]
	v_mul_f64 v[147:148], v[4:5], v[147:148]
	s_waitcnt vmcnt(56)
	v_fma_f64 v[145:146], v[123:124], v[151:152], -v[145:146]
	ds_read_b128 v[119:122], v1 offset:1440
	v_add_f64 v[131:132], v[131:132], v[137:138]
	v_fma_f64 v[137:138], v[125:126], v[151:152], v[202:203]
	v_add_f64 v[6:7], v[6:7], v[135:136]
	s_clause 0x4
	buffer_load_dword v136, off, s[0:3], 0 offset:812
	buffer_load_dword v151, off, s[0:3], 0 offset:824
	;; [unrolled: 1-line block ×5, first 2 shown]
	ds_read_b128 v[123:126], v1 offset:1456
	s_waitcnt vmcnt(57) lgkmcnt(1)
	v_mul_f64 v[197:198], v[119:120], v[153:154]
	v_mul_f64 v[153:154], v[121:122], v[153:154]
	s_waitcnt vmcnt(56)
	v_fma_f64 v[147:148], v[2:3], v[149:150], -v[147:148]
	v_fma_f64 v[143:144], v[4:5], v[149:150], v[143:144]
	v_add_f64 v[131:132], v[131:132], v[145:146]
	v_add_f64 v[6:7], v[6:7], v[137:138]
	s_clause 0x2
	buffer_load_dword v152, off, s[0:3], 0 offset:828
	buffer_load_dword v138, off, s[0:3], 0 offset:804
	;; [unrolled: 1-line block ×3, first 2 shown]
	s_waitcnt vmcnt(58) lgkmcnt(0)
	v_mul_f64 v[149:150], v[125:126], v[155:156]
	ds_read_b128 v[2:5], v1 offset:1472
	s_waitcnt vmcnt(56)
	v_fma_f64 v[153:154], v[119:120], v[159:160], -v[153:154]
	v_mul_f64 v[145:146], v[123:124], v[155:156]
	v_add_f64 v[131:132], v[131:132], v[147:148]
	v_fma_f64 v[147:148], v[121:122], v[159:160], v[197:198]
	v_add_f64 v[6:7], v[6:7], v[143:144]
	s_clause 0x4
	buffer_load_dword v144, off, s[0:3], 0 offset:844
	buffer_load_dword v155, off, s[0:3], 0 offset:856
	;; [unrolled: 1-line block ×5, first 2 shown]
	s_waitcnt vmcnt(57) lgkmcnt(0)
	v_mul_f64 v[203:204], v[2:3], v[161:162]
	v_mul_f64 v[160:161], v[4:5], v[161:162]
	s_waitcnt vmcnt(56)
	v_fma_f64 v[149:150], v[123:124], v[157:158], -v[149:150]
	ds_read_b128 v[119:122], v1 offset:1488
	v_fma_f64 v[145:146], v[125:126], v[157:158], v[145:146]
	v_add_f64 v[131:132], v[131:132], v[153:154]
	v_add_f64 v[6:7], v[6:7], v[147:148]
	s_clause 0x2
	buffer_load_dword v156, off, s[0:3], 0 offset:860
	buffer_load_dword v148, off, s[0:3], 0 offset:836
	;; [unrolled: 1-line block ×3, first 2 shown]
	ds_read_b128 v[123:126], v1 offset:1504
	s_waitcnt vmcnt(58) lgkmcnt(1)
	v_mul_f64 v[157:158], v[121:122], v[163:164]
	s_waitcnt vmcnt(56)
	v_fma_f64 v[161:162], v[2:3], v[167:168], -v[160:161]
	v_mul_f64 v[153:154], v[119:120], v[163:164]
	v_add_f64 v[131:132], v[131:132], v[149:150]
	v_fma_f64 v[149:150], v[4:5], v[167:168], v[203:204]
	v_add_f64 v[6:7], v[6:7], v[145:146]
	s_clause 0x4
	buffer_load_dword v146, off, s[0:3], 0 offset:876
	buffer_load_dword v163, off, s[0:3], 0 offset:888
	;; [unrolled: 1-line block ×5, first 2 shown]
	s_waitcnt vmcnt(57) lgkmcnt(0)
	v_mul_f64 v[203:204], v[123:124], v[169:170]
	v_mul_f64 v[168:169], v[125:126], v[169:170]
	s_waitcnt vmcnt(56)
	v_fma_f64 v[157:158], v[119:120], v[165:166], -v[157:158]
	ds_read_b128 v[2:5], v1 offset:1520
	v_fma_f64 v[153:154], v[121:122], v[165:166], v[153:154]
	v_add_f64 v[131:132], v[131:132], v[161:162]
	v_add_f64 v[6:7], v[6:7], v[149:150]
	s_clause 0x2
	buffer_load_dword v164, off, s[0:3], 0 offset:892
	buffer_load_dword v150, off, s[0:3], 0 offset:868
	;; [unrolled: 1-line block ×3, first 2 shown]
	ds_read_b128 v[119:122], v1 offset:1536
	s_waitcnt vmcnt(58) lgkmcnt(1)
	v_mul_f64 v[165:166], v[4:5], v[171:172]
	s_waitcnt vmcnt(56)
	v_fma_f64 v[169:170], v[123:124], v[175:176], -v[168:169]
	v_mul_f64 v[161:162], v[2:3], v[171:172]
	buffer_load_dword v168, off, s[0:3], 0 offset:884
	v_add_f64 v[131:132], v[131:132], v[157:158]
	v_fma_f64 v[157:158], v[125:126], v[175:176], v[203:204]
	v_add_f64 v[6:7], v[6:7], v[153:154]
	ds_read_b128 v[123:126], v1 offset:1552
	s_waitcnt vmcnt(53) lgkmcnt(1)
	v_mul_f64 v[171:172], v[121:122], v[177:178]
	s_waitcnt vmcnt(52)
	v_fma_f64 v[165:166], v[2:3], v[173:174], -v[165:166]
	v_mul_f64 v[153:154], v[119:120], v[177:178]
	v_fma_f64 v[161:162], v[4:5], v[173:174], v[161:162]
	ds_read_b128 v[2:5], v1 offset:1568
	v_add_f64 v[131:132], v[131:132], v[169:170]
	s_waitcnt vmcnt(51) lgkmcnt(1)
	v_mul_f64 v[169:170], v[125:126], v[180:181]
	v_add_f64 v[6:7], v[6:7], v[157:158]
	v_mul_f64 v[157:158], v[123:124], v[180:181]
	s_waitcnt vmcnt(49)
	v_fma_f64 v[171:172], v[119:120], v[184:185], -v[171:172]
	v_fma_f64 v[153:154], v[121:122], v[184:185], v[153:154]
	s_waitcnt vmcnt(45) lgkmcnt(0)
	v_mul_f64 v[175:176], v[4:5], v[188:189]
	v_mul_f64 v[173:174], v[2:3], v[188:189]
	v_add_f64 v[131:132], v[131:132], v[165:166]
	s_waitcnt vmcnt(44)
	v_fma_f64 v[169:170], v[123:124], v[182:183], -v[169:170]
	v_add_f64 v[6:7], v[6:7], v[161:162]
	s_clause 0x3
	buffer_load_dword v161, off, s[0:3], 0 offset:448
	buffer_load_dword v162, off, s[0:3], 0 offset:452
	;; [unrolled: 1-line block ×4, first 2 shown]
	ds_read_b128 v[119:122], v1 offset:1584
	v_fma_f64 v[157:158], v[125:126], v[182:183], v[157:158]
	ds_read_b128 v[123:126], v1 offset:1600
	v_add_f64 v[131:132], v[131:132], v[171:172]
	v_add_f64 v[6:7], v[6:7], v[153:154]
	s_waitcnt vmcnt(47) lgkmcnt(1)
	v_mul_f64 v[171:172], v[121:122], v[190:191]
	v_mul_f64 v[153:154], v[119:120], v[190:191]
	s_waitcnt vmcnt(45)
	v_fma_f64 v[175:176], v[2:3], v[129:130], -v[175:176]
	v_fma_f64 v[129:130], v[4:5], v[129:130], v[173:174]
	ds_read_b128 v[2:5], v1 offset:1616
	v_add_f64 v[131:132], v[131:132], v[169:170]
	v_add_f64 v[6:7], v[6:7], v[157:158]
	s_waitcnt vmcnt(41) lgkmcnt(1)
	v_mul_f64 v[157:158], v[123:124], v[133:134]
	v_mul_f64 v[133:134], v[125:126], v[133:134]
	s_waitcnt vmcnt(40)
	v_fma_f64 v[169:170], v[119:120], v[192:193], -v[171:172]
	v_fma_f64 v[153:154], v[121:122], v[192:193], v[153:154]
	ds_read_b128 v[119:122], v1 offset:1632
	v_add_f64 v[131:132], v[131:132], v[175:176]
	v_add_f64 v[6:7], v[6:7], v[129:130]
	s_waitcnt vmcnt(39) lgkmcnt(1)
	v_mul_f64 v[171:172], v[4:5], v[194:195]
	v_mul_f64 v[129:130], v[2:3], v[194:195]
	s_waitcnt vmcnt(37)
	v_fma_f64 v[133:134], v[123:124], v[127:128], -v[133:134]
	v_fma_f64 v[127:128], v[125:126], v[127:128], v[157:158]
	ds_read_b128 v[123:126], v1 offset:1648
	v_add_f64 v[131:132], v[131:132], v[169:170]
	v_add_f64 v[6:7], v[6:7], v[153:154]
	s_waitcnt vmcnt(33) lgkmcnt(1)
	v_mul_f64 v[153:154], v[119:120], v[141:142]
	v_mul_f64 v[141:142], v[121:122], v[141:142]
	s_waitcnt vmcnt(32)
	v_fma_f64 v[157:158], v[2:3], v[199:200], -v[171:172]
	v_fma_f64 v[129:130], v[4:5], v[199:200], v[129:130]
	ds_read_b128 v[2:5], v1 offset:1664
	v_add_f64 v[131:132], v[131:132], v[133:134]
	v_add_f64 v[6:7], v[6:7], v[127:128]
	s_waitcnt vmcnt(31) lgkmcnt(1)
	v_mul_f64 v[133:134], v[125:126], v[186:187]
	v_mul_f64 v[127:128], v[123:124], v[186:187]
	s_waitcnt vmcnt(29)
	v_fma_f64 v[141:142], v[119:120], v[139:140], -v[141:142]
	v_fma_f64 v[139:140], v[121:122], v[139:140], v[153:154]
	ds_read_b128 v[119:122], v1 offset:1680
	v_add_f64 v[131:132], v[131:132], v[157:158]
	v_add_f64 v[6:7], v[6:7], v[129:130]
	s_waitcnt vmcnt(25) lgkmcnt(1)
	v_mul_f64 v[129:130], v[2:3], v[135:136]
	v_mul_f64 v[135:136], v[4:5], v[135:136]
	s_waitcnt vmcnt(24)
	v_fma_f64 v[133:134], v[123:124], v[201:202], -v[133:134]
	v_fma_f64 v[127:128], v[125:126], v[201:202], v[127:128]
	ds_read_b128 v[123:126], v1 offset:1696
	v_add_f64 v[131:132], v[131:132], v[141:142]
	v_add_f64 v[6:7], v[6:7], v[139:140]
	s_waitcnt vmcnt(23) lgkmcnt(1)
	v_mul_f64 v[141:142], v[121:122], v[151:152]
	v_mul_f64 v[139:140], v[119:120], v[151:152]
	s_waitcnt vmcnt(21)
	v_fma_f64 v[135:136], v[2:3], v[137:138], -v[135:136]
	v_fma_f64 v[129:130], v[4:5], v[137:138], v[129:130]
	ds_read_b128 v[2:5], v1 offset:1712
	v_add_f64 v[131:132], v[131:132], v[133:134]
	v_add_f64 v[6:7], v[6:7], v[127:128]
	s_waitcnt vmcnt(17) lgkmcnt(1)
	v_mul_f64 v[133:134], v[125:126], v[143:144]
	s_waitcnt vmcnt(16)
	v_fma_f64 v[137:138], v[119:120], v[196:197], -v[141:142]
	v_mul_f64 v[127:128], v[123:124], v[143:144]
	v_add_f64 v[131:132], v[131:132], v[135:136]
	v_fma_f64 v[135:136], v[121:122], v[196:197], v[139:140]
	v_add_f64 v[6:7], v[6:7], v[129:130]
	ds_read_b128 v[119:122], v1 offset:1728
	s_waitcnt vmcnt(15) lgkmcnt(1)
	v_mul_f64 v[139:140], v[4:5], v[155:156]
	v_mul_f64 v[129:130], v[2:3], v[155:156]
	s_waitcnt vmcnt(13)
	v_fma_f64 v[133:134], v[123:124], v[147:148], -v[133:134]
	v_fma_f64 v[127:128], v[125:126], v[147:148], v[127:128]
	ds_read_b128 v[123:126], v1 offset:1744
	v_add_f64 v[131:132], v[131:132], v[137:138]
	v_add_f64 v[6:7], v[6:7], v[135:136]
	s_waitcnt vmcnt(9) lgkmcnt(1)
	v_mul_f64 v[137:138], v[121:122], v[145:146]
	s_waitcnt vmcnt(8)
	v_fma_f64 v[2:3], v[2:3], v[159:160], -v[139:140]
	v_mul_f64 v[135:136], v[119:120], v[145:146]
	v_fma_f64 v[4:5], v[4:5], v[159:160], v[129:130]
	v_add_f64 v[131:132], v[131:132], v[133:134]
	v_add_f64 v[6:7], v[6:7], v[127:128]
	s_waitcnt vmcnt(7) lgkmcnt(0)
	v_mul_f64 v[129:130], v[125:126], v[163:164]
	v_mul_f64 v[127:128], v[123:124], v[163:164]
	s_waitcnt vmcnt(5)
	v_fma_f64 v[119:120], v[119:120], v[149:150], -v[137:138]
	v_fma_f64 v[121:122], v[121:122], v[149:150], v[135:136]
	v_add_f64 v[2:3], v[131:132], v[2:3]
	v_add_f64 v[4:5], v[6:7], v[4:5]
	s_waitcnt vmcnt(4)
	v_fma_f64 v[6:7], v[123:124], v[167:168], -v[129:130]
	v_add_f64 v[2:3], v[2:3], v[119:120]
	v_fma_f64 v[119:120], v[125:126], v[167:168], v[127:128]
	v_add_f64 v[4:5], v[4:5], v[121:122]
	v_add_f64 v[2:3], v[2:3], v[6:7]
	;; [unrolled: 1-line block ×3, first 2 shown]
	s_waitcnt vmcnt(2)
	v_add_f64 v[2:3], v[161:162], -v[2:3]
	s_waitcnt vmcnt(0)
	v_add_f64 v[4:5], v[165:166], -v[4:5]
	buffer_store_dword v3, off, s[0:3], 0 offset:452
	buffer_store_dword v2, off, s[0:3], 0 offset:448
	;; [unrolled: 1-line block ×4, first 2 shown]
	v_cmpx_lt_u32_e32 26, v0
	s_cbranch_execz .LBB118_291
; %bb.290:
	v_mov_b32_e32 v5, s41
	s_clause 0x3
	buffer_load_dword v2, v5, s[0:3], 0 offen
	buffer_load_dword v3, v5, s[0:3], 0 offen offset:4
	buffer_load_dword v4, v5, s[0:3], 0 offen offset:8
	;; [unrolled: 1-line block ×3, first 2 shown]
	buffer_store_dword v1, off, s[0:3], 0 offset:432
	buffer_store_dword v1, off, s[0:3], 0 offset:436
	;; [unrolled: 1-line block ×4, first 2 shown]
	s_waitcnt vmcnt(0)
	ds_write_b128 v179, v[2:5]
.LBB118_291:
	s_or_b32 exec_lo, exec_lo, s4
	s_waitcnt lgkmcnt(0)
	s_waitcnt_vscnt null, 0x0
	s_barrier
	buffer_gl0_inv
	s_clause 0x37
	buffer_load_dword v6, off, s[0:3], 0 offset:456
	buffer_load_dword v7, off, s[0:3], 0 offset:460
	;; [unrolled: 1-line block ×56, first 2 shown]
	ds_read_b128 v[2:5], v1 offset:1312
	s_clause 0x2
	buffer_load_dword v181, off, s[0:3], 0 offset:684
	buffer_load_dword v185, off, s[0:3], 0 offset:660
	;; [unrolled: 1-line block ×3, first 2 shown]
	ds_read_b128 v[119:122], v1 offset:1328
	s_clause 0x4
	buffer_load_dword v189, off, s[0:3], 0 offset:700
	buffer_load_dword v190, off, s[0:3], 0 offset:712
	;; [unrolled: 1-line block ×5, first 2 shown]
	ds_read_b128 v[123:126], v1 offset:1344
	s_mov_b32 s4, exec_lo
	s_waitcnt vmcnt(62) lgkmcnt(2)
	v_mul_f64 v[186:187], v[4:5], v[6:7]
	v_mul_f64 v[6:7], v[2:3], v[6:7]
	s_waitcnt vmcnt(60) lgkmcnt(1)
	v_mul_f64 v[193:194], v[121:122], v[127:128]
	v_mul_f64 v[127:128], v[119:120], v[127:128]
	;; [unrolled: 3-line block ×3, first 2 shown]
	v_fma_f64 v[186:187], v[2:3], v[129:130], -v[186:187]
	v_fma_f64 v[6:7], v[4:5], v[129:130], v[6:7]
	s_clause 0x2
	buffer_load_dword v191, off, s[0:3], 0 offset:716
	buffer_load_dword v130, off, s[0:3], 0 offset:692
	;; [unrolled: 1-line block ×3, first 2 shown]
	s_waitcnt vmcnt(57)
	v_fma_f64 v[197:198], v[119:120], v[133:134], -v[193:194]
	ds_read_b128 v[2:5], v1 offset:1360
	v_fma_f64 v[127:128], v[121:122], v[133:134], v[127:128]
	s_clause 0x4
	buffer_load_dword v134, off, s[0:3], 0 offset:732
	buffer_load_dword v194, off, s[0:3], 0 offset:744
	;; [unrolled: 1-line block ×5, first 2 shown]
	s_waitcnt vmcnt(56)
	v_fma_f64 v[131:132], v[123:124], v[141:142], -v[131:132]
	ds_read_b128 v[119:122], v1 offset:1376
	v_fma_f64 v[141:142], v[125:126], v[141:142], v[195:196]
	v_add_f64 v[186:187], v[186:187], 0
	v_add_f64 v[6:7], v[6:7], 0
	s_waitcnt lgkmcnt(1)
	v_mul_f64 v[200:201], v[2:3], v[135:136]
	v_mul_f64 v[135:136], v[4:5], v[135:136]
	v_add_f64 v[186:187], v[186:187], v[197:198]
	v_add_f64 v[6:7], v[6:7], v[127:128]
	s_clause 0x2
	buffer_load_dword v195, off, s[0:3], 0 offset:748
	buffer_load_dword v128, off, s[0:3], 0 offset:724
	;; [unrolled: 1-line block ×3, first 2 shown]
	s_waitcnt vmcnt(58) lgkmcnt(0)
	v_mul_f64 v[196:197], v[119:120], v[137:138]
	v_mul_f64 v[137:138], v[121:122], v[137:138]
	s_waitcnt vmcnt(56)
	v_fma_f64 v[135:136], v[2:3], v[143:144], -v[135:136]
	ds_read_b128 v[123:126], v1 offset:1392
	v_fma_f64 v[143:144], v[4:5], v[143:144], v[200:201]
	v_add_f64 v[131:132], v[186:187], v[131:132]
	v_add_f64 v[6:7], v[6:7], v[141:142]
	s_clause 0x4
	buffer_load_dword v142, off, s[0:3], 0 offset:764
	buffer_load_dword v186, off, s[0:3], 0 offset:776
	;; [unrolled: 1-line block ×5, first 2 shown]
	ds_read_b128 v[2:5], v1 offset:1408
	s_waitcnt vmcnt(57) lgkmcnt(1)
	v_mul_f64 v[202:203], v[123:124], v[145:146]
	v_mul_f64 v[145:146], v[125:126], v[145:146]
	s_waitcnt vmcnt(56)
	v_fma_f64 v[137:138], v[119:120], v[139:140], -v[137:138]
	v_add_f64 v[131:132], v[131:132], v[135:136]
	v_fma_f64 v[135:136], v[121:122], v[139:140], v[196:197]
	v_add_f64 v[6:7], v[6:7], v[143:144]
	s_clause 0x2
	buffer_load_dword v187, off, s[0:3], 0 offset:780
	buffer_load_dword v140, off, s[0:3], 0 offset:756
	;; [unrolled: 1-line block ×3, first 2 shown]
	s_waitcnt vmcnt(58) lgkmcnt(0)
	v_mul_f64 v[143:144], v[2:3], v[147:148]
	v_mul_f64 v[147:148], v[4:5], v[147:148]
	s_waitcnt vmcnt(56)
	v_fma_f64 v[145:146], v[123:124], v[151:152], -v[145:146]
	ds_read_b128 v[119:122], v1 offset:1424
	v_add_f64 v[131:132], v[131:132], v[137:138]
	v_fma_f64 v[137:138], v[125:126], v[151:152], v[202:203]
	v_add_f64 v[6:7], v[6:7], v[135:136]
	s_clause 0x4
	buffer_load_dword v136, off, s[0:3], 0 offset:796
	buffer_load_dword v151, off, s[0:3], 0 offset:808
	buffer_load_dword v196, off, s[0:3], 0 offset:800
	buffer_load_dword v135, off, s[0:3], 0 offset:792
	buffer_load_dword v202, off, s[0:3], 0 offset:772
	ds_read_b128 v[123:126], v1 offset:1440
	s_waitcnt vmcnt(57) lgkmcnt(1)
	v_mul_f64 v[197:198], v[119:120], v[153:154]
	v_mul_f64 v[153:154], v[121:122], v[153:154]
	s_waitcnt vmcnt(56)
	v_fma_f64 v[147:148], v[2:3], v[149:150], -v[147:148]
	v_fma_f64 v[143:144], v[4:5], v[149:150], v[143:144]
	v_add_f64 v[131:132], v[131:132], v[145:146]
	v_add_f64 v[6:7], v[6:7], v[137:138]
	s_clause 0x2
	buffer_load_dword v152, off, s[0:3], 0 offset:812
	buffer_load_dword v138, off, s[0:3], 0 offset:788
	buffer_load_dword v137, off, s[0:3], 0 offset:784
	s_waitcnt vmcnt(58) lgkmcnt(0)
	v_mul_f64 v[149:150], v[125:126], v[155:156]
	ds_read_b128 v[2:5], v1 offset:1456
	s_waitcnt vmcnt(56)
	v_fma_f64 v[153:154], v[119:120], v[159:160], -v[153:154]
	v_mul_f64 v[145:146], v[123:124], v[155:156]
	v_add_f64 v[131:132], v[131:132], v[147:148]
	v_fma_f64 v[147:148], v[121:122], v[159:160], v[197:198]
	v_add_f64 v[6:7], v[6:7], v[143:144]
	s_clause 0x4
	buffer_load_dword v144, off, s[0:3], 0 offset:828
	buffer_load_dword v155, off, s[0:3], 0 offset:840
	;; [unrolled: 1-line block ×5, first 2 shown]
	s_waitcnt vmcnt(57) lgkmcnt(0)
	v_mul_f64 v[203:204], v[2:3], v[161:162]
	v_mul_f64 v[160:161], v[4:5], v[161:162]
	s_waitcnt vmcnt(56)
	v_fma_f64 v[149:150], v[123:124], v[157:158], -v[149:150]
	ds_read_b128 v[119:122], v1 offset:1472
	v_fma_f64 v[145:146], v[125:126], v[157:158], v[145:146]
	v_add_f64 v[131:132], v[131:132], v[153:154]
	v_add_f64 v[6:7], v[6:7], v[147:148]
	s_clause 0x2
	buffer_load_dword v156, off, s[0:3], 0 offset:844
	buffer_load_dword v148, off, s[0:3], 0 offset:820
	;; [unrolled: 1-line block ×3, first 2 shown]
	ds_read_b128 v[123:126], v1 offset:1488
	s_waitcnt vmcnt(58) lgkmcnt(1)
	v_mul_f64 v[157:158], v[121:122], v[163:164]
	s_waitcnt vmcnt(56)
	v_fma_f64 v[161:162], v[2:3], v[167:168], -v[160:161]
	v_mul_f64 v[153:154], v[119:120], v[163:164]
	v_add_f64 v[131:132], v[131:132], v[149:150]
	v_fma_f64 v[149:150], v[4:5], v[167:168], v[203:204]
	v_add_f64 v[6:7], v[6:7], v[145:146]
	s_clause 0x4
	buffer_load_dword v146, off, s[0:3], 0 offset:860
	buffer_load_dword v163, off, s[0:3], 0 offset:872
	;; [unrolled: 1-line block ×5, first 2 shown]
	s_waitcnt vmcnt(57) lgkmcnt(0)
	v_mul_f64 v[203:204], v[123:124], v[169:170]
	v_mul_f64 v[168:169], v[125:126], v[169:170]
	s_waitcnt vmcnt(56)
	v_fma_f64 v[157:158], v[119:120], v[165:166], -v[157:158]
	ds_read_b128 v[2:5], v1 offset:1504
	v_fma_f64 v[153:154], v[121:122], v[165:166], v[153:154]
	v_add_f64 v[131:132], v[131:132], v[161:162]
	v_add_f64 v[6:7], v[6:7], v[149:150]
	s_clause 0x2
	buffer_load_dword v164, off, s[0:3], 0 offset:876
	buffer_load_dword v150, off, s[0:3], 0 offset:852
	;; [unrolled: 1-line block ×3, first 2 shown]
	ds_read_b128 v[119:122], v1 offset:1520
	s_waitcnt vmcnt(58) lgkmcnt(1)
	v_mul_f64 v[165:166], v[4:5], v[171:172]
	s_waitcnt vmcnt(56)
	v_fma_f64 v[169:170], v[123:124], v[175:176], -v[168:169]
	v_mul_f64 v[161:162], v[2:3], v[171:172]
	v_add_f64 v[131:132], v[131:132], v[157:158]
	v_fma_f64 v[157:158], v[125:126], v[175:176], v[203:204]
	v_add_f64 v[6:7], v[6:7], v[153:154]
	s_clause 0x2
	buffer_load_dword v154, off, s[0:3], 0 offset:892
	buffer_load_dword v153, off, s[0:3], 0 offset:888
	;; [unrolled: 1-line block ×3, first 2 shown]
	s_waitcnt vmcnt(55) lgkmcnt(0)
	v_mul_f64 v[175:176], v[121:122], v[177:178]
	s_waitcnt vmcnt(54)
	v_fma_f64 v[165:166], v[2:3], v[173:174], -v[165:166]
	ds_read_b128 v[123:126], v1 offset:1536
	v_mul_f64 v[171:172], v[119:120], v[177:178]
	v_fma_f64 v[161:162], v[4:5], v[173:174], v[161:162]
	v_add_f64 v[131:132], v[131:132], v[169:170]
	v_add_f64 v[6:7], v[6:7], v[157:158]
	s_clause 0x1
	buffer_load_dword v158, off, s[0:3], 0 offset:884
	buffer_load_dword v157, off, s[0:3], 0 offset:880
	s_waitcnt vmcnt(55) lgkmcnt(0)
	v_mul_f64 v[173:174], v[125:126], v[180:181]
	s_waitcnt vmcnt(53)
	v_fma_f64 v[175:176], v[119:120], v[184:185], -v[175:176]
	ds_read_b128 v[2:5], v1 offset:1552
	v_mul_f64 v[169:170], v[123:124], v[180:181]
	v_add_f64 v[131:132], v[131:132], v[165:166]
	v_fma_f64 v[165:166], v[121:122], v[184:185], v[171:172]
	v_add_f64 v[6:7], v[6:7], v[161:162]
	ds_read_b128 v[119:122], v1 offset:1568
	s_waitcnt vmcnt(49) lgkmcnt(1)
	v_mul_f64 v[171:172], v[4:5], v[188:189]
	s_waitcnt vmcnt(48)
	v_fma_f64 v[173:174], v[123:124], v[182:183], -v[173:174]
	v_mul_f64 v[161:162], v[2:3], v[188:189]
	v_fma_f64 v[169:170], v[125:126], v[182:183], v[169:170]
	v_add_f64 v[131:132], v[131:132], v[175:176]
	v_add_f64 v[6:7], v[6:7], v[165:166]
	s_clause 0x3
	buffer_load_dword v165, off, s[0:3], 0 offset:432
	buffer_load_dword v166, off, s[0:3], 0 offset:436
	;; [unrolled: 1-line block ×4, first 2 shown]
	ds_read_b128 v[123:126], v1 offset:1584
	s_waitcnt vmcnt(51) lgkmcnt(1)
	v_mul_f64 v[180:181], v[121:122], v[190:191]
	v_mul_f64 v[177:178], v[119:120], v[190:191]
	s_waitcnt vmcnt(49)
	v_fma_f64 v[171:172], v[2:3], v[129:130], -v[171:172]
	v_fma_f64 v[129:130], v[4:5], v[129:130], v[161:162]
	ds_read_b128 v[2:5], v1 offset:1600
	v_add_f64 v[131:132], v[131:132], v[173:174]
	v_add_f64 v[6:7], v[6:7], v[169:170]
	s_waitcnt vmcnt(45) lgkmcnt(1)
	v_mul_f64 v[161:162], v[123:124], v[133:134]
	v_mul_f64 v[133:134], v[125:126], v[133:134]
	s_waitcnt vmcnt(44)
	v_fma_f64 v[169:170], v[119:120], v[192:193], -v[180:181]
	v_add_f64 v[131:132], v[131:132], v[171:172]
	v_fma_f64 v[171:172], v[121:122], v[192:193], v[177:178]
	v_add_f64 v[6:7], v[6:7], v[129:130]
	ds_read_b128 v[119:122], v1 offset:1616
	s_waitcnt vmcnt(43) lgkmcnt(1)
	v_mul_f64 v[173:174], v[4:5], v[194:195]
	v_mul_f64 v[129:130], v[2:3], v[194:195]
	s_waitcnt vmcnt(41)
	v_fma_f64 v[133:134], v[123:124], v[127:128], -v[133:134]
	v_fma_f64 v[127:128], v[125:126], v[127:128], v[161:162]
	ds_read_b128 v[123:126], v1 offset:1632
	v_add_f64 v[131:132], v[131:132], v[169:170]
	v_add_f64 v[6:7], v[6:7], v[171:172]
	s_waitcnt vmcnt(37) lgkmcnt(1)
	v_mul_f64 v[161:162], v[119:120], v[141:142]
	v_mul_f64 v[141:142], v[121:122], v[141:142]
	s_waitcnt vmcnt(36)
	v_fma_f64 v[169:170], v[2:3], v[199:200], -v[173:174]
	v_fma_f64 v[129:130], v[4:5], v[199:200], v[129:130]
	ds_read_b128 v[2:5], v1 offset:1648
	v_add_f64 v[131:132], v[131:132], v[133:134]
	v_add_f64 v[6:7], v[6:7], v[127:128]
	;; [unrolled: 9-line block ×5, first 2 shown]
	s_waitcnt vmcnt(21) lgkmcnt(1)
	v_mul_f64 v[133:134], v[125:126], v[143:144]
	s_waitcnt vmcnt(20)
	v_fma_f64 v[137:138], v[119:120], v[196:197], -v[141:142]
	v_mul_f64 v[127:128], v[123:124], v[143:144]
	v_add_f64 v[131:132], v[131:132], v[135:136]
	v_fma_f64 v[135:136], v[121:122], v[196:197], v[139:140]
	v_add_f64 v[6:7], v[6:7], v[129:130]
	ds_read_b128 v[119:122], v1 offset:1712
	s_waitcnt vmcnt(19) lgkmcnt(1)
	v_mul_f64 v[139:140], v[4:5], v[155:156]
	v_mul_f64 v[129:130], v[2:3], v[155:156]
	s_waitcnt vmcnt(17)
	v_fma_f64 v[133:134], v[123:124], v[147:148], -v[133:134]
	v_fma_f64 v[127:128], v[125:126], v[147:148], v[127:128]
	ds_read_b128 v[123:126], v1 offset:1728
	v_add_f64 v[131:132], v[131:132], v[137:138]
	v_add_f64 v[6:7], v[6:7], v[135:136]
	s_waitcnt vmcnt(13) lgkmcnt(1)
	v_mul_f64 v[137:138], v[121:122], v[145:146]
	s_waitcnt vmcnt(12)
	v_fma_f64 v[139:140], v[2:3], v[159:160], -v[139:140]
	v_mul_f64 v[135:136], v[119:120], v[145:146]
	v_fma_f64 v[129:130], v[4:5], v[159:160], v[129:130]
	ds_read_b128 v[1:4], v1 offset:1744
	v_add_f64 v[131:132], v[131:132], v[133:134]
	v_add_f64 v[5:6], v[6:7], v[127:128]
	s_waitcnt vmcnt(11) lgkmcnt(1)
	v_mul_f64 v[127:128], v[125:126], v[163:164]
	v_mul_f64 v[7:8], v[123:124], v[163:164]
	s_waitcnt vmcnt(9)
	v_fma_f64 v[119:120], v[119:120], v[149:150], -v[137:138]
	v_fma_f64 v[121:122], v[121:122], v[149:150], v[135:136]
	v_add_f64 v[131:132], v[131:132], v[139:140]
	v_add_f64 v[5:6], v[5:6], v[129:130]
	s_waitcnt vmcnt(7) lgkmcnt(0)
	v_mul_f64 v[133:134], v[3:4], v[153:154]
	s_waitcnt vmcnt(6)
	v_fma_f64 v[123:124], v[123:124], v[167:168], -v[127:128]
	v_mul_f64 v[129:130], v[1:2], v[153:154]
	v_fma_f64 v[7:8], v[125:126], v[167:168], v[7:8]
	v_add_f64 v[119:120], v[131:132], v[119:120]
	v_add_f64 v[5:6], v[5:6], v[121:122]
	s_waitcnt vmcnt(4)
	v_fma_f64 v[1:2], v[1:2], v[157:158], -v[133:134]
	v_fma_f64 v[3:4], v[3:4], v[157:158], v[129:130]
	v_add_f64 v[119:120], v[119:120], v[123:124]
	v_add_f64 v[5:6], v[5:6], v[7:8]
	;; [unrolled: 1-line block ×4, first 2 shown]
	s_waitcnt vmcnt(2)
	v_add_f64 v[1:2], v[165:166], -v[1:2]
	s_waitcnt vmcnt(0)
	v_add_f64 v[3:4], v[175:176], -v[3:4]
	buffer_store_dword v2, off, s[0:3], 0 offset:436
	buffer_store_dword v1, off, s[0:3], 0 offset:432
	buffer_store_dword v4, off, s[0:3], 0 offset:444
	buffer_store_dword v3, off, s[0:3], 0 offset:440
	v_cmpx_lt_u32_e32 25, v0
	s_cbranch_execz .LBB118_293
; %bb.292:
	v_mov_b32_e32 v4, s42
	v_mov_b32_e32 v5, 0
	s_clause 0x3
	buffer_load_dword v1, v4, s[0:3], 0 offen
	buffer_load_dword v2, v4, s[0:3], 0 offen offset:4
	buffer_load_dword v3, v4, s[0:3], 0 offen offset:8
	;; [unrolled: 1-line block ×3, first 2 shown]
	buffer_store_dword v5, off, s[0:3], 0 offset:416
	buffer_store_dword v5, off, s[0:3], 0 offset:420
	;; [unrolled: 1-line block ×4, first 2 shown]
	s_waitcnt vmcnt(0)
	ds_write_b128 v179, v[1:4]
.LBB118_293:
	s_or_b32 exec_lo, exec_lo, s4
	s_waitcnt lgkmcnt(0)
	s_waitcnt_vscnt null, 0x0
	s_barrier
	buffer_gl0_inv
	s_clause 0x37
	buffer_load_dword v119, off, s[0:3], 0 offset:440
	buffer_load_dword v120, off, s[0:3], 0 offset:444
	;; [unrolled: 1-line block ×56, first 2 shown]
	v_mov_b32_e32 v121, 0
	s_mov_b32 s4, exec_lo
	ds_read_b128 v[5:8], v121 offset:1296
	s_clause 0x2
	buffer_load_dword v181, off, s[0:3], 0 offset:668
	buffer_load_dword v185, off, s[0:3], 0 offset:644
	;; [unrolled: 1-line block ×3, first 2 shown]
	ds_read_b128 v[122:125], v121 offset:1312
	s_clause 0x4
	buffer_load_dword v189, off, s[0:3], 0 offset:684
	buffer_load_dword v190, off, s[0:3], 0 offset:696
	;; [unrolled: 1-line block ×5, first 2 shown]
	ds_read_b128 v[126:129], v121 offset:1328
	s_waitcnt vmcnt(62) lgkmcnt(2)
	v_mul_f64 v[186:187], v[7:8], v[119:120]
	v_mul_f64 v[119:120], v[5:6], v[119:120]
	s_waitcnt vmcnt(60) lgkmcnt(1)
	v_mul_f64 v[193:194], v[124:125], v[130:131]
	v_mul_f64 v[130:131], v[122:123], v[130:131]
	;; [unrolled: 3-line block ×3, first 2 shown]
	v_fma_f64 v[186:187], v[5:6], v[132:133], -v[186:187]
	v_fma_f64 v[119:120], v[7:8], v[132:133], v[119:120]
	s_clause 0x2
	buffer_load_dword v191, off, s[0:3], 0 offset:700
	buffer_load_dword v133, off, s[0:3], 0 offset:676
	;; [unrolled: 1-line block ×3, first 2 shown]
	s_waitcnt vmcnt(57)
	v_fma_f64 v[122:123], v[122:123], v[1:2], -v[193:194]
	ds_read_b128 v[5:8], v121 offset:1344
	v_fma_f64 v[124:125], v[124:125], v[1:2], v[130:131]
	s_clause 0x4
	buffer_load_dword v131, off, s[0:3], 0 offset:716
	buffer_load_dword v194, off, s[0:3], 0 offset:728
	buffer_load_dword v199, off, s[0:3], 0 offset:720
	buffer_load_dword v130, off, s[0:3], 0 offset:712
	buffer_load_dword v193, off, s[0:3], 0 offset:692
	s_waitcnt vmcnt(56)
	v_fma_f64 v[126:127], v[126:127], v[140:141], -v[197:198]
	ds_read_b128 v[1:4], v121 offset:1360
	v_fma_f64 v[128:129], v[128:129], v[140:141], v[195:196]
	s_clause 0x2
	buffer_load_dword v195, off, s[0:3], 0 offset:732
	buffer_load_dword v141, off, s[0:3], 0 offset:708
	;; [unrolled: 1-line block ×3, first 2 shown]
	v_add_f64 v[186:187], v[186:187], 0
	v_add_f64 v[119:120], v[119:120], 0
	s_waitcnt lgkmcnt(1)
	v_mul_f64 v[200:201], v[5:6], v[134:135]
	v_mul_f64 v[134:135], v[7:8], v[134:135]
	s_waitcnt vmcnt(58) lgkmcnt(0)
	v_mul_f64 v[196:197], v[1:2], v[136:137]
	v_mul_f64 v[136:137], v[3:4], v[136:137]
	v_add_f64 v[186:187], v[186:187], v[122:123]
	v_add_f64 v[119:120], v[119:120], v[124:125]
	ds_read_b128 v[122:125], v121 offset:1376
	s_waitcnt vmcnt(56)
	v_fma_f64 v[134:135], v[5:6], v[142:143], -v[134:135]
	v_fma_f64 v[142:143], v[7:8], v[142:143], v[200:201]
	s_waitcnt vmcnt(51)
	v_fma_f64 v[136:137], v[1:2], v[138:139], -v[136:137]
	s_waitcnt lgkmcnt(0)
	v_mul_f64 v[202:203], v[122:123], v[144:145]
	v_add_f64 v[126:127], v[186:187], v[126:127]
	v_add_f64 v[119:120], v[119:120], v[128:129]
	s_clause 0x4
	buffer_load_dword v129, off, s[0:3], 0 offset:748
	buffer_load_dword v186, off, s[0:3], 0 offset:760
	;; [unrolled: 1-line block ×5, first 2 shown]
	v_mul_f64 v[144:145], v[124:125], v[144:145]
	ds_read_b128 v[5:8], v121 offset:1392
	v_add_f64 v[126:127], v[126:127], v[134:135]
	v_fma_f64 v[134:135], v[3:4], v[138:139], v[196:197]
	v_add_f64 v[119:120], v[119:120], v[142:143]
	s_clause 0x2
	buffer_load_dword v187, off, s[0:3], 0 offset:764
	buffer_load_dword v139, off, s[0:3], 0 offset:740
	;; [unrolled: 1-line block ×3, first 2 shown]
	s_waitcnt vmcnt(58) lgkmcnt(0)
	v_mul_f64 v[142:143], v[5:6], v[146:147]
	v_mul_f64 v[146:147], v[7:8], v[146:147]
	s_waitcnt vmcnt(56)
	v_fma_f64 v[144:145], v[122:123], v[150:151], -v[144:145]
	ds_read_b128 v[1:4], v121 offset:1408
	v_add_f64 v[126:127], v[126:127], v[136:137]
	v_fma_f64 v[136:137], v[124:125], v[150:151], v[202:203]
	v_add_f64 v[119:120], v[119:120], v[134:135]
	s_clause 0x4
	buffer_load_dword v135, off, s[0:3], 0 offset:780
	buffer_load_dword v150, off, s[0:3], 0 offset:792
	;; [unrolled: 1-line block ×5, first 2 shown]
	ds_read_b128 v[122:125], v121 offset:1424
	s_waitcnt vmcnt(57) lgkmcnt(1)
	v_mul_f64 v[197:198], v[1:2], v[152:153]
	v_mul_f64 v[152:153], v[3:4], v[152:153]
	s_waitcnt vmcnt(56)
	v_fma_f64 v[146:147], v[5:6], v[148:149], -v[146:147]
	v_fma_f64 v[142:143], v[7:8], v[148:149], v[142:143]
	v_add_f64 v[126:127], v[126:127], v[144:145]
	v_add_f64 v[119:120], v[119:120], v[136:137]
	s_clause 0x2
	buffer_load_dword v151, off, s[0:3], 0 offset:796
	buffer_load_dword v137, off, s[0:3], 0 offset:772
	;; [unrolled: 1-line block ×3, first 2 shown]
	s_waitcnt vmcnt(58) lgkmcnt(0)
	v_mul_f64 v[148:149], v[124:125], v[154:155]
	ds_read_b128 v[5:8], v121 offset:1440
	s_waitcnt vmcnt(56)
	v_fma_f64 v[152:153], v[1:2], v[158:159], -v[152:153]
	v_mul_f64 v[144:145], v[122:123], v[154:155]
	v_add_f64 v[126:127], v[126:127], v[146:147]
	v_fma_f64 v[146:147], v[3:4], v[158:159], v[197:198]
	v_add_f64 v[119:120], v[119:120], v[142:143]
	s_clause 0x4
	buffer_load_dword v143, off, s[0:3], 0 offset:812
	buffer_load_dword v154, off, s[0:3], 0 offset:824
	buffer_load_dword v158, off, s[0:3], 0 offset:816
	buffer_load_dword v142, off, s[0:3], 0 offset:808
	buffer_load_dword v197, off, s[0:3], 0 offset:788
	s_waitcnt vmcnt(57) lgkmcnt(0)
	v_mul_f64 v[203:204], v[5:6], v[160:161]
	v_mul_f64 v[159:160], v[7:8], v[160:161]
	s_waitcnt vmcnt(56)
	v_fma_f64 v[148:149], v[122:123], v[156:157], -v[148:149]
	ds_read_b128 v[1:4], v121 offset:1456
	v_fma_f64 v[144:145], v[124:125], v[156:157], v[144:145]
	v_add_f64 v[126:127], v[126:127], v[152:153]
	v_add_f64 v[119:120], v[119:120], v[146:147]
	s_clause 0x2
	buffer_load_dword v155, off, s[0:3], 0 offset:828
	buffer_load_dword v147, off, s[0:3], 0 offset:804
	buffer_load_dword v146, off, s[0:3], 0 offset:800
	ds_read_b128 v[122:125], v121 offset:1472
	s_waitcnt vmcnt(58) lgkmcnt(1)
	v_mul_f64 v[156:157], v[3:4], v[162:163]
	s_waitcnt vmcnt(56)
	v_fma_f64 v[160:161], v[5:6], v[166:167], -v[159:160]
	v_mul_f64 v[152:153], v[1:2], v[162:163]
	v_add_f64 v[126:127], v[126:127], v[148:149]
	v_fma_f64 v[148:149], v[7:8], v[166:167], v[203:204]
	v_add_f64 v[119:120], v[119:120], v[144:145]
	s_clause 0x4
	buffer_load_dword v145, off, s[0:3], 0 offset:844
	buffer_load_dword v162, off, s[0:3], 0 offset:856
	buffer_load_dword v166, off, s[0:3], 0 offset:848
	buffer_load_dword v144, off, s[0:3], 0 offset:840
	buffer_load_dword v159, off, s[0:3], 0 offset:820
	s_waitcnt vmcnt(57) lgkmcnt(0)
	v_mul_f64 v[203:204], v[122:123], v[168:169]
	v_mul_f64 v[167:168], v[124:125], v[168:169]
	s_waitcnt vmcnt(56)
	v_fma_f64 v[156:157], v[1:2], v[164:165], -v[156:157]
	ds_read_b128 v[5:8], v121 offset:1488
	v_fma_f64 v[152:153], v[3:4], v[164:165], v[152:153]
	v_add_f64 v[126:127], v[126:127], v[160:161]
	v_add_f64 v[119:120], v[119:120], v[148:149]
	s_clause 0x2
	buffer_load_dword v163, off, s[0:3], 0 offset:860
	buffer_load_dword v149, off, s[0:3], 0 offset:836
	buffer_load_dword v148, off, s[0:3], 0 offset:832
	ds_read_b128 v[1:4], v121 offset:1504
	s_waitcnt vmcnt(58) lgkmcnt(1)
	v_mul_f64 v[164:165], v[7:8], v[170:171]
	;; [unrolled: 28-line block ×3, first 2 shown]
	s_waitcnt vmcnt(56)
	v_fma_f64 v[176:177], v[1:2], v[184:185], -v[175:176]
	v_mul_f64 v[168:169], v[122:123], v[180:181]
	buffer_load_dword v175, off, s[0:3], 0 offset:884
	v_add_f64 v[126:127], v[126:127], v[164:165]
	v_fma_f64 v[164:165], v[3:4], v[184:185], v[203:204]
	v_add_f64 v[119:120], v[119:120], v[160:161]
	ds_read_b128 v[1:4], v121 offset:1552
	s_waitcnt vmcnt(53) lgkmcnt(1)
	v_mul_f64 v[180:181], v[7:8], v[188:189]
	s_waitcnt vmcnt(52)
	v_fma_f64 v[172:173], v[122:123], v[182:183], -v[172:173]
	v_mul_f64 v[160:161], v[5:6], v[188:189]
	v_fma_f64 v[168:169], v[124:125], v[182:183], v[168:169]
	ds_read_b128 v[122:125], v121 offset:1568
	v_add_f64 v[126:127], v[126:127], v[176:177]
	v_add_f64 v[119:120], v[119:120], v[164:165]
	s_waitcnt vmcnt(51) lgkmcnt(1)
	v_mul_f64 v[176:177], v[3:4], v[190:191]
	v_mul_f64 v[164:165], v[1:2], v[190:191]
	s_waitcnt vmcnt(49)
	v_fma_f64 v[180:181], v[5:6], v[132:133], -v[180:181]
	v_fma_f64 v[132:133], v[7:8], v[132:133], v[160:161]
	v_add_f64 v[126:127], v[126:127], v[172:173]
	s_waitcnt vmcnt(45) lgkmcnt(0)
	v_mul_f64 v[172:173], v[122:123], v[130:131]
	v_add_f64 v[119:120], v[119:120], v[168:169]
	s_clause 0x3
	buffer_load_dword v160, off, s[0:3], 0 offset:416
	buffer_load_dword v161, off, s[0:3], 0 offset:420
	;; [unrolled: 1-line block ×4, first 2 shown]
	v_mul_f64 v[130:131], v[124:125], v[130:131]
	ds_read_b128 v[5:8], v121 offset:1584
	s_waitcnt vmcnt(48)
	v_fma_f64 v[176:177], v[1:2], v[192:193], -v[176:177]
	v_fma_f64 v[164:165], v[3:4], v[192:193], v[164:165]
	ds_read_b128 v[1:4], v121 offset:1600
	v_add_f64 v[126:127], v[126:127], v[180:181]
	v_add_f64 v[119:120], v[119:120], v[132:133]
	s_waitcnt vmcnt(47) lgkmcnt(1)
	v_mul_f64 v[180:181], v[7:8], v[194:195]
	s_waitcnt vmcnt(45)
	v_fma_f64 v[130:131], v[122:123], v[140:141], -v[130:131]
	v_mul_f64 v[132:133], v[5:6], v[194:195]
	v_fma_f64 v[140:141], v[124:125], v[140:141], v[172:173]
	ds_read_b128 v[122:125], v121 offset:1616
	v_add_f64 v[126:127], v[126:127], v[176:177]
	v_add_f64 v[119:120], v[119:120], v[164:165]
	s_waitcnt vmcnt(41) lgkmcnt(1)
	v_mul_f64 v[164:165], v[1:2], v[128:129]
	v_mul_f64 v[128:129], v[3:4], v[128:129]
	s_waitcnt vmcnt(40)
	v_fma_f64 v[172:173], v[5:6], v[199:200], -v[180:181]
	v_add_f64 v[126:127], v[126:127], v[130:131]
	v_fma_f64 v[130:131], v[7:8], v[199:200], v[132:133]
	v_add_f64 v[119:120], v[119:120], v[140:141]
	ds_read_b128 v[5:8], v121 offset:1632
	s_waitcnt vmcnt(39) lgkmcnt(1)
	v_mul_f64 v[140:141], v[124:125], v[186:187]
	v_mul_f64 v[132:133], v[122:123], v[186:187]
	s_waitcnt vmcnt(37)
	v_fma_f64 v[128:129], v[1:2], v[138:139], -v[128:129]
	v_fma_f64 v[138:139], v[3:4], v[138:139], v[164:165]
	ds_read_b128 v[1:4], v121 offset:1648
	v_add_f64 v[126:127], v[126:127], v[172:173]
	v_add_f64 v[119:120], v[119:120], v[130:131]
	s_waitcnt vmcnt(33) lgkmcnt(1)
	v_mul_f64 v[130:131], v[5:6], v[134:135]
	v_mul_f64 v[134:135], v[7:8], v[134:135]
	s_waitcnt vmcnt(32)
	v_fma_f64 v[140:141], v[122:123], v[201:202], -v[140:141]
	v_add_f64 v[126:127], v[126:127], v[128:129]
	v_fma_f64 v[128:129], v[124:125], v[201:202], v[132:133]
	v_add_f64 v[119:120], v[119:120], v[138:139]
	ds_read_b128 v[122:125], v121 offset:1664
	s_waitcnt vmcnt(31) lgkmcnt(1)
	v_mul_f64 v[138:139], v[3:4], v[150:151]
	v_mul_f64 v[132:133], v[1:2], v[150:151]
	s_waitcnt vmcnt(29)
	v_fma_f64 v[134:135], v[5:6], v[136:137], -v[134:135]
	v_fma_f64 v[130:131], v[7:8], v[136:137], v[130:131]
	ds_read_b128 v[5:8], v121 offset:1680
	v_add_f64 v[126:127], v[126:127], v[140:141]
	v_add_f64 v[119:120], v[119:120], v[128:129]
	s_waitcnt vmcnt(25) lgkmcnt(1)
	v_mul_f64 v[136:137], v[124:125], v[142:143]
	s_waitcnt vmcnt(24)
	v_fma_f64 v[138:139], v[1:2], v[196:197], -v[138:139]
	v_mul_f64 v[128:129], v[122:123], v[142:143]
	v_fma_f64 v[132:133], v[3:4], v[196:197], v[132:133]
	ds_read_b128 v[1:4], v121 offset:1696
	v_add_f64 v[126:127], v[126:127], v[134:135]
	v_add_f64 v[119:120], v[119:120], v[130:131]
	s_waitcnt vmcnt(23) lgkmcnt(1)
	v_mul_f64 v[134:135], v[7:8], v[154:155]
	v_mul_f64 v[130:131], v[5:6], v[154:155]
	s_waitcnt vmcnt(21)
	v_fma_f64 v[136:137], v[122:123], v[146:147], -v[136:137]
	v_fma_f64 v[128:129], v[124:125], v[146:147], v[128:129]
	ds_read_b128 v[122:125], v121 offset:1712
	v_add_f64 v[126:127], v[126:127], v[138:139]
	v_add_f64 v[119:120], v[119:120], v[132:133]
	s_waitcnt vmcnt(17) lgkmcnt(1)
	v_mul_f64 v[138:139], v[3:4], v[144:145]
	s_waitcnt vmcnt(16)
	v_fma_f64 v[134:135], v[5:6], v[158:159], -v[134:135]
	v_mul_f64 v[132:133], v[1:2], v[144:145]
	v_fma_f64 v[130:131], v[7:8], v[158:159], v[130:131]
	ds_read_b128 v[5:8], v121 offset:1728
	v_add_f64 v[126:127], v[126:127], v[136:137]
	v_add_f64 v[119:120], v[119:120], v[128:129]
	s_waitcnt vmcnt(15) lgkmcnt(1)
	v_mul_f64 v[136:137], v[124:125], v[162:163]
	v_mul_f64 v[128:129], v[122:123], v[162:163]
	s_waitcnt vmcnt(13)
	v_fma_f64 v[138:139], v[1:2], v[148:149], -v[138:139]
	v_fma_f64 v[132:133], v[3:4], v[148:149], v[132:133]
	ds_read_b128 v[1:4], v121 offset:1744
	v_add_f64 v[126:127], v[126:127], v[134:135]
	v_add_f64 v[119:120], v[119:120], v[130:131]
	s_waitcnt vmcnt(9) lgkmcnt(1)
	v_mul_f64 v[134:135], v[7:8], v[152:153]
	s_waitcnt vmcnt(8)
	v_fma_f64 v[122:123], v[122:123], v[166:167], -v[136:137]
	v_mul_f64 v[130:131], v[5:6], v[152:153]
	v_fma_f64 v[124:125], v[124:125], v[166:167], v[128:129]
	v_add_f64 v[126:127], v[126:127], v[138:139]
	v_add_f64 v[119:120], v[119:120], v[132:133]
	s_waitcnt vmcnt(7) lgkmcnt(0)
	v_mul_f64 v[132:133], v[3:4], v[170:171]
	v_mul_f64 v[128:129], v[1:2], v[170:171]
	s_waitcnt vmcnt(5)
	v_fma_f64 v[5:6], v[5:6], v[156:157], -v[134:135]
	v_fma_f64 v[7:8], v[7:8], v[156:157], v[130:131]
	v_add_f64 v[122:123], v[126:127], v[122:123]
	v_add_f64 v[119:120], v[119:120], v[124:125]
	s_waitcnt vmcnt(4)
	v_fma_f64 v[1:2], v[1:2], v[174:175], -v[132:133]
	v_fma_f64 v[3:4], v[3:4], v[174:175], v[128:129]
	v_add_f64 v[5:6], v[122:123], v[5:6]
	v_add_f64 v[7:8], v[119:120], v[7:8]
	;; [unrolled: 1-line block ×4, first 2 shown]
	s_waitcnt vmcnt(2)
	v_add_f64 v[1:2], v[160:161], -v[1:2]
	s_waitcnt vmcnt(0)
	v_add_f64 v[3:4], v[168:169], -v[3:4]
	buffer_store_dword v2, off, s[0:3], 0 offset:420
	buffer_store_dword v1, off, s[0:3], 0 offset:416
	;; [unrolled: 1-line block ×4, first 2 shown]
	v_cmpx_lt_u32_e32 24, v0
	s_cbranch_execz .LBB118_295
; %bb.294:
	v_mov_b32_e32 v4, s43
	s_clause 0x3
	buffer_load_dword v1, v4, s[0:3], 0 offen
	buffer_load_dword v2, v4, s[0:3], 0 offen offset:4
	buffer_load_dword v3, v4, s[0:3], 0 offen offset:8
	;; [unrolled: 1-line block ×3, first 2 shown]
	buffer_store_dword v121, off, s[0:3], 0 offset:400
	buffer_store_dword v121, off, s[0:3], 0 offset:404
	;; [unrolled: 1-line block ×4, first 2 shown]
	s_waitcnt vmcnt(0)
	ds_write_b128 v179, v[1:4]
.LBB118_295:
	s_or_b32 exec_lo, exec_lo, s4
	s_waitcnt lgkmcnt(0)
	s_waitcnt_vscnt null, 0x0
	s_barrier
	buffer_gl0_inv
	s_clause 0x37
	buffer_load_dword v119, off, s[0:3], 0 offset:424
	buffer_load_dword v120, off, s[0:3], 0 offset:428
	;; [unrolled: 1-line block ×56, first 2 shown]
	ds_read_b128 v[122:125], v121 offset:1280
	s_clause 0x2
	buffer_load_dword v181, off, s[0:3], 0 offset:652
	buffer_load_dword v185, off, s[0:3], 0 offset:628
	;; [unrolled: 1-line block ×3, first 2 shown]
	ds_read_b128 v[126:129], v121 offset:1296
	s_clause 0x4
	buffer_load_dword v189, off, s[0:3], 0 offset:668
	buffer_load_dword v190, off, s[0:3], 0 offset:680
	;; [unrolled: 1-line block ×5, first 2 shown]
	ds_read_b128 v[130:133], v121 offset:1312
	s_clause 0x2
	buffer_load_dword v191, off, s[0:3], 0 offset:684
	buffer_load_dword v196, off, s[0:3], 0 offset:660
	;; [unrolled: 1-line block ×3, first 2 shown]
	s_mov_b32 s4, exec_lo
	s_waitcnt vmcnt(62) lgkmcnt(2)
	v_mul_f64 v[186:187], v[124:125], v[119:120]
	v_mul_f64 v[119:120], v[122:123], v[119:120]
	s_waitcnt lgkmcnt(1)
	v_mul_f64 v[193:194], v[128:129], v[5:6]
	s_waitcnt vmcnt(59) lgkmcnt(0)
	v_mul_f64 v[197:198], v[132:133], v[3:4]
	v_fma_f64 v[122:123], v[122:123], v[7:8], -v[186:187]
	v_mul_f64 v[186:187], v[126:127], v[5:6]
	v_fma_f64 v[119:120], v[124:125], v[7:8], v[119:120]
	s_waitcnt vmcnt(57)
	v_fma_f64 v[126:127], v[126:127], v[1:2], -v[193:194]
	ds_read_b128 v[5:8], v121 offset:1328
	v_mul_f64 v[124:125], v[130:131], v[3:4]
	s_waitcnt vmcnt(51)
	v_fma_f64 v[130:131], v[130:131], v[140:141], -v[197:198]
	v_add_f64 v[122:123], v[122:123], 0
	v_fma_f64 v[128:129], v[128:129], v[1:2], v[186:187]
	v_add_f64 v[119:120], v[119:120], 0
	s_clause 0x4
	buffer_load_dword v187, off, s[0:3], 0 offset:700
	buffer_load_dword v199, off, s[0:3], 0 offset:712
	;; [unrolled: 1-line block ×5, first 2 shown]
	s_waitcnt lgkmcnt(0)
	v_mul_f64 v[202:203], v[5:6], v[134:135]
	v_mul_f64 v[134:135], v[7:8], v[134:135]
	ds_read_b128 v[1:4], v121 offset:1344
	v_fma_f64 v[132:133], v[132:133], v[140:141], v[124:125]
	v_add_f64 v[126:127], v[122:123], v[126:127]
	v_add_f64 v[119:120], v[119:120], v[128:129]
	s_clause 0x2
	buffer_load_dword v200, off, s[0:3], 0 offset:716
	buffer_load_dword v129, off, s[0:3], 0 offset:692
	;; [unrolled: 1-line block ×3, first 2 shown]
	s_waitcnt vmcnt(58) lgkmcnt(0)
	v_mul_f64 v[140:141], v[1:2], v[136:137]
	v_mul_f64 v[136:137], v[3:4], v[136:137]
	s_waitcnt vmcnt(56)
	v_fma_f64 v[134:135], v[5:6], v[142:143], -v[134:135]
	ds_read_b128 v[122:125], v121 offset:1360
	v_add_f64 v[126:127], v[126:127], v[130:131]
	v_fma_f64 v[130:131], v[7:8], v[142:143], v[202:203]
	v_add_f64 v[119:120], v[119:120], v[132:133]
	s_clause 0x4
	buffer_load_dword v133, off, s[0:3], 0 offset:732
	buffer_load_dword v142, off, s[0:3], 0 offset:744
	;; [unrolled: 1-line block ×5, first 2 shown]
	ds_read_b128 v[5:8], v121 offset:1376
	s_waitcnt vmcnt(57) lgkmcnt(1)
	v_mul_f64 v[203:204], v[122:123], v[144:145]
	v_mul_f64 v[144:145], v[124:125], v[144:145]
	s_waitcnt vmcnt(56)
	v_fma_f64 v[136:137], v[1:2], v[138:139], -v[136:137]
	v_add_f64 v[126:127], v[126:127], v[134:135]
	v_fma_f64 v[134:135], v[3:4], v[138:139], v[140:141]
	v_add_f64 v[119:120], v[119:120], v[130:131]
	s_clause 0x2
	buffer_load_dword v143, off, s[0:3], 0 offset:748
	buffer_load_dword v131, off, s[0:3], 0 offset:724
	;; [unrolled: 1-line block ×3, first 2 shown]
	s_waitcnt vmcnt(58) lgkmcnt(0)
	v_mul_f64 v[140:141], v[7:8], v[146:147]
	ds_read_b128 v[1:4], v121 offset:1392
	s_waitcnt vmcnt(56)
	v_fma_f64 v[144:145], v[122:123], v[150:151], -v[144:145]
	v_mul_f64 v[138:139], v[5:6], v[146:147]
	v_add_f64 v[126:127], v[126:127], v[136:137]
	v_fma_f64 v[136:137], v[124:125], v[150:151], v[203:204]
	v_add_f64 v[119:120], v[119:120], v[134:135]
	s_clause 0x4
	buffer_load_dword v135, off, s[0:3], 0 offset:764
	buffer_load_dword v146, off, s[0:3], 0 offset:776
	buffer_load_dword v150, off, s[0:3], 0 offset:768
	buffer_load_dword v134, off, s[0:3], 0 offset:760
	buffer_load_dword v198, off, s[0:3], 0 offset:740
	s_waitcnt vmcnt(57) lgkmcnt(0)
	v_mul_f64 v[203:204], v[1:2], v[152:153]
	v_mul_f64 v[151:152], v[3:4], v[152:153]
	s_waitcnt vmcnt(56)
	v_fma_f64 v[140:141], v[5:6], v[148:149], -v[140:141]
	ds_read_b128 v[122:125], v121 offset:1408
	v_fma_f64 v[138:139], v[7:8], v[148:149], v[138:139]
	v_add_f64 v[126:127], v[126:127], v[144:145]
	v_add_f64 v[119:120], v[119:120], v[136:137]
	s_clause 0x2
	buffer_load_dword v147, off, s[0:3], 0 offset:780
	buffer_load_dword v137, off, s[0:3], 0 offset:756
	buffer_load_dword v136, off, s[0:3], 0 offset:752
	ds_read_b128 v[5:8], v121 offset:1424
	s_waitcnt vmcnt(58) lgkmcnt(1)
	v_mul_f64 v[148:149], v[124:125], v[154:155]
	s_waitcnt vmcnt(56)
	v_fma_f64 v[152:153], v[1:2], v[158:159], -v[151:152]
	v_mul_f64 v[144:145], v[122:123], v[154:155]
	v_add_f64 v[126:127], v[126:127], v[140:141]
	v_fma_f64 v[140:141], v[3:4], v[158:159], v[203:204]
	v_add_f64 v[119:120], v[119:120], v[138:139]
	s_clause 0x4
	buffer_load_dword v139, off, s[0:3], 0 offset:796
	buffer_load_dword v154, off, s[0:3], 0 offset:808
	buffer_load_dword v158, off, s[0:3], 0 offset:800
	buffer_load_dword v138, off, s[0:3], 0 offset:792
	buffer_load_dword v151, off, s[0:3], 0 offset:772
	s_waitcnt vmcnt(57) lgkmcnt(0)
	v_mul_f64 v[203:204], v[5:6], v[160:161]
	v_mul_f64 v[159:160], v[7:8], v[160:161]
	s_waitcnt vmcnt(56)
	v_fma_f64 v[148:149], v[122:123], v[156:157], -v[148:149]
	ds_read_b128 v[1:4], v121 offset:1440
	v_fma_f64 v[144:145], v[124:125], v[156:157], v[144:145]
	v_add_f64 v[126:127], v[126:127], v[152:153]
	v_add_f64 v[119:120], v[119:120], v[140:141]
	s_clause 0x2
	buffer_load_dword v155, off, s[0:3], 0 offset:812
	buffer_load_dword v141, off, s[0:3], 0 offset:788
	buffer_load_dword v140, off, s[0:3], 0 offset:784
	ds_read_b128 v[122:125], v121 offset:1456
	s_waitcnt vmcnt(58) lgkmcnt(1)
	v_mul_f64 v[156:157], v[3:4], v[162:163]
	s_waitcnt vmcnt(56)
	v_fma_f64 v[160:161], v[5:6], v[166:167], -v[159:160]
	v_mul_f64 v[152:153], v[1:2], v[162:163]
	v_add_f64 v[126:127], v[126:127], v[148:149]
	v_fma_f64 v[148:149], v[7:8], v[166:167], v[203:204]
	v_add_f64 v[119:120], v[119:120], v[144:145]
	s_clause 0x4
	buffer_load_dword v145, off, s[0:3], 0 offset:828
	buffer_load_dword v162, off, s[0:3], 0 offset:840
	buffer_load_dword v166, off, s[0:3], 0 offset:832
	buffer_load_dword v144, off, s[0:3], 0 offset:824
	buffer_load_dword v159, off, s[0:3], 0 offset:804
	s_waitcnt vmcnt(57) lgkmcnt(0)
	v_mul_f64 v[203:204], v[122:123], v[168:169]
	v_mul_f64 v[167:168], v[124:125], v[168:169]
	s_waitcnt vmcnt(56)
	v_fma_f64 v[156:157], v[1:2], v[164:165], -v[156:157]
	ds_read_b128 v[5:8], v121 offset:1472
	v_fma_f64 v[152:153], v[3:4], v[164:165], v[152:153]
	v_add_f64 v[126:127], v[126:127], v[160:161]
	v_add_f64 v[119:120], v[119:120], v[148:149]
	s_clause 0x2
	buffer_load_dword v163, off, s[0:3], 0 offset:844
	buffer_load_dword v149, off, s[0:3], 0 offset:820
	buffer_load_dword v148, off, s[0:3], 0 offset:816
	ds_read_b128 v[1:4], v121 offset:1488
	s_waitcnt vmcnt(58) lgkmcnt(1)
	v_mul_f64 v[164:165], v[7:8], v[170:171]
	s_waitcnt vmcnt(56)
	v_fma_f64 v[168:169], v[122:123], v[174:175], -v[167:168]
	v_mul_f64 v[160:161], v[5:6], v[170:171]
	v_add_f64 v[126:127], v[126:127], v[156:157]
	v_fma_f64 v[156:157], v[124:125], v[174:175], v[203:204]
	v_add_f64 v[119:120], v[119:120], v[152:153]
	s_clause 0x4
	buffer_load_dword v153, off, s[0:3], 0 offset:860
	buffer_load_dword v170, off, s[0:3], 0 offset:872
	buffer_load_dword v174, off, s[0:3], 0 offset:864
	buffer_load_dword v152, off, s[0:3], 0 offset:856
	buffer_load_dword v167, off, s[0:3], 0 offset:836
	s_waitcnt vmcnt(57) lgkmcnt(0)
	v_mul_f64 v[203:204], v[1:2], v[176:177]
	v_mul_f64 v[175:176], v[3:4], v[176:177]
	s_waitcnt vmcnt(56)
	v_fma_f64 v[164:165], v[5:6], v[172:173], -v[164:165]
	ds_read_b128 v[122:125], v121 offset:1504
	v_fma_f64 v[160:161], v[7:8], v[172:173], v[160:161]
	v_add_f64 v[126:127], v[126:127], v[168:169]
	v_add_f64 v[119:120], v[119:120], v[156:157]
	s_clause 0x2
	buffer_load_dword v171, off, s[0:3], 0 offset:876
	buffer_load_dword v157, off, s[0:3], 0 offset:852
	buffer_load_dword v156, off, s[0:3], 0 offset:848
	ds_read_b128 v[5:8], v121 offset:1520
	s_waitcnt vmcnt(58) lgkmcnt(1)
	v_mul_f64 v[172:173], v[124:125], v[180:181]
	s_waitcnt vmcnt(56)
	v_fma_f64 v[176:177], v[1:2], v[184:185], -v[175:176]
	v_mul_f64 v[168:169], v[122:123], v[180:181]
	v_add_f64 v[126:127], v[126:127], v[164:165]
	v_fma_f64 v[164:165], v[3:4], v[184:185], v[203:204]
	v_add_f64 v[119:120], v[119:120], v[160:161]
	s_clause 0x2
	buffer_load_dword v161, off, s[0:3], 0 offset:892
	buffer_load_dword v160, off, s[0:3], 0 offset:888
	;; [unrolled: 1-line block ×3, first 2 shown]
	s_waitcnt vmcnt(55) lgkmcnt(0)
	v_mul_f64 v[184:185], v[7:8], v[188:189]
	s_waitcnt vmcnt(54)
	v_fma_f64 v[172:173], v[122:123], v[182:183], -v[172:173]
	ds_read_b128 v[1:4], v121 offset:1536
	v_mul_f64 v[180:181], v[5:6], v[188:189]
	v_fma_f64 v[168:169], v[124:125], v[182:183], v[168:169]
	v_add_f64 v[126:127], v[126:127], v[176:177]
	v_add_f64 v[119:120], v[119:120], v[164:165]
	s_clause 0x1
	buffer_load_dword v165, off, s[0:3], 0 offset:884
	buffer_load_dword v164, off, s[0:3], 0 offset:880
	s_waitcnt vmcnt(55) lgkmcnt(0)
	v_mul_f64 v[182:183], v[3:4], v[190:191]
	s_waitcnt vmcnt(53)
	v_fma_f64 v[184:185], v[5:6], v[195:196], -v[184:185]
	ds_read_b128 v[122:125], v121 offset:1552
	v_mul_f64 v[176:177], v[1:2], v[190:191]
	v_add_f64 v[126:127], v[126:127], v[172:173]
	v_fma_f64 v[172:173], v[7:8], v[195:196], v[180:181]
	v_add_f64 v[119:120], v[119:120], v[168:169]
	ds_read_b128 v[5:8], v121 offset:1568
	s_waitcnt vmcnt(49) lgkmcnt(1)
	v_mul_f64 v[180:181], v[124:125], v[186:187]
	s_waitcnt vmcnt(48)
	v_fma_f64 v[182:183], v[1:2], v[192:193], -v[182:183]
	v_mul_f64 v[168:169], v[122:123], v[186:187]
	v_fma_f64 v[176:177], v[3:4], v[192:193], v[176:177]
	v_add_f64 v[126:127], v[126:127], v[184:185]
	v_add_f64 v[119:120], v[119:120], v[172:173]
	s_clause 0x3
	buffer_load_dword v172, off, s[0:3], 0 offset:400
	buffer_load_dword v173, off, s[0:3], 0 offset:404
	;; [unrolled: 1-line block ×4, first 2 shown]
	ds_read_b128 v[1:4], v121 offset:1584
	s_waitcnt vmcnt(51) lgkmcnt(1)
	v_mul_f64 v[188:189], v[7:8], v[199:200]
	v_mul_f64 v[186:187], v[5:6], v[199:200]
	s_waitcnt vmcnt(49)
	v_fma_f64 v[180:181], v[122:123], v[128:129], -v[180:181]
	v_fma_f64 v[128:129], v[124:125], v[128:129], v[168:169]
	ds_read_b128 v[122:125], v121 offset:1600
	v_add_f64 v[126:127], v[126:127], v[182:183]
	v_add_f64 v[119:120], v[119:120], v[176:177]
	s_waitcnt vmcnt(45) lgkmcnt(1)
	v_mul_f64 v[168:169], v[1:2], v[132:133]
	v_mul_f64 v[132:133], v[3:4], v[132:133]
	s_waitcnt vmcnt(44)
	v_fma_f64 v[176:177], v[5:6], v[201:202], -v[188:189]
	v_add_f64 v[126:127], v[126:127], v[180:181]
	v_fma_f64 v[180:181], v[7:8], v[201:202], v[186:187]
	v_add_f64 v[119:120], v[119:120], v[128:129]
	ds_read_b128 v[5:8], v121 offset:1616
	s_waitcnt vmcnt(43) lgkmcnt(1)
	v_mul_f64 v[128:129], v[122:123], v[142:143]
	v_mul_f64 v[142:143], v[124:125], v[142:143]
	s_waitcnt vmcnt(41)
	v_fma_f64 v[132:133], v[1:2], v[130:131], -v[132:133]
	v_fma_f64 v[130:131], v[3:4], v[130:131], v[168:169]
	ds_read_b128 v[1:4], v121 offset:1632
	v_add_f64 v[126:127], v[126:127], v[176:177]
	v_add_f64 v[119:120], v[119:120], v[180:181]
	s_waitcnt vmcnt(37) lgkmcnt(1)
	v_mul_f64 v[168:169], v[5:6], v[134:135]
	v_mul_f64 v[134:135], v[7:8], v[134:135]
	s_waitcnt vmcnt(36)
	v_fma_f64 v[142:143], v[122:123], v[197:198], -v[142:143]
	v_fma_f64 v[128:129], v[124:125], v[197:198], v[128:129]
	ds_read_b128 v[122:125], v121 offset:1648
	v_add_f64 v[126:127], v[126:127], v[132:133]
	v_add_f64 v[119:120], v[119:120], v[130:131]
	;; [unrolled: 9-line block ×5, first 2 shown]
	s_waitcnt vmcnt(21) lgkmcnt(1)
	v_mul_f64 v[132:133], v[3:4], v[144:145]
	s_waitcnt vmcnt(20)
	v_fma_f64 v[136:137], v[5:6], v[158:159], -v[136:137]
	v_mul_f64 v[130:131], v[1:2], v[144:145]
	v_fma_f64 v[134:135], v[7:8], v[158:159], v[134:135]
	ds_read_b128 v[5:8], v121 offset:1712
	v_add_f64 v[126:127], v[126:127], v[138:139]
	v_add_f64 v[119:120], v[119:120], v[128:129]
	s_waitcnt vmcnt(19) lgkmcnt(1)
	v_mul_f64 v[138:139], v[124:125], v[162:163]
	v_mul_f64 v[128:129], v[122:123], v[162:163]
	s_waitcnt vmcnt(17)
	v_fma_f64 v[132:133], v[1:2], v[148:149], -v[132:133]
	v_fma_f64 v[130:131], v[3:4], v[148:149], v[130:131]
	ds_read_b128 v[1:4], v121 offset:1728
	v_add_f64 v[126:127], v[126:127], v[136:137]
	v_add_f64 v[119:120], v[119:120], v[134:135]
	s_waitcnt vmcnt(13) lgkmcnt(1)
	v_mul_f64 v[136:137], v[7:8], v[152:153]
	s_waitcnt vmcnt(12)
	v_fma_f64 v[138:139], v[122:123], v[166:167], -v[138:139]
	v_mul_f64 v[134:135], v[5:6], v[152:153]
	v_fma_f64 v[123:124], v[124:125], v[166:167], v[128:129]
	v_add_f64 v[126:127], v[126:127], v[132:133]
	v_add_f64 v[128:129], v[119:120], v[130:131]
	ds_read_b128 v[119:122], v121 offset:1744
	s_waitcnt vmcnt(11) lgkmcnt(1)
	v_mul_f64 v[132:133], v[3:4], v[170:171]
	v_mul_f64 v[130:131], v[1:2], v[170:171]
	s_waitcnt vmcnt(9)
	v_fma_f64 v[5:6], v[5:6], v[156:157], -v[136:137]
	v_fma_f64 v[7:8], v[7:8], v[156:157], v[134:135]
	v_add_f64 v[125:126], v[126:127], v[138:139]
	v_add_f64 v[123:124], v[128:129], v[123:124]
	s_waitcnt vmcnt(7) lgkmcnt(0)
	v_mul_f64 v[134:135], v[121:122], v[160:161]
	s_waitcnt vmcnt(6)
	v_fma_f64 v[1:2], v[1:2], v[174:175], -v[132:133]
	v_mul_f64 v[127:128], v[119:120], v[160:161]
	v_fma_f64 v[3:4], v[3:4], v[174:175], v[130:131]
	v_add_f64 v[5:6], v[125:126], v[5:6]
	v_add_f64 v[7:8], v[123:124], v[7:8]
	s_waitcnt vmcnt(4)
	v_fma_f64 v[119:120], v[119:120], v[164:165], -v[134:135]
	v_add_f64 v[1:2], v[5:6], v[1:2]
	v_fma_f64 v[5:6], v[121:122], v[164:165], v[127:128]
	v_add_f64 v[3:4], v[7:8], v[3:4]
	v_add_f64 v[1:2], v[1:2], v[119:120]
	;; [unrolled: 1-line block ×3, first 2 shown]
	s_waitcnt vmcnt(2)
	v_add_f64 v[1:2], v[172:173], -v[1:2]
	s_waitcnt vmcnt(0)
	v_add_f64 v[3:4], v[184:185], -v[3:4]
	buffer_store_dword v2, off, s[0:3], 0 offset:404
	buffer_store_dword v1, off, s[0:3], 0 offset:400
	;; [unrolled: 1-line block ×4, first 2 shown]
	v_cmpx_lt_u32_e32 23, v0
	s_cbranch_execz .LBB118_297
; %bb.296:
	v_mov_b32_e32 v4, s44
	v_mov_b32_e32 v5, 0
	s_clause 0x3
	buffer_load_dword v1, v4, s[0:3], 0 offen
	buffer_load_dword v2, v4, s[0:3], 0 offen offset:4
	buffer_load_dword v3, v4, s[0:3], 0 offen offset:8
	;; [unrolled: 1-line block ×3, first 2 shown]
	buffer_store_dword v5, off, s[0:3], 0 offset:384
	buffer_store_dword v5, off, s[0:3], 0 offset:388
	buffer_store_dword v5, off, s[0:3], 0 offset:392
	buffer_store_dword v5, off, s[0:3], 0 offset:396
	s_waitcnt vmcnt(0)
	ds_write_b128 v179, v[1:4]
.LBB118_297:
	s_or_b32 exec_lo, exec_lo, s4
	s_waitcnt lgkmcnt(0)
	s_waitcnt_vscnt null, 0x0
	s_barrier
	buffer_gl0_inv
	s_clause 0x37
	buffer_load_dword v119, off, s[0:3], 0 offset:408
	buffer_load_dword v120, off, s[0:3], 0 offset:412
	;; [unrolled: 1-line block ×56, first 2 shown]
	v_mov_b32_e32 v139, 0
	s_mov_b32 s4, exec_lo
	ds_read_b128 v[127:130], v139 offset:1264
	s_clause 0x2
	buffer_load_dword v181, off, s[0:3], 0 offset:636
	buffer_load_dword v185, off, s[0:3], 0 offset:612
	buffer_load_dword v184, off, s[0:3], 0 offset:608
	ds_read_b128 v[131:134], v139 offset:1280
	s_clause 0x4
	buffer_load_dword v189, off, s[0:3], 0 offset:652
	buffer_load_dword v190, off, s[0:3], 0 offset:664
	;; [unrolled: 1-line block ×5, first 2 shown]
	ds_read_b128 v[135:138], v139 offset:1296
	s_clause 0x2
	buffer_load_dword v191, off, s[0:3], 0 offset:668
	buffer_load_dword v196, off, s[0:3], 0 offset:644
	;; [unrolled: 1-line block ×3, first 2 shown]
	s_waitcnt vmcnt(62) lgkmcnt(2)
	v_mul_f64 v[186:187], v[129:130], v[119:120]
	v_mul_f64 v[119:120], v[127:128], v[119:120]
	s_waitcnt lgkmcnt(1)
	v_mul_f64 v[193:194], v[133:134], v[5:6]
	s_waitcnt vmcnt(59) lgkmcnt(0)
	v_mul_f64 v[197:198], v[137:138], v[3:4]
	v_fma_f64 v[127:128], v[127:128], v[7:8], -v[186:187]
	v_mul_f64 v[186:187], v[131:132], v[5:6]
	v_fma_f64 v[119:120], v[129:130], v[7:8], v[119:120]
	s_waitcnt vmcnt(57)
	v_fma_f64 v[131:132], v[131:132], v[1:2], -v[193:194]
	ds_read_b128 v[5:8], v139 offset:1312
	v_mul_f64 v[129:130], v[135:136], v[3:4]
	s_waitcnt vmcnt(51)
	v_fma_f64 v[135:136], v[135:136], v[142:143], -v[197:198]
	v_add_f64 v[127:128], v[127:128], 0
	v_fma_f64 v[133:134], v[133:134], v[1:2], v[186:187]
	v_add_f64 v[119:120], v[119:120], 0
	s_clause 0x4
	buffer_load_dword v187, off, s[0:3], 0 offset:684
	buffer_load_dword v199, off, s[0:3], 0 offset:696
	;; [unrolled: 1-line block ×5, first 2 shown]
	s_waitcnt lgkmcnt(0)
	v_mul_f64 v[202:203], v[5:6], v[123:124]
	v_mul_f64 v[123:124], v[7:8], v[123:124]
	ds_read_b128 v[1:4], v139 offset:1328
	v_fma_f64 v[137:138], v[137:138], v[142:143], v[129:130]
	v_add_f64 v[131:132], v[127:128], v[131:132]
	v_add_f64 v[119:120], v[119:120], v[133:134]
	s_clause 0x2
	buffer_load_dword v200, off, s[0:3], 0 offset:700
	buffer_load_dword v134, off, s[0:3], 0 offset:676
	;; [unrolled: 1-line block ×3, first 2 shown]
	s_waitcnt vmcnt(58) lgkmcnt(0)
	v_mul_f64 v[142:143], v[1:2], v[140:141]
	v_mul_f64 v[140:141], v[3:4], v[140:141]
	s_waitcnt vmcnt(56)
	v_fma_f64 v[123:124], v[5:6], v[144:145], -v[123:124]
	ds_read_b128 v[127:130], v139 offset:1344
	v_add_f64 v[131:132], v[131:132], v[135:136]
	v_fma_f64 v[135:136], v[7:8], v[144:145], v[202:203]
	v_add_f64 v[119:120], v[119:120], v[137:138]
	s_clause 0x4
	buffer_load_dword v138, off, s[0:3], 0 offset:716
	buffer_load_dword v144, off, s[0:3], 0 offset:728
	;; [unrolled: 1-line block ×5, first 2 shown]
	ds_read_b128 v[5:8], v139 offset:1360
	s_waitcnt vmcnt(57) lgkmcnt(1)
	v_mul_f64 v[203:204], v[127:128], v[146:147]
	v_mul_f64 v[146:147], v[129:130], v[146:147]
	s_waitcnt vmcnt(56)
	v_fma_f64 v[140:141], v[1:2], v[121:122], -v[140:141]
	v_fma_f64 v[121:122], v[3:4], v[121:122], v[142:143]
	v_add_f64 v[123:124], v[131:132], v[123:124]
	s_clause 0x2
	buffer_load_dword v145, off, s[0:3], 0 offset:732
	buffer_load_dword v132, off, s[0:3], 0 offset:708
	buffer_load_dword v131, off, s[0:3], 0 offset:704
	v_add_f64 v[119:120], v[119:120], v[135:136]
	s_waitcnt vmcnt(58) lgkmcnt(0)
	v_mul_f64 v[142:143], v[7:8], v[148:149]
	ds_read_b128 v[1:4], v139 offset:1376
	v_mul_f64 v[135:136], v[5:6], v[148:149]
	s_waitcnt vmcnt(56)
	v_fma_f64 v[127:128], v[127:128], v[150:151], -v[146:147]
	v_fma_f64 v[129:130], v[129:130], v[150:151], v[203:204]
	s_clause 0x4
	buffer_load_dword v147, off, s[0:3], 0 offset:748
	buffer_load_dword v148, off, s[0:3], 0 offset:760
	;; [unrolled: 1-line block ×5, first 2 shown]
	v_add_f64 v[123:124], v[123:124], v[140:141]
	v_add_f64 v[140:141], v[119:120], v[121:122]
	s_waitcnt vmcnt(57) lgkmcnt(0)
	v_mul_f64 v[203:204], v[1:2], v[152:153]
	v_mul_f64 v[151:152], v[3:4], v[152:153]
	s_waitcnt vmcnt(56)
	v_fma_f64 v[142:143], v[5:6], v[125:126], -v[142:143]
	ds_read_b128 v[119:122], v139 offset:1392
	v_fma_f64 v[125:126], v[7:8], v[125:126], v[135:136]
	v_add_f64 v[123:124], v[123:124], v[127:128]
	v_add_f64 v[127:128], v[140:141], v[129:130]
	s_clause 0x2
	buffer_load_dword v149, off, s[0:3], 0 offset:764
	buffer_load_dword v130, off, s[0:3], 0 offset:740
	;; [unrolled: 1-line block ×3, first 2 shown]
	s_waitcnt vmcnt(58) lgkmcnt(0)
	v_mul_f64 v[140:141], v[121:122], v[154:155]
	s_waitcnt vmcnt(56)
	v_fma_f64 v[152:153], v[1:2], v[158:159], -v[151:152]
	ds_read_b128 v[5:8], v139 offset:1408
	v_mul_f64 v[135:136], v[119:120], v[154:155]
	v_add_f64 v[123:124], v[123:124], v[142:143]
	v_fma_f64 v[142:143], v[3:4], v[158:159], v[203:204]
	v_add_f64 v[125:126], v[127:128], v[125:126]
	s_clause 0x4
	buffer_load_dword v128, off, s[0:3], 0 offset:780
	buffer_load_dword v154, off, s[0:3], 0 offset:792
	buffer_load_dword v158, off, s[0:3], 0 offset:784
	buffer_load_dword v127, off, s[0:3], 0 offset:776
	buffer_load_dword v151, off, s[0:3], 0 offset:756
	s_waitcnt vmcnt(57) lgkmcnt(0)
	v_mul_f64 v[203:204], v[5:6], v[160:161]
	v_mul_f64 v[159:160], v[7:8], v[160:161]
	s_waitcnt vmcnt(56)
	v_fma_f64 v[140:141], v[119:120], v[156:157], -v[140:141]
	ds_read_b128 v[1:4], v139 offset:1424
	v_fma_f64 v[135:136], v[121:122], v[156:157], v[135:136]
	v_add_f64 v[123:124], v[123:124], v[152:153]
	v_add_f64 v[125:126], v[125:126], v[142:143]
	s_clause 0x2
	buffer_load_dword v155, off, s[0:3], 0 offset:796
	buffer_load_dword v143, off, s[0:3], 0 offset:772
	buffer_load_dword v142, off, s[0:3], 0 offset:768
	ds_read_b128 v[119:122], v139 offset:1440
	s_waitcnt vmcnt(58) lgkmcnt(1)
	v_mul_f64 v[156:157], v[3:4], v[162:163]
	s_waitcnt vmcnt(56)
	v_fma_f64 v[160:161], v[5:6], v[166:167], -v[159:160]
	v_mul_f64 v[152:153], v[1:2], v[162:163]
	v_add_f64 v[123:124], v[123:124], v[140:141]
	v_fma_f64 v[140:141], v[7:8], v[166:167], v[203:204]
	v_add_f64 v[125:126], v[125:126], v[135:136]
	s_clause 0x4
	buffer_load_dword v136, off, s[0:3], 0 offset:812
	buffer_load_dword v162, off, s[0:3], 0 offset:824
	buffer_load_dword v166, off, s[0:3], 0 offset:816
	buffer_load_dword v135, off, s[0:3], 0 offset:808
	buffer_load_dword v159, off, s[0:3], 0 offset:788
	s_waitcnt vmcnt(57) lgkmcnt(0)
	v_mul_f64 v[203:204], v[119:120], v[168:169]
	v_mul_f64 v[167:168], v[121:122], v[168:169]
	s_waitcnt vmcnt(56)
	v_fma_f64 v[156:157], v[1:2], v[164:165], -v[156:157]
	ds_read_b128 v[5:8], v139 offset:1456
	v_fma_f64 v[152:153], v[3:4], v[164:165], v[152:153]
	v_add_f64 v[123:124], v[123:124], v[160:161]
	v_add_f64 v[125:126], v[125:126], v[140:141]
	s_clause 0x2
	buffer_load_dword v163, off, s[0:3], 0 offset:828
	buffer_load_dword v141, off, s[0:3], 0 offset:804
	buffer_load_dword v140, off, s[0:3], 0 offset:800
	ds_read_b128 v[1:4], v139 offset:1472
	s_waitcnt vmcnt(58) lgkmcnt(1)
	v_mul_f64 v[164:165], v[7:8], v[170:171]
	s_waitcnt vmcnt(56)
	v_fma_f64 v[168:169], v[119:120], v[174:175], -v[167:168]
	;; [unrolled: 28-line block ×4, first 2 shown]
	v_mul_f64 v[176:177], v[1:2], v[190:191]
	buffer_load_dword v185, off, s[0:3], 0 offset:884
	v_add_f64 v[123:124], v[123:124], v[172:173]
	v_fma_f64 v[172:173], v[7:8], v[195:196], v[203:204]
	v_add_f64 v[125:126], v[125:126], v[168:169]
	ds_read_b128 v[5:8], v139 offset:1552
	s_waitcnt vmcnt(53) lgkmcnt(1)
	v_mul_f64 v[168:169], v[119:120], v[186:187]
	v_mul_f64 v[186:187], v[121:122], v[186:187]
	s_waitcnt vmcnt(52)
	v_fma_f64 v[182:183], v[1:2], v[192:193], -v[182:183]
	v_fma_f64 v[176:177], v[3:4], v[192:193], v[176:177]
	ds_read_b128 v[1:4], v139 offset:1568
	v_add_f64 v[123:124], v[123:124], v[188:189]
	v_add_f64 v[125:126], v[125:126], v[172:173]
	s_waitcnt vmcnt(51) lgkmcnt(1)
	v_mul_f64 v[188:189], v[7:8], v[199:200]
	v_mul_f64 v[172:173], v[5:6], v[199:200]
	s_waitcnt vmcnt(49)
	v_fma_f64 v[186:187], v[119:120], v[133:134], -v[186:187]
	v_fma_f64 v[133:134], v[121:122], v[133:134], v[168:169]
	v_add_f64 v[123:124], v[123:124], v[182:183]
	v_add_f64 v[125:126], v[125:126], v[176:177]
	s_clause 0x3
	buffer_load_dword v168, off, s[0:3], 0 offset:384
	buffer_load_dword v169, off, s[0:3], 0 offset:388
	;; [unrolled: 1-line block ×4, first 2 shown]
	ds_read_b128 v[119:122], v139 offset:1584
	s_waitcnt vmcnt(49) lgkmcnt(1)
	v_mul_f64 v[182:183], v[1:2], v[137:138]
	v_mul_f64 v[137:138], v[3:4], v[137:138]
	s_waitcnt vmcnt(48)
	v_fma_f64 v[188:189], v[5:6], v[201:202], -v[188:189]
	v_fma_f64 v[172:173], v[7:8], v[201:202], v[172:173]
	ds_read_b128 v[5:8], v139 offset:1600
	v_add_f64 v[123:124], v[123:124], v[186:187]
	v_add_f64 v[125:126], v[125:126], v[133:134]
	s_waitcnt vmcnt(47) lgkmcnt(1)
	v_mul_f64 v[133:134], v[119:120], v[144:145]
	v_mul_f64 v[144:145], v[121:122], v[144:145]
	s_waitcnt vmcnt(45)
	v_fma_f64 v[137:138], v[1:2], v[131:132], -v[137:138]
	v_fma_f64 v[131:132], v[3:4], v[131:132], v[182:183]
	ds_read_b128 v[1:4], v139 offset:1616
	v_add_f64 v[123:124], v[123:124], v[188:189]
	v_add_f64 v[125:126], v[125:126], v[172:173]
	s_waitcnt vmcnt(41) lgkmcnt(1)
	v_mul_f64 v[172:173], v[5:6], v[146:147]
	v_mul_f64 v[146:147], v[7:8], v[146:147]
	s_waitcnt vmcnt(40)
	v_fma_f64 v[133:134], v[121:122], v[197:198], v[133:134]
	v_fma_f64 v[144:145], v[119:120], v[197:198], -v[144:145]
	ds_read_b128 v[119:122], v139 offset:1632
	v_add_f64 v[123:124], v[123:124], v[137:138]
	v_add_f64 v[125:126], v[125:126], v[131:132]
	s_waitcnt vmcnt(39) lgkmcnt(1)
	v_mul_f64 v[137:138], v[3:4], v[148:149]
	v_mul_f64 v[131:132], v[1:2], v[148:149]
	s_waitcnt vmcnt(37)
	v_fma_f64 v[146:147], v[5:6], v[129:130], -v[146:147]
	v_fma_f64 v[129:130], v[7:8], v[129:130], v[172:173]
	ds_read_b128 v[5:8], v139 offset:1648
	v_add_f64 v[123:124], v[123:124], v[144:145]
	v_add_f64 v[125:126], v[125:126], v[133:134]
	s_waitcnt vmcnt(33) lgkmcnt(1)
	v_mul_f64 v[133:134], v[119:120], v[127:128]
	v_mul_f64 v[127:128], v[121:122], v[127:128]
	s_waitcnt vmcnt(32)
	v_fma_f64 v[137:138], v[1:2], v[150:151], -v[137:138]
	v_fma_f64 v[131:132], v[3:4], v[150:151], v[131:132]
	;; [unrolled: 9-line block ×3, first 2 shown]
	ds_read_b128 v[119:122], v139 offset:1680
	v_add_f64 v[123:124], v[123:124], v[137:138]
	v_add_f64 v[125:126], v[125:126], v[131:132]
	s_waitcnt vmcnt(25) lgkmcnt(1)
	v_mul_f64 v[131:132], v[1:2], v[135:136]
	v_mul_f64 v[135:136], v[3:4], v[135:136]
	s_waitcnt vmcnt(24)
	v_fma_f64 v[137:138], v[5:6], v[158:159], -v[144:145]
	v_add_f64 v[123:124], v[123:124], v[127:128]
	v_fma_f64 v[127:128], v[7:8], v[158:159], v[129:130]
	v_add_f64 v[125:126], v[125:126], v[133:134]
	ds_read_b128 v[5:8], v139 offset:1696
	s_waitcnt vmcnt(23) lgkmcnt(1)
	v_mul_f64 v[133:134], v[121:122], v[162:163]
	v_mul_f64 v[129:130], v[119:120], v[162:163]
	s_waitcnt vmcnt(21)
	v_fma_f64 v[135:136], v[1:2], v[140:141], -v[135:136]
	v_fma_f64 v[131:132], v[3:4], v[140:141], v[131:132]
	ds_read_b128 v[1:4], v139 offset:1712
	v_add_f64 v[123:124], v[123:124], v[137:138]
	v_add_f64 v[125:126], v[125:126], v[127:128]
	s_waitcnt vmcnt(17) lgkmcnt(1)
	v_mul_f64 v[137:138], v[7:8], v[152:153]
	s_waitcnt vmcnt(16)
	v_fma_f64 v[133:134], v[119:120], v[166:167], -v[133:134]
	v_mul_f64 v[127:128], v[5:6], v[152:153]
	v_fma_f64 v[129:130], v[121:122], v[166:167], v[129:130]
	ds_read_b128 v[119:122], v139 offset:1728
	v_add_f64 v[123:124], v[123:124], v[135:136]
	v_add_f64 v[125:126], v[125:126], v[131:132]
	s_waitcnt vmcnt(15) lgkmcnt(1)
	v_mul_f64 v[135:136], v[3:4], v[170:171]
	v_mul_f64 v[131:132], v[1:2], v[170:171]
	s_waitcnt vmcnt(13)
	v_fma_f64 v[137:138], v[5:6], v[156:157], -v[137:138]
	v_fma_f64 v[127:128], v[7:8], v[156:157], v[127:128]
	ds_read_b128 v[5:8], v139 offset:1744
	v_add_f64 v[123:124], v[123:124], v[133:134]
	v_add_f64 v[125:126], v[125:126], v[129:130]
	s_waitcnt vmcnt(9) lgkmcnt(1)
	v_mul_f64 v[133:134], v[121:122], v[160:161]
	s_waitcnt vmcnt(8)
	v_fma_f64 v[1:2], v[1:2], v[174:175], -v[135:136]
	v_mul_f64 v[129:130], v[119:120], v[160:161]
	v_fma_f64 v[3:4], v[3:4], v[174:175], v[131:132]
	v_add_f64 v[123:124], v[123:124], v[137:138]
	v_add_f64 v[125:126], v[125:126], v[127:128]
	s_waitcnt vmcnt(7) lgkmcnt(0)
	v_mul_f64 v[131:132], v[7:8], v[180:181]
	v_mul_f64 v[127:128], v[5:6], v[180:181]
	s_waitcnt vmcnt(5)
	v_fma_f64 v[119:120], v[119:120], v[164:165], -v[133:134]
	v_fma_f64 v[121:122], v[121:122], v[164:165], v[129:130]
	v_add_f64 v[1:2], v[123:124], v[1:2]
	v_add_f64 v[3:4], v[125:126], v[3:4]
	s_waitcnt vmcnt(4)
	v_fma_f64 v[5:6], v[5:6], v[184:185], -v[131:132]
	v_fma_f64 v[7:8], v[7:8], v[184:185], v[127:128]
	v_add_f64 v[1:2], v[1:2], v[119:120]
	v_add_f64 v[3:4], v[3:4], v[121:122]
	;; [unrolled: 1-line block ×4, first 2 shown]
	s_waitcnt vmcnt(2)
	v_add_f64 v[1:2], v[168:169], -v[1:2]
	s_waitcnt vmcnt(0)
	v_add_f64 v[3:4], v[176:177], -v[3:4]
	buffer_store_dword v2, off, s[0:3], 0 offset:388
	buffer_store_dword v1, off, s[0:3], 0 offset:384
	;; [unrolled: 1-line block ×4, first 2 shown]
	v_cmpx_lt_u32_e32 22, v0
	s_cbranch_execz .LBB118_299
; %bb.298:
	v_mov_b32_e32 v4, s45
	s_clause 0x3
	buffer_load_dword v1, v4, s[0:3], 0 offen
	buffer_load_dword v2, v4, s[0:3], 0 offen offset:4
	buffer_load_dword v3, v4, s[0:3], 0 offen offset:8
	;; [unrolled: 1-line block ×3, first 2 shown]
	buffer_store_dword v139, off, s[0:3], 0 offset:368
	buffer_store_dword v139, off, s[0:3], 0 offset:372
	;; [unrolled: 1-line block ×4, first 2 shown]
	s_waitcnt vmcnt(0)
	ds_write_b128 v179, v[1:4]
.LBB118_299:
	s_or_b32 exec_lo, exec_lo, s4
	s_waitcnt lgkmcnt(0)
	s_waitcnt_vscnt null, 0x0
	s_barrier
	buffer_gl0_inv
	s_clause 0x37
	buffer_load_dword v119, off, s[0:3], 0 offset:392
	buffer_load_dword v120, off, s[0:3], 0 offset:396
	;; [unrolled: 1-line block ×56, first 2 shown]
	ds_read_b128 v[140:143], v139 offset:1248
	s_clause 0x2
	buffer_load_dword v181, off, s[0:3], 0 offset:620
	buffer_load_dword v185, off, s[0:3], 0 offset:596
	;; [unrolled: 1-line block ×3, first 2 shown]
	ds_read_b128 v[144:147], v139 offset:1264
	s_clause 0x4
	buffer_load_dword v189, off, s[0:3], 0 offset:636
	buffer_load_dword v190, off, s[0:3], 0 offset:648
	;; [unrolled: 1-line block ×5, first 2 shown]
	ds_read_b128 v[148:151], v139 offset:1280
	s_clause 0x2
	buffer_load_dword v191, off, s[0:3], 0 offset:652
	buffer_load_dword v196, off, s[0:3], 0 offset:628
	buffer_load_dword v195, off, s[0:3], 0 offset:624
	s_mov_b32 s4, exec_lo
	s_waitcnt vmcnt(62) lgkmcnt(2)
	v_mul_f64 v[186:187], v[142:143], v[119:120]
	v_mul_f64 v[119:120], v[140:141], v[119:120]
	s_waitcnt lgkmcnt(1)
	v_mul_f64 v[193:194], v[146:147], v[5:6]
	s_waitcnt vmcnt(59) lgkmcnt(0)
	v_mul_f64 v[197:198], v[150:151], v[3:4]
	v_fma_f64 v[140:141], v[140:141], v[7:8], -v[186:187]
	v_mul_f64 v[186:187], v[144:145], v[5:6]
	v_fma_f64 v[119:120], v[142:143], v[7:8], v[119:120]
	s_waitcnt vmcnt(57)
	v_fma_f64 v[144:145], v[144:145], v[1:2], -v[193:194]
	ds_read_b128 v[5:8], v139 offset:1296
	v_mul_f64 v[142:143], v[148:149], v[3:4]
	s_waitcnt vmcnt(51)
	v_fma_f64 v[148:149], v[148:149], v[135:136], -v[197:198]
	v_add_f64 v[140:141], v[140:141], 0
	v_fma_f64 v[146:147], v[146:147], v[1:2], v[186:187]
	v_add_f64 v[119:120], v[119:120], 0
	s_clause 0x4
	buffer_load_dword v187, off, s[0:3], 0 offset:668
	buffer_load_dword v199, off, s[0:3], 0 offset:680
	;; [unrolled: 1-line block ×5, first 2 shown]
	s_waitcnt lgkmcnt(0)
	v_mul_f64 v[202:203], v[5:6], v[123:124]
	v_mul_f64 v[123:124], v[7:8], v[123:124]
	ds_read_b128 v[1:4], v139 offset:1312
	v_fma_f64 v[135:136], v[150:151], v[135:136], v[142:143]
	v_add_f64 v[144:145], v[140:141], v[144:145]
	v_add_f64 v[119:120], v[119:120], v[146:147]
	s_clause 0x2
	buffer_load_dword v200, off, s[0:3], 0 offset:684
	buffer_load_dword v147, off, s[0:3], 0 offset:660
	;; [unrolled: 1-line block ×3, first 2 shown]
	s_waitcnt vmcnt(58) lgkmcnt(0)
	v_mul_f64 v[150:151], v[1:2], v[127:128]
	v_mul_f64 v[127:128], v[3:4], v[127:128]
	s_waitcnt vmcnt(56)
	v_fma_f64 v[123:124], v[5:6], v[129:130], -v[123:124]
	ds_read_b128 v[140:143], v139 offset:1328
	v_fma_f64 v[129:130], v[7:8], v[129:130], v[202:203]
	v_add_f64 v[144:145], v[144:145], v[148:149]
	v_add_f64 v[119:120], v[119:120], v[135:136]
	s_clause 0x4
	buffer_load_dword v136, off, s[0:3], 0 offset:700
	buffer_load_dword v148, off, s[0:3], 0 offset:712
	;; [unrolled: 1-line block ×5, first 2 shown]
	ds_read_b128 v[5:8], v139 offset:1344
	s_waitcnt vmcnt(57) lgkmcnt(1)
	v_mul_f64 v[203:204], v[140:141], v[131:132]
	v_mul_f64 v[131:132], v[142:143], v[131:132]
	s_waitcnt vmcnt(56)
	v_fma_f64 v[127:128], v[1:2], v[121:122], -v[127:128]
	v_fma_f64 v[121:122], v[3:4], v[121:122], v[150:151]
	v_add_f64 v[123:124], v[144:145], v[123:124]
	v_add_f64 v[119:120], v[119:120], v[129:130]
	s_clause 0x2
	buffer_load_dword v149, off, s[0:3], 0 offset:716
	buffer_load_dword v130, off, s[0:3], 0 offset:692
	;; [unrolled: 1-line block ×3, first 2 shown]
	s_waitcnt vmcnt(58) lgkmcnt(0)
	v_mul_f64 v[144:145], v[5:6], v[137:138]
	v_mul_f64 v[137:138], v[7:8], v[137:138]
	s_waitcnt vmcnt(56)
	v_fma_f64 v[131:132], v[140:141], v[152:153], -v[131:132]
	ds_read_b128 v[1:4], v139 offset:1360
	v_add_f64 v[123:124], v[123:124], v[127:128]
	v_fma_f64 v[127:128], v[142:143], v[152:153], v[203:204]
	v_add_f64 v[140:141], v[119:120], v[121:122]
	s_clause 0x4
	buffer_load_dword v143, off, s[0:3], 0 offset:732
	buffer_load_dword v150, off, s[0:3], 0 offset:744
	;; [unrolled: 1-line block ×5, first 2 shown]
	ds_read_b128 v[119:122], v139 offset:1376
	s_waitcnt vmcnt(57) lgkmcnt(1)
	v_mul_f64 v[203:204], v[1:2], v[154:155]
	v_mul_f64 v[153:154], v[3:4], v[154:155]
	s_waitcnt vmcnt(56)
	v_fma_f64 v[137:138], v[5:6], v[125:126], -v[137:138]
	v_fma_f64 v[125:126], v[7:8], v[125:126], v[144:145]
	v_add_f64 v[123:124], v[123:124], v[131:132]
	s_clause 0x2
	buffer_load_dword v151, off, s[0:3], 0 offset:748
	buffer_load_dword v132, off, s[0:3], 0 offset:724
	;; [unrolled: 1-line block ×3, first 2 shown]
	v_add_f64 v[127:128], v[140:141], v[127:128]
	s_waitcnt vmcnt(58) lgkmcnt(0)
	v_mul_f64 v[144:145], v[121:122], v[156:157]
	ds_read_b128 v[5:8], v139 offset:1392
	v_mul_f64 v[140:141], v[119:120], v[156:157]
	s_waitcnt vmcnt(56)
	v_fma_f64 v[154:155], v[1:2], v[158:159], -v[153:154]
	v_add_f64 v[123:124], v[123:124], v[137:138]
	v_fma_f64 v[137:138], v[3:4], v[158:159], v[203:204]
	v_add_f64 v[125:126], v[127:128], v[125:126]
	s_clause 0x4
	buffer_load_dword v128, off, s[0:3], 0 offset:764
	buffer_load_dword v156, off, s[0:3], 0 offset:776
	buffer_load_dword v158, off, s[0:3], 0 offset:768
	buffer_load_dword v127, off, s[0:3], 0 offset:760
	buffer_load_dword v153, off, s[0:3], 0 offset:740
	s_waitcnt vmcnt(57) lgkmcnt(0)
	v_mul_f64 v[203:204], v[5:6], v[160:161]
	v_mul_f64 v[159:160], v[7:8], v[160:161]
	s_waitcnt vmcnt(56)
	v_fma_f64 v[144:145], v[119:120], v[133:134], -v[144:145]
	ds_read_b128 v[1:4], v139 offset:1408
	v_fma_f64 v[133:134], v[121:122], v[133:134], v[140:141]
	v_add_f64 v[123:124], v[123:124], v[154:155]
	v_add_f64 v[125:126], v[125:126], v[137:138]
	s_clause 0x2
	buffer_load_dword v157, off, s[0:3], 0 offset:780
	buffer_load_dword v138, off, s[0:3], 0 offset:756
	buffer_load_dword v137, off, s[0:3], 0 offset:752
	ds_read_b128 v[119:122], v139 offset:1424
	s_waitcnt vmcnt(58) lgkmcnt(1)
	v_mul_f64 v[154:155], v[3:4], v[162:163]
	s_waitcnt vmcnt(56)
	v_fma_f64 v[160:161], v[5:6], v[166:167], -v[159:160]
	v_mul_f64 v[140:141], v[1:2], v[162:163]
	v_add_f64 v[123:124], v[123:124], v[144:145]
	v_fma_f64 v[144:145], v[7:8], v[166:167], v[203:204]
	v_add_f64 v[125:126], v[125:126], v[133:134]
	s_clause 0x4
	buffer_load_dword v134, off, s[0:3], 0 offset:796
	buffer_load_dword v162, off, s[0:3], 0 offset:808
	buffer_load_dword v166, off, s[0:3], 0 offset:800
	buffer_load_dword v133, off, s[0:3], 0 offset:792
	buffer_load_dword v159, off, s[0:3], 0 offset:772
	s_waitcnt vmcnt(57) lgkmcnt(0)
	v_mul_f64 v[203:204], v[119:120], v[168:169]
	v_mul_f64 v[167:168], v[121:122], v[168:169]
	s_waitcnt vmcnt(56)
	v_fma_f64 v[154:155], v[1:2], v[164:165], -v[154:155]
	ds_read_b128 v[5:8], v139 offset:1440
	v_fma_f64 v[140:141], v[3:4], v[164:165], v[140:141]
	v_add_f64 v[123:124], v[123:124], v[160:161]
	v_add_f64 v[125:126], v[125:126], v[144:145]
	s_clause 0x2
	buffer_load_dword v163, off, s[0:3], 0 offset:812
	buffer_load_dword v145, off, s[0:3], 0 offset:788
	buffer_load_dword v144, off, s[0:3], 0 offset:784
	ds_read_b128 v[1:4], v139 offset:1456
	s_waitcnt vmcnt(58) lgkmcnt(1)
	v_mul_f64 v[164:165], v[7:8], v[170:171]
	s_waitcnt vmcnt(56)
	v_fma_f64 v[168:169], v[119:120], v[174:175], -v[167:168]
	v_mul_f64 v[160:161], v[5:6], v[170:171]
	;; [unrolled: 28-line block ×4, first 2 shown]
	v_add_f64 v[123:124], v[123:124], v[172:173]
	v_fma_f64 v[172:173], v[7:8], v[195:196], v[203:204]
	v_add_f64 v[125:126], v[125:126], v[168:169]
	s_clause 0x2
	buffer_load_dword v169, off, s[0:3], 0 offset:892
	buffer_load_dword v168, off, s[0:3], 0 offset:888
	;; [unrolled: 1-line block ×3, first 2 shown]
	ds_read_b128 v[5:8], v139 offset:1536
	s_waitcnt vmcnt(55) lgkmcnt(1)
	v_mul_f64 v[190:191], v[119:120], v[186:187]
	v_mul_f64 v[186:187], v[121:122], v[186:187]
	s_waitcnt vmcnt(54)
	v_fma_f64 v[182:183], v[1:2], v[192:193], -v[182:183]
	v_fma_f64 v[176:177], v[3:4], v[192:193], v[176:177]
	v_add_f64 v[123:124], v[123:124], v[188:189]
	v_add_f64 v[125:126], v[125:126], v[172:173]
	s_clause 0x1
	buffer_load_dword v173, off, s[0:3], 0 offset:884
	buffer_load_dword v172, off, s[0:3], 0 offset:880
	ds_read_b128 v[1:4], v139 offset:1552
	s_waitcnt vmcnt(55) lgkmcnt(1)
	v_mul_f64 v[192:193], v[7:8], v[199:200]
	v_mul_f64 v[188:189], v[5:6], v[199:200]
	s_waitcnt vmcnt(53)
	v_fma_f64 v[186:187], v[119:120], v[146:147], -v[186:187]
	v_fma_f64 v[146:147], v[121:122], v[146:147], v[190:191]
	ds_read_b128 v[119:122], v139 offset:1568
	v_add_f64 v[123:124], v[123:124], v[182:183]
	v_add_f64 v[125:126], v[125:126], v[176:177]
	s_waitcnt vmcnt(49) lgkmcnt(1)
	v_mul_f64 v[176:177], v[1:2], v[135:136]
	v_mul_f64 v[135:136], v[3:4], v[135:136]
	s_waitcnt vmcnt(48)
	v_fma_f64 v[182:183], v[5:6], v[201:202], -v[192:193]
	v_add_f64 v[123:124], v[123:124], v[186:187]
	v_fma_f64 v[186:187], v[7:8], v[201:202], v[188:189]
	v_add_f64 v[125:126], v[125:126], v[146:147]
	s_clause 0x3
	buffer_load_dword v146, off, s[0:3], 0 offset:368
	buffer_load_dword v147, off, s[0:3], 0 offset:372
	;; [unrolled: 1-line block ×4, first 2 shown]
	ds_read_b128 v[5:8], v139 offset:1584
	s_waitcnt vmcnt(51) lgkmcnt(1)
	v_mul_f64 v[190:191], v[119:120], v[148:149]
	v_mul_f64 v[148:149], v[121:122], v[148:149]
	s_waitcnt vmcnt(49)
	v_fma_f64 v[135:136], v[1:2], v[129:130], -v[135:136]
	v_fma_f64 v[129:130], v[3:4], v[129:130], v[176:177]
	ds_read_b128 v[1:4], v139 offset:1600
	v_add_f64 v[123:124], v[123:124], v[182:183]
	v_add_f64 v[125:126], v[125:126], v[186:187]
	s_waitcnt vmcnt(45) lgkmcnt(1)
	v_mul_f64 v[176:177], v[5:6], v[142:143]
	v_mul_f64 v[142:143], v[7:8], v[142:143]
	s_waitcnt vmcnt(44)
	v_fma_f64 v[148:149], v[119:120], v[197:198], -v[148:149]
	v_add_f64 v[123:124], v[123:124], v[135:136]
	v_fma_f64 v[135:136], v[121:122], v[197:198], v[190:191]
	v_add_f64 v[125:126], v[125:126], v[129:130]
	ds_read_b128 v[119:122], v139 offset:1616
	s_waitcnt vmcnt(43) lgkmcnt(1)
	v_mul_f64 v[129:130], v[1:2], v[150:151]
	v_mul_f64 v[150:151], v[3:4], v[150:151]
	s_waitcnt vmcnt(41)
	v_fma_f64 v[142:143], v[5:6], v[131:132], -v[142:143]
	v_fma_f64 v[131:132], v[7:8], v[131:132], v[176:177]
	ds_read_b128 v[5:8], v139 offset:1632
	v_add_f64 v[123:124], v[123:124], v[148:149]
	v_add_f64 v[125:126], v[125:126], v[135:136]
	s_waitcnt vmcnt(37) lgkmcnt(1)
	v_mul_f64 v[135:136], v[119:120], v[127:128]
	v_mul_f64 v[127:128], v[121:122], v[127:128]
	s_waitcnt vmcnt(36)
	v_fma_f64 v[148:149], v[1:2], v[152:153], -v[150:151]
	v_fma_f64 v[129:130], v[3:4], v[152:153], v[129:130]
	ds_read_b128 v[1:4], v139 offset:1648
	v_add_f64 v[123:124], v[123:124], v[142:143]
	v_add_f64 v[125:126], v[125:126], v[131:132]
	;; [unrolled: 9-line block ×3, first 2 shown]
	s_waitcnt vmcnt(29) lgkmcnt(1)
	v_mul_f64 v[129:130], v[1:2], v[133:134]
	v_mul_f64 v[133:134], v[3:4], v[133:134]
	s_waitcnt vmcnt(28)
	v_fma_f64 v[137:138], v[5:6], v[158:159], -v[142:143]
	v_add_f64 v[123:124], v[123:124], v[127:128]
	v_fma_f64 v[127:128], v[7:8], v[158:159], v[131:132]
	v_add_f64 v[125:126], v[125:126], v[135:136]
	ds_read_b128 v[5:8], v139 offset:1680
	s_waitcnt vmcnt(27) lgkmcnt(1)
	v_mul_f64 v[135:136], v[121:122], v[162:163]
	v_mul_f64 v[131:132], v[119:120], v[162:163]
	s_waitcnt vmcnt(25)
	v_fma_f64 v[133:134], v[1:2], v[144:145], -v[133:134]
	v_fma_f64 v[129:130], v[3:4], v[144:145], v[129:130]
	ds_read_b128 v[1:4], v139 offset:1696
	v_add_f64 v[123:124], v[123:124], v[137:138]
	v_add_f64 v[125:126], v[125:126], v[127:128]
	s_waitcnt vmcnt(21) lgkmcnt(1)
	v_mul_f64 v[137:138], v[7:8], v[140:141]
	s_waitcnt vmcnt(20)
	v_fma_f64 v[135:136], v[119:120], v[166:167], -v[135:136]
	v_mul_f64 v[127:128], v[5:6], v[140:141]
	v_fma_f64 v[131:132], v[121:122], v[166:167], v[131:132]
	ds_read_b128 v[119:122], v139 offset:1712
	v_add_f64 v[123:124], v[123:124], v[133:134]
	v_add_f64 v[125:126], v[125:126], v[129:130]
	s_waitcnt vmcnt(19) lgkmcnt(1)
	v_mul_f64 v[133:134], v[3:4], v[170:171]
	v_mul_f64 v[129:130], v[1:2], v[170:171]
	s_waitcnt vmcnt(17)
	v_fma_f64 v[137:138], v[5:6], v[154:155], -v[137:138]
	v_fma_f64 v[127:128], v[7:8], v[154:155], v[127:128]
	ds_read_b128 v[5:8], v139 offset:1728
	v_add_f64 v[123:124], v[123:124], v[135:136]
	v_add_f64 v[125:126], v[125:126], v[131:132]
	s_waitcnt vmcnt(13) lgkmcnt(1)
	v_mul_f64 v[135:136], v[121:122], v[160:161]
	s_waitcnt vmcnt(12)
	v_fma_f64 v[133:134], v[1:2], v[174:175], -v[133:134]
	v_mul_f64 v[131:132], v[119:120], v[160:161]
	v_fma_f64 v[129:130], v[3:4], v[174:175], v[129:130]
	ds_read_b128 v[1:4], v139 offset:1744
	v_add_f64 v[123:124], v[123:124], v[137:138]
	v_add_f64 v[125:126], v[125:126], v[127:128]
	s_waitcnt vmcnt(11) lgkmcnt(1)
	v_mul_f64 v[137:138], v[7:8], v[180:181]
	v_mul_f64 v[127:128], v[5:6], v[180:181]
	s_waitcnt vmcnt(9)
	v_fma_f64 v[119:120], v[119:120], v[164:165], -v[135:136]
	v_fma_f64 v[121:122], v[121:122], v[164:165], v[131:132]
	v_add_f64 v[123:124], v[123:124], v[133:134]
	v_add_f64 v[125:126], v[125:126], v[129:130]
	s_waitcnt vmcnt(7) lgkmcnt(0)
	v_mul_f64 v[131:132], v[3:4], v[168:169]
	s_waitcnt vmcnt(6)
	v_fma_f64 v[5:6], v[5:6], v[184:185], -v[137:138]
	v_mul_f64 v[129:130], v[1:2], v[168:169]
	v_fma_f64 v[7:8], v[7:8], v[184:185], v[127:128]
	v_add_f64 v[119:120], v[123:124], v[119:120]
	v_add_f64 v[121:122], v[125:126], v[121:122]
	s_waitcnt vmcnt(4)
	v_fma_f64 v[1:2], v[1:2], v[172:173], -v[131:132]
	v_fma_f64 v[3:4], v[3:4], v[172:173], v[129:130]
	v_add_f64 v[5:6], v[119:120], v[5:6]
	v_add_f64 v[7:8], v[121:122], v[7:8]
	;; [unrolled: 1-line block ×4, first 2 shown]
	s_waitcnt vmcnt(2)
	v_add_f64 v[1:2], v[146:147], -v[1:2]
	s_waitcnt vmcnt(0)
	v_add_f64 v[3:4], v[188:189], -v[3:4]
	buffer_store_dword v2, off, s[0:3], 0 offset:372
	buffer_store_dword v1, off, s[0:3], 0 offset:368
	;; [unrolled: 1-line block ×4, first 2 shown]
	v_cmpx_lt_u32_e32 21, v0
	s_cbranch_execz .LBB118_301
; %bb.300:
	v_mov_b32_e32 v4, s46
	v_mov_b32_e32 v5, 0
	s_clause 0x3
	buffer_load_dword v1, v4, s[0:3], 0 offen
	buffer_load_dword v2, v4, s[0:3], 0 offen offset:4
	buffer_load_dword v3, v4, s[0:3], 0 offen offset:8
	buffer_load_dword v4, v4, s[0:3], 0 offen offset:12
	buffer_store_dword v5, off, s[0:3], 0 offset:352
	buffer_store_dword v5, off, s[0:3], 0 offset:356
	;; [unrolled: 1-line block ×4, first 2 shown]
	s_waitcnt vmcnt(0)
	ds_write_b128 v179, v[1:4]
.LBB118_301:
	s_or_b32 exec_lo, exec_lo, s4
	s_waitcnt lgkmcnt(0)
	s_waitcnt_vscnt null, 0x0
	s_barrier
	buffer_gl0_inv
	s_clause 0x37
	buffer_load_dword v119, off, s[0:3], 0 offset:376
	buffer_load_dword v120, off, s[0:3], 0 offset:380
	buffer_load_dword v5, off, s[0:3], 0 offset:392
	buffer_load_dword v6, off, s[0:3], 0 offset:396
	buffer_load_dword v7, off, s[0:3], 0 offset:368
	buffer_load_dword v8, off, s[0:3], 0 offset:372
	buffer_load_dword v3, off, s[0:3], 0 offset:408
	buffer_load_dword v4, off, s[0:3], 0 offset:412
	buffer_load_dword v1, off, s[0:3], 0 offset:384
	buffer_load_dword v2, off, s[0:3], 0 offset:388
	buffer_load_dword v124, off, s[0:3], 0 offset:428
	buffer_load_dword v127, off, s[0:3], 0 offset:440
	buffer_load_dword v121, off, s[0:3], 0 offset:432
	buffer_load_dword v123, off, s[0:3], 0 offset:424
	buffer_load_dword v135, off, s[0:3], 0 offset:400
	buffer_load_dword v136, off, s[0:3], 0 offset:404
	buffer_load_dword v128, off, s[0:3], 0 offset:444
	buffer_load_dword v130, off, s[0:3], 0 offset:420
	buffer_load_dword v129, off, s[0:3], 0 offset:416
	buffer_load_dword v132, off, s[0:3], 0 offset:460
	buffer_load_dword v137, off, s[0:3], 0 offset:472
	buffer_load_dword v125, off, s[0:3], 0 offset:464
	buffer_load_dword v131, off, s[0:3], 0 offset:456
	buffer_load_dword v122, off, s[0:3], 0 offset:436
	buffer_load_dword v138, off, s[0:3], 0 offset:476
	buffer_load_dword v140, off, s[0:3], 0 offset:452
	buffer_load_dword v139, off, s[0:3], 0 offset:448
	buffer_load_dword v142, off, s[0:3], 0 offset:492
	buffer_load_dword v145, off, s[0:3], 0 offset:504
	buffer_load_dword v133, off, s[0:3], 0 offset:496
	buffer_load_dword v141, off, s[0:3], 0 offset:488
	buffer_load_dword v126, off, s[0:3], 0 offset:468
	buffer_load_dword v146, off, s[0:3], 0 offset:508
	buffer_load_dword v148, off, s[0:3], 0 offset:484
	buffer_load_dword v147, off, s[0:3], 0 offset:480
	buffer_load_dword v163, off, s[0:3], 0 offset:524
	buffer_load_dword v164, off, s[0:3], 0 offset:536
	buffer_load_dword v143, off, s[0:3], 0 offset:528
	buffer_load_dword v162, off, s[0:3], 0 offset:520
	buffer_load_dword v134, off, s[0:3], 0 offset:500
	buffer_load_dword v165, off, s[0:3], 0 offset:540
	buffer_load_dword v167, off, s[0:3], 0 offset:516
	buffer_load_dword v166, off, s[0:3], 0 offset:512
	buffer_load_dword v169, off, s[0:3], 0 offset:556
	buffer_load_dword v170, off, s[0:3], 0 offset:568
	buffer_load_dword v172, off, s[0:3], 0 offset:560
	buffer_load_dword v168, off, s[0:3], 0 offset:552
	buffer_load_dword v144, off, s[0:3], 0 offset:532
	buffer_load_dword v171, off, s[0:3], 0 offset:572
	buffer_load_dword v175, off, s[0:3], 0 offset:548
	buffer_load_dword v174, off, s[0:3], 0 offset:544
	buffer_load_dword v177, off, s[0:3], 0 offset:588
	buffer_load_dword v180, off, s[0:3], 0 offset:600
	buffer_load_dword v182, off, s[0:3], 0 offset:592
	buffer_load_dword v176, off, s[0:3], 0 offset:584
	buffer_load_dword v173, off, s[0:3], 0 offset:564
	v_mov_b32_e32 v161, 0
	s_mov_b32 s4, exec_lo
	ds_read_b128 v[149:152], v161 offset:1232
	s_clause 0x2
	buffer_load_dword v181, off, s[0:3], 0 offset:604
	buffer_load_dword v185, off, s[0:3], 0 offset:580
	;; [unrolled: 1-line block ×3, first 2 shown]
	ds_read_b128 v[153:156], v161 offset:1248
	s_clause 0x4
	buffer_load_dword v189, off, s[0:3], 0 offset:620
	buffer_load_dword v190, off, s[0:3], 0 offset:632
	;; [unrolled: 1-line block ×5, first 2 shown]
	ds_read_b128 v[157:160], v161 offset:1264
	s_clause 0x2
	buffer_load_dword v191, off, s[0:3], 0 offset:636
	buffer_load_dword v196, off, s[0:3], 0 offset:612
	;; [unrolled: 1-line block ×3, first 2 shown]
	s_waitcnt vmcnt(62) lgkmcnt(2)
	v_mul_f64 v[186:187], v[151:152], v[119:120]
	v_mul_f64 v[119:120], v[149:150], v[119:120]
	s_waitcnt lgkmcnt(1)
	v_mul_f64 v[193:194], v[155:156], v[5:6]
	s_waitcnt vmcnt(59) lgkmcnt(0)
	v_mul_f64 v[197:198], v[159:160], v[3:4]
	v_fma_f64 v[149:150], v[149:150], v[7:8], -v[186:187]
	v_mul_f64 v[186:187], v[153:154], v[5:6]
	v_fma_f64 v[119:120], v[151:152], v[7:8], v[119:120]
	s_waitcnt vmcnt(57)
	v_fma_f64 v[153:154], v[153:154], v[1:2], -v[193:194]
	ds_read_b128 v[5:8], v161 offset:1280
	v_mul_f64 v[151:152], v[157:158], v[3:4]
	s_waitcnt vmcnt(51)
	v_fma_f64 v[157:158], v[157:158], v[135:136], -v[197:198]
	v_add_f64 v[149:150], v[149:150], 0
	v_fma_f64 v[155:156], v[155:156], v[1:2], v[186:187]
	v_add_f64 v[119:120], v[119:120], 0
	s_clause 0x4
	buffer_load_dword v187, off, s[0:3], 0 offset:652
	buffer_load_dword v199, off, s[0:3], 0 offset:664
	;; [unrolled: 1-line block ×5, first 2 shown]
	s_waitcnt lgkmcnt(0)
	v_mul_f64 v[202:203], v[5:6], v[123:124]
	v_mul_f64 v[123:124], v[7:8], v[123:124]
	ds_read_b128 v[1:4], v161 offset:1296
	v_fma_f64 v[135:136], v[159:160], v[135:136], v[151:152]
	v_add_f64 v[153:154], v[149:150], v[153:154]
	v_add_f64 v[119:120], v[119:120], v[155:156]
	s_clause 0x2
	buffer_load_dword v200, off, s[0:3], 0 offset:668
	buffer_load_dword v156, off, s[0:3], 0 offset:644
	;; [unrolled: 1-line block ×3, first 2 shown]
	s_waitcnt vmcnt(58) lgkmcnt(0)
	v_mul_f64 v[159:160], v[1:2], v[127:128]
	v_mul_f64 v[127:128], v[3:4], v[127:128]
	s_waitcnt vmcnt(56)
	v_fma_f64 v[123:124], v[5:6], v[129:130], -v[123:124]
	ds_read_b128 v[149:152], v161 offset:1312
	v_fma_f64 v[129:130], v[7:8], v[129:130], v[202:203]
	v_add_f64 v[153:154], v[153:154], v[157:158]
	v_add_f64 v[119:120], v[119:120], v[135:136]
	s_clause 0x4
	buffer_load_dword v136, off, s[0:3], 0 offset:684
	buffer_load_dword v157, off, s[0:3], 0 offset:696
	;; [unrolled: 1-line block ×5, first 2 shown]
	ds_read_b128 v[5:8], v161 offset:1328
	s_waitcnt vmcnt(57) lgkmcnt(1)
	v_mul_f64 v[203:204], v[149:150], v[131:132]
	v_mul_f64 v[131:132], v[151:152], v[131:132]
	s_waitcnt vmcnt(56)
	v_fma_f64 v[127:128], v[1:2], v[121:122], -v[127:128]
	v_fma_f64 v[121:122], v[3:4], v[121:122], v[159:160]
	v_add_f64 v[123:124], v[153:154], v[123:124]
	v_add_f64 v[119:120], v[119:120], v[129:130]
	s_clause 0x2
	buffer_load_dword v158, off, s[0:3], 0 offset:700
	buffer_load_dword v130, off, s[0:3], 0 offset:676
	;; [unrolled: 1-line block ×3, first 2 shown]
	s_waitcnt vmcnt(58) lgkmcnt(0)
	v_mul_f64 v[153:154], v[5:6], v[137:138]
	v_mul_f64 v[137:138], v[7:8], v[137:138]
	s_waitcnt vmcnt(56)
	v_fma_f64 v[131:132], v[149:150], v[139:140], -v[131:132]
	ds_read_b128 v[1:4], v161 offset:1344
	v_add_f64 v[123:124], v[123:124], v[127:128]
	v_fma_f64 v[127:128], v[151:152], v[139:140], v[203:204]
	v_add_f64 v[139:140], v[119:120], v[121:122]
	s_clause 0x4
	buffer_load_dword v150, off, s[0:3], 0 offset:716
	buffer_load_dword v151, off, s[0:3], 0 offset:728
	;; [unrolled: 1-line block ×5, first 2 shown]
	ds_read_b128 v[119:122], v161 offset:1360
	s_waitcnt vmcnt(57) lgkmcnt(1)
	v_mul_f64 v[203:204], v[1:2], v[141:142]
	v_mul_f64 v[141:142], v[3:4], v[141:142]
	s_waitcnt vmcnt(56)
	v_fma_f64 v[137:138], v[5:6], v[125:126], -v[137:138]
	v_fma_f64 v[125:126], v[7:8], v[125:126], v[153:154]
	v_add_f64 v[123:124], v[123:124], v[131:132]
	s_clause 0x2
	buffer_load_dword v152, off, s[0:3], 0 offset:732
	buffer_load_dword v132, off, s[0:3], 0 offset:708
	;; [unrolled: 1-line block ×3, first 2 shown]
	v_add_f64 v[127:128], v[139:140], v[127:128]
	s_waitcnt vmcnt(58) lgkmcnt(0)
	v_mul_f64 v[139:140], v[119:120], v[145:146]
	v_mul_f64 v[145:146], v[121:122], v[145:146]
	ds_read_b128 v[5:8], v161 offset:1376
	s_waitcnt vmcnt(56)
	v_fma_f64 v[141:142], v[1:2], v[147:148], -v[141:142]
	v_add_f64 v[123:124], v[123:124], v[137:138]
	v_fma_f64 v[137:138], v[3:4], v[147:148], v[203:204]
	v_add_f64 v[125:126], v[127:128], v[125:126]
	s_clause 0x4
	buffer_load_dword v128, off, s[0:3], 0 offset:748
	buffer_load_dword v147, off, s[0:3], 0 offset:760
	;; [unrolled: 1-line block ×5, first 2 shown]
	s_waitcnt vmcnt(57) lgkmcnt(0)
	v_mul_f64 v[203:204], v[5:6], v[162:163]
	v_mul_f64 v[162:163], v[7:8], v[162:163]
	s_waitcnt vmcnt(56)
	v_fma_f64 v[145:146], v[119:120], v[133:134], -v[145:146]
	ds_read_b128 v[1:4], v161 offset:1392
	v_fma_f64 v[133:134], v[121:122], v[133:134], v[139:140]
	v_add_f64 v[123:124], v[123:124], v[141:142]
	v_add_f64 v[125:126], v[125:126], v[137:138]
	s_clause 0x2
	buffer_load_dword v148, off, s[0:3], 0 offset:764
	buffer_load_dword v138, off, s[0:3], 0 offset:740
	buffer_load_dword v137, off, s[0:3], 0 offset:736
	ds_read_b128 v[119:122], v161 offset:1408
	s_waitcnt vmcnt(58) lgkmcnt(1)
	v_mul_f64 v[141:142], v[3:4], v[164:165]
	s_waitcnt vmcnt(56)
	v_fma_f64 v[162:163], v[5:6], v[166:167], -v[162:163]
	v_mul_f64 v[139:140], v[1:2], v[164:165]
	v_add_f64 v[123:124], v[123:124], v[145:146]
	v_fma_f64 v[145:146], v[7:8], v[166:167], v[203:204]
	v_add_f64 v[125:126], v[125:126], v[133:134]
	s_clause 0x4
	buffer_load_dword v134, off, s[0:3], 0 offset:780
	buffer_load_dword v164, off, s[0:3], 0 offset:792
	;; [unrolled: 1-line block ×5, first 2 shown]
	s_waitcnt vmcnt(57) lgkmcnt(0)
	v_mul_f64 v[203:204], v[119:120], v[168:169]
	v_mul_f64 v[167:168], v[121:122], v[168:169]
	s_waitcnt vmcnt(56)
	v_fma_f64 v[141:142], v[1:2], v[143:144], -v[141:142]
	ds_read_b128 v[5:8], v161 offset:1424
	v_fma_f64 v[139:140], v[3:4], v[143:144], v[139:140]
	s_clause 0x2
	buffer_load_dword v165, off, s[0:3], 0 offset:796
	buffer_load_dword v144, off, s[0:3], 0 offset:772
	;; [unrolled: 1-line block ×3, first 2 shown]
	ds_read_b128 v[1:4], v161 offset:1440
	v_add_f64 v[123:124], v[123:124], v[162:163]
	v_add_f64 v[125:126], v[125:126], v[145:146]
	s_waitcnt vmcnt(58) lgkmcnt(1)
	v_mul_f64 v[162:163], v[7:8], v[170:171]
	s_waitcnt vmcnt(56)
	v_fma_f64 v[168:169], v[119:120], v[174:175], -v[167:168]
	v_mul_f64 v[145:146], v[5:6], v[170:171]
	v_add_f64 v[123:124], v[123:124], v[141:142]
	v_fma_f64 v[141:142], v[121:122], v[174:175], v[203:204]
	v_add_f64 v[125:126], v[125:126], v[139:140]
	s_clause 0x4
	buffer_load_dword v140, off, s[0:3], 0 offset:812
	buffer_load_dword v170, off, s[0:3], 0 offset:824
	;; [unrolled: 1-line block ×5, first 2 shown]
	s_waitcnt vmcnt(57) lgkmcnt(0)
	v_mul_f64 v[203:204], v[1:2], v[176:177]
	v_mul_f64 v[175:176], v[3:4], v[176:177]
	s_waitcnt vmcnt(56)
	v_fma_f64 v[162:163], v[5:6], v[172:173], -v[162:163]
	ds_read_b128 v[119:122], v161 offset:1456
	v_fma_f64 v[145:146], v[7:8], v[172:173], v[145:146]
	v_add_f64 v[123:124], v[123:124], v[168:169]
	v_add_f64 v[125:126], v[125:126], v[141:142]
	s_clause 0x2
	buffer_load_dword v171, off, s[0:3], 0 offset:828
	buffer_load_dword v142, off, s[0:3], 0 offset:804
	;; [unrolled: 1-line block ×3, first 2 shown]
	ds_read_b128 v[5:8], v161 offset:1472
	s_waitcnt vmcnt(58) lgkmcnt(1)
	v_mul_f64 v[172:173], v[121:122], v[180:181]
	s_waitcnt vmcnt(56)
	v_fma_f64 v[176:177], v[1:2], v[184:185], -v[175:176]
	v_mul_f64 v[168:169], v[119:120], v[180:181]
	v_add_f64 v[123:124], v[123:124], v[162:163]
	v_fma_f64 v[162:163], v[3:4], v[184:185], v[203:204]
	v_add_f64 v[125:126], v[125:126], v[145:146]
	s_clause 0x4
	buffer_load_dword v146, off, s[0:3], 0 offset:844
	buffer_load_dword v180, off, s[0:3], 0 offset:856
	;; [unrolled: 1-line block ×5, first 2 shown]
	s_waitcnt vmcnt(57) lgkmcnt(0)
	v_mul_f64 v[203:204], v[5:6], v[188:189]
	v_mul_f64 v[188:189], v[7:8], v[188:189]
	s_waitcnt vmcnt(56)
	v_fma_f64 v[172:173], v[119:120], v[182:183], -v[172:173]
	ds_read_b128 v[1:4], v161 offset:1488
	v_fma_f64 v[168:169], v[121:122], v[182:183], v[168:169]
	v_add_f64 v[123:124], v[123:124], v[176:177]
	v_add_f64 v[125:126], v[125:126], v[162:163]
	s_clause 0x2
	buffer_load_dword v181, off, s[0:3], 0 offset:860
	buffer_load_dword v163, off, s[0:3], 0 offset:836
	;; [unrolled: 1-line block ×3, first 2 shown]
	ds_read_b128 v[119:122], v161 offset:1504
	s_waitcnt vmcnt(58) lgkmcnt(1)
	v_mul_f64 v[182:183], v[3:4], v[190:191]
	s_waitcnt vmcnt(56)
	v_fma_f64 v[188:189], v[5:6], v[195:196], -v[188:189]
	v_mul_f64 v[176:177], v[1:2], v[190:191]
	v_add_f64 v[123:124], v[123:124], v[172:173]
	v_fma_f64 v[172:173], v[7:8], v[195:196], v[203:204]
	v_add_f64 v[125:126], v[125:126], v[168:169]
	s_clause 0x4
	buffer_load_dword v169, off, s[0:3], 0 offset:876
	buffer_load_dword v190, off, s[0:3], 0 offset:888
	;; [unrolled: 1-line block ×5, first 2 shown]
	ds_read_b128 v[5:8], v161 offset:1520
	s_waitcnt vmcnt(57) lgkmcnt(1)
	v_mul_f64 v[195:196], v[119:120], v[186:187]
	v_mul_f64 v[186:187], v[121:122], v[186:187]
	s_waitcnt vmcnt(56)
	v_fma_f64 v[182:183], v[1:2], v[192:193], -v[182:183]
	v_fma_f64 v[176:177], v[3:4], v[192:193], v[176:177]
	v_add_f64 v[123:124], v[123:124], v[188:189]
	v_add_f64 v[125:126], v[125:126], v[172:173]
	s_clause 0x2
	buffer_load_dword v191, off, s[0:3], 0 offset:892
	buffer_load_dword v173, off, s[0:3], 0 offset:868
	buffer_load_dword v172, off, s[0:3], 0 offset:864
	ds_read_b128 v[1:4], v161 offset:1536
	s_waitcnt vmcnt(58) lgkmcnt(1)
	v_mul_f64 v[192:193], v[7:8], v[199:200]
	v_mul_f64 v[188:189], v[5:6], v[199:200]
	s_waitcnt vmcnt(56)
	v_fma_f64 v[186:187], v[119:120], v[155:156], -v[186:187]
	v_fma_f64 v[155:156], v[121:122], v[155:156], v[195:196]
	buffer_load_dword v195, off, s[0:3], 0 offset:884
	ds_read_b128 v[119:122], v161 offset:1552
	v_add_f64 v[123:124], v[123:124], v[182:183]
	v_add_f64 v[125:126], v[125:126], v[176:177]
	s_waitcnt vmcnt(53) lgkmcnt(1)
	v_mul_f64 v[176:177], v[1:2], v[135:136]
	v_mul_f64 v[135:136], v[3:4], v[135:136]
	s_waitcnt vmcnt(52)
	v_fma_f64 v[182:183], v[5:6], v[201:202], -v[192:193]
	v_add_f64 v[123:124], v[123:124], v[186:187]
	v_fma_f64 v[186:187], v[7:8], v[201:202], v[188:189]
	v_add_f64 v[125:126], v[125:126], v[155:156]
	ds_read_b128 v[5:8], v161 offset:1568
	s_waitcnt vmcnt(51) lgkmcnt(1)
	v_mul_f64 v[155:156], v[119:120], v[157:158]
	v_mul_f64 v[157:158], v[121:122], v[157:158]
	s_waitcnt vmcnt(49)
	v_fma_f64 v[135:136], v[1:2], v[129:130], -v[135:136]
	v_fma_f64 v[129:130], v[3:4], v[129:130], v[176:177]
	v_add_f64 v[123:124], v[123:124], v[182:183]
	s_clause 0x3
	buffer_load_dword v176, off, s[0:3], 0 offset:352
	buffer_load_dword v177, off, s[0:3], 0 offset:356
	;; [unrolled: 1-line block ×4, first 2 shown]
	v_add_f64 v[125:126], v[125:126], v[186:187]
	ds_read_b128 v[1:4], v161 offset:1584
	s_waitcnt vmcnt(49) lgkmcnt(1)
	v_mul_f64 v[186:187], v[5:6], v[149:150]
	v_mul_f64 v[149:150], v[7:8], v[149:150]
	s_waitcnt vmcnt(48)
	v_fma_f64 v[157:158], v[119:120], v[197:198], -v[157:158]
	v_add_f64 v[123:124], v[123:124], v[135:136]
	v_fma_f64 v[135:136], v[121:122], v[197:198], v[155:156]
	v_add_f64 v[125:126], v[125:126], v[129:130]
	ds_read_b128 v[119:122], v161 offset:1600
	s_waitcnt vmcnt(47) lgkmcnt(1)
	v_mul_f64 v[129:130], v[1:2], v[151:152]
	v_mul_f64 v[151:152], v[3:4], v[151:152]
	s_waitcnt vmcnt(45)
	v_fma_f64 v[149:150], v[5:6], v[131:132], -v[149:150]
	v_fma_f64 v[131:132], v[7:8], v[131:132], v[186:187]
	ds_read_b128 v[5:8], v161 offset:1616
	v_add_f64 v[123:124], v[123:124], v[157:158]
	v_add_f64 v[125:126], v[125:126], v[135:136]
	s_waitcnt vmcnt(41) lgkmcnt(1)
	v_mul_f64 v[135:136], v[119:120], v[127:128]
	v_mul_f64 v[127:128], v[121:122], v[127:128]
	s_waitcnt vmcnt(40)
	v_fma_f64 v[151:152], v[1:2], v[159:160], -v[151:152]
	v_fma_f64 v[129:130], v[3:4], v[159:160], v[129:130]
	ds_read_b128 v[1:4], v161 offset:1632
	v_add_f64 v[123:124], v[123:124], v[149:150]
	v_add_f64 v[125:126], v[125:126], v[131:132]
	;; [unrolled: 9-line block ×3, first 2 shown]
	s_waitcnt vmcnt(33) lgkmcnt(1)
	v_mul_f64 v[129:130], v[1:2], v[133:134]
	v_mul_f64 v[133:134], v[3:4], v[133:134]
	s_waitcnt vmcnt(32)
	v_fma_f64 v[137:138], v[5:6], v[153:154], -v[147:148]
	v_add_f64 v[123:124], v[123:124], v[127:128]
	v_fma_f64 v[127:128], v[7:8], v[153:154], v[131:132]
	v_add_f64 v[125:126], v[125:126], v[135:136]
	ds_read_b128 v[5:8], v161 offset:1664
	s_waitcnt vmcnt(31) lgkmcnt(1)
	v_mul_f64 v[135:136], v[121:122], v[164:165]
	v_mul_f64 v[131:132], v[119:120], v[164:165]
	s_waitcnt vmcnt(29)
	v_fma_f64 v[129:130], v[3:4], v[143:144], v[129:130]
	v_fma_f64 v[133:134], v[1:2], v[143:144], -v[133:134]
	ds_read_b128 v[1:4], v161 offset:1680
	v_add_f64 v[123:124], v[123:124], v[137:138]
	v_add_f64 v[125:126], v[125:126], v[127:128]
	s_waitcnt vmcnt(25) lgkmcnt(1)
	v_mul_f64 v[137:138], v[7:8], v[139:140]
	s_waitcnt vmcnt(24)
	v_fma_f64 v[135:136], v[119:120], v[166:167], -v[135:136]
	v_mul_f64 v[127:128], v[5:6], v[139:140]
	v_fma_f64 v[131:132], v[121:122], v[166:167], v[131:132]
	ds_read_b128 v[119:122], v161 offset:1696
	v_add_f64 v[123:124], v[123:124], v[133:134]
	v_add_f64 v[125:126], v[125:126], v[129:130]
	s_waitcnt vmcnt(23) lgkmcnt(1)
	v_mul_f64 v[133:134], v[3:4], v[170:171]
	v_mul_f64 v[129:130], v[1:2], v[170:171]
	s_waitcnt vmcnt(21)
	v_fma_f64 v[137:138], v[5:6], v[141:142], -v[137:138]
	v_fma_f64 v[127:128], v[7:8], v[141:142], v[127:128]
	ds_read_b128 v[5:8], v161 offset:1712
	v_add_f64 v[123:124], v[123:124], v[135:136]
	v_add_f64 v[125:126], v[125:126], v[131:132]
	s_waitcnt vmcnt(17) lgkmcnt(1)
	v_mul_f64 v[135:136], v[121:122], v[145:146]
	s_waitcnt vmcnt(16)
	v_fma_f64 v[133:134], v[1:2], v[174:175], -v[133:134]
	v_mul_f64 v[131:132], v[119:120], v[145:146]
	v_fma_f64 v[129:130], v[3:4], v[174:175], v[129:130]
	ds_read_b128 v[1:4], v161 offset:1728
	v_add_f64 v[123:124], v[123:124], v[137:138]
	v_add_f64 v[125:126], v[125:126], v[127:128]
	s_waitcnt vmcnt(15) lgkmcnt(1)
	v_mul_f64 v[137:138], v[7:8], v[180:181]
	v_mul_f64 v[127:128], v[5:6], v[180:181]
	s_waitcnt vmcnt(13)
	v_fma_f64 v[135:136], v[119:120], v[162:163], -v[135:136]
	v_fma_f64 v[131:132], v[121:122], v[162:163], v[131:132]
	ds_read_b128 v[119:122], v161 offset:1744
	v_add_f64 v[123:124], v[123:124], v[133:134]
	v_add_f64 v[125:126], v[125:126], v[129:130]
	s_waitcnt vmcnt(9) lgkmcnt(1)
	v_mul_f64 v[133:134], v[3:4], v[168:169]
	s_waitcnt vmcnt(8)
	v_fma_f64 v[5:6], v[5:6], v[184:185], -v[137:138]
	v_mul_f64 v[129:130], v[1:2], v[168:169]
	v_fma_f64 v[7:8], v[7:8], v[184:185], v[127:128]
	v_add_f64 v[123:124], v[123:124], v[135:136]
	v_add_f64 v[125:126], v[125:126], v[131:132]
	s_waitcnt vmcnt(7) lgkmcnt(0)
	v_mul_f64 v[131:132], v[121:122], v[190:191]
	v_mul_f64 v[127:128], v[119:120], v[190:191]
	s_waitcnt vmcnt(5)
	v_fma_f64 v[1:2], v[1:2], v[172:173], -v[133:134]
	v_fma_f64 v[3:4], v[3:4], v[172:173], v[129:130]
	v_add_f64 v[5:6], v[123:124], v[5:6]
	v_add_f64 v[7:8], v[125:126], v[7:8]
	s_waitcnt vmcnt(4)
	v_fma_f64 v[119:120], v[119:120], v[194:195], -v[131:132]
	v_add_f64 v[1:2], v[5:6], v[1:2]
	v_fma_f64 v[5:6], v[121:122], v[194:195], v[127:128]
	v_add_f64 v[3:4], v[7:8], v[3:4]
	v_add_f64 v[1:2], v[1:2], v[119:120]
	;; [unrolled: 1-line block ×3, first 2 shown]
	s_waitcnt vmcnt(2)
	v_add_f64 v[1:2], v[176:177], -v[1:2]
	s_waitcnt vmcnt(0)
	v_add_f64 v[3:4], v[182:183], -v[3:4]
	buffer_store_dword v2, off, s[0:3], 0 offset:356
	buffer_store_dword v1, off, s[0:3], 0 offset:352
	;; [unrolled: 1-line block ×4, first 2 shown]
	v_cmpx_lt_u32_e32 20, v0
	s_cbranch_execz .LBB118_303
; %bb.302:
	v_mov_b32_e32 v4, s47
	s_clause 0x3
	buffer_load_dword v1, v4, s[0:3], 0 offen
	buffer_load_dword v2, v4, s[0:3], 0 offen offset:4
	buffer_load_dword v3, v4, s[0:3], 0 offen offset:8
	buffer_load_dword v4, v4, s[0:3], 0 offen offset:12
	buffer_store_dword v161, off, s[0:3], 0 offset:336
	buffer_store_dword v161, off, s[0:3], 0 offset:340
	;; [unrolled: 1-line block ×4, first 2 shown]
	s_waitcnt vmcnt(0)
	ds_write_b128 v179, v[1:4]
.LBB118_303:
	s_or_b32 exec_lo, exec_lo, s4
	s_waitcnt lgkmcnt(0)
	s_waitcnt_vscnt null, 0x0
	s_barrier
	buffer_gl0_inv
	s_clause 0x37
	buffer_load_dword v119, off, s[0:3], 0 offset:360
	buffer_load_dword v120, off, s[0:3], 0 offset:364
	buffer_load_dword v5, off, s[0:3], 0 offset:376
	buffer_load_dword v6, off, s[0:3], 0 offset:380
	buffer_load_dword v7, off, s[0:3], 0 offset:352
	buffer_load_dword v8, off, s[0:3], 0 offset:356
	buffer_load_dword v3, off, s[0:3], 0 offset:392
	buffer_load_dword v4, off, s[0:3], 0 offset:396
	buffer_load_dword v1, off, s[0:3], 0 offset:368
	buffer_load_dword v2, off, s[0:3], 0 offset:372
	buffer_load_dword v124, off, s[0:3], 0 offset:412
	buffer_load_dword v127, off, s[0:3], 0 offset:424
	buffer_load_dword v121, off, s[0:3], 0 offset:416
	buffer_load_dword v123, off, s[0:3], 0 offset:408
	buffer_load_dword v135, off, s[0:3], 0 offset:384
	buffer_load_dword v136, off, s[0:3], 0 offset:388
	buffer_load_dword v128, off, s[0:3], 0 offset:428
	buffer_load_dword v130, off, s[0:3], 0 offset:404
	buffer_load_dword v129, off, s[0:3], 0 offset:400
	buffer_load_dword v132, off, s[0:3], 0 offset:444
	buffer_load_dword v137, off, s[0:3], 0 offset:456
	buffer_load_dword v125, off, s[0:3], 0 offset:448
	buffer_load_dword v131, off, s[0:3], 0 offset:440
	buffer_load_dword v122, off, s[0:3], 0 offset:420
	buffer_load_dword v138, off, s[0:3], 0 offset:460
	buffer_load_dword v140, off, s[0:3], 0 offset:436
	buffer_load_dword v139, off, s[0:3], 0 offset:432
	buffer_load_dword v142, off, s[0:3], 0 offset:476
	buffer_load_dword v145, off, s[0:3], 0 offset:488
	buffer_load_dword v133, off, s[0:3], 0 offset:480
	buffer_load_dword v141, off, s[0:3], 0 offset:472
	buffer_load_dword v126, off, s[0:3], 0 offset:452
	buffer_load_dword v146, off, s[0:3], 0 offset:492
	buffer_load_dword v148, off, s[0:3], 0 offset:468
	buffer_load_dword v147, off, s[0:3], 0 offset:464
	buffer_load_dword v150, off, s[0:3], 0 offset:508
	buffer_load_dword v153, off, s[0:3], 0 offset:520
	buffer_load_dword v143, off, s[0:3], 0 offset:512
	buffer_load_dword v149, off, s[0:3], 0 offset:504
	buffer_load_dword v134, off, s[0:3], 0 offset:484
	buffer_load_dword v154, off, s[0:3], 0 offset:524
	buffer_load_dword v156, off, s[0:3], 0 offset:500
	buffer_load_dword v155, off, s[0:3], 0 offset:496
	buffer_load_dword v158, off, s[0:3], 0 offset:540
	buffer_load_dword v174, off, s[0:3], 0 offset:552
	buffer_load_dword v151, off, s[0:3], 0 offset:544
	buffer_load_dword v157, off, s[0:3], 0 offset:536
	buffer_load_dword v144, off, s[0:3], 0 offset:516
	buffer_load_dword v175, off, s[0:3], 0 offset:556
	buffer_load_dword v177, off, s[0:3], 0 offset:532
	buffer_load_dword v176, off, s[0:3], 0 offset:528
	buffer_load_dword v181, off, s[0:3], 0 offset:572
	buffer_load_dword v182, off, s[0:3], 0 offset:584
	buffer_load_dword v159, off, s[0:3], 0 offset:576
	buffer_load_dword v180, off, s[0:3], 0 offset:568
	buffer_load_dword v152, off, s[0:3], 0 offset:548
	ds_read_b128 v[162:165], v161 offset:1216
	s_clause 0x2
	buffer_load_dword v183, off, s[0:3], 0 offset:588
	buffer_load_dword v185, off, s[0:3], 0 offset:564
	;; [unrolled: 1-line block ×3, first 2 shown]
	ds_read_b128 v[166:169], v161 offset:1232
	s_clause 0x4
	buffer_load_dword v189, off, s[0:3], 0 offset:604
	buffer_load_dword v190, off, s[0:3], 0 offset:616
	;; [unrolled: 1-line block ×5, first 2 shown]
	ds_read_b128 v[170:173], v161 offset:1248
	s_clause 0x2
	buffer_load_dword v191, off, s[0:3], 0 offset:620
	buffer_load_dword v196, off, s[0:3], 0 offset:596
	;; [unrolled: 1-line block ×3, first 2 shown]
	s_mov_b32 s4, exec_lo
	s_waitcnt vmcnt(62) lgkmcnt(2)
	v_mul_f64 v[186:187], v[164:165], v[119:120]
	v_mul_f64 v[119:120], v[162:163], v[119:120]
	s_waitcnt lgkmcnt(1)
	v_mul_f64 v[193:194], v[168:169], v[5:6]
	s_waitcnt vmcnt(59) lgkmcnt(0)
	v_mul_f64 v[197:198], v[172:173], v[3:4]
	v_fma_f64 v[162:163], v[162:163], v[7:8], -v[186:187]
	v_mul_f64 v[186:187], v[166:167], v[5:6]
	v_fma_f64 v[119:120], v[164:165], v[7:8], v[119:120]
	s_waitcnt vmcnt(57)
	v_fma_f64 v[166:167], v[166:167], v[1:2], -v[193:194]
	ds_read_b128 v[5:8], v161 offset:1264
	v_mul_f64 v[164:165], v[170:171], v[3:4]
	s_waitcnt vmcnt(51)
	v_fma_f64 v[170:171], v[170:171], v[135:136], -v[197:198]
	v_add_f64 v[162:163], v[162:163], 0
	v_fma_f64 v[168:169], v[168:169], v[1:2], v[186:187]
	v_add_f64 v[119:120], v[119:120], 0
	s_clause 0x4
	buffer_load_dword v187, off, s[0:3], 0 offset:636
	buffer_load_dword v199, off, s[0:3], 0 offset:648
	;; [unrolled: 1-line block ×5, first 2 shown]
	s_waitcnt lgkmcnt(0)
	v_mul_f64 v[202:203], v[5:6], v[123:124]
	v_mul_f64 v[123:124], v[7:8], v[123:124]
	ds_read_b128 v[1:4], v161 offset:1280
	v_fma_f64 v[135:136], v[172:173], v[135:136], v[164:165]
	v_add_f64 v[166:167], v[162:163], v[166:167]
	v_add_f64 v[119:120], v[119:120], v[168:169]
	s_clause 0x2
	buffer_load_dword v200, off, s[0:3], 0 offset:652
	buffer_load_dword v169, off, s[0:3], 0 offset:628
	;; [unrolled: 1-line block ×3, first 2 shown]
	s_waitcnt vmcnt(58) lgkmcnt(0)
	v_mul_f64 v[172:173], v[1:2], v[127:128]
	v_mul_f64 v[127:128], v[3:4], v[127:128]
	s_waitcnt vmcnt(56)
	v_fma_f64 v[123:124], v[5:6], v[129:130], -v[123:124]
	ds_read_b128 v[162:165], v161 offset:1296
	v_fma_f64 v[129:130], v[7:8], v[129:130], v[202:203]
	v_add_f64 v[166:167], v[166:167], v[170:171]
	v_add_f64 v[119:120], v[119:120], v[135:136]
	s_clause 0x4
	buffer_load_dword v136, off, s[0:3], 0 offset:668
	buffer_load_dword v170, off, s[0:3], 0 offset:680
	;; [unrolled: 1-line block ×5, first 2 shown]
	ds_read_b128 v[5:8], v161 offset:1312
	s_waitcnt vmcnt(57) lgkmcnt(1)
	v_mul_f64 v[203:204], v[162:163], v[131:132]
	v_mul_f64 v[131:132], v[164:165], v[131:132]
	s_waitcnt vmcnt(56)
	v_fma_f64 v[127:128], v[1:2], v[121:122], -v[127:128]
	v_fma_f64 v[121:122], v[3:4], v[121:122], v[172:173]
	v_add_f64 v[123:124], v[166:167], v[123:124]
	v_add_f64 v[119:120], v[119:120], v[129:130]
	s_clause 0x2
	buffer_load_dword v171, off, s[0:3], 0 offset:684
	buffer_load_dword v130, off, s[0:3], 0 offset:660
	;; [unrolled: 1-line block ×3, first 2 shown]
	s_waitcnt vmcnt(58) lgkmcnt(0)
	v_mul_f64 v[166:167], v[5:6], v[137:138]
	v_mul_f64 v[137:138], v[7:8], v[137:138]
	s_waitcnt vmcnt(56)
	v_fma_f64 v[131:132], v[162:163], v[139:140], -v[131:132]
	ds_read_b128 v[1:4], v161 offset:1328
	v_add_f64 v[123:124], v[123:124], v[127:128]
	v_fma_f64 v[127:128], v[164:165], v[139:140], v[203:204]
	v_add_f64 v[139:140], v[119:120], v[121:122]
	s_clause 0x4
	buffer_load_dword v163, off, s[0:3], 0 offset:700
	buffer_load_dword v164, off, s[0:3], 0 offset:712
	;; [unrolled: 1-line block ×5, first 2 shown]
	ds_read_b128 v[119:122], v161 offset:1344
	s_waitcnt vmcnt(57) lgkmcnt(1)
	v_mul_f64 v[203:204], v[1:2], v[141:142]
	v_mul_f64 v[141:142], v[3:4], v[141:142]
	s_waitcnt vmcnt(56)
	v_fma_f64 v[137:138], v[5:6], v[125:126], -v[137:138]
	v_fma_f64 v[125:126], v[7:8], v[125:126], v[166:167]
	v_add_f64 v[123:124], v[123:124], v[131:132]
	s_clause 0x2
	buffer_load_dword v165, off, s[0:3], 0 offset:716
	buffer_load_dword v132, off, s[0:3], 0 offset:692
	;; [unrolled: 1-line block ×3, first 2 shown]
	v_add_f64 v[127:128], v[139:140], v[127:128]
	s_waitcnt vmcnt(58) lgkmcnt(0)
	v_mul_f64 v[139:140], v[119:120], v[145:146]
	v_mul_f64 v[145:146], v[121:122], v[145:146]
	ds_read_b128 v[5:8], v161 offset:1360
	s_waitcnt vmcnt(56)
	v_fma_f64 v[141:142], v[1:2], v[147:148], -v[141:142]
	v_add_f64 v[123:124], v[123:124], v[137:138]
	v_fma_f64 v[137:138], v[3:4], v[147:148], v[203:204]
	v_add_f64 v[125:126], v[127:128], v[125:126]
	s_clause 0x4
	buffer_load_dword v128, off, s[0:3], 0 offset:732
	buffer_load_dword v147, off, s[0:3], 0 offset:744
	;; [unrolled: 1-line block ×5, first 2 shown]
	s_waitcnt vmcnt(57) lgkmcnt(0)
	v_mul_f64 v[203:204], v[5:6], v[149:150]
	v_mul_f64 v[149:150], v[7:8], v[149:150]
	s_waitcnt vmcnt(56)
	v_fma_f64 v[145:146], v[119:120], v[133:134], -v[145:146]
	ds_read_b128 v[1:4], v161 offset:1376
	v_fma_f64 v[133:134], v[121:122], v[133:134], v[139:140]
	v_add_f64 v[123:124], v[123:124], v[141:142]
	v_add_f64 v[125:126], v[125:126], v[137:138]
	s_clause 0x2
	buffer_load_dword v148, off, s[0:3], 0 offset:748
	buffer_load_dword v138, off, s[0:3], 0 offset:724
	;; [unrolled: 1-line block ×3, first 2 shown]
	ds_read_b128 v[119:122], v161 offset:1392
	s_waitcnt vmcnt(58) lgkmcnt(1)
	v_mul_f64 v[141:142], v[3:4], v[153:154]
	s_waitcnt vmcnt(56)
	v_fma_f64 v[149:150], v[5:6], v[155:156], -v[149:150]
	v_mul_f64 v[139:140], v[1:2], v[153:154]
	v_add_f64 v[123:124], v[123:124], v[145:146]
	v_fma_f64 v[145:146], v[7:8], v[155:156], v[203:204]
	v_add_f64 v[125:126], v[125:126], v[133:134]
	s_clause 0x4
	buffer_load_dword v134, off, s[0:3], 0 offset:764
	buffer_load_dword v153, off, s[0:3], 0 offset:776
	;; [unrolled: 1-line block ×5, first 2 shown]
	s_waitcnt vmcnt(57) lgkmcnt(0)
	v_mul_f64 v[203:204], v[119:120], v[157:158]
	v_mul_f64 v[156:157], v[121:122], v[157:158]
	s_waitcnt vmcnt(56)
	v_fma_f64 v[141:142], v[1:2], v[143:144], -v[141:142]
	ds_read_b128 v[5:8], v161 offset:1408
	v_fma_f64 v[139:140], v[3:4], v[143:144], v[139:140]
	s_clause 0x2
	buffer_load_dword v154, off, s[0:3], 0 offset:780
	buffer_load_dword v144, off, s[0:3], 0 offset:756
	;; [unrolled: 1-line block ×3, first 2 shown]
	ds_read_b128 v[1:4], v161 offset:1424
	v_add_f64 v[123:124], v[123:124], v[149:150]
	v_add_f64 v[125:126], v[125:126], v[145:146]
	s_waitcnt vmcnt(58) lgkmcnt(1)
	v_mul_f64 v[149:150], v[7:8], v[174:175]
	s_waitcnt vmcnt(56)
	v_fma_f64 v[157:158], v[119:120], v[176:177], -v[156:157]
	v_mul_f64 v[145:146], v[5:6], v[174:175]
	v_add_f64 v[123:124], v[123:124], v[141:142]
	v_fma_f64 v[141:142], v[121:122], v[176:177], v[203:204]
	v_add_f64 v[125:126], v[125:126], v[139:140]
	s_clause 0x4
	buffer_load_dword v140, off, s[0:3], 0 offset:796
	buffer_load_dword v174, off, s[0:3], 0 offset:808
	;; [unrolled: 1-line block ×5, first 2 shown]
	s_waitcnt vmcnt(57) lgkmcnt(0)
	v_mul_f64 v[177:178], v[1:2], v[180:181]
	v_mul_f64 v[180:181], v[3:4], v[180:181]
	s_waitcnt vmcnt(56)
	v_fma_f64 v[149:150], v[5:6], v[151:152], -v[149:150]
	ds_read_b128 v[119:122], v161 offset:1440
	v_fma_f64 v[145:146], v[7:8], v[151:152], v[145:146]
	v_add_f64 v[123:124], v[123:124], v[157:158]
	v_add_f64 v[125:126], v[125:126], v[141:142]
	s_clause 0x2
	buffer_load_dword v175, off, s[0:3], 0 offset:812
	buffer_load_dword v142, off, s[0:3], 0 offset:788
	;; [unrolled: 1-line block ×3, first 2 shown]
	ds_read_b128 v[5:8], v161 offset:1456
	s_waitcnt vmcnt(58) lgkmcnt(1)
	v_mul_f64 v[157:158], v[121:122], v[182:183]
	s_waitcnt vmcnt(56)
	v_fma_f64 v[180:181], v[1:2], v[184:185], -v[180:181]
	v_mul_f64 v[151:152], v[119:120], v[182:183]
	v_add_f64 v[123:124], v[123:124], v[149:150]
	v_fma_f64 v[149:150], v[3:4], v[184:185], v[177:178]
	v_add_f64 v[125:126], v[125:126], v[145:146]
	s_clause 0x4
	buffer_load_dword v146, off, s[0:3], 0 offset:828
	buffer_load_dword v182, off, s[0:3], 0 offset:840
	buffer_load_dword v184, off, s[0:3], 0 offset:832
	buffer_load_dword v145, off, s[0:3], 0 offset:824
	buffer_load_dword v177, off, s[0:3], 0 offset:804
	s_waitcnt vmcnt(57) lgkmcnt(0)
	v_mul_f64 v[203:204], v[5:6], v[188:189]
	v_mul_f64 v[188:189], v[7:8], v[188:189]
	s_waitcnt vmcnt(56)
	v_fma_f64 v[157:158], v[119:120], v[159:160], -v[157:158]
	ds_read_b128 v[1:4], v161 offset:1472
	v_fma_f64 v[151:152], v[121:122], v[159:160], v[151:152]
	v_add_f64 v[123:124], v[123:124], v[180:181]
	v_add_f64 v[125:126], v[125:126], v[149:150]
	s_clause 0x2
	buffer_load_dword v183, off, s[0:3], 0 offset:844
	buffer_load_dword v150, off, s[0:3], 0 offset:820
	buffer_load_dword v149, off, s[0:3], 0 offset:816
	ds_read_b128 v[119:122], v161 offset:1488
	s_waitcnt vmcnt(58) lgkmcnt(1)
	v_mul_f64 v[180:181], v[3:4], v[190:191]
	s_waitcnt vmcnt(56)
	v_fma_f64 v[188:189], v[5:6], v[195:196], -v[188:189]
	v_mul_f64 v[159:160], v[1:2], v[190:191]
	v_add_f64 v[123:124], v[123:124], v[157:158]
	v_fma_f64 v[157:158], v[7:8], v[195:196], v[203:204]
	v_add_f64 v[125:126], v[125:126], v[151:152]
	s_clause 0x4
	buffer_load_dword v152, off, s[0:3], 0 offset:860
	buffer_load_dword v190, off, s[0:3], 0 offset:872
	;; [unrolled: 1-line block ×5, first 2 shown]
	ds_read_b128 v[5:8], v161 offset:1504
	s_waitcnt vmcnt(57) lgkmcnt(1)
	v_mul_f64 v[195:196], v[119:120], v[186:187]
	v_mul_f64 v[186:187], v[121:122], v[186:187]
	s_waitcnt vmcnt(56)
	v_fma_f64 v[180:181], v[1:2], v[192:193], -v[180:181]
	v_fma_f64 v[159:160], v[3:4], v[192:193], v[159:160]
	v_add_f64 v[123:124], v[123:124], v[188:189]
	v_add_f64 v[125:126], v[125:126], v[157:158]
	s_clause 0x2
	buffer_load_dword v191, off, s[0:3], 0 offset:876
	buffer_load_dword v158, off, s[0:3], 0 offset:852
	;; [unrolled: 1-line block ×3, first 2 shown]
	ds_read_b128 v[1:4], v161 offset:1520
	s_waitcnt vmcnt(58) lgkmcnt(1)
	v_mul_f64 v[192:193], v[7:8], v[199:200]
	v_mul_f64 v[188:189], v[5:6], v[199:200]
	s_waitcnt vmcnt(56)
	v_fma_f64 v[186:187], v[119:120], v[168:169], -v[186:187]
	v_fma_f64 v[168:169], v[121:122], v[168:169], v[195:196]
	v_add_f64 v[123:124], v[123:124], v[180:181]
	v_add_f64 v[125:126], v[125:126], v[159:160]
	s_clause 0x2
	buffer_load_dword v160, off, s[0:3], 0 offset:892
	buffer_load_dword v159, off, s[0:3], 0 offset:888
	;; [unrolled: 1-line block ×3, first 2 shown]
	ds_read_b128 v[119:122], v161 offset:1536
	s_waitcnt vmcnt(55) lgkmcnt(1)
	v_mul_f64 v[180:181], v[1:2], v[135:136]
	v_mul_f64 v[135:136], v[3:4], v[135:136]
	s_waitcnt vmcnt(54)
	v_fma_f64 v[192:193], v[5:6], v[201:202], -v[192:193]
	v_add_f64 v[123:124], v[123:124], v[186:187]
	v_fma_f64 v[186:187], v[7:8], v[201:202], v[188:189]
	v_add_f64 v[125:126], v[125:126], v[168:169]
	s_clause 0x1
	buffer_load_dword v169, off, s[0:3], 0 offset:884
	buffer_load_dword v168, off, s[0:3], 0 offset:880
	ds_read_b128 v[5:8], v161 offset:1552
	s_waitcnt vmcnt(55) lgkmcnt(1)
	v_mul_f64 v[188:189], v[119:120], v[170:171]
	v_mul_f64 v[170:171], v[121:122], v[170:171]
	s_waitcnt vmcnt(53)
	v_fma_f64 v[135:136], v[1:2], v[129:130], -v[135:136]
	v_fma_f64 v[129:130], v[3:4], v[129:130], v[180:181]
	ds_read_b128 v[1:4], v161 offset:1568
	v_add_f64 v[123:124], v[123:124], v[192:193]
	v_add_f64 v[125:126], v[125:126], v[186:187]
	s_waitcnt vmcnt(49) lgkmcnt(1)
	v_mul_f64 v[180:181], v[5:6], v[162:163]
	v_mul_f64 v[162:163], v[7:8], v[162:163]
	s_waitcnt vmcnt(48)
	v_fma_f64 v[170:171], v[119:120], v[197:198], -v[170:171]
	v_add_f64 v[123:124], v[123:124], v[135:136]
	v_fma_f64 v[135:136], v[121:122], v[197:198], v[188:189]
	v_add_f64 v[125:126], v[125:126], v[129:130]
	s_clause 0x3
	buffer_load_dword v129, off, s[0:3], 0 offset:336
	buffer_load_dword v130, off, s[0:3], 0 offset:340
	;; [unrolled: 1-line block ×4, first 2 shown]
	ds_read_b128 v[119:122], v161 offset:1584
	s_waitcnt vmcnt(51) lgkmcnt(1)
	v_mul_f64 v[188:189], v[1:2], v[164:165]
	v_mul_f64 v[164:165], v[3:4], v[164:165]
	s_waitcnt vmcnt(49)
	v_fma_f64 v[162:163], v[5:6], v[131:132], -v[162:163]
	v_fma_f64 v[131:132], v[7:8], v[131:132], v[180:181]
	ds_read_b128 v[5:8], v161 offset:1600
	v_add_f64 v[123:124], v[123:124], v[170:171]
	v_add_f64 v[125:126], v[125:126], v[135:136]
	s_waitcnt vmcnt(45) lgkmcnt(1)
	v_mul_f64 v[135:136], v[119:120], v[127:128]
	v_mul_f64 v[127:128], v[121:122], v[127:128]
	s_waitcnt vmcnt(44)
	v_fma_f64 v[164:165], v[1:2], v[172:173], -v[164:165]
	v_add_f64 v[123:124], v[123:124], v[162:163]
	v_fma_f64 v[162:163], v[3:4], v[172:173], v[188:189]
	v_add_f64 v[125:126], v[125:126], v[131:132]
	ds_read_b128 v[1:4], v161 offset:1616
	s_waitcnt vmcnt(43) lgkmcnt(1)
	v_mul_f64 v[131:132], v[5:6], v[147:148]
	v_mul_f64 v[147:148], v[7:8], v[147:148]
	s_waitcnt vmcnt(41)
	v_fma_f64 v[127:128], v[119:120], v[137:138], -v[127:128]
	v_fma_f64 v[135:136], v[121:122], v[137:138], v[135:136]
	ds_read_b128 v[119:122], v161 offset:1632
	v_add_f64 v[123:124], v[123:124], v[164:165]
	v_add_f64 v[125:126], v[125:126], v[162:163]
	s_waitcnt vmcnt(37) lgkmcnt(1)
	v_mul_f64 v[137:138], v[1:2], v[133:134]
	v_mul_f64 v[133:134], v[3:4], v[133:134]
	s_waitcnt vmcnt(36)
	v_fma_f64 v[147:148], v[5:6], v[166:167], -v[147:148]
	v_add_f64 v[123:124], v[123:124], v[127:128]
	v_fma_f64 v[127:128], v[7:8], v[166:167], v[131:132]
	v_add_f64 v[125:126], v[125:126], v[135:136]
	s_waitcnt vmcnt(35) lgkmcnt(0)
	v_mul_f64 v[135:136], v[121:122], v[153:154]
	ds_read_b128 v[5:8], v161 offset:1648
	v_mul_f64 v[131:132], v[119:120], v[153:154]
	s_waitcnt vmcnt(33)
	v_fma_f64 v[137:138], v[3:4], v[143:144], v[137:138]
	v_fma_f64 v[133:134], v[1:2], v[143:144], -v[133:134]
	ds_read_b128 v[1:4], v161 offset:1664
	v_add_f64 v[123:124], v[123:124], v[147:148]
	v_add_f64 v[125:126], v[125:126], v[127:128]
	s_waitcnt vmcnt(29) lgkmcnt(1)
	v_mul_f64 v[127:128], v[5:6], v[139:140]
	v_mul_f64 v[139:140], v[7:8], v[139:140]
	s_waitcnt vmcnt(28)
	v_fma_f64 v[135:136], v[119:120], v[155:156], -v[135:136]
	v_fma_f64 v[131:132], v[121:122], v[155:156], v[131:132]
	ds_read_b128 v[119:122], v161 offset:1680
	v_add_f64 v[123:124], v[123:124], v[133:134]
	v_add_f64 v[125:126], v[125:126], v[137:138]
	s_waitcnt vmcnt(27) lgkmcnt(1)
	v_mul_f64 v[137:138], v[3:4], v[174:175]
	v_mul_f64 v[133:134], v[1:2], v[174:175]
	s_waitcnt vmcnt(25)
	v_fma_f64 v[139:140], v[5:6], v[141:142], -v[139:140]
	v_fma_f64 v[127:128], v[7:8], v[141:142], v[127:128]
	ds_read_b128 v[5:8], v161 offset:1696
	v_add_f64 v[123:124], v[123:124], v[135:136]
	v_add_f64 v[125:126], v[125:126], v[131:132]
	s_waitcnt vmcnt(21) lgkmcnt(1)
	v_mul_f64 v[135:136], v[121:122], v[145:146]
	s_waitcnt vmcnt(20)
	v_fma_f64 v[137:138], v[1:2], v[176:177], -v[137:138]
	v_mul_f64 v[131:132], v[119:120], v[145:146]
	v_fma_f64 v[133:134], v[3:4], v[176:177], v[133:134]
	ds_read_b128 v[1:4], v161 offset:1712
	v_add_f64 v[123:124], v[123:124], v[139:140]
	v_add_f64 v[125:126], v[125:126], v[127:128]
	s_waitcnt vmcnt(19) lgkmcnt(1)
	v_mul_f64 v[139:140], v[7:8], v[182:183]
	v_mul_f64 v[127:128], v[5:6], v[182:183]
	s_waitcnt vmcnt(17)
	v_fma_f64 v[135:136], v[119:120], v[149:150], -v[135:136]
	v_fma_f64 v[131:132], v[121:122], v[149:150], v[131:132]
	ds_read_b128 v[119:122], v161 offset:1728
	v_add_f64 v[123:124], v[123:124], v[137:138]
	v_add_f64 v[125:126], v[125:126], v[133:134]
	s_waitcnt vmcnt(13) lgkmcnt(1)
	v_mul_f64 v[137:138], v[3:4], v[151:152]
	s_waitcnt vmcnt(12)
	v_fma_f64 v[139:140], v[5:6], v[184:185], -v[139:140]
	v_mul_f64 v[133:134], v[1:2], v[151:152]
	v_fma_f64 v[127:128], v[7:8], v[184:185], v[127:128]
	ds_read_b128 v[5:8], v161 offset:1744
	v_add_f64 v[123:124], v[123:124], v[135:136]
	v_add_f64 v[125:126], v[125:126], v[131:132]
	s_waitcnt vmcnt(11) lgkmcnt(1)
	v_mul_f64 v[135:136], v[121:122], v[190:191]
	v_mul_f64 v[131:132], v[119:120], v[190:191]
	s_waitcnt vmcnt(9)
	v_fma_f64 v[1:2], v[1:2], v[157:158], -v[137:138]
	v_fma_f64 v[3:4], v[3:4], v[157:158], v[133:134]
	v_add_f64 v[123:124], v[123:124], v[139:140]
	v_add_f64 v[125:126], v[125:126], v[127:128]
	s_waitcnt vmcnt(7) lgkmcnt(0)
	v_mul_f64 v[133:134], v[7:8], v[159:160]
	s_waitcnt vmcnt(6)
	v_fma_f64 v[119:120], v[119:120], v[194:195], -v[135:136]
	v_mul_f64 v[127:128], v[5:6], v[159:160]
	v_fma_f64 v[121:122], v[121:122], v[194:195], v[131:132]
	v_add_f64 v[1:2], v[123:124], v[1:2]
	v_add_f64 v[3:4], v[125:126], v[3:4]
	s_waitcnt vmcnt(4)
	v_fma_f64 v[5:6], v[5:6], v[168:169], -v[133:134]
	v_fma_f64 v[7:8], v[7:8], v[168:169], v[127:128]
	v_add_f64 v[1:2], v[1:2], v[119:120]
	v_add_f64 v[3:4], v[3:4], v[121:122]
	;; [unrolled: 1-line block ×4, first 2 shown]
	s_waitcnt vmcnt(2)
	v_add_f64 v[1:2], v[129:130], -v[1:2]
	s_waitcnt vmcnt(0)
	v_add_f64 v[3:4], v[186:187], -v[3:4]
	buffer_store_dword v2, off, s[0:3], 0 offset:340
	buffer_store_dword v1, off, s[0:3], 0 offset:336
	;; [unrolled: 1-line block ×4, first 2 shown]
	v_cmpx_lt_u32_e32 19, v0
	s_cbranch_execz .LBB118_305
; %bb.304:
	v_mov_b32_e32 v4, s48
	v_mov_b32_e32 v5, 0
	s_clause 0x3
	buffer_load_dword v1, v4, s[0:3], 0 offen
	buffer_load_dword v2, v4, s[0:3], 0 offen offset:4
	buffer_load_dword v3, v4, s[0:3], 0 offen offset:8
	;; [unrolled: 1-line block ×3, first 2 shown]
	buffer_store_dword v5, off, s[0:3], 0 offset:320
	buffer_store_dword v5, off, s[0:3], 0 offset:324
	;; [unrolled: 1-line block ×4, first 2 shown]
	s_waitcnt vmcnt(0)
	ds_write_b128 v179, v[1:4]
.LBB118_305:
	s_or_b32 exec_lo, exec_lo, s4
	s_waitcnt lgkmcnt(0)
	s_waitcnt_vscnt null, 0x0
	s_barrier
	buffer_gl0_inv
	s_clause 0x37
	buffer_load_dword v119, off, s[0:3], 0 offset:344
	buffer_load_dword v120, off, s[0:3], 0 offset:348
	;; [unrolled: 1-line block ×56, first 2 shown]
	v_mov_b32_e32 v171, 0
	s_mov_b32 s4, exec_lo
	ds_read_b128 v[172:175], v171 offset:1200
	s_clause 0x2
	buffer_load_dword v168, off, s[0:3], 0 offset:572
	buffer_load_dword v170, off, s[0:3], 0 offset:548
	;; [unrolled: 1-line block ×3, first 2 shown]
	ds_read_b128 v[180:183], v171 offset:1216
	s_clause 0x4
	buffer_load_dword v189, off, s[0:3], 0 offset:588
	buffer_load_dword v190, off, s[0:3], 0 offset:600
	;; [unrolled: 1-line block ×5, first 2 shown]
	ds_read_b128 v[184:187], v171 offset:1232
	s_clause 0x2
	buffer_load_dword v191, off, s[0:3], 0 offset:604
	buffer_load_dword v196, off, s[0:3], 0 offset:580
	;; [unrolled: 1-line block ×3, first 2 shown]
	s_waitcnt vmcnt(62) lgkmcnt(2)
	v_mul_f64 v[176:177], v[174:175], v[119:120]
	v_mul_f64 v[119:120], v[172:173], v[119:120]
	s_waitcnt lgkmcnt(1)
	v_mul_f64 v[193:194], v[182:183], v[5:6]
	s_waitcnt vmcnt(59) lgkmcnt(0)
	v_mul_f64 v[197:198], v[186:187], v[3:4]
	v_fma_f64 v[172:173], v[172:173], v[7:8], -v[176:177]
	v_mul_f64 v[176:177], v[180:181], v[5:6]
	v_fma_f64 v[119:120], v[174:175], v[7:8], v[119:120]
	s_waitcnt vmcnt(57)
	v_fma_f64 v[180:181], v[180:181], v[1:2], -v[193:194]
	ds_read_b128 v[5:8], v171 offset:1248
	v_mul_f64 v[174:175], v[184:185], v[3:4]
	s_waitcnt vmcnt(51)
	v_fma_f64 v[184:185], v[184:185], v[135:136], -v[197:198]
	v_add_f64 v[172:173], v[172:173], 0
	v_fma_f64 v[176:177], v[182:183], v[1:2], v[176:177]
	v_add_f64 v[119:120], v[119:120], 0
	s_clause 0x4
	buffer_load_dword v183, off, s[0:3], 0 offset:620
	buffer_load_dword v199, off, s[0:3], 0 offset:632
	;; [unrolled: 1-line block ×5, first 2 shown]
	s_waitcnt lgkmcnt(0)
	v_mul_f64 v[202:203], v[5:6], v[123:124]
	v_mul_f64 v[123:124], v[7:8], v[123:124]
	ds_read_b128 v[1:4], v171 offset:1264
	v_fma_f64 v[135:136], v[186:187], v[135:136], v[174:175]
	v_add_f64 v[180:181], v[172:173], v[180:181]
	v_add_f64 v[119:120], v[119:120], v[176:177]
	s_clause 0x2
	buffer_load_dword v200, off, s[0:3], 0 offset:636
	buffer_load_dword v177, off, s[0:3], 0 offset:612
	;; [unrolled: 1-line block ×3, first 2 shown]
	s_waitcnt vmcnt(58) lgkmcnt(0)
	v_mul_f64 v[186:187], v[1:2], v[127:128]
	v_mul_f64 v[127:128], v[3:4], v[127:128]
	s_waitcnt vmcnt(56)
	v_fma_f64 v[123:124], v[5:6], v[129:130], -v[123:124]
	ds_read_b128 v[172:175], v171 offset:1280
	v_fma_f64 v[129:130], v[7:8], v[129:130], v[202:203]
	v_add_f64 v[180:181], v[180:181], v[184:185]
	v_add_f64 v[119:120], v[119:120], v[135:136]
	s_clause 0x4
	buffer_load_dword v136, off, s[0:3], 0 offset:652
	buffer_load_dword v184, off, s[0:3], 0 offset:664
	;; [unrolled: 1-line block ×5, first 2 shown]
	ds_read_b128 v[5:8], v171 offset:1296
	s_waitcnt vmcnt(57) lgkmcnt(1)
	v_mul_f64 v[203:204], v[172:173], v[131:132]
	v_mul_f64 v[131:132], v[174:175], v[131:132]
	s_waitcnt vmcnt(56)
	v_fma_f64 v[127:128], v[1:2], v[121:122], -v[127:128]
	v_fma_f64 v[121:122], v[3:4], v[121:122], v[186:187]
	v_add_f64 v[123:124], v[180:181], v[123:124]
	v_add_f64 v[119:120], v[119:120], v[129:130]
	s_clause 0x2
	buffer_load_dword v185, off, s[0:3], 0 offset:668
	buffer_load_dword v130, off, s[0:3], 0 offset:644
	;; [unrolled: 1-line block ×3, first 2 shown]
	s_waitcnt vmcnt(58) lgkmcnt(0)
	v_mul_f64 v[180:181], v[5:6], v[137:138]
	v_mul_f64 v[137:138], v[7:8], v[137:138]
	s_waitcnt vmcnt(56)
	v_fma_f64 v[131:132], v[172:173], v[139:140], -v[131:132]
	ds_read_b128 v[1:4], v171 offset:1312
	v_add_f64 v[123:124], v[123:124], v[127:128]
	v_fma_f64 v[127:128], v[174:175], v[139:140], v[203:204]
	v_add_f64 v[139:140], v[119:120], v[121:122]
	s_clause 0x4
	buffer_load_dword v173, off, s[0:3], 0 offset:684
	buffer_load_dword v174, off, s[0:3], 0 offset:696
	;; [unrolled: 1-line block ×5, first 2 shown]
	ds_read_b128 v[119:122], v171 offset:1328
	s_waitcnt vmcnt(57) lgkmcnt(1)
	v_mul_f64 v[203:204], v[1:2], v[141:142]
	v_mul_f64 v[141:142], v[3:4], v[141:142]
	s_waitcnt vmcnt(56)
	v_fma_f64 v[137:138], v[5:6], v[125:126], -v[137:138]
	v_fma_f64 v[125:126], v[7:8], v[125:126], v[180:181]
	v_add_f64 v[123:124], v[123:124], v[131:132]
	s_clause 0x2
	buffer_load_dword v175, off, s[0:3], 0 offset:700
	buffer_load_dword v132, off, s[0:3], 0 offset:676
	;; [unrolled: 1-line block ×3, first 2 shown]
	v_add_f64 v[127:128], v[139:140], v[127:128]
	s_waitcnt vmcnt(58) lgkmcnt(0)
	v_mul_f64 v[139:140], v[119:120], v[145:146]
	v_mul_f64 v[145:146], v[121:122], v[145:146]
	ds_read_b128 v[5:8], v171 offset:1344
	s_waitcnt vmcnt(56)
	v_fma_f64 v[141:142], v[1:2], v[147:148], -v[141:142]
	v_add_f64 v[123:124], v[123:124], v[137:138]
	v_fma_f64 v[137:138], v[3:4], v[147:148], v[203:204]
	v_add_f64 v[125:126], v[127:128], v[125:126]
	s_clause 0x4
	buffer_load_dword v128, off, s[0:3], 0 offset:716
	buffer_load_dword v147, off, s[0:3], 0 offset:728
	;; [unrolled: 1-line block ×5, first 2 shown]
	s_waitcnt vmcnt(57) lgkmcnt(0)
	v_mul_f64 v[203:204], v[5:6], v[149:150]
	v_mul_f64 v[149:150], v[7:8], v[149:150]
	s_waitcnt vmcnt(56)
	v_fma_f64 v[145:146], v[119:120], v[133:134], -v[145:146]
	ds_read_b128 v[1:4], v171 offset:1360
	v_fma_f64 v[133:134], v[121:122], v[133:134], v[139:140]
	v_add_f64 v[123:124], v[123:124], v[141:142]
	v_add_f64 v[125:126], v[125:126], v[137:138]
	s_clause 0x2
	buffer_load_dword v148, off, s[0:3], 0 offset:732
	buffer_load_dword v138, off, s[0:3], 0 offset:708
	;; [unrolled: 1-line block ×3, first 2 shown]
	ds_read_b128 v[119:122], v171 offset:1376
	s_waitcnt vmcnt(58) lgkmcnt(1)
	v_mul_f64 v[141:142], v[3:4], v[153:154]
	s_waitcnt vmcnt(56)
	v_fma_f64 v[149:150], v[5:6], v[155:156], -v[149:150]
	v_mul_f64 v[139:140], v[1:2], v[153:154]
	v_add_f64 v[123:124], v[123:124], v[145:146]
	v_fma_f64 v[145:146], v[7:8], v[155:156], v[203:204]
	v_add_f64 v[125:126], v[125:126], v[133:134]
	s_clause 0x4
	buffer_load_dword v134, off, s[0:3], 0 offset:748
	buffer_load_dword v153, off, s[0:3], 0 offset:760
	;; [unrolled: 1-line block ×5, first 2 shown]
	s_waitcnt vmcnt(57) lgkmcnt(0)
	v_mul_f64 v[203:204], v[119:120], v[157:158]
	v_mul_f64 v[156:157], v[121:122], v[157:158]
	s_waitcnt vmcnt(56)
	v_fma_f64 v[141:142], v[1:2], v[143:144], -v[141:142]
	ds_read_b128 v[5:8], v171 offset:1392
	v_fma_f64 v[139:140], v[3:4], v[143:144], v[139:140]
	s_clause 0x2
	buffer_load_dword v154, off, s[0:3], 0 offset:764
	buffer_load_dword v144, off, s[0:3], 0 offset:740
	;; [unrolled: 1-line block ×3, first 2 shown]
	ds_read_b128 v[1:4], v171 offset:1408
	v_add_f64 v[123:124], v[123:124], v[149:150]
	v_add_f64 v[125:126], v[125:126], v[145:146]
	s_waitcnt vmcnt(58) lgkmcnt(1)
	v_mul_f64 v[149:150], v[7:8], v[161:162]
	s_waitcnt vmcnt(56)
	v_fma_f64 v[157:158], v[119:120], v[163:164], -v[156:157]
	v_mul_f64 v[145:146], v[5:6], v[161:162]
	v_add_f64 v[123:124], v[123:124], v[141:142]
	v_fma_f64 v[141:142], v[121:122], v[163:164], v[203:204]
	v_add_f64 v[125:126], v[125:126], v[139:140]
	s_clause 0x4
	buffer_load_dword v140, off, s[0:3], 0 offset:780
	buffer_load_dword v161, off, s[0:3], 0 offset:792
	;; [unrolled: 1-line block ×5, first 2 shown]
	s_waitcnt vmcnt(57) lgkmcnt(0)
	v_mul_f64 v[203:204], v[1:2], v[165:166]
	v_mul_f64 v[164:165], v[3:4], v[165:166]
	s_waitcnt vmcnt(56)
	v_fma_f64 v[149:150], v[5:6], v[151:152], -v[149:150]
	ds_read_b128 v[119:122], v171 offset:1424
	v_fma_f64 v[145:146], v[7:8], v[151:152], v[145:146]
	v_add_f64 v[123:124], v[123:124], v[157:158]
	v_add_f64 v[125:126], v[125:126], v[141:142]
	s_clause 0x2
	buffer_load_dword v162, off, s[0:3], 0 offset:796
	buffer_load_dword v142, off, s[0:3], 0 offset:772
	;; [unrolled: 1-line block ×3, first 2 shown]
	ds_read_b128 v[5:8], v171 offset:1440
	s_waitcnt vmcnt(58) lgkmcnt(1)
	v_mul_f64 v[157:158], v[121:122], v[167:168]
	s_waitcnt vmcnt(56)
	v_fma_f64 v[165:166], v[1:2], v[169:170], -v[164:165]
	v_mul_f64 v[151:152], v[119:120], v[167:168]
	v_add_f64 v[123:124], v[123:124], v[149:150]
	v_fma_f64 v[149:150], v[3:4], v[169:170], v[203:204]
	v_add_f64 v[125:126], v[125:126], v[145:146]
	s_clause 0x4
	buffer_load_dword v146, off, s[0:3], 0 offset:812
	buffer_load_dword v167, off, s[0:3], 0 offset:824
	;; [unrolled: 1-line block ×5, first 2 shown]
	s_waitcnt vmcnt(57) lgkmcnt(0)
	v_mul_f64 v[203:204], v[5:6], v[188:189]
	v_mul_f64 v[188:189], v[7:8], v[188:189]
	s_waitcnt vmcnt(56)
	v_fma_f64 v[157:158], v[119:120], v[159:160], -v[157:158]
	ds_read_b128 v[1:4], v171 offset:1456
	v_fma_f64 v[151:152], v[121:122], v[159:160], v[151:152]
	v_add_f64 v[123:124], v[123:124], v[165:166]
	v_add_f64 v[125:126], v[125:126], v[149:150]
	s_clause 0x2
	buffer_load_dword v168, off, s[0:3], 0 offset:828
	buffer_load_dword v150, off, s[0:3], 0 offset:804
	;; [unrolled: 1-line block ×3, first 2 shown]
	ds_read_b128 v[119:122], v171 offset:1472
	s_waitcnt vmcnt(58) lgkmcnt(1)
	v_mul_f64 v[165:166], v[3:4], v[190:191]
	s_waitcnt vmcnt(56)
	v_fma_f64 v[188:189], v[5:6], v[195:196], -v[188:189]
	v_mul_f64 v[159:160], v[1:2], v[190:191]
	v_add_f64 v[123:124], v[123:124], v[157:158]
	v_fma_f64 v[157:158], v[7:8], v[195:196], v[203:204]
	v_add_f64 v[125:126], v[125:126], v[151:152]
	s_clause 0x4
	buffer_load_dword v152, off, s[0:3], 0 offset:844
	buffer_load_dword v190, off, s[0:3], 0 offset:856
	;; [unrolled: 1-line block ×5, first 2 shown]
	ds_read_b128 v[5:8], v171 offset:1488
	s_waitcnt vmcnt(57) lgkmcnt(1)
	v_mul_f64 v[195:196], v[119:120], v[182:183]
	v_mul_f64 v[182:183], v[121:122], v[182:183]
	s_waitcnt vmcnt(56)
	v_fma_f64 v[165:166], v[1:2], v[192:193], -v[165:166]
	v_fma_f64 v[159:160], v[3:4], v[192:193], v[159:160]
	v_add_f64 v[123:124], v[123:124], v[188:189]
	v_add_f64 v[125:126], v[125:126], v[157:158]
	s_clause 0x2
	buffer_load_dword v191, off, s[0:3], 0 offset:860
	buffer_load_dword v158, off, s[0:3], 0 offset:836
	;; [unrolled: 1-line block ×3, first 2 shown]
	ds_read_b128 v[1:4], v171 offset:1504
	s_waitcnt vmcnt(58) lgkmcnt(1)
	v_mul_f64 v[192:193], v[7:8], v[199:200]
	v_mul_f64 v[188:189], v[5:6], v[199:200]
	s_waitcnt vmcnt(56)
	v_fma_f64 v[182:183], v[119:120], v[176:177], -v[182:183]
	v_add_f64 v[123:124], v[123:124], v[165:166]
	v_fma_f64 v[165:166], v[121:122], v[176:177], v[195:196]
	v_add_f64 v[125:126], v[125:126], v[159:160]
	s_clause 0x4
	buffer_load_dword v160, off, s[0:3], 0 offset:876
	buffer_load_dword v176, off, s[0:3], 0 offset:888
	;; [unrolled: 1-line block ×5, first 2 shown]
	ds_read_b128 v[119:122], v171 offset:1520
	s_waitcnt vmcnt(57) lgkmcnt(1)
	v_mul_f64 v[203:204], v[1:2], v[135:136]
	v_mul_f64 v[135:136], v[3:4], v[135:136]
	s_waitcnt vmcnt(56)
	v_fma_f64 v[192:193], v[5:6], v[201:202], -v[192:193]
	v_add_f64 v[123:124], v[123:124], v[182:183]
	v_fma_f64 v[182:183], v[7:8], v[201:202], v[188:189]
	v_add_f64 v[125:126], v[125:126], v[165:166]
	s_clause 0x2
	buffer_load_dword v177, off, s[0:3], 0 offset:892
	buffer_load_dword v166, off, s[0:3], 0 offset:868
	;; [unrolled: 1-line block ×3, first 2 shown]
	ds_read_b128 v[5:8], v171 offset:1536
	buffer_load_dword v200, off, s[0:3], 0 offset:884
	s_waitcnt vmcnt(59) lgkmcnt(1)
	v_mul_f64 v[188:189], v[119:120], v[184:185]
	v_mul_f64 v[184:185], v[121:122], v[184:185]
	s_waitcnt vmcnt(57)
	v_fma_f64 v[135:136], v[1:2], v[129:130], -v[135:136]
	v_fma_f64 v[129:130], v[3:4], v[129:130], v[203:204]
	ds_read_b128 v[1:4], v171 offset:1552
	v_add_f64 v[123:124], v[123:124], v[192:193]
	v_add_f64 v[125:126], v[125:126], v[182:183]
	s_waitcnt vmcnt(53) lgkmcnt(1)
	v_mul_f64 v[182:183], v[5:6], v[172:173]
	v_mul_f64 v[172:173], v[7:8], v[172:173]
	s_waitcnt vmcnt(52)
	v_fma_f64 v[184:185], v[119:120], v[197:198], -v[184:185]
	v_add_f64 v[123:124], v[123:124], v[135:136]
	v_fma_f64 v[135:136], v[121:122], v[197:198], v[188:189]
	v_add_f64 v[125:126], v[125:126], v[129:130]
	ds_read_b128 v[119:122], v171 offset:1568
	s_waitcnt vmcnt(51) lgkmcnt(1)
	v_mul_f64 v[129:130], v[1:2], v[174:175]
	v_mul_f64 v[174:175], v[3:4], v[174:175]
	s_waitcnt vmcnt(49)
	v_fma_f64 v[172:173], v[5:6], v[131:132], -v[172:173]
	v_fma_f64 v[131:132], v[7:8], v[131:132], v[182:183]
	v_add_f64 v[123:124], v[123:124], v[184:185]
	v_add_f64 v[125:126], v[125:126], v[135:136]
	s_clause 0x3
	buffer_load_dword v135, off, s[0:3], 0 offset:320
	buffer_load_dword v136, off, s[0:3], 0 offset:324
	;; [unrolled: 1-line block ×4, first 2 shown]
	ds_read_b128 v[5:8], v171 offset:1584
	s_waitcnt vmcnt(49) lgkmcnt(1)
	v_mul_f64 v[184:185], v[119:120], v[127:128]
	v_mul_f64 v[127:128], v[121:122], v[127:128]
	s_waitcnt vmcnt(48)
	v_fma_f64 v[174:175], v[1:2], v[186:187], -v[174:175]
	v_fma_f64 v[129:130], v[3:4], v[186:187], v[129:130]
	ds_read_b128 v[1:4], v171 offset:1600
	v_add_f64 v[123:124], v[123:124], v[172:173]
	v_add_f64 v[125:126], v[125:126], v[131:132]
	s_waitcnt vmcnt(47) lgkmcnt(1)
	v_mul_f64 v[131:132], v[5:6], v[147:148]
	v_mul_f64 v[147:148], v[7:8], v[147:148]
	s_waitcnt vmcnt(45)
	v_fma_f64 v[127:128], v[119:120], v[137:138], -v[127:128]
	v_fma_f64 v[137:138], v[121:122], v[137:138], v[184:185]
	ds_read_b128 v[119:122], v171 offset:1616
	v_add_f64 v[123:124], v[123:124], v[174:175]
	v_add_f64 v[125:126], v[125:126], v[129:130]
	s_waitcnt vmcnt(41) lgkmcnt(1)
	v_mul_f64 v[129:130], v[1:2], v[133:134]
	v_mul_f64 v[133:134], v[3:4], v[133:134]
	s_waitcnt vmcnt(40)
	v_fma_f64 v[147:148], v[5:6], v[180:181], -v[147:148]
	v_add_f64 v[123:124], v[123:124], v[127:128]
	v_fma_f64 v[127:128], v[7:8], v[180:181], v[131:132]
	v_add_f64 v[125:126], v[125:126], v[137:138]
	ds_read_b128 v[5:8], v171 offset:1632
	s_waitcnt vmcnt(39) lgkmcnt(1)
	v_mul_f64 v[137:138], v[121:122], v[153:154]
	v_mul_f64 v[131:132], v[119:120], v[153:154]
	s_waitcnt vmcnt(37)
	v_fma_f64 v[129:130], v[3:4], v[143:144], v[129:130]
	v_fma_f64 v[133:134], v[1:2], v[143:144], -v[133:134]
	ds_read_b128 v[1:4], v171 offset:1648
	v_add_f64 v[123:124], v[123:124], v[147:148]
	v_add_f64 v[125:126], v[125:126], v[127:128]
	s_waitcnt vmcnt(33) lgkmcnt(1)
	v_mul_f64 v[127:128], v[5:6], v[139:140]
	v_mul_f64 v[139:140], v[7:8], v[139:140]
	s_waitcnt vmcnt(32)
	v_fma_f64 v[137:138], v[119:120], v[155:156], -v[137:138]
	v_fma_f64 v[131:132], v[121:122], v[155:156], v[131:132]
	ds_read_b128 v[119:122], v171 offset:1664
	v_add_f64 v[123:124], v[123:124], v[133:134]
	v_add_f64 v[125:126], v[125:126], v[129:130]
	s_waitcnt vmcnt(31) lgkmcnt(1)
	v_mul_f64 v[133:134], v[3:4], v[161:162]
	v_mul_f64 v[129:130], v[1:2], v[161:162]
	s_waitcnt vmcnt(29)
	v_fma_f64 v[139:140], v[5:6], v[141:142], -v[139:140]
	v_fma_f64 v[127:128], v[7:8], v[141:142], v[127:128]
	ds_read_b128 v[5:8], v171 offset:1680
	v_add_f64 v[123:124], v[123:124], v[137:138]
	v_add_f64 v[125:126], v[125:126], v[131:132]
	s_waitcnt vmcnt(25) lgkmcnt(1)
	v_mul_f64 v[137:138], v[121:122], v[145:146]
	s_waitcnt vmcnt(24)
	v_fma_f64 v[133:134], v[1:2], v[163:164], -v[133:134]
	v_mul_f64 v[131:132], v[119:120], v[145:146]
	v_fma_f64 v[129:130], v[3:4], v[163:164], v[129:130]
	ds_read_b128 v[1:4], v171 offset:1696
	v_add_f64 v[123:124], v[123:124], v[139:140]
	v_add_f64 v[125:126], v[125:126], v[127:128]
	s_waitcnt vmcnt(23) lgkmcnt(1)
	v_mul_f64 v[139:140], v[7:8], v[167:168]
	v_mul_f64 v[127:128], v[5:6], v[167:168]
	s_waitcnt vmcnt(21)
	v_fma_f64 v[137:138], v[119:120], v[149:150], -v[137:138]
	v_fma_f64 v[131:132], v[121:122], v[149:150], v[131:132]
	ds_read_b128 v[119:122], v171 offset:1712
	v_add_f64 v[123:124], v[123:124], v[133:134]
	v_add_f64 v[125:126], v[125:126], v[129:130]
	s_waitcnt vmcnt(17) lgkmcnt(1)
	v_mul_f64 v[133:134], v[3:4], v[151:152]
	s_waitcnt vmcnt(16)
	v_fma_f64 v[139:140], v[5:6], v[169:170], -v[139:140]
	v_mul_f64 v[129:130], v[1:2], v[151:152]
	;; [unrolled: 18-line block ×3, first 2 shown]
	v_fma_f64 v[121:122], v[121:122], v[194:195], v[131:132]
	v_add_f64 v[123:124], v[123:124], v[133:134]
	v_add_f64 v[125:126], v[125:126], v[129:130]
	s_waitcnt vmcnt(7) lgkmcnt(0)
	v_mul_f64 v[131:132], v[3:4], v[176:177]
	v_mul_f64 v[129:130], v[1:2], v[176:177]
	s_waitcnt vmcnt(5)
	v_fma_f64 v[5:6], v[5:6], v[165:166], -v[139:140]
	v_fma_f64 v[7:8], v[7:8], v[165:166], v[127:128]
	v_add_f64 v[119:120], v[123:124], v[119:120]
	v_add_f64 v[121:122], v[125:126], v[121:122]
	s_waitcnt vmcnt(4)
	v_fma_f64 v[1:2], v[1:2], v[199:200], -v[131:132]
	v_fma_f64 v[3:4], v[3:4], v[199:200], v[129:130]
	v_add_f64 v[5:6], v[119:120], v[5:6]
	v_add_f64 v[7:8], v[121:122], v[7:8]
	;; [unrolled: 1-line block ×4, first 2 shown]
	s_waitcnt vmcnt(2)
	v_add_f64 v[1:2], v[135:136], -v[1:2]
	s_waitcnt vmcnt(0)
	v_add_f64 v[3:4], v[182:183], -v[3:4]
	buffer_store_dword v2, off, s[0:3], 0 offset:324
	buffer_store_dword v1, off, s[0:3], 0 offset:320
	;; [unrolled: 1-line block ×4, first 2 shown]
	v_cmpx_lt_u32_e32 18, v0
	s_cbranch_execz .LBB118_307
; %bb.306:
	v_mov_b32_e32 v4, s49
	s_clause 0x3
	buffer_load_dword v1, v4, s[0:3], 0 offen
	buffer_load_dword v2, v4, s[0:3], 0 offen offset:4
	buffer_load_dword v3, v4, s[0:3], 0 offen offset:8
	;; [unrolled: 1-line block ×3, first 2 shown]
	buffer_store_dword v171, off, s[0:3], 0 offset:304
	buffer_store_dword v171, off, s[0:3], 0 offset:308
	;; [unrolled: 1-line block ×4, first 2 shown]
	s_waitcnt vmcnt(0)
	ds_write_b128 v179, v[1:4]
.LBB118_307:
	s_or_b32 exec_lo, exec_lo, s4
	s_waitcnt lgkmcnt(0)
	s_waitcnt_vscnt null, 0x0
	s_barrier
	buffer_gl0_inv
	s_clause 0x37
	buffer_load_dword v119, off, s[0:3], 0 offset:328
	buffer_load_dword v120, off, s[0:3], 0 offset:332
	buffer_load_dword v5, off, s[0:3], 0 offset:344
	buffer_load_dword v6, off, s[0:3], 0 offset:348
	buffer_load_dword v7, off, s[0:3], 0 offset:320
	buffer_load_dword v8, off, s[0:3], 0 offset:324
	buffer_load_dword v3, off, s[0:3], 0 offset:360
	buffer_load_dword v4, off, s[0:3], 0 offset:364
	buffer_load_dword v1, off, s[0:3], 0 offset:336
	buffer_load_dword v2, off, s[0:3], 0 offset:340
	buffer_load_dword v124, off, s[0:3], 0 offset:380
	buffer_load_dword v127, off, s[0:3], 0 offset:392
	buffer_load_dword v121, off, s[0:3], 0 offset:384
	buffer_load_dword v123, off, s[0:3], 0 offset:376
	buffer_load_dword v135, off, s[0:3], 0 offset:352
	buffer_load_dword v136, off, s[0:3], 0 offset:356
	buffer_load_dword v128, off, s[0:3], 0 offset:396
	buffer_load_dword v130, off, s[0:3], 0 offset:372
	buffer_load_dword v129, off, s[0:3], 0 offset:368
	buffer_load_dword v132, off, s[0:3], 0 offset:412
	buffer_load_dword v137, off, s[0:3], 0 offset:424
	buffer_load_dword v125, off, s[0:3], 0 offset:416
	buffer_load_dword v131, off, s[0:3], 0 offset:408
	buffer_load_dword v122, off, s[0:3], 0 offset:388
	buffer_load_dword v138, off, s[0:3], 0 offset:428
	buffer_load_dword v140, off, s[0:3], 0 offset:404
	buffer_load_dword v139, off, s[0:3], 0 offset:400
	buffer_load_dword v142, off, s[0:3], 0 offset:444
	buffer_load_dword v145, off, s[0:3], 0 offset:456
	buffer_load_dword v133, off, s[0:3], 0 offset:448
	buffer_load_dword v141, off, s[0:3], 0 offset:440
	buffer_load_dword v126, off, s[0:3], 0 offset:420
	buffer_load_dword v146, off, s[0:3], 0 offset:460
	buffer_load_dword v148, off, s[0:3], 0 offset:436
	buffer_load_dword v147, off, s[0:3], 0 offset:432
	buffer_load_dword v150, off, s[0:3], 0 offset:476
	buffer_load_dword v153, off, s[0:3], 0 offset:488
	buffer_load_dword v143, off, s[0:3], 0 offset:480
	buffer_load_dword v149, off, s[0:3], 0 offset:472
	buffer_load_dword v134, off, s[0:3], 0 offset:452
	buffer_load_dword v154, off, s[0:3], 0 offset:492
	buffer_load_dword v156, off, s[0:3], 0 offset:468
	buffer_load_dword v155, off, s[0:3], 0 offset:464
	buffer_load_dword v158, off, s[0:3], 0 offset:508
	buffer_load_dword v161, off, s[0:3], 0 offset:520
	buffer_load_dword v151, off, s[0:3], 0 offset:512
	buffer_load_dword v157, off, s[0:3], 0 offset:504
	buffer_load_dword v144, off, s[0:3], 0 offset:484
	buffer_load_dword v162, off, s[0:3], 0 offset:524
	buffer_load_dword v164, off, s[0:3], 0 offset:500
	buffer_load_dword v163, off, s[0:3], 0 offset:496
	buffer_load_dword v166, off, s[0:3], 0 offset:540
	buffer_load_dword v167, off, s[0:3], 0 offset:552
	buffer_load_dword v159, off, s[0:3], 0 offset:544
	buffer_load_dword v165, off, s[0:3], 0 offset:536
	buffer_load_dword v152, off, s[0:3], 0 offset:516
	ds_read_b128 v[172:175], v171 offset:1184
	s_clause 0x2
	buffer_load_dword v168, off, s[0:3], 0 offset:556
	buffer_load_dword v170, off, s[0:3], 0 offset:532
	;; [unrolled: 1-line block ×3, first 2 shown]
	ds_read_b128 v[180:183], v171 offset:1200
	s_clause 0x4
	buffer_load_dword v189, off, s[0:3], 0 offset:572
	buffer_load_dword v190, off, s[0:3], 0 offset:584
	;; [unrolled: 1-line block ×5, first 2 shown]
	ds_read_b128 v[184:187], v171 offset:1216
	s_clause 0x2
	buffer_load_dword v191, off, s[0:3], 0 offset:588
	buffer_load_dword v196, off, s[0:3], 0 offset:564
	;; [unrolled: 1-line block ×3, first 2 shown]
	s_mov_b32 s4, exec_lo
	s_waitcnt vmcnt(62) lgkmcnt(2)
	v_mul_f64 v[176:177], v[174:175], v[119:120]
	v_mul_f64 v[119:120], v[172:173], v[119:120]
	s_waitcnt lgkmcnt(1)
	v_mul_f64 v[193:194], v[182:183], v[5:6]
	s_waitcnt vmcnt(59) lgkmcnt(0)
	v_mul_f64 v[197:198], v[186:187], v[3:4]
	v_fma_f64 v[172:173], v[172:173], v[7:8], -v[176:177]
	v_mul_f64 v[176:177], v[180:181], v[5:6]
	v_fma_f64 v[119:120], v[174:175], v[7:8], v[119:120]
	s_waitcnt vmcnt(57)
	v_fma_f64 v[180:181], v[180:181], v[1:2], -v[193:194]
	ds_read_b128 v[5:8], v171 offset:1232
	v_mul_f64 v[174:175], v[184:185], v[3:4]
	s_waitcnt vmcnt(51)
	v_fma_f64 v[184:185], v[184:185], v[135:136], -v[197:198]
	v_add_f64 v[172:173], v[172:173], 0
	v_fma_f64 v[176:177], v[182:183], v[1:2], v[176:177]
	v_add_f64 v[119:120], v[119:120], 0
	s_clause 0x4
	buffer_load_dword v183, off, s[0:3], 0 offset:604
	buffer_load_dword v199, off, s[0:3], 0 offset:616
	;; [unrolled: 1-line block ×5, first 2 shown]
	s_waitcnt lgkmcnt(0)
	v_mul_f64 v[202:203], v[5:6], v[123:124]
	v_mul_f64 v[123:124], v[7:8], v[123:124]
	ds_read_b128 v[1:4], v171 offset:1248
	v_fma_f64 v[135:136], v[186:187], v[135:136], v[174:175]
	v_add_f64 v[180:181], v[172:173], v[180:181]
	v_add_f64 v[119:120], v[119:120], v[176:177]
	s_clause 0x2
	buffer_load_dword v200, off, s[0:3], 0 offset:620
	buffer_load_dword v177, off, s[0:3], 0 offset:596
	;; [unrolled: 1-line block ×3, first 2 shown]
	s_waitcnt vmcnt(58) lgkmcnt(0)
	v_mul_f64 v[186:187], v[1:2], v[127:128]
	v_mul_f64 v[127:128], v[3:4], v[127:128]
	s_waitcnt vmcnt(56)
	v_fma_f64 v[123:124], v[5:6], v[129:130], -v[123:124]
	ds_read_b128 v[172:175], v171 offset:1264
	v_fma_f64 v[129:130], v[7:8], v[129:130], v[202:203]
	v_add_f64 v[180:181], v[180:181], v[184:185]
	v_add_f64 v[119:120], v[119:120], v[135:136]
	s_clause 0x4
	buffer_load_dword v136, off, s[0:3], 0 offset:636
	buffer_load_dword v184, off, s[0:3], 0 offset:648
	;; [unrolled: 1-line block ×5, first 2 shown]
	ds_read_b128 v[5:8], v171 offset:1280
	s_waitcnt vmcnt(57) lgkmcnt(1)
	v_mul_f64 v[203:204], v[172:173], v[131:132]
	v_mul_f64 v[131:132], v[174:175], v[131:132]
	s_waitcnt vmcnt(56)
	v_fma_f64 v[127:128], v[1:2], v[121:122], -v[127:128]
	v_fma_f64 v[121:122], v[3:4], v[121:122], v[186:187]
	v_add_f64 v[123:124], v[180:181], v[123:124]
	v_add_f64 v[119:120], v[119:120], v[129:130]
	s_clause 0x2
	buffer_load_dword v185, off, s[0:3], 0 offset:652
	buffer_load_dword v130, off, s[0:3], 0 offset:628
	;; [unrolled: 1-line block ×3, first 2 shown]
	s_waitcnt vmcnt(58) lgkmcnt(0)
	v_mul_f64 v[180:181], v[5:6], v[137:138]
	v_mul_f64 v[137:138], v[7:8], v[137:138]
	s_waitcnt vmcnt(56)
	v_fma_f64 v[131:132], v[172:173], v[139:140], -v[131:132]
	ds_read_b128 v[1:4], v171 offset:1296
	v_add_f64 v[123:124], v[123:124], v[127:128]
	v_fma_f64 v[127:128], v[174:175], v[139:140], v[203:204]
	v_add_f64 v[139:140], v[119:120], v[121:122]
	s_clause 0x4
	buffer_load_dword v173, off, s[0:3], 0 offset:668
	buffer_load_dword v174, off, s[0:3], 0 offset:680
	;; [unrolled: 1-line block ×5, first 2 shown]
	ds_read_b128 v[119:122], v171 offset:1312
	s_waitcnt vmcnt(57) lgkmcnt(1)
	v_mul_f64 v[203:204], v[1:2], v[141:142]
	v_mul_f64 v[141:142], v[3:4], v[141:142]
	s_waitcnt vmcnt(56)
	v_fma_f64 v[137:138], v[5:6], v[125:126], -v[137:138]
	v_fma_f64 v[125:126], v[7:8], v[125:126], v[180:181]
	v_add_f64 v[123:124], v[123:124], v[131:132]
	s_clause 0x2
	buffer_load_dword v175, off, s[0:3], 0 offset:684
	buffer_load_dword v132, off, s[0:3], 0 offset:660
	;; [unrolled: 1-line block ×3, first 2 shown]
	v_add_f64 v[127:128], v[139:140], v[127:128]
	s_waitcnt vmcnt(58) lgkmcnt(0)
	v_mul_f64 v[139:140], v[119:120], v[145:146]
	v_mul_f64 v[145:146], v[121:122], v[145:146]
	ds_read_b128 v[5:8], v171 offset:1328
	s_waitcnt vmcnt(56)
	v_fma_f64 v[141:142], v[1:2], v[147:148], -v[141:142]
	v_add_f64 v[123:124], v[123:124], v[137:138]
	v_fma_f64 v[137:138], v[3:4], v[147:148], v[203:204]
	v_add_f64 v[125:126], v[127:128], v[125:126]
	s_clause 0x4
	buffer_load_dword v128, off, s[0:3], 0 offset:700
	buffer_load_dword v147, off, s[0:3], 0 offset:712
	;; [unrolled: 1-line block ×5, first 2 shown]
	s_waitcnt vmcnt(57) lgkmcnt(0)
	v_mul_f64 v[203:204], v[5:6], v[149:150]
	v_mul_f64 v[149:150], v[7:8], v[149:150]
	s_waitcnt vmcnt(56)
	v_fma_f64 v[145:146], v[119:120], v[133:134], -v[145:146]
	ds_read_b128 v[1:4], v171 offset:1344
	v_fma_f64 v[133:134], v[121:122], v[133:134], v[139:140]
	v_add_f64 v[123:124], v[123:124], v[141:142]
	v_add_f64 v[125:126], v[125:126], v[137:138]
	s_clause 0x2
	buffer_load_dword v148, off, s[0:3], 0 offset:716
	buffer_load_dword v138, off, s[0:3], 0 offset:692
	;; [unrolled: 1-line block ×3, first 2 shown]
	ds_read_b128 v[119:122], v171 offset:1360
	s_waitcnt vmcnt(58) lgkmcnt(1)
	v_mul_f64 v[141:142], v[3:4], v[153:154]
	s_waitcnt vmcnt(56)
	v_fma_f64 v[149:150], v[5:6], v[155:156], -v[149:150]
	v_mul_f64 v[139:140], v[1:2], v[153:154]
	v_add_f64 v[123:124], v[123:124], v[145:146]
	v_fma_f64 v[145:146], v[7:8], v[155:156], v[203:204]
	v_add_f64 v[125:126], v[125:126], v[133:134]
	s_clause 0x4
	buffer_load_dword v134, off, s[0:3], 0 offset:732
	buffer_load_dword v153, off, s[0:3], 0 offset:744
	;; [unrolled: 1-line block ×5, first 2 shown]
	s_waitcnt vmcnt(57) lgkmcnt(0)
	v_mul_f64 v[203:204], v[119:120], v[157:158]
	v_mul_f64 v[156:157], v[121:122], v[157:158]
	s_waitcnt vmcnt(56)
	v_fma_f64 v[141:142], v[1:2], v[143:144], -v[141:142]
	ds_read_b128 v[5:8], v171 offset:1376
	v_fma_f64 v[139:140], v[3:4], v[143:144], v[139:140]
	s_clause 0x2
	buffer_load_dword v154, off, s[0:3], 0 offset:748
	buffer_load_dword v144, off, s[0:3], 0 offset:724
	;; [unrolled: 1-line block ×3, first 2 shown]
	ds_read_b128 v[1:4], v171 offset:1392
	v_add_f64 v[123:124], v[123:124], v[149:150]
	v_add_f64 v[125:126], v[125:126], v[145:146]
	s_waitcnt vmcnt(58) lgkmcnt(1)
	v_mul_f64 v[149:150], v[7:8], v[161:162]
	s_waitcnt vmcnt(56)
	v_fma_f64 v[157:158], v[119:120], v[163:164], -v[156:157]
	v_mul_f64 v[145:146], v[5:6], v[161:162]
	v_add_f64 v[123:124], v[123:124], v[141:142]
	v_fma_f64 v[141:142], v[121:122], v[163:164], v[203:204]
	v_add_f64 v[125:126], v[125:126], v[139:140]
	s_clause 0x4
	buffer_load_dword v140, off, s[0:3], 0 offset:764
	buffer_load_dword v161, off, s[0:3], 0 offset:776
	;; [unrolled: 1-line block ×5, first 2 shown]
	s_waitcnt vmcnt(57) lgkmcnt(0)
	v_mul_f64 v[203:204], v[1:2], v[165:166]
	v_mul_f64 v[164:165], v[3:4], v[165:166]
	s_waitcnt vmcnt(56)
	v_fma_f64 v[149:150], v[5:6], v[151:152], -v[149:150]
	ds_read_b128 v[119:122], v171 offset:1408
	v_fma_f64 v[145:146], v[7:8], v[151:152], v[145:146]
	v_add_f64 v[123:124], v[123:124], v[157:158]
	v_add_f64 v[125:126], v[125:126], v[141:142]
	s_clause 0x2
	buffer_load_dword v162, off, s[0:3], 0 offset:780
	buffer_load_dword v142, off, s[0:3], 0 offset:756
	;; [unrolled: 1-line block ×3, first 2 shown]
	ds_read_b128 v[5:8], v171 offset:1424
	s_waitcnt vmcnt(58) lgkmcnt(1)
	v_mul_f64 v[157:158], v[121:122], v[167:168]
	s_waitcnt vmcnt(56)
	v_fma_f64 v[165:166], v[1:2], v[169:170], -v[164:165]
	v_mul_f64 v[151:152], v[119:120], v[167:168]
	v_add_f64 v[123:124], v[123:124], v[149:150]
	v_fma_f64 v[149:150], v[3:4], v[169:170], v[203:204]
	v_add_f64 v[125:126], v[125:126], v[145:146]
	s_clause 0x4
	buffer_load_dword v146, off, s[0:3], 0 offset:796
	buffer_load_dword v167, off, s[0:3], 0 offset:808
	;; [unrolled: 1-line block ×5, first 2 shown]
	s_waitcnt vmcnt(57) lgkmcnt(0)
	v_mul_f64 v[203:204], v[5:6], v[188:189]
	v_mul_f64 v[188:189], v[7:8], v[188:189]
	s_waitcnt vmcnt(56)
	v_fma_f64 v[157:158], v[119:120], v[159:160], -v[157:158]
	ds_read_b128 v[1:4], v171 offset:1440
	v_fma_f64 v[151:152], v[121:122], v[159:160], v[151:152]
	v_add_f64 v[123:124], v[123:124], v[165:166]
	v_add_f64 v[125:126], v[125:126], v[149:150]
	s_clause 0x2
	buffer_load_dword v168, off, s[0:3], 0 offset:812
	buffer_load_dword v150, off, s[0:3], 0 offset:788
	;; [unrolled: 1-line block ×3, first 2 shown]
	ds_read_b128 v[119:122], v171 offset:1456
	s_waitcnt vmcnt(58) lgkmcnt(1)
	v_mul_f64 v[165:166], v[3:4], v[190:191]
	s_waitcnt vmcnt(56)
	v_fma_f64 v[188:189], v[5:6], v[195:196], -v[188:189]
	v_mul_f64 v[159:160], v[1:2], v[190:191]
	v_add_f64 v[123:124], v[123:124], v[157:158]
	v_fma_f64 v[157:158], v[7:8], v[195:196], v[203:204]
	v_add_f64 v[125:126], v[125:126], v[151:152]
	s_clause 0x4
	buffer_load_dword v152, off, s[0:3], 0 offset:828
	buffer_load_dword v190, off, s[0:3], 0 offset:840
	;; [unrolled: 1-line block ×5, first 2 shown]
	ds_read_b128 v[5:8], v171 offset:1472
	s_waitcnt vmcnt(57) lgkmcnt(1)
	v_mul_f64 v[195:196], v[119:120], v[182:183]
	v_mul_f64 v[182:183], v[121:122], v[182:183]
	s_waitcnt vmcnt(56)
	v_fma_f64 v[165:166], v[1:2], v[192:193], -v[165:166]
	v_fma_f64 v[159:160], v[3:4], v[192:193], v[159:160]
	v_add_f64 v[123:124], v[123:124], v[188:189]
	v_add_f64 v[125:126], v[125:126], v[157:158]
	s_clause 0x2
	buffer_load_dword v191, off, s[0:3], 0 offset:844
	buffer_load_dword v158, off, s[0:3], 0 offset:820
	;; [unrolled: 1-line block ×3, first 2 shown]
	ds_read_b128 v[1:4], v171 offset:1488
	s_waitcnt vmcnt(58) lgkmcnt(1)
	v_mul_f64 v[192:193], v[7:8], v[199:200]
	v_mul_f64 v[188:189], v[5:6], v[199:200]
	s_waitcnt vmcnt(56)
	v_fma_f64 v[182:183], v[119:120], v[176:177], -v[182:183]
	v_add_f64 v[123:124], v[123:124], v[165:166]
	v_fma_f64 v[165:166], v[121:122], v[176:177], v[195:196]
	v_add_f64 v[125:126], v[125:126], v[159:160]
	s_clause 0x4
	buffer_load_dword v160, off, s[0:3], 0 offset:860
	buffer_load_dword v176, off, s[0:3], 0 offset:872
	;; [unrolled: 1-line block ×5, first 2 shown]
	ds_read_b128 v[119:122], v171 offset:1504
	s_waitcnt vmcnt(57) lgkmcnt(1)
	v_mul_f64 v[203:204], v[1:2], v[135:136]
	v_mul_f64 v[135:136], v[3:4], v[135:136]
	s_waitcnt vmcnt(56)
	v_fma_f64 v[192:193], v[5:6], v[201:202], -v[192:193]
	v_add_f64 v[123:124], v[123:124], v[182:183]
	v_fma_f64 v[182:183], v[7:8], v[201:202], v[188:189]
	v_add_f64 v[125:126], v[125:126], v[165:166]
	s_clause 0x2
	buffer_load_dword v177, off, s[0:3], 0 offset:876
	buffer_load_dword v166, off, s[0:3], 0 offset:852
	;; [unrolled: 1-line block ×3, first 2 shown]
	ds_read_b128 v[5:8], v171 offset:1520
	s_waitcnt vmcnt(58) lgkmcnt(1)
	v_mul_f64 v[188:189], v[119:120], v[184:185]
	v_mul_f64 v[184:185], v[121:122], v[184:185]
	s_waitcnt vmcnt(56)
	v_fma_f64 v[135:136], v[1:2], v[129:130], -v[135:136]
	v_fma_f64 v[129:130], v[3:4], v[129:130], v[203:204]
	v_add_f64 v[123:124], v[123:124], v[192:193]
	v_add_f64 v[125:126], v[125:126], v[182:183]
	s_clause 0x2
	buffer_load_dword v183, off, s[0:3], 0 offset:892
	buffer_load_dword v182, off, s[0:3], 0 offset:888
	;; [unrolled: 1-line block ×3, first 2 shown]
	ds_read_b128 v[1:4], v171 offset:1536
	s_waitcnt vmcnt(55) lgkmcnt(1)
	v_mul_f64 v[192:193], v[5:6], v[172:173]
	v_mul_f64 v[172:173], v[7:8], v[172:173]
	s_waitcnt vmcnt(54)
	v_fma_f64 v[184:185], v[119:120], v[197:198], -v[184:185]
	v_add_f64 v[123:124], v[123:124], v[135:136]
	v_fma_f64 v[135:136], v[121:122], v[197:198], v[188:189]
	v_add_f64 v[125:126], v[125:126], v[129:130]
	s_clause 0x1
	buffer_load_dword v130, off, s[0:3], 0 offset:884
	buffer_load_dword v129, off, s[0:3], 0 offset:880
	ds_read_b128 v[119:122], v171 offset:1552
	s_waitcnt vmcnt(55) lgkmcnt(1)
	v_mul_f64 v[188:189], v[1:2], v[174:175]
	v_mul_f64 v[174:175], v[3:4], v[174:175]
	s_waitcnt vmcnt(53)
	v_fma_f64 v[172:173], v[5:6], v[131:132], -v[172:173]
	v_fma_f64 v[131:132], v[7:8], v[131:132], v[192:193]
	ds_read_b128 v[5:8], v171 offset:1568
	v_add_f64 v[123:124], v[123:124], v[184:185]
	v_add_f64 v[125:126], v[125:126], v[135:136]
	s_waitcnt vmcnt(49) lgkmcnt(1)
	v_mul_f64 v[135:136], v[119:120], v[127:128]
	v_mul_f64 v[127:128], v[121:122], v[127:128]
	s_waitcnt vmcnt(48)
	v_fma_f64 v[174:175], v[1:2], v[186:187], -v[174:175]
	v_add_f64 v[123:124], v[123:124], v[172:173]
	v_fma_f64 v[172:173], v[3:4], v[186:187], v[188:189]
	v_add_f64 v[125:126], v[125:126], v[131:132]
	s_clause 0x3
	buffer_load_dword v131, off, s[0:3], 0 offset:304
	buffer_load_dword v132, off, s[0:3], 0 offset:308
	;; [unrolled: 1-line block ×4, first 2 shown]
	ds_read_b128 v[1:4], v171 offset:1584
	s_waitcnt vmcnt(51) lgkmcnt(1)
	v_mul_f64 v[186:187], v[5:6], v[147:148]
	v_mul_f64 v[147:148], v[7:8], v[147:148]
	s_waitcnt vmcnt(49)
	v_fma_f64 v[127:128], v[119:120], v[137:138], -v[127:128]
	v_fma_f64 v[135:136], v[121:122], v[137:138], v[135:136]
	ds_read_b128 v[119:122], v171 offset:1600
	v_add_f64 v[123:124], v[123:124], v[174:175]
	v_add_f64 v[125:126], v[125:126], v[172:173]
	s_waitcnt vmcnt(45) lgkmcnt(1)
	v_mul_f64 v[137:138], v[1:2], v[133:134]
	v_mul_f64 v[133:134], v[3:4], v[133:134]
	s_waitcnt vmcnt(44)
	v_fma_f64 v[147:148], v[5:6], v[180:181], -v[147:148]
	v_add_f64 v[123:124], v[123:124], v[127:128]
	v_fma_f64 v[127:128], v[7:8], v[180:181], v[186:187]
	v_add_f64 v[125:126], v[125:126], v[135:136]
	s_waitcnt vmcnt(43) lgkmcnt(0)
	v_mul_f64 v[135:136], v[119:120], v[153:154]
	v_mul_f64 v[153:154], v[121:122], v[153:154]
	ds_read_b128 v[5:8], v171 offset:1616
	s_waitcnt vmcnt(41)
	v_fma_f64 v[137:138], v[3:4], v[143:144], v[137:138]
	v_fma_f64 v[133:134], v[1:2], v[143:144], -v[133:134]
	ds_read_b128 v[1:4], v171 offset:1632
	v_add_f64 v[123:124], v[123:124], v[147:148]
	v_add_f64 v[125:126], v[125:126], v[127:128]
	s_waitcnt vmcnt(37) lgkmcnt(1)
	v_mul_f64 v[127:128], v[5:6], v[139:140]
	v_mul_f64 v[139:140], v[7:8], v[139:140]
	s_waitcnt vmcnt(36)
	v_fma_f64 v[143:144], v[119:120], v[155:156], -v[153:154]
	v_add_f64 v[123:124], v[123:124], v[133:134]
	v_fma_f64 v[133:134], v[121:122], v[155:156], v[135:136]
	v_add_f64 v[125:126], v[125:126], v[137:138]
	ds_read_b128 v[119:122], v171 offset:1648
	s_waitcnt vmcnt(35) lgkmcnt(1)
	v_mul_f64 v[137:138], v[3:4], v[161:162]
	v_mul_f64 v[135:136], v[1:2], v[161:162]
	s_waitcnt vmcnt(33)
	v_fma_f64 v[139:140], v[5:6], v[141:142], -v[139:140]
	v_fma_f64 v[127:128], v[7:8], v[141:142], v[127:128]
	ds_read_b128 v[5:8], v171 offset:1664
	v_add_f64 v[123:124], v[123:124], v[143:144]
	v_add_f64 v[125:126], v[125:126], v[133:134]
	s_waitcnt vmcnt(29) lgkmcnt(1)
	v_mul_f64 v[141:142], v[121:122], v[145:146]
	s_waitcnt vmcnt(28)
	v_fma_f64 v[137:138], v[1:2], v[163:164], -v[137:138]
	v_mul_f64 v[133:134], v[119:120], v[145:146]
	v_fma_f64 v[135:136], v[3:4], v[163:164], v[135:136]
	ds_read_b128 v[1:4], v171 offset:1680
	v_add_f64 v[123:124], v[123:124], v[139:140]
	v_add_f64 v[125:126], v[125:126], v[127:128]
	s_waitcnt vmcnt(27) lgkmcnt(1)
	v_mul_f64 v[139:140], v[7:8], v[167:168]
	v_mul_f64 v[127:128], v[5:6], v[167:168]
	s_waitcnt vmcnt(25)
	v_fma_f64 v[141:142], v[119:120], v[149:150], -v[141:142]
	v_fma_f64 v[133:134], v[121:122], v[149:150], v[133:134]
	ds_read_b128 v[119:122], v171 offset:1696
	v_add_f64 v[123:124], v[123:124], v[137:138]
	v_add_f64 v[125:126], v[125:126], v[135:136]
	s_waitcnt vmcnt(21) lgkmcnt(1)
	v_mul_f64 v[137:138], v[3:4], v[151:152]
	s_waitcnt vmcnt(20)
	v_fma_f64 v[139:140], v[5:6], v[169:170], -v[139:140]
	v_mul_f64 v[135:136], v[1:2], v[151:152]
	v_fma_f64 v[127:128], v[7:8], v[169:170], v[127:128]
	ds_read_b128 v[5:8], v171 offset:1712
	v_add_f64 v[123:124], v[123:124], v[141:142]
	v_add_f64 v[125:126], v[125:126], v[133:134]
	;; [unrolled: 18-line block ×3, first 2 shown]
	s_waitcnt vmcnt(11) lgkmcnt(1)
	v_mul_f64 v[137:138], v[3:4], v[176:177]
	v_mul_f64 v[135:136], v[1:2], v[176:177]
	s_waitcnt vmcnt(9)
	v_fma_f64 v[5:6], v[5:6], v[165:166], -v[139:140]
	v_fma_f64 v[7:8], v[7:8], v[165:166], v[127:128]
	v_add_f64 v[123:124], v[123:124], v[141:142]
	v_add_f64 v[125:126], v[125:126], v[133:134]
	s_waitcnt vmcnt(7) lgkmcnt(0)
	v_mul_f64 v[133:134], v[121:122], v[182:183]
	s_waitcnt vmcnt(6)
	v_fma_f64 v[1:2], v[1:2], v[199:200], -v[137:138]
	v_mul_f64 v[127:128], v[119:120], v[182:183]
	v_fma_f64 v[3:4], v[3:4], v[199:200], v[135:136]
	v_add_f64 v[5:6], v[123:124], v[5:6]
	v_add_f64 v[7:8], v[125:126], v[7:8]
	s_waitcnt vmcnt(4)
	v_fma_f64 v[119:120], v[119:120], v[129:130], -v[133:134]
	v_add_f64 v[1:2], v[5:6], v[1:2]
	v_fma_f64 v[5:6], v[121:122], v[129:130], v[127:128]
	v_add_f64 v[3:4], v[7:8], v[3:4]
	v_add_f64 v[1:2], v[1:2], v[119:120]
	;; [unrolled: 1-line block ×3, first 2 shown]
	s_waitcnt vmcnt(2)
	v_add_f64 v[1:2], v[131:132], -v[1:2]
	s_waitcnt vmcnt(0)
	v_add_f64 v[3:4], v[184:185], -v[3:4]
	buffer_store_dword v2, off, s[0:3], 0 offset:308
	buffer_store_dword v1, off, s[0:3], 0 offset:304
	;; [unrolled: 1-line block ×4, first 2 shown]
	v_cmpx_lt_u32_e32 17, v0
	s_cbranch_execz .LBB118_309
; %bb.308:
	v_mov_b32_e32 v4, s50
	v_mov_b32_e32 v5, 0
	s_clause 0x3
	buffer_load_dword v1, v4, s[0:3], 0 offen
	buffer_load_dword v2, v4, s[0:3], 0 offen offset:4
	buffer_load_dword v3, v4, s[0:3], 0 offen offset:8
	;; [unrolled: 1-line block ×3, first 2 shown]
	buffer_store_dword v5, off, s[0:3], 0 offset:288
	buffer_store_dword v5, off, s[0:3], 0 offset:292
	;; [unrolled: 1-line block ×4, first 2 shown]
	s_waitcnt vmcnt(0)
	ds_write_b128 v179, v[1:4]
.LBB118_309:
	s_or_b32 exec_lo, exec_lo, s4
	s_waitcnt lgkmcnt(0)
	s_waitcnt_vscnt null, 0x0
	s_barrier
	buffer_gl0_inv
	s_clause 0x37
	buffer_load_dword v119, off, s[0:3], 0 offset:312
	buffer_load_dword v120, off, s[0:3], 0 offset:316
	;; [unrolled: 1-line block ×56, first 2 shown]
	v_mov_b32_e32 v171, 0
	s_mov_b32 s4, exec_lo
	ds_read_b128 v[172:175], v171 offset:1168
	s_clause 0x2
	buffer_load_dword v168, off, s[0:3], 0 offset:540
	buffer_load_dword v170, off, s[0:3], 0 offset:516
	;; [unrolled: 1-line block ×3, first 2 shown]
	ds_read_b128 v[180:183], v171 offset:1184
	s_clause 0x4
	buffer_load_dword v189, off, s[0:3], 0 offset:556
	buffer_load_dword v190, off, s[0:3], 0 offset:568
	;; [unrolled: 1-line block ×5, first 2 shown]
	ds_read_b128 v[184:187], v171 offset:1200
	s_clause 0x2
	buffer_load_dword v191, off, s[0:3], 0 offset:572
	buffer_load_dword v196, off, s[0:3], 0 offset:548
	;; [unrolled: 1-line block ×3, first 2 shown]
	s_waitcnt vmcnt(62) lgkmcnt(2)
	v_mul_f64 v[176:177], v[174:175], v[119:120]
	v_mul_f64 v[119:120], v[172:173], v[119:120]
	s_waitcnt lgkmcnt(1)
	v_mul_f64 v[193:194], v[182:183], v[5:6]
	s_waitcnt vmcnt(59) lgkmcnt(0)
	v_mul_f64 v[197:198], v[186:187], v[3:4]
	v_fma_f64 v[172:173], v[172:173], v[7:8], -v[176:177]
	v_mul_f64 v[176:177], v[180:181], v[5:6]
	v_fma_f64 v[119:120], v[174:175], v[7:8], v[119:120]
	s_waitcnt vmcnt(57)
	v_fma_f64 v[180:181], v[180:181], v[1:2], -v[193:194]
	ds_read_b128 v[5:8], v171 offset:1216
	v_mul_f64 v[174:175], v[184:185], v[3:4]
	s_waitcnt vmcnt(51)
	v_fma_f64 v[184:185], v[184:185], v[135:136], -v[197:198]
	v_add_f64 v[172:173], v[172:173], 0
	v_fma_f64 v[176:177], v[182:183], v[1:2], v[176:177]
	v_add_f64 v[119:120], v[119:120], 0
	s_clause 0x4
	buffer_load_dword v183, off, s[0:3], 0 offset:588
	buffer_load_dword v199, off, s[0:3], 0 offset:600
	;; [unrolled: 1-line block ×5, first 2 shown]
	s_waitcnt lgkmcnt(0)
	v_mul_f64 v[202:203], v[5:6], v[123:124]
	v_mul_f64 v[123:124], v[7:8], v[123:124]
	ds_read_b128 v[1:4], v171 offset:1232
	v_fma_f64 v[135:136], v[186:187], v[135:136], v[174:175]
	v_add_f64 v[180:181], v[172:173], v[180:181]
	v_add_f64 v[119:120], v[119:120], v[176:177]
	s_clause 0x2
	buffer_load_dword v200, off, s[0:3], 0 offset:604
	buffer_load_dword v177, off, s[0:3], 0 offset:580
	;; [unrolled: 1-line block ×3, first 2 shown]
	s_waitcnt vmcnt(58) lgkmcnt(0)
	v_mul_f64 v[186:187], v[1:2], v[127:128]
	v_mul_f64 v[127:128], v[3:4], v[127:128]
	s_waitcnt vmcnt(56)
	v_fma_f64 v[123:124], v[5:6], v[129:130], -v[123:124]
	ds_read_b128 v[172:175], v171 offset:1248
	v_fma_f64 v[129:130], v[7:8], v[129:130], v[202:203]
	v_add_f64 v[180:181], v[180:181], v[184:185]
	v_add_f64 v[119:120], v[119:120], v[135:136]
	s_clause 0x4
	buffer_load_dword v136, off, s[0:3], 0 offset:620
	buffer_load_dword v184, off, s[0:3], 0 offset:632
	;; [unrolled: 1-line block ×5, first 2 shown]
	ds_read_b128 v[5:8], v171 offset:1264
	s_waitcnt vmcnt(57) lgkmcnt(1)
	v_mul_f64 v[203:204], v[172:173], v[131:132]
	v_mul_f64 v[131:132], v[174:175], v[131:132]
	s_waitcnt vmcnt(56)
	v_fma_f64 v[127:128], v[1:2], v[121:122], -v[127:128]
	v_fma_f64 v[121:122], v[3:4], v[121:122], v[186:187]
	v_add_f64 v[123:124], v[180:181], v[123:124]
	v_add_f64 v[119:120], v[119:120], v[129:130]
	s_clause 0x2
	buffer_load_dword v185, off, s[0:3], 0 offset:636
	buffer_load_dword v130, off, s[0:3], 0 offset:612
	;; [unrolled: 1-line block ×3, first 2 shown]
	s_waitcnt vmcnt(58) lgkmcnt(0)
	v_mul_f64 v[180:181], v[5:6], v[137:138]
	v_mul_f64 v[137:138], v[7:8], v[137:138]
	s_waitcnt vmcnt(56)
	v_fma_f64 v[131:132], v[172:173], v[139:140], -v[131:132]
	ds_read_b128 v[1:4], v171 offset:1280
	v_add_f64 v[123:124], v[123:124], v[127:128]
	v_fma_f64 v[127:128], v[174:175], v[139:140], v[203:204]
	v_add_f64 v[139:140], v[119:120], v[121:122]
	s_clause 0x4
	buffer_load_dword v173, off, s[0:3], 0 offset:652
	buffer_load_dword v174, off, s[0:3], 0 offset:664
	buffer_load_dword v186, off, s[0:3], 0 offset:656
	buffer_load_dword v172, off, s[0:3], 0 offset:648
	buffer_load_dword v198, off, s[0:3], 0 offset:628
	ds_read_b128 v[119:122], v171 offset:1296
	s_waitcnt vmcnt(57) lgkmcnt(1)
	v_mul_f64 v[203:204], v[1:2], v[141:142]
	v_mul_f64 v[141:142], v[3:4], v[141:142]
	s_waitcnt vmcnt(56)
	v_fma_f64 v[137:138], v[5:6], v[125:126], -v[137:138]
	v_fma_f64 v[125:126], v[7:8], v[125:126], v[180:181]
	v_add_f64 v[123:124], v[123:124], v[131:132]
	s_clause 0x2
	buffer_load_dword v175, off, s[0:3], 0 offset:668
	buffer_load_dword v132, off, s[0:3], 0 offset:644
	;; [unrolled: 1-line block ×3, first 2 shown]
	v_add_f64 v[127:128], v[139:140], v[127:128]
	s_waitcnt vmcnt(58) lgkmcnt(0)
	v_mul_f64 v[139:140], v[119:120], v[145:146]
	v_mul_f64 v[145:146], v[121:122], v[145:146]
	ds_read_b128 v[5:8], v171 offset:1312
	s_waitcnt vmcnt(56)
	v_fma_f64 v[141:142], v[1:2], v[147:148], -v[141:142]
	v_add_f64 v[123:124], v[123:124], v[137:138]
	v_fma_f64 v[137:138], v[3:4], v[147:148], v[203:204]
	v_add_f64 v[125:126], v[127:128], v[125:126]
	s_clause 0x4
	buffer_load_dword v128, off, s[0:3], 0 offset:684
	buffer_load_dword v147, off, s[0:3], 0 offset:696
	;; [unrolled: 1-line block ×5, first 2 shown]
	s_waitcnt vmcnt(57) lgkmcnt(0)
	v_mul_f64 v[203:204], v[5:6], v[149:150]
	v_mul_f64 v[149:150], v[7:8], v[149:150]
	s_waitcnt vmcnt(56)
	v_fma_f64 v[145:146], v[119:120], v[133:134], -v[145:146]
	ds_read_b128 v[1:4], v171 offset:1328
	v_fma_f64 v[133:134], v[121:122], v[133:134], v[139:140]
	v_add_f64 v[123:124], v[123:124], v[141:142]
	v_add_f64 v[125:126], v[125:126], v[137:138]
	s_clause 0x2
	buffer_load_dword v148, off, s[0:3], 0 offset:700
	buffer_load_dword v138, off, s[0:3], 0 offset:676
	;; [unrolled: 1-line block ×3, first 2 shown]
	ds_read_b128 v[119:122], v171 offset:1344
	s_waitcnt vmcnt(58) lgkmcnt(1)
	v_mul_f64 v[141:142], v[3:4], v[153:154]
	s_waitcnt vmcnt(56)
	v_fma_f64 v[149:150], v[5:6], v[155:156], -v[149:150]
	v_mul_f64 v[139:140], v[1:2], v[153:154]
	v_add_f64 v[123:124], v[123:124], v[145:146]
	v_fma_f64 v[145:146], v[7:8], v[155:156], v[203:204]
	v_add_f64 v[125:126], v[125:126], v[133:134]
	s_clause 0x4
	buffer_load_dword v134, off, s[0:3], 0 offset:716
	buffer_load_dword v153, off, s[0:3], 0 offset:728
	;; [unrolled: 1-line block ×5, first 2 shown]
	s_waitcnt vmcnt(57) lgkmcnt(0)
	v_mul_f64 v[203:204], v[119:120], v[157:158]
	v_mul_f64 v[156:157], v[121:122], v[157:158]
	s_waitcnt vmcnt(56)
	v_fma_f64 v[141:142], v[1:2], v[143:144], -v[141:142]
	ds_read_b128 v[5:8], v171 offset:1360
	v_fma_f64 v[139:140], v[3:4], v[143:144], v[139:140]
	s_clause 0x2
	buffer_load_dword v154, off, s[0:3], 0 offset:732
	buffer_load_dword v144, off, s[0:3], 0 offset:708
	;; [unrolled: 1-line block ×3, first 2 shown]
	ds_read_b128 v[1:4], v171 offset:1376
	v_add_f64 v[123:124], v[123:124], v[149:150]
	v_add_f64 v[125:126], v[125:126], v[145:146]
	s_waitcnt vmcnt(58) lgkmcnt(1)
	v_mul_f64 v[149:150], v[7:8], v[161:162]
	s_waitcnt vmcnt(56)
	v_fma_f64 v[157:158], v[119:120], v[163:164], -v[156:157]
	v_mul_f64 v[145:146], v[5:6], v[161:162]
	v_add_f64 v[123:124], v[123:124], v[141:142]
	v_fma_f64 v[141:142], v[121:122], v[163:164], v[203:204]
	v_add_f64 v[125:126], v[125:126], v[139:140]
	s_clause 0x4
	buffer_load_dword v140, off, s[0:3], 0 offset:748
	buffer_load_dword v161, off, s[0:3], 0 offset:760
	;; [unrolled: 1-line block ×5, first 2 shown]
	s_waitcnt vmcnt(57) lgkmcnt(0)
	v_mul_f64 v[203:204], v[1:2], v[165:166]
	v_mul_f64 v[164:165], v[3:4], v[165:166]
	s_waitcnt vmcnt(56)
	v_fma_f64 v[149:150], v[5:6], v[151:152], -v[149:150]
	ds_read_b128 v[119:122], v171 offset:1392
	v_fma_f64 v[145:146], v[7:8], v[151:152], v[145:146]
	v_add_f64 v[123:124], v[123:124], v[157:158]
	v_add_f64 v[125:126], v[125:126], v[141:142]
	s_clause 0x2
	buffer_load_dword v162, off, s[0:3], 0 offset:764
	buffer_load_dword v142, off, s[0:3], 0 offset:740
	;; [unrolled: 1-line block ×3, first 2 shown]
	ds_read_b128 v[5:8], v171 offset:1408
	s_waitcnt vmcnt(58) lgkmcnt(1)
	v_mul_f64 v[157:158], v[121:122], v[167:168]
	s_waitcnt vmcnt(56)
	v_fma_f64 v[165:166], v[1:2], v[169:170], -v[164:165]
	v_mul_f64 v[151:152], v[119:120], v[167:168]
	v_add_f64 v[123:124], v[123:124], v[149:150]
	v_fma_f64 v[149:150], v[3:4], v[169:170], v[203:204]
	v_add_f64 v[125:126], v[125:126], v[145:146]
	s_clause 0x4
	buffer_load_dword v146, off, s[0:3], 0 offset:780
	buffer_load_dword v167, off, s[0:3], 0 offset:792
	;; [unrolled: 1-line block ×5, first 2 shown]
	s_waitcnt vmcnt(57) lgkmcnt(0)
	v_mul_f64 v[203:204], v[5:6], v[188:189]
	v_mul_f64 v[188:189], v[7:8], v[188:189]
	s_waitcnt vmcnt(56)
	v_fma_f64 v[157:158], v[119:120], v[159:160], -v[157:158]
	ds_read_b128 v[1:4], v171 offset:1424
	v_fma_f64 v[151:152], v[121:122], v[159:160], v[151:152]
	v_add_f64 v[123:124], v[123:124], v[165:166]
	v_add_f64 v[125:126], v[125:126], v[149:150]
	s_clause 0x2
	buffer_load_dword v168, off, s[0:3], 0 offset:796
	buffer_load_dword v150, off, s[0:3], 0 offset:772
	;; [unrolled: 1-line block ×3, first 2 shown]
	ds_read_b128 v[119:122], v171 offset:1440
	s_waitcnt vmcnt(58) lgkmcnt(1)
	v_mul_f64 v[165:166], v[3:4], v[190:191]
	s_waitcnt vmcnt(56)
	v_fma_f64 v[188:189], v[5:6], v[195:196], -v[188:189]
	v_mul_f64 v[159:160], v[1:2], v[190:191]
	v_add_f64 v[123:124], v[123:124], v[157:158]
	v_fma_f64 v[157:158], v[7:8], v[195:196], v[203:204]
	v_add_f64 v[125:126], v[125:126], v[151:152]
	s_clause 0x4
	buffer_load_dword v152, off, s[0:3], 0 offset:812
	buffer_load_dword v190, off, s[0:3], 0 offset:824
	;; [unrolled: 1-line block ×5, first 2 shown]
	ds_read_b128 v[5:8], v171 offset:1456
	s_waitcnt vmcnt(57) lgkmcnt(1)
	v_mul_f64 v[195:196], v[119:120], v[182:183]
	v_mul_f64 v[182:183], v[121:122], v[182:183]
	s_waitcnt vmcnt(56)
	v_fma_f64 v[165:166], v[1:2], v[192:193], -v[165:166]
	v_fma_f64 v[159:160], v[3:4], v[192:193], v[159:160]
	v_add_f64 v[123:124], v[123:124], v[188:189]
	v_add_f64 v[125:126], v[125:126], v[157:158]
	s_clause 0x2
	buffer_load_dword v191, off, s[0:3], 0 offset:828
	buffer_load_dword v158, off, s[0:3], 0 offset:804
	;; [unrolled: 1-line block ×3, first 2 shown]
	ds_read_b128 v[1:4], v171 offset:1472
	s_waitcnt vmcnt(58) lgkmcnt(1)
	v_mul_f64 v[192:193], v[7:8], v[199:200]
	v_mul_f64 v[188:189], v[5:6], v[199:200]
	s_waitcnt vmcnt(56)
	v_fma_f64 v[182:183], v[119:120], v[176:177], -v[182:183]
	v_add_f64 v[123:124], v[123:124], v[165:166]
	v_fma_f64 v[165:166], v[121:122], v[176:177], v[195:196]
	v_add_f64 v[125:126], v[125:126], v[159:160]
	s_clause 0x4
	buffer_load_dword v160, off, s[0:3], 0 offset:844
	buffer_load_dword v176, off, s[0:3], 0 offset:856
	;; [unrolled: 1-line block ×5, first 2 shown]
	ds_read_b128 v[119:122], v171 offset:1488
	s_waitcnt vmcnt(57) lgkmcnt(1)
	v_mul_f64 v[203:204], v[1:2], v[135:136]
	v_mul_f64 v[135:136], v[3:4], v[135:136]
	s_waitcnt vmcnt(56)
	v_fma_f64 v[192:193], v[5:6], v[201:202], -v[192:193]
	v_add_f64 v[123:124], v[123:124], v[182:183]
	v_fma_f64 v[182:183], v[7:8], v[201:202], v[188:189]
	v_add_f64 v[125:126], v[125:126], v[165:166]
	s_clause 0x2
	buffer_load_dword v177, off, s[0:3], 0 offset:860
	buffer_load_dword v166, off, s[0:3], 0 offset:836
	;; [unrolled: 1-line block ×3, first 2 shown]
	ds_read_b128 v[5:8], v171 offset:1504
	s_waitcnt vmcnt(58) lgkmcnt(1)
	v_mul_f64 v[188:189], v[119:120], v[184:185]
	v_mul_f64 v[184:185], v[121:122], v[184:185]
	s_waitcnt vmcnt(56)
	v_fma_f64 v[135:136], v[1:2], v[129:130], -v[135:136]
	v_fma_f64 v[129:130], v[3:4], v[129:130], v[203:204]
	v_add_f64 v[123:124], v[123:124], v[192:193]
	v_add_f64 v[125:126], v[125:126], v[182:183]
	s_clause 0x4
	buffer_load_dword v183, off, s[0:3], 0 offset:876
	buffer_load_dword v192, off, s[0:3], 0 offset:888
	;; [unrolled: 1-line block ×5, first 2 shown]
	ds_read_b128 v[1:4], v171 offset:1520
	s_waitcnt vmcnt(57) lgkmcnt(1)
	v_mul_f64 v[201:202], v[5:6], v[172:173]
	v_mul_f64 v[172:173], v[7:8], v[172:173]
	s_waitcnt vmcnt(56)
	v_fma_f64 v[184:185], v[119:120], v[197:198], -v[184:185]
	v_add_f64 v[123:124], v[123:124], v[135:136]
	v_fma_f64 v[135:136], v[121:122], v[197:198], v[188:189]
	v_add_f64 v[125:126], v[125:126], v[129:130]
	s_clause 0x2
	buffer_load_dword v193, off, s[0:3], 0 offset:892
	buffer_load_dword v130, off, s[0:3], 0 offset:868
	;; [unrolled: 1-line block ×3, first 2 shown]
	ds_read_b128 v[119:122], v171 offset:1536
	buffer_load_dword v197, off, s[0:3], 0 offset:884
	s_waitcnt vmcnt(59) lgkmcnt(1)
	v_mul_f64 v[188:189], v[1:2], v[174:175]
	v_mul_f64 v[174:175], v[3:4], v[174:175]
	s_waitcnt vmcnt(57)
	v_fma_f64 v[172:173], v[5:6], v[131:132], -v[172:173]
	v_fma_f64 v[131:132], v[7:8], v[131:132], v[201:202]
	ds_read_b128 v[5:8], v171 offset:1552
	v_add_f64 v[123:124], v[123:124], v[184:185]
	v_add_f64 v[125:126], v[125:126], v[135:136]
	s_waitcnt vmcnt(53) lgkmcnt(1)
	v_mul_f64 v[135:136], v[119:120], v[127:128]
	v_mul_f64 v[127:128], v[121:122], v[127:128]
	s_waitcnt vmcnt(52)
	v_fma_f64 v[174:175], v[1:2], v[186:187], -v[174:175]
	v_add_f64 v[123:124], v[123:124], v[172:173]
	v_fma_f64 v[172:173], v[3:4], v[186:187], v[188:189]
	v_add_f64 v[125:126], v[125:126], v[131:132]
	ds_read_b128 v[1:4], v171 offset:1568
	s_waitcnt vmcnt(51) lgkmcnt(1)
	v_mul_f64 v[131:132], v[5:6], v[147:148]
	v_mul_f64 v[147:148], v[7:8], v[147:148]
	s_waitcnt vmcnt(49)
	v_fma_f64 v[127:128], v[119:120], v[137:138], -v[127:128]
	v_fma_f64 v[135:136], v[121:122], v[137:138], v[135:136]
	v_add_f64 v[123:124], v[123:124], v[174:175]
	v_add_f64 v[125:126], v[125:126], v[172:173]
	s_clause 0x3
	buffer_load_dword v137, off, s[0:3], 0 offset:288
	buffer_load_dword v138, off, s[0:3], 0 offset:292
	;; [unrolled: 1-line block ×4, first 2 shown]
	ds_read_b128 v[119:122], v171 offset:1584
	s_waitcnt vmcnt(49) lgkmcnt(1)
	v_mul_f64 v[174:175], v[1:2], v[133:134]
	v_mul_f64 v[133:134], v[3:4], v[133:134]
	s_waitcnt vmcnt(48)
	v_fma_f64 v[147:148], v[5:6], v[180:181], -v[147:148]
	v_add_f64 v[123:124], v[123:124], v[127:128]
	v_fma_f64 v[127:128], v[7:8], v[180:181], v[131:132]
	v_add_f64 v[125:126], v[125:126], v[135:136]
	ds_read_b128 v[5:8], v171 offset:1600
	s_waitcnt vmcnt(47) lgkmcnt(1)
	v_mul_f64 v[135:136], v[121:122], v[153:154]
	v_mul_f64 v[131:132], v[119:120], v[153:154]
	s_waitcnt vmcnt(45)
	v_fma_f64 v[133:134], v[1:2], v[143:144], -v[133:134]
	v_fma_f64 v[143:144], v[3:4], v[143:144], v[174:175]
	ds_read_b128 v[1:4], v171 offset:1616
	v_add_f64 v[123:124], v[123:124], v[147:148]
	v_add_f64 v[125:126], v[125:126], v[127:128]
	s_waitcnt vmcnt(41) lgkmcnt(1)
	v_mul_f64 v[127:128], v[5:6], v[139:140]
	v_mul_f64 v[139:140], v[7:8], v[139:140]
	s_waitcnt vmcnt(40)
	v_fma_f64 v[135:136], v[119:120], v[155:156], -v[135:136]
	v_fma_f64 v[131:132], v[121:122], v[155:156], v[131:132]
	ds_read_b128 v[119:122], v171 offset:1632
	v_add_f64 v[123:124], v[123:124], v[133:134]
	v_add_f64 v[125:126], v[125:126], v[143:144]
	;; [unrolled: 9-line block ×3, first 2 shown]
	s_waitcnt vmcnt(33) lgkmcnt(1)
	v_mul_f64 v[135:136], v[121:122], v[145:146]
	s_waitcnt vmcnt(32)
	v_fma_f64 v[141:142], v[1:2], v[163:164], -v[143:144]
	v_mul_f64 v[131:132], v[119:120], v[145:146]
	v_fma_f64 v[133:134], v[3:4], v[163:164], v[133:134]
	ds_read_b128 v[1:4], v171 offset:1664
	v_add_f64 v[123:124], v[123:124], v[139:140]
	v_add_f64 v[125:126], v[125:126], v[127:128]
	s_waitcnt vmcnt(31) lgkmcnt(1)
	v_mul_f64 v[139:140], v[7:8], v[167:168]
	v_mul_f64 v[127:128], v[5:6], v[167:168]
	s_waitcnt vmcnt(29)
	v_fma_f64 v[135:136], v[119:120], v[149:150], -v[135:136]
	v_fma_f64 v[131:132], v[121:122], v[149:150], v[131:132]
	ds_read_b128 v[119:122], v171 offset:1680
	v_add_f64 v[123:124], v[123:124], v[141:142]
	v_add_f64 v[125:126], v[125:126], v[133:134]
	s_waitcnt vmcnt(25) lgkmcnt(1)
	v_mul_f64 v[141:142], v[3:4], v[151:152]
	s_waitcnt vmcnt(24)
	v_fma_f64 v[139:140], v[5:6], v[169:170], -v[139:140]
	v_mul_f64 v[133:134], v[1:2], v[151:152]
	v_fma_f64 v[127:128], v[7:8], v[169:170], v[127:128]
	ds_read_b128 v[5:8], v171 offset:1696
	v_add_f64 v[123:124], v[123:124], v[135:136]
	v_add_f64 v[125:126], v[125:126], v[131:132]
	s_waitcnt vmcnt(23) lgkmcnt(1)
	v_mul_f64 v[135:136], v[121:122], v[190:191]
	v_mul_f64 v[131:132], v[119:120], v[190:191]
	s_waitcnt vmcnt(21)
	v_fma_f64 v[141:142], v[1:2], v[157:158], -v[141:142]
	v_fma_f64 v[133:134], v[3:4], v[157:158], v[133:134]
	ds_read_b128 v[1:4], v171 offset:1712
	v_add_f64 v[123:124], v[123:124], v[139:140]
	v_add_f64 v[125:126], v[125:126], v[127:128]
	;; [unrolled: 18-line block ×3, first 2 shown]
	s_waitcnt vmcnt(9) lgkmcnt(1)
	v_mul_f64 v[135:136], v[121:122], v[182:183]
	s_waitcnt vmcnt(8)
	v_fma_f64 v[1:2], v[1:2], v[199:200], -v[141:142]
	v_mul_f64 v[131:132], v[119:120], v[182:183]
	v_fma_f64 v[3:4], v[3:4], v[199:200], v[133:134]
	v_add_f64 v[123:124], v[123:124], v[139:140]
	v_add_f64 v[125:126], v[125:126], v[127:128]
	s_waitcnt vmcnt(7) lgkmcnt(0)
	v_mul_f64 v[133:134], v[7:8], v[192:193]
	v_mul_f64 v[127:128], v[5:6], v[192:193]
	s_waitcnt vmcnt(5)
	v_fma_f64 v[119:120], v[119:120], v[129:130], -v[135:136]
	v_fma_f64 v[121:122], v[121:122], v[129:130], v[131:132]
	v_add_f64 v[1:2], v[123:124], v[1:2]
	v_add_f64 v[3:4], v[125:126], v[3:4]
	s_waitcnt vmcnt(4)
	v_fma_f64 v[5:6], v[5:6], v[196:197], -v[133:134]
	v_fma_f64 v[7:8], v[7:8], v[196:197], v[127:128]
	v_add_f64 v[1:2], v[1:2], v[119:120]
	v_add_f64 v[3:4], v[3:4], v[121:122]
	;; [unrolled: 1-line block ×4, first 2 shown]
	s_waitcnt vmcnt(2)
	v_add_f64 v[1:2], v[137:138], -v[1:2]
	s_waitcnt vmcnt(0)
	v_add_f64 v[3:4], v[172:173], -v[3:4]
	buffer_store_dword v2, off, s[0:3], 0 offset:292
	buffer_store_dword v1, off, s[0:3], 0 offset:288
	;; [unrolled: 1-line block ×4, first 2 shown]
	v_cmpx_lt_u32_e32 16, v0
	s_cbranch_execz .LBB118_311
; %bb.310:
	v_mov_b32_e32 v4, s51
	s_clause 0x3
	buffer_load_dword v1, v4, s[0:3], 0 offen
	buffer_load_dword v2, v4, s[0:3], 0 offen offset:4
	buffer_load_dword v3, v4, s[0:3], 0 offen offset:8
	;; [unrolled: 1-line block ×3, first 2 shown]
	buffer_store_dword v171, off, s[0:3], 0 offset:272
	buffer_store_dword v171, off, s[0:3], 0 offset:276
	;; [unrolled: 1-line block ×4, first 2 shown]
	s_waitcnt vmcnt(0)
	ds_write_b128 v179, v[1:4]
.LBB118_311:
	s_or_b32 exec_lo, exec_lo, s4
	s_waitcnt lgkmcnt(0)
	s_waitcnt_vscnt null, 0x0
	s_barrier
	buffer_gl0_inv
	s_clause 0x37
	buffer_load_dword v119, off, s[0:3], 0 offset:296
	buffer_load_dword v120, off, s[0:3], 0 offset:300
	;; [unrolled: 1-line block ×56, first 2 shown]
	ds_read_b128 v[172:175], v171 offset:1152
	s_clause 0x2
	buffer_load_dword v168, off, s[0:3], 0 offset:524
	buffer_load_dword v170, off, s[0:3], 0 offset:500
	;; [unrolled: 1-line block ×3, first 2 shown]
	ds_read_b128 v[180:183], v171 offset:1168
	s_clause 0x4
	buffer_load_dword v189, off, s[0:3], 0 offset:540
	buffer_load_dword v190, off, s[0:3], 0 offset:552
	;; [unrolled: 1-line block ×5, first 2 shown]
	ds_read_b128 v[184:187], v171 offset:1184
	s_clause 0x2
	buffer_load_dword v191, off, s[0:3], 0 offset:556
	buffer_load_dword v196, off, s[0:3], 0 offset:532
	;; [unrolled: 1-line block ×3, first 2 shown]
	s_mov_b32 s4, exec_lo
	s_waitcnt vmcnt(62) lgkmcnt(2)
	v_mul_f64 v[176:177], v[174:175], v[119:120]
	v_mul_f64 v[119:120], v[172:173], v[119:120]
	s_waitcnt lgkmcnt(1)
	v_mul_f64 v[193:194], v[182:183], v[5:6]
	s_waitcnt vmcnt(59) lgkmcnt(0)
	v_mul_f64 v[197:198], v[186:187], v[3:4]
	v_fma_f64 v[172:173], v[172:173], v[7:8], -v[176:177]
	v_mul_f64 v[176:177], v[180:181], v[5:6]
	v_fma_f64 v[119:120], v[174:175], v[7:8], v[119:120]
	s_waitcnt vmcnt(57)
	v_fma_f64 v[180:181], v[180:181], v[1:2], -v[193:194]
	ds_read_b128 v[5:8], v171 offset:1200
	v_mul_f64 v[174:175], v[184:185], v[3:4]
	s_waitcnt vmcnt(51)
	v_fma_f64 v[184:185], v[184:185], v[135:136], -v[197:198]
	v_add_f64 v[172:173], v[172:173], 0
	v_fma_f64 v[176:177], v[182:183], v[1:2], v[176:177]
	v_add_f64 v[119:120], v[119:120], 0
	s_clause 0x4
	buffer_load_dword v183, off, s[0:3], 0 offset:572
	buffer_load_dword v199, off, s[0:3], 0 offset:584
	;; [unrolled: 1-line block ×5, first 2 shown]
	s_waitcnt lgkmcnt(0)
	v_mul_f64 v[202:203], v[5:6], v[123:124]
	v_mul_f64 v[123:124], v[7:8], v[123:124]
	ds_read_b128 v[1:4], v171 offset:1216
	v_fma_f64 v[135:136], v[186:187], v[135:136], v[174:175]
	v_add_f64 v[180:181], v[172:173], v[180:181]
	v_add_f64 v[119:120], v[119:120], v[176:177]
	s_clause 0x2
	buffer_load_dword v200, off, s[0:3], 0 offset:588
	buffer_load_dword v177, off, s[0:3], 0 offset:564
	;; [unrolled: 1-line block ×3, first 2 shown]
	s_waitcnt vmcnt(58) lgkmcnt(0)
	v_mul_f64 v[186:187], v[1:2], v[127:128]
	v_mul_f64 v[127:128], v[3:4], v[127:128]
	s_waitcnt vmcnt(56)
	v_fma_f64 v[123:124], v[5:6], v[129:130], -v[123:124]
	ds_read_b128 v[172:175], v171 offset:1232
	v_fma_f64 v[129:130], v[7:8], v[129:130], v[202:203]
	v_add_f64 v[180:181], v[180:181], v[184:185]
	v_add_f64 v[119:120], v[119:120], v[135:136]
	s_clause 0x4
	buffer_load_dword v136, off, s[0:3], 0 offset:604
	buffer_load_dword v184, off, s[0:3], 0 offset:616
	;; [unrolled: 1-line block ×5, first 2 shown]
	ds_read_b128 v[5:8], v171 offset:1248
	s_waitcnt vmcnt(57) lgkmcnt(1)
	v_mul_f64 v[203:204], v[172:173], v[131:132]
	v_mul_f64 v[131:132], v[174:175], v[131:132]
	s_waitcnt vmcnt(56)
	v_fma_f64 v[127:128], v[1:2], v[121:122], -v[127:128]
	v_fma_f64 v[121:122], v[3:4], v[121:122], v[186:187]
	v_add_f64 v[123:124], v[180:181], v[123:124]
	v_add_f64 v[119:120], v[119:120], v[129:130]
	s_clause 0x2
	buffer_load_dword v185, off, s[0:3], 0 offset:620
	buffer_load_dword v130, off, s[0:3], 0 offset:596
	;; [unrolled: 1-line block ×3, first 2 shown]
	s_waitcnt vmcnt(58) lgkmcnt(0)
	v_mul_f64 v[180:181], v[5:6], v[137:138]
	v_mul_f64 v[137:138], v[7:8], v[137:138]
	s_waitcnt vmcnt(56)
	v_fma_f64 v[131:132], v[172:173], v[139:140], -v[131:132]
	ds_read_b128 v[1:4], v171 offset:1264
	v_add_f64 v[123:124], v[123:124], v[127:128]
	v_fma_f64 v[127:128], v[174:175], v[139:140], v[203:204]
	v_add_f64 v[139:140], v[119:120], v[121:122]
	s_clause 0x4
	buffer_load_dword v173, off, s[0:3], 0 offset:636
	buffer_load_dword v174, off, s[0:3], 0 offset:648
	;; [unrolled: 1-line block ×5, first 2 shown]
	ds_read_b128 v[119:122], v171 offset:1280
	s_waitcnt vmcnt(57) lgkmcnt(1)
	v_mul_f64 v[203:204], v[1:2], v[141:142]
	v_mul_f64 v[141:142], v[3:4], v[141:142]
	s_waitcnt vmcnt(56)
	v_fma_f64 v[137:138], v[5:6], v[125:126], -v[137:138]
	v_fma_f64 v[125:126], v[7:8], v[125:126], v[180:181]
	v_add_f64 v[123:124], v[123:124], v[131:132]
	s_clause 0x2
	buffer_load_dword v175, off, s[0:3], 0 offset:652
	buffer_load_dword v132, off, s[0:3], 0 offset:628
	;; [unrolled: 1-line block ×3, first 2 shown]
	v_add_f64 v[127:128], v[139:140], v[127:128]
	s_waitcnt vmcnt(58) lgkmcnt(0)
	v_mul_f64 v[139:140], v[119:120], v[145:146]
	v_mul_f64 v[145:146], v[121:122], v[145:146]
	ds_read_b128 v[5:8], v171 offset:1296
	s_waitcnt vmcnt(56)
	v_fma_f64 v[141:142], v[1:2], v[147:148], -v[141:142]
	v_add_f64 v[123:124], v[123:124], v[137:138]
	v_fma_f64 v[137:138], v[3:4], v[147:148], v[203:204]
	v_add_f64 v[125:126], v[127:128], v[125:126]
	s_clause 0x4
	buffer_load_dword v128, off, s[0:3], 0 offset:668
	buffer_load_dword v147, off, s[0:3], 0 offset:680
	;; [unrolled: 1-line block ×5, first 2 shown]
	s_waitcnt vmcnt(57) lgkmcnt(0)
	v_mul_f64 v[203:204], v[5:6], v[149:150]
	v_mul_f64 v[149:150], v[7:8], v[149:150]
	s_waitcnt vmcnt(56)
	v_fma_f64 v[145:146], v[119:120], v[133:134], -v[145:146]
	ds_read_b128 v[1:4], v171 offset:1312
	v_fma_f64 v[133:134], v[121:122], v[133:134], v[139:140]
	v_add_f64 v[123:124], v[123:124], v[141:142]
	v_add_f64 v[125:126], v[125:126], v[137:138]
	s_clause 0x2
	buffer_load_dword v148, off, s[0:3], 0 offset:684
	buffer_load_dword v138, off, s[0:3], 0 offset:660
	;; [unrolled: 1-line block ×3, first 2 shown]
	ds_read_b128 v[119:122], v171 offset:1328
	s_waitcnt vmcnt(58) lgkmcnt(1)
	v_mul_f64 v[141:142], v[3:4], v[153:154]
	s_waitcnt vmcnt(56)
	v_fma_f64 v[149:150], v[5:6], v[155:156], -v[149:150]
	v_mul_f64 v[139:140], v[1:2], v[153:154]
	v_add_f64 v[123:124], v[123:124], v[145:146]
	v_fma_f64 v[145:146], v[7:8], v[155:156], v[203:204]
	v_add_f64 v[125:126], v[125:126], v[133:134]
	s_clause 0x4
	buffer_load_dword v134, off, s[0:3], 0 offset:700
	buffer_load_dword v153, off, s[0:3], 0 offset:712
	buffer_load_dword v155, off, s[0:3], 0 offset:704
	buffer_load_dword v133, off, s[0:3], 0 offset:696
	buffer_load_dword v181, off, s[0:3], 0 offset:676
	s_waitcnt vmcnt(57) lgkmcnt(0)
	v_mul_f64 v[203:204], v[119:120], v[157:158]
	v_mul_f64 v[156:157], v[121:122], v[157:158]
	s_waitcnt vmcnt(56)
	v_fma_f64 v[141:142], v[1:2], v[143:144], -v[141:142]
	ds_read_b128 v[5:8], v171 offset:1344
	v_fma_f64 v[139:140], v[3:4], v[143:144], v[139:140]
	s_clause 0x2
	buffer_load_dword v154, off, s[0:3], 0 offset:716
	buffer_load_dword v144, off, s[0:3], 0 offset:692
	;; [unrolled: 1-line block ×3, first 2 shown]
	ds_read_b128 v[1:4], v171 offset:1360
	v_add_f64 v[123:124], v[123:124], v[149:150]
	v_add_f64 v[125:126], v[125:126], v[145:146]
	s_waitcnt vmcnt(58) lgkmcnt(1)
	v_mul_f64 v[149:150], v[7:8], v[161:162]
	s_waitcnt vmcnt(56)
	v_fma_f64 v[157:158], v[119:120], v[163:164], -v[156:157]
	v_mul_f64 v[145:146], v[5:6], v[161:162]
	v_add_f64 v[123:124], v[123:124], v[141:142]
	v_fma_f64 v[141:142], v[121:122], v[163:164], v[203:204]
	v_add_f64 v[125:126], v[125:126], v[139:140]
	s_clause 0x4
	buffer_load_dword v140, off, s[0:3], 0 offset:732
	buffer_load_dword v161, off, s[0:3], 0 offset:744
	;; [unrolled: 1-line block ×5, first 2 shown]
	s_waitcnt vmcnt(57) lgkmcnt(0)
	v_mul_f64 v[203:204], v[1:2], v[165:166]
	v_mul_f64 v[164:165], v[3:4], v[165:166]
	s_waitcnt vmcnt(56)
	v_fma_f64 v[149:150], v[5:6], v[151:152], -v[149:150]
	ds_read_b128 v[119:122], v171 offset:1376
	v_fma_f64 v[145:146], v[7:8], v[151:152], v[145:146]
	v_add_f64 v[123:124], v[123:124], v[157:158]
	v_add_f64 v[125:126], v[125:126], v[141:142]
	s_clause 0x2
	buffer_load_dword v162, off, s[0:3], 0 offset:748
	buffer_load_dword v142, off, s[0:3], 0 offset:724
	;; [unrolled: 1-line block ×3, first 2 shown]
	ds_read_b128 v[5:8], v171 offset:1392
	s_waitcnt vmcnt(58) lgkmcnt(1)
	v_mul_f64 v[157:158], v[121:122], v[167:168]
	s_waitcnt vmcnt(56)
	v_fma_f64 v[165:166], v[1:2], v[169:170], -v[164:165]
	v_mul_f64 v[151:152], v[119:120], v[167:168]
	v_add_f64 v[123:124], v[123:124], v[149:150]
	v_fma_f64 v[149:150], v[3:4], v[169:170], v[203:204]
	v_add_f64 v[125:126], v[125:126], v[145:146]
	s_clause 0x4
	buffer_load_dword v146, off, s[0:3], 0 offset:764
	buffer_load_dword v167, off, s[0:3], 0 offset:776
	;; [unrolled: 1-line block ×5, first 2 shown]
	s_waitcnt vmcnt(57) lgkmcnt(0)
	v_mul_f64 v[203:204], v[5:6], v[188:189]
	v_mul_f64 v[188:189], v[7:8], v[188:189]
	s_waitcnt vmcnt(56)
	v_fma_f64 v[157:158], v[119:120], v[159:160], -v[157:158]
	ds_read_b128 v[1:4], v171 offset:1408
	v_fma_f64 v[151:152], v[121:122], v[159:160], v[151:152]
	v_add_f64 v[123:124], v[123:124], v[165:166]
	v_add_f64 v[125:126], v[125:126], v[149:150]
	s_clause 0x2
	buffer_load_dword v168, off, s[0:3], 0 offset:780
	buffer_load_dword v150, off, s[0:3], 0 offset:756
	;; [unrolled: 1-line block ×3, first 2 shown]
	ds_read_b128 v[119:122], v171 offset:1424
	s_waitcnt vmcnt(58) lgkmcnt(1)
	v_mul_f64 v[165:166], v[3:4], v[190:191]
	s_waitcnt vmcnt(56)
	v_fma_f64 v[188:189], v[5:6], v[195:196], -v[188:189]
	v_mul_f64 v[159:160], v[1:2], v[190:191]
	v_add_f64 v[123:124], v[123:124], v[157:158]
	v_fma_f64 v[157:158], v[7:8], v[195:196], v[203:204]
	v_add_f64 v[125:126], v[125:126], v[151:152]
	s_clause 0x4
	buffer_load_dword v152, off, s[0:3], 0 offset:796
	buffer_load_dword v190, off, s[0:3], 0 offset:808
	;; [unrolled: 1-line block ×5, first 2 shown]
	ds_read_b128 v[5:8], v171 offset:1440
	s_waitcnt vmcnt(57) lgkmcnt(1)
	v_mul_f64 v[195:196], v[119:120], v[182:183]
	v_mul_f64 v[182:183], v[121:122], v[182:183]
	s_waitcnt vmcnt(56)
	v_fma_f64 v[165:166], v[1:2], v[192:193], -v[165:166]
	v_fma_f64 v[159:160], v[3:4], v[192:193], v[159:160]
	v_add_f64 v[123:124], v[123:124], v[188:189]
	v_add_f64 v[125:126], v[125:126], v[157:158]
	s_clause 0x2
	buffer_load_dword v191, off, s[0:3], 0 offset:812
	buffer_load_dword v158, off, s[0:3], 0 offset:788
	;; [unrolled: 1-line block ×3, first 2 shown]
	ds_read_b128 v[1:4], v171 offset:1456
	s_waitcnt vmcnt(58) lgkmcnt(1)
	v_mul_f64 v[192:193], v[7:8], v[199:200]
	v_mul_f64 v[188:189], v[5:6], v[199:200]
	s_waitcnt vmcnt(56)
	v_fma_f64 v[182:183], v[119:120], v[176:177], -v[182:183]
	v_add_f64 v[123:124], v[123:124], v[165:166]
	v_fma_f64 v[165:166], v[121:122], v[176:177], v[195:196]
	v_add_f64 v[125:126], v[125:126], v[159:160]
	s_clause 0x4
	buffer_load_dword v160, off, s[0:3], 0 offset:828
	buffer_load_dword v176, off, s[0:3], 0 offset:840
	;; [unrolled: 1-line block ×5, first 2 shown]
	ds_read_b128 v[119:122], v171 offset:1472
	s_waitcnt vmcnt(57) lgkmcnt(1)
	v_mul_f64 v[203:204], v[1:2], v[135:136]
	v_mul_f64 v[135:136], v[3:4], v[135:136]
	s_waitcnt vmcnt(56)
	v_fma_f64 v[192:193], v[5:6], v[201:202], -v[192:193]
	v_add_f64 v[123:124], v[123:124], v[182:183]
	v_fma_f64 v[182:183], v[7:8], v[201:202], v[188:189]
	v_add_f64 v[125:126], v[125:126], v[165:166]
	s_clause 0x2
	buffer_load_dword v177, off, s[0:3], 0 offset:844
	buffer_load_dword v166, off, s[0:3], 0 offset:820
	;; [unrolled: 1-line block ×3, first 2 shown]
	ds_read_b128 v[5:8], v171 offset:1488
	s_waitcnt vmcnt(58) lgkmcnt(1)
	v_mul_f64 v[188:189], v[119:120], v[184:185]
	v_mul_f64 v[184:185], v[121:122], v[184:185]
	s_waitcnt vmcnt(56)
	v_fma_f64 v[135:136], v[1:2], v[129:130], -v[135:136]
	v_fma_f64 v[129:130], v[3:4], v[129:130], v[203:204]
	v_add_f64 v[123:124], v[123:124], v[192:193]
	v_add_f64 v[125:126], v[125:126], v[182:183]
	s_clause 0x4
	buffer_load_dword v183, off, s[0:3], 0 offset:860
	buffer_load_dword v192, off, s[0:3], 0 offset:872
	;; [unrolled: 1-line block ×5, first 2 shown]
	ds_read_b128 v[1:4], v171 offset:1504
	s_waitcnt vmcnt(57) lgkmcnt(1)
	v_mul_f64 v[201:202], v[5:6], v[172:173]
	v_mul_f64 v[172:173], v[7:8], v[172:173]
	s_waitcnt vmcnt(56)
	v_fma_f64 v[184:185], v[119:120], v[197:198], -v[184:185]
	v_add_f64 v[123:124], v[123:124], v[135:136]
	v_fma_f64 v[135:136], v[121:122], v[197:198], v[188:189]
	v_add_f64 v[125:126], v[125:126], v[129:130]
	s_clause 0x2
	buffer_load_dword v193, off, s[0:3], 0 offset:876
	buffer_load_dword v130, off, s[0:3], 0 offset:852
	;; [unrolled: 1-line block ×3, first 2 shown]
	ds_read_b128 v[119:122], v171 offset:1520
	s_waitcnt vmcnt(58) lgkmcnt(1)
	v_mul_f64 v[188:189], v[1:2], v[174:175]
	v_mul_f64 v[174:175], v[3:4], v[174:175]
	s_waitcnt vmcnt(56)
	v_fma_f64 v[172:173], v[5:6], v[131:132], -v[172:173]
	v_fma_f64 v[131:132], v[7:8], v[131:132], v[201:202]
	v_add_f64 v[123:124], v[123:124], v[184:185]
	v_add_f64 v[125:126], v[125:126], v[135:136]
	s_clause 0x2
	buffer_load_dword v136, off, s[0:3], 0 offset:892
	buffer_load_dword v135, off, s[0:3], 0 offset:888
	;; [unrolled: 1-line block ×3, first 2 shown]
	ds_read_b128 v[5:8], v171 offset:1536
	s_waitcnt vmcnt(55) lgkmcnt(1)
	v_mul_f64 v[184:185], v[119:120], v[127:128]
	v_mul_f64 v[127:128], v[121:122], v[127:128]
	s_waitcnt vmcnt(54)
	v_fma_f64 v[174:175], v[1:2], v[186:187], -v[174:175]
	v_add_f64 v[123:124], v[123:124], v[172:173]
	v_fma_f64 v[172:173], v[3:4], v[186:187], v[188:189]
	v_add_f64 v[125:126], v[125:126], v[131:132]
	s_clause 0x1
	buffer_load_dword v132, off, s[0:3], 0 offset:884
	buffer_load_dword v131, off, s[0:3], 0 offset:880
	ds_read_b128 v[1:4], v171 offset:1552
	s_waitcnt vmcnt(55) lgkmcnt(1)
	v_mul_f64 v[186:187], v[5:6], v[147:148]
	v_mul_f64 v[147:148], v[7:8], v[147:148]
	s_waitcnt vmcnt(53)
	v_fma_f64 v[127:128], v[119:120], v[137:138], -v[127:128]
	v_fma_f64 v[137:138], v[121:122], v[137:138], v[184:185]
	ds_read_b128 v[119:122], v171 offset:1568
	v_add_f64 v[123:124], v[123:124], v[174:175]
	v_add_f64 v[125:126], v[125:126], v[172:173]
	s_waitcnt vmcnt(49) lgkmcnt(1)
	v_mul_f64 v[172:173], v[1:2], v[133:134]
	v_mul_f64 v[133:134], v[3:4], v[133:134]
	s_waitcnt vmcnt(48)
	v_fma_f64 v[147:148], v[5:6], v[180:181], -v[147:148]
	v_add_f64 v[123:124], v[123:124], v[127:128]
	v_fma_f64 v[127:128], v[7:8], v[180:181], v[186:187]
	v_add_f64 v[125:126], v[125:126], v[137:138]
	s_clause 0x3
	buffer_load_dword v137, off, s[0:3], 0 offset:272
	buffer_load_dword v138, off, s[0:3], 0 offset:276
	;; [unrolled: 1-line block ×4, first 2 shown]
	s_waitcnt vmcnt(51) lgkmcnt(0)
	v_mul_f64 v[180:181], v[119:120], v[153:154]
	v_mul_f64 v[153:154], v[121:122], v[153:154]
	ds_read_b128 v[5:8], v171 offset:1584
	s_waitcnt vmcnt(49)
	v_fma_f64 v[133:134], v[1:2], v[143:144], -v[133:134]
	v_fma_f64 v[143:144], v[3:4], v[143:144], v[172:173]
	ds_read_b128 v[1:4], v171 offset:1600
	v_add_f64 v[123:124], v[123:124], v[147:148]
	v_add_f64 v[125:126], v[125:126], v[127:128]
	s_waitcnt vmcnt(45) lgkmcnt(1)
	v_mul_f64 v[127:128], v[5:6], v[139:140]
	v_mul_f64 v[139:140], v[7:8], v[139:140]
	s_waitcnt vmcnt(44)
	v_fma_f64 v[147:148], v[119:120], v[155:156], -v[153:154]
	v_add_f64 v[123:124], v[123:124], v[133:134]
	v_fma_f64 v[133:134], v[121:122], v[155:156], v[180:181]
	v_add_f64 v[125:126], v[125:126], v[143:144]
	ds_read_b128 v[119:122], v171 offset:1616
	s_waitcnt vmcnt(43) lgkmcnt(1)
	v_mul_f64 v[153:154], v[3:4], v[161:162]
	v_mul_f64 v[143:144], v[1:2], v[161:162]
	s_waitcnt vmcnt(41)
	v_fma_f64 v[139:140], v[5:6], v[141:142], -v[139:140]
	v_fma_f64 v[127:128], v[7:8], v[141:142], v[127:128]
	ds_read_b128 v[5:8], v171 offset:1632
	v_add_f64 v[123:124], v[123:124], v[147:148]
	v_add_f64 v[125:126], v[125:126], v[133:134]
	s_waitcnt vmcnt(37) lgkmcnt(1)
	v_mul_f64 v[133:134], v[119:120], v[145:146]
	v_mul_f64 v[141:142], v[121:122], v[145:146]
	s_waitcnt vmcnt(36)
	v_fma_f64 v[145:146], v[1:2], v[163:164], -v[153:154]
	v_add_f64 v[123:124], v[123:124], v[139:140]
	v_fma_f64 v[139:140], v[3:4], v[163:164], v[143:144]
	v_add_f64 v[125:126], v[125:126], v[127:128]
	ds_read_b128 v[1:4], v171 offset:1648
	s_waitcnt vmcnt(35) lgkmcnt(1)
	v_mul_f64 v[143:144], v[7:8], v[167:168]
	v_mul_f64 v[127:128], v[5:6], v[167:168]
	s_waitcnt vmcnt(33)
	v_fma_f64 v[141:142], v[119:120], v[149:150], -v[141:142]
	v_fma_f64 v[133:134], v[121:122], v[149:150], v[133:134]
	ds_read_b128 v[119:122], v171 offset:1664
	v_add_f64 v[123:124], v[123:124], v[145:146]
	v_add_f64 v[125:126], v[125:126], v[139:140]
	s_waitcnt vmcnt(29) lgkmcnt(1)
	v_mul_f64 v[145:146], v[3:4], v[151:152]
	s_waitcnt vmcnt(28)
	v_fma_f64 v[143:144], v[5:6], v[169:170], -v[143:144]
	v_mul_f64 v[139:140], v[1:2], v[151:152]
	v_fma_f64 v[127:128], v[7:8], v[169:170], v[127:128]
	ds_read_b128 v[5:8], v171 offset:1680
	v_add_f64 v[123:124], v[123:124], v[141:142]
	v_add_f64 v[125:126], v[125:126], v[133:134]
	s_waitcnt vmcnt(27) lgkmcnt(1)
	v_mul_f64 v[141:142], v[121:122], v[190:191]
	v_mul_f64 v[133:134], v[119:120], v[190:191]
	s_waitcnt vmcnt(25)
	v_fma_f64 v[145:146], v[1:2], v[157:158], -v[145:146]
	v_fma_f64 v[139:140], v[3:4], v[157:158], v[139:140]
	ds_read_b128 v[1:4], v171 offset:1696
	v_add_f64 v[123:124], v[123:124], v[143:144]
	v_add_f64 v[125:126], v[125:126], v[127:128]
	s_waitcnt vmcnt(21) lgkmcnt(1)
	v_mul_f64 v[143:144], v[7:8], v[159:160]
	s_waitcnt vmcnt(20)
	v_fma_f64 v[141:142], v[119:120], v[194:195], -v[141:142]
	v_mul_f64 v[127:128], v[5:6], v[159:160]
	v_fma_f64 v[133:134], v[121:122], v[194:195], v[133:134]
	ds_read_b128 v[119:122], v171 offset:1712
	v_add_f64 v[123:124], v[123:124], v[145:146]
	v_add_f64 v[125:126], v[125:126], v[139:140]
	;; [unrolled: 18-line block ×3, first 2 shown]
	s_waitcnt vmcnt(11) lgkmcnt(1)
	v_mul_f64 v[143:144], v[7:8], v[192:193]
	v_mul_f64 v[127:128], v[5:6], v[192:193]
	s_waitcnt vmcnt(9)
	v_fma_f64 v[119:120], v[119:120], v[129:130], -v[141:142]
	v_fma_f64 v[121:122], v[121:122], v[129:130], v[133:134]
	v_add_f64 v[123:124], v[123:124], v[145:146]
	v_add_f64 v[125:126], v[125:126], v[139:140]
	s_waitcnt vmcnt(7) lgkmcnt(0)
	v_mul_f64 v[133:134], v[3:4], v[135:136]
	s_waitcnt vmcnt(6)
	v_fma_f64 v[5:6], v[5:6], v[196:197], -v[143:144]
	v_mul_f64 v[129:130], v[1:2], v[135:136]
	v_fma_f64 v[7:8], v[7:8], v[196:197], v[127:128]
	v_add_f64 v[119:120], v[123:124], v[119:120]
	v_add_f64 v[121:122], v[125:126], v[121:122]
	s_waitcnt vmcnt(4)
	v_fma_f64 v[1:2], v[1:2], v[131:132], -v[133:134]
	v_fma_f64 v[3:4], v[3:4], v[131:132], v[129:130]
	v_add_f64 v[5:6], v[119:120], v[5:6]
	v_add_f64 v[7:8], v[121:122], v[7:8]
	;; [unrolled: 1-line block ×4, first 2 shown]
	s_waitcnt vmcnt(2)
	v_add_f64 v[1:2], v[137:138], -v[1:2]
	s_waitcnt vmcnt(0)
	v_add_f64 v[3:4], v[174:175], -v[3:4]
	buffer_store_dword v2, off, s[0:3], 0 offset:276
	buffer_store_dword v1, off, s[0:3], 0 offset:272
	;; [unrolled: 1-line block ×4, first 2 shown]
	v_cmpx_lt_u32_e32 15, v0
	s_cbranch_execz .LBB118_313
; %bb.312:
	v_mov_b32_e32 v4, s52
	v_mov_b32_e32 v5, 0
	s_clause 0x3
	buffer_load_dword v1, v4, s[0:3], 0 offen
	buffer_load_dword v2, v4, s[0:3], 0 offen offset:4
	buffer_load_dword v3, v4, s[0:3], 0 offen offset:8
	;; [unrolled: 1-line block ×3, first 2 shown]
	buffer_store_dword v5, off, s[0:3], 0 offset:256
	buffer_store_dword v5, off, s[0:3], 0 offset:260
	;; [unrolled: 1-line block ×4, first 2 shown]
	s_waitcnt vmcnt(0)
	ds_write_b128 v179, v[1:4]
.LBB118_313:
	s_or_b32 exec_lo, exec_lo, s4
	s_waitcnt lgkmcnt(0)
	s_waitcnt_vscnt null, 0x0
	s_barrier
	buffer_gl0_inv
	s_clause 0x37
	buffer_load_dword v119, off, s[0:3], 0 offset:280
	buffer_load_dword v120, off, s[0:3], 0 offset:284
	;; [unrolled: 1-line block ×56, first 2 shown]
	v_mov_b32_e32 v171, 0
	s_mov_b32 s4, exec_lo
	ds_read_b128 v[172:175], v171 offset:1136
	s_clause 0x2
	buffer_load_dword v168, off, s[0:3], 0 offset:508
	buffer_load_dword v170, off, s[0:3], 0 offset:484
	;; [unrolled: 1-line block ×3, first 2 shown]
	ds_read_b128 v[180:183], v171 offset:1152
	s_clause 0x4
	buffer_load_dword v189, off, s[0:3], 0 offset:524
	buffer_load_dword v190, off, s[0:3], 0 offset:536
	;; [unrolled: 1-line block ×5, first 2 shown]
	ds_read_b128 v[184:187], v171 offset:1168
	s_clause 0x2
	buffer_load_dword v191, off, s[0:3], 0 offset:540
	buffer_load_dword v196, off, s[0:3], 0 offset:516
	;; [unrolled: 1-line block ×3, first 2 shown]
	s_waitcnt vmcnt(62) lgkmcnt(2)
	v_mul_f64 v[176:177], v[174:175], v[119:120]
	v_mul_f64 v[119:120], v[172:173], v[119:120]
	s_waitcnt lgkmcnt(1)
	v_mul_f64 v[193:194], v[182:183], v[5:6]
	s_waitcnt vmcnt(59) lgkmcnt(0)
	v_mul_f64 v[197:198], v[186:187], v[3:4]
	v_fma_f64 v[172:173], v[172:173], v[7:8], -v[176:177]
	v_mul_f64 v[176:177], v[180:181], v[5:6]
	v_fma_f64 v[119:120], v[174:175], v[7:8], v[119:120]
	s_waitcnt vmcnt(57)
	v_fma_f64 v[180:181], v[180:181], v[1:2], -v[193:194]
	ds_read_b128 v[5:8], v171 offset:1184
	v_mul_f64 v[174:175], v[184:185], v[3:4]
	s_waitcnt vmcnt(51)
	v_fma_f64 v[184:185], v[184:185], v[135:136], -v[197:198]
	v_add_f64 v[172:173], v[172:173], 0
	v_fma_f64 v[176:177], v[182:183], v[1:2], v[176:177]
	v_add_f64 v[119:120], v[119:120], 0
	s_clause 0x4
	buffer_load_dword v183, off, s[0:3], 0 offset:556
	buffer_load_dword v199, off, s[0:3], 0 offset:568
	;; [unrolled: 1-line block ×5, first 2 shown]
	s_waitcnt lgkmcnt(0)
	v_mul_f64 v[202:203], v[5:6], v[123:124]
	v_mul_f64 v[123:124], v[7:8], v[123:124]
	ds_read_b128 v[1:4], v171 offset:1200
	v_fma_f64 v[135:136], v[186:187], v[135:136], v[174:175]
	v_add_f64 v[180:181], v[172:173], v[180:181]
	v_add_f64 v[119:120], v[119:120], v[176:177]
	s_clause 0x2
	buffer_load_dword v200, off, s[0:3], 0 offset:572
	buffer_load_dword v177, off, s[0:3], 0 offset:548
	;; [unrolled: 1-line block ×3, first 2 shown]
	s_waitcnt vmcnt(58) lgkmcnt(0)
	v_mul_f64 v[186:187], v[1:2], v[127:128]
	v_mul_f64 v[127:128], v[3:4], v[127:128]
	s_waitcnt vmcnt(56)
	v_fma_f64 v[123:124], v[5:6], v[129:130], -v[123:124]
	ds_read_b128 v[172:175], v171 offset:1216
	v_fma_f64 v[129:130], v[7:8], v[129:130], v[202:203]
	v_add_f64 v[180:181], v[180:181], v[184:185]
	v_add_f64 v[119:120], v[119:120], v[135:136]
	s_clause 0x4
	buffer_load_dword v136, off, s[0:3], 0 offset:588
	buffer_load_dword v184, off, s[0:3], 0 offset:600
	;; [unrolled: 1-line block ×5, first 2 shown]
	ds_read_b128 v[5:8], v171 offset:1232
	s_waitcnt vmcnt(57) lgkmcnt(1)
	v_mul_f64 v[203:204], v[172:173], v[131:132]
	v_mul_f64 v[131:132], v[174:175], v[131:132]
	s_waitcnt vmcnt(56)
	v_fma_f64 v[127:128], v[1:2], v[121:122], -v[127:128]
	v_fma_f64 v[121:122], v[3:4], v[121:122], v[186:187]
	v_add_f64 v[123:124], v[180:181], v[123:124]
	v_add_f64 v[119:120], v[119:120], v[129:130]
	s_clause 0x2
	buffer_load_dword v185, off, s[0:3], 0 offset:604
	buffer_load_dword v130, off, s[0:3], 0 offset:580
	;; [unrolled: 1-line block ×3, first 2 shown]
	s_waitcnt vmcnt(58) lgkmcnt(0)
	v_mul_f64 v[180:181], v[5:6], v[137:138]
	v_mul_f64 v[137:138], v[7:8], v[137:138]
	s_waitcnt vmcnt(56)
	v_fma_f64 v[131:132], v[172:173], v[139:140], -v[131:132]
	ds_read_b128 v[1:4], v171 offset:1248
	v_add_f64 v[123:124], v[123:124], v[127:128]
	v_fma_f64 v[127:128], v[174:175], v[139:140], v[203:204]
	v_add_f64 v[139:140], v[119:120], v[121:122]
	s_clause 0x4
	buffer_load_dword v173, off, s[0:3], 0 offset:620
	buffer_load_dword v174, off, s[0:3], 0 offset:632
	;; [unrolled: 1-line block ×5, first 2 shown]
	ds_read_b128 v[119:122], v171 offset:1264
	s_waitcnt vmcnt(57) lgkmcnt(1)
	v_mul_f64 v[203:204], v[1:2], v[141:142]
	v_mul_f64 v[141:142], v[3:4], v[141:142]
	s_waitcnt vmcnt(56)
	v_fma_f64 v[137:138], v[5:6], v[125:126], -v[137:138]
	v_fma_f64 v[125:126], v[7:8], v[125:126], v[180:181]
	v_add_f64 v[123:124], v[123:124], v[131:132]
	s_clause 0x2
	buffer_load_dword v175, off, s[0:3], 0 offset:636
	buffer_load_dword v132, off, s[0:3], 0 offset:612
	;; [unrolled: 1-line block ×3, first 2 shown]
	v_add_f64 v[127:128], v[139:140], v[127:128]
	s_waitcnt vmcnt(58) lgkmcnt(0)
	v_mul_f64 v[139:140], v[119:120], v[145:146]
	v_mul_f64 v[145:146], v[121:122], v[145:146]
	ds_read_b128 v[5:8], v171 offset:1280
	s_waitcnt vmcnt(56)
	v_fma_f64 v[141:142], v[1:2], v[147:148], -v[141:142]
	v_add_f64 v[123:124], v[123:124], v[137:138]
	v_fma_f64 v[137:138], v[3:4], v[147:148], v[203:204]
	v_add_f64 v[125:126], v[127:128], v[125:126]
	s_clause 0x4
	buffer_load_dword v128, off, s[0:3], 0 offset:652
	buffer_load_dword v147, off, s[0:3], 0 offset:664
	;; [unrolled: 1-line block ×5, first 2 shown]
	s_waitcnt vmcnt(57) lgkmcnt(0)
	v_mul_f64 v[203:204], v[5:6], v[149:150]
	v_mul_f64 v[149:150], v[7:8], v[149:150]
	s_waitcnt vmcnt(56)
	v_fma_f64 v[145:146], v[119:120], v[133:134], -v[145:146]
	ds_read_b128 v[1:4], v171 offset:1296
	v_fma_f64 v[133:134], v[121:122], v[133:134], v[139:140]
	v_add_f64 v[123:124], v[123:124], v[141:142]
	v_add_f64 v[125:126], v[125:126], v[137:138]
	s_clause 0x2
	buffer_load_dword v148, off, s[0:3], 0 offset:668
	buffer_load_dword v138, off, s[0:3], 0 offset:644
	;; [unrolled: 1-line block ×3, first 2 shown]
	ds_read_b128 v[119:122], v171 offset:1312
	s_waitcnt vmcnt(58) lgkmcnt(1)
	v_mul_f64 v[141:142], v[3:4], v[153:154]
	s_waitcnt vmcnt(56)
	v_fma_f64 v[149:150], v[5:6], v[155:156], -v[149:150]
	v_mul_f64 v[139:140], v[1:2], v[153:154]
	v_add_f64 v[123:124], v[123:124], v[145:146]
	v_fma_f64 v[145:146], v[7:8], v[155:156], v[203:204]
	v_add_f64 v[125:126], v[125:126], v[133:134]
	s_clause 0x4
	buffer_load_dword v134, off, s[0:3], 0 offset:684
	buffer_load_dword v153, off, s[0:3], 0 offset:696
	;; [unrolled: 1-line block ×5, first 2 shown]
	s_waitcnt vmcnt(57) lgkmcnt(0)
	v_mul_f64 v[203:204], v[119:120], v[157:158]
	v_mul_f64 v[156:157], v[121:122], v[157:158]
	s_waitcnt vmcnt(56)
	v_fma_f64 v[141:142], v[1:2], v[143:144], -v[141:142]
	ds_read_b128 v[5:8], v171 offset:1328
	v_fma_f64 v[139:140], v[3:4], v[143:144], v[139:140]
	s_clause 0x2
	buffer_load_dword v154, off, s[0:3], 0 offset:700
	buffer_load_dword v144, off, s[0:3], 0 offset:676
	;; [unrolled: 1-line block ×3, first 2 shown]
	ds_read_b128 v[1:4], v171 offset:1344
	v_add_f64 v[123:124], v[123:124], v[149:150]
	v_add_f64 v[125:126], v[125:126], v[145:146]
	s_waitcnt vmcnt(58) lgkmcnt(1)
	v_mul_f64 v[149:150], v[7:8], v[161:162]
	s_waitcnt vmcnt(56)
	v_fma_f64 v[157:158], v[119:120], v[163:164], -v[156:157]
	v_mul_f64 v[145:146], v[5:6], v[161:162]
	v_add_f64 v[123:124], v[123:124], v[141:142]
	v_fma_f64 v[141:142], v[121:122], v[163:164], v[203:204]
	v_add_f64 v[125:126], v[125:126], v[139:140]
	s_clause 0x4
	buffer_load_dword v140, off, s[0:3], 0 offset:716
	buffer_load_dword v161, off, s[0:3], 0 offset:728
	;; [unrolled: 1-line block ×5, first 2 shown]
	s_waitcnt vmcnt(57) lgkmcnt(0)
	v_mul_f64 v[203:204], v[1:2], v[165:166]
	v_mul_f64 v[164:165], v[3:4], v[165:166]
	s_waitcnt vmcnt(56)
	v_fma_f64 v[149:150], v[5:6], v[151:152], -v[149:150]
	ds_read_b128 v[119:122], v171 offset:1360
	v_fma_f64 v[145:146], v[7:8], v[151:152], v[145:146]
	v_add_f64 v[123:124], v[123:124], v[157:158]
	v_add_f64 v[125:126], v[125:126], v[141:142]
	s_clause 0x2
	buffer_load_dword v162, off, s[0:3], 0 offset:732
	buffer_load_dword v142, off, s[0:3], 0 offset:708
	;; [unrolled: 1-line block ×3, first 2 shown]
	ds_read_b128 v[5:8], v171 offset:1376
	s_waitcnt vmcnt(58) lgkmcnt(1)
	v_mul_f64 v[157:158], v[121:122], v[167:168]
	s_waitcnt vmcnt(56)
	v_fma_f64 v[165:166], v[1:2], v[169:170], -v[164:165]
	v_mul_f64 v[151:152], v[119:120], v[167:168]
	v_add_f64 v[123:124], v[123:124], v[149:150]
	v_fma_f64 v[149:150], v[3:4], v[169:170], v[203:204]
	v_add_f64 v[125:126], v[125:126], v[145:146]
	s_clause 0x4
	buffer_load_dword v146, off, s[0:3], 0 offset:748
	buffer_load_dword v167, off, s[0:3], 0 offset:760
	;; [unrolled: 1-line block ×5, first 2 shown]
	s_waitcnt vmcnt(57) lgkmcnt(0)
	v_mul_f64 v[203:204], v[5:6], v[188:189]
	v_mul_f64 v[188:189], v[7:8], v[188:189]
	s_waitcnt vmcnt(56)
	v_fma_f64 v[157:158], v[119:120], v[159:160], -v[157:158]
	ds_read_b128 v[1:4], v171 offset:1392
	v_fma_f64 v[151:152], v[121:122], v[159:160], v[151:152]
	v_add_f64 v[123:124], v[123:124], v[165:166]
	v_add_f64 v[125:126], v[125:126], v[149:150]
	s_clause 0x2
	buffer_load_dword v168, off, s[0:3], 0 offset:764
	buffer_load_dword v150, off, s[0:3], 0 offset:740
	;; [unrolled: 1-line block ×3, first 2 shown]
	ds_read_b128 v[119:122], v171 offset:1408
	s_waitcnt vmcnt(58) lgkmcnt(1)
	v_mul_f64 v[165:166], v[3:4], v[190:191]
	s_waitcnt vmcnt(56)
	v_fma_f64 v[188:189], v[5:6], v[195:196], -v[188:189]
	v_mul_f64 v[159:160], v[1:2], v[190:191]
	v_add_f64 v[123:124], v[123:124], v[157:158]
	v_fma_f64 v[157:158], v[7:8], v[195:196], v[203:204]
	v_add_f64 v[125:126], v[125:126], v[151:152]
	s_clause 0x4
	buffer_load_dword v152, off, s[0:3], 0 offset:780
	buffer_load_dword v190, off, s[0:3], 0 offset:792
	;; [unrolled: 1-line block ×5, first 2 shown]
	ds_read_b128 v[5:8], v171 offset:1424
	s_waitcnt vmcnt(57) lgkmcnt(1)
	v_mul_f64 v[195:196], v[119:120], v[182:183]
	v_mul_f64 v[182:183], v[121:122], v[182:183]
	s_waitcnt vmcnt(56)
	v_fma_f64 v[165:166], v[1:2], v[192:193], -v[165:166]
	v_fma_f64 v[159:160], v[3:4], v[192:193], v[159:160]
	v_add_f64 v[123:124], v[123:124], v[188:189]
	v_add_f64 v[125:126], v[125:126], v[157:158]
	s_clause 0x2
	buffer_load_dword v191, off, s[0:3], 0 offset:796
	buffer_load_dword v158, off, s[0:3], 0 offset:772
	;; [unrolled: 1-line block ×3, first 2 shown]
	ds_read_b128 v[1:4], v171 offset:1440
	s_waitcnt vmcnt(58) lgkmcnt(1)
	v_mul_f64 v[192:193], v[7:8], v[199:200]
	v_mul_f64 v[188:189], v[5:6], v[199:200]
	s_waitcnt vmcnt(56)
	v_fma_f64 v[182:183], v[119:120], v[176:177], -v[182:183]
	v_add_f64 v[123:124], v[123:124], v[165:166]
	v_fma_f64 v[165:166], v[121:122], v[176:177], v[195:196]
	v_add_f64 v[125:126], v[125:126], v[159:160]
	s_clause 0x4
	buffer_load_dword v160, off, s[0:3], 0 offset:812
	buffer_load_dword v176, off, s[0:3], 0 offset:824
	;; [unrolled: 1-line block ×5, first 2 shown]
	ds_read_b128 v[119:122], v171 offset:1456
	s_waitcnt vmcnt(57) lgkmcnt(1)
	v_mul_f64 v[203:204], v[1:2], v[135:136]
	v_mul_f64 v[135:136], v[3:4], v[135:136]
	s_waitcnt vmcnt(56)
	v_fma_f64 v[192:193], v[5:6], v[201:202], -v[192:193]
	v_add_f64 v[123:124], v[123:124], v[182:183]
	v_fma_f64 v[182:183], v[7:8], v[201:202], v[188:189]
	v_add_f64 v[125:126], v[125:126], v[165:166]
	s_clause 0x2
	buffer_load_dword v177, off, s[0:3], 0 offset:828
	buffer_load_dword v166, off, s[0:3], 0 offset:804
	;; [unrolled: 1-line block ×3, first 2 shown]
	ds_read_b128 v[5:8], v171 offset:1472
	s_waitcnt vmcnt(58) lgkmcnt(1)
	v_mul_f64 v[188:189], v[119:120], v[184:185]
	v_mul_f64 v[184:185], v[121:122], v[184:185]
	s_waitcnt vmcnt(56)
	v_fma_f64 v[135:136], v[1:2], v[129:130], -v[135:136]
	v_fma_f64 v[129:130], v[3:4], v[129:130], v[203:204]
	v_add_f64 v[123:124], v[123:124], v[192:193]
	v_add_f64 v[125:126], v[125:126], v[182:183]
	s_clause 0x4
	buffer_load_dword v183, off, s[0:3], 0 offset:844
	buffer_load_dword v192, off, s[0:3], 0 offset:856
	buffer_load_dword v196, off, s[0:3], 0 offset:848
	buffer_load_dword v182, off, s[0:3], 0 offset:840
	buffer_load_dword v200, off, s[0:3], 0 offset:820
	ds_read_b128 v[1:4], v171 offset:1488
	s_waitcnt vmcnt(57) lgkmcnt(1)
	v_mul_f64 v[201:202], v[5:6], v[172:173]
	v_mul_f64 v[172:173], v[7:8], v[172:173]
	s_waitcnt vmcnt(56)
	v_fma_f64 v[184:185], v[119:120], v[197:198], -v[184:185]
	v_add_f64 v[123:124], v[123:124], v[135:136]
	v_fma_f64 v[135:136], v[121:122], v[197:198], v[188:189]
	v_add_f64 v[125:126], v[125:126], v[129:130]
	s_clause 0x2
	buffer_load_dword v193, off, s[0:3], 0 offset:860
	buffer_load_dword v130, off, s[0:3], 0 offset:836
	;; [unrolled: 1-line block ×3, first 2 shown]
	ds_read_b128 v[119:122], v171 offset:1504
	s_waitcnt vmcnt(58) lgkmcnt(1)
	v_mul_f64 v[188:189], v[1:2], v[174:175]
	v_mul_f64 v[174:175], v[3:4], v[174:175]
	s_waitcnt vmcnt(56)
	v_fma_f64 v[172:173], v[5:6], v[131:132], -v[172:173]
	v_fma_f64 v[131:132], v[7:8], v[131:132], v[201:202]
	v_add_f64 v[123:124], v[123:124], v[184:185]
	v_add_f64 v[125:126], v[125:126], v[135:136]
	s_clause 0x4
	buffer_load_dword v136, off, s[0:3], 0 offset:876
	buffer_load_dword v184, off, s[0:3], 0 offset:888
	buffer_load_dword v201, off, s[0:3], 0 offset:880
	buffer_load_dword v135, off, s[0:3], 0 offset:872
	buffer_load_dword v197, off, s[0:3], 0 offset:852
	ds_read_b128 v[5:8], v171 offset:1520
	s_waitcnt vmcnt(57) lgkmcnt(1)
	v_mul_f64 v[202:203], v[119:120], v[127:128]
	v_mul_f64 v[127:128], v[121:122], v[127:128]
	s_waitcnt vmcnt(56)
	v_fma_f64 v[174:175], v[1:2], v[186:187], -v[174:175]
	v_add_f64 v[123:124], v[123:124], v[172:173]
	v_fma_f64 v[172:173], v[3:4], v[186:187], v[188:189]
	v_add_f64 v[125:126], v[125:126], v[131:132]
	s_clause 0x2
	buffer_load_dword v185, off, s[0:3], 0 offset:892
	buffer_load_dword v132, off, s[0:3], 0 offset:868
	buffer_load_dword v131, off, s[0:3], 0 offset:864
	ds_read_b128 v[1:4], v171 offset:1536
	s_waitcnt vmcnt(58) lgkmcnt(1)
	v_mul_f64 v[186:187], v[5:6], v[147:148]
	v_mul_f64 v[147:148], v[7:8], v[147:148]
	s_waitcnt vmcnt(56)
	v_fma_f64 v[127:128], v[119:120], v[137:138], -v[127:128]
	v_fma_f64 v[137:138], v[121:122], v[137:138], v[202:203]
	buffer_load_dword v202, off, s[0:3], 0 offset:884
	ds_read_b128 v[119:122], v171 offset:1552
	v_add_f64 v[123:124], v[123:124], v[174:175]
	v_add_f64 v[125:126], v[125:126], v[172:173]
	s_waitcnt vmcnt(53) lgkmcnt(1)
	v_mul_f64 v[172:173], v[1:2], v[133:134]
	v_mul_f64 v[133:134], v[3:4], v[133:134]
	s_waitcnt vmcnt(52)
	v_fma_f64 v[147:148], v[5:6], v[180:181], -v[147:148]
	v_add_f64 v[123:124], v[123:124], v[127:128]
	v_fma_f64 v[127:128], v[7:8], v[180:181], v[186:187]
	v_add_f64 v[125:126], v[125:126], v[137:138]
	s_waitcnt vmcnt(51) lgkmcnt(0)
	v_mul_f64 v[137:138], v[119:120], v[153:154]
	v_mul_f64 v[153:154], v[121:122], v[153:154]
	ds_read_b128 v[5:8], v171 offset:1568
	s_waitcnt vmcnt(49)
	v_fma_f64 v[133:134], v[1:2], v[143:144], -v[133:134]
	v_fma_f64 v[143:144], v[3:4], v[143:144], v[172:173]
	v_add_f64 v[123:124], v[123:124], v[147:148]
	v_add_f64 v[125:126], v[125:126], v[127:128]
	s_clause 0x3
	buffer_load_dword v127, off, s[0:3], 0 offset:256
	buffer_load_dword v128, off, s[0:3], 0 offset:260
	;; [unrolled: 1-line block ×4, first 2 shown]
	ds_read_b128 v[1:4], v171 offset:1584
	s_waitcnt vmcnt(49) lgkmcnt(1)
	v_mul_f64 v[172:173], v[5:6], v[139:140]
	v_mul_f64 v[139:140], v[7:8], v[139:140]
	s_waitcnt vmcnt(48)
	v_fma_f64 v[153:154], v[119:120], v[155:156], -v[153:154]
	v_add_f64 v[123:124], v[123:124], v[133:134]
	v_fma_f64 v[133:134], v[121:122], v[155:156], v[137:138]
	v_add_f64 v[125:126], v[125:126], v[143:144]
	ds_read_b128 v[119:122], v171 offset:1600
	s_waitcnt vmcnt(47) lgkmcnt(1)
	v_mul_f64 v[143:144], v[3:4], v[161:162]
	v_mul_f64 v[137:138], v[1:2], v[161:162]
	s_waitcnt vmcnt(45)
	v_fma_f64 v[139:140], v[5:6], v[141:142], -v[139:140]
	v_fma_f64 v[141:142], v[7:8], v[141:142], v[172:173]
	ds_read_b128 v[5:8], v171 offset:1616
	v_add_f64 v[123:124], v[123:124], v[153:154]
	v_add_f64 v[125:126], v[125:126], v[133:134]
	s_waitcnt vmcnt(41) lgkmcnt(1)
	v_mul_f64 v[133:134], v[119:120], v[145:146]
	v_mul_f64 v[145:146], v[121:122], v[145:146]
	s_waitcnt vmcnt(40)
	v_fma_f64 v[143:144], v[1:2], v[163:164], -v[143:144]
	v_fma_f64 v[137:138], v[3:4], v[163:164], v[137:138]
	ds_read_b128 v[1:4], v171 offset:1632
	v_add_f64 v[123:124], v[123:124], v[139:140]
	v_add_f64 v[125:126], v[125:126], v[141:142]
	;; [unrolled: 9-line block ×3, first 2 shown]
	s_waitcnt vmcnt(33) lgkmcnt(1)
	v_mul_f64 v[143:144], v[3:4], v[151:152]
	s_waitcnt vmcnt(32)
	v_fma_f64 v[141:142], v[5:6], v[169:170], -v[141:142]
	v_mul_f64 v[137:138], v[1:2], v[151:152]
	v_fma_f64 v[139:140], v[7:8], v[169:170], v[139:140]
	ds_read_b128 v[5:8], v171 offset:1664
	v_add_f64 v[123:124], v[123:124], v[145:146]
	v_add_f64 v[125:126], v[125:126], v[133:134]
	s_waitcnt vmcnt(31) lgkmcnt(1)
	v_mul_f64 v[145:146], v[121:122], v[190:191]
	v_mul_f64 v[133:134], v[119:120], v[190:191]
	s_waitcnt vmcnt(29)
	v_fma_f64 v[143:144], v[1:2], v[157:158], -v[143:144]
	v_fma_f64 v[137:138], v[3:4], v[157:158], v[137:138]
	ds_read_b128 v[1:4], v171 offset:1680
	v_add_f64 v[123:124], v[123:124], v[141:142]
	v_add_f64 v[125:126], v[125:126], v[139:140]
	s_waitcnt vmcnt(25) lgkmcnt(1)
	v_mul_f64 v[141:142], v[7:8], v[159:160]
	s_waitcnt vmcnt(24)
	v_fma_f64 v[145:146], v[119:120], v[194:195], -v[145:146]
	v_mul_f64 v[139:140], v[5:6], v[159:160]
	v_fma_f64 v[133:134], v[121:122], v[194:195], v[133:134]
	ds_read_b128 v[119:122], v171 offset:1696
	v_add_f64 v[123:124], v[123:124], v[143:144]
	v_add_f64 v[125:126], v[125:126], v[137:138]
	s_waitcnt vmcnt(23) lgkmcnt(1)
	v_mul_f64 v[143:144], v[3:4], v[176:177]
	v_mul_f64 v[137:138], v[1:2], v[176:177]
	s_waitcnt vmcnt(21)
	v_fma_f64 v[141:142], v[5:6], v[165:166], -v[141:142]
	v_fma_f64 v[139:140], v[7:8], v[165:166], v[139:140]
	ds_read_b128 v[5:8], v171 offset:1712
	v_add_f64 v[123:124], v[123:124], v[145:146]
	v_add_f64 v[125:126], v[125:126], v[133:134]
	;; [unrolled: 18-line block ×3, first 2 shown]
	s_waitcnt vmcnt(9) lgkmcnt(1)
	v_mul_f64 v[133:134], v[1:2], v[135:136]
	v_mul_f64 v[135:136], v[3:4], v[135:136]
	s_waitcnt vmcnt(8)
	v_fma_f64 v[5:6], v[5:6], v[196:197], -v[141:142]
	v_fma_f64 v[7:8], v[7:8], v[196:197], v[139:140]
	v_add_f64 v[123:124], v[123:124], v[145:146]
	v_add_f64 v[125:126], v[125:126], v[129:130]
	s_waitcnt vmcnt(7) lgkmcnt(0)
	v_mul_f64 v[137:138], v[121:122], v[184:185]
	v_mul_f64 v[129:130], v[119:120], v[184:185]
	s_waitcnt vmcnt(5)
	v_fma_f64 v[1:2], v[1:2], v[131:132], -v[135:136]
	v_fma_f64 v[3:4], v[3:4], v[131:132], v[133:134]
	v_add_f64 v[5:6], v[123:124], v[5:6]
	v_add_f64 v[7:8], v[125:126], v[7:8]
	s_waitcnt vmcnt(4)
	v_fma_f64 v[119:120], v[119:120], v[201:202], -v[137:138]
	v_add_f64 v[1:2], v[5:6], v[1:2]
	v_fma_f64 v[5:6], v[121:122], v[201:202], v[129:130]
	v_add_f64 v[3:4], v[7:8], v[3:4]
	v_add_f64 v[1:2], v[1:2], v[119:120]
	;; [unrolled: 1-line block ×3, first 2 shown]
	s_waitcnt vmcnt(2)
	v_add_f64 v[1:2], v[127:128], -v[1:2]
	s_waitcnt vmcnt(0)
	v_add_f64 v[3:4], v[147:148], -v[3:4]
	buffer_store_dword v2, off, s[0:3], 0 offset:260
	buffer_store_dword v1, off, s[0:3], 0 offset:256
	buffer_store_dword v4, off, s[0:3], 0 offset:268
	buffer_store_dword v3, off, s[0:3], 0 offset:264
	v_cmpx_lt_u32_e32 14, v0
	s_cbranch_execz .LBB118_315
; %bb.314:
	v_mov_b32_e32 v4, s53
	s_clause 0x3
	buffer_load_dword v1, v4, s[0:3], 0 offen
	buffer_load_dword v2, v4, s[0:3], 0 offen offset:4
	buffer_load_dword v3, v4, s[0:3], 0 offen offset:8
	;; [unrolled: 1-line block ×3, first 2 shown]
	buffer_store_dword v171, off, s[0:3], 0 offset:240
	buffer_store_dword v171, off, s[0:3], 0 offset:244
	;; [unrolled: 1-line block ×4, first 2 shown]
	s_waitcnt vmcnt(0)
	ds_write_b128 v179, v[1:4]
.LBB118_315:
	s_or_b32 exec_lo, exec_lo, s4
	s_waitcnt lgkmcnt(0)
	s_waitcnt_vscnt null, 0x0
	s_barrier
	buffer_gl0_inv
	s_clause 0x37
	buffer_load_dword v119, off, s[0:3], 0 offset:264
	buffer_load_dword v120, off, s[0:3], 0 offset:268
	;; [unrolled: 1-line block ×56, first 2 shown]
	ds_read_b128 v[172:175], v171 offset:1120
	s_clause 0x2
	buffer_load_dword v168, off, s[0:3], 0 offset:492
	buffer_load_dword v170, off, s[0:3], 0 offset:468
	;; [unrolled: 1-line block ×3, first 2 shown]
	ds_read_b128 v[180:183], v171 offset:1136
	s_clause 0x4
	buffer_load_dword v189, off, s[0:3], 0 offset:508
	buffer_load_dword v190, off, s[0:3], 0 offset:520
	;; [unrolled: 1-line block ×5, first 2 shown]
	ds_read_b128 v[184:187], v171 offset:1152
	s_clause 0x2
	buffer_load_dword v191, off, s[0:3], 0 offset:524
	buffer_load_dword v196, off, s[0:3], 0 offset:500
	buffer_load_dword v195, off, s[0:3], 0 offset:496
	s_mov_b32 s4, exec_lo
	s_waitcnt vmcnt(62) lgkmcnt(2)
	v_mul_f64 v[176:177], v[174:175], v[119:120]
	v_mul_f64 v[119:120], v[172:173], v[119:120]
	s_waitcnt lgkmcnt(1)
	v_mul_f64 v[193:194], v[182:183], v[5:6]
	s_waitcnt vmcnt(59) lgkmcnt(0)
	v_mul_f64 v[197:198], v[186:187], v[3:4]
	v_fma_f64 v[172:173], v[172:173], v[7:8], -v[176:177]
	v_mul_f64 v[176:177], v[180:181], v[5:6]
	v_fma_f64 v[119:120], v[174:175], v[7:8], v[119:120]
	s_waitcnt vmcnt(57)
	v_fma_f64 v[180:181], v[180:181], v[1:2], -v[193:194]
	ds_read_b128 v[5:8], v171 offset:1168
	v_mul_f64 v[174:175], v[184:185], v[3:4]
	s_waitcnt vmcnt(51)
	v_fma_f64 v[184:185], v[184:185], v[135:136], -v[197:198]
	v_add_f64 v[172:173], v[172:173], 0
	v_fma_f64 v[176:177], v[182:183], v[1:2], v[176:177]
	v_add_f64 v[119:120], v[119:120], 0
	s_clause 0x4
	buffer_load_dword v183, off, s[0:3], 0 offset:540
	buffer_load_dword v199, off, s[0:3], 0 offset:552
	;; [unrolled: 1-line block ×5, first 2 shown]
	s_waitcnt lgkmcnt(0)
	v_mul_f64 v[202:203], v[5:6], v[123:124]
	v_mul_f64 v[123:124], v[7:8], v[123:124]
	ds_read_b128 v[1:4], v171 offset:1184
	v_fma_f64 v[135:136], v[186:187], v[135:136], v[174:175]
	v_add_f64 v[180:181], v[172:173], v[180:181]
	v_add_f64 v[119:120], v[119:120], v[176:177]
	s_clause 0x2
	buffer_load_dword v200, off, s[0:3], 0 offset:556
	buffer_load_dword v177, off, s[0:3], 0 offset:532
	;; [unrolled: 1-line block ×3, first 2 shown]
	s_waitcnt vmcnt(58) lgkmcnt(0)
	v_mul_f64 v[186:187], v[1:2], v[127:128]
	v_mul_f64 v[127:128], v[3:4], v[127:128]
	s_waitcnt vmcnt(56)
	v_fma_f64 v[123:124], v[5:6], v[129:130], -v[123:124]
	ds_read_b128 v[172:175], v171 offset:1200
	v_fma_f64 v[129:130], v[7:8], v[129:130], v[202:203]
	v_add_f64 v[180:181], v[180:181], v[184:185]
	v_add_f64 v[119:120], v[119:120], v[135:136]
	s_clause 0x4
	buffer_load_dword v136, off, s[0:3], 0 offset:572
	buffer_load_dword v184, off, s[0:3], 0 offset:584
	;; [unrolled: 1-line block ×5, first 2 shown]
	ds_read_b128 v[5:8], v171 offset:1216
	s_waitcnt vmcnt(57) lgkmcnt(1)
	v_mul_f64 v[203:204], v[172:173], v[131:132]
	v_mul_f64 v[131:132], v[174:175], v[131:132]
	s_waitcnt vmcnt(56)
	v_fma_f64 v[127:128], v[1:2], v[121:122], -v[127:128]
	v_fma_f64 v[121:122], v[3:4], v[121:122], v[186:187]
	v_add_f64 v[123:124], v[180:181], v[123:124]
	v_add_f64 v[119:120], v[119:120], v[129:130]
	s_clause 0x2
	buffer_load_dword v185, off, s[0:3], 0 offset:588
	buffer_load_dword v130, off, s[0:3], 0 offset:564
	;; [unrolled: 1-line block ×3, first 2 shown]
	s_waitcnt vmcnt(58) lgkmcnt(0)
	v_mul_f64 v[180:181], v[5:6], v[137:138]
	v_mul_f64 v[137:138], v[7:8], v[137:138]
	s_waitcnt vmcnt(56)
	v_fma_f64 v[131:132], v[172:173], v[139:140], -v[131:132]
	ds_read_b128 v[1:4], v171 offset:1232
	v_add_f64 v[123:124], v[123:124], v[127:128]
	v_fma_f64 v[127:128], v[174:175], v[139:140], v[203:204]
	v_add_f64 v[139:140], v[119:120], v[121:122]
	s_clause 0x4
	buffer_load_dword v173, off, s[0:3], 0 offset:604
	buffer_load_dword v174, off, s[0:3], 0 offset:616
	;; [unrolled: 1-line block ×5, first 2 shown]
	ds_read_b128 v[119:122], v171 offset:1248
	s_waitcnt vmcnt(57) lgkmcnt(1)
	v_mul_f64 v[203:204], v[1:2], v[141:142]
	v_mul_f64 v[141:142], v[3:4], v[141:142]
	s_waitcnt vmcnt(56)
	v_fma_f64 v[137:138], v[5:6], v[125:126], -v[137:138]
	v_fma_f64 v[125:126], v[7:8], v[125:126], v[180:181]
	v_add_f64 v[123:124], v[123:124], v[131:132]
	s_clause 0x2
	buffer_load_dword v175, off, s[0:3], 0 offset:620
	buffer_load_dword v132, off, s[0:3], 0 offset:596
	;; [unrolled: 1-line block ×3, first 2 shown]
	v_add_f64 v[127:128], v[139:140], v[127:128]
	s_waitcnt vmcnt(58) lgkmcnt(0)
	v_mul_f64 v[139:140], v[119:120], v[145:146]
	v_mul_f64 v[145:146], v[121:122], v[145:146]
	ds_read_b128 v[5:8], v171 offset:1264
	s_waitcnt vmcnt(56)
	v_fma_f64 v[141:142], v[1:2], v[147:148], -v[141:142]
	v_add_f64 v[123:124], v[123:124], v[137:138]
	v_fma_f64 v[137:138], v[3:4], v[147:148], v[203:204]
	v_add_f64 v[125:126], v[127:128], v[125:126]
	s_clause 0x4
	buffer_load_dword v128, off, s[0:3], 0 offset:636
	buffer_load_dword v147, off, s[0:3], 0 offset:648
	;; [unrolled: 1-line block ×5, first 2 shown]
	s_waitcnt vmcnt(57) lgkmcnt(0)
	v_mul_f64 v[203:204], v[5:6], v[149:150]
	v_mul_f64 v[149:150], v[7:8], v[149:150]
	s_waitcnt vmcnt(56)
	v_fma_f64 v[145:146], v[119:120], v[133:134], -v[145:146]
	ds_read_b128 v[1:4], v171 offset:1280
	v_fma_f64 v[133:134], v[121:122], v[133:134], v[139:140]
	v_add_f64 v[123:124], v[123:124], v[141:142]
	v_add_f64 v[125:126], v[125:126], v[137:138]
	s_clause 0x2
	buffer_load_dword v148, off, s[0:3], 0 offset:652
	buffer_load_dword v138, off, s[0:3], 0 offset:628
	;; [unrolled: 1-line block ×3, first 2 shown]
	ds_read_b128 v[119:122], v171 offset:1296
	s_waitcnt vmcnt(58) lgkmcnt(1)
	v_mul_f64 v[141:142], v[3:4], v[153:154]
	s_waitcnt vmcnt(56)
	v_fma_f64 v[149:150], v[5:6], v[155:156], -v[149:150]
	v_mul_f64 v[139:140], v[1:2], v[153:154]
	v_add_f64 v[123:124], v[123:124], v[145:146]
	v_fma_f64 v[145:146], v[7:8], v[155:156], v[203:204]
	v_add_f64 v[125:126], v[125:126], v[133:134]
	s_clause 0x4
	buffer_load_dword v134, off, s[0:3], 0 offset:668
	buffer_load_dword v153, off, s[0:3], 0 offset:680
	;; [unrolled: 1-line block ×5, first 2 shown]
	s_waitcnt vmcnt(57) lgkmcnt(0)
	v_mul_f64 v[203:204], v[119:120], v[157:158]
	v_mul_f64 v[156:157], v[121:122], v[157:158]
	s_waitcnt vmcnt(56)
	v_fma_f64 v[141:142], v[1:2], v[143:144], -v[141:142]
	ds_read_b128 v[5:8], v171 offset:1312
	v_fma_f64 v[139:140], v[3:4], v[143:144], v[139:140]
	s_clause 0x2
	buffer_load_dword v154, off, s[0:3], 0 offset:684
	buffer_load_dword v144, off, s[0:3], 0 offset:660
	;; [unrolled: 1-line block ×3, first 2 shown]
	ds_read_b128 v[1:4], v171 offset:1328
	v_add_f64 v[123:124], v[123:124], v[149:150]
	v_add_f64 v[125:126], v[125:126], v[145:146]
	s_waitcnt vmcnt(58) lgkmcnt(1)
	v_mul_f64 v[149:150], v[7:8], v[161:162]
	s_waitcnt vmcnt(56)
	v_fma_f64 v[157:158], v[119:120], v[163:164], -v[156:157]
	v_mul_f64 v[145:146], v[5:6], v[161:162]
	v_add_f64 v[123:124], v[123:124], v[141:142]
	v_fma_f64 v[141:142], v[121:122], v[163:164], v[203:204]
	v_add_f64 v[125:126], v[125:126], v[139:140]
	s_clause 0x4
	buffer_load_dword v140, off, s[0:3], 0 offset:700
	buffer_load_dword v161, off, s[0:3], 0 offset:712
	;; [unrolled: 1-line block ×5, first 2 shown]
	s_waitcnt vmcnt(57) lgkmcnt(0)
	v_mul_f64 v[203:204], v[1:2], v[165:166]
	v_mul_f64 v[164:165], v[3:4], v[165:166]
	s_waitcnt vmcnt(56)
	v_fma_f64 v[149:150], v[5:6], v[151:152], -v[149:150]
	ds_read_b128 v[119:122], v171 offset:1344
	v_fma_f64 v[145:146], v[7:8], v[151:152], v[145:146]
	v_add_f64 v[123:124], v[123:124], v[157:158]
	v_add_f64 v[125:126], v[125:126], v[141:142]
	s_clause 0x2
	buffer_load_dword v162, off, s[0:3], 0 offset:716
	buffer_load_dword v142, off, s[0:3], 0 offset:692
	;; [unrolled: 1-line block ×3, first 2 shown]
	ds_read_b128 v[5:8], v171 offset:1360
	s_waitcnt vmcnt(58) lgkmcnt(1)
	v_mul_f64 v[157:158], v[121:122], v[167:168]
	s_waitcnt vmcnt(56)
	v_fma_f64 v[165:166], v[1:2], v[169:170], -v[164:165]
	v_mul_f64 v[151:152], v[119:120], v[167:168]
	v_add_f64 v[123:124], v[123:124], v[149:150]
	v_fma_f64 v[149:150], v[3:4], v[169:170], v[203:204]
	v_add_f64 v[125:126], v[125:126], v[145:146]
	s_clause 0x4
	buffer_load_dword v146, off, s[0:3], 0 offset:732
	buffer_load_dword v167, off, s[0:3], 0 offset:744
	;; [unrolled: 1-line block ×5, first 2 shown]
	s_waitcnt vmcnt(57) lgkmcnt(0)
	v_mul_f64 v[203:204], v[5:6], v[188:189]
	v_mul_f64 v[188:189], v[7:8], v[188:189]
	s_waitcnt vmcnt(56)
	v_fma_f64 v[157:158], v[119:120], v[159:160], -v[157:158]
	ds_read_b128 v[1:4], v171 offset:1376
	v_fma_f64 v[151:152], v[121:122], v[159:160], v[151:152]
	v_add_f64 v[123:124], v[123:124], v[165:166]
	v_add_f64 v[125:126], v[125:126], v[149:150]
	s_clause 0x2
	buffer_load_dword v168, off, s[0:3], 0 offset:748
	buffer_load_dword v150, off, s[0:3], 0 offset:724
	;; [unrolled: 1-line block ×3, first 2 shown]
	ds_read_b128 v[119:122], v171 offset:1392
	s_waitcnt vmcnt(58) lgkmcnt(1)
	v_mul_f64 v[165:166], v[3:4], v[190:191]
	s_waitcnt vmcnt(56)
	v_fma_f64 v[188:189], v[5:6], v[195:196], -v[188:189]
	v_mul_f64 v[159:160], v[1:2], v[190:191]
	v_add_f64 v[123:124], v[123:124], v[157:158]
	v_fma_f64 v[157:158], v[7:8], v[195:196], v[203:204]
	v_add_f64 v[125:126], v[125:126], v[151:152]
	s_clause 0x4
	buffer_load_dword v152, off, s[0:3], 0 offset:764
	buffer_load_dword v190, off, s[0:3], 0 offset:776
	;; [unrolled: 1-line block ×5, first 2 shown]
	ds_read_b128 v[5:8], v171 offset:1408
	s_waitcnt vmcnt(57) lgkmcnt(1)
	v_mul_f64 v[195:196], v[119:120], v[182:183]
	v_mul_f64 v[182:183], v[121:122], v[182:183]
	s_waitcnt vmcnt(56)
	v_fma_f64 v[165:166], v[1:2], v[192:193], -v[165:166]
	v_fma_f64 v[159:160], v[3:4], v[192:193], v[159:160]
	v_add_f64 v[123:124], v[123:124], v[188:189]
	v_add_f64 v[125:126], v[125:126], v[157:158]
	s_clause 0x2
	buffer_load_dword v191, off, s[0:3], 0 offset:780
	buffer_load_dword v158, off, s[0:3], 0 offset:756
	buffer_load_dword v157, off, s[0:3], 0 offset:752
	ds_read_b128 v[1:4], v171 offset:1424
	s_waitcnt vmcnt(58) lgkmcnt(1)
	v_mul_f64 v[192:193], v[7:8], v[199:200]
	v_mul_f64 v[188:189], v[5:6], v[199:200]
	s_waitcnt vmcnt(56)
	v_fma_f64 v[182:183], v[119:120], v[176:177], -v[182:183]
	v_add_f64 v[123:124], v[123:124], v[165:166]
	v_fma_f64 v[165:166], v[121:122], v[176:177], v[195:196]
	v_add_f64 v[125:126], v[125:126], v[159:160]
	s_clause 0x4
	buffer_load_dword v160, off, s[0:3], 0 offset:796
	buffer_load_dword v176, off, s[0:3], 0 offset:808
	buffer_load_dword v199, off, s[0:3], 0 offset:800
	buffer_load_dword v159, off, s[0:3], 0 offset:792
	buffer_load_dword v195, off, s[0:3], 0 offset:772
	ds_read_b128 v[119:122], v171 offset:1440
	s_waitcnt vmcnt(57) lgkmcnt(1)
	v_mul_f64 v[203:204], v[1:2], v[135:136]
	v_mul_f64 v[135:136], v[3:4], v[135:136]
	s_waitcnt vmcnt(56)
	v_fma_f64 v[192:193], v[5:6], v[201:202], -v[192:193]
	v_add_f64 v[123:124], v[123:124], v[182:183]
	v_fma_f64 v[182:183], v[7:8], v[201:202], v[188:189]
	v_add_f64 v[125:126], v[125:126], v[165:166]
	s_clause 0x2
	buffer_load_dword v177, off, s[0:3], 0 offset:812
	buffer_load_dword v166, off, s[0:3], 0 offset:788
	buffer_load_dword v165, off, s[0:3], 0 offset:784
	ds_read_b128 v[5:8], v171 offset:1456
	s_waitcnt vmcnt(58) lgkmcnt(1)
	v_mul_f64 v[188:189], v[119:120], v[184:185]
	v_mul_f64 v[184:185], v[121:122], v[184:185]
	s_waitcnt vmcnt(56)
	v_fma_f64 v[135:136], v[1:2], v[129:130], -v[135:136]
	v_fma_f64 v[129:130], v[3:4], v[129:130], v[203:204]
	v_add_f64 v[123:124], v[123:124], v[192:193]
	v_add_f64 v[125:126], v[125:126], v[182:183]
	s_clause 0x4
	buffer_load_dword v183, off, s[0:3], 0 offset:828
	buffer_load_dword v192, off, s[0:3], 0 offset:840
	buffer_load_dword v196, off, s[0:3], 0 offset:832
	buffer_load_dword v182, off, s[0:3], 0 offset:824
	buffer_load_dword v200, off, s[0:3], 0 offset:804
	ds_read_b128 v[1:4], v171 offset:1472
	s_waitcnt vmcnt(57) lgkmcnt(1)
	v_mul_f64 v[201:202], v[5:6], v[172:173]
	v_mul_f64 v[172:173], v[7:8], v[172:173]
	s_waitcnt vmcnt(56)
	v_fma_f64 v[184:185], v[119:120], v[197:198], -v[184:185]
	v_add_f64 v[123:124], v[123:124], v[135:136]
	v_fma_f64 v[135:136], v[121:122], v[197:198], v[188:189]
	v_add_f64 v[125:126], v[125:126], v[129:130]
	s_clause 0x2
	buffer_load_dword v193, off, s[0:3], 0 offset:844
	buffer_load_dword v130, off, s[0:3], 0 offset:820
	buffer_load_dword v129, off, s[0:3], 0 offset:816
	ds_read_b128 v[119:122], v171 offset:1488
	s_waitcnt vmcnt(58) lgkmcnt(1)
	v_mul_f64 v[188:189], v[1:2], v[174:175]
	v_mul_f64 v[174:175], v[3:4], v[174:175]
	s_waitcnt vmcnt(56)
	v_fma_f64 v[172:173], v[5:6], v[131:132], -v[172:173]
	v_fma_f64 v[131:132], v[7:8], v[131:132], v[201:202]
	v_add_f64 v[123:124], v[123:124], v[184:185]
	;; [unrolled: 28-line block ×3, first 2 shown]
	v_add_f64 v[125:126], v[125:126], v[172:173]
	s_clause 0x2
	buffer_load_dword v173, off, s[0:3], 0 offset:892
	buffer_load_dword v172, off, s[0:3], 0 offset:888
	;; [unrolled: 1-line block ×3, first 2 shown]
	ds_read_b128 v[119:122], v171 offset:1536
	s_waitcnt vmcnt(55) lgkmcnt(1)
	v_mul_f64 v[174:175], v[1:2], v[133:134]
	v_mul_f64 v[133:134], v[3:4], v[133:134]
	s_waitcnt vmcnt(54)
	v_fma_f64 v[147:148], v[5:6], v[180:181], -v[147:148]
	v_add_f64 v[123:124], v[123:124], v[127:128]
	v_fma_f64 v[127:128], v[7:8], v[180:181], v[186:187]
	v_add_f64 v[125:126], v[125:126], v[137:138]
	s_clause 0x1
	buffer_load_dword v138, off, s[0:3], 0 offset:884
	buffer_load_dword v137, off, s[0:3], 0 offset:880
	s_waitcnt vmcnt(55) lgkmcnt(0)
	v_mul_f64 v[180:181], v[119:120], v[153:154]
	v_mul_f64 v[153:154], v[121:122], v[153:154]
	ds_read_b128 v[5:8], v171 offset:1552
	s_waitcnt vmcnt(53)
	v_fma_f64 v[133:134], v[1:2], v[143:144], -v[133:134]
	v_fma_f64 v[143:144], v[3:4], v[143:144], v[174:175]
	ds_read_b128 v[1:4], v171 offset:1568
	v_add_f64 v[123:124], v[123:124], v[147:148]
	v_add_f64 v[125:126], v[125:126], v[127:128]
	s_waitcnt vmcnt(49) lgkmcnt(1)
	v_mul_f64 v[127:128], v[5:6], v[139:140]
	v_mul_f64 v[139:140], v[7:8], v[139:140]
	s_waitcnt vmcnt(48)
	v_fma_f64 v[147:148], v[119:120], v[155:156], -v[153:154]
	v_add_f64 v[123:124], v[123:124], v[133:134]
	v_fma_f64 v[133:134], v[121:122], v[155:156], v[180:181]
	v_add_f64 v[125:126], v[125:126], v[143:144]
	s_clause 0x3
	buffer_load_dword v143, off, s[0:3], 0 offset:240
	buffer_load_dword v144, off, s[0:3], 0 offset:244
	;; [unrolled: 1-line block ×4, first 2 shown]
	ds_read_b128 v[119:122], v171 offset:1584
	s_waitcnt vmcnt(51) lgkmcnt(1)
	v_mul_f64 v[155:156], v[1:2], v[161:162]
	v_mul_f64 v[161:162], v[3:4], v[161:162]
	s_waitcnt vmcnt(49)
	v_fma_f64 v[139:140], v[5:6], v[141:142], -v[139:140]
	v_fma_f64 v[127:128], v[7:8], v[141:142], v[127:128]
	ds_read_b128 v[5:8], v171 offset:1600
	v_add_f64 v[123:124], v[123:124], v[147:148]
	v_add_f64 v[125:126], v[125:126], v[133:134]
	s_waitcnt vmcnt(45) lgkmcnt(1)
	v_mul_f64 v[133:134], v[119:120], v[145:146]
	v_mul_f64 v[141:142], v[121:122], v[145:146]
	s_waitcnt vmcnt(44)
	v_fma_f64 v[145:146], v[1:2], v[163:164], -v[161:162]
	v_add_f64 v[123:124], v[123:124], v[139:140]
	v_fma_f64 v[139:140], v[3:4], v[163:164], v[155:156]
	v_add_f64 v[125:126], v[125:126], v[127:128]
	ds_read_b128 v[1:4], v171 offset:1616
	s_waitcnt vmcnt(43) lgkmcnt(1)
	v_mul_f64 v[147:148], v[7:8], v[167:168]
	v_mul_f64 v[127:128], v[5:6], v[167:168]
	s_waitcnt vmcnt(41)
	v_fma_f64 v[141:142], v[119:120], v[149:150], -v[141:142]
	v_fma_f64 v[133:134], v[121:122], v[149:150], v[133:134]
	ds_read_b128 v[119:122], v171 offset:1632
	v_add_f64 v[123:124], v[123:124], v[145:146]
	v_add_f64 v[125:126], v[125:126], v[139:140]
	s_waitcnt vmcnt(37) lgkmcnt(1)
	v_mul_f64 v[145:146], v[3:4], v[151:152]
	s_waitcnt vmcnt(36)
	v_fma_f64 v[147:148], v[5:6], v[169:170], -v[147:148]
	v_mul_f64 v[139:140], v[1:2], v[151:152]
	v_fma_f64 v[127:128], v[7:8], v[169:170], v[127:128]
	ds_read_b128 v[5:8], v171 offset:1648
	v_add_f64 v[123:124], v[123:124], v[141:142]
	v_add_f64 v[125:126], v[125:126], v[133:134]
	s_waitcnt vmcnt(35) lgkmcnt(1)
	v_mul_f64 v[141:142], v[121:122], v[190:191]
	v_mul_f64 v[133:134], v[119:120], v[190:191]
	s_waitcnt vmcnt(33)
	v_fma_f64 v[145:146], v[1:2], v[157:158], -v[145:146]
	v_fma_f64 v[139:140], v[3:4], v[157:158], v[139:140]
	ds_read_b128 v[1:4], v171 offset:1664
	v_add_f64 v[123:124], v[123:124], v[147:148]
	v_add_f64 v[125:126], v[125:126], v[127:128]
	s_waitcnt vmcnt(29) lgkmcnt(1)
	v_mul_f64 v[147:148], v[7:8], v[159:160]
	s_waitcnt vmcnt(28)
	v_fma_f64 v[141:142], v[119:120], v[194:195], -v[141:142]
	v_mul_f64 v[127:128], v[5:6], v[159:160]
	v_fma_f64 v[133:134], v[121:122], v[194:195], v[133:134]
	ds_read_b128 v[119:122], v171 offset:1680
	v_add_f64 v[123:124], v[123:124], v[145:146]
	v_add_f64 v[125:126], v[125:126], v[139:140]
	;; [unrolled: 18-line block ×3, first 2 shown]
	s_waitcnt vmcnt(19) lgkmcnt(1)
	v_mul_f64 v[147:148], v[7:8], v[192:193]
	v_mul_f64 v[127:128], v[5:6], v[192:193]
	s_waitcnt vmcnt(17)
	v_fma_f64 v[141:142], v[119:120], v[129:130], -v[141:142]
	v_fma_f64 v[129:130], v[121:122], v[129:130], v[133:134]
	ds_read_b128 v[119:122], v171 offset:1728
	v_add_f64 v[123:124], v[123:124], v[145:146]
	v_add_f64 v[125:126], v[125:126], v[139:140]
	s_waitcnt vmcnt(13) lgkmcnt(1)
	v_mul_f64 v[133:134], v[1:2], v[135:136]
	v_mul_f64 v[135:136], v[3:4], v[135:136]
	s_waitcnt vmcnt(12)
	v_fma_f64 v[139:140], v[5:6], v[196:197], -v[147:148]
	v_fma_f64 v[127:128], v[7:8], v[196:197], v[127:128]
	ds_read_b128 v[5:8], v171 offset:1744
	v_add_f64 v[123:124], v[123:124], v[141:142]
	v_add_f64 v[125:126], v[125:126], v[129:130]
	s_waitcnt vmcnt(11) lgkmcnt(1)
	v_mul_f64 v[141:142], v[121:122], v[184:185]
	v_mul_f64 v[129:130], v[119:120], v[184:185]
	s_waitcnt vmcnt(9)
	v_fma_f64 v[1:2], v[1:2], v[131:132], -v[135:136]
	v_fma_f64 v[3:4], v[3:4], v[131:132], v[133:134]
	v_add_f64 v[123:124], v[123:124], v[139:140]
	v_add_f64 v[125:126], v[125:126], v[127:128]
	s_waitcnt vmcnt(7) lgkmcnt(0)
	v_mul_f64 v[131:132], v[7:8], v[172:173]
	s_waitcnt vmcnt(6)
	v_fma_f64 v[119:120], v[119:120], v[201:202], -v[141:142]
	v_mul_f64 v[127:128], v[5:6], v[172:173]
	v_fma_f64 v[121:122], v[121:122], v[201:202], v[129:130]
	v_add_f64 v[1:2], v[123:124], v[1:2]
	v_add_f64 v[3:4], v[125:126], v[3:4]
	s_waitcnt vmcnt(4)
	v_fma_f64 v[5:6], v[5:6], v[137:138], -v[131:132]
	v_fma_f64 v[7:8], v[7:8], v[137:138], v[127:128]
	v_add_f64 v[1:2], v[1:2], v[119:120]
	v_add_f64 v[3:4], v[3:4], v[121:122]
	;; [unrolled: 1-line block ×4, first 2 shown]
	s_waitcnt vmcnt(2)
	v_add_f64 v[1:2], v[143:144], -v[1:2]
	s_waitcnt vmcnt(0)
	v_add_f64 v[3:4], v[153:154], -v[3:4]
	buffer_store_dword v2, off, s[0:3], 0 offset:244
	buffer_store_dword v1, off, s[0:3], 0 offset:240
	;; [unrolled: 1-line block ×4, first 2 shown]
	v_cmpx_lt_u32_e32 13, v0
	s_cbranch_execz .LBB118_317
; %bb.316:
	v_mov_b32_e32 v4, s54
	v_mov_b32_e32 v5, 0
	s_clause 0x3
	buffer_load_dword v1, v4, s[0:3], 0 offen
	buffer_load_dword v2, v4, s[0:3], 0 offen offset:4
	buffer_load_dword v3, v4, s[0:3], 0 offen offset:8
	;; [unrolled: 1-line block ×3, first 2 shown]
	buffer_store_dword v5, off, s[0:3], 0 offset:224
	buffer_store_dword v5, off, s[0:3], 0 offset:228
	;; [unrolled: 1-line block ×4, first 2 shown]
	s_waitcnt vmcnt(0)
	ds_write_b128 v179, v[1:4]
.LBB118_317:
	s_or_b32 exec_lo, exec_lo, s4
	s_waitcnt lgkmcnt(0)
	s_waitcnt_vscnt null, 0x0
	s_barrier
	buffer_gl0_inv
	s_clause 0x37
	buffer_load_dword v119, off, s[0:3], 0 offset:248
	buffer_load_dword v120, off, s[0:3], 0 offset:252
	;; [unrolled: 1-line block ×56, first 2 shown]
	v_mov_b32_e32 v171, 0
	s_mov_b32 s4, exec_lo
	ds_read_b128 v[172:175], v171 offset:1104
	s_clause 0x2
	buffer_load_dword v168, off, s[0:3], 0 offset:476
	buffer_load_dword v170, off, s[0:3], 0 offset:452
	;; [unrolled: 1-line block ×3, first 2 shown]
	ds_read_b128 v[180:183], v171 offset:1120
	s_clause 0x4
	buffer_load_dword v189, off, s[0:3], 0 offset:492
	buffer_load_dword v190, off, s[0:3], 0 offset:504
	;; [unrolled: 1-line block ×5, first 2 shown]
	ds_read_b128 v[184:187], v171 offset:1136
	s_clause 0x2
	buffer_load_dword v191, off, s[0:3], 0 offset:508
	buffer_load_dword v196, off, s[0:3], 0 offset:484
	;; [unrolled: 1-line block ×3, first 2 shown]
	s_waitcnt vmcnt(62) lgkmcnt(2)
	v_mul_f64 v[176:177], v[174:175], v[119:120]
	v_mul_f64 v[119:120], v[172:173], v[119:120]
	s_waitcnt lgkmcnt(1)
	v_mul_f64 v[193:194], v[182:183], v[5:6]
	s_waitcnt vmcnt(59) lgkmcnt(0)
	v_mul_f64 v[197:198], v[186:187], v[3:4]
	v_fma_f64 v[172:173], v[172:173], v[7:8], -v[176:177]
	v_mul_f64 v[176:177], v[180:181], v[5:6]
	v_fma_f64 v[119:120], v[174:175], v[7:8], v[119:120]
	s_waitcnt vmcnt(57)
	v_fma_f64 v[180:181], v[180:181], v[1:2], -v[193:194]
	ds_read_b128 v[5:8], v171 offset:1152
	v_mul_f64 v[174:175], v[184:185], v[3:4]
	s_waitcnt vmcnt(51)
	v_fma_f64 v[184:185], v[184:185], v[135:136], -v[197:198]
	v_add_f64 v[172:173], v[172:173], 0
	v_fma_f64 v[176:177], v[182:183], v[1:2], v[176:177]
	v_add_f64 v[119:120], v[119:120], 0
	s_clause 0x4
	buffer_load_dword v183, off, s[0:3], 0 offset:524
	buffer_load_dword v199, off, s[0:3], 0 offset:536
	;; [unrolled: 1-line block ×5, first 2 shown]
	s_waitcnt lgkmcnt(0)
	v_mul_f64 v[202:203], v[5:6], v[123:124]
	v_mul_f64 v[123:124], v[7:8], v[123:124]
	ds_read_b128 v[1:4], v171 offset:1168
	v_fma_f64 v[135:136], v[186:187], v[135:136], v[174:175]
	v_add_f64 v[180:181], v[172:173], v[180:181]
	v_add_f64 v[119:120], v[119:120], v[176:177]
	s_clause 0x2
	buffer_load_dword v200, off, s[0:3], 0 offset:540
	buffer_load_dword v177, off, s[0:3], 0 offset:516
	;; [unrolled: 1-line block ×3, first 2 shown]
	s_waitcnt vmcnt(58) lgkmcnt(0)
	v_mul_f64 v[186:187], v[1:2], v[127:128]
	v_mul_f64 v[127:128], v[3:4], v[127:128]
	s_waitcnt vmcnt(56)
	v_fma_f64 v[123:124], v[5:6], v[129:130], -v[123:124]
	ds_read_b128 v[172:175], v171 offset:1184
	v_fma_f64 v[129:130], v[7:8], v[129:130], v[202:203]
	v_add_f64 v[180:181], v[180:181], v[184:185]
	v_add_f64 v[119:120], v[119:120], v[135:136]
	s_clause 0x4
	buffer_load_dword v136, off, s[0:3], 0 offset:556
	buffer_load_dword v184, off, s[0:3], 0 offset:568
	;; [unrolled: 1-line block ×5, first 2 shown]
	ds_read_b128 v[5:8], v171 offset:1200
	s_waitcnt vmcnt(57) lgkmcnt(1)
	v_mul_f64 v[203:204], v[172:173], v[131:132]
	v_mul_f64 v[131:132], v[174:175], v[131:132]
	s_waitcnt vmcnt(56)
	v_fma_f64 v[127:128], v[1:2], v[121:122], -v[127:128]
	v_fma_f64 v[121:122], v[3:4], v[121:122], v[186:187]
	v_add_f64 v[123:124], v[180:181], v[123:124]
	v_add_f64 v[119:120], v[119:120], v[129:130]
	s_clause 0x2
	buffer_load_dword v185, off, s[0:3], 0 offset:572
	buffer_load_dword v130, off, s[0:3], 0 offset:548
	;; [unrolled: 1-line block ×3, first 2 shown]
	s_waitcnt vmcnt(58) lgkmcnt(0)
	v_mul_f64 v[180:181], v[5:6], v[137:138]
	v_mul_f64 v[137:138], v[7:8], v[137:138]
	s_waitcnt vmcnt(56)
	v_fma_f64 v[131:132], v[172:173], v[139:140], -v[131:132]
	ds_read_b128 v[1:4], v171 offset:1216
	v_add_f64 v[123:124], v[123:124], v[127:128]
	v_fma_f64 v[127:128], v[174:175], v[139:140], v[203:204]
	v_add_f64 v[139:140], v[119:120], v[121:122]
	s_clause 0x4
	buffer_load_dword v173, off, s[0:3], 0 offset:588
	buffer_load_dword v174, off, s[0:3], 0 offset:600
	buffer_load_dword v186, off, s[0:3], 0 offset:592
	buffer_load_dword v172, off, s[0:3], 0 offset:584
	buffer_load_dword v198, off, s[0:3], 0 offset:564
	ds_read_b128 v[119:122], v171 offset:1232
	s_waitcnt vmcnt(57) lgkmcnt(1)
	v_mul_f64 v[203:204], v[1:2], v[141:142]
	v_mul_f64 v[141:142], v[3:4], v[141:142]
	s_waitcnt vmcnt(56)
	v_fma_f64 v[137:138], v[5:6], v[125:126], -v[137:138]
	v_fma_f64 v[125:126], v[7:8], v[125:126], v[180:181]
	v_add_f64 v[123:124], v[123:124], v[131:132]
	s_clause 0x2
	buffer_load_dword v175, off, s[0:3], 0 offset:604
	buffer_load_dword v132, off, s[0:3], 0 offset:580
	;; [unrolled: 1-line block ×3, first 2 shown]
	v_add_f64 v[127:128], v[139:140], v[127:128]
	s_waitcnt vmcnt(58) lgkmcnt(0)
	v_mul_f64 v[139:140], v[119:120], v[145:146]
	v_mul_f64 v[145:146], v[121:122], v[145:146]
	ds_read_b128 v[5:8], v171 offset:1248
	s_waitcnt vmcnt(56)
	v_fma_f64 v[141:142], v[1:2], v[147:148], -v[141:142]
	v_add_f64 v[123:124], v[123:124], v[137:138]
	v_fma_f64 v[137:138], v[3:4], v[147:148], v[203:204]
	v_add_f64 v[125:126], v[127:128], v[125:126]
	s_clause 0x4
	buffer_load_dword v128, off, s[0:3], 0 offset:620
	buffer_load_dword v147, off, s[0:3], 0 offset:632
	;; [unrolled: 1-line block ×5, first 2 shown]
	s_waitcnt vmcnt(57) lgkmcnt(0)
	v_mul_f64 v[203:204], v[5:6], v[149:150]
	v_mul_f64 v[149:150], v[7:8], v[149:150]
	s_waitcnt vmcnt(56)
	v_fma_f64 v[145:146], v[119:120], v[133:134], -v[145:146]
	ds_read_b128 v[1:4], v171 offset:1264
	v_fma_f64 v[133:134], v[121:122], v[133:134], v[139:140]
	v_add_f64 v[123:124], v[123:124], v[141:142]
	v_add_f64 v[125:126], v[125:126], v[137:138]
	s_clause 0x2
	buffer_load_dword v148, off, s[0:3], 0 offset:636
	buffer_load_dword v138, off, s[0:3], 0 offset:612
	;; [unrolled: 1-line block ×3, first 2 shown]
	ds_read_b128 v[119:122], v171 offset:1280
	s_waitcnt vmcnt(58) lgkmcnt(1)
	v_mul_f64 v[141:142], v[3:4], v[153:154]
	s_waitcnt vmcnt(56)
	v_fma_f64 v[149:150], v[5:6], v[155:156], -v[149:150]
	v_mul_f64 v[139:140], v[1:2], v[153:154]
	v_add_f64 v[123:124], v[123:124], v[145:146]
	v_fma_f64 v[145:146], v[7:8], v[155:156], v[203:204]
	v_add_f64 v[125:126], v[125:126], v[133:134]
	s_clause 0x4
	buffer_load_dword v134, off, s[0:3], 0 offset:652
	buffer_load_dword v153, off, s[0:3], 0 offset:664
	buffer_load_dword v155, off, s[0:3], 0 offset:656
	buffer_load_dword v133, off, s[0:3], 0 offset:648
	buffer_load_dword v181, off, s[0:3], 0 offset:628
	s_waitcnt vmcnt(57) lgkmcnt(0)
	v_mul_f64 v[203:204], v[119:120], v[157:158]
	v_mul_f64 v[156:157], v[121:122], v[157:158]
	s_waitcnt vmcnt(56)
	v_fma_f64 v[141:142], v[1:2], v[143:144], -v[141:142]
	ds_read_b128 v[5:8], v171 offset:1296
	v_fma_f64 v[139:140], v[3:4], v[143:144], v[139:140]
	s_clause 0x2
	buffer_load_dword v154, off, s[0:3], 0 offset:668
	buffer_load_dword v144, off, s[0:3], 0 offset:644
	;; [unrolled: 1-line block ×3, first 2 shown]
	ds_read_b128 v[1:4], v171 offset:1312
	v_add_f64 v[123:124], v[123:124], v[149:150]
	v_add_f64 v[125:126], v[125:126], v[145:146]
	s_waitcnt vmcnt(58) lgkmcnt(1)
	v_mul_f64 v[149:150], v[7:8], v[161:162]
	s_waitcnt vmcnt(56)
	v_fma_f64 v[157:158], v[119:120], v[163:164], -v[156:157]
	v_mul_f64 v[145:146], v[5:6], v[161:162]
	v_add_f64 v[123:124], v[123:124], v[141:142]
	v_fma_f64 v[141:142], v[121:122], v[163:164], v[203:204]
	v_add_f64 v[125:126], v[125:126], v[139:140]
	s_clause 0x4
	buffer_load_dword v140, off, s[0:3], 0 offset:684
	buffer_load_dword v161, off, s[0:3], 0 offset:696
	;; [unrolled: 1-line block ×5, first 2 shown]
	s_waitcnt vmcnt(57) lgkmcnt(0)
	v_mul_f64 v[203:204], v[1:2], v[165:166]
	v_mul_f64 v[164:165], v[3:4], v[165:166]
	s_waitcnt vmcnt(56)
	v_fma_f64 v[149:150], v[5:6], v[151:152], -v[149:150]
	ds_read_b128 v[119:122], v171 offset:1328
	v_fma_f64 v[145:146], v[7:8], v[151:152], v[145:146]
	v_add_f64 v[123:124], v[123:124], v[157:158]
	v_add_f64 v[125:126], v[125:126], v[141:142]
	s_clause 0x2
	buffer_load_dword v162, off, s[0:3], 0 offset:700
	buffer_load_dword v142, off, s[0:3], 0 offset:676
	;; [unrolled: 1-line block ×3, first 2 shown]
	ds_read_b128 v[5:8], v171 offset:1344
	s_waitcnt vmcnt(58) lgkmcnt(1)
	v_mul_f64 v[157:158], v[121:122], v[167:168]
	s_waitcnt vmcnt(56)
	v_fma_f64 v[165:166], v[1:2], v[169:170], -v[164:165]
	v_mul_f64 v[151:152], v[119:120], v[167:168]
	v_add_f64 v[123:124], v[123:124], v[149:150]
	v_fma_f64 v[149:150], v[3:4], v[169:170], v[203:204]
	v_add_f64 v[125:126], v[125:126], v[145:146]
	s_clause 0x4
	buffer_load_dword v146, off, s[0:3], 0 offset:716
	buffer_load_dword v167, off, s[0:3], 0 offset:728
	;; [unrolled: 1-line block ×5, first 2 shown]
	s_waitcnt vmcnt(57) lgkmcnt(0)
	v_mul_f64 v[203:204], v[5:6], v[188:189]
	v_mul_f64 v[188:189], v[7:8], v[188:189]
	s_waitcnt vmcnt(56)
	v_fma_f64 v[157:158], v[119:120], v[159:160], -v[157:158]
	ds_read_b128 v[1:4], v171 offset:1360
	v_fma_f64 v[151:152], v[121:122], v[159:160], v[151:152]
	v_add_f64 v[123:124], v[123:124], v[165:166]
	v_add_f64 v[125:126], v[125:126], v[149:150]
	s_clause 0x2
	buffer_load_dword v168, off, s[0:3], 0 offset:732
	buffer_load_dword v150, off, s[0:3], 0 offset:708
	;; [unrolled: 1-line block ×3, first 2 shown]
	ds_read_b128 v[119:122], v171 offset:1376
	s_waitcnt vmcnt(58) lgkmcnt(1)
	v_mul_f64 v[165:166], v[3:4], v[190:191]
	s_waitcnt vmcnt(56)
	v_fma_f64 v[188:189], v[5:6], v[195:196], -v[188:189]
	v_mul_f64 v[159:160], v[1:2], v[190:191]
	v_add_f64 v[123:124], v[123:124], v[157:158]
	v_fma_f64 v[157:158], v[7:8], v[195:196], v[203:204]
	v_add_f64 v[125:126], v[125:126], v[151:152]
	s_clause 0x4
	buffer_load_dword v152, off, s[0:3], 0 offset:748
	buffer_load_dword v190, off, s[0:3], 0 offset:760
	;; [unrolled: 1-line block ×5, first 2 shown]
	ds_read_b128 v[5:8], v171 offset:1392
	s_waitcnt vmcnt(57) lgkmcnt(1)
	v_mul_f64 v[195:196], v[119:120], v[182:183]
	v_mul_f64 v[182:183], v[121:122], v[182:183]
	s_waitcnt vmcnt(56)
	v_fma_f64 v[165:166], v[1:2], v[192:193], -v[165:166]
	v_fma_f64 v[159:160], v[3:4], v[192:193], v[159:160]
	v_add_f64 v[123:124], v[123:124], v[188:189]
	v_add_f64 v[125:126], v[125:126], v[157:158]
	s_clause 0x2
	buffer_load_dword v191, off, s[0:3], 0 offset:764
	buffer_load_dword v158, off, s[0:3], 0 offset:740
	;; [unrolled: 1-line block ×3, first 2 shown]
	ds_read_b128 v[1:4], v171 offset:1408
	s_waitcnt vmcnt(58) lgkmcnt(1)
	v_mul_f64 v[192:193], v[7:8], v[199:200]
	v_mul_f64 v[188:189], v[5:6], v[199:200]
	s_waitcnt vmcnt(56)
	v_fma_f64 v[182:183], v[119:120], v[176:177], -v[182:183]
	v_add_f64 v[123:124], v[123:124], v[165:166]
	v_fma_f64 v[165:166], v[121:122], v[176:177], v[195:196]
	v_add_f64 v[125:126], v[125:126], v[159:160]
	s_clause 0x4
	buffer_load_dword v160, off, s[0:3], 0 offset:780
	buffer_load_dword v176, off, s[0:3], 0 offset:792
	buffer_load_dword v199, off, s[0:3], 0 offset:784
	buffer_load_dword v159, off, s[0:3], 0 offset:776
	buffer_load_dword v195, off, s[0:3], 0 offset:756
	ds_read_b128 v[119:122], v171 offset:1424
	s_waitcnt vmcnt(57) lgkmcnt(1)
	v_mul_f64 v[203:204], v[1:2], v[135:136]
	v_mul_f64 v[135:136], v[3:4], v[135:136]
	s_waitcnt vmcnt(56)
	v_fma_f64 v[192:193], v[5:6], v[201:202], -v[192:193]
	v_add_f64 v[123:124], v[123:124], v[182:183]
	v_fma_f64 v[182:183], v[7:8], v[201:202], v[188:189]
	v_add_f64 v[125:126], v[125:126], v[165:166]
	s_clause 0x2
	buffer_load_dword v177, off, s[0:3], 0 offset:796
	buffer_load_dword v166, off, s[0:3], 0 offset:772
	buffer_load_dword v165, off, s[0:3], 0 offset:768
	ds_read_b128 v[5:8], v171 offset:1440
	s_waitcnt vmcnt(58) lgkmcnt(1)
	v_mul_f64 v[188:189], v[119:120], v[184:185]
	v_mul_f64 v[184:185], v[121:122], v[184:185]
	s_waitcnt vmcnt(56)
	v_fma_f64 v[135:136], v[1:2], v[129:130], -v[135:136]
	v_fma_f64 v[129:130], v[3:4], v[129:130], v[203:204]
	v_add_f64 v[123:124], v[123:124], v[192:193]
	v_add_f64 v[125:126], v[125:126], v[182:183]
	s_clause 0x4
	buffer_load_dword v183, off, s[0:3], 0 offset:812
	buffer_load_dword v192, off, s[0:3], 0 offset:824
	buffer_load_dword v196, off, s[0:3], 0 offset:816
	buffer_load_dword v182, off, s[0:3], 0 offset:808
	buffer_load_dword v200, off, s[0:3], 0 offset:788
	ds_read_b128 v[1:4], v171 offset:1456
	s_waitcnt vmcnt(57) lgkmcnt(1)
	v_mul_f64 v[201:202], v[5:6], v[172:173]
	v_mul_f64 v[172:173], v[7:8], v[172:173]
	s_waitcnt vmcnt(56)
	v_fma_f64 v[184:185], v[119:120], v[197:198], -v[184:185]
	v_add_f64 v[123:124], v[123:124], v[135:136]
	v_fma_f64 v[135:136], v[121:122], v[197:198], v[188:189]
	v_add_f64 v[125:126], v[125:126], v[129:130]
	s_clause 0x2
	buffer_load_dword v193, off, s[0:3], 0 offset:828
	buffer_load_dword v130, off, s[0:3], 0 offset:804
	buffer_load_dword v129, off, s[0:3], 0 offset:800
	ds_read_b128 v[119:122], v171 offset:1472
	s_waitcnt vmcnt(58) lgkmcnt(1)
	v_mul_f64 v[188:189], v[1:2], v[174:175]
	v_mul_f64 v[174:175], v[3:4], v[174:175]
	s_waitcnt vmcnt(56)
	v_fma_f64 v[172:173], v[5:6], v[131:132], -v[172:173]
	v_fma_f64 v[131:132], v[7:8], v[131:132], v[201:202]
	v_add_f64 v[123:124], v[123:124], v[184:185]
	v_add_f64 v[125:126], v[125:126], v[135:136]
	s_clause 0x4
	buffer_load_dword v136, off, s[0:3], 0 offset:844
	buffer_load_dword v184, off, s[0:3], 0 offset:856
	buffer_load_dword v201, off, s[0:3], 0 offset:848
	buffer_load_dword v135, off, s[0:3], 0 offset:840
	buffer_load_dword v197, off, s[0:3], 0 offset:820
	ds_read_b128 v[5:8], v171 offset:1488
	s_waitcnt vmcnt(57) lgkmcnt(1)
	v_mul_f64 v[202:203], v[119:120], v[127:128]
	v_mul_f64 v[127:128], v[121:122], v[127:128]
	s_waitcnt vmcnt(56)
	v_fma_f64 v[174:175], v[1:2], v[186:187], -v[174:175]
	v_add_f64 v[123:124], v[123:124], v[172:173]
	v_fma_f64 v[172:173], v[3:4], v[186:187], v[188:189]
	v_add_f64 v[125:126], v[125:126], v[131:132]
	s_clause 0x2
	buffer_load_dword v185, off, s[0:3], 0 offset:860
	buffer_load_dword v132, off, s[0:3], 0 offset:836
	buffer_load_dword v131, off, s[0:3], 0 offset:832
	ds_read_b128 v[1:4], v171 offset:1504
	s_waitcnt vmcnt(58) lgkmcnt(1)
	v_mul_f64 v[186:187], v[5:6], v[147:148]
	v_mul_f64 v[147:148], v[7:8], v[147:148]
	s_waitcnt vmcnt(56)
	v_fma_f64 v[127:128], v[119:120], v[137:138], -v[127:128]
	v_fma_f64 v[137:138], v[121:122], v[137:138], v[202:203]
	v_add_f64 v[123:124], v[123:124], v[174:175]
	v_add_f64 v[125:126], v[125:126], v[172:173]
	s_clause 0x4
	buffer_load_dword v173, off, s[0:3], 0 offset:876
	buffer_load_dword v174, off, s[0:3], 0 offset:888
	;; [unrolled: 1-line block ×5, first 2 shown]
	ds_read_b128 v[119:122], v171 offset:1520
	s_waitcnt vmcnt(57) lgkmcnt(1)
	v_mul_f64 v[203:204], v[1:2], v[133:134]
	v_mul_f64 v[133:134], v[3:4], v[133:134]
	s_waitcnt vmcnt(56)
	v_fma_f64 v[147:148], v[5:6], v[180:181], -v[147:148]
	v_add_f64 v[123:124], v[123:124], v[127:128]
	v_fma_f64 v[127:128], v[7:8], v[180:181], v[186:187]
	v_add_f64 v[125:126], v[125:126], v[137:138]
	s_clause 0x2
	buffer_load_dword v175, off, s[0:3], 0 offset:892
	buffer_load_dword v138, off, s[0:3], 0 offset:868
	;; [unrolled: 1-line block ×3, first 2 shown]
	s_waitcnt vmcnt(58) lgkmcnt(0)
	v_mul_f64 v[180:181], v[119:120], v[153:154]
	v_mul_f64 v[153:154], v[121:122], v[153:154]
	ds_read_b128 v[5:8], v171 offset:1536
	buffer_load_dword v189, off, s[0:3], 0 offset:884
	s_waitcnt vmcnt(57)
	v_fma_f64 v[133:134], v[1:2], v[143:144], -v[133:134]
	v_fma_f64 v[143:144], v[3:4], v[143:144], v[203:204]
	ds_read_b128 v[1:4], v171 offset:1552
	v_add_f64 v[123:124], v[123:124], v[147:148]
	v_add_f64 v[125:126], v[125:126], v[127:128]
	s_waitcnt vmcnt(53) lgkmcnt(1)
	v_mul_f64 v[127:128], v[5:6], v[139:140]
	v_mul_f64 v[139:140], v[7:8], v[139:140]
	s_waitcnt vmcnt(52)
	v_fma_f64 v[147:148], v[119:120], v[155:156], -v[153:154]
	v_add_f64 v[123:124], v[123:124], v[133:134]
	v_fma_f64 v[133:134], v[121:122], v[155:156], v[180:181]
	v_add_f64 v[125:126], v[125:126], v[143:144]
	ds_read_b128 v[119:122], v171 offset:1568
	s_waitcnt vmcnt(51) lgkmcnt(1)
	v_mul_f64 v[153:154], v[3:4], v[161:162]
	v_mul_f64 v[143:144], v[1:2], v[161:162]
	s_waitcnt vmcnt(49)
	v_fma_f64 v[139:140], v[5:6], v[141:142], -v[139:140]
	v_fma_f64 v[127:128], v[7:8], v[141:142], v[127:128]
	v_add_f64 v[123:124], v[123:124], v[147:148]
	v_add_f64 v[125:126], v[125:126], v[133:134]
	s_clause 0x3
	buffer_load_dword v133, off, s[0:3], 0 offset:224
	buffer_load_dword v134, off, s[0:3], 0 offset:228
	;; [unrolled: 1-line block ×4, first 2 shown]
	ds_read_b128 v[5:8], v171 offset:1584
	s_waitcnt vmcnt(49) lgkmcnt(1)
	v_mul_f64 v[147:148], v[119:120], v[145:146]
	v_mul_f64 v[145:146], v[121:122], v[145:146]
	s_waitcnt vmcnt(48)
	v_fma_f64 v[153:154], v[1:2], v[163:164], -v[153:154]
	v_add_f64 v[123:124], v[123:124], v[139:140]
	v_fma_f64 v[139:140], v[3:4], v[163:164], v[143:144]
	v_add_f64 v[125:126], v[125:126], v[127:128]
	ds_read_b128 v[1:4], v171 offset:1600
	s_waitcnt vmcnt(47) lgkmcnt(1)
	v_mul_f64 v[143:144], v[7:8], v[167:168]
	v_mul_f64 v[127:128], v[5:6], v[167:168]
	s_waitcnt vmcnt(45)
	v_fma_f64 v[145:146], v[119:120], v[149:150], -v[145:146]
	v_fma_f64 v[147:148], v[121:122], v[149:150], v[147:148]
	ds_read_b128 v[119:122], v171 offset:1616
	v_add_f64 v[123:124], v[123:124], v[153:154]
	v_add_f64 v[125:126], v[125:126], v[139:140]
	s_waitcnt vmcnt(41) lgkmcnt(1)
	v_mul_f64 v[149:150], v[3:4], v[151:152]
	s_waitcnt vmcnt(40)
	v_fma_f64 v[143:144], v[5:6], v[169:170], -v[143:144]
	v_mul_f64 v[139:140], v[1:2], v[151:152]
	v_fma_f64 v[127:128], v[7:8], v[169:170], v[127:128]
	ds_read_b128 v[5:8], v171 offset:1632
	v_add_f64 v[123:124], v[123:124], v[145:146]
	v_add_f64 v[125:126], v[125:126], v[147:148]
	s_waitcnt vmcnt(39) lgkmcnt(1)
	v_mul_f64 v[147:148], v[121:122], v[190:191]
	v_mul_f64 v[145:146], v[119:120], v[190:191]
	s_waitcnt vmcnt(37)
	v_fma_f64 v[149:150], v[1:2], v[157:158], -v[149:150]
	v_fma_f64 v[139:140], v[3:4], v[157:158], v[139:140]
	ds_read_b128 v[1:4], v171 offset:1648
	v_add_f64 v[123:124], v[123:124], v[143:144]
	v_add_f64 v[125:126], v[125:126], v[127:128]
	s_waitcnt vmcnt(33) lgkmcnt(1)
	v_mul_f64 v[143:144], v[7:8], v[159:160]
	s_waitcnt vmcnt(32)
	v_fma_f64 v[147:148], v[119:120], v[194:195], -v[147:148]
	v_mul_f64 v[127:128], v[5:6], v[159:160]
	v_fma_f64 v[145:146], v[121:122], v[194:195], v[145:146]
	ds_read_b128 v[119:122], v171 offset:1664
	v_add_f64 v[123:124], v[123:124], v[149:150]
	v_add_f64 v[125:126], v[125:126], v[139:140]
	;; [unrolled: 18-line block ×3, first 2 shown]
	s_waitcnt vmcnt(23) lgkmcnt(1)
	v_mul_f64 v[143:144], v[7:8], v[192:193]
	v_mul_f64 v[127:128], v[5:6], v[192:193]
	s_waitcnt vmcnt(21)
	v_fma_f64 v[147:148], v[119:120], v[129:130], -v[147:148]
	v_fma_f64 v[129:130], v[121:122], v[129:130], v[145:146]
	ds_read_b128 v[119:122], v171 offset:1712
	v_add_f64 v[123:124], v[123:124], v[149:150]
	v_add_f64 v[125:126], v[125:126], v[139:140]
	s_waitcnt vmcnt(17) lgkmcnt(1)
	v_mul_f64 v[139:140], v[1:2], v[135:136]
	v_mul_f64 v[135:136], v[3:4], v[135:136]
	s_waitcnt vmcnt(16)
	v_fma_f64 v[143:144], v[5:6], v[196:197], -v[143:144]
	v_fma_f64 v[127:128], v[7:8], v[196:197], v[127:128]
	ds_read_b128 v[5:8], v171 offset:1728
	v_add_f64 v[123:124], v[123:124], v[147:148]
	v_add_f64 v[125:126], v[125:126], v[129:130]
	;; [unrolled: 9-line block ×3, first 2 shown]
	s_waitcnt vmcnt(9) lgkmcnt(1)
	v_mul_f64 v[139:140], v[7:8], v[172:173]
	s_waitcnt vmcnt(8)
	v_fma_f64 v[119:120], v[119:120], v[201:202], -v[145:146]
	v_mul_f64 v[127:128], v[5:6], v[172:173]
	v_fma_f64 v[121:122], v[121:122], v[201:202], v[129:130]
	v_add_f64 v[123:124], v[123:124], v[135:136]
	v_add_f64 v[125:126], v[125:126], v[131:132]
	s_waitcnt vmcnt(7) lgkmcnt(0)
	v_mul_f64 v[131:132], v[3:4], v[174:175]
	v_mul_f64 v[129:130], v[1:2], v[174:175]
	s_waitcnt vmcnt(5)
	v_fma_f64 v[5:6], v[5:6], v[137:138], -v[139:140]
	v_fma_f64 v[7:8], v[7:8], v[137:138], v[127:128]
	v_add_f64 v[119:120], v[123:124], v[119:120]
	v_add_f64 v[121:122], v[125:126], v[121:122]
	s_waitcnt vmcnt(4)
	v_fma_f64 v[1:2], v[1:2], v[188:189], -v[131:132]
	v_fma_f64 v[3:4], v[3:4], v[188:189], v[129:130]
	v_add_f64 v[5:6], v[119:120], v[5:6]
	v_add_f64 v[7:8], v[121:122], v[7:8]
	;; [unrolled: 1-line block ×4, first 2 shown]
	s_waitcnt vmcnt(2)
	v_add_f64 v[1:2], v[133:134], -v[1:2]
	s_waitcnt vmcnt(0)
	v_add_f64 v[3:4], v[141:142], -v[3:4]
	buffer_store_dword v2, off, s[0:3], 0 offset:228
	buffer_store_dword v1, off, s[0:3], 0 offset:224
	;; [unrolled: 1-line block ×4, first 2 shown]
	v_cmpx_lt_u32_e32 12, v0
	s_cbranch_execz .LBB118_319
; %bb.318:
	v_mov_b32_e32 v4, s55
	s_clause 0x3
	buffer_load_dword v1, v4, s[0:3], 0 offen
	buffer_load_dword v2, v4, s[0:3], 0 offen offset:4
	buffer_load_dword v3, v4, s[0:3], 0 offen offset:8
	;; [unrolled: 1-line block ×3, first 2 shown]
	buffer_store_dword v171, off, s[0:3], 0 offset:208
	buffer_store_dword v171, off, s[0:3], 0 offset:212
	;; [unrolled: 1-line block ×4, first 2 shown]
	s_waitcnt vmcnt(0)
	ds_write_b128 v179, v[1:4]
.LBB118_319:
	s_or_b32 exec_lo, exec_lo, s4
	s_waitcnt lgkmcnt(0)
	s_waitcnt_vscnt null, 0x0
	s_barrier
	buffer_gl0_inv
	s_clause 0x37
	buffer_load_dword v119, off, s[0:3], 0 offset:232
	buffer_load_dword v120, off, s[0:3], 0 offset:236
	;; [unrolled: 1-line block ×56, first 2 shown]
	ds_read_b128 v[172:175], v171 offset:1088
	s_clause 0x2
	buffer_load_dword v168, off, s[0:3], 0 offset:460
	buffer_load_dword v170, off, s[0:3], 0 offset:436
	;; [unrolled: 1-line block ×3, first 2 shown]
	ds_read_b128 v[180:183], v171 offset:1104
	s_clause 0x4
	buffer_load_dword v189, off, s[0:3], 0 offset:476
	buffer_load_dword v190, off, s[0:3], 0 offset:488
	;; [unrolled: 1-line block ×5, first 2 shown]
	ds_read_b128 v[184:187], v171 offset:1120
	s_clause 0x2
	buffer_load_dword v191, off, s[0:3], 0 offset:492
	buffer_load_dword v196, off, s[0:3], 0 offset:468
	;; [unrolled: 1-line block ×3, first 2 shown]
	s_mov_b32 s4, exec_lo
	s_waitcnt vmcnt(62) lgkmcnt(2)
	v_mul_f64 v[176:177], v[174:175], v[119:120]
	v_mul_f64 v[119:120], v[172:173], v[119:120]
	s_waitcnt lgkmcnt(1)
	v_mul_f64 v[193:194], v[182:183], v[5:6]
	s_waitcnt vmcnt(59) lgkmcnt(0)
	v_mul_f64 v[197:198], v[186:187], v[3:4]
	v_fma_f64 v[172:173], v[172:173], v[7:8], -v[176:177]
	v_mul_f64 v[176:177], v[180:181], v[5:6]
	v_fma_f64 v[119:120], v[174:175], v[7:8], v[119:120]
	s_waitcnt vmcnt(57)
	v_fma_f64 v[180:181], v[180:181], v[1:2], -v[193:194]
	ds_read_b128 v[5:8], v171 offset:1136
	v_mul_f64 v[174:175], v[184:185], v[3:4]
	s_waitcnt vmcnt(51)
	v_fma_f64 v[184:185], v[184:185], v[135:136], -v[197:198]
	v_add_f64 v[172:173], v[172:173], 0
	v_fma_f64 v[176:177], v[182:183], v[1:2], v[176:177]
	v_add_f64 v[119:120], v[119:120], 0
	s_clause 0x4
	buffer_load_dword v183, off, s[0:3], 0 offset:508
	buffer_load_dword v199, off, s[0:3], 0 offset:520
	;; [unrolled: 1-line block ×5, first 2 shown]
	s_waitcnt lgkmcnt(0)
	v_mul_f64 v[202:203], v[5:6], v[123:124]
	v_mul_f64 v[123:124], v[7:8], v[123:124]
	ds_read_b128 v[1:4], v171 offset:1152
	v_fma_f64 v[135:136], v[186:187], v[135:136], v[174:175]
	v_add_f64 v[180:181], v[172:173], v[180:181]
	v_add_f64 v[119:120], v[119:120], v[176:177]
	s_clause 0x2
	buffer_load_dword v200, off, s[0:3], 0 offset:524
	buffer_load_dword v177, off, s[0:3], 0 offset:500
	;; [unrolled: 1-line block ×3, first 2 shown]
	s_waitcnt vmcnt(58) lgkmcnt(0)
	v_mul_f64 v[186:187], v[1:2], v[127:128]
	v_mul_f64 v[127:128], v[3:4], v[127:128]
	s_waitcnt vmcnt(56)
	v_fma_f64 v[123:124], v[5:6], v[129:130], -v[123:124]
	ds_read_b128 v[172:175], v171 offset:1168
	v_fma_f64 v[129:130], v[7:8], v[129:130], v[202:203]
	v_add_f64 v[180:181], v[180:181], v[184:185]
	v_add_f64 v[119:120], v[119:120], v[135:136]
	s_clause 0x4
	buffer_load_dword v136, off, s[0:3], 0 offset:540
	buffer_load_dword v184, off, s[0:3], 0 offset:552
	;; [unrolled: 1-line block ×5, first 2 shown]
	ds_read_b128 v[5:8], v171 offset:1184
	s_waitcnt vmcnt(57) lgkmcnt(1)
	v_mul_f64 v[203:204], v[172:173], v[131:132]
	v_mul_f64 v[131:132], v[174:175], v[131:132]
	s_waitcnt vmcnt(56)
	v_fma_f64 v[127:128], v[1:2], v[121:122], -v[127:128]
	v_fma_f64 v[121:122], v[3:4], v[121:122], v[186:187]
	v_add_f64 v[123:124], v[180:181], v[123:124]
	v_add_f64 v[119:120], v[119:120], v[129:130]
	s_clause 0x2
	buffer_load_dword v185, off, s[0:3], 0 offset:556
	buffer_load_dword v130, off, s[0:3], 0 offset:532
	;; [unrolled: 1-line block ×3, first 2 shown]
	s_waitcnt vmcnt(58) lgkmcnt(0)
	v_mul_f64 v[180:181], v[5:6], v[137:138]
	v_mul_f64 v[137:138], v[7:8], v[137:138]
	s_waitcnt vmcnt(56)
	v_fma_f64 v[131:132], v[172:173], v[139:140], -v[131:132]
	ds_read_b128 v[1:4], v171 offset:1200
	v_add_f64 v[123:124], v[123:124], v[127:128]
	v_fma_f64 v[127:128], v[174:175], v[139:140], v[203:204]
	v_add_f64 v[139:140], v[119:120], v[121:122]
	s_clause 0x4
	buffer_load_dword v173, off, s[0:3], 0 offset:572
	buffer_load_dword v174, off, s[0:3], 0 offset:584
	;; [unrolled: 1-line block ×5, first 2 shown]
	ds_read_b128 v[119:122], v171 offset:1216
	s_waitcnt vmcnt(57) lgkmcnt(1)
	v_mul_f64 v[203:204], v[1:2], v[141:142]
	v_mul_f64 v[141:142], v[3:4], v[141:142]
	s_waitcnt vmcnt(56)
	v_fma_f64 v[137:138], v[5:6], v[125:126], -v[137:138]
	v_fma_f64 v[125:126], v[7:8], v[125:126], v[180:181]
	v_add_f64 v[123:124], v[123:124], v[131:132]
	s_clause 0x2
	buffer_load_dword v175, off, s[0:3], 0 offset:588
	buffer_load_dword v132, off, s[0:3], 0 offset:564
	;; [unrolled: 1-line block ×3, first 2 shown]
	v_add_f64 v[127:128], v[139:140], v[127:128]
	s_waitcnt vmcnt(58) lgkmcnt(0)
	v_mul_f64 v[139:140], v[119:120], v[145:146]
	v_mul_f64 v[145:146], v[121:122], v[145:146]
	ds_read_b128 v[5:8], v171 offset:1232
	s_waitcnt vmcnt(56)
	v_fma_f64 v[141:142], v[1:2], v[147:148], -v[141:142]
	v_add_f64 v[123:124], v[123:124], v[137:138]
	v_fma_f64 v[137:138], v[3:4], v[147:148], v[203:204]
	v_add_f64 v[125:126], v[127:128], v[125:126]
	s_clause 0x4
	buffer_load_dword v128, off, s[0:3], 0 offset:604
	buffer_load_dword v147, off, s[0:3], 0 offset:616
	;; [unrolled: 1-line block ×5, first 2 shown]
	s_waitcnt vmcnt(57) lgkmcnt(0)
	v_mul_f64 v[203:204], v[5:6], v[149:150]
	v_mul_f64 v[149:150], v[7:8], v[149:150]
	s_waitcnt vmcnt(56)
	v_fma_f64 v[145:146], v[119:120], v[133:134], -v[145:146]
	ds_read_b128 v[1:4], v171 offset:1248
	v_fma_f64 v[133:134], v[121:122], v[133:134], v[139:140]
	v_add_f64 v[123:124], v[123:124], v[141:142]
	v_add_f64 v[125:126], v[125:126], v[137:138]
	s_clause 0x2
	buffer_load_dword v148, off, s[0:3], 0 offset:620
	buffer_load_dword v138, off, s[0:3], 0 offset:596
	buffer_load_dword v137, off, s[0:3], 0 offset:592
	ds_read_b128 v[119:122], v171 offset:1264
	s_waitcnt vmcnt(58) lgkmcnt(1)
	v_mul_f64 v[141:142], v[3:4], v[153:154]
	s_waitcnt vmcnt(56)
	v_fma_f64 v[149:150], v[5:6], v[155:156], -v[149:150]
	v_mul_f64 v[139:140], v[1:2], v[153:154]
	v_add_f64 v[123:124], v[123:124], v[145:146]
	v_fma_f64 v[145:146], v[7:8], v[155:156], v[203:204]
	v_add_f64 v[125:126], v[125:126], v[133:134]
	s_clause 0x4
	buffer_load_dword v134, off, s[0:3], 0 offset:636
	buffer_load_dword v153, off, s[0:3], 0 offset:648
	;; [unrolled: 1-line block ×5, first 2 shown]
	s_waitcnt vmcnt(57) lgkmcnt(0)
	v_mul_f64 v[203:204], v[119:120], v[157:158]
	v_mul_f64 v[156:157], v[121:122], v[157:158]
	s_waitcnt vmcnt(56)
	v_fma_f64 v[141:142], v[1:2], v[143:144], -v[141:142]
	ds_read_b128 v[5:8], v171 offset:1280
	v_fma_f64 v[139:140], v[3:4], v[143:144], v[139:140]
	s_clause 0x2
	buffer_load_dword v154, off, s[0:3], 0 offset:652
	buffer_load_dword v144, off, s[0:3], 0 offset:628
	;; [unrolled: 1-line block ×3, first 2 shown]
	ds_read_b128 v[1:4], v171 offset:1296
	v_add_f64 v[123:124], v[123:124], v[149:150]
	v_add_f64 v[125:126], v[125:126], v[145:146]
	s_waitcnt vmcnt(58) lgkmcnt(1)
	v_mul_f64 v[149:150], v[7:8], v[161:162]
	s_waitcnt vmcnt(56)
	v_fma_f64 v[157:158], v[119:120], v[163:164], -v[156:157]
	v_mul_f64 v[145:146], v[5:6], v[161:162]
	v_add_f64 v[123:124], v[123:124], v[141:142]
	v_fma_f64 v[141:142], v[121:122], v[163:164], v[203:204]
	v_add_f64 v[125:126], v[125:126], v[139:140]
	s_clause 0x4
	buffer_load_dword v140, off, s[0:3], 0 offset:668
	buffer_load_dword v161, off, s[0:3], 0 offset:680
	;; [unrolled: 1-line block ×5, first 2 shown]
	s_waitcnt vmcnt(57) lgkmcnt(0)
	v_mul_f64 v[203:204], v[1:2], v[165:166]
	v_mul_f64 v[164:165], v[3:4], v[165:166]
	s_waitcnt vmcnt(56)
	v_fma_f64 v[149:150], v[5:6], v[151:152], -v[149:150]
	ds_read_b128 v[119:122], v171 offset:1312
	v_fma_f64 v[145:146], v[7:8], v[151:152], v[145:146]
	v_add_f64 v[123:124], v[123:124], v[157:158]
	v_add_f64 v[125:126], v[125:126], v[141:142]
	s_clause 0x2
	buffer_load_dword v162, off, s[0:3], 0 offset:684
	buffer_load_dword v142, off, s[0:3], 0 offset:660
	;; [unrolled: 1-line block ×3, first 2 shown]
	ds_read_b128 v[5:8], v171 offset:1328
	s_waitcnt vmcnt(58) lgkmcnt(1)
	v_mul_f64 v[157:158], v[121:122], v[167:168]
	s_waitcnt vmcnt(56)
	v_fma_f64 v[165:166], v[1:2], v[169:170], -v[164:165]
	v_mul_f64 v[151:152], v[119:120], v[167:168]
	v_add_f64 v[123:124], v[123:124], v[149:150]
	v_fma_f64 v[149:150], v[3:4], v[169:170], v[203:204]
	v_add_f64 v[125:126], v[125:126], v[145:146]
	s_clause 0x4
	buffer_load_dword v146, off, s[0:3], 0 offset:700
	buffer_load_dword v167, off, s[0:3], 0 offset:712
	;; [unrolled: 1-line block ×5, first 2 shown]
	s_waitcnt vmcnt(57) lgkmcnt(0)
	v_mul_f64 v[203:204], v[5:6], v[188:189]
	v_mul_f64 v[188:189], v[7:8], v[188:189]
	s_waitcnt vmcnt(56)
	v_fma_f64 v[157:158], v[119:120], v[159:160], -v[157:158]
	ds_read_b128 v[1:4], v171 offset:1344
	v_fma_f64 v[151:152], v[121:122], v[159:160], v[151:152]
	v_add_f64 v[123:124], v[123:124], v[165:166]
	v_add_f64 v[125:126], v[125:126], v[149:150]
	s_clause 0x2
	buffer_load_dword v168, off, s[0:3], 0 offset:716
	buffer_load_dword v150, off, s[0:3], 0 offset:692
	;; [unrolled: 1-line block ×3, first 2 shown]
	ds_read_b128 v[119:122], v171 offset:1360
	s_waitcnt vmcnt(58) lgkmcnt(1)
	v_mul_f64 v[165:166], v[3:4], v[190:191]
	s_waitcnt vmcnt(56)
	v_fma_f64 v[188:189], v[5:6], v[195:196], -v[188:189]
	v_mul_f64 v[159:160], v[1:2], v[190:191]
	v_add_f64 v[123:124], v[123:124], v[157:158]
	v_fma_f64 v[157:158], v[7:8], v[195:196], v[203:204]
	v_add_f64 v[125:126], v[125:126], v[151:152]
	s_clause 0x4
	buffer_load_dword v152, off, s[0:3], 0 offset:732
	buffer_load_dword v190, off, s[0:3], 0 offset:744
	;; [unrolled: 1-line block ×5, first 2 shown]
	ds_read_b128 v[5:8], v171 offset:1376
	s_waitcnt vmcnt(57) lgkmcnt(1)
	v_mul_f64 v[195:196], v[119:120], v[182:183]
	v_mul_f64 v[182:183], v[121:122], v[182:183]
	s_waitcnt vmcnt(56)
	v_fma_f64 v[165:166], v[1:2], v[192:193], -v[165:166]
	v_fma_f64 v[159:160], v[3:4], v[192:193], v[159:160]
	v_add_f64 v[123:124], v[123:124], v[188:189]
	v_add_f64 v[125:126], v[125:126], v[157:158]
	s_clause 0x2
	buffer_load_dword v191, off, s[0:3], 0 offset:748
	buffer_load_dword v158, off, s[0:3], 0 offset:724
	;; [unrolled: 1-line block ×3, first 2 shown]
	ds_read_b128 v[1:4], v171 offset:1392
	s_waitcnt vmcnt(58) lgkmcnt(1)
	v_mul_f64 v[192:193], v[7:8], v[199:200]
	v_mul_f64 v[188:189], v[5:6], v[199:200]
	s_waitcnt vmcnt(56)
	v_fma_f64 v[182:183], v[119:120], v[176:177], -v[182:183]
	v_add_f64 v[123:124], v[123:124], v[165:166]
	v_fma_f64 v[165:166], v[121:122], v[176:177], v[195:196]
	v_add_f64 v[125:126], v[125:126], v[159:160]
	s_clause 0x4
	buffer_load_dword v160, off, s[0:3], 0 offset:764
	buffer_load_dword v176, off, s[0:3], 0 offset:776
	buffer_load_dword v199, off, s[0:3], 0 offset:768
	buffer_load_dword v159, off, s[0:3], 0 offset:760
	buffer_load_dword v195, off, s[0:3], 0 offset:740
	ds_read_b128 v[119:122], v171 offset:1408
	s_waitcnt vmcnt(57) lgkmcnt(1)
	v_mul_f64 v[203:204], v[1:2], v[135:136]
	v_mul_f64 v[135:136], v[3:4], v[135:136]
	s_waitcnt vmcnt(56)
	v_fma_f64 v[192:193], v[5:6], v[201:202], -v[192:193]
	v_add_f64 v[123:124], v[123:124], v[182:183]
	v_fma_f64 v[182:183], v[7:8], v[201:202], v[188:189]
	v_add_f64 v[125:126], v[125:126], v[165:166]
	s_clause 0x2
	buffer_load_dword v177, off, s[0:3], 0 offset:780
	buffer_load_dword v166, off, s[0:3], 0 offset:756
	buffer_load_dword v165, off, s[0:3], 0 offset:752
	ds_read_b128 v[5:8], v171 offset:1424
	s_waitcnt vmcnt(58) lgkmcnt(1)
	v_mul_f64 v[188:189], v[119:120], v[184:185]
	v_mul_f64 v[184:185], v[121:122], v[184:185]
	s_waitcnt vmcnt(56)
	v_fma_f64 v[135:136], v[1:2], v[129:130], -v[135:136]
	v_fma_f64 v[129:130], v[3:4], v[129:130], v[203:204]
	v_add_f64 v[123:124], v[123:124], v[192:193]
	v_add_f64 v[125:126], v[125:126], v[182:183]
	s_clause 0x4
	buffer_load_dword v183, off, s[0:3], 0 offset:796
	buffer_load_dword v192, off, s[0:3], 0 offset:808
	buffer_load_dword v196, off, s[0:3], 0 offset:800
	buffer_load_dword v182, off, s[0:3], 0 offset:792
	buffer_load_dword v200, off, s[0:3], 0 offset:772
	ds_read_b128 v[1:4], v171 offset:1440
	s_waitcnt vmcnt(57) lgkmcnt(1)
	v_mul_f64 v[201:202], v[5:6], v[172:173]
	v_mul_f64 v[172:173], v[7:8], v[172:173]
	s_waitcnt vmcnt(56)
	v_fma_f64 v[184:185], v[119:120], v[197:198], -v[184:185]
	v_add_f64 v[123:124], v[123:124], v[135:136]
	v_fma_f64 v[135:136], v[121:122], v[197:198], v[188:189]
	v_add_f64 v[125:126], v[125:126], v[129:130]
	s_clause 0x2
	buffer_load_dword v193, off, s[0:3], 0 offset:812
	buffer_load_dword v130, off, s[0:3], 0 offset:788
	buffer_load_dword v129, off, s[0:3], 0 offset:784
	ds_read_b128 v[119:122], v171 offset:1456
	s_waitcnt vmcnt(58) lgkmcnt(1)
	v_mul_f64 v[188:189], v[1:2], v[174:175]
	v_mul_f64 v[174:175], v[3:4], v[174:175]
	s_waitcnt vmcnt(56)
	v_fma_f64 v[172:173], v[5:6], v[131:132], -v[172:173]
	v_fma_f64 v[131:132], v[7:8], v[131:132], v[201:202]
	v_add_f64 v[123:124], v[123:124], v[184:185]
	;; [unrolled: 28-line block ×3, first 2 shown]
	v_add_f64 v[125:126], v[125:126], v[172:173]
	s_clause 0x4
	buffer_load_dword v173, off, s[0:3], 0 offset:860
	buffer_load_dword v174, off, s[0:3], 0 offset:872
	buffer_load_dword v188, off, s[0:3], 0 offset:864
	buffer_load_dword v172, off, s[0:3], 0 offset:856
	buffer_load_dword v202, off, s[0:3], 0 offset:836
	ds_read_b128 v[119:122], v171 offset:1504
	s_waitcnt vmcnt(57) lgkmcnt(1)
	v_mul_f64 v[203:204], v[1:2], v[133:134]
	v_mul_f64 v[133:134], v[3:4], v[133:134]
	s_waitcnt vmcnt(56)
	v_fma_f64 v[147:148], v[5:6], v[180:181], -v[147:148]
	v_add_f64 v[123:124], v[123:124], v[127:128]
	v_fma_f64 v[127:128], v[7:8], v[180:181], v[186:187]
	v_add_f64 v[125:126], v[125:126], v[137:138]
	s_clause 0x2
	buffer_load_dword v175, off, s[0:3], 0 offset:876
	buffer_load_dword v138, off, s[0:3], 0 offset:852
	;; [unrolled: 1-line block ×3, first 2 shown]
	s_waitcnt vmcnt(58) lgkmcnt(0)
	v_mul_f64 v[180:181], v[119:120], v[153:154]
	v_mul_f64 v[153:154], v[121:122], v[153:154]
	ds_read_b128 v[5:8], v171 offset:1520
	s_waitcnt vmcnt(56)
	v_fma_f64 v[133:134], v[1:2], v[143:144], -v[133:134]
	v_fma_f64 v[143:144], v[3:4], v[143:144], v[203:204]
	v_add_f64 v[123:124], v[123:124], v[147:148]
	v_add_f64 v[125:126], v[125:126], v[127:128]
	s_clause 0x2
	buffer_load_dword v128, off, s[0:3], 0 offset:892
	buffer_load_dword v127, off, s[0:3], 0 offset:888
	;; [unrolled: 1-line block ×3, first 2 shown]
	ds_read_b128 v[1:4], v171 offset:1536
	s_waitcnt vmcnt(55) lgkmcnt(1)
	v_mul_f64 v[147:148], v[5:6], v[139:140]
	v_mul_f64 v[139:140], v[7:8], v[139:140]
	s_waitcnt vmcnt(54)
	v_fma_f64 v[153:154], v[119:120], v[155:156], -v[153:154]
	v_add_f64 v[123:124], v[123:124], v[133:134]
	v_fma_f64 v[133:134], v[121:122], v[155:156], v[180:181]
	v_add_f64 v[125:126], v[125:126], v[143:144]
	s_clause 0x1
	buffer_load_dword v144, off, s[0:3], 0 offset:884
	buffer_load_dword v143, off, s[0:3], 0 offset:880
	ds_read_b128 v[119:122], v171 offset:1552
	s_waitcnt vmcnt(55) lgkmcnt(1)
	v_mul_f64 v[155:156], v[1:2], v[161:162]
	v_mul_f64 v[161:162], v[3:4], v[161:162]
	s_waitcnt vmcnt(53)
	v_fma_f64 v[139:140], v[5:6], v[141:142], -v[139:140]
	v_fma_f64 v[141:142], v[7:8], v[141:142], v[147:148]
	ds_read_b128 v[5:8], v171 offset:1568
	v_add_f64 v[123:124], v[123:124], v[153:154]
	v_add_f64 v[125:126], v[125:126], v[133:134]
	s_waitcnt vmcnt(49) lgkmcnt(1)
	v_mul_f64 v[133:134], v[119:120], v[145:146]
	v_mul_f64 v[145:146], v[121:122], v[145:146]
	s_waitcnt vmcnt(48)
	v_fma_f64 v[147:148], v[1:2], v[163:164], -v[161:162]
	v_add_f64 v[123:124], v[123:124], v[139:140]
	v_fma_f64 v[139:140], v[3:4], v[163:164], v[155:156]
	v_add_f64 v[125:126], v[125:126], v[141:142]
	s_clause 0x3
	buffer_load_dword v141, off, s[0:3], 0 offset:208
	buffer_load_dword v142, off, s[0:3], 0 offset:212
	buffer_load_dword v153, off, s[0:3], 0 offset:216
	buffer_load_dword v154, off, s[0:3], 0 offset:220
	ds_read_b128 v[1:4], v171 offset:1584
	s_waitcnt vmcnt(51) lgkmcnt(1)
	v_mul_f64 v[161:162], v[7:8], v[167:168]
	v_mul_f64 v[155:156], v[5:6], v[167:168]
	s_waitcnt vmcnt(49)
	v_fma_f64 v[145:146], v[119:120], v[149:150], -v[145:146]
	v_fma_f64 v[133:134], v[121:122], v[149:150], v[133:134]
	ds_read_b128 v[119:122], v171 offset:1600
	v_add_f64 v[123:124], v[123:124], v[147:148]
	v_add_f64 v[125:126], v[125:126], v[139:140]
	s_waitcnt vmcnt(45) lgkmcnt(1)
	v_mul_f64 v[147:148], v[3:4], v[151:152]
	s_waitcnt vmcnt(44)
	v_fma_f64 v[149:150], v[5:6], v[169:170], -v[161:162]
	v_mul_f64 v[139:140], v[1:2], v[151:152]
	v_add_f64 v[123:124], v[123:124], v[145:146]
	v_fma_f64 v[145:146], v[7:8], v[169:170], v[155:156]
	v_add_f64 v[125:126], v[125:126], v[133:134]
	ds_read_b128 v[5:8], v171 offset:1616
	s_waitcnt vmcnt(43) lgkmcnt(1)
	v_mul_f64 v[151:152], v[121:122], v[190:191]
	v_mul_f64 v[133:134], v[119:120], v[190:191]
	s_waitcnt vmcnt(41)
	v_fma_f64 v[147:148], v[1:2], v[157:158], -v[147:148]
	v_fma_f64 v[139:140], v[3:4], v[157:158], v[139:140]
	ds_read_b128 v[1:4], v171 offset:1632
	v_add_f64 v[123:124], v[123:124], v[149:150]
	v_add_f64 v[125:126], v[125:126], v[145:146]
	s_waitcnt vmcnt(37) lgkmcnt(1)
	v_mul_f64 v[149:150], v[7:8], v[159:160]
	s_waitcnt vmcnt(36)
	v_fma_f64 v[151:152], v[119:120], v[194:195], -v[151:152]
	v_mul_f64 v[145:146], v[5:6], v[159:160]
	v_fma_f64 v[133:134], v[121:122], v[194:195], v[133:134]
	ds_read_b128 v[119:122], v171 offset:1648
	v_add_f64 v[123:124], v[123:124], v[147:148]
	v_add_f64 v[125:126], v[125:126], v[139:140]
	s_waitcnt vmcnt(35) lgkmcnt(1)
	v_mul_f64 v[147:148], v[3:4], v[176:177]
	v_mul_f64 v[139:140], v[1:2], v[176:177]
	s_waitcnt vmcnt(33)
	v_fma_f64 v[149:150], v[5:6], v[165:166], -v[149:150]
	v_fma_f64 v[145:146], v[7:8], v[165:166], v[145:146]
	ds_read_b128 v[5:8], v171 offset:1664
	v_add_f64 v[123:124], v[123:124], v[151:152]
	v_add_f64 v[125:126], v[125:126], v[133:134]
	s_waitcnt vmcnt(29) lgkmcnt(1)
	v_mul_f64 v[151:152], v[121:122], v[182:183]
	s_waitcnt vmcnt(28)
	v_fma_f64 v[147:148], v[1:2], v[199:200], -v[147:148]
	v_mul_f64 v[133:134], v[119:120], v[182:183]
	v_fma_f64 v[139:140], v[3:4], v[199:200], v[139:140]
	ds_read_b128 v[1:4], v171 offset:1680
	v_add_f64 v[123:124], v[123:124], v[149:150]
	v_add_f64 v[125:126], v[125:126], v[145:146]
	s_waitcnt vmcnt(27) lgkmcnt(1)
	v_mul_f64 v[149:150], v[7:8], v[192:193]
	v_mul_f64 v[145:146], v[5:6], v[192:193]
	s_waitcnt vmcnt(25)
	v_fma_f64 v[151:152], v[119:120], v[129:130], -v[151:152]
	v_fma_f64 v[129:130], v[121:122], v[129:130], v[133:134]
	ds_read_b128 v[119:122], v171 offset:1696
	v_add_f64 v[123:124], v[123:124], v[147:148]
	v_add_f64 v[125:126], v[125:126], v[139:140]
	s_waitcnt vmcnt(21) lgkmcnt(1)
	v_mul_f64 v[133:134], v[1:2], v[135:136]
	v_mul_f64 v[135:136], v[3:4], v[135:136]
	s_waitcnt vmcnt(20)
	v_fma_f64 v[139:140], v[5:6], v[196:197], -v[149:150]
	;; [unrolled: 9-line block ×3, first 2 shown]
	v_fma_f64 v[131:132], v[3:4], v[131:132], v[133:134]
	ds_read_b128 v[1:4], v171 offset:1728
	v_add_f64 v[123:124], v[123:124], v[139:140]
	v_add_f64 v[125:126], v[125:126], v[145:146]
	s_waitcnt vmcnt(13) lgkmcnt(1)
	v_mul_f64 v[139:140], v[7:8], v[172:173]
	s_waitcnt vmcnt(12)
	v_fma_f64 v[145:146], v[119:120], v[201:202], -v[147:148]
	v_mul_f64 v[133:134], v[5:6], v[172:173]
	v_fma_f64 v[129:130], v[121:122], v[201:202], v[129:130]
	ds_read_b128 v[119:122], v171 offset:1744
	v_add_f64 v[123:124], v[123:124], v[135:136]
	v_add_f64 v[125:126], v[125:126], v[131:132]
	s_waitcnt vmcnt(11) lgkmcnt(1)
	v_mul_f64 v[135:136], v[3:4], v[174:175]
	v_mul_f64 v[131:132], v[1:2], v[174:175]
	s_waitcnt vmcnt(9)
	v_fma_f64 v[5:6], v[5:6], v[137:138], -v[139:140]
	v_fma_f64 v[7:8], v[7:8], v[137:138], v[133:134]
	v_add_f64 v[123:124], v[123:124], v[145:146]
	v_add_f64 v[125:126], v[125:126], v[129:130]
	s_waitcnt vmcnt(7) lgkmcnt(0)
	v_mul_f64 v[129:130], v[119:120], v[127:128]
	v_mul_f64 v[127:128], v[121:122], v[127:128]
	s_waitcnt vmcnt(6)
	v_fma_f64 v[1:2], v[1:2], v[188:189], -v[135:136]
	v_fma_f64 v[3:4], v[3:4], v[188:189], v[131:132]
	v_add_f64 v[5:6], v[123:124], v[5:6]
	v_add_f64 v[7:8], v[125:126], v[7:8]
	s_waitcnt vmcnt(4)
	v_fma_f64 v[119:120], v[119:120], v[143:144], -v[127:128]
	v_add_f64 v[1:2], v[5:6], v[1:2]
	v_fma_f64 v[5:6], v[121:122], v[143:144], v[129:130]
	v_add_f64 v[3:4], v[7:8], v[3:4]
	v_add_f64 v[1:2], v[1:2], v[119:120]
	;; [unrolled: 1-line block ×3, first 2 shown]
	s_waitcnt vmcnt(2)
	v_add_f64 v[1:2], v[141:142], -v[1:2]
	s_waitcnt vmcnt(0)
	v_add_f64 v[3:4], v[153:154], -v[3:4]
	buffer_store_dword v2, off, s[0:3], 0 offset:212
	buffer_store_dword v1, off, s[0:3], 0 offset:208
	;; [unrolled: 1-line block ×4, first 2 shown]
	v_cmpx_lt_u32_e32 11, v0
	s_cbranch_execz .LBB118_321
; %bb.320:
	v_mov_b32_e32 v4, s56
	v_mov_b32_e32 v5, 0
	s_clause 0x3
	buffer_load_dword v1, v4, s[0:3], 0 offen
	buffer_load_dword v2, v4, s[0:3], 0 offen offset:4
	buffer_load_dword v3, v4, s[0:3], 0 offen offset:8
	buffer_load_dword v4, v4, s[0:3], 0 offen offset:12
	buffer_store_dword v5, off, s[0:3], 0 offset:192
	buffer_store_dword v5, off, s[0:3], 0 offset:196
	buffer_store_dword v5, off, s[0:3], 0 offset:200
	buffer_store_dword v5, off, s[0:3], 0 offset:204
	s_waitcnt vmcnt(0)
	ds_write_b128 v179, v[1:4]
.LBB118_321:
	s_or_b32 exec_lo, exec_lo, s4
	s_waitcnt lgkmcnt(0)
	s_waitcnt_vscnt null, 0x0
	s_barrier
	buffer_gl0_inv
	s_clause 0x37
	buffer_load_dword v119, off, s[0:3], 0 offset:216
	buffer_load_dword v120, off, s[0:3], 0 offset:220
	;; [unrolled: 1-line block ×56, first 2 shown]
	v_mov_b32_e32 v171, 0
	s_mov_b32 s4, exec_lo
	ds_read_b128 v[172:175], v171 offset:1072
	s_clause 0x2
	buffer_load_dword v168, off, s[0:3], 0 offset:444
	buffer_load_dword v170, off, s[0:3], 0 offset:420
	;; [unrolled: 1-line block ×3, first 2 shown]
	ds_read_b128 v[180:183], v171 offset:1088
	s_clause 0x4
	buffer_load_dword v189, off, s[0:3], 0 offset:460
	buffer_load_dword v190, off, s[0:3], 0 offset:472
	;; [unrolled: 1-line block ×5, first 2 shown]
	ds_read_b128 v[184:187], v171 offset:1104
	s_clause 0x2
	buffer_load_dword v191, off, s[0:3], 0 offset:476
	buffer_load_dword v196, off, s[0:3], 0 offset:452
	;; [unrolled: 1-line block ×3, first 2 shown]
	s_waitcnt vmcnt(62) lgkmcnt(2)
	v_mul_f64 v[176:177], v[174:175], v[119:120]
	v_mul_f64 v[119:120], v[172:173], v[119:120]
	s_waitcnt lgkmcnt(1)
	v_mul_f64 v[193:194], v[182:183], v[5:6]
	s_waitcnt vmcnt(59) lgkmcnt(0)
	v_mul_f64 v[197:198], v[186:187], v[3:4]
	v_fma_f64 v[172:173], v[172:173], v[7:8], -v[176:177]
	v_mul_f64 v[176:177], v[180:181], v[5:6]
	v_fma_f64 v[119:120], v[174:175], v[7:8], v[119:120]
	s_waitcnt vmcnt(57)
	v_fma_f64 v[180:181], v[180:181], v[1:2], -v[193:194]
	ds_read_b128 v[5:8], v171 offset:1120
	v_mul_f64 v[174:175], v[184:185], v[3:4]
	s_waitcnt vmcnt(51)
	v_fma_f64 v[184:185], v[184:185], v[135:136], -v[197:198]
	v_add_f64 v[172:173], v[172:173], 0
	v_fma_f64 v[176:177], v[182:183], v[1:2], v[176:177]
	v_add_f64 v[119:120], v[119:120], 0
	s_clause 0x4
	buffer_load_dword v183, off, s[0:3], 0 offset:492
	buffer_load_dword v199, off, s[0:3], 0 offset:504
	;; [unrolled: 1-line block ×5, first 2 shown]
	s_waitcnt lgkmcnt(0)
	v_mul_f64 v[202:203], v[5:6], v[123:124]
	v_mul_f64 v[123:124], v[7:8], v[123:124]
	ds_read_b128 v[1:4], v171 offset:1136
	v_fma_f64 v[135:136], v[186:187], v[135:136], v[174:175]
	v_add_f64 v[180:181], v[172:173], v[180:181]
	v_add_f64 v[119:120], v[119:120], v[176:177]
	s_clause 0x2
	buffer_load_dword v200, off, s[0:3], 0 offset:508
	buffer_load_dword v177, off, s[0:3], 0 offset:484
	;; [unrolled: 1-line block ×3, first 2 shown]
	s_waitcnt vmcnt(58) lgkmcnt(0)
	v_mul_f64 v[186:187], v[1:2], v[127:128]
	v_mul_f64 v[127:128], v[3:4], v[127:128]
	s_waitcnt vmcnt(56)
	v_fma_f64 v[123:124], v[5:6], v[129:130], -v[123:124]
	ds_read_b128 v[172:175], v171 offset:1152
	v_fma_f64 v[129:130], v[7:8], v[129:130], v[202:203]
	v_add_f64 v[180:181], v[180:181], v[184:185]
	v_add_f64 v[119:120], v[119:120], v[135:136]
	s_clause 0x4
	buffer_load_dword v136, off, s[0:3], 0 offset:524
	buffer_load_dword v184, off, s[0:3], 0 offset:536
	;; [unrolled: 1-line block ×5, first 2 shown]
	ds_read_b128 v[5:8], v171 offset:1168
	s_waitcnt vmcnt(57) lgkmcnt(1)
	v_mul_f64 v[203:204], v[172:173], v[131:132]
	v_mul_f64 v[131:132], v[174:175], v[131:132]
	s_waitcnt vmcnt(56)
	v_fma_f64 v[127:128], v[1:2], v[121:122], -v[127:128]
	v_fma_f64 v[121:122], v[3:4], v[121:122], v[186:187]
	v_add_f64 v[123:124], v[180:181], v[123:124]
	v_add_f64 v[119:120], v[119:120], v[129:130]
	s_clause 0x2
	buffer_load_dword v185, off, s[0:3], 0 offset:540
	buffer_load_dword v130, off, s[0:3], 0 offset:516
	;; [unrolled: 1-line block ×3, first 2 shown]
	s_waitcnt vmcnt(58) lgkmcnt(0)
	v_mul_f64 v[180:181], v[5:6], v[137:138]
	v_mul_f64 v[137:138], v[7:8], v[137:138]
	s_waitcnt vmcnt(56)
	v_fma_f64 v[131:132], v[172:173], v[139:140], -v[131:132]
	ds_read_b128 v[1:4], v171 offset:1184
	v_add_f64 v[123:124], v[123:124], v[127:128]
	v_fma_f64 v[127:128], v[174:175], v[139:140], v[203:204]
	v_add_f64 v[139:140], v[119:120], v[121:122]
	s_clause 0x4
	buffer_load_dword v173, off, s[0:3], 0 offset:556
	buffer_load_dword v174, off, s[0:3], 0 offset:568
	;; [unrolled: 1-line block ×5, first 2 shown]
	ds_read_b128 v[119:122], v171 offset:1200
	s_waitcnt vmcnt(57) lgkmcnt(1)
	v_mul_f64 v[203:204], v[1:2], v[141:142]
	v_mul_f64 v[141:142], v[3:4], v[141:142]
	s_waitcnt vmcnt(56)
	v_fma_f64 v[137:138], v[5:6], v[125:126], -v[137:138]
	v_fma_f64 v[125:126], v[7:8], v[125:126], v[180:181]
	v_add_f64 v[123:124], v[123:124], v[131:132]
	s_clause 0x2
	buffer_load_dword v175, off, s[0:3], 0 offset:572
	buffer_load_dword v132, off, s[0:3], 0 offset:548
	;; [unrolled: 1-line block ×3, first 2 shown]
	v_add_f64 v[127:128], v[139:140], v[127:128]
	s_waitcnt vmcnt(58) lgkmcnt(0)
	v_mul_f64 v[139:140], v[119:120], v[145:146]
	v_mul_f64 v[145:146], v[121:122], v[145:146]
	ds_read_b128 v[5:8], v171 offset:1216
	s_waitcnt vmcnt(56)
	v_fma_f64 v[141:142], v[1:2], v[147:148], -v[141:142]
	v_add_f64 v[123:124], v[123:124], v[137:138]
	v_fma_f64 v[137:138], v[3:4], v[147:148], v[203:204]
	v_add_f64 v[125:126], v[127:128], v[125:126]
	s_clause 0x4
	buffer_load_dword v128, off, s[0:3], 0 offset:588
	buffer_load_dword v147, off, s[0:3], 0 offset:600
	;; [unrolled: 1-line block ×5, first 2 shown]
	s_waitcnt vmcnt(57) lgkmcnt(0)
	v_mul_f64 v[203:204], v[5:6], v[149:150]
	v_mul_f64 v[149:150], v[7:8], v[149:150]
	s_waitcnt vmcnt(56)
	v_fma_f64 v[145:146], v[119:120], v[133:134], -v[145:146]
	ds_read_b128 v[1:4], v171 offset:1232
	v_fma_f64 v[133:134], v[121:122], v[133:134], v[139:140]
	v_add_f64 v[123:124], v[123:124], v[141:142]
	v_add_f64 v[125:126], v[125:126], v[137:138]
	s_clause 0x2
	buffer_load_dword v148, off, s[0:3], 0 offset:604
	buffer_load_dword v138, off, s[0:3], 0 offset:580
	;; [unrolled: 1-line block ×3, first 2 shown]
	ds_read_b128 v[119:122], v171 offset:1248
	s_waitcnt vmcnt(58) lgkmcnt(1)
	v_mul_f64 v[141:142], v[3:4], v[153:154]
	s_waitcnt vmcnt(56)
	v_fma_f64 v[149:150], v[5:6], v[155:156], -v[149:150]
	v_mul_f64 v[139:140], v[1:2], v[153:154]
	v_add_f64 v[123:124], v[123:124], v[145:146]
	v_fma_f64 v[145:146], v[7:8], v[155:156], v[203:204]
	v_add_f64 v[125:126], v[125:126], v[133:134]
	s_clause 0x4
	buffer_load_dword v134, off, s[0:3], 0 offset:620
	buffer_load_dword v153, off, s[0:3], 0 offset:632
	;; [unrolled: 1-line block ×5, first 2 shown]
	s_waitcnt vmcnt(57) lgkmcnt(0)
	v_mul_f64 v[203:204], v[119:120], v[157:158]
	v_mul_f64 v[156:157], v[121:122], v[157:158]
	s_waitcnt vmcnt(56)
	v_fma_f64 v[141:142], v[1:2], v[143:144], -v[141:142]
	ds_read_b128 v[5:8], v171 offset:1264
	v_fma_f64 v[139:140], v[3:4], v[143:144], v[139:140]
	s_clause 0x2
	buffer_load_dword v154, off, s[0:3], 0 offset:636
	buffer_load_dword v144, off, s[0:3], 0 offset:612
	;; [unrolled: 1-line block ×3, first 2 shown]
	ds_read_b128 v[1:4], v171 offset:1280
	v_add_f64 v[123:124], v[123:124], v[149:150]
	v_add_f64 v[125:126], v[125:126], v[145:146]
	s_waitcnt vmcnt(58) lgkmcnt(1)
	v_mul_f64 v[149:150], v[7:8], v[161:162]
	s_waitcnt vmcnt(56)
	v_fma_f64 v[157:158], v[119:120], v[163:164], -v[156:157]
	v_mul_f64 v[145:146], v[5:6], v[161:162]
	v_add_f64 v[123:124], v[123:124], v[141:142]
	v_fma_f64 v[141:142], v[121:122], v[163:164], v[203:204]
	v_add_f64 v[125:126], v[125:126], v[139:140]
	s_clause 0x4
	buffer_load_dword v140, off, s[0:3], 0 offset:652
	buffer_load_dword v161, off, s[0:3], 0 offset:664
	;; [unrolled: 1-line block ×5, first 2 shown]
	s_waitcnt vmcnt(57) lgkmcnt(0)
	v_mul_f64 v[203:204], v[1:2], v[165:166]
	v_mul_f64 v[164:165], v[3:4], v[165:166]
	s_waitcnt vmcnt(56)
	v_fma_f64 v[149:150], v[5:6], v[151:152], -v[149:150]
	ds_read_b128 v[119:122], v171 offset:1296
	v_fma_f64 v[145:146], v[7:8], v[151:152], v[145:146]
	v_add_f64 v[123:124], v[123:124], v[157:158]
	v_add_f64 v[125:126], v[125:126], v[141:142]
	s_clause 0x2
	buffer_load_dword v162, off, s[0:3], 0 offset:668
	buffer_load_dword v142, off, s[0:3], 0 offset:644
	;; [unrolled: 1-line block ×3, first 2 shown]
	ds_read_b128 v[5:8], v171 offset:1312
	s_waitcnt vmcnt(58) lgkmcnt(1)
	v_mul_f64 v[157:158], v[121:122], v[167:168]
	s_waitcnt vmcnt(56)
	v_fma_f64 v[165:166], v[1:2], v[169:170], -v[164:165]
	v_mul_f64 v[151:152], v[119:120], v[167:168]
	v_add_f64 v[123:124], v[123:124], v[149:150]
	v_fma_f64 v[149:150], v[3:4], v[169:170], v[203:204]
	v_add_f64 v[125:126], v[125:126], v[145:146]
	s_clause 0x4
	buffer_load_dword v146, off, s[0:3], 0 offset:684
	buffer_load_dword v167, off, s[0:3], 0 offset:696
	;; [unrolled: 1-line block ×5, first 2 shown]
	s_waitcnt vmcnt(57) lgkmcnt(0)
	v_mul_f64 v[203:204], v[5:6], v[188:189]
	v_mul_f64 v[188:189], v[7:8], v[188:189]
	s_waitcnt vmcnt(56)
	v_fma_f64 v[157:158], v[119:120], v[159:160], -v[157:158]
	ds_read_b128 v[1:4], v171 offset:1328
	v_fma_f64 v[151:152], v[121:122], v[159:160], v[151:152]
	v_add_f64 v[123:124], v[123:124], v[165:166]
	v_add_f64 v[125:126], v[125:126], v[149:150]
	s_clause 0x2
	buffer_load_dword v168, off, s[0:3], 0 offset:700
	buffer_load_dword v150, off, s[0:3], 0 offset:676
	;; [unrolled: 1-line block ×3, first 2 shown]
	ds_read_b128 v[119:122], v171 offset:1344
	s_waitcnt vmcnt(58) lgkmcnt(1)
	v_mul_f64 v[165:166], v[3:4], v[190:191]
	s_waitcnt vmcnt(56)
	v_fma_f64 v[188:189], v[5:6], v[195:196], -v[188:189]
	v_mul_f64 v[159:160], v[1:2], v[190:191]
	v_add_f64 v[123:124], v[123:124], v[157:158]
	v_fma_f64 v[157:158], v[7:8], v[195:196], v[203:204]
	v_add_f64 v[125:126], v[125:126], v[151:152]
	s_clause 0x4
	buffer_load_dword v152, off, s[0:3], 0 offset:716
	buffer_load_dword v190, off, s[0:3], 0 offset:728
	;; [unrolled: 1-line block ×5, first 2 shown]
	ds_read_b128 v[5:8], v171 offset:1360
	s_waitcnt vmcnt(57) lgkmcnt(1)
	v_mul_f64 v[195:196], v[119:120], v[182:183]
	v_mul_f64 v[182:183], v[121:122], v[182:183]
	s_waitcnt vmcnt(56)
	v_fma_f64 v[165:166], v[1:2], v[192:193], -v[165:166]
	v_fma_f64 v[159:160], v[3:4], v[192:193], v[159:160]
	v_add_f64 v[123:124], v[123:124], v[188:189]
	v_add_f64 v[125:126], v[125:126], v[157:158]
	s_clause 0x2
	buffer_load_dword v191, off, s[0:3], 0 offset:732
	buffer_load_dword v158, off, s[0:3], 0 offset:708
	buffer_load_dword v157, off, s[0:3], 0 offset:704
	ds_read_b128 v[1:4], v171 offset:1376
	s_waitcnt vmcnt(58) lgkmcnt(1)
	v_mul_f64 v[192:193], v[7:8], v[199:200]
	v_mul_f64 v[188:189], v[5:6], v[199:200]
	s_waitcnt vmcnt(56)
	v_fma_f64 v[182:183], v[119:120], v[176:177], -v[182:183]
	v_add_f64 v[123:124], v[123:124], v[165:166]
	v_fma_f64 v[165:166], v[121:122], v[176:177], v[195:196]
	v_add_f64 v[125:126], v[125:126], v[159:160]
	s_clause 0x4
	buffer_load_dword v160, off, s[0:3], 0 offset:748
	buffer_load_dword v176, off, s[0:3], 0 offset:760
	buffer_load_dword v199, off, s[0:3], 0 offset:752
	buffer_load_dword v159, off, s[0:3], 0 offset:744
	buffer_load_dword v195, off, s[0:3], 0 offset:724
	ds_read_b128 v[119:122], v171 offset:1392
	s_waitcnt vmcnt(57) lgkmcnt(1)
	v_mul_f64 v[203:204], v[1:2], v[135:136]
	v_mul_f64 v[135:136], v[3:4], v[135:136]
	s_waitcnt vmcnt(56)
	v_fma_f64 v[192:193], v[5:6], v[201:202], -v[192:193]
	v_add_f64 v[123:124], v[123:124], v[182:183]
	v_fma_f64 v[182:183], v[7:8], v[201:202], v[188:189]
	v_add_f64 v[125:126], v[125:126], v[165:166]
	s_clause 0x2
	buffer_load_dword v177, off, s[0:3], 0 offset:764
	buffer_load_dword v166, off, s[0:3], 0 offset:740
	buffer_load_dword v165, off, s[0:3], 0 offset:736
	ds_read_b128 v[5:8], v171 offset:1408
	s_waitcnt vmcnt(58) lgkmcnt(1)
	v_mul_f64 v[188:189], v[119:120], v[184:185]
	v_mul_f64 v[184:185], v[121:122], v[184:185]
	s_waitcnt vmcnt(56)
	v_fma_f64 v[135:136], v[1:2], v[129:130], -v[135:136]
	v_fma_f64 v[129:130], v[3:4], v[129:130], v[203:204]
	v_add_f64 v[123:124], v[123:124], v[192:193]
	v_add_f64 v[125:126], v[125:126], v[182:183]
	s_clause 0x4
	buffer_load_dword v183, off, s[0:3], 0 offset:780
	buffer_load_dword v192, off, s[0:3], 0 offset:792
	buffer_load_dword v196, off, s[0:3], 0 offset:784
	buffer_load_dword v182, off, s[0:3], 0 offset:776
	buffer_load_dword v200, off, s[0:3], 0 offset:756
	ds_read_b128 v[1:4], v171 offset:1424
	s_waitcnt vmcnt(57) lgkmcnt(1)
	v_mul_f64 v[201:202], v[5:6], v[172:173]
	v_mul_f64 v[172:173], v[7:8], v[172:173]
	s_waitcnt vmcnt(56)
	v_fma_f64 v[184:185], v[119:120], v[197:198], -v[184:185]
	v_add_f64 v[123:124], v[123:124], v[135:136]
	v_fma_f64 v[135:136], v[121:122], v[197:198], v[188:189]
	v_add_f64 v[125:126], v[125:126], v[129:130]
	s_clause 0x2
	buffer_load_dword v193, off, s[0:3], 0 offset:796
	buffer_load_dword v130, off, s[0:3], 0 offset:772
	buffer_load_dword v129, off, s[0:3], 0 offset:768
	ds_read_b128 v[119:122], v171 offset:1440
	s_waitcnt vmcnt(58) lgkmcnt(1)
	v_mul_f64 v[188:189], v[1:2], v[174:175]
	v_mul_f64 v[174:175], v[3:4], v[174:175]
	s_waitcnt vmcnt(56)
	v_fma_f64 v[172:173], v[5:6], v[131:132], -v[172:173]
	v_fma_f64 v[131:132], v[7:8], v[131:132], v[201:202]
	v_add_f64 v[123:124], v[123:124], v[184:185]
	;; [unrolled: 28-line block ×3, first 2 shown]
	v_add_f64 v[125:126], v[125:126], v[172:173]
	s_clause 0x4
	buffer_load_dword v173, off, s[0:3], 0 offset:844
	buffer_load_dword v174, off, s[0:3], 0 offset:856
	;; [unrolled: 1-line block ×5, first 2 shown]
	ds_read_b128 v[119:122], v171 offset:1488
	s_waitcnt vmcnt(57) lgkmcnt(1)
	v_mul_f64 v[203:204], v[1:2], v[133:134]
	v_mul_f64 v[133:134], v[3:4], v[133:134]
	s_waitcnt vmcnt(56)
	v_fma_f64 v[147:148], v[5:6], v[180:181], -v[147:148]
	v_add_f64 v[123:124], v[123:124], v[127:128]
	v_fma_f64 v[127:128], v[7:8], v[180:181], v[186:187]
	v_add_f64 v[125:126], v[125:126], v[137:138]
	s_clause 0x2
	buffer_load_dword v175, off, s[0:3], 0 offset:860
	buffer_load_dword v138, off, s[0:3], 0 offset:836
	;; [unrolled: 1-line block ×3, first 2 shown]
	s_waitcnt vmcnt(58) lgkmcnt(0)
	v_mul_f64 v[180:181], v[119:120], v[153:154]
	v_mul_f64 v[153:154], v[121:122], v[153:154]
	ds_read_b128 v[5:8], v171 offset:1504
	s_waitcnt vmcnt(56)
	v_fma_f64 v[133:134], v[1:2], v[143:144], -v[133:134]
	v_fma_f64 v[143:144], v[3:4], v[143:144], v[203:204]
	v_add_f64 v[123:124], v[123:124], v[147:148]
	v_add_f64 v[125:126], v[125:126], v[127:128]
	s_clause 0x4
	buffer_load_dword v128, off, s[0:3], 0 offset:876
	buffer_load_dword v147, off, s[0:3], 0 offset:888
	;; [unrolled: 1-line block ×5, first 2 shown]
	ds_read_b128 v[1:4], v171 offset:1520
	s_waitcnt vmcnt(57) lgkmcnt(1)
	v_mul_f64 v[203:204], v[5:6], v[139:140]
	v_mul_f64 v[139:140], v[7:8], v[139:140]
	s_waitcnt vmcnt(56)
	v_fma_f64 v[153:154], v[119:120], v[155:156], -v[153:154]
	v_add_f64 v[123:124], v[123:124], v[133:134]
	v_fma_f64 v[133:134], v[121:122], v[155:156], v[180:181]
	v_add_f64 v[125:126], v[125:126], v[143:144]
	s_clause 0x2
	buffer_load_dword v148, off, s[0:3], 0 offset:892
	buffer_load_dword v144, off, s[0:3], 0 offset:868
	buffer_load_dword v143, off, s[0:3], 0 offset:864
	ds_read_b128 v[119:122], v171 offset:1536
	buffer_load_dword v187, off, s[0:3], 0 offset:884
	s_waitcnt vmcnt(59) lgkmcnt(1)
	v_mul_f64 v[155:156], v[1:2], v[161:162]
	v_mul_f64 v[161:162], v[3:4], v[161:162]
	s_waitcnt vmcnt(57)
	v_fma_f64 v[139:140], v[5:6], v[141:142], -v[139:140]
	v_fma_f64 v[141:142], v[7:8], v[141:142], v[203:204]
	ds_read_b128 v[5:8], v171 offset:1552
	v_add_f64 v[123:124], v[123:124], v[153:154]
	v_add_f64 v[125:126], v[125:126], v[133:134]
	s_waitcnt vmcnt(53) lgkmcnt(1)
	v_mul_f64 v[133:134], v[119:120], v[145:146]
	v_mul_f64 v[145:146], v[121:122], v[145:146]
	s_waitcnt vmcnt(52)
	v_fma_f64 v[153:154], v[1:2], v[163:164], -v[161:162]
	v_add_f64 v[123:124], v[123:124], v[139:140]
	v_fma_f64 v[139:140], v[3:4], v[163:164], v[155:156]
	v_add_f64 v[125:126], v[125:126], v[141:142]
	ds_read_b128 v[1:4], v171 offset:1568
	s_waitcnt vmcnt(51) lgkmcnt(1)
	v_mul_f64 v[155:156], v[7:8], v[167:168]
	v_mul_f64 v[141:142], v[5:6], v[167:168]
	s_waitcnt vmcnt(49)
	v_fma_f64 v[145:146], v[119:120], v[149:150], -v[145:146]
	v_fma_f64 v[133:134], v[121:122], v[149:150], v[133:134]
	v_add_f64 v[123:124], v[123:124], v[153:154]
	v_add_f64 v[125:126], v[125:126], v[139:140]
	s_clause 0x3
	buffer_load_dword v139, off, s[0:3], 0 offset:192
	buffer_load_dword v140, off, s[0:3], 0 offset:196
	;; [unrolled: 1-line block ×4, first 2 shown]
	ds_read_b128 v[119:122], v171 offset:1584
	s_waitcnt vmcnt(49) lgkmcnt(1)
	v_mul_f64 v[153:154], v[1:2], v[151:152]
	v_mul_f64 v[151:152], v[3:4], v[151:152]
	s_waitcnt vmcnt(48)
	v_fma_f64 v[155:156], v[5:6], v[169:170], -v[155:156]
	v_fma_f64 v[141:142], v[7:8], v[169:170], v[141:142]
	ds_read_b128 v[5:8], v171 offset:1600
	v_add_f64 v[123:124], v[123:124], v[145:146]
	v_add_f64 v[125:126], v[125:126], v[133:134]
	s_waitcnt vmcnt(47) lgkmcnt(1)
	v_mul_f64 v[145:146], v[121:122], v[190:191]
	v_mul_f64 v[133:134], v[119:120], v[190:191]
	s_waitcnt vmcnt(45)
	v_fma_f64 v[151:152], v[1:2], v[157:158], -v[151:152]
	v_fma_f64 v[153:154], v[3:4], v[157:158], v[153:154]
	ds_read_b128 v[1:4], v171 offset:1616
	v_add_f64 v[123:124], v[123:124], v[155:156]
	v_add_f64 v[125:126], v[125:126], v[141:142]
	s_waitcnt vmcnt(41) lgkmcnt(1)
	v_mul_f64 v[155:156], v[7:8], v[159:160]
	s_waitcnt vmcnt(40)
	v_fma_f64 v[145:146], v[119:120], v[194:195], -v[145:146]
	v_mul_f64 v[141:142], v[5:6], v[159:160]
	v_fma_f64 v[133:134], v[121:122], v[194:195], v[133:134]
	ds_read_b128 v[119:122], v171 offset:1632
	v_add_f64 v[123:124], v[123:124], v[151:152]
	v_add_f64 v[125:126], v[125:126], v[153:154]
	s_waitcnt vmcnt(39) lgkmcnt(1)
	v_mul_f64 v[153:154], v[3:4], v[176:177]
	v_mul_f64 v[151:152], v[1:2], v[176:177]
	s_waitcnt vmcnt(37)
	v_fma_f64 v[155:156], v[5:6], v[165:166], -v[155:156]
	v_fma_f64 v[141:142], v[7:8], v[165:166], v[141:142]
	ds_read_b128 v[5:8], v171 offset:1648
	v_add_f64 v[123:124], v[123:124], v[145:146]
	v_add_f64 v[125:126], v[125:126], v[133:134]
	s_waitcnt vmcnt(33) lgkmcnt(1)
	v_mul_f64 v[145:146], v[121:122], v[182:183]
	s_waitcnt vmcnt(32)
	v_fma_f64 v[153:154], v[1:2], v[199:200], -v[153:154]
	v_mul_f64 v[133:134], v[119:120], v[182:183]
	v_fma_f64 v[151:152], v[3:4], v[199:200], v[151:152]
	ds_read_b128 v[1:4], v171 offset:1664
	v_add_f64 v[123:124], v[123:124], v[155:156]
	v_add_f64 v[125:126], v[125:126], v[141:142]
	s_waitcnt vmcnt(31) lgkmcnt(1)
	v_mul_f64 v[155:156], v[7:8], v[192:193]
	v_mul_f64 v[141:142], v[5:6], v[192:193]
	s_waitcnt vmcnt(29)
	v_fma_f64 v[145:146], v[119:120], v[129:130], -v[145:146]
	v_fma_f64 v[129:130], v[121:122], v[129:130], v[133:134]
	ds_read_b128 v[119:122], v171 offset:1680
	v_add_f64 v[123:124], v[123:124], v[153:154]
	v_add_f64 v[125:126], v[125:126], v[151:152]
	s_waitcnt vmcnt(25) lgkmcnt(1)
	v_mul_f64 v[133:134], v[1:2], v[135:136]
	v_mul_f64 v[135:136], v[3:4], v[135:136]
	s_waitcnt vmcnt(24)
	v_fma_f64 v[151:152], v[5:6], v[196:197], -v[155:156]
	;; [unrolled: 9-line block ×3, first 2 shown]
	v_fma_f64 v[131:132], v[3:4], v[131:132], v[133:134]
	ds_read_b128 v[1:4], v171 offset:1712
	v_add_f64 v[123:124], v[123:124], v[151:152]
	v_add_f64 v[125:126], v[125:126], v[141:142]
	s_waitcnt vmcnt(17) lgkmcnt(1)
	v_mul_f64 v[141:142], v[7:8], v[172:173]
	s_waitcnt vmcnt(16)
	v_fma_f64 v[145:146], v[119:120], v[201:202], -v[145:146]
	v_mul_f64 v[133:134], v[5:6], v[172:173]
	v_fma_f64 v[129:130], v[121:122], v[201:202], v[129:130]
	ds_read_b128 v[119:122], v171 offset:1728
	v_add_f64 v[123:124], v[123:124], v[135:136]
	v_add_f64 v[125:126], v[125:126], v[131:132]
	s_waitcnt vmcnt(15) lgkmcnt(1)
	v_mul_f64 v[135:136], v[3:4], v[174:175]
	v_mul_f64 v[131:132], v[1:2], v[174:175]
	s_waitcnt vmcnt(13)
	v_fma_f64 v[141:142], v[5:6], v[137:138], -v[141:142]
	v_fma_f64 v[133:134], v[7:8], v[137:138], v[133:134]
	ds_read_b128 v[5:8], v171 offset:1744
	v_add_f64 v[123:124], v[123:124], v[145:146]
	v_add_f64 v[125:126], v[125:126], v[129:130]
	s_waitcnt vmcnt(9) lgkmcnt(1)
	v_mul_f64 v[129:130], v[119:120], v[127:128]
	v_mul_f64 v[127:128], v[121:122], v[127:128]
	s_waitcnt vmcnt(8)
	v_fma_f64 v[1:2], v[1:2], v[188:189], -v[135:136]
	v_fma_f64 v[3:4], v[3:4], v[188:189], v[131:132]
	v_add_f64 v[123:124], v[123:124], v[141:142]
	v_add_f64 v[125:126], v[125:126], v[133:134]
	s_waitcnt vmcnt(7) lgkmcnt(0)
	v_mul_f64 v[133:134], v[7:8], v[147:148]
	v_mul_f64 v[131:132], v[5:6], v[147:148]
	s_waitcnt vmcnt(5)
	v_fma_f64 v[119:120], v[119:120], v[143:144], -v[127:128]
	v_fma_f64 v[121:122], v[121:122], v[143:144], v[129:130]
	v_add_f64 v[1:2], v[123:124], v[1:2]
	v_add_f64 v[3:4], v[125:126], v[3:4]
	s_waitcnt vmcnt(4)
	v_fma_f64 v[5:6], v[5:6], v[186:187], -v[133:134]
	v_fma_f64 v[7:8], v[7:8], v[186:187], v[131:132]
	v_add_f64 v[1:2], v[1:2], v[119:120]
	v_add_f64 v[3:4], v[3:4], v[121:122]
	;; [unrolled: 1-line block ×4, first 2 shown]
	s_waitcnt vmcnt(2)
	v_add_f64 v[1:2], v[139:140], -v[1:2]
	s_waitcnt vmcnt(0)
	v_add_f64 v[3:4], v[149:150], -v[3:4]
	buffer_store_dword v2, off, s[0:3], 0 offset:196
	buffer_store_dword v1, off, s[0:3], 0 offset:192
	;; [unrolled: 1-line block ×4, first 2 shown]
	v_cmpx_lt_u32_e32 10, v0
	s_cbranch_execz .LBB118_323
; %bb.322:
	v_mov_b32_e32 v4, s57
	s_clause 0x3
	buffer_load_dword v1, v4, s[0:3], 0 offen
	buffer_load_dword v2, v4, s[0:3], 0 offen offset:4
	buffer_load_dword v3, v4, s[0:3], 0 offen offset:8
	;; [unrolled: 1-line block ×3, first 2 shown]
	buffer_store_dword v171, off, s[0:3], 0 offset:176
	buffer_store_dword v171, off, s[0:3], 0 offset:180
	;; [unrolled: 1-line block ×4, first 2 shown]
	s_waitcnt vmcnt(0)
	ds_write_b128 v179, v[1:4]
.LBB118_323:
	s_or_b32 exec_lo, exec_lo, s4
	s_waitcnt lgkmcnt(0)
	s_waitcnt_vscnt null, 0x0
	s_barrier
	buffer_gl0_inv
	s_clause 0x37
	buffer_load_dword v119, off, s[0:3], 0 offset:200
	buffer_load_dword v120, off, s[0:3], 0 offset:204
	;; [unrolled: 1-line block ×56, first 2 shown]
	ds_read_b128 v[172:175], v171 offset:1056
	s_clause 0x2
	buffer_load_dword v168, off, s[0:3], 0 offset:428
	buffer_load_dword v170, off, s[0:3], 0 offset:404
	;; [unrolled: 1-line block ×3, first 2 shown]
	ds_read_b128 v[180:183], v171 offset:1072
	s_clause 0x4
	buffer_load_dword v189, off, s[0:3], 0 offset:444
	buffer_load_dword v190, off, s[0:3], 0 offset:456
	;; [unrolled: 1-line block ×5, first 2 shown]
	ds_read_b128 v[184:187], v171 offset:1088
	s_clause 0x2
	buffer_load_dword v191, off, s[0:3], 0 offset:460
	buffer_load_dword v196, off, s[0:3], 0 offset:436
	;; [unrolled: 1-line block ×3, first 2 shown]
	s_mov_b32 s4, exec_lo
	s_waitcnt vmcnt(62) lgkmcnt(2)
	v_mul_f64 v[176:177], v[174:175], v[119:120]
	v_mul_f64 v[119:120], v[172:173], v[119:120]
	s_waitcnt lgkmcnt(1)
	v_mul_f64 v[193:194], v[182:183], v[5:6]
	s_waitcnt vmcnt(59) lgkmcnt(0)
	v_mul_f64 v[197:198], v[186:187], v[3:4]
	v_fma_f64 v[172:173], v[172:173], v[7:8], -v[176:177]
	v_mul_f64 v[176:177], v[180:181], v[5:6]
	v_fma_f64 v[119:120], v[174:175], v[7:8], v[119:120]
	s_waitcnt vmcnt(57)
	v_fma_f64 v[180:181], v[180:181], v[1:2], -v[193:194]
	ds_read_b128 v[5:8], v171 offset:1104
	v_mul_f64 v[174:175], v[184:185], v[3:4]
	s_waitcnt vmcnt(51)
	v_fma_f64 v[184:185], v[184:185], v[135:136], -v[197:198]
	v_add_f64 v[172:173], v[172:173], 0
	v_fma_f64 v[176:177], v[182:183], v[1:2], v[176:177]
	v_add_f64 v[119:120], v[119:120], 0
	s_clause 0x4
	buffer_load_dword v183, off, s[0:3], 0 offset:476
	buffer_load_dword v199, off, s[0:3], 0 offset:488
	;; [unrolled: 1-line block ×5, first 2 shown]
	s_waitcnt lgkmcnt(0)
	v_mul_f64 v[202:203], v[5:6], v[123:124]
	v_mul_f64 v[123:124], v[7:8], v[123:124]
	ds_read_b128 v[1:4], v171 offset:1120
	v_fma_f64 v[135:136], v[186:187], v[135:136], v[174:175]
	v_add_f64 v[180:181], v[172:173], v[180:181]
	v_add_f64 v[119:120], v[119:120], v[176:177]
	s_clause 0x2
	buffer_load_dword v200, off, s[0:3], 0 offset:492
	buffer_load_dword v177, off, s[0:3], 0 offset:468
	;; [unrolled: 1-line block ×3, first 2 shown]
	s_waitcnt vmcnt(58) lgkmcnt(0)
	v_mul_f64 v[186:187], v[1:2], v[127:128]
	v_mul_f64 v[127:128], v[3:4], v[127:128]
	s_waitcnt vmcnt(56)
	v_fma_f64 v[123:124], v[5:6], v[129:130], -v[123:124]
	ds_read_b128 v[172:175], v171 offset:1136
	v_fma_f64 v[129:130], v[7:8], v[129:130], v[202:203]
	v_add_f64 v[180:181], v[180:181], v[184:185]
	v_add_f64 v[119:120], v[119:120], v[135:136]
	s_clause 0x4
	buffer_load_dword v136, off, s[0:3], 0 offset:508
	buffer_load_dword v184, off, s[0:3], 0 offset:520
	;; [unrolled: 1-line block ×5, first 2 shown]
	ds_read_b128 v[5:8], v171 offset:1152
	s_waitcnt vmcnt(57) lgkmcnt(1)
	v_mul_f64 v[203:204], v[172:173], v[131:132]
	v_mul_f64 v[131:132], v[174:175], v[131:132]
	s_waitcnt vmcnt(56)
	v_fma_f64 v[127:128], v[1:2], v[121:122], -v[127:128]
	v_fma_f64 v[121:122], v[3:4], v[121:122], v[186:187]
	v_add_f64 v[123:124], v[180:181], v[123:124]
	v_add_f64 v[119:120], v[119:120], v[129:130]
	s_clause 0x2
	buffer_load_dword v185, off, s[0:3], 0 offset:524
	buffer_load_dword v130, off, s[0:3], 0 offset:500
	;; [unrolled: 1-line block ×3, first 2 shown]
	s_waitcnt vmcnt(58) lgkmcnt(0)
	v_mul_f64 v[180:181], v[5:6], v[137:138]
	v_mul_f64 v[137:138], v[7:8], v[137:138]
	s_waitcnt vmcnt(56)
	v_fma_f64 v[131:132], v[172:173], v[139:140], -v[131:132]
	ds_read_b128 v[1:4], v171 offset:1168
	v_add_f64 v[123:124], v[123:124], v[127:128]
	v_fma_f64 v[127:128], v[174:175], v[139:140], v[203:204]
	v_add_f64 v[139:140], v[119:120], v[121:122]
	s_clause 0x4
	buffer_load_dword v173, off, s[0:3], 0 offset:540
	buffer_load_dword v174, off, s[0:3], 0 offset:552
	;; [unrolled: 1-line block ×5, first 2 shown]
	ds_read_b128 v[119:122], v171 offset:1184
	s_waitcnt vmcnt(57) lgkmcnt(1)
	v_mul_f64 v[203:204], v[1:2], v[141:142]
	v_mul_f64 v[141:142], v[3:4], v[141:142]
	s_waitcnt vmcnt(56)
	v_fma_f64 v[137:138], v[5:6], v[125:126], -v[137:138]
	v_fma_f64 v[125:126], v[7:8], v[125:126], v[180:181]
	v_add_f64 v[123:124], v[123:124], v[131:132]
	s_clause 0x2
	buffer_load_dword v175, off, s[0:3], 0 offset:556
	buffer_load_dword v132, off, s[0:3], 0 offset:532
	;; [unrolled: 1-line block ×3, first 2 shown]
	v_add_f64 v[127:128], v[139:140], v[127:128]
	s_waitcnt vmcnt(58) lgkmcnt(0)
	v_mul_f64 v[139:140], v[119:120], v[145:146]
	v_mul_f64 v[145:146], v[121:122], v[145:146]
	ds_read_b128 v[5:8], v171 offset:1200
	s_waitcnt vmcnt(56)
	v_fma_f64 v[141:142], v[1:2], v[147:148], -v[141:142]
	v_add_f64 v[123:124], v[123:124], v[137:138]
	v_fma_f64 v[137:138], v[3:4], v[147:148], v[203:204]
	v_add_f64 v[125:126], v[127:128], v[125:126]
	s_clause 0x4
	buffer_load_dword v128, off, s[0:3], 0 offset:572
	buffer_load_dword v147, off, s[0:3], 0 offset:584
	;; [unrolled: 1-line block ×5, first 2 shown]
	s_waitcnt vmcnt(57) lgkmcnt(0)
	v_mul_f64 v[203:204], v[5:6], v[149:150]
	v_mul_f64 v[149:150], v[7:8], v[149:150]
	s_waitcnt vmcnt(56)
	v_fma_f64 v[145:146], v[119:120], v[133:134], -v[145:146]
	ds_read_b128 v[1:4], v171 offset:1216
	v_fma_f64 v[133:134], v[121:122], v[133:134], v[139:140]
	v_add_f64 v[123:124], v[123:124], v[141:142]
	v_add_f64 v[125:126], v[125:126], v[137:138]
	s_clause 0x2
	buffer_load_dword v148, off, s[0:3], 0 offset:588
	buffer_load_dword v138, off, s[0:3], 0 offset:564
	;; [unrolled: 1-line block ×3, first 2 shown]
	ds_read_b128 v[119:122], v171 offset:1232
	s_waitcnt vmcnt(58) lgkmcnt(1)
	v_mul_f64 v[141:142], v[3:4], v[153:154]
	s_waitcnt vmcnt(56)
	v_fma_f64 v[149:150], v[5:6], v[155:156], -v[149:150]
	v_mul_f64 v[139:140], v[1:2], v[153:154]
	v_add_f64 v[123:124], v[123:124], v[145:146]
	v_fma_f64 v[145:146], v[7:8], v[155:156], v[203:204]
	v_add_f64 v[125:126], v[125:126], v[133:134]
	s_clause 0x4
	buffer_load_dword v134, off, s[0:3], 0 offset:604
	buffer_load_dword v153, off, s[0:3], 0 offset:616
	;; [unrolled: 1-line block ×5, first 2 shown]
	s_waitcnt vmcnt(57) lgkmcnt(0)
	v_mul_f64 v[203:204], v[119:120], v[157:158]
	v_mul_f64 v[156:157], v[121:122], v[157:158]
	s_waitcnt vmcnt(56)
	v_fma_f64 v[141:142], v[1:2], v[143:144], -v[141:142]
	ds_read_b128 v[5:8], v171 offset:1248
	v_fma_f64 v[139:140], v[3:4], v[143:144], v[139:140]
	s_clause 0x2
	buffer_load_dword v154, off, s[0:3], 0 offset:620
	buffer_load_dword v144, off, s[0:3], 0 offset:596
	;; [unrolled: 1-line block ×3, first 2 shown]
	ds_read_b128 v[1:4], v171 offset:1264
	v_add_f64 v[123:124], v[123:124], v[149:150]
	v_add_f64 v[125:126], v[125:126], v[145:146]
	s_waitcnt vmcnt(58) lgkmcnt(1)
	v_mul_f64 v[149:150], v[7:8], v[161:162]
	s_waitcnt vmcnt(56)
	v_fma_f64 v[157:158], v[119:120], v[163:164], -v[156:157]
	v_mul_f64 v[145:146], v[5:6], v[161:162]
	v_add_f64 v[123:124], v[123:124], v[141:142]
	v_fma_f64 v[141:142], v[121:122], v[163:164], v[203:204]
	v_add_f64 v[125:126], v[125:126], v[139:140]
	s_clause 0x4
	buffer_load_dword v140, off, s[0:3], 0 offset:636
	buffer_load_dword v161, off, s[0:3], 0 offset:648
	;; [unrolled: 1-line block ×5, first 2 shown]
	s_waitcnt vmcnt(57) lgkmcnt(0)
	v_mul_f64 v[203:204], v[1:2], v[165:166]
	v_mul_f64 v[164:165], v[3:4], v[165:166]
	s_waitcnt vmcnt(56)
	v_fma_f64 v[149:150], v[5:6], v[151:152], -v[149:150]
	ds_read_b128 v[119:122], v171 offset:1280
	v_fma_f64 v[145:146], v[7:8], v[151:152], v[145:146]
	v_add_f64 v[123:124], v[123:124], v[157:158]
	v_add_f64 v[125:126], v[125:126], v[141:142]
	s_clause 0x2
	buffer_load_dword v162, off, s[0:3], 0 offset:652
	buffer_load_dword v142, off, s[0:3], 0 offset:628
	;; [unrolled: 1-line block ×3, first 2 shown]
	ds_read_b128 v[5:8], v171 offset:1296
	s_waitcnt vmcnt(58) lgkmcnt(1)
	v_mul_f64 v[157:158], v[121:122], v[167:168]
	s_waitcnt vmcnt(56)
	v_fma_f64 v[165:166], v[1:2], v[169:170], -v[164:165]
	v_mul_f64 v[151:152], v[119:120], v[167:168]
	v_add_f64 v[123:124], v[123:124], v[149:150]
	v_fma_f64 v[149:150], v[3:4], v[169:170], v[203:204]
	v_add_f64 v[125:126], v[125:126], v[145:146]
	s_clause 0x4
	buffer_load_dword v146, off, s[0:3], 0 offset:668
	buffer_load_dword v167, off, s[0:3], 0 offset:680
	;; [unrolled: 1-line block ×5, first 2 shown]
	s_waitcnt vmcnt(57) lgkmcnt(0)
	v_mul_f64 v[203:204], v[5:6], v[188:189]
	v_mul_f64 v[188:189], v[7:8], v[188:189]
	s_waitcnt vmcnt(56)
	v_fma_f64 v[157:158], v[119:120], v[159:160], -v[157:158]
	ds_read_b128 v[1:4], v171 offset:1312
	v_fma_f64 v[151:152], v[121:122], v[159:160], v[151:152]
	v_add_f64 v[123:124], v[123:124], v[165:166]
	v_add_f64 v[125:126], v[125:126], v[149:150]
	s_clause 0x2
	buffer_load_dword v168, off, s[0:3], 0 offset:684
	buffer_load_dword v150, off, s[0:3], 0 offset:660
	;; [unrolled: 1-line block ×3, first 2 shown]
	ds_read_b128 v[119:122], v171 offset:1328
	s_waitcnt vmcnt(58) lgkmcnt(1)
	v_mul_f64 v[165:166], v[3:4], v[190:191]
	s_waitcnt vmcnt(56)
	v_fma_f64 v[188:189], v[5:6], v[195:196], -v[188:189]
	v_mul_f64 v[159:160], v[1:2], v[190:191]
	v_add_f64 v[123:124], v[123:124], v[157:158]
	v_fma_f64 v[157:158], v[7:8], v[195:196], v[203:204]
	v_add_f64 v[125:126], v[125:126], v[151:152]
	s_clause 0x4
	buffer_load_dword v152, off, s[0:3], 0 offset:700
	buffer_load_dword v190, off, s[0:3], 0 offset:712
	;; [unrolled: 1-line block ×5, first 2 shown]
	ds_read_b128 v[5:8], v171 offset:1344
	s_waitcnt vmcnt(57) lgkmcnt(1)
	v_mul_f64 v[195:196], v[119:120], v[182:183]
	v_mul_f64 v[182:183], v[121:122], v[182:183]
	s_waitcnt vmcnt(56)
	v_fma_f64 v[165:166], v[1:2], v[192:193], -v[165:166]
	v_fma_f64 v[159:160], v[3:4], v[192:193], v[159:160]
	v_add_f64 v[123:124], v[123:124], v[188:189]
	v_add_f64 v[125:126], v[125:126], v[157:158]
	s_clause 0x2
	buffer_load_dword v191, off, s[0:3], 0 offset:716
	buffer_load_dword v158, off, s[0:3], 0 offset:692
	;; [unrolled: 1-line block ×3, first 2 shown]
	ds_read_b128 v[1:4], v171 offset:1360
	s_waitcnt vmcnt(58) lgkmcnt(1)
	v_mul_f64 v[192:193], v[7:8], v[199:200]
	v_mul_f64 v[188:189], v[5:6], v[199:200]
	s_waitcnt vmcnt(56)
	v_fma_f64 v[182:183], v[119:120], v[176:177], -v[182:183]
	v_add_f64 v[123:124], v[123:124], v[165:166]
	v_fma_f64 v[165:166], v[121:122], v[176:177], v[195:196]
	v_add_f64 v[125:126], v[125:126], v[159:160]
	s_clause 0x4
	buffer_load_dword v160, off, s[0:3], 0 offset:732
	buffer_load_dword v176, off, s[0:3], 0 offset:744
	buffer_load_dword v199, off, s[0:3], 0 offset:736
	buffer_load_dword v159, off, s[0:3], 0 offset:728
	buffer_load_dword v195, off, s[0:3], 0 offset:708
	ds_read_b128 v[119:122], v171 offset:1376
	s_waitcnt vmcnt(57) lgkmcnt(1)
	v_mul_f64 v[203:204], v[1:2], v[135:136]
	v_mul_f64 v[135:136], v[3:4], v[135:136]
	s_waitcnt vmcnt(56)
	v_fma_f64 v[192:193], v[5:6], v[201:202], -v[192:193]
	v_add_f64 v[123:124], v[123:124], v[182:183]
	v_fma_f64 v[182:183], v[7:8], v[201:202], v[188:189]
	v_add_f64 v[125:126], v[125:126], v[165:166]
	s_clause 0x2
	buffer_load_dword v177, off, s[0:3], 0 offset:748
	buffer_load_dword v166, off, s[0:3], 0 offset:724
	buffer_load_dword v165, off, s[0:3], 0 offset:720
	ds_read_b128 v[5:8], v171 offset:1392
	s_waitcnt vmcnt(58) lgkmcnt(1)
	v_mul_f64 v[188:189], v[119:120], v[184:185]
	v_mul_f64 v[184:185], v[121:122], v[184:185]
	s_waitcnt vmcnt(56)
	v_fma_f64 v[135:136], v[1:2], v[129:130], -v[135:136]
	v_fma_f64 v[129:130], v[3:4], v[129:130], v[203:204]
	v_add_f64 v[123:124], v[123:124], v[192:193]
	v_add_f64 v[125:126], v[125:126], v[182:183]
	s_clause 0x4
	buffer_load_dword v183, off, s[0:3], 0 offset:764
	buffer_load_dword v192, off, s[0:3], 0 offset:776
	buffer_load_dword v196, off, s[0:3], 0 offset:768
	buffer_load_dword v182, off, s[0:3], 0 offset:760
	buffer_load_dword v200, off, s[0:3], 0 offset:740
	ds_read_b128 v[1:4], v171 offset:1408
	s_waitcnt vmcnt(57) lgkmcnt(1)
	v_mul_f64 v[201:202], v[5:6], v[172:173]
	v_mul_f64 v[172:173], v[7:8], v[172:173]
	s_waitcnt vmcnt(56)
	v_fma_f64 v[184:185], v[119:120], v[197:198], -v[184:185]
	v_add_f64 v[123:124], v[123:124], v[135:136]
	v_fma_f64 v[135:136], v[121:122], v[197:198], v[188:189]
	v_add_f64 v[125:126], v[125:126], v[129:130]
	s_clause 0x2
	buffer_load_dword v193, off, s[0:3], 0 offset:780
	buffer_load_dword v130, off, s[0:3], 0 offset:756
	buffer_load_dword v129, off, s[0:3], 0 offset:752
	ds_read_b128 v[119:122], v171 offset:1424
	s_waitcnt vmcnt(58) lgkmcnt(1)
	v_mul_f64 v[188:189], v[1:2], v[174:175]
	v_mul_f64 v[174:175], v[3:4], v[174:175]
	s_waitcnt vmcnt(56)
	v_fma_f64 v[172:173], v[5:6], v[131:132], -v[172:173]
	v_fma_f64 v[131:132], v[7:8], v[131:132], v[201:202]
	v_add_f64 v[123:124], v[123:124], v[184:185]
	;; [unrolled: 28-line block ×3, first 2 shown]
	v_add_f64 v[125:126], v[125:126], v[172:173]
	s_clause 0x4
	buffer_load_dword v173, off, s[0:3], 0 offset:828
	buffer_load_dword v174, off, s[0:3], 0 offset:840
	;; [unrolled: 1-line block ×5, first 2 shown]
	ds_read_b128 v[119:122], v171 offset:1472
	s_waitcnt vmcnt(57) lgkmcnt(1)
	v_mul_f64 v[203:204], v[1:2], v[133:134]
	v_mul_f64 v[133:134], v[3:4], v[133:134]
	s_waitcnt vmcnt(56)
	v_fma_f64 v[147:148], v[5:6], v[180:181], -v[147:148]
	v_add_f64 v[123:124], v[123:124], v[127:128]
	v_fma_f64 v[127:128], v[7:8], v[180:181], v[186:187]
	v_add_f64 v[125:126], v[125:126], v[137:138]
	s_clause 0x2
	buffer_load_dword v175, off, s[0:3], 0 offset:844
	buffer_load_dword v138, off, s[0:3], 0 offset:820
	;; [unrolled: 1-line block ×3, first 2 shown]
	s_waitcnt vmcnt(58) lgkmcnt(0)
	v_mul_f64 v[180:181], v[119:120], v[153:154]
	v_mul_f64 v[153:154], v[121:122], v[153:154]
	ds_read_b128 v[5:8], v171 offset:1488
	s_waitcnt vmcnt(56)
	v_fma_f64 v[133:134], v[1:2], v[143:144], -v[133:134]
	v_fma_f64 v[143:144], v[3:4], v[143:144], v[203:204]
	v_add_f64 v[123:124], v[123:124], v[147:148]
	v_add_f64 v[125:126], v[125:126], v[127:128]
	s_clause 0x4
	buffer_load_dword v128, off, s[0:3], 0 offset:860
	buffer_load_dword v147, off, s[0:3], 0 offset:872
	;; [unrolled: 1-line block ×5, first 2 shown]
	ds_read_b128 v[1:4], v171 offset:1504
	s_waitcnt vmcnt(57) lgkmcnt(1)
	v_mul_f64 v[203:204], v[5:6], v[139:140]
	v_mul_f64 v[139:140], v[7:8], v[139:140]
	s_waitcnt vmcnt(56)
	v_fma_f64 v[153:154], v[119:120], v[155:156], -v[153:154]
	v_add_f64 v[123:124], v[123:124], v[133:134]
	v_fma_f64 v[133:134], v[121:122], v[155:156], v[180:181]
	v_add_f64 v[125:126], v[125:126], v[143:144]
	s_clause 0x2
	buffer_load_dword v148, off, s[0:3], 0 offset:876
	buffer_load_dword v144, off, s[0:3], 0 offset:852
	;; [unrolled: 1-line block ×3, first 2 shown]
	ds_read_b128 v[119:122], v171 offset:1520
	s_waitcnt vmcnt(58) lgkmcnt(1)
	v_mul_f64 v[155:156], v[1:2], v[161:162]
	v_mul_f64 v[161:162], v[3:4], v[161:162]
	s_waitcnt vmcnt(56)
	v_fma_f64 v[139:140], v[5:6], v[141:142], -v[139:140]
	v_fma_f64 v[141:142], v[7:8], v[141:142], v[203:204]
	v_add_f64 v[123:124], v[123:124], v[153:154]
	v_add_f64 v[125:126], v[125:126], v[133:134]
	s_clause 0x2
	buffer_load_dword v134, off, s[0:3], 0 offset:892
	buffer_load_dword v133, off, s[0:3], 0 offset:888
	buffer_load_dword v187, off, s[0:3], 0 offset:868
	ds_read_b128 v[5:8], v171 offset:1536
	s_waitcnt vmcnt(55) lgkmcnt(1)
	v_mul_f64 v[153:154], v[119:120], v[145:146]
	v_mul_f64 v[145:146], v[121:122], v[145:146]
	s_waitcnt vmcnt(54)
	v_fma_f64 v[161:162], v[1:2], v[163:164], -v[161:162]
	v_add_f64 v[123:124], v[123:124], v[139:140]
	v_fma_f64 v[139:140], v[3:4], v[163:164], v[155:156]
	v_add_f64 v[125:126], v[125:126], v[141:142]
	s_clause 0x1
	buffer_load_dword v142, off, s[0:3], 0 offset:884
	buffer_load_dword v141, off, s[0:3], 0 offset:880
	ds_read_b128 v[1:4], v171 offset:1552
	s_waitcnt vmcnt(55) lgkmcnt(1)
	v_mul_f64 v[163:164], v[7:8], v[167:168]
	v_mul_f64 v[155:156], v[5:6], v[167:168]
	s_waitcnt vmcnt(53)
	v_fma_f64 v[145:146], v[119:120], v[149:150], -v[145:146]
	v_fma_f64 v[149:150], v[121:122], v[149:150], v[153:154]
	ds_read_b128 v[119:122], v171 offset:1568
	v_add_f64 v[123:124], v[123:124], v[161:162]
	v_add_f64 v[125:126], v[125:126], v[139:140]
	s_waitcnt vmcnt(49) lgkmcnt(1)
	v_mul_f64 v[139:140], v[1:2], v[151:152]
	v_mul_f64 v[151:152], v[3:4], v[151:152]
	s_waitcnt vmcnt(48)
	v_fma_f64 v[153:154], v[5:6], v[169:170], -v[163:164]
	v_add_f64 v[123:124], v[123:124], v[145:146]
	v_fma_f64 v[145:146], v[7:8], v[169:170], v[155:156]
	v_add_f64 v[125:126], v[125:126], v[149:150]
	s_clause 0x3
	buffer_load_dword v149, off, s[0:3], 0 offset:176
	buffer_load_dword v150, off, s[0:3], 0 offset:180
	;; [unrolled: 1-line block ×4, first 2 shown]
	ds_read_b128 v[5:8], v171 offset:1584
	s_waitcnt vmcnt(51) lgkmcnt(1)
	v_mul_f64 v[163:164], v[121:122], v[190:191]
	v_mul_f64 v[161:162], v[119:120], v[190:191]
	s_waitcnt vmcnt(49)
	v_fma_f64 v[151:152], v[1:2], v[157:158], -v[151:152]
	v_fma_f64 v[139:140], v[3:4], v[157:158], v[139:140]
	ds_read_b128 v[1:4], v171 offset:1600
	v_add_f64 v[123:124], v[123:124], v[153:154]
	v_add_f64 v[125:126], v[125:126], v[145:146]
	s_waitcnt vmcnt(45) lgkmcnt(1)
	v_mul_f64 v[153:154], v[7:8], v[159:160]
	s_waitcnt vmcnt(44)
	v_fma_f64 v[157:158], v[119:120], v[194:195], -v[163:164]
	v_mul_f64 v[145:146], v[5:6], v[159:160]
	v_add_f64 v[123:124], v[123:124], v[151:152]
	v_fma_f64 v[151:152], v[121:122], v[194:195], v[161:162]
	v_add_f64 v[125:126], v[125:126], v[139:140]
	ds_read_b128 v[119:122], v171 offset:1616
	s_waitcnt vmcnt(43) lgkmcnt(1)
	v_mul_f64 v[159:160], v[3:4], v[176:177]
	v_mul_f64 v[139:140], v[1:2], v[176:177]
	s_waitcnt vmcnt(41)
	v_fma_f64 v[153:154], v[5:6], v[165:166], -v[153:154]
	v_fma_f64 v[145:146], v[7:8], v[165:166], v[145:146]
	ds_read_b128 v[5:8], v171 offset:1632
	v_add_f64 v[123:124], v[123:124], v[157:158]
	v_add_f64 v[125:126], v[125:126], v[151:152]
	s_waitcnt vmcnt(37) lgkmcnt(1)
	v_mul_f64 v[157:158], v[121:122], v[182:183]
	s_waitcnt vmcnt(36)
	v_fma_f64 v[159:160], v[1:2], v[199:200], -v[159:160]
	v_mul_f64 v[151:152], v[119:120], v[182:183]
	v_fma_f64 v[139:140], v[3:4], v[199:200], v[139:140]
	ds_read_b128 v[1:4], v171 offset:1648
	v_add_f64 v[123:124], v[123:124], v[153:154]
	v_add_f64 v[125:126], v[125:126], v[145:146]
	s_waitcnt vmcnt(35) lgkmcnt(1)
	v_mul_f64 v[153:154], v[7:8], v[192:193]
	v_mul_f64 v[145:146], v[5:6], v[192:193]
	s_waitcnt vmcnt(33)
	v_fma_f64 v[157:158], v[119:120], v[129:130], -v[157:158]
	v_fma_f64 v[129:130], v[121:122], v[129:130], v[151:152]
	ds_read_b128 v[119:122], v171 offset:1664
	v_add_f64 v[123:124], v[123:124], v[159:160]
	v_add_f64 v[125:126], v[125:126], v[139:140]
	s_waitcnt vmcnt(29) lgkmcnt(1)
	v_mul_f64 v[139:140], v[1:2], v[135:136]
	v_mul_f64 v[135:136], v[3:4], v[135:136]
	s_waitcnt vmcnt(28)
	v_fma_f64 v[151:152], v[5:6], v[196:197], -v[153:154]
	;; [unrolled: 9-line block ×3, first 2 shown]
	v_fma_f64 v[131:132], v[3:4], v[131:132], v[139:140]
	ds_read_b128 v[1:4], v171 offset:1696
	v_add_f64 v[123:124], v[123:124], v[151:152]
	v_add_f64 v[125:126], v[125:126], v[145:146]
	s_waitcnt vmcnt(21) lgkmcnt(1)
	v_mul_f64 v[145:146], v[7:8], v[172:173]
	s_waitcnt vmcnt(20)
	v_fma_f64 v[151:152], v[119:120], v[201:202], -v[153:154]
	v_mul_f64 v[139:140], v[5:6], v[172:173]
	v_fma_f64 v[129:130], v[121:122], v[201:202], v[129:130]
	ds_read_b128 v[119:122], v171 offset:1712
	v_add_f64 v[123:124], v[123:124], v[135:136]
	v_add_f64 v[125:126], v[125:126], v[131:132]
	s_waitcnt vmcnt(19) lgkmcnt(1)
	v_mul_f64 v[135:136], v[3:4], v[174:175]
	v_mul_f64 v[131:132], v[1:2], v[174:175]
	s_waitcnt vmcnt(17)
	v_fma_f64 v[145:146], v[5:6], v[137:138], -v[145:146]
	v_fma_f64 v[137:138], v[7:8], v[137:138], v[139:140]
	ds_read_b128 v[5:8], v171 offset:1728
	v_add_f64 v[123:124], v[123:124], v[151:152]
	v_add_f64 v[125:126], v[125:126], v[129:130]
	s_waitcnt vmcnt(13) lgkmcnt(1)
	v_mul_f64 v[129:130], v[119:120], v[127:128]
	v_mul_f64 v[127:128], v[121:122], v[127:128]
	s_waitcnt vmcnt(12)
	v_fma_f64 v[135:136], v[1:2], v[188:189], -v[135:136]
	;; [unrolled: 9-line block ×3, first 2 shown]
	v_fma_f64 v[121:122], v[121:122], v[143:144], v[129:130]
	v_add_f64 v[123:124], v[123:124], v[135:136]
	v_add_f64 v[125:126], v[125:126], v[131:132]
	s_waitcnt vmcnt(7) lgkmcnt(0)
	v_mul_f64 v[129:130], v[3:4], v[133:134]
	s_waitcnt vmcnt(6)
	v_fma_f64 v[5:6], v[5:6], v[186:187], -v[139:140]
	v_mul_f64 v[127:128], v[1:2], v[133:134]
	v_fma_f64 v[7:8], v[7:8], v[186:187], v[137:138]
	v_add_f64 v[119:120], v[123:124], v[119:120]
	v_add_f64 v[121:122], v[125:126], v[121:122]
	s_waitcnt vmcnt(4)
	v_fma_f64 v[1:2], v[1:2], v[141:142], -v[129:130]
	v_fma_f64 v[3:4], v[3:4], v[141:142], v[127:128]
	v_add_f64 v[5:6], v[119:120], v[5:6]
	v_add_f64 v[7:8], v[121:122], v[7:8]
	;; [unrolled: 1-line block ×4, first 2 shown]
	s_waitcnt vmcnt(2)
	v_add_f64 v[1:2], v[149:150], -v[1:2]
	s_waitcnt vmcnt(0)
	v_add_f64 v[3:4], v[155:156], -v[3:4]
	buffer_store_dword v2, off, s[0:3], 0 offset:180
	buffer_store_dword v1, off, s[0:3], 0 offset:176
	;; [unrolled: 1-line block ×4, first 2 shown]
	v_cmpx_lt_u32_e32 9, v0
	s_cbranch_execz .LBB118_325
; %bb.324:
	v_mov_b32_e32 v4, s58
	v_mov_b32_e32 v5, 0
	s_clause 0x3
	buffer_load_dword v1, v4, s[0:3], 0 offen
	buffer_load_dword v2, v4, s[0:3], 0 offen offset:4
	buffer_load_dword v3, v4, s[0:3], 0 offen offset:8
	buffer_load_dword v4, v4, s[0:3], 0 offen offset:12
	buffer_store_dword v5, off, s[0:3], 0 offset:160
	buffer_store_dword v5, off, s[0:3], 0 offset:164
	;; [unrolled: 1-line block ×4, first 2 shown]
	s_waitcnt vmcnt(0)
	ds_write_b128 v179, v[1:4]
.LBB118_325:
	s_or_b32 exec_lo, exec_lo, s4
	s_waitcnt lgkmcnt(0)
	s_waitcnt_vscnt null, 0x0
	s_barrier
	buffer_gl0_inv
	s_clause 0x37
	buffer_load_dword v123, off, s[0:3], 0 offset:184
	buffer_load_dword v124, off, s[0:3], 0 offset:188
	;; [unrolled: 1-line block ×56, first 2 shown]
	v_mov_b32_e32 v180, 0
	s_mov_b32 s4, exec_lo
	ds_read_b128 v[175:178], v180 offset:1040
	s_clause 0x2
	buffer_load_dword v172, off, s[0:3], 0 offset:412
	buffer_load_dword v174, off, s[0:3], 0 offset:388
	;; [unrolled: 1-line block ×3, first 2 shown]
	ds_read_b128 v[1:4], v180 offset:1056
	s_clause 0x4
	buffer_load_dword v188, off, s[0:3], 0 offset:428
	buffer_load_dword v189, off, s[0:3], 0 offset:440
	;; [unrolled: 1-line block ×5, first 2 shown]
	ds_read_b128 v[181:184], v180 offset:1072
	s_waitcnt vmcnt(62) lgkmcnt(2)
	v_mul_f64 v[185:186], v[177:178], v[123:124]
	v_mul_f64 v[123:124], v[175:176], v[123:124]
	s_waitcnt vmcnt(60) lgkmcnt(1)
	v_mul_f64 v[192:193], v[3:4], v[119:120]
	s_waitcnt vmcnt(56) lgkmcnt(0)
	v_mul_f64 v[194:195], v[181:182], v[7:8]
	v_mul_f64 v[7:8], v[183:184], v[7:8]
	v_fma_f64 v[175:176], v[175:176], v[121:122], -v[185:186]
	v_mul_f64 v[185:186], v[1:2], v[119:120]
	v_fma_f64 v[123:124], v[177:178], v[121:122], v[123:124]
	s_clause 0x2
	buffer_load_dword v190, off, s[0:3], 0 offset:444
	buffer_load_dword v178, off, s[0:3], 0 offset:420
	;; [unrolled: 1-line block ×3, first 2 shown]
	s_waitcnt vmcnt(57)
	v_fma_f64 v[196:197], v[1:2], v[5:6], -v[192:193]
	ds_read_b128 v[119:122], v180 offset:1088
	s_waitcnt vmcnt(51)
	v_fma_f64 v[181:182], v[181:182], v[139:140], -v[7:8]
	v_fma_f64 v[139:140], v[183:184], v[139:140], v[194:195]
	v_add_f64 v[175:176], v[175:176], 0
	v_fma_f64 v[5:6], v[3:4], v[5:6], v[185:186]
	v_add_f64 v[123:124], v[123:124], 0
	s_clause 0x4
	buffer_load_dword v186, off, s[0:3], 0 offset:460
	buffer_load_dword v193, off, s[0:3], 0 offset:472
	;; [unrolled: 1-line block ×5, first 2 shown]
	s_waitcnt lgkmcnt(0)
	v_mul_f64 v[199:200], v[119:120], v[127:128]
	v_mul_f64 v[127:128], v[121:122], v[127:128]
	ds_read_b128 v[1:4], v180 offset:1104
	s_clause 0x2
	buffer_load_dword v194, off, s[0:3], 0 offset:476
	buffer_load_dword v184, off, s[0:3], 0 offset:452
	buffer_load_dword v183, off, s[0:3], 0 offset:448
	v_add_f64 v[175:176], v[175:176], v[196:197]
	v_add_f64 v[123:124], v[123:124], v[5:6]
	ds_read_b128 v[5:8], v180 offset:1120
	s_waitcnt vmcnt(58) lgkmcnt(1)
	v_mul_f64 v[195:196], v[1:2], v[131:132]
	v_mul_f64 v[131:132], v[3:4], v[131:132]
	s_waitcnt vmcnt(56)
	v_fma_f64 v[127:128], v[119:120], v[133:134], -v[127:128]
	v_fma_f64 v[133:134], v[121:122], v[133:134], v[199:200]
	v_add_f64 v[175:176], v[175:176], v[181:182]
	s_waitcnt vmcnt(52) lgkmcnt(0)
	v_mul_f64 v[201:202], v[5:6], v[135:136]
	v_add_f64 v[123:124], v[123:124], v[139:140]
	s_clause 0x4
	buffer_load_dword v140, off, s[0:3], 0 offset:492
	buffer_load_dword v181, off, s[0:3], 0 offset:504
	;; [unrolled: 1-line block ×5, first 2 shown]
	v_mul_f64 v[135:136], v[7:8], v[135:136]
	s_waitcnt vmcnt(56)
	v_fma_f64 v[131:132], v[1:2], v[125:126], -v[131:132]
	ds_read_b128 v[119:122], v180 offset:1136
	v_fma_f64 v[125:126], v[3:4], v[125:126], v[195:196]
	v_add_f64 v[127:128], v[175:176], v[127:128]
	v_add_f64 v[123:124], v[123:124], v[133:134]
	s_clause 0x2
	buffer_load_dword v182, off, s[0:3], 0 offset:508
	buffer_load_dword v134, off, s[0:3], 0 offset:484
	;; [unrolled: 1-line block ×3, first 2 shown]
	s_waitcnt vmcnt(58) lgkmcnt(0)
	v_mul_f64 v[175:176], v[119:120], v[141:142]
	v_mul_f64 v[141:142], v[121:122], v[141:142]
	s_waitcnt vmcnt(56)
	v_fma_f64 v[135:136], v[5:6], v[143:144], -v[135:136]
	ds_read_b128 v[1:4], v180 offset:1152
	v_add_f64 v[127:128], v[127:128], v[131:132]
	v_fma_f64 v[131:132], v[7:8], v[143:144], v[201:202]
	v_add_f64 v[123:124], v[123:124], v[125:126]
	s_clause 0x4
	buffer_load_dword v126, off, s[0:3], 0 offset:524
	buffer_load_dword v143, off, s[0:3], 0 offset:536
	;; [unrolled: 1-line block ×5, first 2 shown]
	ds_read_b128 v[5:8], v180 offset:1168
	s_waitcnt vmcnt(57) lgkmcnt(1)
	v_mul_f64 v[196:197], v[1:2], v[145:146]
	v_mul_f64 v[145:146], v[3:4], v[145:146]
	s_waitcnt vmcnt(56)
	v_fma_f64 v[141:142], v[119:120], v[129:130], -v[141:142]
	v_fma_f64 v[129:130], v[121:122], v[129:130], v[175:176]
	v_add_f64 v[127:128], v[127:128], v[135:136]
	v_add_f64 v[123:124], v[123:124], v[131:132]
	s_clause 0x2
	buffer_load_dword v144, off, s[0:3], 0 offset:540
	buffer_load_dword v132, off, s[0:3], 0 offset:516
	buffer_load_dword v131, off, s[0:3], 0 offset:512
	s_waitcnt vmcnt(58) lgkmcnt(0)
	v_mul_f64 v[135:136], v[5:6], v[149:150]
	v_mul_f64 v[149:150], v[7:8], v[149:150]
	s_waitcnt vmcnt(56)
	v_fma_f64 v[145:146], v[1:2], v[151:152], -v[145:146]
	ds_read_b128 v[119:122], v180 offset:1184
	v_add_f64 v[127:128], v[127:128], v[141:142]
	v_fma_f64 v[141:142], v[3:4], v[151:152], v[196:197]
	v_add_f64 v[123:124], v[123:124], v[129:130]
	s_clause 0x4
	buffer_load_dword v130, off, s[0:3], 0 offset:556
	buffer_load_dword v151, off, s[0:3], 0 offset:568
	buffer_load_dword v175, off, s[0:3], 0 offset:560
	buffer_load_dword v129, off, s[0:3], 0 offset:552
	buffer_load_dword v196, off, s[0:3], 0 offset:532
	ds_read_b128 v[1:4], v180 offset:1200
	s_waitcnt vmcnt(57) lgkmcnt(1)
	v_mul_f64 v[202:203], v[119:120], v[153:154]
	v_mul_f64 v[153:154], v[121:122], v[153:154]
	s_waitcnt vmcnt(56)
	v_fma_f64 v[149:150], v[5:6], v[137:138], -v[149:150]
	v_fma_f64 v[135:136], v[7:8], v[137:138], v[135:136]
	s_clause 0x2
	buffer_load_dword v152, off, s[0:3], 0 offset:572
	buffer_load_dword v138, off, s[0:3], 0 offset:548
	;; [unrolled: 1-line block ×3, first 2 shown]
	ds_read_b128 v[5:8], v180 offset:1216
	v_add_f64 v[127:128], v[127:128], v[145:146]
	v_add_f64 v[123:124], v[123:124], v[141:142]
	s_waitcnt vmcnt(58) lgkmcnt(1)
	v_mul_f64 v[145:146], v[3:4], v[157:158]
	v_mul_f64 v[141:142], v[1:2], v[157:158]
	s_waitcnt vmcnt(56)
	v_fma_f64 v[153:154], v[119:120], v[159:160], -v[153:154]
	v_add_f64 v[127:128], v[127:128], v[149:150]
	v_fma_f64 v[149:150], v[121:122], v[159:160], v[202:203]
	v_add_f64 v[123:124], v[123:124], v[135:136]
	s_clause 0x4
	buffer_load_dword v136, off, s[0:3], 0 offset:588
	buffer_load_dword v157, off, s[0:3], 0 offset:600
	;; [unrolled: 1-line block ×5, first 2 shown]
	s_waitcnt vmcnt(57) lgkmcnt(0)
	v_mul_f64 v[202:203], v[5:6], v[161:162]
	v_mul_f64 v[160:161], v[7:8], v[161:162]
	s_waitcnt vmcnt(56)
	v_fma_f64 v[145:146], v[1:2], v[147:148], -v[145:146]
	ds_read_b128 v[119:122], v180 offset:1232
	v_fma_f64 v[141:142], v[3:4], v[147:148], v[141:142]
	s_clause 0x2
	buffer_load_dword v158, off, s[0:3], 0 offset:604
	buffer_load_dword v148, off, s[0:3], 0 offset:580
	;; [unrolled: 1-line block ×3, first 2 shown]
	ds_read_b128 v[1:4], v180 offset:1248
	v_add_f64 v[127:128], v[127:128], v[153:154]
	v_add_f64 v[123:124], v[123:124], v[149:150]
	s_waitcnt vmcnt(58) lgkmcnt(1)
	v_mul_f64 v[153:154], v[121:122], v[165:166]
	s_waitcnt vmcnt(56)
	v_fma_f64 v[161:162], v[5:6], v[167:168], -v[160:161]
	v_mul_f64 v[149:150], v[119:120], v[165:166]
	v_add_f64 v[127:128], v[127:128], v[145:146]
	v_fma_f64 v[145:146], v[7:8], v[167:168], v[202:203]
	v_add_f64 v[123:124], v[123:124], v[141:142]
	s_clause 0x4
	buffer_load_dword v142, off, s[0:3], 0 offset:620
	buffer_load_dword v165, off, s[0:3], 0 offset:632
	;; [unrolled: 1-line block ×5, first 2 shown]
	s_waitcnt vmcnt(57) lgkmcnt(0)
	v_mul_f64 v[202:203], v[1:2], v[169:170]
	v_mul_f64 v[168:169], v[3:4], v[169:170]
	s_waitcnt vmcnt(56)
	v_fma_f64 v[153:154], v[119:120], v[155:156], -v[153:154]
	ds_read_b128 v[5:8], v180 offset:1264
	v_fma_f64 v[149:150], v[121:122], v[155:156], v[149:150]
	v_add_f64 v[127:128], v[127:128], v[161:162]
	v_add_f64 v[123:124], v[123:124], v[145:146]
	s_clause 0x2
	buffer_load_dword v166, off, s[0:3], 0 offset:636
	buffer_load_dword v146, off, s[0:3], 0 offset:612
	;; [unrolled: 1-line block ×3, first 2 shown]
	ds_read_b128 v[119:122], v180 offset:1280
	s_waitcnt vmcnt(58) lgkmcnt(1)
	v_mul_f64 v[161:162], v[7:8], v[171:172]
	s_waitcnt vmcnt(56)
	v_fma_f64 v[169:170], v[1:2], v[173:174], -v[168:169]
	v_mul_f64 v[155:156], v[5:6], v[171:172]
	v_add_f64 v[127:128], v[127:128], v[153:154]
	v_fma_f64 v[153:154], v[3:4], v[173:174], v[202:203]
	v_add_f64 v[123:124], v[123:124], v[149:150]
	s_clause 0x4
	buffer_load_dword v150, off, s[0:3], 0 offset:652
	buffer_load_dword v171, off, s[0:3], 0 offset:664
	;; [unrolled: 1-line block ×5, first 2 shown]
	s_waitcnt vmcnt(57) lgkmcnt(0)
	v_mul_f64 v[202:203], v[119:120], v[187:188]
	v_mul_f64 v[187:188], v[121:122], v[187:188]
	s_waitcnt vmcnt(56)
	v_fma_f64 v[161:162], v[5:6], v[163:164], -v[161:162]
	ds_read_b128 v[1:4], v180 offset:1296
	v_fma_f64 v[155:156], v[7:8], v[163:164], v[155:156]
	v_add_f64 v[127:128], v[127:128], v[169:170]
	v_add_f64 v[123:124], v[123:124], v[153:154]
	s_clause 0x2
	buffer_load_dword v172, off, s[0:3], 0 offset:668
	buffer_load_dword v154, off, s[0:3], 0 offset:644
	;; [unrolled: 1-line block ×3, first 2 shown]
	ds_read_b128 v[5:8], v180 offset:1312
	s_waitcnt vmcnt(58) lgkmcnt(1)
	v_mul_f64 v[169:170], v[3:4], v[189:190]
	v_mul_f64 v[163:164], v[1:2], v[189:190]
	s_waitcnt vmcnt(56)
	v_fma_f64 v[187:188], v[119:120], v[177:178], -v[187:188]
	v_add_f64 v[127:128], v[127:128], v[161:162]
	v_fma_f64 v[161:162], v[121:122], v[177:178], v[202:203]
	v_add_f64 v[123:124], v[123:124], v[155:156]
	s_clause 0x4
	buffer_load_dword v156, off, s[0:3], 0 offset:684
	buffer_load_dword v177, off, s[0:3], 0 offset:696
	;; [unrolled: 1-line block ×5, first 2 shown]
	ds_read_b128 v[119:122], v180 offset:1328
	s_waitcnt vmcnt(57) lgkmcnt(1)
	v_mul_f64 v[202:203], v[5:6], v[185:186]
	v_mul_f64 v[185:186], v[7:8], v[185:186]
	s_waitcnt vmcnt(56)
	v_fma_f64 v[169:170], v[1:2], v[191:192], -v[169:170]
	v_fma_f64 v[163:164], v[3:4], v[191:192], v[163:164]
	v_add_f64 v[127:128], v[127:128], v[187:188]
	v_add_f64 v[123:124], v[123:124], v[161:162]
	s_clause 0x2
	buffer_load_dword v178, off, s[0:3], 0 offset:700
	buffer_load_dword v162, off, s[0:3], 0 offset:676
	;; [unrolled: 1-line block ×3, first 2 shown]
	s_waitcnt vmcnt(58) lgkmcnt(0)
	v_mul_f64 v[191:192], v[121:122], v[193:194]
	ds_read_b128 v[1:4], v180 offset:1344
	v_mul_f64 v[187:188], v[119:120], v[193:194]
	s_waitcnt vmcnt(56)
	v_fma_f64 v[185:186], v[5:6], v[183:184], -v[185:186]
	v_add_f64 v[127:128], v[127:128], v[169:170]
	v_fma_f64 v[169:170], v[7:8], v[183:184], v[202:203]
	v_add_f64 v[123:124], v[123:124], v[163:164]
	s_clause 0x4
	buffer_load_dword v164, off, s[0:3], 0 offset:716
	buffer_load_dword v183, off, s[0:3], 0 offset:728
	buffer_load_dword v193, off, s[0:3], 0 offset:720
	buffer_load_dword v163, off, s[0:3], 0 offset:712
	buffer_load_dword v190, off, s[0:3], 0 offset:692
	ds_read_b128 v[5:8], v180 offset:1360
	s_waitcnt vmcnt(57) lgkmcnt(1)
	v_mul_f64 v[202:203], v[1:2], v[139:140]
	v_mul_f64 v[139:140], v[3:4], v[139:140]
	s_waitcnt vmcnt(56)
	v_fma_f64 v[191:192], v[119:120], v[198:199], -v[191:192]
	v_add_f64 v[127:128], v[127:128], v[185:186]
	v_fma_f64 v[185:186], v[121:122], v[198:199], v[187:188]
	v_add_f64 v[123:124], v[123:124], v[169:170]
	s_clause 0x2
	buffer_load_dword v184, off, s[0:3], 0 offset:732
	buffer_load_dword v170, off, s[0:3], 0 offset:708
	;; [unrolled: 1-line block ×3, first 2 shown]
	ds_read_b128 v[119:122], v180 offset:1376
	s_waitcnt vmcnt(58) lgkmcnt(1)
	v_mul_f64 v[187:188], v[5:6], v[181:182]
	v_mul_f64 v[181:182], v[7:8], v[181:182]
	s_waitcnt vmcnt(56)
	v_fma_f64 v[139:140], v[1:2], v[133:134], -v[139:140]
	v_fma_f64 v[133:134], v[3:4], v[133:134], v[202:203]
	v_add_f64 v[127:128], v[127:128], v[191:192]
	v_add_f64 v[123:124], v[123:124], v[185:186]
	s_clause 0x4
	buffer_load_dword v186, off, s[0:3], 0 offset:748
	buffer_load_dword v191, off, s[0:3], 0 offset:760
	;; [unrolled: 1-line block ×5, first 2 shown]
	ds_read_b128 v[1:4], v180 offset:1392
	s_waitcnt vmcnt(57) lgkmcnt(1)
	v_mul_f64 v[198:199], v[119:120], v[125:126]
	v_mul_f64 v[125:126], v[121:122], v[125:126]
	s_waitcnt vmcnt(56)
	v_fma_f64 v[181:182], v[5:6], v[200:201], -v[181:182]
	v_add_f64 v[127:128], v[127:128], v[139:140]
	v_fma_f64 v[139:140], v[7:8], v[200:201], v[187:188]
	v_add_f64 v[123:124], v[123:124], v[133:134]
	s_clause 0x2
	buffer_load_dword v192, off, s[0:3], 0 offset:764
	buffer_load_dword v134, off, s[0:3], 0 offset:740
	buffer_load_dword v133, off, s[0:3], 0 offset:736
	ds_read_b128 v[5:8], v180 offset:1408
	s_waitcnt vmcnt(58) lgkmcnt(1)
	v_mul_f64 v[187:188], v[1:2], v[143:144]
	v_mul_f64 v[143:144], v[3:4], v[143:144]
	s_waitcnt vmcnt(56)
	v_fma_f64 v[125:126], v[119:120], v[131:132], -v[125:126]
	v_fma_f64 v[131:132], v[121:122], v[131:132], v[198:199]
	v_add_f64 v[127:128], v[127:128], v[181:182]
	v_add_f64 v[123:124], v[123:124], v[139:140]
	s_clause 0x4
	buffer_load_dword v140, off, s[0:3], 0 offset:780
	buffer_load_dword v181, off, s[0:3], 0 offset:792
	;; [unrolled: 1-line block ×5, first 2 shown]
	ds_read_b128 v[119:122], v180 offset:1424
	s_waitcnt vmcnt(57) lgkmcnt(1)
	v_mul_f64 v[200:201], v[5:6], v[129:130]
	v_mul_f64 v[129:130], v[7:8], v[129:130]
	s_waitcnt vmcnt(56)
	v_fma_f64 v[143:144], v[1:2], v[195:196], -v[143:144]
	v_add_f64 v[125:126], v[127:128], v[125:126]
	v_fma_f64 v[127:128], v[3:4], v[195:196], v[187:188]
	v_add_f64 v[123:124], v[123:124], v[131:132]
	s_clause 0x2
	buffer_load_dword v182, off, s[0:3], 0 offset:796
	buffer_load_dword v132, off, s[0:3], 0 offset:772
	;; [unrolled: 1-line block ×3, first 2 shown]
	s_waitcnt vmcnt(58) lgkmcnt(0)
	v_mul_f64 v[187:188], v[119:120], v[151:152]
	v_mul_f64 v[151:152], v[121:122], v[151:152]
	ds_read_b128 v[1:4], v180 offset:1440
	s_waitcnt vmcnt(56)
	v_fma_f64 v[129:130], v[5:6], v[137:138], -v[129:130]
	v_fma_f64 v[137:138], v[7:8], v[137:138], v[200:201]
	v_add_f64 v[125:126], v[125:126], v[143:144]
	v_add_f64 v[123:124], v[123:124], v[127:128]
	s_clause 0x4
	buffer_load_dword v128, off, s[0:3], 0 offset:812
	buffer_load_dword v143, off, s[0:3], 0 offset:824
	;; [unrolled: 1-line block ×5, first 2 shown]
	ds_read_b128 v[5:8], v180 offset:1456
	s_waitcnt vmcnt(57) lgkmcnt(1)
	v_mul_f64 v[201:202], v[1:2], v[135:136]
	v_mul_f64 v[135:136], v[3:4], v[135:136]
	s_waitcnt vmcnt(56)
	v_fma_f64 v[151:152], v[119:120], v[175:176], -v[151:152]
	v_add_f64 v[125:126], v[125:126], v[129:130]
	v_fma_f64 v[129:130], v[121:122], v[175:176], v[187:188]
	v_add_f64 v[123:124], v[123:124], v[137:138]
	s_clause 0x2
	buffer_load_dword v144, off, s[0:3], 0 offset:828
	buffer_load_dword v138, off, s[0:3], 0 offset:804
	;; [unrolled: 1-line block ×3, first 2 shown]
	s_waitcnt vmcnt(58) lgkmcnt(0)
	v_mul_f64 v[175:176], v[5:6], v[157:158]
	v_mul_f64 v[157:158], v[7:8], v[157:158]
	ds_read_b128 v[119:122], v180 offset:1472
	s_waitcnt vmcnt(56)
	v_fma_f64 v[135:136], v[1:2], v[147:148], -v[135:136]
	v_fma_f64 v[147:148], v[3:4], v[147:148], v[201:202]
	v_add_f64 v[125:126], v[125:126], v[151:152]
	v_add_f64 v[123:124], v[123:124], v[129:130]
	s_clause 0x4
	buffer_load_dword v130, off, s[0:3], 0 offset:844
	buffer_load_dword v151, off, s[0:3], 0 offset:856
	;; [unrolled: 1-line block ×5, first 2 shown]
	ds_read_b128 v[1:4], v180 offset:1488
	s_waitcnt vmcnt(57) lgkmcnt(1)
	v_mul_f64 v[201:202], v[119:120], v[141:142]
	v_mul_f64 v[141:142], v[121:122], v[141:142]
	s_waitcnt vmcnt(56)
	v_fma_f64 v[157:158], v[5:6], v[159:160], -v[157:158]
	v_add_f64 v[125:126], v[125:126], v[135:136]
	v_fma_f64 v[135:136], v[7:8], v[159:160], v[175:176]
	v_add_f64 v[123:124], v[123:124], v[147:148]
	s_clause 0x2
	buffer_load_dword v152, off, s[0:3], 0 offset:860
	buffer_load_dword v148, off, s[0:3], 0 offset:836
	;; [unrolled: 1-line block ×3, first 2 shown]
	ds_read_b128 v[5:8], v180 offset:1504
	s_waitcnt vmcnt(58) lgkmcnt(1)
	v_mul_f64 v[159:160], v[1:2], v[165:166]
	v_mul_f64 v[165:166], v[3:4], v[165:166]
	s_waitcnt vmcnt(56)
	v_fma_f64 v[141:142], v[119:120], v[145:146], -v[141:142]
	v_fma_f64 v[145:146], v[121:122], v[145:146], v[201:202]
	v_add_f64 v[125:126], v[125:126], v[157:158]
	v_add_f64 v[123:124], v[123:124], v[135:136]
	s_clause 0x4
	buffer_load_dword v136, off, s[0:3], 0 offset:876
	buffer_load_dword v157, off, s[0:3], 0 offset:888
	;; [unrolled: 1-line block ×5, first 2 shown]
	ds_read_b128 v[119:122], v180 offset:1520
	s_waitcnt vmcnt(57) lgkmcnt(1)
	v_mul_f64 v[201:202], v[5:6], v[149:150]
	v_mul_f64 v[149:150], v[7:8], v[149:150]
	s_waitcnt vmcnt(56)
	v_fma_f64 v[165:166], v[1:2], v[167:168], -v[165:166]
	v_add_f64 v[125:126], v[125:126], v[141:142]
	v_fma_f64 v[141:142], v[3:4], v[167:168], v[159:160]
	v_add_f64 v[123:124], v[123:124], v[145:146]
	s_clause 0x2
	buffer_load_dword v158, off, s[0:3], 0 offset:892
	buffer_load_dword v146, off, s[0:3], 0 offset:868
	;; [unrolled: 1-line block ×3, first 2 shown]
	ds_read_b128 v[1:4], v180 offset:1536
	buffer_load_dword v176, off, s[0:3], 0 offset:884
	s_waitcnt vmcnt(59) lgkmcnt(1)
	v_mul_f64 v[167:168], v[121:122], v[171:172]
	v_mul_f64 v[159:160], v[119:120], v[171:172]
	s_waitcnt vmcnt(57)
	v_fma_f64 v[149:150], v[5:6], v[153:154], -v[149:150]
	v_fma_f64 v[153:154], v[7:8], v[153:154], v[201:202]
	ds_read_b128 v[5:8], v180 offset:1552
	v_add_f64 v[125:126], v[125:126], v[165:166]
	v_add_f64 v[123:124], v[123:124], v[141:142]
	s_waitcnt vmcnt(53) lgkmcnt(1)
	v_mul_f64 v[141:142], v[1:2], v[155:156]
	v_mul_f64 v[155:156], v[3:4], v[155:156]
	s_waitcnt vmcnt(52)
	v_fma_f64 v[165:166], v[119:120], v[173:174], -v[167:168]
	v_add_f64 v[125:126], v[125:126], v[149:150]
	v_fma_f64 v[149:150], v[121:122], v[173:174], v[159:160]
	v_add_f64 v[123:124], v[123:124], v[153:154]
	ds_read_b128 v[119:122], v180 offset:1568
	s_waitcnt vmcnt(51) lgkmcnt(1)
	v_mul_f64 v[159:160], v[7:8], v[177:178]
	v_mul_f64 v[153:154], v[5:6], v[177:178]
	s_waitcnt vmcnt(49)
	v_fma_f64 v[155:156], v[1:2], v[161:162], -v[155:156]
	v_fma_f64 v[141:142], v[3:4], v[161:162], v[141:142]
	v_add_f64 v[125:126], v[125:126], v[165:166]
	v_add_f64 v[123:124], v[123:124], v[149:150]
	s_clause 0x3
	buffer_load_dword v149, off, s[0:3], 0 offset:160
	buffer_load_dword v150, off, s[0:3], 0 offset:164
	;; [unrolled: 1-line block ×4, first 2 shown]
	ds_read_b128 v[1:4], v180 offset:1584
	s_waitcnt vmcnt(49) lgkmcnt(1)
	v_mul_f64 v[165:166], v[119:120], v[163:164]
	v_mul_f64 v[163:164], v[121:122], v[163:164]
	s_waitcnt vmcnt(48)
	v_fma_f64 v[159:160], v[5:6], v[189:190], -v[159:160]
	v_fma_f64 v[153:154], v[7:8], v[189:190], v[153:154]
	ds_read_b128 v[5:8], v180 offset:1600
	v_add_f64 v[125:126], v[125:126], v[155:156]
	v_add_f64 v[123:124], v[123:124], v[141:142]
	s_waitcnt vmcnt(47) lgkmcnt(1)
	v_mul_f64 v[155:156], v[3:4], v[183:184]
	v_mul_f64 v[141:142], v[1:2], v[183:184]
	s_waitcnt vmcnt(45)
	v_fma_f64 v[163:164], v[119:120], v[169:170], -v[163:164]
	v_add_f64 v[125:126], v[125:126], v[159:160]
	v_fma_f64 v[159:160], v[121:122], v[169:170], v[165:166]
	v_add_f64 v[123:124], v[123:124], v[153:154]
	ds_read_b128 v[119:122], v180 offset:1616
	s_waitcnt vmcnt(41) lgkmcnt(1)
	v_mul_f64 v[165:166], v[7:8], v[185:186]
	s_waitcnt vmcnt(40)
	v_fma_f64 v[155:156], v[1:2], v[193:194], -v[155:156]
	v_mul_f64 v[153:154], v[5:6], v[185:186]
	v_fma_f64 v[141:142], v[3:4], v[193:194], v[141:142]
	ds_read_b128 v[1:4], v180 offset:1632
	v_add_f64 v[125:126], v[125:126], v[163:164]
	v_add_f64 v[123:124], v[123:124], v[159:160]
	s_waitcnt vmcnt(39) lgkmcnt(1)
	v_mul_f64 v[163:164], v[121:122], v[191:192]
	v_mul_f64 v[159:160], v[119:120], v[191:192]
	s_waitcnt vmcnt(37)
	v_fma_f64 v[165:166], v[5:6], v[133:134], -v[165:166]
	v_fma_f64 v[133:134], v[7:8], v[133:134], v[153:154]
	ds_read_b128 v[5:8], v180 offset:1648
	v_add_f64 v[125:126], v[125:126], v[155:156]
	v_add_f64 v[123:124], v[123:124], v[141:142]
	s_waitcnt vmcnt(33) lgkmcnt(1)
	v_mul_f64 v[141:142], v[1:2], v[139:140]
	v_mul_f64 v[139:140], v[3:4], v[139:140]
	s_waitcnt vmcnt(32)
	v_fma_f64 v[153:154], v[119:120], v[197:198], -v[163:164]
	;; [unrolled: 9-line block ×6, first 2 shown]
	v_add_f64 v[125:126], v[125:126], v[127:128]
	v_fma_f64 v[127:128], v[3:4], v[195:196], v[131:132]
	v_add_f64 v[123:124], v[123:124], v[137:138]
	ds_read_b128 v[1:4], v180 offset:1728
	s_waitcnt vmcnt(15) lgkmcnt(1)
	v_mul_f64 v[137:138], v[121:122], v[151:152]
	v_mul_f64 v[131:132], v[119:120], v[151:152]
	s_waitcnt vmcnt(13)
	v_fma_f64 v[129:130], v[5:6], v[147:148], -v[129:130]
	v_fma_f64 v[133:134], v[7:8], v[147:148], v[133:134]
	ds_read_b128 v[5:8], v180 offset:1744
	v_add_f64 v[125:126], v[125:126], v[139:140]
	v_add_f64 v[123:124], v[123:124], v[127:128]
	s_waitcnt vmcnt(9) lgkmcnt(1)
	v_mul_f64 v[127:128], v[1:2], v[135:136]
	v_mul_f64 v[135:136], v[3:4], v[135:136]
	s_waitcnt vmcnt(8)
	v_fma_f64 v[119:120], v[119:120], v[187:188], -v[137:138]
	v_fma_f64 v[121:122], v[121:122], v[187:188], v[131:132]
	v_add_f64 v[125:126], v[125:126], v[129:130]
	v_add_f64 v[123:124], v[123:124], v[133:134]
	s_waitcnt vmcnt(7) lgkmcnt(0)
	v_mul_f64 v[131:132], v[7:8], v[157:158]
	v_mul_f64 v[129:130], v[5:6], v[157:158]
	s_waitcnt vmcnt(5)
	v_fma_f64 v[1:2], v[1:2], v[145:146], -v[135:136]
	v_fma_f64 v[3:4], v[3:4], v[145:146], v[127:128]
	v_add_f64 v[119:120], v[125:126], v[119:120]
	v_add_f64 v[121:122], v[123:124], v[121:122]
	s_waitcnt vmcnt(4)
	v_fma_f64 v[5:6], v[5:6], v[175:176], -v[131:132]
	v_fma_f64 v[7:8], v[7:8], v[175:176], v[129:130]
	v_add_f64 v[1:2], v[119:120], v[1:2]
	v_add_f64 v[3:4], v[121:122], v[3:4]
	;; [unrolled: 1-line block ×4, first 2 shown]
	s_waitcnt vmcnt(2)
	v_add_f64 v[1:2], v[149:150], -v[1:2]
	s_waitcnt vmcnt(0)
	v_add_f64 v[3:4], v[161:162], -v[3:4]
	buffer_store_dword v2, off, s[0:3], 0 offset:164
	buffer_store_dword v1, off, s[0:3], 0 offset:160
	;; [unrolled: 1-line block ×4, first 2 shown]
	v_cmpx_lt_u32_e32 8, v0
	s_cbranch_execz .LBB118_327
; %bb.326:
	v_mov_b32_e32 v4, s59
	s_clause 0x3
	buffer_load_dword v1, v4, s[0:3], 0 offen
	buffer_load_dword v2, v4, s[0:3], 0 offen offset:4
	buffer_load_dword v3, v4, s[0:3], 0 offen offset:8
	buffer_load_dword v4, v4, s[0:3], 0 offen offset:12
	buffer_store_dword v180, off, s[0:3], 0 offset:144
	buffer_store_dword v180, off, s[0:3], 0 offset:148
	;; [unrolled: 1-line block ×4, first 2 shown]
	s_waitcnt vmcnt(0)
	ds_write_b128 v179, v[1:4]
.LBB118_327:
	s_or_b32 exec_lo, exec_lo, s4
	s_waitcnt lgkmcnt(0)
	s_waitcnt_vscnt null, 0x0
	s_barrier
	buffer_gl0_inv
	s_clause 0x37
	buffer_load_dword v127, off, s[0:3], 0 offset:168
	buffer_load_dword v128, off, s[0:3], 0 offset:172
	;; [unrolled: 1-line block ×56, first 2 shown]
	ds_read_b128 v[5:8], v180 offset:1024
	s_clause 0x2
	buffer_load_dword v176, off, s[0:3], 0 offset:396
	buffer_load_dword v178, off, s[0:3], 0 offset:372
	;; [unrolled: 1-line block ×3, first 2 shown]
	ds_read_b128 v[1:4], v180 offset:1040
	s_clause 0x4
	buffer_load_dword v188, off, s[0:3], 0 offset:412
	buffer_load_dword v189, off, s[0:3], 0 offset:424
	;; [unrolled: 1-line block ×5, first 2 shown]
	ds_read_b128 v[181:184], v180 offset:1056
	s_mov_b32 s4, exec_lo
	s_waitcnt vmcnt(62) lgkmcnt(2)
	v_mul_f64 v[185:186], v[7:8], v[127:128]
	v_mul_f64 v[127:128], v[5:6], v[127:128]
	s_waitcnt vmcnt(60) lgkmcnt(1)
	v_mul_f64 v[192:193], v[3:4], v[123:124]
	v_mul_f64 v[123:124], v[1:2], v[123:124]
	;; [unrolled: 3-line block ×3, first 2 shown]
	v_fma_f64 v[185:186], v[5:6], v[125:126], -v[185:186]
	v_fma_f64 v[125:126], v[7:8], v[125:126], v[127:128]
	s_clause 0x2
	buffer_load_dword v190, off, s[0:3], 0 offset:428
	buffer_load_dword v128, off, s[0:3], 0 offset:404
	;; [unrolled: 1-line block ×3, first 2 shown]
	s_waitcnt vmcnt(57)
	v_fma_f64 v[196:197], v[1:2], v[119:120], -v[192:193]
	ds_read_b128 v[5:8], v180 offset:1072
	v_fma_f64 v[119:120], v[3:4], v[119:120], v[123:124]
	s_waitcnt vmcnt(51)
	v_fma_f64 v[181:182], v[181:182], v[143:144], -v[121:122]
	v_fma_f64 v[143:144], v[183:184], v[143:144], v[194:195]
	v_add_f64 v[185:186], v[185:186], 0
	v_add_f64 v[123:124], v[125:126], 0
	s_clause 0x4
	buffer_load_dword v126, off, s[0:3], 0 offset:444
	buffer_load_dword v193, off, s[0:3], 0 offset:456
	;; [unrolled: 1-line block ×5, first 2 shown]
	s_waitcnt lgkmcnt(0)
	v_mul_f64 v[199:200], v[5:6], v[131:132]
	v_mul_f64 v[131:132], v[7:8], v[131:132]
	ds_read_b128 v[1:4], v180 offset:1088
	s_clause 0x2
	buffer_load_dword v194, off, s[0:3], 0 offset:460
	buffer_load_dword v184, off, s[0:3], 0 offset:436
	;; [unrolled: 1-line block ×3, first 2 shown]
	v_add_f64 v[185:186], v[185:186], v[196:197]
	v_add_f64 v[123:124], v[123:124], v[119:120]
	ds_read_b128 v[119:122], v180 offset:1104
	s_waitcnt vmcnt(58) lgkmcnt(1)
	v_mul_f64 v[195:196], v[1:2], v[135:136]
	v_mul_f64 v[135:136], v[3:4], v[135:136]
	s_waitcnt vmcnt(56)
	v_fma_f64 v[131:132], v[5:6], v[137:138], -v[131:132]
	v_fma_f64 v[137:138], v[7:8], v[137:138], v[199:200]
	s_waitcnt vmcnt(52) lgkmcnt(0)
	v_mul_f64 v[201:202], v[119:120], v[139:140]
	v_add_f64 v[181:182], v[185:186], v[181:182]
	v_add_f64 v[123:124], v[123:124], v[143:144]
	s_clause 0x4
	buffer_load_dword v144, off, s[0:3], 0 offset:476
	buffer_load_dword v185, off, s[0:3], 0 offset:488
	;; [unrolled: 1-line block ×5, first 2 shown]
	v_mul_f64 v[139:140], v[121:122], v[139:140]
	s_waitcnt vmcnt(56)
	v_fma_f64 v[135:136], v[1:2], v[129:130], -v[135:136]
	ds_read_b128 v[5:8], v180 offset:1120
	v_fma_f64 v[129:130], v[3:4], v[129:130], v[195:196]
	v_add_f64 v[131:132], v[181:182], v[131:132]
	v_add_f64 v[123:124], v[123:124], v[137:138]
	s_clause 0x2
	buffer_load_dword v186, off, s[0:3], 0 offset:492
	buffer_load_dword v138, off, s[0:3], 0 offset:468
	;; [unrolled: 1-line block ×3, first 2 shown]
	s_waitcnt vmcnt(58) lgkmcnt(0)
	v_mul_f64 v[181:182], v[5:6], v[145:146]
	v_mul_f64 v[145:146], v[7:8], v[145:146]
	s_waitcnt vmcnt(56)
	v_fma_f64 v[139:140], v[119:120], v[147:148], -v[139:140]
	ds_read_b128 v[1:4], v180 offset:1136
	v_add_f64 v[131:132], v[131:132], v[135:136]
	v_fma_f64 v[135:136], v[121:122], v[147:148], v[201:202]
	v_add_f64 v[123:124], v[123:124], v[129:130]
	s_clause 0x4
	buffer_load_dword v130, off, s[0:3], 0 offset:508
	buffer_load_dword v147, off, s[0:3], 0 offset:520
	;; [unrolled: 1-line block ×5, first 2 shown]
	s_waitcnt vmcnt(57) lgkmcnt(0)
	v_mul_f64 v[196:197], v[1:2], v[149:150]
	v_mul_f64 v[149:150], v[3:4], v[149:150]
	s_waitcnt vmcnt(56)
	v_fma_f64 v[145:146], v[5:6], v[133:134], -v[145:146]
	ds_read_b128 v[119:122], v180 offset:1152
	v_fma_f64 v[133:134], v[7:8], v[133:134], v[181:182]
	v_add_f64 v[131:132], v[131:132], v[139:140]
	v_add_f64 v[123:124], v[123:124], v[135:136]
	s_clause 0x2
	buffer_load_dword v148, off, s[0:3], 0 offset:524
	buffer_load_dword v136, off, s[0:3], 0 offset:500
	;; [unrolled: 1-line block ×3, first 2 shown]
	ds_read_b128 v[5:8], v180 offset:1168
	s_waitcnt vmcnt(58) lgkmcnt(1)
	v_mul_f64 v[139:140], v[119:120], v[153:154]
	v_mul_f64 v[153:154], v[121:122], v[153:154]
	s_waitcnt vmcnt(56)
	v_fma_f64 v[149:150], v[1:2], v[155:156], -v[149:150]
	v_add_f64 v[131:132], v[131:132], v[145:146]
	v_fma_f64 v[145:146], v[3:4], v[155:156], v[196:197]
	v_add_f64 v[123:124], v[123:124], v[133:134]
	s_clause 0x4
	buffer_load_dword v134, off, s[0:3], 0 offset:540
	buffer_load_dword v155, off, s[0:3], 0 offset:552
	;; [unrolled: 1-line block ×5, first 2 shown]
	s_waitcnt vmcnt(57) lgkmcnt(0)
	v_mul_f64 v[202:203], v[5:6], v[157:158]
	v_mul_f64 v[157:158], v[7:8], v[157:158]
	s_waitcnt vmcnt(56)
	v_fma_f64 v[153:154], v[119:120], v[141:142], -v[153:154]
	ds_read_b128 v[1:4], v180 offset:1184
	v_fma_f64 v[139:140], v[121:122], v[141:142], v[139:140]
	s_clause 0x2
	buffer_load_dword v156, off, s[0:3], 0 offset:556
	buffer_load_dword v142, off, s[0:3], 0 offset:532
	;; [unrolled: 1-line block ×3, first 2 shown]
	ds_read_b128 v[119:122], v180 offset:1200
	v_add_f64 v[131:132], v[131:132], v[149:150]
	v_add_f64 v[123:124], v[123:124], v[145:146]
	s_waitcnt vmcnt(58) lgkmcnt(1)
	v_mul_f64 v[149:150], v[3:4], v[161:162]
	s_waitcnt vmcnt(56)
	v_fma_f64 v[157:158], v[5:6], v[163:164], -v[157:158]
	v_mul_f64 v[145:146], v[1:2], v[161:162]
	v_add_f64 v[131:132], v[131:132], v[153:154]
	v_fma_f64 v[153:154], v[7:8], v[163:164], v[202:203]
	v_add_f64 v[123:124], v[123:124], v[139:140]
	s_clause 0x4
	buffer_load_dword v140, off, s[0:3], 0 offset:572
	buffer_load_dword v161, off, s[0:3], 0 offset:584
	;; [unrolled: 1-line block ×5, first 2 shown]
	s_waitcnt vmcnt(57) lgkmcnt(0)
	v_mul_f64 v[202:203], v[119:120], v[165:166]
	v_mul_f64 v[164:165], v[121:122], v[165:166]
	s_waitcnt vmcnt(56)
	v_fma_f64 v[149:150], v[1:2], v[151:152], -v[149:150]
	ds_read_b128 v[5:8], v180 offset:1216
	v_fma_f64 v[145:146], v[3:4], v[151:152], v[145:146]
	s_clause 0x2
	buffer_load_dword v162, off, s[0:3], 0 offset:588
	buffer_load_dword v152, off, s[0:3], 0 offset:564
	;; [unrolled: 1-line block ×3, first 2 shown]
	ds_read_b128 v[1:4], v180 offset:1232
	v_add_f64 v[131:132], v[131:132], v[157:158]
	v_add_f64 v[123:124], v[123:124], v[153:154]
	s_waitcnt vmcnt(58) lgkmcnt(1)
	v_mul_f64 v[157:158], v[7:8], v[169:170]
	s_waitcnt vmcnt(56)
	v_fma_f64 v[165:166], v[119:120], v[171:172], -v[164:165]
	v_mul_f64 v[153:154], v[5:6], v[169:170]
	v_add_f64 v[131:132], v[131:132], v[149:150]
	v_fma_f64 v[149:150], v[121:122], v[171:172], v[202:203]
	v_add_f64 v[123:124], v[123:124], v[145:146]
	s_clause 0x4
	buffer_load_dword v146, off, s[0:3], 0 offset:604
	buffer_load_dword v169, off, s[0:3], 0 offset:616
	;; [unrolled: 1-line block ×5, first 2 shown]
	s_waitcnt vmcnt(57) lgkmcnt(0)
	v_mul_f64 v[202:203], v[1:2], v[173:174]
	v_mul_f64 v[172:173], v[3:4], v[173:174]
	s_waitcnt vmcnt(56)
	v_fma_f64 v[157:158], v[5:6], v[159:160], -v[157:158]
	ds_read_b128 v[119:122], v180 offset:1248
	v_fma_f64 v[153:154], v[7:8], v[159:160], v[153:154]
	v_add_f64 v[131:132], v[131:132], v[165:166]
	v_add_f64 v[123:124], v[123:124], v[149:150]
	s_clause 0x2
	buffer_load_dword v170, off, s[0:3], 0 offset:620
	buffer_load_dword v150, off, s[0:3], 0 offset:596
	;; [unrolled: 1-line block ×3, first 2 shown]
	ds_read_b128 v[5:8], v180 offset:1264
	s_waitcnt vmcnt(58) lgkmcnt(1)
	v_mul_f64 v[165:166], v[121:122], v[175:176]
	s_waitcnt vmcnt(56)
	v_fma_f64 v[173:174], v[1:2], v[177:178], -v[172:173]
	v_mul_f64 v[159:160], v[119:120], v[175:176]
	v_add_f64 v[131:132], v[131:132], v[157:158]
	v_fma_f64 v[157:158], v[3:4], v[177:178], v[202:203]
	v_add_f64 v[123:124], v[123:124], v[153:154]
	s_clause 0x4
	buffer_load_dword v154, off, s[0:3], 0 offset:636
	buffer_load_dword v175, off, s[0:3], 0 offset:648
	;; [unrolled: 1-line block ×5, first 2 shown]
	s_waitcnt vmcnt(57) lgkmcnt(0)
	v_mul_f64 v[202:203], v[5:6], v[187:188]
	v_mul_f64 v[187:188], v[7:8], v[187:188]
	s_waitcnt vmcnt(56)
	v_fma_f64 v[165:166], v[119:120], v[167:168], -v[165:166]
	ds_read_b128 v[1:4], v180 offset:1280
	v_fma_f64 v[159:160], v[121:122], v[167:168], v[159:160]
	v_add_f64 v[131:132], v[131:132], v[173:174]
	v_add_f64 v[123:124], v[123:124], v[157:158]
	s_clause 0x2
	buffer_load_dword v176, off, s[0:3], 0 offset:652
	buffer_load_dword v158, off, s[0:3], 0 offset:628
	;; [unrolled: 1-line block ×3, first 2 shown]
	ds_read_b128 v[119:122], v180 offset:1296
	s_waitcnt vmcnt(58) lgkmcnt(1)
	v_mul_f64 v[173:174], v[3:4], v[189:190]
	v_mul_f64 v[167:168], v[1:2], v[189:190]
	s_waitcnt vmcnt(56)
	v_fma_f64 v[187:188], v[5:6], v[127:128], -v[187:188]
	v_fma_f64 v[127:128], v[7:8], v[127:128], v[202:203]
	v_add_f64 v[131:132], v[131:132], v[165:166]
	v_add_f64 v[123:124], v[123:124], v[159:160]
	s_clause 0x4
	buffer_load_dword v160, off, s[0:3], 0 offset:668
	buffer_load_dword v165, off, s[0:3], 0 offset:680
	;; [unrolled: 1-line block ×5, first 2 shown]
	ds_read_b128 v[5:8], v180 offset:1312
	s_waitcnt vmcnt(57) lgkmcnt(1)
	v_mul_f64 v[202:203], v[119:120], v[125:126]
	v_mul_f64 v[125:126], v[121:122], v[125:126]
	s_waitcnt vmcnt(56)
	v_fma_f64 v[173:174], v[1:2], v[191:192], -v[173:174]
	v_fma_f64 v[167:168], v[3:4], v[191:192], v[167:168]
	v_add_f64 v[131:132], v[131:132], v[187:188]
	v_add_f64 v[123:124], v[123:124], v[127:128]
	s_clause 0x2
	buffer_load_dword v166, off, s[0:3], 0 offset:684
	buffer_load_dword v128, off, s[0:3], 0 offset:660
	;; [unrolled: 1-line block ×3, first 2 shown]
	s_waitcnt vmcnt(58) lgkmcnt(0)
	v_mul_f64 v[191:192], v[7:8], v[193:194]
	ds_read_b128 v[1:4], v180 offset:1328
	v_mul_f64 v[187:188], v[5:6], v[193:194]
	s_waitcnt vmcnt(56)
	v_fma_f64 v[125:126], v[119:120], v[183:184], -v[125:126]
	v_add_f64 v[131:132], v[131:132], v[173:174]
	v_fma_f64 v[173:174], v[121:122], v[183:184], v[202:203]
	v_add_f64 v[123:124], v[123:124], v[167:168]
	s_clause 0x4
	buffer_load_dword v168, off, s[0:3], 0 offset:700
	buffer_load_dword v183, off, s[0:3], 0 offset:712
	;; [unrolled: 1-line block ×5, first 2 shown]
	ds_read_b128 v[119:122], v180 offset:1344
	s_waitcnt vmcnt(57) lgkmcnt(1)
	v_mul_f64 v[202:203], v[1:2], v[143:144]
	v_mul_f64 v[143:144], v[3:4], v[143:144]
	s_waitcnt vmcnt(56)
	v_fma_f64 v[191:192], v[5:6], v[198:199], -v[191:192]
	v_add_f64 v[125:126], v[131:132], v[125:126]
	v_fma_f64 v[131:132], v[7:8], v[198:199], v[187:188]
	v_add_f64 v[123:124], v[123:124], v[173:174]
	s_clause 0x2
	buffer_load_dword v184, off, s[0:3], 0 offset:716
	buffer_load_dword v174, off, s[0:3], 0 offset:692
	;; [unrolled: 1-line block ×3, first 2 shown]
	ds_read_b128 v[5:8], v180 offset:1360
	s_waitcnt vmcnt(58) lgkmcnt(1)
	v_mul_f64 v[187:188], v[119:120], v[185:186]
	v_mul_f64 v[185:186], v[121:122], v[185:186]
	s_waitcnt vmcnt(56)
	v_fma_f64 v[143:144], v[1:2], v[137:138], -v[143:144]
	v_fma_f64 v[137:138], v[3:4], v[137:138], v[202:203]
	v_add_f64 v[125:126], v[125:126], v[191:192]
	v_add_f64 v[123:124], v[123:124], v[131:132]
	s_clause 0x4
	buffer_load_dword v132, off, s[0:3], 0 offset:732
	buffer_load_dword v191, off, s[0:3], 0 offset:744
	;; [unrolled: 1-line block ×5, first 2 shown]
	ds_read_b128 v[1:4], v180 offset:1376
	s_waitcnt vmcnt(57) lgkmcnt(1)
	v_mul_f64 v[198:199], v[5:6], v[129:130]
	v_mul_f64 v[129:130], v[7:8], v[129:130]
	s_waitcnt vmcnt(56)
	v_fma_f64 v[185:186], v[119:120], v[200:201], -v[185:186]
	v_add_f64 v[125:126], v[125:126], v[143:144]
	v_fma_f64 v[143:144], v[121:122], v[200:201], v[187:188]
	v_add_f64 v[123:124], v[123:124], v[137:138]
	s_clause 0x2
	buffer_load_dword v192, off, s[0:3], 0 offset:748
	buffer_load_dword v138, off, s[0:3], 0 offset:724
	;; [unrolled: 1-line block ×3, first 2 shown]
	ds_read_b128 v[119:122], v180 offset:1392
	s_waitcnt vmcnt(58) lgkmcnt(1)
	v_mul_f64 v[187:188], v[1:2], v[147:148]
	v_mul_f64 v[147:148], v[3:4], v[147:148]
	s_waitcnt vmcnt(56)
	v_fma_f64 v[129:130], v[5:6], v[135:136], -v[129:130]
	v_fma_f64 v[135:136], v[7:8], v[135:136], v[198:199]
	v_add_f64 v[125:126], v[125:126], v[185:186]
	v_add_f64 v[123:124], v[123:124], v[143:144]
	s_clause 0x4
	buffer_load_dword v144, off, s[0:3], 0 offset:764
	buffer_load_dword v185, off, s[0:3], 0 offset:776
	;; [unrolled: 1-line block ×5, first 2 shown]
	ds_read_b128 v[5:8], v180 offset:1408
	s_waitcnt vmcnt(57) lgkmcnt(1)
	v_mul_f64 v[200:201], v[119:120], v[133:134]
	v_mul_f64 v[133:134], v[121:122], v[133:134]
	s_waitcnt vmcnt(56)
	v_fma_f64 v[147:148], v[1:2], v[195:196], -v[147:148]
	v_add_f64 v[125:126], v[125:126], v[129:130]
	v_fma_f64 v[129:130], v[3:4], v[195:196], v[187:188]
	v_add_f64 v[123:124], v[123:124], v[135:136]
	s_clause 0x2
	buffer_load_dword v186, off, s[0:3], 0 offset:780
	buffer_load_dword v136, off, s[0:3], 0 offset:756
	;; [unrolled: 1-line block ×3, first 2 shown]
	s_waitcnt vmcnt(58) lgkmcnt(0)
	v_mul_f64 v[187:188], v[5:6], v[155:156]
	v_mul_f64 v[155:156], v[7:8], v[155:156]
	ds_read_b128 v[1:4], v180 offset:1424
	s_waitcnt vmcnt(56)
	v_fma_f64 v[133:134], v[119:120], v[141:142], -v[133:134]
	v_fma_f64 v[141:142], v[121:122], v[141:142], v[200:201]
	v_add_f64 v[125:126], v[125:126], v[147:148]
	v_add_f64 v[123:124], v[123:124], v[129:130]
	s_clause 0x4
	buffer_load_dword v130, off, s[0:3], 0 offset:796
	buffer_load_dword v147, off, s[0:3], 0 offset:808
	;; [unrolled: 1-line block ×5, first 2 shown]
	ds_read_b128 v[119:122], v180 offset:1440
	s_waitcnt vmcnt(57) lgkmcnt(1)
	v_mul_f64 v[201:202], v[1:2], v[139:140]
	v_mul_f64 v[139:140], v[3:4], v[139:140]
	s_waitcnt vmcnt(56)
	v_fma_f64 v[155:156], v[5:6], v[181:182], -v[155:156]
	v_add_f64 v[125:126], v[125:126], v[133:134]
	v_fma_f64 v[133:134], v[7:8], v[181:182], v[187:188]
	v_add_f64 v[123:124], v[123:124], v[141:142]
	s_clause 0x2
	buffer_load_dword v148, off, s[0:3], 0 offset:812
	buffer_load_dword v142, off, s[0:3], 0 offset:788
	;; [unrolled: 1-line block ×3, first 2 shown]
	s_waitcnt vmcnt(58) lgkmcnt(0)
	v_mul_f64 v[181:182], v[119:120], v[161:162]
	v_mul_f64 v[161:162], v[121:122], v[161:162]
	ds_read_b128 v[5:8], v180 offset:1456
	s_waitcnt vmcnt(56)
	v_fma_f64 v[139:140], v[1:2], v[151:152], -v[139:140]
	v_fma_f64 v[151:152], v[3:4], v[151:152], v[201:202]
	v_add_f64 v[125:126], v[125:126], v[155:156]
	v_add_f64 v[123:124], v[123:124], v[133:134]
	s_clause 0x4
	buffer_load_dword v134, off, s[0:3], 0 offset:828
	buffer_load_dword v155, off, s[0:3], 0 offset:840
	;; [unrolled: 1-line block ×5, first 2 shown]
	ds_read_b128 v[1:4], v180 offset:1472
	s_waitcnt vmcnt(57) lgkmcnt(1)
	v_mul_f64 v[201:202], v[5:6], v[145:146]
	v_mul_f64 v[145:146], v[7:8], v[145:146]
	s_waitcnt vmcnt(56)
	v_fma_f64 v[161:162], v[119:120], v[163:164], -v[161:162]
	v_add_f64 v[125:126], v[125:126], v[139:140]
	v_fma_f64 v[139:140], v[121:122], v[163:164], v[181:182]
	v_add_f64 v[123:124], v[123:124], v[151:152]
	s_clause 0x2
	buffer_load_dword v156, off, s[0:3], 0 offset:844
	buffer_load_dword v152, off, s[0:3], 0 offset:820
	;; [unrolled: 1-line block ×3, first 2 shown]
	ds_read_b128 v[119:122], v180 offset:1488
	s_waitcnt vmcnt(58) lgkmcnt(1)
	v_mul_f64 v[163:164], v[1:2], v[169:170]
	v_mul_f64 v[169:170], v[3:4], v[169:170]
	s_waitcnt vmcnt(56)
	v_fma_f64 v[145:146], v[5:6], v[149:150], -v[145:146]
	v_fma_f64 v[149:150], v[7:8], v[149:150], v[201:202]
	v_add_f64 v[125:126], v[125:126], v[161:162]
	v_add_f64 v[123:124], v[123:124], v[139:140]
	s_clause 0x4
	buffer_load_dword v140, off, s[0:3], 0 offset:860
	buffer_load_dword v161, off, s[0:3], 0 offset:872
	;; [unrolled: 1-line block ×5, first 2 shown]
	ds_read_b128 v[5:8], v180 offset:1504
	s_waitcnt vmcnt(57) lgkmcnt(1)
	v_mul_f64 v[201:202], v[119:120], v[153:154]
	v_mul_f64 v[153:154], v[121:122], v[153:154]
	s_waitcnt vmcnt(56)
	v_fma_f64 v[169:170], v[1:2], v[171:172], -v[169:170]
	v_add_f64 v[125:126], v[125:126], v[145:146]
	v_fma_f64 v[145:146], v[3:4], v[171:172], v[163:164]
	v_add_f64 v[123:124], v[123:124], v[149:150]
	s_clause 0x2
	buffer_load_dword v162, off, s[0:3], 0 offset:876
	buffer_load_dword v150, off, s[0:3], 0 offset:852
	;; [unrolled: 1-line block ×3, first 2 shown]
	ds_read_b128 v[1:4], v180 offset:1520
	s_waitcnt vmcnt(58) lgkmcnt(1)
	v_mul_f64 v[171:172], v[7:8], v[175:176]
	v_mul_f64 v[163:164], v[5:6], v[175:176]
	s_waitcnt vmcnt(56)
	v_fma_f64 v[153:154], v[119:120], v[157:158], -v[153:154]
	v_fma_f64 v[157:158], v[121:122], v[157:158], v[201:202]
	v_add_f64 v[125:126], v[125:126], v[169:170]
	v_add_f64 v[123:124], v[123:124], v[145:146]
	s_clause 0x2
	buffer_load_dword v146, off, s[0:3], 0 offset:892
	buffer_load_dword v145, off, s[0:3], 0 offset:888
	buffer_load_dword v182, off, s[0:3], 0 offset:868
	ds_read_b128 v[119:122], v180 offset:1536
	s_waitcnt vmcnt(55) lgkmcnt(1)
	v_mul_f64 v[169:170], v[1:2], v[159:160]
	v_mul_f64 v[159:160], v[3:4], v[159:160]
	s_waitcnt vmcnt(54)
	v_fma_f64 v[171:172], v[5:6], v[177:178], -v[171:172]
	v_add_f64 v[125:126], v[125:126], v[153:154]
	v_fma_f64 v[153:154], v[7:8], v[177:178], v[163:164]
	v_add_f64 v[123:124], v[123:124], v[157:158]
	s_clause 0x1
	buffer_load_dword v158, off, s[0:3], 0 offset:884
	buffer_load_dword v157, off, s[0:3], 0 offset:880
	ds_read_b128 v[5:8], v180 offset:1552
	s_waitcnt vmcnt(55) lgkmcnt(1)
	v_mul_f64 v[163:164], v[119:120], v[165:166]
	v_mul_f64 v[165:166], v[121:122], v[165:166]
	s_waitcnt vmcnt(53)
	v_fma_f64 v[159:160], v[1:2], v[127:128], -v[159:160]
	v_fma_f64 v[127:128], v[3:4], v[127:128], v[169:170]
	ds_read_b128 v[1:4], v180 offset:1568
	v_add_f64 v[125:126], v[125:126], v[171:172]
	v_add_f64 v[123:124], v[123:124], v[153:154]
	s_waitcnt vmcnt(49) lgkmcnt(1)
	v_mul_f64 v[153:154], v[5:6], v[167:168]
	v_mul_f64 v[167:168], v[7:8], v[167:168]
	s_waitcnt vmcnt(48)
	v_fma_f64 v[165:166], v[119:120], v[189:190], -v[165:166]
	v_add_f64 v[125:126], v[125:126], v[159:160]
	v_fma_f64 v[159:160], v[121:122], v[189:190], v[163:164]
	v_add_f64 v[123:124], v[123:124], v[127:128]
	s_clause 0x3
	buffer_load_dword v127, off, s[0:3], 0 offset:144
	buffer_load_dword v128, off, s[0:3], 0 offset:148
	;; [unrolled: 1-line block ×4, first 2 shown]
	ds_read_b128 v[119:122], v180 offset:1584
	s_waitcnt vmcnt(51) lgkmcnt(1)
	v_mul_f64 v[171:172], v[3:4], v[183:184]
	v_mul_f64 v[169:170], v[1:2], v[183:184]
	s_waitcnt vmcnt(49)
	v_fma_f64 v[167:168], v[5:6], v[173:174], -v[167:168]
	v_fma_f64 v[153:154], v[7:8], v[173:174], v[153:154]
	ds_read_b128 v[5:8], v180 offset:1600
	v_add_f64 v[125:126], v[125:126], v[165:166]
	v_add_f64 v[123:124], v[123:124], v[159:160]
	s_waitcnt vmcnt(45) lgkmcnt(1)
	v_mul_f64 v[159:160], v[119:120], v[131:132]
	v_mul_f64 v[131:132], v[121:122], v[131:132]
	s_waitcnt vmcnt(44)
	v_fma_f64 v[165:166], v[1:2], v[193:194], -v[171:172]
	v_add_f64 v[125:126], v[125:126], v[167:168]
	v_fma_f64 v[167:168], v[3:4], v[193:194], v[169:170]
	v_add_f64 v[123:124], v[123:124], v[153:154]
	ds_read_b128 v[1:4], v180 offset:1616
	s_waitcnt vmcnt(43) lgkmcnt(1)
	v_mul_f64 v[169:170], v[7:8], v[191:192]
	v_mul_f64 v[153:154], v[5:6], v[191:192]
	s_waitcnt vmcnt(41)
	v_fma_f64 v[131:132], v[119:120], v[137:138], -v[131:132]
	v_fma_f64 v[137:138], v[121:122], v[137:138], v[159:160]
	ds_read_b128 v[119:122], v180 offset:1632
	v_add_f64 v[125:126], v[125:126], v[165:166]
	v_add_f64 v[123:124], v[123:124], v[167:168]
	s_waitcnt vmcnt(37) lgkmcnt(1)
	v_mul_f64 v[159:160], v[1:2], v[143:144]
	v_mul_f64 v[143:144], v[3:4], v[143:144]
	s_waitcnt vmcnt(36)
	v_fma_f64 v[165:166], v[5:6], v[197:198], -v[169:170]
	v_add_f64 v[125:126], v[125:126], v[131:132]
	v_fma_f64 v[131:132], v[7:8], v[197:198], v[153:154]
	v_add_f64 v[123:124], v[123:124], v[137:138]
	ds_read_b128 v[5:8], v180 offset:1648
	s_waitcnt vmcnt(35) lgkmcnt(1)
	v_mul_f64 v[153:154], v[121:122], v[185:186]
	v_mul_f64 v[137:138], v[119:120], v[185:186]
	s_waitcnt vmcnt(33)
	v_fma_f64 v[143:144], v[1:2], v[135:136], -v[143:144]
	v_fma_f64 v[135:136], v[3:4], v[135:136], v[159:160]
	ds_read_b128 v[1:4], v180 offset:1664
	v_add_f64 v[125:126], v[125:126], v[165:166]
	v_add_f64 v[123:124], v[123:124], v[131:132]
	s_waitcnt vmcnt(29) lgkmcnt(1)
	v_mul_f64 v[131:132], v[5:6], v[129:130]
	v_mul_f64 v[129:130], v[7:8], v[129:130]
	s_waitcnt vmcnt(28)
	v_fma_f64 v[153:154], v[119:120], v[199:200], -v[153:154]
	v_fma_f64 v[137:138], v[121:122], v[199:200], v[137:138]
	ds_read_b128 v[119:122], v180 offset:1680
	v_add_f64 v[125:126], v[125:126], v[143:144]
	v_add_f64 v[123:124], v[123:124], v[135:136]
	;; [unrolled: 9-line block ×3, first 2 shown]
	s_waitcnt vmcnt(21) lgkmcnt(1)
	v_mul_f64 v[137:138], v[119:120], v[133:134]
	v_mul_f64 v[133:134], v[121:122], v[133:134]
	s_waitcnt vmcnt(20)
	v_fma_f64 v[141:142], v[1:2], v[195:196], -v[143:144]
	v_add_f64 v[125:126], v[125:126], v[129:130]
	v_fma_f64 v[129:130], v[3:4], v[195:196], v[135:136]
	v_add_f64 v[123:124], v[123:124], v[131:132]
	ds_read_b128 v[1:4], v180 offset:1712
	s_waitcnt vmcnt(19) lgkmcnt(1)
	v_mul_f64 v[135:136], v[7:8], v[155:156]
	v_mul_f64 v[131:132], v[5:6], v[155:156]
	s_waitcnt vmcnt(17)
	v_fma_f64 v[133:134], v[119:120], v[151:152], -v[133:134]
	v_fma_f64 v[137:138], v[121:122], v[151:152], v[137:138]
	ds_read_b128 v[119:122], v180 offset:1728
	v_add_f64 v[125:126], v[125:126], v[141:142]
	v_add_f64 v[123:124], v[123:124], v[129:130]
	s_waitcnt vmcnt(13) lgkmcnt(1)
	v_mul_f64 v[129:130], v[1:2], v[139:140]
	v_mul_f64 v[139:140], v[3:4], v[139:140]
	s_waitcnt vmcnt(12)
	v_fma_f64 v[135:136], v[5:6], v[187:188], -v[135:136]
	v_fma_f64 v[131:132], v[7:8], v[187:188], v[131:132]
	ds_read_b128 v[5:8], v180 offset:1744
	v_add_f64 v[125:126], v[125:126], v[133:134]
	v_add_f64 v[123:124], v[123:124], v[137:138]
	s_waitcnt vmcnt(11) lgkmcnt(1)
	v_mul_f64 v[137:138], v[121:122], v[161:162]
	v_mul_f64 v[133:134], v[119:120], v[161:162]
	s_waitcnt vmcnt(9)
	v_fma_f64 v[1:2], v[1:2], v[149:150], -v[139:140]
	v_fma_f64 v[3:4], v[3:4], v[149:150], v[129:130]
	v_add_f64 v[125:126], v[125:126], v[135:136]
	v_add_f64 v[123:124], v[123:124], v[131:132]
	s_waitcnt vmcnt(7) lgkmcnt(0)
	v_mul_f64 v[131:132], v[7:8], v[145:146]
	s_waitcnt vmcnt(6)
	v_fma_f64 v[119:120], v[119:120], v[181:182], -v[137:138]
	v_mul_f64 v[129:130], v[5:6], v[145:146]
	v_fma_f64 v[121:122], v[121:122], v[181:182], v[133:134]
	v_add_f64 v[1:2], v[125:126], v[1:2]
	v_add_f64 v[3:4], v[123:124], v[3:4]
	s_waitcnt vmcnt(4)
	v_fma_f64 v[5:6], v[5:6], v[157:158], -v[131:132]
	v_fma_f64 v[7:8], v[7:8], v[157:158], v[129:130]
	v_add_f64 v[1:2], v[1:2], v[119:120]
	v_add_f64 v[3:4], v[3:4], v[121:122]
	;; [unrolled: 1-line block ×4, first 2 shown]
	s_waitcnt vmcnt(2)
	v_add_f64 v[1:2], v[127:128], -v[1:2]
	s_waitcnt vmcnt(0)
	v_add_f64 v[3:4], v[163:164], -v[3:4]
	buffer_store_dword v2, off, s[0:3], 0 offset:148
	buffer_store_dword v1, off, s[0:3], 0 offset:144
	;; [unrolled: 1-line block ×4, first 2 shown]
	v_cmpx_lt_u32_e32 7, v0
	s_cbranch_execz .LBB118_329
; %bb.328:
	v_mov_b32_e32 v4, s60
	v_mov_b32_e32 v5, 0
	s_clause 0x3
	buffer_load_dword v1, v4, s[0:3], 0 offen
	buffer_load_dword v2, v4, s[0:3], 0 offen offset:4
	buffer_load_dword v3, v4, s[0:3], 0 offen offset:8
	buffer_load_dword v4, v4, s[0:3], 0 offen offset:12
	buffer_store_dword v5, off, s[0:3], 0 offset:128
	buffer_store_dword v5, off, s[0:3], 0 offset:132
	;; [unrolled: 1-line block ×4, first 2 shown]
	s_waitcnt vmcnt(0)
	ds_write_b128 v179, v[1:4]
.LBB118_329:
	s_or_b32 exec_lo, exec_lo, s4
	s_waitcnt lgkmcnt(0)
	s_waitcnt_vscnt null, 0x0
	s_barrier
	buffer_gl0_inv
	s_clause 0x37
	buffer_load_dword v127, off, s[0:3], 0 offset:152
	buffer_load_dword v128, off, s[0:3], 0 offset:156
	;; [unrolled: 1-line block ×56, first 2 shown]
	v_mov_b32_e32 v180, 0
	s_mov_b32 s4, exec_lo
	ds_read_b128 v[5:8], v180 offset:1008
	s_clause 0x2
	buffer_load_dword v176, off, s[0:3], 0 offset:380
	buffer_load_dword v178, off, s[0:3], 0 offset:356
	;; [unrolled: 1-line block ×3, first 2 shown]
	ds_read_b128 v[1:4], v180 offset:1024
	s_clause 0x4
	buffer_load_dword v188, off, s[0:3], 0 offset:396
	buffer_load_dword v189, off, s[0:3], 0 offset:408
	buffer_load_dword v191, off, s[0:3], 0 offset:400
	buffer_load_dword v187, off, s[0:3], 0 offset:392
	buffer_load_dword v168, off, s[0:3], 0 offset:372
	ds_read_b128 v[181:184], v180 offset:1040
	s_waitcnt vmcnt(62) lgkmcnt(2)
	v_mul_f64 v[185:186], v[7:8], v[127:128]
	v_mul_f64 v[127:128], v[5:6], v[127:128]
	s_waitcnt vmcnt(60) lgkmcnt(1)
	v_mul_f64 v[192:193], v[3:4], v[123:124]
	v_mul_f64 v[123:124], v[1:2], v[123:124]
	;; [unrolled: 3-line block ×3, first 2 shown]
	v_fma_f64 v[185:186], v[5:6], v[125:126], -v[185:186]
	v_fma_f64 v[125:126], v[7:8], v[125:126], v[127:128]
	s_clause 0x2
	buffer_load_dword v190, off, s[0:3], 0 offset:412
	buffer_load_dword v128, off, s[0:3], 0 offset:388
	;; [unrolled: 1-line block ×3, first 2 shown]
	s_waitcnt vmcnt(57)
	v_fma_f64 v[196:197], v[1:2], v[119:120], -v[192:193]
	ds_read_b128 v[5:8], v180 offset:1056
	v_fma_f64 v[119:120], v[3:4], v[119:120], v[123:124]
	s_waitcnt vmcnt(51)
	v_fma_f64 v[181:182], v[181:182], v[143:144], -v[121:122]
	v_fma_f64 v[143:144], v[183:184], v[143:144], v[194:195]
	v_add_f64 v[185:186], v[185:186], 0
	v_add_f64 v[123:124], v[125:126], 0
	s_clause 0x4
	buffer_load_dword v126, off, s[0:3], 0 offset:428
	buffer_load_dword v193, off, s[0:3], 0 offset:440
	;; [unrolled: 1-line block ×5, first 2 shown]
	s_waitcnt lgkmcnt(0)
	v_mul_f64 v[199:200], v[5:6], v[131:132]
	v_mul_f64 v[131:132], v[7:8], v[131:132]
	ds_read_b128 v[1:4], v180 offset:1072
	s_clause 0x2
	buffer_load_dword v194, off, s[0:3], 0 offset:444
	buffer_load_dword v184, off, s[0:3], 0 offset:420
	;; [unrolled: 1-line block ×3, first 2 shown]
	v_add_f64 v[185:186], v[185:186], v[196:197]
	v_add_f64 v[123:124], v[123:124], v[119:120]
	ds_read_b128 v[119:122], v180 offset:1088
	s_waitcnt vmcnt(58) lgkmcnt(1)
	v_mul_f64 v[195:196], v[1:2], v[135:136]
	v_mul_f64 v[135:136], v[3:4], v[135:136]
	s_waitcnt vmcnt(56)
	v_fma_f64 v[131:132], v[5:6], v[137:138], -v[131:132]
	v_fma_f64 v[137:138], v[7:8], v[137:138], v[199:200]
	s_waitcnt vmcnt(52) lgkmcnt(0)
	v_mul_f64 v[201:202], v[119:120], v[139:140]
	v_add_f64 v[181:182], v[185:186], v[181:182]
	v_add_f64 v[123:124], v[123:124], v[143:144]
	s_clause 0x4
	buffer_load_dword v144, off, s[0:3], 0 offset:460
	buffer_load_dword v185, off, s[0:3], 0 offset:472
	;; [unrolled: 1-line block ×5, first 2 shown]
	v_mul_f64 v[139:140], v[121:122], v[139:140]
	s_waitcnt vmcnt(56)
	v_fma_f64 v[135:136], v[1:2], v[129:130], -v[135:136]
	ds_read_b128 v[5:8], v180 offset:1104
	v_fma_f64 v[129:130], v[3:4], v[129:130], v[195:196]
	v_add_f64 v[131:132], v[181:182], v[131:132]
	v_add_f64 v[123:124], v[123:124], v[137:138]
	s_clause 0x2
	buffer_load_dword v186, off, s[0:3], 0 offset:476
	buffer_load_dword v138, off, s[0:3], 0 offset:452
	;; [unrolled: 1-line block ×3, first 2 shown]
	s_waitcnt vmcnt(58) lgkmcnt(0)
	v_mul_f64 v[181:182], v[5:6], v[145:146]
	v_mul_f64 v[145:146], v[7:8], v[145:146]
	s_waitcnt vmcnt(56)
	v_fma_f64 v[139:140], v[119:120], v[147:148], -v[139:140]
	ds_read_b128 v[1:4], v180 offset:1120
	v_add_f64 v[131:132], v[131:132], v[135:136]
	v_fma_f64 v[135:136], v[121:122], v[147:148], v[201:202]
	v_add_f64 v[123:124], v[123:124], v[129:130]
	s_clause 0x4
	buffer_load_dword v130, off, s[0:3], 0 offset:492
	buffer_load_dword v147, off, s[0:3], 0 offset:504
	;; [unrolled: 1-line block ×5, first 2 shown]
	s_waitcnt vmcnt(57) lgkmcnt(0)
	v_mul_f64 v[196:197], v[1:2], v[149:150]
	v_mul_f64 v[149:150], v[3:4], v[149:150]
	s_waitcnt vmcnt(56)
	v_fma_f64 v[145:146], v[5:6], v[133:134], -v[145:146]
	ds_read_b128 v[119:122], v180 offset:1136
	v_fma_f64 v[133:134], v[7:8], v[133:134], v[181:182]
	v_add_f64 v[131:132], v[131:132], v[139:140]
	v_add_f64 v[123:124], v[123:124], v[135:136]
	s_clause 0x2
	buffer_load_dword v148, off, s[0:3], 0 offset:508
	buffer_load_dword v136, off, s[0:3], 0 offset:484
	buffer_load_dword v135, off, s[0:3], 0 offset:480
	ds_read_b128 v[5:8], v180 offset:1152
	s_waitcnt vmcnt(58) lgkmcnt(1)
	v_mul_f64 v[139:140], v[119:120], v[153:154]
	v_mul_f64 v[153:154], v[121:122], v[153:154]
	s_waitcnt vmcnt(56)
	v_fma_f64 v[149:150], v[1:2], v[155:156], -v[149:150]
	v_add_f64 v[131:132], v[131:132], v[145:146]
	v_fma_f64 v[145:146], v[3:4], v[155:156], v[196:197]
	v_add_f64 v[123:124], v[123:124], v[133:134]
	s_clause 0x4
	buffer_load_dword v134, off, s[0:3], 0 offset:524
	buffer_load_dword v155, off, s[0:3], 0 offset:536
	;; [unrolled: 1-line block ×5, first 2 shown]
	s_waitcnt vmcnt(57) lgkmcnt(0)
	v_mul_f64 v[202:203], v[5:6], v[157:158]
	v_mul_f64 v[157:158], v[7:8], v[157:158]
	s_waitcnt vmcnt(56)
	v_fma_f64 v[153:154], v[119:120], v[141:142], -v[153:154]
	ds_read_b128 v[1:4], v180 offset:1168
	v_fma_f64 v[139:140], v[121:122], v[141:142], v[139:140]
	s_clause 0x2
	buffer_load_dword v156, off, s[0:3], 0 offset:540
	buffer_load_dword v142, off, s[0:3], 0 offset:516
	;; [unrolled: 1-line block ×3, first 2 shown]
	ds_read_b128 v[119:122], v180 offset:1184
	v_add_f64 v[131:132], v[131:132], v[149:150]
	v_add_f64 v[123:124], v[123:124], v[145:146]
	s_waitcnt vmcnt(58) lgkmcnt(1)
	v_mul_f64 v[149:150], v[3:4], v[161:162]
	s_waitcnt vmcnt(56)
	v_fma_f64 v[157:158], v[5:6], v[163:164], -v[157:158]
	v_mul_f64 v[145:146], v[1:2], v[161:162]
	v_add_f64 v[131:132], v[131:132], v[153:154]
	v_fma_f64 v[153:154], v[7:8], v[163:164], v[202:203]
	v_add_f64 v[123:124], v[123:124], v[139:140]
	s_clause 0x4
	buffer_load_dword v140, off, s[0:3], 0 offset:556
	buffer_load_dword v161, off, s[0:3], 0 offset:568
	;; [unrolled: 1-line block ×5, first 2 shown]
	s_waitcnt vmcnt(57) lgkmcnt(0)
	v_mul_f64 v[202:203], v[119:120], v[165:166]
	v_mul_f64 v[164:165], v[121:122], v[165:166]
	s_waitcnt vmcnt(56)
	v_fma_f64 v[149:150], v[1:2], v[151:152], -v[149:150]
	ds_read_b128 v[5:8], v180 offset:1200
	v_fma_f64 v[145:146], v[3:4], v[151:152], v[145:146]
	s_clause 0x2
	buffer_load_dword v162, off, s[0:3], 0 offset:572
	buffer_load_dword v152, off, s[0:3], 0 offset:548
	;; [unrolled: 1-line block ×3, first 2 shown]
	ds_read_b128 v[1:4], v180 offset:1216
	v_add_f64 v[131:132], v[131:132], v[157:158]
	v_add_f64 v[123:124], v[123:124], v[153:154]
	s_waitcnt vmcnt(58) lgkmcnt(1)
	v_mul_f64 v[157:158], v[7:8], v[169:170]
	s_waitcnt vmcnt(56)
	v_fma_f64 v[165:166], v[119:120], v[171:172], -v[164:165]
	v_mul_f64 v[153:154], v[5:6], v[169:170]
	v_add_f64 v[131:132], v[131:132], v[149:150]
	v_fma_f64 v[149:150], v[121:122], v[171:172], v[202:203]
	v_add_f64 v[123:124], v[123:124], v[145:146]
	s_clause 0x4
	buffer_load_dword v146, off, s[0:3], 0 offset:588
	buffer_load_dword v169, off, s[0:3], 0 offset:600
	;; [unrolled: 1-line block ×5, first 2 shown]
	s_waitcnt vmcnt(57) lgkmcnt(0)
	v_mul_f64 v[202:203], v[1:2], v[173:174]
	v_mul_f64 v[172:173], v[3:4], v[173:174]
	s_waitcnt vmcnt(56)
	v_fma_f64 v[157:158], v[5:6], v[159:160], -v[157:158]
	ds_read_b128 v[119:122], v180 offset:1232
	v_fma_f64 v[153:154], v[7:8], v[159:160], v[153:154]
	v_add_f64 v[131:132], v[131:132], v[165:166]
	v_add_f64 v[123:124], v[123:124], v[149:150]
	s_clause 0x2
	buffer_load_dword v170, off, s[0:3], 0 offset:604
	buffer_load_dword v150, off, s[0:3], 0 offset:580
	;; [unrolled: 1-line block ×3, first 2 shown]
	ds_read_b128 v[5:8], v180 offset:1248
	s_waitcnt vmcnt(58) lgkmcnt(1)
	v_mul_f64 v[165:166], v[121:122], v[175:176]
	s_waitcnt vmcnt(56)
	v_fma_f64 v[173:174], v[1:2], v[177:178], -v[172:173]
	v_mul_f64 v[159:160], v[119:120], v[175:176]
	v_add_f64 v[131:132], v[131:132], v[157:158]
	v_fma_f64 v[157:158], v[3:4], v[177:178], v[202:203]
	v_add_f64 v[123:124], v[123:124], v[153:154]
	s_clause 0x4
	buffer_load_dword v154, off, s[0:3], 0 offset:620
	buffer_load_dword v175, off, s[0:3], 0 offset:632
	;; [unrolled: 1-line block ×5, first 2 shown]
	s_waitcnt vmcnt(57) lgkmcnt(0)
	v_mul_f64 v[202:203], v[5:6], v[187:188]
	v_mul_f64 v[187:188], v[7:8], v[187:188]
	s_waitcnt vmcnt(56)
	v_fma_f64 v[165:166], v[119:120], v[167:168], -v[165:166]
	ds_read_b128 v[1:4], v180 offset:1264
	v_fma_f64 v[159:160], v[121:122], v[167:168], v[159:160]
	v_add_f64 v[131:132], v[131:132], v[173:174]
	v_add_f64 v[123:124], v[123:124], v[157:158]
	s_clause 0x2
	buffer_load_dword v176, off, s[0:3], 0 offset:636
	buffer_load_dword v158, off, s[0:3], 0 offset:612
	;; [unrolled: 1-line block ×3, first 2 shown]
	ds_read_b128 v[119:122], v180 offset:1280
	s_waitcnt vmcnt(58) lgkmcnt(1)
	v_mul_f64 v[173:174], v[3:4], v[189:190]
	v_mul_f64 v[167:168], v[1:2], v[189:190]
	s_waitcnt vmcnt(56)
	v_fma_f64 v[187:188], v[5:6], v[127:128], -v[187:188]
	v_fma_f64 v[127:128], v[7:8], v[127:128], v[202:203]
	v_add_f64 v[131:132], v[131:132], v[165:166]
	v_add_f64 v[123:124], v[123:124], v[159:160]
	s_clause 0x4
	buffer_load_dword v160, off, s[0:3], 0 offset:652
	buffer_load_dword v165, off, s[0:3], 0 offset:664
	;; [unrolled: 1-line block ×5, first 2 shown]
	ds_read_b128 v[5:8], v180 offset:1296
	s_waitcnt vmcnt(57) lgkmcnt(1)
	v_mul_f64 v[202:203], v[119:120], v[125:126]
	v_mul_f64 v[125:126], v[121:122], v[125:126]
	s_waitcnt vmcnt(56)
	v_fma_f64 v[173:174], v[1:2], v[191:192], -v[173:174]
	v_fma_f64 v[167:168], v[3:4], v[191:192], v[167:168]
	v_add_f64 v[131:132], v[131:132], v[187:188]
	v_add_f64 v[123:124], v[123:124], v[127:128]
	s_clause 0x2
	buffer_load_dword v166, off, s[0:3], 0 offset:668
	buffer_load_dword v128, off, s[0:3], 0 offset:644
	;; [unrolled: 1-line block ×3, first 2 shown]
	s_waitcnt vmcnt(58) lgkmcnt(0)
	v_mul_f64 v[191:192], v[7:8], v[193:194]
	ds_read_b128 v[1:4], v180 offset:1312
	v_mul_f64 v[187:188], v[5:6], v[193:194]
	s_waitcnt vmcnt(56)
	v_fma_f64 v[125:126], v[119:120], v[183:184], -v[125:126]
	v_add_f64 v[131:132], v[131:132], v[173:174]
	v_fma_f64 v[173:174], v[121:122], v[183:184], v[202:203]
	v_add_f64 v[123:124], v[123:124], v[167:168]
	s_clause 0x4
	buffer_load_dword v168, off, s[0:3], 0 offset:684
	buffer_load_dword v183, off, s[0:3], 0 offset:696
	;; [unrolled: 1-line block ×5, first 2 shown]
	ds_read_b128 v[119:122], v180 offset:1328
	s_waitcnt vmcnt(57) lgkmcnt(1)
	v_mul_f64 v[202:203], v[1:2], v[143:144]
	v_mul_f64 v[143:144], v[3:4], v[143:144]
	s_waitcnt vmcnt(56)
	v_fma_f64 v[191:192], v[5:6], v[198:199], -v[191:192]
	v_add_f64 v[125:126], v[131:132], v[125:126]
	v_fma_f64 v[131:132], v[7:8], v[198:199], v[187:188]
	v_add_f64 v[123:124], v[123:124], v[173:174]
	s_clause 0x2
	buffer_load_dword v184, off, s[0:3], 0 offset:700
	buffer_load_dword v174, off, s[0:3], 0 offset:676
	;; [unrolled: 1-line block ×3, first 2 shown]
	ds_read_b128 v[5:8], v180 offset:1344
	s_waitcnt vmcnt(58) lgkmcnt(1)
	v_mul_f64 v[187:188], v[119:120], v[185:186]
	v_mul_f64 v[185:186], v[121:122], v[185:186]
	s_waitcnt vmcnt(56)
	v_fma_f64 v[143:144], v[1:2], v[137:138], -v[143:144]
	v_fma_f64 v[137:138], v[3:4], v[137:138], v[202:203]
	v_add_f64 v[125:126], v[125:126], v[191:192]
	v_add_f64 v[123:124], v[123:124], v[131:132]
	s_clause 0x4
	buffer_load_dword v132, off, s[0:3], 0 offset:716
	buffer_load_dword v191, off, s[0:3], 0 offset:728
	;; [unrolled: 1-line block ×5, first 2 shown]
	ds_read_b128 v[1:4], v180 offset:1360
	s_waitcnt vmcnt(57) lgkmcnt(1)
	v_mul_f64 v[198:199], v[5:6], v[129:130]
	v_mul_f64 v[129:130], v[7:8], v[129:130]
	s_waitcnt vmcnt(56)
	v_fma_f64 v[185:186], v[119:120], v[200:201], -v[185:186]
	v_add_f64 v[125:126], v[125:126], v[143:144]
	v_fma_f64 v[143:144], v[121:122], v[200:201], v[187:188]
	v_add_f64 v[123:124], v[123:124], v[137:138]
	s_clause 0x2
	buffer_load_dword v192, off, s[0:3], 0 offset:732
	buffer_load_dword v138, off, s[0:3], 0 offset:708
	buffer_load_dword v137, off, s[0:3], 0 offset:704
	ds_read_b128 v[119:122], v180 offset:1376
	s_waitcnt vmcnt(58) lgkmcnt(1)
	v_mul_f64 v[187:188], v[1:2], v[147:148]
	v_mul_f64 v[147:148], v[3:4], v[147:148]
	s_waitcnt vmcnt(56)
	v_fma_f64 v[129:130], v[5:6], v[135:136], -v[129:130]
	v_fma_f64 v[135:136], v[7:8], v[135:136], v[198:199]
	v_add_f64 v[125:126], v[125:126], v[185:186]
	v_add_f64 v[123:124], v[123:124], v[143:144]
	s_clause 0x4
	buffer_load_dword v144, off, s[0:3], 0 offset:748
	buffer_load_dword v185, off, s[0:3], 0 offset:760
	;; [unrolled: 1-line block ×5, first 2 shown]
	ds_read_b128 v[5:8], v180 offset:1392
	s_waitcnt vmcnt(57) lgkmcnt(1)
	v_mul_f64 v[200:201], v[119:120], v[133:134]
	v_mul_f64 v[133:134], v[121:122], v[133:134]
	s_waitcnt vmcnt(56)
	v_fma_f64 v[147:148], v[1:2], v[195:196], -v[147:148]
	v_add_f64 v[125:126], v[125:126], v[129:130]
	v_fma_f64 v[129:130], v[3:4], v[195:196], v[187:188]
	v_add_f64 v[123:124], v[123:124], v[135:136]
	s_clause 0x2
	buffer_load_dword v186, off, s[0:3], 0 offset:764
	buffer_load_dword v136, off, s[0:3], 0 offset:740
	;; [unrolled: 1-line block ×3, first 2 shown]
	s_waitcnt vmcnt(58) lgkmcnt(0)
	v_mul_f64 v[187:188], v[5:6], v[155:156]
	v_mul_f64 v[155:156], v[7:8], v[155:156]
	ds_read_b128 v[1:4], v180 offset:1408
	s_waitcnt vmcnt(56)
	v_fma_f64 v[133:134], v[119:120], v[141:142], -v[133:134]
	v_fma_f64 v[141:142], v[121:122], v[141:142], v[200:201]
	v_add_f64 v[125:126], v[125:126], v[147:148]
	v_add_f64 v[123:124], v[123:124], v[129:130]
	s_clause 0x4
	buffer_load_dword v130, off, s[0:3], 0 offset:780
	buffer_load_dword v147, off, s[0:3], 0 offset:792
	;; [unrolled: 1-line block ×5, first 2 shown]
	ds_read_b128 v[119:122], v180 offset:1424
	s_waitcnt vmcnt(57) lgkmcnt(1)
	v_mul_f64 v[201:202], v[1:2], v[139:140]
	v_mul_f64 v[139:140], v[3:4], v[139:140]
	s_waitcnt vmcnt(56)
	v_fma_f64 v[155:156], v[5:6], v[181:182], -v[155:156]
	v_add_f64 v[125:126], v[125:126], v[133:134]
	v_fma_f64 v[133:134], v[7:8], v[181:182], v[187:188]
	v_add_f64 v[123:124], v[123:124], v[141:142]
	s_clause 0x2
	buffer_load_dword v148, off, s[0:3], 0 offset:796
	buffer_load_dword v142, off, s[0:3], 0 offset:772
	buffer_load_dword v141, off, s[0:3], 0 offset:768
	s_waitcnt vmcnt(58) lgkmcnt(0)
	v_mul_f64 v[181:182], v[119:120], v[161:162]
	v_mul_f64 v[161:162], v[121:122], v[161:162]
	ds_read_b128 v[5:8], v180 offset:1440
	s_waitcnt vmcnt(56)
	v_fma_f64 v[139:140], v[1:2], v[151:152], -v[139:140]
	v_fma_f64 v[151:152], v[3:4], v[151:152], v[201:202]
	v_add_f64 v[125:126], v[125:126], v[155:156]
	v_add_f64 v[123:124], v[123:124], v[133:134]
	s_clause 0x4
	buffer_load_dword v134, off, s[0:3], 0 offset:812
	buffer_load_dword v155, off, s[0:3], 0 offset:824
	;; [unrolled: 1-line block ×5, first 2 shown]
	ds_read_b128 v[1:4], v180 offset:1456
	s_waitcnt vmcnt(57) lgkmcnt(1)
	v_mul_f64 v[201:202], v[5:6], v[145:146]
	v_mul_f64 v[145:146], v[7:8], v[145:146]
	s_waitcnt vmcnt(56)
	v_fma_f64 v[161:162], v[119:120], v[163:164], -v[161:162]
	v_add_f64 v[125:126], v[125:126], v[139:140]
	v_fma_f64 v[139:140], v[121:122], v[163:164], v[181:182]
	v_add_f64 v[123:124], v[123:124], v[151:152]
	s_clause 0x2
	buffer_load_dword v156, off, s[0:3], 0 offset:828
	buffer_load_dword v152, off, s[0:3], 0 offset:804
	;; [unrolled: 1-line block ×3, first 2 shown]
	ds_read_b128 v[119:122], v180 offset:1472
	s_waitcnt vmcnt(58) lgkmcnt(1)
	v_mul_f64 v[163:164], v[1:2], v[169:170]
	v_mul_f64 v[169:170], v[3:4], v[169:170]
	s_waitcnt vmcnt(56)
	v_fma_f64 v[145:146], v[5:6], v[149:150], -v[145:146]
	v_fma_f64 v[149:150], v[7:8], v[149:150], v[201:202]
	v_add_f64 v[125:126], v[125:126], v[161:162]
	v_add_f64 v[123:124], v[123:124], v[139:140]
	s_clause 0x4
	buffer_load_dword v140, off, s[0:3], 0 offset:844
	buffer_load_dword v161, off, s[0:3], 0 offset:856
	;; [unrolled: 1-line block ×5, first 2 shown]
	ds_read_b128 v[5:8], v180 offset:1488
	s_waitcnt vmcnt(57) lgkmcnt(1)
	v_mul_f64 v[201:202], v[119:120], v[153:154]
	v_mul_f64 v[153:154], v[121:122], v[153:154]
	s_waitcnt vmcnt(56)
	v_fma_f64 v[169:170], v[1:2], v[171:172], -v[169:170]
	v_add_f64 v[125:126], v[125:126], v[145:146]
	v_fma_f64 v[145:146], v[3:4], v[171:172], v[163:164]
	v_add_f64 v[123:124], v[123:124], v[149:150]
	s_clause 0x2
	buffer_load_dword v162, off, s[0:3], 0 offset:860
	buffer_load_dword v150, off, s[0:3], 0 offset:836
	;; [unrolled: 1-line block ×3, first 2 shown]
	ds_read_b128 v[1:4], v180 offset:1504
	s_waitcnt vmcnt(58) lgkmcnt(1)
	v_mul_f64 v[171:172], v[7:8], v[175:176]
	v_mul_f64 v[163:164], v[5:6], v[175:176]
	s_waitcnt vmcnt(56)
	v_fma_f64 v[153:154], v[119:120], v[157:158], -v[153:154]
	v_fma_f64 v[157:158], v[121:122], v[157:158], v[201:202]
	v_add_f64 v[125:126], v[125:126], v[169:170]
	v_add_f64 v[123:124], v[123:124], v[145:146]
	s_clause 0x4
	buffer_load_dword v146, off, s[0:3], 0 offset:876
	buffer_load_dword v169, off, s[0:3], 0 offset:888
	;; [unrolled: 1-line block ×5, first 2 shown]
	ds_read_b128 v[119:122], v180 offset:1520
	s_waitcnt vmcnt(57) lgkmcnt(1)
	v_mul_f64 v[201:202], v[1:2], v[159:160]
	v_mul_f64 v[159:160], v[3:4], v[159:160]
	s_waitcnt vmcnt(56)
	v_fma_f64 v[171:172], v[5:6], v[177:178], -v[171:172]
	v_add_f64 v[125:126], v[125:126], v[153:154]
	v_fma_f64 v[153:154], v[7:8], v[177:178], v[163:164]
	v_add_f64 v[123:124], v[123:124], v[157:158]
	s_clause 0x2
	buffer_load_dword v170, off, s[0:3], 0 offset:892
	buffer_load_dword v158, off, s[0:3], 0 offset:868
	;; [unrolled: 1-line block ×3, first 2 shown]
	ds_read_b128 v[5:8], v180 offset:1536
	buffer_load_dword v176, off, s[0:3], 0 offset:884
	s_waitcnt vmcnt(59) lgkmcnt(1)
	v_mul_f64 v[163:164], v[119:120], v[165:166]
	v_mul_f64 v[165:166], v[121:122], v[165:166]
	s_waitcnt vmcnt(57)
	v_fma_f64 v[159:160], v[1:2], v[127:128], -v[159:160]
	v_fma_f64 v[127:128], v[3:4], v[127:128], v[201:202]
	ds_read_b128 v[1:4], v180 offset:1552
	v_add_f64 v[125:126], v[125:126], v[171:172]
	v_add_f64 v[123:124], v[123:124], v[153:154]
	s_waitcnt vmcnt(53) lgkmcnt(1)
	v_mul_f64 v[153:154], v[5:6], v[167:168]
	v_mul_f64 v[167:168], v[7:8], v[167:168]
	s_waitcnt vmcnt(52)
	v_fma_f64 v[165:166], v[119:120], v[189:190], -v[165:166]
	v_add_f64 v[125:126], v[125:126], v[159:160]
	v_fma_f64 v[159:160], v[121:122], v[189:190], v[163:164]
	v_add_f64 v[123:124], v[123:124], v[127:128]
	ds_read_b128 v[119:122], v180 offset:1568
	s_waitcnt vmcnt(51) lgkmcnt(1)
	v_mul_f64 v[163:164], v[3:4], v[183:184]
	v_mul_f64 v[127:128], v[1:2], v[183:184]
	s_waitcnt vmcnt(49)
	v_fma_f64 v[167:168], v[5:6], v[173:174], -v[167:168]
	v_fma_f64 v[153:154], v[7:8], v[173:174], v[153:154]
	v_add_f64 v[125:126], v[125:126], v[165:166]
	v_add_f64 v[123:124], v[123:124], v[159:160]
	s_clause 0x3
	buffer_load_dword v159, off, s[0:3], 0 offset:128
	buffer_load_dword v160, off, s[0:3], 0 offset:132
	;; [unrolled: 1-line block ×4, first 2 shown]
	ds_read_b128 v[5:8], v180 offset:1584
	s_waitcnt vmcnt(49) lgkmcnt(1)
	v_mul_f64 v[171:172], v[119:120], v[131:132]
	v_mul_f64 v[131:132], v[121:122], v[131:132]
	s_waitcnt vmcnt(48)
	v_fma_f64 v[163:164], v[1:2], v[193:194], -v[163:164]
	v_fma_f64 v[127:128], v[3:4], v[193:194], v[127:128]
	ds_read_b128 v[1:4], v180 offset:1600
	v_add_f64 v[125:126], v[125:126], v[167:168]
	v_add_f64 v[123:124], v[123:124], v[153:154]
	s_waitcnt vmcnt(47) lgkmcnt(1)
	v_mul_f64 v[167:168], v[7:8], v[191:192]
	v_mul_f64 v[153:154], v[5:6], v[191:192]
	s_waitcnt vmcnt(45)
	v_fma_f64 v[131:132], v[119:120], v[137:138], -v[131:132]
	v_fma_f64 v[137:138], v[121:122], v[137:138], v[171:172]
	ds_read_b128 v[119:122], v180 offset:1616
	v_add_f64 v[125:126], v[125:126], v[163:164]
	v_add_f64 v[123:124], v[123:124], v[127:128]
	s_waitcnt vmcnt(41) lgkmcnt(1)
	v_mul_f64 v[127:128], v[1:2], v[143:144]
	v_mul_f64 v[143:144], v[3:4], v[143:144]
	s_waitcnt vmcnt(40)
	v_fma_f64 v[163:164], v[5:6], v[197:198], -v[167:168]
	v_add_f64 v[125:126], v[125:126], v[131:132]
	v_fma_f64 v[131:132], v[7:8], v[197:198], v[153:154]
	v_add_f64 v[123:124], v[123:124], v[137:138]
	ds_read_b128 v[5:8], v180 offset:1632
	s_waitcnt vmcnt(39) lgkmcnt(1)
	v_mul_f64 v[153:154], v[121:122], v[185:186]
	v_mul_f64 v[137:138], v[119:120], v[185:186]
	s_waitcnt vmcnt(37)
	v_fma_f64 v[143:144], v[1:2], v[135:136], -v[143:144]
	v_fma_f64 v[127:128], v[3:4], v[135:136], v[127:128]
	ds_read_b128 v[1:4], v180 offset:1648
	v_add_f64 v[125:126], v[125:126], v[163:164]
	v_add_f64 v[123:124], v[123:124], v[131:132]
	s_waitcnt vmcnt(33) lgkmcnt(1)
	v_mul_f64 v[131:132], v[5:6], v[129:130]
	v_mul_f64 v[129:130], v[7:8], v[129:130]
	s_waitcnt vmcnt(32)
	v_fma_f64 v[135:136], v[119:120], v[199:200], -v[153:154]
	v_fma_f64 v[137:138], v[121:122], v[199:200], v[137:138]
	ds_read_b128 v[119:122], v180 offset:1664
	v_add_f64 v[125:126], v[125:126], v[143:144]
	v_add_f64 v[123:124], v[123:124], v[127:128]
	;; [unrolled: 9-line block ×5, first 2 shown]
	s_waitcnt vmcnt(17) lgkmcnt(1)
	v_mul_f64 v[137:138], v[3:4], v[139:140]
	s_waitcnt vmcnt(16)
	v_fma_f64 v[131:132], v[5:6], v[187:188], -v[131:132]
	v_mul_f64 v[127:128], v[1:2], v[139:140]
	v_fma_f64 v[129:130], v[7:8], v[187:188], v[129:130]
	ds_read_b128 v[5:8], v180 offset:1728
	v_add_f64 v[125:126], v[125:126], v[133:134]
	v_add_f64 v[123:124], v[123:124], v[135:136]
	s_waitcnt vmcnt(15) lgkmcnt(1)
	v_mul_f64 v[135:136], v[121:122], v[161:162]
	v_mul_f64 v[133:134], v[119:120], v[161:162]
	s_waitcnt vmcnt(13)
	v_fma_f64 v[137:138], v[1:2], v[149:150], -v[137:138]
	v_fma_f64 v[127:128], v[3:4], v[149:150], v[127:128]
	ds_read_b128 v[1:4], v180 offset:1744
	v_add_f64 v[125:126], v[125:126], v[131:132]
	v_add_f64 v[123:124], v[123:124], v[129:130]
	s_waitcnt vmcnt(9) lgkmcnt(1)
	v_mul_f64 v[131:132], v[7:8], v[145:146]
	s_waitcnt vmcnt(8)
	v_fma_f64 v[119:120], v[119:120], v[181:182], -v[135:136]
	v_mul_f64 v[129:130], v[5:6], v[145:146]
	v_fma_f64 v[121:122], v[121:122], v[181:182], v[133:134]
	v_add_f64 v[125:126], v[125:126], v[137:138]
	v_add_f64 v[123:124], v[123:124], v[127:128]
	s_waitcnt vmcnt(7) lgkmcnt(0)
	v_mul_f64 v[133:134], v[3:4], v[169:170]
	v_mul_f64 v[127:128], v[1:2], v[169:170]
	s_waitcnt vmcnt(5)
	v_fma_f64 v[5:6], v[5:6], v[157:158], -v[131:132]
	v_fma_f64 v[7:8], v[7:8], v[157:158], v[129:130]
	v_add_f64 v[119:120], v[125:126], v[119:120]
	v_add_f64 v[121:122], v[123:124], v[121:122]
	s_waitcnt vmcnt(4)
	v_fma_f64 v[1:2], v[1:2], v[175:176], -v[133:134]
	v_fma_f64 v[3:4], v[3:4], v[175:176], v[127:128]
	v_add_f64 v[5:6], v[119:120], v[5:6]
	v_add_f64 v[7:8], v[121:122], v[7:8]
	;; [unrolled: 1-line block ×4, first 2 shown]
	s_waitcnt vmcnt(2)
	v_add_f64 v[1:2], v[159:160], -v[1:2]
	s_waitcnt vmcnt(0)
	v_add_f64 v[3:4], v[165:166], -v[3:4]
	buffer_store_dword v2, off, s[0:3], 0 offset:132
	buffer_store_dword v1, off, s[0:3], 0 offset:128
	;; [unrolled: 1-line block ×4, first 2 shown]
	v_cmpx_lt_u32_e32 6, v0
	s_cbranch_execz .LBB118_331
; %bb.330:
	v_mov_b32_e32 v4, s61
	s_clause 0x3
	buffer_load_dword v1, v4, s[0:3], 0 offen
	buffer_load_dword v2, v4, s[0:3], 0 offen offset:4
	buffer_load_dword v3, v4, s[0:3], 0 offen offset:8
	;; [unrolled: 1-line block ×3, first 2 shown]
	buffer_store_dword v180, off, s[0:3], 0 offset:112
	buffer_store_dword v180, off, s[0:3], 0 offset:116
	;; [unrolled: 1-line block ×4, first 2 shown]
	s_waitcnt vmcnt(0)
	ds_write_b128 v179, v[1:4]
.LBB118_331:
	s_or_b32 exec_lo, exec_lo, s4
	s_waitcnt lgkmcnt(0)
	s_waitcnt_vscnt null, 0x0
	s_barrier
	buffer_gl0_inv
	s_clause 0x37
	buffer_load_dword v127, off, s[0:3], 0 offset:136
	buffer_load_dword v128, off, s[0:3], 0 offset:140
	;; [unrolled: 1-line block ×56, first 2 shown]
	ds_read_b128 v[5:8], v180 offset:992
	s_clause 0x2
	buffer_load_dword v176, off, s[0:3], 0 offset:364
	buffer_load_dword v178, off, s[0:3], 0 offset:340
	;; [unrolled: 1-line block ×3, first 2 shown]
	ds_read_b128 v[1:4], v180 offset:1008
	s_clause 0x4
	buffer_load_dword v188, off, s[0:3], 0 offset:380
	buffer_load_dword v189, off, s[0:3], 0 offset:392
	;; [unrolled: 1-line block ×5, first 2 shown]
	ds_read_b128 v[181:184], v180 offset:1024
	s_mov_b32 s4, exec_lo
	s_waitcnt vmcnt(62) lgkmcnt(2)
	v_mul_f64 v[185:186], v[7:8], v[127:128]
	v_mul_f64 v[127:128], v[5:6], v[127:128]
	s_waitcnt vmcnt(60) lgkmcnt(1)
	v_mul_f64 v[192:193], v[3:4], v[123:124]
	v_mul_f64 v[123:124], v[1:2], v[123:124]
	;; [unrolled: 3-line block ×3, first 2 shown]
	v_fma_f64 v[185:186], v[5:6], v[125:126], -v[185:186]
	v_fma_f64 v[125:126], v[7:8], v[125:126], v[127:128]
	s_clause 0x2
	buffer_load_dword v190, off, s[0:3], 0 offset:396
	buffer_load_dword v128, off, s[0:3], 0 offset:372
	;; [unrolled: 1-line block ×3, first 2 shown]
	s_waitcnt vmcnt(57)
	v_fma_f64 v[196:197], v[1:2], v[119:120], -v[192:193]
	ds_read_b128 v[5:8], v180 offset:1040
	v_fma_f64 v[119:120], v[3:4], v[119:120], v[123:124]
	s_waitcnt vmcnt(51)
	v_fma_f64 v[181:182], v[181:182], v[143:144], -v[121:122]
	v_fma_f64 v[143:144], v[183:184], v[143:144], v[194:195]
	v_add_f64 v[185:186], v[185:186], 0
	v_add_f64 v[123:124], v[125:126], 0
	s_clause 0x4
	buffer_load_dword v126, off, s[0:3], 0 offset:412
	buffer_load_dword v193, off, s[0:3], 0 offset:424
	;; [unrolled: 1-line block ×5, first 2 shown]
	s_waitcnt lgkmcnt(0)
	v_mul_f64 v[199:200], v[5:6], v[131:132]
	v_mul_f64 v[131:132], v[7:8], v[131:132]
	ds_read_b128 v[1:4], v180 offset:1056
	s_clause 0x2
	buffer_load_dword v194, off, s[0:3], 0 offset:428
	buffer_load_dword v184, off, s[0:3], 0 offset:404
	;; [unrolled: 1-line block ×3, first 2 shown]
	v_add_f64 v[185:186], v[185:186], v[196:197]
	v_add_f64 v[123:124], v[123:124], v[119:120]
	ds_read_b128 v[119:122], v180 offset:1072
	s_waitcnt vmcnt(58) lgkmcnt(1)
	v_mul_f64 v[195:196], v[1:2], v[135:136]
	v_mul_f64 v[135:136], v[3:4], v[135:136]
	s_waitcnt vmcnt(56)
	v_fma_f64 v[131:132], v[5:6], v[137:138], -v[131:132]
	v_fma_f64 v[137:138], v[7:8], v[137:138], v[199:200]
	s_waitcnt vmcnt(52) lgkmcnt(0)
	v_mul_f64 v[201:202], v[119:120], v[139:140]
	v_add_f64 v[181:182], v[185:186], v[181:182]
	v_add_f64 v[123:124], v[123:124], v[143:144]
	s_clause 0x4
	buffer_load_dword v144, off, s[0:3], 0 offset:444
	buffer_load_dword v185, off, s[0:3], 0 offset:456
	;; [unrolled: 1-line block ×5, first 2 shown]
	v_mul_f64 v[139:140], v[121:122], v[139:140]
	s_waitcnt vmcnt(56)
	v_fma_f64 v[135:136], v[1:2], v[129:130], -v[135:136]
	ds_read_b128 v[5:8], v180 offset:1088
	v_fma_f64 v[129:130], v[3:4], v[129:130], v[195:196]
	v_add_f64 v[131:132], v[181:182], v[131:132]
	v_add_f64 v[123:124], v[123:124], v[137:138]
	s_clause 0x2
	buffer_load_dword v186, off, s[0:3], 0 offset:460
	buffer_load_dword v138, off, s[0:3], 0 offset:436
	;; [unrolled: 1-line block ×3, first 2 shown]
	s_waitcnt vmcnt(58) lgkmcnt(0)
	v_mul_f64 v[181:182], v[5:6], v[145:146]
	v_mul_f64 v[145:146], v[7:8], v[145:146]
	s_waitcnt vmcnt(56)
	v_fma_f64 v[139:140], v[119:120], v[147:148], -v[139:140]
	ds_read_b128 v[1:4], v180 offset:1104
	v_add_f64 v[131:132], v[131:132], v[135:136]
	v_fma_f64 v[135:136], v[121:122], v[147:148], v[201:202]
	v_add_f64 v[123:124], v[123:124], v[129:130]
	s_clause 0x4
	buffer_load_dword v130, off, s[0:3], 0 offset:476
	buffer_load_dword v147, off, s[0:3], 0 offset:488
	;; [unrolled: 1-line block ×5, first 2 shown]
	s_waitcnt vmcnt(57) lgkmcnt(0)
	v_mul_f64 v[196:197], v[1:2], v[149:150]
	v_mul_f64 v[149:150], v[3:4], v[149:150]
	s_waitcnt vmcnt(56)
	v_fma_f64 v[145:146], v[5:6], v[133:134], -v[145:146]
	ds_read_b128 v[119:122], v180 offset:1120
	v_fma_f64 v[133:134], v[7:8], v[133:134], v[181:182]
	v_add_f64 v[131:132], v[131:132], v[139:140]
	v_add_f64 v[123:124], v[123:124], v[135:136]
	s_clause 0x2
	buffer_load_dword v148, off, s[0:3], 0 offset:492
	buffer_load_dword v136, off, s[0:3], 0 offset:468
	;; [unrolled: 1-line block ×3, first 2 shown]
	ds_read_b128 v[5:8], v180 offset:1136
	s_waitcnt vmcnt(58) lgkmcnt(1)
	v_mul_f64 v[139:140], v[119:120], v[153:154]
	v_mul_f64 v[153:154], v[121:122], v[153:154]
	s_waitcnt vmcnt(56)
	v_fma_f64 v[149:150], v[1:2], v[155:156], -v[149:150]
	v_add_f64 v[131:132], v[131:132], v[145:146]
	v_fma_f64 v[145:146], v[3:4], v[155:156], v[196:197]
	v_add_f64 v[123:124], v[123:124], v[133:134]
	s_clause 0x4
	buffer_load_dword v134, off, s[0:3], 0 offset:508
	buffer_load_dword v155, off, s[0:3], 0 offset:520
	;; [unrolled: 1-line block ×5, first 2 shown]
	s_waitcnt vmcnt(57) lgkmcnt(0)
	v_mul_f64 v[202:203], v[5:6], v[157:158]
	v_mul_f64 v[157:158], v[7:8], v[157:158]
	s_waitcnt vmcnt(56)
	v_fma_f64 v[153:154], v[119:120], v[141:142], -v[153:154]
	ds_read_b128 v[1:4], v180 offset:1152
	v_fma_f64 v[139:140], v[121:122], v[141:142], v[139:140]
	s_clause 0x2
	buffer_load_dword v156, off, s[0:3], 0 offset:524
	buffer_load_dword v142, off, s[0:3], 0 offset:500
	;; [unrolled: 1-line block ×3, first 2 shown]
	ds_read_b128 v[119:122], v180 offset:1168
	v_add_f64 v[131:132], v[131:132], v[149:150]
	v_add_f64 v[123:124], v[123:124], v[145:146]
	s_waitcnt vmcnt(58) lgkmcnt(1)
	v_mul_f64 v[149:150], v[3:4], v[161:162]
	s_waitcnt vmcnt(56)
	v_fma_f64 v[157:158], v[5:6], v[163:164], -v[157:158]
	v_mul_f64 v[145:146], v[1:2], v[161:162]
	v_add_f64 v[131:132], v[131:132], v[153:154]
	v_fma_f64 v[153:154], v[7:8], v[163:164], v[202:203]
	v_add_f64 v[123:124], v[123:124], v[139:140]
	s_clause 0x4
	buffer_load_dword v140, off, s[0:3], 0 offset:540
	buffer_load_dword v161, off, s[0:3], 0 offset:552
	;; [unrolled: 1-line block ×5, first 2 shown]
	s_waitcnt vmcnt(57) lgkmcnt(0)
	v_mul_f64 v[202:203], v[119:120], v[165:166]
	v_mul_f64 v[164:165], v[121:122], v[165:166]
	s_waitcnt vmcnt(56)
	v_fma_f64 v[149:150], v[1:2], v[151:152], -v[149:150]
	ds_read_b128 v[5:8], v180 offset:1184
	v_fma_f64 v[145:146], v[3:4], v[151:152], v[145:146]
	s_clause 0x2
	buffer_load_dword v162, off, s[0:3], 0 offset:556
	buffer_load_dword v152, off, s[0:3], 0 offset:532
	;; [unrolled: 1-line block ×3, first 2 shown]
	ds_read_b128 v[1:4], v180 offset:1200
	v_add_f64 v[131:132], v[131:132], v[157:158]
	v_add_f64 v[123:124], v[123:124], v[153:154]
	s_waitcnt vmcnt(58) lgkmcnt(1)
	v_mul_f64 v[157:158], v[7:8], v[169:170]
	s_waitcnt vmcnt(56)
	v_fma_f64 v[165:166], v[119:120], v[171:172], -v[164:165]
	v_mul_f64 v[153:154], v[5:6], v[169:170]
	v_add_f64 v[131:132], v[131:132], v[149:150]
	v_fma_f64 v[149:150], v[121:122], v[171:172], v[202:203]
	v_add_f64 v[123:124], v[123:124], v[145:146]
	s_clause 0x4
	buffer_load_dword v146, off, s[0:3], 0 offset:572
	buffer_load_dword v169, off, s[0:3], 0 offset:584
	;; [unrolled: 1-line block ×5, first 2 shown]
	s_waitcnt vmcnt(57) lgkmcnt(0)
	v_mul_f64 v[202:203], v[1:2], v[173:174]
	v_mul_f64 v[172:173], v[3:4], v[173:174]
	s_waitcnt vmcnt(56)
	v_fma_f64 v[157:158], v[5:6], v[159:160], -v[157:158]
	ds_read_b128 v[119:122], v180 offset:1216
	v_fma_f64 v[153:154], v[7:8], v[159:160], v[153:154]
	v_add_f64 v[131:132], v[131:132], v[165:166]
	v_add_f64 v[123:124], v[123:124], v[149:150]
	s_clause 0x2
	buffer_load_dword v170, off, s[0:3], 0 offset:588
	buffer_load_dword v150, off, s[0:3], 0 offset:564
	;; [unrolled: 1-line block ×3, first 2 shown]
	ds_read_b128 v[5:8], v180 offset:1232
	s_waitcnt vmcnt(58) lgkmcnt(1)
	v_mul_f64 v[165:166], v[121:122], v[175:176]
	s_waitcnt vmcnt(56)
	v_fma_f64 v[173:174], v[1:2], v[177:178], -v[172:173]
	v_mul_f64 v[159:160], v[119:120], v[175:176]
	v_add_f64 v[131:132], v[131:132], v[157:158]
	v_fma_f64 v[157:158], v[3:4], v[177:178], v[202:203]
	v_add_f64 v[123:124], v[123:124], v[153:154]
	s_clause 0x4
	buffer_load_dword v154, off, s[0:3], 0 offset:604
	buffer_load_dword v175, off, s[0:3], 0 offset:616
	;; [unrolled: 1-line block ×5, first 2 shown]
	s_waitcnt vmcnt(57) lgkmcnt(0)
	v_mul_f64 v[202:203], v[5:6], v[187:188]
	v_mul_f64 v[187:188], v[7:8], v[187:188]
	s_waitcnt vmcnt(56)
	v_fma_f64 v[165:166], v[119:120], v[167:168], -v[165:166]
	ds_read_b128 v[1:4], v180 offset:1248
	v_fma_f64 v[159:160], v[121:122], v[167:168], v[159:160]
	v_add_f64 v[131:132], v[131:132], v[173:174]
	v_add_f64 v[123:124], v[123:124], v[157:158]
	s_clause 0x2
	buffer_load_dword v176, off, s[0:3], 0 offset:620
	buffer_load_dword v158, off, s[0:3], 0 offset:596
	;; [unrolled: 1-line block ×3, first 2 shown]
	ds_read_b128 v[119:122], v180 offset:1264
	s_waitcnt vmcnt(58) lgkmcnt(1)
	v_mul_f64 v[173:174], v[3:4], v[189:190]
	v_mul_f64 v[167:168], v[1:2], v[189:190]
	s_waitcnt vmcnt(56)
	v_fma_f64 v[187:188], v[5:6], v[127:128], -v[187:188]
	v_fma_f64 v[127:128], v[7:8], v[127:128], v[202:203]
	v_add_f64 v[131:132], v[131:132], v[165:166]
	v_add_f64 v[123:124], v[123:124], v[159:160]
	s_clause 0x4
	buffer_load_dword v160, off, s[0:3], 0 offset:636
	buffer_load_dword v165, off, s[0:3], 0 offset:648
	;; [unrolled: 1-line block ×5, first 2 shown]
	ds_read_b128 v[5:8], v180 offset:1280
	s_waitcnt vmcnt(57) lgkmcnt(1)
	v_mul_f64 v[202:203], v[119:120], v[125:126]
	v_mul_f64 v[125:126], v[121:122], v[125:126]
	s_waitcnt vmcnt(56)
	v_fma_f64 v[173:174], v[1:2], v[191:192], -v[173:174]
	v_fma_f64 v[167:168], v[3:4], v[191:192], v[167:168]
	v_add_f64 v[131:132], v[131:132], v[187:188]
	v_add_f64 v[123:124], v[123:124], v[127:128]
	s_clause 0x2
	buffer_load_dword v166, off, s[0:3], 0 offset:652
	buffer_load_dword v128, off, s[0:3], 0 offset:628
	;; [unrolled: 1-line block ×3, first 2 shown]
	s_waitcnt vmcnt(58) lgkmcnt(0)
	v_mul_f64 v[191:192], v[7:8], v[193:194]
	ds_read_b128 v[1:4], v180 offset:1296
	v_mul_f64 v[187:188], v[5:6], v[193:194]
	s_waitcnt vmcnt(56)
	v_fma_f64 v[125:126], v[119:120], v[183:184], -v[125:126]
	v_add_f64 v[131:132], v[131:132], v[173:174]
	v_fma_f64 v[173:174], v[121:122], v[183:184], v[202:203]
	v_add_f64 v[123:124], v[123:124], v[167:168]
	s_clause 0x4
	buffer_load_dword v168, off, s[0:3], 0 offset:668
	buffer_load_dword v183, off, s[0:3], 0 offset:680
	;; [unrolled: 1-line block ×5, first 2 shown]
	ds_read_b128 v[119:122], v180 offset:1312
	s_waitcnt vmcnt(57) lgkmcnt(1)
	v_mul_f64 v[202:203], v[1:2], v[143:144]
	v_mul_f64 v[143:144], v[3:4], v[143:144]
	s_waitcnt vmcnt(56)
	v_fma_f64 v[191:192], v[5:6], v[198:199], -v[191:192]
	v_add_f64 v[125:126], v[131:132], v[125:126]
	v_fma_f64 v[131:132], v[7:8], v[198:199], v[187:188]
	v_add_f64 v[123:124], v[123:124], v[173:174]
	s_clause 0x2
	buffer_load_dword v184, off, s[0:3], 0 offset:684
	buffer_load_dword v174, off, s[0:3], 0 offset:660
	;; [unrolled: 1-line block ×3, first 2 shown]
	ds_read_b128 v[5:8], v180 offset:1328
	s_waitcnt vmcnt(58) lgkmcnt(1)
	v_mul_f64 v[187:188], v[119:120], v[185:186]
	v_mul_f64 v[185:186], v[121:122], v[185:186]
	s_waitcnt vmcnt(56)
	v_fma_f64 v[143:144], v[1:2], v[137:138], -v[143:144]
	v_fma_f64 v[137:138], v[3:4], v[137:138], v[202:203]
	v_add_f64 v[125:126], v[125:126], v[191:192]
	v_add_f64 v[123:124], v[123:124], v[131:132]
	s_clause 0x4
	buffer_load_dword v132, off, s[0:3], 0 offset:700
	buffer_load_dword v191, off, s[0:3], 0 offset:712
	;; [unrolled: 1-line block ×5, first 2 shown]
	ds_read_b128 v[1:4], v180 offset:1344
	s_waitcnt vmcnt(57) lgkmcnt(1)
	v_mul_f64 v[198:199], v[5:6], v[129:130]
	v_mul_f64 v[129:130], v[7:8], v[129:130]
	s_waitcnt vmcnt(56)
	v_fma_f64 v[185:186], v[119:120], v[200:201], -v[185:186]
	v_add_f64 v[125:126], v[125:126], v[143:144]
	v_fma_f64 v[143:144], v[121:122], v[200:201], v[187:188]
	v_add_f64 v[123:124], v[123:124], v[137:138]
	s_clause 0x2
	buffer_load_dword v192, off, s[0:3], 0 offset:716
	buffer_load_dword v138, off, s[0:3], 0 offset:692
	;; [unrolled: 1-line block ×3, first 2 shown]
	ds_read_b128 v[119:122], v180 offset:1360
	s_waitcnt vmcnt(58) lgkmcnt(1)
	v_mul_f64 v[187:188], v[1:2], v[147:148]
	v_mul_f64 v[147:148], v[3:4], v[147:148]
	s_waitcnt vmcnt(56)
	v_fma_f64 v[129:130], v[5:6], v[135:136], -v[129:130]
	v_fma_f64 v[135:136], v[7:8], v[135:136], v[198:199]
	v_add_f64 v[125:126], v[125:126], v[185:186]
	v_add_f64 v[123:124], v[123:124], v[143:144]
	s_clause 0x4
	buffer_load_dword v144, off, s[0:3], 0 offset:732
	buffer_load_dword v185, off, s[0:3], 0 offset:744
	;; [unrolled: 1-line block ×5, first 2 shown]
	ds_read_b128 v[5:8], v180 offset:1376
	s_waitcnt vmcnt(57) lgkmcnt(1)
	v_mul_f64 v[200:201], v[119:120], v[133:134]
	v_mul_f64 v[133:134], v[121:122], v[133:134]
	s_waitcnt vmcnt(56)
	v_fma_f64 v[147:148], v[1:2], v[195:196], -v[147:148]
	v_add_f64 v[125:126], v[125:126], v[129:130]
	v_fma_f64 v[129:130], v[3:4], v[195:196], v[187:188]
	v_add_f64 v[123:124], v[123:124], v[135:136]
	s_clause 0x2
	buffer_load_dword v186, off, s[0:3], 0 offset:748
	buffer_load_dword v136, off, s[0:3], 0 offset:724
	;; [unrolled: 1-line block ×3, first 2 shown]
	s_waitcnt vmcnt(58) lgkmcnt(0)
	v_mul_f64 v[187:188], v[5:6], v[155:156]
	v_mul_f64 v[155:156], v[7:8], v[155:156]
	ds_read_b128 v[1:4], v180 offset:1392
	s_waitcnt vmcnt(56)
	v_fma_f64 v[133:134], v[119:120], v[141:142], -v[133:134]
	v_fma_f64 v[141:142], v[121:122], v[141:142], v[200:201]
	v_add_f64 v[125:126], v[125:126], v[147:148]
	v_add_f64 v[123:124], v[123:124], v[129:130]
	s_clause 0x4
	buffer_load_dword v130, off, s[0:3], 0 offset:764
	buffer_load_dword v147, off, s[0:3], 0 offset:776
	;; [unrolled: 1-line block ×5, first 2 shown]
	ds_read_b128 v[119:122], v180 offset:1408
	s_waitcnt vmcnt(57) lgkmcnt(1)
	v_mul_f64 v[201:202], v[1:2], v[139:140]
	v_mul_f64 v[139:140], v[3:4], v[139:140]
	s_waitcnt vmcnt(56)
	v_fma_f64 v[155:156], v[5:6], v[181:182], -v[155:156]
	v_add_f64 v[125:126], v[125:126], v[133:134]
	v_fma_f64 v[133:134], v[7:8], v[181:182], v[187:188]
	v_add_f64 v[123:124], v[123:124], v[141:142]
	s_clause 0x2
	buffer_load_dword v148, off, s[0:3], 0 offset:780
	buffer_load_dword v142, off, s[0:3], 0 offset:756
	;; [unrolled: 1-line block ×3, first 2 shown]
	s_waitcnt vmcnt(58) lgkmcnt(0)
	v_mul_f64 v[181:182], v[119:120], v[161:162]
	v_mul_f64 v[161:162], v[121:122], v[161:162]
	ds_read_b128 v[5:8], v180 offset:1424
	s_waitcnt vmcnt(56)
	v_fma_f64 v[139:140], v[1:2], v[151:152], -v[139:140]
	v_fma_f64 v[151:152], v[3:4], v[151:152], v[201:202]
	v_add_f64 v[125:126], v[125:126], v[155:156]
	v_add_f64 v[123:124], v[123:124], v[133:134]
	s_clause 0x4
	buffer_load_dword v134, off, s[0:3], 0 offset:796
	buffer_load_dword v155, off, s[0:3], 0 offset:808
	buffer_load_dword v187, off, s[0:3], 0 offset:800
	buffer_load_dword v133, off, s[0:3], 0 offset:792
	buffer_load_dword v196, off, s[0:3], 0 offset:772
	ds_read_b128 v[1:4], v180 offset:1440
	s_waitcnt vmcnt(57) lgkmcnt(1)
	v_mul_f64 v[201:202], v[5:6], v[145:146]
	v_mul_f64 v[145:146], v[7:8], v[145:146]
	s_waitcnt vmcnt(56)
	v_fma_f64 v[161:162], v[119:120], v[163:164], -v[161:162]
	v_add_f64 v[125:126], v[125:126], v[139:140]
	v_fma_f64 v[139:140], v[121:122], v[163:164], v[181:182]
	v_add_f64 v[123:124], v[123:124], v[151:152]
	s_clause 0x2
	buffer_load_dword v156, off, s[0:3], 0 offset:812
	buffer_load_dword v152, off, s[0:3], 0 offset:788
	buffer_load_dword v151, off, s[0:3], 0 offset:784
	ds_read_b128 v[119:122], v180 offset:1456
	s_waitcnt vmcnt(58) lgkmcnt(1)
	v_mul_f64 v[163:164], v[1:2], v[169:170]
	v_mul_f64 v[169:170], v[3:4], v[169:170]
	s_waitcnt vmcnt(56)
	v_fma_f64 v[145:146], v[5:6], v[149:150], -v[145:146]
	v_fma_f64 v[149:150], v[7:8], v[149:150], v[201:202]
	v_add_f64 v[125:126], v[125:126], v[161:162]
	v_add_f64 v[123:124], v[123:124], v[139:140]
	s_clause 0x4
	buffer_load_dword v140, off, s[0:3], 0 offset:828
	buffer_load_dword v161, off, s[0:3], 0 offset:840
	buffer_load_dword v181, off, s[0:3], 0 offset:832
	buffer_load_dword v139, off, s[0:3], 0 offset:824
	buffer_load_dword v188, off, s[0:3], 0 offset:804
	ds_read_b128 v[5:8], v180 offset:1472
	s_waitcnt vmcnt(57) lgkmcnt(1)
	v_mul_f64 v[201:202], v[119:120], v[153:154]
	v_mul_f64 v[153:154], v[121:122], v[153:154]
	s_waitcnt vmcnt(56)
	v_fma_f64 v[169:170], v[1:2], v[171:172], -v[169:170]
	v_add_f64 v[125:126], v[125:126], v[145:146]
	v_fma_f64 v[145:146], v[3:4], v[171:172], v[163:164]
	v_add_f64 v[123:124], v[123:124], v[149:150]
	s_clause 0x2
	buffer_load_dword v162, off, s[0:3], 0 offset:844
	buffer_load_dword v150, off, s[0:3], 0 offset:820
	buffer_load_dword v149, off, s[0:3], 0 offset:816
	ds_read_b128 v[1:4], v180 offset:1488
	s_waitcnt vmcnt(58) lgkmcnt(1)
	v_mul_f64 v[171:172], v[7:8], v[175:176]
	v_mul_f64 v[163:164], v[5:6], v[175:176]
	;; [unrolled: 28-line block ×3, first 2 shown]
	s_waitcnt vmcnt(56)
	v_fma_f64 v[159:160], v[1:2], v[127:128], -v[159:160]
	v_fma_f64 v[127:128], v[3:4], v[127:128], v[201:202]
	v_add_f64 v[125:126], v[125:126], v[171:172]
	v_add_f64 v[123:124], v[123:124], v[153:154]
	s_clause 0x2
	buffer_load_dword v154, off, s[0:3], 0 offset:892
	buffer_load_dword v153, off, s[0:3], 0 offset:888
	;; [unrolled: 1-line block ×3, first 2 shown]
	ds_read_b128 v[1:4], v180 offset:1536
	s_waitcnt vmcnt(55) lgkmcnt(1)
	v_mul_f64 v[171:172], v[5:6], v[167:168]
	v_mul_f64 v[167:168], v[7:8], v[167:168]
	s_waitcnt vmcnt(54)
	v_fma_f64 v[165:166], v[119:120], v[189:190], -v[165:166]
	v_add_f64 v[125:126], v[125:126], v[159:160]
	v_fma_f64 v[159:160], v[121:122], v[189:190], v[163:164]
	v_add_f64 v[123:124], v[123:124], v[127:128]
	s_clause 0x1
	buffer_load_dword v128, off, s[0:3], 0 offset:884
	buffer_load_dword v127, off, s[0:3], 0 offset:880
	ds_read_b128 v[119:122], v180 offset:1552
	s_waitcnt vmcnt(55) lgkmcnt(1)
	v_mul_f64 v[177:178], v[3:4], v[183:184]
	v_mul_f64 v[163:164], v[1:2], v[183:184]
	s_waitcnt vmcnt(53)
	v_fma_f64 v[167:168], v[5:6], v[173:174], -v[167:168]
	v_add_f64 v[125:126], v[125:126], v[165:166]
	v_fma_f64 v[165:166], v[7:8], v[173:174], v[171:172]
	v_add_f64 v[123:124], v[123:124], v[159:160]
	ds_read_b128 v[5:8], v180 offset:1568
	s_waitcnt vmcnt(49) lgkmcnt(1)
	v_mul_f64 v[159:160], v[119:120], v[131:132]
	v_mul_f64 v[131:132], v[121:122], v[131:132]
	s_waitcnt vmcnt(48)
	v_fma_f64 v[171:172], v[1:2], v[193:194], -v[177:178]
	v_fma_f64 v[163:164], v[3:4], v[193:194], v[163:164]
	v_add_f64 v[125:126], v[125:126], v[167:168]
	v_add_f64 v[123:124], v[123:124], v[165:166]
	s_clause 0x3
	buffer_load_dword v165, off, s[0:3], 0 offset:112
	buffer_load_dword v166, off, s[0:3], 0 offset:116
	;; [unrolled: 1-line block ×4, first 2 shown]
	ds_read_b128 v[1:4], v180 offset:1584
	s_waitcnt vmcnt(51) lgkmcnt(1)
	v_mul_f64 v[177:178], v[7:8], v[191:192]
	v_mul_f64 v[173:174], v[5:6], v[191:192]
	s_waitcnt vmcnt(49)
	v_fma_f64 v[131:132], v[119:120], v[137:138], -v[131:132]
	v_fma_f64 v[137:138], v[121:122], v[137:138], v[159:160]
	ds_read_b128 v[119:122], v180 offset:1600
	v_add_f64 v[125:126], v[125:126], v[171:172]
	v_add_f64 v[123:124], v[123:124], v[163:164]
	s_waitcnt vmcnt(45) lgkmcnt(1)
	v_mul_f64 v[159:160], v[1:2], v[143:144]
	v_mul_f64 v[143:144], v[3:4], v[143:144]
	s_waitcnt vmcnt(44)
	v_fma_f64 v[163:164], v[5:6], v[197:198], -v[177:178]
	v_add_f64 v[125:126], v[125:126], v[131:132]
	v_fma_f64 v[131:132], v[7:8], v[197:198], v[173:174]
	v_add_f64 v[123:124], v[123:124], v[137:138]
	ds_read_b128 v[5:8], v180 offset:1616
	s_waitcnt vmcnt(43) lgkmcnt(1)
	v_mul_f64 v[171:172], v[121:122], v[185:186]
	v_mul_f64 v[137:138], v[119:120], v[185:186]
	s_waitcnt vmcnt(41)
	v_fma_f64 v[143:144], v[1:2], v[135:136], -v[143:144]
	v_fma_f64 v[135:136], v[3:4], v[135:136], v[159:160]
	ds_read_b128 v[1:4], v180 offset:1632
	v_add_f64 v[125:126], v[125:126], v[163:164]
	v_add_f64 v[123:124], v[123:124], v[131:132]
	s_waitcnt vmcnt(37) lgkmcnt(1)
	v_mul_f64 v[131:132], v[5:6], v[129:130]
	v_mul_f64 v[129:130], v[7:8], v[129:130]
	s_waitcnt vmcnt(36)
	v_fma_f64 v[159:160], v[119:120], v[199:200], -v[171:172]
	v_fma_f64 v[137:138], v[121:122], v[199:200], v[137:138]
	ds_read_b128 v[119:122], v180 offset:1648
	v_add_f64 v[125:126], v[125:126], v[143:144]
	v_add_f64 v[123:124], v[123:124], v[135:136]
	;; [unrolled: 9-line block ×3, first 2 shown]
	s_waitcnt vmcnt(29) lgkmcnt(1)
	v_mul_f64 v[137:138], v[119:120], v[133:134]
	v_mul_f64 v[133:134], v[121:122], v[133:134]
	s_waitcnt vmcnt(28)
	v_fma_f64 v[141:142], v[1:2], v[195:196], -v[143:144]
	v_add_f64 v[125:126], v[125:126], v[129:130]
	v_fma_f64 v[129:130], v[3:4], v[195:196], v[135:136]
	v_add_f64 v[123:124], v[123:124], v[131:132]
	ds_read_b128 v[1:4], v180 offset:1680
	s_waitcnt vmcnt(27) lgkmcnt(1)
	v_mul_f64 v[135:136], v[7:8], v[155:156]
	v_mul_f64 v[131:132], v[5:6], v[155:156]
	s_waitcnt vmcnt(25)
	v_fma_f64 v[133:134], v[119:120], v[151:152], -v[133:134]
	v_fma_f64 v[137:138], v[121:122], v[151:152], v[137:138]
	ds_read_b128 v[119:122], v180 offset:1696
	v_add_f64 v[125:126], v[125:126], v[141:142]
	v_add_f64 v[123:124], v[123:124], v[129:130]
	s_waitcnt vmcnt(21) lgkmcnt(1)
	v_mul_f64 v[129:130], v[1:2], v[139:140]
	v_mul_f64 v[139:140], v[3:4], v[139:140]
	s_waitcnt vmcnt(20)
	v_fma_f64 v[135:136], v[5:6], v[187:188], -v[135:136]
	v_fma_f64 v[131:132], v[7:8], v[187:188], v[131:132]
	ds_read_b128 v[5:8], v180 offset:1712
	v_add_f64 v[125:126], v[125:126], v[133:134]
	v_add_f64 v[123:124], v[123:124], v[137:138]
	;; [unrolled: 9-line block ×3, first 2 shown]
	s_waitcnt vmcnt(13) lgkmcnt(1)
	v_mul_f64 v[135:136], v[7:8], v[145:146]
	s_waitcnt vmcnt(12)
	v_fma_f64 v[137:138], v[119:120], v[181:182], -v[137:138]
	v_mul_f64 v[131:132], v[5:6], v[145:146]
	v_fma_f64 v[133:134], v[121:122], v[181:182], v[133:134]
	ds_read_b128 v[119:122], v180 offset:1744
	v_add_f64 v[125:126], v[125:126], v[139:140]
	v_add_f64 v[123:124], v[123:124], v[129:130]
	s_waitcnt vmcnt(11) lgkmcnt(1)
	v_mul_f64 v[139:140], v[3:4], v[169:170]
	v_mul_f64 v[129:130], v[1:2], v[169:170]
	s_waitcnt vmcnt(9)
	v_fma_f64 v[5:6], v[5:6], v[157:158], -v[135:136]
	v_fma_f64 v[7:8], v[7:8], v[157:158], v[131:132]
	v_add_f64 v[125:126], v[125:126], v[137:138]
	v_add_f64 v[123:124], v[123:124], v[133:134]
	s_waitcnt vmcnt(7) lgkmcnt(0)
	v_mul_f64 v[133:134], v[121:122], v[153:154]
	s_waitcnt vmcnt(6)
	v_fma_f64 v[1:2], v[1:2], v[175:176], -v[139:140]
	v_mul_f64 v[131:132], v[119:120], v[153:154]
	v_fma_f64 v[3:4], v[3:4], v[175:176], v[129:130]
	v_add_f64 v[5:6], v[125:126], v[5:6]
	v_add_f64 v[7:8], v[123:124], v[7:8]
	s_waitcnt vmcnt(4)
	v_fma_f64 v[119:120], v[119:120], v[127:128], -v[133:134]
	v_add_f64 v[1:2], v[5:6], v[1:2]
	v_fma_f64 v[5:6], v[121:122], v[127:128], v[131:132]
	v_add_f64 v[3:4], v[7:8], v[3:4]
	v_add_f64 v[1:2], v[1:2], v[119:120]
	;; [unrolled: 1-line block ×3, first 2 shown]
	s_waitcnt vmcnt(2)
	v_add_f64 v[1:2], v[165:166], -v[1:2]
	s_waitcnt vmcnt(0)
	v_add_f64 v[3:4], v[167:168], -v[3:4]
	buffer_store_dword v2, off, s[0:3], 0 offset:116
	buffer_store_dword v1, off, s[0:3], 0 offset:112
	;; [unrolled: 1-line block ×4, first 2 shown]
	v_cmpx_lt_u32_e32 5, v0
	s_cbranch_execz .LBB118_333
; %bb.332:
	v_mov_b32_e32 v4, s62
	v_mov_b32_e32 v5, 0
	s_clause 0x3
	buffer_load_dword v1, v4, s[0:3], 0 offen
	buffer_load_dword v2, v4, s[0:3], 0 offen offset:4
	buffer_load_dword v3, v4, s[0:3], 0 offen offset:8
	;; [unrolled: 1-line block ×3, first 2 shown]
	buffer_store_dword v5, off, s[0:3], 0 offset:96
	buffer_store_dword v5, off, s[0:3], 0 offset:100
	;; [unrolled: 1-line block ×4, first 2 shown]
	s_waitcnt vmcnt(0)
	ds_write_b128 v179, v[1:4]
.LBB118_333:
	s_or_b32 exec_lo, exec_lo, s4
	s_waitcnt lgkmcnt(0)
	s_waitcnt_vscnt null, 0x0
	s_barrier
	buffer_gl0_inv
	s_clause 0x37
	buffer_load_dword v127, off, s[0:3], 0 offset:120
	buffer_load_dword v128, off, s[0:3], 0 offset:124
	buffer_load_dword v123, off, s[0:3], 0 offset:136
	buffer_load_dword v124, off, s[0:3], 0 offset:140
	buffer_load_dword v125, off, s[0:3], 0 offset:112
	buffer_load_dword v126, off, s[0:3], 0 offset:116
	buffer_load_dword v121, off, s[0:3], 0 offset:152
	buffer_load_dword v122, off, s[0:3], 0 offset:156
	buffer_load_dword v119, off, s[0:3], 0 offset:128
	buffer_load_dword v120, off, s[0:3], 0 offset:132
	buffer_load_dword v132, off, s[0:3], 0 offset:172
	buffer_load_dword v135, off, s[0:3], 0 offset:184
	buffer_load_dword v129, off, s[0:3], 0 offset:176
	buffer_load_dword v131, off, s[0:3], 0 offset:168
	buffer_load_dword v143, off, s[0:3], 0 offset:144
	buffer_load_dword v144, off, s[0:3], 0 offset:148
	buffer_load_dword v136, off, s[0:3], 0 offset:188
	buffer_load_dword v138, off, s[0:3], 0 offset:164
	buffer_load_dword v137, off, s[0:3], 0 offset:160
	buffer_load_dword v140, off, s[0:3], 0 offset:204
	buffer_load_dword v145, off, s[0:3], 0 offset:216
	buffer_load_dword v133, off, s[0:3], 0 offset:208
	buffer_load_dword v139, off, s[0:3], 0 offset:200
	buffer_load_dword v130, off, s[0:3], 0 offset:180
	buffer_load_dword v146, off, s[0:3], 0 offset:220
	buffer_load_dword v148, off, s[0:3], 0 offset:196
	buffer_load_dword v147, off, s[0:3], 0 offset:192
	buffer_load_dword v150, off, s[0:3], 0 offset:236
	buffer_load_dword v153, off, s[0:3], 0 offset:248
	buffer_load_dword v141, off, s[0:3], 0 offset:240
	buffer_load_dword v149, off, s[0:3], 0 offset:232
	buffer_load_dword v134, off, s[0:3], 0 offset:212
	buffer_load_dword v154, off, s[0:3], 0 offset:252
	buffer_load_dword v156, off, s[0:3], 0 offset:228
	buffer_load_dword v155, off, s[0:3], 0 offset:224
	buffer_load_dword v158, off, s[0:3], 0 offset:268
	buffer_load_dword v161, off, s[0:3], 0 offset:280
	buffer_load_dword v151, off, s[0:3], 0 offset:272
	buffer_load_dword v157, off, s[0:3], 0 offset:264
	buffer_load_dword v142, off, s[0:3], 0 offset:244
	buffer_load_dword v162, off, s[0:3], 0 offset:284
	buffer_load_dword v164, off, s[0:3], 0 offset:260
	buffer_load_dword v163, off, s[0:3], 0 offset:256
	buffer_load_dword v166, off, s[0:3], 0 offset:300
	buffer_load_dword v169, off, s[0:3], 0 offset:312
	buffer_load_dword v159, off, s[0:3], 0 offset:304
	buffer_load_dword v165, off, s[0:3], 0 offset:296
	buffer_load_dword v152, off, s[0:3], 0 offset:276
	buffer_load_dword v170, off, s[0:3], 0 offset:316
	buffer_load_dword v172, off, s[0:3], 0 offset:292
	buffer_load_dword v171, off, s[0:3], 0 offset:288
	buffer_load_dword v174, off, s[0:3], 0 offset:332
	buffer_load_dword v175, off, s[0:3], 0 offset:344
	buffer_load_dword v167, off, s[0:3], 0 offset:336
	buffer_load_dword v173, off, s[0:3], 0 offset:328
	buffer_load_dword v160, off, s[0:3], 0 offset:308
	v_mov_b32_e32 v180, 0
	s_mov_b32 s4, exec_lo
	ds_read_b128 v[5:8], v180 offset:976
	s_clause 0x2
	buffer_load_dword v176, off, s[0:3], 0 offset:348
	buffer_load_dword v178, off, s[0:3], 0 offset:324
	;; [unrolled: 1-line block ×3, first 2 shown]
	ds_read_b128 v[1:4], v180 offset:992
	s_clause 0x4
	buffer_load_dword v188, off, s[0:3], 0 offset:364
	buffer_load_dword v189, off, s[0:3], 0 offset:376
	;; [unrolled: 1-line block ×5, first 2 shown]
	ds_read_b128 v[181:184], v180 offset:1008
	s_waitcnt vmcnt(62) lgkmcnt(2)
	v_mul_f64 v[185:186], v[7:8], v[127:128]
	v_mul_f64 v[127:128], v[5:6], v[127:128]
	s_waitcnt vmcnt(60) lgkmcnt(1)
	v_mul_f64 v[192:193], v[3:4], v[123:124]
	v_mul_f64 v[123:124], v[1:2], v[123:124]
	;; [unrolled: 3-line block ×3, first 2 shown]
	v_fma_f64 v[185:186], v[5:6], v[125:126], -v[185:186]
	v_fma_f64 v[125:126], v[7:8], v[125:126], v[127:128]
	s_clause 0x2
	buffer_load_dword v190, off, s[0:3], 0 offset:380
	buffer_load_dword v128, off, s[0:3], 0 offset:356
	;; [unrolled: 1-line block ×3, first 2 shown]
	s_waitcnt vmcnt(57)
	v_fma_f64 v[196:197], v[1:2], v[119:120], -v[192:193]
	ds_read_b128 v[5:8], v180 offset:1024
	v_fma_f64 v[119:120], v[3:4], v[119:120], v[123:124]
	s_waitcnt vmcnt(51)
	v_fma_f64 v[181:182], v[181:182], v[143:144], -v[121:122]
	v_fma_f64 v[143:144], v[183:184], v[143:144], v[194:195]
	v_add_f64 v[185:186], v[185:186], 0
	v_add_f64 v[123:124], v[125:126], 0
	s_clause 0x4
	buffer_load_dword v126, off, s[0:3], 0 offset:396
	buffer_load_dword v193, off, s[0:3], 0 offset:408
	;; [unrolled: 1-line block ×5, first 2 shown]
	s_waitcnt lgkmcnt(0)
	v_mul_f64 v[199:200], v[5:6], v[131:132]
	v_mul_f64 v[131:132], v[7:8], v[131:132]
	ds_read_b128 v[1:4], v180 offset:1040
	s_clause 0x2
	buffer_load_dword v194, off, s[0:3], 0 offset:412
	buffer_load_dword v184, off, s[0:3], 0 offset:388
	;; [unrolled: 1-line block ×3, first 2 shown]
	v_add_f64 v[185:186], v[185:186], v[196:197]
	v_add_f64 v[123:124], v[123:124], v[119:120]
	ds_read_b128 v[119:122], v180 offset:1056
	s_waitcnt vmcnt(58) lgkmcnt(1)
	v_mul_f64 v[195:196], v[1:2], v[135:136]
	v_mul_f64 v[135:136], v[3:4], v[135:136]
	s_waitcnt vmcnt(56)
	v_fma_f64 v[131:132], v[5:6], v[137:138], -v[131:132]
	v_fma_f64 v[137:138], v[7:8], v[137:138], v[199:200]
	s_waitcnt vmcnt(52) lgkmcnt(0)
	v_mul_f64 v[201:202], v[119:120], v[139:140]
	v_add_f64 v[181:182], v[185:186], v[181:182]
	v_add_f64 v[123:124], v[123:124], v[143:144]
	s_clause 0x4
	buffer_load_dword v144, off, s[0:3], 0 offset:428
	buffer_load_dword v185, off, s[0:3], 0 offset:440
	;; [unrolled: 1-line block ×5, first 2 shown]
	v_mul_f64 v[139:140], v[121:122], v[139:140]
	s_waitcnt vmcnt(56)
	v_fma_f64 v[135:136], v[1:2], v[129:130], -v[135:136]
	ds_read_b128 v[5:8], v180 offset:1072
	v_fma_f64 v[129:130], v[3:4], v[129:130], v[195:196]
	v_add_f64 v[131:132], v[181:182], v[131:132]
	v_add_f64 v[123:124], v[123:124], v[137:138]
	s_clause 0x2
	buffer_load_dword v186, off, s[0:3], 0 offset:444
	buffer_load_dword v138, off, s[0:3], 0 offset:420
	;; [unrolled: 1-line block ×3, first 2 shown]
	s_waitcnt vmcnt(58) lgkmcnt(0)
	v_mul_f64 v[181:182], v[5:6], v[145:146]
	v_mul_f64 v[145:146], v[7:8], v[145:146]
	s_waitcnt vmcnt(56)
	v_fma_f64 v[139:140], v[119:120], v[147:148], -v[139:140]
	ds_read_b128 v[1:4], v180 offset:1088
	v_add_f64 v[131:132], v[131:132], v[135:136]
	v_fma_f64 v[135:136], v[121:122], v[147:148], v[201:202]
	v_add_f64 v[123:124], v[123:124], v[129:130]
	s_clause 0x4
	buffer_load_dword v130, off, s[0:3], 0 offset:460
	buffer_load_dword v147, off, s[0:3], 0 offset:472
	;; [unrolled: 1-line block ×5, first 2 shown]
	s_waitcnt vmcnt(57) lgkmcnt(0)
	v_mul_f64 v[196:197], v[1:2], v[149:150]
	v_mul_f64 v[149:150], v[3:4], v[149:150]
	s_waitcnt vmcnt(56)
	v_fma_f64 v[145:146], v[5:6], v[133:134], -v[145:146]
	ds_read_b128 v[119:122], v180 offset:1104
	v_fma_f64 v[133:134], v[7:8], v[133:134], v[181:182]
	v_add_f64 v[131:132], v[131:132], v[139:140]
	v_add_f64 v[123:124], v[123:124], v[135:136]
	s_clause 0x2
	buffer_load_dword v148, off, s[0:3], 0 offset:476
	buffer_load_dword v136, off, s[0:3], 0 offset:452
	;; [unrolled: 1-line block ×3, first 2 shown]
	ds_read_b128 v[5:8], v180 offset:1120
	s_waitcnt vmcnt(58) lgkmcnt(1)
	v_mul_f64 v[139:140], v[119:120], v[153:154]
	v_mul_f64 v[153:154], v[121:122], v[153:154]
	s_waitcnt vmcnt(56)
	v_fma_f64 v[149:150], v[1:2], v[155:156], -v[149:150]
	v_add_f64 v[131:132], v[131:132], v[145:146]
	v_fma_f64 v[145:146], v[3:4], v[155:156], v[196:197]
	v_add_f64 v[123:124], v[123:124], v[133:134]
	s_clause 0x4
	buffer_load_dword v134, off, s[0:3], 0 offset:492
	buffer_load_dword v155, off, s[0:3], 0 offset:504
	;; [unrolled: 1-line block ×5, first 2 shown]
	s_waitcnt vmcnt(57) lgkmcnt(0)
	v_mul_f64 v[202:203], v[5:6], v[157:158]
	v_mul_f64 v[157:158], v[7:8], v[157:158]
	s_waitcnt vmcnt(56)
	v_fma_f64 v[153:154], v[119:120], v[141:142], -v[153:154]
	ds_read_b128 v[1:4], v180 offset:1136
	v_fma_f64 v[139:140], v[121:122], v[141:142], v[139:140]
	s_clause 0x2
	buffer_load_dword v156, off, s[0:3], 0 offset:508
	buffer_load_dword v142, off, s[0:3], 0 offset:484
	;; [unrolled: 1-line block ×3, first 2 shown]
	ds_read_b128 v[119:122], v180 offset:1152
	v_add_f64 v[131:132], v[131:132], v[149:150]
	v_add_f64 v[123:124], v[123:124], v[145:146]
	s_waitcnt vmcnt(58) lgkmcnt(1)
	v_mul_f64 v[149:150], v[3:4], v[161:162]
	s_waitcnt vmcnt(56)
	v_fma_f64 v[157:158], v[5:6], v[163:164], -v[157:158]
	v_mul_f64 v[145:146], v[1:2], v[161:162]
	v_add_f64 v[131:132], v[131:132], v[153:154]
	v_fma_f64 v[153:154], v[7:8], v[163:164], v[202:203]
	v_add_f64 v[123:124], v[123:124], v[139:140]
	s_clause 0x4
	buffer_load_dword v140, off, s[0:3], 0 offset:524
	buffer_load_dword v161, off, s[0:3], 0 offset:536
	;; [unrolled: 1-line block ×5, first 2 shown]
	s_waitcnt vmcnt(57) lgkmcnt(0)
	v_mul_f64 v[202:203], v[119:120], v[165:166]
	v_mul_f64 v[164:165], v[121:122], v[165:166]
	s_waitcnt vmcnt(56)
	v_fma_f64 v[149:150], v[1:2], v[151:152], -v[149:150]
	ds_read_b128 v[5:8], v180 offset:1168
	v_fma_f64 v[145:146], v[3:4], v[151:152], v[145:146]
	s_clause 0x2
	buffer_load_dword v162, off, s[0:3], 0 offset:540
	buffer_load_dword v152, off, s[0:3], 0 offset:516
	;; [unrolled: 1-line block ×3, first 2 shown]
	ds_read_b128 v[1:4], v180 offset:1184
	v_add_f64 v[131:132], v[131:132], v[157:158]
	v_add_f64 v[123:124], v[123:124], v[153:154]
	s_waitcnt vmcnt(58) lgkmcnt(1)
	v_mul_f64 v[157:158], v[7:8], v[169:170]
	s_waitcnt vmcnt(56)
	v_fma_f64 v[165:166], v[119:120], v[171:172], -v[164:165]
	v_mul_f64 v[153:154], v[5:6], v[169:170]
	v_add_f64 v[131:132], v[131:132], v[149:150]
	v_fma_f64 v[149:150], v[121:122], v[171:172], v[202:203]
	v_add_f64 v[123:124], v[123:124], v[145:146]
	s_clause 0x4
	buffer_load_dword v146, off, s[0:3], 0 offset:556
	buffer_load_dword v169, off, s[0:3], 0 offset:568
	;; [unrolled: 1-line block ×5, first 2 shown]
	s_waitcnt vmcnt(57) lgkmcnt(0)
	v_mul_f64 v[202:203], v[1:2], v[173:174]
	v_mul_f64 v[172:173], v[3:4], v[173:174]
	s_waitcnt vmcnt(56)
	v_fma_f64 v[157:158], v[5:6], v[159:160], -v[157:158]
	ds_read_b128 v[119:122], v180 offset:1200
	v_fma_f64 v[153:154], v[7:8], v[159:160], v[153:154]
	v_add_f64 v[131:132], v[131:132], v[165:166]
	v_add_f64 v[123:124], v[123:124], v[149:150]
	s_clause 0x2
	buffer_load_dword v170, off, s[0:3], 0 offset:572
	buffer_load_dword v150, off, s[0:3], 0 offset:548
	;; [unrolled: 1-line block ×3, first 2 shown]
	ds_read_b128 v[5:8], v180 offset:1216
	s_waitcnt vmcnt(58) lgkmcnt(1)
	v_mul_f64 v[165:166], v[121:122], v[175:176]
	s_waitcnt vmcnt(56)
	v_fma_f64 v[173:174], v[1:2], v[177:178], -v[172:173]
	v_mul_f64 v[159:160], v[119:120], v[175:176]
	v_add_f64 v[131:132], v[131:132], v[157:158]
	v_fma_f64 v[157:158], v[3:4], v[177:178], v[202:203]
	v_add_f64 v[123:124], v[123:124], v[153:154]
	s_clause 0x4
	buffer_load_dword v154, off, s[0:3], 0 offset:588
	buffer_load_dword v175, off, s[0:3], 0 offset:600
	;; [unrolled: 1-line block ×5, first 2 shown]
	s_waitcnt vmcnt(57) lgkmcnt(0)
	v_mul_f64 v[202:203], v[5:6], v[187:188]
	v_mul_f64 v[187:188], v[7:8], v[187:188]
	s_waitcnt vmcnt(56)
	v_fma_f64 v[165:166], v[119:120], v[167:168], -v[165:166]
	ds_read_b128 v[1:4], v180 offset:1232
	v_fma_f64 v[159:160], v[121:122], v[167:168], v[159:160]
	v_add_f64 v[131:132], v[131:132], v[173:174]
	v_add_f64 v[123:124], v[123:124], v[157:158]
	s_clause 0x2
	buffer_load_dword v176, off, s[0:3], 0 offset:604
	buffer_load_dword v158, off, s[0:3], 0 offset:580
	;; [unrolled: 1-line block ×3, first 2 shown]
	ds_read_b128 v[119:122], v180 offset:1248
	s_waitcnt vmcnt(58) lgkmcnt(1)
	v_mul_f64 v[173:174], v[3:4], v[189:190]
	v_mul_f64 v[167:168], v[1:2], v[189:190]
	s_waitcnt vmcnt(56)
	v_fma_f64 v[187:188], v[5:6], v[127:128], -v[187:188]
	v_fma_f64 v[127:128], v[7:8], v[127:128], v[202:203]
	v_add_f64 v[131:132], v[131:132], v[165:166]
	v_add_f64 v[123:124], v[123:124], v[159:160]
	s_clause 0x4
	buffer_load_dword v160, off, s[0:3], 0 offset:620
	buffer_load_dword v165, off, s[0:3], 0 offset:632
	;; [unrolled: 1-line block ×5, first 2 shown]
	ds_read_b128 v[5:8], v180 offset:1264
	s_waitcnt vmcnt(57) lgkmcnt(1)
	v_mul_f64 v[202:203], v[119:120], v[125:126]
	v_mul_f64 v[125:126], v[121:122], v[125:126]
	s_waitcnt vmcnt(56)
	v_fma_f64 v[173:174], v[1:2], v[191:192], -v[173:174]
	v_fma_f64 v[167:168], v[3:4], v[191:192], v[167:168]
	v_add_f64 v[131:132], v[131:132], v[187:188]
	v_add_f64 v[123:124], v[123:124], v[127:128]
	s_clause 0x2
	buffer_load_dword v166, off, s[0:3], 0 offset:636
	buffer_load_dword v128, off, s[0:3], 0 offset:612
	;; [unrolled: 1-line block ×3, first 2 shown]
	s_waitcnt vmcnt(58) lgkmcnt(0)
	v_mul_f64 v[191:192], v[7:8], v[193:194]
	ds_read_b128 v[1:4], v180 offset:1280
	v_mul_f64 v[187:188], v[5:6], v[193:194]
	s_waitcnt vmcnt(56)
	v_fma_f64 v[125:126], v[119:120], v[183:184], -v[125:126]
	v_add_f64 v[131:132], v[131:132], v[173:174]
	v_fma_f64 v[173:174], v[121:122], v[183:184], v[202:203]
	v_add_f64 v[123:124], v[123:124], v[167:168]
	s_clause 0x4
	buffer_load_dword v168, off, s[0:3], 0 offset:652
	buffer_load_dword v183, off, s[0:3], 0 offset:664
	;; [unrolled: 1-line block ×5, first 2 shown]
	ds_read_b128 v[119:122], v180 offset:1296
	s_waitcnt vmcnt(57) lgkmcnt(1)
	v_mul_f64 v[202:203], v[1:2], v[143:144]
	v_mul_f64 v[143:144], v[3:4], v[143:144]
	s_waitcnt vmcnt(56)
	v_fma_f64 v[191:192], v[5:6], v[198:199], -v[191:192]
	v_add_f64 v[125:126], v[131:132], v[125:126]
	v_fma_f64 v[131:132], v[7:8], v[198:199], v[187:188]
	v_add_f64 v[123:124], v[123:124], v[173:174]
	s_clause 0x2
	buffer_load_dword v184, off, s[0:3], 0 offset:668
	buffer_load_dword v174, off, s[0:3], 0 offset:644
	;; [unrolled: 1-line block ×3, first 2 shown]
	ds_read_b128 v[5:8], v180 offset:1312
	s_waitcnt vmcnt(58) lgkmcnt(1)
	v_mul_f64 v[187:188], v[119:120], v[185:186]
	v_mul_f64 v[185:186], v[121:122], v[185:186]
	s_waitcnt vmcnt(56)
	v_fma_f64 v[143:144], v[1:2], v[137:138], -v[143:144]
	v_fma_f64 v[137:138], v[3:4], v[137:138], v[202:203]
	v_add_f64 v[125:126], v[125:126], v[191:192]
	v_add_f64 v[123:124], v[123:124], v[131:132]
	s_clause 0x4
	buffer_load_dword v132, off, s[0:3], 0 offset:684
	buffer_load_dword v191, off, s[0:3], 0 offset:696
	;; [unrolled: 1-line block ×5, first 2 shown]
	ds_read_b128 v[1:4], v180 offset:1328
	s_waitcnt vmcnt(57) lgkmcnt(1)
	v_mul_f64 v[198:199], v[5:6], v[129:130]
	v_mul_f64 v[129:130], v[7:8], v[129:130]
	s_waitcnt vmcnt(56)
	v_fma_f64 v[185:186], v[119:120], v[200:201], -v[185:186]
	v_add_f64 v[125:126], v[125:126], v[143:144]
	v_fma_f64 v[143:144], v[121:122], v[200:201], v[187:188]
	v_add_f64 v[123:124], v[123:124], v[137:138]
	s_clause 0x2
	buffer_load_dword v192, off, s[0:3], 0 offset:700
	buffer_load_dword v138, off, s[0:3], 0 offset:676
	;; [unrolled: 1-line block ×3, first 2 shown]
	ds_read_b128 v[119:122], v180 offset:1344
	s_waitcnt vmcnt(58) lgkmcnt(1)
	v_mul_f64 v[187:188], v[1:2], v[147:148]
	v_mul_f64 v[147:148], v[3:4], v[147:148]
	s_waitcnt vmcnt(56)
	v_fma_f64 v[129:130], v[5:6], v[135:136], -v[129:130]
	v_fma_f64 v[135:136], v[7:8], v[135:136], v[198:199]
	v_add_f64 v[125:126], v[125:126], v[185:186]
	v_add_f64 v[123:124], v[123:124], v[143:144]
	s_clause 0x4
	buffer_load_dword v144, off, s[0:3], 0 offset:716
	buffer_load_dword v185, off, s[0:3], 0 offset:728
	;; [unrolled: 1-line block ×5, first 2 shown]
	ds_read_b128 v[5:8], v180 offset:1360
	s_waitcnt vmcnt(57) lgkmcnt(1)
	v_mul_f64 v[200:201], v[119:120], v[133:134]
	v_mul_f64 v[133:134], v[121:122], v[133:134]
	s_waitcnt vmcnt(56)
	v_fma_f64 v[147:148], v[1:2], v[195:196], -v[147:148]
	v_add_f64 v[125:126], v[125:126], v[129:130]
	v_fma_f64 v[129:130], v[3:4], v[195:196], v[187:188]
	v_add_f64 v[123:124], v[123:124], v[135:136]
	s_clause 0x2
	buffer_load_dword v186, off, s[0:3], 0 offset:732
	buffer_load_dword v136, off, s[0:3], 0 offset:708
	;; [unrolled: 1-line block ×3, first 2 shown]
	s_waitcnt vmcnt(58) lgkmcnt(0)
	v_mul_f64 v[187:188], v[5:6], v[155:156]
	v_mul_f64 v[155:156], v[7:8], v[155:156]
	ds_read_b128 v[1:4], v180 offset:1376
	s_waitcnt vmcnt(56)
	v_fma_f64 v[133:134], v[119:120], v[141:142], -v[133:134]
	v_fma_f64 v[141:142], v[121:122], v[141:142], v[200:201]
	v_add_f64 v[125:126], v[125:126], v[147:148]
	v_add_f64 v[123:124], v[123:124], v[129:130]
	s_clause 0x4
	buffer_load_dword v130, off, s[0:3], 0 offset:748
	buffer_load_dword v147, off, s[0:3], 0 offset:760
	;; [unrolled: 1-line block ×5, first 2 shown]
	ds_read_b128 v[119:122], v180 offset:1392
	s_waitcnt vmcnt(57) lgkmcnt(1)
	v_mul_f64 v[201:202], v[1:2], v[139:140]
	v_mul_f64 v[139:140], v[3:4], v[139:140]
	s_waitcnt vmcnt(56)
	v_fma_f64 v[155:156], v[5:6], v[181:182], -v[155:156]
	v_add_f64 v[125:126], v[125:126], v[133:134]
	v_fma_f64 v[133:134], v[7:8], v[181:182], v[187:188]
	v_add_f64 v[123:124], v[123:124], v[141:142]
	s_clause 0x2
	buffer_load_dword v148, off, s[0:3], 0 offset:764
	buffer_load_dword v142, off, s[0:3], 0 offset:740
	;; [unrolled: 1-line block ×3, first 2 shown]
	s_waitcnt vmcnt(58) lgkmcnt(0)
	v_mul_f64 v[181:182], v[119:120], v[161:162]
	v_mul_f64 v[161:162], v[121:122], v[161:162]
	ds_read_b128 v[5:8], v180 offset:1408
	s_waitcnt vmcnt(56)
	v_fma_f64 v[139:140], v[1:2], v[151:152], -v[139:140]
	v_fma_f64 v[151:152], v[3:4], v[151:152], v[201:202]
	v_add_f64 v[125:126], v[125:126], v[155:156]
	v_add_f64 v[123:124], v[123:124], v[133:134]
	s_clause 0x4
	buffer_load_dword v134, off, s[0:3], 0 offset:780
	buffer_load_dword v155, off, s[0:3], 0 offset:792
	buffer_load_dword v187, off, s[0:3], 0 offset:784
	buffer_load_dword v133, off, s[0:3], 0 offset:776
	buffer_load_dword v196, off, s[0:3], 0 offset:756
	ds_read_b128 v[1:4], v180 offset:1424
	s_waitcnt vmcnt(57) lgkmcnt(1)
	v_mul_f64 v[201:202], v[5:6], v[145:146]
	v_mul_f64 v[145:146], v[7:8], v[145:146]
	s_waitcnt vmcnt(56)
	v_fma_f64 v[161:162], v[119:120], v[163:164], -v[161:162]
	v_add_f64 v[125:126], v[125:126], v[139:140]
	v_fma_f64 v[139:140], v[121:122], v[163:164], v[181:182]
	v_add_f64 v[123:124], v[123:124], v[151:152]
	s_clause 0x2
	buffer_load_dword v156, off, s[0:3], 0 offset:796
	buffer_load_dword v152, off, s[0:3], 0 offset:772
	buffer_load_dword v151, off, s[0:3], 0 offset:768
	ds_read_b128 v[119:122], v180 offset:1440
	s_waitcnt vmcnt(58) lgkmcnt(1)
	v_mul_f64 v[163:164], v[1:2], v[169:170]
	v_mul_f64 v[169:170], v[3:4], v[169:170]
	s_waitcnt vmcnt(56)
	v_fma_f64 v[145:146], v[5:6], v[149:150], -v[145:146]
	v_fma_f64 v[149:150], v[7:8], v[149:150], v[201:202]
	v_add_f64 v[125:126], v[125:126], v[161:162]
	v_add_f64 v[123:124], v[123:124], v[139:140]
	s_clause 0x4
	buffer_load_dword v140, off, s[0:3], 0 offset:812
	buffer_load_dword v161, off, s[0:3], 0 offset:824
	buffer_load_dword v181, off, s[0:3], 0 offset:816
	buffer_load_dword v139, off, s[0:3], 0 offset:808
	buffer_load_dword v188, off, s[0:3], 0 offset:788
	ds_read_b128 v[5:8], v180 offset:1456
	s_waitcnt vmcnt(57) lgkmcnt(1)
	v_mul_f64 v[201:202], v[119:120], v[153:154]
	v_mul_f64 v[153:154], v[121:122], v[153:154]
	s_waitcnt vmcnt(56)
	v_fma_f64 v[169:170], v[1:2], v[171:172], -v[169:170]
	v_add_f64 v[125:126], v[125:126], v[145:146]
	v_fma_f64 v[145:146], v[3:4], v[171:172], v[163:164]
	v_add_f64 v[123:124], v[123:124], v[149:150]
	s_clause 0x2
	buffer_load_dword v162, off, s[0:3], 0 offset:828
	buffer_load_dword v150, off, s[0:3], 0 offset:804
	buffer_load_dword v149, off, s[0:3], 0 offset:800
	ds_read_b128 v[1:4], v180 offset:1472
	s_waitcnt vmcnt(58) lgkmcnt(1)
	v_mul_f64 v[171:172], v[7:8], v[175:176]
	v_mul_f64 v[163:164], v[5:6], v[175:176]
	;; [unrolled: 28-line block ×3, first 2 shown]
	s_waitcnt vmcnt(56)
	v_fma_f64 v[159:160], v[1:2], v[127:128], -v[159:160]
	v_fma_f64 v[127:128], v[3:4], v[127:128], v[201:202]
	v_add_f64 v[125:126], v[125:126], v[171:172]
	v_add_f64 v[123:124], v[123:124], v[153:154]
	s_clause 0x4
	buffer_load_dword v154, off, s[0:3], 0 offset:876
	buffer_load_dword v171, off, s[0:3], 0 offset:888
	;; [unrolled: 1-line block ×5, first 2 shown]
	ds_read_b128 v[1:4], v180 offset:1520
	s_waitcnt vmcnt(57) lgkmcnt(1)
	v_mul_f64 v[201:202], v[5:6], v[167:168]
	v_mul_f64 v[167:168], v[7:8], v[167:168]
	s_waitcnt vmcnt(56)
	v_fma_f64 v[165:166], v[119:120], v[189:190], -v[165:166]
	v_add_f64 v[125:126], v[125:126], v[159:160]
	v_fma_f64 v[159:160], v[121:122], v[189:190], v[163:164]
	v_add_f64 v[123:124], v[123:124], v[127:128]
	s_clause 0x2
	buffer_load_dword v172, off, s[0:3], 0 offset:892
	buffer_load_dword v128, off, s[0:3], 0 offset:868
	;; [unrolled: 1-line block ×3, first 2 shown]
	ds_read_b128 v[119:122], v180 offset:1536
	buffer_load_dword v178, off, s[0:3], 0 offset:884
	s_waitcnt vmcnt(59) lgkmcnt(1)
	v_mul_f64 v[163:164], v[1:2], v[183:184]
	v_mul_f64 v[183:184], v[3:4], v[183:184]
	s_waitcnt vmcnt(57)
	v_fma_f64 v[167:168], v[5:6], v[173:174], -v[167:168]
	v_add_f64 v[125:126], v[125:126], v[165:166]
	v_fma_f64 v[165:166], v[7:8], v[173:174], v[201:202]
	v_add_f64 v[123:124], v[123:124], v[159:160]
	ds_read_b128 v[5:8], v180 offset:1552
	s_waitcnt vmcnt(53) lgkmcnt(1)
	v_mul_f64 v[159:160], v[119:120], v[131:132]
	v_mul_f64 v[131:132], v[121:122], v[131:132]
	s_waitcnt vmcnt(52)
	v_fma_f64 v[173:174], v[1:2], v[193:194], -v[183:184]
	v_fma_f64 v[163:164], v[3:4], v[193:194], v[163:164]
	ds_read_b128 v[1:4], v180 offset:1568
	v_add_f64 v[125:126], v[125:126], v[167:168]
	v_add_f64 v[123:124], v[123:124], v[165:166]
	s_waitcnt vmcnt(51) lgkmcnt(1)
	v_mul_f64 v[167:168], v[7:8], v[191:192]
	v_mul_f64 v[165:166], v[5:6], v[191:192]
	s_waitcnt vmcnt(49)
	v_fma_f64 v[131:132], v[119:120], v[137:138], -v[131:132]
	v_fma_f64 v[137:138], v[121:122], v[137:138], v[159:160]
	v_add_f64 v[125:126], v[125:126], v[173:174]
	v_add_f64 v[123:124], v[123:124], v[163:164]
	s_clause 0x3
	buffer_load_dword v159, off, s[0:3], 0 offset:96
	buffer_load_dword v160, off, s[0:3], 0 offset:100
	;; [unrolled: 1-line block ×4, first 2 shown]
	ds_read_b128 v[119:122], v180 offset:1584
	s_waitcnt vmcnt(49) lgkmcnt(1)
	v_mul_f64 v[173:174], v[1:2], v[143:144]
	v_mul_f64 v[143:144], v[3:4], v[143:144]
	s_waitcnt vmcnt(48)
	v_fma_f64 v[167:168], v[5:6], v[197:198], -v[167:168]
	v_add_f64 v[125:126], v[125:126], v[131:132]
	v_fma_f64 v[131:132], v[7:8], v[197:198], v[165:166]
	v_add_f64 v[123:124], v[123:124], v[137:138]
	ds_read_b128 v[5:8], v180 offset:1600
	s_waitcnt vmcnt(47) lgkmcnt(1)
	v_mul_f64 v[165:166], v[121:122], v[185:186]
	v_mul_f64 v[137:138], v[119:120], v[185:186]
	s_waitcnt vmcnt(45)
	v_fma_f64 v[143:144], v[1:2], v[135:136], -v[143:144]
	v_fma_f64 v[135:136], v[3:4], v[135:136], v[173:174]
	ds_read_b128 v[1:4], v180 offset:1616
	v_add_f64 v[125:126], v[125:126], v[167:168]
	v_add_f64 v[123:124], v[123:124], v[131:132]
	s_waitcnt vmcnt(41) lgkmcnt(1)
	v_mul_f64 v[131:132], v[5:6], v[129:130]
	v_mul_f64 v[129:130], v[7:8], v[129:130]
	s_waitcnt vmcnt(40)
	v_fma_f64 v[165:166], v[119:120], v[199:200], -v[165:166]
	v_fma_f64 v[137:138], v[121:122], v[199:200], v[137:138]
	ds_read_b128 v[119:122], v180 offset:1632
	v_add_f64 v[125:126], v[125:126], v[143:144]
	v_add_f64 v[123:124], v[123:124], v[135:136]
	;; [unrolled: 9-line block ×3, first 2 shown]
	s_waitcnt vmcnt(33) lgkmcnt(1)
	v_mul_f64 v[137:138], v[119:120], v[133:134]
	v_mul_f64 v[133:134], v[121:122], v[133:134]
	s_waitcnt vmcnt(32)
	v_fma_f64 v[141:142], v[1:2], v[195:196], -v[143:144]
	v_add_f64 v[125:126], v[125:126], v[129:130]
	v_fma_f64 v[129:130], v[3:4], v[195:196], v[135:136]
	v_add_f64 v[123:124], v[123:124], v[131:132]
	ds_read_b128 v[1:4], v180 offset:1664
	s_waitcnt vmcnt(31) lgkmcnt(1)
	v_mul_f64 v[135:136], v[7:8], v[155:156]
	v_mul_f64 v[131:132], v[5:6], v[155:156]
	s_waitcnt vmcnt(29)
	v_fma_f64 v[133:134], v[119:120], v[151:152], -v[133:134]
	v_fma_f64 v[137:138], v[121:122], v[151:152], v[137:138]
	ds_read_b128 v[119:122], v180 offset:1680
	v_add_f64 v[125:126], v[125:126], v[141:142]
	v_add_f64 v[123:124], v[123:124], v[129:130]
	s_waitcnt vmcnt(25) lgkmcnt(1)
	v_mul_f64 v[129:130], v[1:2], v[139:140]
	v_mul_f64 v[139:140], v[3:4], v[139:140]
	s_waitcnt vmcnt(24)
	v_fma_f64 v[135:136], v[5:6], v[187:188], -v[135:136]
	v_fma_f64 v[131:132], v[7:8], v[187:188], v[131:132]
	ds_read_b128 v[5:8], v180 offset:1696
	v_add_f64 v[125:126], v[125:126], v[133:134]
	v_add_f64 v[123:124], v[123:124], v[137:138]
	;; [unrolled: 9-line block ×3, first 2 shown]
	s_waitcnt vmcnt(17) lgkmcnt(1)
	v_mul_f64 v[135:136], v[7:8], v[145:146]
	s_waitcnt vmcnt(16)
	v_fma_f64 v[137:138], v[119:120], v[181:182], -v[137:138]
	v_mul_f64 v[131:132], v[5:6], v[145:146]
	v_fma_f64 v[133:134], v[121:122], v[181:182], v[133:134]
	ds_read_b128 v[119:122], v180 offset:1728
	v_add_f64 v[125:126], v[125:126], v[139:140]
	v_add_f64 v[123:124], v[123:124], v[129:130]
	s_waitcnt vmcnt(15) lgkmcnt(1)
	v_mul_f64 v[139:140], v[3:4], v[169:170]
	v_mul_f64 v[129:130], v[1:2], v[169:170]
	s_waitcnt vmcnt(13)
	v_fma_f64 v[135:136], v[5:6], v[157:158], -v[135:136]
	v_fma_f64 v[131:132], v[7:8], v[157:158], v[131:132]
	ds_read_b128 v[5:8], v180 offset:1744
	v_add_f64 v[125:126], v[125:126], v[137:138]
	v_add_f64 v[123:124], v[123:124], v[133:134]
	s_waitcnt vmcnt(9) lgkmcnt(1)
	v_mul_f64 v[137:138], v[121:122], v[153:154]
	s_waitcnt vmcnt(8)
	v_fma_f64 v[1:2], v[1:2], v[175:176], -v[139:140]
	v_mul_f64 v[133:134], v[119:120], v[153:154]
	v_fma_f64 v[3:4], v[3:4], v[175:176], v[129:130]
	v_add_f64 v[125:126], v[125:126], v[135:136]
	v_add_f64 v[123:124], v[123:124], v[131:132]
	s_waitcnt vmcnt(7) lgkmcnt(0)
	v_mul_f64 v[131:132], v[7:8], v[171:172]
	v_mul_f64 v[129:130], v[5:6], v[171:172]
	s_waitcnt vmcnt(5)
	v_fma_f64 v[119:120], v[119:120], v[127:128], -v[137:138]
	v_fma_f64 v[121:122], v[121:122], v[127:128], v[133:134]
	v_add_f64 v[1:2], v[125:126], v[1:2]
	v_add_f64 v[3:4], v[123:124], v[3:4]
	s_waitcnt vmcnt(4)
	v_fma_f64 v[5:6], v[5:6], v[177:178], -v[131:132]
	v_fma_f64 v[7:8], v[7:8], v[177:178], v[129:130]
	v_add_f64 v[1:2], v[1:2], v[119:120]
	v_add_f64 v[3:4], v[3:4], v[121:122]
	;; [unrolled: 1-line block ×4, first 2 shown]
	s_waitcnt vmcnt(2)
	v_add_f64 v[1:2], v[159:160], -v[1:2]
	s_waitcnt vmcnt(0)
	v_add_f64 v[3:4], v[163:164], -v[3:4]
	buffer_store_dword v2, off, s[0:3], 0 offset:100
	buffer_store_dword v1, off, s[0:3], 0 offset:96
	;; [unrolled: 1-line block ×4, first 2 shown]
	v_cmpx_lt_u32_e32 4, v0
	s_cbranch_execz .LBB118_335
; %bb.334:
	v_mov_b32_e32 v4, s63
	s_clause 0x3
	buffer_load_dword v1, v4, s[0:3], 0 offen
	buffer_load_dword v2, v4, s[0:3], 0 offen offset:4
	buffer_load_dword v3, v4, s[0:3], 0 offen offset:8
	;; [unrolled: 1-line block ×3, first 2 shown]
	buffer_store_dword v180, off, s[0:3], 0 offset:80
	buffer_store_dword v180, off, s[0:3], 0 offset:84
	;; [unrolled: 1-line block ×4, first 2 shown]
	s_waitcnt vmcnt(0)
	ds_write_b128 v179, v[1:4]
.LBB118_335:
	s_or_b32 exec_lo, exec_lo, s4
	s_waitcnt lgkmcnt(0)
	s_waitcnt_vscnt null, 0x0
	s_barrier
	buffer_gl0_inv
	s_clause 0x37
	buffer_load_dword v127, off, s[0:3], 0 offset:104
	buffer_load_dword v128, off, s[0:3], 0 offset:108
	;; [unrolled: 1-line block ×56, first 2 shown]
	ds_read_b128 v[5:8], v180 offset:960
	s_clause 0x2
	buffer_load_dword v176, off, s[0:3], 0 offset:332
	buffer_load_dword v178, off, s[0:3], 0 offset:308
	;; [unrolled: 1-line block ×3, first 2 shown]
	ds_read_b128 v[1:4], v180 offset:976
	s_clause 0x4
	buffer_load_dword v188, off, s[0:3], 0 offset:348
	buffer_load_dword v189, off, s[0:3], 0 offset:360
	;; [unrolled: 1-line block ×5, first 2 shown]
	ds_read_b128 v[181:184], v180 offset:992
	s_mov_b32 s4, exec_lo
	s_waitcnt vmcnt(62) lgkmcnt(2)
	v_mul_f64 v[185:186], v[7:8], v[127:128]
	v_mul_f64 v[127:128], v[5:6], v[127:128]
	s_waitcnt vmcnt(60) lgkmcnt(1)
	v_mul_f64 v[192:193], v[3:4], v[123:124]
	v_mul_f64 v[123:124], v[1:2], v[123:124]
	;; [unrolled: 3-line block ×3, first 2 shown]
	v_fma_f64 v[185:186], v[5:6], v[125:126], -v[185:186]
	v_fma_f64 v[125:126], v[7:8], v[125:126], v[127:128]
	s_clause 0x2
	buffer_load_dword v190, off, s[0:3], 0 offset:364
	buffer_load_dword v128, off, s[0:3], 0 offset:340
	;; [unrolled: 1-line block ×3, first 2 shown]
	s_waitcnt vmcnt(57)
	v_fma_f64 v[196:197], v[1:2], v[119:120], -v[192:193]
	ds_read_b128 v[5:8], v180 offset:1008
	v_fma_f64 v[119:120], v[3:4], v[119:120], v[123:124]
	s_waitcnt vmcnt(51)
	v_fma_f64 v[181:182], v[181:182], v[143:144], -v[121:122]
	v_fma_f64 v[143:144], v[183:184], v[143:144], v[194:195]
	v_add_f64 v[185:186], v[185:186], 0
	v_add_f64 v[123:124], v[125:126], 0
	s_clause 0x4
	buffer_load_dword v126, off, s[0:3], 0 offset:380
	buffer_load_dword v193, off, s[0:3], 0 offset:392
	;; [unrolled: 1-line block ×5, first 2 shown]
	s_waitcnt lgkmcnt(0)
	v_mul_f64 v[199:200], v[5:6], v[131:132]
	v_mul_f64 v[131:132], v[7:8], v[131:132]
	ds_read_b128 v[1:4], v180 offset:1024
	s_clause 0x2
	buffer_load_dword v194, off, s[0:3], 0 offset:396
	buffer_load_dword v184, off, s[0:3], 0 offset:372
	;; [unrolled: 1-line block ×3, first 2 shown]
	v_add_f64 v[185:186], v[185:186], v[196:197]
	v_add_f64 v[123:124], v[123:124], v[119:120]
	ds_read_b128 v[119:122], v180 offset:1040
	s_waitcnt vmcnt(58) lgkmcnt(1)
	v_mul_f64 v[195:196], v[1:2], v[135:136]
	v_mul_f64 v[135:136], v[3:4], v[135:136]
	s_waitcnt vmcnt(56)
	v_fma_f64 v[131:132], v[5:6], v[137:138], -v[131:132]
	v_fma_f64 v[137:138], v[7:8], v[137:138], v[199:200]
	s_waitcnt vmcnt(52) lgkmcnt(0)
	v_mul_f64 v[201:202], v[119:120], v[139:140]
	v_add_f64 v[181:182], v[185:186], v[181:182]
	v_add_f64 v[123:124], v[123:124], v[143:144]
	s_clause 0x4
	buffer_load_dword v144, off, s[0:3], 0 offset:412
	buffer_load_dword v185, off, s[0:3], 0 offset:424
	;; [unrolled: 1-line block ×5, first 2 shown]
	v_mul_f64 v[139:140], v[121:122], v[139:140]
	s_waitcnt vmcnt(56)
	v_fma_f64 v[135:136], v[1:2], v[129:130], -v[135:136]
	ds_read_b128 v[5:8], v180 offset:1056
	v_fma_f64 v[129:130], v[3:4], v[129:130], v[195:196]
	v_add_f64 v[131:132], v[181:182], v[131:132]
	v_add_f64 v[123:124], v[123:124], v[137:138]
	s_clause 0x2
	buffer_load_dword v186, off, s[0:3], 0 offset:428
	buffer_load_dword v138, off, s[0:3], 0 offset:404
	;; [unrolled: 1-line block ×3, first 2 shown]
	s_waitcnt vmcnt(58) lgkmcnt(0)
	v_mul_f64 v[181:182], v[5:6], v[145:146]
	v_mul_f64 v[145:146], v[7:8], v[145:146]
	s_waitcnt vmcnt(56)
	v_fma_f64 v[139:140], v[119:120], v[147:148], -v[139:140]
	ds_read_b128 v[1:4], v180 offset:1072
	v_add_f64 v[131:132], v[131:132], v[135:136]
	v_fma_f64 v[135:136], v[121:122], v[147:148], v[201:202]
	v_add_f64 v[123:124], v[123:124], v[129:130]
	s_clause 0x4
	buffer_load_dword v130, off, s[0:3], 0 offset:444
	buffer_load_dword v147, off, s[0:3], 0 offset:456
	;; [unrolled: 1-line block ×5, first 2 shown]
	s_waitcnt vmcnt(57) lgkmcnt(0)
	v_mul_f64 v[196:197], v[1:2], v[149:150]
	v_mul_f64 v[149:150], v[3:4], v[149:150]
	s_waitcnt vmcnt(56)
	v_fma_f64 v[145:146], v[5:6], v[133:134], -v[145:146]
	ds_read_b128 v[119:122], v180 offset:1088
	v_fma_f64 v[133:134], v[7:8], v[133:134], v[181:182]
	v_add_f64 v[131:132], v[131:132], v[139:140]
	v_add_f64 v[123:124], v[123:124], v[135:136]
	s_clause 0x2
	buffer_load_dword v148, off, s[0:3], 0 offset:460
	buffer_load_dword v136, off, s[0:3], 0 offset:436
	;; [unrolled: 1-line block ×3, first 2 shown]
	ds_read_b128 v[5:8], v180 offset:1104
	s_waitcnt vmcnt(58) lgkmcnt(1)
	v_mul_f64 v[139:140], v[119:120], v[153:154]
	v_mul_f64 v[153:154], v[121:122], v[153:154]
	s_waitcnt vmcnt(56)
	v_fma_f64 v[149:150], v[1:2], v[155:156], -v[149:150]
	v_add_f64 v[131:132], v[131:132], v[145:146]
	v_fma_f64 v[145:146], v[3:4], v[155:156], v[196:197]
	v_add_f64 v[123:124], v[123:124], v[133:134]
	s_clause 0x4
	buffer_load_dword v134, off, s[0:3], 0 offset:476
	buffer_load_dword v155, off, s[0:3], 0 offset:488
	;; [unrolled: 1-line block ×5, first 2 shown]
	s_waitcnt vmcnt(57) lgkmcnt(0)
	v_mul_f64 v[202:203], v[5:6], v[157:158]
	v_mul_f64 v[157:158], v[7:8], v[157:158]
	s_waitcnt vmcnt(56)
	v_fma_f64 v[153:154], v[119:120], v[141:142], -v[153:154]
	ds_read_b128 v[1:4], v180 offset:1120
	v_fma_f64 v[139:140], v[121:122], v[141:142], v[139:140]
	s_clause 0x2
	buffer_load_dword v156, off, s[0:3], 0 offset:492
	buffer_load_dword v142, off, s[0:3], 0 offset:468
	;; [unrolled: 1-line block ×3, first 2 shown]
	ds_read_b128 v[119:122], v180 offset:1136
	v_add_f64 v[131:132], v[131:132], v[149:150]
	v_add_f64 v[123:124], v[123:124], v[145:146]
	s_waitcnt vmcnt(58) lgkmcnt(1)
	v_mul_f64 v[149:150], v[3:4], v[161:162]
	s_waitcnt vmcnt(56)
	v_fma_f64 v[157:158], v[5:6], v[163:164], -v[157:158]
	v_mul_f64 v[145:146], v[1:2], v[161:162]
	v_add_f64 v[131:132], v[131:132], v[153:154]
	v_fma_f64 v[153:154], v[7:8], v[163:164], v[202:203]
	v_add_f64 v[123:124], v[123:124], v[139:140]
	s_clause 0x4
	buffer_load_dword v140, off, s[0:3], 0 offset:508
	buffer_load_dword v161, off, s[0:3], 0 offset:520
	;; [unrolled: 1-line block ×5, first 2 shown]
	s_waitcnt vmcnt(57) lgkmcnt(0)
	v_mul_f64 v[202:203], v[119:120], v[165:166]
	v_mul_f64 v[164:165], v[121:122], v[165:166]
	s_waitcnt vmcnt(56)
	v_fma_f64 v[149:150], v[1:2], v[151:152], -v[149:150]
	ds_read_b128 v[5:8], v180 offset:1152
	v_fma_f64 v[145:146], v[3:4], v[151:152], v[145:146]
	s_clause 0x2
	buffer_load_dword v162, off, s[0:3], 0 offset:524
	buffer_load_dword v152, off, s[0:3], 0 offset:500
	;; [unrolled: 1-line block ×3, first 2 shown]
	ds_read_b128 v[1:4], v180 offset:1168
	v_add_f64 v[131:132], v[131:132], v[157:158]
	v_add_f64 v[123:124], v[123:124], v[153:154]
	s_waitcnt vmcnt(58) lgkmcnt(1)
	v_mul_f64 v[157:158], v[7:8], v[169:170]
	s_waitcnt vmcnt(56)
	v_fma_f64 v[165:166], v[119:120], v[171:172], -v[164:165]
	v_mul_f64 v[153:154], v[5:6], v[169:170]
	v_add_f64 v[131:132], v[131:132], v[149:150]
	v_fma_f64 v[149:150], v[121:122], v[171:172], v[202:203]
	v_add_f64 v[123:124], v[123:124], v[145:146]
	s_clause 0x4
	buffer_load_dword v146, off, s[0:3], 0 offset:540
	buffer_load_dword v169, off, s[0:3], 0 offset:552
	;; [unrolled: 1-line block ×5, first 2 shown]
	s_waitcnt vmcnt(57) lgkmcnt(0)
	v_mul_f64 v[202:203], v[1:2], v[173:174]
	v_mul_f64 v[172:173], v[3:4], v[173:174]
	s_waitcnt vmcnt(56)
	v_fma_f64 v[157:158], v[5:6], v[159:160], -v[157:158]
	ds_read_b128 v[119:122], v180 offset:1184
	v_fma_f64 v[153:154], v[7:8], v[159:160], v[153:154]
	v_add_f64 v[131:132], v[131:132], v[165:166]
	v_add_f64 v[123:124], v[123:124], v[149:150]
	s_clause 0x2
	buffer_load_dword v170, off, s[0:3], 0 offset:556
	buffer_load_dword v150, off, s[0:3], 0 offset:532
	;; [unrolled: 1-line block ×3, first 2 shown]
	ds_read_b128 v[5:8], v180 offset:1200
	s_waitcnt vmcnt(58) lgkmcnt(1)
	v_mul_f64 v[165:166], v[121:122], v[175:176]
	s_waitcnt vmcnt(56)
	v_fma_f64 v[173:174], v[1:2], v[177:178], -v[172:173]
	v_mul_f64 v[159:160], v[119:120], v[175:176]
	v_add_f64 v[131:132], v[131:132], v[157:158]
	v_fma_f64 v[157:158], v[3:4], v[177:178], v[202:203]
	v_add_f64 v[123:124], v[123:124], v[153:154]
	s_clause 0x4
	buffer_load_dword v154, off, s[0:3], 0 offset:572
	buffer_load_dword v175, off, s[0:3], 0 offset:584
	;; [unrolled: 1-line block ×5, first 2 shown]
	s_waitcnt vmcnt(57) lgkmcnt(0)
	v_mul_f64 v[202:203], v[5:6], v[187:188]
	v_mul_f64 v[187:188], v[7:8], v[187:188]
	s_waitcnt vmcnt(56)
	v_fma_f64 v[165:166], v[119:120], v[167:168], -v[165:166]
	ds_read_b128 v[1:4], v180 offset:1216
	v_fma_f64 v[159:160], v[121:122], v[167:168], v[159:160]
	v_add_f64 v[131:132], v[131:132], v[173:174]
	v_add_f64 v[123:124], v[123:124], v[157:158]
	s_clause 0x2
	buffer_load_dword v176, off, s[0:3], 0 offset:588
	buffer_load_dword v158, off, s[0:3], 0 offset:564
	;; [unrolled: 1-line block ×3, first 2 shown]
	ds_read_b128 v[119:122], v180 offset:1232
	s_waitcnt vmcnt(58) lgkmcnt(1)
	v_mul_f64 v[173:174], v[3:4], v[189:190]
	v_mul_f64 v[167:168], v[1:2], v[189:190]
	s_waitcnt vmcnt(56)
	v_fma_f64 v[187:188], v[5:6], v[127:128], -v[187:188]
	v_fma_f64 v[127:128], v[7:8], v[127:128], v[202:203]
	v_add_f64 v[131:132], v[131:132], v[165:166]
	v_add_f64 v[123:124], v[123:124], v[159:160]
	s_clause 0x4
	buffer_load_dword v160, off, s[0:3], 0 offset:604
	buffer_load_dword v165, off, s[0:3], 0 offset:616
	;; [unrolled: 1-line block ×5, first 2 shown]
	ds_read_b128 v[5:8], v180 offset:1248
	s_waitcnt vmcnt(57) lgkmcnt(1)
	v_mul_f64 v[202:203], v[119:120], v[125:126]
	v_mul_f64 v[125:126], v[121:122], v[125:126]
	s_waitcnt vmcnt(56)
	v_fma_f64 v[173:174], v[1:2], v[191:192], -v[173:174]
	v_fma_f64 v[167:168], v[3:4], v[191:192], v[167:168]
	v_add_f64 v[131:132], v[131:132], v[187:188]
	v_add_f64 v[123:124], v[123:124], v[127:128]
	s_clause 0x2
	buffer_load_dword v166, off, s[0:3], 0 offset:620
	buffer_load_dword v128, off, s[0:3], 0 offset:596
	;; [unrolled: 1-line block ×3, first 2 shown]
	s_waitcnt vmcnt(58) lgkmcnt(0)
	v_mul_f64 v[191:192], v[7:8], v[193:194]
	ds_read_b128 v[1:4], v180 offset:1264
	v_mul_f64 v[187:188], v[5:6], v[193:194]
	s_waitcnt vmcnt(56)
	v_fma_f64 v[125:126], v[119:120], v[183:184], -v[125:126]
	v_add_f64 v[131:132], v[131:132], v[173:174]
	v_fma_f64 v[173:174], v[121:122], v[183:184], v[202:203]
	v_add_f64 v[123:124], v[123:124], v[167:168]
	s_clause 0x4
	buffer_load_dword v168, off, s[0:3], 0 offset:636
	buffer_load_dword v183, off, s[0:3], 0 offset:648
	;; [unrolled: 1-line block ×5, first 2 shown]
	ds_read_b128 v[119:122], v180 offset:1280
	s_waitcnt vmcnt(57) lgkmcnt(1)
	v_mul_f64 v[202:203], v[1:2], v[143:144]
	v_mul_f64 v[143:144], v[3:4], v[143:144]
	s_waitcnt vmcnt(56)
	v_fma_f64 v[191:192], v[5:6], v[198:199], -v[191:192]
	v_add_f64 v[125:126], v[131:132], v[125:126]
	v_fma_f64 v[131:132], v[7:8], v[198:199], v[187:188]
	v_add_f64 v[123:124], v[123:124], v[173:174]
	s_clause 0x2
	buffer_load_dword v184, off, s[0:3], 0 offset:652
	buffer_load_dword v174, off, s[0:3], 0 offset:628
	;; [unrolled: 1-line block ×3, first 2 shown]
	ds_read_b128 v[5:8], v180 offset:1296
	s_waitcnt vmcnt(58) lgkmcnt(1)
	v_mul_f64 v[187:188], v[119:120], v[185:186]
	v_mul_f64 v[185:186], v[121:122], v[185:186]
	s_waitcnt vmcnt(56)
	v_fma_f64 v[143:144], v[1:2], v[137:138], -v[143:144]
	v_fma_f64 v[137:138], v[3:4], v[137:138], v[202:203]
	v_add_f64 v[125:126], v[125:126], v[191:192]
	v_add_f64 v[123:124], v[123:124], v[131:132]
	s_clause 0x4
	buffer_load_dword v132, off, s[0:3], 0 offset:668
	buffer_load_dword v191, off, s[0:3], 0 offset:680
	;; [unrolled: 1-line block ×5, first 2 shown]
	ds_read_b128 v[1:4], v180 offset:1312
	s_waitcnt vmcnt(57) lgkmcnt(1)
	v_mul_f64 v[198:199], v[5:6], v[129:130]
	v_mul_f64 v[129:130], v[7:8], v[129:130]
	s_waitcnt vmcnt(56)
	v_fma_f64 v[185:186], v[119:120], v[200:201], -v[185:186]
	v_add_f64 v[125:126], v[125:126], v[143:144]
	v_fma_f64 v[143:144], v[121:122], v[200:201], v[187:188]
	v_add_f64 v[123:124], v[123:124], v[137:138]
	s_clause 0x2
	buffer_load_dword v192, off, s[0:3], 0 offset:684
	buffer_load_dword v138, off, s[0:3], 0 offset:660
	;; [unrolled: 1-line block ×3, first 2 shown]
	ds_read_b128 v[119:122], v180 offset:1328
	s_waitcnt vmcnt(58) lgkmcnt(1)
	v_mul_f64 v[187:188], v[1:2], v[147:148]
	v_mul_f64 v[147:148], v[3:4], v[147:148]
	s_waitcnt vmcnt(56)
	v_fma_f64 v[129:130], v[5:6], v[135:136], -v[129:130]
	v_fma_f64 v[135:136], v[7:8], v[135:136], v[198:199]
	v_add_f64 v[125:126], v[125:126], v[185:186]
	v_add_f64 v[123:124], v[123:124], v[143:144]
	s_clause 0x4
	buffer_load_dword v144, off, s[0:3], 0 offset:700
	buffer_load_dword v185, off, s[0:3], 0 offset:712
	;; [unrolled: 1-line block ×5, first 2 shown]
	ds_read_b128 v[5:8], v180 offset:1344
	s_waitcnt vmcnt(57) lgkmcnt(1)
	v_mul_f64 v[200:201], v[119:120], v[133:134]
	v_mul_f64 v[133:134], v[121:122], v[133:134]
	s_waitcnt vmcnt(56)
	v_fma_f64 v[147:148], v[1:2], v[195:196], -v[147:148]
	v_add_f64 v[125:126], v[125:126], v[129:130]
	v_fma_f64 v[129:130], v[3:4], v[195:196], v[187:188]
	v_add_f64 v[123:124], v[123:124], v[135:136]
	s_clause 0x2
	buffer_load_dword v186, off, s[0:3], 0 offset:716
	buffer_load_dword v136, off, s[0:3], 0 offset:692
	;; [unrolled: 1-line block ×3, first 2 shown]
	s_waitcnt vmcnt(58) lgkmcnt(0)
	v_mul_f64 v[187:188], v[5:6], v[155:156]
	v_mul_f64 v[155:156], v[7:8], v[155:156]
	ds_read_b128 v[1:4], v180 offset:1360
	s_waitcnt vmcnt(56)
	v_fma_f64 v[133:134], v[119:120], v[141:142], -v[133:134]
	v_fma_f64 v[141:142], v[121:122], v[141:142], v[200:201]
	v_add_f64 v[125:126], v[125:126], v[147:148]
	v_add_f64 v[123:124], v[123:124], v[129:130]
	s_clause 0x4
	buffer_load_dword v130, off, s[0:3], 0 offset:732
	buffer_load_dword v147, off, s[0:3], 0 offset:744
	;; [unrolled: 1-line block ×5, first 2 shown]
	ds_read_b128 v[119:122], v180 offset:1376
	s_waitcnt vmcnt(57) lgkmcnt(1)
	v_mul_f64 v[201:202], v[1:2], v[139:140]
	v_mul_f64 v[139:140], v[3:4], v[139:140]
	s_waitcnt vmcnt(56)
	v_fma_f64 v[155:156], v[5:6], v[181:182], -v[155:156]
	v_add_f64 v[125:126], v[125:126], v[133:134]
	v_fma_f64 v[133:134], v[7:8], v[181:182], v[187:188]
	v_add_f64 v[123:124], v[123:124], v[141:142]
	s_clause 0x2
	buffer_load_dword v148, off, s[0:3], 0 offset:748
	buffer_load_dword v142, off, s[0:3], 0 offset:724
	;; [unrolled: 1-line block ×3, first 2 shown]
	s_waitcnt vmcnt(58) lgkmcnt(0)
	v_mul_f64 v[181:182], v[119:120], v[161:162]
	v_mul_f64 v[161:162], v[121:122], v[161:162]
	ds_read_b128 v[5:8], v180 offset:1392
	s_waitcnt vmcnt(56)
	v_fma_f64 v[139:140], v[1:2], v[151:152], -v[139:140]
	v_fma_f64 v[151:152], v[3:4], v[151:152], v[201:202]
	v_add_f64 v[125:126], v[125:126], v[155:156]
	v_add_f64 v[123:124], v[123:124], v[133:134]
	s_clause 0x4
	buffer_load_dword v134, off, s[0:3], 0 offset:764
	buffer_load_dword v155, off, s[0:3], 0 offset:776
	buffer_load_dword v187, off, s[0:3], 0 offset:768
	buffer_load_dword v133, off, s[0:3], 0 offset:760
	buffer_load_dword v196, off, s[0:3], 0 offset:740
	ds_read_b128 v[1:4], v180 offset:1408
	s_waitcnt vmcnt(57) lgkmcnt(1)
	v_mul_f64 v[201:202], v[5:6], v[145:146]
	v_mul_f64 v[145:146], v[7:8], v[145:146]
	s_waitcnt vmcnt(56)
	v_fma_f64 v[161:162], v[119:120], v[163:164], -v[161:162]
	v_add_f64 v[125:126], v[125:126], v[139:140]
	v_fma_f64 v[139:140], v[121:122], v[163:164], v[181:182]
	v_add_f64 v[123:124], v[123:124], v[151:152]
	s_clause 0x2
	buffer_load_dword v156, off, s[0:3], 0 offset:780
	buffer_load_dword v152, off, s[0:3], 0 offset:756
	buffer_load_dword v151, off, s[0:3], 0 offset:752
	ds_read_b128 v[119:122], v180 offset:1424
	s_waitcnt vmcnt(58) lgkmcnt(1)
	v_mul_f64 v[163:164], v[1:2], v[169:170]
	v_mul_f64 v[169:170], v[3:4], v[169:170]
	s_waitcnt vmcnt(56)
	v_fma_f64 v[145:146], v[5:6], v[149:150], -v[145:146]
	v_fma_f64 v[149:150], v[7:8], v[149:150], v[201:202]
	v_add_f64 v[125:126], v[125:126], v[161:162]
	v_add_f64 v[123:124], v[123:124], v[139:140]
	s_clause 0x4
	buffer_load_dword v140, off, s[0:3], 0 offset:796
	buffer_load_dword v161, off, s[0:3], 0 offset:808
	buffer_load_dword v181, off, s[0:3], 0 offset:800
	buffer_load_dword v139, off, s[0:3], 0 offset:792
	buffer_load_dword v188, off, s[0:3], 0 offset:772
	ds_read_b128 v[5:8], v180 offset:1440
	s_waitcnt vmcnt(57) lgkmcnt(1)
	v_mul_f64 v[201:202], v[119:120], v[153:154]
	v_mul_f64 v[153:154], v[121:122], v[153:154]
	s_waitcnt vmcnt(56)
	v_fma_f64 v[169:170], v[1:2], v[171:172], -v[169:170]
	v_add_f64 v[125:126], v[125:126], v[145:146]
	v_fma_f64 v[145:146], v[3:4], v[171:172], v[163:164]
	v_add_f64 v[123:124], v[123:124], v[149:150]
	s_clause 0x2
	buffer_load_dword v162, off, s[0:3], 0 offset:812
	buffer_load_dword v150, off, s[0:3], 0 offset:788
	buffer_load_dword v149, off, s[0:3], 0 offset:784
	ds_read_b128 v[1:4], v180 offset:1456
	s_waitcnt vmcnt(58) lgkmcnt(1)
	v_mul_f64 v[171:172], v[7:8], v[175:176]
	v_mul_f64 v[163:164], v[5:6], v[175:176]
	;; [unrolled: 28-line block ×4, first 2 shown]
	s_waitcnt vmcnt(56)
	v_fma_f64 v[167:168], v[5:6], v[173:174], -v[167:168]
	v_add_f64 v[125:126], v[125:126], v[165:166]
	v_fma_f64 v[165:166], v[7:8], v[173:174], v[201:202]
	v_add_f64 v[123:124], v[123:124], v[159:160]
	s_clause 0x2
	buffer_load_dword v160, off, s[0:3], 0 offset:892
	buffer_load_dword v159, off, s[0:3], 0 offset:888
	;; [unrolled: 1-line block ×3, first 2 shown]
	ds_read_b128 v[5:8], v180 offset:1536
	s_waitcnt vmcnt(55) lgkmcnt(1)
	v_mul_f64 v[173:174], v[119:120], v[131:132]
	v_mul_f64 v[131:132], v[121:122], v[131:132]
	s_waitcnt vmcnt(54)
	v_fma_f64 v[183:184], v[1:2], v[193:194], -v[183:184]
	v_fma_f64 v[163:164], v[3:4], v[193:194], v[163:164]
	v_add_f64 v[125:126], v[125:126], v[167:168]
	v_add_f64 v[123:124], v[123:124], v[165:166]
	s_clause 0x1
	buffer_load_dword v166, off, s[0:3], 0 offset:884
	buffer_load_dword v165, off, s[0:3], 0 offset:880
	ds_read_b128 v[1:4], v180 offset:1552
	s_waitcnt vmcnt(55) lgkmcnt(1)
	v_mul_f64 v[189:190], v[7:8], v[191:192]
	v_mul_f64 v[167:168], v[5:6], v[191:192]
	s_waitcnt vmcnt(53)
	v_fma_f64 v[131:132], v[119:120], v[137:138], -v[131:132]
	v_fma_f64 v[137:138], v[121:122], v[137:138], v[173:174]
	ds_read_b128 v[119:122], v180 offset:1568
	v_add_f64 v[125:126], v[125:126], v[183:184]
	v_add_f64 v[123:124], v[123:124], v[163:164]
	s_waitcnt vmcnt(49) lgkmcnt(1)
	v_mul_f64 v[163:164], v[1:2], v[143:144]
	v_mul_f64 v[143:144], v[3:4], v[143:144]
	s_waitcnt vmcnt(48)
	v_fma_f64 v[173:174], v[5:6], v[197:198], -v[189:190]
	v_add_f64 v[125:126], v[125:126], v[131:132]
	v_fma_f64 v[131:132], v[7:8], v[197:198], v[167:168]
	v_add_f64 v[123:124], v[123:124], v[137:138]
	s_clause 0x3
	buffer_load_dword v137, off, s[0:3], 0 offset:80
	buffer_load_dword v138, off, s[0:3], 0 offset:84
	buffer_load_dword v167, off, s[0:3], 0 offset:88
	buffer_load_dword v168, off, s[0:3], 0 offset:92
	ds_read_b128 v[5:8], v180 offset:1584
	s_waitcnt vmcnt(51) lgkmcnt(1)
	v_mul_f64 v[183:184], v[119:120], v[185:186]
	v_mul_f64 v[185:186], v[121:122], v[185:186]
	s_waitcnt vmcnt(49)
	v_fma_f64 v[143:144], v[1:2], v[135:136], -v[143:144]
	v_fma_f64 v[135:136], v[3:4], v[135:136], v[163:164]
	ds_read_b128 v[1:4], v180 offset:1600
	v_add_f64 v[125:126], v[125:126], v[173:174]
	v_add_f64 v[123:124], v[123:124], v[131:132]
	s_waitcnt vmcnt(45) lgkmcnt(1)
	v_mul_f64 v[131:132], v[5:6], v[129:130]
	v_mul_f64 v[129:130], v[7:8], v[129:130]
	s_waitcnt vmcnt(44)
	v_fma_f64 v[163:164], v[119:120], v[199:200], -v[185:186]
	v_add_f64 v[125:126], v[125:126], v[143:144]
	v_fma_f64 v[143:144], v[121:122], v[199:200], v[183:184]
	v_add_f64 v[123:124], v[123:124], v[135:136]
	ds_read_b128 v[119:122], v180 offset:1616
	s_waitcnt vmcnt(43) lgkmcnt(1)
	v_mul_f64 v[135:136], v[1:2], v[147:148]
	v_mul_f64 v[147:148], v[3:4], v[147:148]
	s_waitcnt vmcnt(41)
	v_fma_f64 v[129:130], v[5:6], v[141:142], -v[129:130]
	v_fma_f64 v[131:132], v[7:8], v[141:142], v[131:132]
	ds_read_b128 v[5:8], v180 offset:1632
	v_add_f64 v[125:126], v[125:126], v[163:164]
	v_add_f64 v[123:124], v[123:124], v[143:144]
	s_waitcnt vmcnt(37) lgkmcnt(1)
	v_mul_f64 v[141:142], v[119:120], v[133:134]
	v_mul_f64 v[133:134], v[121:122], v[133:134]
	s_waitcnt vmcnt(36)
	v_fma_f64 v[143:144], v[1:2], v[195:196], -v[147:148]
	v_add_f64 v[125:126], v[125:126], v[129:130]
	v_fma_f64 v[129:130], v[3:4], v[195:196], v[135:136]
	v_add_f64 v[123:124], v[123:124], v[131:132]
	ds_read_b128 v[1:4], v180 offset:1648
	s_waitcnt vmcnt(35) lgkmcnt(1)
	v_mul_f64 v[135:136], v[7:8], v[155:156]
	v_mul_f64 v[131:132], v[5:6], v[155:156]
	s_waitcnt vmcnt(33)
	v_fma_f64 v[133:134], v[119:120], v[151:152], -v[133:134]
	v_fma_f64 v[141:142], v[121:122], v[151:152], v[141:142]
	ds_read_b128 v[119:122], v180 offset:1664
	v_add_f64 v[125:126], v[125:126], v[143:144]
	v_add_f64 v[123:124], v[123:124], v[129:130]
	s_waitcnt vmcnt(29) lgkmcnt(1)
	v_mul_f64 v[129:130], v[1:2], v[139:140]
	v_mul_f64 v[139:140], v[3:4], v[139:140]
	s_waitcnt vmcnt(28)
	v_fma_f64 v[135:136], v[5:6], v[187:188], -v[135:136]
	v_fma_f64 v[131:132], v[7:8], v[187:188], v[131:132]
	ds_read_b128 v[5:8], v180 offset:1680
	v_add_f64 v[125:126], v[125:126], v[133:134]
	v_add_f64 v[123:124], v[123:124], v[141:142]
	;; [unrolled: 9-line block ×3, first 2 shown]
	s_waitcnt vmcnt(21) lgkmcnt(1)
	v_mul_f64 v[135:136], v[7:8], v[145:146]
	s_waitcnt vmcnt(20)
	v_fma_f64 v[141:142], v[119:120], v[181:182], -v[141:142]
	v_mul_f64 v[131:132], v[5:6], v[145:146]
	v_fma_f64 v[133:134], v[121:122], v[181:182], v[133:134]
	ds_read_b128 v[119:122], v180 offset:1712
	v_add_f64 v[125:126], v[125:126], v[139:140]
	v_add_f64 v[123:124], v[123:124], v[129:130]
	s_waitcnt vmcnt(19) lgkmcnt(1)
	v_mul_f64 v[139:140], v[3:4], v[169:170]
	v_mul_f64 v[129:130], v[1:2], v[169:170]
	s_waitcnt vmcnt(17)
	v_fma_f64 v[135:136], v[5:6], v[157:158], -v[135:136]
	v_fma_f64 v[131:132], v[7:8], v[157:158], v[131:132]
	ds_read_b128 v[5:8], v180 offset:1728
	v_add_f64 v[125:126], v[125:126], v[141:142]
	v_add_f64 v[123:124], v[123:124], v[133:134]
	s_waitcnt vmcnt(13) lgkmcnt(1)
	v_mul_f64 v[141:142], v[121:122], v[153:154]
	s_waitcnt vmcnt(12)
	v_fma_f64 v[139:140], v[1:2], v[175:176], -v[139:140]
	v_mul_f64 v[133:134], v[119:120], v[153:154]
	v_fma_f64 v[129:130], v[3:4], v[175:176], v[129:130]
	ds_read_b128 v[1:4], v180 offset:1744
	v_add_f64 v[125:126], v[125:126], v[135:136]
	v_add_f64 v[123:124], v[123:124], v[131:132]
	s_waitcnt vmcnt(11) lgkmcnt(1)
	v_mul_f64 v[135:136], v[7:8], v[171:172]
	v_mul_f64 v[131:132], v[5:6], v[171:172]
	s_waitcnt vmcnt(9)
	v_fma_f64 v[119:120], v[119:120], v[127:128], -v[141:142]
	v_fma_f64 v[121:122], v[121:122], v[127:128], v[133:134]
	v_add_f64 v[125:126], v[125:126], v[139:140]
	v_add_f64 v[123:124], v[123:124], v[129:130]
	s_waitcnt vmcnt(7) lgkmcnt(0)
	v_mul_f64 v[129:130], v[3:4], v[159:160]
	s_waitcnt vmcnt(6)
	v_fma_f64 v[5:6], v[5:6], v[177:178], -v[135:136]
	v_mul_f64 v[127:128], v[1:2], v[159:160]
	v_fma_f64 v[7:8], v[7:8], v[177:178], v[131:132]
	v_add_f64 v[119:120], v[125:126], v[119:120]
	v_add_f64 v[121:122], v[123:124], v[121:122]
	s_waitcnt vmcnt(4)
	v_fma_f64 v[1:2], v[1:2], v[165:166], -v[129:130]
	v_fma_f64 v[3:4], v[3:4], v[165:166], v[127:128]
	v_add_f64 v[5:6], v[119:120], v[5:6]
	v_add_f64 v[7:8], v[121:122], v[7:8]
	;; [unrolled: 1-line block ×4, first 2 shown]
	s_waitcnt vmcnt(2)
	v_add_f64 v[1:2], v[137:138], -v[1:2]
	s_waitcnt vmcnt(0)
	v_add_f64 v[3:4], v[167:168], -v[3:4]
	buffer_store_dword v2, off, s[0:3], 0 offset:84
	buffer_store_dword v1, off, s[0:3], 0 offset:80
	;; [unrolled: 1-line block ×4, first 2 shown]
	v_cmpx_lt_u32_e32 3, v0
	s_cbranch_execz .LBB118_337
; %bb.336:
	v_mov_b32_e32 v4, s64
	v_mov_b32_e32 v5, 0
	s_clause 0x3
	buffer_load_dword v1, v4, s[0:3], 0 offen
	buffer_load_dword v2, v4, s[0:3], 0 offen offset:4
	buffer_load_dword v3, v4, s[0:3], 0 offen offset:8
	buffer_load_dword v4, v4, s[0:3], 0 offen offset:12
	buffer_store_dword v5, off, s[0:3], 0 offset:64
	buffer_store_dword v5, off, s[0:3], 0 offset:68
	;; [unrolled: 1-line block ×4, first 2 shown]
	s_waitcnt vmcnt(0)
	ds_write_b128 v179, v[1:4]
.LBB118_337:
	s_or_b32 exec_lo, exec_lo, s4
	s_waitcnt lgkmcnt(0)
	s_waitcnt_vscnt null, 0x0
	s_barrier
	buffer_gl0_inv
	s_clause 0x37
	buffer_load_dword v127, off, s[0:3], 0 offset:88
	buffer_load_dword v128, off, s[0:3], 0 offset:92
	;; [unrolled: 1-line block ×56, first 2 shown]
	v_mov_b32_e32 v180, 0
	s_mov_b32 s4, exec_lo
	ds_read_b128 v[5:8], v180 offset:944
	s_clause 0x2
	buffer_load_dword v176, off, s[0:3], 0 offset:316
	buffer_load_dword v178, off, s[0:3], 0 offset:292
	;; [unrolled: 1-line block ×3, first 2 shown]
	ds_read_b128 v[1:4], v180 offset:960
	s_clause 0x4
	buffer_load_dword v188, off, s[0:3], 0 offset:332
	buffer_load_dword v189, off, s[0:3], 0 offset:344
	;; [unrolled: 1-line block ×5, first 2 shown]
	ds_read_b128 v[181:184], v180 offset:976
	s_waitcnt vmcnt(62) lgkmcnt(2)
	v_mul_f64 v[185:186], v[7:8], v[127:128]
	v_mul_f64 v[127:128], v[5:6], v[127:128]
	s_waitcnt vmcnt(60) lgkmcnt(1)
	v_mul_f64 v[192:193], v[3:4], v[123:124]
	v_mul_f64 v[123:124], v[1:2], v[123:124]
	;; [unrolled: 3-line block ×3, first 2 shown]
	v_fma_f64 v[185:186], v[5:6], v[125:126], -v[185:186]
	v_fma_f64 v[125:126], v[7:8], v[125:126], v[127:128]
	s_clause 0x2
	buffer_load_dword v190, off, s[0:3], 0 offset:348
	buffer_load_dword v128, off, s[0:3], 0 offset:324
	buffer_load_dword v127, off, s[0:3], 0 offset:320
	s_waitcnt vmcnt(57)
	v_fma_f64 v[196:197], v[1:2], v[119:120], -v[192:193]
	ds_read_b128 v[5:8], v180 offset:992
	v_fma_f64 v[119:120], v[3:4], v[119:120], v[123:124]
	s_waitcnt vmcnt(51)
	v_fma_f64 v[181:182], v[181:182], v[143:144], -v[121:122]
	v_fma_f64 v[143:144], v[183:184], v[143:144], v[194:195]
	v_add_f64 v[185:186], v[185:186], 0
	v_add_f64 v[123:124], v[125:126], 0
	s_clause 0x4
	buffer_load_dword v126, off, s[0:3], 0 offset:364
	buffer_load_dword v193, off, s[0:3], 0 offset:376
	;; [unrolled: 1-line block ×5, first 2 shown]
	s_waitcnt lgkmcnt(0)
	v_mul_f64 v[199:200], v[5:6], v[131:132]
	v_mul_f64 v[131:132], v[7:8], v[131:132]
	ds_read_b128 v[1:4], v180 offset:1008
	s_clause 0x2
	buffer_load_dword v194, off, s[0:3], 0 offset:380
	buffer_load_dword v184, off, s[0:3], 0 offset:356
	;; [unrolled: 1-line block ×3, first 2 shown]
	v_add_f64 v[185:186], v[185:186], v[196:197]
	v_add_f64 v[123:124], v[123:124], v[119:120]
	ds_read_b128 v[119:122], v180 offset:1024
	s_waitcnt vmcnt(58) lgkmcnt(1)
	v_mul_f64 v[195:196], v[1:2], v[135:136]
	v_mul_f64 v[135:136], v[3:4], v[135:136]
	s_waitcnt vmcnt(56)
	v_fma_f64 v[131:132], v[5:6], v[137:138], -v[131:132]
	v_fma_f64 v[137:138], v[7:8], v[137:138], v[199:200]
	s_waitcnt vmcnt(52) lgkmcnt(0)
	v_mul_f64 v[201:202], v[119:120], v[139:140]
	v_add_f64 v[181:182], v[185:186], v[181:182]
	v_add_f64 v[123:124], v[123:124], v[143:144]
	s_clause 0x4
	buffer_load_dword v144, off, s[0:3], 0 offset:396
	buffer_load_dword v185, off, s[0:3], 0 offset:408
	;; [unrolled: 1-line block ×5, first 2 shown]
	v_mul_f64 v[139:140], v[121:122], v[139:140]
	s_waitcnt vmcnt(56)
	v_fma_f64 v[135:136], v[1:2], v[129:130], -v[135:136]
	ds_read_b128 v[5:8], v180 offset:1040
	v_fma_f64 v[129:130], v[3:4], v[129:130], v[195:196]
	v_add_f64 v[131:132], v[181:182], v[131:132]
	v_add_f64 v[123:124], v[123:124], v[137:138]
	s_clause 0x2
	buffer_load_dword v186, off, s[0:3], 0 offset:412
	buffer_load_dword v138, off, s[0:3], 0 offset:388
	;; [unrolled: 1-line block ×3, first 2 shown]
	s_waitcnt vmcnt(58) lgkmcnt(0)
	v_mul_f64 v[181:182], v[5:6], v[145:146]
	v_mul_f64 v[145:146], v[7:8], v[145:146]
	s_waitcnt vmcnt(56)
	v_fma_f64 v[139:140], v[119:120], v[147:148], -v[139:140]
	ds_read_b128 v[1:4], v180 offset:1056
	v_add_f64 v[131:132], v[131:132], v[135:136]
	v_fma_f64 v[135:136], v[121:122], v[147:148], v[201:202]
	v_add_f64 v[123:124], v[123:124], v[129:130]
	s_clause 0x4
	buffer_load_dword v130, off, s[0:3], 0 offset:428
	buffer_load_dword v147, off, s[0:3], 0 offset:440
	;; [unrolled: 1-line block ×5, first 2 shown]
	s_waitcnt vmcnt(57) lgkmcnt(0)
	v_mul_f64 v[196:197], v[1:2], v[149:150]
	v_mul_f64 v[149:150], v[3:4], v[149:150]
	s_waitcnt vmcnt(56)
	v_fma_f64 v[145:146], v[5:6], v[133:134], -v[145:146]
	ds_read_b128 v[119:122], v180 offset:1072
	v_fma_f64 v[133:134], v[7:8], v[133:134], v[181:182]
	v_add_f64 v[131:132], v[131:132], v[139:140]
	v_add_f64 v[123:124], v[123:124], v[135:136]
	s_clause 0x2
	buffer_load_dword v148, off, s[0:3], 0 offset:444
	buffer_load_dword v136, off, s[0:3], 0 offset:420
	;; [unrolled: 1-line block ×3, first 2 shown]
	ds_read_b128 v[5:8], v180 offset:1088
	s_waitcnt vmcnt(58) lgkmcnt(1)
	v_mul_f64 v[139:140], v[119:120], v[153:154]
	v_mul_f64 v[153:154], v[121:122], v[153:154]
	s_waitcnt vmcnt(56)
	v_fma_f64 v[149:150], v[1:2], v[155:156], -v[149:150]
	v_add_f64 v[131:132], v[131:132], v[145:146]
	v_fma_f64 v[145:146], v[3:4], v[155:156], v[196:197]
	v_add_f64 v[123:124], v[123:124], v[133:134]
	s_clause 0x4
	buffer_load_dword v134, off, s[0:3], 0 offset:460
	buffer_load_dword v155, off, s[0:3], 0 offset:472
	;; [unrolled: 1-line block ×5, first 2 shown]
	s_waitcnt vmcnt(57) lgkmcnt(0)
	v_mul_f64 v[202:203], v[5:6], v[157:158]
	v_mul_f64 v[157:158], v[7:8], v[157:158]
	s_waitcnt vmcnt(56)
	v_fma_f64 v[153:154], v[119:120], v[141:142], -v[153:154]
	ds_read_b128 v[1:4], v180 offset:1104
	v_fma_f64 v[139:140], v[121:122], v[141:142], v[139:140]
	s_clause 0x2
	buffer_load_dword v156, off, s[0:3], 0 offset:476
	buffer_load_dword v142, off, s[0:3], 0 offset:452
	;; [unrolled: 1-line block ×3, first 2 shown]
	ds_read_b128 v[119:122], v180 offset:1120
	v_add_f64 v[131:132], v[131:132], v[149:150]
	v_add_f64 v[123:124], v[123:124], v[145:146]
	s_waitcnt vmcnt(58) lgkmcnt(1)
	v_mul_f64 v[149:150], v[3:4], v[161:162]
	s_waitcnt vmcnt(56)
	v_fma_f64 v[157:158], v[5:6], v[163:164], -v[157:158]
	v_mul_f64 v[145:146], v[1:2], v[161:162]
	v_add_f64 v[131:132], v[131:132], v[153:154]
	v_fma_f64 v[153:154], v[7:8], v[163:164], v[202:203]
	v_add_f64 v[123:124], v[123:124], v[139:140]
	s_clause 0x4
	buffer_load_dword v140, off, s[0:3], 0 offset:492
	buffer_load_dword v161, off, s[0:3], 0 offset:504
	;; [unrolled: 1-line block ×5, first 2 shown]
	s_waitcnt vmcnt(57) lgkmcnt(0)
	v_mul_f64 v[202:203], v[119:120], v[165:166]
	v_mul_f64 v[164:165], v[121:122], v[165:166]
	s_waitcnt vmcnt(56)
	v_fma_f64 v[149:150], v[1:2], v[151:152], -v[149:150]
	ds_read_b128 v[5:8], v180 offset:1136
	v_fma_f64 v[145:146], v[3:4], v[151:152], v[145:146]
	s_clause 0x2
	buffer_load_dword v162, off, s[0:3], 0 offset:508
	buffer_load_dword v152, off, s[0:3], 0 offset:484
	;; [unrolled: 1-line block ×3, first 2 shown]
	ds_read_b128 v[1:4], v180 offset:1152
	v_add_f64 v[131:132], v[131:132], v[157:158]
	v_add_f64 v[123:124], v[123:124], v[153:154]
	s_waitcnt vmcnt(58) lgkmcnt(1)
	v_mul_f64 v[157:158], v[7:8], v[169:170]
	s_waitcnt vmcnt(56)
	v_fma_f64 v[165:166], v[119:120], v[171:172], -v[164:165]
	v_mul_f64 v[153:154], v[5:6], v[169:170]
	v_add_f64 v[131:132], v[131:132], v[149:150]
	v_fma_f64 v[149:150], v[121:122], v[171:172], v[202:203]
	v_add_f64 v[123:124], v[123:124], v[145:146]
	s_clause 0x4
	buffer_load_dword v146, off, s[0:3], 0 offset:524
	buffer_load_dword v169, off, s[0:3], 0 offset:536
	;; [unrolled: 1-line block ×5, first 2 shown]
	s_waitcnt vmcnt(57) lgkmcnt(0)
	v_mul_f64 v[202:203], v[1:2], v[173:174]
	v_mul_f64 v[172:173], v[3:4], v[173:174]
	s_waitcnt vmcnt(56)
	v_fma_f64 v[157:158], v[5:6], v[159:160], -v[157:158]
	ds_read_b128 v[119:122], v180 offset:1168
	v_fma_f64 v[153:154], v[7:8], v[159:160], v[153:154]
	v_add_f64 v[131:132], v[131:132], v[165:166]
	v_add_f64 v[123:124], v[123:124], v[149:150]
	s_clause 0x2
	buffer_load_dword v170, off, s[0:3], 0 offset:540
	buffer_load_dword v150, off, s[0:3], 0 offset:516
	buffer_load_dword v149, off, s[0:3], 0 offset:512
	ds_read_b128 v[5:8], v180 offset:1184
	s_waitcnt vmcnt(58) lgkmcnt(1)
	v_mul_f64 v[165:166], v[121:122], v[175:176]
	s_waitcnt vmcnt(56)
	v_fma_f64 v[173:174], v[1:2], v[177:178], -v[172:173]
	v_mul_f64 v[159:160], v[119:120], v[175:176]
	v_add_f64 v[131:132], v[131:132], v[157:158]
	v_fma_f64 v[157:158], v[3:4], v[177:178], v[202:203]
	v_add_f64 v[123:124], v[123:124], v[153:154]
	s_clause 0x4
	buffer_load_dword v154, off, s[0:3], 0 offset:556
	buffer_load_dword v175, off, s[0:3], 0 offset:568
	;; [unrolled: 1-line block ×5, first 2 shown]
	s_waitcnt vmcnt(57) lgkmcnt(0)
	v_mul_f64 v[202:203], v[5:6], v[187:188]
	v_mul_f64 v[187:188], v[7:8], v[187:188]
	s_waitcnt vmcnt(56)
	v_fma_f64 v[165:166], v[119:120], v[167:168], -v[165:166]
	ds_read_b128 v[1:4], v180 offset:1200
	v_fma_f64 v[159:160], v[121:122], v[167:168], v[159:160]
	v_add_f64 v[131:132], v[131:132], v[173:174]
	v_add_f64 v[123:124], v[123:124], v[157:158]
	s_clause 0x2
	buffer_load_dword v176, off, s[0:3], 0 offset:572
	buffer_load_dword v158, off, s[0:3], 0 offset:548
	;; [unrolled: 1-line block ×3, first 2 shown]
	ds_read_b128 v[119:122], v180 offset:1216
	s_waitcnt vmcnt(58) lgkmcnt(1)
	v_mul_f64 v[173:174], v[3:4], v[189:190]
	v_mul_f64 v[167:168], v[1:2], v[189:190]
	s_waitcnt vmcnt(56)
	v_fma_f64 v[187:188], v[5:6], v[127:128], -v[187:188]
	v_fma_f64 v[127:128], v[7:8], v[127:128], v[202:203]
	v_add_f64 v[131:132], v[131:132], v[165:166]
	v_add_f64 v[123:124], v[123:124], v[159:160]
	s_clause 0x4
	buffer_load_dword v160, off, s[0:3], 0 offset:588
	buffer_load_dword v165, off, s[0:3], 0 offset:600
	buffer_load_dword v189, off, s[0:3], 0 offset:592
	buffer_load_dword v159, off, s[0:3], 0 offset:584
	buffer_load_dword v178, off, s[0:3], 0 offset:564
	ds_read_b128 v[5:8], v180 offset:1232
	s_waitcnt vmcnt(57) lgkmcnt(1)
	v_mul_f64 v[202:203], v[119:120], v[125:126]
	v_mul_f64 v[125:126], v[121:122], v[125:126]
	s_waitcnt vmcnt(56)
	v_fma_f64 v[173:174], v[1:2], v[191:192], -v[173:174]
	v_fma_f64 v[167:168], v[3:4], v[191:192], v[167:168]
	v_add_f64 v[131:132], v[131:132], v[187:188]
	v_add_f64 v[123:124], v[123:124], v[127:128]
	s_clause 0x2
	buffer_load_dword v166, off, s[0:3], 0 offset:604
	buffer_load_dword v128, off, s[0:3], 0 offset:580
	;; [unrolled: 1-line block ×3, first 2 shown]
	s_waitcnt vmcnt(58) lgkmcnt(0)
	v_mul_f64 v[191:192], v[7:8], v[193:194]
	ds_read_b128 v[1:4], v180 offset:1248
	v_mul_f64 v[187:188], v[5:6], v[193:194]
	s_waitcnt vmcnt(56)
	v_fma_f64 v[125:126], v[119:120], v[183:184], -v[125:126]
	v_add_f64 v[131:132], v[131:132], v[173:174]
	v_fma_f64 v[173:174], v[121:122], v[183:184], v[202:203]
	v_add_f64 v[123:124], v[123:124], v[167:168]
	s_clause 0x4
	buffer_load_dword v168, off, s[0:3], 0 offset:620
	buffer_load_dword v183, off, s[0:3], 0 offset:632
	;; [unrolled: 1-line block ×5, first 2 shown]
	ds_read_b128 v[119:122], v180 offset:1264
	s_waitcnt vmcnt(57) lgkmcnt(1)
	v_mul_f64 v[202:203], v[1:2], v[143:144]
	v_mul_f64 v[143:144], v[3:4], v[143:144]
	s_waitcnt vmcnt(56)
	v_fma_f64 v[191:192], v[5:6], v[198:199], -v[191:192]
	v_add_f64 v[125:126], v[131:132], v[125:126]
	v_fma_f64 v[131:132], v[7:8], v[198:199], v[187:188]
	v_add_f64 v[123:124], v[123:124], v[173:174]
	s_clause 0x2
	buffer_load_dword v184, off, s[0:3], 0 offset:636
	buffer_load_dword v174, off, s[0:3], 0 offset:612
	;; [unrolled: 1-line block ×3, first 2 shown]
	ds_read_b128 v[5:8], v180 offset:1280
	s_waitcnt vmcnt(58) lgkmcnt(1)
	v_mul_f64 v[187:188], v[119:120], v[185:186]
	v_mul_f64 v[185:186], v[121:122], v[185:186]
	s_waitcnt vmcnt(56)
	v_fma_f64 v[143:144], v[1:2], v[137:138], -v[143:144]
	v_fma_f64 v[137:138], v[3:4], v[137:138], v[202:203]
	v_add_f64 v[125:126], v[125:126], v[191:192]
	v_add_f64 v[123:124], v[123:124], v[131:132]
	s_clause 0x4
	buffer_load_dword v132, off, s[0:3], 0 offset:652
	buffer_load_dword v191, off, s[0:3], 0 offset:664
	;; [unrolled: 1-line block ×5, first 2 shown]
	ds_read_b128 v[1:4], v180 offset:1296
	s_waitcnt vmcnt(57) lgkmcnt(1)
	v_mul_f64 v[198:199], v[5:6], v[129:130]
	v_mul_f64 v[129:130], v[7:8], v[129:130]
	s_waitcnt vmcnt(56)
	v_fma_f64 v[185:186], v[119:120], v[200:201], -v[185:186]
	v_add_f64 v[125:126], v[125:126], v[143:144]
	v_fma_f64 v[143:144], v[121:122], v[200:201], v[187:188]
	v_add_f64 v[123:124], v[123:124], v[137:138]
	s_clause 0x2
	buffer_load_dword v192, off, s[0:3], 0 offset:668
	buffer_load_dword v138, off, s[0:3], 0 offset:644
	;; [unrolled: 1-line block ×3, first 2 shown]
	ds_read_b128 v[119:122], v180 offset:1312
	s_waitcnt vmcnt(58) lgkmcnt(1)
	v_mul_f64 v[187:188], v[1:2], v[147:148]
	v_mul_f64 v[147:148], v[3:4], v[147:148]
	s_waitcnt vmcnt(56)
	v_fma_f64 v[129:130], v[5:6], v[135:136], -v[129:130]
	v_fma_f64 v[135:136], v[7:8], v[135:136], v[198:199]
	v_add_f64 v[125:126], v[125:126], v[185:186]
	v_add_f64 v[123:124], v[123:124], v[143:144]
	s_clause 0x4
	buffer_load_dword v144, off, s[0:3], 0 offset:684
	buffer_load_dword v185, off, s[0:3], 0 offset:696
	;; [unrolled: 1-line block ×5, first 2 shown]
	ds_read_b128 v[5:8], v180 offset:1328
	s_waitcnt vmcnt(57) lgkmcnt(1)
	v_mul_f64 v[200:201], v[119:120], v[133:134]
	v_mul_f64 v[133:134], v[121:122], v[133:134]
	s_waitcnt vmcnt(56)
	v_fma_f64 v[147:148], v[1:2], v[195:196], -v[147:148]
	v_add_f64 v[125:126], v[125:126], v[129:130]
	v_fma_f64 v[129:130], v[3:4], v[195:196], v[187:188]
	v_add_f64 v[123:124], v[123:124], v[135:136]
	s_clause 0x2
	buffer_load_dword v186, off, s[0:3], 0 offset:700
	buffer_load_dword v136, off, s[0:3], 0 offset:676
	;; [unrolled: 1-line block ×3, first 2 shown]
	s_waitcnt vmcnt(58) lgkmcnt(0)
	v_mul_f64 v[187:188], v[5:6], v[155:156]
	v_mul_f64 v[155:156], v[7:8], v[155:156]
	ds_read_b128 v[1:4], v180 offset:1344
	s_waitcnt vmcnt(56)
	v_fma_f64 v[133:134], v[119:120], v[141:142], -v[133:134]
	v_fma_f64 v[141:142], v[121:122], v[141:142], v[200:201]
	v_add_f64 v[125:126], v[125:126], v[147:148]
	v_add_f64 v[123:124], v[123:124], v[129:130]
	s_clause 0x4
	buffer_load_dword v130, off, s[0:3], 0 offset:716
	buffer_load_dword v147, off, s[0:3], 0 offset:728
	buffer_load_dword v195, off, s[0:3], 0 offset:720
	buffer_load_dword v129, off, s[0:3], 0 offset:712
	buffer_load_dword v200, off, s[0:3], 0 offset:692
	ds_read_b128 v[119:122], v180 offset:1360
	s_waitcnt vmcnt(57) lgkmcnt(1)
	v_mul_f64 v[201:202], v[1:2], v[139:140]
	v_mul_f64 v[139:140], v[3:4], v[139:140]
	s_waitcnt vmcnt(56)
	v_fma_f64 v[155:156], v[5:6], v[181:182], -v[155:156]
	v_add_f64 v[125:126], v[125:126], v[133:134]
	v_fma_f64 v[133:134], v[7:8], v[181:182], v[187:188]
	v_add_f64 v[123:124], v[123:124], v[141:142]
	s_clause 0x2
	buffer_load_dword v148, off, s[0:3], 0 offset:732
	buffer_load_dword v142, off, s[0:3], 0 offset:708
	;; [unrolled: 1-line block ×3, first 2 shown]
	s_waitcnt vmcnt(58) lgkmcnt(0)
	v_mul_f64 v[181:182], v[119:120], v[161:162]
	v_mul_f64 v[161:162], v[121:122], v[161:162]
	ds_read_b128 v[5:8], v180 offset:1376
	s_waitcnt vmcnt(56)
	v_fma_f64 v[139:140], v[1:2], v[151:152], -v[139:140]
	v_fma_f64 v[151:152], v[3:4], v[151:152], v[201:202]
	v_add_f64 v[125:126], v[125:126], v[155:156]
	v_add_f64 v[123:124], v[123:124], v[133:134]
	s_clause 0x4
	buffer_load_dword v134, off, s[0:3], 0 offset:748
	buffer_load_dword v155, off, s[0:3], 0 offset:760
	buffer_load_dword v187, off, s[0:3], 0 offset:752
	buffer_load_dword v133, off, s[0:3], 0 offset:744
	buffer_load_dword v196, off, s[0:3], 0 offset:724
	ds_read_b128 v[1:4], v180 offset:1392
	s_waitcnt vmcnt(57) lgkmcnt(1)
	v_mul_f64 v[201:202], v[5:6], v[145:146]
	v_mul_f64 v[145:146], v[7:8], v[145:146]
	s_waitcnt vmcnt(56)
	v_fma_f64 v[161:162], v[119:120], v[163:164], -v[161:162]
	v_add_f64 v[125:126], v[125:126], v[139:140]
	v_fma_f64 v[139:140], v[121:122], v[163:164], v[181:182]
	v_add_f64 v[123:124], v[123:124], v[151:152]
	s_clause 0x2
	buffer_load_dword v156, off, s[0:3], 0 offset:764
	buffer_load_dword v152, off, s[0:3], 0 offset:740
	buffer_load_dword v151, off, s[0:3], 0 offset:736
	ds_read_b128 v[119:122], v180 offset:1408
	s_waitcnt vmcnt(58) lgkmcnt(1)
	v_mul_f64 v[163:164], v[1:2], v[169:170]
	v_mul_f64 v[169:170], v[3:4], v[169:170]
	s_waitcnt vmcnt(56)
	v_fma_f64 v[145:146], v[5:6], v[149:150], -v[145:146]
	v_fma_f64 v[149:150], v[7:8], v[149:150], v[201:202]
	v_add_f64 v[125:126], v[125:126], v[161:162]
	v_add_f64 v[123:124], v[123:124], v[139:140]
	s_clause 0x4
	buffer_load_dword v140, off, s[0:3], 0 offset:780
	buffer_load_dword v161, off, s[0:3], 0 offset:792
	buffer_load_dword v181, off, s[0:3], 0 offset:784
	buffer_load_dword v139, off, s[0:3], 0 offset:776
	buffer_load_dword v188, off, s[0:3], 0 offset:756
	ds_read_b128 v[5:8], v180 offset:1424
	s_waitcnt vmcnt(57) lgkmcnt(1)
	v_mul_f64 v[201:202], v[119:120], v[153:154]
	v_mul_f64 v[153:154], v[121:122], v[153:154]
	s_waitcnt vmcnt(56)
	v_fma_f64 v[169:170], v[1:2], v[171:172], -v[169:170]
	v_add_f64 v[125:126], v[125:126], v[145:146]
	v_fma_f64 v[145:146], v[3:4], v[171:172], v[163:164]
	v_add_f64 v[123:124], v[123:124], v[149:150]
	s_clause 0x2
	buffer_load_dword v162, off, s[0:3], 0 offset:796
	buffer_load_dword v150, off, s[0:3], 0 offset:772
	buffer_load_dword v149, off, s[0:3], 0 offset:768
	ds_read_b128 v[1:4], v180 offset:1440
	s_waitcnt vmcnt(58) lgkmcnt(1)
	v_mul_f64 v[171:172], v[7:8], v[175:176]
	v_mul_f64 v[163:164], v[5:6], v[175:176]
	;; [unrolled: 28-line block ×4, first 2 shown]
	s_waitcnt vmcnt(56)
	v_fma_f64 v[167:168], v[5:6], v[173:174], -v[167:168]
	v_add_f64 v[125:126], v[125:126], v[165:166]
	v_fma_f64 v[165:166], v[7:8], v[173:174], v[201:202]
	v_add_f64 v[123:124], v[123:124], v[159:160]
	s_clause 0x4
	buffer_load_dword v160, off, s[0:3], 0 offset:876
	buffer_load_dword v173, off, s[0:3], 0 offset:888
	;; [unrolled: 1-line block ×5, first 2 shown]
	ds_read_b128 v[5:8], v180 offset:1520
	s_waitcnt vmcnt(57) lgkmcnt(1)
	v_mul_f64 v[201:202], v[119:120], v[131:132]
	v_mul_f64 v[131:132], v[121:122], v[131:132]
	s_waitcnt vmcnt(56)
	v_fma_f64 v[183:184], v[1:2], v[193:194], -v[183:184]
	v_fma_f64 v[163:164], v[3:4], v[193:194], v[163:164]
	v_add_f64 v[125:126], v[125:126], v[167:168]
	v_add_f64 v[123:124], v[123:124], v[165:166]
	s_clause 0x2
	buffer_load_dword v174, off, s[0:3], 0 offset:892
	buffer_load_dword v166, off, s[0:3], 0 offset:868
	;; [unrolled: 1-line block ×3, first 2 shown]
	ds_read_b128 v[1:4], v180 offset:1536
	buffer_load_dword v190, off, s[0:3], 0 offset:884
	s_waitcnt vmcnt(59) lgkmcnt(1)
	v_mul_f64 v[167:168], v[5:6], v[191:192]
	v_mul_f64 v[191:192], v[7:8], v[191:192]
	s_waitcnt vmcnt(57)
	v_fma_f64 v[131:132], v[119:120], v[137:138], -v[131:132]
	v_fma_f64 v[137:138], v[121:122], v[137:138], v[201:202]
	ds_read_b128 v[119:122], v180 offset:1552
	v_add_f64 v[125:126], v[125:126], v[183:184]
	v_add_f64 v[123:124], v[123:124], v[163:164]
	s_waitcnt vmcnt(53) lgkmcnt(1)
	v_mul_f64 v[163:164], v[1:2], v[143:144]
	v_mul_f64 v[143:144], v[3:4], v[143:144]
	s_waitcnt vmcnt(52)
	v_fma_f64 v[183:184], v[5:6], v[197:198], -v[191:192]
	v_add_f64 v[125:126], v[125:126], v[131:132]
	v_fma_f64 v[131:132], v[7:8], v[197:198], v[167:168]
	v_add_f64 v[123:124], v[123:124], v[137:138]
	ds_read_b128 v[5:8], v180 offset:1568
	s_waitcnt vmcnt(51) lgkmcnt(1)
	v_mul_f64 v[167:168], v[121:122], v[185:186]
	v_mul_f64 v[137:138], v[119:120], v[185:186]
	s_waitcnt vmcnt(49)
	v_fma_f64 v[143:144], v[1:2], v[135:136], -v[143:144]
	v_fma_f64 v[135:136], v[3:4], v[135:136], v[163:164]
	v_add_f64 v[125:126], v[125:126], v[183:184]
	v_add_f64 v[123:124], v[123:124], v[131:132]
	s_clause 0x3
	buffer_load_dword v131, off, s[0:3], 0 offset:64
	buffer_load_dword v132, off, s[0:3], 0 offset:68
	;; [unrolled: 1-line block ×4, first 2 shown]
	ds_read_b128 v[1:4], v180 offset:1584
	s_waitcnt vmcnt(49) lgkmcnt(1)
	v_mul_f64 v[183:184], v[5:6], v[129:130]
	v_mul_f64 v[129:130], v[7:8], v[129:130]
	s_waitcnt vmcnt(48)
	v_fma_f64 v[167:168], v[119:120], v[199:200], -v[167:168]
	v_fma_f64 v[137:138], v[121:122], v[199:200], v[137:138]
	ds_read_b128 v[119:122], v180 offset:1600
	v_add_f64 v[125:126], v[125:126], v[143:144]
	v_add_f64 v[123:124], v[123:124], v[135:136]
	s_waitcnt vmcnt(47) lgkmcnt(1)
	v_mul_f64 v[143:144], v[3:4], v[147:148]
	v_mul_f64 v[135:136], v[1:2], v[147:148]
	s_waitcnt vmcnt(45)
	v_fma_f64 v[129:130], v[5:6], v[141:142], -v[129:130]
	v_fma_f64 v[141:142], v[7:8], v[141:142], v[183:184]
	ds_read_b128 v[5:8], v180 offset:1616
	v_add_f64 v[125:126], v[125:126], v[167:168]
	v_add_f64 v[123:124], v[123:124], v[137:138]
	s_waitcnt vmcnt(41) lgkmcnt(1)
	v_mul_f64 v[137:138], v[119:120], v[133:134]
	v_mul_f64 v[133:134], v[121:122], v[133:134]
	s_waitcnt vmcnt(40)
	v_fma_f64 v[143:144], v[1:2], v[195:196], -v[143:144]
	v_add_f64 v[125:126], v[125:126], v[129:130]
	v_fma_f64 v[129:130], v[3:4], v[195:196], v[135:136]
	v_add_f64 v[123:124], v[123:124], v[141:142]
	ds_read_b128 v[1:4], v180 offset:1632
	s_waitcnt vmcnt(39) lgkmcnt(1)
	v_mul_f64 v[141:142], v[7:8], v[155:156]
	v_mul_f64 v[135:136], v[5:6], v[155:156]
	s_waitcnt vmcnt(37)
	v_fma_f64 v[133:134], v[119:120], v[151:152], -v[133:134]
	v_fma_f64 v[137:138], v[121:122], v[151:152], v[137:138]
	ds_read_b128 v[119:122], v180 offset:1648
	v_add_f64 v[125:126], v[125:126], v[143:144]
	v_add_f64 v[123:124], v[123:124], v[129:130]
	s_waitcnt vmcnt(33) lgkmcnt(1)
	v_mul_f64 v[129:130], v[1:2], v[139:140]
	v_mul_f64 v[139:140], v[3:4], v[139:140]
	s_waitcnt vmcnt(32)
	v_fma_f64 v[141:142], v[5:6], v[187:188], -v[141:142]
	v_add_f64 v[125:126], v[125:126], v[133:134]
	v_fma_f64 v[133:134], v[7:8], v[187:188], v[135:136]
	v_add_f64 v[123:124], v[123:124], v[137:138]
	ds_read_b128 v[5:8], v180 offset:1664
	s_waitcnt vmcnt(31) lgkmcnt(1)
	v_mul_f64 v[137:138], v[121:122], v[161:162]
	v_mul_f64 v[135:136], v[119:120], v[161:162]
	s_waitcnt vmcnt(29)
	v_fma_f64 v[139:140], v[1:2], v[149:150], -v[139:140]
	v_fma_f64 v[129:130], v[3:4], v[149:150], v[129:130]
	ds_read_b128 v[1:4], v180 offset:1680
	v_add_f64 v[125:126], v[125:126], v[141:142]
	v_add_f64 v[123:124], v[123:124], v[133:134]
	s_waitcnt vmcnt(25) lgkmcnt(1)
	v_mul_f64 v[141:142], v[7:8], v[145:146]
	s_waitcnt vmcnt(24)
	v_fma_f64 v[137:138], v[119:120], v[181:182], -v[137:138]
	v_mul_f64 v[133:134], v[5:6], v[145:146]
	v_fma_f64 v[135:136], v[121:122], v[181:182], v[135:136]
	ds_read_b128 v[119:122], v180 offset:1696
	v_add_f64 v[125:126], v[125:126], v[139:140]
	v_add_f64 v[123:124], v[123:124], v[129:130]
	s_waitcnt vmcnt(23) lgkmcnt(1)
	v_mul_f64 v[139:140], v[3:4], v[169:170]
	v_mul_f64 v[129:130], v[1:2], v[169:170]
	s_waitcnt vmcnt(21)
	v_fma_f64 v[141:142], v[5:6], v[157:158], -v[141:142]
	v_fma_f64 v[133:134], v[7:8], v[157:158], v[133:134]
	ds_read_b128 v[5:8], v180 offset:1712
	v_add_f64 v[125:126], v[125:126], v[137:138]
	v_add_f64 v[123:124], v[123:124], v[135:136]
	s_waitcnt vmcnt(17) lgkmcnt(1)
	v_mul_f64 v[137:138], v[121:122], v[153:154]
	s_waitcnt vmcnt(16)
	v_fma_f64 v[139:140], v[1:2], v[175:176], -v[139:140]
	v_mul_f64 v[135:136], v[119:120], v[153:154]
	v_fma_f64 v[129:130], v[3:4], v[175:176], v[129:130]
	ds_read_b128 v[1:4], v180 offset:1728
	v_add_f64 v[125:126], v[125:126], v[141:142]
	v_add_f64 v[123:124], v[123:124], v[133:134]
	s_waitcnt vmcnt(15) lgkmcnt(1)
	v_mul_f64 v[141:142], v[7:8], v[171:172]
	v_mul_f64 v[133:134], v[5:6], v[171:172]
	s_waitcnt vmcnt(13)
	v_fma_f64 v[137:138], v[119:120], v[127:128], -v[137:138]
	v_fma_f64 v[127:128], v[121:122], v[127:128], v[135:136]
	ds_read_b128 v[119:122], v180 offset:1744
	v_add_f64 v[125:126], v[125:126], v[139:140]
	v_add_f64 v[123:124], v[123:124], v[129:130]
	s_waitcnt vmcnt(9) lgkmcnt(1)
	v_mul_f64 v[135:136], v[3:4], v[159:160]
	s_waitcnt vmcnt(8)
	v_fma_f64 v[5:6], v[5:6], v[177:178], -v[141:142]
	v_mul_f64 v[129:130], v[1:2], v[159:160]
	v_fma_f64 v[7:8], v[7:8], v[177:178], v[133:134]
	v_add_f64 v[125:126], v[125:126], v[137:138]
	v_add_f64 v[123:124], v[123:124], v[127:128]
	s_waitcnt vmcnt(7) lgkmcnt(0)
	v_mul_f64 v[133:134], v[121:122], v[173:174]
	v_mul_f64 v[127:128], v[119:120], v[173:174]
	s_waitcnt vmcnt(5)
	v_fma_f64 v[1:2], v[1:2], v[165:166], -v[135:136]
	v_fma_f64 v[3:4], v[3:4], v[165:166], v[129:130]
	v_add_f64 v[5:6], v[125:126], v[5:6]
	v_add_f64 v[7:8], v[123:124], v[7:8]
	s_waitcnt vmcnt(4)
	v_fma_f64 v[119:120], v[119:120], v[189:190], -v[133:134]
	v_add_f64 v[1:2], v[5:6], v[1:2]
	v_fma_f64 v[5:6], v[121:122], v[189:190], v[127:128]
	v_add_f64 v[3:4], v[7:8], v[3:4]
	v_add_f64 v[1:2], v[1:2], v[119:120]
	;; [unrolled: 1-line block ×3, first 2 shown]
	s_waitcnt vmcnt(2)
	v_add_f64 v[1:2], v[131:132], -v[1:2]
	s_waitcnt vmcnt(0)
	v_add_f64 v[3:4], v[163:164], -v[3:4]
	buffer_store_dword v2, off, s[0:3], 0 offset:68
	buffer_store_dword v1, off, s[0:3], 0 offset:64
	buffer_store_dword v4, off, s[0:3], 0 offset:76
	buffer_store_dword v3, off, s[0:3], 0 offset:72
	v_cmpx_lt_u32_e32 2, v0
	s_cbranch_execz .LBB118_339
; %bb.338:
	v_mov_b32_e32 v4, s65
	s_clause 0x3
	buffer_load_dword v1, v4, s[0:3], 0 offen
	buffer_load_dword v2, v4, s[0:3], 0 offen offset:4
	buffer_load_dword v3, v4, s[0:3], 0 offen offset:8
	;; [unrolled: 1-line block ×3, first 2 shown]
	buffer_store_dword v180, off, s[0:3], 0 offset:48
	buffer_store_dword v180, off, s[0:3], 0 offset:52
	buffer_store_dword v180, off, s[0:3], 0 offset:56
	buffer_store_dword v180, off, s[0:3], 0 offset:60
	s_waitcnt vmcnt(0)
	ds_write_b128 v179, v[1:4]
.LBB118_339:
	s_or_b32 exec_lo, exec_lo, s4
	s_waitcnt lgkmcnt(0)
	s_waitcnt_vscnt null, 0x0
	s_barrier
	buffer_gl0_inv
	s_clause 0x37
	buffer_load_dword v127, off, s[0:3], 0 offset:72
	buffer_load_dword v128, off, s[0:3], 0 offset:76
	;; [unrolled: 1-line block ×56, first 2 shown]
	ds_read_b128 v[5:8], v180 offset:928
	s_clause 0x2
	buffer_load_dword v176, off, s[0:3], 0 offset:300
	buffer_load_dword v178, off, s[0:3], 0 offset:276
	;; [unrolled: 1-line block ×3, first 2 shown]
	ds_read_b128 v[1:4], v180 offset:944
	s_clause 0x4
	buffer_load_dword v188, off, s[0:3], 0 offset:316
	buffer_load_dword v189, off, s[0:3], 0 offset:328
	;; [unrolled: 1-line block ×5, first 2 shown]
	ds_read_b128 v[181:184], v180 offset:960
	s_mov_b32 s4, exec_lo
	s_waitcnt vmcnt(62) lgkmcnt(2)
	v_mul_f64 v[185:186], v[7:8], v[127:128]
	v_mul_f64 v[127:128], v[5:6], v[127:128]
	s_waitcnt vmcnt(60) lgkmcnt(1)
	v_mul_f64 v[192:193], v[3:4], v[123:124]
	v_mul_f64 v[123:124], v[1:2], v[123:124]
	;; [unrolled: 3-line block ×3, first 2 shown]
	v_fma_f64 v[185:186], v[5:6], v[125:126], -v[185:186]
	v_fma_f64 v[125:126], v[7:8], v[125:126], v[127:128]
	s_clause 0x2
	buffer_load_dword v190, off, s[0:3], 0 offset:332
	buffer_load_dword v128, off, s[0:3], 0 offset:308
	;; [unrolled: 1-line block ×3, first 2 shown]
	s_waitcnt vmcnt(57)
	v_fma_f64 v[196:197], v[1:2], v[119:120], -v[192:193]
	ds_read_b128 v[5:8], v180 offset:976
	v_fma_f64 v[119:120], v[3:4], v[119:120], v[123:124]
	s_waitcnt vmcnt(51)
	v_fma_f64 v[181:182], v[181:182], v[143:144], -v[121:122]
	v_fma_f64 v[143:144], v[183:184], v[143:144], v[194:195]
	v_add_f64 v[185:186], v[185:186], 0
	v_add_f64 v[123:124], v[125:126], 0
	s_clause 0x4
	buffer_load_dword v126, off, s[0:3], 0 offset:348
	buffer_load_dword v193, off, s[0:3], 0 offset:360
	;; [unrolled: 1-line block ×5, first 2 shown]
	s_waitcnt lgkmcnt(0)
	v_mul_f64 v[199:200], v[5:6], v[131:132]
	v_mul_f64 v[131:132], v[7:8], v[131:132]
	ds_read_b128 v[1:4], v180 offset:992
	s_clause 0x2
	buffer_load_dword v194, off, s[0:3], 0 offset:364
	buffer_load_dword v184, off, s[0:3], 0 offset:340
	;; [unrolled: 1-line block ×3, first 2 shown]
	v_add_f64 v[185:186], v[185:186], v[196:197]
	v_add_f64 v[123:124], v[123:124], v[119:120]
	ds_read_b128 v[119:122], v180 offset:1008
	s_waitcnt vmcnt(58) lgkmcnt(1)
	v_mul_f64 v[195:196], v[1:2], v[135:136]
	v_mul_f64 v[135:136], v[3:4], v[135:136]
	s_waitcnt vmcnt(56)
	v_fma_f64 v[131:132], v[5:6], v[137:138], -v[131:132]
	v_fma_f64 v[137:138], v[7:8], v[137:138], v[199:200]
	s_waitcnt vmcnt(52) lgkmcnt(0)
	v_mul_f64 v[201:202], v[119:120], v[139:140]
	v_add_f64 v[181:182], v[185:186], v[181:182]
	v_add_f64 v[123:124], v[123:124], v[143:144]
	s_clause 0x4
	buffer_load_dword v144, off, s[0:3], 0 offset:380
	buffer_load_dword v185, off, s[0:3], 0 offset:392
	;; [unrolled: 1-line block ×5, first 2 shown]
	v_mul_f64 v[139:140], v[121:122], v[139:140]
	s_waitcnt vmcnt(56)
	v_fma_f64 v[135:136], v[1:2], v[129:130], -v[135:136]
	ds_read_b128 v[5:8], v180 offset:1024
	v_fma_f64 v[129:130], v[3:4], v[129:130], v[195:196]
	v_add_f64 v[131:132], v[181:182], v[131:132]
	v_add_f64 v[123:124], v[123:124], v[137:138]
	s_clause 0x2
	buffer_load_dword v186, off, s[0:3], 0 offset:396
	buffer_load_dword v138, off, s[0:3], 0 offset:372
	;; [unrolled: 1-line block ×3, first 2 shown]
	s_waitcnt vmcnt(58) lgkmcnt(0)
	v_mul_f64 v[181:182], v[5:6], v[145:146]
	v_mul_f64 v[145:146], v[7:8], v[145:146]
	s_waitcnt vmcnt(56)
	v_fma_f64 v[139:140], v[119:120], v[147:148], -v[139:140]
	ds_read_b128 v[1:4], v180 offset:1040
	v_add_f64 v[131:132], v[131:132], v[135:136]
	v_fma_f64 v[135:136], v[121:122], v[147:148], v[201:202]
	v_add_f64 v[123:124], v[123:124], v[129:130]
	s_clause 0x4
	buffer_load_dword v130, off, s[0:3], 0 offset:412
	buffer_load_dword v147, off, s[0:3], 0 offset:424
	;; [unrolled: 1-line block ×5, first 2 shown]
	s_waitcnt vmcnt(57) lgkmcnt(0)
	v_mul_f64 v[196:197], v[1:2], v[149:150]
	v_mul_f64 v[149:150], v[3:4], v[149:150]
	s_waitcnt vmcnt(56)
	v_fma_f64 v[145:146], v[5:6], v[133:134], -v[145:146]
	ds_read_b128 v[119:122], v180 offset:1056
	v_fma_f64 v[133:134], v[7:8], v[133:134], v[181:182]
	v_add_f64 v[131:132], v[131:132], v[139:140]
	v_add_f64 v[123:124], v[123:124], v[135:136]
	s_clause 0x2
	buffer_load_dword v148, off, s[0:3], 0 offset:428
	buffer_load_dword v136, off, s[0:3], 0 offset:404
	;; [unrolled: 1-line block ×3, first 2 shown]
	ds_read_b128 v[5:8], v180 offset:1072
	s_waitcnt vmcnt(58) lgkmcnt(1)
	v_mul_f64 v[139:140], v[119:120], v[153:154]
	v_mul_f64 v[153:154], v[121:122], v[153:154]
	s_waitcnt vmcnt(56)
	v_fma_f64 v[149:150], v[1:2], v[155:156], -v[149:150]
	v_add_f64 v[131:132], v[131:132], v[145:146]
	v_fma_f64 v[145:146], v[3:4], v[155:156], v[196:197]
	v_add_f64 v[123:124], v[123:124], v[133:134]
	s_clause 0x4
	buffer_load_dword v134, off, s[0:3], 0 offset:444
	buffer_load_dword v155, off, s[0:3], 0 offset:456
	;; [unrolled: 1-line block ×5, first 2 shown]
	s_waitcnt vmcnt(57) lgkmcnt(0)
	v_mul_f64 v[202:203], v[5:6], v[157:158]
	v_mul_f64 v[157:158], v[7:8], v[157:158]
	s_waitcnt vmcnt(56)
	v_fma_f64 v[153:154], v[119:120], v[141:142], -v[153:154]
	ds_read_b128 v[1:4], v180 offset:1088
	v_fma_f64 v[139:140], v[121:122], v[141:142], v[139:140]
	s_clause 0x2
	buffer_load_dword v156, off, s[0:3], 0 offset:460
	buffer_load_dword v142, off, s[0:3], 0 offset:436
	;; [unrolled: 1-line block ×3, first 2 shown]
	ds_read_b128 v[119:122], v180 offset:1104
	v_add_f64 v[131:132], v[131:132], v[149:150]
	v_add_f64 v[123:124], v[123:124], v[145:146]
	s_waitcnt vmcnt(58) lgkmcnt(1)
	v_mul_f64 v[149:150], v[3:4], v[161:162]
	s_waitcnt vmcnt(56)
	v_fma_f64 v[157:158], v[5:6], v[163:164], -v[157:158]
	v_mul_f64 v[145:146], v[1:2], v[161:162]
	v_add_f64 v[131:132], v[131:132], v[153:154]
	v_fma_f64 v[153:154], v[7:8], v[163:164], v[202:203]
	v_add_f64 v[123:124], v[123:124], v[139:140]
	s_clause 0x4
	buffer_load_dword v140, off, s[0:3], 0 offset:476
	buffer_load_dword v161, off, s[0:3], 0 offset:488
	;; [unrolled: 1-line block ×5, first 2 shown]
	s_waitcnt vmcnt(57) lgkmcnt(0)
	v_mul_f64 v[202:203], v[119:120], v[165:166]
	v_mul_f64 v[164:165], v[121:122], v[165:166]
	s_waitcnt vmcnt(56)
	v_fma_f64 v[149:150], v[1:2], v[151:152], -v[149:150]
	ds_read_b128 v[5:8], v180 offset:1120
	v_fma_f64 v[145:146], v[3:4], v[151:152], v[145:146]
	s_clause 0x2
	buffer_load_dword v162, off, s[0:3], 0 offset:492
	buffer_load_dword v152, off, s[0:3], 0 offset:468
	;; [unrolled: 1-line block ×3, first 2 shown]
	ds_read_b128 v[1:4], v180 offset:1136
	v_add_f64 v[131:132], v[131:132], v[157:158]
	v_add_f64 v[123:124], v[123:124], v[153:154]
	s_waitcnt vmcnt(58) lgkmcnt(1)
	v_mul_f64 v[157:158], v[7:8], v[169:170]
	s_waitcnt vmcnt(56)
	v_fma_f64 v[165:166], v[119:120], v[171:172], -v[164:165]
	v_mul_f64 v[153:154], v[5:6], v[169:170]
	v_add_f64 v[131:132], v[131:132], v[149:150]
	v_fma_f64 v[149:150], v[121:122], v[171:172], v[202:203]
	v_add_f64 v[123:124], v[123:124], v[145:146]
	s_clause 0x4
	buffer_load_dword v146, off, s[0:3], 0 offset:508
	buffer_load_dword v169, off, s[0:3], 0 offset:520
	;; [unrolled: 1-line block ×5, first 2 shown]
	s_waitcnt vmcnt(57) lgkmcnt(0)
	v_mul_f64 v[202:203], v[1:2], v[173:174]
	v_mul_f64 v[172:173], v[3:4], v[173:174]
	s_waitcnt vmcnt(56)
	v_fma_f64 v[157:158], v[5:6], v[159:160], -v[157:158]
	ds_read_b128 v[119:122], v180 offset:1152
	v_fma_f64 v[153:154], v[7:8], v[159:160], v[153:154]
	v_add_f64 v[131:132], v[131:132], v[165:166]
	v_add_f64 v[123:124], v[123:124], v[149:150]
	s_clause 0x2
	buffer_load_dword v170, off, s[0:3], 0 offset:524
	buffer_load_dword v150, off, s[0:3], 0 offset:500
	;; [unrolled: 1-line block ×3, first 2 shown]
	ds_read_b128 v[5:8], v180 offset:1168
	s_waitcnt vmcnt(58) lgkmcnt(1)
	v_mul_f64 v[165:166], v[121:122], v[175:176]
	s_waitcnt vmcnt(56)
	v_fma_f64 v[173:174], v[1:2], v[177:178], -v[172:173]
	v_mul_f64 v[159:160], v[119:120], v[175:176]
	v_add_f64 v[131:132], v[131:132], v[157:158]
	v_fma_f64 v[157:158], v[3:4], v[177:178], v[202:203]
	v_add_f64 v[123:124], v[123:124], v[153:154]
	s_clause 0x4
	buffer_load_dword v154, off, s[0:3], 0 offset:540
	buffer_load_dword v175, off, s[0:3], 0 offset:552
	;; [unrolled: 1-line block ×5, first 2 shown]
	s_waitcnt vmcnt(57) lgkmcnt(0)
	v_mul_f64 v[202:203], v[5:6], v[187:188]
	v_mul_f64 v[187:188], v[7:8], v[187:188]
	s_waitcnt vmcnt(56)
	v_fma_f64 v[165:166], v[119:120], v[167:168], -v[165:166]
	ds_read_b128 v[1:4], v180 offset:1184
	v_fma_f64 v[159:160], v[121:122], v[167:168], v[159:160]
	v_add_f64 v[131:132], v[131:132], v[173:174]
	v_add_f64 v[123:124], v[123:124], v[157:158]
	s_clause 0x2
	buffer_load_dword v176, off, s[0:3], 0 offset:556
	buffer_load_dword v158, off, s[0:3], 0 offset:532
	buffer_load_dword v157, off, s[0:3], 0 offset:528
	ds_read_b128 v[119:122], v180 offset:1200
	s_waitcnt vmcnt(58) lgkmcnt(1)
	v_mul_f64 v[173:174], v[3:4], v[189:190]
	v_mul_f64 v[167:168], v[1:2], v[189:190]
	s_waitcnt vmcnt(56)
	v_fma_f64 v[187:188], v[5:6], v[127:128], -v[187:188]
	v_fma_f64 v[127:128], v[7:8], v[127:128], v[202:203]
	v_add_f64 v[131:132], v[131:132], v[165:166]
	v_add_f64 v[123:124], v[123:124], v[159:160]
	s_clause 0x4
	buffer_load_dword v160, off, s[0:3], 0 offset:572
	buffer_load_dword v165, off, s[0:3], 0 offset:584
	;; [unrolled: 1-line block ×5, first 2 shown]
	ds_read_b128 v[5:8], v180 offset:1216
	s_waitcnt vmcnt(57) lgkmcnt(1)
	v_mul_f64 v[202:203], v[119:120], v[125:126]
	v_mul_f64 v[125:126], v[121:122], v[125:126]
	s_waitcnt vmcnt(56)
	v_fma_f64 v[173:174], v[1:2], v[191:192], -v[173:174]
	v_fma_f64 v[167:168], v[3:4], v[191:192], v[167:168]
	v_add_f64 v[131:132], v[131:132], v[187:188]
	v_add_f64 v[123:124], v[123:124], v[127:128]
	s_clause 0x2
	buffer_load_dword v166, off, s[0:3], 0 offset:588
	buffer_load_dword v128, off, s[0:3], 0 offset:564
	;; [unrolled: 1-line block ×3, first 2 shown]
	s_waitcnt vmcnt(58) lgkmcnt(0)
	v_mul_f64 v[191:192], v[7:8], v[193:194]
	ds_read_b128 v[1:4], v180 offset:1232
	v_mul_f64 v[187:188], v[5:6], v[193:194]
	s_waitcnt vmcnt(56)
	v_fma_f64 v[125:126], v[119:120], v[183:184], -v[125:126]
	v_add_f64 v[131:132], v[131:132], v[173:174]
	v_fma_f64 v[173:174], v[121:122], v[183:184], v[202:203]
	v_add_f64 v[123:124], v[123:124], v[167:168]
	s_clause 0x4
	buffer_load_dword v168, off, s[0:3], 0 offset:604
	buffer_load_dword v183, off, s[0:3], 0 offset:616
	;; [unrolled: 1-line block ×5, first 2 shown]
	ds_read_b128 v[119:122], v180 offset:1248
	s_waitcnt vmcnt(57) lgkmcnt(1)
	v_mul_f64 v[202:203], v[1:2], v[143:144]
	v_mul_f64 v[143:144], v[3:4], v[143:144]
	s_waitcnt vmcnt(56)
	v_fma_f64 v[191:192], v[5:6], v[198:199], -v[191:192]
	v_add_f64 v[125:126], v[131:132], v[125:126]
	v_fma_f64 v[131:132], v[7:8], v[198:199], v[187:188]
	v_add_f64 v[123:124], v[123:124], v[173:174]
	s_clause 0x2
	buffer_load_dword v184, off, s[0:3], 0 offset:620
	buffer_load_dword v174, off, s[0:3], 0 offset:596
	;; [unrolled: 1-line block ×3, first 2 shown]
	ds_read_b128 v[5:8], v180 offset:1264
	s_waitcnt vmcnt(58) lgkmcnt(1)
	v_mul_f64 v[187:188], v[119:120], v[185:186]
	v_mul_f64 v[185:186], v[121:122], v[185:186]
	s_waitcnt vmcnt(56)
	v_fma_f64 v[143:144], v[1:2], v[137:138], -v[143:144]
	v_fma_f64 v[137:138], v[3:4], v[137:138], v[202:203]
	v_add_f64 v[125:126], v[125:126], v[191:192]
	v_add_f64 v[123:124], v[123:124], v[131:132]
	s_clause 0x4
	buffer_load_dword v132, off, s[0:3], 0 offset:636
	buffer_load_dword v191, off, s[0:3], 0 offset:648
	;; [unrolled: 1-line block ×5, first 2 shown]
	ds_read_b128 v[1:4], v180 offset:1280
	s_waitcnt vmcnt(57) lgkmcnt(1)
	v_mul_f64 v[198:199], v[5:6], v[129:130]
	v_mul_f64 v[129:130], v[7:8], v[129:130]
	s_waitcnt vmcnt(56)
	v_fma_f64 v[185:186], v[119:120], v[200:201], -v[185:186]
	v_add_f64 v[125:126], v[125:126], v[143:144]
	v_fma_f64 v[143:144], v[121:122], v[200:201], v[187:188]
	v_add_f64 v[123:124], v[123:124], v[137:138]
	s_clause 0x2
	buffer_load_dword v192, off, s[0:3], 0 offset:652
	buffer_load_dword v138, off, s[0:3], 0 offset:628
	;; [unrolled: 1-line block ×3, first 2 shown]
	ds_read_b128 v[119:122], v180 offset:1296
	s_waitcnt vmcnt(58) lgkmcnt(1)
	v_mul_f64 v[187:188], v[1:2], v[147:148]
	v_mul_f64 v[147:148], v[3:4], v[147:148]
	s_waitcnt vmcnt(56)
	v_fma_f64 v[129:130], v[5:6], v[135:136], -v[129:130]
	v_fma_f64 v[135:136], v[7:8], v[135:136], v[198:199]
	v_add_f64 v[125:126], v[125:126], v[185:186]
	v_add_f64 v[123:124], v[123:124], v[143:144]
	s_clause 0x4
	buffer_load_dword v144, off, s[0:3], 0 offset:668
	buffer_load_dword v185, off, s[0:3], 0 offset:680
	;; [unrolled: 1-line block ×5, first 2 shown]
	ds_read_b128 v[5:8], v180 offset:1312
	s_waitcnt vmcnt(57) lgkmcnt(1)
	v_mul_f64 v[200:201], v[119:120], v[133:134]
	v_mul_f64 v[133:134], v[121:122], v[133:134]
	s_waitcnt vmcnt(56)
	v_fma_f64 v[147:148], v[1:2], v[195:196], -v[147:148]
	v_add_f64 v[125:126], v[125:126], v[129:130]
	v_fma_f64 v[129:130], v[3:4], v[195:196], v[187:188]
	v_add_f64 v[123:124], v[123:124], v[135:136]
	s_clause 0x2
	buffer_load_dword v186, off, s[0:3], 0 offset:684
	buffer_load_dword v136, off, s[0:3], 0 offset:660
	;; [unrolled: 1-line block ×3, first 2 shown]
	s_waitcnt vmcnt(58) lgkmcnt(0)
	v_mul_f64 v[187:188], v[5:6], v[155:156]
	v_mul_f64 v[155:156], v[7:8], v[155:156]
	ds_read_b128 v[1:4], v180 offset:1328
	s_waitcnt vmcnt(56)
	v_fma_f64 v[133:134], v[119:120], v[141:142], -v[133:134]
	v_fma_f64 v[141:142], v[121:122], v[141:142], v[200:201]
	v_add_f64 v[125:126], v[125:126], v[147:148]
	v_add_f64 v[123:124], v[123:124], v[129:130]
	s_clause 0x4
	buffer_load_dword v130, off, s[0:3], 0 offset:700
	buffer_load_dword v147, off, s[0:3], 0 offset:712
	;; [unrolled: 1-line block ×5, first 2 shown]
	ds_read_b128 v[119:122], v180 offset:1344
	s_waitcnt vmcnt(57) lgkmcnt(1)
	v_mul_f64 v[201:202], v[1:2], v[139:140]
	v_mul_f64 v[139:140], v[3:4], v[139:140]
	s_waitcnt vmcnt(56)
	v_fma_f64 v[155:156], v[5:6], v[181:182], -v[155:156]
	v_add_f64 v[125:126], v[125:126], v[133:134]
	v_fma_f64 v[133:134], v[7:8], v[181:182], v[187:188]
	v_add_f64 v[123:124], v[123:124], v[141:142]
	s_clause 0x2
	buffer_load_dword v148, off, s[0:3], 0 offset:716
	buffer_load_dword v142, off, s[0:3], 0 offset:692
	;; [unrolled: 1-line block ×3, first 2 shown]
	s_waitcnt vmcnt(58) lgkmcnt(0)
	v_mul_f64 v[181:182], v[119:120], v[161:162]
	v_mul_f64 v[161:162], v[121:122], v[161:162]
	ds_read_b128 v[5:8], v180 offset:1360
	s_waitcnt vmcnt(56)
	v_fma_f64 v[139:140], v[1:2], v[151:152], -v[139:140]
	v_fma_f64 v[151:152], v[3:4], v[151:152], v[201:202]
	v_add_f64 v[125:126], v[125:126], v[155:156]
	v_add_f64 v[123:124], v[123:124], v[133:134]
	s_clause 0x4
	buffer_load_dword v134, off, s[0:3], 0 offset:732
	buffer_load_dword v155, off, s[0:3], 0 offset:744
	buffer_load_dword v187, off, s[0:3], 0 offset:736
	buffer_load_dword v133, off, s[0:3], 0 offset:728
	buffer_load_dword v196, off, s[0:3], 0 offset:708
	ds_read_b128 v[1:4], v180 offset:1376
	s_waitcnt vmcnt(57) lgkmcnt(1)
	v_mul_f64 v[201:202], v[5:6], v[145:146]
	v_mul_f64 v[145:146], v[7:8], v[145:146]
	s_waitcnt vmcnt(56)
	v_fma_f64 v[161:162], v[119:120], v[163:164], -v[161:162]
	v_add_f64 v[125:126], v[125:126], v[139:140]
	v_fma_f64 v[139:140], v[121:122], v[163:164], v[181:182]
	v_add_f64 v[123:124], v[123:124], v[151:152]
	s_clause 0x2
	buffer_load_dword v156, off, s[0:3], 0 offset:748
	buffer_load_dword v152, off, s[0:3], 0 offset:724
	buffer_load_dword v151, off, s[0:3], 0 offset:720
	ds_read_b128 v[119:122], v180 offset:1392
	s_waitcnt vmcnt(58) lgkmcnt(1)
	v_mul_f64 v[163:164], v[1:2], v[169:170]
	v_mul_f64 v[169:170], v[3:4], v[169:170]
	s_waitcnt vmcnt(56)
	v_fma_f64 v[145:146], v[5:6], v[149:150], -v[145:146]
	v_fma_f64 v[149:150], v[7:8], v[149:150], v[201:202]
	v_add_f64 v[125:126], v[125:126], v[161:162]
	v_add_f64 v[123:124], v[123:124], v[139:140]
	s_clause 0x4
	buffer_load_dword v140, off, s[0:3], 0 offset:764
	buffer_load_dword v161, off, s[0:3], 0 offset:776
	buffer_load_dword v181, off, s[0:3], 0 offset:768
	buffer_load_dword v139, off, s[0:3], 0 offset:760
	buffer_load_dword v188, off, s[0:3], 0 offset:740
	ds_read_b128 v[5:8], v180 offset:1408
	s_waitcnt vmcnt(57) lgkmcnt(1)
	v_mul_f64 v[201:202], v[119:120], v[153:154]
	v_mul_f64 v[153:154], v[121:122], v[153:154]
	s_waitcnt vmcnt(56)
	v_fma_f64 v[169:170], v[1:2], v[171:172], -v[169:170]
	v_add_f64 v[125:126], v[125:126], v[145:146]
	v_fma_f64 v[145:146], v[3:4], v[171:172], v[163:164]
	v_add_f64 v[123:124], v[123:124], v[149:150]
	s_clause 0x2
	buffer_load_dword v162, off, s[0:3], 0 offset:780
	buffer_load_dword v150, off, s[0:3], 0 offset:756
	buffer_load_dword v149, off, s[0:3], 0 offset:752
	ds_read_b128 v[1:4], v180 offset:1424
	s_waitcnt vmcnt(58) lgkmcnt(1)
	v_mul_f64 v[171:172], v[7:8], v[175:176]
	v_mul_f64 v[163:164], v[5:6], v[175:176]
	;; [unrolled: 28-line block ×4, first 2 shown]
	s_waitcnt vmcnt(56)
	v_fma_f64 v[167:168], v[5:6], v[173:174], -v[167:168]
	v_add_f64 v[125:126], v[125:126], v[165:166]
	v_fma_f64 v[165:166], v[7:8], v[173:174], v[201:202]
	v_add_f64 v[123:124], v[123:124], v[159:160]
	s_clause 0x4
	buffer_load_dword v160, off, s[0:3], 0 offset:860
	buffer_load_dword v173, off, s[0:3], 0 offset:872
	;; [unrolled: 1-line block ×5, first 2 shown]
	ds_read_b128 v[5:8], v180 offset:1504
	s_waitcnt vmcnt(57) lgkmcnt(1)
	v_mul_f64 v[201:202], v[119:120], v[131:132]
	v_mul_f64 v[131:132], v[121:122], v[131:132]
	s_waitcnt vmcnt(56)
	v_fma_f64 v[183:184], v[1:2], v[193:194], -v[183:184]
	v_fma_f64 v[163:164], v[3:4], v[193:194], v[163:164]
	v_add_f64 v[125:126], v[125:126], v[167:168]
	v_add_f64 v[123:124], v[123:124], v[165:166]
	s_clause 0x2
	buffer_load_dword v174, off, s[0:3], 0 offset:876
	buffer_load_dword v166, off, s[0:3], 0 offset:852
	;; [unrolled: 1-line block ×3, first 2 shown]
	ds_read_b128 v[1:4], v180 offset:1520
	s_waitcnt vmcnt(58) lgkmcnt(1)
	v_mul_f64 v[167:168], v[5:6], v[191:192]
	v_mul_f64 v[191:192], v[7:8], v[191:192]
	s_waitcnt vmcnt(56)
	v_fma_f64 v[131:132], v[119:120], v[137:138], -v[131:132]
	v_fma_f64 v[137:138], v[121:122], v[137:138], v[201:202]
	v_add_f64 v[125:126], v[125:126], v[183:184]
	v_add_f64 v[123:124], v[123:124], v[163:164]
	s_clause 0x2
	buffer_load_dword v164, off, s[0:3], 0 offset:892
	buffer_load_dword v163, off, s[0:3], 0 offset:888
	buffer_load_dword v190, off, s[0:3], 0 offset:868
	ds_read_b128 v[119:122], v180 offset:1536
	s_waitcnt vmcnt(55) lgkmcnt(1)
	v_mul_f64 v[183:184], v[1:2], v[143:144]
	v_mul_f64 v[143:144], v[3:4], v[143:144]
	s_waitcnt vmcnt(54)
	v_fma_f64 v[191:192], v[5:6], v[197:198], -v[191:192]
	v_add_f64 v[125:126], v[125:126], v[131:132]
	v_fma_f64 v[131:132], v[7:8], v[197:198], v[167:168]
	v_add_f64 v[123:124], v[123:124], v[137:138]
	s_clause 0x1
	buffer_load_dword v138, off, s[0:3], 0 offset:884
	buffer_load_dword v137, off, s[0:3], 0 offset:880
	ds_read_b128 v[5:8], v180 offset:1552
	s_waitcnt vmcnt(55) lgkmcnt(1)
	v_mul_f64 v[167:168], v[119:120], v[185:186]
	v_mul_f64 v[185:186], v[121:122], v[185:186]
	s_waitcnt vmcnt(53)
	v_fma_f64 v[143:144], v[1:2], v[135:136], -v[143:144]
	v_fma_f64 v[135:136], v[3:4], v[135:136], v[183:184]
	ds_read_b128 v[1:4], v180 offset:1568
	v_add_f64 v[125:126], v[125:126], v[191:192]
	v_add_f64 v[123:124], v[123:124], v[131:132]
	s_waitcnt vmcnt(49) lgkmcnt(1)
	v_mul_f64 v[131:132], v[5:6], v[129:130]
	v_mul_f64 v[129:130], v[7:8], v[129:130]
	s_waitcnt vmcnt(48)
	v_fma_f64 v[183:184], v[119:120], v[199:200], -v[185:186]
	v_add_f64 v[125:126], v[125:126], v[143:144]
	v_fma_f64 v[143:144], v[121:122], v[199:200], v[167:168]
	v_add_f64 v[123:124], v[123:124], v[135:136]
	s_clause 0x3
	buffer_load_dword v135, off, s[0:3], 0 offset:48
	buffer_load_dword v136, off, s[0:3], 0 offset:52
	;; [unrolled: 1-line block ×4, first 2 shown]
	ds_read_b128 v[119:122], v180 offset:1584
	s_waitcnt vmcnt(51) lgkmcnt(1)
	v_mul_f64 v[185:186], v[1:2], v[147:148]
	v_mul_f64 v[147:148], v[3:4], v[147:148]
	s_waitcnt vmcnt(49)
	v_fma_f64 v[129:130], v[5:6], v[141:142], -v[129:130]
	v_fma_f64 v[131:132], v[7:8], v[141:142], v[131:132]
	ds_read_b128 v[5:8], v180 offset:1600
	v_add_f64 v[125:126], v[125:126], v[183:184]
	v_add_f64 v[123:124], v[123:124], v[143:144]
	s_waitcnt vmcnt(45) lgkmcnt(1)
	v_mul_f64 v[141:142], v[119:120], v[133:134]
	v_mul_f64 v[133:134], v[121:122], v[133:134]
	s_waitcnt vmcnt(44)
	v_fma_f64 v[143:144], v[1:2], v[195:196], -v[147:148]
	v_add_f64 v[125:126], v[125:126], v[129:130]
	v_fma_f64 v[129:130], v[3:4], v[195:196], v[185:186]
	v_add_f64 v[123:124], v[123:124], v[131:132]
	ds_read_b128 v[1:4], v180 offset:1616
	s_waitcnt vmcnt(43) lgkmcnt(1)
	v_mul_f64 v[147:148], v[7:8], v[155:156]
	v_mul_f64 v[131:132], v[5:6], v[155:156]
	s_waitcnt vmcnt(41)
	v_fma_f64 v[133:134], v[119:120], v[151:152], -v[133:134]
	v_fma_f64 v[141:142], v[121:122], v[151:152], v[141:142]
	ds_read_b128 v[119:122], v180 offset:1632
	v_add_f64 v[125:126], v[125:126], v[143:144]
	v_add_f64 v[123:124], v[123:124], v[129:130]
	s_waitcnt vmcnt(37) lgkmcnt(1)
	v_mul_f64 v[129:130], v[1:2], v[139:140]
	v_mul_f64 v[139:140], v[3:4], v[139:140]
	s_waitcnt vmcnt(36)
	v_fma_f64 v[143:144], v[5:6], v[187:188], -v[147:148]
	v_fma_f64 v[131:132], v[7:8], v[187:188], v[131:132]
	ds_read_b128 v[5:8], v180 offset:1648
	v_add_f64 v[125:126], v[125:126], v[133:134]
	v_add_f64 v[123:124], v[123:124], v[141:142]
	;; [unrolled: 9-line block ×3, first 2 shown]
	s_waitcnt vmcnt(29) lgkmcnt(1)
	v_mul_f64 v[143:144], v[7:8], v[145:146]
	s_waitcnt vmcnt(28)
	v_fma_f64 v[141:142], v[119:120], v[181:182], -v[141:142]
	v_mul_f64 v[131:132], v[5:6], v[145:146]
	v_fma_f64 v[133:134], v[121:122], v[181:182], v[133:134]
	ds_read_b128 v[119:122], v180 offset:1680
	v_add_f64 v[125:126], v[125:126], v[139:140]
	v_add_f64 v[123:124], v[123:124], v[129:130]
	s_waitcnt vmcnt(27) lgkmcnt(1)
	v_mul_f64 v[139:140], v[3:4], v[169:170]
	v_mul_f64 v[129:130], v[1:2], v[169:170]
	s_waitcnt vmcnt(25)
	v_fma_f64 v[143:144], v[5:6], v[157:158], -v[143:144]
	v_fma_f64 v[131:132], v[7:8], v[157:158], v[131:132]
	ds_read_b128 v[5:8], v180 offset:1696
	v_add_f64 v[125:126], v[125:126], v[141:142]
	v_add_f64 v[123:124], v[123:124], v[133:134]
	s_waitcnt vmcnt(21) lgkmcnt(1)
	v_mul_f64 v[141:142], v[121:122], v[153:154]
	s_waitcnt vmcnt(20)
	v_fma_f64 v[139:140], v[1:2], v[175:176], -v[139:140]
	v_mul_f64 v[133:134], v[119:120], v[153:154]
	v_fma_f64 v[129:130], v[3:4], v[175:176], v[129:130]
	ds_read_b128 v[1:4], v180 offset:1712
	v_add_f64 v[125:126], v[125:126], v[143:144]
	v_add_f64 v[123:124], v[123:124], v[131:132]
	s_waitcnt vmcnt(19) lgkmcnt(1)
	v_mul_f64 v[143:144], v[7:8], v[171:172]
	v_mul_f64 v[131:132], v[5:6], v[171:172]
	s_waitcnt vmcnt(17)
	v_fma_f64 v[141:142], v[119:120], v[127:128], -v[141:142]
	v_fma_f64 v[127:128], v[121:122], v[127:128], v[133:134]
	ds_read_b128 v[119:122], v180 offset:1728
	v_add_f64 v[125:126], v[125:126], v[139:140]
	v_add_f64 v[123:124], v[123:124], v[129:130]
	s_waitcnt vmcnt(13) lgkmcnt(1)
	v_mul_f64 v[133:134], v[3:4], v[159:160]
	s_waitcnt vmcnt(12)
	v_fma_f64 v[139:140], v[5:6], v[177:178], -v[143:144]
	v_mul_f64 v[129:130], v[1:2], v[159:160]
	v_fma_f64 v[131:132], v[7:8], v[177:178], v[131:132]
	ds_read_b128 v[5:8], v180 offset:1744
	v_add_f64 v[125:126], v[125:126], v[141:142]
	v_add_f64 v[123:124], v[123:124], v[127:128]
	s_waitcnt vmcnt(11) lgkmcnt(1)
	v_mul_f64 v[141:142], v[121:122], v[173:174]
	v_mul_f64 v[127:128], v[119:120], v[173:174]
	s_waitcnt vmcnt(9)
	v_fma_f64 v[1:2], v[1:2], v[165:166], -v[133:134]
	v_fma_f64 v[3:4], v[3:4], v[165:166], v[129:130]
	v_add_f64 v[125:126], v[125:126], v[139:140]
	v_add_f64 v[123:124], v[123:124], v[131:132]
	s_waitcnt vmcnt(7) lgkmcnt(0)
	v_mul_f64 v[131:132], v[7:8], v[163:164]
	s_waitcnt vmcnt(6)
	v_fma_f64 v[119:120], v[119:120], v[189:190], -v[141:142]
	v_mul_f64 v[129:130], v[5:6], v[163:164]
	v_fma_f64 v[121:122], v[121:122], v[189:190], v[127:128]
	v_add_f64 v[1:2], v[125:126], v[1:2]
	v_add_f64 v[3:4], v[123:124], v[3:4]
	s_waitcnt vmcnt(4)
	v_fma_f64 v[5:6], v[5:6], v[137:138], -v[131:132]
	v_fma_f64 v[7:8], v[7:8], v[137:138], v[129:130]
	v_add_f64 v[1:2], v[1:2], v[119:120]
	v_add_f64 v[3:4], v[3:4], v[121:122]
	;; [unrolled: 1-line block ×4, first 2 shown]
	s_waitcnt vmcnt(2)
	v_add_f64 v[1:2], v[135:136], -v[1:2]
	s_waitcnt vmcnt(0)
	v_add_f64 v[3:4], v[167:168], -v[3:4]
	buffer_store_dword v2, off, s[0:3], 0 offset:52
	buffer_store_dword v1, off, s[0:3], 0 offset:48
	;; [unrolled: 1-line block ×4, first 2 shown]
	v_cmpx_lt_u32_e32 1, v0
	s_cbranch_execz .LBB118_341
; %bb.340:
	v_mov_b32_e32 v4, s66
	v_mov_b32_e32 v5, 0
	s_clause 0x3
	buffer_load_dword v1, v4, s[0:3], 0 offen
	buffer_load_dword v2, v4, s[0:3], 0 offen offset:4
	buffer_load_dword v3, v4, s[0:3], 0 offen offset:8
	;; [unrolled: 1-line block ×3, first 2 shown]
	buffer_store_dword v5, off, s[0:3], 0 offset:32
	buffer_store_dword v5, off, s[0:3], 0 offset:36
	;; [unrolled: 1-line block ×4, first 2 shown]
	s_waitcnt vmcnt(0)
	ds_write_b128 v179, v[1:4]
.LBB118_341:
	s_or_b32 exec_lo, exec_lo, s4
	s_waitcnt lgkmcnt(0)
	s_waitcnt_vscnt null, 0x0
	s_barrier
	buffer_gl0_inv
	s_clause 0x37
	buffer_load_dword v127, off, s[0:3], 0 offset:56
	buffer_load_dword v128, off, s[0:3], 0 offset:60
	;; [unrolled: 1-line block ×56, first 2 shown]
	v_mov_b32_e32 v180, 0
	s_mov_b32 s4, exec_lo
	ds_read_b128 v[5:8], v180 offset:912
	s_clause 0x2
	buffer_load_dword v176, off, s[0:3], 0 offset:284
	buffer_load_dword v178, off, s[0:3], 0 offset:260
	;; [unrolled: 1-line block ×3, first 2 shown]
	ds_read_b128 v[1:4], v180 offset:928
	s_clause 0x4
	buffer_load_dword v188, off, s[0:3], 0 offset:300
	buffer_load_dword v189, off, s[0:3], 0 offset:312
	;; [unrolled: 1-line block ×5, first 2 shown]
	ds_read_b128 v[181:184], v180 offset:944
	s_waitcnt vmcnt(62) lgkmcnt(2)
	v_mul_f64 v[185:186], v[7:8], v[127:128]
	v_mul_f64 v[127:128], v[5:6], v[127:128]
	s_waitcnt vmcnt(60) lgkmcnt(1)
	v_mul_f64 v[192:193], v[3:4], v[123:124]
	v_mul_f64 v[123:124], v[1:2], v[123:124]
	s_waitcnt vmcnt(56) lgkmcnt(0)
	v_mul_f64 v[194:195], v[181:182], v[121:122]
	v_mul_f64 v[121:122], v[183:184], v[121:122]
	v_fma_f64 v[185:186], v[5:6], v[125:126], -v[185:186]
	v_fma_f64 v[125:126], v[7:8], v[125:126], v[127:128]
	s_clause 0x2
	buffer_load_dword v190, off, s[0:3], 0 offset:316
	buffer_load_dword v128, off, s[0:3], 0 offset:292
	;; [unrolled: 1-line block ×3, first 2 shown]
	s_waitcnt vmcnt(57)
	v_fma_f64 v[196:197], v[1:2], v[119:120], -v[192:193]
	ds_read_b128 v[5:8], v180 offset:960
	v_fma_f64 v[119:120], v[3:4], v[119:120], v[123:124]
	s_waitcnt vmcnt(51)
	v_fma_f64 v[181:182], v[181:182], v[143:144], -v[121:122]
	v_fma_f64 v[143:144], v[183:184], v[143:144], v[194:195]
	v_add_f64 v[185:186], v[185:186], 0
	v_add_f64 v[123:124], v[125:126], 0
	s_clause 0x4
	buffer_load_dword v126, off, s[0:3], 0 offset:332
	buffer_load_dword v193, off, s[0:3], 0 offset:344
	;; [unrolled: 1-line block ×5, first 2 shown]
	s_waitcnt lgkmcnt(0)
	v_mul_f64 v[199:200], v[5:6], v[131:132]
	v_mul_f64 v[131:132], v[7:8], v[131:132]
	ds_read_b128 v[1:4], v180 offset:976
	s_clause 0x2
	buffer_load_dword v194, off, s[0:3], 0 offset:348
	buffer_load_dword v184, off, s[0:3], 0 offset:324
	;; [unrolled: 1-line block ×3, first 2 shown]
	v_add_f64 v[185:186], v[185:186], v[196:197]
	v_add_f64 v[123:124], v[123:124], v[119:120]
	ds_read_b128 v[119:122], v180 offset:992
	s_waitcnt vmcnt(58) lgkmcnt(1)
	v_mul_f64 v[195:196], v[1:2], v[135:136]
	v_mul_f64 v[135:136], v[3:4], v[135:136]
	s_waitcnt vmcnt(56)
	v_fma_f64 v[131:132], v[5:6], v[137:138], -v[131:132]
	v_fma_f64 v[137:138], v[7:8], v[137:138], v[199:200]
	s_waitcnt vmcnt(52) lgkmcnt(0)
	v_mul_f64 v[201:202], v[119:120], v[139:140]
	v_add_f64 v[181:182], v[185:186], v[181:182]
	v_add_f64 v[123:124], v[123:124], v[143:144]
	s_clause 0x4
	buffer_load_dword v144, off, s[0:3], 0 offset:364
	buffer_load_dword v185, off, s[0:3], 0 offset:376
	;; [unrolled: 1-line block ×5, first 2 shown]
	v_mul_f64 v[139:140], v[121:122], v[139:140]
	s_waitcnt vmcnt(56)
	v_fma_f64 v[135:136], v[1:2], v[129:130], -v[135:136]
	ds_read_b128 v[5:8], v180 offset:1008
	v_fma_f64 v[129:130], v[3:4], v[129:130], v[195:196]
	v_add_f64 v[131:132], v[181:182], v[131:132]
	v_add_f64 v[123:124], v[123:124], v[137:138]
	s_clause 0x2
	buffer_load_dword v186, off, s[0:3], 0 offset:380
	buffer_load_dword v138, off, s[0:3], 0 offset:356
	;; [unrolled: 1-line block ×3, first 2 shown]
	s_waitcnt vmcnt(58) lgkmcnt(0)
	v_mul_f64 v[181:182], v[5:6], v[145:146]
	v_mul_f64 v[145:146], v[7:8], v[145:146]
	s_waitcnt vmcnt(56)
	v_fma_f64 v[139:140], v[119:120], v[147:148], -v[139:140]
	ds_read_b128 v[1:4], v180 offset:1024
	v_add_f64 v[131:132], v[131:132], v[135:136]
	v_fma_f64 v[135:136], v[121:122], v[147:148], v[201:202]
	v_add_f64 v[123:124], v[123:124], v[129:130]
	s_clause 0x4
	buffer_load_dword v130, off, s[0:3], 0 offset:396
	buffer_load_dword v147, off, s[0:3], 0 offset:408
	;; [unrolled: 1-line block ×5, first 2 shown]
	s_waitcnt vmcnt(57) lgkmcnt(0)
	v_mul_f64 v[196:197], v[1:2], v[149:150]
	v_mul_f64 v[149:150], v[3:4], v[149:150]
	s_waitcnt vmcnt(56)
	v_fma_f64 v[145:146], v[5:6], v[133:134], -v[145:146]
	ds_read_b128 v[119:122], v180 offset:1040
	v_fma_f64 v[133:134], v[7:8], v[133:134], v[181:182]
	v_add_f64 v[131:132], v[131:132], v[139:140]
	v_add_f64 v[123:124], v[123:124], v[135:136]
	s_clause 0x2
	buffer_load_dword v148, off, s[0:3], 0 offset:412
	buffer_load_dword v136, off, s[0:3], 0 offset:388
	;; [unrolled: 1-line block ×3, first 2 shown]
	ds_read_b128 v[5:8], v180 offset:1056
	s_waitcnt vmcnt(58) lgkmcnt(1)
	v_mul_f64 v[139:140], v[119:120], v[153:154]
	v_mul_f64 v[153:154], v[121:122], v[153:154]
	s_waitcnt vmcnt(56)
	v_fma_f64 v[149:150], v[1:2], v[155:156], -v[149:150]
	v_add_f64 v[131:132], v[131:132], v[145:146]
	v_fma_f64 v[145:146], v[3:4], v[155:156], v[196:197]
	v_add_f64 v[123:124], v[123:124], v[133:134]
	s_clause 0x4
	buffer_load_dword v134, off, s[0:3], 0 offset:428
	buffer_load_dword v155, off, s[0:3], 0 offset:440
	buffer_load_dword v181, off, s[0:3], 0 offset:432
	buffer_load_dword v133, off, s[0:3], 0 offset:424
	buffer_load_dword v196, off, s[0:3], 0 offset:404
	s_waitcnt vmcnt(57) lgkmcnt(0)
	v_mul_f64 v[202:203], v[5:6], v[157:158]
	v_mul_f64 v[157:158], v[7:8], v[157:158]
	s_waitcnt vmcnt(56)
	v_fma_f64 v[153:154], v[119:120], v[141:142], -v[153:154]
	ds_read_b128 v[1:4], v180 offset:1072
	v_fma_f64 v[139:140], v[121:122], v[141:142], v[139:140]
	s_clause 0x2
	buffer_load_dword v156, off, s[0:3], 0 offset:444
	buffer_load_dword v142, off, s[0:3], 0 offset:420
	;; [unrolled: 1-line block ×3, first 2 shown]
	ds_read_b128 v[119:122], v180 offset:1088
	v_add_f64 v[131:132], v[131:132], v[149:150]
	v_add_f64 v[123:124], v[123:124], v[145:146]
	s_waitcnt vmcnt(58) lgkmcnt(1)
	v_mul_f64 v[149:150], v[3:4], v[161:162]
	s_waitcnt vmcnt(56)
	v_fma_f64 v[157:158], v[5:6], v[163:164], -v[157:158]
	v_mul_f64 v[145:146], v[1:2], v[161:162]
	v_add_f64 v[131:132], v[131:132], v[153:154]
	v_fma_f64 v[153:154], v[7:8], v[163:164], v[202:203]
	v_add_f64 v[123:124], v[123:124], v[139:140]
	s_clause 0x4
	buffer_load_dword v140, off, s[0:3], 0 offset:460
	buffer_load_dword v161, off, s[0:3], 0 offset:472
	buffer_load_dword v163, off, s[0:3], 0 offset:464
	buffer_load_dword v139, off, s[0:3], 0 offset:456
	buffer_load_dword v182, off, s[0:3], 0 offset:436
	s_waitcnt vmcnt(57) lgkmcnt(0)
	v_mul_f64 v[202:203], v[119:120], v[165:166]
	v_mul_f64 v[164:165], v[121:122], v[165:166]
	s_waitcnt vmcnt(56)
	v_fma_f64 v[149:150], v[1:2], v[151:152], -v[149:150]
	ds_read_b128 v[5:8], v180 offset:1104
	v_fma_f64 v[145:146], v[3:4], v[151:152], v[145:146]
	s_clause 0x2
	buffer_load_dword v162, off, s[0:3], 0 offset:476
	buffer_load_dword v152, off, s[0:3], 0 offset:452
	;; [unrolled: 1-line block ×3, first 2 shown]
	ds_read_b128 v[1:4], v180 offset:1120
	v_add_f64 v[131:132], v[131:132], v[157:158]
	v_add_f64 v[123:124], v[123:124], v[153:154]
	s_waitcnt vmcnt(58) lgkmcnt(1)
	v_mul_f64 v[157:158], v[7:8], v[169:170]
	s_waitcnt vmcnt(56)
	v_fma_f64 v[165:166], v[119:120], v[171:172], -v[164:165]
	v_mul_f64 v[153:154], v[5:6], v[169:170]
	v_add_f64 v[131:132], v[131:132], v[149:150]
	v_fma_f64 v[149:150], v[121:122], v[171:172], v[202:203]
	v_add_f64 v[123:124], v[123:124], v[145:146]
	s_clause 0x4
	buffer_load_dword v146, off, s[0:3], 0 offset:492
	buffer_load_dword v169, off, s[0:3], 0 offset:504
	;; [unrolled: 1-line block ×5, first 2 shown]
	s_waitcnt vmcnt(57) lgkmcnt(0)
	v_mul_f64 v[202:203], v[1:2], v[173:174]
	v_mul_f64 v[172:173], v[3:4], v[173:174]
	s_waitcnt vmcnt(56)
	v_fma_f64 v[157:158], v[5:6], v[159:160], -v[157:158]
	ds_read_b128 v[119:122], v180 offset:1136
	v_fma_f64 v[153:154], v[7:8], v[159:160], v[153:154]
	v_add_f64 v[131:132], v[131:132], v[165:166]
	v_add_f64 v[123:124], v[123:124], v[149:150]
	s_clause 0x2
	buffer_load_dword v170, off, s[0:3], 0 offset:508
	buffer_load_dword v150, off, s[0:3], 0 offset:484
	buffer_load_dword v149, off, s[0:3], 0 offset:480
	ds_read_b128 v[5:8], v180 offset:1152
	s_waitcnt vmcnt(58) lgkmcnt(1)
	v_mul_f64 v[165:166], v[121:122], v[175:176]
	s_waitcnt vmcnt(56)
	v_fma_f64 v[173:174], v[1:2], v[177:178], -v[172:173]
	v_mul_f64 v[159:160], v[119:120], v[175:176]
	v_add_f64 v[131:132], v[131:132], v[157:158]
	v_fma_f64 v[157:158], v[3:4], v[177:178], v[202:203]
	v_add_f64 v[123:124], v[123:124], v[153:154]
	s_clause 0x4
	buffer_load_dword v154, off, s[0:3], 0 offset:524
	buffer_load_dword v175, off, s[0:3], 0 offset:536
	;; [unrolled: 1-line block ×5, first 2 shown]
	s_waitcnt vmcnt(57) lgkmcnt(0)
	v_mul_f64 v[202:203], v[5:6], v[187:188]
	v_mul_f64 v[187:188], v[7:8], v[187:188]
	s_waitcnt vmcnt(56)
	v_fma_f64 v[165:166], v[119:120], v[167:168], -v[165:166]
	ds_read_b128 v[1:4], v180 offset:1168
	v_fma_f64 v[159:160], v[121:122], v[167:168], v[159:160]
	v_add_f64 v[131:132], v[131:132], v[173:174]
	v_add_f64 v[123:124], v[123:124], v[157:158]
	s_clause 0x2
	buffer_load_dword v176, off, s[0:3], 0 offset:540
	buffer_load_dword v158, off, s[0:3], 0 offset:516
	;; [unrolled: 1-line block ×3, first 2 shown]
	ds_read_b128 v[119:122], v180 offset:1184
	s_waitcnt vmcnt(58) lgkmcnt(1)
	v_mul_f64 v[173:174], v[3:4], v[189:190]
	v_mul_f64 v[167:168], v[1:2], v[189:190]
	s_waitcnt vmcnt(56)
	v_fma_f64 v[187:188], v[5:6], v[127:128], -v[187:188]
	v_fma_f64 v[127:128], v[7:8], v[127:128], v[202:203]
	v_add_f64 v[131:132], v[131:132], v[165:166]
	v_add_f64 v[123:124], v[123:124], v[159:160]
	s_clause 0x4
	buffer_load_dword v160, off, s[0:3], 0 offset:556
	buffer_load_dword v165, off, s[0:3], 0 offset:568
	;; [unrolled: 1-line block ×5, first 2 shown]
	ds_read_b128 v[5:8], v180 offset:1200
	s_waitcnt vmcnt(57) lgkmcnt(1)
	v_mul_f64 v[202:203], v[119:120], v[125:126]
	v_mul_f64 v[125:126], v[121:122], v[125:126]
	s_waitcnt vmcnt(56)
	v_fma_f64 v[173:174], v[1:2], v[191:192], -v[173:174]
	v_fma_f64 v[167:168], v[3:4], v[191:192], v[167:168]
	v_add_f64 v[131:132], v[131:132], v[187:188]
	v_add_f64 v[123:124], v[123:124], v[127:128]
	s_clause 0x2
	buffer_load_dword v166, off, s[0:3], 0 offset:572
	buffer_load_dword v128, off, s[0:3], 0 offset:548
	;; [unrolled: 1-line block ×3, first 2 shown]
	s_waitcnt vmcnt(58) lgkmcnt(0)
	v_mul_f64 v[191:192], v[7:8], v[193:194]
	ds_read_b128 v[1:4], v180 offset:1216
	v_mul_f64 v[187:188], v[5:6], v[193:194]
	s_waitcnt vmcnt(56)
	v_fma_f64 v[125:126], v[119:120], v[183:184], -v[125:126]
	v_add_f64 v[131:132], v[131:132], v[173:174]
	v_fma_f64 v[173:174], v[121:122], v[183:184], v[202:203]
	v_add_f64 v[123:124], v[123:124], v[167:168]
	s_clause 0x4
	buffer_load_dword v168, off, s[0:3], 0 offset:588
	buffer_load_dword v183, off, s[0:3], 0 offset:600
	;; [unrolled: 1-line block ×5, first 2 shown]
	ds_read_b128 v[119:122], v180 offset:1232
	s_waitcnt vmcnt(57) lgkmcnt(1)
	v_mul_f64 v[202:203], v[1:2], v[143:144]
	v_mul_f64 v[143:144], v[3:4], v[143:144]
	s_waitcnt vmcnt(56)
	v_fma_f64 v[191:192], v[5:6], v[198:199], -v[191:192]
	v_add_f64 v[125:126], v[131:132], v[125:126]
	v_fma_f64 v[131:132], v[7:8], v[198:199], v[187:188]
	v_add_f64 v[123:124], v[123:124], v[173:174]
	s_clause 0x2
	buffer_load_dword v184, off, s[0:3], 0 offset:604
	buffer_load_dword v174, off, s[0:3], 0 offset:580
	buffer_load_dword v173, off, s[0:3], 0 offset:576
	ds_read_b128 v[5:8], v180 offset:1248
	s_waitcnt vmcnt(58) lgkmcnt(1)
	v_mul_f64 v[187:188], v[119:120], v[185:186]
	v_mul_f64 v[185:186], v[121:122], v[185:186]
	s_waitcnt vmcnt(56)
	v_fma_f64 v[143:144], v[1:2], v[137:138], -v[143:144]
	v_fma_f64 v[137:138], v[3:4], v[137:138], v[202:203]
	v_add_f64 v[125:126], v[125:126], v[191:192]
	v_add_f64 v[123:124], v[123:124], v[131:132]
	s_clause 0x4
	buffer_load_dword v132, off, s[0:3], 0 offset:620
	buffer_load_dword v191, off, s[0:3], 0 offset:632
	;; [unrolled: 1-line block ×5, first 2 shown]
	ds_read_b128 v[1:4], v180 offset:1264
	s_waitcnt vmcnt(57) lgkmcnt(1)
	v_mul_f64 v[198:199], v[5:6], v[129:130]
	v_mul_f64 v[129:130], v[7:8], v[129:130]
	s_waitcnt vmcnt(56)
	v_fma_f64 v[185:186], v[119:120], v[200:201], -v[185:186]
	v_add_f64 v[125:126], v[125:126], v[143:144]
	v_fma_f64 v[143:144], v[121:122], v[200:201], v[187:188]
	v_add_f64 v[123:124], v[123:124], v[137:138]
	s_clause 0x2
	buffer_load_dword v192, off, s[0:3], 0 offset:636
	buffer_load_dword v138, off, s[0:3], 0 offset:612
	;; [unrolled: 1-line block ×3, first 2 shown]
	ds_read_b128 v[119:122], v180 offset:1280
	s_waitcnt vmcnt(58) lgkmcnt(1)
	v_mul_f64 v[187:188], v[1:2], v[147:148]
	v_mul_f64 v[147:148], v[3:4], v[147:148]
	s_waitcnt vmcnt(56)
	v_fma_f64 v[129:130], v[5:6], v[135:136], -v[129:130]
	v_fma_f64 v[135:136], v[7:8], v[135:136], v[198:199]
	v_add_f64 v[125:126], v[125:126], v[185:186]
	v_add_f64 v[123:124], v[123:124], v[143:144]
	s_clause 0x4
	buffer_load_dword v144, off, s[0:3], 0 offset:652
	buffer_load_dword v185, off, s[0:3], 0 offset:664
	;; [unrolled: 1-line block ×5, first 2 shown]
	ds_read_b128 v[5:8], v180 offset:1296
	s_waitcnt vmcnt(57) lgkmcnt(1)
	v_mul_f64 v[200:201], v[119:120], v[133:134]
	v_mul_f64 v[133:134], v[121:122], v[133:134]
	s_waitcnt vmcnt(56)
	v_fma_f64 v[147:148], v[1:2], v[195:196], -v[147:148]
	v_add_f64 v[125:126], v[125:126], v[129:130]
	v_fma_f64 v[129:130], v[3:4], v[195:196], v[187:188]
	v_add_f64 v[123:124], v[123:124], v[135:136]
	s_clause 0x2
	buffer_load_dword v186, off, s[0:3], 0 offset:668
	buffer_load_dword v136, off, s[0:3], 0 offset:644
	;; [unrolled: 1-line block ×3, first 2 shown]
	s_waitcnt vmcnt(58) lgkmcnt(0)
	v_mul_f64 v[187:188], v[5:6], v[155:156]
	v_mul_f64 v[155:156], v[7:8], v[155:156]
	ds_read_b128 v[1:4], v180 offset:1312
	s_waitcnt vmcnt(56)
	v_fma_f64 v[133:134], v[119:120], v[141:142], -v[133:134]
	v_fma_f64 v[141:142], v[121:122], v[141:142], v[200:201]
	v_add_f64 v[125:126], v[125:126], v[147:148]
	v_add_f64 v[123:124], v[123:124], v[129:130]
	s_clause 0x4
	buffer_load_dword v130, off, s[0:3], 0 offset:684
	buffer_load_dword v147, off, s[0:3], 0 offset:696
	;; [unrolled: 1-line block ×5, first 2 shown]
	ds_read_b128 v[119:122], v180 offset:1328
	s_waitcnt vmcnt(57) lgkmcnt(1)
	v_mul_f64 v[201:202], v[1:2], v[139:140]
	v_mul_f64 v[139:140], v[3:4], v[139:140]
	s_waitcnt vmcnt(56)
	v_fma_f64 v[155:156], v[5:6], v[181:182], -v[155:156]
	v_add_f64 v[125:126], v[125:126], v[133:134]
	v_fma_f64 v[133:134], v[7:8], v[181:182], v[187:188]
	v_add_f64 v[123:124], v[123:124], v[141:142]
	s_clause 0x2
	buffer_load_dword v148, off, s[0:3], 0 offset:700
	buffer_load_dword v142, off, s[0:3], 0 offset:676
	;; [unrolled: 1-line block ×3, first 2 shown]
	s_waitcnt vmcnt(58) lgkmcnt(0)
	v_mul_f64 v[181:182], v[119:120], v[161:162]
	v_mul_f64 v[161:162], v[121:122], v[161:162]
	ds_read_b128 v[5:8], v180 offset:1344
	s_waitcnt vmcnt(56)
	v_fma_f64 v[139:140], v[1:2], v[151:152], -v[139:140]
	v_fma_f64 v[151:152], v[3:4], v[151:152], v[201:202]
	v_add_f64 v[125:126], v[125:126], v[155:156]
	v_add_f64 v[123:124], v[123:124], v[133:134]
	s_clause 0x4
	buffer_load_dword v134, off, s[0:3], 0 offset:716
	buffer_load_dword v155, off, s[0:3], 0 offset:728
	buffer_load_dword v187, off, s[0:3], 0 offset:720
	buffer_load_dword v133, off, s[0:3], 0 offset:712
	buffer_load_dword v196, off, s[0:3], 0 offset:692
	ds_read_b128 v[1:4], v180 offset:1360
	s_waitcnt vmcnt(57) lgkmcnt(1)
	v_mul_f64 v[201:202], v[5:6], v[145:146]
	v_mul_f64 v[145:146], v[7:8], v[145:146]
	s_waitcnt vmcnt(56)
	v_fma_f64 v[161:162], v[119:120], v[163:164], -v[161:162]
	v_add_f64 v[125:126], v[125:126], v[139:140]
	v_fma_f64 v[139:140], v[121:122], v[163:164], v[181:182]
	v_add_f64 v[123:124], v[123:124], v[151:152]
	s_clause 0x2
	buffer_load_dword v156, off, s[0:3], 0 offset:732
	buffer_load_dword v152, off, s[0:3], 0 offset:708
	buffer_load_dword v151, off, s[0:3], 0 offset:704
	ds_read_b128 v[119:122], v180 offset:1376
	s_waitcnt vmcnt(58) lgkmcnt(1)
	v_mul_f64 v[163:164], v[1:2], v[169:170]
	v_mul_f64 v[169:170], v[3:4], v[169:170]
	s_waitcnt vmcnt(56)
	v_fma_f64 v[145:146], v[5:6], v[149:150], -v[145:146]
	v_fma_f64 v[149:150], v[7:8], v[149:150], v[201:202]
	v_add_f64 v[125:126], v[125:126], v[161:162]
	v_add_f64 v[123:124], v[123:124], v[139:140]
	s_clause 0x4
	buffer_load_dword v140, off, s[0:3], 0 offset:748
	buffer_load_dword v161, off, s[0:3], 0 offset:760
	buffer_load_dword v181, off, s[0:3], 0 offset:752
	buffer_load_dword v139, off, s[0:3], 0 offset:744
	buffer_load_dword v188, off, s[0:3], 0 offset:724
	ds_read_b128 v[5:8], v180 offset:1392
	s_waitcnt vmcnt(57) lgkmcnt(1)
	v_mul_f64 v[201:202], v[119:120], v[153:154]
	v_mul_f64 v[153:154], v[121:122], v[153:154]
	s_waitcnt vmcnt(56)
	v_fma_f64 v[169:170], v[1:2], v[171:172], -v[169:170]
	v_add_f64 v[125:126], v[125:126], v[145:146]
	v_fma_f64 v[145:146], v[3:4], v[171:172], v[163:164]
	v_add_f64 v[123:124], v[123:124], v[149:150]
	s_clause 0x2
	buffer_load_dword v162, off, s[0:3], 0 offset:764
	buffer_load_dword v150, off, s[0:3], 0 offset:740
	buffer_load_dword v149, off, s[0:3], 0 offset:736
	ds_read_b128 v[1:4], v180 offset:1408
	s_waitcnt vmcnt(58) lgkmcnt(1)
	v_mul_f64 v[171:172], v[7:8], v[175:176]
	v_mul_f64 v[163:164], v[5:6], v[175:176]
	;; [unrolled: 28-line block ×4, first 2 shown]
	s_waitcnt vmcnt(56)
	v_fma_f64 v[167:168], v[5:6], v[173:174], -v[167:168]
	v_add_f64 v[125:126], v[125:126], v[165:166]
	v_fma_f64 v[165:166], v[7:8], v[173:174], v[201:202]
	v_add_f64 v[123:124], v[123:124], v[159:160]
	s_clause 0x4
	buffer_load_dword v160, off, s[0:3], 0 offset:844
	buffer_load_dword v173, off, s[0:3], 0 offset:856
	;; [unrolled: 1-line block ×5, first 2 shown]
	ds_read_b128 v[5:8], v180 offset:1488
	s_waitcnt vmcnt(57) lgkmcnt(1)
	v_mul_f64 v[201:202], v[119:120], v[131:132]
	v_mul_f64 v[131:132], v[121:122], v[131:132]
	s_waitcnt vmcnt(56)
	v_fma_f64 v[183:184], v[1:2], v[193:194], -v[183:184]
	v_fma_f64 v[163:164], v[3:4], v[193:194], v[163:164]
	v_add_f64 v[125:126], v[125:126], v[167:168]
	v_add_f64 v[123:124], v[123:124], v[165:166]
	s_clause 0x2
	buffer_load_dword v174, off, s[0:3], 0 offset:860
	buffer_load_dword v166, off, s[0:3], 0 offset:836
	buffer_load_dword v165, off, s[0:3], 0 offset:832
	ds_read_b128 v[1:4], v180 offset:1504
	s_waitcnt vmcnt(58) lgkmcnt(1)
	v_mul_f64 v[167:168], v[5:6], v[191:192]
	v_mul_f64 v[191:192], v[7:8], v[191:192]
	s_waitcnt vmcnt(56)
	v_fma_f64 v[131:132], v[119:120], v[137:138], -v[131:132]
	v_fma_f64 v[137:138], v[121:122], v[137:138], v[201:202]
	v_add_f64 v[125:126], v[125:126], v[183:184]
	v_add_f64 v[123:124], v[123:124], v[163:164]
	s_clause 0x4
	buffer_load_dword v164, off, s[0:3], 0 offset:876
	buffer_load_dword v183, off, s[0:3], 0 offset:888
	;; [unrolled: 1-line block ×5, first 2 shown]
	ds_read_b128 v[119:122], v180 offset:1520
	s_waitcnt vmcnt(57) lgkmcnt(1)
	v_mul_f64 v[201:202], v[1:2], v[143:144]
	v_mul_f64 v[143:144], v[3:4], v[143:144]
	s_waitcnt vmcnt(56)
	v_fma_f64 v[191:192], v[5:6], v[197:198], -v[191:192]
	v_add_f64 v[125:126], v[125:126], v[131:132]
	v_fma_f64 v[131:132], v[7:8], v[197:198], v[167:168]
	v_add_f64 v[123:124], v[123:124], v[137:138]
	s_clause 0x2
	buffer_load_dword v184, off, s[0:3], 0 offset:892
	buffer_load_dword v138, off, s[0:3], 0 offset:868
	;; [unrolled: 1-line block ×3, first 2 shown]
	ds_read_b128 v[5:8], v180 offset:1536
	buffer_load_dword v194, off, s[0:3], 0 offset:884
	s_waitcnt vmcnt(59) lgkmcnt(1)
	v_mul_f64 v[167:168], v[119:120], v[185:186]
	v_mul_f64 v[185:186], v[121:122], v[185:186]
	s_waitcnt vmcnt(57)
	v_fma_f64 v[143:144], v[1:2], v[135:136], -v[143:144]
	v_fma_f64 v[135:136], v[3:4], v[135:136], v[201:202]
	ds_read_b128 v[1:4], v180 offset:1552
	v_add_f64 v[125:126], v[125:126], v[191:192]
	v_add_f64 v[123:124], v[123:124], v[131:132]
	s_waitcnt vmcnt(53) lgkmcnt(1)
	v_mul_f64 v[131:132], v[5:6], v[129:130]
	v_mul_f64 v[129:130], v[7:8], v[129:130]
	s_waitcnt vmcnt(52)
	v_fma_f64 v[185:186], v[119:120], v[199:200], -v[185:186]
	v_add_f64 v[125:126], v[125:126], v[143:144]
	v_fma_f64 v[143:144], v[121:122], v[199:200], v[167:168]
	v_add_f64 v[123:124], v[123:124], v[135:136]
	ds_read_b128 v[119:122], v180 offset:1568
	s_waitcnt vmcnt(51) lgkmcnt(1)
	v_mul_f64 v[135:136], v[1:2], v[147:148]
	v_mul_f64 v[147:148], v[3:4], v[147:148]
	s_waitcnt vmcnt(49)
	v_fma_f64 v[129:130], v[5:6], v[141:142], -v[129:130]
	v_fma_f64 v[131:132], v[7:8], v[141:142], v[131:132]
	v_add_f64 v[125:126], v[125:126], v[185:186]
	v_add_f64 v[123:124], v[123:124], v[143:144]
	s_clause 0x3
	buffer_load_dword v141, off, s[0:3], 0 offset:32
	buffer_load_dword v142, off, s[0:3], 0 offset:36
	;; [unrolled: 1-line block ×4, first 2 shown]
	ds_read_b128 v[5:8], v180 offset:1584
	s_waitcnt vmcnt(49) lgkmcnt(1)
	v_mul_f64 v[167:168], v[119:120], v[133:134]
	v_mul_f64 v[133:134], v[121:122], v[133:134]
	s_waitcnt vmcnt(48)
	v_fma_f64 v[147:148], v[1:2], v[195:196], -v[147:148]
	v_add_f64 v[125:126], v[125:126], v[129:130]
	v_fma_f64 v[129:130], v[3:4], v[195:196], v[135:136]
	v_add_f64 v[123:124], v[123:124], v[131:132]
	ds_read_b128 v[1:4], v180 offset:1600
	s_waitcnt vmcnt(47) lgkmcnt(1)
	v_mul_f64 v[135:136], v[7:8], v[155:156]
	v_mul_f64 v[131:132], v[5:6], v[155:156]
	s_waitcnt vmcnt(45)
	v_fma_f64 v[133:134], v[119:120], v[151:152], -v[133:134]
	v_add_f64 v[125:126], v[125:126], v[147:148]
	v_fma_f64 v[147:148], v[121:122], v[151:152], v[167:168]
	v_add_f64 v[123:124], v[123:124], v[129:130]
	ds_read_b128 v[119:122], v180 offset:1616
	s_waitcnt vmcnt(41) lgkmcnt(1)
	v_mul_f64 v[129:130], v[1:2], v[139:140]
	v_mul_f64 v[139:140], v[3:4], v[139:140]
	s_waitcnt vmcnt(40)
	v_fma_f64 v[135:136], v[5:6], v[187:188], -v[135:136]
	v_fma_f64 v[131:132], v[7:8], v[187:188], v[131:132]
	ds_read_b128 v[5:8], v180 offset:1632
	v_add_f64 v[125:126], v[125:126], v[133:134]
	v_add_f64 v[123:124], v[123:124], v[147:148]
	s_waitcnt vmcnt(39) lgkmcnt(1)
	v_mul_f64 v[147:148], v[121:122], v[161:162]
	v_mul_f64 v[133:134], v[119:120], v[161:162]
	s_waitcnt vmcnt(37)
	v_fma_f64 v[139:140], v[1:2], v[149:150], -v[139:140]
	v_fma_f64 v[129:130], v[3:4], v[149:150], v[129:130]
	ds_read_b128 v[1:4], v180 offset:1648
	v_add_f64 v[125:126], v[125:126], v[135:136]
	v_add_f64 v[123:124], v[123:124], v[131:132]
	;; [unrolled: 9-line block ×4, first 2 shown]
	s_waitcnt vmcnt(25) lgkmcnt(1)
	v_mul_f64 v[145:146], v[121:122], v[153:154]
	s_waitcnt vmcnt(24)
	v_fma_f64 v[139:140], v[1:2], v[175:176], -v[139:140]
	v_mul_f64 v[133:134], v[119:120], v[153:154]
	v_fma_f64 v[129:130], v[3:4], v[175:176], v[129:130]
	ds_read_b128 v[1:4], v180 offset:1696
	v_add_f64 v[125:126], v[125:126], v[135:136]
	v_add_f64 v[123:124], v[123:124], v[131:132]
	s_waitcnt vmcnt(23) lgkmcnt(1)
	v_mul_f64 v[135:136], v[7:8], v[171:172]
	v_mul_f64 v[131:132], v[5:6], v[171:172]
	s_waitcnt vmcnt(21)
	v_fma_f64 v[145:146], v[119:120], v[127:128], -v[145:146]
	v_fma_f64 v[127:128], v[121:122], v[127:128], v[133:134]
	ds_read_b128 v[119:122], v180 offset:1712
	v_add_f64 v[125:126], v[125:126], v[139:140]
	v_add_f64 v[123:124], v[123:124], v[129:130]
	s_waitcnt vmcnt(17) lgkmcnt(1)
	v_mul_f64 v[133:134], v[3:4], v[159:160]
	s_waitcnt vmcnt(16)
	v_fma_f64 v[135:136], v[5:6], v[177:178], -v[135:136]
	v_mul_f64 v[129:130], v[1:2], v[159:160]
	v_fma_f64 v[131:132], v[7:8], v[177:178], v[131:132]
	ds_read_b128 v[5:8], v180 offset:1728
	v_add_f64 v[125:126], v[125:126], v[145:146]
	v_add_f64 v[123:124], v[123:124], v[127:128]
	s_waitcnt vmcnt(15) lgkmcnt(1)
	v_mul_f64 v[139:140], v[121:122], v[173:174]
	v_mul_f64 v[127:128], v[119:120], v[173:174]
	s_waitcnt vmcnt(13)
	v_fma_f64 v[133:134], v[1:2], v[165:166], -v[133:134]
	v_fma_f64 v[129:130], v[3:4], v[165:166], v[129:130]
	ds_read_b128 v[1:4], v180 offset:1744
	v_add_f64 v[125:126], v[125:126], v[135:136]
	v_add_f64 v[123:124], v[123:124], v[131:132]
	s_waitcnt vmcnt(9) lgkmcnt(1)
	v_mul_f64 v[135:136], v[7:8], v[163:164]
	s_waitcnt vmcnt(8)
	v_fma_f64 v[119:120], v[119:120], v[189:190], -v[139:140]
	v_mul_f64 v[131:132], v[5:6], v[163:164]
	v_fma_f64 v[121:122], v[121:122], v[189:190], v[127:128]
	v_add_f64 v[125:126], v[125:126], v[133:134]
	v_add_f64 v[123:124], v[123:124], v[129:130]
	s_waitcnt vmcnt(7) lgkmcnt(0)
	v_mul_f64 v[129:130], v[3:4], v[183:184]
	v_mul_f64 v[127:128], v[1:2], v[183:184]
	s_waitcnt vmcnt(5)
	v_fma_f64 v[5:6], v[5:6], v[137:138], -v[135:136]
	v_fma_f64 v[7:8], v[7:8], v[137:138], v[131:132]
	v_add_f64 v[119:120], v[125:126], v[119:120]
	v_add_f64 v[121:122], v[123:124], v[121:122]
	s_waitcnt vmcnt(4)
	v_fma_f64 v[1:2], v[1:2], v[193:194], -v[129:130]
	v_fma_f64 v[3:4], v[3:4], v[193:194], v[127:128]
	v_add_f64 v[5:6], v[119:120], v[5:6]
	v_add_f64 v[7:8], v[121:122], v[7:8]
	;; [unrolled: 1-line block ×4, first 2 shown]
	s_waitcnt vmcnt(2)
	v_add_f64 v[1:2], v[141:142], -v[1:2]
	s_waitcnt vmcnt(0)
	v_add_f64 v[3:4], v[143:144], -v[3:4]
	buffer_store_dword v2, off, s[0:3], 0 offset:36
	buffer_store_dword v1, off, s[0:3], 0 offset:32
	;; [unrolled: 1-line block ×4, first 2 shown]
	v_cmpx_ne_u32_e32 0, v0
	s_cbranch_execz .LBB118_343
; %bb.342:
	s_clause 0x3
	buffer_load_dword v0, off, s[0:3], 0 offset:16
	buffer_load_dword v1, off, s[0:3], 0 offset:20
	;; [unrolled: 1-line block ×4, first 2 shown]
	buffer_store_dword v180, off, s[0:3], 0 offset:16
	buffer_store_dword v180, off, s[0:3], 0 offset:20
	;; [unrolled: 1-line block ×4, first 2 shown]
	s_waitcnt vmcnt(0)
	ds_write_b128 v179, v[0:3]
.LBB118_343:
	s_or_b32 exec_lo, exec_lo, s4
	s_waitcnt lgkmcnt(0)
	s_waitcnt_vscnt null, 0x0
	s_barrier
	buffer_gl0_inv
	s_clause 0x37
	buffer_load_dword v127, off, s[0:3], 0 offset:40
	buffer_load_dword v128, off, s[0:3], 0 offset:44
	;; [unrolled: 1-line block ×56, first 2 shown]
	ds_read_b128 v[4:7], v180 offset:896
	s_clause 0x2
	buffer_load_dword v176, off, s[0:3], 0 offset:268
	buffer_load_dword v178, off, s[0:3], 0 offset:244
	;; [unrolled: 1-line block ×3, first 2 shown]
	ds_read_b128 v[0:3], v180 offset:912
	s_clause 0x4
	buffer_load_dword v188, off, s[0:3], 0 offset:284
	buffer_load_dword v189, off, s[0:3], 0 offset:296
	;; [unrolled: 1-line block ×5, first 2 shown]
	ds_read_b128 v[181:184], v180 offset:928
	s_and_b32 vcc_lo, exec_lo, s67
	s_waitcnt vmcnt(62) lgkmcnt(2)
	v_mul_f64 v[185:186], v[6:7], v[127:128]
	v_mul_f64 v[127:128], v[4:5], v[127:128]
	s_waitcnt vmcnt(60) lgkmcnt(1)
	v_mul_f64 v[192:193], v[2:3], v[123:124]
	v_mul_f64 v[123:124], v[0:1], v[123:124]
	;; [unrolled: 3-line block ×3, first 2 shown]
	v_fma_f64 v[185:186], v[4:5], v[125:126], -v[185:186]
	v_fma_f64 v[125:126], v[6:7], v[125:126], v[127:128]
	s_clause 0x2
	buffer_load_dword v190, off, s[0:3], 0 offset:300
	buffer_load_dword v128, off, s[0:3], 0 offset:276
	;; [unrolled: 1-line block ×3, first 2 shown]
	s_waitcnt vmcnt(57)
	v_fma_f64 v[196:197], v[0:1], v[119:120], -v[192:193]
	ds_read_b128 v[4:7], v180 offset:944
	v_fma_f64 v[119:120], v[2:3], v[119:120], v[123:124]
	s_waitcnt vmcnt(51)
	v_fma_f64 v[181:182], v[181:182], v[143:144], -v[121:122]
	v_fma_f64 v[143:144], v[183:184], v[143:144], v[194:195]
	v_add_f64 v[185:186], v[185:186], 0
	v_add_f64 v[123:124], v[125:126], 0
	s_clause 0x4
	buffer_load_dword v126, off, s[0:3], 0 offset:316
	buffer_load_dword v193, off, s[0:3], 0 offset:328
	;; [unrolled: 1-line block ×5, first 2 shown]
	s_waitcnt lgkmcnt(0)
	v_mul_f64 v[199:200], v[4:5], v[131:132]
	v_mul_f64 v[131:132], v[6:7], v[131:132]
	ds_read_b128 v[0:3], v180 offset:960
	s_clause 0x2
	buffer_load_dword v194, off, s[0:3], 0 offset:332
	buffer_load_dword v184, off, s[0:3], 0 offset:308
	;; [unrolled: 1-line block ×3, first 2 shown]
	v_add_f64 v[185:186], v[185:186], v[196:197]
	v_add_f64 v[123:124], v[123:124], v[119:120]
	ds_read_b128 v[119:122], v180 offset:976
	s_waitcnt vmcnt(58) lgkmcnt(1)
	v_mul_f64 v[195:196], v[0:1], v[135:136]
	v_mul_f64 v[135:136], v[2:3], v[135:136]
	s_waitcnt vmcnt(56)
	v_fma_f64 v[131:132], v[4:5], v[137:138], -v[131:132]
	v_fma_f64 v[137:138], v[6:7], v[137:138], v[199:200]
	s_waitcnt vmcnt(52) lgkmcnt(0)
	v_mul_f64 v[201:202], v[119:120], v[139:140]
	v_add_f64 v[181:182], v[185:186], v[181:182]
	v_add_f64 v[123:124], v[123:124], v[143:144]
	s_clause 0x4
	buffer_load_dword v144, off, s[0:3], 0 offset:348
	buffer_load_dword v185, off, s[0:3], 0 offset:360
	;; [unrolled: 1-line block ×5, first 2 shown]
	v_mul_f64 v[139:140], v[121:122], v[139:140]
	s_waitcnt vmcnt(56)
	v_fma_f64 v[135:136], v[0:1], v[129:130], -v[135:136]
	ds_read_b128 v[4:7], v180 offset:992
	v_fma_f64 v[129:130], v[2:3], v[129:130], v[195:196]
	v_add_f64 v[131:132], v[181:182], v[131:132]
	v_add_f64 v[123:124], v[123:124], v[137:138]
	s_clause 0x2
	buffer_load_dword v186, off, s[0:3], 0 offset:364
	buffer_load_dword v138, off, s[0:3], 0 offset:340
	;; [unrolled: 1-line block ×3, first 2 shown]
	s_waitcnt vmcnt(58) lgkmcnt(0)
	v_mul_f64 v[181:182], v[4:5], v[145:146]
	v_mul_f64 v[145:146], v[6:7], v[145:146]
	s_waitcnt vmcnt(56)
	v_fma_f64 v[139:140], v[119:120], v[147:148], -v[139:140]
	ds_read_b128 v[0:3], v180 offset:1008
	v_add_f64 v[131:132], v[131:132], v[135:136]
	v_fma_f64 v[135:136], v[121:122], v[147:148], v[201:202]
	v_add_f64 v[123:124], v[123:124], v[129:130]
	s_clause 0x4
	buffer_load_dword v130, off, s[0:3], 0 offset:380
	buffer_load_dword v147, off, s[0:3], 0 offset:392
	;; [unrolled: 1-line block ×5, first 2 shown]
	s_waitcnt vmcnt(57) lgkmcnt(0)
	v_mul_f64 v[196:197], v[0:1], v[149:150]
	v_mul_f64 v[149:150], v[2:3], v[149:150]
	s_waitcnt vmcnt(56)
	v_fma_f64 v[145:146], v[4:5], v[133:134], -v[145:146]
	ds_read_b128 v[119:122], v180 offset:1024
	v_fma_f64 v[133:134], v[6:7], v[133:134], v[181:182]
	v_add_f64 v[131:132], v[131:132], v[139:140]
	v_add_f64 v[123:124], v[123:124], v[135:136]
	s_clause 0x2
	buffer_load_dword v148, off, s[0:3], 0 offset:396
	buffer_load_dword v136, off, s[0:3], 0 offset:372
	;; [unrolled: 1-line block ×3, first 2 shown]
	ds_read_b128 v[4:7], v180 offset:1040
	s_waitcnt vmcnt(58) lgkmcnt(1)
	v_mul_f64 v[139:140], v[119:120], v[153:154]
	v_mul_f64 v[153:154], v[121:122], v[153:154]
	s_waitcnt vmcnt(56)
	v_fma_f64 v[149:150], v[0:1], v[155:156], -v[149:150]
	v_add_f64 v[131:132], v[131:132], v[145:146]
	v_fma_f64 v[145:146], v[2:3], v[155:156], v[196:197]
	v_add_f64 v[123:124], v[123:124], v[133:134]
	s_clause 0x4
	buffer_load_dword v134, off, s[0:3], 0 offset:412
	buffer_load_dword v155, off, s[0:3], 0 offset:424
	;; [unrolled: 1-line block ×5, first 2 shown]
	s_waitcnt vmcnt(57) lgkmcnt(0)
	v_mul_f64 v[202:203], v[4:5], v[157:158]
	v_mul_f64 v[157:158], v[6:7], v[157:158]
	s_waitcnt vmcnt(56)
	v_fma_f64 v[153:154], v[119:120], v[141:142], -v[153:154]
	ds_read_b128 v[0:3], v180 offset:1056
	v_fma_f64 v[139:140], v[121:122], v[141:142], v[139:140]
	s_clause 0x2
	buffer_load_dword v156, off, s[0:3], 0 offset:428
	buffer_load_dword v142, off, s[0:3], 0 offset:404
	;; [unrolled: 1-line block ×3, first 2 shown]
	ds_read_b128 v[119:122], v180 offset:1072
	v_add_f64 v[131:132], v[131:132], v[149:150]
	v_add_f64 v[123:124], v[123:124], v[145:146]
	s_waitcnt vmcnt(58) lgkmcnt(1)
	v_mul_f64 v[149:150], v[2:3], v[161:162]
	s_waitcnt vmcnt(56)
	v_fma_f64 v[157:158], v[4:5], v[163:164], -v[157:158]
	v_mul_f64 v[145:146], v[0:1], v[161:162]
	v_add_f64 v[131:132], v[131:132], v[153:154]
	v_fma_f64 v[153:154], v[6:7], v[163:164], v[202:203]
	v_add_f64 v[123:124], v[123:124], v[139:140]
	s_clause 0x4
	buffer_load_dword v140, off, s[0:3], 0 offset:444
	buffer_load_dword v161, off, s[0:3], 0 offset:456
	buffer_load_dword v163, off, s[0:3], 0 offset:448
	buffer_load_dword v139, off, s[0:3], 0 offset:440
	buffer_load_dword v182, off, s[0:3], 0 offset:420
	s_waitcnt vmcnt(57) lgkmcnt(0)
	v_mul_f64 v[202:203], v[119:120], v[165:166]
	v_mul_f64 v[164:165], v[121:122], v[165:166]
	s_waitcnt vmcnt(56)
	v_fma_f64 v[149:150], v[0:1], v[151:152], -v[149:150]
	ds_read_b128 v[4:7], v180 offset:1088
	v_fma_f64 v[145:146], v[2:3], v[151:152], v[145:146]
	s_clause 0x2
	buffer_load_dword v162, off, s[0:3], 0 offset:460
	buffer_load_dword v152, off, s[0:3], 0 offset:436
	;; [unrolled: 1-line block ×3, first 2 shown]
	ds_read_b128 v[0:3], v180 offset:1104
	v_add_f64 v[131:132], v[131:132], v[157:158]
	v_add_f64 v[123:124], v[123:124], v[153:154]
	s_waitcnt vmcnt(58) lgkmcnt(1)
	v_mul_f64 v[157:158], v[6:7], v[169:170]
	s_waitcnt vmcnt(56)
	v_fma_f64 v[165:166], v[119:120], v[171:172], -v[164:165]
	v_mul_f64 v[153:154], v[4:5], v[169:170]
	v_add_f64 v[131:132], v[131:132], v[149:150]
	v_fma_f64 v[149:150], v[121:122], v[171:172], v[202:203]
	v_add_f64 v[123:124], v[123:124], v[145:146]
	s_clause 0x4
	buffer_load_dword v146, off, s[0:3], 0 offset:476
	buffer_load_dword v169, off, s[0:3], 0 offset:488
	;; [unrolled: 1-line block ×5, first 2 shown]
	s_waitcnt vmcnt(57) lgkmcnt(0)
	v_mul_f64 v[202:203], v[0:1], v[173:174]
	v_mul_f64 v[172:173], v[2:3], v[173:174]
	s_waitcnt vmcnt(56)
	v_fma_f64 v[157:158], v[4:5], v[159:160], -v[157:158]
	ds_read_b128 v[119:122], v180 offset:1120
	v_fma_f64 v[153:154], v[6:7], v[159:160], v[153:154]
	v_add_f64 v[131:132], v[131:132], v[165:166]
	v_add_f64 v[123:124], v[123:124], v[149:150]
	s_clause 0x2
	buffer_load_dword v170, off, s[0:3], 0 offset:492
	buffer_load_dword v150, off, s[0:3], 0 offset:468
	;; [unrolled: 1-line block ×3, first 2 shown]
	ds_read_b128 v[4:7], v180 offset:1136
	s_waitcnt vmcnt(58) lgkmcnt(1)
	v_mul_f64 v[165:166], v[121:122], v[175:176]
	s_waitcnt vmcnt(56)
	v_fma_f64 v[173:174], v[0:1], v[177:178], -v[172:173]
	v_mul_f64 v[159:160], v[119:120], v[175:176]
	v_add_f64 v[131:132], v[131:132], v[157:158]
	v_fma_f64 v[157:158], v[2:3], v[177:178], v[202:203]
	v_add_f64 v[123:124], v[123:124], v[153:154]
	s_clause 0x4
	buffer_load_dword v154, off, s[0:3], 0 offset:508
	buffer_load_dword v175, off, s[0:3], 0 offset:520
	;; [unrolled: 1-line block ×5, first 2 shown]
	s_waitcnt vmcnt(57) lgkmcnt(0)
	v_mul_f64 v[178:179], v[4:5], v[187:188]
	v_mul_f64 v[187:188], v[6:7], v[187:188]
	s_waitcnt vmcnt(56)
	v_fma_f64 v[165:166], v[119:120], v[167:168], -v[165:166]
	ds_read_b128 v[0:3], v180 offset:1152
	v_fma_f64 v[159:160], v[121:122], v[167:168], v[159:160]
	v_add_f64 v[131:132], v[131:132], v[173:174]
	v_add_f64 v[123:124], v[123:124], v[157:158]
	s_clause 0x2
	buffer_load_dword v176, off, s[0:3], 0 offset:524
	buffer_load_dword v158, off, s[0:3], 0 offset:500
	;; [unrolled: 1-line block ×3, first 2 shown]
	ds_read_b128 v[119:122], v180 offset:1168
	s_waitcnt vmcnt(58) lgkmcnt(1)
	v_mul_f64 v[173:174], v[2:3], v[189:190]
	v_mul_f64 v[167:168], v[0:1], v[189:190]
	s_waitcnt vmcnt(56)
	v_fma_f64 v[187:188], v[4:5], v[127:128], -v[187:188]
	v_fma_f64 v[127:128], v[6:7], v[127:128], v[178:179]
	v_add_f64 v[131:132], v[131:132], v[165:166]
	v_add_f64 v[123:124], v[123:124], v[159:160]
	s_clause 0x4
	buffer_load_dword v160, off, s[0:3], 0 offset:540
	buffer_load_dword v165, off, s[0:3], 0 offset:552
	;; [unrolled: 1-line block ×5, first 2 shown]
	ds_read_b128 v[4:7], v180 offset:1184
	s_waitcnt vmcnt(57) lgkmcnt(1)
	v_mul_f64 v[202:203], v[119:120], v[125:126]
	v_mul_f64 v[125:126], v[121:122], v[125:126]
	s_waitcnt vmcnt(56)
	v_fma_f64 v[173:174], v[0:1], v[191:192], -v[173:174]
	v_fma_f64 v[167:168], v[2:3], v[191:192], v[167:168]
	v_add_f64 v[131:132], v[131:132], v[187:188]
	v_add_f64 v[123:124], v[123:124], v[127:128]
	s_clause 0x2
	buffer_load_dword v166, off, s[0:3], 0 offset:556
	buffer_load_dword v128, off, s[0:3], 0 offset:532
	;; [unrolled: 1-line block ×3, first 2 shown]
	s_waitcnt vmcnt(58) lgkmcnt(0)
	v_mul_f64 v[191:192], v[6:7], v[193:194]
	ds_read_b128 v[0:3], v180 offset:1200
	v_mul_f64 v[187:188], v[4:5], v[193:194]
	s_waitcnt vmcnt(56)
	v_fma_f64 v[125:126], v[119:120], v[183:184], -v[125:126]
	v_add_f64 v[131:132], v[131:132], v[173:174]
	v_fma_f64 v[173:174], v[121:122], v[183:184], v[202:203]
	v_add_f64 v[123:124], v[123:124], v[167:168]
	s_clause 0x4
	buffer_load_dword v168, off, s[0:3], 0 offset:572
	buffer_load_dword v183, off, s[0:3], 0 offset:584
	buffer_load_dword v193, off, s[0:3], 0 offset:576
	buffer_load_dword v167, off, s[0:3], 0 offset:568
	buffer_load_dword v190, off, s[0:3], 0 offset:548
	ds_read_b128 v[119:122], v180 offset:1216
	s_waitcnt vmcnt(57) lgkmcnt(1)
	v_mul_f64 v[202:203], v[0:1], v[143:144]
	v_mul_f64 v[143:144], v[2:3], v[143:144]
	s_waitcnt vmcnt(56)
	v_fma_f64 v[191:192], v[4:5], v[198:199], -v[191:192]
	v_add_f64 v[125:126], v[131:132], v[125:126]
	v_fma_f64 v[131:132], v[6:7], v[198:199], v[187:188]
	v_add_f64 v[123:124], v[123:124], v[173:174]
	s_clause 0x2
	buffer_load_dword v184, off, s[0:3], 0 offset:588
	buffer_load_dword v174, off, s[0:3], 0 offset:564
	;; [unrolled: 1-line block ×3, first 2 shown]
	ds_read_b128 v[4:7], v180 offset:1232
	s_waitcnt vmcnt(58) lgkmcnt(1)
	v_mul_f64 v[187:188], v[119:120], v[185:186]
	v_mul_f64 v[185:186], v[121:122], v[185:186]
	s_waitcnt vmcnt(56)
	v_fma_f64 v[143:144], v[0:1], v[137:138], -v[143:144]
	v_fma_f64 v[137:138], v[2:3], v[137:138], v[202:203]
	v_add_f64 v[125:126], v[125:126], v[191:192]
	v_add_f64 v[123:124], v[123:124], v[131:132]
	s_clause 0x4
	buffer_load_dword v132, off, s[0:3], 0 offset:604
	buffer_load_dword v191, off, s[0:3], 0 offset:616
	;; [unrolled: 1-line block ×5, first 2 shown]
	ds_read_b128 v[0:3], v180 offset:1248
	s_waitcnt vmcnt(57) lgkmcnt(1)
	v_mul_f64 v[198:199], v[4:5], v[129:130]
	v_mul_f64 v[129:130], v[6:7], v[129:130]
	s_waitcnt vmcnt(56)
	v_fma_f64 v[185:186], v[119:120], v[200:201], -v[185:186]
	v_add_f64 v[125:126], v[125:126], v[143:144]
	v_fma_f64 v[143:144], v[121:122], v[200:201], v[187:188]
	v_add_f64 v[123:124], v[123:124], v[137:138]
	s_clause 0x2
	buffer_load_dword v192, off, s[0:3], 0 offset:620
	buffer_load_dword v138, off, s[0:3], 0 offset:596
	;; [unrolled: 1-line block ×3, first 2 shown]
	ds_read_b128 v[119:122], v180 offset:1264
	s_waitcnt vmcnt(58) lgkmcnt(1)
	v_mul_f64 v[187:188], v[0:1], v[147:148]
	v_mul_f64 v[147:148], v[2:3], v[147:148]
	s_waitcnt vmcnt(56)
	v_fma_f64 v[129:130], v[4:5], v[135:136], -v[129:130]
	v_fma_f64 v[135:136], v[6:7], v[135:136], v[198:199]
	v_add_f64 v[125:126], v[125:126], v[185:186]
	v_add_f64 v[123:124], v[123:124], v[143:144]
	s_clause 0x4
	buffer_load_dword v144, off, s[0:3], 0 offset:636
	buffer_load_dword v185, off, s[0:3], 0 offset:648
	;; [unrolled: 1-line block ×5, first 2 shown]
	ds_read_b128 v[4:7], v180 offset:1280
	s_waitcnt vmcnt(57) lgkmcnt(1)
	v_mul_f64 v[200:201], v[119:120], v[133:134]
	v_mul_f64 v[133:134], v[121:122], v[133:134]
	s_waitcnt vmcnt(56)
	v_fma_f64 v[147:148], v[0:1], v[195:196], -v[147:148]
	v_add_f64 v[125:126], v[125:126], v[129:130]
	v_fma_f64 v[129:130], v[2:3], v[195:196], v[187:188]
	v_add_f64 v[123:124], v[123:124], v[135:136]
	s_clause 0x2
	buffer_load_dword v186, off, s[0:3], 0 offset:652
	buffer_load_dword v136, off, s[0:3], 0 offset:628
	;; [unrolled: 1-line block ×3, first 2 shown]
	s_waitcnt vmcnt(58) lgkmcnt(0)
	v_mul_f64 v[187:188], v[4:5], v[155:156]
	v_mul_f64 v[155:156], v[6:7], v[155:156]
	ds_read_b128 v[0:3], v180 offset:1296
	s_waitcnt vmcnt(56)
	v_fma_f64 v[133:134], v[119:120], v[141:142], -v[133:134]
	v_fma_f64 v[141:142], v[121:122], v[141:142], v[200:201]
	v_add_f64 v[125:126], v[125:126], v[147:148]
	v_add_f64 v[123:124], v[123:124], v[129:130]
	s_clause 0x4
	buffer_load_dword v130, off, s[0:3], 0 offset:668
	buffer_load_dword v147, off, s[0:3], 0 offset:680
	;; [unrolled: 1-line block ×5, first 2 shown]
	ds_read_b128 v[119:122], v180 offset:1312
	s_waitcnt vmcnt(57) lgkmcnt(1)
	v_mul_f64 v[201:202], v[0:1], v[139:140]
	v_mul_f64 v[139:140], v[2:3], v[139:140]
	s_waitcnt vmcnt(56)
	v_fma_f64 v[155:156], v[4:5], v[181:182], -v[155:156]
	v_add_f64 v[125:126], v[125:126], v[133:134]
	v_fma_f64 v[133:134], v[6:7], v[181:182], v[187:188]
	v_add_f64 v[123:124], v[123:124], v[141:142]
	s_clause 0x2
	buffer_load_dword v148, off, s[0:3], 0 offset:684
	buffer_load_dword v142, off, s[0:3], 0 offset:660
	;; [unrolled: 1-line block ×3, first 2 shown]
	s_waitcnt vmcnt(58) lgkmcnt(0)
	v_mul_f64 v[181:182], v[119:120], v[161:162]
	v_mul_f64 v[161:162], v[121:122], v[161:162]
	ds_read_b128 v[4:7], v180 offset:1328
	s_waitcnt vmcnt(56)
	v_fma_f64 v[139:140], v[0:1], v[151:152], -v[139:140]
	v_fma_f64 v[151:152], v[2:3], v[151:152], v[201:202]
	v_add_f64 v[125:126], v[125:126], v[155:156]
	v_add_f64 v[123:124], v[123:124], v[133:134]
	s_clause 0x4
	buffer_load_dword v134, off, s[0:3], 0 offset:700
	buffer_load_dword v155, off, s[0:3], 0 offset:712
	buffer_load_dword v187, off, s[0:3], 0 offset:704
	buffer_load_dword v133, off, s[0:3], 0 offset:696
	buffer_load_dword v196, off, s[0:3], 0 offset:676
	ds_read_b128 v[0:3], v180 offset:1344
	s_waitcnt vmcnt(57) lgkmcnt(1)
	v_mul_f64 v[201:202], v[4:5], v[145:146]
	v_mul_f64 v[145:146], v[6:7], v[145:146]
	s_waitcnt vmcnt(56)
	v_fma_f64 v[161:162], v[119:120], v[163:164], -v[161:162]
	v_add_f64 v[125:126], v[125:126], v[139:140]
	v_fma_f64 v[139:140], v[121:122], v[163:164], v[181:182]
	v_add_f64 v[123:124], v[123:124], v[151:152]
	s_clause 0x2
	buffer_load_dword v156, off, s[0:3], 0 offset:716
	buffer_load_dword v152, off, s[0:3], 0 offset:692
	buffer_load_dword v151, off, s[0:3], 0 offset:688
	ds_read_b128 v[119:122], v180 offset:1360
	s_waitcnt vmcnt(58) lgkmcnt(1)
	v_mul_f64 v[163:164], v[0:1], v[169:170]
	v_mul_f64 v[169:170], v[2:3], v[169:170]
	s_waitcnt vmcnt(56)
	v_fma_f64 v[145:146], v[4:5], v[149:150], -v[145:146]
	v_fma_f64 v[149:150], v[6:7], v[149:150], v[201:202]
	v_add_f64 v[125:126], v[125:126], v[161:162]
	v_add_f64 v[123:124], v[123:124], v[139:140]
	s_clause 0x4
	buffer_load_dword v140, off, s[0:3], 0 offset:732
	buffer_load_dword v161, off, s[0:3], 0 offset:744
	buffer_load_dword v181, off, s[0:3], 0 offset:736
	buffer_load_dword v139, off, s[0:3], 0 offset:728
	buffer_load_dword v188, off, s[0:3], 0 offset:708
	ds_read_b128 v[4:7], v180 offset:1376
	s_waitcnt vmcnt(57) lgkmcnt(1)
	v_mul_f64 v[201:202], v[119:120], v[153:154]
	v_mul_f64 v[153:154], v[121:122], v[153:154]
	s_waitcnt vmcnt(56)
	v_fma_f64 v[169:170], v[0:1], v[171:172], -v[169:170]
	v_add_f64 v[125:126], v[125:126], v[145:146]
	v_fma_f64 v[145:146], v[2:3], v[171:172], v[163:164]
	v_add_f64 v[123:124], v[123:124], v[149:150]
	s_clause 0x2
	buffer_load_dword v162, off, s[0:3], 0 offset:748
	buffer_load_dword v150, off, s[0:3], 0 offset:724
	buffer_load_dword v149, off, s[0:3], 0 offset:720
	ds_read_b128 v[0:3], v180 offset:1392
	s_waitcnt vmcnt(58) lgkmcnt(1)
	v_mul_f64 v[171:172], v[6:7], v[175:176]
	v_mul_f64 v[163:164], v[4:5], v[175:176]
	s_waitcnt vmcnt(56)
	v_fma_f64 v[153:154], v[119:120], v[157:158], -v[153:154]
	v_fma_f64 v[157:158], v[121:122], v[157:158], v[201:202]
	v_add_f64 v[125:126], v[125:126], v[169:170]
	v_add_f64 v[123:124], v[123:124], v[145:146]
	s_clause 0x4
	buffer_load_dword v146, off, s[0:3], 0 offset:764
	buffer_load_dword v169, off, s[0:3], 0 offset:776
	buffer_load_dword v175, off, s[0:3], 0 offset:768
	buffer_load_dword v145, off, s[0:3], 0 offset:760
	buffer_load_dword v182, off, s[0:3], 0 offset:740
	ds_read_b128 v[119:122], v180 offset:1408
	s_waitcnt vmcnt(57) lgkmcnt(1)
	v_mul_f64 v[201:202], v[0:1], v[159:160]
	v_mul_f64 v[159:160], v[2:3], v[159:160]
	s_waitcnt vmcnt(56)
	v_fma_f64 v[171:172], v[4:5], v[177:178], -v[171:172]
	v_add_f64 v[125:126], v[125:126], v[153:154]
	v_fma_f64 v[153:154], v[6:7], v[177:178], v[163:164]
	v_add_f64 v[123:124], v[123:124], v[157:158]
	s_clause 0x2
	buffer_load_dword v170, off, s[0:3], 0 offset:780
	buffer_load_dword v158, off, s[0:3], 0 offset:756
	buffer_load_dword v157, off, s[0:3], 0 offset:752
	ds_read_b128 v[4:7], v180 offset:1424
	s_waitcnt vmcnt(58) lgkmcnt(1)
	v_mul_f64 v[163:164], v[119:120], v[165:166]
	v_mul_f64 v[165:166], v[121:122], v[165:166]
	s_waitcnt vmcnt(56)
	v_fma_f64 v[159:160], v[0:1], v[127:128], -v[159:160]
	v_fma_f64 v[127:128], v[2:3], v[127:128], v[201:202]
	v_add_f64 v[125:126], v[125:126], v[171:172]
	v_add_f64 v[123:124], v[123:124], v[153:154]
	s_clause 0x4
	buffer_load_dword v154, off, s[0:3], 0 offset:796
	buffer_load_dword v171, off, s[0:3], 0 offset:808
	buffer_load_dword v177, off, s[0:3], 0 offset:800
	buffer_load_dword v153, off, s[0:3], 0 offset:792
	buffer_load_dword v176, off, s[0:3], 0 offset:772
	ds_read_b128 v[0:3], v180 offset:1440
	s_waitcnt vmcnt(57) lgkmcnt(1)
	v_mul_f64 v[178:179], v[4:5], v[167:168]
	v_mul_f64 v[167:168], v[6:7], v[167:168]
	s_waitcnt vmcnt(56)
	v_fma_f64 v[165:166], v[119:120], v[189:190], -v[165:166]
	v_add_f64 v[125:126], v[125:126], v[159:160]
	v_fma_f64 v[159:160], v[121:122], v[189:190], v[163:164]
	v_add_f64 v[123:124], v[123:124], v[127:128]
	s_clause 0x2
	buffer_load_dword v172, off, s[0:3], 0 offset:812
	buffer_load_dword v128, off, s[0:3], 0 offset:788
	buffer_load_dword v127, off, s[0:3], 0 offset:784
	ds_read_b128 v[119:122], v180 offset:1456
	s_waitcnt vmcnt(58) lgkmcnt(1)
	v_mul_f64 v[163:164], v[0:1], v[183:184]
	v_mul_f64 v[183:184], v[2:3], v[183:184]
	s_waitcnt vmcnt(56)
	v_fma_f64 v[167:168], v[4:5], v[173:174], -v[167:168]
	v_add_f64 v[125:126], v[125:126], v[165:166]
	v_fma_f64 v[165:166], v[6:7], v[173:174], v[178:179]
	v_add_f64 v[123:124], v[123:124], v[159:160]
	s_clause 0x4
	buffer_load_dword v160, off, s[0:3], 0 offset:828
	buffer_load_dword v173, off, s[0:3], 0 offset:840
	;; [unrolled: 1-line block ×5, first 2 shown]
	ds_read_b128 v[4:7], v180 offset:1472
	s_waitcnt vmcnt(57) lgkmcnt(1)
	v_mul_f64 v[201:202], v[119:120], v[131:132]
	v_mul_f64 v[131:132], v[121:122], v[131:132]
	s_waitcnt vmcnt(56)
	v_fma_f64 v[183:184], v[0:1], v[193:194], -v[183:184]
	v_fma_f64 v[163:164], v[2:3], v[193:194], v[163:164]
	v_add_f64 v[125:126], v[125:126], v[167:168]
	v_add_f64 v[123:124], v[123:124], v[165:166]
	s_clause 0x2
	buffer_load_dword v174, off, s[0:3], 0 offset:844
	buffer_load_dword v166, off, s[0:3], 0 offset:820
	;; [unrolled: 1-line block ×3, first 2 shown]
	ds_read_b128 v[0:3], v180 offset:1488
	s_waitcnt vmcnt(58) lgkmcnt(1)
	v_mul_f64 v[167:168], v[4:5], v[191:192]
	v_mul_f64 v[191:192], v[6:7], v[191:192]
	s_waitcnt vmcnt(56)
	v_fma_f64 v[131:132], v[119:120], v[137:138], -v[131:132]
	v_fma_f64 v[137:138], v[121:122], v[137:138], v[201:202]
	v_add_f64 v[125:126], v[125:126], v[183:184]
	v_add_f64 v[123:124], v[123:124], v[163:164]
	s_clause 0x4
	buffer_load_dword v164, off, s[0:3], 0 offset:860
	buffer_load_dword v183, off, s[0:3], 0 offset:872
	;; [unrolled: 1-line block ×5, first 2 shown]
	ds_read_b128 v[119:122], v180 offset:1504
	s_waitcnt vmcnt(57) lgkmcnt(1)
	v_mul_f64 v[201:202], v[0:1], v[143:144]
	v_mul_f64 v[143:144], v[2:3], v[143:144]
	s_waitcnt vmcnt(56)
	v_fma_f64 v[191:192], v[4:5], v[197:198], -v[191:192]
	v_add_f64 v[125:126], v[125:126], v[131:132]
	v_fma_f64 v[131:132], v[6:7], v[197:198], v[167:168]
	v_add_f64 v[123:124], v[123:124], v[137:138]
	s_clause 0x2
	buffer_load_dword v184, off, s[0:3], 0 offset:876
	buffer_load_dword v138, off, s[0:3], 0 offset:852
	;; [unrolled: 1-line block ×3, first 2 shown]
	ds_read_b128 v[4:7], v180 offset:1520
	s_waitcnt vmcnt(58) lgkmcnt(1)
	v_mul_f64 v[167:168], v[119:120], v[185:186]
	v_mul_f64 v[185:186], v[121:122], v[185:186]
	s_waitcnt vmcnt(56)
	v_fma_f64 v[143:144], v[0:1], v[135:136], -v[143:144]
	v_fma_f64 v[135:136], v[2:3], v[135:136], v[201:202]
	v_add_f64 v[125:126], v[125:126], v[191:192]
	v_add_f64 v[123:124], v[123:124], v[131:132]
	s_clause 0x2
	buffer_load_dword v132, off, s[0:3], 0 offset:892
	buffer_load_dword v131, off, s[0:3], 0 offset:888
	;; [unrolled: 1-line block ×3, first 2 shown]
	ds_read_b128 v[0:3], v180 offset:1536
	s_waitcnt vmcnt(55) lgkmcnt(1)
	v_mul_f64 v[191:192], v[4:5], v[129:130]
	v_mul_f64 v[129:130], v[6:7], v[129:130]
	s_waitcnt vmcnt(54)
	v_fma_f64 v[185:186], v[119:120], v[199:200], -v[185:186]
	v_add_f64 v[125:126], v[125:126], v[143:144]
	v_fma_f64 v[143:144], v[121:122], v[199:200], v[167:168]
	v_add_f64 v[123:124], v[123:124], v[135:136]
	s_clause 0x1
	buffer_load_dword v136, off, s[0:3], 0 offset:884
	buffer_load_dword v135, off, s[0:3], 0 offset:880
	ds_read_b128 v[119:122], v180 offset:1552
	s_waitcnt vmcnt(55) lgkmcnt(1)
	v_mul_f64 v[167:168], v[0:1], v[147:148]
	v_mul_f64 v[147:148], v[2:3], v[147:148]
	s_waitcnt vmcnt(53)
	v_fma_f64 v[129:130], v[4:5], v[141:142], -v[129:130]
	v_fma_f64 v[141:142], v[6:7], v[141:142], v[191:192]
	ds_read_b128 v[4:7], v180 offset:1568
	v_add_f64 v[125:126], v[125:126], v[185:186]
	v_add_f64 v[123:124], v[123:124], v[143:144]
	s_waitcnt vmcnt(49) lgkmcnt(1)
	v_mul_f64 v[143:144], v[119:120], v[133:134]
	v_mul_f64 v[133:134], v[121:122], v[133:134]
	s_waitcnt vmcnt(48)
	v_fma_f64 v[147:148], v[0:1], v[195:196], -v[147:148]
	v_add_f64 v[125:126], v[125:126], v[129:130]
	v_fma_f64 v[129:130], v[2:3], v[195:196], v[167:168]
	v_add_f64 v[123:124], v[123:124], v[141:142]
	s_clause 0x3
	buffer_load_dword v141, off, s[0:3], 0 offset:16
	buffer_load_dword v142, off, s[0:3], 0 offset:20
	;; [unrolled: 1-line block ×4, first 2 shown]
	ds_read_b128 v[0:3], v180 offset:1584
	s_waitcnt vmcnt(51) lgkmcnt(1)
	v_mul_f64 v[185:186], v[4:5], v[155:156]
	v_mul_f64 v[155:156], v[6:7], v[155:156]
	s_waitcnt vmcnt(49)
	v_fma_f64 v[133:134], v[119:120], v[151:152], -v[133:134]
	v_fma_f64 v[143:144], v[121:122], v[151:152], v[143:144]
	ds_read_b128 v[119:122], v180 offset:1600
	v_add_f64 v[125:126], v[125:126], v[147:148]
	v_add_f64 v[123:124], v[123:124], v[129:130]
	s_waitcnt vmcnt(45) lgkmcnt(1)
	v_mul_f64 v[129:130], v[0:1], v[139:140]
	v_mul_f64 v[139:140], v[2:3], v[139:140]
	s_waitcnt vmcnt(44)
	v_fma_f64 v[147:148], v[4:5], v[187:188], -v[155:156]
	v_add_f64 v[125:126], v[125:126], v[133:134]
	v_fma_f64 v[133:134], v[6:7], v[187:188], v[185:186]
	v_add_f64 v[123:124], v[123:124], v[143:144]
	ds_read_b128 v[4:7], v180 offset:1616
	s_waitcnt vmcnt(43) lgkmcnt(1)
	v_mul_f64 v[151:152], v[121:122], v[161:162]
	v_mul_f64 v[143:144], v[119:120], v[161:162]
	s_waitcnt vmcnt(41)
	v_fma_f64 v[139:140], v[0:1], v[149:150], -v[139:140]
	v_fma_f64 v[129:130], v[2:3], v[149:150], v[129:130]
	ds_read_b128 v[0:3], v180 offset:1632
	v_add_f64 v[125:126], v[125:126], v[147:148]
	v_add_f64 v[123:124], v[123:124], v[133:134]
	s_waitcnt vmcnt(37) lgkmcnt(1)
	v_mul_f64 v[133:134], v[4:5], v[145:146]
	v_mul_f64 v[145:146], v[6:7], v[145:146]
	s_waitcnt vmcnt(36)
	v_fma_f64 v[147:148], v[119:120], v[181:182], -v[151:152]
	v_add_f64 v[125:126], v[125:126], v[139:140]
	v_fma_f64 v[139:140], v[121:122], v[181:182], v[143:144]
	v_add_f64 v[123:124], v[123:124], v[129:130]
	ds_read_b128 v[119:122], v180 offset:1648
	s_waitcnt vmcnt(35) lgkmcnt(1)
	v_mul_f64 v[143:144], v[2:3], v[169:170]
	v_mul_f64 v[129:130], v[0:1], v[169:170]
	s_waitcnt vmcnt(33)
	v_fma_f64 v[145:146], v[4:5], v[157:158], -v[145:146]
	v_fma_f64 v[133:134], v[6:7], v[157:158], v[133:134]
	ds_read_b128 v[4:7], v180 offset:1664
	v_add_f64 v[125:126], v[125:126], v[147:148]
	v_add_f64 v[123:124], v[123:124], v[139:140]
	s_waitcnt vmcnt(29) lgkmcnt(1)
	v_mul_f64 v[147:148], v[121:122], v[153:154]
	s_waitcnt vmcnt(28)
	v_fma_f64 v[143:144], v[0:1], v[175:176], -v[143:144]
	v_mul_f64 v[139:140], v[119:120], v[153:154]
	v_fma_f64 v[129:130], v[2:3], v[175:176], v[129:130]
	ds_read_b128 v[0:3], v180 offset:1680
	v_add_f64 v[125:126], v[125:126], v[145:146]
	v_add_f64 v[123:124], v[123:124], v[133:134]
	s_waitcnt vmcnt(27) lgkmcnt(1)
	v_mul_f64 v[145:146], v[6:7], v[171:172]
	v_mul_f64 v[133:134], v[4:5], v[171:172]
	s_waitcnt vmcnt(25)
	v_fma_f64 v[147:148], v[119:120], v[127:128], -v[147:148]
	v_fma_f64 v[127:128], v[121:122], v[127:128], v[139:140]
	ds_read_b128 v[119:122], v180 offset:1696
	v_add_f64 v[125:126], v[125:126], v[143:144]
	v_add_f64 v[123:124], v[123:124], v[129:130]
	s_waitcnt vmcnt(21) lgkmcnt(1)
	v_mul_f64 v[139:140], v[2:3], v[159:160]
	s_waitcnt vmcnt(20)
	v_fma_f64 v[143:144], v[4:5], v[177:178], -v[145:146]
	v_mul_f64 v[129:130], v[0:1], v[159:160]
	v_fma_f64 v[133:134], v[6:7], v[177:178], v[133:134]
	ds_read_b128 v[4:7], v180 offset:1712
	v_add_f64 v[125:126], v[125:126], v[147:148]
	v_add_f64 v[123:124], v[123:124], v[127:128]
	;; [unrolled: 18-line block ×3, first 2 shown]
	s_waitcnt vmcnt(11) lgkmcnt(1)
	v_mul_f64 v[139:140], v[2:3], v[183:184]
	v_mul_f64 v[129:130], v[0:1], v[183:184]
	s_waitcnt vmcnt(9)
	v_fma_f64 v[4:5], v[4:5], v[137:138], -v[143:144]
	v_fma_f64 v[6:7], v[6:7], v[137:138], v[133:134]
	v_add_f64 v[125:126], v[125:126], v[145:146]
	v_add_f64 v[123:124], v[123:124], v[127:128]
	s_waitcnt vmcnt(7) lgkmcnt(0)
	v_mul_f64 v[127:128], v[119:120], v[131:132]
	v_mul_f64 v[131:132], v[121:122], v[131:132]
	s_waitcnt vmcnt(6)
	v_fma_f64 v[0:1], v[0:1], v[193:194], -v[139:140]
	v_fma_f64 v[2:3], v[2:3], v[193:194], v[129:130]
	v_add_f64 v[4:5], v[125:126], v[4:5]
	v_add_f64 v[6:7], v[123:124], v[6:7]
	s_waitcnt vmcnt(4)
	v_fma_f64 v[119:120], v[119:120], v[135:136], -v[131:132]
	v_add_f64 v[0:1], v[4:5], v[0:1]
	v_fma_f64 v[4:5], v[121:122], v[135:136], v[127:128]
	v_add_f64 v[2:3], v[6:7], v[2:3]
	v_add_f64 v[0:1], v[0:1], v[119:120]
	;; [unrolled: 1-line block ×3, first 2 shown]
	s_waitcnt vmcnt(2)
	v_add_f64 v[0:1], v[141:142], -v[0:1]
	s_waitcnt vmcnt(0)
	v_add_f64 v[2:3], v[167:168], -v[2:3]
	buffer_store_dword v1, off, s[0:3], 0 offset:20
	buffer_store_dword v0, off, s[0:3], 0 offset:16
	;; [unrolled: 1-line block ×4, first 2 shown]
	s_cbranch_vccz .LBB118_452
; %bb.344:
	v_mov_b32_e32 v0, 0
	global_load_dword v1, v0, s[12:13] offset:212
	s_waitcnt vmcnt(0)
	v_add_nc_u32_e32 v1, -1, v1
	v_cmp_ne_u32_e32 vcc_lo, 53, v1
	s_cbranch_vccz .LBB118_346
; %bb.345:
	v_lshlrev_b32_e32 v1, 4, v1
	v_mov_b32_e32 v2, s9
	v_add_nc_u32_e32 v1, 16, v1
	s_clause 0x7
	buffer_load_dword v3, v1, s[0:3], 0 offen
	buffer_load_dword v4, v1, s[0:3], 0 offen offset:4
	buffer_load_dword v5, v1, s[0:3], 0 offen offset:8
	;; [unrolled: 1-line block ×6, first 2 shown]
	buffer_load_dword v120, v2, s[0:3], 0 offen
	s_waitcnt vmcnt(7)
	buffer_store_dword v3, v2, s[0:3], 0 offen
	s_waitcnt vmcnt(6)
	buffer_store_dword v4, v2, s[0:3], 0 offen offset:4
	s_waitcnt vmcnt(5)
	buffer_store_dword v5, v2, s[0:3], 0 offen offset:8
	;; [unrolled: 2-line block ×6, first 2 shown]
	s_waitcnt vmcnt(0)
	buffer_store_dword v120, v1, s[0:3], 0 offen
.LBB118_346:
	global_load_dword v0, v0, s[12:13] offset:208
	s_waitcnt vmcnt(0)
	v_add_nc_u32_e32 v0, -1, v0
	v_cmp_eq_u32_e32 vcc_lo, 52, v0
	s_cbranch_vccnz .LBB118_348
; %bb.347:
	v_lshlrev_b32_e32 v0, 4, v0
	v_mov_b32_e32 v1, s14
	v_add_nc_u32_e32 v0, 16, v0
	s_clause 0x7
	buffer_load_dword v2, v0, s[0:3], 0 offen
	buffer_load_dword v3, v0, s[0:3], 0 offen offset:4
	buffer_load_dword v4, v0, s[0:3], 0 offen offset:8
	;; [unrolled: 1-line block ×6, first 2 shown]
	buffer_load_dword v119, v1, s[0:3], 0 offen
	s_waitcnt vmcnt(7)
	buffer_store_dword v2, v1, s[0:3], 0 offen
	s_waitcnt vmcnt(6)
	buffer_store_dword v3, v1, s[0:3], 0 offen offset:4
	s_waitcnt vmcnt(5)
	buffer_store_dword v4, v1, s[0:3], 0 offen offset:8
	;; [unrolled: 2-line block ×6, first 2 shown]
	s_waitcnt vmcnt(0)
	buffer_store_dword v119, v0, s[0:3], 0 offen
.LBB118_348:
	v_mov_b32_e32 v0, 0
	global_load_dword v1, v0, s[12:13] offset:204
	s_waitcnt vmcnt(0)
	v_add_nc_u32_e32 v1, -1, v1
	v_cmp_eq_u32_e32 vcc_lo, 51, v1
	s_cbranch_vccnz .LBB118_350
; %bb.349:
	v_lshlrev_b32_e32 v1, 4, v1
	v_mov_b32_e32 v2, s15
	v_add_nc_u32_e32 v1, 16, v1
	s_clause 0x7
	buffer_load_dword v3, v1, s[0:3], 0 offen
	buffer_load_dword v4, v1, s[0:3], 0 offen offset:4
	buffer_load_dword v5, v1, s[0:3], 0 offen offset:8
	;; [unrolled: 1-line block ×6, first 2 shown]
	buffer_load_dword v120, v2, s[0:3], 0 offen
	s_waitcnt vmcnt(7)
	buffer_store_dword v3, v2, s[0:3], 0 offen
	s_waitcnt vmcnt(6)
	buffer_store_dword v4, v2, s[0:3], 0 offen offset:4
	s_waitcnt vmcnt(5)
	buffer_store_dword v5, v2, s[0:3], 0 offen offset:8
	;; [unrolled: 2-line block ×6, first 2 shown]
	s_waitcnt vmcnt(0)
	buffer_store_dword v120, v1, s[0:3], 0 offen
.LBB118_350:
	global_load_dword v0, v0, s[12:13] offset:200
	s_waitcnt vmcnt(0)
	v_add_nc_u32_e32 v0, -1, v0
	v_cmp_eq_u32_e32 vcc_lo, 50, v0
	s_cbranch_vccnz .LBB118_352
; %bb.351:
	v_lshlrev_b32_e32 v0, 4, v0
	v_mov_b32_e32 v1, s16
	v_add_nc_u32_e32 v0, 16, v0
	s_clause 0x7
	buffer_load_dword v2, v0, s[0:3], 0 offen
	buffer_load_dword v3, v0, s[0:3], 0 offen offset:4
	buffer_load_dword v4, v0, s[0:3], 0 offen offset:8
	;; [unrolled: 1-line block ×6, first 2 shown]
	buffer_load_dword v119, v1, s[0:3], 0 offen
	s_waitcnt vmcnt(7)
	buffer_store_dword v2, v1, s[0:3], 0 offen
	s_waitcnt vmcnt(6)
	buffer_store_dword v3, v1, s[0:3], 0 offen offset:4
	s_waitcnt vmcnt(5)
	buffer_store_dword v4, v1, s[0:3], 0 offen offset:8
	;; [unrolled: 2-line block ×6, first 2 shown]
	s_waitcnt vmcnt(0)
	buffer_store_dword v119, v0, s[0:3], 0 offen
.LBB118_352:
	v_mov_b32_e32 v0, 0
	global_load_dword v1, v0, s[12:13] offset:196
	s_waitcnt vmcnt(0)
	v_add_nc_u32_e32 v1, -1, v1
	v_cmp_eq_u32_e32 vcc_lo, 49, v1
	s_cbranch_vccnz .LBB118_354
; %bb.353:
	v_lshlrev_b32_e32 v1, 4, v1
	v_mov_b32_e32 v2, s17
	v_add_nc_u32_e32 v1, 16, v1
	s_clause 0x7
	buffer_load_dword v3, v1, s[0:3], 0 offen
	buffer_load_dword v4, v1, s[0:3], 0 offen offset:4
	buffer_load_dword v5, v1, s[0:3], 0 offen offset:8
	;; [unrolled: 1-line block ×6, first 2 shown]
	buffer_load_dword v120, v2, s[0:3], 0 offen
	s_waitcnt vmcnt(7)
	buffer_store_dword v3, v2, s[0:3], 0 offen
	s_waitcnt vmcnt(6)
	buffer_store_dword v4, v2, s[0:3], 0 offen offset:4
	s_waitcnt vmcnt(5)
	buffer_store_dword v5, v2, s[0:3], 0 offen offset:8
	;; [unrolled: 2-line block ×6, first 2 shown]
	s_waitcnt vmcnt(0)
	buffer_store_dword v120, v1, s[0:3], 0 offen
.LBB118_354:
	global_load_dword v0, v0, s[12:13] offset:192
	s_waitcnt vmcnt(0)
	v_add_nc_u32_e32 v0, -1, v0
	v_cmp_eq_u32_e32 vcc_lo, 48, v0
	s_cbranch_vccnz .LBB118_356
; %bb.355:
	v_lshlrev_b32_e32 v0, 4, v0
	v_mov_b32_e32 v1, s18
	v_add_nc_u32_e32 v0, 16, v0
	s_clause 0x7
	buffer_load_dword v2, v0, s[0:3], 0 offen
	buffer_load_dword v3, v0, s[0:3], 0 offen offset:4
	buffer_load_dword v4, v0, s[0:3], 0 offen offset:8
	;; [unrolled: 1-line block ×6, first 2 shown]
	buffer_load_dword v119, v1, s[0:3], 0 offen
	s_waitcnt vmcnt(7)
	buffer_store_dword v2, v1, s[0:3], 0 offen
	s_waitcnt vmcnt(6)
	buffer_store_dword v3, v1, s[0:3], 0 offen offset:4
	s_waitcnt vmcnt(5)
	buffer_store_dword v4, v1, s[0:3], 0 offen offset:8
	;; [unrolled: 2-line block ×6, first 2 shown]
	s_waitcnt vmcnt(0)
	buffer_store_dword v119, v0, s[0:3], 0 offen
.LBB118_356:
	v_mov_b32_e32 v0, 0
	global_load_dword v1, v0, s[12:13] offset:188
	s_waitcnt vmcnt(0)
	v_add_nc_u32_e32 v1, -1, v1
	v_cmp_eq_u32_e32 vcc_lo, 47, v1
	s_cbranch_vccnz .LBB118_358
; %bb.357:
	v_lshlrev_b32_e32 v1, 4, v1
	v_mov_b32_e32 v2, s19
	v_add_nc_u32_e32 v1, 16, v1
	s_clause 0x7
	buffer_load_dword v3, v1, s[0:3], 0 offen
	buffer_load_dword v4, v1, s[0:3], 0 offen offset:4
	buffer_load_dword v5, v1, s[0:3], 0 offen offset:8
	;; [unrolled: 1-line block ×6, first 2 shown]
	buffer_load_dword v120, v2, s[0:3], 0 offen
	s_waitcnt vmcnt(7)
	buffer_store_dword v3, v2, s[0:3], 0 offen
	s_waitcnt vmcnt(6)
	buffer_store_dword v4, v2, s[0:3], 0 offen offset:4
	s_waitcnt vmcnt(5)
	buffer_store_dword v5, v2, s[0:3], 0 offen offset:8
	;; [unrolled: 2-line block ×6, first 2 shown]
	s_waitcnt vmcnt(0)
	buffer_store_dword v120, v1, s[0:3], 0 offen
.LBB118_358:
	global_load_dword v0, v0, s[12:13] offset:184
	s_waitcnt vmcnt(0)
	v_add_nc_u32_e32 v0, -1, v0
	v_cmp_eq_u32_e32 vcc_lo, 46, v0
	s_cbranch_vccnz .LBB118_360
; %bb.359:
	v_lshlrev_b32_e32 v0, 4, v0
	v_mov_b32_e32 v1, s20
	v_add_nc_u32_e32 v0, 16, v0
	s_clause 0x7
	buffer_load_dword v2, v0, s[0:3], 0 offen
	buffer_load_dword v3, v0, s[0:3], 0 offen offset:4
	buffer_load_dword v4, v0, s[0:3], 0 offen offset:8
	;; [unrolled: 1-line block ×6, first 2 shown]
	buffer_load_dword v119, v1, s[0:3], 0 offen
	s_waitcnt vmcnt(7)
	buffer_store_dword v2, v1, s[0:3], 0 offen
	s_waitcnt vmcnt(6)
	buffer_store_dword v3, v1, s[0:3], 0 offen offset:4
	s_waitcnt vmcnt(5)
	buffer_store_dword v4, v1, s[0:3], 0 offen offset:8
	;; [unrolled: 2-line block ×6, first 2 shown]
	s_waitcnt vmcnt(0)
	buffer_store_dword v119, v0, s[0:3], 0 offen
.LBB118_360:
	v_mov_b32_e32 v0, 0
	global_load_dword v1, v0, s[12:13] offset:180
	s_waitcnt vmcnt(0)
	v_add_nc_u32_e32 v1, -1, v1
	v_cmp_eq_u32_e32 vcc_lo, 45, v1
	s_cbranch_vccnz .LBB118_362
; %bb.361:
	v_lshlrev_b32_e32 v1, 4, v1
	v_mov_b32_e32 v2, s21
	v_add_nc_u32_e32 v1, 16, v1
	s_clause 0x7
	buffer_load_dword v3, v1, s[0:3], 0 offen
	buffer_load_dword v4, v1, s[0:3], 0 offen offset:4
	buffer_load_dword v5, v1, s[0:3], 0 offen offset:8
	;; [unrolled: 1-line block ×6, first 2 shown]
	buffer_load_dword v120, v2, s[0:3], 0 offen
	s_waitcnt vmcnt(7)
	buffer_store_dword v3, v2, s[0:3], 0 offen
	s_waitcnt vmcnt(6)
	buffer_store_dword v4, v2, s[0:3], 0 offen offset:4
	s_waitcnt vmcnt(5)
	buffer_store_dword v5, v2, s[0:3], 0 offen offset:8
	;; [unrolled: 2-line block ×6, first 2 shown]
	s_waitcnt vmcnt(0)
	buffer_store_dword v120, v1, s[0:3], 0 offen
.LBB118_362:
	global_load_dword v0, v0, s[12:13] offset:176
	s_waitcnt vmcnt(0)
	v_add_nc_u32_e32 v0, -1, v0
	v_cmp_eq_u32_e32 vcc_lo, 44, v0
	s_cbranch_vccnz .LBB118_364
; %bb.363:
	v_lshlrev_b32_e32 v0, 4, v0
	v_mov_b32_e32 v1, s22
	v_add_nc_u32_e32 v0, 16, v0
	s_clause 0x7
	buffer_load_dword v2, v0, s[0:3], 0 offen
	buffer_load_dword v3, v0, s[0:3], 0 offen offset:4
	buffer_load_dword v4, v0, s[0:3], 0 offen offset:8
	;; [unrolled: 1-line block ×6, first 2 shown]
	buffer_load_dword v119, v1, s[0:3], 0 offen
	s_waitcnt vmcnt(7)
	buffer_store_dword v2, v1, s[0:3], 0 offen
	s_waitcnt vmcnt(6)
	buffer_store_dword v3, v1, s[0:3], 0 offen offset:4
	s_waitcnt vmcnt(5)
	buffer_store_dword v4, v1, s[0:3], 0 offen offset:8
	;; [unrolled: 2-line block ×6, first 2 shown]
	s_waitcnt vmcnt(0)
	buffer_store_dword v119, v0, s[0:3], 0 offen
.LBB118_364:
	v_mov_b32_e32 v0, 0
	global_load_dword v1, v0, s[12:13] offset:172
	s_waitcnt vmcnt(0)
	v_add_nc_u32_e32 v1, -1, v1
	v_cmp_eq_u32_e32 vcc_lo, 43, v1
	s_cbranch_vccnz .LBB118_366
; %bb.365:
	v_lshlrev_b32_e32 v1, 4, v1
	v_mov_b32_e32 v2, s23
	v_add_nc_u32_e32 v1, 16, v1
	s_clause 0x7
	buffer_load_dword v3, v1, s[0:3], 0 offen
	buffer_load_dword v4, v1, s[0:3], 0 offen offset:4
	buffer_load_dword v5, v1, s[0:3], 0 offen offset:8
	;; [unrolled: 1-line block ×6, first 2 shown]
	buffer_load_dword v120, v2, s[0:3], 0 offen
	s_waitcnt vmcnt(7)
	buffer_store_dword v3, v2, s[0:3], 0 offen
	s_waitcnt vmcnt(6)
	buffer_store_dword v4, v2, s[0:3], 0 offen offset:4
	s_waitcnt vmcnt(5)
	buffer_store_dword v5, v2, s[0:3], 0 offen offset:8
	;; [unrolled: 2-line block ×6, first 2 shown]
	s_waitcnt vmcnt(0)
	buffer_store_dword v120, v1, s[0:3], 0 offen
.LBB118_366:
	global_load_dword v0, v0, s[12:13] offset:168
	s_waitcnt vmcnt(0)
	v_add_nc_u32_e32 v0, -1, v0
	v_cmp_eq_u32_e32 vcc_lo, 42, v0
	s_cbranch_vccnz .LBB118_368
; %bb.367:
	v_lshlrev_b32_e32 v0, 4, v0
	v_mov_b32_e32 v1, s24
	v_add_nc_u32_e32 v0, 16, v0
	s_clause 0x7
	buffer_load_dword v2, v0, s[0:3], 0 offen
	buffer_load_dword v3, v0, s[0:3], 0 offen offset:4
	buffer_load_dword v4, v0, s[0:3], 0 offen offset:8
	;; [unrolled: 1-line block ×6, first 2 shown]
	buffer_load_dword v119, v1, s[0:3], 0 offen
	s_waitcnt vmcnt(7)
	buffer_store_dword v2, v1, s[0:3], 0 offen
	s_waitcnt vmcnt(6)
	buffer_store_dword v3, v1, s[0:3], 0 offen offset:4
	s_waitcnt vmcnt(5)
	buffer_store_dword v4, v1, s[0:3], 0 offen offset:8
	;; [unrolled: 2-line block ×6, first 2 shown]
	s_waitcnt vmcnt(0)
	buffer_store_dword v119, v0, s[0:3], 0 offen
.LBB118_368:
	v_mov_b32_e32 v0, 0
	global_load_dword v1, v0, s[12:13] offset:164
	s_waitcnt vmcnt(0)
	v_add_nc_u32_e32 v1, -1, v1
	v_cmp_eq_u32_e32 vcc_lo, 41, v1
	s_cbranch_vccnz .LBB118_370
; %bb.369:
	v_lshlrev_b32_e32 v1, 4, v1
	v_mov_b32_e32 v2, s25
	v_add_nc_u32_e32 v1, 16, v1
	s_clause 0x7
	buffer_load_dword v3, v1, s[0:3], 0 offen
	buffer_load_dword v4, v1, s[0:3], 0 offen offset:4
	buffer_load_dword v5, v1, s[0:3], 0 offen offset:8
	;; [unrolled: 1-line block ×6, first 2 shown]
	buffer_load_dword v120, v2, s[0:3], 0 offen
	s_waitcnt vmcnt(7)
	buffer_store_dword v3, v2, s[0:3], 0 offen
	s_waitcnt vmcnt(6)
	buffer_store_dword v4, v2, s[0:3], 0 offen offset:4
	s_waitcnt vmcnt(5)
	buffer_store_dword v5, v2, s[0:3], 0 offen offset:8
	;; [unrolled: 2-line block ×6, first 2 shown]
	s_waitcnt vmcnt(0)
	buffer_store_dword v120, v1, s[0:3], 0 offen
.LBB118_370:
	global_load_dword v0, v0, s[12:13] offset:160
	s_waitcnt vmcnt(0)
	v_add_nc_u32_e32 v0, -1, v0
	v_cmp_eq_u32_e32 vcc_lo, 40, v0
	s_cbranch_vccnz .LBB118_372
; %bb.371:
	v_lshlrev_b32_e32 v0, 4, v0
	v_mov_b32_e32 v1, s26
	v_add_nc_u32_e32 v0, 16, v0
	s_clause 0x7
	buffer_load_dword v2, v0, s[0:3], 0 offen
	buffer_load_dword v3, v0, s[0:3], 0 offen offset:4
	buffer_load_dword v4, v0, s[0:3], 0 offen offset:8
	;; [unrolled: 1-line block ×6, first 2 shown]
	buffer_load_dword v119, v1, s[0:3], 0 offen
	s_waitcnt vmcnt(7)
	buffer_store_dword v2, v1, s[0:3], 0 offen
	s_waitcnt vmcnt(6)
	buffer_store_dword v3, v1, s[0:3], 0 offen offset:4
	s_waitcnt vmcnt(5)
	buffer_store_dword v4, v1, s[0:3], 0 offen offset:8
	;; [unrolled: 2-line block ×6, first 2 shown]
	s_waitcnt vmcnt(0)
	buffer_store_dword v119, v0, s[0:3], 0 offen
.LBB118_372:
	v_mov_b32_e32 v0, 0
	global_load_dword v1, v0, s[12:13] offset:156
	s_waitcnt vmcnt(0)
	v_add_nc_u32_e32 v1, -1, v1
	v_cmp_eq_u32_e32 vcc_lo, 39, v1
	s_cbranch_vccnz .LBB118_374
; %bb.373:
	v_lshlrev_b32_e32 v1, 4, v1
	v_mov_b32_e32 v2, s27
	v_add_nc_u32_e32 v1, 16, v1
	s_clause 0x7
	buffer_load_dword v3, v1, s[0:3], 0 offen
	buffer_load_dword v4, v1, s[0:3], 0 offen offset:4
	buffer_load_dword v5, v1, s[0:3], 0 offen offset:8
	;; [unrolled: 1-line block ×6, first 2 shown]
	buffer_load_dword v120, v2, s[0:3], 0 offen
	s_waitcnt vmcnt(7)
	buffer_store_dword v3, v2, s[0:3], 0 offen
	s_waitcnt vmcnt(6)
	buffer_store_dword v4, v2, s[0:3], 0 offen offset:4
	s_waitcnt vmcnt(5)
	buffer_store_dword v5, v2, s[0:3], 0 offen offset:8
	;; [unrolled: 2-line block ×6, first 2 shown]
	s_waitcnt vmcnt(0)
	buffer_store_dword v120, v1, s[0:3], 0 offen
.LBB118_374:
	global_load_dword v0, v0, s[12:13] offset:152
	s_waitcnt vmcnt(0)
	v_add_nc_u32_e32 v0, -1, v0
	v_cmp_eq_u32_e32 vcc_lo, 38, v0
	s_cbranch_vccnz .LBB118_376
; %bb.375:
	v_lshlrev_b32_e32 v0, 4, v0
	v_mov_b32_e32 v1, s28
	v_add_nc_u32_e32 v0, 16, v0
	s_clause 0x7
	buffer_load_dword v2, v0, s[0:3], 0 offen
	buffer_load_dword v3, v0, s[0:3], 0 offen offset:4
	buffer_load_dword v4, v0, s[0:3], 0 offen offset:8
	buffer_load_dword v5, v0, s[0:3], 0 offen offset:12
	buffer_load_dword v6, v1, s[0:3], 0 offen offset:12
	buffer_load_dword v7, v1, s[0:3], 0 offen offset:8
	buffer_load_dword v8, v1, s[0:3], 0 offen offset:4
	buffer_load_dword v119, v1, s[0:3], 0 offen
	s_waitcnt vmcnt(7)
	buffer_store_dword v2, v1, s[0:3], 0 offen
	s_waitcnt vmcnt(6)
	buffer_store_dword v3, v1, s[0:3], 0 offen offset:4
	s_waitcnt vmcnt(5)
	buffer_store_dword v4, v1, s[0:3], 0 offen offset:8
	;; [unrolled: 2-line block ×6, first 2 shown]
	s_waitcnt vmcnt(0)
	buffer_store_dword v119, v0, s[0:3], 0 offen
.LBB118_376:
	v_mov_b32_e32 v0, 0
	global_load_dword v1, v0, s[12:13] offset:148
	s_waitcnt vmcnt(0)
	v_add_nc_u32_e32 v1, -1, v1
	v_cmp_eq_u32_e32 vcc_lo, 37, v1
	s_cbranch_vccnz .LBB118_378
; %bb.377:
	v_lshlrev_b32_e32 v1, 4, v1
	v_mov_b32_e32 v2, s29
	v_add_nc_u32_e32 v1, 16, v1
	s_clause 0x7
	buffer_load_dword v3, v1, s[0:3], 0 offen
	buffer_load_dword v4, v1, s[0:3], 0 offen offset:4
	buffer_load_dword v5, v1, s[0:3], 0 offen offset:8
	;; [unrolled: 1-line block ×6, first 2 shown]
	buffer_load_dword v120, v2, s[0:3], 0 offen
	s_waitcnt vmcnt(7)
	buffer_store_dword v3, v2, s[0:3], 0 offen
	s_waitcnt vmcnt(6)
	buffer_store_dword v4, v2, s[0:3], 0 offen offset:4
	s_waitcnt vmcnt(5)
	buffer_store_dword v5, v2, s[0:3], 0 offen offset:8
	;; [unrolled: 2-line block ×6, first 2 shown]
	s_waitcnt vmcnt(0)
	buffer_store_dword v120, v1, s[0:3], 0 offen
.LBB118_378:
	global_load_dword v0, v0, s[12:13] offset:144
	s_waitcnt vmcnt(0)
	v_add_nc_u32_e32 v0, -1, v0
	v_cmp_eq_u32_e32 vcc_lo, 36, v0
	s_cbranch_vccnz .LBB118_380
; %bb.379:
	v_lshlrev_b32_e32 v0, 4, v0
	v_mov_b32_e32 v1, s30
	v_add_nc_u32_e32 v0, 16, v0
	s_clause 0x7
	buffer_load_dword v2, v0, s[0:3], 0 offen
	buffer_load_dword v3, v0, s[0:3], 0 offen offset:4
	buffer_load_dword v4, v0, s[0:3], 0 offen offset:8
	;; [unrolled: 1-line block ×6, first 2 shown]
	buffer_load_dword v119, v1, s[0:3], 0 offen
	s_waitcnt vmcnt(7)
	buffer_store_dword v2, v1, s[0:3], 0 offen
	s_waitcnt vmcnt(6)
	buffer_store_dword v3, v1, s[0:3], 0 offen offset:4
	s_waitcnt vmcnt(5)
	buffer_store_dword v4, v1, s[0:3], 0 offen offset:8
	;; [unrolled: 2-line block ×6, first 2 shown]
	s_waitcnt vmcnt(0)
	buffer_store_dword v119, v0, s[0:3], 0 offen
.LBB118_380:
	v_mov_b32_e32 v0, 0
	global_load_dword v1, v0, s[12:13] offset:140
	s_waitcnt vmcnt(0)
	v_add_nc_u32_e32 v1, -1, v1
	v_cmp_eq_u32_e32 vcc_lo, 35, v1
	s_cbranch_vccnz .LBB118_382
; %bb.381:
	v_lshlrev_b32_e32 v1, 4, v1
	v_mov_b32_e32 v2, s31
	v_add_nc_u32_e32 v1, 16, v1
	s_clause 0x7
	buffer_load_dword v3, v1, s[0:3], 0 offen
	buffer_load_dword v4, v1, s[0:3], 0 offen offset:4
	buffer_load_dword v5, v1, s[0:3], 0 offen offset:8
	;; [unrolled: 1-line block ×6, first 2 shown]
	buffer_load_dword v120, v2, s[0:3], 0 offen
	s_waitcnt vmcnt(7)
	buffer_store_dword v3, v2, s[0:3], 0 offen
	s_waitcnt vmcnt(6)
	buffer_store_dword v4, v2, s[0:3], 0 offen offset:4
	s_waitcnt vmcnt(5)
	buffer_store_dword v5, v2, s[0:3], 0 offen offset:8
	;; [unrolled: 2-line block ×6, first 2 shown]
	s_waitcnt vmcnt(0)
	buffer_store_dword v120, v1, s[0:3], 0 offen
.LBB118_382:
	global_load_dword v0, v0, s[12:13] offset:136
	s_waitcnt vmcnt(0)
	v_add_nc_u32_e32 v0, -1, v0
	v_cmp_eq_u32_e32 vcc_lo, 34, v0
	s_cbranch_vccnz .LBB118_384
; %bb.383:
	v_lshlrev_b32_e32 v0, 4, v0
	v_mov_b32_e32 v1, s33
	v_add_nc_u32_e32 v0, 16, v0
	s_clause 0x7
	buffer_load_dword v2, v0, s[0:3], 0 offen
	buffer_load_dword v3, v0, s[0:3], 0 offen offset:4
	buffer_load_dword v4, v0, s[0:3], 0 offen offset:8
	buffer_load_dword v5, v0, s[0:3], 0 offen offset:12
	buffer_load_dword v6, v1, s[0:3], 0 offen offset:12
	buffer_load_dword v7, v1, s[0:3], 0 offen offset:8
	buffer_load_dword v8, v1, s[0:3], 0 offen offset:4
	buffer_load_dword v119, v1, s[0:3], 0 offen
	s_waitcnt vmcnt(7)
	buffer_store_dword v2, v1, s[0:3], 0 offen
	s_waitcnt vmcnt(6)
	buffer_store_dword v3, v1, s[0:3], 0 offen offset:4
	s_waitcnt vmcnt(5)
	buffer_store_dword v4, v1, s[0:3], 0 offen offset:8
	s_waitcnt vmcnt(4)
	buffer_store_dword v5, v1, s[0:3], 0 offen offset:12
	s_waitcnt vmcnt(3)
	buffer_store_dword v6, v0, s[0:3], 0 offen offset:12
	s_waitcnt vmcnt(2)
	buffer_store_dword v7, v0, s[0:3], 0 offen offset:8
	s_waitcnt vmcnt(1)
	buffer_store_dword v8, v0, s[0:3], 0 offen offset:4
	s_waitcnt vmcnt(0)
	buffer_store_dword v119, v0, s[0:3], 0 offen
.LBB118_384:
	v_mov_b32_e32 v0, 0
	global_load_dword v1, v0, s[12:13] offset:132
	s_waitcnt vmcnt(0)
	v_add_nc_u32_e32 v1, -1, v1
	v_cmp_eq_u32_e32 vcc_lo, 33, v1
	s_cbranch_vccnz .LBB118_386
; %bb.385:
	v_lshlrev_b32_e32 v1, 4, v1
	v_mov_b32_e32 v2, s34
	v_add_nc_u32_e32 v1, 16, v1
	s_clause 0x7
	buffer_load_dword v3, v1, s[0:3], 0 offen
	buffer_load_dword v4, v1, s[0:3], 0 offen offset:4
	buffer_load_dword v5, v1, s[0:3], 0 offen offset:8
	;; [unrolled: 1-line block ×6, first 2 shown]
	buffer_load_dword v120, v2, s[0:3], 0 offen
	s_waitcnt vmcnt(7)
	buffer_store_dword v3, v2, s[0:3], 0 offen
	s_waitcnt vmcnt(6)
	buffer_store_dword v4, v2, s[0:3], 0 offen offset:4
	s_waitcnt vmcnt(5)
	buffer_store_dword v5, v2, s[0:3], 0 offen offset:8
	;; [unrolled: 2-line block ×6, first 2 shown]
	s_waitcnt vmcnt(0)
	buffer_store_dword v120, v1, s[0:3], 0 offen
.LBB118_386:
	global_load_dword v0, v0, s[12:13] offset:128
	s_waitcnt vmcnt(0)
	v_add_nc_u32_e32 v0, -1, v0
	v_cmp_eq_u32_e32 vcc_lo, 32, v0
	s_cbranch_vccnz .LBB118_388
; %bb.387:
	v_lshlrev_b32_e32 v0, 4, v0
	v_mov_b32_e32 v1, s35
	v_add_nc_u32_e32 v0, 16, v0
	s_clause 0x7
	buffer_load_dword v2, v0, s[0:3], 0 offen
	buffer_load_dword v3, v0, s[0:3], 0 offen offset:4
	buffer_load_dword v4, v0, s[0:3], 0 offen offset:8
	;; [unrolled: 1-line block ×6, first 2 shown]
	buffer_load_dword v119, v1, s[0:3], 0 offen
	s_waitcnt vmcnt(7)
	buffer_store_dword v2, v1, s[0:3], 0 offen
	s_waitcnt vmcnt(6)
	buffer_store_dword v3, v1, s[0:3], 0 offen offset:4
	s_waitcnt vmcnt(5)
	buffer_store_dword v4, v1, s[0:3], 0 offen offset:8
	;; [unrolled: 2-line block ×6, first 2 shown]
	s_waitcnt vmcnt(0)
	buffer_store_dword v119, v0, s[0:3], 0 offen
.LBB118_388:
	v_mov_b32_e32 v0, 0
	global_load_dword v1, v0, s[12:13] offset:124
	s_waitcnt vmcnt(0)
	v_add_nc_u32_e32 v1, -1, v1
	v_cmp_eq_u32_e32 vcc_lo, 31, v1
	s_cbranch_vccnz .LBB118_390
; %bb.389:
	v_lshlrev_b32_e32 v1, 4, v1
	v_mov_b32_e32 v2, s36
	v_add_nc_u32_e32 v1, 16, v1
	s_clause 0x7
	buffer_load_dword v3, v1, s[0:3], 0 offen
	buffer_load_dword v4, v1, s[0:3], 0 offen offset:4
	buffer_load_dword v5, v1, s[0:3], 0 offen offset:8
	;; [unrolled: 1-line block ×6, first 2 shown]
	buffer_load_dword v120, v2, s[0:3], 0 offen
	s_waitcnt vmcnt(7)
	buffer_store_dword v3, v2, s[0:3], 0 offen
	s_waitcnt vmcnt(6)
	buffer_store_dword v4, v2, s[0:3], 0 offen offset:4
	s_waitcnt vmcnt(5)
	buffer_store_dword v5, v2, s[0:3], 0 offen offset:8
	;; [unrolled: 2-line block ×6, first 2 shown]
	s_waitcnt vmcnt(0)
	buffer_store_dword v120, v1, s[0:3], 0 offen
.LBB118_390:
	global_load_dword v0, v0, s[12:13] offset:120
	s_waitcnt vmcnt(0)
	v_add_nc_u32_e32 v0, -1, v0
	v_cmp_eq_u32_e32 vcc_lo, 30, v0
	s_cbranch_vccnz .LBB118_392
; %bb.391:
	v_lshlrev_b32_e32 v0, 4, v0
	v_mov_b32_e32 v1, s37
	v_add_nc_u32_e32 v0, 16, v0
	s_clause 0x7
	buffer_load_dword v2, v0, s[0:3], 0 offen
	buffer_load_dword v3, v0, s[0:3], 0 offen offset:4
	buffer_load_dword v4, v0, s[0:3], 0 offen offset:8
	buffer_load_dword v5, v0, s[0:3], 0 offen offset:12
	buffer_load_dword v6, v1, s[0:3], 0 offen offset:12
	buffer_load_dword v7, v1, s[0:3], 0 offen offset:8
	buffer_load_dword v8, v1, s[0:3], 0 offen offset:4
	buffer_load_dword v119, v1, s[0:3], 0 offen
	s_waitcnt vmcnt(7)
	buffer_store_dword v2, v1, s[0:3], 0 offen
	s_waitcnt vmcnt(6)
	buffer_store_dword v3, v1, s[0:3], 0 offen offset:4
	s_waitcnt vmcnt(5)
	buffer_store_dword v4, v1, s[0:3], 0 offen offset:8
	;; [unrolled: 2-line block ×6, first 2 shown]
	s_waitcnt vmcnt(0)
	buffer_store_dword v119, v0, s[0:3], 0 offen
.LBB118_392:
	v_mov_b32_e32 v0, 0
	global_load_dword v1, v0, s[12:13] offset:116
	s_waitcnt vmcnt(0)
	v_add_nc_u32_e32 v1, -1, v1
	v_cmp_eq_u32_e32 vcc_lo, 29, v1
	s_cbranch_vccnz .LBB118_394
; %bb.393:
	v_lshlrev_b32_e32 v1, 4, v1
	v_mov_b32_e32 v2, s38
	v_add_nc_u32_e32 v1, 16, v1
	s_clause 0x7
	buffer_load_dword v3, v1, s[0:3], 0 offen
	buffer_load_dword v4, v1, s[0:3], 0 offen offset:4
	buffer_load_dword v5, v1, s[0:3], 0 offen offset:8
	;; [unrolled: 1-line block ×6, first 2 shown]
	buffer_load_dword v120, v2, s[0:3], 0 offen
	s_waitcnt vmcnt(7)
	buffer_store_dword v3, v2, s[0:3], 0 offen
	s_waitcnt vmcnt(6)
	buffer_store_dword v4, v2, s[0:3], 0 offen offset:4
	s_waitcnt vmcnt(5)
	buffer_store_dword v5, v2, s[0:3], 0 offen offset:8
	;; [unrolled: 2-line block ×6, first 2 shown]
	s_waitcnt vmcnt(0)
	buffer_store_dword v120, v1, s[0:3], 0 offen
.LBB118_394:
	global_load_dword v0, v0, s[12:13] offset:112
	s_waitcnt vmcnt(0)
	v_add_nc_u32_e32 v0, -1, v0
	v_cmp_eq_u32_e32 vcc_lo, 28, v0
	s_cbranch_vccnz .LBB118_396
; %bb.395:
	v_lshlrev_b32_e32 v0, 4, v0
	v_mov_b32_e32 v1, s39
	v_add_nc_u32_e32 v0, 16, v0
	s_clause 0x7
	buffer_load_dword v2, v0, s[0:3], 0 offen
	buffer_load_dword v3, v0, s[0:3], 0 offen offset:4
	buffer_load_dword v4, v0, s[0:3], 0 offen offset:8
	;; [unrolled: 1-line block ×6, first 2 shown]
	buffer_load_dword v119, v1, s[0:3], 0 offen
	s_waitcnt vmcnt(7)
	buffer_store_dword v2, v1, s[0:3], 0 offen
	s_waitcnt vmcnt(6)
	buffer_store_dword v3, v1, s[0:3], 0 offen offset:4
	s_waitcnt vmcnt(5)
	buffer_store_dword v4, v1, s[0:3], 0 offen offset:8
	;; [unrolled: 2-line block ×6, first 2 shown]
	s_waitcnt vmcnt(0)
	buffer_store_dword v119, v0, s[0:3], 0 offen
.LBB118_396:
	v_mov_b32_e32 v0, 0
	global_load_dword v1, v0, s[12:13] offset:108
	s_waitcnt vmcnt(0)
	v_add_nc_u32_e32 v1, -1, v1
	v_cmp_eq_u32_e32 vcc_lo, 27, v1
	s_cbranch_vccnz .LBB118_398
; %bb.397:
	v_lshlrev_b32_e32 v1, 4, v1
	v_mov_b32_e32 v2, s40
	v_add_nc_u32_e32 v1, 16, v1
	s_clause 0x7
	buffer_load_dword v3, v1, s[0:3], 0 offen
	buffer_load_dword v4, v1, s[0:3], 0 offen offset:4
	buffer_load_dword v5, v1, s[0:3], 0 offen offset:8
	;; [unrolled: 1-line block ×6, first 2 shown]
	buffer_load_dword v120, v2, s[0:3], 0 offen
	s_waitcnt vmcnt(7)
	buffer_store_dword v3, v2, s[0:3], 0 offen
	s_waitcnt vmcnt(6)
	buffer_store_dword v4, v2, s[0:3], 0 offen offset:4
	s_waitcnt vmcnt(5)
	buffer_store_dword v5, v2, s[0:3], 0 offen offset:8
	;; [unrolled: 2-line block ×6, first 2 shown]
	s_waitcnt vmcnt(0)
	buffer_store_dword v120, v1, s[0:3], 0 offen
.LBB118_398:
	global_load_dword v0, v0, s[12:13] offset:104
	s_waitcnt vmcnt(0)
	v_add_nc_u32_e32 v0, -1, v0
	v_cmp_eq_u32_e32 vcc_lo, 26, v0
	s_cbranch_vccnz .LBB118_400
; %bb.399:
	v_lshlrev_b32_e32 v0, 4, v0
	v_mov_b32_e32 v1, s41
	v_add_nc_u32_e32 v0, 16, v0
	s_clause 0x7
	buffer_load_dword v2, v0, s[0:3], 0 offen
	buffer_load_dword v3, v0, s[0:3], 0 offen offset:4
	buffer_load_dword v4, v0, s[0:3], 0 offen offset:8
	;; [unrolled: 1-line block ×6, first 2 shown]
	buffer_load_dword v119, v1, s[0:3], 0 offen
	s_waitcnt vmcnt(7)
	buffer_store_dword v2, v1, s[0:3], 0 offen
	s_waitcnt vmcnt(6)
	buffer_store_dword v3, v1, s[0:3], 0 offen offset:4
	s_waitcnt vmcnt(5)
	buffer_store_dword v4, v1, s[0:3], 0 offen offset:8
	;; [unrolled: 2-line block ×6, first 2 shown]
	s_waitcnt vmcnt(0)
	buffer_store_dword v119, v0, s[0:3], 0 offen
.LBB118_400:
	v_mov_b32_e32 v0, 0
	global_load_dword v1, v0, s[12:13] offset:100
	s_waitcnt vmcnt(0)
	v_add_nc_u32_e32 v1, -1, v1
	v_cmp_eq_u32_e32 vcc_lo, 25, v1
	s_cbranch_vccnz .LBB118_402
; %bb.401:
	v_lshlrev_b32_e32 v1, 4, v1
	v_mov_b32_e32 v2, s42
	v_add_nc_u32_e32 v1, 16, v1
	s_clause 0x7
	buffer_load_dword v3, v1, s[0:3], 0 offen
	buffer_load_dword v4, v1, s[0:3], 0 offen offset:4
	buffer_load_dword v5, v1, s[0:3], 0 offen offset:8
	;; [unrolled: 1-line block ×6, first 2 shown]
	buffer_load_dword v120, v2, s[0:3], 0 offen
	s_waitcnt vmcnt(7)
	buffer_store_dword v3, v2, s[0:3], 0 offen
	s_waitcnt vmcnt(6)
	buffer_store_dword v4, v2, s[0:3], 0 offen offset:4
	s_waitcnt vmcnt(5)
	buffer_store_dword v5, v2, s[0:3], 0 offen offset:8
	;; [unrolled: 2-line block ×6, first 2 shown]
	s_waitcnt vmcnt(0)
	buffer_store_dword v120, v1, s[0:3], 0 offen
.LBB118_402:
	global_load_dword v0, v0, s[12:13] offset:96
	s_waitcnt vmcnt(0)
	v_add_nc_u32_e32 v0, -1, v0
	v_cmp_eq_u32_e32 vcc_lo, 24, v0
	s_cbranch_vccnz .LBB118_404
; %bb.403:
	v_lshlrev_b32_e32 v0, 4, v0
	v_mov_b32_e32 v1, s43
	v_add_nc_u32_e32 v0, 16, v0
	s_clause 0x7
	buffer_load_dword v2, v0, s[0:3], 0 offen
	buffer_load_dword v3, v0, s[0:3], 0 offen offset:4
	buffer_load_dword v4, v0, s[0:3], 0 offen offset:8
	;; [unrolled: 1-line block ×6, first 2 shown]
	buffer_load_dword v119, v1, s[0:3], 0 offen
	s_waitcnt vmcnt(7)
	buffer_store_dword v2, v1, s[0:3], 0 offen
	s_waitcnt vmcnt(6)
	buffer_store_dword v3, v1, s[0:3], 0 offen offset:4
	s_waitcnt vmcnt(5)
	buffer_store_dword v4, v1, s[0:3], 0 offen offset:8
	;; [unrolled: 2-line block ×6, first 2 shown]
	s_waitcnt vmcnt(0)
	buffer_store_dword v119, v0, s[0:3], 0 offen
.LBB118_404:
	v_mov_b32_e32 v0, 0
	global_load_dword v1, v0, s[12:13] offset:92
	s_waitcnt vmcnt(0)
	v_add_nc_u32_e32 v1, -1, v1
	v_cmp_eq_u32_e32 vcc_lo, 23, v1
	s_cbranch_vccnz .LBB118_406
; %bb.405:
	v_lshlrev_b32_e32 v1, 4, v1
	v_mov_b32_e32 v2, s44
	v_add_nc_u32_e32 v1, 16, v1
	s_clause 0x7
	buffer_load_dword v3, v1, s[0:3], 0 offen
	buffer_load_dword v4, v1, s[0:3], 0 offen offset:4
	buffer_load_dword v5, v1, s[0:3], 0 offen offset:8
	;; [unrolled: 1-line block ×6, first 2 shown]
	buffer_load_dword v120, v2, s[0:3], 0 offen
	s_waitcnt vmcnt(7)
	buffer_store_dword v3, v2, s[0:3], 0 offen
	s_waitcnt vmcnt(6)
	buffer_store_dword v4, v2, s[0:3], 0 offen offset:4
	s_waitcnt vmcnt(5)
	buffer_store_dword v5, v2, s[0:3], 0 offen offset:8
	;; [unrolled: 2-line block ×6, first 2 shown]
	s_waitcnt vmcnt(0)
	buffer_store_dword v120, v1, s[0:3], 0 offen
.LBB118_406:
	global_load_dword v0, v0, s[12:13] offset:88
	s_waitcnt vmcnt(0)
	v_add_nc_u32_e32 v0, -1, v0
	v_cmp_eq_u32_e32 vcc_lo, 22, v0
	s_cbranch_vccnz .LBB118_408
; %bb.407:
	v_lshlrev_b32_e32 v0, 4, v0
	v_mov_b32_e32 v1, s45
	v_add_nc_u32_e32 v0, 16, v0
	s_clause 0x7
	buffer_load_dword v2, v0, s[0:3], 0 offen
	buffer_load_dword v3, v0, s[0:3], 0 offen offset:4
	buffer_load_dword v4, v0, s[0:3], 0 offen offset:8
	;; [unrolled: 1-line block ×6, first 2 shown]
	buffer_load_dword v119, v1, s[0:3], 0 offen
	s_waitcnt vmcnt(7)
	buffer_store_dword v2, v1, s[0:3], 0 offen
	s_waitcnt vmcnt(6)
	buffer_store_dword v3, v1, s[0:3], 0 offen offset:4
	s_waitcnt vmcnt(5)
	buffer_store_dword v4, v1, s[0:3], 0 offen offset:8
	s_waitcnt vmcnt(4)
	buffer_store_dword v5, v1, s[0:3], 0 offen offset:12
	s_waitcnt vmcnt(3)
	buffer_store_dword v6, v0, s[0:3], 0 offen offset:12
	s_waitcnt vmcnt(2)
	buffer_store_dword v7, v0, s[0:3], 0 offen offset:8
	s_waitcnt vmcnt(1)
	buffer_store_dword v8, v0, s[0:3], 0 offen offset:4
	s_waitcnt vmcnt(0)
	buffer_store_dword v119, v0, s[0:3], 0 offen
.LBB118_408:
	v_mov_b32_e32 v0, 0
	global_load_dword v1, v0, s[12:13] offset:84
	s_waitcnt vmcnt(0)
	v_add_nc_u32_e32 v1, -1, v1
	v_cmp_eq_u32_e32 vcc_lo, 21, v1
	s_cbranch_vccnz .LBB118_410
; %bb.409:
	v_lshlrev_b32_e32 v1, 4, v1
	v_mov_b32_e32 v2, s46
	v_add_nc_u32_e32 v1, 16, v1
	s_clause 0x7
	buffer_load_dword v3, v1, s[0:3], 0 offen
	buffer_load_dword v4, v1, s[0:3], 0 offen offset:4
	buffer_load_dword v5, v1, s[0:3], 0 offen offset:8
	;; [unrolled: 1-line block ×6, first 2 shown]
	buffer_load_dword v120, v2, s[0:3], 0 offen
	s_waitcnt vmcnt(7)
	buffer_store_dword v3, v2, s[0:3], 0 offen
	s_waitcnt vmcnt(6)
	buffer_store_dword v4, v2, s[0:3], 0 offen offset:4
	s_waitcnt vmcnt(5)
	buffer_store_dword v5, v2, s[0:3], 0 offen offset:8
	;; [unrolled: 2-line block ×6, first 2 shown]
	s_waitcnt vmcnt(0)
	buffer_store_dword v120, v1, s[0:3], 0 offen
.LBB118_410:
	global_load_dword v0, v0, s[12:13] offset:80
	s_waitcnt vmcnt(0)
	v_add_nc_u32_e32 v0, -1, v0
	v_cmp_eq_u32_e32 vcc_lo, 20, v0
	s_cbranch_vccnz .LBB118_412
; %bb.411:
	v_lshlrev_b32_e32 v0, 4, v0
	v_mov_b32_e32 v1, s47
	v_add_nc_u32_e32 v0, 16, v0
	s_clause 0x7
	buffer_load_dword v2, v0, s[0:3], 0 offen
	buffer_load_dword v3, v0, s[0:3], 0 offen offset:4
	buffer_load_dword v4, v0, s[0:3], 0 offen offset:8
	;; [unrolled: 1-line block ×6, first 2 shown]
	buffer_load_dword v119, v1, s[0:3], 0 offen
	s_waitcnt vmcnt(7)
	buffer_store_dword v2, v1, s[0:3], 0 offen
	s_waitcnt vmcnt(6)
	buffer_store_dword v3, v1, s[0:3], 0 offen offset:4
	s_waitcnt vmcnt(5)
	buffer_store_dword v4, v1, s[0:3], 0 offen offset:8
	;; [unrolled: 2-line block ×6, first 2 shown]
	s_waitcnt vmcnt(0)
	buffer_store_dword v119, v0, s[0:3], 0 offen
.LBB118_412:
	v_mov_b32_e32 v0, 0
	global_load_dword v1, v0, s[12:13] offset:76
	s_waitcnt vmcnt(0)
	v_add_nc_u32_e32 v1, -1, v1
	v_cmp_eq_u32_e32 vcc_lo, 19, v1
	s_cbranch_vccnz .LBB118_414
; %bb.413:
	v_lshlrev_b32_e32 v1, 4, v1
	v_mov_b32_e32 v2, s48
	v_add_nc_u32_e32 v1, 16, v1
	s_clause 0x7
	buffer_load_dword v3, v1, s[0:3], 0 offen
	buffer_load_dword v4, v1, s[0:3], 0 offen offset:4
	buffer_load_dword v5, v1, s[0:3], 0 offen offset:8
	;; [unrolled: 1-line block ×6, first 2 shown]
	buffer_load_dword v120, v2, s[0:3], 0 offen
	s_waitcnt vmcnt(7)
	buffer_store_dword v3, v2, s[0:3], 0 offen
	s_waitcnt vmcnt(6)
	buffer_store_dword v4, v2, s[0:3], 0 offen offset:4
	s_waitcnt vmcnt(5)
	buffer_store_dword v5, v2, s[0:3], 0 offen offset:8
	;; [unrolled: 2-line block ×6, first 2 shown]
	s_waitcnt vmcnt(0)
	buffer_store_dword v120, v1, s[0:3], 0 offen
.LBB118_414:
	global_load_dword v0, v0, s[12:13] offset:72
	s_waitcnt vmcnt(0)
	v_add_nc_u32_e32 v0, -1, v0
	v_cmp_eq_u32_e32 vcc_lo, 18, v0
	s_cbranch_vccnz .LBB118_416
; %bb.415:
	v_lshlrev_b32_e32 v0, 4, v0
	v_mov_b32_e32 v1, s49
	v_add_nc_u32_e32 v0, 16, v0
	s_clause 0x7
	buffer_load_dword v2, v0, s[0:3], 0 offen
	buffer_load_dword v3, v0, s[0:3], 0 offen offset:4
	buffer_load_dword v4, v0, s[0:3], 0 offen offset:8
	;; [unrolled: 1-line block ×6, first 2 shown]
	buffer_load_dword v119, v1, s[0:3], 0 offen
	s_waitcnt vmcnt(7)
	buffer_store_dword v2, v1, s[0:3], 0 offen
	s_waitcnt vmcnt(6)
	buffer_store_dword v3, v1, s[0:3], 0 offen offset:4
	s_waitcnt vmcnt(5)
	buffer_store_dword v4, v1, s[0:3], 0 offen offset:8
	;; [unrolled: 2-line block ×6, first 2 shown]
	s_waitcnt vmcnt(0)
	buffer_store_dword v119, v0, s[0:3], 0 offen
.LBB118_416:
	v_mov_b32_e32 v0, 0
	global_load_dword v1, v0, s[12:13] offset:68
	s_waitcnt vmcnt(0)
	v_add_nc_u32_e32 v1, -1, v1
	v_cmp_eq_u32_e32 vcc_lo, 17, v1
	s_cbranch_vccnz .LBB118_418
; %bb.417:
	v_lshlrev_b32_e32 v1, 4, v1
	v_mov_b32_e32 v2, s50
	v_add_nc_u32_e32 v1, 16, v1
	s_clause 0x7
	buffer_load_dword v3, v1, s[0:3], 0 offen
	buffer_load_dword v4, v1, s[0:3], 0 offen offset:4
	buffer_load_dword v5, v1, s[0:3], 0 offen offset:8
	buffer_load_dword v6, v1, s[0:3], 0 offen offset:12
	buffer_load_dword v7, v2, s[0:3], 0 offen offset:12
	buffer_load_dword v8, v2, s[0:3], 0 offen offset:8
	buffer_load_dword v119, v2, s[0:3], 0 offen offset:4
	buffer_load_dword v120, v2, s[0:3], 0 offen
	s_waitcnt vmcnt(7)
	buffer_store_dword v3, v2, s[0:3], 0 offen
	s_waitcnt vmcnt(6)
	buffer_store_dword v4, v2, s[0:3], 0 offen offset:4
	s_waitcnt vmcnt(5)
	buffer_store_dword v5, v2, s[0:3], 0 offen offset:8
	;; [unrolled: 2-line block ×6, first 2 shown]
	s_waitcnt vmcnt(0)
	buffer_store_dword v120, v1, s[0:3], 0 offen
.LBB118_418:
	global_load_dword v0, v0, s[12:13] offset:64
	s_waitcnt vmcnt(0)
	v_add_nc_u32_e32 v0, -1, v0
	v_cmp_eq_u32_e32 vcc_lo, 16, v0
	s_cbranch_vccnz .LBB118_420
; %bb.419:
	v_lshlrev_b32_e32 v0, 4, v0
	v_mov_b32_e32 v1, s51
	v_add_nc_u32_e32 v0, 16, v0
	s_clause 0x7
	buffer_load_dword v2, v0, s[0:3], 0 offen
	buffer_load_dword v3, v0, s[0:3], 0 offen offset:4
	buffer_load_dword v4, v0, s[0:3], 0 offen offset:8
	;; [unrolled: 1-line block ×6, first 2 shown]
	buffer_load_dword v119, v1, s[0:3], 0 offen
	s_waitcnt vmcnt(7)
	buffer_store_dword v2, v1, s[0:3], 0 offen
	s_waitcnt vmcnt(6)
	buffer_store_dword v3, v1, s[0:3], 0 offen offset:4
	s_waitcnt vmcnt(5)
	buffer_store_dword v4, v1, s[0:3], 0 offen offset:8
	;; [unrolled: 2-line block ×6, first 2 shown]
	s_waitcnt vmcnt(0)
	buffer_store_dword v119, v0, s[0:3], 0 offen
.LBB118_420:
	v_mov_b32_e32 v0, 0
	global_load_dword v1, v0, s[12:13] offset:60
	s_waitcnt vmcnt(0)
	v_add_nc_u32_e32 v1, -1, v1
	v_cmp_eq_u32_e32 vcc_lo, 15, v1
	s_cbranch_vccnz .LBB118_422
; %bb.421:
	v_lshlrev_b32_e32 v1, 4, v1
	v_mov_b32_e32 v2, s52
	v_add_nc_u32_e32 v1, 16, v1
	s_clause 0x7
	buffer_load_dword v3, v1, s[0:3], 0 offen
	buffer_load_dword v4, v1, s[0:3], 0 offen offset:4
	buffer_load_dword v5, v1, s[0:3], 0 offen offset:8
	;; [unrolled: 1-line block ×6, first 2 shown]
	buffer_load_dword v120, v2, s[0:3], 0 offen
	s_waitcnt vmcnt(7)
	buffer_store_dword v3, v2, s[0:3], 0 offen
	s_waitcnt vmcnt(6)
	buffer_store_dword v4, v2, s[0:3], 0 offen offset:4
	s_waitcnt vmcnt(5)
	buffer_store_dword v5, v2, s[0:3], 0 offen offset:8
	s_waitcnt vmcnt(4)
	buffer_store_dword v6, v2, s[0:3], 0 offen offset:12
	s_waitcnt vmcnt(3)
	buffer_store_dword v7, v1, s[0:3], 0 offen offset:12
	s_waitcnt vmcnt(2)
	buffer_store_dword v8, v1, s[0:3], 0 offen offset:8
	s_waitcnt vmcnt(1)
	buffer_store_dword v119, v1, s[0:3], 0 offen offset:4
	s_waitcnt vmcnt(0)
	buffer_store_dword v120, v1, s[0:3], 0 offen
.LBB118_422:
	global_load_dword v0, v0, s[12:13] offset:56
	s_waitcnt vmcnt(0)
	v_add_nc_u32_e32 v0, -1, v0
	v_cmp_eq_u32_e32 vcc_lo, 14, v0
	s_cbranch_vccnz .LBB118_424
; %bb.423:
	v_lshlrev_b32_e32 v0, 4, v0
	v_mov_b32_e32 v1, s53
	v_add_nc_u32_e32 v0, 16, v0
	s_clause 0x7
	buffer_load_dword v2, v0, s[0:3], 0 offen
	buffer_load_dword v3, v0, s[0:3], 0 offen offset:4
	buffer_load_dword v4, v0, s[0:3], 0 offen offset:8
	;; [unrolled: 1-line block ×6, first 2 shown]
	buffer_load_dword v119, v1, s[0:3], 0 offen
	s_waitcnt vmcnt(7)
	buffer_store_dword v2, v1, s[0:3], 0 offen
	s_waitcnt vmcnt(6)
	buffer_store_dword v3, v1, s[0:3], 0 offen offset:4
	s_waitcnt vmcnt(5)
	buffer_store_dword v4, v1, s[0:3], 0 offen offset:8
	;; [unrolled: 2-line block ×6, first 2 shown]
	s_waitcnt vmcnt(0)
	buffer_store_dword v119, v0, s[0:3], 0 offen
.LBB118_424:
	v_mov_b32_e32 v0, 0
	global_load_dword v1, v0, s[12:13] offset:52
	s_waitcnt vmcnt(0)
	v_add_nc_u32_e32 v1, -1, v1
	v_cmp_eq_u32_e32 vcc_lo, 13, v1
	s_cbranch_vccnz .LBB118_426
; %bb.425:
	v_lshlrev_b32_e32 v1, 4, v1
	v_mov_b32_e32 v2, s54
	v_add_nc_u32_e32 v1, 16, v1
	s_clause 0x7
	buffer_load_dword v3, v1, s[0:3], 0 offen
	buffer_load_dword v4, v1, s[0:3], 0 offen offset:4
	buffer_load_dword v5, v1, s[0:3], 0 offen offset:8
	;; [unrolled: 1-line block ×6, first 2 shown]
	buffer_load_dword v120, v2, s[0:3], 0 offen
	s_waitcnt vmcnt(7)
	buffer_store_dword v3, v2, s[0:3], 0 offen
	s_waitcnt vmcnt(6)
	buffer_store_dword v4, v2, s[0:3], 0 offen offset:4
	s_waitcnt vmcnt(5)
	buffer_store_dword v5, v2, s[0:3], 0 offen offset:8
	;; [unrolled: 2-line block ×6, first 2 shown]
	s_waitcnt vmcnt(0)
	buffer_store_dword v120, v1, s[0:3], 0 offen
.LBB118_426:
	global_load_dword v0, v0, s[12:13] offset:48
	s_waitcnt vmcnt(0)
	v_add_nc_u32_e32 v0, -1, v0
	v_cmp_eq_u32_e32 vcc_lo, 12, v0
	s_cbranch_vccnz .LBB118_428
; %bb.427:
	v_lshlrev_b32_e32 v0, 4, v0
	v_mov_b32_e32 v1, s55
	v_add_nc_u32_e32 v0, 16, v0
	s_clause 0x7
	buffer_load_dword v2, v0, s[0:3], 0 offen
	buffer_load_dword v3, v0, s[0:3], 0 offen offset:4
	buffer_load_dword v4, v0, s[0:3], 0 offen offset:8
	;; [unrolled: 1-line block ×6, first 2 shown]
	buffer_load_dword v119, v1, s[0:3], 0 offen
	s_waitcnt vmcnt(7)
	buffer_store_dword v2, v1, s[0:3], 0 offen
	s_waitcnt vmcnt(6)
	buffer_store_dword v3, v1, s[0:3], 0 offen offset:4
	s_waitcnt vmcnt(5)
	buffer_store_dword v4, v1, s[0:3], 0 offen offset:8
	;; [unrolled: 2-line block ×6, first 2 shown]
	s_waitcnt vmcnt(0)
	buffer_store_dword v119, v0, s[0:3], 0 offen
.LBB118_428:
	v_mov_b32_e32 v0, 0
	global_load_dword v1, v0, s[12:13] offset:44
	s_waitcnt vmcnt(0)
	v_add_nc_u32_e32 v1, -1, v1
	v_cmp_eq_u32_e32 vcc_lo, 11, v1
	s_cbranch_vccnz .LBB118_430
; %bb.429:
	v_lshlrev_b32_e32 v1, 4, v1
	v_mov_b32_e32 v2, s56
	v_add_nc_u32_e32 v1, 16, v1
	s_clause 0x7
	buffer_load_dword v3, v1, s[0:3], 0 offen
	buffer_load_dword v4, v1, s[0:3], 0 offen offset:4
	buffer_load_dword v5, v1, s[0:3], 0 offen offset:8
	;; [unrolled: 1-line block ×6, first 2 shown]
	buffer_load_dword v120, v2, s[0:3], 0 offen
	s_waitcnt vmcnt(7)
	buffer_store_dword v3, v2, s[0:3], 0 offen
	s_waitcnt vmcnt(6)
	buffer_store_dword v4, v2, s[0:3], 0 offen offset:4
	s_waitcnt vmcnt(5)
	buffer_store_dword v5, v2, s[0:3], 0 offen offset:8
	;; [unrolled: 2-line block ×6, first 2 shown]
	s_waitcnt vmcnt(0)
	buffer_store_dword v120, v1, s[0:3], 0 offen
.LBB118_430:
	global_load_dword v0, v0, s[12:13] offset:40
	s_waitcnt vmcnt(0)
	v_add_nc_u32_e32 v0, -1, v0
	v_cmp_eq_u32_e32 vcc_lo, 10, v0
	s_cbranch_vccnz .LBB118_432
; %bb.431:
	v_lshlrev_b32_e32 v0, 4, v0
	v_mov_b32_e32 v1, s57
	v_add_nc_u32_e32 v0, 16, v0
	s_clause 0x7
	buffer_load_dword v2, v0, s[0:3], 0 offen
	buffer_load_dword v3, v0, s[0:3], 0 offen offset:4
	buffer_load_dword v4, v0, s[0:3], 0 offen offset:8
	;; [unrolled: 1-line block ×6, first 2 shown]
	buffer_load_dword v119, v1, s[0:3], 0 offen
	s_waitcnt vmcnt(7)
	buffer_store_dword v2, v1, s[0:3], 0 offen
	s_waitcnt vmcnt(6)
	buffer_store_dword v3, v1, s[0:3], 0 offen offset:4
	s_waitcnt vmcnt(5)
	buffer_store_dword v4, v1, s[0:3], 0 offen offset:8
	;; [unrolled: 2-line block ×6, first 2 shown]
	s_waitcnt vmcnt(0)
	buffer_store_dword v119, v0, s[0:3], 0 offen
.LBB118_432:
	v_mov_b32_e32 v0, 0
	global_load_dword v1, v0, s[12:13] offset:36
	s_waitcnt vmcnt(0)
	v_add_nc_u32_e32 v1, -1, v1
	v_cmp_eq_u32_e32 vcc_lo, 9, v1
	s_cbranch_vccnz .LBB118_434
; %bb.433:
	v_lshlrev_b32_e32 v1, 4, v1
	v_mov_b32_e32 v2, s58
	v_add_nc_u32_e32 v1, 16, v1
	s_clause 0x7
	buffer_load_dword v3, v1, s[0:3], 0 offen
	buffer_load_dword v4, v1, s[0:3], 0 offen offset:4
	buffer_load_dword v5, v1, s[0:3], 0 offen offset:8
	;; [unrolled: 1-line block ×6, first 2 shown]
	buffer_load_dword v120, v2, s[0:3], 0 offen
	s_waitcnt vmcnt(7)
	buffer_store_dword v3, v2, s[0:3], 0 offen
	s_waitcnt vmcnt(6)
	buffer_store_dword v4, v2, s[0:3], 0 offen offset:4
	s_waitcnt vmcnt(5)
	buffer_store_dword v5, v2, s[0:3], 0 offen offset:8
	;; [unrolled: 2-line block ×6, first 2 shown]
	s_waitcnt vmcnt(0)
	buffer_store_dword v120, v1, s[0:3], 0 offen
.LBB118_434:
	global_load_dword v0, v0, s[12:13] offset:32
	s_waitcnt vmcnt(0)
	v_add_nc_u32_e32 v0, -1, v0
	v_cmp_eq_u32_e32 vcc_lo, 8, v0
	s_cbranch_vccnz .LBB118_436
; %bb.435:
	v_lshlrev_b32_e32 v0, 4, v0
	v_mov_b32_e32 v1, s59
	v_add_nc_u32_e32 v0, 16, v0
	s_clause 0x7
	buffer_load_dword v2, v0, s[0:3], 0 offen
	buffer_load_dword v3, v0, s[0:3], 0 offen offset:4
	buffer_load_dword v4, v0, s[0:3], 0 offen offset:8
	;; [unrolled: 1-line block ×6, first 2 shown]
	buffer_load_dword v119, v1, s[0:3], 0 offen
	s_waitcnt vmcnt(7)
	buffer_store_dword v2, v1, s[0:3], 0 offen
	s_waitcnt vmcnt(6)
	buffer_store_dword v3, v1, s[0:3], 0 offen offset:4
	s_waitcnt vmcnt(5)
	buffer_store_dword v4, v1, s[0:3], 0 offen offset:8
	;; [unrolled: 2-line block ×6, first 2 shown]
	s_waitcnt vmcnt(0)
	buffer_store_dword v119, v0, s[0:3], 0 offen
.LBB118_436:
	v_mov_b32_e32 v0, 0
	global_load_dword v1, v0, s[12:13] offset:28
	s_waitcnt vmcnt(0)
	v_add_nc_u32_e32 v1, -1, v1
	v_cmp_eq_u32_e32 vcc_lo, 7, v1
	s_cbranch_vccnz .LBB118_438
; %bb.437:
	v_lshlrev_b32_e32 v1, 4, v1
	v_mov_b32_e32 v2, s60
	v_add_nc_u32_e32 v1, 16, v1
	s_clause 0x7
	buffer_load_dword v3, v1, s[0:3], 0 offen
	buffer_load_dword v4, v1, s[0:3], 0 offen offset:4
	buffer_load_dword v5, v1, s[0:3], 0 offen offset:8
	;; [unrolled: 1-line block ×6, first 2 shown]
	buffer_load_dword v120, v2, s[0:3], 0 offen
	s_waitcnt vmcnt(7)
	buffer_store_dword v3, v2, s[0:3], 0 offen
	s_waitcnt vmcnt(6)
	buffer_store_dword v4, v2, s[0:3], 0 offen offset:4
	s_waitcnt vmcnt(5)
	buffer_store_dword v5, v2, s[0:3], 0 offen offset:8
	;; [unrolled: 2-line block ×6, first 2 shown]
	s_waitcnt vmcnt(0)
	buffer_store_dword v120, v1, s[0:3], 0 offen
.LBB118_438:
	global_load_dword v0, v0, s[12:13] offset:24
	s_waitcnt vmcnt(0)
	v_add_nc_u32_e32 v0, -1, v0
	v_cmp_eq_u32_e32 vcc_lo, 6, v0
	s_cbranch_vccnz .LBB118_440
; %bb.439:
	v_lshlrev_b32_e32 v0, 4, v0
	v_mov_b32_e32 v1, s61
	v_add_nc_u32_e32 v0, 16, v0
	s_clause 0x7
	buffer_load_dword v2, v0, s[0:3], 0 offen
	buffer_load_dword v3, v0, s[0:3], 0 offen offset:4
	buffer_load_dword v4, v0, s[0:3], 0 offen offset:8
	;; [unrolled: 1-line block ×6, first 2 shown]
	buffer_load_dword v119, v1, s[0:3], 0 offen
	s_waitcnt vmcnt(7)
	buffer_store_dword v2, v1, s[0:3], 0 offen
	s_waitcnt vmcnt(6)
	buffer_store_dword v3, v1, s[0:3], 0 offen offset:4
	s_waitcnt vmcnt(5)
	buffer_store_dword v4, v1, s[0:3], 0 offen offset:8
	;; [unrolled: 2-line block ×6, first 2 shown]
	s_waitcnt vmcnt(0)
	buffer_store_dword v119, v0, s[0:3], 0 offen
.LBB118_440:
	v_mov_b32_e32 v0, 0
	global_load_dword v1, v0, s[12:13] offset:20
	s_waitcnt vmcnt(0)
	v_add_nc_u32_e32 v1, -1, v1
	v_cmp_eq_u32_e32 vcc_lo, 5, v1
	s_cbranch_vccnz .LBB118_442
; %bb.441:
	v_lshlrev_b32_e32 v1, 4, v1
	v_mov_b32_e32 v2, s62
	v_add_nc_u32_e32 v1, 16, v1
	s_clause 0x7
	buffer_load_dword v3, v1, s[0:3], 0 offen
	buffer_load_dword v4, v1, s[0:3], 0 offen offset:4
	buffer_load_dword v5, v1, s[0:3], 0 offen offset:8
	;; [unrolled: 1-line block ×6, first 2 shown]
	buffer_load_dword v120, v2, s[0:3], 0 offen
	s_waitcnt vmcnt(7)
	buffer_store_dword v3, v2, s[0:3], 0 offen
	s_waitcnt vmcnt(6)
	buffer_store_dword v4, v2, s[0:3], 0 offen offset:4
	s_waitcnt vmcnt(5)
	buffer_store_dword v5, v2, s[0:3], 0 offen offset:8
	;; [unrolled: 2-line block ×6, first 2 shown]
	s_waitcnt vmcnt(0)
	buffer_store_dword v120, v1, s[0:3], 0 offen
.LBB118_442:
	global_load_dword v0, v0, s[12:13] offset:16
	s_waitcnt vmcnt(0)
	v_add_nc_u32_e32 v0, -1, v0
	v_cmp_eq_u32_e32 vcc_lo, 4, v0
	s_cbranch_vccnz .LBB118_444
; %bb.443:
	v_lshlrev_b32_e32 v0, 4, v0
	v_mov_b32_e32 v1, s63
	v_add_nc_u32_e32 v0, 16, v0
	s_clause 0x7
	buffer_load_dword v2, v0, s[0:3], 0 offen
	buffer_load_dword v3, v0, s[0:3], 0 offen offset:4
	buffer_load_dword v4, v0, s[0:3], 0 offen offset:8
	;; [unrolled: 1-line block ×6, first 2 shown]
	buffer_load_dword v119, v1, s[0:3], 0 offen
	s_waitcnt vmcnt(7)
	buffer_store_dword v2, v1, s[0:3], 0 offen
	s_waitcnt vmcnt(6)
	buffer_store_dword v3, v1, s[0:3], 0 offen offset:4
	s_waitcnt vmcnt(5)
	buffer_store_dword v4, v1, s[0:3], 0 offen offset:8
	;; [unrolled: 2-line block ×6, first 2 shown]
	s_waitcnt vmcnt(0)
	buffer_store_dword v119, v0, s[0:3], 0 offen
.LBB118_444:
	v_mov_b32_e32 v0, 0
	global_load_dword v1, v0, s[12:13] offset:12
	s_waitcnt vmcnt(0)
	v_add_nc_u32_e32 v1, -1, v1
	v_cmp_eq_u32_e32 vcc_lo, 3, v1
	s_cbranch_vccnz .LBB118_446
; %bb.445:
	v_lshlrev_b32_e32 v1, 4, v1
	v_mov_b32_e32 v2, s64
	v_add_nc_u32_e32 v1, 16, v1
	s_clause 0x7
	buffer_load_dword v3, v1, s[0:3], 0 offen
	buffer_load_dword v4, v1, s[0:3], 0 offen offset:4
	buffer_load_dword v5, v1, s[0:3], 0 offen offset:8
	;; [unrolled: 1-line block ×6, first 2 shown]
	buffer_load_dword v120, v2, s[0:3], 0 offen
	s_waitcnt vmcnt(7)
	buffer_store_dword v3, v2, s[0:3], 0 offen
	s_waitcnt vmcnt(6)
	buffer_store_dword v4, v2, s[0:3], 0 offen offset:4
	s_waitcnt vmcnt(5)
	buffer_store_dword v5, v2, s[0:3], 0 offen offset:8
	;; [unrolled: 2-line block ×6, first 2 shown]
	s_waitcnt vmcnt(0)
	buffer_store_dword v120, v1, s[0:3], 0 offen
.LBB118_446:
	global_load_dword v0, v0, s[12:13] offset:8
	s_waitcnt vmcnt(0)
	v_add_nc_u32_e32 v0, -1, v0
	v_cmp_eq_u32_e32 vcc_lo, 2, v0
	s_cbranch_vccnz .LBB118_448
; %bb.447:
	v_lshlrev_b32_e32 v0, 4, v0
	v_mov_b32_e32 v1, s65
	v_add_nc_u32_e32 v0, 16, v0
	s_clause 0x7
	buffer_load_dword v2, v0, s[0:3], 0 offen
	buffer_load_dword v3, v0, s[0:3], 0 offen offset:4
	buffer_load_dword v4, v0, s[0:3], 0 offen offset:8
	;; [unrolled: 1-line block ×6, first 2 shown]
	buffer_load_dword v119, v1, s[0:3], 0 offen
	s_waitcnt vmcnt(7)
	buffer_store_dword v2, v1, s[0:3], 0 offen
	s_waitcnt vmcnt(6)
	buffer_store_dword v3, v1, s[0:3], 0 offen offset:4
	s_waitcnt vmcnt(5)
	buffer_store_dword v4, v1, s[0:3], 0 offen offset:8
	;; [unrolled: 2-line block ×6, first 2 shown]
	s_waitcnt vmcnt(0)
	buffer_store_dword v119, v0, s[0:3], 0 offen
.LBB118_448:
	v_mov_b32_e32 v0, 0
	global_load_dword v1, v0, s[12:13] offset:4
	s_waitcnt vmcnt(0)
	v_add_nc_u32_e32 v1, -1, v1
	v_cmp_eq_u32_e32 vcc_lo, 1, v1
	s_cbranch_vccnz .LBB118_450
; %bb.449:
	v_lshlrev_b32_e32 v1, 4, v1
	v_mov_b32_e32 v2, s66
	v_add_nc_u32_e32 v1, 16, v1
	s_clause 0x7
	buffer_load_dword v3, v1, s[0:3], 0 offen
	buffer_load_dword v4, v1, s[0:3], 0 offen offset:4
	buffer_load_dword v5, v1, s[0:3], 0 offen offset:8
	;; [unrolled: 1-line block ×6, first 2 shown]
	buffer_load_dword v120, v2, s[0:3], 0 offen
	s_waitcnt vmcnt(7)
	buffer_store_dword v3, v2, s[0:3], 0 offen
	s_waitcnt vmcnt(6)
	buffer_store_dword v4, v2, s[0:3], 0 offen offset:4
	s_waitcnt vmcnt(5)
	buffer_store_dword v5, v2, s[0:3], 0 offen offset:8
	;; [unrolled: 2-line block ×6, first 2 shown]
	s_waitcnt vmcnt(0)
	buffer_store_dword v120, v1, s[0:3], 0 offen
.LBB118_450:
	global_load_dword v0, v0, s[12:13]
	s_waitcnt vmcnt(0)
	v_add_nc_u32_e32 v0, -1, v0
	v_cmp_eq_u32_e32 vcc_lo, 0, v0
	s_cbranch_vccnz .LBB118_452
; %bb.451:
	v_lshlrev_b32_e32 v0, 4, v0
	v_add_nc_u32_e32 v0, 16, v0
	s_clause 0x7
	buffer_load_dword v1, v0, s[0:3], 0 offen
	buffer_load_dword v2, v0, s[0:3], 0 offen offset:4
	buffer_load_dword v3, v0, s[0:3], 0 offen offset:8
	;; [unrolled: 1-line block ×3, first 2 shown]
	buffer_load_dword v5, off, s[0:3], 0 offset:28
	buffer_load_dword v6, off, s[0:3], 0 offset:24
	;; [unrolled: 1-line block ×4, first 2 shown]
	s_waitcnt vmcnt(7)
	buffer_store_dword v1, off, s[0:3], 0 offset:16
	s_waitcnt vmcnt(6)
	buffer_store_dword v2, off, s[0:3], 0 offset:20
	;; [unrolled: 2-line block ×4, first 2 shown]
	s_waitcnt vmcnt(3)
	buffer_store_dword v5, v0, s[0:3], 0 offen offset:12
	s_waitcnt vmcnt(2)
	buffer_store_dword v6, v0, s[0:3], 0 offen offset:8
	;; [unrolled: 2-line block ×3, first 2 shown]
	s_waitcnt vmcnt(0)
	buffer_store_dword v8, v0, s[0:3], 0 offen
.LBB118_452:
	s_clause 0x3
	buffer_load_dword v0, off, s[0:3], 0 offset:16
	buffer_load_dword v1, off, s[0:3], 0 offset:20
	;; [unrolled: 1-line block ×4, first 2 shown]
	v_mov_b32_e32 v4, s66
	s_waitcnt vmcnt(0)
	flat_store_dwordx4 v[9:10], v[0:3]
	s_clause 0x3
	buffer_load_dword v0, v4, s[0:3], 0 offen
	buffer_load_dword v1, v4, s[0:3], 0 offen offset:4
	buffer_load_dword v2, v4, s[0:3], 0 offen offset:8
	buffer_load_dword v3, v4, s[0:3], 0 offen offset:12
	v_mov_b32_e32 v4, s65
	s_waitcnt vmcnt(0)
	flat_store_dwordx4 v[63:64], v[0:3]
	s_clause 0x3
	buffer_load_dword v0, v4, s[0:3], 0 offen
	buffer_load_dword v1, v4, s[0:3], 0 offen offset:4
	buffer_load_dword v2, v4, s[0:3], 0 offen offset:8
	buffer_load_dword v3, v4, s[0:3], 0 offen offset:12
	;; [unrolled: 8-line block ×54, first 2 shown]
	s_waitcnt vmcnt(0)
	flat_store_dwordx4 v[117:118], v[0:3]
	s_endpgm
	.section	.rodata,"a",@progbits
	.p2align	6, 0x0
	.amdhsa_kernel _ZN9rocsolver6v33100L18getri_kernel_smallILi55E19rocblas_complex_numIdEPKPS3_EEvT1_iilPiilS8_bb
		.amdhsa_group_segment_fixed_size 1768
		.amdhsa_private_segment_fixed_size 912
		.amdhsa_kernarg_size 60
		.amdhsa_user_sgpr_count 6
		.amdhsa_user_sgpr_private_segment_buffer 1
		.amdhsa_user_sgpr_dispatch_ptr 0
		.amdhsa_user_sgpr_queue_ptr 0
		.amdhsa_user_sgpr_kernarg_segment_ptr 1
		.amdhsa_user_sgpr_dispatch_id 0
		.amdhsa_user_sgpr_flat_scratch_init 0
		.amdhsa_user_sgpr_private_segment_size 0
		.amdhsa_wavefront_size32 1
		.amdhsa_uses_dynamic_stack 0
		.amdhsa_system_sgpr_private_segment_wavefront_offset 1
		.amdhsa_system_sgpr_workgroup_id_x 1
		.amdhsa_system_sgpr_workgroup_id_y 0
		.amdhsa_system_sgpr_workgroup_id_z 0
		.amdhsa_system_sgpr_workgroup_info 0
		.amdhsa_system_vgpr_workitem_id 0
		.amdhsa_next_free_vgpr 205
		.amdhsa_next_free_sgpr 93
		.amdhsa_reserve_vcc 1
		.amdhsa_reserve_flat_scratch 0
		.amdhsa_float_round_mode_32 0
		.amdhsa_float_round_mode_16_64 0
		.amdhsa_float_denorm_mode_32 3
		.amdhsa_float_denorm_mode_16_64 3
		.amdhsa_dx10_clamp 1
		.amdhsa_ieee_mode 1
		.amdhsa_fp16_overflow 0
		.amdhsa_workgroup_processor_mode 1
		.amdhsa_memory_ordered 1
		.amdhsa_forward_progress 1
		.amdhsa_shared_vgpr_count 0
		.amdhsa_exception_fp_ieee_invalid_op 0
		.amdhsa_exception_fp_denorm_src 0
		.amdhsa_exception_fp_ieee_div_zero 0
		.amdhsa_exception_fp_ieee_overflow 0
		.amdhsa_exception_fp_ieee_underflow 0
		.amdhsa_exception_fp_ieee_inexact 0
		.amdhsa_exception_int_div_zero 0
	.end_amdhsa_kernel
	.section	.text._ZN9rocsolver6v33100L18getri_kernel_smallILi55E19rocblas_complex_numIdEPKPS3_EEvT1_iilPiilS8_bb,"axG",@progbits,_ZN9rocsolver6v33100L18getri_kernel_smallILi55E19rocblas_complex_numIdEPKPS3_EEvT1_iilPiilS8_bb,comdat
.Lfunc_end118:
	.size	_ZN9rocsolver6v33100L18getri_kernel_smallILi55E19rocblas_complex_numIdEPKPS3_EEvT1_iilPiilS8_bb, .Lfunc_end118-_ZN9rocsolver6v33100L18getri_kernel_smallILi55E19rocblas_complex_numIdEPKPS3_EEvT1_iilPiilS8_bb
                                        ; -- End function
	.set _ZN9rocsolver6v33100L18getri_kernel_smallILi55E19rocblas_complex_numIdEPKPS3_EEvT1_iilPiilS8_bb.num_vgpr, 205
	.set _ZN9rocsolver6v33100L18getri_kernel_smallILi55E19rocblas_complex_numIdEPKPS3_EEvT1_iilPiilS8_bb.num_agpr, 0
	.set _ZN9rocsolver6v33100L18getri_kernel_smallILi55E19rocblas_complex_numIdEPKPS3_EEvT1_iilPiilS8_bb.numbered_sgpr, 93
	.set _ZN9rocsolver6v33100L18getri_kernel_smallILi55E19rocblas_complex_numIdEPKPS3_EEvT1_iilPiilS8_bb.num_named_barrier, 0
	.set _ZN9rocsolver6v33100L18getri_kernel_smallILi55E19rocblas_complex_numIdEPKPS3_EEvT1_iilPiilS8_bb.private_seg_size, 912
	.set _ZN9rocsolver6v33100L18getri_kernel_smallILi55E19rocblas_complex_numIdEPKPS3_EEvT1_iilPiilS8_bb.uses_vcc, 1
	.set _ZN9rocsolver6v33100L18getri_kernel_smallILi55E19rocblas_complex_numIdEPKPS3_EEvT1_iilPiilS8_bb.uses_flat_scratch, 0
	.set _ZN9rocsolver6v33100L18getri_kernel_smallILi55E19rocblas_complex_numIdEPKPS3_EEvT1_iilPiilS8_bb.has_dyn_sized_stack, 0
	.set _ZN9rocsolver6v33100L18getri_kernel_smallILi55E19rocblas_complex_numIdEPKPS3_EEvT1_iilPiilS8_bb.has_recursion, 0
	.set _ZN9rocsolver6v33100L18getri_kernel_smallILi55E19rocblas_complex_numIdEPKPS3_EEvT1_iilPiilS8_bb.has_indirect_call, 0
	.section	.AMDGPU.csdata,"",@progbits
; Kernel info:
; codeLenInByte = 197716
; TotalNumSgprs: 95
; NumVgprs: 205
; ScratchSize: 912
; MemoryBound: 0
; FloatMode: 240
; IeeeMode: 1
; LDSByteSize: 1768 bytes/workgroup (compile time only)
; SGPRBlocks: 0
; VGPRBlocks: 25
; NumSGPRsForWavesPerEU: 95
; NumVGPRsForWavesPerEU: 205
; Occupancy: 4
; WaveLimiterHint : 1
; COMPUTE_PGM_RSRC2:SCRATCH_EN: 1
; COMPUTE_PGM_RSRC2:USER_SGPR: 6
; COMPUTE_PGM_RSRC2:TRAP_HANDLER: 0
; COMPUTE_PGM_RSRC2:TGID_X_EN: 1
; COMPUTE_PGM_RSRC2:TGID_Y_EN: 0
; COMPUTE_PGM_RSRC2:TGID_Z_EN: 0
; COMPUTE_PGM_RSRC2:TIDIG_COMP_CNT: 0
	.section	.text._ZN9rocsolver6v33100L18getri_kernel_smallILi56E19rocblas_complex_numIdEPKPS3_EEvT1_iilPiilS8_bb,"axG",@progbits,_ZN9rocsolver6v33100L18getri_kernel_smallILi56E19rocblas_complex_numIdEPKPS3_EEvT1_iilPiilS8_bb,comdat
	.globl	_ZN9rocsolver6v33100L18getri_kernel_smallILi56E19rocblas_complex_numIdEPKPS3_EEvT1_iilPiilS8_bb ; -- Begin function _ZN9rocsolver6v33100L18getri_kernel_smallILi56E19rocblas_complex_numIdEPKPS3_EEvT1_iilPiilS8_bb
	.p2align	8
	.type	_ZN9rocsolver6v33100L18getri_kernel_smallILi56E19rocblas_complex_numIdEPKPS3_EEvT1_iilPiilS8_bb,@function
_ZN9rocsolver6v33100L18getri_kernel_smallILi56E19rocblas_complex_numIdEPKPS3_EEvT1_iilPiilS8_bb: ; @_ZN9rocsolver6v33100L18getri_kernel_smallILi56E19rocblas_complex_numIdEPKPS3_EEvT1_iilPiilS8_bb
; %bb.0:
	s_add_u32 s0, s0, s7
	s_addc_u32 s1, s1, 0
	s_mov_b32 s7, exec_lo
	v_cmpx_gt_u32_e32 56, v0
	s_cbranch_execz .LBB119_238
; %bb.1:
	s_clause 0x2
	s_load_dword s16, s[4:5], 0x38
	s_load_dwordx2 s[12:13], s[4:5], 0x0
	s_load_dwordx4 s[8:11], s[4:5], 0x28
	s_waitcnt lgkmcnt(0)
	s_bitcmp1_b32 s16, 8
	s_cselect_b32 s68, -1, 0
	s_ashr_i32 s7, s6, 31
	s_lshl_b64 s[14:15], s[6:7], 3
	s_add_u32 s12, s12, s14
	s_addc_u32 s13, s13, s15
	s_load_dwordx2 s[14:15], s[12:13], 0x0
	s_bfe_u32 s12, s16, 0x10008
	s_cmp_eq_u32 s12, 0
                                        ; implicit-def: $sgpr12_sgpr13
	s_cbranch_scc1 .LBB119_3
; %bb.2:
	s_clause 0x1
	s_load_dword s12, s[4:5], 0x20
	s_load_dwordx2 s[16:17], s[4:5], 0x18
	s_mul_i32 s13, s8, s7
	s_mul_hi_u32 s18, s8, s6
	s_mul_i32 s9, s9, s6
	s_add_i32 s13, s18, s13
	s_mul_i32 s8, s8, s6
	s_add_i32 s9, s13, s9
	s_lshl_b64 s[8:9], s[8:9], 2
	s_waitcnt lgkmcnt(0)
	s_ashr_i32 s13, s12, 31
	s_add_u32 s16, s16, s8
	s_addc_u32 s17, s17, s9
	s_lshl_b64 s[8:9], s[12:13], 2
	s_add_u32 s12, s16, s8
	s_addc_u32 s13, s17, s9
.LBB119_3:
	s_clause 0x1
	s_load_dwordx2 s[8:9], s[4:5], 0x8
	s_load_dword s69, s[4:5], 0x38
	v_lshlrev_b32_e32 v123, 4, v0
	s_movk_i32 s16, 0xa0
	s_movk_i32 s17, 0xb0
	;; [unrolled: 1-line block ×17, first 2 shown]
	s_waitcnt lgkmcnt(0)
	s_ashr_i32 s5, s8, 31
	s_mov_b32 s4, s8
	v_add3_u32 v5, s9, s9, v0
	s_lshl_b64 s[4:5], s[4:5], 4
	s_movk_i32 s34, 0x1b0
	s_add_u32 s8, s14, s4
	s_addc_u32 s14, s15, s5
	v_add_co_u32 v9, s4, s8, v123
	v_add_co_ci_u32_e64 v10, null, s14, 0, s4
	s_mov_b32 s4, s9
	s_ashr_i32 s5, s9, 31
	v_ashrrev_i32_e32 v6, 31, v5
	flat_load_dwordx4 v[1:4], v[9:10]
	s_lshl_b64 s[4:5], s[4:5], 4
	s_movk_i32 s15, 0x90
	v_add_co_u32 v63, vcc_lo, v9, s4
	v_add_co_ci_u32_e64 v64, null, s5, v10, vcc_lo
	v_lshlrev_b64 v[6:7], 4, v[5:6]
	v_add_nc_u32_e32 v5, s9, v5
	s_movk_i32 s4, 0x50
	s_movk_i32 s35, 0x1c0
	s_movk_i32 s36, 0x1d0
	s_movk_i32 s37, 0x1e0
	v_add_co_u32 v61, vcc_lo, s8, v6
	v_add_co_ci_u32_e64 v62, null, s14, v7, vcc_lo
	v_ashrrev_i32_e32 v6, 31, v5
	s_movk_i32 s70, 0x1f0
	s_movk_i32 s71, 0x200
	s_movk_i32 s72, 0x210
	s_movk_i32 s73, 0x220
	v_lshlrev_b64 v[6:7], 4, v[5:6]
	v_add_nc_u32_e32 v5, s9, v5
	s_movk_i32 s74, 0x230
	s_movk_i32 s75, 0x240
	s_movk_i32 s76, 0x250
	s_movk_i32 s77, 0x260
	v_add_co_u32 v57, vcc_lo, s8, v6
	v_add_co_ci_u32_e64 v58, null, s14, v7, vcc_lo
	v_ashrrev_i32_e32 v6, 31, v5
	s_movk_i32 s78, 0x270
	s_movk_i32 s79, 0x280
	s_movk_i32 s80, 0x290
	s_movk_i32 s81, 0x2a0
	v_lshlrev_b64 v[6:7], 4, v[5:6]
	v_add_nc_u32_e32 v5, s9, v5
	s_movk_i32 s82, 0x2b0
	s_movk_i32 s83, 0x2c0
	s_movk_i32 s84, 0x2d0
	s_movk_i32 s85, 0x2e0
	v_add_co_u32 v55, vcc_lo, s8, v6
	v_add_co_ci_u32_e64 v56, null, s14, v7, vcc_lo
	v_ashrrev_i32_e32 v6, 31, v5
	s_movk_i32 s86, 0x2f0
	s_movk_i32 s87, 0x300
	s_movk_i32 s88, 0x310
	s_movk_i32 s89, 0x320
	v_lshlrev_b64 v[6:7], 4, v[5:6]
	v_add_nc_u32_e32 v5, s9, v5
	s_movk_i32 s90, 0x330
	s_movk_i32 s91, 0x340
	;; [unrolled: 1-line block ×4, first 2 shown]
	v_add_co_u32 v53, vcc_lo, s8, v6
	v_add_co_ci_u32_e64 v54, null, s14, v7, vcc_lo
	v_ashrrev_i32_e32 v6, 31, v5
	s_movk_i32 s94, 0x370
	s_add_i32 s63, s4, 16
	s_add_i32 s59, s15, 16
	s_add_i32 s58, s16, 16
	v_lshlrev_b64 v[6:7], 4, v[5:6]
	v_add_nc_u32_e32 v5, s9, v5
	s_add_i32 s57, s17, 16
	s_add_i32 s56, s18, 16
	s_add_i32 s55, s19, 16
	s_add_i32 s54, s20, 16
	v_add_co_u32 v51, vcc_lo, s8, v6
	v_add_co_ci_u32_e64 v52, null, s14, v7, vcc_lo
	v_ashrrev_i32_e32 v6, 31, v5
	s_add_i32 s53, s21, 16
	s_add_i32 s52, s22, 16
	s_add_i32 s51, s23, 16
	s_add_i32 s50, s24, 16
	v_lshlrev_b64 v[6:7], 4, v[5:6]
	v_add_nc_u32_e32 v5, s9, v5
	s_add_i32 s49, s25, 16
	s_add_i32 s48, s26, 16
	s_add_i32 s47, s27, 16
	s_add_i32 s46, s28, 16
	v_add_co_u32 v49, vcc_lo, s8, v6
	v_add_co_ci_u32_e64 v50, null, s14, v7, vcc_lo
	v_ashrrev_i32_e32 v6, 31, v5
	s_add_i32 s45, s29, 16
	;; [unrolled: 13-line block ×5, first 2 shown]
	s_add_i32 s19, s87, 16
	s_add_i32 s18, s88, 16
	;; [unrolled: 1-line block ×3, first 2 shown]
	v_lshlrev_b64 v[6:7], 4, v[5:6]
	v_add_nc_u32_e32 v5, s9, v5
	s_add_i32 s16, s90, 16
	s_add_i32 s15, s91, 16
	s_mov_b32 s5, -1
	s_mov_b32 s67, 32
	v_add_co_u32 v41, vcc_lo, s8, v6
	v_add_co_ci_u32_e64 v42, null, s14, v7, vcc_lo
	v_ashrrev_i32_e32 v6, 31, v5
	s_mov_b32 s66, 48
	s_mov_b32 s65, 64
	s_movk_i32 s64, 0x50
	s_waitcnt vmcnt(0) lgkmcnt(0)
	buffer_store_dword v4, off, s[0:3], 0 offset:28
	buffer_store_dword v3, off, s[0:3], 0 offset:24
	buffer_store_dword v2, off, s[0:3], 0 offset:20
	buffer_store_dword v1, off, s[0:3], 0 offset:16
	flat_load_dwordx4 v[1:4], v[63:64]
	v_lshlrev_b64 v[6:7], 4, v[5:6]
	v_add_nc_u32_e32 v5, s9, v5
	s_waitcnt vmcnt(0) lgkmcnt(0)
	buffer_store_dword v4, off, s[0:3], 0 offset:44
	buffer_store_dword v3, off, s[0:3], 0 offset:40
	buffer_store_dword v2, off, s[0:3], 0 offset:36
	buffer_store_dword v1, off, s[0:3], 0 offset:32
	flat_load_dwordx4 v[1:4], v[61:62]
	v_add_co_u32 v37, vcc_lo, s8, v6
	v_add_co_ci_u32_e64 v38, null, s14, v7, vcc_lo
	v_ashrrev_i32_e32 v6, 31, v5
	s_waitcnt vmcnt(0) lgkmcnt(0)
	buffer_store_dword v4, off, s[0:3], 0 offset:60
	buffer_store_dword v3, off, s[0:3], 0 offset:56
	buffer_store_dword v2, off, s[0:3], 0 offset:52
	buffer_store_dword v1, off, s[0:3], 0 offset:48
	flat_load_dwordx4 v[1:4], v[57:58]
	v_lshlrev_b64 v[6:7], 4, v[5:6]
	v_add_nc_u32_e32 v5, s9, v5
	s_waitcnt vmcnt(0) lgkmcnt(0)
	buffer_store_dword v4, off, s[0:3], 0 offset:76
	buffer_store_dword v3, off, s[0:3], 0 offset:72
	buffer_store_dword v2, off, s[0:3], 0 offset:68
	buffer_store_dword v1, off, s[0:3], 0 offset:64
	flat_load_dwordx4 v[1:4], v[55:56]
	v_add_co_u32 v35, vcc_lo, s8, v6
	v_add_co_ci_u32_e64 v36, null, s14, v7, vcc_lo
	v_ashrrev_i32_e32 v6, 31, v5
	s_waitcnt vmcnt(0) lgkmcnt(0)
	buffer_store_dword v4, off, s[0:3], 0 offset:92
	buffer_store_dword v3, off, s[0:3], 0 offset:88
	buffer_store_dword v2, off, s[0:3], 0 offset:84
	buffer_store_dword v1, off, s[0:3], 0 offset:80
	flat_load_dwordx4 v[1:4], v[53:54]
	v_lshlrev_b64 v[6:7], 4, v[5:6]
	v_add_nc_u32_e32 v5, s9, v5
	s_waitcnt vmcnt(0) lgkmcnt(0)
	buffer_store_dword v4, off, s[0:3], 0 offset:108
	buffer_store_dword v3, off, s[0:3], 0 offset:104
	buffer_store_dword v2, off, s[0:3], 0 offset:100
	buffer_store_dword v1, off, s[0:3], 0 offset:96
	flat_load_dwordx4 v[1:4], v[51:52]
	v_add_co_u32 v33, vcc_lo, s8, v6
	v_add_co_ci_u32_e64 v34, null, s14, v7, vcc_lo
	v_ashrrev_i32_e32 v6, 31, v5
	s_waitcnt vmcnt(0) lgkmcnt(0)
	buffer_store_dword v4, off, s[0:3], 0 offset:124
	buffer_store_dword v3, off, s[0:3], 0 offset:120
	buffer_store_dword v2, off, s[0:3], 0 offset:116
	buffer_store_dword v1, off, s[0:3], 0 offset:112
	flat_load_dwordx4 v[1:4], v[49:50]
	v_lshlrev_b64 v[6:7], 4, v[5:6]
	v_add_nc_u32_e32 v5, s9, v5
	s_waitcnt vmcnt(0) lgkmcnt(0)
	buffer_store_dword v4, off, s[0:3], 0 offset:140
	buffer_store_dword v3, off, s[0:3], 0 offset:136
	buffer_store_dword v2, off, s[0:3], 0 offset:132
	buffer_store_dword v1, off, s[0:3], 0 offset:128
	flat_load_dwordx4 v[1:4], v[47:48]
	v_add_co_u32 v31, vcc_lo, s8, v6
	v_add_co_ci_u32_e64 v32, null, s14, v7, vcc_lo
	v_ashrrev_i32_e32 v6, 31, v5
	s_waitcnt vmcnt(0) lgkmcnt(0)
	buffer_store_dword v4, off, s[0:3], 0 offset:156
	buffer_store_dword v3, off, s[0:3], 0 offset:152
	buffer_store_dword v2, off, s[0:3], 0 offset:148
	buffer_store_dword v1, off, s[0:3], 0 offset:144
	flat_load_dwordx4 v[1:4], v[45:46]
	v_lshlrev_b64 v[6:7], 4, v[5:6]
	v_add_nc_u32_e32 v5, s9, v5
	s_waitcnt vmcnt(0) lgkmcnt(0)
	buffer_store_dword v4, off, s[0:3], 0 offset:172
	buffer_store_dword v3, off, s[0:3], 0 offset:168
	buffer_store_dword v2, off, s[0:3], 0 offset:164
	buffer_store_dword v1, off, s[0:3], 0 offset:160
	flat_load_dwordx4 v[1:4], v[43:44]
	v_add_co_u32 v29, vcc_lo, s8, v6
	v_add_co_ci_u32_e64 v30, null, s14, v7, vcc_lo
	v_ashrrev_i32_e32 v6, 31, v5
	s_waitcnt vmcnt(0) lgkmcnt(0)
	buffer_store_dword v4, off, s[0:3], 0 offset:188
	buffer_store_dword v3, off, s[0:3], 0 offset:184
	buffer_store_dword v2, off, s[0:3], 0 offset:180
	buffer_store_dword v1, off, s[0:3], 0 offset:176
	flat_load_dwordx4 v[1:4], v[41:42]
	v_lshlrev_b64 v[6:7], 4, v[5:6]
	v_add_nc_u32_e32 v5, s9, v5
	s_waitcnt vmcnt(0) lgkmcnt(0)
	buffer_store_dword v4, off, s[0:3], 0 offset:204
	buffer_store_dword v3, off, s[0:3], 0 offset:200
	buffer_store_dword v2, off, s[0:3], 0 offset:196
	buffer_store_dword v1, off, s[0:3], 0 offset:192
	flat_load_dwordx4 v[1:4], v[37:38]
	v_add_co_u32 v27, vcc_lo, s8, v6
	v_add_co_ci_u32_e64 v28, null, s14, v7, vcc_lo
	v_ashrrev_i32_e32 v6, 31, v5
	s_waitcnt vmcnt(0) lgkmcnt(0)
	buffer_store_dword v4, off, s[0:3], 0 offset:220
	buffer_store_dword v3, off, s[0:3], 0 offset:216
	buffer_store_dword v2, off, s[0:3], 0 offset:212
	buffer_store_dword v1, off, s[0:3], 0 offset:208
	flat_load_dwordx4 v[1:4], v[35:36]
	v_lshlrev_b64 v[6:7], 4, v[5:6]
	v_add_nc_u32_e32 v5, s9, v5
	s_waitcnt vmcnt(0) lgkmcnt(0)
	buffer_store_dword v4, off, s[0:3], 0 offset:236
	buffer_store_dword v3, off, s[0:3], 0 offset:232
	buffer_store_dword v2, off, s[0:3], 0 offset:228
	buffer_store_dword v1, off, s[0:3], 0 offset:224
	flat_load_dwordx4 v[1:4], v[33:34]
	v_add_co_u32 v25, vcc_lo, s8, v6
	v_add_co_ci_u32_e64 v26, null, s14, v7, vcc_lo
	v_ashrrev_i32_e32 v6, 31, v5
	s_waitcnt vmcnt(0) lgkmcnt(0)
	buffer_store_dword v4, off, s[0:3], 0 offset:252
	buffer_store_dword v3, off, s[0:3], 0 offset:248
	buffer_store_dword v2, off, s[0:3], 0 offset:244
	buffer_store_dword v1, off, s[0:3], 0 offset:240
	flat_load_dwordx4 v[1:4], v[31:32]
	v_lshlrev_b64 v[6:7], 4, v[5:6]
	v_add_nc_u32_e32 v5, s9, v5
	s_waitcnt vmcnt(0) lgkmcnt(0)
	buffer_store_dword v4, off, s[0:3], 0 offset:268
	buffer_store_dword v3, off, s[0:3], 0 offset:264
	buffer_store_dword v2, off, s[0:3], 0 offset:260
	buffer_store_dword v1, off, s[0:3], 0 offset:256
	flat_load_dwordx4 v[1:4], v[29:30]
	v_add_co_u32 v23, vcc_lo, s8, v6
	v_add_co_ci_u32_e64 v24, null, s14, v7, vcc_lo
	v_ashrrev_i32_e32 v6, 31, v5
	s_waitcnt vmcnt(0) lgkmcnt(0)
	buffer_store_dword v4, off, s[0:3], 0 offset:284
	buffer_store_dword v3, off, s[0:3], 0 offset:280
	buffer_store_dword v2, off, s[0:3], 0 offset:276
	buffer_store_dword v1, off, s[0:3], 0 offset:272
	flat_load_dwordx4 v[1:4], v[27:28]
	v_lshlrev_b64 v[6:7], 4, v[5:6]
	v_add_nc_u32_e32 v5, s9, v5
	s_waitcnt vmcnt(0) lgkmcnt(0)
	buffer_store_dword v4, off, s[0:3], 0 offset:300
	buffer_store_dword v3, off, s[0:3], 0 offset:296
	buffer_store_dword v2, off, s[0:3], 0 offset:292
	buffer_store_dword v1, off, s[0:3], 0 offset:288
	flat_load_dwordx4 v[1:4], v[25:26]
	v_add_co_u32 v21, vcc_lo, s8, v6
	v_add_co_ci_u32_e64 v22, null, s14, v7, vcc_lo
	v_ashrrev_i32_e32 v6, 31, v5
	s_waitcnt vmcnt(0) lgkmcnt(0)
	buffer_store_dword v4, off, s[0:3], 0 offset:316
	buffer_store_dword v3, off, s[0:3], 0 offset:312
	buffer_store_dword v2, off, s[0:3], 0 offset:308
	buffer_store_dword v1, off, s[0:3], 0 offset:304
	flat_load_dwordx4 v[1:4], v[23:24]
	v_lshlrev_b64 v[6:7], 4, v[5:6]
	v_add_nc_u32_e32 v5, s9, v5
	s_waitcnt vmcnt(0) lgkmcnt(0)
	buffer_store_dword v4, off, s[0:3], 0 offset:332
	buffer_store_dword v3, off, s[0:3], 0 offset:328
	buffer_store_dword v2, off, s[0:3], 0 offset:324
	buffer_store_dword v1, off, s[0:3], 0 offset:320
	flat_load_dwordx4 v[1:4], v[21:22]
	v_add_co_u32 v19, vcc_lo, s8, v6
	v_add_co_ci_u32_e64 v20, null, s14, v7, vcc_lo
	v_ashrrev_i32_e32 v6, 31, v5
	s_waitcnt vmcnt(0) lgkmcnt(0)
	buffer_store_dword v4, off, s[0:3], 0 offset:348
	buffer_store_dword v3, off, s[0:3], 0 offset:344
	;; [unrolled: 1-line block ×4, first 2 shown]
	flat_load_dwordx4 v[1:4], v[19:20]
	v_lshlrev_b64 v[6:7], 4, v[5:6]
	v_add_nc_u32_e32 v5, s9, v5
	s_waitcnt vmcnt(0) lgkmcnt(0)
	buffer_store_dword v4, off, s[0:3], 0 offset:364
	buffer_store_dword v3, off, s[0:3], 0 offset:360
	;; [unrolled: 1-line block ×4, first 2 shown]
	v_add_co_u32 v17, vcc_lo, s8, v6
	v_add_co_ci_u32_e64 v18, null, s14, v7, vcc_lo
	v_ashrrev_i32_e32 v6, 31, v5
	flat_load_dwordx4 v[1:4], v[17:18]
	s_waitcnt vmcnt(0) lgkmcnt(0)
	buffer_store_dword v4, off, s[0:3], 0 offset:380
	buffer_store_dword v3, off, s[0:3], 0 offset:376
	buffer_store_dword v2, off, s[0:3], 0 offset:372
	buffer_store_dword v1, off, s[0:3], 0 offset:368
	v_lshlrev_b64 v[6:7], 4, v[5:6]
	v_add_nc_u32_e32 v5, s9, v5
	v_add_co_u32 v15, vcc_lo, s8, v6
	v_add_co_ci_u32_e64 v16, null, s14, v7, vcc_lo
	v_ashrrev_i32_e32 v6, 31, v5
	flat_load_dwordx4 v[1:4], v[15:16]
	s_waitcnt vmcnt(0) lgkmcnt(0)
	buffer_store_dword v4, off, s[0:3], 0 offset:396
	buffer_store_dword v3, off, s[0:3], 0 offset:392
	buffer_store_dword v2, off, s[0:3], 0 offset:388
	buffer_store_dword v1, off, s[0:3], 0 offset:384
	v_lshlrev_b64 v[6:7], 4, v[5:6]
	v_add_nc_u32_e32 v5, s9, v5
	;; [unrolled: 11-line block ×32, first 2 shown]
	s_movk_i32 s9, 0x70
	s_add_i32 s61, s9, 16
	s_add_i32 s9, s93, 16
	v_add_co_u32 v117, vcc_lo, s8, v6
	v_add_co_ci_u32_e64 v118, null, s14, v7, vcc_lo
	v_ashrrev_i32_e32 v6, 31, v5
	flat_load_dwordx4 v[1:4], v[117:118]
	s_waitcnt vmcnt(0) lgkmcnt(0)
	buffer_store_dword v4, off, s[0:3], 0 offset:892
	buffer_store_dword v3, off, s[0:3], 0 offset:888
	;; [unrolled: 1-line block ×4, first 2 shown]
	v_lshlrev_b64 v[5:6], 4, v[5:6]
	v_add_co_u32 v119, vcc_lo, s8, v5
	v_add_co_ci_u32_e64 v120, null, s14, v6, vcc_lo
	s_movk_i32 s8, 0x60
	s_movk_i32 s14, 0x80
	s_add_i32 s62, s8, 16
	flat_load_dwordx4 v[1:4], v[119:120]
	s_add_i32 s60, s14, 16
	s_add_i32 s14, s92, 16
	;; [unrolled: 1-line block ×3, first 2 shown]
	s_bitcmp0_b32 s69, 0
	s_waitcnt vmcnt(0) lgkmcnt(0)
	buffer_store_dword v4, off, s[0:3], 0 offset:908
	buffer_store_dword v3, off, s[0:3], 0 offset:904
	;; [unrolled: 1-line block ×4, first 2 shown]
	s_cbranch_scc1 .LBB119_236
; %bb.4:
	v_cmp_eq_u32_e64 s4, 0, v0
	s_and_saveexec_b32 s5, s4
; %bb.5:
	v_mov_b32_e32 v1, 0
	ds_write_b32 v1, v1 offset:1792
; %bb.6:
	s_or_b32 exec_lo, exec_lo, s5
	v_lshl_add_u32 v124, v0, 4, 16
	s_waitcnt lgkmcnt(0)
	s_waitcnt_vscnt null, 0x0
	s_barrier
	buffer_gl0_inv
	s_clause 0x3
	buffer_load_dword v1, v124, s[0:3], 0 offen
	buffer_load_dword v2, v124, s[0:3], 0 offen offset:4
	buffer_load_dword v3, v124, s[0:3], 0 offen offset:8
	;; [unrolled: 1-line block ×3, first 2 shown]
	s_waitcnt vmcnt(2)
	v_cmp_eq_f64_e32 vcc_lo, 0, v[1:2]
	s_waitcnt vmcnt(0)
	v_cmp_eq_f64_e64 s5, 0, v[3:4]
	s_and_b32 s5, vcc_lo, s5
	s_and_saveexec_b32 s69, s5
	s_cbranch_execz .LBB119_10
; %bb.7:
	v_mov_b32_e32 v1, 0
	s_mov_b32 s70, 0
	ds_read_b32 v2, v1 offset:1792
	s_waitcnt lgkmcnt(0)
	v_readfirstlane_b32 s5, v2
	v_add_nc_u32_e32 v2, 1, v0
	s_cmp_eq_u32 s5, 0
	v_cmp_gt_i32_e32 vcc_lo, s5, v2
	s_cselect_b32 s71, -1, 0
	s_or_b32 s71, s71, vcc_lo
	s_and_b32 exec_lo, exec_lo, s71
	s_cbranch_execz .LBB119_10
; %bb.8:
	v_mov_b32_e32 v3, s5
.LBB119_9:                              ; =>This Inner Loop Header: Depth=1
	ds_cmpst_rtn_b32 v3, v1, v3, v2 offset:1792
	s_waitcnt lgkmcnt(0)
	v_cmp_ne_u32_e32 vcc_lo, 0, v3
	v_cmp_le_i32_e64 s5, v3, v2
	s_and_b32 s5, vcc_lo, s5
	s_and_b32 s5, exec_lo, s5
	s_or_b32 s70, s5, s70
	s_andn2_b32 exec_lo, exec_lo, s70
	s_cbranch_execnz .LBB119_9
.LBB119_10:
	s_or_b32 exec_lo, exec_lo, s69
	v_mov_b32_e32 v1, 0
	s_barrier
	buffer_gl0_inv
	ds_read_b32 v2, v1 offset:1792
	s_and_saveexec_b32 s5, s4
	s_cbranch_execz .LBB119_12
; %bb.11:
	s_lshl_b64 s[70:71], s[6:7], 2
	s_add_u32 s70, s10, s70
	s_addc_u32 s71, s11, s71
	s_waitcnt lgkmcnt(0)
	global_store_dword v1, v2, s[70:71]
.LBB119_12:
	s_or_b32 exec_lo, exec_lo, s5
	s_waitcnt lgkmcnt(0)
	v_cmp_ne_u32_e32 vcc_lo, 0, v2
	s_mov_b32 s5, 0
	s_cbranch_vccnz .LBB119_236
; %bb.13:
	s_clause 0x3
	buffer_load_dword v7, v124, s[0:3], 0 offen
	buffer_load_dword v8, v124, s[0:3], 0 offen offset:4
	buffer_load_dword v121, v124, s[0:3], 0 offen offset:8
	;; [unrolled: 1-line block ×3, first 2 shown]
                                        ; implicit-def: $vgpr5_vgpr6
                                        ; implicit-def: $vgpr3_vgpr4
	s_waitcnt vmcnt(0)
	v_cmp_ngt_f64_e64 s5, |v[7:8]|, |v[121:122]|
	s_and_saveexec_b32 s69, s5
	s_xor_b32 s5, exec_lo, s69
	s_cbranch_execz .LBB119_15
; %bb.14:
	v_div_scale_f64 v[1:2], null, v[121:122], v[121:122], v[7:8]
	v_div_scale_f64 v[125:126], vcc_lo, v[7:8], v[121:122], v[7:8]
	v_rcp_f64_e32 v[3:4], v[1:2]
	v_fma_f64 v[5:6], -v[1:2], v[3:4], 1.0
	v_fma_f64 v[3:4], v[3:4], v[5:6], v[3:4]
	v_fma_f64 v[5:6], -v[1:2], v[3:4], 1.0
	v_fma_f64 v[3:4], v[3:4], v[5:6], v[3:4]
	v_mul_f64 v[5:6], v[125:126], v[3:4]
	v_fma_f64 v[1:2], -v[1:2], v[5:6], v[125:126]
	v_div_fmas_f64 v[1:2], v[1:2], v[3:4], v[5:6]
	v_div_fixup_f64 v[1:2], v[1:2], v[121:122], v[7:8]
	v_fma_f64 v[3:4], v[7:8], v[1:2], v[121:122]
	v_div_scale_f64 v[5:6], null, v[3:4], v[3:4], 1.0
	v_div_scale_f64 v[125:126], vcc_lo, 1.0, v[3:4], 1.0
	v_rcp_f64_e32 v[7:8], v[5:6]
	v_fma_f64 v[121:122], -v[5:6], v[7:8], 1.0
	v_fma_f64 v[7:8], v[7:8], v[121:122], v[7:8]
	v_fma_f64 v[121:122], -v[5:6], v[7:8], 1.0
	v_fma_f64 v[7:8], v[7:8], v[121:122], v[7:8]
	v_mul_f64 v[121:122], v[125:126], v[7:8]
	v_fma_f64 v[5:6], -v[5:6], v[121:122], v[125:126]
	v_div_fmas_f64 v[5:6], v[5:6], v[7:8], v[121:122]
                                        ; implicit-def: $vgpr7_vgpr8
                                        ; implicit-def: $vgpr121_vgpr122
	v_div_fixup_f64 v[3:4], v[5:6], v[3:4], 1.0
	v_mul_f64 v[5:6], v[1:2], v[3:4]
	v_xor_b32_e32 v4, 0x80000000, v4
	v_xor_b32_e32 v2, 0x80000000, v6
	v_mov_b32_e32 v1, v5
.LBB119_15:
	s_andn2_saveexec_b32 s5, s5
	s_cbranch_execz .LBB119_17
; %bb.16:
	v_div_scale_f64 v[1:2], null, v[7:8], v[7:8], v[121:122]
	v_div_scale_f64 v[125:126], vcc_lo, v[121:122], v[7:8], v[121:122]
	v_rcp_f64_e32 v[3:4], v[1:2]
	v_fma_f64 v[5:6], -v[1:2], v[3:4], 1.0
	v_fma_f64 v[3:4], v[3:4], v[5:6], v[3:4]
	v_fma_f64 v[5:6], -v[1:2], v[3:4], 1.0
	v_fma_f64 v[3:4], v[3:4], v[5:6], v[3:4]
	v_mul_f64 v[5:6], v[125:126], v[3:4]
	v_fma_f64 v[1:2], -v[1:2], v[5:6], v[125:126]
	v_div_fmas_f64 v[1:2], v[1:2], v[3:4], v[5:6]
	v_div_fixup_f64 v[1:2], v[1:2], v[7:8], v[121:122]
	v_fma_f64 v[3:4], v[121:122], v[1:2], v[7:8]
	v_div_scale_f64 v[5:6], null, v[3:4], v[3:4], 1.0
	v_rcp_f64_e32 v[7:8], v[5:6]
	v_fma_f64 v[121:122], -v[5:6], v[7:8], 1.0
	v_fma_f64 v[7:8], v[7:8], v[121:122], v[7:8]
	v_fma_f64 v[121:122], -v[5:6], v[7:8], 1.0
	v_fma_f64 v[7:8], v[7:8], v[121:122], v[7:8]
	v_div_scale_f64 v[121:122], vcc_lo, 1.0, v[3:4], 1.0
	v_mul_f64 v[125:126], v[121:122], v[7:8]
	v_fma_f64 v[5:6], -v[5:6], v[125:126], v[121:122]
	v_div_fmas_f64 v[5:6], v[5:6], v[7:8], v[125:126]
	v_div_fixup_f64 v[5:6], v[5:6], v[3:4], 1.0
	v_mul_f64 v[3:4], v[1:2], -v[5:6]
	v_xor_b32_e32 v2, 0x80000000, v6
	v_mov_b32_e32 v1, v5
.LBB119_17:
	s_or_b32 exec_lo, exec_lo, s5
	v_mov_b32_e32 v7, s67
	buffer_store_dword v6, v124, s[0:3], 0 offen offset:4
	buffer_store_dword v5, v124, s[0:3], 0 offen
	buffer_store_dword v4, v124, s[0:3], 0 offen offset:12
	buffer_store_dword v3, v124, s[0:3], 0 offen offset:8
	v_xor_b32_e32 v4, 0x80000000, v4
	v_add_nc_u32_e32 v5, 0x380, v123
	s_clause 0x3
	buffer_load_dword v128, v7, s[0:3], 0 offen offset:12
	buffer_load_dword v127, v7, s[0:3], 0 offen offset:8
	;; [unrolled: 1-line block ×3, first 2 shown]
	buffer_load_dword v125, v7, s[0:3], 0 offen
	ds_write_b128 v123, v[1:4]
	s_waitcnt vmcnt(0)
	ds_write_b128 v123, v[125:128] offset:896
	s_waitcnt lgkmcnt(0)
	s_waitcnt_vscnt null, 0x0
	s_barrier
	buffer_gl0_inv
	s_and_saveexec_b32 s5, s4
	s_cbranch_execz .LBB119_19
; %bb.18:
	s_clause 0x3
	buffer_load_dword v6, v124, s[0:3], 0 offen offset:8
	buffer_load_dword v7, v124, s[0:3], 0 offen offset:12
	buffer_load_dword v121, v124, s[0:3], 0 offen
	buffer_load_dword v122, v124, s[0:3], 0 offen offset:4
	ds_read_b128 v[1:4], v5
	v_mov_b32_e32 v8, 0
	ds_read_b128 v[125:128], v8 offset:16
	s_waitcnt vmcnt(2) lgkmcnt(1)
	v_mul_f64 v[129:130], v[1:2], v[6:7]
	v_mul_f64 v[6:7], v[3:4], v[6:7]
	s_waitcnt vmcnt(0)
	v_fma_f64 v[3:4], v[3:4], v[121:122], v[129:130]
	v_fma_f64 v[1:2], v[1:2], v[121:122], -v[6:7]
	v_add_f64 v[3:4], v[3:4], 0
	v_add_f64 v[1:2], v[1:2], 0
	s_waitcnt lgkmcnt(0)
	v_mul_f64 v[6:7], v[3:4], v[127:128]
	v_mul_f64 v[121:122], v[1:2], v[127:128]
	v_fma_f64 v[1:2], v[1:2], v[125:126], -v[6:7]
	v_fma_f64 v[3:4], v[3:4], v[125:126], v[121:122]
	buffer_store_dword v1, off, s[0:3], 0 offset:32
	buffer_store_dword v2, off, s[0:3], 0 offset:36
	;; [unrolled: 1-line block ×4, first 2 shown]
.LBB119_19:
	s_or_b32 exec_lo, exec_lo, s5
	v_mov_b32_e32 v4, s66
	s_waitcnt_vscnt null, 0x0
	s_barrier
	buffer_gl0_inv
	s_mov_b32 s5, exec_lo
	s_clause 0x3
	buffer_load_dword v1, v4, s[0:3], 0 offen
	buffer_load_dword v2, v4, s[0:3], 0 offen offset:4
	buffer_load_dword v3, v4, s[0:3], 0 offen offset:8
	buffer_load_dword v4, v4, s[0:3], 0 offen offset:12
	s_waitcnt vmcnt(0)
	ds_write_b128 v5, v[1:4]
	s_waitcnt lgkmcnt(0)
	s_barrier
	buffer_gl0_inv
	v_cmpx_gt_u32_e32 2, v0
	s_cbranch_execz .LBB119_23
; %bb.20:
	s_clause 0x3
	buffer_load_dword v6, v124, s[0:3], 0 offen offset:8
	buffer_load_dword v7, v124, s[0:3], 0 offen offset:12
	buffer_load_dword v121, v124, s[0:3], 0 offen
	buffer_load_dword v122, v124, s[0:3], 0 offen offset:4
	ds_read_b128 v[1:4], v5
	s_waitcnt vmcnt(2) lgkmcnt(0)
	v_mul_f64 v[124:125], v[3:4], v[6:7]
	v_mul_f64 v[6:7], v[1:2], v[6:7]
	s_waitcnt vmcnt(0)
	v_fma_f64 v[1:2], v[1:2], v[121:122], -v[124:125]
	v_fma_f64 v[3:4], v[3:4], v[121:122], v[6:7]
	v_add_f64 v[1:2], v[1:2], 0
	v_add_f64 v[3:4], v[3:4], 0
	s_and_saveexec_b32 s69, s4
	s_cbranch_execz .LBB119_22
; %bb.21:
	s_clause 0x3
	buffer_load_dword v6, off, s[0:3], 0 offset:40
	buffer_load_dword v7, off, s[0:3], 0 offset:44
	;; [unrolled: 1-line block ×4, first 2 shown]
	v_mov_b32_e32 v8, 0
	ds_read_b128 v[124:127], v8 offset:912
	s_waitcnt vmcnt(2) lgkmcnt(0)
	v_mul_f64 v[128:129], v[124:125], v[6:7]
	v_mul_f64 v[6:7], v[126:127], v[6:7]
	s_waitcnt vmcnt(0)
	v_fma_f64 v[126:127], v[126:127], v[121:122], v[128:129]
	v_fma_f64 v[6:7], v[124:125], v[121:122], -v[6:7]
	v_add_f64 v[3:4], v[3:4], v[126:127]
	v_add_f64 v[1:2], v[1:2], v[6:7]
.LBB119_22:
	s_or_b32 exec_lo, exec_lo, s69
	v_mov_b32_e32 v6, 0
	ds_read_b128 v[124:127], v6 offset:32
	s_waitcnt lgkmcnt(0)
	v_mul_f64 v[6:7], v[3:4], v[126:127]
	v_mul_f64 v[121:122], v[1:2], v[126:127]
	v_fma_f64 v[1:2], v[1:2], v[124:125], -v[6:7]
	v_fma_f64 v[3:4], v[3:4], v[124:125], v[121:122]
	buffer_store_dword v2, off, s[0:3], 0 offset:52
	buffer_store_dword v1, off, s[0:3], 0 offset:48
	;; [unrolled: 1-line block ×4, first 2 shown]
.LBB119_23:
	s_or_b32 exec_lo, exec_lo, s5
	v_mov_b32_e32 v4, s65
	s_waitcnt_vscnt null, 0x0
	s_barrier
	buffer_gl0_inv
	v_add_nc_u32_e32 v6, -1, v0
	s_clause 0x3
	buffer_load_dword v1, v4, s[0:3], 0 offen
	buffer_load_dword v2, v4, s[0:3], 0 offen offset:4
	buffer_load_dword v3, v4, s[0:3], 0 offen offset:8
	;; [unrolled: 1-line block ×3, first 2 shown]
	s_mov_b32 s4, exec_lo
	s_waitcnt vmcnt(0)
	ds_write_b128 v5, v[1:4]
	s_waitcnt lgkmcnt(0)
	s_barrier
	buffer_gl0_inv
	v_cmpx_gt_u32_e32 3, v0
	s_cbranch_execz .LBB119_27
; %bb.24:
	v_mov_b32_e32 v1, 0
	v_mov_b32_e32 v3, 0
	v_add_nc_u32_e32 v7, -1, v0
	v_add_nc_u32_e32 v8, 0x380, v123
	v_mov_b32_e32 v2, 0
	v_mov_b32_e32 v4, 0
	v_add_nc_u32_e32 v121, 16, v123
	s_mov_b32 s5, 0
	.p2align	6
.LBB119_25:                             ; =>This Inner Loop Header: Depth=1
	s_clause 0x3
	buffer_load_dword v128, v121, s[0:3], 0 offen offset:8
	buffer_load_dword v129, v121, s[0:3], 0 offen offset:12
	buffer_load_dword v130, v121, s[0:3], 0 offen
	buffer_load_dword v131, v121, s[0:3], 0 offen offset:4
	ds_read_b128 v[124:127], v8
	v_add_nc_u32_e32 v7, 1, v7
	v_add_nc_u32_e32 v8, 16, v8
	;; [unrolled: 1-line block ×3, first 2 shown]
	v_cmp_lt_u32_e32 vcc_lo, 1, v7
	s_or_b32 s5, vcc_lo, s5
	s_waitcnt vmcnt(2) lgkmcnt(0)
	v_mul_f64 v[132:133], v[126:127], v[128:129]
	v_mul_f64 v[128:129], v[124:125], v[128:129]
	s_waitcnt vmcnt(0)
	v_fma_f64 v[124:125], v[124:125], v[130:131], -v[132:133]
	v_fma_f64 v[126:127], v[126:127], v[130:131], v[128:129]
	v_add_f64 v[3:4], v[3:4], v[124:125]
	v_add_f64 v[1:2], v[1:2], v[126:127]
	s_andn2_b32 exec_lo, exec_lo, s5
	s_cbranch_execnz .LBB119_25
; %bb.26:
	s_or_b32 exec_lo, exec_lo, s5
	v_mov_b32_e32 v7, 0
	ds_read_b128 v[124:127], v7 offset:48
	s_waitcnt lgkmcnt(0)
	v_mul_f64 v[7:8], v[1:2], v[126:127]
	v_mul_f64 v[121:122], v[3:4], v[126:127]
	v_fma_f64 v[3:4], v[3:4], v[124:125], -v[7:8]
	v_fma_f64 v[1:2], v[1:2], v[124:125], v[121:122]
	buffer_store_dword v4, off, s[0:3], 0 offset:68
	buffer_store_dword v3, off, s[0:3], 0 offset:64
	;; [unrolled: 1-line block ×4, first 2 shown]
.LBB119_27:
	s_or_b32 exec_lo, exec_lo, s4
	v_mov_b32_e32 v4, s64
	s_waitcnt_vscnt null, 0x0
	s_barrier
	buffer_gl0_inv
	s_mov_b32 s4, exec_lo
	s_clause 0x3
	buffer_load_dword v1, v4, s[0:3], 0 offen
	buffer_load_dword v2, v4, s[0:3], 0 offen offset:4
	buffer_load_dword v3, v4, s[0:3], 0 offen offset:8
	;; [unrolled: 1-line block ×3, first 2 shown]
	s_waitcnt vmcnt(0)
	ds_write_b128 v5, v[1:4]
	s_waitcnt lgkmcnt(0)
	s_barrier
	buffer_gl0_inv
	v_cmpx_gt_u32_e32 4, v0
	s_cbranch_execz .LBB119_31
; %bb.28:
	v_mov_b32_e32 v1, 0
	v_mov_b32_e32 v3, 0
	v_add_nc_u32_e32 v7, -1, v0
	v_add_nc_u32_e32 v8, 0x380, v123
	v_mov_b32_e32 v2, 0
	v_mov_b32_e32 v4, 0
	v_add_nc_u32_e32 v121, 16, v123
	s_mov_b32 s5, 0
	.p2align	6
.LBB119_29:                             ; =>This Inner Loop Header: Depth=1
	s_clause 0x3
	buffer_load_dword v128, v121, s[0:3], 0 offen offset:8
	buffer_load_dword v129, v121, s[0:3], 0 offen offset:12
	buffer_load_dword v130, v121, s[0:3], 0 offen
	buffer_load_dword v131, v121, s[0:3], 0 offen offset:4
	ds_read_b128 v[124:127], v8
	v_add_nc_u32_e32 v7, 1, v7
	v_add_nc_u32_e32 v8, 16, v8
	;; [unrolled: 1-line block ×3, first 2 shown]
	v_cmp_lt_u32_e32 vcc_lo, 2, v7
	s_or_b32 s5, vcc_lo, s5
	s_waitcnt vmcnt(2) lgkmcnt(0)
	v_mul_f64 v[132:133], v[126:127], v[128:129]
	v_mul_f64 v[128:129], v[124:125], v[128:129]
	s_waitcnt vmcnt(0)
	v_fma_f64 v[124:125], v[124:125], v[130:131], -v[132:133]
	v_fma_f64 v[126:127], v[126:127], v[130:131], v[128:129]
	v_add_f64 v[3:4], v[3:4], v[124:125]
	v_add_f64 v[1:2], v[1:2], v[126:127]
	s_andn2_b32 exec_lo, exec_lo, s5
	s_cbranch_execnz .LBB119_29
; %bb.30:
	s_or_b32 exec_lo, exec_lo, s5
	v_mov_b32_e32 v7, 0
	ds_read_b128 v[124:127], v7 offset:64
	s_waitcnt lgkmcnt(0)
	v_mul_f64 v[7:8], v[1:2], v[126:127]
	v_mul_f64 v[121:122], v[3:4], v[126:127]
	v_fma_f64 v[3:4], v[3:4], v[124:125], -v[7:8]
	v_fma_f64 v[1:2], v[1:2], v[124:125], v[121:122]
	buffer_store_dword v4, off, s[0:3], 0 offset:84
	buffer_store_dword v3, off, s[0:3], 0 offset:80
	;; [unrolled: 1-line block ×4, first 2 shown]
.LBB119_31:
	s_or_b32 exec_lo, exec_lo, s4
	v_mov_b32_e32 v4, s63
	s_waitcnt_vscnt null, 0x0
	s_barrier
	buffer_gl0_inv
	s_mov_b32 s4, exec_lo
	s_clause 0x3
	buffer_load_dword v1, v4, s[0:3], 0 offen
	buffer_load_dword v2, v4, s[0:3], 0 offen offset:4
	buffer_load_dword v3, v4, s[0:3], 0 offen offset:8
	;; [unrolled: 1-line block ×3, first 2 shown]
	s_waitcnt vmcnt(0)
	ds_write_b128 v5, v[1:4]
	s_waitcnt lgkmcnt(0)
	s_barrier
	buffer_gl0_inv
	v_cmpx_gt_u32_e32 5, v0
	s_cbranch_execz .LBB119_35
; %bb.32:
	v_mov_b32_e32 v1, 0
	v_mov_b32_e32 v3, 0
	v_add_nc_u32_e32 v7, -1, v0
	v_add_nc_u32_e32 v8, 0x380, v123
	v_mov_b32_e32 v2, 0
	v_mov_b32_e32 v4, 0
	v_add_nc_u32_e32 v121, 16, v123
	s_mov_b32 s5, 0
	.p2align	6
.LBB119_33:                             ; =>This Inner Loop Header: Depth=1
	s_clause 0x3
	buffer_load_dword v128, v121, s[0:3], 0 offen offset:8
	buffer_load_dword v129, v121, s[0:3], 0 offen offset:12
	buffer_load_dword v130, v121, s[0:3], 0 offen
	buffer_load_dword v131, v121, s[0:3], 0 offen offset:4
	ds_read_b128 v[124:127], v8
	v_add_nc_u32_e32 v7, 1, v7
	v_add_nc_u32_e32 v8, 16, v8
	;; [unrolled: 1-line block ×3, first 2 shown]
	v_cmp_lt_u32_e32 vcc_lo, 3, v7
	s_or_b32 s5, vcc_lo, s5
	s_waitcnt vmcnt(2) lgkmcnt(0)
	v_mul_f64 v[132:133], v[126:127], v[128:129]
	v_mul_f64 v[128:129], v[124:125], v[128:129]
	s_waitcnt vmcnt(0)
	v_fma_f64 v[124:125], v[124:125], v[130:131], -v[132:133]
	v_fma_f64 v[126:127], v[126:127], v[130:131], v[128:129]
	v_add_f64 v[3:4], v[3:4], v[124:125]
	v_add_f64 v[1:2], v[1:2], v[126:127]
	s_andn2_b32 exec_lo, exec_lo, s5
	s_cbranch_execnz .LBB119_33
; %bb.34:
	s_or_b32 exec_lo, exec_lo, s5
	v_mov_b32_e32 v7, 0
	ds_read_b128 v[124:127], v7 offset:80
	s_waitcnt lgkmcnt(0)
	v_mul_f64 v[7:8], v[1:2], v[126:127]
	v_mul_f64 v[121:122], v[3:4], v[126:127]
	v_fma_f64 v[3:4], v[3:4], v[124:125], -v[7:8]
	v_fma_f64 v[1:2], v[1:2], v[124:125], v[121:122]
	buffer_store_dword v4, off, s[0:3], 0 offset:100
	buffer_store_dword v3, off, s[0:3], 0 offset:96
	;; [unrolled: 1-line block ×4, first 2 shown]
.LBB119_35:
	s_or_b32 exec_lo, exec_lo, s4
	v_mov_b32_e32 v4, s62
	s_waitcnt_vscnt null, 0x0
	s_barrier
	buffer_gl0_inv
	s_mov_b32 s4, exec_lo
	s_clause 0x3
	buffer_load_dword v1, v4, s[0:3], 0 offen
	buffer_load_dword v2, v4, s[0:3], 0 offen offset:4
	buffer_load_dword v3, v4, s[0:3], 0 offen offset:8
	;; [unrolled: 1-line block ×3, first 2 shown]
	s_waitcnt vmcnt(0)
	ds_write_b128 v5, v[1:4]
	s_waitcnt lgkmcnt(0)
	s_barrier
	buffer_gl0_inv
	v_cmpx_gt_u32_e32 6, v0
	s_cbranch_execz .LBB119_39
; %bb.36:
	v_mov_b32_e32 v1, 0
	v_mov_b32_e32 v3, 0
	v_add_nc_u32_e32 v7, -1, v0
	v_add_nc_u32_e32 v8, 0x380, v123
	v_mov_b32_e32 v2, 0
	v_mov_b32_e32 v4, 0
	v_add_nc_u32_e32 v121, 16, v123
	s_mov_b32 s5, 0
	.p2align	6
.LBB119_37:                             ; =>This Inner Loop Header: Depth=1
	s_clause 0x3
	buffer_load_dword v128, v121, s[0:3], 0 offen offset:8
	buffer_load_dword v129, v121, s[0:3], 0 offen offset:12
	buffer_load_dword v130, v121, s[0:3], 0 offen
	buffer_load_dword v131, v121, s[0:3], 0 offen offset:4
	ds_read_b128 v[124:127], v8
	v_add_nc_u32_e32 v7, 1, v7
	v_add_nc_u32_e32 v8, 16, v8
	;; [unrolled: 1-line block ×3, first 2 shown]
	v_cmp_lt_u32_e32 vcc_lo, 4, v7
	s_or_b32 s5, vcc_lo, s5
	s_waitcnt vmcnt(2) lgkmcnt(0)
	v_mul_f64 v[132:133], v[126:127], v[128:129]
	v_mul_f64 v[128:129], v[124:125], v[128:129]
	s_waitcnt vmcnt(0)
	v_fma_f64 v[124:125], v[124:125], v[130:131], -v[132:133]
	v_fma_f64 v[126:127], v[126:127], v[130:131], v[128:129]
	v_add_f64 v[3:4], v[3:4], v[124:125]
	v_add_f64 v[1:2], v[1:2], v[126:127]
	s_andn2_b32 exec_lo, exec_lo, s5
	s_cbranch_execnz .LBB119_37
; %bb.38:
	s_or_b32 exec_lo, exec_lo, s5
	v_mov_b32_e32 v7, 0
	ds_read_b128 v[124:127], v7 offset:96
	s_waitcnt lgkmcnt(0)
	v_mul_f64 v[7:8], v[1:2], v[126:127]
	v_mul_f64 v[121:122], v[3:4], v[126:127]
	v_fma_f64 v[3:4], v[3:4], v[124:125], -v[7:8]
	v_fma_f64 v[1:2], v[1:2], v[124:125], v[121:122]
	buffer_store_dword v4, off, s[0:3], 0 offset:116
	buffer_store_dword v3, off, s[0:3], 0 offset:112
	;; [unrolled: 1-line block ×4, first 2 shown]
.LBB119_39:
	s_or_b32 exec_lo, exec_lo, s4
	v_mov_b32_e32 v4, s61
	s_waitcnt_vscnt null, 0x0
	s_barrier
	buffer_gl0_inv
	s_mov_b32 s4, exec_lo
	s_clause 0x3
	buffer_load_dword v1, v4, s[0:3], 0 offen
	buffer_load_dword v2, v4, s[0:3], 0 offen offset:4
	buffer_load_dword v3, v4, s[0:3], 0 offen offset:8
	;; [unrolled: 1-line block ×3, first 2 shown]
	s_waitcnt vmcnt(0)
	ds_write_b128 v5, v[1:4]
	s_waitcnt lgkmcnt(0)
	s_barrier
	buffer_gl0_inv
	v_cmpx_gt_u32_e32 7, v0
	s_cbranch_execz .LBB119_43
; %bb.40:
	v_mov_b32_e32 v1, 0
	v_mov_b32_e32 v3, 0
	v_add_nc_u32_e32 v7, -1, v0
	v_add_nc_u32_e32 v8, 0x380, v123
	v_mov_b32_e32 v2, 0
	v_mov_b32_e32 v4, 0
	v_add_nc_u32_e32 v121, 16, v123
	s_mov_b32 s5, 0
	.p2align	6
.LBB119_41:                             ; =>This Inner Loop Header: Depth=1
	s_clause 0x3
	buffer_load_dword v128, v121, s[0:3], 0 offen offset:8
	buffer_load_dword v129, v121, s[0:3], 0 offen offset:12
	buffer_load_dword v130, v121, s[0:3], 0 offen
	buffer_load_dword v131, v121, s[0:3], 0 offen offset:4
	ds_read_b128 v[124:127], v8
	v_add_nc_u32_e32 v7, 1, v7
	v_add_nc_u32_e32 v8, 16, v8
	;; [unrolled: 1-line block ×3, first 2 shown]
	v_cmp_lt_u32_e32 vcc_lo, 5, v7
	s_or_b32 s5, vcc_lo, s5
	s_waitcnt vmcnt(2) lgkmcnt(0)
	v_mul_f64 v[132:133], v[126:127], v[128:129]
	v_mul_f64 v[128:129], v[124:125], v[128:129]
	s_waitcnt vmcnt(0)
	v_fma_f64 v[124:125], v[124:125], v[130:131], -v[132:133]
	v_fma_f64 v[126:127], v[126:127], v[130:131], v[128:129]
	v_add_f64 v[3:4], v[3:4], v[124:125]
	v_add_f64 v[1:2], v[1:2], v[126:127]
	s_andn2_b32 exec_lo, exec_lo, s5
	s_cbranch_execnz .LBB119_41
; %bb.42:
	s_or_b32 exec_lo, exec_lo, s5
	v_mov_b32_e32 v7, 0
	ds_read_b128 v[124:127], v7 offset:112
	s_waitcnt lgkmcnt(0)
	v_mul_f64 v[7:8], v[1:2], v[126:127]
	v_mul_f64 v[121:122], v[3:4], v[126:127]
	v_fma_f64 v[3:4], v[3:4], v[124:125], -v[7:8]
	v_fma_f64 v[1:2], v[1:2], v[124:125], v[121:122]
	buffer_store_dword v4, off, s[0:3], 0 offset:132
	buffer_store_dword v3, off, s[0:3], 0 offset:128
	;; [unrolled: 1-line block ×4, first 2 shown]
.LBB119_43:
	s_or_b32 exec_lo, exec_lo, s4
	v_mov_b32_e32 v4, s60
	s_waitcnt_vscnt null, 0x0
	s_barrier
	buffer_gl0_inv
	s_mov_b32 s4, exec_lo
	s_clause 0x3
	buffer_load_dword v1, v4, s[0:3], 0 offen
	buffer_load_dword v2, v4, s[0:3], 0 offen offset:4
	buffer_load_dword v3, v4, s[0:3], 0 offen offset:8
	;; [unrolled: 1-line block ×3, first 2 shown]
	s_waitcnt vmcnt(0)
	ds_write_b128 v5, v[1:4]
	s_waitcnt lgkmcnt(0)
	s_barrier
	buffer_gl0_inv
	v_cmpx_gt_u32_e32 8, v0
	s_cbranch_execz .LBB119_47
; %bb.44:
	v_mov_b32_e32 v1, 0
	v_mov_b32_e32 v3, 0
	v_add_nc_u32_e32 v7, -1, v0
	v_add_nc_u32_e32 v8, 0x380, v123
	v_mov_b32_e32 v2, 0
	v_mov_b32_e32 v4, 0
	v_add_nc_u32_e32 v121, 16, v123
	s_mov_b32 s5, 0
	.p2align	6
.LBB119_45:                             ; =>This Inner Loop Header: Depth=1
	s_clause 0x3
	buffer_load_dword v128, v121, s[0:3], 0 offen offset:8
	buffer_load_dword v129, v121, s[0:3], 0 offen offset:12
	buffer_load_dword v130, v121, s[0:3], 0 offen
	buffer_load_dword v131, v121, s[0:3], 0 offen offset:4
	ds_read_b128 v[124:127], v8
	v_add_nc_u32_e32 v7, 1, v7
	v_add_nc_u32_e32 v8, 16, v8
	;; [unrolled: 1-line block ×3, first 2 shown]
	v_cmp_lt_u32_e32 vcc_lo, 6, v7
	s_or_b32 s5, vcc_lo, s5
	s_waitcnt vmcnt(2) lgkmcnt(0)
	v_mul_f64 v[132:133], v[126:127], v[128:129]
	v_mul_f64 v[128:129], v[124:125], v[128:129]
	s_waitcnt vmcnt(0)
	v_fma_f64 v[124:125], v[124:125], v[130:131], -v[132:133]
	v_fma_f64 v[126:127], v[126:127], v[130:131], v[128:129]
	v_add_f64 v[3:4], v[3:4], v[124:125]
	v_add_f64 v[1:2], v[1:2], v[126:127]
	s_andn2_b32 exec_lo, exec_lo, s5
	s_cbranch_execnz .LBB119_45
; %bb.46:
	s_or_b32 exec_lo, exec_lo, s5
	v_mov_b32_e32 v7, 0
	ds_read_b128 v[124:127], v7 offset:128
	s_waitcnt lgkmcnt(0)
	v_mul_f64 v[7:8], v[1:2], v[126:127]
	v_mul_f64 v[121:122], v[3:4], v[126:127]
	v_fma_f64 v[3:4], v[3:4], v[124:125], -v[7:8]
	v_fma_f64 v[1:2], v[1:2], v[124:125], v[121:122]
	buffer_store_dword v4, off, s[0:3], 0 offset:148
	buffer_store_dword v3, off, s[0:3], 0 offset:144
	;; [unrolled: 1-line block ×4, first 2 shown]
.LBB119_47:
	s_or_b32 exec_lo, exec_lo, s4
	v_mov_b32_e32 v4, s59
	s_waitcnt_vscnt null, 0x0
	s_barrier
	buffer_gl0_inv
	s_mov_b32 s4, exec_lo
	s_clause 0x3
	buffer_load_dword v1, v4, s[0:3], 0 offen
	buffer_load_dword v2, v4, s[0:3], 0 offen offset:4
	buffer_load_dword v3, v4, s[0:3], 0 offen offset:8
	;; [unrolled: 1-line block ×3, first 2 shown]
	s_waitcnt vmcnt(0)
	ds_write_b128 v5, v[1:4]
	s_waitcnt lgkmcnt(0)
	s_barrier
	buffer_gl0_inv
	v_cmpx_gt_u32_e32 9, v0
	s_cbranch_execz .LBB119_51
; %bb.48:
	v_mov_b32_e32 v1, 0
	v_mov_b32_e32 v3, 0
	v_add_nc_u32_e32 v7, -1, v0
	v_add_nc_u32_e32 v8, 0x380, v123
	v_mov_b32_e32 v2, 0
	v_mov_b32_e32 v4, 0
	v_add_nc_u32_e32 v121, 16, v123
	s_mov_b32 s5, 0
	.p2align	6
.LBB119_49:                             ; =>This Inner Loop Header: Depth=1
	s_clause 0x3
	buffer_load_dword v128, v121, s[0:3], 0 offen offset:8
	buffer_load_dword v129, v121, s[0:3], 0 offen offset:12
	buffer_load_dword v130, v121, s[0:3], 0 offen
	buffer_load_dword v131, v121, s[0:3], 0 offen offset:4
	ds_read_b128 v[124:127], v8
	v_add_nc_u32_e32 v7, 1, v7
	v_add_nc_u32_e32 v8, 16, v8
	;; [unrolled: 1-line block ×3, first 2 shown]
	v_cmp_lt_u32_e32 vcc_lo, 7, v7
	s_or_b32 s5, vcc_lo, s5
	s_waitcnt vmcnt(2) lgkmcnt(0)
	v_mul_f64 v[132:133], v[126:127], v[128:129]
	v_mul_f64 v[128:129], v[124:125], v[128:129]
	s_waitcnt vmcnt(0)
	v_fma_f64 v[124:125], v[124:125], v[130:131], -v[132:133]
	v_fma_f64 v[126:127], v[126:127], v[130:131], v[128:129]
	v_add_f64 v[3:4], v[3:4], v[124:125]
	v_add_f64 v[1:2], v[1:2], v[126:127]
	s_andn2_b32 exec_lo, exec_lo, s5
	s_cbranch_execnz .LBB119_49
; %bb.50:
	s_or_b32 exec_lo, exec_lo, s5
	v_mov_b32_e32 v7, 0
	ds_read_b128 v[124:127], v7 offset:144
	s_waitcnt lgkmcnt(0)
	v_mul_f64 v[7:8], v[1:2], v[126:127]
	v_mul_f64 v[121:122], v[3:4], v[126:127]
	v_fma_f64 v[3:4], v[3:4], v[124:125], -v[7:8]
	v_fma_f64 v[1:2], v[1:2], v[124:125], v[121:122]
	buffer_store_dword v4, off, s[0:3], 0 offset:164
	buffer_store_dword v3, off, s[0:3], 0 offset:160
	;; [unrolled: 1-line block ×4, first 2 shown]
.LBB119_51:
	s_or_b32 exec_lo, exec_lo, s4
	v_mov_b32_e32 v4, s58
	s_waitcnt_vscnt null, 0x0
	s_barrier
	buffer_gl0_inv
	s_mov_b32 s4, exec_lo
	s_clause 0x3
	buffer_load_dword v1, v4, s[0:3], 0 offen
	buffer_load_dword v2, v4, s[0:3], 0 offen offset:4
	buffer_load_dword v3, v4, s[0:3], 0 offen offset:8
	;; [unrolled: 1-line block ×3, first 2 shown]
	s_waitcnt vmcnt(0)
	ds_write_b128 v5, v[1:4]
	s_waitcnt lgkmcnt(0)
	s_barrier
	buffer_gl0_inv
	v_cmpx_gt_u32_e32 10, v0
	s_cbranch_execz .LBB119_55
; %bb.52:
	v_mov_b32_e32 v1, 0
	v_mov_b32_e32 v3, 0
	v_add_nc_u32_e32 v7, -1, v0
	v_add_nc_u32_e32 v8, 0x380, v123
	v_mov_b32_e32 v2, 0
	v_mov_b32_e32 v4, 0
	v_add_nc_u32_e32 v121, 16, v123
	s_mov_b32 s5, 0
	.p2align	6
.LBB119_53:                             ; =>This Inner Loop Header: Depth=1
	s_clause 0x3
	buffer_load_dword v128, v121, s[0:3], 0 offen offset:8
	buffer_load_dword v129, v121, s[0:3], 0 offen offset:12
	buffer_load_dword v130, v121, s[0:3], 0 offen
	buffer_load_dword v131, v121, s[0:3], 0 offen offset:4
	ds_read_b128 v[124:127], v8
	v_add_nc_u32_e32 v7, 1, v7
	v_add_nc_u32_e32 v8, 16, v8
	;; [unrolled: 1-line block ×3, first 2 shown]
	v_cmp_lt_u32_e32 vcc_lo, 8, v7
	s_or_b32 s5, vcc_lo, s5
	s_waitcnt vmcnt(2) lgkmcnt(0)
	v_mul_f64 v[132:133], v[126:127], v[128:129]
	v_mul_f64 v[128:129], v[124:125], v[128:129]
	s_waitcnt vmcnt(0)
	v_fma_f64 v[124:125], v[124:125], v[130:131], -v[132:133]
	v_fma_f64 v[126:127], v[126:127], v[130:131], v[128:129]
	v_add_f64 v[3:4], v[3:4], v[124:125]
	v_add_f64 v[1:2], v[1:2], v[126:127]
	s_andn2_b32 exec_lo, exec_lo, s5
	s_cbranch_execnz .LBB119_53
; %bb.54:
	s_or_b32 exec_lo, exec_lo, s5
	v_mov_b32_e32 v7, 0
	ds_read_b128 v[124:127], v7 offset:160
	s_waitcnt lgkmcnt(0)
	v_mul_f64 v[7:8], v[1:2], v[126:127]
	v_mul_f64 v[121:122], v[3:4], v[126:127]
	v_fma_f64 v[3:4], v[3:4], v[124:125], -v[7:8]
	v_fma_f64 v[1:2], v[1:2], v[124:125], v[121:122]
	buffer_store_dword v4, off, s[0:3], 0 offset:180
	buffer_store_dword v3, off, s[0:3], 0 offset:176
	;; [unrolled: 1-line block ×4, first 2 shown]
.LBB119_55:
	s_or_b32 exec_lo, exec_lo, s4
	v_mov_b32_e32 v4, s57
	s_waitcnt_vscnt null, 0x0
	s_barrier
	buffer_gl0_inv
	s_mov_b32 s4, exec_lo
	s_clause 0x3
	buffer_load_dword v1, v4, s[0:3], 0 offen
	buffer_load_dword v2, v4, s[0:3], 0 offen offset:4
	buffer_load_dword v3, v4, s[0:3], 0 offen offset:8
	;; [unrolled: 1-line block ×3, first 2 shown]
	s_waitcnt vmcnt(0)
	ds_write_b128 v5, v[1:4]
	s_waitcnt lgkmcnt(0)
	s_barrier
	buffer_gl0_inv
	v_cmpx_gt_u32_e32 11, v0
	s_cbranch_execz .LBB119_59
; %bb.56:
	v_mov_b32_e32 v1, 0
	v_mov_b32_e32 v3, 0
	v_add_nc_u32_e32 v7, -1, v0
	v_add_nc_u32_e32 v8, 0x380, v123
	v_mov_b32_e32 v2, 0
	v_mov_b32_e32 v4, 0
	v_add_nc_u32_e32 v121, 16, v123
	s_mov_b32 s5, 0
	.p2align	6
.LBB119_57:                             ; =>This Inner Loop Header: Depth=1
	s_clause 0x3
	buffer_load_dword v128, v121, s[0:3], 0 offen offset:8
	buffer_load_dword v129, v121, s[0:3], 0 offen offset:12
	buffer_load_dword v130, v121, s[0:3], 0 offen
	buffer_load_dword v131, v121, s[0:3], 0 offen offset:4
	ds_read_b128 v[124:127], v8
	v_add_nc_u32_e32 v7, 1, v7
	v_add_nc_u32_e32 v8, 16, v8
	;; [unrolled: 1-line block ×3, first 2 shown]
	v_cmp_lt_u32_e32 vcc_lo, 9, v7
	s_or_b32 s5, vcc_lo, s5
	s_waitcnt vmcnt(2) lgkmcnt(0)
	v_mul_f64 v[132:133], v[126:127], v[128:129]
	v_mul_f64 v[128:129], v[124:125], v[128:129]
	s_waitcnt vmcnt(0)
	v_fma_f64 v[124:125], v[124:125], v[130:131], -v[132:133]
	v_fma_f64 v[126:127], v[126:127], v[130:131], v[128:129]
	v_add_f64 v[3:4], v[3:4], v[124:125]
	v_add_f64 v[1:2], v[1:2], v[126:127]
	s_andn2_b32 exec_lo, exec_lo, s5
	s_cbranch_execnz .LBB119_57
; %bb.58:
	s_or_b32 exec_lo, exec_lo, s5
	v_mov_b32_e32 v7, 0
	ds_read_b128 v[124:127], v7 offset:176
	s_waitcnt lgkmcnt(0)
	v_mul_f64 v[7:8], v[1:2], v[126:127]
	v_mul_f64 v[121:122], v[3:4], v[126:127]
	v_fma_f64 v[3:4], v[3:4], v[124:125], -v[7:8]
	v_fma_f64 v[1:2], v[1:2], v[124:125], v[121:122]
	buffer_store_dword v4, off, s[0:3], 0 offset:196
	buffer_store_dword v3, off, s[0:3], 0 offset:192
	;; [unrolled: 1-line block ×4, first 2 shown]
.LBB119_59:
	s_or_b32 exec_lo, exec_lo, s4
	v_mov_b32_e32 v4, s56
	s_waitcnt_vscnt null, 0x0
	s_barrier
	buffer_gl0_inv
	s_mov_b32 s4, exec_lo
	s_clause 0x3
	buffer_load_dword v1, v4, s[0:3], 0 offen
	buffer_load_dword v2, v4, s[0:3], 0 offen offset:4
	buffer_load_dword v3, v4, s[0:3], 0 offen offset:8
	;; [unrolled: 1-line block ×3, first 2 shown]
	s_waitcnt vmcnt(0)
	ds_write_b128 v5, v[1:4]
	s_waitcnt lgkmcnt(0)
	s_barrier
	buffer_gl0_inv
	v_cmpx_gt_u32_e32 12, v0
	s_cbranch_execz .LBB119_63
; %bb.60:
	v_mov_b32_e32 v1, 0
	v_mov_b32_e32 v3, 0
	v_add_nc_u32_e32 v7, -1, v0
	v_add_nc_u32_e32 v8, 0x380, v123
	v_mov_b32_e32 v2, 0
	v_mov_b32_e32 v4, 0
	v_add_nc_u32_e32 v121, 16, v123
	s_mov_b32 s5, 0
	.p2align	6
.LBB119_61:                             ; =>This Inner Loop Header: Depth=1
	s_clause 0x3
	buffer_load_dword v128, v121, s[0:3], 0 offen offset:8
	buffer_load_dword v129, v121, s[0:3], 0 offen offset:12
	buffer_load_dword v130, v121, s[0:3], 0 offen
	buffer_load_dword v131, v121, s[0:3], 0 offen offset:4
	ds_read_b128 v[124:127], v8
	v_add_nc_u32_e32 v7, 1, v7
	v_add_nc_u32_e32 v8, 16, v8
	;; [unrolled: 1-line block ×3, first 2 shown]
	v_cmp_lt_u32_e32 vcc_lo, 10, v7
	s_or_b32 s5, vcc_lo, s5
	s_waitcnt vmcnt(2) lgkmcnt(0)
	v_mul_f64 v[132:133], v[126:127], v[128:129]
	v_mul_f64 v[128:129], v[124:125], v[128:129]
	s_waitcnt vmcnt(0)
	v_fma_f64 v[124:125], v[124:125], v[130:131], -v[132:133]
	v_fma_f64 v[126:127], v[126:127], v[130:131], v[128:129]
	v_add_f64 v[3:4], v[3:4], v[124:125]
	v_add_f64 v[1:2], v[1:2], v[126:127]
	s_andn2_b32 exec_lo, exec_lo, s5
	s_cbranch_execnz .LBB119_61
; %bb.62:
	s_or_b32 exec_lo, exec_lo, s5
	v_mov_b32_e32 v7, 0
	ds_read_b128 v[124:127], v7 offset:192
	s_waitcnt lgkmcnt(0)
	v_mul_f64 v[7:8], v[1:2], v[126:127]
	v_mul_f64 v[121:122], v[3:4], v[126:127]
	v_fma_f64 v[3:4], v[3:4], v[124:125], -v[7:8]
	v_fma_f64 v[1:2], v[1:2], v[124:125], v[121:122]
	buffer_store_dword v4, off, s[0:3], 0 offset:212
	buffer_store_dword v3, off, s[0:3], 0 offset:208
	;; [unrolled: 1-line block ×4, first 2 shown]
.LBB119_63:
	s_or_b32 exec_lo, exec_lo, s4
	v_mov_b32_e32 v4, s55
	s_waitcnt_vscnt null, 0x0
	s_barrier
	buffer_gl0_inv
	s_mov_b32 s4, exec_lo
	s_clause 0x3
	buffer_load_dword v1, v4, s[0:3], 0 offen
	buffer_load_dword v2, v4, s[0:3], 0 offen offset:4
	buffer_load_dword v3, v4, s[0:3], 0 offen offset:8
	;; [unrolled: 1-line block ×3, first 2 shown]
	s_waitcnt vmcnt(0)
	ds_write_b128 v5, v[1:4]
	s_waitcnt lgkmcnt(0)
	s_barrier
	buffer_gl0_inv
	v_cmpx_gt_u32_e32 13, v0
	s_cbranch_execz .LBB119_67
; %bb.64:
	v_mov_b32_e32 v1, 0
	v_mov_b32_e32 v3, 0
	v_add_nc_u32_e32 v7, -1, v0
	v_add_nc_u32_e32 v8, 0x380, v123
	v_mov_b32_e32 v2, 0
	v_mov_b32_e32 v4, 0
	v_add_nc_u32_e32 v121, 16, v123
	s_mov_b32 s5, 0
	.p2align	6
.LBB119_65:                             ; =>This Inner Loop Header: Depth=1
	s_clause 0x3
	buffer_load_dword v128, v121, s[0:3], 0 offen offset:8
	buffer_load_dword v129, v121, s[0:3], 0 offen offset:12
	buffer_load_dword v130, v121, s[0:3], 0 offen
	buffer_load_dword v131, v121, s[0:3], 0 offen offset:4
	ds_read_b128 v[124:127], v8
	v_add_nc_u32_e32 v7, 1, v7
	v_add_nc_u32_e32 v8, 16, v8
	;; [unrolled: 1-line block ×3, first 2 shown]
	v_cmp_lt_u32_e32 vcc_lo, 11, v7
	s_or_b32 s5, vcc_lo, s5
	s_waitcnt vmcnt(2) lgkmcnt(0)
	v_mul_f64 v[132:133], v[126:127], v[128:129]
	v_mul_f64 v[128:129], v[124:125], v[128:129]
	s_waitcnt vmcnt(0)
	v_fma_f64 v[124:125], v[124:125], v[130:131], -v[132:133]
	v_fma_f64 v[126:127], v[126:127], v[130:131], v[128:129]
	v_add_f64 v[3:4], v[3:4], v[124:125]
	v_add_f64 v[1:2], v[1:2], v[126:127]
	s_andn2_b32 exec_lo, exec_lo, s5
	s_cbranch_execnz .LBB119_65
; %bb.66:
	s_or_b32 exec_lo, exec_lo, s5
	v_mov_b32_e32 v7, 0
	ds_read_b128 v[124:127], v7 offset:208
	s_waitcnt lgkmcnt(0)
	v_mul_f64 v[7:8], v[1:2], v[126:127]
	v_mul_f64 v[121:122], v[3:4], v[126:127]
	v_fma_f64 v[3:4], v[3:4], v[124:125], -v[7:8]
	v_fma_f64 v[1:2], v[1:2], v[124:125], v[121:122]
	buffer_store_dword v4, off, s[0:3], 0 offset:228
	buffer_store_dword v3, off, s[0:3], 0 offset:224
	;; [unrolled: 1-line block ×4, first 2 shown]
.LBB119_67:
	s_or_b32 exec_lo, exec_lo, s4
	v_mov_b32_e32 v4, s54
	s_waitcnt_vscnt null, 0x0
	s_barrier
	buffer_gl0_inv
	s_mov_b32 s4, exec_lo
	s_clause 0x3
	buffer_load_dword v1, v4, s[0:3], 0 offen
	buffer_load_dword v2, v4, s[0:3], 0 offen offset:4
	buffer_load_dword v3, v4, s[0:3], 0 offen offset:8
	;; [unrolled: 1-line block ×3, first 2 shown]
	s_waitcnt vmcnt(0)
	ds_write_b128 v5, v[1:4]
	s_waitcnt lgkmcnt(0)
	s_barrier
	buffer_gl0_inv
	v_cmpx_gt_u32_e32 14, v0
	s_cbranch_execz .LBB119_71
; %bb.68:
	v_mov_b32_e32 v1, 0
	v_mov_b32_e32 v3, 0
	v_add_nc_u32_e32 v7, -1, v0
	v_add_nc_u32_e32 v8, 0x380, v123
	v_mov_b32_e32 v2, 0
	v_mov_b32_e32 v4, 0
	v_add_nc_u32_e32 v121, 16, v123
	s_mov_b32 s5, 0
	.p2align	6
.LBB119_69:                             ; =>This Inner Loop Header: Depth=1
	s_clause 0x3
	buffer_load_dword v128, v121, s[0:3], 0 offen offset:8
	buffer_load_dword v129, v121, s[0:3], 0 offen offset:12
	buffer_load_dword v130, v121, s[0:3], 0 offen
	buffer_load_dword v131, v121, s[0:3], 0 offen offset:4
	ds_read_b128 v[124:127], v8
	v_add_nc_u32_e32 v7, 1, v7
	v_add_nc_u32_e32 v8, 16, v8
	;; [unrolled: 1-line block ×3, first 2 shown]
	v_cmp_lt_u32_e32 vcc_lo, 12, v7
	s_or_b32 s5, vcc_lo, s5
	s_waitcnt vmcnt(2) lgkmcnt(0)
	v_mul_f64 v[132:133], v[126:127], v[128:129]
	v_mul_f64 v[128:129], v[124:125], v[128:129]
	s_waitcnt vmcnt(0)
	v_fma_f64 v[124:125], v[124:125], v[130:131], -v[132:133]
	v_fma_f64 v[126:127], v[126:127], v[130:131], v[128:129]
	v_add_f64 v[3:4], v[3:4], v[124:125]
	v_add_f64 v[1:2], v[1:2], v[126:127]
	s_andn2_b32 exec_lo, exec_lo, s5
	s_cbranch_execnz .LBB119_69
; %bb.70:
	s_or_b32 exec_lo, exec_lo, s5
	v_mov_b32_e32 v7, 0
	ds_read_b128 v[124:127], v7 offset:224
	s_waitcnt lgkmcnt(0)
	v_mul_f64 v[7:8], v[1:2], v[126:127]
	v_mul_f64 v[121:122], v[3:4], v[126:127]
	v_fma_f64 v[3:4], v[3:4], v[124:125], -v[7:8]
	v_fma_f64 v[1:2], v[1:2], v[124:125], v[121:122]
	buffer_store_dword v4, off, s[0:3], 0 offset:244
	buffer_store_dword v3, off, s[0:3], 0 offset:240
	;; [unrolled: 1-line block ×4, first 2 shown]
.LBB119_71:
	s_or_b32 exec_lo, exec_lo, s4
	v_mov_b32_e32 v4, s53
	s_waitcnt_vscnt null, 0x0
	s_barrier
	buffer_gl0_inv
	s_mov_b32 s4, exec_lo
	s_clause 0x3
	buffer_load_dword v1, v4, s[0:3], 0 offen
	buffer_load_dword v2, v4, s[0:3], 0 offen offset:4
	buffer_load_dword v3, v4, s[0:3], 0 offen offset:8
	;; [unrolled: 1-line block ×3, first 2 shown]
	s_waitcnt vmcnt(0)
	ds_write_b128 v5, v[1:4]
	s_waitcnt lgkmcnt(0)
	s_barrier
	buffer_gl0_inv
	v_cmpx_gt_u32_e32 15, v0
	s_cbranch_execz .LBB119_75
; %bb.72:
	v_mov_b32_e32 v1, 0
	v_mov_b32_e32 v3, 0
	v_add_nc_u32_e32 v7, -1, v0
	v_add_nc_u32_e32 v8, 0x380, v123
	v_mov_b32_e32 v2, 0
	v_mov_b32_e32 v4, 0
	v_add_nc_u32_e32 v121, 16, v123
	s_mov_b32 s5, 0
	.p2align	6
.LBB119_73:                             ; =>This Inner Loop Header: Depth=1
	s_clause 0x3
	buffer_load_dword v128, v121, s[0:3], 0 offen offset:8
	buffer_load_dword v129, v121, s[0:3], 0 offen offset:12
	buffer_load_dword v130, v121, s[0:3], 0 offen
	buffer_load_dword v131, v121, s[0:3], 0 offen offset:4
	ds_read_b128 v[124:127], v8
	v_add_nc_u32_e32 v7, 1, v7
	v_add_nc_u32_e32 v8, 16, v8
	;; [unrolled: 1-line block ×3, first 2 shown]
	v_cmp_lt_u32_e32 vcc_lo, 13, v7
	s_or_b32 s5, vcc_lo, s5
	s_waitcnt vmcnt(2) lgkmcnt(0)
	v_mul_f64 v[132:133], v[126:127], v[128:129]
	v_mul_f64 v[128:129], v[124:125], v[128:129]
	s_waitcnt vmcnt(0)
	v_fma_f64 v[124:125], v[124:125], v[130:131], -v[132:133]
	v_fma_f64 v[126:127], v[126:127], v[130:131], v[128:129]
	v_add_f64 v[3:4], v[3:4], v[124:125]
	v_add_f64 v[1:2], v[1:2], v[126:127]
	s_andn2_b32 exec_lo, exec_lo, s5
	s_cbranch_execnz .LBB119_73
; %bb.74:
	s_or_b32 exec_lo, exec_lo, s5
	v_mov_b32_e32 v7, 0
	ds_read_b128 v[124:127], v7 offset:240
	s_waitcnt lgkmcnt(0)
	v_mul_f64 v[7:8], v[1:2], v[126:127]
	v_mul_f64 v[121:122], v[3:4], v[126:127]
	v_fma_f64 v[3:4], v[3:4], v[124:125], -v[7:8]
	v_fma_f64 v[1:2], v[1:2], v[124:125], v[121:122]
	buffer_store_dword v4, off, s[0:3], 0 offset:260
	buffer_store_dword v3, off, s[0:3], 0 offset:256
	;; [unrolled: 1-line block ×4, first 2 shown]
.LBB119_75:
	s_or_b32 exec_lo, exec_lo, s4
	v_mov_b32_e32 v4, s52
	s_waitcnt_vscnt null, 0x0
	s_barrier
	buffer_gl0_inv
	s_mov_b32 s4, exec_lo
	s_clause 0x3
	buffer_load_dword v1, v4, s[0:3], 0 offen
	buffer_load_dword v2, v4, s[0:3], 0 offen offset:4
	buffer_load_dword v3, v4, s[0:3], 0 offen offset:8
	;; [unrolled: 1-line block ×3, first 2 shown]
	s_waitcnt vmcnt(0)
	ds_write_b128 v5, v[1:4]
	s_waitcnt lgkmcnt(0)
	s_barrier
	buffer_gl0_inv
	v_cmpx_gt_u32_e32 16, v0
	s_cbranch_execz .LBB119_79
; %bb.76:
	v_mov_b32_e32 v1, 0
	v_mov_b32_e32 v3, 0
	v_add_nc_u32_e32 v7, -1, v0
	v_add_nc_u32_e32 v8, 0x380, v123
	v_mov_b32_e32 v2, 0
	v_mov_b32_e32 v4, 0
	v_add_nc_u32_e32 v121, 16, v123
	s_mov_b32 s5, 0
	.p2align	6
.LBB119_77:                             ; =>This Inner Loop Header: Depth=1
	s_clause 0x3
	buffer_load_dword v128, v121, s[0:3], 0 offen offset:8
	buffer_load_dword v129, v121, s[0:3], 0 offen offset:12
	buffer_load_dword v130, v121, s[0:3], 0 offen
	buffer_load_dword v131, v121, s[0:3], 0 offen offset:4
	ds_read_b128 v[124:127], v8
	v_add_nc_u32_e32 v7, 1, v7
	v_add_nc_u32_e32 v8, 16, v8
	;; [unrolled: 1-line block ×3, first 2 shown]
	v_cmp_lt_u32_e32 vcc_lo, 14, v7
	s_or_b32 s5, vcc_lo, s5
	s_waitcnt vmcnt(2) lgkmcnt(0)
	v_mul_f64 v[132:133], v[126:127], v[128:129]
	v_mul_f64 v[128:129], v[124:125], v[128:129]
	s_waitcnt vmcnt(0)
	v_fma_f64 v[124:125], v[124:125], v[130:131], -v[132:133]
	v_fma_f64 v[126:127], v[126:127], v[130:131], v[128:129]
	v_add_f64 v[3:4], v[3:4], v[124:125]
	v_add_f64 v[1:2], v[1:2], v[126:127]
	s_andn2_b32 exec_lo, exec_lo, s5
	s_cbranch_execnz .LBB119_77
; %bb.78:
	s_or_b32 exec_lo, exec_lo, s5
	v_mov_b32_e32 v7, 0
	ds_read_b128 v[124:127], v7 offset:256
	s_waitcnt lgkmcnt(0)
	v_mul_f64 v[7:8], v[1:2], v[126:127]
	v_mul_f64 v[121:122], v[3:4], v[126:127]
	v_fma_f64 v[3:4], v[3:4], v[124:125], -v[7:8]
	v_fma_f64 v[1:2], v[1:2], v[124:125], v[121:122]
	buffer_store_dword v4, off, s[0:3], 0 offset:276
	buffer_store_dword v3, off, s[0:3], 0 offset:272
	;; [unrolled: 1-line block ×4, first 2 shown]
.LBB119_79:
	s_or_b32 exec_lo, exec_lo, s4
	v_mov_b32_e32 v4, s51
	s_waitcnt_vscnt null, 0x0
	s_barrier
	buffer_gl0_inv
	s_mov_b32 s4, exec_lo
	s_clause 0x3
	buffer_load_dword v1, v4, s[0:3], 0 offen
	buffer_load_dword v2, v4, s[0:3], 0 offen offset:4
	buffer_load_dword v3, v4, s[0:3], 0 offen offset:8
	;; [unrolled: 1-line block ×3, first 2 shown]
	s_waitcnt vmcnt(0)
	ds_write_b128 v5, v[1:4]
	s_waitcnt lgkmcnt(0)
	s_barrier
	buffer_gl0_inv
	v_cmpx_gt_u32_e32 17, v0
	s_cbranch_execz .LBB119_83
; %bb.80:
	v_mov_b32_e32 v1, 0
	v_mov_b32_e32 v3, 0
	v_add_nc_u32_e32 v7, -1, v0
	v_add_nc_u32_e32 v8, 0x380, v123
	v_mov_b32_e32 v2, 0
	v_mov_b32_e32 v4, 0
	v_add_nc_u32_e32 v121, 16, v123
	s_mov_b32 s5, 0
	.p2align	6
.LBB119_81:                             ; =>This Inner Loop Header: Depth=1
	s_clause 0x3
	buffer_load_dword v128, v121, s[0:3], 0 offen offset:8
	buffer_load_dword v129, v121, s[0:3], 0 offen offset:12
	buffer_load_dword v130, v121, s[0:3], 0 offen
	buffer_load_dword v131, v121, s[0:3], 0 offen offset:4
	ds_read_b128 v[124:127], v8
	v_add_nc_u32_e32 v7, 1, v7
	v_add_nc_u32_e32 v8, 16, v8
	;; [unrolled: 1-line block ×3, first 2 shown]
	v_cmp_lt_u32_e32 vcc_lo, 15, v7
	s_or_b32 s5, vcc_lo, s5
	s_waitcnt vmcnt(2) lgkmcnt(0)
	v_mul_f64 v[132:133], v[126:127], v[128:129]
	v_mul_f64 v[128:129], v[124:125], v[128:129]
	s_waitcnt vmcnt(0)
	v_fma_f64 v[124:125], v[124:125], v[130:131], -v[132:133]
	v_fma_f64 v[126:127], v[126:127], v[130:131], v[128:129]
	v_add_f64 v[3:4], v[3:4], v[124:125]
	v_add_f64 v[1:2], v[1:2], v[126:127]
	s_andn2_b32 exec_lo, exec_lo, s5
	s_cbranch_execnz .LBB119_81
; %bb.82:
	s_or_b32 exec_lo, exec_lo, s5
	v_mov_b32_e32 v7, 0
	ds_read_b128 v[124:127], v7 offset:272
	s_waitcnt lgkmcnt(0)
	v_mul_f64 v[7:8], v[1:2], v[126:127]
	v_mul_f64 v[121:122], v[3:4], v[126:127]
	v_fma_f64 v[3:4], v[3:4], v[124:125], -v[7:8]
	v_fma_f64 v[1:2], v[1:2], v[124:125], v[121:122]
	buffer_store_dword v4, off, s[0:3], 0 offset:292
	buffer_store_dword v3, off, s[0:3], 0 offset:288
	;; [unrolled: 1-line block ×4, first 2 shown]
.LBB119_83:
	s_or_b32 exec_lo, exec_lo, s4
	v_mov_b32_e32 v4, s50
	s_waitcnt_vscnt null, 0x0
	s_barrier
	buffer_gl0_inv
	s_mov_b32 s4, exec_lo
	s_clause 0x3
	buffer_load_dword v1, v4, s[0:3], 0 offen
	buffer_load_dword v2, v4, s[0:3], 0 offen offset:4
	buffer_load_dword v3, v4, s[0:3], 0 offen offset:8
	;; [unrolled: 1-line block ×3, first 2 shown]
	s_waitcnt vmcnt(0)
	ds_write_b128 v5, v[1:4]
	s_waitcnt lgkmcnt(0)
	s_barrier
	buffer_gl0_inv
	v_cmpx_gt_u32_e32 18, v0
	s_cbranch_execz .LBB119_87
; %bb.84:
	v_mov_b32_e32 v1, 0
	v_mov_b32_e32 v3, 0
	v_add_nc_u32_e32 v7, -1, v0
	v_add_nc_u32_e32 v8, 0x380, v123
	v_mov_b32_e32 v2, 0
	v_mov_b32_e32 v4, 0
	v_add_nc_u32_e32 v121, 16, v123
	s_mov_b32 s5, 0
	.p2align	6
.LBB119_85:                             ; =>This Inner Loop Header: Depth=1
	s_clause 0x3
	buffer_load_dword v128, v121, s[0:3], 0 offen offset:8
	buffer_load_dword v129, v121, s[0:3], 0 offen offset:12
	buffer_load_dword v130, v121, s[0:3], 0 offen
	buffer_load_dword v131, v121, s[0:3], 0 offen offset:4
	ds_read_b128 v[124:127], v8
	v_add_nc_u32_e32 v7, 1, v7
	v_add_nc_u32_e32 v8, 16, v8
	;; [unrolled: 1-line block ×3, first 2 shown]
	v_cmp_lt_u32_e32 vcc_lo, 16, v7
	s_or_b32 s5, vcc_lo, s5
	s_waitcnt vmcnt(2) lgkmcnt(0)
	v_mul_f64 v[132:133], v[126:127], v[128:129]
	v_mul_f64 v[128:129], v[124:125], v[128:129]
	s_waitcnt vmcnt(0)
	v_fma_f64 v[124:125], v[124:125], v[130:131], -v[132:133]
	v_fma_f64 v[126:127], v[126:127], v[130:131], v[128:129]
	v_add_f64 v[3:4], v[3:4], v[124:125]
	v_add_f64 v[1:2], v[1:2], v[126:127]
	s_andn2_b32 exec_lo, exec_lo, s5
	s_cbranch_execnz .LBB119_85
; %bb.86:
	s_or_b32 exec_lo, exec_lo, s5
	v_mov_b32_e32 v7, 0
	ds_read_b128 v[124:127], v7 offset:288
	s_waitcnt lgkmcnt(0)
	v_mul_f64 v[7:8], v[1:2], v[126:127]
	v_mul_f64 v[121:122], v[3:4], v[126:127]
	v_fma_f64 v[3:4], v[3:4], v[124:125], -v[7:8]
	v_fma_f64 v[1:2], v[1:2], v[124:125], v[121:122]
	buffer_store_dword v4, off, s[0:3], 0 offset:308
	buffer_store_dword v3, off, s[0:3], 0 offset:304
	;; [unrolled: 1-line block ×4, first 2 shown]
.LBB119_87:
	s_or_b32 exec_lo, exec_lo, s4
	v_mov_b32_e32 v4, s49
	s_waitcnt_vscnt null, 0x0
	s_barrier
	buffer_gl0_inv
	s_mov_b32 s4, exec_lo
	s_clause 0x3
	buffer_load_dword v1, v4, s[0:3], 0 offen
	buffer_load_dword v2, v4, s[0:3], 0 offen offset:4
	buffer_load_dword v3, v4, s[0:3], 0 offen offset:8
	;; [unrolled: 1-line block ×3, first 2 shown]
	s_waitcnt vmcnt(0)
	ds_write_b128 v5, v[1:4]
	s_waitcnt lgkmcnt(0)
	s_barrier
	buffer_gl0_inv
	v_cmpx_gt_u32_e32 19, v0
	s_cbranch_execz .LBB119_91
; %bb.88:
	v_mov_b32_e32 v1, 0
	v_mov_b32_e32 v3, 0
	v_add_nc_u32_e32 v7, -1, v0
	v_add_nc_u32_e32 v8, 0x380, v123
	v_mov_b32_e32 v2, 0
	v_mov_b32_e32 v4, 0
	v_add_nc_u32_e32 v121, 16, v123
	s_mov_b32 s5, 0
	.p2align	6
.LBB119_89:                             ; =>This Inner Loop Header: Depth=1
	s_clause 0x3
	buffer_load_dword v128, v121, s[0:3], 0 offen offset:8
	buffer_load_dword v129, v121, s[0:3], 0 offen offset:12
	buffer_load_dword v130, v121, s[0:3], 0 offen
	buffer_load_dword v131, v121, s[0:3], 0 offen offset:4
	ds_read_b128 v[124:127], v8
	v_add_nc_u32_e32 v7, 1, v7
	v_add_nc_u32_e32 v8, 16, v8
	;; [unrolled: 1-line block ×3, first 2 shown]
	v_cmp_lt_u32_e32 vcc_lo, 17, v7
	s_or_b32 s5, vcc_lo, s5
	s_waitcnt vmcnt(2) lgkmcnt(0)
	v_mul_f64 v[132:133], v[126:127], v[128:129]
	v_mul_f64 v[128:129], v[124:125], v[128:129]
	s_waitcnt vmcnt(0)
	v_fma_f64 v[124:125], v[124:125], v[130:131], -v[132:133]
	v_fma_f64 v[126:127], v[126:127], v[130:131], v[128:129]
	v_add_f64 v[3:4], v[3:4], v[124:125]
	v_add_f64 v[1:2], v[1:2], v[126:127]
	s_andn2_b32 exec_lo, exec_lo, s5
	s_cbranch_execnz .LBB119_89
; %bb.90:
	s_or_b32 exec_lo, exec_lo, s5
	v_mov_b32_e32 v7, 0
	ds_read_b128 v[124:127], v7 offset:304
	s_waitcnt lgkmcnt(0)
	v_mul_f64 v[7:8], v[1:2], v[126:127]
	v_mul_f64 v[121:122], v[3:4], v[126:127]
	v_fma_f64 v[3:4], v[3:4], v[124:125], -v[7:8]
	v_fma_f64 v[1:2], v[1:2], v[124:125], v[121:122]
	buffer_store_dword v4, off, s[0:3], 0 offset:324
	buffer_store_dword v3, off, s[0:3], 0 offset:320
	;; [unrolled: 1-line block ×4, first 2 shown]
.LBB119_91:
	s_or_b32 exec_lo, exec_lo, s4
	v_mov_b32_e32 v4, s48
	s_waitcnt_vscnt null, 0x0
	s_barrier
	buffer_gl0_inv
	s_mov_b32 s4, exec_lo
	s_clause 0x3
	buffer_load_dword v1, v4, s[0:3], 0 offen
	buffer_load_dword v2, v4, s[0:3], 0 offen offset:4
	buffer_load_dword v3, v4, s[0:3], 0 offen offset:8
	;; [unrolled: 1-line block ×3, first 2 shown]
	s_waitcnt vmcnt(0)
	ds_write_b128 v5, v[1:4]
	s_waitcnt lgkmcnt(0)
	s_barrier
	buffer_gl0_inv
	v_cmpx_gt_u32_e32 20, v0
	s_cbranch_execz .LBB119_95
; %bb.92:
	v_mov_b32_e32 v1, 0
	v_mov_b32_e32 v3, 0
	v_add_nc_u32_e32 v7, -1, v0
	v_add_nc_u32_e32 v8, 0x380, v123
	v_mov_b32_e32 v2, 0
	v_mov_b32_e32 v4, 0
	v_add_nc_u32_e32 v121, 16, v123
	s_mov_b32 s5, 0
	.p2align	6
.LBB119_93:                             ; =>This Inner Loop Header: Depth=1
	s_clause 0x3
	buffer_load_dword v128, v121, s[0:3], 0 offen offset:8
	buffer_load_dword v129, v121, s[0:3], 0 offen offset:12
	buffer_load_dword v130, v121, s[0:3], 0 offen
	buffer_load_dword v131, v121, s[0:3], 0 offen offset:4
	ds_read_b128 v[124:127], v8
	v_add_nc_u32_e32 v7, 1, v7
	v_add_nc_u32_e32 v8, 16, v8
	;; [unrolled: 1-line block ×3, first 2 shown]
	v_cmp_lt_u32_e32 vcc_lo, 18, v7
	s_or_b32 s5, vcc_lo, s5
	s_waitcnt vmcnt(2) lgkmcnt(0)
	v_mul_f64 v[132:133], v[126:127], v[128:129]
	v_mul_f64 v[128:129], v[124:125], v[128:129]
	s_waitcnt vmcnt(0)
	v_fma_f64 v[124:125], v[124:125], v[130:131], -v[132:133]
	v_fma_f64 v[126:127], v[126:127], v[130:131], v[128:129]
	v_add_f64 v[3:4], v[3:4], v[124:125]
	v_add_f64 v[1:2], v[1:2], v[126:127]
	s_andn2_b32 exec_lo, exec_lo, s5
	s_cbranch_execnz .LBB119_93
; %bb.94:
	s_or_b32 exec_lo, exec_lo, s5
	v_mov_b32_e32 v7, 0
	ds_read_b128 v[124:127], v7 offset:320
	s_waitcnt lgkmcnt(0)
	v_mul_f64 v[7:8], v[1:2], v[126:127]
	v_mul_f64 v[121:122], v[3:4], v[126:127]
	v_fma_f64 v[3:4], v[3:4], v[124:125], -v[7:8]
	v_fma_f64 v[1:2], v[1:2], v[124:125], v[121:122]
	buffer_store_dword v4, off, s[0:3], 0 offset:340
	buffer_store_dword v3, off, s[0:3], 0 offset:336
	;; [unrolled: 1-line block ×4, first 2 shown]
.LBB119_95:
	s_or_b32 exec_lo, exec_lo, s4
	v_mov_b32_e32 v4, s47
	s_waitcnt_vscnt null, 0x0
	s_barrier
	buffer_gl0_inv
	s_mov_b32 s4, exec_lo
	s_clause 0x3
	buffer_load_dword v1, v4, s[0:3], 0 offen
	buffer_load_dword v2, v4, s[0:3], 0 offen offset:4
	buffer_load_dword v3, v4, s[0:3], 0 offen offset:8
	;; [unrolled: 1-line block ×3, first 2 shown]
	s_waitcnt vmcnt(0)
	ds_write_b128 v5, v[1:4]
	s_waitcnt lgkmcnt(0)
	s_barrier
	buffer_gl0_inv
	v_cmpx_gt_u32_e32 21, v0
	s_cbranch_execz .LBB119_99
; %bb.96:
	v_mov_b32_e32 v1, 0
	v_mov_b32_e32 v3, 0
	v_add_nc_u32_e32 v7, -1, v0
	v_add_nc_u32_e32 v8, 0x380, v123
	v_mov_b32_e32 v2, 0
	v_mov_b32_e32 v4, 0
	v_add_nc_u32_e32 v121, 16, v123
	s_mov_b32 s5, 0
	.p2align	6
.LBB119_97:                             ; =>This Inner Loop Header: Depth=1
	s_clause 0x3
	buffer_load_dword v128, v121, s[0:3], 0 offen offset:8
	buffer_load_dword v129, v121, s[0:3], 0 offen offset:12
	buffer_load_dword v130, v121, s[0:3], 0 offen
	buffer_load_dword v131, v121, s[0:3], 0 offen offset:4
	ds_read_b128 v[124:127], v8
	v_add_nc_u32_e32 v7, 1, v7
	v_add_nc_u32_e32 v8, 16, v8
	;; [unrolled: 1-line block ×3, first 2 shown]
	v_cmp_lt_u32_e32 vcc_lo, 19, v7
	s_or_b32 s5, vcc_lo, s5
	s_waitcnt vmcnt(2) lgkmcnt(0)
	v_mul_f64 v[132:133], v[126:127], v[128:129]
	v_mul_f64 v[128:129], v[124:125], v[128:129]
	s_waitcnt vmcnt(0)
	v_fma_f64 v[124:125], v[124:125], v[130:131], -v[132:133]
	v_fma_f64 v[126:127], v[126:127], v[130:131], v[128:129]
	v_add_f64 v[3:4], v[3:4], v[124:125]
	v_add_f64 v[1:2], v[1:2], v[126:127]
	s_andn2_b32 exec_lo, exec_lo, s5
	s_cbranch_execnz .LBB119_97
; %bb.98:
	s_or_b32 exec_lo, exec_lo, s5
	v_mov_b32_e32 v7, 0
	ds_read_b128 v[124:127], v7 offset:336
	s_waitcnt lgkmcnt(0)
	v_mul_f64 v[7:8], v[1:2], v[126:127]
	v_mul_f64 v[121:122], v[3:4], v[126:127]
	v_fma_f64 v[3:4], v[3:4], v[124:125], -v[7:8]
	v_fma_f64 v[1:2], v[1:2], v[124:125], v[121:122]
	buffer_store_dword v4, off, s[0:3], 0 offset:356
	buffer_store_dword v3, off, s[0:3], 0 offset:352
	;; [unrolled: 1-line block ×4, first 2 shown]
.LBB119_99:
	s_or_b32 exec_lo, exec_lo, s4
	v_mov_b32_e32 v4, s46
	s_waitcnt_vscnt null, 0x0
	s_barrier
	buffer_gl0_inv
	s_mov_b32 s4, exec_lo
	s_clause 0x3
	buffer_load_dword v1, v4, s[0:3], 0 offen
	buffer_load_dword v2, v4, s[0:3], 0 offen offset:4
	buffer_load_dword v3, v4, s[0:3], 0 offen offset:8
	buffer_load_dword v4, v4, s[0:3], 0 offen offset:12
	s_waitcnt vmcnt(0)
	ds_write_b128 v5, v[1:4]
	s_waitcnt lgkmcnt(0)
	s_barrier
	buffer_gl0_inv
	v_cmpx_gt_u32_e32 22, v0
	s_cbranch_execz .LBB119_103
; %bb.100:
	v_mov_b32_e32 v1, 0
	v_mov_b32_e32 v3, 0
	v_add_nc_u32_e32 v7, -1, v0
	v_add_nc_u32_e32 v8, 0x380, v123
	v_mov_b32_e32 v2, 0
	v_mov_b32_e32 v4, 0
	v_add_nc_u32_e32 v121, 16, v123
	s_mov_b32 s5, 0
	.p2align	6
.LBB119_101:                            ; =>This Inner Loop Header: Depth=1
	s_clause 0x3
	buffer_load_dword v128, v121, s[0:3], 0 offen offset:8
	buffer_load_dword v129, v121, s[0:3], 0 offen offset:12
	buffer_load_dword v130, v121, s[0:3], 0 offen
	buffer_load_dword v131, v121, s[0:3], 0 offen offset:4
	ds_read_b128 v[124:127], v8
	v_add_nc_u32_e32 v7, 1, v7
	v_add_nc_u32_e32 v8, 16, v8
	;; [unrolled: 1-line block ×3, first 2 shown]
	v_cmp_lt_u32_e32 vcc_lo, 20, v7
	s_or_b32 s5, vcc_lo, s5
	s_waitcnt vmcnt(2) lgkmcnt(0)
	v_mul_f64 v[132:133], v[126:127], v[128:129]
	v_mul_f64 v[128:129], v[124:125], v[128:129]
	s_waitcnt vmcnt(0)
	v_fma_f64 v[124:125], v[124:125], v[130:131], -v[132:133]
	v_fma_f64 v[126:127], v[126:127], v[130:131], v[128:129]
	v_add_f64 v[3:4], v[3:4], v[124:125]
	v_add_f64 v[1:2], v[1:2], v[126:127]
	s_andn2_b32 exec_lo, exec_lo, s5
	s_cbranch_execnz .LBB119_101
; %bb.102:
	s_or_b32 exec_lo, exec_lo, s5
	v_mov_b32_e32 v7, 0
	ds_read_b128 v[124:127], v7 offset:352
	s_waitcnt lgkmcnt(0)
	v_mul_f64 v[7:8], v[1:2], v[126:127]
	v_mul_f64 v[121:122], v[3:4], v[126:127]
	v_fma_f64 v[3:4], v[3:4], v[124:125], -v[7:8]
	v_fma_f64 v[1:2], v[1:2], v[124:125], v[121:122]
	buffer_store_dword v4, off, s[0:3], 0 offset:372
	buffer_store_dword v3, off, s[0:3], 0 offset:368
	;; [unrolled: 1-line block ×4, first 2 shown]
.LBB119_103:
	s_or_b32 exec_lo, exec_lo, s4
	v_mov_b32_e32 v4, s45
	s_waitcnt_vscnt null, 0x0
	s_barrier
	buffer_gl0_inv
	s_mov_b32 s4, exec_lo
	s_clause 0x3
	buffer_load_dword v1, v4, s[0:3], 0 offen
	buffer_load_dword v2, v4, s[0:3], 0 offen offset:4
	buffer_load_dword v3, v4, s[0:3], 0 offen offset:8
	;; [unrolled: 1-line block ×3, first 2 shown]
	s_waitcnt vmcnt(0)
	ds_write_b128 v5, v[1:4]
	s_waitcnt lgkmcnt(0)
	s_barrier
	buffer_gl0_inv
	v_cmpx_gt_u32_e32 23, v0
	s_cbranch_execz .LBB119_107
; %bb.104:
	v_mov_b32_e32 v1, 0
	v_mov_b32_e32 v3, 0
	v_add_nc_u32_e32 v7, -1, v0
	v_add_nc_u32_e32 v8, 0x380, v123
	v_mov_b32_e32 v2, 0
	v_mov_b32_e32 v4, 0
	v_add_nc_u32_e32 v121, 16, v123
	s_mov_b32 s5, 0
	.p2align	6
.LBB119_105:                            ; =>This Inner Loop Header: Depth=1
	s_clause 0x3
	buffer_load_dword v128, v121, s[0:3], 0 offen offset:8
	buffer_load_dword v129, v121, s[0:3], 0 offen offset:12
	buffer_load_dword v130, v121, s[0:3], 0 offen
	buffer_load_dword v131, v121, s[0:3], 0 offen offset:4
	ds_read_b128 v[124:127], v8
	v_add_nc_u32_e32 v7, 1, v7
	v_add_nc_u32_e32 v8, 16, v8
	;; [unrolled: 1-line block ×3, first 2 shown]
	v_cmp_lt_u32_e32 vcc_lo, 21, v7
	s_or_b32 s5, vcc_lo, s5
	s_waitcnt vmcnt(2) lgkmcnt(0)
	v_mul_f64 v[132:133], v[126:127], v[128:129]
	v_mul_f64 v[128:129], v[124:125], v[128:129]
	s_waitcnt vmcnt(0)
	v_fma_f64 v[124:125], v[124:125], v[130:131], -v[132:133]
	v_fma_f64 v[126:127], v[126:127], v[130:131], v[128:129]
	v_add_f64 v[3:4], v[3:4], v[124:125]
	v_add_f64 v[1:2], v[1:2], v[126:127]
	s_andn2_b32 exec_lo, exec_lo, s5
	s_cbranch_execnz .LBB119_105
; %bb.106:
	s_or_b32 exec_lo, exec_lo, s5
	v_mov_b32_e32 v7, 0
	ds_read_b128 v[124:127], v7 offset:368
	s_waitcnt lgkmcnt(0)
	v_mul_f64 v[7:8], v[1:2], v[126:127]
	v_mul_f64 v[121:122], v[3:4], v[126:127]
	v_fma_f64 v[3:4], v[3:4], v[124:125], -v[7:8]
	v_fma_f64 v[1:2], v[1:2], v[124:125], v[121:122]
	buffer_store_dword v4, off, s[0:3], 0 offset:388
	buffer_store_dword v3, off, s[0:3], 0 offset:384
	buffer_store_dword v2, off, s[0:3], 0 offset:396
	buffer_store_dword v1, off, s[0:3], 0 offset:392
.LBB119_107:
	s_or_b32 exec_lo, exec_lo, s4
	v_mov_b32_e32 v4, s44
	s_waitcnt_vscnt null, 0x0
	s_barrier
	buffer_gl0_inv
	s_mov_b32 s4, exec_lo
	s_clause 0x3
	buffer_load_dword v1, v4, s[0:3], 0 offen
	buffer_load_dword v2, v4, s[0:3], 0 offen offset:4
	buffer_load_dword v3, v4, s[0:3], 0 offen offset:8
	;; [unrolled: 1-line block ×3, first 2 shown]
	s_waitcnt vmcnt(0)
	ds_write_b128 v5, v[1:4]
	s_waitcnt lgkmcnt(0)
	s_barrier
	buffer_gl0_inv
	v_cmpx_gt_u32_e32 24, v0
	s_cbranch_execz .LBB119_111
; %bb.108:
	v_mov_b32_e32 v1, 0
	v_mov_b32_e32 v3, 0
	v_add_nc_u32_e32 v7, -1, v0
	v_add_nc_u32_e32 v8, 0x380, v123
	v_mov_b32_e32 v2, 0
	v_mov_b32_e32 v4, 0
	v_add_nc_u32_e32 v121, 16, v123
	s_mov_b32 s5, 0
	.p2align	6
.LBB119_109:                            ; =>This Inner Loop Header: Depth=1
	s_clause 0x3
	buffer_load_dword v128, v121, s[0:3], 0 offen offset:8
	buffer_load_dword v129, v121, s[0:3], 0 offen offset:12
	buffer_load_dword v130, v121, s[0:3], 0 offen
	buffer_load_dword v131, v121, s[0:3], 0 offen offset:4
	ds_read_b128 v[124:127], v8
	v_add_nc_u32_e32 v7, 1, v7
	v_add_nc_u32_e32 v8, 16, v8
	;; [unrolled: 1-line block ×3, first 2 shown]
	v_cmp_lt_u32_e32 vcc_lo, 22, v7
	s_or_b32 s5, vcc_lo, s5
	s_waitcnt vmcnt(2) lgkmcnt(0)
	v_mul_f64 v[132:133], v[126:127], v[128:129]
	v_mul_f64 v[128:129], v[124:125], v[128:129]
	s_waitcnt vmcnt(0)
	v_fma_f64 v[124:125], v[124:125], v[130:131], -v[132:133]
	v_fma_f64 v[126:127], v[126:127], v[130:131], v[128:129]
	v_add_f64 v[3:4], v[3:4], v[124:125]
	v_add_f64 v[1:2], v[1:2], v[126:127]
	s_andn2_b32 exec_lo, exec_lo, s5
	s_cbranch_execnz .LBB119_109
; %bb.110:
	s_or_b32 exec_lo, exec_lo, s5
	v_mov_b32_e32 v7, 0
	ds_read_b128 v[124:127], v7 offset:384
	s_waitcnt lgkmcnt(0)
	v_mul_f64 v[7:8], v[1:2], v[126:127]
	v_mul_f64 v[121:122], v[3:4], v[126:127]
	v_fma_f64 v[3:4], v[3:4], v[124:125], -v[7:8]
	v_fma_f64 v[1:2], v[1:2], v[124:125], v[121:122]
	buffer_store_dword v4, off, s[0:3], 0 offset:404
	buffer_store_dword v3, off, s[0:3], 0 offset:400
	;; [unrolled: 1-line block ×4, first 2 shown]
.LBB119_111:
	s_or_b32 exec_lo, exec_lo, s4
	v_mov_b32_e32 v4, s43
	s_waitcnt_vscnt null, 0x0
	s_barrier
	buffer_gl0_inv
	s_mov_b32 s4, exec_lo
	s_clause 0x3
	buffer_load_dword v1, v4, s[0:3], 0 offen
	buffer_load_dword v2, v4, s[0:3], 0 offen offset:4
	buffer_load_dword v3, v4, s[0:3], 0 offen offset:8
	;; [unrolled: 1-line block ×3, first 2 shown]
	s_waitcnt vmcnt(0)
	ds_write_b128 v5, v[1:4]
	s_waitcnt lgkmcnt(0)
	s_barrier
	buffer_gl0_inv
	v_cmpx_gt_u32_e32 25, v0
	s_cbranch_execz .LBB119_115
; %bb.112:
	v_mov_b32_e32 v1, 0
	v_mov_b32_e32 v3, 0
	v_add_nc_u32_e32 v7, -1, v0
	v_add_nc_u32_e32 v8, 0x380, v123
	v_mov_b32_e32 v2, 0
	v_mov_b32_e32 v4, 0
	v_add_nc_u32_e32 v121, 16, v123
	s_mov_b32 s5, 0
	.p2align	6
.LBB119_113:                            ; =>This Inner Loop Header: Depth=1
	s_clause 0x3
	buffer_load_dword v128, v121, s[0:3], 0 offen offset:8
	buffer_load_dword v129, v121, s[0:3], 0 offen offset:12
	buffer_load_dword v130, v121, s[0:3], 0 offen
	buffer_load_dword v131, v121, s[0:3], 0 offen offset:4
	ds_read_b128 v[124:127], v8
	v_add_nc_u32_e32 v7, 1, v7
	v_add_nc_u32_e32 v8, 16, v8
	;; [unrolled: 1-line block ×3, first 2 shown]
	v_cmp_lt_u32_e32 vcc_lo, 23, v7
	s_or_b32 s5, vcc_lo, s5
	s_waitcnt vmcnt(2) lgkmcnt(0)
	v_mul_f64 v[132:133], v[126:127], v[128:129]
	v_mul_f64 v[128:129], v[124:125], v[128:129]
	s_waitcnt vmcnt(0)
	v_fma_f64 v[124:125], v[124:125], v[130:131], -v[132:133]
	v_fma_f64 v[126:127], v[126:127], v[130:131], v[128:129]
	v_add_f64 v[3:4], v[3:4], v[124:125]
	v_add_f64 v[1:2], v[1:2], v[126:127]
	s_andn2_b32 exec_lo, exec_lo, s5
	s_cbranch_execnz .LBB119_113
; %bb.114:
	s_or_b32 exec_lo, exec_lo, s5
	v_mov_b32_e32 v7, 0
	ds_read_b128 v[124:127], v7 offset:400
	s_waitcnt lgkmcnt(0)
	v_mul_f64 v[7:8], v[1:2], v[126:127]
	v_mul_f64 v[121:122], v[3:4], v[126:127]
	v_fma_f64 v[3:4], v[3:4], v[124:125], -v[7:8]
	v_fma_f64 v[1:2], v[1:2], v[124:125], v[121:122]
	buffer_store_dword v4, off, s[0:3], 0 offset:420
	buffer_store_dword v3, off, s[0:3], 0 offset:416
	;; [unrolled: 1-line block ×4, first 2 shown]
.LBB119_115:
	s_or_b32 exec_lo, exec_lo, s4
	v_mov_b32_e32 v4, s42
	s_waitcnt_vscnt null, 0x0
	s_barrier
	buffer_gl0_inv
	s_mov_b32 s4, exec_lo
	s_clause 0x3
	buffer_load_dword v1, v4, s[0:3], 0 offen
	buffer_load_dword v2, v4, s[0:3], 0 offen offset:4
	buffer_load_dword v3, v4, s[0:3], 0 offen offset:8
	;; [unrolled: 1-line block ×3, first 2 shown]
	s_waitcnt vmcnt(0)
	ds_write_b128 v5, v[1:4]
	s_waitcnt lgkmcnt(0)
	s_barrier
	buffer_gl0_inv
	v_cmpx_gt_u32_e32 26, v0
	s_cbranch_execz .LBB119_119
; %bb.116:
	v_mov_b32_e32 v1, 0
	v_mov_b32_e32 v3, 0
	v_add_nc_u32_e32 v7, -1, v0
	v_add_nc_u32_e32 v8, 0x380, v123
	v_mov_b32_e32 v2, 0
	v_mov_b32_e32 v4, 0
	v_add_nc_u32_e32 v121, 16, v123
	s_mov_b32 s5, 0
	.p2align	6
.LBB119_117:                            ; =>This Inner Loop Header: Depth=1
	s_clause 0x3
	buffer_load_dword v128, v121, s[0:3], 0 offen offset:8
	buffer_load_dword v129, v121, s[0:3], 0 offen offset:12
	buffer_load_dword v130, v121, s[0:3], 0 offen
	buffer_load_dword v131, v121, s[0:3], 0 offen offset:4
	ds_read_b128 v[124:127], v8
	v_add_nc_u32_e32 v7, 1, v7
	v_add_nc_u32_e32 v8, 16, v8
	;; [unrolled: 1-line block ×3, first 2 shown]
	v_cmp_lt_u32_e32 vcc_lo, 24, v7
	s_or_b32 s5, vcc_lo, s5
	s_waitcnt vmcnt(2) lgkmcnt(0)
	v_mul_f64 v[132:133], v[126:127], v[128:129]
	v_mul_f64 v[128:129], v[124:125], v[128:129]
	s_waitcnt vmcnt(0)
	v_fma_f64 v[124:125], v[124:125], v[130:131], -v[132:133]
	v_fma_f64 v[126:127], v[126:127], v[130:131], v[128:129]
	v_add_f64 v[3:4], v[3:4], v[124:125]
	v_add_f64 v[1:2], v[1:2], v[126:127]
	s_andn2_b32 exec_lo, exec_lo, s5
	s_cbranch_execnz .LBB119_117
; %bb.118:
	s_or_b32 exec_lo, exec_lo, s5
	v_mov_b32_e32 v7, 0
	ds_read_b128 v[124:127], v7 offset:416
	s_waitcnt lgkmcnt(0)
	v_mul_f64 v[7:8], v[1:2], v[126:127]
	v_mul_f64 v[121:122], v[3:4], v[126:127]
	v_fma_f64 v[3:4], v[3:4], v[124:125], -v[7:8]
	v_fma_f64 v[1:2], v[1:2], v[124:125], v[121:122]
	buffer_store_dword v4, off, s[0:3], 0 offset:436
	buffer_store_dword v3, off, s[0:3], 0 offset:432
	;; [unrolled: 1-line block ×4, first 2 shown]
.LBB119_119:
	s_or_b32 exec_lo, exec_lo, s4
	v_mov_b32_e32 v4, s41
	s_waitcnt_vscnt null, 0x0
	s_barrier
	buffer_gl0_inv
	s_mov_b32 s4, exec_lo
	s_clause 0x3
	buffer_load_dword v1, v4, s[0:3], 0 offen
	buffer_load_dword v2, v4, s[0:3], 0 offen offset:4
	buffer_load_dword v3, v4, s[0:3], 0 offen offset:8
	;; [unrolled: 1-line block ×3, first 2 shown]
	s_waitcnt vmcnt(0)
	ds_write_b128 v5, v[1:4]
	s_waitcnt lgkmcnt(0)
	s_barrier
	buffer_gl0_inv
	v_cmpx_gt_u32_e32 27, v0
	s_cbranch_execz .LBB119_123
; %bb.120:
	v_mov_b32_e32 v1, 0
	v_mov_b32_e32 v3, 0
	v_add_nc_u32_e32 v7, -1, v0
	v_add_nc_u32_e32 v8, 0x380, v123
	v_mov_b32_e32 v2, 0
	v_mov_b32_e32 v4, 0
	v_add_nc_u32_e32 v121, 16, v123
	s_mov_b32 s5, 0
	.p2align	6
.LBB119_121:                            ; =>This Inner Loop Header: Depth=1
	s_clause 0x3
	buffer_load_dword v128, v121, s[0:3], 0 offen offset:8
	buffer_load_dword v129, v121, s[0:3], 0 offen offset:12
	buffer_load_dword v130, v121, s[0:3], 0 offen
	buffer_load_dword v131, v121, s[0:3], 0 offen offset:4
	ds_read_b128 v[124:127], v8
	v_add_nc_u32_e32 v7, 1, v7
	v_add_nc_u32_e32 v8, 16, v8
	;; [unrolled: 1-line block ×3, first 2 shown]
	v_cmp_lt_u32_e32 vcc_lo, 25, v7
	s_or_b32 s5, vcc_lo, s5
	s_waitcnt vmcnt(2) lgkmcnt(0)
	v_mul_f64 v[132:133], v[126:127], v[128:129]
	v_mul_f64 v[128:129], v[124:125], v[128:129]
	s_waitcnt vmcnt(0)
	v_fma_f64 v[124:125], v[124:125], v[130:131], -v[132:133]
	v_fma_f64 v[126:127], v[126:127], v[130:131], v[128:129]
	v_add_f64 v[3:4], v[3:4], v[124:125]
	v_add_f64 v[1:2], v[1:2], v[126:127]
	s_andn2_b32 exec_lo, exec_lo, s5
	s_cbranch_execnz .LBB119_121
; %bb.122:
	s_or_b32 exec_lo, exec_lo, s5
	v_mov_b32_e32 v7, 0
	ds_read_b128 v[124:127], v7 offset:432
	s_waitcnt lgkmcnt(0)
	v_mul_f64 v[7:8], v[1:2], v[126:127]
	v_mul_f64 v[121:122], v[3:4], v[126:127]
	v_fma_f64 v[3:4], v[3:4], v[124:125], -v[7:8]
	v_fma_f64 v[1:2], v[1:2], v[124:125], v[121:122]
	buffer_store_dword v4, off, s[0:3], 0 offset:452
	buffer_store_dword v3, off, s[0:3], 0 offset:448
	;; [unrolled: 1-line block ×4, first 2 shown]
.LBB119_123:
	s_or_b32 exec_lo, exec_lo, s4
	v_mov_b32_e32 v4, s40
	s_waitcnt_vscnt null, 0x0
	s_barrier
	buffer_gl0_inv
	s_mov_b32 s4, exec_lo
	s_clause 0x3
	buffer_load_dword v1, v4, s[0:3], 0 offen
	buffer_load_dword v2, v4, s[0:3], 0 offen offset:4
	buffer_load_dword v3, v4, s[0:3], 0 offen offset:8
	;; [unrolled: 1-line block ×3, first 2 shown]
	s_waitcnt vmcnt(0)
	ds_write_b128 v5, v[1:4]
	s_waitcnt lgkmcnt(0)
	s_barrier
	buffer_gl0_inv
	v_cmpx_gt_u32_e32 28, v0
	s_cbranch_execz .LBB119_127
; %bb.124:
	v_mov_b32_e32 v1, 0
	v_mov_b32_e32 v3, 0
	v_add_nc_u32_e32 v7, -1, v0
	v_add_nc_u32_e32 v8, 0x380, v123
	v_mov_b32_e32 v2, 0
	v_mov_b32_e32 v4, 0
	v_add_nc_u32_e32 v121, 16, v123
	s_mov_b32 s5, 0
	.p2align	6
.LBB119_125:                            ; =>This Inner Loop Header: Depth=1
	s_clause 0x3
	buffer_load_dword v128, v121, s[0:3], 0 offen offset:8
	buffer_load_dword v129, v121, s[0:3], 0 offen offset:12
	buffer_load_dword v130, v121, s[0:3], 0 offen
	buffer_load_dword v131, v121, s[0:3], 0 offen offset:4
	ds_read_b128 v[124:127], v8
	v_add_nc_u32_e32 v7, 1, v7
	v_add_nc_u32_e32 v8, 16, v8
	;; [unrolled: 1-line block ×3, first 2 shown]
	v_cmp_lt_u32_e32 vcc_lo, 26, v7
	s_or_b32 s5, vcc_lo, s5
	s_waitcnt vmcnt(2) lgkmcnt(0)
	v_mul_f64 v[132:133], v[126:127], v[128:129]
	v_mul_f64 v[128:129], v[124:125], v[128:129]
	s_waitcnt vmcnt(0)
	v_fma_f64 v[124:125], v[124:125], v[130:131], -v[132:133]
	v_fma_f64 v[126:127], v[126:127], v[130:131], v[128:129]
	v_add_f64 v[3:4], v[3:4], v[124:125]
	v_add_f64 v[1:2], v[1:2], v[126:127]
	s_andn2_b32 exec_lo, exec_lo, s5
	s_cbranch_execnz .LBB119_125
; %bb.126:
	s_or_b32 exec_lo, exec_lo, s5
	v_mov_b32_e32 v7, 0
	ds_read_b128 v[124:127], v7 offset:448
	s_waitcnt lgkmcnt(0)
	v_mul_f64 v[7:8], v[1:2], v[126:127]
	v_mul_f64 v[121:122], v[3:4], v[126:127]
	v_fma_f64 v[3:4], v[3:4], v[124:125], -v[7:8]
	v_fma_f64 v[1:2], v[1:2], v[124:125], v[121:122]
	buffer_store_dword v4, off, s[0:3], 0 offset:468
	buffer_store_dword v3, off, s[0:3], 0 offset:464
	;; [unrolled: 1-line block ×4, first 2 shown]
.LBB119_127:
	s_or_b32 exec_lo, exec_lo, s4
	v_mov_b32_e32 v4, s39
	s_waitcnt_vscnt null, 0x0
	s_barrier
	buffer_gl0_inv
	s_mov_b32 s4, exec_lo
	s_clause 0x3
	buffer_load_dword v1, v4, s[0:3], 0 offen
	buffer_load_dword v2, v4, s[0:3], 0 offen offset:4
	buffer_load_dword v3, v4, s[0:3], 0 offen offset:8
	;; [unrolled: 1-line block ×3, first 2 shown]
	s_waitcnt vmcnt(0)
	ds_write_b128 v5, v[1:4]
	s_waitcnt lgkmcnt(0)
	s_barrier
	buffer_gl0_inv
	v_cmpx_gt_u32_e32 29, v0
	s_cbranch_execz .LBB119_131
; %bb.128:
	v_mov_b32_e32 v1, 0
	v_mov_b32_e32 v3, 0
	v_add_nc_u32_e32 v7, -1, v0
	v_add_nc_u32_e32 v8, 0x380, v123
	v_mov_b32_e32 v2, 0
	v_mov_b32_e32 v4, 0
	v_add_nc_u32_e32 v121, 16, v123
	s_mov_b32 s5, 0
	.p2align	6
.LBB119_129:                            ; =>This Inner Loop Header: Depth=1
	s_clause 0x3
	buffer_load_dword v128, v121, s[0:3], 0 offen offset:8
	buffer_load_dword v129, v121, s[0:3], 0 offen offset:12
	buffer_load_dword v130, v121, s[0:3], 0 offen
	buffer_load_dword v131, v121, s[0:3], 0 offen offset:4
	ds_read_b128 v[124:127], v8
	v_add_nc_u32_e32 v7, 1, v7
	v_add_nc_u32_e32 v8, 16, v8
	;; [unrolled: 1-line block ×3, first 2 shown]
	v_cmp_lt_u32_e32 vcc_lo, 27, v7
	s_or_b32 s5, vcc_lo, s5
	s_waitcnt vmcnt(2) lgkmcnt(0)
	v_mul_f64 v[132:133], v[126:127], v[128:129]
	v_mul_f64 v[128:129], v[124:125], v[128:129]
	s_waitcnt vmcnt(0)
	v_fma_f64 v[124:125], v[124:125], v[130:131], -v[132:133]
	v_fma_f64 v[126:127], v[126:127], v[130:131], v[128:129]
	v_add_f64 v[3:4], v[3:4], v[124:125]
	v_add_f64 v[1:2], v[1:2], v[126:127]
	s_andn2_b32 exec_lo, exec_lo, s5
	s_cbranch_execnz .LBB119_129
; %bb.130:
	s_or_b32 exec_lo, exec_lo, s5
	v_mov_b32_e32 v7, 0
	ds_read_b128 v[124:127], v7 offset:464
	s_waitcnt lgkmcnt(0)
	v_mul_f64 v[7:8], v[1:2], v[126:127]
	v_mul_f64 v[121:122], v[3:4], v[126:127]
	v_fma_f64 v[3:4], v[3:4], v[124:125], -v[7:8]
	v_fma_f64 v[1:2], v[1:2], v[124:125], v[121:122]
	buffer_store_dword v4, off, s[0:3], 0 offset:484
	buffer_store_dword v3, off, s[0:3], 0 offset:480
	buffer_store_dword v2, off, s[0:3], 0 offset:492
	buffer_store_dword v1, off, s[0:3], 0 offset:488
.LBB119_131:
	s_or_b32 exec_lo, exec_lo, s4
	v_mov_b32_e32 v4, s38
	s_waitcnt_vscnt null, 0x0
	s_barrier
	buffer_gl0_inv
	s_mov_b32 s4, exec_lo
	s_clause 0x3
	buffer_load_dword v1, v4, s[0:3], 0 offen
	buffer_load_dword v2, v4, s[0:3], 0 offen offset:4
	buffer_load_dword v3, v4, s[0:3], 0 offen offset:8
	;; [unrolled: 1-line block ×3, first 2 shown]
	s_waitcnt vmcnt(0)
	ds_write_b128 v5, v[1:4]
	s_waitcnt lgkmcnt(0)
	s_barrier
	buffer_gl0_inv
	v_cmpx_gt_u32_e32 30, v0
	s_cbranch_execz .LBB119_135
; %bb.132:
	v_mov_b32_e32 v1, 0
	v_mov_b32_e32 v3, 0
	v_add_nc_u32_e32 v7, -1, v0
	v_add_nc_u32_e32 v8, 0x380, v123
	v_mov_b32_e32 v2, 0
	v_mov_b32_e32 v4, 0
	v_add_nc_u32_e32 v121, 16, v123
	s_mov_b32 s5, 0
	.p2align	6
.LBB119_133:                            ; =>This Inner Loop Header: Depth=1
	s_clause 0x3
	buffer_load_dword v128, v121, s[0:3], 0 offen offset:8
	buffer_load_dword v129, v121, s[0:3], 0 offen offset:12
	buffer_load_dword v130, v121, s[0:3], 0 offen
	buffer_load_dword v131, v121, s[0:3], 0 offen offset:4
	ds_read_b128 v[124:127], v8
	v_add_nc_u32_e32 v7, 1, v7
	v_add_nc_u32_e32 v8, 16, v8
	;; [unrolled: 1-line block ×3, first 2 shown]
	v_cmp_lt_u32_e32 vcc_lo, 28, v7
	s_or_b32 s5, vcc_lo, s5
	s_waitcnt vmcnt(2) lgkmcnt(0)
	v_mul_f64 v[132:133], v[126:127], v[128:129]
	v_mul_f64 v[128:129], v[124:125], v[128:129]
	s_waitcnt vmcnt(0)
	v_fma_f64 v[124:125], v[124:125], v[130:131], -v[132:133]
	v_fma_f64 v[126:127], v[126:127], v[130:131], v[128:129]
	v_add_f64 v[3:4], v[3:4], v[124:125]
	v_add_f64 v[1:2], v[1:2], v[126:127]
	s_andn2_b32 exec_lo, exec_lo, s5
	s_cbranch_execnz .LBB119_133
; %bb.134:
	s_or_b32 exec_lo, exec_lo, s5
	v_mov_b32_e32 v7, 0
	ds_read_b128 v[124:127], v7 offset:480
	s_waitcnt lgkmcnt(0)
	v_mul_f64 v[7:8], v[1:2], v[126:127]
	v_mul_f64 v[121:122], v[3:4], v[126:127]
	v_fma_f64 v[3:4], v[3:4], v[124:125], -v[7:8]
	v_fma_f64 v[1:2], v[1:2], v[124:125], v[121:122]
	buffer_store_dword v4, off, s[0:3], 0 offset:500
	buffer_store_dword v3, off, s[0:3], 0 offset:496
	buffer_store_dword v2, off, s[0:3], 0 offset:508
	buffer_store_dword v1, off, s[0:3], 0 offset:504
.LBB119_135:
	s_or_b32 exec_lo, exec_lo, s4
	v_mov_b32_e32 v4, s37
	s_waitcnt_vscnt null, 0x0
	s_barrier
	buffer_gl0_inv
	s_mov_b32 s4, exec_lo
	s_clause 0x3
	buffer_load_dword v1, v4, s[0:3], 0 offen
	buffer_load_dword v2, v4, s[0:3], 0 offen offset:4
	buffer_load_dword v3, v4, s[0:3], 0 offen offset:8
	;; [unrolled: 1-line block ×3, first 2 shown]
	s_waitcnt vmcnt(0)
	ds_write_b128 v5, v[1:4]
	s_waitcnt lgkmcnt(0)
	s_barrier
	buffer_gl0_inv
	v_cmpx_gt_u32_e32 31, v0
	s_cbranch_execz .LBB119_139
; %bb.136:
	v_mov_b32_e32 v1, 0
	v_mov_b32_e32 v3, 0
	v_add_nc_u32_e32 v7, -1, v0
	v_add_nc_u32_e32 v8, 0x380, v123
	v_mov_b32_e32 v2, 0
	v_mov_b32_e32 v4, 0
	v_add_nc_u32_e32 v121, 16, v123
	s_mov_b32 s5, 0
	.p2align	6
.LBB119_137:                            ; =>This Inner Loop Header: Depth=1
	s_clause 0x3
	buffer_load_dword v128, v121, s[0:3], 0 offen offset:8
	buffer_load_dword v129, v121, s[0:3], 0 offen offset:12
	buffer_load_dword v130, v121, s[0:3], 0 offen
	buffer_load_dword v131, v121, s[0:3], 0 offen offset:4
	ds_read_b128 v[124:127], v8
	v_add_nc_u32_e32 v7, 1, v7
	v_add_nc_u32_e32 v8, 16, v8
	;; [unrolled: 1-line block ×3, first 2 shown]
	v_cmp_lt_u32_e32 vcc_lo, 29, v7
	s_or_b32 s5, vcc_lo, s5
	s_waitcnt vmcnt(2) lgkmcnt(0)
	v_mul_f64 v[132:133], v[126:127], v[128:129]
	v_mul_f64 v[128:129], v[124:125], v[128:129]
	s_waitcnt vmcnt(0)
	v_fma_f64 v[124:125], v[124:125], v[130:131], -v[132:133]
	v_fma_f64 v[126:127], v[126:127], v[130:131], v[128:129]
	v_add_f64 v[3:4], v[3:4], v[124:125]
	v_add_f64 v[1:2], v[1:2], v[126:127]
	s_andn2_b32 exec_lo, exec_lo, s5
	s_cbranch_execnz .LBB119_137
; %bb.138:
	s_or_b32 exec_lo, exec_lo, s5
	v_mov_b32_e32 v7, 0
	ds_read_b128 v[124:127], v7 offset:496
	s_waitcnt lgkmcnt(0)
	v_mul_f64 v[7:8], v[1:2], v[126:127]
	v_mul_f64 v[121:122], v[3:4], v[126:127]
	v_fma_f64 v[3:4], v[3:4], v[124:125], -v[7:8]
	v_fma_f64 v[1:2], v[1:2], v[124:125], v[121:122]
	buffer_store_dword v4, off, s[0:3], 0 offset:516
	buffer_store_dword v3, off, s[0:3], 0 offset:512
	;; [unrolled: 1-line block ×4, first 2 shown]
.LBB119_139:
	s_or_b32 exec_lo, exec_lo, s4
	v_mov_b32_e32 v4, s36
	s_waitcnt_vscnt null, 0x0
	s_barrier
	buffer_gl0_inv
	s_mov_b32 s4, exec_lo
	s_clause 0x3
	buffer_load_dword v1, v4, s[0:3], 0 offen
	buffer_load_dword v2, v4, s[0:3], 0 offen offset:4
	buffer_load_dword v3, v4, s[0:3], 0 offen offset:8
	;; [unrolled: 1-line block ×3, first 2 shown]
	s_waitcnt vmcnt(0)
	ds_write_b128 v5, v[1:4]
	s_waitcnt lgkmcnt(0)
	s_barrier
	buffer_gl0_inv
	v_cmpx_gt_u32_e32 32, v0
	s_cbranch_execz .LBB119_143
; %bb.140:
	v_mov_b32_e32 v1, 0
	v_mov_b32_e32 v3, 0
	v_add_nc_u32_e32 v7, -1, v0
	v_add_nc_u32_e32 v8, 0x380, v123
	v_mov_b32_e32 v2, 0
	v_mov_b32_e32 v4, 0
	v_add_nc_u32_e32 v121, 16, v123
	s_mov_b32 s5, 0
	.p2align	6
.LBB119_141:                            ; =>This Inner Loop Header: Depth=1
	s_clause 0x3
	buffer_load_dword v128, v121, s[0:3], 0 offen offset:8
	buffer_load_dword v129, v121, s[0:3], 0 offen offset:12
	buffer_load_dword v130, v121, s[0:3], 0 offen
	buffer_load_dword v131, v121, s[0:3], 0 offen offset:4
	ds_read_b128 v[124:127], v8
	v_add_nc_u32_e32 v7, 1, v7
	v_add_nc_u32_e32 v8, 16, v8
	;; [unrolled: 1-line block ×3, first 2 shown]
	v_cmp_lt_u32_e32 vcc_lo, 30, v7
	s_or_b32 s5, vcc_lo, s5
	s_waitcnt vmcnt(2) lgkmcnt(0)
	v_mul_f64 v[132:133], v[126:127], v[128:129]
	v_mul_f64 v[128:129], v[124:125], v[128:129]
	s_waitcnt vmcnt(0)
	v_fma_f64 v[124:125], v[124:125], v[130:131], -v[132:133]
	v_fma_f64 v[126:127], v[126:127], v[130:131], v[128:129]
	v_add_f64 v[3:4], v[3:4], v[124:125]
	v_add_f64 v[1:2], v[1:2], v[126:127]
	s_andn2_b32 exec_lo, exec_lo, s5
	s_cbranch_execnz .LBB119_141
; %bb.142:
	s_or_b32 exec_lo, exec_lo, s5
	v_mov_b32_e32 v7, 0
	ds_read_b128 v[124:127], v7 offset:512
	s_waitcnt lgkmcnt(0)
	v_mul_f64 v[7:8], v[1:2], v[126:127]
	v_mul_f64 v[121:122], v[3:4], v[126:127]
	v_fma_f64 v[3:4], v[3:4], v[124:125], -v[7:8]
	v_fma_f64 v[1:2], v[1:2], v[124:125], v[121:122]
	buffer_store_dword v4, off, s[0:3], 0 offset:532
	buffer_store_dword v3, off, s[0:3], 0 offset:528
	;; [unrolled: 1-line block ×4, first 2 shown]
.LBB119_143:
	s_or_b32 exec_lo, exec_lo, s4
	v_mov_b32_e32 v4, s35
	s_waitcnt_vscnt null, 0x0
	s_barrier
	buffer_gl0_inv
	s_mov_b32 s4, exec_lo
	s_clause 0x3
	buffer_load_dword v1, v4, s[0:3], 0 offen
	buffer_load_dword v2, v4, s[0:3], 0 offen offset:4
	buffer_load_dword v3, v4, s[0:3], 0 offen offset:8
	;; [unrolled: 1-line block ×3, first 2 shown]
	s_waitcnt vmcnt(0)
	ds_write_b128 v5, v[1:4]
	s_waitcnt lgkmcnt(0)
	s_barrier
	buffer_gl0_inv
	v_cmpx_gt_u32_e32 33, v0
	s_cbranch_execz .LBB119_147
; %bb.144:
	v_mov_b32_e32 v1, 0
	v_mov_b32_e32 v3, 0
	v_add_nc_u32_e32 v7, -1, v0
	v_add_nc_u32_e32 v8, 0x380, v123
	v_mov_b32_e32 v2, 0
	v_mov_b32_e32 v4, 0
	v_add_nc_u32_e32 v121, 16, v123
	s_mov_b32 s5, 0
	.p2align	6
.LBB119_145:                            ; =>This Inner Loop Header: Depth=1
	s_clause 0x3
	buffer_load_dword v128, v121, s[0:3], 0 offen offset:8
	buffer_load_dword v129, v121, s[0:3], 0 offen offset:12
	buffer_load_dword v130, v121, s[0:3], 0 offen
	buffer_load_dword v131, v121, s[0:3], 0 offen offset:4
	ds_read_b128 v[124:127], v8
	v_add_nc_u32_e32 v7, 1, v7
	v_add_nc_u32_e32 v8, 16, v8
	;; [unrolled: 1-line block ×3, first 2 shown]
	v_cmp_lt_u32_e32 vcc_lo, 31, v7
	s_or_b32 s5, vcc_lo, s5
	s_waitcnt vmcnt(2) lgkmcnt(0)
	v_mul_f64 v[132:133], v[126:127], v[128:129]
	v_mul_f64 v[128:129], v[124:125], v[128:129]
	s_waitcnt vmcnt(0)
	v_fma_f64 v[124:125], v[124:125], v[130:131], -v[132:133]
	v_fma_f64 v[126:127], v[126:127], v[130:131], v[128:129]
	v_add_f64 v[3:4], v[3:4], v[124:125]
	v_add_f64 v[1:2], v[1:2], v[126:127]
	s_andn2_b32 exec_lo, exec_lo, s5
	s_cbranch_execnz .LBB119_145
; %bb.146:
	s_or_b32 exec_lo, exec_lo, s5
	v_mov_b32_e32 v7, 0
	ds_read_b128 v[124:127], v7 offset:528
	s_waitcnt lgkmcnt(0)
	v_mul_f64 v[7:8], v[1:2], v[126:127]
	v_mul_f64 v[121:122], v[3:4], v[126:127]
	v_fma_f64 v[3:4], v[3:4], v[124:125], -v[7:8]
	v_fma_f64 v[1:2], v[1:2], v[124:125], v[121:122]
	buffer_store_dword v4, off, s[0:3], 0 offset:548
	buffer_store_dword v3, off, s[0:3], 0 offset:544
	;; [unrolled: 1-line block ×4, first 2 shown]
.LBB119_147:
	s_or_b32 exec_lo, exec_lo, s4
	v_mov_b32_e32 v4, s34
	s_waitcnt_vscnt null, 0x0
	s_barrier
	buffer_gl0_inv
	s_mov_b32 s4, exec_lo
	s_clause 0x3
	buffer_load_dword v1, v4, s[0:3], 0 offen
	buffer_load_dword v2, v4, s[0:3], 0 offen offset:4
	buffer_load_dword v3, v4, s[0:3], 0 offen offset:8
	;; [unrolled: 1-line block ×3, first 2 shown]
	s_waitcnt vmcnt(0)
	ds_write_b128 v5, v[1:4]
	s_waitcnt lgkmcnt(0)
	s_barrier
	buffer_gl0_inv
	v_cmpx_gt_u32_e32 34, v0
	s_cbranch_execz .LBB119_151
; %bb.148:
	v_mov_b32_e32 v1, 0
	v_mov_b32_e32 v3, 0
	v_add_nc_u32_e32 v7, -1, v0
	v_add_nc_u32_e32 v8, 0x380, v123
	v_mov_b32_e32 v2, 0
	v_mov_b32_e32 v4, 0
	v_add_nc_u32_e32 v121, 16, v123
	s_mov_b32 s5, 0
	.p2align	6
.LBB119_149:                            ; =>This Inner Loop Header: Depth=1
	s_clause 0x3
	buffer_load_dword v128, v121, s[0:3], 0 offen offset:8
	buffer_load_dword v129, v121, s[0:3], 0 offen offset:12
	buffer_load_dword v130, v121, s[0:3], 0 offen
	buffer_load_dword v131, v121, s[0:3], 0 offen offset:4
	ds_read_b128 v[124:127], v8
	v_add_nc_u32_e32 v7, 1, v7
	v_add_nc_u32_e32 v8, 16, v8
	;; [unrolled: 1-line block ×3, first 2 shown]
	v_cmp_lt_u32_e32 vcc_lo, 32, v7
	s_or_b32 s5, vcc_lo, s5
	s_waitcnt vmcnt(2) lgkmcnt(0)
	v_mul_f64 v[132:133], v[126:127], v[128:129]
	v_mul_f64 v[128:129], v[124:125], v[128:129]
	s_waitcnt vmcnt(0)
	v_fma_f64 v[124:125], v[124:125], v[130:131], -v[132:133]
	v_fma_f64 v[126:127], v[126:127], v[130:131], v[128:129]
	v_add_f64 v[3:4], v[3:4], v[124:125]
	v_add_f64 v[1:2], v[1:2], v[126:127]
	s_andn2_b32 exec_lo, exec_lo, s5
	s_cbranch_execnz .LBB119_149
; %bb.150:
	s_or_b32 exec_lo, exec_lo, s5
	v_mov_b32_e32 v7, 0
	ds_read_b128 v[124:127], v7 offset:544
	s_waitcnt lgkmcnt(0)
	v_mul_f64 v[7:8], v[1:2], v[126:127]
	v_mul_f64 v[121:122], v[3:4], v[126:127]
	v_fma_f64 v[3:4], v[3:4], v[124:125], -v[7:8]
	v_fma_f64 v[1:2], v[1:2], v[124:125], v[121:122]
	buffer_store_dword v4, off, s[0:3], 0 offset:564
	buffer_store_dword v3, off, s[0:3], 0 offset:560
	;; [unrolled: 1-line block ×4, first 2 shown]
.LBB119_151:
	s_or_b32 exec_lo, exec_lo, s4
	v_mov_b32_e32 v4, s33
	s_waitcnt_vscnt null, 0x0
	s_barrier
	buffer_gl0_inv
	s_mov_b32 s4, exec_lo
	s_clause 0x3
	buffer_load_dword v1, v4, s[0:3], 0 offen
	buffer_load_dword v2, v4, s[0:3], 0 offen offset:4
	buffer_load_dword v3, v4, s[0:3], 0 offen offset:8
	;; [unrolled: 1-line block ×3, first 2 shown]
	s_waitcnt vmcnt(0)
	ds_write_b128 v5, v[1:4]
	s_waitcnt lgkmcnt(0)
	s_barrier
	buffer_gl0_inv
	v_cmpx_gt_u32_e32 35, v0
	s_cbranch_execz .LBB119_155
; %bb.152:
	v_mov_b32_e32 v1, 0
	v_mov_b32_e32 v3, 0
	v_add_nc_u32_e32 v7, -1, v0
	v_add_nc_u32_e32 v8, 0x380, v123
	v_mov_b32_e32 v2, 0
	v_mov_b32_e32 v4, 0
	v_add_nc_u32_e32 v121, 16, v123
	s_mov_b32 s5, 0
	.p2align	6
.LBB119_153:                            ; =>This Inner Loop Header: Depth=1
	s_clause 0x3
	buffer_load_dword v128, v121, s[0:3], 0 offen offset:8
	buffer_load_dword v129, v121, s[0:3], 0 offen offset:12
	buffer_load_dword v130, v121, s[0:3], 0 offen
	buffer_load_dword v131, v121, s[0:3], 0 offen offset:4
	ds_read_b128 v[124:127], v8
	v_add_nc_u32_e32 v7, 1, v7
	v_add_nc_u32_e32 v8, 16, v8
	;; [unrolled: 1-line block ×3, first 2 shown]
	v_cmp_lt_u32_e32 vcc_lo, 33, v7
	s_or_b32 s5, vcc_lo, s5
	s_waitcnt vmcnt(2) lgkmcnt(0)
	v_mul_f64 v[132:133], v[126:127], v[128:129]
	v_mul_f64 v[128:129], v[124:125], v[128:129]
	s_waitcnt vmcnt(0)
	v_fma_f64 v[124:125], v[124:125], v[130:131], -v[132:133]
	v_fma_f64 v[126:127], v[126:127], v[130:131], v[128:129]
	v_add_f64 v[3:4], v[3:4], v[124:125]
	v_add_f64 v[1:2], v[1:2], v[126:127]
	s_andn2_b32 exec_lo, exec_lo, s5
	s_cbranch_execnz .LBB119_153
; %bb.154:
	s_or_b32 exec_lo, exec_lo, s5
	v_mov_b32_e32 v7, 0
	ds_read_b128 v[124:127], v7 offset:560
	s_waitcnt lgkmcnt(0)
	v_mul_f64 v[7:8], v[1:2], v[126:127]
	v_mul_f64 v[121:122], v[3:4], v[126:127]
	v_fma_f64 v[3:4], v[3:4], v[124:125], -v[7:8]
	v_fma_f64 v[1:2], v[1:2], v[124:125], v[121:122]
	buffer_store_dword v4, off, s[0:3], 0 offset:580
	buffer_store_dword v3, off, s[0:3], 0 offset:576
	;; [unrolled: 1-line block ×4, first 2 shown]
.LBB119_155:
	s_or_b32 exec_lo, exec_lo, s4
	v_mov_b32_e32 v4, s31
	s_waitcnt_vscnt null, 0x0
	s_barrier
	buffer_gl0_inv
	s_mov_b32 s4, exec_lo
	s_clause 0x3
	buffer_load_dword v1, v4, s[0:3], 0 offen
	buffer_load_dword v2, v4, s[0:3], 0 offen offset:4
	buffer_load_dword v3, v4, s[0:3], 0 offen offset:8
	;; [unrolled: 1-line block ×3, first 2 shown]
	s_waitcnt vmcnt(0)
	ds_write_b128 v5, v[1:4]
	s_waitcnt lgkmcnt(0)
	s_barrier
	buffer_gl0_inv
	v_cmpx_gt_u32_e32 36, v0
	s_cbranch_execz .LBB119_159
; %bb.156:
	v_mov_b32_e32 v1, 0
	v_mov_b32_e32 v3, 0
	v_add_nc_u32_e32 v7, -1, v0
	v_add_nc_u32_e32 v8, 0x380, v123
	v_mov_b32_e32 v2, 0
	v_mov_b32_e32 v4, 0
	v_add_nc_u32_e32 v121, 16, v123
	s_mov_b32 s5, 0
	.p2align	6
.LBB119_157:                            ; =>This Inner Loop Header: Depth=1
	s_clause 0x3
	buffer_load_dword v128, v121, s[0:3], 0 offen offset:8
	buffer_load_dword v129, v121, s[0:3], 0 offen offset:12
	buffer_load_dword v130, v121, s[0:3], 0 offen
	buffer_load_dword v131, v121, s[0:3], 0 offen offset:4
	ds_read_b128 v[124:127], v8
	v_add_nc_u32_e32 v7, 1, v7
	v_add_nc_u32_e32 v8, 16, v8
	;; [unrolled: 1-line block ×3, first 2 shown]
	v_cmp_lt_u32_e32 vcc_lo, 34, v7
	s_or_b32 s5, vcc_lo, s5
	s_waitcnt vmcnt(2) lgkmcnt(0)
	v_mul_f64 v[132:133], v[126:127], v[128:129]
	v_mul_f64 v[128:129], v[124:125], v[128:129]
	s_waitcnt vmcnt(0)
	v_fma_f64 v[124:125], v[124:125], v[130:131], -v[132:133]
	v_fma_f64 v[126:127], v[126:127], v[130:131], v[128:129]
	v_add_f64 v[3:4], v[3:4], v[124:125]
	v_add_f64 v[1:2], v[1:2], v[126:127]
	s_andn2_b32 exec_lo, exec_lo, s5
	s_cbranch_execnz .LBB119_157
; %bb.158:
	s_or_b32 exec_lo, exec_lo, s5
	v_mov_b32_e32 v7, 0
	ds_read_b128 v[124:127], v7 offset:576
	s_waitcnt lgkmcnt(0)
	v_mul_f64 v[7:8], v[1:2], v[126:127]
	v_mul_f64 v[121:122], v[3:4], v[126:127]
	v_fma_f64 v[3:4], v[3:4], v[124:125], -v[7:8]
	v_fma_f64 v[1:2], v[1:2], v[124:125], v[121:122]
	buffer_store_dword v4, off, s[0:3], 0 offset:596
	buffer_store_dword v3, off, s[0:3], 0 offset:592
	;; [unrolled: 1-line block ×4, first 2 shown]
.LBB119_159:
	s_or_b32 exec_lo, exec_lo, s4
	v_mov_b32_e32 v4, s30
	s_waitcnt_vscnt null, 0x0
	s_barrier
	buffer_gl0_inv
	s_mov_b32 s4, exec_lo
	s_clause 0x3
	buffer_load_dword v1, v4, s[0:3], 0 offen
	buffer_load_dword v2, v4, s[0:3], 0 offen offset:4
	buffer_load_dword v3, v4, s[0:3], 0 offen offset:8
	;; [unrolled: 1-line block ×3, first 2 shown]
	s_waitcnt vmcnt(0)
	ds_write_b128 v5, v[1:4]
	s_waitcnt lgkmcnt(0)
	s_barrier
	buffer_gl0_inv
	v_cmpx_gt_u32_e32 37, v0
	s_cbranch_execz .LBB119_163
; %bb.160:
	v_mov_b32_e32 v1, 0
	v_mov_b32_e32 v3, 0
	v_add_nc_u32_e32 v7, -1, v0
	v_add_nc_u32_e32 v8, 0x380, v123
	v_mov_b32_e32 v2, 0
	v_mov_b32_e32 v4, 0
	v_add_nc_u32_e32 v121, 16, v123
	s_mov_b32 s5, 0
	.p2align	6
.LBB119_161:                            ; =>This Inner Loop Header: Depth=1
	s_clause 0x3
	buffer_load_dword v128, v121, s[0:3], 0 offen offset:8
	buffer_load_dword v129, v121, s[0:3], 0 offen offset:12
	buffer_load_dword v130, v121, s[0:3], 0 offen
	buffer_load_dword v131, v121, s[0:3], 0 offen offset:4
	ds_read_b128 v[124:127], v8
	v_add_nc_u32_e32 v7, 1, v7
	v_add_nc_u32_e32 v8, 16, v8
	;; [unrolled: 1-line block ×3, first 2 shown]
	v_cmp_lt_u32_e32 vcc_lo, 35, v7
	s_or_b32 s5, vcc_lo, s5
	s_waitcnt vmcnt(2) lgkmcnt(0)
	v_mul_f64 v[132:133], v[126:127], v[128:129]
	v_mul_f64 v[128:129], v[124:125], v[128:129]
	s_waitcnt vmcnt(0)
	v_fma_f64 v[124:125], v[124:125], v[130:131], -v[132:133]
	v_fma_f64 v[126:127], v[126:127], v[130:131], v[128:129]
	v_add_f64 v[3:4], v[3:4], v[124:125]
	v_add_f64 v[1:2], v[1:2], v[126:127]
	s_andn2_b32 exec_lo, exec_lo, s5
	s_cbranch_execnz .LBB119_161
; %bb.162:
	s_or_b32 exec_lo, exec_lo, s5
	v_mov_b32_e32 v7, 0
	ds_read_b128 v[124:127], v7 offset:592
	s_waitcnt lgkmcnt(0)
	v_mul_f64 v[7:8], v[1:2], v[126:127]
	v_mul_f64 v[121:122], v[3:4], v[126:127]
	v_fma_f64 v[3:4], v[3:4], v[124:125], -v[7:8]
	v_fma_f64 v[1:2], v[1:2], v[124:125], v[121:122]
	buffer_store_dword v4, off, s[0:3], 0 offset:612
	buffer_store_dword v3, off, s[0:3], 0 offset:608
	;; [unrolled: 1-line block ×4, first 2 shown]
.LBB119_163:
	s_or_b32 exec_lo, exec_lo, s4
	v_mov_b32_e32 v4, s29
	s_waitcnt_vscnt null, 0x0
	s_barrier
	buffer_gl0_inv
	s_mov_b32 s4, exec_lo
	s_clause 0x3
	buffer_load_dword v1, v4, s[0:3], 0 offen
	buffer_load_dword v2, v4, s[0:3], 0 offen offset:4
	buffer_load_dword v3, v4, s[0:3], 0 offen offset:8
	;; [unrolled: 1-line block ×3, first 2 shown]
	s_waitcnt vmcnt(0)
	ds_write_b128 v5, v[1:4]
	s_waitcnt lgkmcnt(0)
	s_barrier
	buffer_gl0_inv
	v_cmpx_gt_u32_e32 38, v0
	s_cbranch_execz .LBB119_167
; %bb.164:
	v_mov_b32_e32 v1, 0
	v_mov_b32_e32 v3, 0
	v_add_nc_u32_e32 v7, -1, v0
	v_add_nc_u32_e32 v8, 0x380, v123
	v_mov_b32_e32 v2, 0
	v_mov_b32_e32 v4, 0
	v_add_nc_u32_e32 v121, 16, v123
	s_mov_b32 s5, 0
	.p2align	6
.LBB119_165:                            ; =>This Inner Loop Header: Depth=1
	s_clause 0x3
	buffer_load_dword v128, v121, s[0:3], 0 offen offset:8
	buffer_load_dword v129, v121, s[0:3], 0 offen offset:12
	buffer_load_dword v130, v121, s[0:3], 0 offen
	buffer_load_dword v131, v121, s[0:3], 0 offen offset:4
	ds_read_b128 v[124:127], v8
	v_add_nc_u32_e32 v7, 1, v7
	v_add_nc_u32_e32 v8, 16, v8
	;; [unrolled: 1-line block ×3, first 2 shown]
	v_cmp_lt_u32_e32 vcc_lo, 36, v7
	s_or_b32 s5, vcc_lo, s5
	s_waitcnt vmcnt(2) lgkmcnt(0)
	v_mul_f64 v[132:133], v[126:127], v[128:129]
	v_mul_f64 v[128:129], v[124:125], v[128:129]
	s_waitcnt vmcnt(0)
	v_fma_f64 v[124:125], v[124:125], v[130:131], -v[132:133]
	v_fma_f64 v[126:127], v[126:127], v[130:131], v[128:129]
	v_add_f64 v[3:4], v[3:4], v[124:125]
	v_add_f64 v[1:2], v[1:2], v[126:127]
	s_andn2_b32 exec_lo, exec_lo, s5
	s_cbranch_execnz .LBB119_165
; %bb.166:
	s_or_b32 exec_lo, exec_lo, s5
	v_mov_b32_e32 v7, 0
	ds_read_b128 v[124:127], v7 offset:608
	s_waitcnt lgkmcnt(0)
	v_mul_f64 v[7:8], v[1:2], v[126:127]
	v_mul_f64 v[121:122], v[3:4], v[126:127]
	v_fma_f64 v[3:4], v[3:4], v[124:125], -v[7:8]
	v_fma_f64 v[1:2], v[1:2], v[124:125], v[121:122]
	buffer_store_dword v4, off, s[0:3], 0 offset:628
	buffer_store_dword v3, off, s[0:3], 0 offset:624
	;; [unrolled: 1-line block ×4, first 2 shown]
.LBB119_167:
	s_or_b32 exec_lo, exec_lo, s4
	v_mov_b32_e32 v4, s28
	s_waitcnt_vscnt null, 0x0
	s_barrier
	buffer_gl0_inv
	s_mov_b32 s4, exec_lo
	s_clause 0x3
	buffer_load_dword v1, v4, s[0:3], 0 offen
	buffer_load_dword v2, v4, s[0:3], 0 offen offset:4
	buffer_load_dword v3, v4, s[0:3], 0 offen offset:8
	;; [unrolled: 1-line block ×3, first 2 shown]
	s_waitcnt vmcnt(0)
	ds_write_b128 v5, v[1:4]
	s_waitcnt lgkmcnt(0)
	s_barrier
	buffer_gl0_inv
	v_cmpx_gt_u32_e32 39, v0
	s_cbranch_execz .LBB119_171
; %bb.168:
	v_mov_b32_e32 v1, 0
	v_mov_b32_e32 v3, 0
	v_add_nc_u32_e32 v7, -1, v0
	v_add_nc_u32_e32 v8, 0x380, v123
	v_mov_b32_e32 v2, 0
	v_mov_b32_e32 v4, 0
	v_add_nc_u32_e32 v121, 16, v123
	s_mov_b32 s5, 0
	.p2align	6
.LBB119_169:                            ; =>This Inner Loop Header: Depth=1
	s_clause 0x3
	buffer_load_dword v128, v121, s[0:3], 0 offen offset:8
	buffer_load_dword v129, v121, s[0:3], 0 offen offset:12
	buffer_load_dword v130, v121, s[0:3], 0 offen
	buffer_load_dword v131, v121, s[0:3], 0 offen offset:4
	ds_read_b128 v[124:127], v8
	v_add_nc_u32_e32 v7, 1, v7
	v_add_nc_u32_e32 v8, 16, v8
	;; [unrolled: 1-line block ×3, first 2 shown]
	v_cmp_lt_u32_e32 vcc_lo, 37, v7
	s_or_b32 s5, vcc_lo, s5
	s_waitcnt vmcnt(2) lgkmcnt(0)
	v_mul_f64 v[132:133], v[126:127], v[128:129]
	v_mul_f64 v[128:129], v[124:125], v[128:129]
	s_waitcnt vmcnt(0)
	v_fma_f64 v[124:125], v[124:125], v[130:131], -v[132:133]
	v_fma_f64 v[126:127], v[126:127], v[130:131], v[128:129]
	v_add_f64 v[3:4], v[3:4], v[124:125]
	v_add_f64 v[1:2], v[1:2], v[126:127]
	s_andn2_b32 exec_lo, exec_lo, s5
	s_cbranch_execnz .LBB119_169
; %bb.170:
	s_or_b32 exec_lo, exec_lo, s5
	v_mov_b32_e32 v7, 0
	ds_read_b128 v[124:127], v7 offset:624
	s_waitcnt lgkmcnt(0)
	v_mul_f64 v[7:8], v[1:2], v[126:127]
	v_mul_f64 v[121:122], v[3:4], v[126:127]
	v_fma_f64 v[3:4], v[3:4], v[124:125], -v[7:8]
	v_fma_f64 v[1:2], v[1:2], v[124:125], v[121:122]
	buffer_store_dword v4, off, s[0:3], 0 offset:644
	buffer_store_dword v3, off, s[0:3], 0 offset:640
	;; [unrolled: 1-line block ×4, first 2 shown]
.LBB119_171:
	s_or_b32 exec_lo, exec_lo, s4
	v_mov_b32_e32 v4, s27
	s_waitcnt_vscnt null, 0x0
	s_barrier
	buffer_gl0_inv
	s_mov_b32 s4, exec_lo
	s_clause 0x3
	buffer_load_dword v1, v4, s[0:3], 0 offen
	buffer_load_dword v2, v4, s[0:3], 0 offen offset:4
	buffer_load_dword v3, v4, s[0:3], 0 offen offset:8
	;; [unrolled: 1-line block ×3, first 2 shown]
	s_waitcnt vmcnt(0)
	ds_write_b128 v5, v[1:4]
	s_waitcnt lgkmcnt(0)
	s_barrier
	buffer_gl0_inv
	v_cmpx_gt_u32_e32 40, v0
	s_cbranch_execz .LBB119_175
; %bb.172:
	v_mov_b32_e32 v1, 0
	v_mov_b32_e32 v3, 0
	v_add_nc_u32_e32 v7, -1, v0
	v_add_nc_u32_e32 v8, 0x380, v123
	v_mov_b32_e32 v2, 0
	v_mov_b32_e32 v4, 0
	v_add_nc_u32_e32 v121, 16, v123
	s_mov_b32 s5, 0
	.p2align	6
.LBB119_173:                            ; =>This Inner Loop Header: Depth=1
	s_clause 0x3
	buffer_load_dword v128, v121, s[0:3], 0 offen offset:8
	buffer_load_dword v129, v121, s[0:3], 0 offen offset:12
	buffer_load_dword v130, v121, s[0:3], 0 offen
	buffer_load_dword v131, v121, s[0:3], 0 offen offset:4
	ds_read_b128 v[124:127], v8
	v_add_nc_u32_e32 v7, 1, v7
	v_add_nc_u32_e32 v8, 16, v8
	;; [unrolled: 1-line block ×3, first 2 shown]
	v_cmp_lt_u32_e32 vcc_lo, 38, v7
	s_or_b32 s5, vcc_lo, s5
	s_waitcnt vmcnt(2) lgkmcnt(0)
	v_mul_f64 v[132:133], v[126:127], v[128:129]
	v_mul_f64 v[128:129], v[124:125], v[128:129]
	s_waitcnt vmcnt(0)
	v_fma_f64 v[124:125], v[124:125], v[130:131], -v[132:133]
	v_fma_f64 v[126:127], v[126:127], v[130:131], v[128:129]
	v_add_f64 v[3:4], v[3:4], v[124:125]
	v_add_f64 v[1:2], v[1:2], v[126:127]
	s_andn2_b32 exec_lo, exec_lo, s5
	s_cbranch_execnz .LBB119_173
; %bb.174:
	s_or_b32 exec_lo, exec_lo, s5
	v_mov_b32_e32 v7, 0
	ds_read_b128 v[124:127], v7 offset:640
	s_waitcnt lgkmcnt(0)
	v_mul_f64 v[7:8], v[1:2], v[126:127]
	v_mul_f64 v[121:122], v[3:4], v[126:127]
	v_fma_f64 v[3:4], v[3:4], v[124:125], -v[7:8]
	v_fma_f64 v[1:2], v[1:2], v[124:125], v[121:122]
	buffer_store_dword v4, off, s[0:3], 0 offset:660
	buffer_store_dword v3, off, s[0:3], 0 offset:656
	;; [unrolled: 1-line block ×4, first 2 shown]
.LBB119_175:
	s_or_b32 exec_lo, exec_lo, s4
	v_mov_b32_e32 v4, s26
	s_waitcnt_vscnt null, 0x0
	s_barrier
	buffer_gl0_inv
	s_mov_b32 s4, exec_lo
	s_clause 0x3
	buffer_load_dword v1, v4, s[0:3], 0 offen
	buffer_load_dword v2, v4, s[0:3], 0 offen offset:4
	buffer_load_dword v3, v4, s[0:3], 0 offen offset:8
	;; [unrolled: 1-line block ×3, first 2 shown]
	s_waitcnt vmcnt(0)
	ds_write_b128 v5, v[1:4]
	s_waitcnt lgkmcnt(0)
	s_barrier
	buffer_gl0_inv
	v_cmpx_gt_u32_e32 41, v0
	s_cbranch_execz .LBB119_179
; %bb.176:
	v_mov_b32_e32 v1, 0
	v_mov_b32_e32 v3, 0
	v_add_nc_u32_e32 v7, -1, v0
	v_add_nc_u32_e32 v8, 0x380, v123
	v_mov_b32_e32 v2, 0
	v_mov_b32_e32 v4, 0
	v_add_nc_u32_e32 v121, 16, v123
	s_mov_b32 s5, 0
	.p2align	6
.LBB119_177:                            ; =>This Inner Loop Header: Depth=1
	s_clause 0x3
	buffer_load_dword v128, v121, s[0:3], 0 offen offset:8
	buffer_load_dword v129, v121, s[0:3], 0 offen offset:12
	buffer_load_dword v130, v121, s[0:3], 0 offen
	buffer_load_dword v131, v121, s[0:3], 0 offen offset:4
	ds_read_b128 v[124:127], v8
	v_add_nc_u32_e32 v7, 1, v7
	v_add_nc_u32_e32 v8, 16, v8
	;; [unrolled: 1-line block ×3, first 2 shown]
	v_cmp_lt_u32_e32 vcc_lo, 39, v7
	s_or_b32 s5, vcc_lo, s5
	s_waitcnt vmcnt(2) lgkmcnt(0)
	v_mul_f64 v[132:133], v[126:127], v[128:129]
	v_mul_f64 v[128:129], v[124:125], v[128:129]
	s_waitcnt vmcnt(0)
	v_fma_f64 v[124:125], v[124:125], v[130:131], -v[132:133]
	v_fma_f64 v[126:127], v[126:127], v[130:131], v[128:129]
	v_add_f64 v[3:4], v[3:4], v[124:125]
	v_add_f64 v[1:2], v[1:2], v[126:127]
	s_andn2_b32 exec_lo, exec_lo, s5
	s_cbranch_execnz .LBB119_177
; %bb.178:
	s_or_b32 exec_lo, exec_lo, s5
	v_mov_b32_e32 v7, 0
	ds_read_b128 v[124:127], v7 offset:656
	s_waitcnt lgkmcnt(0)
	v_mul_f64 v[7:8], v[1:2], v[126:127]
	v_mul_f64 v[121:122], v[3:4], v[126:127]
	v_fma_f64 v[3:4], v[3:4], v[124:125], -v[7:8]
	v_fma_f64 v[1:2], v[1:2], v[124:125], v[121:122]
	buffer_store_dword v4, off, s[0:3], 0 offset:676
	buffer_store_dword v3, off, s[0:3], 0 offset:672
	;; [unrolled: 1-line block ×4, first 2 shown]
.LBB119_179:
	s_or_b32 exec_lo, exec_lo, s4
	v_mov_b32_e32 v4, s25
	s_waitcnt_vscnt null, 0x0
	s_barrier
	buffer_gl0_inv
	s_mov_b32 s4, exec_lo
	s_clause 0x3
	buffer_load_dword v1, v4, s[0:3], 0 offen
	buffer_load_dword v2, v4, s[0:3], 0 offen offset:4
	buffer_load_dword v3, v4, s[0:3], 0 offen offset:8
	;; [unrolled: 1-line block ×3, first 2 shown]
	s_waitcnt vmcnt(0)
	ds_write_b128 v5, v[1:4]
	s_waitcnt lgkmcnt(0)
	s_barrier
	buffer_gl0_inv
	v_cmpx_gt_u32_e32 42, v0
	s_cbranch_execz .LBB119_183
; %bb.180:
	v_mov_b32_e32 v1, 0
	v_mov_b32_e32 v3, 0
	v_add_nc_u32_e32 v7, -1, v0
	v_add_nc_u32_e32 v8, 0x380, v123
	v_mov_b32_e32 v2, 0
	v_mov_b32_e32 v4, 0
	v_add_nc_u32_e32 v121, 16, v123
	s_mov_b32 s5, 0
	.p2align	6
.LBB119_181:                            ; =>This Inner Loop Header: Depth=1
	s_clause 0x3
	buffer_load_dword v128, v121, s[0:3], 0 offen offset:8
	buffer_load_dword v129, v121, s[0:3], 0 offen offset:12
	buffer_load_dword v130, v121, s[0:3], 0 offen
	buffer_load_dword v131, v121, s[0:3], 0 offen offset:4
	ds_read_b128 v[124:127], v8
	v_add_nc_u32_e32 v7, 1, v7
	v_add_nc_u32_e32 v8, 16, v8
	;; [unrolled: 1-line block ×3, first 2 shown]
	v_cmp_lt_u32_e32 vcc_lo, 40, v7
	s_or_b32 s5, vcc_lo, s5
	s_waitcnt vmcnt(2) lgkmcnt(0)
	v_mul_f64 v[132:133], v[126:127], v[128:129]
	v_mul_f64 v[128:129], v[124:125], v[128:129]
	s_waitcnt vmcnt(0)
	v_fma_f64 v[124:125], v[124:125], v[130:131], -v[132:133]
	v_fma_f64 v[126:127], v[126:127], v[130:131], v[128:129]
	v_add_f64 v[3:4], v[3:4], v[124:125]
	v_add_f64 v[1:2], v[1:2], v[126:127]
	s_andn2_b32 exec_lo, exec_lo, s5
	s_cbranch_execnz .LBB119_181
; %bb.182:
	s_or_b32 exec_lo, exec_lo, s5
	v_mov_b32_e32 v7, 0
	ds_read_b128 v[124:127], v7 offset:672
	s_waitcnt lgkmcnt(0)
	v_mul_f64 v[7:8], v[1:2], v[126:127]
	v_mul_f64 v[121:122], v[3:4], v[126:127]
	v_fma_f64 v[3:4], v[3:4], v[124:125], -v[7:8]
	v_fma_f64 v[1:2], v[1:2], v[124:125], v[121:122]
	buffer_store_dword v4, off, s[0:3], 0 offset:692
	buffer_store_dword v3, off, s[0:3], 0 offset:688
	;; [unrolled: 1-line block ×4, first 2 shown]
.LBB119_183:
	s_or_b32 exec_lo, exec_lo, s4
	v_mov_b32_e32 v4, s24
	s_waitcnt_vscnt null, 0x0
	s_barrier
	buffer_gl0_inv
	s_mov_b32 s4, exec_lo
	s_clause 0x3
	buffer_load_dword v1, v4, s[0:3], 0 offen
	buffer_load_dword v2, v4, s[0:3], 0 offen offset:4
	buffer_load_dword v3, v4, s[0:3], 0 offen offset:8
	buffer_load_dword v4, v4, s[0:3], 0 offen offset:12
	s_waitcnt vmcnt(0)
	ds_write_b128 v5, v[1:4]
	s_waitcnt lgkmcnt(0)
	s_barrier
	buffer_gl0_inv
	v_cmpx_gt_u32_e32 43, v0
	s_cbranch_execz .LBB119_187
; %bb.184:
	v_mov_b32_e32 v1, 0
	v_mov_b32_e32 v3, 0
	v_add_nc_u32_e32 v7, -1, v0
	v_add_nc_u32_e32 v8, 0x380, v123
	v_mov_b32_e32 v2, 0
	v_mov_b32_e32 v4, 0
	v_add_nc_u32_e32 v121, 16, v123
	s_mov_b32 s5, 0
	.p2align	6
.LBB119_185:                            ; =>This Inner Loop Header: Depth=1
	s_clause 0x3
	buffer_load_dword v128, v121, s[0:3], 0 offen offset:8
	buffer_load_dword v129, v121, s[0:3], 0 offen offset:12
	buffer_load_dword v130, v121, s[0:3], 0 offen
	buffer_load_dword v131, v121, s[0:3], 0 offen offset:4
	ds_read_b128 v[124:127], v8
	v_add_nc_u32_e32 v7, 1, v7
	v_add_nc_u32_e32 v8, 16, v8
	;; [unrolled: 1-line block ×3, first 2 shown]
	v_cmp_lt_u32_e32 vcc_lo, 41, v7
	s_or_b32 s5, vcc_lo, s5
	s_waitcnt vmcnt(2) lgkmcnt(0)
	v_mul_f64 v[132:133], v[126:127], v[128:129]
	v_mul_f64 v[128:129], v[124:125], v[128:129]
	s_waitcnt vmcnt(0)
	v_fma_f64 v[124:125], v[124:125], v[130:131], -v[132:133]
	v_fma_f64 v[126:127], v[126:127], v[130:131], v[128:129]
	v_add_f64 v[3:4], v[3:4], v[124:125]
	v_add_f64 v[1:2], v[1:2], v[126:127]
	s_andn2_b32 exec_lo, exec_lo, s5
	s_cbranch_execnz .LBB119_185
; %bb.186:
	s_or_b32 exec_lo, exec_lo, s5
	v_mov_b32_e32 v7, 0
	ds_read_b128 v[124:127], v7 offset:688
	s_waitcnt lgkmcnt(0)
	v_mul_f64 v[7:8], v[1:2], v[126:127]
	v_mul_f64 v[121:122], v[3:4], v[126:127]
	v_fma_f64 v[3:4], v[3:4], v[124:125], -v[7:8]
	v_fma_f64 v[1:2], v[1:2], v[124:125], v[121:122]
	buffer_store_dword v4, off, s[0:3], 0 offset:708
	buffer_store_dword v3, off, s[0:3], 0 offset:704
	;; [unrolled: 1-line block ×4, first 2 shown]
.LBB119_187:
	s_or_b32 exec_lo, exec_lo, s4
	v_mov_b32_e32 v4, s23
	s_waitcnt_vscnt null, 0x0
	s_barrier
	buffer_gl0_inv
	s_mov_b32 s4, exec_lo
	s_clause 0x3
	buffer_load_dword v1, v4, s[0:3], 0 offen
	buffer_load_dword v2, v4, s[0:3], 0 offen offset:4
	buffer_load_dword v3, v4, s[0:3], 0 offen offset:8
	;; [unrolled: 1-line block ×3, first 2 shown]
	s_waitcnt vmcnt(0)
	ds_write_b128 v5, v[1:4]
	s_waitcnt lgkmcnt(0)
	s_barrier
	buffer_gl0_inv
	v_cmpx_gt_u32_e32 44, v0
	s_cbranch_execz .LBB119_191
; %bb.188:
	v_mov_b32_e32 v1, 0
	v_mov_b32_e32 v3, 0
	v_add_nc_u32_e32 v7, -1, v0
	v_add_nc_u32_e32 v8, 0x380, v123
	v_mov_b32_e32 v2, 0
	v_mov_b32_e32 v4, 0
	v_add_nc_u32_e32 v121, 16, v123
	s_mov_b32 s5, 0
	.p2align	6
.LBB119_189:                            ; =>This Inner Loop Header: Depth=1
	s_clause 0x3
	buffer_load_dword v128, v121, s[0:3], 0 offen offset:8
	buffer_load_dword v129, v121, s[0:3], 0 offen offset:12
	buffer_load_dword v130, v121, s[0:3], 0 offen
	buffer_load_dword v131, v121, s[0:3], 0 offen offset:4
	ds_read_b128 v[124:127], v8
	v_add_nc_u32_e32 v7, 1, v7
	v_add_nc_u32_e32 v8, 16, v8
	v_add_nc_u32_e32 v121, 16, v121
	v_cmp_lt_u32_e32 vcc_lo, 42, v7
	s_or_b32 s5, vcc_lo, s5
	s_waitcnt vmcnt(2) lgkmcnt(0)
	v_mul_f64 v[132:133], v[126:127], v[128:129]
	v_mul_f64 v[128:129], v[124:125], v[128:129]
	s_waitcnt vmcnt(0)
	v_fma_f64 v[124:125], v[124:125], v[130:131], -v[132:133]
	v_fma_f64 v[126:127], v[126:127], v[130:131], v[128:129]
	v_add_f64 v[3:4], v[3:4], v[124:125]
	v_add_f64 v[1:2], v[1:2], v[126:127]
	s_andn2_b32 exec_lo, exec_lo, s5
	s_cbranch_execnz .LBB119_189
; %bb.190:
	s_or_b32 exec_lo, exec_lo, s5
	v_mov_b32_e32 v7, 0
	ds_read_b128 v[124:127], v7 offset:704
	s_waitcnt lgkmcnt(0)
	v_mul_f64 v[7:8], v[1:2], v[126:127]
	v_mul_f64 v[121:122], v[3:4], v[126:127]
	v_fma_f64 v[3:4], v[3:4], v[124:125], -v[7:8]
	v_fma_f64 v[1:2], v[1:2], v[124:125], v[121:122]
	buffer_store_dword v4, off, s[0:3], 0 offset:724
	buffer_store_dword v3, off, s[0:3], 0 offset:720
	;; [unrolled: 1-line block ×4, first 2 shown]
.LBB119_191:
	s_or_b32 exec_lo, exec_lo, s4
	v_mov_b32_e32 v4, s22
	s_waitcnt_vscnt null, 0x0
	s_barrier
	buffer_gl0_inv
	s_mov_b32 s4, exec_lo
	s_clause 0x3
	buffer_load_dword v1, v4, s[0:3], 0 offen
	buffer_load_dword v2, v4, s[0:3], 0 offen offset:4
	buffer_load_dword v3, v4, s[0:3], 0 offen offset:8
	buffer_load_dword v4, v4, s[0:3], 0 offen offset:12
	s_waitcnt vmcnt(0)
	ds_write_b128 v5, v[1:4]
	s_waitcnt lgkmcnt(0)
	s_barrier
	buffer_gl0_inv
	v_cmpx_gt_u32_e32 45, v0
	s_cbranch_execz .LBB119_195
; %bb.192:
	v_mov_b32_e32 v1, 0
	v_mov_b32_e32 v3, 0
	v_add_nc_u32_e32 v7, -1, v0
	v_add_nc_u32_e32 v8, 0x380, v123
	v_mov_b32_e32 v2, 0
	v_mov_b32_e32 v4, 0
	v_add_nc_u32_e32 v121, 16, v123
	s_mov_b32 s5, 0
	.p2align	6
.LBB119_193:                            ; =>This Inner Loop Header: Depth=1
	s_clause 0x3
	buffer_load_dword v128, v121, s[0:3], 0 offen offset:8
	buffer_load_dword v129, v121, s[0:3], 0 offen offset:12
	buffer_load_dword v130, v121, s[0:3], 0 offen
	buffer_load_dword v131, v121, s[0:3], 0 offen offset:4
	ds_read_b128 v[124:127], v8
	v_add_nc_u32_e32 v7, 1, v7
	v_add_nc_u32_e32 v8, 16, v8
	;; [unrolled: 1-line block ×3, first 2 shown]
	v_cmp_lt_u32_e32 vcc_lo, 43, v7
	s_or_b32 s5, vcc_lo, s5
	s_waitcnt vmcnt(2) lgkmcnt(0)
	v_mul_f64 v[132:133], v[126:127], v[128:129]
	v_mul_f64 v[128:129], v[124:125], v[128:129]
	s_waitcnt vmcnt(0)
	v_fma_f64 v[124:125], v[124:125], v[130:131], -v[132:133]
	v_fma_f64 v[126:127], v[126:127], v[130:131], v[128:129]
	v_add_f64 v[3:4], v[3:4], v[124:125]
	v_add_f64 v[1:2], v[1:2], v[126:127]
	s_andn2_b32 exec_lo, exec_lo, s5
	s_cbranch_execnz .LBB119_193
; %bb.194:
	s_or_b32 exec_lo, exec_lo, s5
	v_mov_b32_e32 v7, 0
	ds_read_b128 v[124:127], v7 offset:720
	s_waitcnt lgkmcnt(0)
	v_mul_f64 v[7:8], v[1:2], v[126:127]
	v_mul_f64 v[121:122], v[3:4], v[126:127]
	v_fma_f64 v[3:4], v[3:4], v[124:125], -v[7:8]
	v_fma_f64 v[1:2], v[1:2], v[124:125], v[121:122]
	buffer_store_dword v4, off, s[0:3], 0 offset:740
	buffer_store_dword v3, off, s[0:3], 0 offset:736
	;; [unrolled: 1-line block ×4, first 2 shown]
.LBB119_195:
	s_or_b32 exec_lo, exec_lo, s4
	v_mov_b32_e32 v4, s21
	s_waitcnt_vscnt null, 0x0
	s_barrier
	buffer_gl0_inv
	s_mov_b32 s4, exec_lo
	s_clause 0x3
	buffer_load_dword v1, v4, s[0:3], 0 offen
	buffer_load_dword v2, v4, s[0:3], 0 offen offset:4
	buffer_load_dword v3, v4, s[0:3], 0 offen offset:8
	;; [unrolled: 1-line block ×3, first 2 shown]
	s_waitcnt vmcnt(0)
	ds_write_b128 v5, v[1:4]
	s_waitcnt lgkmcnt(0)
	s_barrier
	buffer_gl0_inv
	v_cmpx_gt_u32_e32 46, v0
	s_cbranch_execz .LBB119_199
; %bb.196:
	v_mov_b32_e32 v1, 0
	v_mov_b32_e32 v3, 0
	v_add_nc_u32_e32 v7, -1, v0
	v_add_nc_u32_e32 v8, 0x380, v123
	v_mov_b32_e32 v2, 0
	v_mov_b32_e32 v4, 0
	v_add_nc_u32_e32 v121, 16, v123
	s_mov_b32 s5, 0
	.p2align	6
.LBB119_197:                            ; =>This Inner Loop Header: Depth=1
	s_clause 0x3
	buffer_load_dword v128, v121, s[0:3], 0 offen offset:8
	buffer_load_dword v129, v121, s[0:3], 0 offen offset:12
	buffer_load_dword v130, v121, s[0:3], 0 offen
	buffer_load_dword v131, v121, s[0:3], 0 offen offset:4
	ds_read_b128 v[124:127], v8
	v_add_nc_u32_e32 v7, 1, v7
	v_add_nc_u32_e32 v8, 16, v8
	;; [unrolled: 1-line block ×3, first 2 shown]
	v_cmp_lt_u32_e32 vcc_lo, 44, v7
	s_or_b32 s5, vcc_lo, s5
	s_waitcnt vmcnt(2) lgkmcnt(0)
	v_mul_f64 v[132:133], v[126:127], v[128:129]
	v_mul_f64 v[128:129], v[124:125], v[128:129]
	s_waitcnt vmcnt(0)
	v_fma_f64 v[124:125], v[124:125], v[130:131], -v[132:133]
	v_fma_f64 v[126:127], v[126:127], v[130:131], v[128:129]
	v_add_f64 v[3:4], v[3:4], v[124:125]
	v_add_f64 v[1:2], v[1:2], v[126:127]
	s_andn2_b32 exec_lo, exec_lo, s5
	s_cbranch_execnz .LBB119_197
; %bb.198:
	s_or_b32 exec_lo, exec_lo, s5
	v_mov_b32_e32 v7, 0
	ds_read_b128 v[124:127], v7 offset:736
	s_waitcnt lgkmcnt(0)
	v_mul_f64 v[7:8], v[1:2], v[126:127]
	v_mul_f64 v[121:122], v[3:4], v[126:127]
	v_fma_f64 v[3:4], v[3:4], v[124:125], -v[7:8]
	v_fma_f64 v[1:2], v[1:2], v[124:125], v[121:122]
	buffer_store_dword v4, off, s[0:3], 0 offset:756
	buffer_store_dword v3, off, s[0:3], 0 offset:752
	;; [unrolled: 1-line block ×4, first 2 shown]
.LBB119_199:
	s_or_b32 exec_lo, exec_lo, s4
	v_mov_b32_e32 v4, s20
	s_waitcnt_vscnt null, 0x0
	s_barrier
	buffer_gl0_inv
	s_mov_b32 s4, exec_lo
	s_clause 0x3
	buffer_load_dword v1, v4, s[0:3], 0 offen
	buffer_load_dword v2, v4, s[0:3], 0 offen offset:4
	buffer_load_dword v3, v4, s[0:3], 0 offen offset:8
	;; [unrolled: 1-line block ×3, first 2 shown]
	s_waitcnt vmcnt(0)
	ds_write_b128 v5, v[1:4]
	s_waitcnt lgkmcnt(0)
	s_barrier
	buffer_gl0_inv
	v_cmpx_gt_u32_e32 47, v0
	s_cbranch_execz .LBB119_203
; %bb.200:
	v_mov_b32_e32 v1, 0
	v_mov_b32_e32 v3, 0
	v_add_nc_u32_e32 v7, -1, v0
	v_add_nc_u32_e32 v8, 0x380, v123
	v_mov_b32_e32 v2, 0
	v_mov_b32_e32 v4, 0
	v_add_nc_u32_e32 v121, 16, v123
	s_mov_b32 s5, 0
	.p2align	6
.LBB119_201:                            ; =>This Inner Loop Header: Depth=1
	s_clause 0x3
	buffer_load_dword v128, v121, s[0:3], 0 offen offset:8
	buffer_load_dword v129, v121, s[0:3], 0 offen offset:12
	buffer_load_dword v130, v121, s[0:3], 0 offen
	buffer_load_dword v131, v121, s[0:3], 0 offen offset:4
	ds_read_b128 v[124:127], v8
	v_add_nc_u32_e32 v7, 1, v7
	v_add_nc_u32_e32 v8, 16, v8
	;; [unrolled: 1-line block ×3, first 2 shown]
	v_cmp_lt_u32_e32 vcc_lo, 45, v7
	s_or_b32 s5, vcc_lo, s5
	s_waitcnt vmcnt(2) lgkmcnt(0)
	v_mul_f64 v[132:133], v[126:127], v[128:129]
	v_mul_f64 v[128:129], v[124:125], v[128:129]
	s_waitcnt vmcnt(0)
	v_fma_f64 v[124:125], v[124:125], v[130:131], -v[132:133]
	v_fma_f64 v[126:127], v[126:127], v[130:131], v[128:129]
	v_add_f64 v[3:4], v[3:4], v[124:125]
	v_add_f64 v[1:2], v[1:2], v[126:127]
	s_andn2_b32 exec_lo, exec_lo, s5
	s_cbranch_execnz .LBB119_201
; %bb.202:
	s_or_b32 exec_lo, exec_lo, s5
	v_mov_b32_e32 v7, 0
	ds_read_b128 v[124:127], v7 offset:752
	s_waitcnt lgkmcnt(0)
	v_mul_f64 v[7:8], v[1:2], v[126:127]
	v_mul_f64 v[121:122], v[3:4], v[126:127]
	v_fma_f64 v[3:4], v[3:4], v[124:125], -v[7:8]
	v_fma_f64 v[1:2], v[1:2], v[124:125], v[121:122]
	buffer_store_dword v4, off, s[0:3], 0 offset:772
	buffer_store_dword v3, off, s[0:3], 0 offset:768
	;; [unrolled: 1-line block ×4, first 2 shown]
.LBB119_203:
	s_or_b32 exec_lo, exec_lo, s4
	v_mov_b32_e32 v4, s19
	s_waitcnt_vscnt null, 0x0
	s_barrier
	buffer_gl0_inv
	s_mov_b32 s4, exec_lo
	s_clause 0x3
	buffer_load_dword v1, v4, s[0:3], 0 offen
	buffer_load_dword v2, v4, s[0:3], 0 offen offset:4
	buffer_load_dword v3, v4, s[0:3], 0 offen offset:8
	;; [unrolled: 1-line block ×3, first 2 shown]
	s_waitcnt vmcnt(0)
	ds_write_b128 v5, v[1:4]
	s_waitcnt lgkmcnt(0)
	s_barrier
	buffer_gl0_inv
	v_cmpx_gt_u32_e32 48, v0
	s_cbranch_execz .LBB119_207
; %bb.204:
	v_mov_b32_e32 v1, 0
	v_mov_b32_e32 v3, 0
	v_add_nc_u32_e32 v7, -1, v0
	v_add_nc_u32_e32 v8, 0x380, v123
	v_mov_b32_e32 v2, 0
	v_mov_b32_e32 v4, 0
	v_add_nc_u32_e32 v121, 16, v123
	s_mov_b32 s5, 0
	.p2align	6
.LBB119_205:                            ; =>This Inner Loop Header: Depth=1
	s_clause 0x3
	buffer_load_dword v128, v121, s[0:3], 0 offen offset:8
	buffer_load_dword v129, v121, s[0:3], 0 offen offset:12
	buffer_load_dword v130, v121, s[0:3], 0 offen
	buffer_load_dword v131, v121, s[0:3], 0 offen offset:4
	ds_read_b128 v[124:127], v8
	v_add_nc_u32_e32 v7, 1, v7
	v_add_nc_u32_e32 v8, 16, v8
	;; [unrolled: 1-line block ×3, first 2 shown]
	v_cmp_lt_u32_e32 vcc_lo, 46, v7
	s_or_b32 s5, vcc_lo, s5
	s_waitcnt vmcnt(2) lgkmcnt(0)
	v_mul_f64 v[132:133], v[126:127], v[128:129]
	v_mul_f64 v[128:129], v[124:125], v[128:129]
	s_waitcnt vmcnt(0)
	v_fma_f64 v[124:125], v[124:125], v[130:131], -v[132:133]
	v_fma_f64 v[126:127], v[126:127], v[130:131], v[128:129]
	v_add_f64 v[3:4], v[3:4], v[124:125]
	v_add_f64 v[1:2], v[1:2], v[126:127]
	s_andn2_b32 exec_lo, exec_lo, s5
	s_cbranch_execnz .LBB119_205
; %bb.206:
	s_or_b32 exec_lo, exec_lo, s5
	v_mov_b32_e32 v7, 0
	ds_read_b128 v[124:127], v7 offset:768
	s_waitcnt lgkmcnt(0)
	v_mul_f64 v[7:8], v[1:2], v[126:127]
	v_mul_f64 v[121:122], v[3:4], v[126:127]
	v_fma_f64 v[3:4], v[3:4], v[124:125], -v[7:8]
	v_fma_f64 v[1:2], v[1:2], v[124:125], v[121:122]
	buffer_store_dword v4, off, s[0:3], 0 offset:788
	buffer_store_dword v3, off, s[0:3], 0 offset:784
	;; [unrolled: 1-line block ×4, first 2 shown]
.LBB119_207:
	s_or_b32 exec_lo, exec_lo, s4
	v_mov_b32_e32 v4, s18
	s_waitcnt_vscnt null, 0x0
	s_barrier
	buffer_gl0_inv
	s_mov_b32 s4, exec_lo
	s_clause 0x3
	buffer_load_dword v1, v4, s[0:3], 0 offen
	buffer_load_dword v2, v4, s[0:3], 0 offen offset:4
	buffer_load_dword v3, v4, s[0:3], 0 offen offset:8
	;; [unrolled: 1-line block ×3, first 2 shown]
	s_waitcnt vmcnt(0)
	ds_write_b128 v5, v[1:4]
	s_waitcnt lgkmcnt(0)
	s_barrier
	buffer_gl0_inv
	v_cmpx_gt_u32_e32 49, v0
	s_cbranch_execz .LBB119_211
; %bb.208:
	v_mov_b32_e32 v1, 0
	v_mov_b32_e32 v3, 0
	v_add_nc_u32_e32 v7, -1, v0
	v_add_nc_u32_e32 v8, 0x380, v123
	v_mov_b32_e32 v2, 0
	v_mov_b32_e32 v4, 0
	v_add_nc_u32_e32 v121, 16, v123
	s_mov_b32 s5, 0
	.p2align	6
.LBB119_209:                            ; =>This Inner Loop Header: Depth=1
	s_clause 0x3
	buffer_load_dword v128, v121, s[0:3], 0 offen offset:8
	buffer_load_dword v129, v121, s[0:3], 0 offen offset:12
	buffer_load_dword v130, v121, s[0:3], 0 offen
	buffer_load_dword v131, v121, s[0:3], 0 offen offset:4
	ds_read_b128 v[124:127], v8
	v_add_nc_u32_e32 v7, 1, v7
	v_add_nc_u32_e32 v8, 16, v8
	;; [unrolled: 1-line block ×3, first 2 shown]
	v_cmp_lt_u32_e32 vcc_lo, 47, v7
	s_or_b32 s5, vcc_lo, s5
	s_waitcnt vmcnt(2) lgkmcnt(0)
	v_mul_f64 v[132:133], v[126:127], v[128:129]
	v_mul_f64 v[128:129], v[124:125], v[128:129]
	s_waitcnt vmcnt(0)
	v_fma_f64 v[124:125], v[124:125], v[130:131], -v[132:133]
	v_fma_f64 v[126:127], v[126:127], v[130:131], v[128:129]
	v_add_f64 v[3:4], v[3:4], v[124:125]
	v_add_f64 v[1:2], v[1:2], v[126:127]
	s_andn2_b32 exec_lo, exec_lo, s5
	s_cbranch_execnz .LBB119_209
; %bb.210:
	s_or_b32 exec_lo, exec_lo, s5
	v_mov_b32_e32 v7, 0
	ds_read_b128 v[124:127], v7 offset:784
	s_waitcnt lgkmcnt(0)
	v_mul_f64 v[7:8], v[1:2], v[126:127]
	v_mul_f64 v[121:122], v[3:4], v[126:127]
	v_fma_f64 v[3:4], v[3:4], v[124:125], -v[7:8]
	v_fma_f64 v[1:2], v[1:2], v[124:125], v[121:122]
	buffer_store_dword v4, off, s[0:3], 0 offset:804
	buffer_store_dword v3, off, s[0:3], 0 offset:800
	;; [unrolled: 1-line block ×4, first 2 shown]
.LBB119_211:
	s_or_b32 exec_lo, exec_lo, s4
	v_mov_b32_e32 v4, s17
	s_waitcnt_vscnt null, 0x0
	s_barrier
	buffer_gl0_inv
	s_mov_b32 s4, exec_lo
	s_clause 0x3
	buffer_load_dword v1, v4, s[0:3], 0 offen
	buffer_load_dword v2, v4, s[0:3], 0 offen offset:4
	buffer_load_dword v3, v4, s[0:3], 0 offen offset:8
	buffer_load_dword v4, v4, s[0:3], 0 offen offset:12
	s_waitcnt vmcnt(0)
	ds_write_b128 v5, v[1:4]
	s_waitcnt lgkmcnt(0)
	s_barrier
	buffer_gl0_inv
	v_cmpx_gt_u32_e32 50, v0
	s_cbranch_execz .LBB119_215
; %bb.212:
	v_mov_b32_e32 v1, 0
	v_mov_b32_e32 v3, 0
	v_add_nc_u32_e32 v7, -1, v0
	v_add_nc_u32_e32 v8, 0x380, v123
	v_mov_b32_e32 v2, 0
	v_mov_b32_e32 v4, 0
	v_add_nc_u32_e32 v121, 16, v123
	s_mov_b32 s5, 0
	.p2align	6
.LBB119_213:                            ; =>This Inner Loop Header: Depth=1
	s_clause 0x3
	buffer_load_dword v128, v121, s[0:3], 0 offen offset:8
	buffer_load_dword v129, v121, s[0:3], 0 offen offset:12
	buffer_load_dword v130, v121, s[0:3], 0 offen
	buffer_load_dword v131, v121, s[0:3], 0 offen offset:4
	ds_read_b128 v[124:127], v8
	v_add_nc_u32_e32 v7, 1, v7
	v_add_nc_u32_e32 v8, 16, v8
	;; [unrolled: 1-line block ×3, first 2 shown]
	v_cmp_lt_u32_e32 vcc_lo, 48, v7
	s_or_b32 s5, vcc_lo, s5
	s_waitcnt vmcnt(2) lgkmcnt(0)
	v_mul_f64 v[132:133], v[126:127], v[128:129]
	v_mul_f64 v[128:129], v[124:125], v[128:129]
	s_waitcnt vmcnt(0)
	v_fma_f64 v[124:125], v[124:125], v[130:131], -v[132:133]
	v_fma_f64 v[126:127], v[126:127], v[130:131], v[128:129]
	v_add_f64 v[3:4], v[3:4], v[124:125]
	v_add_f64 v[1:2], v[1:2], v[126:127]
	s_andn2_b32 exec_lo, exec_lo, s5
	s_cbranch_execnz .LBB119_213
; %bb.214:
	s_or_b32 exec_lo, exec_lo, s5
	v_mov_b32_e32 v7, 0
	ds_read_b128 v[124:127], v7 offset:800
	s_waitcnt lgkmcnt(0)
	v_mul_f64 v[7:8], v[1:2], v[126:127]
	v_mul_f64 v[121:122], v[3:4], v[126:127]
	v_fma_f64 v[3:4], v[3:4], v[124:125], -v[7:8]
	v_fma_f64 v[1:2], v[1:2], v[124:125], v[121:122]
	buffer_store_dword v4, off, s[0:3], 0 offset:820
	buffer_store_dword v3, off, s[0:3], 0 offset:816
	;; [unrolled: 1-line block ×4, first 2 shown]
.LBB119_215:
	s_or_b32 exec_lo, exec_lo, s4
	v_mov_b32_e32 v4, s16
	s_waitcnt_vscnt null, 0x0
	s_barrier
	buffer_gl0_inv
	s_mov_b32 s4, exec_lo
	s_clause 0x3
	buffer_load_dword v1, v4, s[0:3], 0 offen
	buffer_load_dword v2, v4, s[0:3], 0 offen offset:4
	buffer_load_dword v3, v4, s[0:3], 0 offen offset:8
	;; [unrolled: 1-line block ×3, first 2 shown]
	s_waitcnt vmcnt(0)
	ds_write_b128 v5, v[1:4]
	s_waitcnt lgkmcnt(0)
	s_barrier
	buffer_gl0_inv
	v_cmpx_gt_u32_e32 51, v0
	s_cbranch_execz .LBB119_219
; %bb.216:
	v_mov_b32_e32 v1, 0
	v_mov_b32_e32 v3, 0
	v_add_nc_u32_e32 v7, -1, v0
	v_add_nc_u32_e32 v8, 0x380, v123
	v_mov_b32_e32 v2, 0
	v_mov_b32_e32 v4, 0
	v_add_nc_u32_e32 v121, 16, v123
	s_mov_b32 s5, 0
	.p2align	6
.LBB119_217:                            ; =>This Inner Loop Header: Depth=1
	s_clause 0x3
	buffer_load_dword v128, v121, s[0:3], 0 offen offset:8
	buffer_load_dword v129, v121, s[0:3], 0 offen offset:12
	buffer_load_dword v130, v121, s[0:3], 0 offen
	buffer_load_dword v131, v121, s[0:3], 0 offen offset:4
	ds_read_b128 v[124:127], v8
	v_add_nc_u32_e32 v7, 1, v7
	v_add_nc_u32_e32 v8, 16, v8
	;; [unrolled: 1-line block ×3, first 2 shown]
	v_cmp_lt_u32_e32 vcc_lo, 49, v7
	s_or_b32 s5, vcc_lo, s5
	s_waitcnt vmcnt(2) lgkmcnt(0)
	v_mul_f64 v[132:133], v[126:127], v[128:129]
	v_mul_f64 v[128:129], v[124:125], v[128:129]
	s_waitcnt vmcnt(0)
	v_fma_f64 v[124:125], v[124:125], v[130:131], -v[132:133]
	v_fma_f64 v[126:127], v[126:127], v[130:131], v[128:129]
	v_add_f64 v[3:4], v[3:4], v[124:125]
	v_add_f64 v[1:2], v[1:2], v[126:127]
	s_andn2_b32 exec_lo, exec_lo, s5
	s_cbranch_execnz .LBB119_217
; %bb.218:
	s_or_b32 exec_lo, exec_lo, s5
	v_mov_b32_e32 v7, 0
	ds_read_b128 v[124:127], v7 offset:816
	s_waitcnt lgkmcnt(0)
	v_mul_f64 v[7:8], v[1:2], v[126:127]
	v_mul_f64 v[121:122], v[3:4], v[126:127]
	v_fma_f64 v[3:4], v[3:4], v[124:125], -v[7:8]
	v_fma_f64 v[1:2], v[1:2], v[124:125], v[121:122]
	buffer_store_dword v4, off, s[0:3], 0 offset:836
	buffer_store_dword v3, off, s[0:3], 0 offset:832
	;; [unrolled: 1-line block ×4, first 2 shown]
.LBB119_219:
	s_or_b32 exec_lo, exec_lo, s4
	v_mov_b32_e32 v4, s15
	s_waitcnt_vscnt null, 0x0
	s_barrier
	buffer_gl0_inv
	s_mov_b32 s4, exec_lo
	s_clause 0x3
	buffer_load_dword v1, v4, s[0:3], 0 offen
	buffer_load_dword v2, v4, s[0:3], 0 offen offset:4
	buffer_load_dword v3, v4, s[0:3], 0 offen offset:8
	buffer_load_dword v4, v4, s[0:3], 0 offen offset:12
	s_waitcnt vmcnt(0)
	ds_write_b128 v5, v[1:4]
	s_waitcnt lgkmcnt(0)
	s_barrier
	buffer_gl0_inv
	v_cmpx_gt_u32_e32 52, v0
	s_cbranch_execz .LBB119_223
; %bb.220:
	v_mov_b32_e32 v1, 0
	v_mov_b32_e32 v3, 0
	v_add_nc_u32_e32 v7, -1, v0
	v_add_nc_u32_e32 v8, 0x380, v123
	v_mov_b32_e32 v2, 0
	v_mov_b32_e32 v4, 0
	v_add_nc_u32_e32 v121, 16, v123
	s_mov_b32 s5, 0
	.p2align	6
.LBB119_221:                            ; =>This Inner Loop Header: Depth=1
	s_clause 0x3
	buffer_load_dword v128, v121, s[0:3], 0 offen offset:8
	buffer_load_dword v129, v121, s[0:3], 0 offen offset:12
	buffer_load_dword v130, v121, s[0:3], 0 offen
	buffer_load_dword v131, v121, s[0:3], 0 offen offset:4
	ds_read_b128 v[124:127], v8
	v_add_nc_u32_e32 v7, 1, v7
	v_add_nc_u32_e32 v8, 16, v8
	;; [unrolled: 1-line block ×3, first 2 shown]
	v_cmp_lt_u32_e32 vcc_lo, 50, v7
	s_or_b32 s5, vcc_lo, s5
	s_waitcnt vmcnt(2) lgkmcnt(0)
	v_mul_f64 v[132:133], v[126:127], v[128:129]
	v_mul_f64 v[128:129], v[124:125], v[128:129]
	s_waitcnt vmcnt(0)
	v_fma_f64 v[124:125], v[124:125], v[130:131], -v[132:133]
	v_fma_f64 v[126:127], v[126:127], v[130:131], v[128:129]
	v_add_f64 v[3:4], v[3:4], v[124:125]
	v_add_f64 v[1:2], v[1:2], v[126:127]
	s_andn2_b32 exec_lo, exec_lo, s5
	s_cbranch_execnz .LBB119_221
; %bb.222:
	s_or_b32 exec_lo, exec_lo, s5
	v_mov_b32_e32 v7, 0
	ds_read_b128 v[124:127], v7 offset:832
	s_waitcnt lgkmcnt(0)
	v_mul_f64 v[7:8], v[1:2], v[126:127]
	v_mul_f64 v[121:122], v[3:4], v[126:127]
	v_fma_f64 v[3:4], v[3:4], v[124:125], -v[7:8]
	v_fma_f64 v[1:2], v[1:2], v[124:125], v[121:122]
	buffer_store_dword v4, off, s[0:3], 0 offset:852
	buffer_store_dword v3, off, s[0:3], 0 offset:848
	;; [unrolled: 1-line block ×4, first 2 shown]
.LBB119_223:
	s_or_b32 exec_lo, exec_lo, s4
	v_mov_b32_e32 v4, s14
	s_waitcnt_vscnt null, 0x0
	s_barrier
	buffer_gl0_inv
	s_mov_b32 s4, exec_lo
	s_clause 0x3
	buffer_load_dword v1, v4, s[0:3], 0 offen
	buffer_load_dword v2, v4, s[0:3], 0 offen offset:4
	buffer_load_dword v3, v4, s[0:3], 0 offen offset:8
	;; [unrolled: 1-line block ×3, first 2 shown]
	s_waitcnt vmcnt(0)
	ds_write_b128 v5, v[1:4]
	s_waitcnt lgkmcnt(0)
	s_barrier
	buffer_gl0_inv
	v_cmpx_gt_u32_e32 53, v0
	s_cbranch_execz .LBB119_227
; %bb.224:
	v_mov_b32_e32 v1, 0
	v_mov_b32_e32 v3, 0
	v_add_nc_u32_e32 v7, -1, v0
	v_add_nc_u32_e32 v8, 0x380, v123
	v_mov_b32_e32 v2, 0
	v_mov_b32_e32 v4, 0
	v_add_nc_u32_e32 v121, 16, v123
	s_mov_b32 s5, 0
	.p2align	6
.LBB119_225:                            ; =>This Inner Loop Header: Depth=1
	s_clause 0x3
	buffer_load_dword v128, v121, s[0:3], 0 offen offset:8
	buffer_load_dword v129, v121, s[0:3], 0 offen offset:12
	buffer_load_dword v130, v121, s[0:3], 0 offen
	buffer_load_dword v131, v121, s[0:3], 0 offen offset:4
	ds_read_b128 v[124:127], v8
	v_add_nc_u32_e32 v7, 1, v7
	v_add_nc_u32_e32 v8, 16, v8
	;; [unrolled: 1-line block ×3, first 2 shown]
	v_cmp_lt_u32_e32 vcc_lo, 51, v7
	s_or_b32 s5, vcc_lo, s5
	s_waitcnt vmcnt(2) lgkmcnt(0)
	v_mul_f64 v[132:133], v[126:127], v[128:129]
	v_mul_f64 v[128:129], v[124:125], v[128:129]
	s_waitcnt vmcnt(0)
	v_fma_f64 v[124:125], v[124:125], v[130:131], -v[132:133]
	v_fma_f64 v[126:127], v[126:127], v[130:131], v[128:129]
	v_add_f64 v[3:4], v[3:4], v[124:125]
	v_add_f64 v[1:2], v[1:2], v[126:127]
	s_andn2_b32 exec_lo, exec_lo, s5
	s_cbranch_execnz .LBB119_225
; %bb.226:
	s_or_b32 exec_lo, exec_lo, s5
	v_mov_b32_e32 v7, 0
	ds_read_b128 v[124:127], v7 offset:848
	s_waitcnt lgkmcnt(0)
	v_mul_f64 v[7:8], v[1:2], v[126:127]
	v_mul_f64 v[121:122], v[3:4], v[126:127]
	v_fma_f64 v[3:4], v[3:4], v[124:125], -v[7:8]
	v_fma_f64 v[1:2], v[1:2], v[124:125], v[121:122]
	buffer_store_dword v4, off, s[0:3], 0 offset:868
	buffer_store_dword v3, off, s[0:3], 0 offset:864
	;; [unrolled: 1-line block ×4, first 2 shown]
.LBB119_227:
	s_or_b32 exec_lo, exec_lo, s4
	v_mov_b32_e32 v4, s9
	s_waitcnt_vscnt null, 0x0
	s_barrier
	buffer_gl0_inv
	s_mov_b32 s4, exec_lo
	s_clause 0x3
	buffer_load_dword v1, v4, s[0:3], 0 offen
	buffer_load_dword v2, v4, s[0:3], 0 offen offset:4
	buffer_load_dword v3, v4, s[0:3], 0 offen offset:8
	;; [unrolled: 1-line block ×3, first 2 shown]
	s_waitcnt vmcnt(0)
	ds_write_b128 v5, v[1:4]
	s_waitcnt lgkmcnt(0)
	s_barrier
	buffer_gl0_inv
	v_cmpx_gt_u32_e32 54, v0
	s_cbranch_execz .LBB119_231
; %bb.228:
	v_mov_b32_e32 v1, 0
	v_mov_b32_e32 v3, 0
	v_add_nc_u32_e32 v7, -1, v0
	v_add_nc_u32_e32 v8, 0x380, v123
	v_mov_b32_e32 v2, 0
	v_mov_b32_e32 v4, 0
	v_add_nc_u32_e32 v121, 16, v123
	s_mov_b32 s5, 0
	.p2align	6
.LBB119_229:                            ; =>This Inner Loop Header: Depth=1
	s_clause 0x3
	buffer_load_dword v128, v121, s[0:3], 0 offen offset:8
	buffer_load_dword v129, v121, s[0:3], 0 offen offset:12
	buffer_load_dword v130, v121, s[0:3], 0 offen
	buffer_load_dword v131, v121, s[0:3], 0 offen offset:4
	ds_read_b128 v[124:127], v8
	v_add_nc_u32_e32 v7, 1, v7
	v_add_nc_u32_e32 v8, 16, v8
	;; [unrolled: 1-line block ×3, first 2 shown]
	v_cmp_lt_u32_e32 vcc_lo, 52, v7
	s_or_b32 s5, vcc_lo, s5
	s_waitcnt vmcnt(2) lgkmcnt(0)
	v_mul_f64 v[132:133], v[126:127], v[128:129]
	v_mul_f64 v[128:129], v[124:125], v[128:129]
	s_waitcnt vmcnt(0)
	v_fma_f64 v[124:125], v[124:125], v[130:131], -v[132:133]
	v_fma_f64 v[126:127], v[126:127], v[130:131], v[128:129]
	v_add_f64 v[3:4], v[3:4], v[124:125]
	v_add_f64 v[1:2], v[1:2], v[126:127]
	s_andn2_b32 exec_lo, exec_lo, s5
	s_cbranch_execnz .LBB119_229
; %bb.230:
	s_or_b32 exec_lo, exec_lo, s5
	v_mov_b32_e32 v7, 0
	ds_read_b128 v[124:127], v7 offset:864
	s_waitcnt lgkmcnt(0)
	v_mul_f64 v[7:8], v[1:2], v[126:127]
	v_mul_f64 v[121:122], v[3:4], v[126:127]
	v_fma_f64 v[3:4], v[3:4], v[124:125], -v[7:8]
	v_fma_f64 v[1:2], v[1:2], v[124:125], v[121:122]
	buffer_store_dword v4, off, s[0:3], 0 offset:884
	buffer_store_dword v3, off, s[0:3], 0 offset:880
	;; [unrolled: 1-line block ×4, first 2 shown]
.LBB119_231:
	s_or_b32 exec_lo, exec_lo, s4
	v_mov_b32_e32 v4, s8
	s_waitcnt_vscnt null, 0x0
	s_barrier
	buffer_gl0_inv
	s_mov_b32 s4, exec_lo
	s_clause 0x3
	buffer_load_dword v1, v4, s[0:3], 0 offen
	buffer_load_dword v2, v4, s[0:3], 0 offen offset:4
	buffer_load_dword v3, v4, s[0:3], 0 offen offset:8
	;; [unrolled: 1-line block ×3, first 2 shown]
	s_waitcnt vmcnt(0)
	ds_write_b128 v5, v[1:4]
	s_waitcnt lgkmcnt(0)
	s_barrier
	buffer_gl0_inv
	v_cmpx_ne_u32_e32 55, v0
	s_cbranch_execz .LBB119_235
; %bb.232:
	v_mov_b32_e32 v1, 0
	v_mov_b32_e32 v3, 0
	;; [unrolled: 1-line block ×4, first 2 shown]
	v_add_nc_u32_e32 v7, 16, v123
	s_mov_b32 s5, 0
	.p2align	6
.LBB119_233:                            ; =>This Inner Loop Header: Depth=1
	s_clause 0x3
	buffer_load_dword v125, v7, s[0:3], 0 offen offset:8
	buffer_load_dword v126, v7, s[0:3], 0 offen offset:12
	buffer_load_dword v127, v7, s[0:3], 0 offen
	buffer_load_dword v128, v7, s[0:3], 0 offen offset:4
	ds_read_b128 v[121:124], v5
	v_add_nc_u32_e32 v6, 1, v6
	v_add_nc_u32_e32 v5, 16, v5
	;; [unrolled: 1-line block ×3, first 2 shown]
	v_cmp_lt_u32_e32 vcc_lo, 53, v6
	s_or_b32 s5, vcc_lo, s5
	s_waitcnt vmcnt(2) lgkmcnt(0)
	v_mul_f64 v[129:130], v[123:124], v[125:126]
	v_mul_f64 v[125:126], v[121:122], v[125:126]
	s_waitcnt vmcnt(0)
	v_fma_f64 v[121:122], v[121:122], v[127:128], -v[129:130]
	v_fma_f64 v[123:124], v[123:124], v[127:128], v[125:126]
	v_add_f64 v[3:4], v[3:4], v[121:122]
	v_add_f64 v[1:2], v[1:2], v[123:124]
	s_andn2_b32 exec_lo, exec_lo, s5
	s_cbranch_execnz .LBB119_233
; %bb.234:
	s_or_b32 exec_lo, exec_lo, s5
	v_mov_b32_e32 v5, 0
	ds_read_b128 v[5:8], v5 offset:880
	s_waitcnt lgkmcnt(0)
	v_mul_f64 v[121:122], v[1:2], v[7:8]
	v_mul_f64 v[7:8], v[3:4], v[7:8]
	v_fma_f64 v[3:4], v[3:4], v[5:6], -v[121:122]
	v_fma_f64 v[1:2], v[1:2], v[5:6], v[7:8]
	buffer_store_dword v4, off, s[0:3], 0 offset:900
	buffer_store_dword v3, off, s[0:3], 0 offset:896
	;; [unrolled: 1-line block ×4, first 2 shown]
.LBB119_235:
	s_or_b32 exec_lo, exec_lo, s4
	s_mov_b32 s5, -1
	s_waitcnt_vscnt null, 0x0
	s_barrier
	buffer_gl0_inv
.LBB119_236:
	s_and_b32 vcc_lo, exec_lo, s5
	s_cbranch_vccz .LBB119_238
; %bb.237:
	s_lshl_b64 s[4:5], s[6:7], 2
	v_mov_b32_e32 v1, 0
	s_add_u32 s4, s10, s4
	s_addc_u32 s5, s11, s5
	global_load_dword v1, v1, s[4:5]
	s_waitcnt vmcnt(0)
	v_cmp_ne_u32_e32 vcc_lo, 0, v1
	s_cbranch_vccz .LBB119_239
.LBB119_238:
	s_endpgm
.LBB119_239:
	v_lshl_add_u32 v181, v0, 4, 0x380
	s_mov_b32 s4, exec_lo
	v_cmpx_eq_u32_e32 55, v0
	s_cbranch_execz .LBB119_241
; %bb.240:
	v_mov_b32_e32 v4, s9
	v_mov_b32_e32 v5, 0
	s_clause 0x3
	buffer_load_dword v1, v4, s[0:3], 0 offen
	buffer_load_dword v2, v4, s[0:3], 0 offen offset:4
	buffer_load_dword v3, v4, s[0:3], 0 offen offset:8
	buffer_load_dword v4, v4, s[0:3], 0 offen offset:12
	buffer_store_dword v5, off, s[0:3], 0 offset:880
	buffer_store_dword v5, off, s[0:3], 0 offset:884
	;; [unrolled: 1-line block ×4, first 2 shown]
	s_waitcnt vmcnt(0)
	ds_write_b128 v181, v[1:4]
.LBB119_241:
	s_or_b32 exec_lo, exec_lo, s4
	s_waitcnt lgkmcnt(0)
	s_waitcnt_vscnt null, 0x0
	s_barrier
	buffer_gl0_inv
	s_clause 0x7
	buffer_load_dword v6, off, s[0:3], 0 offset:904
	buffer_load_dword v7, off, s[0:3], 0 offset:908
	;; [unrolled: 1-line block ×8, first 2 shown]
	v_mov_b32_e32 v1, 0
	s_mov_b32 s4, exec_lo
	ds_read_b128 v[2:5], v1 offset:1776
	s_waitcnt vmcnt(6) lgkmcnt(0)
	v_mul_f64 v[127:128], v[4:5], v[6:7]
	v_mul_f64 v[6:7], v[2:3], v[6:7]
	s_waitcnt vmcnt(4)
	v_fma_f64 v[2:3], v[2:3], v[121:122], -v[127:128]
	v_fma_f64 v[4:5], v[4:5], v[121:122], v[6:7]
	v_add_f64 v[2:3], v[2:3], 0
	v_add_f64 v[4:5], v[4:5], 0
	s_waitcnt vmcnt(2)
	v_add_f64 v[2:3], v[123:124], -v[2:3]
	s_waitcnt vmcnt(0)
	v_add_f64 v[4:5], v[125:126], -v[4:5]
	buffer_store_dword v2, off, s[0:3], 0 offset:880
	buffer_store_dword v3, off, s[0:3], 0 offset:884
	;; [unrolled: 1-line block ×4, first 2 shown]
	v_cmpx_lt_u32_e32 53, v0
	s_cbranch_execz .LBB119_243
; %bb.242:
	v_mov_b32_e32 v5, s14
	s_clause 0x3
	buffer_load_dword v2, v5, s[0:3], 0 offen
	buffer_load_dword v3, v5, s[0:3], 0 offen offset:4
	buffer_load_dword v4, v5, s[0:3], 0 offen offset:8
	;; [unrolled: 1-line block ×3, first 2 shown]
	buffer_store_dword v1, off, s[0:3], 0 offset:864
	buffer_store_dword v1, off, s[0:3], 0 offset:868
	;; [unrolled: 1-line block ×4, first 2 shown]
	s_waitcnt vmcnt(0)
	ds_write_b128 v181, v[2:5]
.LBB119_243:
	s_or_b32 exec_lo, exec_lo, s4
	s_waitcnt lgkmcnt(0)
	s_waitcnt_vscnt null, 0x0
	s_barrier
	buffer_gl0_inv
	s_clause 0xb
	buffer_load_dword v6, off, s[0:3], 0 offset:888
	buffer_load_dword v7, off, s[0:3], 0 offset:892
	;; [unrolled: 1-line block ×12, first 2 shown]
	ds_read_b128 v[2:5], v1 offset:1760
	ds_read_b128 v[121:124], v1 offset:1776
	s_mov_b32 s4, exec_lo
	s_waitcnt vmcnt(10) lgkmcnt(1)
	v_mul_f64 v[135:136], v[4:5], v[6:7]
	v_mul_f64 v[6:7], v[2:3], v[6:7]
	s_waitcnt vmcnt(8) lgkmcnt(0)
	v_mul_f64 v[137:138], v[123:124], v[125:126]
	v_mul_f64 v[125:126], v[121:122], v[125:126]
	s_waitcnt vmcnt(6)
	v_fma_f64 v[1:2], v[2:3], v[127:128], -v[135:136]
	v_fma_f64 v[3:4], v[4:5], v[127:128], v[6:7]
	s_waitcnt vmcnt(4)
	v_fma_f64 v[5:6], v[121:122], v[129:130], -v[137:138]
	v_fma_f64 v[7:8], v[123:124], v[129:130], v[125:126]
	v_add_f64 v[1:2], v[1:2], 0
	v_add_f64 v[3:4], v[3:4], 0
	;; [unrolled: 1-line block ×4, first 2 shown]
	s_waitcnt vmcnt(2)
	v_add_f64 v[1:2], v[131:132], -v[1:2]
	s_waitcnt vmcnt(0)
	v_add_f64 v[3:4], v[133:134], -v[3:4]
	buffer_store_dword v1, off, s[0:3], 0 offset:864
	buffer_store_dword v2, off, s[0:3], 0 offset:868
	;; [unrolled: 1-line block ×4, first 2 shown]
	v_cmpx_lt_u32_e32 52, v0
	s_cbranch_execz .LBB119_245
; %bb.244:
	v_mov_b32_e32 v4, s15
	v_mov_b32_e32 v5, 0
	s_clause 0x3
	buffer_load_dword v1, v4, s[0:3], 0 offen
	buffer_load_dword v2, v4, s[0:3], 0 offen offset:4
	buffer_load_dword v3, v4, s[0:3], 0 offen offset:8
	;; [unrolled: 1-line block ×3, first 2 shown]
	buffer_store_dword v5, off, s[0:3], 0 offset:848
	buffer_store_dword v5, off, s[0:3], 0 offset:852
	;; [unrolled: 1-line block ×4, first 2 shown]
	s_waitcnt vmcnt(0)
	ds_write_b128 v181, v[1:4]
.LBB119_245:
	s_or_b32 exec_lo, exec_lo, s4
	s_waitcnt lgkmcnt(0)
	s_waitcnt_vscnt null, 0x0
	s_barrier
	buffer_gl0_inv
	s_clause 0xf
	buffer_load_dword v6, off, s[0:3], 0 offset:872
	buffer_load_dword v7, off, s[0:3], 0 offset:876
	;; [unrolled: 1-line block ×16, first 2 shown]
	v_mov_b32_e32 v1, 0
	ds_read_b128 v[2:5], v1 offset:1744
	ds_read_b128 v[121:124], v1 offset:1760
	ds_read_b128 v[125:128], v1 offset:1776
	s_mov_b32 s4, exec_lo
	s_waitcnt vmcnt(14) lgkmcnt(2)
	v_mul_f64 v[143:144], v[4:5], v[6:7]
	v_mul_f64 v[6:7], v[2:3], v[6:7]
	s_waitcnt vmcnt(12) lgkmcnt(1)
	v_mul_f64 v[145:146], v[123:124], v[129:130]
	v_mul_f64 v[129:130], v[121:122], v[129:130]
	s_waitcnt vmcnt(10)
	v_fma_f64 v[2:3], v[2:3], v[131:132], -v[143:144]
	v_fma_f64 v[4:5], v[4:5], v[131:132], v[6:7]
	s_waitcnt vmcnt(8) lgkmcnt(0)
	v_mul_f64 v[131:132], v[127:128], v[133:134]
	s_waitcnt vmcnt(6)
	v_fma_f64 v[121:122], v[121:122], v[135:136], -v[145:146]
	v_mul_f64 v[6:7], v[125:126], v[133:134]
	v_fma_f64 v[123:124], v[123:124], v[135:136], v[129:130]
	v_add_f64 v[2:3], v[2:3], 0
	v_add_f64 v[4:5], v[4:5], 0
	s_waitcnt vmcnt(4)
	v_fma_f64 v[125:126], v[125:126], v[137:138], -v[131:132]
	v_fma_f64 v[6:7], v[127:128], v[137:138], v[6:7]
	v_add_f64 v[2:3], v[2:3], v[121:122]
	v_add_f64 v[4:5], v[4:5], v[123:124]
	;; [unrolled: 1-line block ×4, first 2 shown]
	s_waitcnt vmcnt(2)
	v_add_f64 v[2:3], v[139:140], -v[2:3]
	s_waitcnt vmcnt(0)
	v_add_f64 v[4:5], v[141:142], -v[4:5]
	buffer_store_dword v2, off, s[0:3], 0 offset:848
	buffer_store_dword v3, off, s[0:3], 0 offset:852
	;; [unrolled: 1-line block ×4, first 2 shown]
	v_cmpx_lt_u32_e32 51, v0
	s_cbranch_execz .LBB119_247
; %bb.246:
	v_mov_b32_e32 v5, s16
	s_clause 0x3
	buffer_load_dword v2, v5, s[0:3], 0 offen
	buffer_load_dword v3, v5, s[0:3], 0 offen offset:4
	buffer_load_dword v4, v5, s[0:3], 0 offen offset:8
	;; [unrolled: 1-line block ×3, first 2 shown]
	buffer_store_dword v1, off, s[0:3], 0 offset:832
	buffer_store_dword v1, off, s[0:3], 0 offset:836
	;; [unrolled: 1-line block ×4, first 2 shown]
	s_waitcnt vmcnt(0)
	ds_write_b128 v181, v[2:5]
.LBB119_247:
	s_or_b32 exec_lo, exec_lo, s4
	s_waitcnt lgkmcnt(0)
	s_waitcnt_vscnt null, 0x0
	s_barrier
	buffer_gl0_inv
	s_clause 0x13
	buffer_load_dword v6, off, s[0:3], 0 offset:856
	buffer_load_dword v7, off, s[0:3], 0 offset:860
	;; [unrolled: 1-line block ×20, first 2 shown]
	ds_read_b128 v[2:5], v1 offset:1728
	ds_read_b128 v[121:124], v1 offset:1744
	;; [unrolled: 1-line block ×3, first 2 shown]
	s_mov_b32 s4, exec_lo
	s_waitcnt vmcnt(18) lgkmcnt(2)
	v_mul_f64 v[147:148], v[4:5], v[6:7]
	v_mul_f64 v[6:7], v[2:3], v[6:7]
	s_waitcnt vmcnt(16) lgkmcnt(1)
	v_mul_f64 v[149:150], v[123:124], v[129:130]
	v_mul_f64 v[129:130], v[121:122], v[129:130]
	s_waitcnt vmcnt(14)
	v_fma_f64 v[147:148], v[2:3], v[131:132], -v[147:148]
	v_fma_f64 v[5:6], v[4:5], v[131:132], v[6:7]
	s_waitcnt vmcnt(12) lgkmcnt(0)
	v_mul_f64 v[7:8], v[125:126], v[133:134]
	v_mul_f64 v[131:132], v[127:128], v[133:134]
	s_waitcnt vmcnt(10)
	v_fma_f64 v[121:122], v[121:122], v[135:136], -v[149:150]
	ds_read_b128 v[1:4], v1 offset:1776
	v_fma_f64 v[123:124], v[123:124], v[135:136], v[129:130]
	v_add_f64 v[133:134], v[147:148], 0
	v_add_f64 v[5:6], v[5:6], 0
	s_waitcnt vmcnt(6)
	v_fma_f64 v[7:8], v[127:128], v[139:140], v[7:8]
	s_waitcnt lgkmcnt(0)
	v_mul_f64 v[135:136], v[3:4], v[137:138]
	v_fma_f64 v[125:126], v[125:126], v[139:140], -v[131:132]
	v_mul_f64 v[129:130], v[1:2], v[137:138]
	v_add_f64 v[121:122], v[133:134], v[121:122]
	v_add_f64 v[5:6], v[5:6], v[123:124]
	s_waitcnt vmcnt(4)
	v_fma_f64 v[1:2], v[1:2], v[141:142], -v[135:136]
	v_fma_f64 v[3:4], v[3:4], v[141:142], v[129:130]
	v_add_f64 v[121:122], v[121:122], v[125:126]
	v_add_f64 v[5:6], v[5:6], v[7:8]
	;; [unrolled: 1-line block ×4, first 2 shown]
	s_waitcnt vmcnt(2)
	v_add_f64 v[1:2], v[143:144], -v[1:2]
	s_waitcnt vmcnt(0)
	v_add_f64 v[3:4], v[145:146], -v[3:4]
	buffer_store_dword v1, off, s[0:3], 0 offset:832
	buffer_store_dword v2, off, s[0:3], 0 offset:836
	;; [unrolled: 1-line block ×4, first 2 shown]
	v_cmpx_lt_u32_e32 50, v0
	s_cbranch_execz .LBB119_249
; %bb.248:
	v_mov_b32_e32 v4, s17
	v_mov_b32_e32 v5, 0
	s_clause 0x3
	buffer_load_dword v1, v4, s[0:3], 0 offen
	buffer_load_dword v2, v4, s[0:3], 0 offen offset:4
	buffer_load_dword v3, v4, s[0:3], 0 offen offset:8
	;; [unrolled: 1-line block ×3, first 2 shown]
	buffer_store_dword v5, off, s[0:3], 0 offset:816
	buffer_store_dword v5, off, s[0:3], 0 offset:820
	;; [unrolled: 1-line block ×4, first 2 shown]
	s_waitcnt vmcnt(0)
	ds_write_b128 v181, v[1:4]
.LBB119_249:
	s_or_b32 exec_lo, exec_lo, s4
	s_waitcnt lgkmcnt(0)
	s_waitcnt_vscnt null, 0x0
	s_barrier
	buffer_gl0_inv
	s_clause 0x17
	buffer_load_dword v6, off, s[0:3], 0 offset:840
	buffer_load_dword v7, off, s[0:3], 0 offset:844
	;; [unrolled: 1-line block ×24, first 2 shown]
	v_mov_b32_e32 v1, 0
	ds_read_b128 v[2:5], v1 offset:1712
	ds_read_b128 v[121:124], v1 offset:1728
	;; [unrolled: 1-line block ×3, first 2 shown]
	s_mov_b32 s4, exec_lo
	s_waitcnt vmcnt(22) lgkmcnt(2)
	v_mul_f64 v[151:152], v[4:5], v[6:7]
	v_mul_f64 v[6:7], v[2:3], v[6:7]
	s_waitcnt vmcnt(20) lgkmcnt(1)
	v_mul_f64 v[153:154], v[123:124], v[129:130]
	v_mul_f64 v[129:130], v[121:122], v[129:130]
	s_waitcnt vmcnt(18)
	v_fma_f64 v[151:152], v[2:3], v[131:132], -v[151:152]
	v_fma_f64 v[6:7], v[4:5], v[131:132], v[6:7]
	ds_read_b128 v[2:5], v1 offset:1760
	s_waitcnt vmcnt(16) lgkmcnt(1)
	v_mul_f64 v[131:132], v[125:126], v[133:134]
	v_mul_f64 v[133:134], v[127:128], v[133:134]
	s_waitcnt vmcnt(14)
	v_fma_f64 v[153:154], v[121:122], v[135:136], -v[153:154]
	v_fma_f64 v[129:130], v[123:124], v[135:136], v[129:130]
	ds_read_b128 v[121:124], v1 offset:1776
	s_waitcnt vmcnt(10) lgkmcnt(1)
	v_mul_f64 v[135:136], v[2:3], v[137:138]
	v_add_f64 v[151:152], v[151:152], 0
	v_add_f64 v[6:7], v[6:7], 0
	v_mul_f64 v[137:138], v[4:5], v[137:138]
	s_waitcnt vmcnt(8)
	v_fma_f64 v[125:126], v[125:126], v[143:144], -v[133:134]
	v_fma_f64 v[127:128], v[127:128], v[143:144], v[131:132]
	s_waitcnt vmcnt(7) lgkmcnt(0)
	v_mul_f64 v[131:132], v[123:124], v[139:140]
	s_waitcnt vmcnt(5)
	v_fma_f64 v[4:5], v[4:5], v[145:146], v[135:136]
	v_add_f64 v[133:134], v[151:152], v[153:154]
	v_add_f64 v[6:7], v[6:7], v[129:130]
	v_fma_f64 v[2:3], v[2:3], v[145:146], -v[137:138]
	v_mul_f64 v[129:130], v[121:122], v[139:140]
	s_waitcnt vmcnt(4)
	v_fma_f64 v[121:122], v[121:122], v[141:142], -v[131:132]
	v_add_f64 v[125:126], v[133:134], v[125:126]
	v_add_f64 v[6:7], v[6:7], v[127:128]
	v_fma_f64 v[123:124], v[123:124], v[141:142], v[129:130]
	v_add_f64 v[2:3], v[125:126], v[2:3]
	v_add_f64 v[4:5], v[6:7], v[4:5]
	;; [unrolled: 1-line block ×4, first 2 shown]
	s_waitcnt vmcnt(2)
	v_add_f64 v[2:3], v[147:148], -v[2:3]
	s_waitcnt vmcnt(0)
	v_add_f64 v[4:5], v[149:150], -v[4:5]
	buffer_store_dword v3, off, s[0:3], 0 offset:820
	buffer_store_dword v2, off, s[0:3], 0 offset:816
	;; [unrolled: 1-line block ×4, first 2 shown]
	v_cmpx_lt_u32_e32 49, v0
	s_cbranch_execz .LBB119_251
; %bb.250:
	v_mov_b32_e32 v5, s18
	s_clause 0x3
	buffer_load_dword v2, v5, s[0:3], 0 offen
	buffer_load_dword v3, v5, s[0:3], 0 offen offset:4
	buffer_load_dword v4, v5, s[0:3], 0 offen offset:8
	buffer_load_dword v5, v5, s[0:3], 0 offen offset:12
	buffer_store_dword v1, off, s[0:3], 0 offset:800
	buffer_store_dword v1, off, s[0:3], 0 offset:804
	;; [unrolled: 1-line block ×4, first 2 shown]
	s_waitcnt vmcnt(0)
	ds_write_b128 v181, v[2:5]
.LBB119_251:
	s_or_b32 exec_lo, exec_lo, s4
	s_waitcnt lgkmcnt(0)
	s_waitcnt_vscnt null, 0x0
	s_barrier
	buffer_gl0_inv
	s_clause 0x1b
	buffer_load_dword v6, off, s[0:3], 0 offset:824
	buffer_load_dword v7, off, s[0:3], 0 offset:828
	;; [unrolled: 1-line block ×28, first 2 shown]
	ds_read_b128 v[2:5], v1 offset:1696
	ds_read_b128 v[121:124], v1 offset:1712
	;; [unrolled: 1-line block ×3, first 2 shown]
	s_mov_b32 s4, exec_lo
	s_waitcnt vmcnt(26) lgkmcnt(2)
	v_mul_f64 v[155:156], v[4:5], v[6:7]
	v_mul_f64 v[6:7], v[2:3], v[6:7]
	s_waitcnt vmcnt(24) lgkmcnt(1)
	v_mul_f64 v[157:158], v[123:124], v[129:130]
	v_mul_f64 v[129:130], v[121:122], v[129:130]
	s_waitcnt vmcnt(22)
	v_fma_f64 v[155:156], v[2:3], v[131:132], -v[155:156]
	v_fma_f64 v[6:7], v[4:5], v[131:132], v[6:7]
	ds_read_b128 v[2:5], v1 offset:1744
	s_waitcnt vmcnt(20) lgkmcnt(1)
	v_mul_f64 v[131:132], v[125:126], v[133:134]
	v_mul_f64 v[133:134], v[127:128], v[133:134]
	s_waitcnt vmcnt(18)
	v_fma_f64 v[157:158], v[121:122], v[135:136], -v[157:158]
	v_fma_f64 v[129:130], v[123:124], v[135:136], v[129:130]
	ds_read_b128 v[121:124], v1 offset:1760
	s_waitcnt vmcnt(14) lgkmcnt(1)
	v_mul_f64 v[135:136], v[2:3], v[137:138]
	v_add_f64 v[155:156], v[155:156], 0
	v_add_f64 v[6:7], v[6:7], 0
	v_mul_f64 v[137:138], v[4:5], v[137:138]
	s_waitcnt vmcnt(12)
	v_fma_f64 v[133:134], v[125:126], v[143:144], -v[133:134]
	v_fma_f64 v[131:132], v[127:128], v[143:144], v[131:132]
	ds_read_b128 v[125:128], v1 offset:1776
	v_add_f64 v[155:156], v[155:156], v[157:158]
	v_add_f64 v[6:7], v[6:7], v[129:130]
	s_waitcnt vmcnt(11) lgkmcnt(1)
	v_mul_f64 v[129:130], v[121:122], v[139:140]
	v_mul_f64 v[139:140], v[123:124], v[139:140]
	s_waitcnt vmcnt(9)
	v_fma_f64 v[1:2], v[2:3], v[145:146], -v[137:138]
	v_fma_f64 v[3:4], v[4:5], v[145:146], v[135:136]
	v_add_f64 v[133:134], v[155:156], v[133:134]
	v_add_f64 v[5:6], v[6:7], v[131:132]
	s_waitcnt vmcnt(7) lgkmcnt(0)
	v_mul_f64 v[131:132], v[127:128], v[147:148]
	s_waitcnt vmcnt(6)
	v_fma_f64 v[121:122], v[121:122], v[141:142], -v[139:140]
	v_mul_f64 v[7:8], v[125:126], v[147:148]
	v_fma_f64 v[123:124], v[123:124], v[141:142], v[129:130]
	v_add_f64 v[1:2], v[133:134], v[1:2]
	v_add_f64 v[3:4], v[5:6], v[3:4]
	s_waitcnt vmcnt(4)
	v_fma_f64 v[5:6], v[125:126], v[149:150], -v[131:132]
	v_fma_f64 v[7:8], v[127:128], v[149:150], v[7:8]
	v_add_f64 v[1:2], v[1:2], v[121:122]
	v_add_f64 v[3:4], v[3:4], v[123:124]
	;; [unrolled: 1-line block ×4, first 2 shown]
	s_waitcnt vmcnt(2)
	v_add_f64 v[1:2], v[151:152], -v[1:2]
	s_waitcnt vmcnt(0)
	v_add_f64 v[3:4], v[153:154], -v[3:4]
	buffer_store_dword v2, off, s[0:3], 0 offset:804
	buffer_store_dword v1, off, s[0:3], 0 offset:800
	;; [unrolled: 1-line block ×4, first 2 shown]
	v_cmpx_lt_u32_e32 48, v0
	s_cbranch_execz .LBB119_253
; %bb.252:
	v_mov_b32_e32 v4, s19
	v_mov_b32_e32 v5, 0
	s_clause 0x3
	buffer_load_dword v1, v4, s[0:3], 0 offen
	buffer_load_dword v2, v4, s[0:3], 0 offen offset:4
	buffer_load_dword v3, v4, s[0:3], 0 offen offset:8
	;; [unrolled: 1-line block ×3, first 2 shown]
	buffer_store_dword v5, off, s[0:3], 0 offset:784
	buffer_store_dword v5, off, s[0:3], 0 offset:788
	;; [unrolled: 1-line block ×4, first 2 shown]
	s_waitcnt vmcnt(0)
	ds_write_b128 v181, v[1:4]
.LBB119_253:
	s_or_b32 exec_lo, exec_lo, s4
	s_waitcnt lgkmcnt(0)
	s_waitcnt_vscnt null, 0x0
	s_barrier
	buffer_gl0_inv
	s_clause 0x1f
	buffer_load_dword v6, off, s[0:3], 0 offset:808
	buffer_load_dword v7, off, s[0:3], 0 offset:812
	buffer_load_dword v129, off, s[0:3], 0 offset:824
	buffer_load_dword v130, off, s[0:3], 0 offset:828
	buffer_load_dword v131, off, s[0:3], 0 offset:800
	buffer_load_dword v132, off, s[0:3], 0 offset:804
	buffer_load_dword v133, off, s[0:3], 0 offset:840
	buffer_load_dword v134, off, s[0:3], 0 offset:844
	buffer_load_dword v135, off, s[0:3], 0 offset:816
	buffer_load_dword v136, off, s[0:3], 0 offset:820
	buffer_load_dword v138, off, s[0:3], 0 offset:860
	buffer_load_dword v139, off, s[0:3], 0 offset:872
	buffer_load_dword v141, off, s[0:3], 0 offset:864
	buffer_load_dword v137, off, s[0:3], 0 offset:856
	buffer_load_dword v143, off, s[0:3], 0 offset:832
	buffer_load_dword v144, off, s[0:3], 0 offset:836
	buffer_load_dword v140, off, s[0:3], 0 offset:876
	buffer_load_dword v146, off, s[0:3], 0 offset:852
	buffer_load_dword v145, off, s[0:3], 0 offset:848
	buffer_load_dword v148, off, s[0:3], 0 offset:892
	buffer_load_dword v149, off, s[0:3], 0 offset:904
	buffer_load_dword v151, off, s[0:3], 0 offset:896
	buffer_load_dword v147, off, s[0:3], 0 offset:888
	buffer_load_dword v142, off, s[0:3], 0 offset:868
	buffer_load_dword v150, off, s[0:3], 0 offset:908
	buffer_load_dword v154, off, s[0:3], 0 offset:884
	buffer_load_dword v153, off, s[0:3], 0 offset:880
	buffer_load_dword v152, off, s[0:3], 0 offset:900
	buffer_load_dword v155, off, s[0:3], 0 offset:784
	buffer_load_dword v156, off, s[0:3], 0 offset:788
	buffer_load_dword v157, off, s[0:3], 0 offset:792
	buffer_load_dword v158, off, s[0:3], 0 offset:796
	v_mov_b32_e32 v1, 0
	ds_read_b128 v[2:5], v1 offset:1680
	ds_read_b128 v[121:124], v1 offset:1696
	;; [unrolled: 1-line block ×3, first 2 shown]
	s_mov_b32 s4, exec_lo
	s_waitcnt vmcnt(30) lgkmcnt(2)
	v_mul_f64 v[159:160], v[4:5], v[6:7]
	v_mul_f64 v[6:7], v[2:3], v[6:7]
	s_waitcnt vmcnt(28) lgkmcnt(1)
	v_mul_f64 v[161:162], v[123:124], v[129:130]
	v_mul_f64 v[129:130], v[121:122], v[129:130]
	s_waitcnt vmcnt(26)
	v_fma_f64 v[159:160], v[2:3], v[131:132], -v[159:160]
	v_fma_f64 v[6:7], v[4:5], v[131:132], v[6:7]
	ds_read_b128 v[2:5], v1 offset:1728
	s_waitcnt vmcnt(24) lgkmcnt(1)
	v_mul_f64 v[131:132], v[125:126], v[133:134]
	v_mul_f64 v[133:134], v[127:128], v[133:134]
	s_waitcnt vmcnt(22)
	v_fma_f64 v[161:162], v[121:122], v[135:136], -v[161:162]
	v_fma_f64 v[129:130], v[123:124], v[135:136], v[129:130]
	ds_read_b128 v[121:124], v1 offset:1744
	s_waitcnt vmcnt(18) lgkmcnt(1)
	v_mul_f64 v[135:136], v[2:3], v[137:138]
	v_add_f64 v[159:160], v[159:160], 0
	v_add_f64 v[6:7], v[6:7], 0
	v_mul_f64 v[137:138], v[4:5], v[137:138]
	s_waitcnt vmcnt(16)
	v_fma_f64 v[133:134], v[125:126], v[143:144], -v[133:134]
	v_fma_f64 v[131:132], v[127:128], v[143:144], v[131:132]
	ds_read_b128 v[125:128], v1 offset:1760
	s_waitcnt vmcnt(13)
	v_fma_f64 v[135:136], v[4:5], v[145:146], v[135:136]
	v_add_f64 v[159:160], v[159:160], v[161:162]
	v_add_f64 v[6:7], v[6:7], v[129:130]
	s_waitcnt lgkmcnt(1)
	v_mul_f64 v[129:130], v[121:122], v[139:140]
	v_mul_f64 v[139:140], v[123:124], v[139:140]
	v_fma_f64 v[137:138], v[2:3], v[145:146], -v[137:138]
	s_waitcnt vmcnt(9) lgkmcnt(0)
	v_mul_f64 v[143:144], v[127:128], v[147:148]
	ds_read_b128 v[2:5], v1 offset:1776
	v_add_f64 v[133:134], v[159:160], v[133:134]
	v_add_f64 v[6:7], v[6:7], v[131:132]
	v_mul_f64 v[131:132], v[125:126], v[147:148]
	s_waitcnt vmcnt(8)
	v_fma_f64 v[121:122], v[121:122], v[141:142], -v[139:140]
	v_fma_f64 v[123:124], v[123:124], v[141:142], v[129:130]
	s_waitcnt vmcnt(5)
	v_fma_f64 v[125:126], v[125:126], v[153:154], -v[143:144]
	s_waitcnt lgkmcnt(0)
	v_mul_f64 v[129:130], v[2:3], v[149:150]
	v_add_f64 v[133:134], v[133:134], v[137:138]
	v_add_f64 v[6:7], v[6:7], v[135:136]
	v_mul_f64 v[135:136], v[4:5], v[149:150]
	v_fma_f64 v[127:128], v[127:128], v[153:154], v[131:132]
	s_waitcnt vmcnt(4)
	v_fma_f64 v[4:5], v[4:5], v[151:152], v[129:130]
	v_add_f64 v[121:122], v[133:134], v[121:122]
	v_add_f64 v[6:7], v[6:7], v[123:124]
	v_fma_f64 v[2:3], v[2:3], v[151:152], -v[135:136]
	v_add_f64 v[121:122], v[121:122], v[125:126]
	v_add_f64 v[6:7], v[6:7], v[127:128]
	;; [unrolled: 1-line block ×4, first 2 shown]
	s_waitcnt vmcnt(2)
	v_add_f64 v[2:3], v[155:156], -v[2:3]
	s_waitcnt vmcnt(0)
	v_add_f64 v[4:5], v[157:158], -v[4:5]
	buffer_store_dword v3, off, s[0:3], 0 offset:788
	buffer_store_dword v2, off, s[0:3], 0 offset:784
	;; [unrolled: 1-line block ×4, first 2 shown]
	v_cmpx_lt_u32_e32 47, v0
	s_cbranch_execz .LBB119_255
; %bb.254:
	v_mov_b32_e32 v5, s20
	s_clause 0x3
	buffer_load_dword v2, v5, s[0:3], 0 offen
	buffer_load_dword v3, v5, s[0:3], 0 offen offset:4
	buffer_load_dword v4, v5, s[0:3], 0 offen offset:8
	buffer_load_dword v5, v5, s[0:3], 0 offen offset:12
	buffer_store_dword v1, off, s[0:3], 0 offset:768
	buffer_store_dword v1, off, s[0:3], 0 offset:772
	;; [unrolled: 1-line block ×4, first 2 shown]
	s_waitcnt vmcnt(0)
	ds_write_b128 v181, v[2:5]
.LBB119_255:
	s_or_b32 exec_lo, exec_lo, s4
	s_waitcnt lgkmcnt(0)
	s_waitcnt_vscnt null, 0x0
	s_barrier
	buffer_gl0_inv
	s_clause 0x23
	buffer_load_dword v6, off, s[0:3], 0 offset:792
	buffer_load_dword v7, off, s[0:3], 0 offset:796
	;; [unrolled: 1-line block ×36, first 2 shown]
	ds_read_b128 v[2:5], v1 offset:1664
	ds_read_b128 v[121:124], v1 offset:1680
	;; [unrolled: 1-line block ×3, first 2 shown]
	s_mov_b32 s4, exec_lo
	s_waitcnt vmcnt(34) lgkmcnt(2)
	v_mul_f64 v[163:164], v[4:5], v[6:7]
	v_mul_f64 v[6:7], v[2:3], v[6:7]
	s_waitcnt vmcnt(32) lgkmcnt(1)
	v_mul_f64 v[165:166], v[123:124], v[129:130]
	v_mul_f64 v[129:130], v[121:122], v[129:130]
	s_waitcnt vmcnt(30)
	v_fma_f64 v[163:164], v[2:3], v[131:132], -v[163:164]
	v_fma_f64 v[6:7], v[4:5], v[131:132], v[6:7]
	ds_read_b128 v[2:5], v1 offset:1712
	s_waitcnt vmcnt(28) lgkmcnt(1)
	v_mul_f64 v[131:132], v[125:126], v[133:134]
	v_mul_f64 v[133:134], v[127:128], v[133:134]
	s_waitcnt vmcnt(26)
	v_fma_f64 v[165:166], v[121:122], v[135:136], -v[165:166]
	v_fma_f64 v[129:130], v[123:124], v[135:136], v[129:130]
	ds_read_b128 v[121:124], v1 offset:1728
	s_waitcnt vmcnt(22) lgkmcnt(1)
	v_mul_f64 v[135:136], v[2:3], v[137:138]
	v_add_f64 v[163:164], v[163:164], 0
	v_add_f64 v[6:7], v[6:7], 0
	v_mul_f64 v[137:138], v[4:5], v[137:138]
	s_waitcnt vmcnt(20)
	v_fma_f64 v[133:134], v[125:126], v[143:144], -v[133:134]
	v_fma_f64 v[131:132], v[127:128], v[143:144], v[131:132]
	ds_read_b128 v[125:128], v1 offset:1744
	s_waitcnt vmcnt(17)
	v_fma_f64 v[135:136], v[4:5], v[145:146], v[135:136]
	v_add_f64 v[163:164], v[163:164], v[165:166]
	v_add_f64 v[6:7], v[6:7], v[129:130]
	s_waitcnt lgkmcnt(1)
	v_mul_f64 v[129:130], v[121:122], v[139:140]
	v_mul_f64 v[139:140], v[123:124], v[139:140]
	v_fma_f64 v[137:138], v[2:3], v[145:146], -v[137:138]
	s_waitcnt vmcnt(13) lgkmcnt(0)
	v_mul_f64 v[143:144], v[127:128], v[147:148]
	ds_read_b128 v[2:5], v1 offset:1760
	v_add_f64 v[133:134], v[163:164], v[133:134]
	v_add_f64 v[6:7], v[6:7], v[131:132]
	v_mul_f64 v[131:132], v[125:126], v[147:148]
	s_waitcnt vmcnt(12)
	v_fma_f64 v[139:140], v[121:122], v[141:142], -v[139:140]
	v_fma_f64 v[129:130], v[123:124], v[141:142], v[129:130]
	ds_read_b128 v[121:124], v1 offset:1776
	s_waitcnt vmcnt(9)
	v_fma_f64 v[125:126], v[125:126], v[153:154], -v[143:144]
	v_add_f64 v[133:134], v[133:134], v[137:138]
	v_add_f64 v[6:7], v[6:7], v[135:136]
	s_waitcnt lgkmcnt(1)
	v_mul_f64 v[137:138], v[4:5], v[149:150]
	v_mul_f64 v[135:136], v[2:3], v[149:150]
	v_fma_f64 v[127:128], v[127:128], v[153:154], v[131:132]
	s_waitcnt vmcnt(7) lgkmcnt(0)
	v_mul_f64 v[131:132], v[123:124], v[155:156]
	v_add_f64 v[133:134], v[133:134], v[139:140]
	v_add_f64 v[6:7], v[6:7], v[129:130]
	s_waitcnt vmcnt(6)
	v_fma_f64 v[1:2], v[2:3], v[151:152], -v[137:138]
	v_mul_f64 v[129:130], v[121:122], v[155:156]
	v_fma_f64 v[3:4], v[4:5], v[151:152], v[135:136]
	v_add_f64 v[125:126], v[133:134], v[125:126]
	v_add_f64 v[5:6], v[6:7], v[127:128]
	s_waitcnt vmcnt(4)
	v_fma_f64 v[7:8], v[121:122], v[157:158], -v[131:132]
	v_fma_f64 v[121:122], v[123:124], v[157:158], v[129:130]
	v_add_f64 v[1:2], v[125:126], v[1:2]
	v_add_f64 v[3:4], v[5:6], v[3:4]
	;; [unrolled: 1-line block ×4, first 2 shown]
	s_waitcnt vmcnt(2)
	v_add_f64 v[1:2], v[159:160], -v[1:2]
	s_waitcnt vmcnt(0)
	v_add_f64 v[3:4], v[161:162], -v[3:4]
	buffer_store_dword v2, off, s[0:3], 0 offset:772
	buffer_store_dword v1, off, s[0:3], 0 offset:768
	;; [unrolled: 1-line block ×4, first 2 shown]
	v_cmpx_lt_u32_e32 46, v0
	s_cbranch_execz .LBB119_257
; %bb.256:
	v_mov_b32_e32 v4, s21
	v_mov_b32_e32 v5, 0
	s_clause 0x3
	buffer_load_dword v1, v4, s[0:3], 0 offen
	buffer_load_dword v2, v4, s[0:3], 0 offen offset:4
	buffer_load_dword v3, v4, s[0:3], 0 offen offset:8
	;; [unrolled: 1-line block ×3, first 2 shown]
	buffer_store_dword v5, off, s[0:3], 0 offset:752
	buffer_store_dword v5, off, s[0:3], 0 offset:756
	;; [unrolled: 1-line block ×4, first 2 shown]
	s_waitcnt vmcnt(0)
	ds_write_b128 v181, v[1:4]
.LBB119_257:
	s_or_b32 exec_lo, exec_lo, s4
	s_waitcnt lgkmcnt(0)
	s_waitcnt_vscnt null, 0x0
	s_barrier
	buffer_gl0_inv
	s_clause 0x27
	buffer_load_dword v6, off, s[0:3], 0 offset:776
	buffer_load_dword v7, off, s[0:3], 0 offset:780
	;; [unrolled: 1-line block ×40, first 2 shown]
	v_mov_b32_e32 v1, 0
	ds_read_b128 v[2:5], v1 offset:1648
	ds_read_b128 v[121:124], v1 offset:1664
	;; [unrolled: 1-line block ×3, first 2 shown]
	s_mov_b32 s4, exec_lo
	s_waitcnt vmcnt(38) lgkmcnt(2)
	v_mul_f64 v[167:168], v[4:5], v[6:7]
	v_mul_f64 v[6:7], v[2:3], v[6:7]
	s_waitcnt vmcnt(36) lgkmcnt(1)
	v_mul_f64 v[169:170], v[123:124], v[129:130]
	v_mul_f64 v[129:130], v[121:122], v[129:130]
	s_waitcnt vmcnt(34)
	v_fma_f64 v[167:168], v[2:3], v[131:132], -v[167:168]
	v_fma_f64 v[6:7], v[4:5], v[131:132], v[6:7]
	ds_read_b128 v[2:5], v1 offset:1696
	s_waitcnt vmcnt(32) lgkmcnt(1)
	v_mul_f64 v[131:132], v[125:126], v[133:134]
	v_mul_f64 v[133:134], v[127:128], v[133:134]
	s_waitcnt vmcnt(30)
	v_fma_f64 v[169:170], v[121:122], v[135:136], -v[169:170]
	v_fma_f64 v[129:130], v[123:124], v[135:136], v[129:130]
	ds_read_b128 v[121:124], v1 offset:1712
	s_waitcnt vmcnt(26) lgkmcnt(1)
	v_mul_f64 v[135:136], v[2:3], v[137:138]
	v_add_f64 v[167:168], v[167:168], 0
	v_add_f64 v[6:7], v[6:7], 0
	v_mul_f64 v[137:138], v[4:5], v[137:138]
	s_waitcnt vmcnt(24)
	v_fma_f64 v[133:134], v[125:126], v[143:144], -v[133:134]
	v_fma_f64 v[131:132], v[127:128], v[143:144], v[131:132]
	ds_read_b128 v[125:128], v1 offset:1728
	s_waitcnt vmcnt(21)
	v_fma_f64 v[135:136], v[4:5], v[145:146], v[135:136]
	v_add_f64 v[167:168], v[167:168], v[169:170]
	v_add_f64 v[6:7], v[6:7], v[129:130]
	s_waitcnt lgkmcnt(1)
	v_mul_f64 v[129:130], v[121:122], v[139:140]
	v_mul_f64 v[139:140], v[123:124], v[139:140]
	v_fma_f64 v[137:138], v[2:3], v[145:146], -v[137:138]
	s_waitcnt vmcnt(17) lgkmcnt(0)
	v_mul_f64 v[143:144], v[127:128], v[147:148]
	ds_read_b128 v[2:5], v1 offset:1744
	v_add_f64 v[133:134], v[167:168], v[133:134]
	v_add_f64 v[6:7], v[6:7], v[131:132]
	v_mul_f64 v[131:132], v[125:126], v[147:148]
	s_waitcnt vmcnt(16)
	v_fma_f64 v[139:140], v[121:122], v[141:142], -v[139:140]
	v_fma_f64 v[129:130], v[123:124], v[141:142], v[129:130]
	ds_read_b128 v[121:124], v1 offset:1760
	s_waitcnt vmcnt(13)
	v_fma_f64 v[141:142], v[125:126], v[153:154], -v[143:144]
	v_add_f64 v[133:134], v[133:134], v[137:138]
	v_add_f64 v[6:7], v[6:7], v[135:136]
	s_waitcnt lgkmcnt(1)
	v_mul_f64 v[137:138], v[4:5], v[149:150]
	v_mul_f64 v[135:136], v[2:3], v[149:150]
	v_fma_f64 v[131:132], v[127:128], v[153:154], v[131:132]
	ds_read_b128 v[125:128], v1 offset:1776
	v_add_f64 v[133:134], v[133:134], v[139:140]
	v_add_f64 v[6:7], v[6:7], v[129:130]
	s_waitcnt vmcnt(9) lgkmcnt(1)
	v_mul_f64 v[139:140], v[123:124], v[155:156]
	s_waitcnt vmcnt(8)
	v_fma_f64 v[2:3], v[2:3], v[151:152], -v[137:138]
	v_mul_f64 v[129:130], v[121:122], v[155:156]
	v_fma_f64 v[4:5], v[4:5], v[151:152], v[135:136]
	s_waitcnt vmcnt(7) lgkmcnt(0)
	v_mul_f64 v[135:136], v[127:128], v[157:158]
	v_add_f64 v[133:134], v[133:134], v[141:142]
	v_add_f64 v[6:7], v[6:7], v[131:132]
	s_waitcnt vmcnt(5)
	v_fma_f64 v[121:122], v[121:122], v[161:162], -v[139:140]
	v_mul_f64 v[131:132], v[125:126], v[157:158]
	v_fma_f64 v[123:124], v[123:124], v[161:162], v[129:130]
	v_add_f64 v[2:3], v[133:134], v[2:3]
	v_add_f64 v[4:5], v[6:7], v[4:5]
	s_waitcnt vmcnt(4)
	v_fma_f64 v[6:7], v[125:126], v[159:160], -v[135:136]
	v_add_f64 v[2:3], v[2:3], v[121:122]
	v_fma_f64 v[121:122], v[127:128], v[159:160], v[131:132]
	v_add_f64 v[4:5], v[4:5], v[123:124]
	v_add_f64 v[2:3], v[2:3], v[6:7]
	;; [unrolled: 1-line block ×3, first 2 shown]
	s_waitcnt vmcnt(2)
	v_add_f64 v[2:3], v[163:164], -v[2:3]
	s_waitcnt vmcnt(0)
	v_add_f64 v[4:5], v[165:166], -v[4:5]
	buffer_store_dword v3, off, s[0:3], 0 offset:756
	buffer_store_dword v2, off, s[0:3], 0 offset:752
	;; [unrolled: 1-line block ×4, first 2 shown]
	v_cmpx_lt_u32_e32 45, v0
	s_cbranch_execz .LBB119_259
; %bb.258:
	v_mov_b32_e32 v5, s22
	s_clause 0x3
	buffer_load_dword v2, v5, s[0:3], 0 offen
	buffer_load_dword v3, v5, s[0:3], 0 offen offset:4
	buffer_load_dword v4, v5, s[0:3], 0 offen offset:8
	;; [unrolled: 1-line block ×3, first 2 shown]
	buffer_store_dword v1, off, s[0:3], 0 offset:736
	buffer_store_dword v1, off, s[0:3], 0 offset:740
	;; [unrolled: 1-line block ×4, first 2 shown]
	s_waitcnt vmcnt(0)
	ds_write_b128 v181, v[2:5]
.LBB119_259:
	s_or_b32 exec_lo, exec_lo, s4
	s_waitcnt lgkmcnt(0)
	s_waitcnt_vscnt null, 0x0
	s_barrier
	buffer_gl0_inv
	s_clause 0x2b
	buffer_load_dword v6, off, s[0:3], 0 offset:760
	buffer_load_dword v7, off, s[0:3], 0 offset:764
	buffer_load_dword v129, off, s[0:3], 0 offset:776
	buffer_load_dword v130, off, s[0:3], 0 offset:780
	buffer_load_dword v131, off, s[0:3], 0 offset:752
	buffer_load_dword v132, off, s[0:3], 0 offset:756
	buffer_load_dword v133, off, s[0:3], 0 offset:792
	buffer_load_dword v134, off, s[0:3], 0 offset:796
	buffer_load_dword v135, off, s[0:3], 0 offset:768
	buffer_load_dword v136, off, s[0:3], 0 offset:772
	buffer_load_dword v138, off, s[0:3], 0 offset:812
	buffer_load_dword v139, off, s[0:3], 0 offset:824
	buffer_load_dword v141, off, s[0:3], 0 offset:816
	buffer_load_dword v137, off, s[0:3], 0 offset:808
	buffer_load_dword v143, off, s[0:3], 0 offset:784
	buffer_load_dword v144, off, s[0:3], 0 offset:788
	buffer_load_dword v140, off, s[0:3], 0 offset:828
	buffer_load_dword v146, off, s[0:3], 0 offset:804
	buffer_load_dword v145, off, s[0:3], 0 offset:800
	buffer_load_dword v148, off, s[0:3], 0 offset:844
	buffer_load_dword v149, off, s[0:3], 0 offset:856
	buffer_load_dword v151, off, s[0:3], 0 offset:848
	buffer_load_dword v147, off, s[0:3], 0 offset:840
	buffer_load_dword v142, off, s[0:3], 0 offset:820
	buffer_load_dword v150, off, s[0:3], 0 offset:860
	buffer_load_dword v154, off, s[0:3], 0 offset:836
	buffer_load_dword v153, off, s[0:3], 0 offset:832
	buffer_load_dword v156, off, s[0:3], 0 offset:876
	buffer_load_dword v157, off, s[0:3], 0 offset:888
	buffer_load_dword v159, off, s[0:3], 0 offset:880
	buffer_load_dword v155, off, s[0:3], 0 offset:872
	buffer_load_dword v152, off, s[0:3], 0 offset:852
	buffer_load_dword v158, off, s[0:3], 0 offset:892
	buffer_load_dword v162, off, s[0:3], 0 offset:868
	buffer_load_dword v161, off, s[0:3], 0 offset:864
	buffer_load_dword v164, off, s[0:3], 0 offset:908
	buffer_load_dword v163, off, s[0:3], 0 offset:904
	buffer_load_dword v160, off, s[0:3], 0 offset:884
	buffer_load_dword v166, off, s[0:3], 0 offset:900
	buffer_load_dword v165, off, s[0:3], 0 offset:896
	buffer_load_dword v167, off, s[0:3], 0 offset:736
	buffer_load_dword v168, off, s[0:3], 0 offset:740
	buffer_load_dword v169, off, s[0:3], 0 offset:744
	buffer_load_dword v170, off, s[0:3], 0 offset:748
	ds_read_b128 v[2:5], v1 offset:1632
	ds_read_b128 v[121:124], v1 offset:1648
	;; [unrolled: 1-line block ×3, first 2 shown]
	s_mov_b32 s4, exec_lo
	s_waitcnt vmcnt(42) lgkmcnt(2)
	v_mul_f64 v[171:172], v[4:5], v[6:7]
	v_mul_f64 v[6:7], v[2:3], v[6:7]
	s_waitcnt vmcnt(40) lgkmcnt(1)
	v_mul_f64 v[173:174], v[123:124], v[129:130]
	v_mul_f64 v[129:130], v[121:122], v[129:130]
	s_waitcnt vmcnt(38)
	v_fma_f64 v[171:172], v[2:3], v[131:132], -v[171:172]
	v_fma_f64 v[6:7], v[4:5], v[131:132], v[6:7]
	ds_read_b128 v[2:5], v1 offset:1680
	s_waitcnt vmcnt(36) lgkmcnt(1)
	v_mul_f64 v[131:132], v[125:126], v[133:134]
	v_mul_f64 v[133:134], v[127:128], v[133:134]
	s_waitcnt vmcnt(34)
	v_fma_f64 v[173:174], v[121:122], v[135:136], -v[173:174]
	v_fma_f64 v[129:130], v[123:124], v[135:136], v[129:130]
	ds_read_b128 v[121:124], v1 offset:1696
	s_waitcnt vmcnt(30) lgkmcnt(1)
	v_mul_f64 v[135:136], v[2:3], v[137:138]
	v_add_f64 v[171:172], v[171:172], 0
	v_add_f64 v[6:7], v[6:7], 0
	v_mul_f64 v[137:138], v[4:5], v[137:138]
	s_waitcnt vmcnt(28)
	v_fma_f64 v[133:134], v[125:126], v[143:144], -v[133:134]
	v_fma_f64 v[131:132], v[127:128], v[143:144], v[131:132]
	ds_read_b128 v[125:128], v1 offset:1712
	s_waitcnt vmcnt(25)
	v_fma_f64 v[135:136], v[4:5], v[145:146], v[135:136]
	v_add_f64 v[171:172], v[171:172], v[173:174]
	v_add_f64 v[6:7], v[6:7], v[129:130]
	s_waitcnt lgkmcnt(1)
	v_mul_f64 v[129:130], v[121:122], v[139:140]
	v_mul_f64 v[139:140], v[123:124], v[139:140]
	v_fma_f64 v[137:138], v[2:3], v[145:146], -v[137:138]
	s_waitcnt vmcnt(21) lgkmcnt(0)
	v_mul_f64 v[143:144], v[127:128], v[147:148]
	ds_read_b128 v[2:5], v1 offset:1728
	v_add_f64 v[133:134], v[171:172], v[133:134]
	v_add_f64 v[6:7], v[6:7], v[131:132]
	v_mul_f64 v[131:132], v[125:126], v[147:148]
	s_waitcnt vmcnt(20)
	v_fma_f64 v[139:140], v[121:122], v[141:142], -v[139:140]
	v_fma_f64 v[129:130], v[123:124], v[141:142], v[129:130]
	ds_read_b128 v[121:124], v1 offset:1744
	s_waitcnt vmcnt(17)
	v_fma_f64 v[141:142], v[125:126], v[153:154], -v[143:144]
	v_add_f64 v[133:134], v[133:134], v[137:138]
	v_add_f64 v[6:7], v[6:7], v[135:136]
	s_waitcnt lgkmcnt(1)
	v_mul_f64 v[137:138], v[4:5], v[149:150]
	v_mul_f64 v[135:136], v[2:3], v[149:150]
	v_fma_f64 v[131:132], v[127:128], v[153:154], v[131:132]
	ds_read_b128 v[125:128], v1 offset:1760
	v_add_f64 v[133:134], v[133:134], v[139:140]
	v_add_f64 v[6:7], v[6:7], v[129:130]
	s_waitcnt vmcnt(13) lgkmcnt(1)
	v_mul_f64 v[139:140], v[123:124], v[155:156]
	s_waitcnt vmcnt(12)
	v_fma_f64 v[137:138], v[2:3], v[151:152], -v[137:138]
	v_mul_f64 v[129:130], v[121:122], v[155:156]
	v_fma_f64 v[135:136], v[4:5], v[151:152], v[135:136]
	ds_read_b128 v[1:4], v1 offset:1776
	v_add_f64 v[133:134], v[133:134], v[141:142]
	v_add_f64 v[5:6], v[6:7], v[131:132]
	s_waitcnt vmcnt(11) lgkmcnt(1)
	v_mul_f64 v[131:132], v[127:128], v[157:158]
	s_waitcnt vmcnt(9)
	v_fma_f64 v[121:122], v[121:122], v[161:162], -v[139:140]
	v_mul_f64 v[7:8], v[125:126], v[157:158]
	v_fma_f64 v[123:124], v[123:124], v[161:162], v[129:130]
	s_waitcnt vmcnt(7) lgkmcnt(0)
	v_mul_f64 v[129:130], v[1:2], v[163:164]
	v_add_f64 v[133:134], v[133:134], v[137:138]
	v_add_f64 v[5:6], v[5:6], v[135:136]
	v_mul_f64 v[135:136], v[3:4], v[163:164]
	s_waitcnt vmcnt(6)
	v_fma_f64 v[125:126], v[125:126], v[159:160], -v[131:132]
	v_fma_f64 v[7:8], v[127:128], v[159:160], v[7:8]
	s_waitcnt vmcnt(4)
	v_fma_f64 v[3:4], v[3:4], v[165:166], v[129:130]
	v_add_f64 v[121:122], v[133:134], v[121:122]
	v_add_f64 v[5:6], v[5:6], v[123:124]
	v_fma_f64 v[1:2], v[1:2], v[165:166], -v[135:136]
	v_add_f64 v[121:122], v[121:122], v[125:126]
	v_add_f64 v[5:6], v[5:6], v[7:8]
	;; [unrolled: 1-line block ×4, first 2 shown]
	s_waitcnt vmcnt(2)
	v_add_f64 v[1:2], v[167:168], -v[1:2]
	s_waitcnt vmcnt(0)
	v_add_f64 v[3:4], v[169:170], -v[3:4]
	buffer_store_dword v2, off, s[0:3], 0 offset:740
	buffer_store_dword v1, off, s[0:3], 0 offset:736
	;; [unrolled: 1-line block ×4, first 2 shown]
	v_cmpx_lt_u32_e32 44, v0
	s_cbranch_execz .LBB119_261
; %bb.260:
	v_mov_b32_e32 v4, s23
	v_mov_b32_e32 v5, 0
	s_clause 0x3
	buffer_load_dword v1, v4, s[0:3], 0 offen
	buffer_load_dword v2, v4, s[0:3], 0 offen offset:4
	buffer_load_dword v3, v4, s[0:3], 0 offen offset:8
	;; [unrolled: 1-line block ×3, first 2 shown]
	buffer_store_dword v5, off, s[0:3], 0 offset:720
	buffer_store_dword v5, off, s[0:3], 0 offset:724
	;; [unrolled: 1-line block ×4, first 2 shown]
	s_waitcnt vmcnt(0)
	ds_write_b128 v181, v[1:4]
.LBB119_261:
	s_or_b32 exec_lo, exec_lo, s4
	s_waitcnt lgkmcnt(0)
	s_waitcnt_vscnt null, 0x0
	s_barrier
	buffer_gl0_inv
	s_clause 0x2f
	buffer_load_dword v6, off, s[0:3], 0 offset:744
	buffer_load_dword v7, off, s[0:3], 0 offset:748
	buffer_load_dword v129, off, s[0:3], 0 offset:760
	buffer_load_dword v130, off, s[0:3], 0 offset:764
	buffer_load_dword v131, off, s[0:3], 0 offset:736
	buffer_load_dword v132, off, s[0:3], 0 offset:740
	buffer_load_dword v133, off, s[0:3], 0 offset:776
	buffer_load_dword v134, off, s[0:3], 0 offset:780
	buffer_load_dword v135, off, s[0:3], 0 offset:752
	buffer_load_dword v136, off, s[0:3], 0 offset:756
	buffer_load_dword v138, off, s[0:3], 0 offset:796
	buffer_load_dword v139, off, s[0:3], 0 offset:808
	buffer_load_dword v141, off, s[0:3], 0 offset:800
	buffer_load_dword v137, off, s[0:3], 0 offset:792
	buffer_load_dword v143, off, s[0:3], 0 offset:768
	buffer_load_dword v144, off, s[0:3], 0 offset:772
	buffer_load_dword v140, off, s[0:3], 0 offset:812
	buffer_load_dword v146, off, s[0:3], 0 offset:788
	buffer_load_dword v145, off, s[0:3], 0 offset:784
	buffer_load_dword v148, off, s[0:3], 0 offset:828
	buffer_load_dword v149, off, s[0:3], 0 offset:840
	buffer_load_dword v151, off, s[0:3], 0 offset:832
	buffer_load_dword v147, off, s[0:3], 0 offset:824
	buffer_load_dword v142, off, s[0:3], 0 offset:804
	buffer_load_dword v150, off, s[0:3], 0 offset:844
	buffer_load_dword v154, off, s[0:3], 0 offset:820
	buffer_load_dword v153, off, s[0:3], 0 offset:816
	buffer_load_dword v156, off, s[0:3], 0 offset:860
	buffer_load_dword v157, off, s[0:3], 0 offset:872
	buffer_load_dword v159, off, s[0:3], 0 offset:864
	buffer_load_dword v155, off, s[0:3], 0 offset:856
	buffer_load_dword v152, off, s[0:3], 0 offset:836
	buffer_load_dword v158, off, s[0:3], 0 offset:876
	buffer_load_dword v162, off, s[0:3], 0 offset:852
	buffer_load_dword v161, off, s[0:3], 0 offset:848
	buffer_load_dword v164, off, s[0:3], 0 offset:892
	buffer_load_dword v165, off, s[0:3], 0 offset:904
	buffer_load_dword v167, off, s[0:3], 0 offset:896
	buffer_load_dword v163, off, s[0:3], 0 offset:888
	buffer_load_dword v160, off, s[0:3], 0 offset:868
	buffer_load_dword v166, off, s[0:3], 0 offset:908
	buffer_load_dword v170, off, s[0:3], 0 offset:884
	buffer_load_dword v169, off, s[0:3], 0 offset:880
	buffer_load_dword v168, off, s[0:3], 0 offset:900
	buffer_load_dword v171, off, s[0:3], 0 offset:720
	buffer_load_dword v172, off, s[0:3], 0 offset:724
	buffer_load_dword v173, off, s[0:3], 0 offset:728
	buffer_load_dword v174, off, s[0:3], 0 offset:732
	v_mov_b32_e32 v1, 0
	ds_read_b128 v[2:5], v1 offset:1616
	ds_read_b128 v[121:124], v1 offset:1632
	;; [unrolled: 1-line block ×3, first 2 shown]
	s_mov_b32 s4, exec_lo
	s_waitcnt vmcnt(46) lgkmcnt(2)
	v_mul_f64 v[175:176], v[4:5], v[6:7]
	v_mul_f64 v[6:7], v[2:3], v[6:7]
	s_waitcnt vmcnt(44) lgkmcnt(1)
	v_mul_f64 v[177:178], v[123:124], v[129:130]
	v_mul_f64 v[129:130], v[121:122], v[129:130]
	s_waitcnt vmcnt(42)
	v_fma_f64 v[175:176], v[2:3], v[131:132], -v[175:176]
	v_fma_f64 v[6:7], v[4:5], v[131:132], v[6:7]
	ds_read_b128 v[2:5], v1 offset:1664
	s_waitcnt vmcnt(40) lgkmcnt(1)
	v_mul_f64 v[131:132], v[125:126], v[133:134]
	v_mul_f64 v[133:134], v[127:128], v[133:134]
	s_waitcnt vmcnt(38)
	v_fma_f64 v[177:178], v[121:122], v[135:136], -v[177:178]
	v_fma_f64 v[129:130], v[123:124], v[135:136], v[129:130]
	ds_read_b128 v[121:124], v1 offset:1680
	s_waitcnt vmcnt(34) lgkmcnt(1)
	v_mul_f64 v[135:136], v[2:3], v[137:138]
	v_add_f64 v[175:176], v[175:176], 0
	v_add_f64 v[6:7], v[6:7], 0
	v_mul_f64 v[137:138], v[4:5], v[137:138]
	s_waitcnt vmcnt(32)
	v_fma_f64 v[133:134], v[125:126], v[143:144], -v[133:134]
	v_fma_f64 v[131:132], v[127:128], v[143:144], v[131:132]
	ds_read_b128 v[125:128], v1 offset:1696
	s_waitcnt vmcnt(29)
	v_fma_f64 v[135:136], v[4:5], v[145:146], v[135:136]
	v_add_f64 v[175:176], v[175:176], v[177:178]
	v_add_f64 v[6:7], v[6:7], v[129:130]
	s_waitcnt lgkmcnt(1)
	v_mul_f64 v[129:130], v[121:122], v[139:140]
	v_mul_f64 v[139:140], v[123:124], v[139:140]
	v_fma_f64 v[137:138], v[2:3], v[145:146], -v[137:138]
	s_waitcnt vmcnt(25) lgkmcnt(0)
	v_mul_f64 v[143:144], v[127:128], v[147:148]
	ds_read_b128 v[2:5], v1 offset:1712
	v_add_f64 v[133:134], v[175:176], v[133:134]
	v_add_f64 v[6:7], v[6:7], v[131:132]
	v_mul_f64 v[131:132], v[125:126], v[147:148]
	s_waitcnt vmcnt(24)
	v_fma_f64 v[139:140], v[121:122], v[141:142], -v[139:140]
	v_fma_f64 v[129:130], v[123:124], v[141:142], v[129:130]
	ds_read_b128 v[121:124], v1 offset:1728
	s_waitcnt vmcnt(21)
	v_fma_f64 v[141:142], v[125:126], v[153:154], -v[143:144]
	v_add_f64 v[133:134], v[133:134], v[137:138]
	v_add_f64 v[6:7], v[6:7], v[135:136]
	s_waitcnt lgkmcnt(1)
	v_mul_f64 v[137:138], v[4:5], v[149:150]
	v_mul_f64 v[135:136], v[2:3], v[149:150]
	v_fma_f64 v[131:132], v[127:128], v[153:154], v[131:132]
	ds_read_b128 v[125:128], v1 offset:1744
	v_add_f64 v[133:134], v[133:134], v[139:140]
	v_add_f64 v[6:7], v[6:7], v[129:130]
	s_waitcnt vmcnt(17) lgkmcnt(1)
	v_mul_f64 v[139:140], v[123:124], v[155:156]
	s_waitcnt vmcnt(16)
	v_fma_f64 v[137:138], v[2:3], v[151:152], -v[137:138]
	v_mul_f64 v[129:130], v[121:122], v[155:156]
	v_fma_f64 v[135:136], v[4:5], v[151:152], v[135:136]
	ds_read_b128 v[2:5], v1 offset:1760
	v_add_f64 v[133:134], v[133:134], v[141:142]
	v_add_f64 v[6:7], v[6:7], v[131:132]
	s_waitcnt vmcnt(15) lgkmcnt(1)
	v_mul_f64 v[141:142], v[127:128], v[157:158]
	s_waitcnt vmcnt(13)
	v_fma_f64 v[139:140], v[121:122], v[161:162], -v[139:140]
	;; [unrolled: 9-line block ×3, first 2 shown]
	v_mul_f64 v[135:136], v[2:3], v[163:164]
	v_fma_f64 v[127:128], v[127:128], v[159:160], v[131:132]
	s_waitcnt vmcnt(7) lgkmcnt(0)
	v_mul_f64 v[131:132], v[123:124], v[165:166]
	v_add_f64 v[133:134], v[133:134], v[139:140]
	v_add_f64 v[6:7], v[6:7], v[129:130]
	s_waitcnt vmcnt(5)
	v_fma_f64 v[2:3], v[2:3], v[169:170], -v[137:138]
	v_mul_f64 v[129:130], v[121:122], v[165:166]
	v_fma_f64 v[4:5], v[4:5], v[169:170], v[135:136]
	s_waitcnt vmcnt(4)
	v_fma_f64 v[121:122], v[121:122], v[167:168], -v[131:132]
	v_add_f64 v[125:126], v[133:134], v[125:126]
	v_add_f64 v[6:7], v[6:7], v[127:128]
	v_fma_f64 v[123:124], v[123:124], v[167:168], v[129:130]
	v_add_f64 v[2:3], v[125:126], v[2:3]
	v_add_f64 v[4:5], v[6:7], v[4:5]
	;; [unrolled: 1-line block ×4, first 2 shown]
	s_waitcnt vmcnt(2)
	v_add_f64 v[2:3], v[171:172], -v[2:3]
	s_waitcnt vmcnt(0)
	v_add_f64 v[4:5], v[173:174], -v[4:5]
	buffer_store_dword v3, off, s[0:3], 0 offset:724
	buffer_store_dword v2, off, s[0:3], 0 offset:720
	;; [unrolled: 1-line block ×4, first 2 shown]
	v_cmpx_lt_u32_e32 43, v0
	s_cbranch_execz .LBB119_263
; %bb.262:
	v_mov_b32_e32 v5, s24
	s_clause 0x3
	buffer_load_dword v2, v5, s[0:3], 0 offen
	buffer_load_dword v3, v5, s[0:3], 0 offen offset:4
	buffer_load_dword v4, v5, s[0:3], 0 offen offset:8
	;; [unrolled: 1-line block ×3, first 2 shown]
	buffer_store_dword v1, off, s[0:3], 0 offset:704
	buffer_store_dword v1, off, s[0:3], 0 offset:708
	;; [unrolled: 1-line block ×4, first 2 shown]
	s_waitcnt vmcnt(0)
	ds_write_b128 v181, v[2:5]
.LBB119_263:
	s_or_b32 exec_lo, exec_lo, s4
	s_waitcnt lgkmcnt(0)
	s_waitcnt_vscnt null, 0x0
	s_barrier
	buffer_gl0_inv
	s_clause 0x2f
	buffer_load_dword v6, off, s[0:3], 0 offset:728
	buffer_load_dword v7, off, s[0:3], 0 offset:732
	;; [unrolled: 1-line block ×48, first 2 shown]
	ds_read_b128 v[2:5], v1 offset:1600
	s_clause 0x3
	buffer_load_dword v175, off, s[0:3], 0 offset:704
	buffer_load_dword v176, off, s[0:3], 0 offset:708
	;; [unrolled: 1-line block ×4, first 2 shown]
	ds_read_b128 v[121:124], v1 offset:1616
	ds_read_b128 v[125:128], v1 offset:1632
	s_mov_b32 s4, exec_lo
	s_waitcnt vmcnt(50) lgkmcnt(2)
	v_mul_f64 v[179:180], v[4:5], v[6:7]
	v_mul_f64 v[6:7], v[2:3], v[6:7]
	s_waitcnt vmcnt(48) lgkmcnt(1)
	v_mul_f64 v[182:183], v[123:124], v[129:130]
	v_mul_f64 v[129:130], v[121:122], v[129:130]
	s_waitcnt vmcnt(46)
	v_fma_f64 v[179:180], v[2:3], v[131:132], -v[179:180]
	v_fma_f64 v[6:7], v[4:5], v[131:132], v[6:7]
	s_waitcnt vmcnt(44) lgkmcnt(0)
	v_mul_f64 v[131:132], v[125:126], v[133:134]
	v_mul_f64 v[133:134], v[127:128], v[133:134]
	s_waitcnt vmcnt(42)
	v_fma_f64 v[182:183], v[121:122], v[135:136], -v[182:183]
	ds_read_b128 v[2:5], v1 offset:1648
	v_fma_f64 v[129:130], v[123:124], v[135:136], v[129:130]
	ds_read_b128 v[121:124], v1 offset:1664
	v_add_f64 v[179:180], v[179:180], 0
	v_add_f64 v[6:7], v[6:7], 0
	s_waitcnt vmcnt(36)
	v_fma_f64 v[131:132], v[127:128], v[143:144], v[131:132]
	s_waitcnt lgkmcnt(1)
	v_mul_f64 v[135:136], v[2:3], v[137:138]
	v_mul_f64 v[137:138], v[4:5], v[137:138]
	v_fma_f64 v[133:134], v[125:126], v[143:144], -v[133:134]
	ds_read_b128 v[125:128], v1 offset:1680
	v_add_f64 v[179:180], v[179:180], v[182:183]
	v_add_f64 v[6:7], v[6:7], v[129:130]
	s_waitcnt vmcnt(35) lgkmcnt(1)
	v_mul_f64 v[129:130], v[121:122], v[139:140]
	v_mul_f64 v[139:140], v[123:124], v[139:140]
	s_waitcnt vmcnt(33)
	v_fma_f64 v[137:138], v[2:3], v[145:146], -v[137:138]
	v_fma_f64 v[135:136], v[4:5], v[145:146], v[135:136]
	ds_read_b128 v[2:5], v1 offset:1696
	s_waitcnt vmcnt(29) lgkmcnt(1)
	v_mul_f64 v[143:144], v[127:128], v[147:148]
	v_add_f64 v[133:134], v[179:180], v[133:134]
	v_add_f64 v[6:7], v[6:7], v[131:132]
	v_mul_f64 v[131:132], v[125:126], v[147:148]
	s_waitcnt vmcnt(28)
	v_fma_f64 v[139:140], v[121:122], v[141:142], -v[139:140]
	v_fma_f64 v[129:130], v[123:124], v[141:142], v[129:130]
	ds_read_b128 v[121:124], v1 offset:1712
	s_waitcnt vmcnt(25)
	v_fma_f64 v[141:142], v[125:126], v[153:154], -v[143:144]
	v_add_f64 v[133:134], v[133:134], v[137:138]
	v_add_f64 v[6:7], v[6:7], v[135:136]
	s_waitcnt lgkmcnt(1)
	v_mul_f64 v[137:138], v[4:5], v[149:150]
	v_mul_f64 v[135:136], v[2:3], v[149:150]
	v_fma_f64 v[131:132], v[127:128], v[153:154], v[131:132]
	ds_read_b128 v[125:128], v1 offset:1728
	v_add_f64 v[133:134], v[133:134], v[139:140]
	v_add_f64 v[6:7], v[6:7], v[129:130]
	s_waitcnt vmcnt(21) lgkmcnt(1)
	v_mul_f64 v[139:140], v[123:124], v[155:156]
	s_waitcnt vmcnt(20)
	v_fma_f64 v[137:138], v[2:3], v[151:152], -v[137:138]
	v_mul_f64 v[129:130], v[121:122], v[155:156]
	v_fma_f64 v[135:136], v[4:5], v[151:152], v[135:136]
	ds_read_b128 v[2:5], v1 offset:1744
	v_add_f64 v[133:134], v[133:134], v[141:142]
	v_add_f64 v[6:7], v[6:7], v[131:132]
	s_waitcnt vmcnt(19) lgkmcnt(1)
	v_mul_f64 v[141:142], v[127:128], v[157:158]
	s_waitcnt vmcnt(17)
	v_fma_f64 v[139:140], v[121:122], v[161:162], -v[139:140]
	;; [unrolled: 9-line block ×4, first 2 shown]
	v_mul_f64 v[129:130], v[121:122], v[165:166]
	v_fma_f64 v[3:4], v[4:5], v[169:170], v[135:136]
	v_add_f64 v[133:134], v[133:134], v[141:142]
	v_add_f64 v[5:6], v[6:7], v[131:132]
	s_waitcnt vmcnt(7) lgkmcnt(0)
	v_mul_f64 v[131:132], v[127:128], v[171:172]
	s_waitcnt vmcnt(6)
	v_fma_f64 v[121:122], v[121:122], v[167:168], -v[139:140]
	v_mul_f64 v[7:8], v[125:126], v[171:172]
	v_fma_f64 v[123:124], v[123:124], v[167:168], v[129:130]
	v_add_f64 v[1:2], v[133:134], v[1:2]
	v_add_f64 v[3:4], v[5:6], v[3:4]
	s_waitcnt vmcnt(4)
	v_fma_f64 v[5:6], v[125:126], v[173:174], -v[131:132]
	v_fma_f64 v[7:8], v[127:128], v[173:174], v[7:8]
	v_add_f64 v[1:2], v[1:2], v[121:122]
	v_add_f64 v[3:4], v[3:4], v[123:124]
	;; [unrolled: 1-line block ×4, first 2 shown]
	s_waitcnt vmcnt(2)
	v_add_f64 v[1:2], v[175:176], -v[1:2]
	s_waitcnt vmcnt(0)
	v_add_f64 v[3:4], v[177:178], -v[3:4]
	buffer_store_dword v2, off, s[0:3], 0 offset:708
	buffer_store_dword v1, off, s[0:3], 0 offset:704
	;; [unrolled: 1-line block ×4, first 2 shown]
	v_cmpx_lt_u32_e32 42, v0
	s_cbranch_execz .LBB119_265
; %bb.264:
	v_mov_b32_e32 v4, s25
	v_mov_b32_e32 v5, 0
	s_clause 0x3
	buffer_load_dword v1, v4, s[0:3], 0 offen
	buffer_load_dword v2, v4, s[0:3], 0 offen offset:4
	buffer_load_dword v3, v4, s[0:3], 0 offen offset:8
	;; [unrolled: 1-line block ×3, first 2 shown]
	buffer_store_dword v5, off, s[0:3], 0 offset:688
	buffer_store_dword v5, off, s[0:3], 0 offset:692
	;; [unrolled: 1-line block ×4, first 2 shown]
	s_waitcnt vmcnt(0)
	ds_write_b128 v181, v[1:4]
.LBB119_265:
	s_or_b32 exec_lo, exec_lo, s4
	s_waitcnt lgkmcnt(0)
	s_waitcnt_vscnt null, 0x0
	s_barrier
	buffer_gl0_inv
	s_clause 0x33
	buffer_load_dword v6, off, s[0:3], 0 offset:712
	buffer_load_dword v7, off, s[0:3], 0 offset:716
	;; [unrolled: 1-line block ×52, first 2 shown]
	v_mov_b32_e32 v1, 0
	ds_read_b128 v[2:5], v1 offset:1584
	ds_read_b128 v[121:124], v1 offset:1600
	s_clause 0x3
	buffer_load_dword v182, off, s[0:3], 0 offset:688
	buffer_load_dword v183, off, s[0:3], 0 offset:692
	buffer_load_dword v184, off, s[0:3], 0 offset:696
	buffer_load_dword v185, off, s[0:3], 0 offset:700
	ds_read_b128 v[125:128], v1 offset:1616
	s_mov_b32 s4, exec_lo
	s_waitcnt vmcnt(54) lgkmcnt(2)
	v_mul_f64 v[179:180], v[4:5], v[6:7]
	v_mul_f64 v[6:7], v[2:3], v[6:7]
	s_waitcnt vmcnt(52) lgkmcnt(1)
	v_mul_f64 v[186:187], v[123:124], v[129:130]
	v_mul_f64 v[129:130], v[121:122], v[129:130]
	s_waitcnt vmcnt(50)
	v_fma_f64 v[179:180], v[2:3], v[131:132], -v[179:180]
	v_fma_f64 v[6:7], v[4:5], v[131:132], v[6:7]
	ds_read_b128 v[2:5], v1 offset:1632
	s_waitcnt vmcnt(48) lgkmcnt(1)
	v_mul_f64 v[131:132], v[125:126], v[133:134]
	v_mul_f64 v[133:134], v[127:128], v[133:134]
	s_waitcnt vmcnt(46)
	v_fma_f64 v[186:187], v[121:122], v[135:136], -v[186:187]
	v_fma_f64 v[129:130], v[123:124], v[135:136], v[129:130]
	ds_read_b128 v[121:124], v1 offset:1648
	s_waitcnt vmcnt(42) lgkmcnt(1)
	v_mul_f64 v[135:136], v[2:3], v[137:138]
	v_add_f64 v[179:180], v[179:180], 0
	v_add_f64 v[6:7], v[6:7], 0
	v_mul_f64 v[137:138], v[4:5], v[137:138]
	s_waitcnt vmcnt(40)
	v_fma_f64 v[133:134], v[125:126], v[143:144], -v[133:134]
	v_fma_f64 v[131:132], v[127:128], v[143:144], v[131:132]
	ds_read_b128 v[125:128], v1 offset:1664
	s_waitcnt vmcnt(37)
	v_fma_f64 v[135:136], v[4:5], v[145:146], v[135:136]
	v_add_f64 v[179:180], v[179:180], v[186:187]
	v_add_f64 v[6:7], v[6:7], v[129:130]
	s_waitcnt lgkmcnt(1)
	v_mul_f64 v[129:130], v[121:122], v[139:140]
	v_mul_f64 v[139:140], v[123:124], v[139:140]
	v_fma_f64 v[137:138], v[2:3], v[145:146], -v[137:138]
	s_waitcnt vmcnt(33) lgkmcnt(0)
	v_mul_f64 v[143:144], v[127:128], v[147:148]
	ds_read_b128 v[2:5], v1 offset:1680
	v_add_f64 v[133:134], v[179:180], v[133:134]
	v_add_f64 v[6:7], v[6:7], v[131:132]
	v_mul_f64 v[131:132], v[125:126], v[147:148]
	s_waitcnt vmcnt(32)
	v_fma_f64 v[139:140], v[121:122], v[141:142], -v[139:140]
	v_fma_f64 v[129:130], v[123:124], v[141:142], v[129:130]
	ds_read_b128 v[121:124], v1 offset:1696
	s_waitcnt vmcnt(29)
	v_fma_f64 v[141:142], v[125:126], v[153:154], -v[143:144]
	v_add_f64 v[133:134], v[133:134], v[137:138]
	v_add_f64 v[6:7], v[6:7], v[135:136]
	s_waitcnt lgkmcnt(1)
	v_mul_f64 v[137:138], v[4:5], v[149:150]
	v_mul_f64 v[135:136], v[2:3], v[149:150]
	v_fma_f64 v[131:132], v[127:128], v[153:154], v[131:132]
	ds_read_b128 v[125:128], v1 offset:1712
	v_add_f64 v[133:134], v[133:134], v[139:140]
	v_add_f64 v[6:7], v[6:7], v[129:130]
	s_waitcnt vmcnt(25) lgkmcnt(1)
	v_mul_f64 v[139:140], v[123:124], v[155:156]
	s_waitcnt vmcnt(24)
	v_fma_f64 v[137:138], v[2:3], v[151:152], -v[137:138]
	v_mul_f64 v[129:130], v[121:122], v[155:156]
	v_fma_f64 v[135:136], v[4:5], v[151:152], v[135:136]
	ds_read_b128 v[2:5], v1 offset:1728
	v_add_f64 v[133:134], v[133:134], v[141:142]
	v_add_f64 v[6:7], v[6:7], v[131:132]
	s_waitcnt vmcnt(23) lgkmcnt(1)
	v_mul_f64 v[141:142], v[127:128], v[157:158]
	s_waitcnt vmcnt(21)
	v_fma_f64 v[139:140], v[121:122], v[161:162], -v[139:140]
	;; [unrolled: 9-line block ×5, first 2 shown]
	v_mul_f64 v[131:132], v[125:126], v[171:172]
	v_fma_f64 v[123:124], v[123:124], v[167:168], v[129:130]
	s_waitcnt vmcnt(7) lgkmcnt(0)
	v_mul_f64 v[129:130], v[2:3], v[173:174]
	v_add_f64 v[133:134], v[133:134], v[137:138]
	v_add_f64 v[6:7], v[6:7], v[135:136]
	v_mul_f64 v[135:136], v[4:5], v[173:174]
	s_waitcnt vmcnt(5)
	v_fma_f64 v[125:126], v[125:126], v[177:178], -v[141:142]
	v_fma_f64 v[127:128], v[127:128], v[177:178], v[131:132]
	s_waitcnt vmcnt(4)
	v_fma_f64 v[4:5], v[4:5], v[175:176], v[129:130]
	v_add_f64 v[121:122], v[133:134], v[121:122]
	v_add_f64 v[6:7], v[6:7], v[123:124]
	v_fma_f64 v[2:3], v[2:3], v[175:176], -v[135:136]
	v_add_f64 v[121:122], v[121:122], v[125:126]
	v_add_f64 v[6:7], v[6:7], v[127:128]
	;; [unrolled: 1-line block ×4, first 2 shown]
	s_waitcnt vmcnt(2)
	v_add_f64 v[2:3], v[182:183], -v[2:3]
	s_waitcnt vmcnt(0)
	v_add_f64 v[4:5], v[184:185], -v[4:5]
	buffer_store_dword v3, off, s[0:3], 0 offset:692
	buffer_store_dword v2, off, s[0:3], 0 offset:688
	;; [unrolled: 1-line block ×4, first 2 shown]
	v_cmpx_lt_u32_e32 41, v0
	s_cbranch_execz .LBB119_267
; %bb.266:
	v_mov_b32_e32 v5, s26
	s_clause 0x3
	buffer_load_dword v2, v5, s[0:3], 0 offen
	buffer_load_dword v3, v5, s[0:3], 0 offen offset:4
	buffer_load_dword v4, v5, s[0:3], 0 offen offset:8
	buffer_load_dword v5, v5, s[0:3], 0 offen offset:12
	buffer_store_dword v1, off, s[0:3], 0 offset:672
	buffer_store_dword v1, off, s[0:3], 0 offset:676
	;; [unrolled: 1-line block ×4, first 2 shown]
	s_waitcnt vmcnt(0)
	ds_write_b128 v181, v[2:5]
.LBB119_267:
	s_or_b32 exec_lo, exec_lo, s4
	s_waitcnt lgkmcnt(0)
	s_waitcnt_vscnt null, 0x0
	s_barrier
	buffer_gl0_inv
	s_clause 0x35
	buffer_load_dword v6, off, s[0:3], 0 offset:696
	buffer_load_dword v7, off, s[0:3], 0 offset:700
	;; [unrolled: 1-line block ×54, first 2 shown]
	ds_read_b128 v[2:5], v1 offset:1568
	s_clause 0x1
	buffer_load_dword v183, off, s[0:3], 0 offset:900
	buffer_load_dword v182, off, s[0:3], 0 offset:896
	ds_read_b128 v[121:124], v1 offset:1584
	ds_read_b128 v[125:128], v1 offset:1600
	s_mov_b32 s4, exec_lo
	s_waitcnt vmcnt(54) lgkmcnt(2)
	v_mul_f64 v[184:185], v[4:5], v[6:7]
	v_mul_f64 v[6:7], v[2:3], v[6:7]
	s_waitcnt vmcnt(52) lgkmcnt(1)
	v_mul_f64 v[186:187], v[123:124], v[129:130]
	v_mul_f64 v[129:130], v[121:122], v[129:130]
	;; [unrolled: 3-line block ×3, first 2 shown]
	v_fma_f64 v[184:185], v[2:3], v[131:132], -v[184:185]
	v_fma_f64 v[6:7], v[4:5], v[131:132], v[6:7]
	s_clause 0x3
	buffer_load_dword v131, off, s[0:3], 0 offset:672
	buffer_load_dword v132, off, s[0:3], 0 offset:676
	;; [unrolled: 1-line block ×4, first 2 shown]
	s_waitcnt vmcnt(50)
	v_fma_f64 v[186:187], v[121:122], v[135:136], -v[186:187]
	ds_read_b128 v[2:5], v1 offset:1616
	v_fma_f64 v[129:130], v[123:124], v[135:136], v[129:130]
	ds_read_b128 v[121:124], v1 offset:1632
	s_waitcnt vmcnt(46)
	v_fma_f64 v[133:134], v[125:126], v[139:140], -v[133:134]
	v_fma_f64 v[139:140], v[127:128], v[139:140], v[190:191]
	ds_read_b128 v[125:128], v1 offset:1648
	v_add_f64 v[184:185], v[184:185], 0
	v_add_f64 v[6:7], v[6:7], 0
	s_waitcnt lgkmcnt(2)
	v_mul_f64 v[135:136], v[2:3], v[137:138]
	v_mul_f64 v[137:138], v[4:5], v[137:138]
	v_add_f64 v[184:185], v[184:185], v[186:187]
	v_add_f64 v[6:7], v[6:7], v[129:130]
	s_waitcnt vmcnt(44) lgkmcnt(1)
	v_mul_f64 v[129:130], v[121:122], v[141:142]
	v_mul_f64 v[141:142], v[123:124], v[141:142]
	s_waitcnt vmcnt(42)
	v_fma_f64 v[137:138], v[2:3], v[143:144], -v[137:138]
	v_fma_f64 v[135:136], v[4:5], v[143:144], v[135:136]
	ds_read_b128 v[2:5], v1 offset:1664
	s_waitcnt vmcnt(40) lgkmcnt(1)
	v_mul_f64 v[143:144], v[127:128], v[145:146]
	v_add_f64 v[133:134], v[184:185], v[133:134]
	v_add_f64 v[6:7], v[6:7], v[139:140]
	v_mul_f64 v[139:140], v[125:126], v[145:146]
	s_waitcnt vmcnt(38)
	v_fma_f64 v[141:142], v[121:122], v[147:148], -v[141:142]
	v_fma_f64 v[129:130], v[123:124], v[147:148], v[129:130]
	ds_read_b128 v[121:124], v1 offset:1680
	s_waitcnt vmcnt(34)
	v_fma_f64 v[143:144], v[125:126], v[151:152], -v[143:144]
	v_add_f64 v[133:134], v[133:134], v[137:138]
	v_add_f64 v[6:7], v[6:7], v[135:136]
	s_waitcnt lgkmcnt(1)
	v_mul_f64 v[137:138], v[4:5], v[149:150]
	v_mul_f64 v[135:136], v[2:3], v[149:150]
	v_fma_f64 v[139:140], v[127:128], v[151:152], v[139:140]
	ds_read_b128 v[125:128], v1 offset:1696
	v_add_f64 v[133:134], v[133:134], v[141:142]
	v_add_f64 v[6:7], v[6:7], v[129:130]
	s_waitcnt vmcnt(32) lgkmcnt(1)
	v_mul_f64 v[141:142], v[123:124], v[153:154]
	s_waitcnt vmcnt(30)
	v_fma_f64 v[137:138], v[2:3], v[155:156], -v[137:138]
	v_mul_f64 v[129:130], v[121:122], v[153:154]
	v_fma_f64 v[135:136], v[4:5], v[155:156], v[135:136]
	ds_read_b128 v[2:5], v1 offset:1712
	v_add_f64 v[133:134], v[133:134], v[143:144]
	v_add_f64 v[6:7], v[6:7], v[139:140]
	s_waitcnt vmcnt(28) lgkmcnt(1)
	v_mul_f64 v[143:144], v[127:128], v[157:158]
	s_waitcnt vmcnt(26)
	v_fma_f64 v[141:142], v[121:122], v[159:160], -v[141:142]
	v_mul_f64 v[139:140], v[125:126], v[157:158]
	v_fma_f64 v[129:130], v[123:124], v[159:160], v[129:130]
	ds_read_b128 v[121:124], v1 offset:1728
	v_add_f64 v[133:134], v[133:134], v[137:138]
	v_add_f64 v[6:7], v[6:7], v[135:136]
	s_waitcnt vmcnt(24) lgkmcnt(1)
	v_mul_f64 v[137:138], v[4:5], v[161:162]
	s_waitcnt vmcnt(22)
	v_fma_f64 v[143:144], v[125:126], v[163:164], -v[143:144]
	v_mul_f64 v[135:136], v[2:3], v[161:162]
	v_fma_f64 v[139:140], v[127:128], v[163:164], v[139:140]
	ds_read_b128 v[125:128], v1 offset:1744
	v_add_f64 v[133:134], v[133:134], v[141:142]
	v_add_f64 v[6:7], v[6:7], v[129:130]
	s_waitcnt vmcnt(20) lgkmcnt(1)
	v_mul_f64 v[141:142], v[123:124], v[165:166]
	s_waitcnt vmcnt(18)
	v_fma_f64 v[137:138], v[2:3], v[167:168], -v[137:138]
	v_mul_f64 v[129:130], v[121:122], v[165:166]
	v_fma_f64 v[135:136], v[4:5], v[167:168], v[135:136]
	ds_read_b128 v[2:5], v1 offset:1760
	v_add_f64 v[133:134], v[133:134], v[143:144]
	v_add_f64 v[6:7], v[6:7], v[139:140]
	s_waitcnt vmcnt(16) lgkmcnt(1)
	v_mul_f64 v[143:144], v[127:128], v[169:170]
	s_waitcnt vmcnt(14)
	v_fma_f64 v[141:142], v[121:122], v[171:172], -v[141:142]
	v_mul_f64 v[139:140], v[125:126], v[169:170]
	v_fma_f64 v[129:130], v[123:124], v[171:172], v[129:130]
	ds_read_b128 v[121:124], v1 offset:1776
	v_add_f64 v[133:134], v[133:134], v[137:138]
	v_add_f64 v[6:7], v[6:7], v[135:136]
	s_waitcnt vmcnt(12) lgkmcnt(1)
	v_mul_f64 v[137:138], v[4:5], v[173:174]
	s_waitcnt vmcnt(10)
	v_fma_f64 v[125:126], v[125:126], v[175:176], -v[143:144]
	v_mul_f64 v[135:136], v[2:3], v[173:174]
	v_fma_f64 v[127:128], v[127:128], v[175:176], v[139:140]
	s_waitcnt vmcnt(8) lgkmcnt(0)
	v_mul_f64 v[139:140], v[123:124], v[177:178]
	v_add_f64 v[133:134], v[133:134], v[141:142]
	v_add_f64 v[6:7], v[6:7], v[129:130]
	s_waitcnt vmcnt(6)
	v_fma_f64 v[1:2], v[2:3], v[179:180], -v[137:138]
	v_mul_f64 v[129:130], v[121:122], v[177:178]
	v_fma_f64 v[3:4], v[4:5], v[179:180], v[135:136]
	v_add_f64 v[125:126], v[133:134], v[125:126]
	v_add_f64 v[5:6], v[6:7], v[127:128]
	s_waitcnt vmcnt(4)
	v_fma_f64 v[7:8], v[121:122], v[182:183], -v[139:140]
	v_fma_f64 v[121:122], v[123:124], v[182:183], v[129:130]
	v_add_f64 v[1:2], v[125:126], v[1:2]
	v_add_f64 v[3:4], v[5:6], v[3:4]
	;; [unrolled: 1-line block ×4, first 2 shown]
	s_waitcnt vmcnt(2)
	v_add_f64 v[1:2], v[131:132], -v[1:2]
	s_waitcnt vmcnt(0)
	v_add_f64 v[3:4], v[188:189], -v[3:4]
	buffer_store_dword v2, off, s[0:3], 0 offset:676
	buffer_store_dword v1, off, s[0:3], 0 offset:672
	;; [unrolled: 1-line block ×4, first 2 shown]
	v_cmpx_lt_u32_e32 40, v0
	s_cbranch_execz .LBB119_269
; %bb.268:
	v_mov_b32_e32 v4, s27
	v_mov_b32_e32 v5, 0
	s_clause 0x3
	buffer_load_dword v1, v4, s[0:3], 0 offen
	buffer_load_dword v2, v4, s[0:3], 0 offen offset:4
	buffer_load_dword v3, v4, s[0:3], 0 offen offset:8
	;; [unrolled: 1-line block ×3, first 2 shown]
	buffer_store_dword v5, off, s[0:3], 0 offset:656
	buffer_store_dword v5, off, s[0:3], 0 offset:660
	;; [unrolled: 1-line block ×4, first 2 shown]
	s_waitcnt vmcnt(0)
	ds_write_b128 v181, v[1:4]
.LBB119_269:
	s_or_b32 exec_lo, exec_lo, s4
	s_waitcnt lgkmcnt(0)
	s_waitcnt_vscnt null, 0x0
	s_barrier
	buffer_gl0_inv
	s_clause 0x37
	buffer_load_dword v6, off, s[0:3], 0 offset:680
	buffer_load_dword v7, off, s[0:3], 0 offset:684
	;; [unrolled: 1-line block ×56, first 2 shown]
	v_mov_b32_e32 v1, 0
	s_mov_b32 s4, exec_lo
	ds_read_b128 v[2:5], v1 offset:1552
	s_clause 0x2
	buffer_load_dword v183, off, s[0:3], 0 offset:908
	buffer_load_dword v187, off, s[0:3], 0 offset:884
	buffer_load_dword v186, off, s[0:3], 0 offset:880
	ds_read_b128 v[121:124], v1 offset:1568
	ds_read_b128 v[125:128], v1 offset:1584
	buffer_load_dword v185, off, s[0:3], 0 offset:900
	s_waitcnt vmcnt(58) lgkmcnt(2)
	v_mul_f64 v[188:189], v[4:5], v[6:7]
	v_mul_f64 v[6:7], v[2:3], v[6:7]
	s_waitcnt vmcnt(56) lgkmcnt(1)
	v_mul_f64 v[190:191], v[123:124], v[129:130]
	v_mul_f64 v[129:130], v[121:122], v[129:130]
	s_waitcnt vmcnt(54)
	v_fma_f64 v[188:189], v[2:3], v[131:132], -v[188:189]
	v_fma_f64 v[6:7], v[4:5], v[131:132], v[6:7]
	s_waitcnt vmcnt(52) lgkmcnt(0)
	v_mul_f64 v[131:132], v[125:126], v[133:134]
	v_mul_f64 v[133:134], v[127:128], v[133:134]
	s_waitcnt vmcnt(50)
	v_fma_f64 v[190:191], v[121:122], v[135:136], -v[190:191]
	ds_read_b128 v[2:5], v1 offset:1600
	v_fma_f64 v[129:130], v[123:124], v[135:136], v[129:130]
	s_clause 0x3
	buffer_load_dword v135, off, s[0:3], 0 offset:656
	buffer_load_dword v136, off, s[0:3], 0 offset:660
	;; [unrolled: 1-line block ×4, first 2 shown]
	ds_read_b128 v[121:124], v1 offset:1616
	v_add_f64 v[188:189], v[188:189], 0
	v_add_f64 v[6:7], v[6:7], 0
	s_waitcnt vmcnt(48)
	v_fma_f64 v[131:132], v[127:128], v[143:144], v[131:132]
	s_waitcnt lgkmcnt(1)
	v_mul_f64 v[194:195], v[2:3], v[137:138]
	v_mul_f64 v[137:138], v[4:5], v[137:138]
	v_fma_f64 v[133:134], v[125:126], v[143:144], -v[133:134]
	ds_read_b128 v[125:128], v1 offset:1632
	v_add_f64 v[188:189], v[188:189], v[190:191]
	v_add_f64 v[6:7], v[6:7], v[129:130]
	s_waitcnt vmcnt(47) lgkmcnt(1)
	v_mul_f64 v[129:130], v[121:122], v[139:140]
	v_mul_f64 v[139:140], v[123:124], v[139:140]
	s_waitcnt vmcnt(45)
	v_fma_f64 v[137:138], v[2:3], v[145:146], -v[137:138]
	v_fma_f64 v[143:144], v[4:5], v[145:146], v[194:195]
	s_waitcnt vmcnt(41) lgkmcnt(0)
	v_mul_f64 v[145:146], v[127:128], v[147:148]
	ds_read_b128 v[2:5], v1 offset:1648
	v_add_f64 v[133:134], v[188:189], v[133:134]
	v_add_f64 v[6:7], v[6:7], v[131:132]
	v_mul_f64 v[131:132], v[125:126], v[147:148]
	s_waitcnt vmcnt(40)
	v_fma_f64 v[139:140], v[121:122], v[141:142], -v[139:140]
	v_fma_f64 v[129:130], v[123:124], v[141:142], v[129:130]
	ds_read_b128 v[121:124], v1 offset:1664
	s_waitcnt vmcnt(39) lgkmcnt(1)
	v_mul_f64 v[141:142], v[4:5], v[149:150]
	v_add_f64 v[133:134], v[133:134], v[137:138]
	v_add_f64 v[6:7], v[6:7], v[143:144]
	s_waitcnt vmcnt(37)
	v_fma_f64 v[143:144], v[125:126], v[153:154], -v[145:146]
	v_mul_f64 v[137:138], v[2:3], v[149:150]
	v_fma_f64 v[131:132], v[127:128], v[153:154], v[131:132]
	ds_read_b128 v[125:128], v1 offset:1680
	s_waitcnt vmcnt(32)
	v_fma_f64 v[141:142], v[2:3], v[151:152], -v[141:142]
	v_add_f64 v[133:134], v[133:134], v[139:140]
	v_add_f64 v[6:7], v[6:7], v[129:130]
	s_waitcnt lgkmcnt(1)
	v_mul_f64 v[139:140], v[123:124], v[155:156]
	v_mul_f64 v[129:130], v[121:122], v[155:156]
	v_fma_f64 v[137:138], v[4:5], v[151:152], v[137:138]
	ds_read_b128 v[2:5], v1 offset:1696
	v_add_f64 v[133:134], v[133:134], v[143:144]
	v_add_f64 v[6:7], v[6:7], v[131:132]
	s_waitcnt vmcnt(31) lgkmcnt(1)
	v_mul_f64 v[143:144], v[127:128], v[157:158]
	s_waitcnt vmcnt(29)
	v_fma_f64 v[139:140], v[121:122], v[161:162], -v[139:140]
	v_mul_f64 v[131:132], v[125:126], v[157:158]
	v_fma_f64 v[129:130], v[123:124], v[161:162], v[129:130]
	ds_read_b128 v[121:124], v1 offset:1712
	v_add_f64 v[133:134], v[133:134], v[141:142]
	v_add_f64 v[6:7], v[6:7], v[137:138]
	s_waitcnt vmcnt(25) lgkmcnt(1)
	v_mul_f64 v[141:142], v[4:5], v[163:164]
	s_waitcnt vmcnt(24)
	v_fma_f64 v[143:144], v[125:126], v[159:160], -v[143:144]
	;; [unrolled: 9-line block ×6, first 2 shown]
	v_mul_f64 v[129:130], v[121:122], v[179:180]
	v_fma_f64 v[4:5], v[4:5], v[175:176], v[137:138]
	s_waitcnt vmcnt(7) lgkmcnt(0)
	v_mul_f64 v[137:138], v[127:128], v[182:183]
	v_add_f64 v[133:134], v[133:134], v[143:144]
	v_add_f64 v[6:7], v[6:7], v[131:132]
	s_waitcnt vmcnt(5)
	v_fma_f64 v[121:122], v[121:122], v[186:187], -v[139:140]
	v_mul_f64 v[131:132], v[125:126], v[182:183]
	v_fma_f64 v[123:124], v[123:124], v[186:187], v[129:130]
	v_add_f64 v[2:3], v[133:134], v[2:3]
	v_add_f64 v[4:5], v[6:7], v[4:5]
	s_waitcnt vmcnt(4)
	v_fma_f64 v[6:7], v[125:126], v[184:185], -v[137:138]
	v_add_f64 v[2:3], v[2:3], v[121:122]
	v_fma_f64 v[121:122], v[127:128], v[184:185], v[131:132]
	v_add_f64 v[4:5], v[4:5], v[123:124]
	v_add_f64 v[2:3], v[2:3], v[6:7]
	;; [unrolled: 1-line block ×3, first 2 shown]
	s_waitcnt vmcnt(2)
	v_add_f64 v[2:3], v[135:136], -v[2:3]
	s_waitcnt vmcnt(0)
	v_add_f64 v[4:5], v[192:193], -v[4:5]
	buffer_store_dword v3, off, s[0:3], 0 offset:660
	buffer_store_dword v2, off, s[0:3], 0 offset:656
	;; [unrolled: 1-line block ×4, first 2 shown]
	v_cmpx_lt_u32_e32 39, v0
	s_cbranch_execz .LBB119_271
; %bb.270:
	v_mov_b32_e32 v5, s28
	s_clause 0x3
	buffer_load_dword v2, v5, s[0:3], 0 offen
	buffer_load_dword v3, v5, s[0:3], 0 offen offset:4
	buffer_load_dword v4, v5, s[0:3], 0 offen offset:8
	;; [unrolled: 1-line block ×3, first 2 shown]
	buffer_store_dword v1, off, s[0:3], 0 offset:640
	buffer_store_dword v1, off, s[0:3], 0 offset:644
	;; [unrolled: 1-line block ×4, first 2 shown]
	s_waitcnt vmcnt(0)
	ds_write_b128 v181, v[2:5]
.LBB119_271:
	s_or_b32 exec_lo, exec_lo, s4
	s_waitcnt lgkmcnt(0)
	s_waitcnt_vscnt null, 0x0
	s_barrier
	buffer_gl0_inv
	s_clause 0x37
	buffer_load_dword v6, off, s[0:3], 0 offset:664
	buffer_load_dword v7, off, s[0:3], 0 offset:668
	buffer_load_dword v129, off, s[0:3], 0 offset:680
	buffer_load_dword v130, off, s[0:3], 0 offset:684
	buffer_load_dword v131, off, s[0:3], 0 offset:656
	buffer_load_dword v132, off, s[0:3], 0 offset:660
	buffer_load_dword v133, off, s[0:3], 0 offset:696
	buffer_load_dword v134, off, s[0:3], 0 offset:700
	buffer_load_dword v135, off, s[0:3], 0 offset:672
	buffer_load_dword v136, off, s[0:3], 0 offset:676
	buffer_load_dword v138, off, s[0:3], 0 offset:716
	buffer_load_dword v139, off, s[0:3], 0 offset:728
	buffer_load_dword v141, off, s[0:3], 0 offset:720
	buffer_load_dword v137, off, s[0:3], 0 offset:712
	buffer_load_dword v143, off, s[0:3], 0 offset:688
	buffer_load_dword v144, off, s[0:3], 0 offset:692
	buffer_load_dword v140, off, s[0:3], 0 offset:732
	buffer_load_dword v146, off, s[0:3], 0 offset:708
	buffer_load_dword v145, off, s[0:3], 0 offset:704
	buffer_load_dword v148, off, s[0:3], 0 offset:748
	buffer_load_dword v149, off, s[0:3], 0 offset:760
	buffer_load_dword v151, off, s[0:3], 0 offset:752
	buffer_load_dword v147, off, s[0:3], 0 offset:744
	buffer_load_dword v142, off, s[0:3], 0 offset:724
	buffer_load_dword v150, off, s[0:3], 0 offset:764
	buffer_load_dword v154, off, s[0:3], 0 offset:740
	buffer_load_dword v153, off, s[0:3], 0 offset:736
	buffer_load_dword v156, off, s[0:3], 0 offset:780
	buffer_load_dword v157, off, s[0:3], 0 offset:792
	buffer_load_dword v159, off, s[0:3], 0 offset:784
	buffer_load_dword v155, off, s[0:3], 0 offset:776
	buffer_load_dword v152, off, s[0:3], 0 offset:756
	buffer_load_dword v158, off, s[0:3], 0 offset:796
	buffer_load_dword v162, off, s[0:3], 0 offset:772
	buffer_load_dword v161, off, s[0:3], 0 offset:768
	buffer_load_dword v164, off, s[0:3], 0 offset:812
	buffer_load_dword v165, off, s[0:3], 0 offset:824
	buffer_load_dword v167, off, s[0:3], 0 offset:816
	buffer_load_dword v163, off, s[0:3], 0 offset:808
	buffer_load_dword v160, off, s[0:3], 0 offset:788
	buffer_load_dword v166, off, s[0:3], 0 offset:828
	buffer_load_dword v170, off, s[0:3], 0 offset:804
	buffer_load_dword v169, off, s[0:3], 0 offset:800
	buffer_load_dword v172, off, s[0:3], 0 offset:844
	buffer_load_dword v173, off, s[0:3], 0 offset:856
	buffer_load_dword v175, off, s[0:3], 0 offset:848
	buffer_load_dword v171, off, s[0:3], 0 offset:840
	buffer_load_dword v168, off, s[0:3], 0 offset:820
	buffer_load_dword v174, off, s[0:3], 0 offset:860
	buffer_load_dword v178, off, s[0:3], 0 offset:836
	buffer_load_dword v177, off, s[0:3], 0 offset:832
	buffer_load_dword v180, off, s[0:3], 0 offset:876
	buffer_load_dword v182, off, s[0:3], 0 offset:888
	buffer_load_dword v184, off, s[0:3], 0 offset:880
	buffer_load_dword v179, off, s[0:3], 0 offset:872
	buffer_load_dword v176, off, s[0:3], 0 offset:852
	ds_read_b128 v[2:5], v1 offset:1536
	s_clause 0x2
	buffer_load_dword v183, off, s[0:3], 0 offset:892
	buffer_load_dword v187, off, s[0:3], 0 offset:868
	;; [unrolled: 1-line block ×3, first 2 shown]
	ds_read_b128 v[121:124], v1 offset:1552
	s_clause 0x2
	buffer_load_dword v191, off, s[0:3], 0 offset:908
	buffer_load_dword v190, off, s[0:3], 0 offset:904
	;; [unrolled: 1-line block ×3, first 2 shown]
	ds_read_b128 v[125:128], v1 offset:1568
	s_mov_b32 s4, exec_lo
	s_waitcnt vmcnt(60) lgkmcnt(2)
	v_mul_f64 v[188:189], v[4:5], v[6:7]
	v_mul_f64 v[6:7], v[2:3], v[6:7]
	s_waitcnt vmcnt(58) lgkmcnt(1)
	v_mul_f64 v[192:193], v[123:124], v[129:130]
	v_mul_f64 v[129:130], v[121:122], v[129:130]
	;; [unrolled: 3-line block ×3, first 2 shown]
	v_fma_f64 v[188:189], v[2:3], v[131:132], -v[188:189]
	v_fma_f64 v[6:7], v[4:5], v[131:132], v[6:7]
	s_clause 0x1
	buffer_load_dword v132, off, s[0:3], 0 offset:900
	buffer_load_dword v131, off, s[0:3], 0 offset:896
	s_waitcnt vmcnt(54)
	v_fma_f64 v[192:193], v[121:122], v[135:136], -v[192:193]
	ds_read_b128 v[2:5], v1 offset:1584
	v_fma_f64 v[129:130], v[123:124], v[135:136], v[129:130]
	ds_read_b128 v[121:124], v1 offset:1600
	s_waitcnt vmcnt(48)
	v_fma_f64 v[133:134], v[125:126], v[143:144], -v[133:134]
	v_fma_f64 v[143:144], v[127:128], v[143:144], v[194:195]
	v_add_f64 v[188:189], v[188:189], 0
	v_add_f64 v[6:7], v[6:7], 0
	s_waitcnt lgkmcnt(1)
	v_mul_f64 v[135:136], v[2:3], v[137:138]
	v_mul_f64 v[137:138], v[4:5], v[137:138]
	s_waitcnt vmcnt(47) lgkmcnt(0)
	v_mul_f64 v[194:195], v[121:122], v[139:140]
	v_mul_f64 v[139:140], v[123:124], v[139:140]
	v_add_f64 v[188:189], v[188:189], v[192:193]
	v_add_f64 v[6:7], v[6:7], v[129:130]
	s_clause 0x3
	buffer_load_dword v129, off, s[0:3], 0 offset:640
	buffer_load_dword v130, off, s[0:3], 0 offset:644
	;; [unrolled: 1-line block ×4, first 2 shown]
	s_waitcnt vmcnt(49)
	v_fma_f64 v[137:138], v[2:3], v[145:146], -v[137:138]
	ds_read_b128 v[125:128], v1 offset:1616
	v_fma_f64 v[135:136], v[4:5], v[145:146], v[135:136]
	ds_read_b128 v[2:5], v1 offset:1632
	s_waitcnt vmcnt(44)
	v_fma_f64 v[139:140], v[121:122], v[141:142], -v[139:140]
	v_add_f64 v[133:134], v[188:189], v[133:134]
	v_add_f64 v[6:7], v[6:7], v[143:144]
	s_waitcnt lgkmcnt(1)
	v_mul_f64 v[145:146], v[127:128], v[147:148]
	v_mul_f64 v[143:144], v[125:126], v[147:148]
	v_add_f64 v[133:134], v[133:134], v[137:138]
	v_fma_f64 v[137:138], v[123:124], v[141:142], v[194:195]
	v_add_f64 v[6:7], v[6:7], v[135:136]
	s_waitcnt vmcnt(43) lgkmcnt(0)
	v_mul_f64 v[141:142], v[4:5], v[149:150]
	s_waitcnt vmcnt(41)
	v_fma_f64 v[145:146], v[125:126], v[153:154], -v[145:146]
	ds_read_b128 v[121:124], v1 offset:1648
	v_mul_f64 v[135:136], v[2:3], v[149:150]
	v_add_f64 v[133:134], v[133:134], v[139:140]
	v_fma_f64 v[139:140], v[127:128], v[153:154], v[143:144]
	v_add_f64 v[6:7], v[6:7], v[137:138]
	ds_read_b128 v[125:128], v1 offset:1664
	s_waitcnt vmcnt(37) lgkmcnt(1)
	v_mul_f64 v[143:144], v[123:124], v[155:156]
	s_waitcnt vmcnt(36)
	v_fma_f64 v[141:142], v[2:3], v[151:152], -v[141:142]
	v_mul_f64 v[137:138], v[121:122], v[155:156]
	v_fma_f64 v[135:136], v[4:5], v[151:152], v[135:136]
	ds_read_b128 v[2:5], v1 offset:1680
	v_add_f64 v[133:134], v[133:134], v[145:146]
	s_waitcnt vmcnt(35) lgkmcnt(1)
	v_mul_f64 v[145:146], v[127:128], v[157:158]
	v_add_f64 v[6:7], v[6:7], v[139:140]
	v_mul_f64 v[139:140], v[125:126], v[157:158]
	s_waitcnt vmcnt(33)
	v_fma_f64 v[143:144], v[121:122], v[161:162], -v[143:144]
	v_fma_f64 v[137:138], v[123:124], v[161:162], v[137:138]
	ds_read_b128 v[121:124], v1 offset:1696
	v_add_f64 v[133:134], v[133:134], v[141:142]
	s_waitcnt vmcnt(29) lgkmcnt(1)
	v_mul_f64 v[141:142], v[4:5], v[163:164]
	v_add_f64 v[6:7], v[6:7], v[135:136]
	s_waitcnt vmcnt(28)
	v_fma_f64 v[145:146], v[125:126], v[159:160], -v[145:146]
	v_mul_f64 v[135:136], v[2:3], v[163:164]
	v_fma_f64 v[139:140], v[127:128], v[159:160], v[139:140]
	ds_read_b128 v[125:128], v1 offset:1712
	v_add_f64 v[133:134], v[133:134], v[143:144]
	s_waitcnt vmcnt(27) lgkmcnt(1)
	v_mul_f64 v[143:144], v[123:124], v[165:166]
	v_add_f64 v[6:7], v[6:7], v[137:138]
	s_waitcnt vmcnt(25)
	v_fma_f64 v[141:142], v[2:3], v[169:170], -v[141:142]
	v_mul_f64 v[137:138], v[121:122], v[165:166]
	v_fma_f64 v[135:136], v[4:5], v[169:170], v[135:136]
	ds_read_b128 v[2:5], v1 offset:1728
	v_add_f64 v[133:134], v[133:134], v[145:146]
	s_waitcnt vmcnt(21) lgkmcnt(1)
	v_mul_f64 v[145:146], v[127:128], v[171:172]
	v_add_f64 v[6:7], v[6:7], v[139:140]
	s_waitcnt vmcnt(20)
	v_fma_f64 v[143:144], v[121:122], v[167:168], -v[143:144]
	v_mul_f64 v[139:140], v[125:126], v[171:172]
	v_fma_f64 v[137:138], v[123:124], v[167:168], v[137:138]
	ds_read_b128 v[121:124], v1 offset:1744
	v_add_f64 v[133:134], v[133:134], v[141:142]
	s_waitcnt vmcnt(19) lgkmcnt(1)
	v_mul_f64 v[141:142], v[4:5], v[173:174]
	v_add_f64 v[6:7], v[6:7], v[135:136]
	s_waitcnt vmcnt(17)
	v_fma_f64 v[145:146], v[125:126], v[177:178], -v[145:146]
	v_mul_f64 v[135:136], v[2:3], v[173:174]
	v_fma_f64 v[139:140], v[127:128], v[177:178], v[139:140]
	ds_read_b128 v[125:128], v1 offset:1760
	v_add_f64 v[133:134], v[133:134], v[143:144]
	s_waitcnt vmcnt(13) lgkmcnt(1)
	v_mul_f64 v[143:144], v[123:124], v[179:180]
	v_add_f64 v[6:7], v[6:7], v[137:138]
	s_waitcnt vmcnt(12)
	v_fma_f64 v[141:142], v[2:3], v[175:176], -v[141:142]
	v_mul_f64 v[137:138], v[121:122], v[179:180]
	v_fma_f64 v[135:136], v[4:5], v[175:176], v[135:136]
	ds_read_b128 v[1:4], v1 offset:1776
	v_add_f64 v[133:134], v[133:134], v[145:146]
	s_waitcnt vmcnt(9)
	v_fma_f64 v[121:122], v[121:122], v[186:187], -v[143:144]
	v_add_f64 v[5:6], v[6:7], v[139:140]
	s_waitcnt lgkmcnt(1)
	v_mul_f64 v[139:140], v[127:128], v[182:183]
	v_mul_f64 v[7:8], v[125:126], v[182:183]
	v_fma_f64 v[123:124], v[123:124], v[186:187], v[137:138]
	s_waitcnt vmcnt(7) lgkmcnt(0)
	v_mul_f64 v[137:138], v[3:4], v[190:191]
	v_add_f64 v[133:134], v[133:134], v[141:142]
	v_add_f64 v[5:6], v[5:6], v[135:136]
	s_waitcnt vmcnt(6)
	v_fma_f64 v[125:126], v[125:126], v[184:185], -v[139:140]
	v_mul_f64 v[135:136], v[1:2], v[190:191]
	v_fma_f64 v[7:8], v[127:128], v[184:185], v[7:8]
	v_add_f64 v[121:122], v[133:134], v[121:122]
	v_add_f64 v[5:6], v[5:6], v[123:124]
	s_waitcnt vmcnt(4)
	v_fma_f64 v[1:2], v[1:2], v[131:132], -v[137:138]
	v_fma_f64 v[3:4], v[3:4], v[131:132], v[135:136]
	v_add_f64 v[121:122], v[121:122], v[125:126]
	v_add_f64 v[5:6], v[5:6], v[7:8]
	;; [unrolled: 1-line block ×4, first 2 shown]
	s_waitcnt vmcnt(2)
	v_add_f64 v[1:2], v[129:130], -v[1:2]
	s_waitcnt vmcnt(0)
	v_add_f64 v[3:4], v[192:193], -v[3:4]
	buffer_store_dword v2, off, s[0:3], 0 offset:644
	buffer_store_dword v1, off, s[0:3], 0 offset:640
	;; [unrolled: 1-line block ×4, first 2 shown]
	v_cmpx_lt_u32_e32 38, v0
	s_cbranch_execz .LBB119_273
; %bb.272:
	v_mov_b32_e32 v4, s29
	v_mov_b32_e32 v5, 0
	s_clause 0x3
	buffer_load_dword v1, v4, s[0:3], 0 offen
	buffer_load_dword v2, v4, s[0:3], 0 offen offset:4
	buffer_load_dword v3, v4, s[0:3], 0 offen offset:8
	;; [unrolled: 1-line block ×3, first 2 shown]
	buffer_store_dword v5, off, s[0:3], 0 offset:624
	buffer_store_dword v5, off, s[0:3], 0 offset:628
	;; [unrolled: 1-line block ×4, first 2 shown]
	s_waitcnt vmcnt(0)
	ds_write_b128 v181, v[1:4]
.LBB119_273:
	s_or_b32 exec_lo, exec_lo, s4
	s_waitcnt lgkmcnt(0)
	s_waitcnt_vscnt null, 0x0
	s_barrier
	buffer_gl0_inv
	s_clause 0x37
	buffer_load_dword v6, off, s[0:3], 0 offset:648
	buffer_load_dword v7, off, s[0:3], 0 offset:652
	;; [unrolled: 1-line block ×56, first 2 shown]
	v_mov_b32_e32 v1, 0
	s_mov_b32 s4, exec_lo
	ds_read_b128 v[2:5], v1 offset:1520
	s_clause 0x2
	buffer_load_dword v183, off, s[0:3], 0 offset:876
	buffer_load_dword v187, off, s[0:3], 0 offset:852
	;; [unrolled: 1-line block ×3, first 2 shown]
	ds_read_b128 v[121:124], v1 offset:1536
	s_clause 0x4
	buffer_load_dword v191, off, s[0:3], 0 offset:892
	buffer_load_dword v192, off, s[0:3], 0 offset:904
	buffer_load_dword v194, off, s[0:3], 0 offset:896
	buffer_load_dword v190, off, s[0:3], 0 offset:888
	buffer_load_dword v185, off, s[0:3], 0 offset:868
	ds_read_b128 v[125:128], v1 offset:1552
	s_waitcnt vmcnt(62) lgkmcnt(2)
	v_mul_f64 v[188:189], v[4:5], v[6:7]
	v_mul_f64 v[6:7], v[2:3], v[6:7]
	s_waitcnt vmcnt(60) lgkmcnt(1)
	v_mul_f64 v[195:196], v[123:124], v[129:130]
	v_mul_f64 v[129:130], v[121:122], v[129:130]
	;; [unrolled: 3-line block ×3, first 2 shown]
	v_fma_f64 v[188:189], v[2:3], v[131:132], -v[188:189]
	v_fma_f64 v[6:7], v[4:5], v[131:132], v[6:7]
	s_clause 0x2
	buffer_load_dword v193, off, s[0:3], 0 offset:908
	buffer_load_dword v132, off, s[0:3], 0 offset:884
	;; [unrolled: 1-line block ×3, first 2 shown]
	s_waitcnt vmcnt(57)
	v_fma_f64 v[199:200], v[121:122], v[135:136], -v[195:196]
	ds_read_b128 v[2:5], v1 offset:1568
	v_fma_f64 v[129:130], v[123:124], v[135:136], v[129:130]
	buffer_load_dword v195, off, s[0:3], 0 offset:900
	ds_read_b128 v[121:124], v1 offset:1584
	s_waitcnt vmcnt(52)
	v_fma_f64 v[133:134], v[125:126], v[143:144], -v[133:134]
	v_fma_f64 v[143:144], v[127:128], v[143:144], v[197:198]
	ds_read_b128 v[125:128], v1 offset:1600
	v_add_f64 v[188:189], v[188:189], 0
	v_add_f64 v[6:7], v[6:7], 0
	s_waitcnt lgkmcnt(2)
	v_mul_f64 v[135:136], v[2:3], v[137:138]
	v_mul_f64 v[137:138], v[4:5], v[137:138]
	v_add_f64 v[188:189], v[188:189], v[199:200]
	v_add_f64 v[6:7], v[6:7], v[129:130]
	s_waitcnt vmcnt(51) lgkmcnt(1)
	v_mul_f64 v[129:130], v[121:122], v[139:140]
	v_mul_f64 v[139:140], v[123:124], v[139:140]
	s_waitcnt vmcnt(49)
	v_fma_f64 v[137:138], v[2:3], v[145:146], -v[137:138]
	v_fma_f64 v[135:136], v[4:5], v[145:146], v[135:136]
	v_add_f64 v[133:134], v[188:189], v[133:134]
	v_add_f64 v[6:7], v[6:7], v[143:144]
	s_clause 0x3
	buffer_load_dword v143, off, s[0:3], 0 offset:624
	buffer_load_dword v144, off, s[0:3], 0 offset:628
	;; [unrolled: 1-line block ×4, first 2 shown]
	s_waitcnt vmcnt(49) lgkmcnt(0)
	v_mul_f64 v[188:189], v[125:126], v[147:148]
	v_mul_f64 v[147:148], v[127:128], v[147:148]
	s_waitcnt vmcnt(48)
	v_fma_f64 v[139:140], v[121:122], v[141:142], -v[139:140]
	ds_read_b128 v[2:5], v1 offset:1616
	v_fma_f64 v[129:130], v[123:124], v[141:142], v[129:130]
	ds_read_b128 v[121:124], v1 offset:1632
	v_add_f64 v[133:134], v[133:134], v[137:138]
	v_add_f64 v[6:7], v[6:7], v[135:136]
	s_waitcnt vmcnt(47) lgkmcnt(1)
	v_mul_f64 v[137:138], v[4:5], v[149:150]
	s_waitcnt vmcnt(45)
	v_fma_f64 v[141:142], v[125:126], v[153:154], -v[147:148]
	v_mul_f64 v[135:136], v[2:3], v[149:150]
	s_waitcnt vmcnt(41) lgkmcnt(0)
	v_mul_f64 v[147:148], v[123:124], v[155:156]
	v_add_f64 v[133:134], v[133:134], v[139:140]
	v_fma_f64 v[139:140], v[127:128], v[153:154], v[188:189]
	v_add_f64 v[6:7], v[6:7], v[129:130]
	ds_read_b128 v[125:128], v1 offset:1648
	s_waitcnt vmcnt(40)
	v_fma_f64 v[137:138], v[2:3], v[151:152], -v[137:138]
	v_mul_f64 v[129:130], v[121:122], v[155:156]
	v_fma_f64 v[135:136], v[4:5], v[151:152], v[135:136]
	ds_read_b128 v[2:5], v1 offset:1664
	s_waitcnt vmcnt(37)
	v_fma_f64 v[147:148], v[121:122], v[161:162], -v[147:148]
	v_add_f64 v[133:134], v[133:134], v[141:142]
	s_waitcnt lgkmcnt(1)
	v_mul_f64 v[141:142], v[127:128], v[157:158]
	v_add_f64 v[6:7], v[6:7], v[139:140]
	v_mul_f64 v[139:140], v[125:126], v[157:158]
	v_fma_f64 v[129:130], v[123:124], v[161:162], v[129:130]
	ds_read_b128 v[121:124], v1 offset:1680
	v_add_f64 v[133:134], v[133:134], v[137:138]
	s_waitcnt vmcnt(33) lgkmcnt(1)
	v_mul_f64 v[137:138], v[4:5], v[163:164]
	v_add_f64 v[6:7], v[6:7], v[135:136]
	s_waitcnt vmcnt(32)
	v_fma_f64 v[141:142], v[125:126], v[159:160], -v[141:142]
	v_mul_f64 v[135:136], v[2:3], v[163:164]
	v_fma_f64 v[139:140], v[127:128], v[159:160], v[139:140]
	ds_read_b128 v[125:128], v1 offset:1696
	v_add_f64 v[133:134], v[133:134], v[147:148]
	s_waitcnt vmcnt(31) lgkmcnt(1)
	v_mul_f64 v[147:148], v[123:124], v[165:166]
	v_add_f64 v[6:7], v[6:7], v[129:130]
	s_waitcnt vmcnt(29)
	v_fma_f64 v[137:138], v[2:3], v[169:170], -v[137:138]
	;; [unrolled: 9-line block ×7, first 2 shown]
	v_mul_f64 v[135:136], v[2:3], v[190:191]
	v_fma_f64 v[127:128], v[127:128], v[184:185], v[139:140]
	v_add_f64 v[133:134], v[133:134], v[147:148]
	v_add_f64 v[6:7], v[6:7], v[129:130]
	s_waitcnt vmcnt(7) lgkmcnt(0)
	v_mul_f64 v[139:140], v[123:124], v[192:193]
	v_mul_f64 v[129:130], v[121:122], v[192:193]
	s_waitcnt vmcnt(5)
	v_fma_f64 v[2:3], v[2:3], v[131:132], -v[137:138]
	v_fma_f64 v[4:5], v[4:5], v[131:132], v[135:136]
	v_add_f64 v[125:126], v[133:134], v[125:126]
	v_add_f64 v[6:7], v[6:7], v[127:128]
	s_waitcnt vmcnt(4)
	v_fma_f64 v[121:122], v[121:122], v[194:195], -v[139:140]
	v_fma_f64 v[123:124], v[123:124], v[194:195], v[129:130]
	v_add_f64 v[2:3], v[125:126], v[2:3]
	v_add_f64 v[4:5], v[6:7], v[4:5]
	;; [unrolled: 1-line block ×4, first 2 shown]
	s_waitcnt vmcnt(2)
	v_add_f64 v[2:3], v[143:144], -v[2:3]
	s_waitcnt vmcnt(0)
	v_add_f64 v[4:5], v[145:146], -v[4:5]
	buffer_store_dword v3, off, s[0:3], 0 offset:628
	buffer_store_dword v2, off, s[0:3], 0 offset:624
	;; [unrolled: 1-line block ×4, first 2 shown]
	v_cmpx_lt_u32_e32 37, v0
	s_cbranch_execz .LBB119_275
; %bb.274:
	v_mov_b32_e32 v5, s30
	s_clause 0x3
	buffer_load_dword v2, v5, s[0:3], 0 offen
	buffer_load_dword v3, v5, s[0:3], 0 offen offset:4
	buffer_load_dword v4, v5, s[0:3], 0 offen offset:8
	;; [unrolled: 1-line block ×3, first 2 shown]
	buffer_store_dword v1, off, s[0:3], 0 offset:608
	buffer_store_dword v1, off, s[0:3], 0 offset:612
	;; [unrolled: 1-line block ×4, first 2 shown]
	s_waitcnt vmcnt(0)
	ds_write_b128 v181, v[2:5]
.LBB119_275:
	s_or_b32 exec_lo, exec_lo, s4
	s_waitcnt lgkmcnt(0)
	s_waitcnt_vscnt null, 0x0
	s_barrier
	buffer_gl0_inv
	s_clause 0x37
	buffer_load_dword v6, off, s[0:3], 0 offset:632
	buffer_load_dword v7, off, s[0:3], 0 offset:636
	;; [unrolled: 1-line block ×56, first 2 shown]
	ds_read_b128 v[2:5], v1 offset:1504
	s_clause 0x2
	buffer_load_dword v183, off, s[0:3], 0 offset:860
	buffer_load_dword v187, off, s[0:3], 0 offset:836
	;; [unrolled: 1-line block ×3, first 2 shown]
	ds_read_b128 v[121:124], v1 offset:1520
	s_clause 0x4
	buffer_load_dword v191, off, s[0:3], 0 offset:876
	buffer_load_dword v192, off, s[0:3], 0 offset:888
	;; [unrolled: 1-line block ×5, first 2 shown]
	ds_read_b128 v[125:128], v1 offset:1536
	s_mov_b32 s4, exec_lo
	s_waitcnt vmcnt(62) lgkmcnt(2)
	v_mul_f64 v[188:189], v[4:5], v[6:7]
	v_mul_f64 v[6:7], v[2:3], v[6:7]
	s_waitcnt vmcnt(60) lgkmcnt(1)
	v_mul_f64 v[195:196], v[123:124], v[129:130]
	v_mul_f64 v[129:130], v[121:122], v[129:130]
	;; [unrolled: 3-line block ×3, first 2 shown]
	v_fma_f64 v[188:189], v[2:3], v[131:132], -v[188:189]
	v_fma_f64 v[6:7], v[4:5], v[131:132], v[6:7]
	s_clause 0x2
	buffer_load_dword v193, off, s[0:3], 0 offset:892
	buffer_load_dword v132, off, s[0:3], 0 offset:868
	;; [unrolled: 1-line block ×3, first 2 shown]
	s_waitcnt vmcnt(57)
	v_fma_f64 v[199:200], v[121:122], v[135:136], -v[195:196]
	ds_read_b128 v[2:5], v1 offset:1552
	v_fma_f64 v[129:130], v[123:124], v[135:136], v[129:130]
	s_clause 0x2
	buffer_load_dword v136, off, s[0:3], 0 offset:908
	buffer_load_dword v135, off, s[0:3], 0 offset:904
	;; [unrolled: 1-line block ×3, first 2 shown]
	s_waitcnt vmcnt(54)
	v_fma_f64 v[133:134], v[125:126], v[143:144], -v[133:134]
	ds_read_b128 v[121:124], v1 offset:1568
	v_fma_f64 v[143:144], v[127:128], v[143:144], v[197:198]
	v_add_f64 v[188:189], v[188:189], 0
	v_add_f64 v[6:7], v[6:7], 0
	s_waitcnt lgkmcnt(1)
	v_mul_f64 v[201:202], v[2:3], v[137:138]
	v_mul_f64 v[137:138], v[4:5], v[137:138]
	s_waitcnt vmcnt(53) lgkmcnt(0)
	v_mul_f64 v[196:197], v[121:122], v[139:140]
	v_mul_f64 v[139:140], v[123:124], v[139:140]
	v_add_f64 v[188:189], v[188:189], v[199:200]
	v_add_f64 v[6:7], v[6:7], v[129:130]
	s_clause 0x1
	buffer_load_dword v130, off, s[0:3], 0 offset:900
	buffer_load_dword v129, off, s[0:3], 0 offset:896
	s_waitcnt vmcnt(53)
	v_fma_f64 v[137:138], v[2:3], v[145:146], -v[137:138]
	ds_read_b128 v[125:128], v1 offset:1584
	v_fma_f64 v[145:146], v[4:5], v[145:146], v[201:202]
	ds_read_b128 v[2:5], v1 offset:1600
	s_waitcnt vmcnt(48)
	v_fma_f64 v[139:140], v[121:122], v[141:142], -v[139:140]
	v_add_f64 v[133:134], v[188:189], v[133:134]
	v_add_f64 v[6:7], v[6:7], v[143:144]
	s_waitcnt lgkmcnt(1)
	v_mul_f64 v[143:144], v[125:126], v[147:148]
	v_mul_f64 v[147:148], v[127:128], v[147:148]
	s_waitcnt vmcnt(47) lgkmcnt(0)
	v_mul_f64 v[188:189], v[2:3], v[149:150]
	v_mul_f64 v[149:150], v[4:5], v[149:150]
	v_add_f64 v[133:134], v[133:134], v[137:138]
	v_fma_f64 v[137:138], v[123:124], v[141:142], v[196:197]
	v_add_f64 v[6:7], v[6:7], v[145:146]
	s_clause 0x3
	buffer_load_dword v141, off, s[0:3], 0 offset:608
	buffer_load_dword v142, off, s[0:3], 0 offset:612
	;; [unrolled: 1-line block ×4, first 2 shown]
	s_waitcnt vmcnt(49)
	v_fma_f64 v[147:148], v[125:126], v[153:154], -v[147:148]
	ds_read_b128 v[121:124], v1 offset:1616
	s_waitcnt vmcnt(44)
	v_fma_f64 v[149:150], v[2:3], v[151:152], -v[149:150]
	v_add_f64 v[133:134], v[133:134], v[139:140]
	v_fma_f64 v[139:140], v[127:128], v[153:154], v[143:144]
	v_add_f64 v[6:7], v[6:7], v[137:138]
	ds_read_b128 v[125:128], v1 offset:1632
	s_waitcnt lgkmcnt(1)
	v_mul_f64 v[143:144], v[123:124], v[155:156]
	v_mul_f64 v[137:138], v[121:122], v[155:156]
	v_add_f64 v[133:134], v[133:134], v[147:148]
	v_fma_f64 v[147:148], v[4:5], v[151:152], v[188:189]
	v_add_f64 v[6:7], v[6:7], v[139:140]
	s_waitcnt vmcnt(43) lgkmcnt(0)
	v_mul_f64 v[151:152], v[127:128], v[157:158]
	s_waitcnt vmcnt(41)
	v_fma_f64 v[143:144], v[121:122], v[161:162], -v[143:144]
	ds_read_b128 v[2:5], v1 offset:1648
	v_mul_f64 v[139:140], v[125:126], v[157:158]
	v_fma_f64 v[137:138], v[123:124], v[161:162], v[137:138]
	ds_read_b128 v[121:124], v1 offset:1664
	v_add_f64 v[133:134], v[133:134], v[149:150]
	v_add_f64 v[6:7], v[6:7], v[147:148]
	s_waitcnt vmcnt(37) lgkmcnt(1)
	v_mul_f64 v[149:150], v[4:5], v[163:164]
	s_waitcnt vmcnt(36)
	v_fma_f64 v[151:152], v[125:126], v[159:160], -v[151:152]
	v_mul_f64 v[147:148], v[2:3], v[163:164]
	v_fma_f64 v[139:140], v[127:128], v[159:160], v[139:140]
	ds_read_b128 v[125:128], v1 offset:1680
	v_add_f64 v[133:134], v[133:134], v[143:144]
	s_waitcnt vmcnt(35) lgkmcnt(1)
	v_mul_f64 v[143:144], v[123:124], v[165:166]
	v_add_f64 v[6:7], v[6:7], v[137:138]
	s_waitcnt vmcnt(33)
	v_fma_f64 v[149:150], v[2:3], v[169:170], -v[149:150]
	v_mul_f64 v[137:138], v[121:122], v[165:166]
	v_fma_f64 v[147:148], v[4:5], v[169:170], v[147:148]
	ds_read_b128 v[2:5], v1 offset:1696
	v_add_f64 v[133:134], v[133:134], v[151:152]
	s_waitcnt vmcnt(29) lgkmcnt(1)
	v_mul_f64 v[151:152], v[127:128], v[171:172]
	v_add_f64 v[6:7], v[6:7], v[139:140]
	;; [unrolled: 9-line block ×6, first 2 shown]
	s_waitcnt vmcnt(12)
	v_fma_f64 v[151:152], v[125:126], v[184:185], -v[151:152]
	v_mul_f64 v[147:148], v[2:3], v[190:191]
	v_fma_f64 v[139:140], v[127:128], v[184:185], v[139:140]
	ds_read_b128 v[125:128], v1 offset:1776
	v_add_f64 v[133:134], v[133:134], v[143:144]
	v_add_f64 v[6:7], v[6:7], v[137:138]
	s_waitcnt vmcnt(11) lgkmcnt(1)
	v_mul_f64 v[143:144], v[123:124], v[192:193]
	v_mul_f64 v[137:138], v[121:122], v[192:193]
	s_waitcnt vmcnt(9)
	v_fma_f64 v[1:2], v[2:3], v[131:132], -v[149:150]
	v_fma_f64 v[3:4], v[4:5], v[131:132], v[147:148]
	s_waitcnt vmcnt(7) lgkmcnt(0)
	v_mul_f64 v[131:132], v[127:128], v[135:136]
	v_add_f64 v[133:134], v[133:134], v[151:152]
	v_add_f64 v[5:6], v[6:7], v[139:140]
	v_mul_f64 v[7:8], v[125:126], v[135:136]
	s_waitcnt vmcnt(6)
	v_fma_f64 v[121:122], v[121:122], v[194:195], -v[143:144]
	v_fma_f64 v[123:124], v[123:124], v[194:195], v[137:138]
	v_add_f64 v[1:2], v[133:134], v[1:2]
	v_add_f64 v[3:4], v[5:6], v[3:4]
	s_waitcnt vmcnt(4)
	v_fma_f64 v[5:6], v[125:126], v[129:130], -v[131:132]
	v_fma_f64 v[7:8], v[127:128], v[129:130], v[7:8]
	v_add_f64 v[1:2], v[1:2], v[121:122]
	v_add_f64 v[3:4], v[3:4], v[123:124]
	;; [unrolled: 1-line block ×4, first 2 shown]
	s_waitcnt vmcnt(2)
	v_add_f64 v[1:2], v[141:142], -v[1:2]
	s_waitcnt vmcnt(0)
	v_add_f64 v[3:4], v[145:146], -v[3:4]
	buffer_store_dword v2, off, s[0:3], 0 offset:612
	buffer_store_dword v1, off, s[0:3], 0 offset:608
	;; [unrolled: 1-line block ×4, first 2 shown]
	v_cmpx_lt_u32_e32 36, v0
	s_cbranch_execz .LBB119_277
; %bb.276:
	v_mov_b32_e32 v4, s31
	v_mov_b32_e32 v5, 0
	s_clause 0x3
	buffer_load_dword v1, v4, s[0:3], 0 offen
	buffer_load_dword v2, v4, s[0:3], 0 offen offset:4
	buffer_load_dword v3, v4, s[0:3], 0 offen offset:8
	;; [unrolled: 1-line block ×3, first 2 shown]
	buffer_store_dword v5, off, s[0:3], 0 offset:592
	buffer_store_dword v5, off, s[0:3], 0 offset:596
	;; [unrolled: 1-line block ×4, first 2 shown]
	s_waitcnt vmcnt(0)
	ds_write_b128 v181, v[1:4]
.LBB119_277:
	s_or_b32 exec_lo, exec_lo, s4
	s_waitcnt lgkmcnt(0)
	s_waitcnt_vscnt null, 0x0
	s_barrier
	buffer_gl0_inv
	s_clause 0x37
	buffer_load_dword v6, off, s[0:3], 0 offset:616
	buffer_load_dword v7, off, s[0:3], 0 offset:620
	;; [unrolled: 1-line block ×56, first 2 shown]
	v_mov_b32_e32 v1, 0
	s_mov_b32 s4, exec_lo
	ds_read_b128 v[2:5], v1 offset:1488
	s_clause 0x2
	buffer_load_dword v183, off, s[0:3], 0 offset:844
	buffer_load_dword v187, off, s[0:3], 0 offset:820
	;; [unrolled: 1-line block ×3, first 2 shown]
	ds_read_b128 v[121:124], v1 offset:1504
	s_clause 0x4
	buffer_load_dword v191, off, s[0:3], 0 offset:860
	buffer_load_dword v192, off, s[0:3], 0 offset:872
	;; [unrolled: 1-line block ×5, first 2 shown]
	ds_read_b128 v[125:128], v1 offset:1520
	s_waitcnt vmcnt(62) lgkmcnt(2)
	v_mul_f64 v[188:189], v[4:5], v[6:7]
	v_mul_f64 v[6:7], v[2:3], v[6:7]
	s_waitcnt vmcnt(60) lgkmcnt(1)
	v_mul_f64 v[195:196], v[123:124], v[129:130]
	v_mul_f64 v[129:130], v[121:122], v[129:130]
	;; [unrolled: 3-line block ×3, first 2 shown]
	v_fma_f64 v[188:189], v[2:3], v[131:132], -v[188:189]
	v_fma_f64 v[6:7], v[4:5], v[131:132], v[6:7]
	s_clause 0x2
	buffer_load_dword v193, off, s[0:3], 0 offset:876
	buffer_load_dword v132, off, s[0:3], 0 offset:852
	;; [unrolled: 1-line block ×3, first 2 shown]
	s_waitcnt vmcnt(57)
	v_fma_f64 v[199:200], v[121:122], v[135:136], -v[195:196]
	ds_read_b128 v[2:5], v1 offset:1536
	v_fma_f64 v[129:130], v[123:124], v[135:136], v[129:130]
	s_clause 0x4
	buffer_load_dword v136, off, s[0:3], 0 offset:892
	buffer_load_dword v196, off, s[0:3], 0 offset:904
	;; [unrolled: 1-line block ×5, first 2 shown]
	s_waitcnt vmcnt(56)
	v_fma_f64 v[133:134], v[125:126], v[143:144], -v[133:134]
	ds_read_b128 v[121:124], v1 offset:1552
	v_fma_f64 v[143:144], v[127:128], v[143:144], v[197:198]
	v_add_f64 v[188:189], v[188:189], 0
	v_add_f64 v[6:7], v[6:7], 0
	s_waitcnt lgkmcnt(1)
	v_mul_f64 v[202:203], v[2:3], v[137:138]
	v_mul_f64 v[137:138], v[4:5], v[137:138]
	v_add_f64 v[188:189], v[188:189], v[199:200]
	v_add_f64 v[6:7], v[6:7], v[129:130]
	s_clause 0x2
	buffer_load_dword v197, off, s[0:3], 0 offset:908
	buffer_load_dword v130, off, s[0:3], 0 offset:884
	;; [unrolled: 1-line block ×3, first 2 shown]
	s_waitcnt vmcnt(58) lgkmcnt(0)
	v_mul_f64 v[198:199], v[121:122], v[139:140]
	v_mul_f64 v[139:140], v[123:124], v[139:140]
	s_waitcnt vmcnt(56)
	v_fma_f64 v[137:138], v[2:3], v[145:146], -v[137:138]
	ds_read_b128 v[125:128], v1 offset:1568
	v_fma_f64 v[145:146], v[4:5], v[145:146], v[202:203]
	buffer_load_dword v202, off, s[0:3], 0 offset:900
	ds_read_b128 v[2:5], v1 offset:1584
	v_add_f64 v[133:134], v[188:189], v[133:134]
	v_add_f64 v[6:7], v[6:7], v[143:144]
	s_waitcnt vmcnt(53) lgkmcnt(1)
	v_mul_f64 v[143:144], v[125:126], v[147:148]
	v_mul_f64 v[147:148], v[127:128], v[147:148]
	s_waitcnt vmcnt(52)
	v_fma_f64 v[139:140], v[121:122], v[141:142], -v[139:140]
	v_add_f64 v[133:134], v[133:134], v[137:138]
	v_fma_f64 v[137:138], v[123:124], v[141:142], v[198:199]
	v_add_f64 v[6:7], v[6:7], v[145:146]
	s_waitcnt vmcnt(51) lgkmcnt(0)
	v_mul_f64 v[145:146], v[4:5], v[149:150]
	ds_read_b128 v[121:124], v1 offset:1600
	s_waitcnt vmcnt(49)
	v_fma_f64 v[147:148], v[125:126], v[153:154], -v[147:148]
	v_mul_f64 v[141:142], v[2:3], v[149:150]
	v_add_f64 v[133:134], v[133:134], v[139:140]
	v_fma_f64 v[139:140], v[127:128], v[153:154], v[143:144]
	v_add_f64 v[6:7], v[6:7], v[137:138]
	s_clause 0x3
	buffer_load_dword v137, off, s[0:3], 0 offset:592
	buffer_load_dword v138, off, s[0:3], 0 offset:596
	;; [unrolled: 1-line block ×4, first 2 shown]
	s_waitcnt vmcnt(49) lgkmcnt(0)
	v_mul_f64 v[153:154], v[123:124], v[155:156]
	s_waitcnt vmcnt(48)
	v_fma_f64 v[145:146], v[2:3], v[151:152], -v[145:146]
	ds_read_b128 v[125:128], v1 offset:1616
	v_mul_f64 v[149:150], v[121:122], v[155:156]
	v_fma_f64 v[141:142], v[4:5], v[151:152], v[141:142]
	ds_read_b128 v[2:5], v1 offset:1632
	v_add_f64 v[133:134], v[133:134], v[147:148]
	v_add_f64 v[6:7], v[6:7], v[139:140]
	s_waitcnt vmcnt(47) lgkmcnt(1)
	v_mul_f64 v[147:148], v[127:128], v[157:158]
	s_waitcnt vmcnt(45)
	v_fma_f64 v[151:152], v[121:122], v[161:162], -v[153:154]
	v_mul_f64 v[139:140], v[125:126], v[157:158]
	v_add_f64 v[133:134], v[133:134], v[145:146]
	v_fma_f64 v[145:146], v[123:124], v[161:162], v[149:150]
	v_add_f64 v[6:7], v[6:7], v[141:142]
	s_waitcnt vmcnt(41) lgkmcnt(0)
	v_mul_f64 v[149:150], v[4:5], v[163:164]
	s_waitcnt vmcnt(40)
	v_fma_f64 v[147:148], v[125:126], v[159:160], -v[147:148]
	ds_read_b128 v[121:124], v1 offset:1648
	v_mul_f64 v[141:142], v[2:3], v[163:164]
	v_fma_f64 v[139:140], v[127:128], v[159:160], v[139:140]
	ds_read_b128 v[125:128], v1 offset:1664
	v_add_f64 v[133:134], v[133:134], v[151:152]
	v_add_f64 v[6:7], v[6:7], v[145:146]
	s_waitcnt vmcnt(39) lgkmcnt(1)
	v_mul_f64 v[151:152], v[123:124], v[165:166]
	s_waitcnt vmcnt(37)
	v_fma_f64 v[149:150], v[2:3], v[169:170], -v[149:150]
	v_mul_f64 v[145:146], v[121:122], v[165:166]
	v_fma_f64 v[141:142], v[4:5], v[169:170], v[141:142]
	ds_read_b128 v[2:5], v1 offset:1680
	v_add_f64 v[133:134], v[133:134], v[147:148]
	s_waitcnt vmcnt(33) lgkmcnt(1)
	v_mul_f64 v[147:148], v[127:128], v[171:172]
	v_add_f64 v[6:7], v[6:7], v[139:140]
	s_waitcnt vmcnt(32)
	v_fma_f64 v[151:152], v[121:122], v[167:168], -v[151:152]
	v_mul_f64 v[139:140], v[125:126], v[171:172]
	v_fma_f64 v[145:146], v[123:124], v[167:168], v[145:146]
	ds_read_b128 v[121:124], v1 offset:1696
	v_add_f64 v[133:134], v[133:134], v[149:150]
	s_waitcnt vmcnt(31) lgkmcnt(1)
	v_mul_f64 v[149:150], v[4:5], v[173:174]
	v_add_f64 v[6:7], v[6:7], v[141:142]
	;; [unrolled: 9-line block ×5, first 2 shown]
	s_waitcnt vmcnt(16)
	v_fma_f64 v[147:148], v[125:126], v[184:185], -v[147:148]
	v_mul_f64 v[141:142], v[2:3], v[190:191]
	v_fma_f64 v[139:140], v[127:128], v[184:185], v[139:140]
	ds_read_b128 v[125:128], v1 offset:1760
	v_add_f64 v[133:134], v[133:134], v[151:152]
	v_add_f64 v[6:7], v[6:7], v[145:146]
	s_waitcnt vmcnt(15) lgkmcnt(1)
	v_mul_f64 v[151:152], v[123:124], v[192:193]
	v_mul_f64 v[145:146], v[121:122], v[192:193]
	s_waitcnt vmcnt(13)
	v_fma_f64 v[149:150], v[2:3], v[131:132], -v[149:150]
	v_fma_f64 v[131:132], v[4:5], v[131:132], v[141:142]
	ds_read_b128 v[2:5], v1 offset:1776
	v_add_f64 v[133:134], v[133:134], v[147:148]
	v_add_f64 v[6:7], v[6:7], v[139:140]
	s_waitcnt vmcnt(9) lgkmcnt(1)
	v_mul_f64 v[139:140], v[125:126], v[135:136]
	v_mul_f64 v[135:136], v[127:128], v[135:136]
	s_waitcnt vmcnt(8)
	v_fma_f64 v[121:122], v[121:122], v[194:195], -v[151:152]
	v_fma_f64 v[123:124], v[123:124], v[194:195], v[145:146]
	v_add_f64 v[133:134], v[133:134], v[149:150]
	v_add_f64 v[6:7], v[6:7], v[131:132]
	s_waitcnt vmcnt(7) lgkmcnt(0)
	v_mul_f64 v[141:142], v[4:5], v[196:197]
	v_mul_f64 v[131:132], v[2:3], v[196:197]
	s_waitcnt vmcnt(5)
	v_fma_f64 v[125:126], v[125:126], v[129:130], -v[135:136]
	v_fma_f64 v[127:128], v[127:128], v[129:130], v[139:140]
	v_add_f64 v[121:122], v[133:134], v[121:122]
	v_add_f64 v[6:7], v[6:7], v[123:124]
	s_waitcnt vmcnt(4)
	v_fma_f64 v[2:3], v[2:3], v[201:202], -v[141:142]
	v_fma_f64 v[4:5], v[4:5], v[201:202], v[131:132]
	v_add_f64 v[121:122], v[121:122], v[125:126]
	v_add_f64 v[6:7], v[6:7], v[127:128]
	;; [unrolled: 1-line block ×4, first 2 shown]
	s_waitcnt vmcnt(2)
	v_add_f64 v[2:3], v[137:138], -v[2:3]
	s_waitcnt vmcnt(0)
	v_add_f64 v[4:5], v[143:144], -v[4:5]
	buffer_store_dword v3, off, s[0:3], 0 offset:596
	buffer_store_dword v2, off, s[0:3], 0 offset:592
	;; [unrolled: 1-line block ×4, first 2 shown]
	v_cmpx_lt_u32_e32 35, v0
	s_cbranch_execz .LBB119_279
; %bb.278:
	v_mov_b32_e32 v5, s33
	s_clause 0x3
	buffer_load_dword v2, v5, s[0:3], 0 offen
	buffer_load_dword v3, v5, s[0:3], 0 offen offset:4
	buffer_load_dword v4, v5, s[0:3], 0 offen offset:8
	;; [unrolled: 1-line block ×3, first 2 shown]
	buffer_store_dword v1, off, s[0:3], 0 offset:576
	buffer_store_dword v1, off, s[0:3], 0 offset:580
	;; [unrolled: 1-line block ×4, first 2 shown]
	s_waitcnt vmcnt(0)
	ds_write_b128 v181, v[2:5]
.LBB119_279:
	s_or_b32 exec_lo, exec_lo, s4
	s_waitcnt lgkmcnt(0)
	s_waitcnt_vscnt null, 0x0
	s_barrier
	buffer_gl0_inv
	s_clause 0x37
	buffer_load_dword v6, off, s[0:3], 0 offset:600
	buffer_load_dword v7, off, s[0:3], 0 offset:604
	;; [unrolled: 1-line block ×56, first 2 shown]
	ds_read_b128 v[2:5], v1 offset:1472
	s_clause 0x2
	buffer_load_dword v183, off, s[0:3], 0 offset:828
	buffer_load_dword v187, off, s[0:3], 0 offset:804
	;; [unrolled: 1-line block ×3, first 2 shown]
	ds_read_b128 v[121:124], v1 offset:1488
	s_clause 0x4
	buffer_load_dword v191, off, s[0:3], 0 offset:844
	buffer_load_dword v192, off, s[0:3], 0 offset:856
	;; [unrolled: 1-line block ×5, first 2 shown]
	ds_read_b128 v[125:128], v1 offset:1504
	s_mov_b32 s4, exec_lo
	s_waitcnt vmcnt(62) lgkmcnt(2)
	v_mul_f64 v[188:189], v[4:5], v[6:7]
	v_mul_f64 v[6:7], v[2:3], v[6:7]
	s_waitcnt vmcnt(60) lgkmcnt(1)
	v_mul_f64 v[195:196], v[123:124], v[129:130]
	v_mul_f64 v[129:130], v[121:122], v[129:130]
	;; [unrolled: 3-line block ×3, first 2 shown]
	v_fma_f64 v[188:189], v[2:3], v[131:132], -v[188:189]
	v_fma_f64 v[6:7], v[4:5], v[131:132], v[6:7]
	s_clause 0x2
	buffer_load_dword v193, off, s[0:3], 0 offset:860
	buffer_load_dword v132, off, s[0:3], 0 offset:836
	;; [unrolled: 1-line block ×3, first 2 shown]
	s_waitcnt vmcnt(57)
	v_fma_f64 v[199:200], v[121:122], v[135:136], -v[195:196]
	ds_read_b128 v[2:5], v1 offset:1520
	v_fma_f64 v[129:130], v[123:124], v[135:136], v[129:130]
	s_clause 0x4
	buffer_load_dword v136, off, s[0:3], 0 offset:876
	buffer_load_dword v196, off, s[0:3], 0 offset:888
	;; [unrolled: 1-line block ×5, first 2 shown]
	s_waitcnt vmcnt(56)
	v_fma_f64 v[133:134], v[125:126], v[143:144], -v[133:134]
	ds_read_b128 v[121:124], v1 offset:1536
	v_fma_f64 v[143:144], v[127:128], v[143:144], v[197:198]
	v_add_f64 v[188:189], v[188:189], 0
	v_add_f64 v[6:7], v[6:7], 0
	s_waitcnt lgkmcnt(1)
	v_mul_f64 v[202:203], v[2:3], v[137:138]
	v_mul_f64 v[137:138], v[4:5], v[137:138]
	v_add_f64 v[188:189], v[188:189], v[199:200]
	v_add_f64 v[6:7], v[6:7], v[129:130]
	s_clause 0x2
	buffer_load_dword v197, off, s[0:3], 0 offset:892
	buffer_load_dword v130, off, s[0:3], 0 offset:868
	;; [unrolled: 1-line block ×3, first 2 shown]
	s_waitcnt vmcnt(58) lgkmcnt(0)
	v_mul_f64 v[198:199], v[121:122], v[139:140]
	v_mul_f64 v[139:140], v[123:124], v[139:140]
	s_waitcnt vmcnt(56)
	v_fma_f64 v[137:138], v[2:3], v[145:146], -v[137:138]
	ds_read_b128 v[125:128], v1 offset:1552
	v_fma_f64 v[145:146], v[4:5], v[145:146], v[202:203]
	v_add_f64 v[133:134], v[188:189], v[133:134]
	v_add_f64 v[6:7], v[6:7], v[143:144]
	s_clause 0x2
	buffer_load_dword v144, off, s[0:3], 0 offset:908
	buffer_load_dword v143, off, s[0:3], 0 offset:904
	;; [unrolled: 1-line block ×3, first 2 shown]
	ds_read_b128 v[2:5], v1 offset:1568
	s_waitcnt vmcnt(55) lgkmcnt(1)
	v_mul_f64 v[188:189], v[125:126], v[147:148]
	v_mul_f64 v[147:148], v[127:128], v[147:148]
	s_waitcnt vmcnt(54)
	v_fma_f64 v[139:140], v[121:122], v[141:142], -v[139:140]
	v_add_f64 v[133:134], v[133:134], v[137:138]
	v_fma_f64 v[137:138], v[123:124], v[141:142], v[198:199]
	v_add_f64 v[6:7], v[6:7], v[145:146]
	s_clause 0x1
	buffer_load_dword v142, off, s[0:3], 0 offset:900
	buffer_load_dword v141, off, s[0:3], 0 offset:896
	s_waitcnt vmcnt(55) lgkmcnt(0)
	v_mul_f64 v[145:146], v[2:3], v[149:150]
	v_mul_f64 v[149:150], v[4:5], v[149:150]
	s_waitcnt vmcnt(53)
	v_fma_f64 v[147:148], v[125:126], v[153:154], -v[147:148]
	ds_read_b128 v[121:124], v1 offset:1584
	v_add_f64 v[133:134], v[133:134], v[139:140]
	v_fma_f64 v[139:140], v[127:128], v[153:154], v[188:189]
	v_add_f64 v[6:7], v[6:7], v[137:138]
	ds_read_b128 v[125:128], v1 offset:1600
	s_waitcnt vmcnt(48)
	v_fma_f64 v[145:146], v[4:5], v[151:152], v[145:146]
	s_waitcnt lgkmcnt(1)
	v_mul_f64 v[153:154], v[123:124], v[155:156]
	v_fma_f64 v[149:150], v[2:3], v[151:152], -v[149:150]
	v_mul_f64 v[137:138], v[121:122], v[155:156]
	v_add_f64 v[133:134], v[133:134], v[147:148]
	s_waitcnt vmcnt(47) lgkmcnt(0)
	v_mul_f64 v[155:156], v[127:128], v[157:158]
	v_add_f64 v[6:7], v[6:7], v[139:140]
	s_clause 0x3
	buffer_load_dword v139, off, s[0:3], 0 offset:576
	buffer_load_dword v140, off, s[0:3], 0 offset:580
	;; [unrolled: 1-line block ×4, first 2 shown]
	ds_read_b128 v[2:5], v1 offset:1616
	s_waitcnt vmcnt(49)
	v_fma_f64 v[153:154], v[121:122], v[161:162], -v[153:154]
	v_mul_f64 v[151:152], v[125:126], v[157:158]
	v_fma_f64 v[137:138], v[123:124], v[161:162], v[137:138]
	ds_read_b128 v[121:124], v1 offset:1632
	v_add_f64 v[133:134], v[133:134], v[149:150]
	s_waitcnt vmcnt(44)
	v_fma_f64 v[155:156], v[125:126], v[159:160], -v[155:156]
	v_add_f64 v[6:7], v[6:7], v[145:146]
	s_waitcnt lgkmcnt(1)
	v_mul_f64 v[149:150], v[4:5], v[163:164]
	v_mul_f64 v[145:146], v[2:3], v[163:164]
	v_fma_f64 v[151:152], v[127:128], v[159:160], v[151:152]
	ds_read_b128 v[125:128], v1 offset:1648
	v_add_f64 v[133:134], v[133:134], v[153:154]
	s_waitcnt vmcnt(43) lgkmcnt(1)
	v_mul_f64 v[153:154], v[123:124], v[165:166]
	v_add_f64 v[6:7], v[6:7], v[137:138]
	s_waitcnt vmcnt(41)
	v_fma_f64 v[149:150], v[2:3], v[169:170], -v[149:150]
	v_mul_f64 v[137:138], v[121:122], v[165:166]
	v_fma_f64 v[145:146], v[4:5], v[169:170], v[145:146]
	ds_read_b128 v[2:5], v1 offset:1664
	v_add_f64 v[133:134], v[133:134], v[155:156]
	s_waitcnt vmcnt(37) lgkmcnt(1)
	v_mul_f64 v[155:156], v[127:128], v[171:172]
	v_add_f64 v[6:7], v[6:7], v[151:152]
	s_waitcnt vmcnt(36)
	v_fma_f64 v[153:154], v[121:122], v[167:168], -v[153:154]
	;; [unrolled: 9-line block ×6, first 2 shown]
	v_mul_f64 v[145:146], v[2:3], v[190:191]
	v_fma_f64 v[151:152], v[127:128], v[184:185], v[151:152]
	ds_read_b128 v[125:128], v1 offset:1744
	v_add_f64 v[133:134], v[133:134], v[153:154]
	v_add_f64 v[6:7], v[6:7], v[137:138]
	s_waitcnt vmcnt(19) lgkmcnt(1)
	v_mul_f64 v[153:154], v[123:124], v[192:193]
	v_mul_f64 v[137:138], v[121:122], v[192:193]
	s_waitcnt vmcnt(17)
	v_fma_f64 v[149:150], v[2:3], v[131:132], -v[149:150]
	v_fma_f64 v[131:132], v[4:5], v[131:132], v[145:146]
	ds_read_b128 v[2:5], v1 offset:1760
	s_waitcnt vmcnt(13) lgkmcnt(1)
	v_mul_f64 v[145:146], v[125:126], v[135:136]
	v_mul_f64 v[135:136], v[127:128], v[135:136]
	v_add_f64 v[133:134], v[133:134], v[155:156]
	v_add_f64 v[6:7], v[6:7], v[151:152]
	s_waitcnt vmcnt(12)
	v_fma_f64 v[151:152], v[121:122], v[194:195], -v[153:154]
	v_fma_f64 v[137:138], v[123:124], v[194:195], v[137:138]
	ds_read_b128 v[121:124], v1 offset:1776
	v_add_f64 v[133:134], v[133:134], v[149:150]
	v_add_f64 v[6:7], v[6:7], v[131:132]
	s_waitcnt vmcnt(11) lgkmcnt(1)
	v_mul_f64 v[149:150], v[4:5], v[196:197]
	v_mul_f64 v[131:132], v[2:3], v[196:197]
	s_waitcnt vmcnt(9)
	v_fma_f64 v[125:126], v[125:126], v[129:130], -v[135:136]
	v_fma_f64 v[127:128], v[127:128], v[129:130], v[145:146]
	v_add_f64 v[133:134], v[133:134], v[151:152]
	v_add_f64 v[6:7], v[6:7], v[137:138]
	s_waitcnt vmcnt(7) lgkmcnt(0)
	v_mul_f64 v[135:136], v[123:124], v[143:144]
	s_waitcnt vmcnt(6)
	v_fma_f64 v[1:2], v[2:3], v[201:202], -v[149:150]
	v_mul_f64 v[129:130], v[121:122], v[143:144]
	v_fma_f64 v[3:4], v[4:5], v[201:202], v[131:132]
	v_add_f64 v[125:126], v[133:134], v[125:126]
	v_add_f64 v[5:6], v[6:7], v[127:128]
	s_waitcnt vmcnt(4)
	v_fma_f64 v[7:8], v[121:122], v[141:142], -v[135:136]
	v_fma_f64 v[121:122], v[123:124], v[141:142], v[129:130]
	v_add_f64 v[1:2], v[125:126], v[1:2]
	v_add_f64 v[3:4], v[5:6], v[3:4]
	;; [unrolled: 1-line block ×4, first 2 shown]
	s_waitcnt vmcnt(2)
	v_add_f64 v[1:2], v[139:140], -v[1:2]
	s_waitcnt vmcnt(0)
	v_add_f64 v[3:4], v[147:148], -v[3:4]
	buffer_store_dword v2, off, s[0:3], 0 offset:580
	buffer_store_dword v1, off, s[0:3], 0 offset:576
	;; [unrolled: 1-line block ×4, first 2 shown]
	v_cmpx_lt_u32_e32 34, v0
	s_cbranch_execz .LBB119_281
; %bb.280:
	v_mov_b32_e32 v4, s34
	v_mov_b32_e32 v5, 0
	s_clause 0x3
	buffer_load_dword v1, v4, s[0:3], 0 offen
	buffer_load_dword v2, v4, s[0:3], 0 offen offset:4
	buffer_load_dword v3, v4, s[0:3], 0 offen offset:8
	;; [unrolled: 1-line block ×3, first 2 shown]
	buffer_store_dword v5, off, s[0:3], 0 offset:560
	buffer_store_dword v5, off, s[0:3], 0 offset:564
	;; [unrolled: 1-line block ×4, first 2 shown]
	s_waitcnt vmcnt(0)
	ds_write_b128 v181, v[1:4]
.LBB119_281:
	s_or_b32 exec_lo, exec_lo, s4
	s_waitcnt lgkmcnt(0)
	s_waitcnt_vscnt null, 0x0
	s_barrier
	buffer_gl0_inv
	s_clause 0x37
	buffer_load_dword v6, off, s[0:3], 0 offset:584
	buffer_load_dword v7, off, s[0:3], 0 offset:588
	;; [unrolled: 1-line block ×56, first 2 shown]
	v_mov_b32_e32 v1, 0
	s_mov_b32 s4, exec_lo
	ds_read_b128 v[2:5], v1 offset:1456
	s_clause 0x2
	buffer_load_dword v183, off, s[0:3], 0 offset:812
	buffer_load_dword v187, off, s[0:3], 0 offset:788
	;; [unrolled: 1-line block ×3, first 2 shown]
	ds_read_b128 v[121:124], v1 offset:1472
	s_clause 0x4
	buffer_load_dword v191, off, s[0:3], 0 offset:828
	buffer_load_dword v192, off, s[0:3], 0 offset:840
	;; [unrolled: 1-line block ×5, first 2 shown]
	ds_read_b128 v[125:128], v1 offset:1488
	s_waitcnt vmcnt(62) lgkmcnt(2)
	v_mul_f64 v[188:189], v[4:5], v[6:7]
	v_mul_f64 v[6:7], v[2:3], v[6:7]
	s_waitcnt vmcnt(60) lgkmcnt(1)
	v_mul_f64 v[195:196], v[123:124], v[129:130]
	v_mul_f64 v[129:130], v[121:122], v[129:130]
	;; [unrolled: 3-line block ×3, first 2 shown]
	v_fma_f64 v[188:189], v[2:3], v[131:132], -v[188:189]
	v_fma_f64 v[6:7], v[4:5], v[131:132], v[6:7]
	s_clause 0x2
	buffer_load_dword v193, off, s[0:3], 0 offset:844
	buffer_load_dword v132, off, s[0:3], 0 offset:820
	;; [unrolled: 1-line block ×3, first 2 shown]
	s_waitcnt vmcnt(57)
	v_fma_f64 v[199:200], v[121:122], v[135:136], -v[195:196]
	ds_read_b128 v[2:5], v1 offset:1504
	v_fma_f64 v[129:130], v[123:124], v[135:136], v[129:130]
	s_clause 0x4
	buffer_load_dword v136, off, s[0:3], 0 offset:860
	buffer_load_dword v196, off, s[0:3], 0 offset:872
	;; [unrolled: 1-line block ×5, first 2 shown]
	s_waitcnt vmcnt(56)
	v_fma_f64 v[133:134], v[125:126], v[143:144], -v[133:134]
	ds_read_b128 v[121:124], v1 offset:1520
	v_fma_f64 v[143:144], v[127:128], v[143:144], v[197:198]
	v_add_f64 v[188:189], v[188:189], 0
	v_add_f64 v[6:7], v[6:7], 0
	s_waitcnt lgkmcnt(1)
	v_mul_f64 v[202:203], v[2:3], v[137:138]
	v_mul_f64 v[137:138], v[4:5], v[137:138]
	v_add_f64 v[188:189], v[188:189], v[199:200]
	v_add_f64 v[6:7], v[6:7], v[129:130]
	s_clause 0x2
	buffer_load_dword v197, off, s[0:3], 0 offset:876
	buffer_load_dword v130, off, s[0:3], 0 offset:852
	;; [unrolled: 1-line block ×3, first 2 shown]
	s_waitcnt vmcnt(58) lgkmcnt(0)
	v_mul_f64 v[198:199], v[121:122], v[139:140]
	v_mul_f64 v[139:140], v[123:124], v[139:140]
	s_waitcnt vmcnt(56)
	v_fma_f64 v[137:138], v[2:3], v[145:146], -v[137:138]
	ds_read_b128 v[125:128], v1 offset:1536
	v_fma_f64 v[145:146], v[4:5], v[145:146], v[202:203]
	v_add_f64 v[133:134], v[188:189], v[133:134]
	v_add_f64 v[6:7], v[6:7], v[143:144]
	s_clause 0x4
	buffer_load_dword v144, off, s[0:3], 0 offset:892
	buffer_load_dword v188, off, s[0:3], 0 offset:904
	;; [unrolled: 1-line block ×5, first 2 shown]
	ds_read_b128 v[2:5], v1 offset:1552
	s_waitcnt vmcnt(57) lgkmcnt(1)
	v_mul_f64 v[204:205], v[125:126], v[147:148]
	v_mul_f64 v[147:148], v[127:128], v[147:148]
	s_waitcnt vmcnt(56)
	v_fma_f64 v[139:140], v[121:122], v[141:142], -v[139:140]
	v_add_f64 v[133:134], v[133:134], v[137:138]
	v_fma_f64 v[137:138], v[123:124], v[141:142], v[198:199]
	v_add_f64 v[6:7], v[6:7], v[145:146]
	s_clause 0x2
	buffer_load_dword v189, off, s[0:3], 0 offset:908
	buffer_load_dword v142, off, s[0:3], 0 offset:884
	;; [unrolled: 1-line block ×3, first 2 shown]
	s_waitcnt vmcnt(58) lgkmcnt(0)
	v_mul_f64 v[145:146], v[2:3], v[149:150]
	v_mul_f64 v[149:150], v[4:5], v[149:150]
	s_waitcnt vmcnt(56)
	v_fma_f64 v[147:148], v[125:126], v[153:154], -v[147:148]
	ds_read_b128 v[121:124], v1 offset:1568
	v_add_f64 v[133:134], v[133:134], v[139:140]
	v_fma_f64 v[139:140], v[127:128], v[153:154], v[204:205]
	v_add_f64 v[6:7], v[6:7], v[137:138]
	buffer_load_dword v204, off, s[0:3], 0 offset:900
	ds_read_b128 v[125:128], v1 offset:1584
	s_waitcnt vmcnt(53) lgkmcnt(1)
	v_mul_f64 v[153:154], v[123:124], v[155:156]
	s_waitcnt vmcnt(52)
	v_fma_f64 v[149:150], v[2:3], v[151:152], -v[149:150]
	v_mul_f64 v[137:138], v[121:122], v[155:156]
	v_fma_f64 v[145:146], v[4:5], v[151:152], v[145:146]
	ds_read_b128 v[2:5], v1 offset:1600
	v_add_f64 v[133:134], v[133:134], v[147:148]
	v_add_f64 v[6:7], v[6:7], v[139:140]
	s_waitcnt vmcnt(51) lgkmcnt(1)
	v_mul_f64 v[147:148], v[127:128], v[157:158]
	v_mul_f64 v[139:140], v[125:126], v[157:158]
	s_waitcnt vmcnt(49)
	v_fma_f64 v[151:152], v[121:122], v[161:162], -v[153:154]
	v_fma_f64 v[137:138], v[123:124], v[161:162], v[137:138]
	s_waitcnt vmcnt(45) lgkmcnt(0)
	v_mul_f64 v[155:156], v[4:5], v[163:164]
	v_mul_f64 v[153:154], v[2:3], v[163:164]
	v_add_f64 v[133:134], v[133:134], v[149:150]
	v_add_f64 v[6:7], v[6:7], v[145:146]
	s_clause 0x3
	buffer_load_dword v145, off, s[0:3], 0 offset:560
	buffer_load_dword v146, off, s[0:3], 0 offset:564
	;; [unrolled: 1-line block ×4, first 2 shown]
	s_waitcnt vmcnt(48)
	v_fma_f64 v[147:148], v[125:126], v[159:160], -v[147:148]
	ds_read_b128 v[121:124], v1 offset:1616
	v_fma_f64 v[139:140], v[127:128], v[159:160], v[139:140]
	ds_read_b128 v[125:128], v1 offset:1632
	s_waitcnt vmcnt(45)
	v_fma_f64 v[155:156], v[2:3], v[169:170], -v[155:156]
	v_add_f64 v[133:134], v[133:134], v[151:152]
	v_add_f64 v[6:7], v[6:7], v[137:138]
	s_waitcnt lgkmcnt(1)
	v_mul_f64 v[151:152], v[123:124], v[165:166]
	v_mul_f64 v[137:138], v[121:122], v[165:166]
	v_add_f64 v[133:134], v[133:134], v[147:148]
	v_fma_f64 v[147:148], v[4:5], v[169:170], v[153:154]
	v_add_f64 v[6:7], v[6:7], v[139:140]
	s_waitcnt vmcnt(41) lgkmcnt(0)
	v_mul_f64 v[153:154], v[127:128], v[171:172]
	s_waitcnt vmcnt(40)
	v_fma_f64 v[151:152], v[121:122], v[167:168], -v[151:152]
	ds_read_b128 v[2:5], v1 offset:1648
	v_mul_f64 v[139:140], v[125:126], v[171:172]
	v_fma_f64 v[137:138], v[123:124], v[167:168], v[137:138]
	ds_read_b128 v[121:124], v1 offset:1664
	v_add_f64 v[133:134], v[133:134], v[155:156]
	v_add_f64 v[6:7], v[6:7], v[147:148]
	s_waitcnt vmcnt(39) lgkmcnt(1)
	v_mul_f64 v[155:156], v[4:5], v[173:174]
	s_waitcnt vmcnt(37)
	v_fma_f64 v[153:154], v[125:126], v[177:178], -v[153:154]
	v_mul_f64 v[147:148], v[2:3], v[173:174]
	v_fma_f64 v[139:140], v[127:128], v[177:178], v[139:140]
	ds_read_b128 v[125:128], v1 offset:1680
	v_add_f64 v[133:134], v[133:134], v[151:152]
	s_waitcnt vmcnt(33) lgkmcnt(1)
	v_mul_f64 v[151:152], v[123:124], v[179:180]
	v_add_f64 v[6:7], v[6:7], v[137:138]
	s_waitcnt vmcnt(32)
	v_fma_f64 v[155:156], v[2:3], v[175:176], -v[155:156]
	v_mul_f64 v[137:138], v[121:122], v[179:180]
	v_fma_f64 v[147:148], v[4:5], v[175:176], v[147:148]
	ds_read_b128 v[2:5], v1 offset:1696
	v_add_f64 v[133:134], v[133:134], v[153:154]
	s_waitcnt vmcnt(31) lgkmcnt(1)
	v_mul_f64 v[153:154], v[127:128], v[182:183]
	v_add_f64 v[6:7], v[6:7], v[139:140]
	;; [unrolled: 9-line block ×3, first 2 shown]
	s_waitcnt vmcnt(24)
	v_fma_f64 v[153:154], v[125:126], v[184:185], -v[153:154]
	v_mul_f64 v[147:148], v[2:3], v[190:191]
	v_fma_f64 v[139:140], v[127:128], v[184:185], v[139:140]
	ds_read_b128 v[125:128], v1 offset:1728
	v_add_f64 v[133:134], v[133:134], v[151:152]
	v_add_f64 v[6:7], v[6:7], v[137:138]
	s_waitcnt vmcnt(23) lgkmcnt(1)
	v_mul_f64 v[151:152], v[123:124], v[192:193]
	v_mul_f64 v[137:138], v[121:122], v[192:193]
	s_waitcnt vmcnt(21)
	v_fma_f64 v[155:156], v[2:3], v[131:132], -v[155:156]
	v_fma_f64 v[131:132], v[4:5], v[131:132], v[147:148]
	ds_read_b128 v[2:5], v1 offset:1744
	v_add_f64 v[133:134], v[133:134], v[153:154]
	v_add_f64 v[6:7], v[6:7], v[139:140]
	s_waitcnt vmcnt(17) lgkmcnt(1)
	v_mul_f64 v[139:140], v[125:126], v[135:136]
	v_mul_f64 v[135:136], v[127:128], v[135:136]
	s_waitcnt vmcnt(16)
	v_fma_f64 v[147:148], v[121:122], v[194:195], -v[151:152]
	;; [unrolled: 9-line block ×3, first 2 shown]
	v_fma_f64 v[129:130], v[127:128], v[129:130], v[139:140]
	ds_read_b128 v[125:128], v1 offset:1776
	v_add_f64 v[133:134], v[133:134], v[147:148]
	v_add_f64 v[6:7], v[6:7], v[137:138]
	s_waitcnt vmcnt(9) lgkmcnt(1)
	v_mul_f64 v[139:140], v[123:124], v[143:144]
	s_waitcnt vmcnt(8)
	v_fma_f64 v[2:3], v[2:3], v[201:202], -v[151:152]
	v_mul_f64 v[137:138], v[121:122], v[143:144]
	v_fma_f64 v[4:5], v[4:5], v[201:202], v[131:132]
	v_add_f64 v[133:134], v[133:134], v[135:136]
	v_add_f64 v[6:7], v[6:7], v[129:130]
	s_waitcnt vmcnt(7) lgkmcnt(0)
	v_mul_f64 v[131:132], v[127:128], v[188:189]
	v_mul_f64 v[129:130], v[125:126], v[188:189]
	s_waitcnt vmcnt(5)
	v_fma_f64 v[121:122], v[121:122], v[141:142], -v[139:140]
	v_fma_f64 v[123:124], v[123:124], v[141:142], v[137:138]
	v_add_f64 v[2:3], v[133:134], v[2:3]
	v_add_f64 v[4:5], v[6:7], v[4:5]
	s_waitcnt vmcnt(4)
	v_fma_f64 v[6:7], v[125:126], v[203:204], -v[131:132]
	v_add_f64 v[2:3], v[2:3], v[121:122]
	v_fma_f64 v[121:122], v[127:128], v[203:204], v[129:130]
	v_add_f64 v[4:5], v[4:5], v[123:124]
	v_add_f64 v[2:3], v[2:3], v[6:7]
	;; [unrolled: 1-line block ×3, first 2 shown]
	s_waitcnt vmcnt(2)
	v_add_f64 v[2:3], v[145:146], -v[2:3]
	s_waitcnt vmcnt(0)
	v_add_f64 v[4:5], v[149:150], -v[4:5]
	buffer_store_dword v3, off, s[0:3], 0 offset:564
	buffer_store_dword v2, off, s[0:3], 0 offset:560
	;; [unrolled: 1-line block ×4, first 2 shown]
	v_cmpx_lt_u32_e32 33, v0
	s_cbranch_execz .LBB119_283
; %bb.282:
	v_mov_b32_e32 v5, s35
	s_clause 0x3
	buffer_load_dword v2, v5, s[0:3], 0 offen
	buffer_load_dword v3, v5, s[0:3], 0 offen offset:4
	buffer_load_dword v4, v5, s[0:3], 0 offen offset:8
	;; [unrolled: 1-line block ×3, first 2 shown]
	buffer_store_dword v1, off, s[0:3], 0 offset:544
	buffer_store_dword v1, off, s[0:3], 0 offset:548
	;; [unrolled: 1-line block ×4, first 2 shown]
	s_waitcnt vmcnt(0)
	ds_write_b128 v181, v[2:5]
.LBB119_283:
	s_or_b32 exec_lo, exec_lo, s4
	s_waitcnt lgkmcnt(0)
	s_waitcnt_vscnt null, 0x0
	s_barrier
	buffer_gl0_inv
	s_clause 0x37
	buffer_load_dword v6, off, s[0:3], 0 offset:568
	buffer_load_dword v7, off, s[0:3], 0 offset:572
	;; [unrolled: 1-line block ×56, first 2 shown]
	ds_read_b128 v[2:5], v1 offset:1440
	s_clause 0x2
	buffer_load_dword v183, off, s[0:3], 0 offset:796
	buffer_load_dword v187, off, s[0:3], 0 offset:772
	;; [unrolled: 1-line block ×3, first 2 shown]
	ds_read_b128 v[121:124], v1 offset:1456
	s_clause 0x4
	buffer_load_dword v191, off, s[0:3], 0 offset:812
	buffer_load_dword v192, off, s[0:3], 0 offset:824
	;; [unrolled: 1-line block ×5, first 2 shown]
	ds_read_b128 v[125:128], v1 offset:1472
	s_mov_b32 s4, exec_lo
	s_waitcnt vmcnt(62) lgkmcnt(2)
	v_mul_f64 v[188:189], v[4:5], v[6:7]
	v_mul_f64 v[6:7], v[2:3], v[6:7]
	s_waitcnt vmcnt(60) lgkmcnt(1)
	v_mul_f64 v[195:196], v[123:124], v[129:130]
	v_mul_f64 v[129:130], v[121:122], v[129:130]
	;; [unrolled: 3-line block ×3, first 2 shown]
	v_fma_f64 v[188:189], v[2:3], v[131:132], -v[188:189]
	v_fma_f64 v[6:7], v[4:5], v[131:132], v[6:7]
	s_clause 0x2
	buffer_load_dword v193, off, s[0:3], 0 offset:828
	buffer_load_dword v132, off, s[0:3], 0 offset:804
	;; [unrolled: 1-line block ×3, first 2 shown]
	s_waitcnt vmcnt(57)
	v_fma_f64 v[199:200], v[121:122], v[135:136], -v[195:196]
	ds_read_b128 v[2:5], v1 offset:1488
	v_fma_f64 v[129:130], v[123:124], v[135:136], v[129:130]
	s_clause 0x4
	buffer_load_dword v136, off, s[0:3], 0 offset:844
	buffer_load_dword v196, off, s[0:3], 0 offset:856
	;; [unrolled: 1-line block ×5, first 2 shown]
	s_waitcnt vmcnt(56)
	v_fma_f64 v[133:134], v[125:126], v[143:144], -v[133:134]
	ds_read_b128 v[121:124], v1 offset:1504
	v_fma_f64 v[143:144], v[127:128], v[143:144], v[197:198]
	v_add_f64 v[188:189], v[188:189], 0
	v_add_f64 v[6:7], v[6:7], 0
	s_waitcnt lgkmcnt(1)
	v_mul_f64 v[202:203], v[2:3], v[137:138]
	v_mul_f64 v[137:138], v[4:5], v[137:138]
	v_add_f64 v[188:189], v[188:189], v[199:200]
	v_add_f64 v[6:7], v[6:7], v[129:130]
	s_clause 0x2
	buffer_load_dword v197, off, s[0:3], 0 offset:860
	buffer_load_dword v130, off, s[0:3], 0 offset:836
	;; [unrolled: 1-line block ×3, first 2 shown]
	s_waitcnt vmcnt(58) lgkmcnt(0)
	v_mul_f64 v[198:199], v[121:122], v[139:140]
	v_mul_f64 v[139:140], v[123:124], v[139:140]
	s_waitcnt vmcnt(56)
	v_fma_f64 v[137:138], v[2:3], v[145:146], -v[137:138]
	ds_read_b128 v[125:128], v1 offset:1520
	v_fma_f64 v[145:146], v[4:5], v[145:146], v[202:203]
	v_add_f64 v[133:134], v[188:189], v[133:134]
	v_add_f64 v[6:7], v[6:7], v[143:144]
	s_clause 0x4
	buffer_load_dword v144, off, s[0:3], 0 offset:876
	buffer_load_dword v188, off, s[0:3], 0 offset:888
	;; [unrolled: 1-line block ×5, first 2 shown]
	ds_read_b128 v[2:5], v1 offset:1536
	s_waitcnt vmcnt(57) lgkmcnt(1)
	v_mul_f64 v[204:205], v[125:126], v[147:148]
	v_mul_f64 v[147:148], v[127:128], v[147:148]
	s_waitcnt vmcnt(56)
	v_fma_f64 v[139:140], v[121:122], v[141:142], -v[139:140]
	v_add_f64 v[133:134], v[133:134], v[137:138]
	v_fma_f64 v[137:138], v[123:124], v[141:142], v[198:199]
	v_add_f64 v[6:7], v[6:7], v[145:146]
	s_clause 0x2
	buffer_load_dword v189, off, s[0:3], 0 offset:892
	buffer_load_dword v142, off, s[0:3], 0 offset:868
	;; [unrolled: 1-line block ×3, first 2 shown]
	s_waitcnt vmcnt(58) lgkmcnt(0)
	v_mul_f64 v[145:146], v[2:3], v[149:150]
	v_mul_f64 v[149:150], v[4:5], v[149:150]
	s_waitcnt vmcnt(56)
	v_fma_f64 v[147:148], v[125:126], v[153:154], -v[147:148]
	ds_read_b128 v[121:124], v1 offset:1552
	v_add_f64 v[133:134], v[133:134], v[139:140]
	v_fma_f64 v[139:140], v[127:128], v[153:154], v[204:205]
	v_add_f64 v[6:7], v[6:7], v[137:138]
	s_clause 0x2
	buffer_load_dword v138, off, s[0:3], 0 offset:908
	buffer_load_dword v137, off, s[0:3], 0 offset:904
	;; [unrolled: 1-line block ×3, first 2 shown]
	ds_read_b128 v[125:128], v1 offset:1568
	s_waitcnt vmcnt(55) lgkmcnt(1)
	v_mul_f64 v[153:154], v[121:122], v[155:156]
	v_mul_f64 v[155:156], v[123:124], v[155:156]
	s_waitcnt vmcnt(54)
	v_fma_f64 v[149:150], v[2:3], v[151:152], -v[149:150]
	v_fma_f64 v[145:146], v[4:5], v[151:152], v[145:146]
	v_add_f64 v[133:134], v[133:134], v[147:148]
	v_add_f64 v[6:7], v[6:7], v[139:140]
	s_clause 0x1
	buffer_load_dword v140, off, s[0:3], 0 offset:900
	buffer_load_dword v139, off, s[0:3], 0 offset:896
	s_waitcnt vmcnt(55) lgkmcnt(0)
	v_mul_f64 v[151:152], v[127:128], v[157:158]
	ds_read_b128 v[2:5], v1 offset:1584
	s_waitcnt vmcnt(53)
	v_fma_f64 v[155:156], v[121:122], v[161:162], -v[155:156]
	v_mul_f64 v[147:148], v[125:126], v[157:158]
	v_add_f64 v[133:134], v[133:134], v[149:150]
	v_fma_f64 v[149:150], v[123:124], v[161:162], v[153:154]
	v_add_f64 v[6:7], v[6:7], v[145:146]
	ds_read_b128 v[121:124], v1 offset:1600
	s_waitcnt vmcnt(49) lgkmcnt(1)
	v_mul_f64 v[153:154], v[4:5], v[163:164]
	s_waitcnt vmcnt(48)
	v_fma_f64 v[151:152], v[125:126], v[159:160], -v[151:152]
	v_mul_f64 v[145:146], v[2:3], v[163:164]
	v_fma_f64 v[147:148], v[127:128], v[159:160], v[147:148]
	v_add_f64 v[133:134], v[133:134], v[155:156]
	s_waitcnt vmcnt(47) lgkmcnt(0)
	v_mul_f64 v[159:160], v[123:124], v[165:166]
	v_add_f64 v[6:7], v[6:7], v[149:150]
	s_clause 0x3
	buffer_load_dword v149, off, s[0:3], 0 offset:544
	buffer_load_dword v150, off, s[0:3], 0 offset:548
	;; [unrolled: 1-line block ×4, first 2 shown]
	s_waitcnt vmcnt(49)
	v_fma_f64 v[153:154], v[2:3], v[169:170], -v[153:154]
	ds_read_b128 v[125:128], v1 offset:1616
	v_mul_f64 v[157:158], v[121:122], v[165:166]
	v_fma_f64 v[145:146], v[4:5], v[169:170], v[145:146]
	ds_read_b128 v[2:5], v1 offset:1632
	v_add_f64 v[133:134], v[133:134], v[151:152]
	s_waitcnt vmcnt(44)
	v_fma_f64 v[159:160], v[121:122], v[167:168], -v[159:160]
	v_add_f64 v[6:7], v[6:7], v[147:148]
	s_waitcnt lgkmcnt(1)
	v_mul_f64 v[151:152], v[127:128], v[171:172]
	v_mul_f64 v[147:148], v[125:126], v[171:172]
	v_add_f64 v[133:134], v[133:134], v[153:154]
	v_fma_f64 v[153:154], v[123:124], v[167:168], v[157:158]
	v_add_f64 v[6:7], v[6:7], v[145:146]
	s_waitcnt vmcnt(43) lgkmcnt(0)
	v_mul_f64 v[157:158], v[4:5], v[173:174]
	s_waitcnt vmcnt(41)
	v_fma_f64 v[151:152], v[125:126], v[177:178], -v[151:152]
	ds_read_b128 v[121:124], v1 offset:1648
	v_mul_f64 v[145:146], v[2:3], v[173:174]
	v_fma_f64 v[147:148], v[127:128], v[177:178], v[147:148]
	ds_read_b128 v[125:128], v1 offset:1664
	v_add_f64 v[133:134], v[133:134], v[159:160]
	v_add_f64 v[6:7], v[6:7], v[153:154]
	s_waitcnt vmcnt(37) lgkmcnt(1)
	v_mul_f64 v[159:160], v[123:124], v[179:180]
	s_waitcnt vmcnt(36)
	v_fma_f64 v[157:158], v[2:3], v[175:176], -v[157:158]
	v_mul_f64 v[153:154], v[121:122], v[179:180]
	v_fma_f64 v[145:146], v[4:5], v[175:176], v[145:146]
	ds_read_b128 v[2:5], v1 offset:1680
	v_add_f64 v[133:134], v[133:134], v[151:152]
	s_waitcnt vmcnt(35) lgkmcnt(1)
	v_mul_f64 v[151:152], v[127:128], v[182:183]
	v_add_f64 v[6:7], v[6:7], v[147:148]
	s_waitcnt vmcnt(33)
	v_fma_f64 v[159:160], v[121:122], v[186:187], -v[159:160]
	v_mul_f64 v[147:148], v[125:126], v[182:183]
	v_fma_f64 v[153:154], v[123:124], v[186:187], v[153:154]
	ds_read_b128 v[121:124], v1 offset:1696
	v_add_f64 v[133:134], v[133:134], v[157:158]
	s_waitcnt vmcnt(29) lgkmcnt(1)
	v_mul_f64 v[157:158], v[4:5], v[190:191]
	v_add_f64 v[6:7], v[6:7], v[145:146]
	s_waitcnt vmcnt(28)
	v_fma_f64 v[151:152], v[125:126], v[184:185], -v[151:152]
	v_mul_f64 v[145:146], v[2:3], v[190:191]
	v_fma_f64 v[147:148], v[127:128], v[184:185], v[147:148]
	ds_read_b128 v[125:128], v1 offset:1712
	v_add_f64 v[133:134], v[133:134], v[159:160]
	v_add_f64 v[6:7], v[6:7], v[153:154]
	s_waitcnt vmcnt(27) lgkmcnt(1)
	v_mul_f64 v[159:160], v[123:124], v[192:193]
	v_mul_f64 v[153:154], v[121:122], v[192:193]
	s_waitcnt vmcnt(25)
	v_fma_f64 v[157:158], v[2:3], v[131:132], -v[157:158]
	v_fma_f64 v[131:132], v[4:5], v[131:132], v[145:146]
	ds_read_b128 v[2:5], v1 offset:1728
	s_waitcnt vmcnt(21) lgkmcnt(1)
	v_mul_f64 v[145:146], v[125:126], v[135:136]
	v_mul_f64 v[135:136], v[127:128], v[135:136]
	v_add_f64 v[133:134], v[133:134], v[151:152]
	v_add_f64 v[6:7], v[6:7], v[147:148]
	s_waitcnt vmcnt(20)
	v_fma_f64 v[147:148], v[121:122], v[194:195], -v[159:160]
	v_fma_f64 v[151:152], v[123:124], v[194:195], v[153:154]
	ds_read_b128 v[121:124], v1 offset:1744
	v_add_f64 v[133:134], v[133:134], v[157:158]
	v_add_f64 v[6:7], v[6:7], v[131:132]
	s_waitcnt vmcnt(19) lgkmcnt(1)
	v_mul_f64 v[153:154], v[4:5], v[196:197]
	v_mul_f64 v[131:132], v[2:3], v[196:197]
	s_waitcnt vmcnt(17)
	v_fma_f64 v[135:136], v[125:126], v[129:130], -v[135:136]
	v_fma_f64 v[129:130], v[127:128], v[129:130], v[145:146]
	ds_read_b128 v[125:128], v1 offset:1760
	v_add_f64 v[133:134], v[133:134], v[147:148]
	v_add_f64 v[6:7], v[6:7], v[151:152]
	s_waitcnt vmcnt(13) lgkmcnt(1)
	v_mul_f64 v[145:146], v[121:122], v[143:144]
	v_mul_f64 v[143:144], v[123:124], v[143:144]
	;; [unrolled: 9-line block ×3, first 2 shown]
	s_waitcnt vmcnt(9)
	v_fma_f64 v[121:122], v[121:122], v[141:142], -v[143:144]
	v_fma_f64 v[123:124], v[123:124], v[141:142], v[145:146]
	v_add_f64 v[133:134], v[133:134], v[147:148]
	v_add_f64 v[5:6], v[5:6], v[131:132]
	s_waitcnt vmcnt(7) lgkmcnt(0)
	v_mul_f64 v[135:136], v[3:4], v[137:138]
	s_waitcnt vmcnt(6)
	v_fma_f64 v[125:126], v[125:126], v[203:204], -v[129:130]
	v_mul_f64 v[131:132], v[1:2], v[137:138]
	v_fma_f64 v[7:8], v[127:128], v[203:204], v[7:8]
	v_add_f64 v[121:122], v[133:134], v[121:122]
	v_add_f64 v[5:6], v[5:6], v[123:124]
	s_waitcnt vmcnt(4)
	v_fma_f64 v[1:2], v[1:2], v[139:140], -v[135:136]
	v_fma_f64 v[3:4], v[3:4], v[139:140], v[131:132]
	v_add_f64 v[121:122], v[121:122], v[125:126]
	v_add_f64 v[5:6], v[5:6], v[7:8]
	;; [unrolled: 1-line block ×4, first 2 shown]
	s_waitcnt vmcnt(2)
	v_add_f64 v[1:2], v[149:150], -v[1:2]
	s_waitcnt vmcnt(0)
	v_add_f64 v[3:4], v[155:156], -v[3:4]
	buffer_store_dword v2, off, s[0:3], 0 offset:548
	buffer_store_dword v1, off, s[0:3], 0 offset:544
	;; [unrolled: 1-line block ×4, first 2 shown]
	v_cmpx_lt_u32_e32 32, v0
	s_cbranch_execz .LBB119_285
; %bb.284:
	v_mov_b32_e32 v4, s36
	v_mov_b32_e32 v5, 0
	s_clause 0x3
	buffer_load_dword v1, v4, s[0:3], 0 offen
	buffer_load_dword v2, v4, s[0:3], 0 offen offset:4
	buffer_load_dword v3, v4, s[0:3], 0 offen offset:8
	;; [unrolled: 1-line block ×3, first 2 shown]
	buffer_store_dword v5, off, s[0:3], 0 offset:528
	buffer_store_dword v5, off, s[0:3], 0 offset:532
	;; [unrolled: 1-line block ×4, first 2 shown]
	s_waitcnt vmcnt(0)
	ds_write_b128 v181, v[1:4]
.LBB119_285:
	s_or_b32 exec_lo, exec_lo, s4
	s_waitcnt lgkmcnt(0)
	s_waitcnt_vscnt null, 0x0
	s_barrier
	buffer_gl0_inv
	s_clause 0x37
	buffer_load_dword v6, off, s[0:3], 0 offset:552
	buffer_load_dword v7, off, s[0:3], 0 offset:556
	;; [unrolled: 1-line block ×56, first 2 shown]
	v_mov_b32_e32 v1, 0
	s_mov_b32 s4, exec_lo
	ds_read_b128 v[2:5], v1 offset:1424
	s_clause 0x2
	buffer_load_dword v183, off, s[0:3], 0 offset:780
	buffer_load_dword v187, off, s[0:3], 0 offset:756
	;; [unrolled: 1-line block ×3, first 2 shown]
	ds_read_b128 v[121:124], v1 offset:1440
	s_clause 0x4
	buffer_load_dword v191, off, s[0:3], 0 offset:796
	buffer_load_dword v192, off, s[0:3], 0 offset:808
	;; [unrolled: 1-line block ×5, first 2 shown]
	ds_read_b128 v[125:128], v1 offset:1456
	s_waitcnt vmcnt(62) lgkmcnt(2)
	v_mul_f64 v[188:189], v[4:5], v[6:7]
	v_mul_f64 v[6:7], v[2:3], v[6:7]
	s_waitcnt vmcnt(60) lgkmcnt(1)
	v_mul_f64 v[195:196], v[123:124], v[129:130]
	v_mul_f64 v[129:130], v[121:122], v[129:130]
	;; [unrolled: 3-line block ×3, first 2 shown]
	v_fma_f64 v[188:189], v[2:3], v[131:132], -v[188:189]
	v_fma_f64 v[6:7], v[4:5], v[131:132], v[6:7]
	s_clause 0x2
	buffer_load_dword v193, off, s[0:3], 0 offset:812
	buffer_load_dword v132, off, s[0:3], 0 offset:788
	;; [unrolled: 1-line block ×3, first 2 shown]
	s_waitcnt vmcnt(57)
	v_fma_f64 v[199:200], v[121:122], v[135:136], -v[195:196]
	ds_read_b128 v[2:5], v1 offset:1472
	v_fma_f64 v[129:130], v[123:124], v[135:136], v[129:130]
	s_clause 0x4
	buffer_load_dword v136, off, s[0:3], 0 offset:828
	buffer_load_dword v196, off, s[0:3], 0 offset:840
	;; [unrolled: 1-line block ×5, first 2 shown]
	s_waitcnt vmcnt(56)
	v_fma_f64 v[133:134], v[125:126], v[143:144], -v[133:134]
	ds_read_b128 v[121:124], v1 offset:1488
	v_fma_f64 v[143:144], v[127:128], v[143:144], v[197:198]
	v_add_f64 v[188:189], v[188:189], 0
	v_add_f64 v[6:7], v[6:7], 0
	s_waitcnt lgkmcnt(1)
	v_mul_f64 v[202:203], v[2:3], v[137:138]
	v_mul_f64 v[137:138], v[4:5], v[137:138]
	v_add_f64 v[188:189], v[188:189], v[199:200]
	v_add_f64 v[6:7], v[6:7], v[129:130]
	s_clause 0x2
	buffer_load_dword v197, off, s[0:3], 0 offset:844
	buffer_load_dword v130, off, s[0:3], 0 offset:820
	;; [unrolled: 1-line block ×3, first 2 shown]
	s_waitcnt vmcnt(58) lgkmcnt(0)
	v_mul_f64 v[198:199], v[121:122], v[139:140]
	v_mul_f64 v[139:140], v[123:124], v[139:140]
	s_waitcnt vmcnt(56)
	v_fma_f64 v[137:138], v[2:3], v[145:146], -v[137:138]
	ds_read_b128 v[125:128], v1 offset:1504
	v_fma_f64 v[145:146], v[4:5], v[145:146], v[202:203]
	v_add_f64 v[133:134], v[188:189], v[133:134]
	v_add_f64 v[6:7], v[6:7], v[143:144]
	s_clause 0x4
	buffer_load_dword v144, off, s[0:3], 0 offset:860
	buffer_load_dword v188, off, s[0:3], 0 offset:872
	;; [unrolled: 1-line block ×5, first 2 shown]
	ds_read_b128 v[2:5], v1 offset:1520
	s_waitcnt vmcnt(57) lgkmcnt(1)
	v_mul_f64 v[204:205], v[125:126], v[147:148]
	v_mul_f64 v[147:148], v[127:128], v[147:148]
	s_waitcnt vmcnt(56)
	v_fma_f64 v[139:140], v[121:122], v[141:142], -v[139:140]
	v_add_f64 v[133:134], v[133:134], v[137:138]
	v_fma_f64 v[137:138], v[123:124], v[141:142], v[198:199]
	v_add_f64 v[6:7], v[6:7], v[145:146]
	s_clause 0x2
	buffer_load_dword v189, off, s[0:3], 0 offset:876
	buffer_load_dword v142, off, s[0:3], 0 offset:852
	;; [unrolled: 1-line block ×3, first 2 shown]
	s_waitcnt vmcnt(58) lgkmcnt(0)
	v_mul_f64 v[145:146], v[2:3], v[149:150]
	v_mul_f64 v[149:150], v[4:5], v[149:150]
	s_waitcnt vmcnt(56)
	v_fma_f64 v[147:148], v[125:126], v[153:154], -v[147:148]
	ds_read_b128 v[121:124], v1 offset:1536
	v_add_f64 v[133:134], v[133:134], v[139:140]
	v_fma_f64 v[139:140], v[127:128], v[153:154], v[204:205]
	v_add_f64 v[6:7], v[6:7], v[137:138]
	s_clause 0x4
	buffer_load_dword v138, off, s[0:3], 0 offset:892
	buffer_load_dword v153, off, s[0:3], 0 offset:904
	;; [unrolled: 1-line block ×5, first 2 shown]
	ds_read_b128 v[125:128], v1 offset:1552
	s_waitcnt vmcnt(57) lgkmcnt(1)
	v_mul_f64 v[199:200], v[121:122], v[155:156]
	v_mul_f64 v[155:156], v[123:124], v[155:156]
	s_waitcnt vmcnt(56)
	v_fma_f64 v[149:150], v[2:3], v[151:152], -v[149:150]
	v_fma_f64 v[145:146], v[4:5], v[151:152], v[145:146]
	v_add_f64 v[133:134], v[133:134], v[147:148]
	v_add_f64 v[6:7], v[6:7], v[139:140]
	s_clause 0x2
	buffer_load_dword v154, off, s[0:3], 0 offset:908
	buffer_load_dword v140, off, s[0:3], 0 offset:884
	;; [unrolled: 1-line block ×3, first 2 shown]
	s_waitcnt vmcnt(58) lgkmcnt(0)
	v_mul_f64 v[151:152], v[127:128], v[157:158]
	ds_read_b128 v[2:5], v1 offset:1568
	s_waitcnt vmcnt(56)
	v_fma_f64 v[155:156], v[121:122], v[161:162], -v[155:156]
	v_mul_f64 v[147:148], v[125:126], v[157:158]
	v_add_f64 v[133:134], v[133:134], v[149:150]
	v_fma_f64 v[149:150], v[123:124], v[161:162], v[199:200]
	v_add_f64 v[6:7], v[6:7], v[145:146]
	buffer_load_dword v199, off, s[0:3], 0 offset:900
	ds_read_b128 v[121:124], v1 offset:1584
	s_waitcnt vmcnt(53) lgkmcnt(1)
	v_mul_f64 v[157:158], v[4:5], v[163:164]
	s_waitcnt vmcnt(52)
	v_fma_f64 v[151:152], v[125:126], v[159:160], -v[151:152]
	v_mul_f64 v[145:146], v[2:3], v[163:164]
	v_fma_f64 v[147:148], v[127:128], v[159:160], v[147:148]
	ds_read_b128 v[125:128], v1 offset:1600
	v_add_f64 v[133:134], v[133:134], v[155:156]
	v_add_f64 v[6:7], v[6:7], v[149:150]
	s_waitcnt vmcnt(51) lgkmcnt(1)
	v_mul_f64 v[155:156], v[123:124], v[165:166]
	v_mul_f64 v[149:150], v[121:122], v[165:166]
	s_waitcnt vmcnt(49)
	v_fma_f64 v[157:158], v[2:3], v[169:170], -v[157:158]
	v_fma_f64 v[145:146], v[4:5], v[169:170], v[145:146]
	s_waitcnt vmcnt(45) lgkmcnt(0)
	v_mul_f64 v[161:162], v[127:128], v[171:172]
	v_mul_f64 v[159:160], v[125:126], v[171:172]
	v_add_f64 v[133:134], v[133:134], v[151:152]
	v_add_f64 v[6:7], v[6:7], v[147:148]
	s_clause 0x3
	buffer_load_dword v147, off, s[0:3], 0 offset:528
	buffer_load_dword v148, off, s[0:3], 0 offset:532
	;; [unrolled: 1-line block ×4, first 2 shown]
	s_waitcnt vmcnt(48)
	v_fma_f64 v[155:156], v[121:122], v[167:168], -v[155:156]
	ds_read_b128 v[2:5], v1 offset:1616
	v_fma_f64 v[149:150], v[123:124], v[167:168], v[149:150]
	ds_read_b128 v[121:124], v1 offset:1632
	s_waitcnt vmcnt(45)
	v_fma_f64 v[161:162], v[125:126], v[177:178], -v[161:162]
	v_add_f64 v[133:134], v[133:134], v[157:158]
	v_add_f64 v[6:7], v[6:7], v[145:146]
	s_waitcnt lgkmcnt(1)
	v_mul_f64 v[157:158], v[4:5], v[173:174]
	v_mul_f64 v[145:146], v[2:3], v[173:174]
	v_add_f64 v[133:134], v[133:134], v[155:156]
	v_fma_f64 v[155:156], v[127:128], v[177:178], v[159:160]
	v_add_f64 v[6:7], v[6:7], v[149:150]
	s_waitcnt vmcnt(41) lgkmcnt(0)
	v_mul_f64 v[159:160], v[123:124], v[179:180]
	s_waitcnt vmcnt(40)
	v_fma_f64 v[157:158], v[2:3], v[175:176], -v[157:158]
	ds_read_b128 v[125:128], v1 offset:1648
	v_mul_f64 v[149:150], v[121:122], v[179:180]
	v_fma_f64 v[145:146], v[4:5], v[175:176], v[145:146]
	ds_read_b128 v[2:5], v1 offset:1664
	v_add_f64 v[133:134], v[133:134], v[161:162]
	v_add_f64 v[6:7], v[6:7], v[155:156]
	s_waitcnt vmcnt(39) lgkmcnt(1)
	v_mul_f64 v[161:162], v[127:128], v[182:183]
	s_waitcnt vmcnt(37)
	v_fma_f64 v[159:160], v[121:122], v[186:187], -v[159:160]
	v_mul_f64 v[155:156], v[125:126], v[182:183]
	v_fma_f64 v[149:150], v[123:124], v[186:187], v[149:150]
	ds_read_b128 v[121:124], v1 offset:1680
	v_add_f64 v[133:134], v[133:134], v[157:158]
	s_waitcnt vmcnt(33) lgkmcnt(1)
	v_mul_f64 v[157:158], v[4:5], v[190:191]
	v_add_f64 v[6:7], v[6:7], v[145:146]
	s_waitcnt vmcnt(32)
	v_fma_f64 v[161:162], v[125:126], v[184:185], -v[161:162]
	v_mul_f64 v[145:146], v[2:3], v[190:191]
	v_fma_f64 v[155:156], v[127:128], v[184:185], v[155:156]
	ds_read_b128 v[125:128], v1 offset:1696
	v_add_f64 v[133:134], v[133:134], v[159:160]
	v_add_f64 v[6:7], v[6:7], v[149:150]
	s_waitcnt vmcnt(31) lgkmcnt(1)
	v_mul_f64 v[159:160], v[123:124], v[192:193]
	v_mul_f64 v[149:150], v[121:122], v[192:193]
	s_waitcnt vmcnt(29)
	v_fma_f64 v[157:158], v[2:3], v[131:132], -v[157:158]
	v_fma_f64 v[131:132], v[4:5], v[131:132], v[145:146]
	ds_read_b128 v[2:5], v1 offset:1712
	s_waitcnt vmcnt(25) lgkmcnt(1)
	v_mul_f64 v[145:146], v[125:126], v[135:136]
	v_mul_f64 v[135:136], v[127:128], v[135:136]
	v_add_f64 v[133:134], v[133:134], v[161:162]
	v_add_f64 v[6:7], v[6:7], v[155:156]
	s_waitcnt vmcnt(24)
	v_fma_f64 v[155:156], v[121:122], v[194:195], -v[159:160]
	v_fma_f64 v[149:150], v[123:124], v[194:195], v[149:150]
	ds_read_b128 v[121:124], v1 offset:1728
	v_add_f64 v[133:134], v[133:134], v[157:158]
	v_add_f64 v[6:7], v[6:7], v[131:132]
	s_waitcnt vmcnt(23) lgkmcnt(1)
	v_mul_f64 v[157:158], v[4:5], v[196:197]
	v_mul_f64 v[131:132], v[2:3], v[196:197]
	s_waitcnt vmcnt(21)
	v_fma_f64 v[135:136], v[125:126], v[129:130], -v[135:136]
	v_fma_f64 v[129:130], v[127:128], v[129:130], v[145:146]
	ds_read_b128 v[125:128], v1 offset:1744
	v_add_f64 v[133:134], v[133:134], v[155:156]
	v_add_f64 v[6:7], v[6:7], v[149:150]
	s_waitcnt vmcnt(17) lgkmcnt(1)
	v_mul_f64 v[145:146], v[121:122], v[143:144]
	v_mul_f64 v[143:144], v[123:124], v[143:144]
	;; [unrolled: 9-line block ×4, first 2 shown]
	s_waitcnt vmcnt(8)
	v_fma_f64 v[125:126], v[125:126], v[203:204], -v[135:136]
	v_fma_f64 v[127:128], v[127:128], v[203:204], v[129:130]
	v_add_f64 v[133:134], v[133:134], v[143:144]
	v_add_f64 v[6:7], v[6:7], v[141:142]
	s_waitcnt vmcnt(7) lgkmcnt(0)
	v_mul_f64 v[135:136], v[123:124], v[153:154]
	v_mul_f64 v[129:130], v[121:122], v[153:154]
	s_waitcnt vmcnt(5)
	v_fma_f64 v[2:3], v[2:3], v[139:140], -v[137:138]
	v_fma_f64 v[4:5], v[4:5], v[139:140], v[131:132]
	v_add_f64 v[125:126], v[133:134], v[125:126]
	v_add_f64 v[6:7], v[6:7], v[127:128]
	s_waitcnt vmcnt(4)
	v_fma_f64 v[121:122], v[121:122], v[198:199], -v[135:136]
	v_fma_f64 v[123:124], v[123:124], v[198:199], v[129:130]
	v_add_f64 v[2:3], v[125:126], v[2:3]
	v_add_f64 v[4:5], v[6:7], v[4:5]
	;; [unrolled: 1-line block ×4, first 2 shown]
	s_waitcnt vmcnt(2)
	v_add_f64 v[2:3], v[147:148], -v[2:3]
	s_waitcnt vmcnt(0)
	v_add_f64 v[4:5], v[151:152], -v[4:5]
	buffer_store_dword v3, off, s[0:3], 0 offset:532
	buffer_store_dword v2, off, s[0:3], 0 offset:528
	;; [unrolled: 1-line block ×4, first 2 shown]
	v_cmpx_lt_u32_e32 31, v0
	s_cbranch_execz .LBB119_287
; %bb.286:
	v_mov_b32_e32 v5, s37
	s_clause 0x3
	buffer_load_dword v2, v5, s[0:3], 0 offen
	buffer_load_dword v3, v5, s[0:3], 0 offen offset:4
	buffer_load_dword v4, v5, s[0:3], 0 offen offset:8
	buffer_load_dword v5, v5, s[0:3], 0 offen offset:12
	buffer_store_dword v1, off, s[0:3], 0 offset:512
	buffer_store_dword v1, off, s[0:3], 0 offset:516
	buffer_store_dword v1, off, s[0:3], 0 offset:520
	buffer_store_dword v1, off, s[0:3], 0 offset:524
	s_waitcnt vmcnt(0)
	ds_write_b128 v181, v[2:5]
.LBB119_287:
	s_or_b32 exec_lo, exec_lo, s4
	s_waitcnt lgkmcnt(0)
	s_waitcnt_vscnt null, 0x0
	s_barrier
	buffer_gl0_inv
	s_clause 0x37
	buffer_load_dword v6, off, s[0:3], 0 offset:536
	buffer_load_dword v7, off, s[0:3], 0 offset:540
	;; [unrolled: 1-line block ×56, first 2 shown]
	ds_read_b128 v[2:5], v1 offset:1408
	s_clause 0x2
	buffer_load_dword v183, off, s[0:3], 0 offset:764
	buffer_load_dword v187, off, s[0:3], 0 offset:740
	;; [unrolled: 1-line block ×3, first 2 shown]
	ds_read_b128 v[121:124], v1 offset:1424
	s_clause 0x4
	buffer_load_dword v191, off, s[0:3], 0 offset:780
	buffer_load_dword v192, off, s[0:3], 0 offset:792
	;; [unrolled: 1-line block ×5, first 2 shown]
	ds_read_b128 v[125:128], v1 offset:1440
	s_mov_b32 s4, exec_lo
	s_waitcnt vmcnt(62) lgkmcnt(2)
	v_mul_f64 v[188:189], v[4:5], v[6:7]
	v_mul_f64 v[6:7], v[2:3], v[6:7]
	s_waitcnt vmcnt(60) lgkmcnt(1)
	v_mul_f64 v[195:196], v[123:124], v[129:130]
	v_mul_f64 v[129:130], v[121:122], v[129:130]
	s_waitcnt vmcnt(56) lgkmcnt(0)
	v_mul_f64 v[197:198], v[125:126], v[133:134]
	v_mul_f64 v[133:134], v[127:128], v[133:134]
	v_fma_f64 v[188:189], v[2:3], v[131:132], -v[188:189]
	v_fma_f64 v[6:7], v[4:5], v[131:132], v[6:7]
	s_clause 0x2
	buffer_load_dword v193, off, s[0:3], 0 offset:796
	buffer_load_dword v132, off, s[0:3], 0 offset:772
	;; [unrolled: 1-line block ×3, first 2 shown]
	s_waitcnt vmcnt(57)
	v_fma_f64 v[199:200], v[121:122], v[135:136], -v[195:196]
	ds_read_b128 v[2:5], v1 offset:1456
	v_fma_f64 v[129:130], v[123:124], v[135:136], v[129:130]
	s_clause 0x4
	buffer_load_dword v136, off, s[0:3], 0 offset:812
	buffer_load_dword v196, off, s[0:3], 0 offset:824
	;; [unrolled: 1-line block ×5, first 2 shown]
	s_waitcnt vmcnt(56)
	v_fma_f64 v[133:134], v[125:126], v[143:144], -v[133:134]
	ds_read_b128 v[121:124], v1 offset:1472
	v_fma_f64 v[143:144], v[127:128], v[143:144], v[197:198]
	v_add_f64 v[188:189], v[188:189], 0
	v_add_f64 v[6:7], v[6:7], 0
	s_waitcnt lgkmcnt(1)
	v_mul_f64 v[202:203], v[2:3], v[137:138]
	v_mul_f64 v[137:138], v[4:5], v[137:138]
	v_add_f64 v[188:189], v[188:189], v[199:200]
	v_add_f64 v[6:7], v[6:7], v[129:130]
	s_clause 0x2
	buffer_load_dword v197, off, s[0:3], 0 offset:828
	buffer_load_dword v130, off, s[0:3], 0 offset:804
	;; [unrolled: 1-line block ×3, first 2 shown]
	s_waitcnt vmcnt(58) lgkmcnt(0)
	v_mul_f64 v[198:199], v[121:122], v[139:140]
	v_mul_f64 v[139:140], v[123:124], v[139:140]
	s_waitcnt vmcnt(56)
	v_fma_f64 v[137:138], v[2:3], v[145:146], -v[137:138]
	ds_read_b128 v[125:128], v1 offset:1488
	v_fma_f64 v[145:146], v[4:5], v[145:146], v[202:203]
	v_add_f64 v[133:134], v[188:189], v[133:134]
	v_add_f64 v[6:7], v[6:7], v[143:144]
	s_clause 0x4
	buffer_load_dword v144, off, s[0:3], 0 offset:844
	buffer_load_dword v188, off, s[0:3], 0 offset:856
	;; [unrolled: 1-line block ×5, first 2 shown]
	ds_read_b128 v[2:5], v1 offset:1504
	s_waitcnt vmcnt(57) lgkmcnt(1)
	v_mul_f64 v[204:205], v[125:126], v[147:148]
	v_mul_f64 v[147:148], v[127:128], v[147:148]
	s_waitcnt vmcnt(56)
	v_fma_f64 v[139:140], v[121:122], v[141:142], -v[139:140]
	v_add_f64 v[133:134], v[133:134], v[137:138]
	v_fma_f64 v[137:138], v[123:124], v[141:142], v[198:199]
	v_add_f64 v[6:7], v[6:7], v[145:146]
	s_clause 0x2
	buffer_load_dword v189, off, s[0:3], 0 offset:860
	buffer_load_dword v142, off, s[0:3], 0 offset:836
	;; [unrolled: 1-line block ×3, first 2 shown]
	s_waitcnt vmcnt(58) lgkmcnt(0)
	v_mul_f64 v[145:146], v[2:3], v[149:150]
	v_mul_f64 v[149:150], v[4:5], v[149:150]
	s_waitcnt vmcnt(56)
	v_fma_f64 v[147:148], v[125:126], v[153:154], -v[147:148]
	ds_read_b128 v[121:124], v1 offset:1520
	v_add_f64 v[133:134], v[133:134], v[139:140]
	v_fma_f64 v[139:140], v[127:128], v[153:154], v[204:205]
	v_add_f64 v[6:7], v[6:7], v[137:138]
	s_clause 0x4
	buffer_load_dword v138, off, s[0:3], 0 offset:876
	buffer_load_dword v153, off, s[0:3], 0 offset:888
	buffer_load_dword v198, off, s[0:3], 0 offset:880
	buffer_load_dword v137, off, s[0:3], 0 offset:872
	buffer_load_dword v204, off, s[0:3], 0 offset:852
	ds_read_b128 v[125:128], v1 offset:1536
	s_waitcnt vmcnt(57) lgkmcnt(1)
	v_mul_f64 v[199:200], v[121:122], v[155:156]
	v_mul_f64 v[155:156], v[123:124], v[155:156]
	s_waitcnt vmcnt(56)
	v_fma_f64 v[149:150], v[2:3], v[151:152], -v[149:150]
	v_fma_f64 v[145:146], v[4:5], v[151:152], v[145:146]
	v_add_f64 v[133:134], v[133:134], v[147:148]
	v_add_f64 v[6:7], v[6:7], v[139:140]
	s_clause 0x2
	buffer_load_dword v154, off, s[0:3], 0 offset:892
	buffer_load_dword v140, off, s[0:3], 0 offset:868
	buffer_load_dword v139, off, s[0:3], 0 offset:864
	s_waitcnt vmcnt(58) lgkmcnt(0)
	v_mul_f64 v[151:152], v[127:128], v[157:158]
	ds_read_b128 v[2:5], v1 offset:1552
	s_waitcnt vmcnt(56)
	v_fma_f64 v[155:156], v[121:122], v[161:162], -v[155:156]
	v_mul_f64 v[147:148], v[125:126], v[157:158]
	v_add_f64 v[133:134], v[133:134], v[149:150]
	v_fma_f64 v[149:150], v[123:124], v[161:162], v[199:200]
	v_add_f64 v[6:7], v[6:7], v[145:146]
	s_clause 0x2
	buffer_load_dword v146, off, s[0:3], 0 offset:908
	buffer_load_dword v145, off, s[0:3], 0 offset:904
	;; [unrolled: 1-line block ×3, first 2 shown]
	s_waitcnt vmcnt(55) lgkmcnt(0)
	v_mul_f64 v[161:162], v[4:5], v[163:164]
	s_waitcnt vmcnt(54)
	v_fma_f64 v[151:152], v[125:126], v[159:160], -v[151:152]
	ds_read_b128 v[121:124], v1 offset:1568
	v_mul_f64 v[157:158], v[2:3], v[163:164]
	v_fma_f64 v[147:148], v[127:128], v[159:160], v[147:148]
	v_add_f64 v[133:134], v[133:134], v[155:156]
	v_add_f64 v[6:7], v[6:7], v[149:150]
	s_clause 0x1
	buffer_load_dword v150, off, s[0:3], 0 offset:900
	buffer_load_dword v149, off, s[0:3], 0 offset:896
	s_waitcnt vmcnt(55) lgkmcnt(0)
	v_mul_f64 v[159:160], v[123:124], v[165:166]
	s_waitcnt vmcnt(53)
	v_fma_f64 v[161:162], v[2:3], v[169:170], -v[161:162]
	ds_read_b128 v[125:128], v1 offset:1584
	v_mul_f64 v[155:156], v[121:122], v[165:166]
	v_add_f64 v[133:134], v[133:134], v[151:152]
	v_fma_f64 v[151:152], v[4:5], v[169:170], v[157:158]
	v_add_f64 v[6:7], v[6:7], v[147:148]
	ds_read_b128 v[2:5], v1 offset:1600
	s_waitcnt vmcnt(49) lgkmcnt(1)
	v_mul_f64 v[157:158], v[127:128], v[171:172]
	s_waitcnt vmcnt(48)
	v_fma_f64 v[159:160], v[121:122], v[167:168], -v[159:160]
	v_mul_f64 v[147:148], v[125:126], v[171:172]
	v_fma_f64 v[155:156], v[123:124], v[167:168], v[155:156]
	v_add_f64 v[133:134], v[133:134], v[161:162]
	s_waitcnt vmcnt(47) lgkmcnt(0)
	v_mul_f64 v[165:166], v[4:5], v[173:174]
	v_add_f64 v[6:7], v[6:7], v[151:152]
	s_clause 0x3
	buffer_load_dword v151, off, s[0:3], 0 offset:512
	buffer_load_dword v152, off, s[0:3], 0 offset:516
	;; [unrolled: 1-line block ×4, first 2 shown]
	s_waitcnt vmcnt(49)
	v_fma_f64 v[157:158], v[125:126], v[177:178], -v[157:158]
	ds_read_b128 v[121:124], v1 offset:1616
	v_mul_f64 v[163:164], v[2:3], v[173:174]
	v_fma_f64 v[147:148], v[127:128], v[177:178], v[147:148]
	ds_read_b128 v[125:128], v1 offset:1632
	v_add_f64 v[133:134], v[133:134], v[159:160]
	s_waitcnt vmcnt(44)
	v_fma_f64 v[165:166], v[2:3], v[175:176], -v[165:166]
	v_add_f64 v[6:7], v[6:7], v[155:156]
	s_waitcnt lgkmcnt(1)
	v_mul_f64 v[159:160], v[123:124], v[179:180]
	v_mul_f64 v[155:156], v[121:122], v[179:180]
	v_add_f64 v[133:134], v[133:134], v[157:158]
	v_fma_f64 v[157:158], v[4:5], v[175:176], v[163:164]
	v_add_f64 v[6:7], v[6:7], v[147:148]
	s_waitcnt vmcnt(43) lgkmcnt(0)
	v_mul_f64 v[163:164], v[127:128], v[182:183]
	s_waitcnt vmcnt(41)
	v_fma_f64 v[159:160], v[121:122], v[186:187], -v[159:160]
	ds_read_b128 v[2:5], v1 offset:1648
	v_mul_f64 v[147:148], v[125:126], v[182:183]
	v_fma_f64 v[155:156], v[123:124], v[186:187], v[155:156]
	ds_read_b128 v[121:124], v1 offset:1664
	v_add_f64 v[133:134], v[133:134], v[165:166]
	v_add_f64 v[6:7], v[6:7], v[157:158]
	s_waitcnt vmcnt(37) lgkmcnt(1)
	v_mul_f64 v[165:166], v[4:5], v[190:191]
	s_waitcnt vmcnt(36)
	v_fma_f64 v[163:164], v[125:126], v[184:185], -v[163:164]
	v_mul_f64 v[157:158], v[2:3], v[190:191]
	v_fma_f64 v[147:148], v[127:128], v[184:185], v[147:148]
	ds_read_b128 v[125:128], v1 offset:1680
	v_add_f64 v[133:134], v[133:134], v[159:160]
	v_add_f64 v[6:7], v[6:7], v[155:156]
	s_waitcnt vmcnt(35) lgkmcnt(1)
	v_mul_f64 v[159:160], v[123:124], v[192:193]
	v_mul_f64 v[155:156], v[121:122], v[192:193]
	s_waitcnt vmcnt(33)
	v_fma_f64 v[165:166], v[2:3], v[131:132], -v[165:166]
	v_fma_f64 v[131:132], v[4:5], v[131:132], v[157:158]
	ds_read_b128 v[2:5], v1 offset:1696
	v_add_f64 v[133:134], v[133:134], v[163:164]
	v_add_f64 v[6:7], v[6:7], v[147:148]
	s_waitcnt vmcnt(29) lgkmcnt(1)
	v_mul_f64 v[147:148], v[125:126], v[135:136]
	v_mul_f64 v[135:136], v[127:128], v[135:136]
	s_waitcnt vmcnt(28)
	v_fma_f64 v[157:158], v[121:122], v[194:195], -v[159:160]
	;; [unrolled: 9-line block ×7, first 2 shown]
	v_fma_f64 v[3:4], v[4:5], v[139:140], v[131:132]
	v_add_f64 v[133:134], v[133:134], v[135:136]
	v_add_f64 v[5:6], v[6:7], v[129:130]
	s_waitcnt vmcnt(7) lgkmcnt(0)
	v_mul_f64 v[129:130], v[127:128], v[145:146]
	s_waitcnt vmcnt(6)
	v_fma_f64 v[121:122], v[121:122], v[198:199], -v[143:144]
	v_mul_f64 v[7:8], v[125:126], v[145:146]
	v_fma_f64 v[123:124], v[123:124], v[198:199], v[141:142]
	v_add_f64 v[1:2], v[133:134], v[1:2]
	v_add_f64 v[3:4], v[5:6], v[3:4]
	s_waitcnt vmcnt(4)
	v_fma_f64 v[5:6], v[125:126], v[149:150], -v[129:130]
	v_fma_f64 v[7:8], v[127:128], v[149:150], v[7:8]
	v_add_f64 v[1:2], v[1:2], v[121:122]
	v_add_f64 v[3:4], v[3:4], v[123:124]
	;; [unrolled: 1-line block ×4, first 2 shown]
	s_waitcnt vmcnt(2)
	v_add_f64 v[1:2], v[151:152], -v[1:2]
	s_waitcnt vmcnt(0)
	v_add_f64 v[3:4], v[161:162], -v[3:4]
	buffer_store_dword v2, off, s[0:3], 0 offset:516
	buffer_store_dword v1, off, s[0:3], 0 offset:512
	;; [unrolled: 1-line block ×4, first 2 shown]
	v_cmpx_lt_u32_e32 30, v0
	s_cbranch_execz .LBB119_289
; %bb.288:
	v_mov_b32_e32 v4, s38
	v_mov_b32_e32 v5, 0
	s_clause 0x3
	buffer_load_dword v1, v4, s[0:3], 0 offen
	buffer_load_dword v2, v4, s[0:3], 0 offen offset:4
	buffer_load_dword v3, v4, s[0:3], 0 offen offset:8
	;; [unrolled: 1-line block ×3, first 2 shown]
	buffer_store_dword v5, off, s[0:3], 0 offset:496
	buffer_store_dword v5, off, s[0:3], 0 offset:500
	;; [unrolled: 1-line block ×4, first 2 shown]
	s_waitcnt vmcnt(0)
	ds_write_b128 v181, v[1:4]
.LBB119_289:
	s_or_b32 exec_lo, exec_lo, s4
	s_waitcnt lgkmcnt(0)
	s_waitcnt_vscnt null, 0x0
	s_barrier
	buffer_gl0_inv
	s_clause 0x37
	buffer_load_dword v6, off, s[0:3], 0 offset:520
	buffer_load_dword v7, off, s[0:3], 0 offset:524
	;; [unrolled: 1-line block ×56, first 2 shown]
	v_mov_b32_e32 v1, 0
	s_mov_b32 s4, exec_lo
	ds_read_b128 v[2:5], v1 offset:1392
	s_clause 0x2
	buffer_load_dword v183, off, s[0:3], 0 offset:748
	buffer_load_dword v187, off, s[0:3], 0 offset:724
	;; [unrolled: 1-line block ×3, first 2 shown]
	ds_read_b128 v[121:124], v1 offset:1408
	s_clause 0x4
	buffer_load_dword v191, off, s[0:3], 0 offset:764
	buffer_load_dword v192, off, s[0:3], 0 offset:776
	;; [unrolled: 1-line block ×5, first 2 shown]
	ds_read_b128 v[125:128], v1 offset:1424
	s_waitcnt vmcnt(62) lgkmcnt(2)
	v_mul_f64 v[188:189], v[4:5], v[6:7]
	v_mul_f64 v[6:7], v[2:3], v[6:7]
	s_waitcnt vmcnt(60) lgkmcnt(1)
	v_mul_f64 v[195:196], v[123:124], v[129:130]
	v_mul_f64 v[129:130], v[121:122], v[129:130]
	;; [unrolled: 3-line block ×3, first 2 shown]
	v_fma_f64 v[188:189], v[2:3], v[131:132], -v[188:189]
	v_fma_f64 v[6:7], v[4:5], v[131:132], v[6:7]
	s_clause 0x2
	buffer_load_dword v193, off, s[0:3], 0 offset:780
	buffer_load_dword v132, off, s[0:3], 0 offset:756
	;; [unrolled: 1-line block ×3, first 2 shown]
	s_waitcnt vmcnt(57)
	v_fma_f64 v[199:200], v[121:122], v[135:136], -v[195:196]
	ds_read_b128 v[2:5], v1 offset:1440
	v_fma_f64 v[129:130], v[123:124], v[135:136], v[129:130]
	s_clause 0x4
	buffer_load_dword v136, off, s[0:3], 0 offset:796
	buffer_load_dword v196, off, s[0:3], 0 offset:808
	;; [unrolled: 1-line block ×5, first 2 shown]
	s_waitcnt vmcnt(56)
	v_fma_f64 v[133:134], v[125:126], v[143:144], -v[133:134]
	ds_read_b128 v[121:124], v1 offset:1456
	v_fma_f64 v[143:144], v[127:128], v[143:144], v[197:198]
	v_add_f64 v[188:189], v[188:189], 0
	v_add_f64 v[6:7], v[6:7], 0
	s_waitcnt lgkmcnt(1)
	v_mul_f64 v[202:203], v[2:3], v[137:138]
	v_mul_f64 v[137:138], v[4:5], v[137:138]
	v_add_f64 v[188:189], v[188:189], v[199:200]
	v_add_f64 v[6:7], v[6:7], v[129:130]
	s_clause 0x2
	buffer_load_dword v197, off, s[0:3], 0 offset:812
	buffer_load_dword v130, off, s[0:3], 0 offset:788
	;; [unrolled: 1-line block ×3, first 2 shown]
	s_waitcnt vmcnt(58) lgkmcnt(0)
	v_mul_f64 v[198:199], v[121:122], v[139:140]
	v_mul_f64 v[139:140], v[123:124], v[139:140]
	s_waitcnt vmcnt(56)
	v_fma_f64 v[137:138], v[2:3], v[145:146], -v[137:138]
	ds_read_b128 v[125:128], v1 offset:1472
	v_fma_f64 v[145:146], v[4:5], v[145:146], v[202:203]
	v_add_f64 v[133:134], v[188:189], v[133:134]
	v_add_f64 v[6:7], v[6:7], v[143:144]
	s_clause 0x4
	buffer_load_dword v144, off, s[0:3], 0 offset:828
	buffer_load_dword v188, off, s[0:3], 0 offset:840
	;; [unrolled: 1-line block ×5, first 2 shown]
	ds_read_b128 v[2:5], v1 offset:1488
	s_waitcnt vmcnt(57) lgkmcnt(1)
	v_mul_f64 v[204:205], v[125:126], v[147:148]
	v_mul_f64 v[147:148], v[127:128], v[147:148]
	s_waitcnt vmcnt(56)
	v_fma_f64 v[139:140], v[121:122], v[141:142], -v[139:140]
	v_add_f64 v[133:134], v[133:134], v[137:138]
	v_fma_f64 v[137:138], v[123:124], v[141:142], v[198:199]
	v_add_f64 v[6:7], v[6:7], v[145:146]
	s_clause 0x2
	buffer_load_dword v189, off, s[0:3], 0 offset:844
	buffer_load_dword v142, off, s[0:3], 0 offset:820
	;; [unrolled: 1-line block ×3, first 2 shown]
	s_waitcnt vmcnt(58) lgkmcnt(0)
	v_mul_f64 v[145:146], v[2:3], v[149:150]
	v_mul_f64 v[149:150], v[4:5], v[149:150]
	s_waitcnt vmcnt(56)
	v_fma_f64 v[147:148], v[125:126], v[153:154], -v[147:148]
	ds_read_b128 v[121:124], v1 offset:1504
	v_add_f64 v[133:134], v[133:134], v[139:140]
	v_fma_f64 v[139:140], v[127:128], v[153:154], v[204:205]
	v_add_f64 v[6:7], v[6:7], v[137:138]
	s_clause 0x4
	buffer_load_dword v138, off, s[0:3], 0 offset:860
	buffer_load_dword v153, off, s[0:3], 0 offset:872
	;; [unrolled: 1-line block ×5, first 2 shown]
	ds_read_b128 v[125:128], v1 offset:1520
	s_waitcnt vmcnt(57) lgkmcnt(1)
	v_mul_f64 v[199:200], v[121:122], v[155:156]
	v_mul_f64 v[155:156], v[123:124], v[155:156]
	s_waitcnt vmcnt(56)
	v_fma_f64 v[149:150], v[2:3], v[151:152], -v[149:150]
	v_fma_f64 v[145:146], v[4:5], v[151:152], v[145:146]
	v_add_f64 v[133:134], v[133:134], v[147:148]
	v_add_f64 v[6:7], v[6:7], v[139:140]
	s_clause 0x2
	buffer_load_dword v154, off, s[0:3], 0 offset:876
	buffer_load_dword v140, off, s[0:3], 0 offset:852
	;; [unrolled: 1-line block ×3, first 2 shown]
	s_waitcnt vmcnt(58) lgkmcnt(0)
	v_mul_f64 v[151:152], v[127:128], v[157:158]
	ds_read_b128 v[2:5], v1 offset:1536
	s_waitcnt vmcnt(56)
	v_fma_f64 v[155:156], v[121:122], v[161:162], -v[155:156]
	v_mul_f64 v[147:148], v[125:126], v[157:158]
	v_add_f64 v[133:134], v[133:134], v[149:150]
	v_fma_f64 v[149:150], v[123:124], v[161:162], v[199:200]
	v_add_f64 v[6:7], v[6:7], v[145:146]
	s_clause 0x4
	buffer_load_dword v146, off, s[0:3], 0 offset:892
	buffer_load_dword v157, off, s[0:3], 0 offset:904
	;; [unrolled: 1-line block ×5, first 2 shown]
	s_waitcnt vmcnt(57) lgkmcnt(0)
	v_mul_f64 v[205:206], v[2:3], v[163:164]
	v_mul_f64 v[162:163], v[4:5], v[163:164]
	s_waitcnt vmcnt(56)
	v_fma_f64 v[151:152], v[125:126], v[159:160], -v[151:152]
	ds_read_b128 v[121:124], v1 offset:1552
	v_fma_f64 v[147:148], v[127:128], v[159:160], v[147:148]
	v_add_f64 v[133:134], v[133:134], v[155:156]
	v_add_f64 v[6:7], v[6:7], v[149:150]
	s_clause 0x2
	buffer_load_dword v158, off, s[0:3], 0 offset:908
	buffer_load_dword v150, off, s[0:3], 0 offset:884
	;; [unrolled: 1-line block ×3, first 2 shown]
	ds_read_b128 v[125:128], v1 offset:1568
	s_waitcnt vmcnt(58) lgkmcnt(1)
	v_mul_f64 v[159:160], v[123:124], v[165:166]
	s_waitcnt vmcnt(56)
	v_fma_f64 v[163:164], v[2:3], v[169:170], -v[162:163]
	v_mul_f64 v[155:156], v[121:122], v[165:166]
	buffer_load_dword v162, off, s[0:3], 0 offset:900
	v_add_f64 v[133:134], v[133:134], v[151:152]
	v_fma_f64 v[151:152], v[4:5], v[169:170], v[205:206]
	v_add_f64 v[6:7], v[6:7], v[147:148]
	ds_read_b128 v[2:5], v1 offset:1584
	s_waitcnt vmcnt(53) lgkmcnt(1)
	v_mul_f64 v[165:166], v[127:128], v[171:172]
	s_waitcnt vmcnt(52)
	v_fma_f64 v[159:160], v[121:122], v[167:168], -v[159:160]
	v_mul_f64 v[147:148], v[125:126], v[171:172]
	v_fma_f64 v[155:156], v[123:124], v[167:168], v[155:156]
	ds_read_b128 v[121:124], v1 offset:1600
	v_add_f64 v[133:134], v[133:134], v[163:164]
	s_waitcnt vmcnt(51) lgkmcnt(1)
	v_mul_f64 v[163:164], v[4:5], v[173:174]
	v_add_f64 v[6:7], v[6:7], v[151:152]
	v_mul_f64 v[151:152], v[2:3], v[173:174]
	s_waitcnt vmcnt(49)
	v_fma_f64 v[165:166], v[125:126], v[177:178], -v[165:166]
	v_fma_f64 v[147:148], v[127:128], v[177:178], v[147:148]
	s_waitcnt vmcnt(45) lgkmcnt(0)
	v_mul_f64 v[169:170], v[123:124], v[179:180]
	v_mul_f64 v[167:168], v[121:122], v[179:180]
	v_add_f64 v[133:134], v[133:134], v[159:160]
	s_waitcnt vmcnt(44)
	v_fma_f64 v[163:164], v[2:3], v[175:176], -v[163:164]
	v_add_f64 v[6:7], v[6:7], v[155:156]
	s_clause 0x3
	buffer_load_dword v155, off, s[0:3], 0 offset:496
	buffer_load_dword v156, off, s[0:3], 0 offset:500
	buffer_load_dword v159, off, s[0:3], 0 offset:504
	buffer_load_dword v160, off, s[0:3], 0 offset:508
	ds_read_b128 v[125:128], v1 offset:1616
	v_fma_f64 v[151:152], v[4:5], v[175:176], v[151:152]
	ds_read_b128 v[2:5], v1 offset:1632
	s_waitcnt vmcnt(45)
	v_fma_f64 v[169:170], v[121:122], v[186:187], -v[169:170]
	v_add_f64 v[133:134], v[133:134], v[165:166]
	v_add_f64 v[6:7], v[6:7], v[147:148]
	s_waitcnt lgkmcnt(1)
	v_mul_f64 v[165:166], v[127:128], v[182:183]
	v_mul_f64 v[147:148], v[125:126], v[182:183]
	v_add_f64 v[133:134], v[133:134], v[163:164]
	v_fma_f64 v[163:164], v[123:124], v[186:187], v[167:168]
	v_add_f64 v[6:7], v[6:7], v[151:152]
	s_waitcnt vmcnt(41) lgkmcnt(0)
	v_mul_f64 v[167:168], v[4:5], v[190:191]
	s_waitcnt vmcnt(40)
	v_fma_f64 v[165:166], v[125:126], v[184:185], -v[165:166]
	ds_read_b128 v[121:124], v1 offset:1648
	v_mul_f64 v[151:152], v[2:3], v[190:191]
	v_fma_f64 v[147:148], v[127:128], v[184:185], v[147:148]
	ds_read_b128 v[125:128], v1 offset:1664
	v_add_f64 v[133:134], v[133:134], v[169:170]
	v_add_f64 v[6:7], v[6:7], v[163:164]
	s_waitcnt vmcnt(39) lgkmcnt(1)
	v_mul_f64 v[169:170], v[123:124], v[192:193]
	v_mul_f64 v[163:164], v[121:122], v[192:193]
	s_waitcnt vmcnt(37)
	v_fma_f64 v[167:168], v[2:3], v[131:132], -v[167:168]
	v_fma_f64 v[131:132], v[4:5], v[131:132], v[151:152]
	ds_read_b128 v[2:5], v1 offset:1680
	v_add_f64 v[133:134], v[133:134], v[165:166]
	v_add_f64 v[6:7], v[6:7], v[147:148]
	s_waitcnt vmcnt(33) lgkmcnt(1)
	v_mul_f64 v[147:148], v[125:126], v[135:136]
	v_mul_f64 v[135:136], v[127:128], v[135:136]
	s_waitcnt vmcnt(32)
	v_fma_f64 v[151:152], v[121:122], v[194:195], -v[169:170]
	;; [unrolled: 9-line block ×7, first 2 shown]
	v_fma_f64 v[131:132], v[4:5], v[139:140], v[131:132]
	ds_read_b128 v[2:5], v1 offset:1776
	v_add_f64 v[133:134], v[133:134], v[135:136]
	v_add_f64 v[6:7], v[6:7], v[129:130]
	s_waitcnt vmcnt(9) lgkmcnt(1)
	v_mul_f64 v[135:136], v[127:128], v[145:146]
	s_waitcnt vmcnt(8)
	v_fma_f64 v[121:122], v[121:122], v[198:199], -v[143:144]
	v_mul_f64 v[129:130], v[125:126], v[145:146]
	v_fma_f64 v[123:124], v[123:124], v[198:199], v[141:142]
	v_add_f64 v[133:134], v[133:134], v[137:138]
	v_add_f64 v[6:7], v[6:7], v[131:132]
	s_waitcnt vmcnt(7) lgkmcnt(0)
	v_mul_f64 v[137:138], v[4:5], v[157:158]
	v_mul_f64 v[131:132], v[2:3], v[157:158]
	s_waitcnt vmcnt(5)
	v_fma_f64 v[125:126], v[125:126], v[149:150], -v[135:136]
	v_fma_f64 v[127:128], v[127:128], v[149:150], v[129:130]
	v_add_f64 v[121:122], v[133:134], v[121:122]
	v_add_f64 v[6:7], v[6:7], v[123:124]
	s_waitcnt vmcnt(4)
	v_fma_f64 v[2:3], v[2:3], v[161:162], -v[137:138]
	v_fma_f64 v[4:5], v[4:5], v[161:162], v[131:132]
	v_add_f64 v[121:122], v[121:122], v[125:126]
	v_add_f64 v[6:7], v[6:7], v[127:128]
	;; [unrolled: 1-line block ×4, first 2 shown]
	s_waitcnt vmcnt(2)
	v_add_f64 v[2:3], v[155:156], -v[2:3]
	s_waitcnt vmcnt(0)
	v_add_f64 v[4:5], v[159:160], -v[4:5]
	buffer_store_dword v3, off, s[0:3], 0 offset:500
	buffer_store_dword v2, off, s[0:3], 0 offset:496
	;; [unrolled: 1-line block ×4, first 2 shown]
	v_cmpx_lt_u32_e32 29, v0
	s_cbranch_execz .LBB119_291
; %bb.290:
	v_mov_b32_e32 v5, s39
	s_clause 0x3
	buffer_load_dword v2, v5, s[0:3], 0 offen
	buffer_load_dword v3, v5, s[0:3], 0 offen offset:4
	buffer_load_dword v4, v5, s[0:3], 0 offen offset:8
	;; [unrolled: 1-line block ×3, first 2 shown]
	buffer_store_dword v1, off, s[0:3], 0 offset:480
	buffer_store_dword v1, off, s[0:3], 0 offset:484
	;; [unrolled: 1-line block ×4, first 2 shown]
	s_waitcnt vmcnt(0)
	ds_write_b128 v181, v[2:5]
.LBB119_291:
	s_or_b32 exec_lo, exec_lo, s4
	s_waitcnt lgkmcnt(0)
	s_waitcnt_vscnt null, 0x0
	s_barrier
	buffer_gl0_inv
	s_clause 0x37
	buffer_load_dword v6, off, s[0:3], 0 offset:504
	buffer_load_dword v7, off, s[0:3], 0 offset:508
	buffer_load_dword v129, off, s[0:3], 0 offset:520
	buffer_load_dword v130, off, s[0:3], 0 offset:524
	buffer_load_dword v131, off, s[0:3], 0 offset:496
	buffer_load_dword v132, off, s[0:3], 0 offset:500
	buffer_load_dword v133, off, s[0:3], 0 offset:536
	buffer_load_dword v134, off, s[0:3], 0 offset:540
	buffer_load_dword v135, off, s[0:3], 0 offset:512
	buffer_load_dword v136, off, s[0:3], 0 offset:516
	buffer_load_dword v138, off, s[0:3], 0 offset:556
	buffer_load_dword v139, off, s[0:3], 0 offset:568
	buffer_load_dword v141, off, s[0:3], 0 offset:560
	buffer_load_dword v137, off, s[0:3], 0 offset:552
	buffer_load_dword v143, off, s[0:3], 0 offset:528
	buffer_load_dword v144, off, s[0:3], 0 offset:532
	buffer_load_dword v140, off, s[0:3], 0 offset:572
	buffer_load_dword v146, off, s[0:3], 0 offset:548
	buffer_load_dword v145, off, s[0:3], 0 offset:544
	buffer_load_dword v148, off, s[0:3], 0 offset:588
	buffer_load_dword v149, off, s[0:3], 0 offset:600
	buffer_load_dword v151, off, s[0:3], 0 offset:592
	buffer_load_dword v147, off, s[0:3], 0 offset:584
	buffer_load_dword v142, off, s[0:3], 0 offset:564
	buffer_load_dword v150, off, s[0:3], 0 offset:604
	buffer_load_dword v154, off, s[0:3], 0 offset:580
	buffer_load_dword v153, off, s[0:3], 0 offset:576
	buffer_load_dword v156, off, s[0:3], 0 offset:620
	buffer_load_dword v157, off, s[0:3], 0 offset:632
	buffer_load_dword v159, off, s[0:3], 0 offset:624
	buffer_load_dword v155, off, s[0:3], 0 offset:616
	buffer_load_dword v152, off, s[0:3], 0 offset:596
	buffer_load_dword v158, off, s[0:3], 0 offset:636
	buffer_load_dword v162, off, s[0:3], 0 offset:612
	buffer_load_dword v161, off, s[0:3], 0 offset:608
	buffer_load_dword v164, off, s[0:3], 0 offset:652
	buffer_load_dword v165, off, s[0:3], 0 offset:664
	buffer_load_dword v167, off, s[0:3], 0 offset:656
	buffer_load_dword v163, off, s[0:3], 0 offset:648
	buffer_load_dword v160, off, s[0:3], 0 offset:628
	buffer_load_dword v166, off, s[0:3], 0 offset:668
	buffer_load_dword v170, off, s[0:3], 0 offset:644
	buffer_load_dword v169, off, s[0:3], 0 offset:640
	buffer_load_dword v172, off, s[0:3], 0 offset:684
	buffer_load_dword v173, off, s[0:3], 0 offset:696
	buffer_load_dword v175, off, s[0:3], 0 offset:688
	buffer_load_dword v171, off, s[0:3], 0 offset:680
	buffer_load_dword v168, off, s[0:3], 0 offset:660
	buffer_load_dword v174, off, s[0:3], 0 offset:700
	buffer_load_dword v178, off, s[0:3], 0 offset:676
	buffer_load_dword v177, off, s[0:3], 0 offset:672
	buffer_load_dword v180, off, s[0:3], 0 offset:716
	buffer_load_dword v182, off, s[0:3], 0 offset:728
	buffer_load_dword v184, off, s[0:3], 0 offset:720
	buffer_load_dword v179, off, s[0:3], 0 offset:712
	buffer_load_dword v176, off, s[0:3], 0 offset:692
	ds_read_b128 v[2:5], v1 offset:1376
	s_clause 0x2
	buffer_load_dword v183, off, s[0:3], 0 offset:732
	buffer_load_dword v187, off, s[0:3], 0 offset:708
	;; [unrolled: 1-line block ×3, first 2 shown]
	ds_read_b128 v[121:124], v1 offset:1392
	s_clause 0x4
	buffer_load_dword v191, off, s[0:3], 0 offset:748
	buffer_load_dword v192, off, s[0:3], 0 offset:760
	;; [unrolled: 1-line block ×5, first 2 shown]
	ds_read_b128 v[125:128], v1 offset:1408
	s_mov_b32 s4, exec_lo
	s_waitcnt vmcnt(62) lgkmcnt(2)
	v_mul_f64 v[188:189], v[4:5], v[6:7]
	v_mul_f64 v[6:7], v[2:3], v[6:7]
	s_waitcnt vmcnt(60) lgkmcnt(1)
	v_mul_f64 v[195:196], v[123:124], v[129:130]
	v_mul_f64 v[129:130], v[121:122], v[129:130]
	;; [unrolled: 3-line block ×3, first 2 shown]
	v_fma_f64 v[188:189], v[2:3], v[131:132], -v[188:189]
	v_fma_f64 v[6:7], v[4:5], v[131:132], v[6:7]
	s_clause 0x2
	buffer_load_dword v193, off, s[0:3], 0 offset:764
	buffer_load_dword v132, off, s[0:3], 0 offset:740
	;; [unrolled: 1-line block ×3, first 2 shown]
	s_waitcnt vmcnt(57)
	v_fma_f64 v[199:200], v[121:122], v[135:136], -v[195:196]
	ds_read_b128 v[2:5], v1 offset:1424
	v_fma_f64 v[129:130], v[123:124], v[135:136], v[129:130]
	s_clause 0x4
	buffer_load_dword v136, off, s[0:3], 0 offset:780
	buffer_load_dword v196, off, s[0:3], 0 offset:792
	;; [unrolled: 1-line block ×5, first 2 shown]
	s_waitcnt vmcnt(56)
	v_fma_f64 v[133:134], v[125:126], v[143:144], -v[133:134]
	ds_read_b128 v[121:124], v1 offset:1440
	v_fma_f64 v[143:144], v[127:128], v[143:144], v[197:198]
	v_add_f64 v[188:189], v[188:189], 0
	v_add_f64 v[6:7], v[6:7], 0
	s_waitcnt lgkmcnt(1)
	v_mul_f64 v[202:203], v[2:3], v[137:138]
	v_mul_f64 v[137:138], v[4:5], v[137:138]
	v_add_f64 v[188:189], v[188:189], v[199:200]
	v_add_f64 v[6:7], v[6:7], v[129:130]
	s_clause 0x2
	buffer_load_dword v197, off, s[0:3], 0 offset:796
	buffer_load_dword v130, off, s[0:3], 0 offset:772
	;; [unrolled: 1-line block ×3, first 2 shown]
	s_waitcnt vmcnt(58) lgkmcnt(0)
	v_mul_f64 v[198:199], v[121:122], v[139:140]
	v_mul_f64 v[139:140], v[123:124], v[139:140]
	s_waitcnt vmcnt(56)
	v_fma_f64 v[137:138], v[2:3], v[145:146], -v[137:138]
	ds_read_b128 v[125:128], v1 offset:1456
	v_fma_f64 v[145:146], v[4:5], v[145:146], v[202:203]
	v_add_f64 v[133:134], v[188:189], v[133:134]
	v_add_f64 v[6:7], v[6:7], v[143:144]
	s_clause 0x4
	buffer_load_dword v144, off, s[0:3], 0 offset:812
	buffer_load_dword v188, off, s[0:3], 0 offset:824
	;; [unrolled: 1-line block ×5, first 2 shown]
	ds_read_b128 v[2:5], v1 offset:1472
	s_waitcnt vmcnt(57) lgkmcnt(1)
	v_mul_f64 v[204:205], v[125:126], v[147:148]
	v_mul_f64 v[147:148], v[127:128], v[147:148]
	s_waitcnt vmcnt(56)
	v_fma_f64 v[139:140], v[121:122], v[141:142], -v[139:140]
	v_add_f64 v[133:134], v[133:134], v[137:138]
	v_fma_f64 v[137:138], v[123:124], v[141:142], v[198:199]
	v_add_f64 v[6:7], v[6:7], v[145:146]
	s_clause 0x2
	buffer_load_dword v189, off, s[0:3], 0 offset:828
	buffer_load_dword v142, off, s[0:3], 0 offset:804
	;; [unrolled: 1-line block ×3, first 2 shown]
	s_waitcnt vmcnt(58) lgkmcnt(0)
	v_mul_f64 v[145:146], v[2:3], v[149:150]
	v_mul_f64 v[149:150], v[4:5], v[149:150]
	s_waitcnt vmcnt(56)
	v_fma_f64 v[147:148], v[125:126], v[153:154], -v[147:148]
	ds_read_b128 v[121:124], v1 offset:1488
	v_add_f64 v[133:134], v[133:134], v[139:140]
	v_fma_f64 v[139:140], v[127:128], v[153:154], v[204:205]
	v_add_f64 v[6:7], v[6:7], v[137:138]
	s_clause 0x4
	buffer_load_dword v138, off, s[0:3], 0 offset:844
	buffer_load_dword v153, off, s[0:3], 0 offset:856
	;; [unrolled: 1-line block ×5, first 2 shown]
	ds_read_b128 v[125:128], v1 offset:1504
	s_waitcnt vmcnt(57) lgkmcnt(1)
	v_mul_f64 v[199:200], v[121:122], v[155:156]
	v_mul_f64 v[155:156], v[123:124], v[155:156]
	s_waitcnt vmcnt(56)
	v_fma_f64 v[149:150], v[2:3], v[151:152], -v[149:150]
	v_fma_f64 v[145:146], v[4:5], v[151:152], v[145:146]
	v_add_f64 v[133:134], v[133:134], v[147:148]
	v_add_f64 v[6:7], v[6:7], v[139:140]
	s_clause 0x2
	buffer_load_dword v154, off, s[0:3], 0 offset:860
	buffer_load_dword v140, off, s[0:3], 0 offset:836
	;; [unrolled: 1-line block ×3, first 2 shown]
	s_waitcnt vmcnt(58) lgkmcnt(0)
	v_mul_f64 v[151:152], v[127:128], v[157:158]
	ds_read_b128 v[2:5], v1 offset:1520
	s_waitcnt vmcnt(56)
	v_fma_f64 v[155:156], v[121:122], v[161:162], -v[155:156]
	v_mul_f64 v[147:148], v[125:126], v[157:158]
	v_add_f64 v[133:134], v[133:134], v[149:150]
	v_fma_f64 v[149:150], v[123:124], v[161:162], v[199:200]
	v_add_f64 v[6:7], v[6:7], v[145:146]
	s_clause 0x4
	buffer_load_dword v146, off, s[0:3], 0 offset:876
	buffer_load_dword v157, off, s[0:3], 0 offset:888
	buffer_load_dword v161, off, s[0:3], 0 offset:880
	buffer_load_dword v145, off, s[0:3], 0 offset:872
	buffer_load_dword v199, off, s[0:3], 0 offset:852
	s_waitcnt vmcnt(57) lgkmcnt(0)
	v_mul_f64 v[205:206], v[2:3], v[163:164]
	v_mul_f64 v[162:163], v[4:5], v[163:164]
	s_waitcnt vmcnt(56)
	v_fma_f64 v[151:152], v[125:126], v[159:160], -v[151:152]
	ds_read_b128 v[121:124], v1 offset:1536
	v_fma_f64 v[147:148], v[127:128], v[159:160], v[147:148]
	v_add_f64 v[133:134], v[133:134], v[155:156]
	v_add_f64 v[6:7], v[6:7], v[149:150]
	s_clause 0x2
	buffer_load_dword v158, off, s[0:3], 0 offset:892
	buffer_load_dword v150, off, s[0:3], 0 offset:868
	;; [unrolled: 1-line block ×3, first 2 shown]
	ds_read_b128 v[125:128], v1 offset:1552
	s_waitcnt vmcnt(58) lgkmcnt(1)
	v_mul_f64 v[159:160], v[123:124], v[165:166]
	s_waitcnt vmcnt(56)
	v_fma_f64 v[163:164], v[2:3], v[169:170], -v[162:163]
	v_mul_f64 v[155:156], v[121:122], v[165:166]
	v_add_f64 v[133:134], v[133:134], v[151:152]
	v_fma_f64 v[151:152], v[4:5], v[169:170], v[205:206]
	v_add_f64 v[6:7], v[6:7], v[147:148]
	s_clause 0x2
	buffer_load_dword v148, off, s[0:3], 0 offset:908
	buffer_load_dword v147, off, s[0:3], 0 offset:904
	;; [unrolled: 1-line block ×3, first 2 shown]
	s_waitcnt vmcnt(55) lgkmcnt(0)
	v_mul_f64 v[169:170], v[127:128], v[171:172]
	s_waitcnt vmcnt(54)
	v_fma_f64 v[159:160], v[121:122], v[167:168], -v[159:160]
	ds_read_b128 v[2:5], v1 offset:1568
	v_mul_f64 v[165:166], v[125:126], v[171:172]
	v_fma_f64 v[155:156], v[123:124], v[167:168], v[155:156]
	v_add_f64 v[133:134], v[133:134], v[163:164]
	v_add_f64 v[6:7], v[6:7], v[151:152]
	s_clause 0x1
	buffer_load_dword v152, off, s[0:3], 0 offset:900
	buffer_load_dword v151, off, s[0:3], 0 offset:896
	s_waitcnt vmcnt(55) lgkmcnt(0)
	v_mul_f64 v[167:168], v[4:5], v[173:174]
	s_waitcnt vmcnt(53)
	v_fma_f64 v[169:170], v[125:126], v[177:178], -v[169:170]
	ds_read_b128 v[121:124], v1 offset:1584
	v_mul_f64 v[163:164], v[2:3], v[173:174]
	v_add_f64 v[133:134], v[133:134], v[159:160]
	v_fma_f64 v[159:160], v[127:128], v[177:178], v[165:166]
	v_add_f64 v[6:7], v[6:7], v[155:156]
	ds_read_b128 v[125:128], v1 offset:1600
	s_waitcnt vmcnt(49) lgkmcnt(1)
	v_mul_f64 v[165:166], v[123:124], v[179:180]
	s_waitcnt vmcnt(48)
	v_fma_f64 v[167:168], v[2:3], v[175:176], -v[167:168]
	v_mul_f64 v[155:156], v[121:122], v[179:180]
	v_fma_f64 v[163:164], v[4:5], v[175:176], v[163:164]
	v_add_f64 v[133:134], v[133:134], v[169:170]
	s_waitcnt vmcnt(47) lgkmcnt(0)
	v_mul_f64 v[173:174], v[127:128], v[182:183]
	v_add_f64 v[6:7], v[6:7], v[159:160]
	s_clause 0x3
	buffer_load_dword v159, off, s[0:3], 0 offset:480
	buffer_load_dword v160, off, s[0:3], 0 offset:484
	;; [unrolled: 1-line block ×4, first 2 shown]
	s_waitcnt vmcnt(49)
	v_fma_f64 v[165:166], v[121:122], v[186:187], -v[165:166]
	ds_read_b128 v[2:5], v1 offset:1616
	v_mul_f64 v[171:172], v[125:126], v[182:183]
	v_fma_f64 v[155:156], v[123:124], v[186:187], v[155:156]
	ds_read_b128 v[121:124], v1 offset:1632
	v_add_f64 v[133:134], v[133:134], v[167:168]
	s_waitcnt vmcnt(44)
	v_fma_f64 v[173:174], v[125:126], v[184:185], -v[173:174]
	v_add_f64 v[6:7], v[6:7], v[163:164]
	s_waitcnt lgkmcnt(1)
	v_mul_f64 v[167:168], v[4:5], v[190:191]
	v_mul_f64 v[163:164], v[2:3], v[190:191]
	v_add_f64 v[133:134], v[133:134], v[165:166]
	v_fma_f64 v[165:166], v[127:128], v[184:185], v[171:172]
	v_add_f64 v[6:7], v[6:7], v[155:156]
	ds_read_b128 v[125:128], v1 offset:1648
	s_waitcnt vmcnt(43) lgkmcnt(1)
	v_mul_f64 v[171:172], v[123:124], v[192:193]
	v_mul_f64 v[155:156], v[121:122], v[192:193]
	s_waitcnt vmcnt(41)
	v_fma_f64 v[167:168], v[2:3], v[131:132], -v[167:168]
	v_fma_f64 v[131:132], v[4:5], v[131:132], v[163:164]
	ds_read_b128 v[2:5], v1 offset:1664
	v_add_f64 v[133:134], v[133:134], v[173:174]
	s_waitcnt vmcnt(37) lgkmcnt(1)
	v_mul_f64 v[163:164], v[125:126], v[135:136]
	v_add_f64 v[6:7], v[6:7], v[165:166]
	v_mul_f64 v[135:136], v[127:128], v[135:136]
	s_waitcnt vmcnt(36)
	v_fma_f64 v[165:166], v[121:122], v[194:195], -v[171:172]
	v_fma_f64 v[155:156], v[123:124], v[194:195], v[155:156]
	ds_read_b128 v[121:124], v1 offset:1680
	v_add_f64 v[133:134], v[133:134], v[167:168]
	v_add_f64 v[6:7], v[6:7], v[131:132]
	s_waitcnt vmcnt(35) lgkmcnt(1)
	v_mul_f64 v[167:168], v[4:5], v[196:197]
	v_mul_f64 v[131:132], v[2:3], v[196:197]
	s_waitcnt vmcnt(33)
	v_fma_f64 v[135:136], v[125:126], v[129:130], -v[135:136]
	v_fma_f64 v[129:130], v[127:128], v[129:130], v[163:164]
	ds_read_b128 v[125:128], v1 offset:1696
	v_add_f64 v[133:134], v[133:134], v[165:166]
	v_add_f64 v[6:7], v[6:7], v[155:156]
	s_waitcnt vmcnt(29) lgkmcnt(1)
	v_mul_f64 v[155:156], v[121:122], v[143:144]
	v_mul_f64 v[143:144], v[123:124], v[143:144]
	s_waitcnt vmcnt(28)
	v_fma_f64 v[163:164], v[2:3], v[201:202], -v[167:168]
	v_fma_f64 v[131:132], v[4:5], v[201:202], v[131:132]
	ds_read_b128 v[2:5], v1 offset:1712
	v_add_f64 v[133:134], v[133:134], v[135:136]
	v_add_f64 v[6:7], v[6:7], v[129:130]
	s_waitcnt vmcnt(27) lgkmcnt(1)
	v_mul_f64 v[135:136], v[127:128], v[188:189]
	v_mul_f64 v[129:130], v[125:126], v[188:189]
	s_waitcnt vmcnt(25)
	v_fma_f64 v[143:144], v[121:122], v[141:142], -v[143:144]
	v_fma_f64 v[141:142], v[123:124], v[141:142], v[155:156]
	ds_read_b128 v[121:124], v1 offset:1728
	v_add_f64 v[133:134], v[133:134], v[163:164]
	v_add_f64 v[6:7], v[6:7], v[131:132]
	s_waitcnt vmcnt(21) lgkmcnt(1)
	v_mul_f64 v[131:132], v[2:3], v[137:138]
	v_mul_f64 v[137:138], v[4:5], v[137:138]
	s_waitcnt vmcnt(20)
	v_fma_f64 v[135:136], v[125:126], v[203:204], -v[135:136]
	v_fma_f64 v[129:130], v[127:128], v[203:204], v[129:130]
	ds_read_b128 v[125:128], v1 offset:1744
	v_add_f64 v[133:134], v[133:134], v[143:144]
	v_add_f64 v[6:7], v[6:7], v[141:142]
	s_waitcnt vmcnt(19) lgkmcnt(1)
	v_mul_f64 v[143:144], v[123:124], v[153:154]
	v_mul_f64 v[141:142], v[121:122], v[153:154]
	s_waitcnt vmcnt(17)
	v_fma_f64 v[137:138], v[2:3], v[139:140], -v[137:138]
	v_fma_f64 v[131:132], v[4:5], v[139:140], v[131:132]
	ds_read_b128 v[2:5], v1 offset:1760
	v_add_f64 v[133:134], v[133:134], v[135:136]
	v_add_f64 v[6:7], v[6:7], v[129:130]
	s_waitcnt vmcnt(13) lgkmcnt(1)
	v_mul_f64 v[135:136], v[127:128], v[145:146]
	s_waitcnt vmcnt(12)
	v_fma_f64 v[139:140], v[121:122], v[198:199], -v[143:144]
	v_mul_f64 v[129:130], v[125:126], v[145:146]
	v_add_f64 v[133:134], v[133:134], v[137:138]
	v_fma_f64 v[137:138], v[123:124], v[198:199], v[141:142]
	v_add_f64 v[6:7], v[6:7], v[131:132]
	ds_read_b128 v[121:124], v1 offset:1776
	s_waitcnt vmcnt(11) lgkmcnt(1)
	v_mul_f64 v[141:142], v[4:5], v[157:158]
	v_mul_f64 v[131:132], v[2:3], v[157:158]
	s_waitcnt vmcnt(9)
	v_fma_f64 v[125:126], v[125:126], v[149:150], -v[135:136]
	v_fma_f64 v[127:128], v[127:128], v[149:150], v[129:130]
	v_add_f64 v[133:134], v[133:134], v[139:140]
	v_add_f64 v[6:7], v[6:7], v[137:138]
	s_waitcnt vmcnt(7) lgkmcnt(0)
	v_mul_f64 v[135:136], v[123:124], v[147:148]
	s_waitcnt vmcnt(6)
	v_fma_f64 v[1:2], v[2:3], v[161:162], -v[141:142]
	v_mul_f64 v[129:130], v[121:122], v[147:148]
	v_fma_f64 v[3:4], v[4:5], v[161:162], v[131:132]
	v_add_f64 v[125:126], v[133:134], v[125:126]
	v_add_f64 v[5:6], v[6:7], v[127:128]
	s_waitcnt vmcnt(4)
	v_fma_f64 v[7:8], v[121:122], v[151:152], -v[135:136]
	v_fma_f64 v[121:122], v[123:124], v[151:152], v[129:130]
	v_add_f64 v[1:2], v[125:126], v[1:2]
	v_add_f64 v[3:4], v[5:6], v[3:4]
	;; [unrolled: 1-line block ×4, first 2 shown]
	s_waitcnt vmcnt(2)
	v_add_f64 v[1:2], v[159:160], -v[1:2]
	s_waitcnt vmcnt(0)
	v_add_f64 v[3:4], v[169:170], -v[3:4]
	buffer_store_dword v2, off, s[0:3], 0 offset:484
	buffer_store_dword v1, off, s[0:3], 0 offset:480
	;; [unrolled: 1-line block ×4, first 2 shown]
	v_cmpx_lt_u32_e32 28, v0
	s_cbranch_execz .LBB119_293
; %bb.292:
	v_mov_b32_e32 v4, s40
	v_mov_b32_e32 v5, 0
	s_clause 0x3
	buffer_load_dword v1, v4, s[0:3], 0 offen
	buffer_load_dword v2, v4, s[0:3], 0 offen offset:4
	buffer_load_dword v3, v4, s[0:3], 0 offen offset:8
	;; [unrolled: 1-line block ×3, first 2 shown]
	buffer_store_dword v5, off, s[0:3], 0 offset:464
	buffer_store_dword v5, off, s[0:3], 0 offset:468
	;; [unrolled: 1-line block ×4, first 2 shown]
	s_waitcnt vmcnt(0)
	ds_write_b128 v181, v[1:4]
.LBB119_293:
	s_or_b32 exec_lo, exec_lo, s4
	s_waitcnt lgkmcnt(0)
	s_waitcnt_vscnt null, 0x0
	s_barrier
	buffer_gl0_inv
	s_clause 0x37
	buffer_load_dword v6, off, s[0:3], 0 offset:488
	buffer_load_dword v7, off, s[0:3], 0 offset:492
	;; [unrolled: 1-line block ×56, first 2 shown]
	v_mov_b32_e32 v1, 0
	s_mov_b32 s4, exec_lo
	ds_read_b128 v[2:5], v1 offset:1360
	s_clause 0x2
	buffer_load_dword v183, off, s[0:3], 0 offset:716
	buffer_load_dword v187, off, s[0:3], 0 offset:692
	;; [unrolled: 1-line block ×3, first 2 shown]
	ds_read_b128 v[121:124], v1 offset:1376
	s_clause 0x4
	buffer_load_dword v191, off, s[0:3], 0 offset:732
	buffer_load_dword v192, off, s[0:3], 0 offset:744
	;; [unrolled: 1-line block ×5, first 2 shown]
	ds_read_b128 v[125:128], v1 offset:1392
	s_waitcnt vmcnt(62) lgkmcnt(2)
	v_mul_f64 v[188:189], v[4:5], v[6:7]
	v_mul_f64 v[6:7], v[2:3], v[6:7]
	s_waitcnt vmcnt(60) lgkmcnt(1)
	v_mul_f64 v[195:196], v[123:124], v[129:130]
	v_mul_f64 v[129:130], v[121:122], v[129:130]
	;; [unrolled: 3-line block ×3, first 2 shown]
	v_fma_f64 v[188:189], v[2:3], v[131:132], -v[188:189]
	v_fma_f64 v[6:7], v[4:5], v[131:132], v[6:7]
	s_clause 0x2
	buffer_load_dword v193, off, s[0:3], 0 offset:748
	buffer_load_dword v132, off, s[0:3], 0 offset:724
	;; [unrolled: 1-line block ×3, first 2 shown]
	s_waitcnt vmcnt(57)
	v_fma_f64 v[199:200], v[121:122], v[135:136], -v[195:196]
	ds_read_b128 v[2:5], v1 offset:1408
	v_fma_f64 v[129:130], v[123:124], v[135:136], v[129:130]
	s_clause 0x4
	buffer_load_dword v136, off, s[0:3], 0 offset:764
	buffer_load_dword v196, off, s[0:3], 0 offset:776
	;; [unrolled: 1-line block ×5, first 2 shown]
	s_waitcnt vmcnt(56)
	v_fma_f64 v[133:134], v[125:126], v[143:144], -v[133:134]
	ds_read_b128 v[121:124], v1 offset:1424
	v_fma_f64 v[143:144], v[127:128], v[143:144], v[197:198]
	v_add_f64 v[188:189], v[188:189], 0
	v_add_f64 v[6:7], v[6:7], 0
	s_waitcnt lgkmcnt(1)
	v_mul_f64 v[202:203], v[2:3], v[137:138]
	v_mul_f64 v[137:138], v[4:5], v[137:138]
	v_add_f64 v[188:189], v[188:189], v[199:200]
	v_add_f64 v[6:7], v[6:7], v[129:130]
	s_clause 0x2
	buffer_load_dword v197, off, s[0:3], 0 offset:780
	buffer_load_dword v130, off, s[0:3], 0 offset:756
	;; [unrolled: 1-line block ×3, first 2 shown]
	s_waitcnt vmcnt(58) lgkmcnt(0)
	v_mul_f64 v[198:199], v[121:122], v[139:140]
	v_mul_f64 v[139:140], v[123:124], v[139:140]
	s_waitcnt vmcnt(56)
	v_fma_f64 v[137:138], v[2:3], v[145:146], -v[137:138]
	ds_read_b128 v[125:128], v1 offset:1440
	v_fma_f64 v[145:146], v[4:5], v[145:146], v[202:203]
	v_add_f64 v[133:134], v[188:189], v[133:134]
	v_add_f64 v[6:7], v[6:7], v[143:144]
	s_clause 0x4
	buffer_load_dword v144, off, s[0:3], 0 offset:796
	buffer_load_dword v188, off, s[0:3], 0 offset:808
	;; [unrolled: 1-line block ×5, first 2 shown]
	ds_read_b128 v[2:5], v1 offset:1456
	s_waitcnt vmcnt(57) lgkmcnt(1)
	v_mul_f64 v[204:205], v[125:126], v[147:148]
	v_mul_f64 v[147:148], v[127:128], v[147:148]
	s_waitcnt vmcnt(56)
	v_fma_f64 v[139:140], v[121:122], v[141:142], -v[139:140]
	v_add_f64 v[133:134], v[133:134], v[137:138]
	v_fma_f64 v[137:138], v[123:124], v[141:142], v[198:199]
	v_add_f64 v[6:7], v[6:7], v[145:146]
	s_clause 0x2
	buffer_load_dword v189, off, s[0:3], 0 offset:812
	buffer_load_dword v142, off, s[0:3], 0 offset:788
	;; [unrolled: 1-line block ×3, first 2 shown]
	s_waitcnt vmcnt(58) lgkmcnt(0)
	v_mul_f64 v[145:146], v[2:3], v[149:150]
	v_mul_f64 v[149:150], v[4:5], v[149:150]
	s_waitcnt vmcnt(56)
	v_fma_f64 v[147:148], v[125:126], v[153:154], -v[147:148]
	ds_read_b128 v[121:124], v1 offset:1472
	v_add_f64 v[133:134], v[133:134], v[139:140]
	v_fma_f64 v[139:140], v[127:128], v[153:154], v[204:205]
	v_add_f64 v[6:7], v[6:7], v[137:138]
	s_clause 0x4
	buffer_load_dword v138, off, s[0:3], 0 offset:828
	buffer_load_dword v153, off, s[0:3], 0 offset:840
	;; [unrolled: 1-line block ×5, first 2 shown]
	ds_read_b128 v[125:128], v1 offset:1488
	s_waitcnt vmcnt(57) lgkmcnt(1)
	v_mul_f64 v[199:200], v[121:122], v[155:156]
	v_mul_f64 v[155:156], v[123:124], v[155:156]
	s_waitcnt vmcnt(56)
	v_fma_f64 v[149:150], v[2:3], v[151:152], -v[149:150]
	v_fma_f64 v[145:146], v[4:5], v[151:152], v[145:146]
	v_add_f64 v[133:134], v[133:134], v[147:148]
	v_add_f64 v[6:7], v[6:7], v[139:140]
	s_clause 0x2
	buffer_load_dword v154, off, s[0:3], 0 offset:844
	buffer_load_dword v140, off, s[0:3], 0 offset:820
	;; [unrolled: 1-line block ×3, first 2 shown]
	s_waitcnt vmcnt(58) lgkmcnt(0)
	v_mul_f64 v[151:152], v[127:128], v[157:158]
	ds_read_b128 v[2:5], v1 offset:1504
	s_waitcnt vmcnt(56)
	v_fma_f64 v[155:156], v[121:122], v[161:162], -v[155:156]
	v_mul_f64 v[147:148], v[125:126], v[157:158]
	v_add_f64 v[133:134], v[133:134], v[149:150]
	v_fma_f64 v[149:150], v[123:124], v[161:162], v[199:200]
	v_add_f64 v[6:7], v[6:7], v[145:146]
	s_clause 0x4
	buffer_load_dword v146, off, s[0:3], 0 offset:860
	buffer_load_dword v157, off, s[0:3], 0 offset:872
	;; [unrolled: 1-line block ×5, first 2 shown]
	s_waitcnt vmcnt(57) lgkmcnt(0)
	v_mul_f64 v[205:206], v[2:3], v[163:164]
	v_mul_f64 v[162:163], v[4:5], v[163:164]
	s_waitcnt vmcnt(56)
	v_fma_f64 v[151:152], v[125:126], v[159:160], -v[151:152]
	ds_read_b128 v[121:124], v1 offset:1520
	v_fma_f64 v[147:148], v[127:128], v[159:160], v[147:148]
	v_add_f64 v[133:134], v[133:134], v[155:156]
	v_add_f64 v[6:7], v[6:7], v[149:150]
	s_clause 0x2
	buffer_load_dword v158, off, s[0:3], 0 offset:876
	buffer_load_dword v150, off, s[0:3], 0 offset:852
	;; [unrolled: 1-line block ×3, first 2 shown]
	ds_read_b128 v[125:128], v1 offset:1536
	s_waitcnt vmcnt(58) lgkmcnt(1)
	v_mul_f64 v[159:160], v[123:124], v[165:166]
	s_waitcnt vmcnt(56)
	v_fma_f64 v[163:164], v[2:3], v[169:170], -v[162:163]
	v_mul_f64 v[155:156], v[121:122], v[165:166]
	v_add_f64 v[133:134], v[133:134], v[151:152]
	v_fma_f64 v[151:152], v[4:5], v[169:170], v[205:206]
	v_add_f64 v[6:7], v[6:7], v[147:148]
	s_clause 0x4
	buffer_load_dword v148, off, s[0:3], 0 offset:892
	buffer_load_dword v165, off, s[0:3], 0 offset:904
	;; [unrolled: 1-line block ×5, first 2 shown]
	s_waitcnt vmcnt(57) lgkmcnt(0)
	v_mul_f64 v[205:206], v[125:126], v[171:172]
	v_mul_f64 v[170:171], v[127:128], v[171:172]
	s_waitcnt vmcnt(56)
	v_fma_f64 v[159:160], v[121:122], v[167:168], -v[159:160]
	ds_read_b128 v[2:5], v1 offset:1552
	v_fma_f64 v[155:156], v[123:124], v[167:168], v[155:156]
	v_add_f64 v[133:134], v[133:134], v[163:164]
	v_add_f64 v[6:7], v[6:7], v[151:152]
	s_clause 0x2
	buffer_load_dword v166, off, s[0:3], 0 offset:908
	buffer_load_dword v152, off, s[0:3], 0 offset:884
	;; [unrolled: 1-line block ×3, first 2 shown]
	ds_read_b128 v[121:124], v1 offset:1568
	s_waitcnt vmcnt(58) lgkmcnt(1)
	v_mul_f64 v[167:168], v[4:5], v[173:174]
	s_waitcnt vmcnt(56)
	v_fma_f64 v[171:172], v[125:126], v[177:178], -v[170:171]
	v_mul_f64 v[163:164], v[2:3], v[173:174]
	buffer_load_dword v170, off, s[0:3], 0 offset:900
	v_add_f64 v[133:134], v[133:134], v[159:160]
	v_fma_f64 v[159:160], v[127:128], v[177:178], v[205:206]
	v_add_f64 v[6:7], v[6:7], v[155:156]
	ds_read_b128 v[125:128], v1 offset:1584
	s_waitcnt vmcnt(53) lgkmcnt(1)
	v_mul_f64 v[173:174], v[123:124], v[179:180]
	s_waitcnt vmcnt(52)
	v_fma_f64 v[167:168], v[2:3], v[175:176], -v[167:168]
	v_mul_f64 v[155:156], v[121:122], v[179:180]
	v_fma_f64 v[163:164], v[4:5], v[175:176], v[163:164]
	ds_read_b128 v[2:5], v1 offset:1600
	v_add_f64 v[133:134], v[133:134], v[171:172]
	s_waitcnt vmcnt(51) lgkmcnt(1)
	v_mul_f64 v[171:172], v[127:128], v[182:183]
	v_add_f64 v[6:7], v[6:7], v[159:160]
	v_mul_f64 v[159:160], v[125:126], v[182:183]
	s_waitcnt vmcnt(49)
	v_fma_f64 v[173:174], v[121:122], v[186:187], -v[173:174]
	v_fma_f64 v[155:156], v[123:124], v[186:187], v[155:156]
	s_waitcnt vmcnt(45) lgkmcnt(0)
	v_mul_f64 v[177:178], v[4:5], v[190:191]
	v_mul_f64 v[175:176], v[2:3], v[190:191]
	v_add_f64 v[133:134], v[133:134], v[167:168]
	s_waitcnt vmcnt(44)
	v_fma_f64 v[171:172], v[125:126], v[184:185], -v[171:172]
	v_add_f64 v[6:7], v[6:7], v[163:164]
	s_clause 0x3
	buffer_load_dword v163, off, s[0:3], 0 offset:464
	buffer_load_dword v164, off, s[0:3], 0 offset:468
	;; [unrolled: 1-line block ×4, first 2 shown]
	ds_read_b128 v[121:124], v1 offset:1616
	v_fma_f64 v[159:160], v[127:128], v[184:185], v[159:160]
	ds_read_b128 v[125:128], v1 offset:1632
	v_add_f64 v[133:134], v[133:134], v[173:174]
	v_add_f64 v[6:7], v[6:7], v[155:156]
	s_waitcnt vmcnt(47) lgkmcnt(1)
	v_mul_f64 v[173:174], v[123:124], v[192:193]
	v_mul_f64 v[155:156], v[121:122], v[192:193]
	s_waitcnt vmcnt(45)
	v_fma_f64 v[177:178], v[2:3], v[131:132], -v[177:178]
	v_fma_f64 v[131:132], v[4:5], v[131:132], v[175:176]
	ds_read_b128 v[2:5], v1 offset:1648
	v_add_f64 v[133:134], v[133:134], v[171:172]
	v_add_f64 v[6:7], v[6:7], v[159:160]
	s_waitcnt vmcnt(41) lgkmcnt(1)
	v_mul_f64 v[159:160], v[125:126], v[135:136]
	v_mul_f64 v[135:136], v[127:128], v[135:136]
	s_waitcnt vmcnt(40)
	v_fma_f64 v[171:172], v[121:122], v[194:195], -v[173:174]
	;; [unrolled: 9-line block ×7, first 2 shown]
	v_fma_f64 v[131:132], v[4:5], v[139:140], v[131:132]
	ds_read_b128 v[2:5], v1 offset:1744
	v_add_f64 v[133:134], v[133:134], v[135:136]
	v_add_f64 v[6:7], v[6:7], v[129:130]
	s_waitcnt vmcnt(17) lgkmcnt(1)
	v_mul_f64 v[135:136], v[127:128], v[145:146]
	s_waitcnt vmcnt(16)
	v_fma_f64 v[139:140], v[121:122], v[198:199], -v[143:144]
	v_mul_f64 v[129:130], v[125:126], v[145:146]
	v_add_f64 v[133:134], v[133:134], v[137:138]
	v_fma_f64 v[137:138], v[123:124], v[198:199], v[141:142]
	v_add_f64 v[6:7], v[6:7], v[131:132]
	ds_read_b128 v[121:124], v1 offset:1760
	s_waitcnt vmcnt(15) lgkmcnt(1)
	v_mul_f64 v[141:142], v[4:5], v[157:158]
	v_mul_f64 v[131:132], v[2:3], v[157:158]
	s_waitcnt vmcnt(13)
	v_fma_f64 v[135:136], v[125:126], v[149:150], -v[135:136]
	v_fma_f64 v[129:130], v[127:128], v[149:150], v[129:130]
	ds_read_b128 v[125:128], v1 offset:1776
	v_add_f64 v[133:134], v[133:134], v[139:140]
	v_add_f64 v[6:7], v[6:7], v[137:138]
	s_waitcnt vmcnt(9) lgkmcnt(1)
	v_mul_f64 v[139:140], v[123:124], v[147:148]
	s_waitcnt vmcnt(8)
	v_fma_f64 v[2:3], v[2:3], v[161:162], -v[141:142]
	v_mul_f64 v[137:138], v[121:122], v[147:148]
	v_fma_f64 v[4:5], v[4:5], v[161:162], v[131:132]
	v_add_f64 v[133:134], v[133:134], v[135:136]
	v_add_f64 v[6:7], v[6:7], v[129:130]
	s_waitcnt vmcnt(7) lgkmcnt(0)
	v_mul_f64 v[131:132], v[127:128], v[165:166]
	v_mul_f64 v[129:130], v[125:126], v[165:166]
	s_waitcnt vmcnt(5)
	v_fma_f64 v[121:122], v[121:122], v[151:152], -v[139:140]
	v_fma_f64 v[123:124], v[123:124], v[151:152], v[137:138]
	v_add_f64 v[2:3], v[133:134], v[2:3]
	v_add_f64 v[4:5], v[6:7], v[4:5]
	s_waitcnt vmcnt(4)
	v_fma_f64 v[6:7], v[125:126], v[169:170], -v[131:132]
	v_add_f64 v[2:3], v[2:3], v[121:122]
	v_fma_f64 v[121:122], v[127:128], v[169:170], v[129:130]
	v_add_f64 v[4:5], v[4:5], v[123:124]
	v_add_f64 v[2:3], v[2:3], v[6:7]
	;; [unrolled: 1-line block ×3, first 2 shown]
	s_waitcnt vmcnt(2)
	v_add_f64 v[2:3], v[163:164], -v[2:3]
	s_waitcnt vmcnt(0)
	v_add_f64 v[4:5], v[167:168], -v[4:5]
	buffer_store_dword v3, off, s[0:3], 0 offset:468
	buffer_store_dword v2, off, s[0:3], 0 offset:464
	buffer_store_dword v5, off, s[0:3], 0 offset:476
	buffer_store_dword v4, off, s[0:3], 0 offset:472
	v_cmpx_lt_u32_e32 27, v0
	s_cbranch_execz .LBB119_295
; %bb.294:
	v_mov_b32_e32 v5, s41
	s_clause 0x3
	buffer_load_dword v2, v5, s[0:3], 0 offen
	buffer_load_dword v3, v5, s[0:3], 0 offen offset:4
	buffer_load_dword v4, v5, s[0:3], 0 offen offset:8
	;; [unrolled: 1-line block ×3, first 2 shown]
	buffer_store_dword v1, off, s[0:3], 0 offset:448
	buffer_store_dword v1, off, s[0:3], 0 offset:452
	;; [unrolled: 1-line block ×4, first 2 shown]
	s_waitcnt vmcnt(0)
	ds_write_b128 v181, v[2:5]
.LBB119_295:
	s_or_b32 exec_lo, exec_lo, s4
	s_waitcnt lgkmcnt(0)
	s_waitcnt_vscnt null, 0x0
	s_barrier
	buffer_gl0_inv
	s_clause 0x37
	buffer_load_dword v6, off, s[0:3], 0 offset:472
	buffer_load_dword v7, off, s[0:3], 0 offset:476
	;; [unrolled: 1-line block ×56, first 2 shown]
	ds_read_b128 v[2:5], v1 offset:1344
	s_clause 0x2
	buffer_load_dword v183, off, s[0:3], 0 offset:700
	buffer_load_dword v187, off, s[0:3], 0 offset:676
	;; [unrolled: 1-line block ×3, first 2 shown]
	ds_read_b128 v[121:124], v1 offset:1360
	s_clause 0x4
	buffer_load_dword v191, off, s[0:3], 0 offset:716
	buffer_load_dword v192, off, s[0:3], 0 offset:728
	;; [unrolled: 1-line block ×5, first 2 shown]
	ds_read_b128 v[125:128], v1 offset:1376
	s_mov_b32 s4, exec_lo
	s_waitcnt vmcnt(62) lgkmcnt(2)
	v_mul_f64 v[188:189], v[4:5], v[6:7]
	v_mul_f64 v[6:7], v[2:3], v[6:7]
	s_waitcnt vmcnt(60) lgkmcnt(1)
	v_mul_f64 v[195:196], v[123:124], v[129:130]
	v_mul_f64 v[129:130], v[121:122], v[129:130]
	;; [unrolled: 3-line block ×3, first 2 shown]
	v_fma_f64 v[188:189], v[2:3], v[131:132], -v[188:189]
	v_fma_f64 v[6:7], v[4:5], v[131:132], v[6:7]
	s_clause 0x2
	buffer_load_dword v193, off, s[0:3], 0 offset:732
	buffer_load_dword v132, off, s[0:3], 0 offset:708
	;; [unrolled: 1-line block ×3, first 2 shown]
	s_waitcnt vmcnt(57)
	v_fma_f64 v[199:200], v[121:122], v[135:136], -v[195:196]
	ds_read_b128 v[2:5], v1 offset:1392
	v_fma_f64 v[129:130], v[123:124], v[135:136], v[129:130]
	s_clause 0x4
	buffer_load_dword v136, off, s[0:3], 0 offset:748
	buffer_load_dword v196, off, s[0:3], 0 offset:760
	;; [unrolled: 1-line block ×5, first 2 shown]
	s_waitcnt vmcnt(56)
	v_fma_f64 v[133:134], v[125:126], v[143:144], -v[133:134]
	ds_read_b128 v[121:124], v1 offset:1408
	v_fma_f64 v[143:144], v[127:128], v[143:144], v[197:198]
	v_add_f64 v[188:189], v[188:189], 0
	v_add_f64 v[6:7], v[6:7], 0
	s_waitcnt lgkmcnt(1)
	v_mul_f64 v[202:203], v[2:3], v[137:138]
	v_mul_f64 v[137:138], v[4:5], v[137:138]
	v_add_f64 v[188:189], v[188:189], v[199:200]
	v_add_f64 v[6:7], v[6:7], v[129:130]
	s_clause 0x2
	buffer_load_dword v197, off, s[0:3], 0 offset:764
	buffer_load_dword v130, off, s[0:3], 0 offset:740
	;; [unrolled: 1-line block ×3, first 2 shown]
	s_waitcnt vmcnt(58) lgkmcnt(0)
	v_mul_f64 v[198:199], v[121:122], v[139:140]
	v_mul_f64 v[139:140], v[123:124], v[139:140]
	s_waitcnt vmcnt(56)
	v_fma_f64 v[137:138], v[2:3], v[145:146], -v[137:138]
	ds_read_b128 v[125:128], v1 offset:1424
	v_fma_f64 v[145:146], v[4:5], v[145:146], v[202:203]
	v_add_f64 v[133:134], v[188:189], v[133:134]
	v_add_f64 v[6:7], v[6:7], v[143:144]
	s_clause 0x4
	buffer_load_dword v144, off, s[0:3], 0 offset:780
	buffer_load_dword v188, off, s[0:3], 0 offset:792
	;; [unrolled: 1-line block ×5, first 2 shown]
	ds_read_b128 v[2:5], v1 offset:1440
	s_waitcnt vmcnt(57) lgkmcnt(1)
	v_mul_f64 v[204:205], v[125:126], v[147:148]
	v_mul_f64 v[147:148], v[127:128], v[147:148]
	s_waitcnt vmcnt(56)
	v_fma_f64 v[139:140], v[121:122], v[141:142], -v[139:140]
	v_add_f64 v[133:134], v[133:134], v[137:138]
	v_fma_f64 v[137:138], v[123:124], v[141:142], v[198:199]
	v_add_f64 v[6:7], v[6:7], v[145:146]
	s_clause 0x2
	buffer_load_dword v189, off, s[0:3], 0 offset:796
	buffer_load_dword v142, off, s[0:3], 0 offset:772
	;; [unrolled: 1-line block ×3, first 2 shown]
	s_waitcnt vmcnt(58) lgkmcnt(0)
	v_mul_f64 v[145:146], v[2:3], v[149:150]
	v_mul_f64 v[149:150], v[4:5], v[149:150]
	s_waitcnt vmcnt(56)
	v_fma_f64 v[147:148], v[125:126], v[153:154], -v[147:148]
	ds_read_b128 v[121:124], v1 offset:1456
	v_add_f64 v[133:134], v[133:134], v[139:140]
	v_fma_f64 v[139:140], v[127:128], v[153:154], v[204:205]
	v_add_f64 v[6:7], v[6:7], v[137:138]
	s_clause 0x4
	buffer_load_dword v138, off, s[0:3], 0 offset:812
	buffer_load_dword v153, off, s[0:3], 0 offset:824
	;; [unrolled: 1-line block ×5, first 2 shown]
	ds_read_b128 v[125:128], v1 offset:1472
	s_waitcnt vmcnt(57) lgkmcnt(1)
	v_mul_f64 v[199:200], v[121:122], v[155:156]
	v_mul_f64 v[155:156], v[123:124], v[155:156]
	s_waitcnt vmcnt(56)
	v_fma_f64 v[149:150], v[2:3], v[151:152], -v[149:150]
	v_fma_f64 v[145:146], v[4:5], v[151:152], v[145:146]
	v_add_f64 v[133:134], v[133:134], v[147:148]
	v_add_f64 v[6:7], v[6:7], v[139:140]
	s_clause 0x2
	buffer_load_dword v154, off, s[0:3], 0 offset:828
	buffer_load_dword v140, off, s[0:3], 0 offset:804
	;; [unrolled: 1-line block ×3, first 2 shown]
	s_waitcnt vmcnt(58) lgkmcnt(0)
	v_mul_f64 v[151:152], v[127:128], v[157:158]
	ds_read_b128 v[2:5], v1 offset:1488
	s_waitcnt vmcnt(56)
	v_fma_f64 v[155:156], v[121:122], v[161:162], -v[155:156]
	v_mul_f64 v[147:148], v[125:126], v[157:158]
	v_add_f64 v[133:134], v[133:134], v[149:150]
	v_fma_f64 v[149:150], v[123:124], v[161:162], v[199:200]
	v_add_f64 v[6:7], v[6:7], v[145:146]
	s_clause 0x4
	buffer_load_dword v146, off, s[0:3], 0 offset:844
	buffer_load_dword v157, off, s[0:3], 0 offset:856
	;; [unrolled: 1-line block ×5, first 2 shown]
	s_waitcnt vmcnt(57) lgkmcnt(0)
	v_mul_f64 v[205:206], v[2:3], v[163:164]
	v_mul_f64 v[162:163], v[4:5], v[163:164]
	s_waitcnt vmcnt(56)
	v_fma_f64 v[151:152], v[125:126], v[159:160], -v[151:152]
	ds_read_b128 v[121:124], v1 offset:1504
	v_fma_f64 v[147:148], v[127:128], v[159:160], v[147:148]
	v_add_f64 v[133:134], v[133:134], v[155:156]
	v_add_f64 v[6:7], v[6:7], v[149:150]
	s_clause 0x2
	buffer_load_dword v158, off, s[0:3], 0 offset:860
	buffer_load_dword v150, off, s[0:3], 0 offset:836
	;; [unrolled: 1-line block ×3, first 2 shown]
	ds_read_b128 v[125:128], v1 offset:1520
	s_waitcnt vmcnt(58) lgkmcnt(1)
	v_mul_f64 v[159:160], v[123:124], v[165:166]
	s_waitcnt vmcnt(56)
	v_fma_f64 v[163:164], v[2:3], v[169:170], -v[162:163]
	v_mul_f64 v[155:156], v[121:122], v[165:166]
	v_add_f64 v[133:134], v[133:134], v[151:152]
	v_fma_f64 v[151:152], v[4:5], v[169:170], v[205:206]
	v_add_f64 v[6:7], v[6:7], v[147:148]
	s_clause 0x4
	buffer_load_dword v148, off, s[0:3], 0 offset:876
	buffer_load_dword v165, off, s[0:3], 0 offset:888
	;; [unrolled: 1-line block ×5, first 2 shown]
	s_waitcnt vmcnt(57) lgkmcnt(0)
	v_mul_f64 v[205:206], v[125:126], v[171:172]
	v_mul_f64 v[170:171], v[127:128], v[171:172]
	s_waitcnt vmcnt(56)
	v_fma_f64 v[159:160], v[121:122], v[167:168], -v[159:160]
	ds_read_b128 v[2:5], v1 offset:1536
	v_fma_f64 v[155:156], v[123:124], v[167:168], v[155:156]
	v_add_f64 v[133:134], v[133:134], v[163:164]
	v_add_f64 v[6:7], v[6:7], v[151:152]
	s_clause 0x2
	buffer_load_dword v166, off, s[0:3], 0 offset:892
	buffer_load_dword v152, off, s[0:3], 0 offset:868
	;; [unrolled: 1-line block ×3, first 2 shown]
	ds_read_b128 v[121:124], v1 offset:1552
	s_waitcnt vmcnt(58) lgkmcnt(1)
	v_mul_f64 v[167:168], v[4:5], v[173:174]
	s_waitcnt vmcnt(56)
	v_fma_f64 v[171:172], v[125:126], v[177:178], -v[170:171]
	v_mul_f64 v[163:164], v[2:3], v[173:174]
	v_add_f64 v[133:134], v[133:134], v[159:160]
	v_fma_f64 v[159:160], v[127:128], v[177:178], v[205:206]
	v_add_f64 v[6:7], v[6:7], v[155:156]
	s_clause 0x2
	buffer_load_dword v156, off, s[0:3], 0 offset:908
	buffer_load_dword v155, off, s[0:3], 0 offset:904
	;; [unrolled: 1-line block ×3, first 2 shown]
	s_waitcnt vmcnt(55) lgkmcnt(0)
	v_mul_f64 v[177:178], v[123:124], v[179:180]
	s_waitcnt vmcnt(54)
	v_fma_f64 v[167:168], v[2:3], v[175:176], -v[167:168]
	ds_read_b128 v[125:128], v1 offset:1568
	v_mul_f64 v[173:174], v[121:122], v[179:180]
	v_fma_f64 v[163:164], v[4:5], v[175:176], v[163:164]
	v_add_f64 v[133:134], v[133:134], v[171:172]
	v_add_f64 v[6:7], v[6:7], v[159:160]
	s_clause 0x1
	buffer_load_dword v160, off, s[0:3], 0 offset:900
	buffer_load_dword v159, off, s[0:3], 0 offset:896
	s_waitcnt vmcnt(55) lgkmcnt(0)
	v_mul_f64 v[175:176], v[127:128], v[182:183]
	s_waitcnt vmcnt(53)
	v_fma_f64 v[177:178], v[121:122], v[186:187], -v[177:178]
	ds_read_b128 v[2:5], v1 offset:1584
	v_mul_f64 v[171:172], v[125:126], v[182:183]
	v_add_f64 v[133:134], v[133:134], v[167:168]
	v_fma_f64 v[167:168], v[123:124], v[186:187], v[173:174]
	v_add_f64 v[6:7], v[6:7], v[163:164]
	ds_read_b128 v[121:124], v1 offset:1600
	s_waitcnt vmcnt(49) lgkmcnt(1)
	v_mul_f64 v[173:174], v[4:5], v[190:191]
	s_waitcnt vmcnt(48)
	v_fma_f64 v[175:176], v[125:126], v[184:185], -v[175:176]
	v_mul_f64 v[163:164], v[2:3], v[190:191]
	v_fma_f64 v[171:172], v[127:128], v[184:185], v[171:172]
	v_add_f64 v[133:134], v[133:134], v[177:178]
	v_add_f64 v[6:7], v[6:7], v[167:168]
	s_clause 0x3
	buffer_load_dword v167, off, s[0:3], 0 offset:448
	buffer_load_dword v168, off, s[0:3], 0 offset:452
	;; [unrolled: 1-line block ×4, first 2 shown]
	ds_read_b128 v[125:128], v1 offset:1616
	s_waitcnt vmcnt(51) lgkmcnt(1)
	v_mul_f64 v[182:183], v[123:124], v[192:193]
	v_mul_f64 v[179:180], v[121:122], v[192:193]
	s_waitcnt vmcnt(49)
	v_fma_f64 v[173:174], v[2:3], v[131:132], -v[173:174]
	v_fma_f64 v[131:132], v[4:5], v[131:132], v[163:164]
	ds_read_b128 v[2:5], v1 offset:1632
	v_add_f64 v[133:134], v[133:134], v[175:176]
	v_add_f64 v[6:7], v[6:7], v[171:172]
	s_waitcnt vmcnt(45) lgkmcnt(1)
	v_mul_f64 v[163:164], v[125:126], v[135:136]
	v_mul_f64 v[135:136], v[127:128], v[135:136]
	s_waitcnt vmcnt(44)
	v_fma_f64 v[171:172], v[121:122], v[194:195], -v[182:183]
	v_add_f64 v[133:134], v[133:134], v[173:174]
	v_fma_f64 v[173:174], v[123:124], v[194:195], v[179:180]
	v_add_f64 v[6:7], v[6:7], v[131:132]
	ds_read_b128 v[121:124], v1 offset:1648
	s_waitcnt vmcnt(43) lgkmcnt(1)
	v_mul_f64 v[175:176], v[4:5], v[196:197]
	v_mul_f64 v[131:132], v[2:3], v[196:197]
	s_waitcnt vmcnt(41)
	v_fma_f64 v[135:136], v[125:126], v[129:130], -v[135:136]
	v_fma_f64 v[129:130], v[127:128], v[129:130], v[163:164]
	ds_read_b128 v[125:128], v1 offset:1664
	v_add_f64 v[133:134], v[133:134], v[171:172]
	v_add_f64 v[6:7], v[6:7], v[173:174]
	s_waitcnt vmcnt(37) lgkmcnt(1)
	v_mul_f64 v[163:164], v[121:122], v[143:144]
	v_mul_f64 v[143:144], v[123:124], v[143:144]
	s_waitcnt vmcnt(36)
	v_fma_f64 v[171:172], v[2:3], v[201:202], -v[175:176]
	v_fma_f64 v[131:132], v[4:5], v[201:202], v[131:132]
	ds_read_b128 v[2:5], v1 offset:1680
	v_add_f64 v[133:134], v[133:134], v[135:136]
	v_add_f64 v[6:7], v[6:7], v[129:130]
	s_waitcnt vmcnt(35) lgkmcnt(1)
	v_mul_f64 v[135:136], v[127:128], v[188:189]
	v_mul_f64 v[129:130], v[125:126], v[188:189]
	s_waitcnt vmcnt(33)
	v_fma_f64 v[143:144], v[121:122], v[141:142], -v[143:144]
	v_fma_f64 v[141:142], v[123:124], v[141:142], v[163:164]
	ds_read_b128 v[121:124], v1 offset:1696
	v_add_f64 v[133:134], v[133:134], v[171:172]
	v_add_f64 v[6:7], v[6:7], v[131:132]
	s_waitcnt vmcnt(29) lgkmcnt(1)
	v_mul_f64 v[131:132], v[2:3], v[137:138]
	v_mul_f64 v[137:138], v[4:5], v[137:138]
	s_waitcnt vmcnt(28)
	v_fma_f64 v[135:136], v[125:126], v[203:204], -v[135:136]
	v_fma_f64 v[129:130], v[127:128], v[203:204], v[129:130]
	ds_read_b128 v[125:128], v1 offset:1712
	v_add_f64 v[133:134], v[133:134], v[143:144]
	v_add_f64 v[6:7], v[6:7], v[141:142]
	s_waitcnt vmcnt(27) lgkmcnt(1)
	v_mul_f64 v[143:144], v[123:124], v[153:154]
	v_mul_f64 v[141:142], v[121:122], v[153:154]
	s_waitcnt vmcnt(25)
	v_fma_f64 v[137:138], v[2:3], v[139:140], -v[137:138]
	v_fma_f64 v[131:132], v[4:5], v[139:140], v[131:132]
	ds_read_b128 v[2:5], v1 offset:1728
	v_add_f64 v[133:134], v[133:134], v[135:136]
	v_add_f64 v[6:7], v[6:7], v[129:130]
	s_waitcnt vmcnt(21) lgkmcnt(1)
	v_mul_f64 v[135:136], v[127:128], v[145:146]
	s_waitcnt vmcnt(20)
	v_fma_f64 v[139:140], v[121:122], v[198:199], -v[143:144]
	v_mul_f64 v[129:130], v[125:126], v[145:146]
	v_add_f64 v[133:134], v[133:134], v[137:138]
	v_fma_f64 v[137:138], v[123:124], v[198:199], v[141:142]
	v_add_f64 v[6:7], v[6:7], v[131:132]
	ds_read_b128 v[121:124], v1 offset:1744
	s_waitcnt vmcnt(19) lgkmcnt(1)
	v_mul_f64 v[141:142], v[4:5], v[157:158]
	v_mul_f64 v[131:132], v[2:3], v[157:158]
	s_waitcnt vmcnt(17)
	v_fma_f64 v[135:136], v[125:126], v[149:150], -v[135:136]
	v_fma_f64 v[129:130], v[127:128], v[149:150], v[129:130]
	ds_read_b128 v[125:128], v1 offset:1760
	v_add_f64 v[133:134], v[133:134], v[139:140]
	v_add_f64 v[6:7], v[6:7], v[137:138]
	s_waitcnt vmcnt(13) lgkmcnt(1)
	v_mul_f64 v[139:140], v[123:124], v[147:148]
	s_waitcnt vmcnt(12)
	v_fma_f64 v[141:142], v[2:3], v[161:162], -v[141:142]
	v_mul_f64 v[137:138], v[121:122], v[147:148]
	v_fma_f64 v[131:132], v[4:5], v[161:162], v[131:132]
	ds_read_b128 v[1:4], v1 offset:1776
	v_add_f64 v[133:134], v[133:134], v[135:136]
	v_add_f64 v[5:6], v[6:7], v[129:130]
	s_waitcnt vmcnt(11) lgkmcnt(1)
	v_mul_f64 v[129:130], v[127:128], v[165:166]
	v_mul_f64 v[7:8], v[125:126], v[165:166]
	s_waitcnt vmcnt(9)
	v_fma_f64 v[121:122], v[121:122], v[151:152], -v[139:140]
	v_fma_f64 v[123:124], v[123:124], v[151:152], v[137:138]
	v_add_f64 v[133:134], v[133:134], v[141:142]
	v_add_f64 v[5:6], v[5:6], v[131:132]
	s_waitcnt vmcnt(7) lgkmcnt(0)
	v_mul_f64 v[135:136], v[3:4], v[155:156]
	s_waitcnt vmcnt(6)
	v_fma_f64 v[125:126], v[125:126], v[169:170], -v[129:130]
	v_mul_f64 v[131:132], v[1:2], v[155:156]
	v_fma_f64 v[7:8], v[127:128], v[169:170], v[7:8]
	v_add_f64 v[121:122], v[133:134], v[121:122]
	v_add_f64 v[5:6], v[5:6], v[123:124]
	s_waitcnt vmcnt(4)
	v_fma_f64 v[1:2], v[1:2], v[159:160], -v[135:136]
	v_fma_f64 v[3:4], v[3:4], v[159:160], v[131:132]
	v_add_f64 v[121:122], v[121:122], v[125:126]
	v_add_f64 v[5:6], v[5:6], v[7:8]
	;; [unrolled: 1-line block ×4, first 2 shown]
	s_waitcnt vmcnt(2)
	v_add_f64 v[1:2], v[167:168], -v[1:2]
	s_waitcnt vmcnt(0)
	v_add_f64 v[3:4], v[177:178], -v[3:4]
	buffer_store_dword v2, off, s[0:3], 0 offset:452
	buffer_store_dword v1, off, s[0:3], 0 offset:448
	buffer_store_dword v4, off, s[0:3], 0 offset:460
	buffer_store_dword v3, off, s[0:3], 0 offset:456
	v_cmpx_lt_u32_e32 26, v0
	s_cbranch_execz .LBB119_297
; %bb.296:
	v_mov_b32_e32 v4, s42
	v_mov_b32_e32 v5, 0
	s_clause 0x3
	buffer_load_dword v1, v4, s[0:3], 0 offen
	buffer_load_dword v2, v4, s[0:3], 0 offen offset:4
	buffer_load_dword v3, v4, s[0:3], 0 offen offset:8
	;; [unrolled: 1-line block ×3, first 2 shown]
	buffer_store_dword v5, off, s[0:3], 0 offset:432
	buffer_store_dword v5, off, s[0:3], 0 offset:436
	;; [unrolled: 1-line block ×4, first 2 shown]
	s_waitcnt vmcnt(0)
	ds_write_b128 v181, v[1:4]
.LBB119_297:
	s_or_b32 exec_lo, exec_lo, s4
	s_waitcnt lgkmcnt(0)
	s_waitcnt_vscnt null, 0x0
	s_barrier
	buffer_gl0_inv
	s_clause 0x37
	buffer_load_dword v121, off, s[0:3], 0 offset:456
	buffer_load_dword v122, off, s[0:3], 0 offset:460
	buffer_load_dword v132, off, s[0:3], 0 offset:472
	buffer_load_dword v133, off, s[0:3], 0 offset:476
	buffer_load_dword v134, off, s[0:3], 0 offset:448
	buffer_load_dword v135, off, s[0:3], 0 offset:452
	buffer_load_dword v3, off, s[0:3], 0 offset:488
	buffer_load_dword v4, off, s[0:3], 0 offset:492
	buffer_load_dword v1, off, s[0:3], 0 offset:464
	buffer_load_dword v2, off, s[0:3], 0 offset:468
	buffer_load_dword v137, off, s[0:3], 0 offset:508
	buffer_load_dword v138, off, s[0:3], 0 offset:520
	buffer_load_dword v140, off, s[0:3], 0 offset:512
	buffer_load_dword v136, off, s[0:3], 0 offset:504
	buffer_load_dword v142, off, s[0:3], 0 offset:480
	buffer_load_dword v143, off, s[0:3], 0 offset:484
	buffer_load_dword v139, off, s[0:3], 0 offset:524
	buffer_load_dword v145, off, s[0:3], 0 offset:500
	buffer_load_dword v144, off, s[0:3], 0 offset:496
	buffer_load_dword v147, off, s[0:3], 0 offset:540
	buffer_load_dword v148, off, s[0:3], 0 offset:552
	buffer_load_dword v150, off, s[0:3], 0 offset:544
	buffer_load_dword v146, off, s[0:3], 0 offset:536
	buffer_load_dword v141, off, s[0:3], 0 offset:516
	buffer_load_dword v149, off, s[0:3], 0 offset:556
	buffer_load_dword v153, off, s[0:3], 0 offset:532
	buffer_load_dword v152, off, s[0:3], 0 offset:528
	buffer_load_dword v155, off, s[0:3], 0 offset:572
	buffer_load_dword v156, off, s[0:3], 0 offset:584
	buffer_load_dword v158, off, s[0:3], 0 offset:576
	buffer_load_dword v154, off, s[0:3], 0 offset:568
	buffer_load_dword v151, off, s[0:3], 0 offset:548
	buffer_load_dword v157, off, s[0:3], 0 offset:588
	buffer_load_dword v161, off, s[0:3], 0 offset:564
	buffer_load_dword v160, off, s[0:3], 0 offset:560
	buffer_load_dword v163, off, s[0:3], 0 offset:604
	buffer_load_dword v164, off, s[0:3], 0 offset:616
	buffer_load_dword v166, off, s[0:3], 0 offset:608
	buffer_load_dword v162, off, s[0:3], 0 offset:600
	buffer_load_dword v159, off, s[0:3], 0 offset:580
	buffer_load_dword v165, off, s[0:3], 0 offset:620
	buffer_load_dword v169, off, s[0:3], 0 offset:596
	buffer_load_dword v168, off, s[0:3], 0 offset:592
	buffer_load_dword v171, off, s[0:3], 0 offset:636
	buffer_load_dword v172, off, s[0:3], 0 offset:648
	buffer_load_dword v174, off, s[0:3], 0 offset:640
	buffer_load_dword v170, off, s[0:3], 0 offset:632
	buffer_load_dword v167, off, s[0:3], 0 offset:612
	buffer_load_dword v173, off, s[0:3], 0 offset:652
	buffer_load_dword v177, off, s[0:3], 0 offset:628
	buffer_load_dword v176, off, s[0:3], 0 offset:624
	buffer_load_dword v179, off, s[0:3], 0 offset:668
	buffer_load_dword v182, off, s[0:3], 0 offset:680
	buffer_load_dword v184, off, s[0:3], 0 offset:672
	buffer_load_dword v178, off, s[0:3], 0 offset:664
	buffer_load_dword v175, off, s[0:3], 0 offset:644
	v_mov_b32_e32 v123, 0
	s_mov_b32 s4, exec_lo
	ds_read_b128 v[5:8], v123 offset:1328
	s_clause 0x2
	buffer_load_dword v183, off, s[0:3], 0 offset:684
	buffer_load_dword v187, off, s[0:3], 0 offset:660
	;; [unrolled: 1-line block ×3, first 2 shown]
	ds_read_b128 v[124:127], v123 offset:1344
	s_clause 0x4
	buffer_load_dword v191, off, s[0:3], 0 offset:700
	buffer_load_dword v192, off, s[0:3], 0 offset:712
	;; [unrolled: 1-line block ×5, first 2 shown]
	ds_read_b128 v[128:131], v123 offset:1360
	s_waitcnt vmcnt(62) lgkmcnt(2)
	v_mul_f64 v[188:189], v[7:8], v[121:122]
	v_mul_f64 v[121:122], v[5:6], v[121:122]
	s_waitcnt vmcnt(60) lgkmcnt(1)
	v_mul_f64 v[195:196], v[126:127], v[132:133]
	v_mul_f64 v[132:133], v[124:125], v[132:133]
	s_waitcnt vmcnt(56) lgkmcnt(0)
	v_mul_f64 v[199:200], v[130:131], v[3:4]
	v_mul_f64 v[197:198], v[128:129], v[3:4]
	v_fma_f64 v[188:189], v[5:6], v[134:135], -v[188:189]
	v_fma_f64 v[121:122], v[7:8], v[134:135], v[121:122]
	s_clause 0x2
	buffer_load_dword v193, off, s[0:3], 0 offset:716
	buffer_load_dword v135, off, s[0:3], 0 offset:692
	;; [unrolled: 1-line block ×3, first 2 shown]
	s_waitcnt vmcnt(57)
	v_fma_f64 v[124:125], v[124:125], v[1:2], -v[195:196]
	ds_read_b128 v[5:8], v123 offset:1376
	v_fma_f64 v[126:127], v[126:127], v[1:2], v[132:133]
	s_clause 0x4
	buffer_load_dword v133, off, s[0:3], 0 offset:732
	buffer_load_dword v196, off, s[0:3], 0 offset:744
	;; [unrolled: 1-line block ×5, first 2 shown]
	s_waitcnt vmcnt(56)
	v_fma_f64 v[128:129], v[128:129], v[142:143], -v[199:200]
	ds_read_b128 v[1:4], v123 offset:1392
	v_fma_f64 v[130:131], v[130:131], v[142:143], v[197:198]
	s_clause 0x2
	buffer_load_dword v197, off, s[0:3], 0 offset:748
	buffer_load_dword v143, off, s[0:3], 0 offset:724
	;; [unrolled: 1-line block ×3, first 2 shown]
	v_add_f64 v[188:189], v[188:189], 0
	v_add_f64 v[121:122], v[121:122], 0
	s_waitcnt lgkmcnt(1)
	v_mul_f64 v[202:203], v[5:6], v[136:137]
	v_mul_f64 v[136:137], v[7:8], v[136:137]
	s_waitcnt vmcnt(58) lgkmcnt(0)
	v_mul_f64 v[198:199], v[1:2], v[138:139]
	v_mul_f64 v[138:139], v[3:4], v[138:139]
	v_add_f64 v[188:189], v[188:189], v[124:125]
	v_add_f64 v[121:122], v[121:122], v[126:127]
	ds_read_b128 v[124:127], v123 offset:1408
	s_waitcnt vmcnt(56)
	v_fma_f64 v[136:137], v[5:6], v[144:145], -v[136:137]
	v_fma_f64 v[144:145], v[7:8], v[144:145], v[202:203]
	s_waitcnt vmcnt(51)
	v_fma_f64 v[138:139], v[1:2], v[140:141], -v[138:139]
	s_waitcnt lgkmcnt(0)
	v_mul_f64 v[204:205], v[124:125], v[146:147]
	v_add_f64 v[128:129], v[188:189], v[128:129]
	v_add_f64 v[121:122], v[121:122], v[130:131]
	s_clause 0x4
	buffer_load_dword v131, off, s[0:3], 0 offset:764
	buffer_load_dword v188, off, s[0:3], 0 offset:776
	;; [unrolled: 1-line block ×5, first 2 shown]
	v_mul_f64 v[146:147], v[126:127], v[146:147]
	ds_read_b128 v[5:8], v123 offset:1424
	v_add_f64 v[128:129], v[128:129], v[136:137]
	v_fma_f64 v[136:137], v[3:4], v[140:141], v[198:199]
	v_add_f64 v[121:122], v[121:122], v[144:145]
	s_clause 0x2
	buffer_load_dword v189, off, s[0:3], 0 offset:780
	buffer_load_dword v141, off, s[0:3], 0 offset:756
	;; [unrolled: 1-line block ×3, first 2 shown]
	s_waitcnt vmcnt(58) lgkmcnt(0)
	v_mul_f64 v[144:145], v[5:6], v[148:149]
	v_mul_f64 v[148:149], v[7:8], v[148:149]
	s_waitcnt vmcnt(56)
	v_fma_f64 v[146:147], v[124:125], v[152:153], -v[146:147]
	ds_read_b128 v[1:4], v123 offset:1440
	v_add_f64 v[128:129], v[128:129], v[138:139]
	v_fma_f64 v[138:139], v[126:127], v[152:153], v[204:205]
	v_add_f64 v[121:122], v[121:122], v[136:137]
	s_clause 0x4
	buffer_load_dword v137, off, s[0:3], 0 offset:796
	buffer_load_dword v152, off, s[0:3], 0 offset:808
	buffer_load_dword v198, off, s[0:3], 0 offset:800
	buffer_load_dword v136, off, s[0:3], 0 offset:792
	buffer_load_dword v204, off, s[0:3], 0 offset:772
	ds_read_b128 v[124:127], v123 offset:1456
	s_waitcnt vmcnt(57) lgkmcnt(1)
	v_mul_f64 v[199:200], v[1:2], v[154:155]
	v_mul_f64 v[154:155], v[3:4], v[154:155]
	s_waitcnt vmcnt(56)
	v_fma_f64 v[148:149], v[5:6], v[150:151], -v[148:149]
	v_fma_f64 v[144:145], v[7:8], v[150:151], v[144:145]
	v_add_f64 v[128:129], v[128:129], v[146:147]
	v_add_f64 v[121:122], v[121:122], v[138:139]
	s_clause 0x2
	buffer_load_dword v153, off, s[0:3], 0 offset:812
	buffer_load_dword v139, off, s[0:3], 0 offset:788
	;; [unrolled: 1-line block ×3, first 2 shown]
	s_waitcnt vmcnt(58) lgkmcnt(0)
	v_mul_f64 v[150:151], v[126:127], v[156:157]
	ds_read_b128 v[5:8], v123 offset:1472
	s_waitcnt vmcnt(56)
	v_fma_f64 v[154:155], v[1:2], v[160:161], -v[154:155]
	v_mul_f64 v[146:147], v[124:125], v[156:157]
	v_add_f64 v[128:129], v[128:129], v[148:149]
	v_fma_f64 v[148:149], v[3:4], v[160:161], v[199:200]
	v_add_f64 v[121:122], v[121:122], v[144:145]
	s_clause 0x4
	buffer_load_dword v145, off, s[0:3], 0 offset:828
	buffer_load_dword v156, off, s[0:3], 0 offset:840
	buffer_load_dword v160, off, s[0:3], 0 offset:832
	buffer_load_dword v144, off, s[0:3], 0 offset:824
	buffer_load_dword v199, off, s[0:3], 0 offset:804
	s_waitcnt vmcnt(57) lgkmcnt(0)
	v_mul_f64 v[205:206], v[5:6], v[162:163]
	v_mul_f64 v[161:162], v[7:8], v[162:163]
	s_waitcnt vmcnt(56)
	v_fma_f64 v[150:151], v[124:125], v[158:159], -v[150:151]
	ds_read_b128 v[1:4], v123 offset:1488
	v_fma_f64 v[146:147], v[126:127], v[158:159], v[146:147]
	v_add_f64 v[128:129], v[128:129], v[154:155]
	v_add_f64 v[121:122], v[121:122], v[148:149]
	s_clause 0x2
	buffer_load_dword v157, off, s[0:3], 0 offset:844
	buffer_load_dword v149, off, s[0:3], 0 offset:820
	buffer_load_dword v148, off, s[0:3], 0 offset:816
	ds_read_b128 v[124:127], v123 offset:1504
	s_waitcnt vmcnt(58) lgkmcnt(1)
	v_mul_f64 v[158:159], v[3:4], v[164:165]
	s_waitcnt vmcnt(56)
	v_fma_f64 v[162:163], v[5:6], v[168:169], -v[161:162]
	v_mul_f64 v[154:155], v[1:2], v[164:165]
	v_add_f64 v[128:129], v[128:129], v[150:151]
	v_fma_f64 v[150:151], v[7:8], v[168:169], v[205:206]
	v_add_f64 v[121:122], v[121:122], v[146:147]
	s_clause 0x4
	buffer_load_dword v147, off, s[0:3], 0 offset:860
	buffer_load_dword v164, off, s[0:3], 0 offset:872
	buffer_load_dword v168, off, s[0:3], 0 offset:864
	buffer_load_dword v146, off, s[0:3], 0 offset:856
	buffer_load_dword v161, off, s[0:3], 0 offset:836
	s_waitcnt vmcnt(57) lgkmcnt(0)
	v_mul_f64 v[205:206], v[124:125], v[170:171]
	v_mul_f64 v[169:170], v[126:127], v[170:171]
	s_waitcnt vmcnt(56)
	v_fma_f64 v[158:159], v[1:2], v[166:167], -v[158:159]
	ds_read_b128 v[5:8], v123 offset:1520
	v_fma_f64 v[154:155], v[3:4], v[166:167], v[154:155]
	v_add_f64 v[128:129], v[128:129], v[162:163]
	v_add_f64 v[121:122], v[121:122], v[150:151]
	s_clause 0x2
	buffer_load_dword v165, off, s[0:3], 0 offset:876
	buffer_load_dword v151, off, s[0:3], 0 offset:852
	buffer_load_dword v150, off, s[0:3], 0 offset:848
	ds_read_b128 v[1:4], v123 offset:1536
	s_waitcnt vmcnt(58) lgkmcnt(1)
	v_mul_f64 v[166:167], v[7:8], v[172:173]
	;; [unrolled: 28-line block ×3, first 2 shown]
	s_waitcnt vmcnt(56)
	v_fma_f64 v[178:179], v[1:2], v[186:187], -v[177:178]
	v_mul_f64 v[170:171], v[124:125], v[182:183]
	buffer_load_dword v177, off, s[0:3], 0 offset:900
	v_add_f64 v[128:129], v[128:129], v[166:167]
	v_fma_f64 v[166:167], v[3:4], v[186:187], v[205:206]
	v_add_f64 v[121:122], v[121:122], v[162:163]
	ds_read_b128 v[1:4], v123 offset:1584
	s_waitcnt vmcnt(53) lgkmcnt(1)
	v_mul_f64 v[182:183], v[7:8], v[190:191]
	s_waitcnt vmcnt(52)
	v_fma_f64 v[174:175], v[124:125], v[184:185], -v[174:175]
	v_mul_f64 v[162:163], v[5:6], v[190:191]
	v_fma_f64 v[170:171], v[126:127], v[184:185], v[170:171]
	ds_read_b128 v[124:127], v123 offset:1600
	v_add_f64 v[128:129], v[128:129], v[178:179]
	v_add_f64 v[121:122], v[121:122], v[166:167]
	s_waitcnt vmcnt(51) lgkmcnt(1)
	v_mul_f64 v[178:179], v[3:4], v[192:193]
	v_mul_f64 v[166:167], v[1:2], v[192:193]
	s_waitcnt vmcnt(49)
	v_fma_f64 v[182:183], v[5:6], v[134:135], -v[182:183]
	v_fma_f64 v[134:135], v[7:8], v[134:135], v[162:163]
	v_add_f64 v[128:129], v[128:129], v[174:175]
	s_waitcnt vmcnt(45) lgkmcnt(0)
	v_mul_f64 v[174:175], v[124:125], v[132:133]
	v_add_f64 v[121:122], v[121:122], v[170:171]
	s_clause 0x3
	buffer_load_dword v162, off, s[0:3], 0 offset:432
	buffer_load_dword v163, off, s[0:3], 0 offset:436
	;; [unrolled: 1-line block ×4, first 2 shown]
	v_mul_f64 v[132:133], v[126:127], v[132:133]
	ds_read_b128 v[5:8], v123 offset:1616
	s_waitcnt vmcnt(48)
	v_fma_f64 v[178:179], v[1:2], v[194:195], -v[178:179]
	v_fma_f64 v[166:167], v[3:4], v[194:195], v[166:167]
	ds_read_b128 v[1:4], v123 offset:1632
	v_add_f64 v[128:129], v[128:129], v[182:183]
	v_add_f64 v[121:122], v[121:122], v[134:135]
	s_waitcnt vmcnt(47) lgkmcnt(1)
	v_mul_f64 v[182:183], v[7:8], v[196:197]
	s_waitcnt vmcnt(45)
	v_fma_f64 v[132:133], v[124:125], v[142:143], -v[132:133]
	v_mul_f64 v[134:135], v[5:6], v[196:197]
	v_fma_f64 v[142:143], v[126:127], v[142:143], v[174:175]
	ds_read_b128 v[124:127], v123 offset:1648
	v_add_f64 v[128:129], v[128:129], v[178:179]
	v_add_f64 v[121:122], v[121:122], v[166:167]
	s_waitcnt vmcnt(41) lgkmcnt(1)
	v_mul_f64 v[166:167], v[1:2], v[130:131]
	v_mul_f64 v[130:131], v[3:4], v[130:131]
	s_waitcnt vmcnt(40)
	v_fma_f64 v[174:175], v[5:6], v[201:202], -v[182:183]
	v_add_f64 v[128:129], v[128:129], v[132:133]
	v_fma_f64 v[132:133], v[7:8], v[201:202], v[134:135]
	v_add_f64 v[121:122], v[121:122], v[142:143]
	ds_read_b128 v[5:8], v123 offset:1664
	s_waitcnt vmcnt(39) lgkmcnt(1)
	v_mul_f64 v[142:143], v[126:127], v[188:189]
	v_mul_f64 v[134:135], v[124:125], v[188:189]
	s_waitcnt vmcnt(37)
	v_fma_f64 v[130:131], v[1:2], v[140:141], -v[130:131]
	v_fma_f64 v[140:141], v[3:4], v[140:141], v[166:167]
	ds_read_b128 v[1:4], v123 offset:1680
	v_add_f64 v[128:129], v[128:129], v[174:175]
	v_add_f64 v[121:122], v[121:122], v[132:133]
	s_waitcnt vmcnt(33) lgkmcnt(1)
	v_mul_f64 v[132:133], v[5:6], v[136:137]
	v_mul_f64 v[136:137], v[7:8], v[136:137]
	s_waitcnt vmcnt(32)
	v_fma_f64 v[142:143], v[124:125], v[203:204], -v[142:143]
	v_add_f64 v[128:129], v[128:129], v[130:131]
	v_fma_f64 v[130:131], v[126:127], v[203:204], v[134:135]
	v_add_f64 v[121:122], v[121:122], v[140:141]
	ds_read_b128 v[124:127], v123 offset:1696
	s_waitcnt vmcnt(31) lgkmcnt(1)
	v_mul_f64 v[140:141], v[3:4], v[152:153]
	v_mul_f64 v[134:135], v[1:2], v[152:153]
	s_waitcnt vmcnt(29)
	v_fma_f64 v[136:137], v[5:6], v[138:139], -v[136:137]
	v_fma_f64 v[132:133], v[7:8], v[138:139], v[132:133]
	ds_read_b128 v[5:8], v123 offset:1712
	v_add_f64 v[128:129], v[128:129], v[142:143]
	v_add_f64 v[121:122], v[121:122], v[130:131]
	s_waitcnt vmcnt(25) lgkmcnt(1)
	v_mul_f64 v[138:139], v[126:127], v[144:145]
	s_waitcnt vmcnt(24)
	v_fma_f64 v[140:141], v[1:2], v[198:199], -v[140:141]
	v_mul_f64 v[130:131], v[124:125], v[144:145]
	v_fma_f64 v[134:135], v[3:4], v[198:199], v[134:135]
	ds_read_b128 v[1:4], v123 offset:1728
	v_add_f64 v[128:129], v[128:129], v[136:137]
	v_add_f64 v[121:122], v[121:122], v[132:133]
	s_waitcnt vmcnt(23) lgkmcnt(1)
	v_mul_f64 v[136:137], v[7:8], v[156:157]
	v_mul_f64 v[132:133], v[5:6], v[156:157]
	s_waitcnt vmcnt(21)
	v_fma_f64 v[138:139], v[124:125], v[148:149], -v[138:139]
	v_fma_f64 v[130:131], v[126:127], v[148:149], v[130:131]
	ds_read_b128 v[124:127], v123 offset:1744
	v_add_f64 v[128:129], v[128:129], v[140:141]
	v_add_f64 v[121:122], v[121:122], v[134:135]
	s_waitcnt vmcnt(17) lgkmcnt(1)
	v_mul_f64 v[140:141], v[3:4], v[146:147]
	s_waitcnt vmcnt(16)
	v_fma_f64 v[136:137], v[5:6], v[160:161], -v[136:137]
	v_mul_f64 v[134:135], v[1:2], v[146:147]
	v_fma_f64 v[132:133], v[7:8], v[160:161], v[132:133]
	ds_read_b128 v[5:8], v123 offset:1760
	v_add_f64 v[128:129], v[128:129], v[138:139]
	v_add_f64 v[121:122], v[121:122], v[130:131]
	s_waitcnt vmcnt(15) lgkmcnt(1)
	v_mul_f64 v[138:139], v[126:127], v[164:165]
	v_mul_f64 v[130:131], v[124:125], v[164:165]
	s_waitcnt vmcnt(13)
	v_fma_f64 v[140:141], v[1:2], v[150:151], -v[140:141]
	v_fma_f64 v[134:135], v[3:4], v[150:151], v[134:135]
	ds_read_b128 v[1:4], v123 offset:1776
	v_add_f64 v[128:129], v[128:129], v[136:137]
	v_add_f64 v[121:122], v[121:122], v[132:133]
	s_waitcnt vmcnt(9) lgkmcnt(1)
	v_mul_f64 v[136:137], v[7:8], v[154:155]
	s_waitcnt vmcnt(8)
	v_fma_f64 v[124:125], v[124:125], v[168:169], -v[138:139]
	v_mul_f64 v[132:133], v[5:6], v[154:155]
	v_fma_f64 v[126:127], v[126:127], v[168:169], v[130:131]
	v_add_f64 v[128:129], v[128:129], v[140:141]
	v_add_f64 v[121:122], v[121:122], v[134:135]
	s_waitcnt vmcnt(7) lgkmcnt(0)
	v_mul_f64 v[134:135], v[3:4], v[172:173]
	v_mul_f64 v[130:131], v[1:2], v[172:173]
	s_waitcnt vmcnt(5)
	v_fma_f64 v[5:6], v[5:6], v[158:159], -v[136:137]
	v_fma_f64 v[7:8], v[7:8], v[158:159], v[132:133]
	v_add_f64 v[124:125], v[128:129], v[124:125]
	v_add_f64 v[121:122], v[121:122], v[126:127]
	s_waitcnt vmcnt(4)
	v_fma_f64 v[1:2], v[1:2], v[176:177], -v[134:135]
	v_fma_f64 v[3:4], v[3:4], v[176:177], v[130:131]
	v_add_f64 v[5:6], v[124:125], v[5:6]
	v_add_f64 v[7:8], v[121:122], v[7:8]
	;; [unrolled: 1-line block ×4, first 2 shown]
	s_waitcnt vmcnt(2)
	v_add_f64 v[1:2], v[162:163], -v[1:2]
	s_waitcnt vmcnt(0)
	v_add_f64 v[3:4], v[170:171], -v[3:4]
	buffer_store_dword v2, off, s[0:3], 0 offset:436
	buffer_store_dword v1, off, s[0:3], 0 offset:432
	;; [unrolled: 1-line block ×4, first 2 shown]
	v_cmpx_lt_u32_e32 25, v0
	s_cbranch_execz .LBB119_299
; %bb.298:
	v_mov_b32_e32 v4, s43
	s_clause 0x3
	buffer_load_dword v1, v4, s[0:3], 0 offen
	buffer_load_dword v2, v4, s[0:3], 0 offen offset:4
	buffer_load_dword v3, v4, s[0:3], 0 offen offset:8
	;; [unrolled: 1-line block ×3, first 2 shown]
	buffer_store_dword v123, off, s[0:3], 0 offset:416
	buffer_store_dword v123, off, s[0:3], 0 offset:420
	;; [unrolled: 1-line block ×4, first 2 shown]
	s_waitcnt vmcnt(0)
	ds_write_b128 v181, v[1:4]
.LBB119_299:
	s_or_b32 exec_lo, exec_lo, s4
	s_waitcnt lgkmcnt(0)
	s_waitcnt_vscnt null, 0x0
	s_barrier
	buffer_gl0_inv
	s_clause 0x37
	buffer_load_dword v121, off, s[0:3], 0 offset:440
	buffer_load_dword v122, off, s[0:3], 0 offset:444
	;; [unrolled: 1-line block ×56, first 2 shown]
	ds_read_b128 v[124:127], v123 offset:1312
	s_clause 0x2
	buffer_load_dword v183, off, s[0:3], 0 offset:668
	buffer_load_dword v187, off, s[0:3], 0 offset:644
	;; [unrolled: 1-line block ×3, first 2 shown]
	ds_read_b128 v[128:131], v123 offset:1328
	s_clause 0x4
	buffer_load_dword v191, off, s[0:3], 0 offset:684
	buffer_load_dword v192, off, s[0:3], 0 offset:696
	;; [unrolled: 1-line block ×5, first 2 shown]
	ds_read_b128 v[132:135], v123 offset:1344
	s_clause 0x2
	buffer_load_dword v193, off, s[0:3], 0 offset:700
	buffer_load_dword v198, off, s[0:3], 0 offset:676
	;; [unrolled: 1-line block ×3, first 2 shown]
	s_mov_b32 s4, exec_lo
	s_waitcnt vmcnt(62) lgkmcnt(2)
	v_mul_f64 v[188:189], v[126:127], v[121:122]
	v_mul_f64 v[121:122], v[124:125], v[121:122]
	s_waitcnt lgkmcnt(1)
	v_mul_f64 v[195:196], v[130:131], v[5:6]
	s_waitcnt vmcnt(59) lgkmcnt(0)
	v_mul_f64 v[199:200], v[134:135], v[3:4]
	v_fma_f64 v[124:125], v[124:125], v[7:8], -v[188:189]
	v_mul_f64 v[188:189], v[128:129], v[5:6]
	v_fma_f64 v[121:122], v[126:127], v[7:8], v[121:122]
	s_waitcnt vmcnt(57)
	v_fma_f64 v[128:129], v[128:129], v[1:2], -v[195:196]
	ds_read_b128 v[5:8], v123 offset:1360
	v_mul_f64 v[126:127], v[132:133], v[3:4]
	s_waitcnt vmcnt(51)
	v_fma_f64 v[132:133], v[132:133], v[142:143], -v[199:200]
	v_add_f64 v[124:125], v[124:125], 0
	v_fma_f64 v[130:131], v[130:131], v[1:2], v[188:189]
	v_add_f64 v[121:122], v[121:122], 0
	s_clause 0x4
	buffer_load_dword v189, off, s[0:3], 0 offset:716
	buffer_load_dword v201, off, s[0:3], 0 offset:728
	;; [unrolled: 1-line block ×5, first 2 shown]
	s_waitcnt lgkmcnt(0)
	v_mul_f64 v[204:205], v[5:6], v[136:137]
	v_mul_f64 v[136:137], v[7:8], v[136:137]
	ds_read_b128 v[1:4], v123 offset:1376
	v_fma_f64 v[134:135], v[134:135], v[142:143], v[126:127]
	v_add_f64 v[128:129], v[124:125], v[128:129]
	v_add_f64 v[121:122], v[121:122], v[130:131]
	s_clause 0x2
	buffer_load_dword v202, off, s[0:3], 0 offset:732
	buffer_load_dword v131, off, s[0:3], 0 offset:708
	;; [unrolled: 1-line block ×3, first 2 shown]
	s_waitcnt vmcnt(58) lgkmcnt(0)
	v_mul_f64 v[142:143], v[1:2], v[138:139]
	v_mul_f64 v[138:139], v[3:4], v[138:139]
	s_waitcnt vmcnt(56)
	v_fma_f64 v[136:137], v[5:6], v[144:145], -v[136:137]
	ds_read_b128 v[124:127], v123 offset:1392
	v_add_f64 v[128:129], v[128:129], v[132:133]
	v_fma_f64 v[132:133], v[7:8], v[144:145], v[204:205]
	v_add_f64 v[121:122], v[121:122], v[134:135]
	s_clause 0x4
	buffer_load_dword v135, off, s[0:3], 0 offset:748
	buffer_load_dword v144, off, s[0:3], 0 offset:760
	buffer_load_dword v199, off, s[0:3], 0 offset:752
	buffer_load_dword v134, off, s[0:3], 0 offset:744
	buffer_load_dword v204, off, s[0:3], 0 offset:724
	ds_read_b128 v[5:8], v123 offset:1408
	s_waitcnt vmcnt(57) lgkmcnt(1)
	v_mul_f64 v[205:206], v[124:125], v[146:147]
	v_mul_f64 v[146:147], v[126:127], v[146:147]
	s_waitcnt vmcnt(56)
	v_fma_f64 v[138:139], v[1:2], v[140:141], -v[138:139]
	v_add_f64 v[128:129], v[128:129], v[136:137]
	v_fma_f64 v[136:137], v[3:4], v[140:141], v[142:143]
	v_add_f64 v[121:122], v[121:122], v[132:133]
	s_clause 0x2
	buffer_load_dword v145, off, s[0:3], 0 offset:764
	buffer_load_dword v133, off, s[0:3], 0 offset:740
	;; [unrolled: 1-line block ×3, first 2 shown]
	s_waitcnt vmcnt(58) lgkmcnt(0)
	v_mul_f64 v[142:143], v[7:8], v[148:149]
	ds_read_b128 v[1:4], v123 offset:1424
	s_waitcnt vmcnt(56)
	v_fma_f64 v[146:147], v[124:125], v[152:153], -v[146:147]
	v_mul_f64 v[140:141], v[5:6], v[148:149]
	v_add_f64 v[128:129], v[128:129], v[138:139]
	v_fma_f64 v[138:139], v[126:127], v[152:153], v[205:206]
	v_add_f64 v[121:122], v[121:122], v[136:137]
	s_clause 0x4
	buffer_load_dword v137, off, s[0:3], 0 offset:780
	buffer_load_dword v148, off, s[0:3], 0 offset:792
	buffer_load_dword v152, off, s[0:3], 0 offset:784
	buffer_load_dword v136, off, s[0:3], 0 offset:776
	buffer_load_dword v200, off, s[0:3], 0 offset:756
	s_waitcnt vmcnt(57) lgkmcnt(0)
	v_mul_f64 v[205:206], v[1:2], v[154:155]
	v_mul_f64 v[153:154], v[3:4], v[154:155]
	s_waitcnt vmcnt(56)
	v_fma_f64 v[142:143], v[5:6], v[150:151], -v[142:143]
	ds_read_b128 v[124:127], v123 offset:1440
	v_fma_f64 v[140:141], v[7:8], v[150:151], v[140:141]
	v_add_f64 v[128:129], v[128:129], v[146:147]
	v_add_f64 v[121:122], v[121:122], v[138:139]
	s_clause 0x2
	buffer_load_dword v149, off, s[0:3], 0 offset:796
	buffer_load_dword v139, off, s[0:3], 0 offset:772
	buffer_load_dword v138, off, s[0:3], 0 offset:768
	ds_read_b128 v[5:8], v123 offset:1456
	s_waitcnt vmcnt(58) lgkmcnt(1)
	v_mul_f64 v[150:151], v[126:127], v[156:157]
	s_waitcnt vmcnt(56)
	v_fma_f64 v[154:155], v[1:2], v[160:161], -v[153:154]
	v_mul_f64 v[146:147], v[124:125], v[156:157]
	v_add_f64 v[128:129], v[128:129], v[142:143]
	v_fma_f64 v[142:143], v[3:4], v[160:161], v[205:206]
	v_add_f64 v[121:122], v[121:122], v[140:141]
	s_clause 0x4
	buffer_load_dword v141, off, s[0:3], 0 offset:812
	buffer_load_dword v156, off, s[0:3], 0 offset:824
	buffer_load_dword v160, off, s[0:3], 0 offset:816
	buffer_load_dword v140, off, s[0:3], 0 offset:808
	buffer_load_dword v153, off, s[0:3], 0 offset:788
	s_waitcnt vmcnt(57) lgkmcnt(0)
	v_mul_f64 v[205:206], v[5:6], v[162:163]
	v_mul_f64 v[161:162], v[7:8], v[162:163]
	s_waitcnt vmcnt(56)
	v_fma_f64 v[150:151], v[124:125], v[158:159], -v[150:151]
	ds_read_b128 v[1:4], v123 offset:1472
	v_fma_f64 v[146:147], v[126:127], v[158:159], v[146:147]
	v_add_f64 v[128:129], v[128:129], v[154:155]
	v_add_f64 v[121:122], v[121:122], v[142:143]
	s_clause 0x2
	buffer_load_dword v157, off, s[0:3], 0 offset:828
	buffer_load_dword v143, off, s[0:3], 0 offset:804
	buffer_load_dword v142, off, s[0:3], 0 offset:800
	ds_read_b128 v[124:127], v123 offset:1488
	s_waitcnt vmcnt(58) lgkmcnt(1)
	v_mul_f64 v[158:159], v[3:4], v[164:165]
	;; [unrolled: 28-line block ×4, first 2 shown]
	s_waitcnt vmcnt(56)
	v_fma_f64 v[178:179], v[1:2], v[186:187], -v[177:178]
	v_mul_f64 v[170:171], v[124:125], v[182:183]
	v_add_f64 v[128:129], v[128:129], v[166:167]
	v_fma_f64 v[166:167], v[3:4], v[186:187], v[205:206]
	v_add_f64 v[121:122], v[121:122], v[162:163]
	s_clause 0x2
	buffer_load_dword v163, off, s[0:3], 0 offset:908
	buffer_load_dword v162, off, s[0:3], 0 offset:904
	;; [unrolled: 1-line block ×3, first 2 shown]
	s_waitcnt vmcnt(55) lgkmcnt(0)
	v_mul_f64 v[186:187], v[7:8], v[190:191]
	s_waitcnt vmcnt(54)
	v_fma_f64 v[174:175], v[124:125], v[184:185], -v[174:175]
	ds_read_b128 v[1:4], v123 offset:1568
	v_mul_f64 v[182:183], v[5:6], v[190:191]
	v_fma_f64 v[170:171], v[126:127], v[184:185], v[170:171]
	v_add_f64 v[128:129], v[128:129], v[178:179]
	v_add_f64 v[121:122], v[121:122], v[166:167]
	s_clause 0x1
	buffer_load_dword v167, off, s[0:3], 0 offset:900
	buffer_load_dword v166, off, s[0:3], 0 offset:896
	s_waitcnt vmcnt(55) lgkmcnt(0)
	v_mul_f64 v[184:185], v[3:4], v[192:193]
	s_waitcnt vmcnt(53)
	v_fma_f64 v[186:187], v[5:6], v[197:198], -v[186:187]
	ds_read_b128 v[124:127], v123 offset:1584
	v_mul_f64 v[178:179], v[1:2], v[192:193]
	v_add_f64 v[128:129], v[128:129], v[174:175]
	v_fma_f64 v[174:175], v[7:8], v[197:198], v[182:183]
	v_add_f64 v[121:122], v[121:122], v[170:171]
	ds_read_b128 v[5:8], v123 offset:1600
	s_waitcnt vmcnt(49) lgkmcnt(1)
	v_mul_f64 v[182:183], v[126:127], v[188:189]
	s_waitcnt vmcnt(48)
	v_fma_f64 v[184:185], v[1:2], v[194:195], -v[184:185]
	v_mul_f64 v[170:171], v[124:125], v[188:189]
	v_fma_f64 v[178:179], v[3:4], v[194:195], v[178:179]
	v_add_f64 v[128:129], v[128:129], v[186:187]
	v_add_f64 v[121:122], v[121:122], v[174:175]
	s_clause 0x3
	buffer_load_dword v174, off, s[0:3], 0 offset:416
	buffer_load_dword v175, off, s[0:3], 0 offset:420
	;; [unrolled: 1-line block ×4, first 2 shown]
	ds_read_b128 v[1:4], v123 offset:1616
	s_waitcnt vmcnt(51) lgkmcnt(1)
	v_mul_f64 v[190:191], v[7:8], v[201:202]
	v_mul_f64 v[188:189], v[5:6], v[201:202]
	s_waitcnt vmcnt(49)
	v_fma_f64 v[182:183], v[124:125], v[130:131], -v[182:183]
	v_fma_f64 v[130:131], v[126:127], v[130:131], v[170:171]
	ds_read_b128 v[124:127], v123 offset:1632
	v_add_f64 v[128:129], v[128:129], v[184:185]
	v_add_f64 v[121:122], v[121:122], v[178:179]
	s_waitcnt vmcnt(45) lgkmcnt(1)
	v_mul_f64 v[170:171], v[1:2], v[134:135]
	v_mul_f64 v[134:135], v[3:4], v[134:135]
	s_waitcnt vmcnt(44)
	v_fma_f64 v[178:179], v[5:6], v[203:204], -v[190:191]
	v_add_f64 v[128:129], v[128:129], v[182:183]
	v_fma_f64 v[182:183], v[7:8], v[203:204], v[188:189]
	v_add_f64 v[121:122], v[121:122], v[130:131]
	ds_read_b128 v[5:8], v123 offset:1648
	s_waitcnt vmcnt(43) lgkmcnt(1)
	v_mul_f64 v[130:131], v[124:125], v[144:145]
	v_mul_f64 v[144:145], v[126:127], v[144:145]
	s_waitcnt vmcnt(41)
	v_fma_f64 v[134:135], v[1:2], v[132:133], -v[134:135]
	v_fma_f64 v[132:133], v[3:4], v[132:133], v[170:171]
	ds_read_b128 v[1:4], v123 offset:1664
	v_add_f64 v[128:129], v[128:129], v[178:179]
	v_add_f64 v[121:122], v[121:122], v[182:183]
	s_waitcnt vmcnt(37) lgkmcnt(1)
	v_mul_f64 v[170:171], v[5:6], v[136:137]
	v_mul_f64 v[136:137], v[7:8], v[136:137]
	s_waitcnt vmcnt(36)
	v_fma_f64 v[144:145], v[124:125], v[199:200], -v[144:145]
	v_fma_f64 v[130:131], v[126:127], v[199:200], v[130:131]
	ds_read_b128 v[124:127], v123 offset:1680
	v_add_f64 v[128:129], v[128:129], v[134:135]
	v_add_f64 v[121:122], v[121:122], v[132:133]
	;; [unrolled: 9-line block ×5, first 2 shown]
	s_waitcnt vmcnt(21) lgkmcnt(1)
	v_mul_f64 v[134:135], v[3:4], v[146:147]
	s_waitcnt vmcnt(20)
	v_fma_f64 v[138:139], v[5:6], v[160:161], -v[138:139]
	v_mul_f64 v[132:133], v[1:2], v[146:147]
	v_fma_f64 v[136:137], v[7:8], v[160:161], v[136:137]
	ds_read_b128 v[5:8], v123 offset:1744
	v_add_f64 v[128:129], v[128:129], v[140:141]
	v_add_f64 v[121:122], v[121:122], v[130:131]
	s_waitcnt vmcnt(19) lgkmcnt(1)
	v_mul_f64 v[140:141], v[126:127], v[164:165]
	v_mul_f64 v[130:131], v[124:125], v[164:165]
	s_waitcnt vmcnt(17)
	v_fma_f64 v[134:135], v[1:2], v[150:151], -v[134:135]
	v_fma_f64 v[132:133], v[3:4], v[150:151], v[132:133]
	ds_read_b128 v[1:4], v123 offset:1760
	v_add_f64 v[128:129], v[128:129], v[138:139]
	v_add_f64 v[121:122], v[121:122], v[136:137]
	s_waitcnt vmcnt(13) lgkmcnt(1)
	v_mul_f64 v[138:139], v[7:8], v[154:155]
	s_waitcnt vmcnt(12)
	v_fma_f64 v[140:141], v[124:125], v[168:169], -v[140:141]
	v_mul_f64 v[136:137], v[5:6], v[154:155]
	v_fma_f64 v[125:126], v[126:127], v[168:169], v[130:131]
	v_add_f64 v[128:129], v[128:129], v[134:135]
	v_add_f64 v[130:131], v[121:122], v[132:133]
	ds_read_b128 v[121:124], v123 offset:1776
	s_waitcnt vmcnt(11) lgkmcnt(1)
	v_mul_f64 v[134:135], v[3:4], v[172:173]
	v_mul_f64 v[132:133], v[1:2], v[172:173]
	s_waitcnt vmcnt(9)
	v_fma_f64 v[5:6], v[5:6], v[158:159], -v[138:139]
	v_fma_f64 v[7:8], v[7:8], v[158:159], v[136:137]
	v_add_f64 v[127:128], v[128:129], v[140:141]
	v_add_f64 v[125:126], v[130:131], v[125:126]
	s_waitcnt vmcnt(7) lgkmcnt(0)
	v_mul_f64 v[136:137], v[123:124], v[162:163]
	s_waitcnt vmcnt(6)
	v_fma_f64 v[1:2], v[1:2], v[176:177], -v[134:135]
	v_mul_f64 v[129:130], v[121:122], v[162:163]
	v_fma_f64 v[3:4], v[3:4], v[176:177], v[132:133]
	v_add_f64 v[5:6], v[127:128], v[5:6]
	v_add_f64 v[7:8], v[125:126], v[7:8]
	s_waitcnt vmcnt(4)
	v_fma_f64 v[121:122], v[121:122], v[166:167], -v[136:137]
	v_add_f64 v[1:2], v[5:6], v[1:2]
	v_fma_f64 v[5:6], v[123:124], v[166:167], v[129:130]
	v_add_f64 v[3:4], v[7:8], v[3:4]
	v_add_f64 v[1:2], v[1:2], v[121:122]
	;; [unrolled: 1-line block ×3, first 2 shown]
	s_waitcnt vmcnt(2)
	v_add_f64 v[1:2], v[174:175], -v[1:2]
	s_waitcnt vmcnt(0)
	v_add_f64 v[3:4], v[186:187], -v[3:4]
	buffer_store_dword v2, off, s[0:3], 0 offset:420
	buffer_store_dword v1, off, s[0:3], 0 offset:416
	;; [unrolled: 1-line block ×4, first 2 shown]
	v_cmpx_lt_u32_e32 24, v0
	s_cbranch_execz .LBB119_301
; %bb.300:
	v_mov_b32_e32 v4, s44
	v_mov_b32_e32 v5, 0
	s_clause 0x3
	buffer_load_dword v1, v4, s[0:3], 0 offen
	buffer_load_dword v2, v4, s[0:3], 0 offen offset:4
	buffer_load_dword v3, v4, s[0:3], 0 offen offset:8
	;; [unrolled: 1-line block ×3, first 2 shown]
	buffer_store_dword v5, off, s[0:3], 0 offset:400
	buffer_store_dword v5, off, s[0:3], 0 offset:404
	;; [unrolled: 1-line block ×4, first 2 shown]
	s_waitcnt vmcnt(0)
	ds_write_b128 v181, v[1:4]
.LBB119_301:
	s_or_b32 exec_lo, exec_lo, s4
	s_waitcnt lgkmcnt(0)
	s_waitcnt_vscnt null, 0x0
	s_barrier
	buffer_gl0_inv
	s_clause 0x37
	buffer_load_dword v121, off, s[0:3], 0 offset:424
	buffer_load_dword v122, off, s[0:3], 0 offset:428
	;; [unrolled: 1-line block ×56, first 2 shown]
	v_mov_b32_e32 v141, 0
	s_mov_b32 s4, exec_lo
	ds_read_b128 v[129:132], v141 offset:1296
	s_clause 0x2
	buffer_load_dword v183, off, s[0:3], 0 offset:652
	buffer_load_dword v187, off, s[0:3], 0 offset:628
	;; [unrolled: 1-line block ×3, first 2 shown]
	ds_read_b128 v[133:136], v141 offset:1312
	s_clause 0x4
	buffer_load_dword v191, off, s[0:3], 0 offset:668
	buffer_load_dword v192, off, s[0:3], 0 offset:680
	;; [unrolled: 1-line block ×5, first 2 shown]
	ds_read_b128 v[137:140], v141 offset:1328
	s_clause 0x2
	buffer_load_dword v193, off, s[0:3], 0 offset:684
	buffer_load_dword v198, off, s[0:3], 0 offset:660
	;; [unrolled: 1-line block ×3, first 2 shown]
	s_waitcnt vmcnt(62) lgkmcnt(2)
	v_mul_f64 v[188:189], v[131:132], v[121:122]
	v_mul_f64 v[121:122], v[129:130], v[121:122]
	s_waitcnt lgkmcnt(1)
	v_mul_f64 v[195:196], v[135:136], v[5:6]
	s_waitcnt vmcnt(59) lgkmcnt(0)
	v_mul_f64 v[199:200], v[139:140], v[3:4]
	v_fma_f64 v[129:130], v[129:130], v[7:8], -v[188:189]
	v_mul_f64 v[188:189], v[133:134], v[5:6]
	v_fma_f64 v[121:122], v[131:132], v[7:8], v[121:122]
	s_waitcnt vmcnt(57)
	v_fma_f64 v[133:134], v[133:134], v[1:2], -v[195:196]
	ds_read_b128 v[5:8], v141 offset:1344
	v_mul_f64 v[131:132], v[137:138], v[3:4]
	s_waitcnt vmcnt(51)
	v_fma_f64 v[137:138], v[137:138], v[144:145], -v[199:200]
	v_add_f64 v[129:130], v[129:130], 0
	v_fma_f64 v[135:136], v[135:136], v[1:2], v[188:189]
	v_add_f64 v[121:122], v[121:122], 0
	s_clause 0x4
	buffer_load_dword v189, off, s[0:3], 0 offset:700
	buffer_load_dword v201, off, s[0:3], 0 offset:712
	;; [unrolled: 1-line block ×5, first 2 shown]
	s_waitcnt lgkmcnt(0)
	v_mul_f64 v[204:205], v[5:6], v[125:126]
	v_mul_f64 v[125:126], v[7:8], v[125:126]
	ds_read_b128 v[1:4], v141 offset:1360
	v_fma_f64 v[139:140], v[139:140], v[144:145], v[131:132]
	v_add_f64 v[133:134], v[129:130], v[133:134]
	v_add_f64 v[121:122], v[121:122], v[135:136]
	s_clause 0x2
	buffer_load_dword v202, off, s[0:3], 0 offset:716
	buffer_load_dword v136, off, s[0:3], 0 offset:692
	;; [unrolled: 1-line block ×3, first 2 shown]
	s_waitcnt vmcnt(58) lgkmcnt(0)
	v_mul_f64 v[144:145], v[1:2], v[142:143]
	v_mul_f64 v[142:143], v[3:4], v[142:143]
	s_waitcnt vmcnt(56)
	v_fma_f64 v[125:126], v[5:6], v[146:147], -v[125:126]
	ds_read_b128 v[129:132], v141 offset:1376
	v_add_f64 v[133:134], v[133:134], v[137:138]
	v_fma_f64 v[137:138], v[7:8], v[146:147], v[204:205]
	v_add_f64 v[121:122], v[121:122], v[139:140]
	s_clause 0x4
	buffer_load_dword v140, off, s[0:3], 0 offset:732
	buffer_load_dword v146, off, s[0:3], 0 offset:744
	;; [unrolled: 1-line block ×5, first 2 shown]
	ds_read_b128 v[5:8], v141 offset:1392
	s_waitcnt vmcnt(57) lgkmcnt(1)
	v_mul_f64 v[205:206], v[129:130], v[148:149]
	v_mul_f64 v[148:149], v[131:132], v[148:149]
	s_waitcnt vmcnt(56)
	v_fma_f64 v[142:143], v[1:2], v[123:124], -v[142:143]
	v_fma_f64 v[123:124], v[3:4], v[123:124], v[144:145]
	v_add_f64 v[125:126], v[133:134], v[125:126]
	s_clause 0x2
	buffer_load_dword v147, off, s[0:3], 0 offset:748
	buffer_load_dword v134, off, s[0:3], 0 offset:724
	;; [unrolled: 1-line block ×3, first 2 shown]
	v_add_f64 v[121:122], v[121:122], v[137:138]
	s_waitcnt vmcnt(58) lgkmcnt(0)
	v_mul_f64 v[144:145], v[7:8], v[150:151]
	ds_read_b128 v[1:4], v141 offset:1408
	v_mul_f64 v[137:138], v[5:6], v[150:151]
	s_waitcnt vmcnt(56)
	v_fma_f64 v[129:130], v[129:130], v[152:153], -v[148:149]
	v_fma_f64 v[131:132], v[131:132], v[152:153], v[205:206]
	s_clause 0x4
	buffer_load_dword v149, off, s[0:3], 0 offset:764
	buffer_load_dword v150, off, s[0:3], 0 offset:776
	buffer_load_dword v152, off, s[0:3], 0 offset:768
	buffer_load_dword v148, off, s[0:3], 0 offset:760
	buffer_load_dword v200, off, s[0:3], 0 offset:740
	v_add_f64 v[125:126], v[125:126], v[142:143]
	v_add_f64 v[142:143], v[121:122], v[123:124]
	s_waitcnt vmcnt(57) lgkmcnt(0)
	v_mul_f64 v[205:206], v[1:2], v[154:155]
	v_mul_f64 v[153:154], v[3:4], v[154:155]
	s_waitcnt vmcnt(56)
	v_fma_f64 v[144:145], v[5:6], v[127:128], -v[144:145]
	ds_read_b128 v[121:124], v141 offset:1424
	v_fma_f64 v[127:128], v[7:8], v[127:128], v[137:138]
	v_add_f64 v[125:126], v[125:126], v[129:130]
	v_add_f64 v[129:130], v[142:143], v[131:132]
	s_clause 0x2
	buffer_load_dword v151, off, s[0:3], 0 offset:780
	buffer_load_dword v132, off, s[0:3], 0 offset:756
	buffer_load_dword v131, off, s[0:3], 0 offset:752
	s_waitcnt vmcnt(58) lgkmcnt(0)
	v_mul_f64 v[142:143], v[123:124], v[156:157]
	s_waitcnt vmcnt(56)
	v_fma_f64 v[154:155], v[1:2], v[160:161], -v[153:154]
	ds_read_b128 v[5:8], v141 offset:1440
	v_mul_f64 v[137:138], v[121:122], v[156:157]
	v_add_f64 v[125:126], v[125:126], v[144:145]
	v_fma_f64 v[144:145], v[3:4], v[160:161], v[205:206]
	v_add_f64 v[127:128], v[129:130], v[127:128]
	s_clause 0x4
	buffer_load_dword v130, off, s[0:3], 0 offset:796
	buffer_load_dword v156, off, s[0:3], 0 offset:808
	buffer_load_dword v160, off, s[0:3], 0 offset:800
	buffer_load_dword v129, off, s[0:3], 0 offset:792
	buffer_load_dword v153, off, s[0:3], 0 offset:772
	s_waitcnt vmcnt(57) lgkmcnt(0)
	v_mul_f64 v[205:206], v[5:6], v[162:163]
	v_mul_f64 v[161:162], v[7:8], v[162:163]
	s_waitcnt vmcnt(56)
	v_fma_f64 v[142:143], v[121:122], v[158:159], -v[142:143]
	ds_read_b128 v[1:4], v141 offset:1456
	v_fma_f64 v[137:138], v[123:124], v[158:159], v[137:138]
	v_add_f64 v[125:126], v[125:126], v[154:155]
	v_add_f64 v[127:128], v[127:128], v[144:145]
	s_clause 0x2
	buffer_load_dword v157, off, s[0:3], 0 offset:812
	buffer_load_dword v145, off, s[0:3], 0 offset:788
	buffer_load_dword v144, off, s[0:3], 0 offset:784
	ds_read_b128 v[121:124], v141 offset:1472
	s_waitcnt vmcnt(58) lgkmcnt(1)
	v_mul_f64 v[158:159], v[3:4], v[164:165]
	s_waitcnt vmcnt(56)
	v_fma_f64 v[162:163], v[5:6], v[168:169], -v[161:162]
	v_mul_f64 v[154:155], v[1:2], v[164:165]
	v_add_f64 v[125:126], v[125:126], v[142:143]
	v_fma_f64 v[142:143], v[7:8], v[168:169], v[205:206]
	v_add_f64 v[127:128], v[127:128], v[137:138]
	s_clause 0x4
	buffer_load_dword v138, off, s[0:3], 0 offset:828
	buffer_load_dword v164, off, s[0:3], 0 offset:840
	buffer_load_dword v168, off, s[0:3], 0 offset:832
	buffer_load_dword v137, off, s[0:3], 0 offset:824
	buffer_load_dword v161, off, s[0:3], 0 offset:804
	s_waitcnt vmcnt(57) lgkmcnt(0)
	v_mul_f64 v[205:206], v[121:122], v[170:171]
	v_mul_f64 v[169:170], v[123:124], v[170:171]
	s_waitcnt vmcnt(56)
	v_fma_f64 v[158:159], v[1:2], v[166:167], -v[158:159]
	ds_read_b128 v[5:8], v141 offset:1488
	v_fma_f64 v[154:155], v[3:4], v[166:167], v[154:155]
	v_add_f64 v[125:126], v[125:126], v[162:163]
	v_add_f64 v[127:128], v[127:128], v[142:143]
	s_clause 0x2
	buffer_load_dword v165, off, s[0:3], 0 offset:844
	buffer_load_dword v143, off, s[0:3], 0 offset:820
	buffer_load_dword v142, off, s[0:3], 0 offset:816
	ds_read_b128 v[1:4], v141 offset:1504
	s_waitcnt vmcnt(58) lgkmcnt(1)
	v_mul_f64 v[166:167], v[7:8], v[172:173]
	s_waitcnt vmcnt(56)
	v_fma_f64 v[170:171], v[121:122], v[176:177], -v[169:170]
	;; [unrolled: 28-line block ×4, first 2 shown]
	v_mul_f64 v[178:179], v[1:2], v[192:193]
	buffer_load_dword v187, off, s[0:3], 0 offset:900
	v_add_f64 v[125:126], v[125:126], v[174:175]
	v_fma_f64 v[174:175], v[7:8], v[197:198], v[205:206]
	v_add_f64 v[127:128], v[127:128], v[170:171]
	ds_read_b128 v[5:8], v141 offset:1584
	s_waitcnt vmcnt(53) lgkmcnt(1)
	v_mul_f64 v[170:171], v[121:122], v[188:189]
	v_mul_f64 v[188:189], v[123:124], v[188:189]
	s_waitcnt vmcnt(52)
	v_fma_f64 v[184:185], v[1:2], v[194:195], -v[184:185]
	v_fma_f64 v[178:179], v[3:4], v[194:195], v[178:179]
	ds_read_b128 v[1:4], v141 offset:1600
	v_add_f64 v[125:126], v[125:126], v[190:191]
	v_add_f64 v[127:128], v[127:128], v[174:175]
	s_waitcnt vmcnt(51) lgkmcnt(1)
	v_mul_f64 v[190:191], v[7:8], v[201:202]
	v_mul_f64 v[174:175], v[5:6], v[201:202]
	s_waitcnt vmcnt(49)
	v_fma_f64 v[188:189], v[121:122], v[135:136], -v[188:189]
	v_fma_f64 v[135:136], v[123:124], v[135:136], v[170:171]
	v_add_f64 v[125:126], v[125:126], v[184:185]
	v_add_f64 v[127:128], v[127:128], v[178:179]
	s_clause 0x3
	buffer_load_dword v170, off, s[0:3], 0 offset:400
	buffer_load_dword v171, off, s[0:3], 0 offset:404
	;; [unrolled: 1-line block ×4, first 2 shown]
	ds_read_b128 v[121:124], v141 offset:1616
	s_waitcnt vmcnt(49) lgkmcnt(1)
	v_mul_f64 v[184:185], v[1:2], v[139:140]
	v_mul_f64 v[139:140], v[3:4], v[139:140]
	s_waitcnt vmcnt(48)
	v_fma_f64 v[190:191], v[5:6], v[203:204], -v[190:191]
	v_fma_f64 v[174:175], v[7:8], v[203:204], v[174:175]
	ds_read_b128 v[5:8], v141 offset:1632
	v_add_f64 v[125:126], v[125:126], v[188:189]
	v_add_f64 v[127:128], v[127:128], v[135:136]
	s_waitcnt vmcnt(47) lgkmcnt(1)
	v_mul_f64 v[135:136], v[121:122], v[146:147]
	v_mul_f64 v[146:147], v[123:124], v[146:147]
	s_waitcnt vmcnt(45)
	v_fma_f64 v[139:140], v[1:2], v[133:134], -v[139:140]
	v_fma_f64 v[133:134], v[3:4], v[133:134], v[184:185]
	ds_read_b128 v[1:4], v141 offset:1648
	v_add_f64 v[125:126], v[125:126], v[190:191]
	v_add_f64 v[127:128], v[127:128], v[174:175]
	s_waitcnt vmcnt(41) lgkmcnt(1)
	v_mul_f64 v[174:175], v[5:6], v[148:149]
	v_mul_f64 v[148:149], v[7:8], v[148:149]
	s_waitcnt vmcnt(40)
	v_fma_f64 v[135:136], v[123:124], v[199:200], v[135:136]
	v_fma_f64 v[146:147], v[121:122], v[199:200], -v[146:147]
	ds_read_b128 v[121:124], v141 offset:1664
	v_add_f64 v[125:126], v[125:126], v[139:140]
	v_add_f64 v[127:128], v[127:128], v[133:134]
	s_waitcnt vmcnt(39) lgkmcnt(1)
	v_mul_f64 v[139:140], v[3:4], v[150:151]
	v_mul_f64 v[133:134], v[1:2], v[150:151]
	s_waitcnt vmcnt(37)
	v_fma_f64 v[148:149], v[5:6], v[131:132], -v[148:149]
	v_fma_f64 v[131:132], v[7:8], v[131:132], v[174:175]
	ds_read_b128 v[5:8], v141 offset:1680
	v_add_f64 v[125:126], v[125:126], v[146:147]
	v_add_f64 v[127:128], v[127:128], v[135:136]
	s_waitcnt vmcnt(33) lgkmcnt(1)
	v_mul_f64 v[135:136], v[121:122], v[129:130]
	v_mul_f64 v[129:130], v[123:124], v[129:130]
	s_waitcnt vmcnt(32)
	v_fma_f64 v[139:140], v[1:2], v[152:153], -v[139:140]
	v_fma_f64 v[133:134], v[3:4], v[152:153], v[133:134]
	ds_read_b128 v[1:4], v141 offset:1696
	v_add_f64 v[125:126], v[125:126], v[148:149]
	v_add_f64 v[127:128], v[127:128], v[131:132]
	s_waitcnt vmcnt(31) lgkmcnt(1)
	v_mul_f64 v[146:147], v[7:8], v[156:157]
	v_mul_f64 v[131:132], v[5:6], v[156:157]
	s_waitcnt vmcnt(29)
	v_fma_f64 v[129:130], v[121:122], v[144:145], -v[129:130]
	v_fma_f64 v[135:136], v[123:124], v[144:145], v[135:136]
	ds_read_b128 v[121:124], v141 offset:1712
	v_add_f64 v[125:126], v[125:126], v[139:140]
	v_add_f64 v[127:128], v[127:128], v[133:134]
	s_waitcnt vmcnt(25) lgkmcnt(1)
	v_mul_f64 v[133:134], v[1:2], v[137:138]
	v_mul_f64 v[137:138], v[3:4], v[137:138]
	s_waitcnt vmcnt(24)
	v_fma_f64 v[139:140], v[5:6], v[160:161], -v[146:147]
	v_add_f64 v[125:126], v[125:126], v[129:130]
	v_fma_f64 v[129:130], v[7:8], v[160:161], v[131:132]
	v_add_f64 v[127:128], v[127:128], v[135:136]
	ds_read_b128 v[5:8], v141 offset:1728
	s_waitcnt vmcnt(23) lgkmcnt(1)
	v_mul_f64 v[135:136], v[123:124], v[164:165]
	v_mul_f64 v[131:132], v[121:122], v[164:165]
	s_waitcnt vmcnt(21)
	v_fma_f64 v[137:138], v[1:2], v[142:143], -v[137:138]
	v_fma_f64 v[133:134], v[3:4], v[142:143], v[133:134]
	ds_read_b128 v[1:4], v141 offset:1744
	v_add_f64 v[125:126], v[125:126], v[139:140]
	v_add_f64 v[127:128], v[127:128], v[129:130]
	s_waitcnt vmcnt(17) lgkmcnt(1)
	v_mul_f64 v[139:140], v[7:8], v[154:155]
	s_waitcnt vmcnt(16)
	v_fma_f64 v[135:136], v[121:122], v[168:169], -v[135:136]
	v_mul_f64 v[129:130], v[5:6], v[154:155]
	v_fma_f64 v[131:132], v[123:124], v[168:169], v[131:132]
	ds_read_b128 v[121:124], v141 offset:1760
	v_add_f64 v[125:126], v[125:126], v[137:138]
	v_add_f64 v[127:128], v[127:128], v[133:134]
	s_waitcnt vmcnt(15) lgkmcnt(1)
	v_mul_f64 v[137:138], v[3:4], v[172:173]
	v_mul_f64 v[133:134], v[1:2], v[172:173]
	s_waitcnt vmcnt(13)
	v_fma_f64 v[139:140], v[5:6], v[158:159], -v[139:140]
	v_fma_f64 v[129:130], v[7:8], v[158:159], v[129:130]
	ds_read_b128 v[5:8], v141 offset:1776
	v_add_f64 v[125:126], v[125:126], v[135:136]
	v_add_f64 v[127:128], v[127:128], v[131:132]
	s_waitcnt vmcnt(9) lgkmcnt(1)
	v_mul_f64 v[135:136], v[123:124], v[162:163]
	s_waitcnt vmcnt(8)
	v_fma_f64 v[1:2], v[1:2], v[176:177], -v[137:138]
	v_mul_f64 v[131:132], v[121:122], v[162:163]
	v_fma_f64 v[3:4], v[3:4], v[176:177], v[133:134]
	v_add_f64 v[125:126], v[125:126], v[139:140]
	v_add_f64 v[127:128], v[127:128], v[129:130]
	s_waitcnt vmcnt(7) lgkmcnt(0)
	v_mul_f64 v[133:134], v[7:8], v[182:183]
	v_mul_f64 v[129:130], v[5:6], v[182:183]
	s_waitcnt vmcnt(5)
	v_fma_f64 v[121:122], v[121:122], v[166:167], -v[135:136]
	v_fma_f64 v[123:124], v[123:124], v[166:167], v[131:132]
	v_add_f64 v[1:2], v[125:126], v[1:2]
	v_add_f64 v[3:4], v[127:128], v[3:4]
	s_waitcnt vmcnt(4)
	v_fma_f64 v[5:6], v[5:6], v[186:187], -v[133:134]
	v_fma_f64 v[7:8], v[7:8], v[186:187], v[129:130]
	v_add_f64 v[1:2], v[1:2], v[121:122]
	v_add_f64 v[3:4], v[3:4], v[123:124]
	;; [unrolled: 1-line block ×4, first 2 shown]
	s_waitcnt vmcnt(2)
	v_add_f64 v[1:2], v[170:171], -v[1:2]
	s_waitcnt vmcnt(0)
	v_add_f64 v[3:4], v[178:179], -v[3:4]
	buffer_store_dword v2, off, s[0:3], 0 offset:404
	buffer_store_dword v1, off, s[0:3], 0 offset:400
	;; [unrolled: 1-line block ×4, first 2 shown]
	v_cmpx_lt_u32_e32 23, v0
	s_cbranch_execz .LBB119_303
; %bb.302:
	v_mov_b32_e32 v4, s45
	s_clause 0x3
	buffer_load_dword v1, v4, s[0:3], 0 offen
	buffer_load_dword v2, v4, s[0:3], 0 offen offset:4
	buffer_load_dword v3, v4, s[0:3], 0 offen offset:8
	;; [unrolled: 1-line block ×3, first 2 shown]
	buffer_store_dword v141, off, s[0:3], 0 offset:384
	buffer_store_dword v141, off, s[0:3], 0 offset:388
	;; [unrolled: 1-line block ×4, first 2 shown]
	s_waitcnt vmcnt(0)
	ds_write_b128 v181, v[1:4]
.LBB119_303:
	s_or_b32 exec_lo, exec_lo, s4
	s_waitcnt lgkmcnt(0)
	s_waitcnt_vscnt null, 0x0
	s_barrier
	buffer_gl0_inv
	s_clause 0x37
	buffer_load_dword v121, off, s[0:3], 0 offset:408
	buffer_load_dword v122, off, s[0:3], 0 offset:412
	;; [unrolled: 1-line block ×56, first 2 shown]
	ds_read_b128 v[142:145], v141 offset:1280
	s_clause 0x2
	buffer_load_dword v183, off, s[0:3], 0 offset:636
	buffer_load_dword v187, off, s[0:3], 0 offset:612
	;; [unrolled: 1-line block ×3, first 2 shown]
	ds_read_b128 v[146:149], v141 offset:1296
	s_clause 0x4
	buffer_load_dword v191, off, s[0:3], 0 offset:652
	buffer_load_dword v192, off, s[0:3], 0 offset:664
	;; [unrolled: 1-line block ×5, first 2 shown]
	ds_read_b128 v[150:153], v141 offset:1312
	s_clause 0x2
	buffer_load_dword v193, off, s[0:3], 0 offset:668
	buffer_load_dword v198, off, s[0:3], 0 offset:644
	;; [unrolled: 1-line block ×3, first 2 shown]
	s_mov_b32 s4, exec_lo
	s_waitcnt vmcnt(62) lgkmcnt(2)
	v_mul_f64 v[188:189], v[144:145], v[121:122]
	v_mul_f64 v[121:122], v[142:143], v[121:122]
	s_waitcnt lgkmcnt(1)
	v_mul_f64 v[195:196], v[148:149], v[5:6]
	s_waitcnt vmcnt(59) lgkmcnt(0)
	v_mul_f64 v[199:200], v[152:153], v[3:4]
	v_fma_f64 v[142:143], v[142:143], v[7:8], -v[188:189]
	v_mul_f64 v[188:189], v[146:147], v[5:6]
	v_fma_f64 v[121:122], v[144:145], v[7:8], v[121:122]
	s_waitcnt vmcnt(57)
	v_fma_f64 v[146:147], v[146:147], v[1:2], -v[195:196]
	ds_read_b128 v[5:8], v141 offset:1328
	v_mul_f64 v[144:145], v[150:151], v[3:4]
	s_waitcnt vmcnt(51)
	v_fma_f64 v[150:151], v[150:151], v[137:138], -v[199:200]
	v_add_f64 v[142:143], v[142:143], 0
	v_fma_f64 v[148:149], v[148:149], v[1:2], v[188:189]
	v_add_f64 v[121:122], v[121:122], 0
	s_clause 0x4
	buffer_load_dword v189, off, s[0:3], 0 offset:684
	buffer_load_dword v201, off, s[0:3], 0 offset:696
	;; [unrolled: 1-line block ×5, first 2 shown]
	s_waitcnt lgkmcnt(0)
	v_mul_f64 v[204:205], v[5:6], v[125:126]
	v_mul_f64 v[125:126], v[7:8], v[125:126]
	ds_read_b128 v[1:4], v141 offset:1344
	v_fma_f64 v[137:138], v[152:153], v[137:138], v[144:145]
	v_add_f64 v[146:147], v[142:143], v[146:147]
	v_add_f64 v[121:122], v[121:122], v[148:149]
	s_clause 0x2
	buffer_load_dword v202, off, s[0:3], 0 offset:700
	buffer_load_dword v149, off, s[0:3], 0 offset:676
	;; [unrolled: 1-line block ×3, first 2 shown]
	s_waitcnt vmcnt(58) lgkmcnt(0)
	v_mul_f64 v[152:153], v[1:2], v[129:130]
	v_mul_f64 v[129:130], v[3:4], v[129:130]
	s_waitcnt vmcnt(56)
	v_fma_f64 v[125:126], v[5:6], v[131:132], -v[125:126]
	ds_read_b128 v[142:145], v141 offset:1360
	v_fma_f64 v[131:132], v[7:8], v[131:132], v[204:205]
	v_add_f64 v[146:147], v[146:147], v[150:151]
	v_add_f64 v[121:122], v[121:122], v[137:138]
	s_clause 0x4
	buffer_load_dword v138, off, s[0:3], 0 offset:716
	buffer_load_dword v150, off, s[0:3], 0 offset:728
	;; [unrolled: 1-line block ×5, first 2 shown]
	ds_read_b128 v[5:8], v141 offset:1376
	s_waitcnt vmcnt(57) lgkmcnt(1)
	v_mul_f64 v[205:206], v[142:143], v[133:134]
	v_mul_f64 v[133:134], v[144:145], v[133:134]
	s_waitcnt vmcnt(56)
	v_fma_f64 v[129:130], v[1:2], v[123:124], -v[129:130]
	v_fma_f64 v[123:124], v[3:4], v[123:124], v[152:153]
	v_add_f64 v[125:126], v[146:147], v[125:126]
	v_add_f64 v[121:122], v[121:122], v[131:132]
	s_clause 0x2
	buffer_load_dword v151, off, s[0:3], 0 offset:732
	buffer_load_dword v132, off, s[0:3], 0 offset:708
	;; [unrolled: 1-line block ×3, first 2 shown]
	s_waitcnt vmcnt(58) lgkmcnt(0)
	v_mul_f64 v[146:147], v[5:6], v[139:140]
	v_mul_f64 v[139:140], v[7:8], v[139:140]
	s_waitcnt vmcnt(56)
	v_fma_f64 v[133:134], v[142:143], v[154:155], -v[133:134]
	ds_read_b128 v[1:4], v141 offset:1392
	v_add_f64 v[125:126], v[125:126], v[129:130]
	v_fma_f64 v[129:130], v[144:145], v[154:155], v[205:206]
	v_add_f64 v[142:143], v[121:122], v[123:124]
	s_clause 0x4
	buffer_load_dword v145, off, s[0:3], 0 offset:748
	buffer_load_dword v152, off, s[0:3], 0 offset:760
	;; [unrolled: 1-line block ×5, first 2 shown]
	ds_read_b128 v[121:124], v141 offset:1408
	s_waitcnt vmcnt(57) lgkmcnt(1)
	v_mul_f64 v[205:206], v[1:2], v[156:157]
	v_mul_f64 v[155:156], v[3:4], v[156:157]
	s_waitcnt vmcnt(56)
	v_fma_f64 v[139:140], v[5:6], v[127:128], -v[139:140]
	v_fma_f64 v[127:128], v[7:8], v[127:128], v[146:147]
	v_add_f64 v[125:126], v[125:126], v[133:134]
	s_clause 0x2
	buffer_load_dword v153, off, s[0:3], 0 offset:764
	buffer_load_dword v134, off, s[0:3], 0 offset:740
	buffer_load_dword v133, off, s[0:3], 0 offset:736
	v_add_f64 v[129:130], v[142:143], v[129:130]
	s_waitcnt vmcnt(58) lgkmcnt(0)
	v_mul_f64 v[146:147], v[123:124], v[158:159]
	ds_read_b128 v[5:8], v141 offset:1424
	v_mul_f64 v[142:143], v[121:122], v[158:159]
	s_waitcnt vmcnt(56)
	v_fma_f64 v[156:157], v[1:2], v[160:161], -v[155:156]
	v_add_f64 v[125:126], v[125:126], v[139:140]
	v_fma_f64 v[139:140], v[3:4], v[160:161], v[205:206]
	v_add_f64 v[127:128], v[129:130], v[127:128]
	s_clause 0x4
	buffer_load_dword v130, off, s[0:3], 0 offset:780
	buffer_load_dword v158, off, s[0:3], 0 offset:792
	buffer_load_dword v160, off, s[0:3], 0 offset:784
	buffer_load_dword v129, off, s[0:3], 0 offset:776
	buffer_load_dword v155, off, s[0:3], 0 offset:756
	s_waitcnt vmcnt(57) lgkmcnt(0)
	v_mul_f64 v[205:206], v[5:6], v[162:163]
	v_mul_f64 v[161:162], v[7:8], v[162:163]
	s_waitcnt vmcnt(56)
	v_fma_f64 v[146:147], v[121:122], v[135:136], -v[146:147]
	ds_read_b128 v[1:4], v141 offset:1440
	v_fma_f64 v[135:136], v[123:124], v[135:136], v[142:143]
	v_add_f64 v[125:126], v[125:126], v[156:157]
	v_add_f64 v[127:128], v[127:128], v[139:140]
	s_clause 0x2
	buffer_load_dword v159, off, s[0:3], 0 offset:796
	buffer_load_dword v140, off, s[0:3], 0 offset:772
	buffer_load_dword v139, off, s[0:3], 0 offset:768
	ds_read_b128 v[121:124], v141 offset:1456
	s_waitcnt vmcnt(58) lgkmcnt(1)
	v_mul_f64 v[156:157], v[3:4], v[164:165]
	s_waitcnt vmcnt(56)
	v_fma_f64 v[162:163], v[5:6], v[168:169], -v[161:162]
	v_mul_f64 v[142:143], v[1:2], v[164:165]
	v_add_f64 v[125:126], v[125:126], v[146:147]
	v_fma_f64 v[146:147], v[7:8], v[168:169], v[205:206]
	v_add_f64 v[127:128], v[127:128], v[135:136]
	s_clause 0x4
	buffer_load_dword v136, off, s[0:3], 0 offset:812
	buffer_load_dword v164, off, s[0:3], 0 offset:824
	buffer_load_dword v168, off, s[0:3], 0 offset:816
	buffer_load_dword v135, off, s[0:3], 0 offset:808
	buffer_load_dword v161, off, s[0:3], 0 offset:788
	s_waitcnt vmcnt(57) lgkmcnt(0)
	v_mul_f64 v[205:206], v[121:122], v[170:171]
	v_mul_f64 v[169:170], v[123:124], v[170:171]
	s_waitcnt vmcnt(56)
	v_fma_f64 v[156:157], v[1:2], v[166:167], -v[156:157]
	ds_read_b128 v[5:8], v141 offset:1472
	v_fma_f64 v[142:143], v[3:4], v[166:167], v[142:143]
	v_add_f64 v[125:126], v[125:126], v[162:163]
	v_add_f64 v[127:128], v[127:128], v[146:147]
	s_clause 0x2
	buffer_load_dword v165, off, s[0:3], 0 offset:828
	buffer_load_dword v147, off, s[0:3], 0 offset:804
	buffer_load_dword v146, off, s[0:3], 0 offset:800
	ds_read_b128 v[1:4], v141 offset:1488
	s_waitcnt vmcnt(58) lgkmcnt(1)
	v_mul_f64 v[166:167], v[7:8], v[172:173]
	s_waitcnt vmcnt(56)
	v_fma_f64 v[170:171], v[121:122], v[176:177], -v[169:170]
	v_mul_f64 v[162:163], v[5:6], v[172:173]
	;; [unrolled: 28-line block ×4, first 2 shown]
	v_add_f64 v[125:126], v[125:126], v[174:175]
	v_fma_f64 v[174:175], v[7:8], v[197:198], v[205:206]
	v_add_f64 v[127:128], v[127:128], v[170:171]
	s_clause 0x2
	buffer_load_dword v171, off, s[0:3], 0 offset:908
	buffer_load_dword v170, off, s[0:3], 0 offset:904
	;; [unrolled: 1-line block ×3, first 2 shown]
	ds_read_b128 v[5:8], v141 offset:1568
	s_waitcnt vmcnt(55) lgkmcnt(1)
	v_mul_f64 v[192:193], v[121:122], v[188:189]
	v_mul_f64 v[188:189], v[123:124], v[188:189]
	s_waitcnt vmcnt(54)
	v_fma_f64 v[184:185], v[1:2], v[194:195], -v[184:185]
	v_fma_f64 v[178:179], v[3:4], v[194:195], v[178:179]
	v_add_f64 v[125:126], v[125:126], v[190:191]
	v_add_f64 v[127:128], v[127:128], v[174:175]
	s_clause 0x1
	buffer_load_dword v175, off, s[0:3], 0 offset:900
	buffer_load_dword v174, off, s[0:3], 0 offset:896
	ds_read_b128 v[1:4], v141 offset:1584
	s_waitcnt vmcnt(55) lgkmcnt(1)
	v_mul_f64 v[194:195], v[7:8], v[201:202]
	v_mul_f64 v[190:191], v[5:6], v[201:202]
	s_waitcnt vmcnt(53)
	v_fma_f64 v[188:189], v[121:122], v[148:149], -v[188:189]
	v_fma_f64 v[148:149], v[123:124], v[148:149], v[192:193]
	ds_read_b128 v[121:124], v141 offset:1600
	v_add_f64 v[125:126], v[125:126], v[184:185]
	v_add_f64 v[127:128], v[127:128], v[178:179]
	s_waitcnt vmcnt(49) lgkmcnt(1)
	v_mul_f64 v[178:179], v[1:2], v[137:138]
	v_mul_f64 v[137:138], v[3:4], v[137:138]
	s_waitcnt vmcnt(48)
	v_fma_f64 v[184:185], v[5:6], v[203:204], -v[194:195]
	v_add_f64 v[125:126], v[125:126], v[188:189]
	v_fma_f64 v[188:189], v[7:8], v[203:204], v[190:191]
	v_add_f64 v[127:128], v[127:128], v[148:149]
	s_clause 0x3
	buffer_load_dword v148, off, s[0:3], 0 offset:384
	buffer_load_dword v149, off, s[0:3], 0 offset:388
	;; [unrolled: 1-line block ×4, first 2 shown]
	ds_read_b128 v[5:8], v141 offset:1616
	s_waitcnt vmcnt(51) lgkmcnt(1)
	v_mul_f64 v[192:193], v[121:122], v[150:151]
	v_mul_f64 v[150:151], v[123:124], v[150:151]
	s_waitcnt vmcnt(49)
	v_fma_f64 v[137:138], v[1:2], v[131:132], -v[137:138]
	v_fma_f64 v[131:132], v[3:4], v[131:132], v[178:179]
	ds_read_b128 v[1:4], v141 offset:1632
	v_add_f64 v[125:126], v[125:126], v[184:185]
	v_add_f64 v[127:128], v[127:128], v[188:189]
	s_waitcnt vmcnt(45) lgkmcnt(1)
	v_mul_f64 v[178:179], v[5:6], v[144:145]
	v_mul_f64 v[144:145], v[7:8], v[144:145]
	s_waitcnt vmcnt(44)
	v_fma_f64 v[150:151], v[121:122], v[199:200], -v[150:151]
	v_add_f64 v[125:126], v[125:126], v[137:138]
	v_fma_f64 v[137:138], v[123:124], v[199:200], v[192:193]
	v_add_f64 v[127:128], v[127:128], v[131:132]
	ds_read_b128 v[121:124], v141 offset:1648
	s_waitcnt vmcnt(43) lgkmcnt(1)
	v_mul_f64 v[131:132], v[1:2], v[152:153]
	v_mul_f64 v[152:153], v[3:4], v[152:153]
	s_waitcnt vmcnt(41)
	v_fma_f64 v[144:145], v[5:6], v[133:134], -v[144:145]
	v_fma_f64 v[133:134], v[7:8], v[133:134], v[178:179]
	ds_read_b128 v[5:8], v141 offset:1664
	v_add_f64 v[125:126], v[125:126], v[150:151]
	v_add_f64 v[127:128], v[127:128], v[137:138]
	s_waitcnt vmcnt(37) lgkmcnt(1)
	v_mul_f64 v[137:138], v[121:122], v[129:130]
	v_mul_f64 v[129:130], v[123:124], v[129:130]
	s_waitcnt vmcnt(36)
	v_fma_f64 v[150:151], v[1:2], v[154:155], -v[152:153]
	v_fma_f64 v[131:132], v[3:4], v[154:155], v[131:132]
	ds_read_b128 v[1:4], v141 offset:1680
	v_add_f64 v[125:126], v[125:126], v[144:145]
	v_add_f64 v[127:128], v[127:128], v[133:134]
	;; [unrolled: 9-line block ×3, first 2 shown]
	s_waitcnt vmcnt(29) lgkmcnt(1)
	v_mul_f64 v[131:132], v[1:2], v[135:136]
	v_mul_f64 v[135:136], v[3:4], v[135:136]
	s_waitcnt vmcnt(28)
	v_fma_f64 v[139:140], v[5:6], v[160:161], -v[144:145]
	v_add_f64 v[125:126], v[125:126], v[129:130]
	v_fma_f64 v[129:130], v[7:8], v[160:161], v[133:134]
	v_add_f64 v[127:128], v[127:128], v[137:138]
	ds_read_b128 v[5:8], v141 offset:1712
	s_waitcnt vmcnt(27) lgkmcnt(1)
	v_mul_f64 v[137:138], v[123:124], v[164:165]
	v_mul_f64 v[133:134], v[121:122], v[164:165]
	s_waitcnt vmcnt(25)
	v_fma_f64 v[135:136], v[1:2], v[146:147], -v[135:136]
	v_fma_f64 v[131:132], v[3:4], v[146:147], v[131:132]
	ds_read_b128 v[1:4], v141 offset:1728
	v_add_f64 v[125:126], v[125:126], v[139:140]
	v_add_f64 v[127:128], v[127:128], v[129:130]
	s_waitcnt vmcnt(21) lgkmcnt(1)
	v_mul_f64 v[139:140], v[7:8], v[142:143]
	s_waitcnt vmcnt(20)
	v_fma_f64 v[137:138], v[121:122], v[168:169], -v[137:138]
	v_mul_f64 v[129:130], v[5:6], v[142:143]
	v_fma_f64 v[133:134], v[123:124], v[168:169], v[133:134]
	ds_read_b128 v[121:124], v141 offset:1744
	v_add_f64 v[125:126], v[125:126], v[135:136]
	v_add_f64 v[127:128], v[127:128], v[131:132]
	s_waitcnt vmcnt(19) lgkmcnt(1)
	v_mul_f64 v[135:136], v[3:4], v[172:173]
	v_mul_f64 v[131:132], v[1:2], v[172:173]
	s_waitcnt vmcnt(17)
	v_fma_f64 v[139:140], v[5:6], v[156:157], -v[139:140]
	v_fma_f64 v[129:130], v[7:8], v[156:157], v[129:130]
	ds_read_b128 v[5:8], v141 offset:1760
	v_add_f64 v[125:126], v[125:126], v[137:138]
	v_add_f64 v[127:128], v[127:128], v[133:134]
	s_waitcnt vmcnt(13) lgkmcnt(1)
	v_mul_f64 v[137:138], v[123:124], v[162:163]
	s_waitcnt vmcnt(12)
	v_fma_f64 v[135:136], v[1:2], v[176:177], -v[135:136]
	v_mul_f64 v[133:134], v[121:122], v[162:163]
	v_fma_f64 v[131:132], v[3:4], v[176:177], v[131:132]
	ds_read_b128 v[1:4], v141 offset:1776
	v_add_f64 v[125:126], v[125:126], v[139:140]
	v_add_f64 v[127:128], v[127:128], v[129:130]
	s_waitcnt vmcnt(11) lgkmcnt(1)
	v_mul_f64 v[139:140], v[7:8], v[182:183]
	v_mul_f64 v[129:130], v[5:6], v[182:183]
	s_waitcnt vmcnt(9)
	v_fma_f64 v[121:122], v[121:122], v[166:167], -v[137:138]
	v_fma_f64 v[123:124], v[123:124], v[166:167], v[133:134]
	v_add_f64 v[125:126], v[125:126], v[135:136]
	v_add_f64 v[127:128], v[127:128], v[131:132]
	s_waitcnt vmcnt(7) lgkmcnt(0)
	v_mul_f64 v[133:134], v[3:4], v[170:171]
	s_waitcnt vmcnt(6)
	v_fma_f64 v[5:6], v[5:6], v[186:187], -v[139:140]
	v_mul_f64 v[131:132], v[1:2], v[170:171]
	v_fma_f64 v[7:8], v[7:8], v[186:187], v[129:130]
	v_add_f64 v[121:122], v[125:126], v[121:122]
	v_add_f64 v[123:124], v[127:128], v[123:124]
	s_waitcnt vmcnt(4)
	v_fma_f64 v[1:2], v[1:2], v[174:175], -v[133:134]
	v_fma_f64 v[3:4], v[3:4], v[174:175], v[131:132]
	v_add_f64 v[5:6], v[121:122], v[5:6]
	v_add_f64 v[7:8], v[123:124], v[7:8]
	;; [unrolled: 1-line block ×4, first 2 shown]
	s_waitcnt vmcnt(2)
	v_add_f64 v[1:2], v[148:149], -v[1:2]
	s_waitcnt vmcnt(0)
	v_add_f64 v[3:4], v[190:191], -v[3:4]
	buffer_store_dword v2, off, s[0:3], 0 offset:388
	buffer_store_dword v1, off, s[0:3], 0 offset:384
	;; [unrolled: 1-line block ×4, first 2 shown]
	v_cmpx_lt_u32_e32 22, v0
	s_cbranch_execz .LBB119_305
; %bb.304:
	v_mov_b32_e32 v4, s46
	v_mov_b32_e32 v5, 0
	s_clause 0x3
	buffer_load_dword v1, v4, s[0:3], 0 offen
	buffer_load_dword v2, v4, s[0:3], 0 offen offset:4
	buffer_load_dword v3, v4, s[0:3], 0 offen offset:8
	;; [unrolled: 1-line block ×3, first 2 shown]
	buffer_store_dword v5, off, s[0:3], 0 offset:368
	buffer_store_dword v5, off, s[0:3], 0 offset:372
	;; [unrolled: 1-line block ×4, first 2 shown]
	s_waitcnt vmcnt(0)
	ds_write_b128 v181, v[1:4]
.LBB119_305:
	s_or_b32 exec_lo, exec_lo, s4
	s_waitcnt lgkmcnt(0)
	s_waitcnt_vscnt null, 0x0
	s_barrier
	buffer_gl0_inv
	s_clause 0x37
	buffer_load_dword v121, off, s[0:3], 0 offset:392
	buffer_load_dword v122, off, s[0:3], 0 offset:396
	;; [unrolled: 1-line block ×56, first 2 shown]
	v_mov_b32_e32 v163, 0
	s_mov_b32 s4, exec_lo
	ds_read_b128 v[151:154], v163 offset:1264
	s_clause 0x2
	buffer_load_dword v183, off, s[0:3], 0 offset:620
	buffer_load_dword v187, off, s[0:3], 0 offset:596
	;; [unrolled: 1-line block ×3, first 2 shown]
	ds_read_b128 v[155:158], v163 offset:1280
	s_clause 0x4
	buffer_load_dword v191, off, s[0:3], 0 offset:636
	buffer_load_dword v192, off, s[0:3], 0 offset:648
	;; [unrolled: 1-line block ×5, first 2 shown]
	ds_read_b128 v[159:162], v163 offset:1296
	s_clause 0x2
	buffer_load_dword v193, off, s[0:3], 0 offset:652
	buffer_load_dword v198, off, s[0:3], 0 offset:628
	;; [unrolled: 1-line block ×3, first 2 shown]
	s_waitcnt vmcnt(62) lgkmcnt(2)
	v_mul_f64 v[188:189], v[153:154], v[121:122]
	v_mul_f64 v[121:122], v[151:152], v[121:122]
	s_waitcnt lgkmcnt(1)
	v_mul_f64 v[195:196], v[157:158], v[5:6]
	s_waitcnt vmcnt(59) lgkmcnt(0)
	v_mul_f64 v[199:200], v[161:162], v[3:4]
	v_fma_f64 v[151:152], v[151:152], v[7:8], -v[188:189]
	v_mul_f64 v[188:189], v[155:156], v[5:6]
	v_fma_f64 v[121:122], v[153:154], v[7:8], v[121:122]
	s_waitcnt vmcnt(57)
	v_fma_f64 v[155:156], v[155:156], v[1:2], -v[195:196]
	ds_read_b128 v[5:8], v163 offset:1312
	v_mul_f64 v[153:154], v[159:160], v[3:4]
	s_waitcnt vmcnt(51)
	v_fma_f64 v[159:160], v[159:160], v[137:138], -v[199:200]
	v_add_f64 v[151:152], v[151:152], 0
	v_fma_f64 v[157:158], v[157:158], v[1:2], v[188:189]
	v_add_f64 v[121:122], v[121:122], 0
	s_clause 0x4
	buffer_load_dword v189, off, s[0:3], 0 offset:668
	buffer_load_dword v201, off, s[0:3], 0 offset:680
	;; [unrolled: 1-line block ×5, first 2 shown]
	s_waitcnt lgkmcnt(0)
	v_mul_f64 v[204:205], v[5:6], v[125:126]
	v_mul_f64 v[125:126], v[7:8], v[125:126]
	ds_read_b128 v[1:4], v163 offset:1328
	v_fma_f64 v[137:138], v[161:162], v[137:138], v[153:154]
	v_add_f64 v[155:156], v[151:152], v[155:156]
	v_add_f64 v[121:122], v[121:122], v[157:158]
	s_clause 0x2
	buffer_load_dword v202, off, s[0:3], 0 offset:684
	buffer_load_dword v158, off, s[0:3], 0 offset:660
	buffer_load_dword v157, off, s[0:3], 0 offset:656
	s_waitcnt vmcnt(58) lgkmcnt(0)
	v_mul_f64 v[161:162], v[1:2], v[129:130]
	v_mul_f64 v[129:130], v[3:4], v[129:130]
	s_waitcnt vmcnt(56)
	v_fma_f64 v[125:126], v[5:6], v[131:132], -v[125:126]
	ds_read_b128 v[151:154], v163 offset:1344
	v_fma_f64 v[131:132], v[7:8], v[131:132], v[204:205]
	v_add_f64 v[155:156], v[155:156], v[159:160]
	v_add_f64 v[121:122], v[121:122], v[137:138]
	s_clause 0x4
	buffer_load_dword v138, off, s[0:3], 0 offset:700
	buffer_load_dword v159, off, s[0:3], 0 offset:712
	;; [unrolled: 1-line block ×5, first 2 shown]
	ds_read_b128 v[5:8], v163 offset:1360
	s_waitcnt vmcnt(57) lgkmcnt(1)
	v_mul_f64 v[205:206], v[151:152], v[133:134]
	v_mul_f64 v[133:134], v[153:154], v[133:134]
	s_waitcnt vmcnt(56)
	v_fma_f64 v[129:130], v[1:2], v[123:124], -v[129:130]
	v_fma_f64 v[123:124], v[3:4], v[123:124], v[161:162]
	v_add_f64 v[125:126], v[155:156], v[125:126]
	v_add_f64 v[121:122], v[121:122], v[131:132]
	s_clause 0x2
	buffer_load_dword v160, off, s[0:3], 0 offset:716
	buffer_load_dword v132, off, s[0:3], 0 offset:692
	buffer_load_dword v131, off, s[0:3], 0 offset:688
	s_waitcnt vmcnt(58) lgkmcnt(0)
	v_mul_f64 v[155:156], v[5:6], v[139:140]
	v_mul_f64 v[139:140], v[7:8], v[139:140]
	s_waitcnt vmcnt(56)
	v_fma_f64 v[133:134], v[151:152], v[141:142], -v[133:134]
	ds_read_b128 v[1:4], v163 offset:1376
	v_add_f64 v[125:126], v[125:126], v[129:130]
	v_fma_f64 v[129:130], v[153:154], v[141:142], v[205:206]
	v_add_f64 v[141:142], v[121:122], v[123:124]
	s_clause 0x4
	buffer_load_dword v152, off, s[0:3], 0 offset:732
	buffer_load_dword v153, off, s[0:3], 0 offset:744
	;; [unrolled: 1-line block ×5, first 2 shown]
	ds_read_b128 v[121:124], v163 offset:1392
	s_waitcnt vmcnt(57) lgkmcnt(1)
	v_mul_f64 v[205:206], v[1:2], v[143:144]
	v_mul_f64 v[143:144], v[3:4], v[143:144]
	s_waitcnt vmcnt(56)
	v_fma_f64 v[139:140], v[5:6], v[127:128], -v[139:140]
	v_fma_f64 v[127:128], v[7:8], v[127:128], v[155:156]
	v_add_f64 v[125:126], v[125:126], v[133:134]
	s_clause 0x2
	buffer_load_dword v154, off, s[0:3], 0 offset:748
	buffer_load_dword v134, off, s[0:3], 0 offset:724
	;; [unrolled: 1-line block ×3, first 2 shown]
	v_add_f64 v[129:130], v[141:142], v[129:130]
	s_waitcnt vmcnt(58) lgkmcnt(0)
	v_mul_f64 v[141:142], v[121:122], v[147:148]
	v_mul_f64 v[147:148], v[123:124], v[147:148]
	ds_read_b128 v[5:8], v163 offset:1408
	s_waitcnt vmcnt(56)
	v_fma_f64 v[143:144], v[1:2], v[149:150], -v[143:144]
	v_add_f64 v[125:126], v[125:126], v[139:140]
	v_fma_f64 v[139:140], v[3:4], v[149:150], v[205:206]
	v_add_f64 v[127:128], v[129:130], v[127:128]
	s_clause 0x4
	buffer_load_dword v130, off, s[0:3], 0 offset:764
	buffer_load_dword v149, off, s[0:3], 0 offset:776
	;; [unrolled: 1-line block ×5, first 2 shown]
	s_waitcnt vmcnt(57) lgkmcnt(0)
	v_mul_f64 v[205:206], v[5:6], v[164:165]
	v_mul_f64 v[164:165], v[7:8], v[164:165]
	s_waitcnt vmcnt(56)
	v_fma_f64 v[147:148], v[121:122], v[135:136], -v[147:148]
	ds_read_b128 v[1:4], v163 offset:1424
	v_fma_f64 v[135:136], v[123:124], v[135:136], v[141:142]
	v_add_f64 v[125:126], v[125:126], v[143:144]
	v_add_f64 v[127:128], v[127:128], v[139:140]
	s_clause 0x2
	buffer_load_dword v150, off, s[0:3], 0 offset:780
	buffer_load_dword v140, off, s[0:3], 0 offset:756
	;; [unrolled: 1-line block ×3, first 2 shown]
	ds_read_b128 v[121:124], v163 offset:1440
	s_waitcnt vmcnt(58) lgkmcnt(1)
	v_mul_f64 v[143:144], v[3:4], v[166:167]
	s_waitcnt vmcnt(56)
	v_fma_f64 v[164:165], v[5:6], v[168:169], -v[164:165]
	v_mul_f64 v[141:142], v[1:2], v[166:167]
	v_add_f64 v[125:126], v[125:126], v[147:148]
	v_fma_f64 v[147:148], v[7:8], v[168:169], v[205:206]
	v_add_f64 v[127:128], v[127:128], v[135:136]
	s_clause 0x4
	buffer_load_dword v136, off, s[0:3], 0 offset:796
	buffer_load_dword v166, off, s[0:3], 0 offset:808
	;; [unrolled: 1-line block ×5, first 2 shown]
	s_waitcnt vmcnt(57) lgkmcnt(0)
	v_mul_f64 v[205:206], v[121:122], v[170:171]
	v_mul_f64 v[169:170], v[123:124], v[170:171]
	s_waitcnt vmcnt(56)
	v_fma_f64 v[143:144], v[1:2], v[145:146], -v[143:144]
	ds_read_b128 v[5:8], v163 offset:1456
	v_fma_f64 v[141:142], v[3:4], v[145:146], v[141:142]
	s_clause 0x2
	buffer_load_dword v167, off, s[0:3], 0 offset:812
	buffer_load_dword v146, off, s[0:3], 0 offset:788
	;; [unrolled: 1-line block ×3, first 2 shown]
	ds_read_b128 v[1:4], v163 offset:1472
	v_add_f64 v[125:126], v[125:126], v[164:165]
	v_add_f64 v[127:128], v[127:128], v[147:148]
	s_waitcnt vmcnt(58) lgkmcnt(1)
	v_mul_f64 v[164:165], v[7:8], v[172:173]
	s_waitcnt vmcnt(56)
	v_fma_f64 v[170:171], v[121:122], v[176:177], -v[169:170]
	v_mul_f64 v[147:148], v[5:6], v[172:173]
	v_add_f64 v[125:126], v[125:126], v[143:144]
	v_fma_f64 v[143:144], v[123:124], v[176:177], v[205:206]
	v_add_f64 v[127:128], v[127:128], v[141:142]
	s_clause 0x4
	buffer_load_dword v142, off, s[0:3], 0 offset:828
	buffer_load_dword v172, off, s[0:3], 0 offset:840
	buffer_load_dword v176, off, s[0:3], 0 offset:832
	buffer_load_dword v141, off, s[0:3], 0 offset:824
	buffer_load_dword v169, off, s[0:3], 0 offset:804
	s_waitcnt vmcnt(57) lgkmcnt(0)
	v_mul_f64 v[205:206], v[1:2], v[178:179]
	v_mul_f64 v[177:178], v[3:4], v[178:179]
	s_waitcnt vmcnt(56)
	v_fma_f64 v[164:165], v[5:6], v[174:175], -v[164:165]
	ds_read_b128 v[121:124], v163 offset:1488
	v_fma_f64 v[147:148], v[7:8], v[174:175], v[147:148]
	v_add_f64 v[125:126], v[125:126], v[170:171]
	v_add_f64 v[127:128], v[127:128], v[143:144]
	s_clause 0x2
	buffer_load_dword v173, off, s[0:3], 0 offset:844
	buffer_load_dword v144, off, s[0:3], 0 offset:820
	buffer_load_dword v143, off, s[0:3], 0 offset:816
	ds_read_b128 v[5:8], v163 offset:1504
	s_waitcnt vmcnt(58) lgkmcnt(1)
	v_mul_f64 v[174:175], v[123:124], v[182:183]
	s_waitcnt vmcnt(56)
	v_fma_f64 v[178:179], v[1:2], v[186:187], -v[177:178]
	v_mul_f64 v[170:171], v[121:122], v[182:183]
	v_add_f64 v[125:126], v[125:126], v[164:165]
	v_fma_f64 v[164:165], v[3:4], v[186:187], v[205:206]
	v_add_f64 v[127:128], v[127:128], v[147:148]
	s_clause 0x4
	buffer_load_dword v148, off, s[0:3], 0 offset:860
	buffer_load_dword v182, off, s[0:3], 0 offset:872
	;; [unrolled: 1-line block ×5, first 2 shown]
	s_waitcnt vmcnt(57) lgkmcnt(0)
	v_mul_f64 v[205:206], v[5:6], v[190:191]
	v_mul_f64 v[190:191], v[7:8], v[190:191]
	s_waitcnt vmcnt(56)
	v_fma_f64 v[174:175], v[121:122], v[184:185], -v[174:175]
	ds_read_b128 v[1:4], v163 offset:1520
	v_fma_f64 v[170:171], v[123:124], v[184:185], v[170:171]
	v_add_f64 v[125:126], v[125:126], v[178:179]
	v_add_f64 v[127:128], v[127:128], v[164:165]
	s_clause 0x2
	buffer_load_dword v183, off, s[0:3], 0 offset:876
	buffer_load_dword v165, off, s[0:3], 0 offset:852
	;; [unrolled: 1-line block ×3, first 2 shown]
	ds_read_b128 v[121:124], v163 offset:1536
	s_waitcnt vmcnt(58) lgkmcnt(1)
	v_mul_f64 v[184:185], v[3:4], v[192:193]
	s_waitcnt vmcnt(56)
	v_fma_f64 v[190:191], v[5:6], v[197:198], -v[190:191]
	v_mul_f64 v[178:179], v[1:2], v[192:193]
	v_add_f64 v[125:126], v[125:126], v[174:175]
	v_fma_f64 v[174:175], v[7:8], v[197:198], v[205:206]
	v_add_f64 v[127:128], v[127:128], v[170:171]
	s_clause 0x4
	buffer_load_dword v171, off, s[0:3], 0 offset:892
	buffer_load_dword v192, off, s[0:3], 0 offset:904
	;; [unrolled: 1-line block ×5, first 2 shown]
	ds_read_b128 v[5:8], v163 offset:1552
	s_waitcnt vmcnt(57) lgkmcnt(1)
	v_mul_f64 v[197:198], v[121:122], v[188:189]
	v_mul_f64 v[188:189], v[123:124], v[188:189]
	s_waitcnt vmcnt(56)
	v_fma_f64 v[184:185], v[1:2], v[194:195], -v[184:185]
	v_fma_f64 v[178:179], v[3:4], v[194:195], v[178:179]
	v_add_f64 v[125:126], v[125:126], v[190:191]
	v_add_f64 v[127:128], v[127:128], v[174:175]
	s_clause 0x2
	buffer_load_dword v193, off, s[0:3], 0 offset:908
	buffer_load_dword v175, off, s[0:3], 0 offset:884
	;; [unrolled: 1-line block ×3, first 2 shown]
	ds_read_b128 v[1:4], v163 offset:1568
	s_waitcnt vmcnt(58) lgkmcnt(1)
	v_mul_f64 v[194:195], v[7:8], v[201:202]
	v_mul_f64 v[190:191], v[5:6], v[201:202]
	s_waitcnt vmcnt(56)
	v_fma_f64 v[188:189], v[121:122], v[157:158], -v[188:189]
	v_fma_f64 v[157:158], v[123:124], v[157:158], v[197:198]
	buffer_load_dword v197, off, s[0:3], 0 offset:900
	ds_read_b128 v[121:124], v163 offset:1584
	v_add_f64 v[125:126], v[125:126], v[184:185]
	v_add_f64 v[127:128], v[127:128], v[178:179]
	s_waitcnt vmcnt(53) lgkmcnt(1)
	v_mul_f64 v[178:179], v[1:2], v[137:138]
	v_mul_f64 v[137:138], v[3:4], v[137:138]
	s_waitcnt vmcnt(52)
	v_fma_f64 v[184:185], v[5:6], v[203:204], -v[194:195]
	v_add_f64 v[125:126], v[125:126], v[188:189]
	v_fma_f64 v[188:189], v[7:8], v[203:204], v[190:191]
	v_add_f64 v[127:128], v[127:128], v[157:158]
	ds_read_b128 v[5:8], v163 offset:1600
	s_waitcnt vmcnt(51) lgkmcnt(1)
	v_mul_f64 v[157:158], v[121:122], v[159:160]
	v_mul_f64 v[159:160], v[123:124], v[159:160]
	s_waitcnt vmcnt(49)
	v_fma_f64 v[137:138], v[1:2], v[131:132], -v[137:138]
	v_fma_f64 v[131:132], v[3:4], v[131:132], v[178:179]
	v_add_f64 v[125:126], v[125:126], v[184:185]
	s_clause 0x3
	buffer_load_dword v178, off, s[0:3], 0 offset:368
	buffer_load_dword v179, off, s[0:3], 0 offset:372
	;; [unrolled: 1-line block ×4, first 2 shown]
	v_add_f64 v[127:128], v[127:128], v[188:189]
	ds_read_b128 v[1:4], v163 offset:1616
	s_waitcnt vmcnt(49) lgkmcnt(1)
	v_mul_f64 v[188:189], v[5:6], v[151:152]
	v_mul_f64 v[151:152], v[7:8], v[151:152]
	s_waitcnt vmcnt(48)
	v_fma_f64 v[159:160], v[121:122], v[199:200], -v[159:160]
	v_add_f64 v[125:126], v[125:126], v[137:138]
	v_fma_f64 v[137:138], v[123:124], v[199:200], v[157:158]
	v_add_f64 v[127:128], v[127:128], v[131:132]
	ds_read_b128 v[121:124], v163 offset:1632
	s_waitcnt vmcnt(47) lgkmcnt(1)
	v_mul_f64 v[131:132], v[1:2], v[153:154]
	v_mul_f64 v[153:154], v[3:4], v[153:154]
	s_waitcnt vmcnt(45)
	v_fma_f64 v[151:152], v[5:6], v[133:134], -v[151:152]
	v_fma_f64 v[133:134], v[7:8], v[133:134], v[188:189]
	ds_read_b128 v[5:8], v163 offset:1648
	v_add_f64 v[125:126], v[125:126], v[159:160]
	v_add_f64 v[127:128], v[127:128], v[137:138]
	s_waitcnt vmcnt(41) lgkmcnt(1)
	v_mul_f64 v[137:138], v[121:122], v[129:130]
	v_mul_f64 v[129:130], v[123:124], v[129:130]
	s_waitcnt vmcnt(40)
	v_fma_f64 v[153:154], v[1:2], v[161:162], -v[153:154]
	v_fma_f64 v[131:132], v[3:4], v[161:162], v[131:132]
	ds_read_b128 v[1:4], v163 offset:1664
	v_add_f64 v[125:126], v[125:126], v[151:152]
	v_add_f64 v[127:128], v[127:128], v[133:134]
	;; [unrolled: 9-line block ×3, first 2 shown]
	s_waitcnt vmcnt(33) lgkmcnt(1)
	v_mul_f64 v[131:132], v[1:2], v[135:136]
	v_mul_f64 v[135:136], v[3:4], v[135:136]
	s_waitcnt vmcnt(32)
	v_fma_f64 v[139:140], v[5:6], v[155:156], -v[149:150]
	v_add_f64 v[125:126], v[125:126], v[129:130]
	v_fma_f64 v[129:130], v[7:8], v[155:156], v[133:134]
	v_add_f64 v[127:128], v[127:128], v[137:138]
	ds_read_b128 v[5:8], v163 offset:1696
	s_waitcnt vmcnt(31) lgkmcnt(1)
	v_mul_f64 v[137:138], v[123:124], v[166:167]
	v_mul_f64 v[133:134], v[121:122], v[166:167]
	s_waitcnt vmcnt(29)
	v_fma_f64 v[131:132], v[3:4], v[145:146], v[131:132]
	v_fma_f64 v[135:136], v[1:2], v[145:146], -v[135:136]
	ds_read_b128 v[1:4], v163 offset:1712
	v_add_f64 v[125:126], v[125:126], v[139:140]
	v_add_f64 v[127:128], v[127:128], v[129:130]
	s_waitcnt vmcnt(25) lgkmcnt(1)
	v_mul_f64 v[139:140], v[7:8], v[141:142]
	s_waitcnt vmcnt(24)
	v_fma_f64 v[137:138], v[121:122], v[168:169], -v[137:138]
	v_mul_f64 v[129:130], v[5:6], v[141:142]
	v_fma_f64 v[133:134], v[123:124], v[168:169], v[133:134]
	ds_read_b128 v[121:124], v163 offset:1728
	v_add_f64 v[125:126], v[125:126], v[135:136]
	v_add_f64 v[127:128], v[127:128], v[131:132]
	s_waitcnt vmcnt(23) lgkmcnt(1)
	v_mul_f64 v[135:136], v[3:4], v[172:173]
	v_mul_f64 v[131:132], v[1:2], v[172:173]
	s_waitcnt vmcnt(21)
	v_fma_f64 v[139:140], v[5:6], v[143:144], -v[139:140]
	v_fma_f64 v[129:130], v[7:8], v[143:144], v[129:130]
	ds_read_b128 v[5:8], v163 offset:1744
	v_add_f64 v[125:126], v[125:126], v[137:138]
	v_add_f64 v[127:128], v[127:128], v[133:134]
	s_waitcnt vmcnt(17) lgkmcnt(1)
	v_mul_f64 v[137:138], v[123:124], v[147:148]
	s_waitcnt vmcnt(16)
	v_fma_f64 v[135:136], v[1:2], v[176:177], -v[135:136]
	v_mul_f64 v[133:134], v[121:122], v[147:148]
	v_fma_f64 v[131:132], v[3:4], v[176:177], v[131:132]
	ds_read_b128 v[1:4], v163 offset:1760
	v_add_f64 v[125:126], v[125:126], v[139:140]
	v_add_f64 v[127:128], v[127:128], v[129:130]
	s_waitcnt vmcnt(15) lgkmcnt(1)
	v_mul_f64 v[139:140], v[7:8], v[182:183]
	v_mul_f64 v[129:130], v[5:6], v[182:183]
	s_waitcnt vmcnt(13)
	v_fma_f64 v[137:138], v[121:122], v[164:165], -v[137:138]
	v_fma_f64 v[133:134], v[123:124], v[164:165], v[133:134]
	ds_read_b128 v[121:124], v163 offset:1776
	v_add_f64 v[125:126], v[125:126], v[135:136]
	v_add_f64 v[127:128], v[127:128], v[131:132]
	s_waitcnt vmcnt(9) lgkmcnt(1)
	v_mul_f64 v[135:136], v[3:4], v[170:171]
	s_waitcnt vmcnt(8)
	v_fma_f64 v[5:6], v[5:6], v[186:187], -v[139:140]
	v_mul_f64 v[131:132], v[1:2], v[170:171]
	v_fma_f64 v[7:8], v[7:8], v[186:187], v[129:130]
	v_add_f64 v[125:126], v[125:126], v[137:138]
	v_add_f64 v[127:128], v[127:128], v[133:134]
	s_waitcnt vmcnt(7) lgkmcnt(0)
	v_mul_f64 v[133:134], v[123:124], v[192:193]
	v_mul_f64 v[129:130], v[121:122], v[192:193]
	s_waitcnt vmcnt(5)
	v_fma_f64 v[1:2], v[1:2], v[174:175], -v[135:136]
	v_fma_f64 v[3:4], v[3:4], v[174:175], v[131:132]
	v_add_f64 v[5:6], v[125:126], v[5:6]
	v_add_f64 v[7:8], v[127:128], v[7:8]
	s_waitcnt vmcnt(4)
	v_fma_f64 v[121:122], v[121:122], v[196:197], -v[133:134]
	v_add_f64 v[1:2], v[5:6], v[1:2]
	v_fma_f64 v[5:6], v[123:124], v[196:197], v[129:130]
	v_add_f64 v[3:4], v[7:8], v[3:4]
	v_add_f64 v[1:2], v[1:2], v[121:122]
	;; [unrolled: 1-line block ×3, first 2 shown]
	s_waitcnt vmcnt(2)
	v_add_f64 v[1:2], v[178:179], -v[1:2]
	s_waitcnt vmcnt(0)
	v_add_f64 v[3:4], v[184:185], -v[3:4]
	buffer_store_dword v2, off, s[0:3], 0 offset:372
	buffer_store_dword v1, off, s[0:3], 0 offset:368
	;; [unrolled: 1-line block ×4, first 2 shown]
	v_cmpx_lt_u32_e32 21, v0
	s_cbranch_execz .LBB119_307
; %bb.306:
	v_mov_b32_e32 v4, s47
	s_clause 0x3
	buffer_load_dword v1, v4, s[0:3], 0 offen
	buffer_load_dword v2, v4, s[0:3], 0 offen offset:4
	buffer_load_dword v3, v4, s[0:3], 0 offen offset:8
	buffer_load_dword v4, v4, s[0:3], 0 offen offset:12
	buffer_store_dword v163, off, s[0:3], 0 offset:352
	buffer_store_dword v163, off, s[0:3], 0 offset:356
	;; [unrolled: 1-line block ×4, first 2 shown]
	s_waitcnt vmcnt(0)
	ds_write_b128 v181, v[1:4]
.LBB119_307:
	s_or_b32 exec_lo, exec_lo, s4
	s_waitcnt lgkmcnt(0)
	s_waitcnt_vscnt null, 0x0
	s_barrier
	buffer_gl0_inv
	s_clause 0x37
	buffer_load_dword v121, off, s[0:3], 0 offset:376
	buffer_load_dword v122, off, s[0:3], 0 offset:380
	;; [unrolled: 1-line block ×56, first 2 shown]
	ds_read_b128 v[164:167], v163 offset:1248
	s_clause 0x2
	buffer_load_dword v185, off, s[0:3], 0 offset:604
	buffer_load_dword v187, off, s[0:3], 0 offset:580
	;; [unrolled: 1-line block ×3, first 2 shown]
	ds_read_b128 v[168:171], v163 offset:1264
	s_clause 0x4
	buffer_load_dword v191, off, s[0:3], 0 offset:620
	buffer_load_dword v192, off, s[0:3], 0 offset:632
	buffer_load_dword v194, off, s[0:3], 0 offset:624
	buffer_load_dword v190, off, s[0:3], 0 offset:616
	buffer_load_dword v162, off, s[0:3], 0 offset:596
	ds_read_b128 v[172:175], v163 offset:1280
	s_clause 0x2
	buffer_load_dword v193, off, s[0:3], 0 offset:636
	buffer_load_dword v198, off, s[0:3], 0 offset:612
	buffer_load_dword v197, off, s[0:3], 0 offset:608
	s_mov_b32 s4, exec_lo
	s_waitcnt vmcnt(62) lgkmcnt(2)
	v_mul_f64 v[188:189], v[166:167], v[121:122]
	v_mul_f64 v[121:122], v[164:165], v[121:122]
	s_waitcnt lgkmcnt(1)
	v_mul_f64 v[195:196], v[170:171], v[5:6]
	s_waitcnt vmcnt(59) lgkmcnt(0)
	v_mul_f64 v[199:200], v[174:175], v[3:4]
	v_fma_f64 v[164:165], v[164:165], v[7:8], -v[188:189]
	v_mul_f64 v[188:189], v[168:169], v[5:6]
	v_fma_f64 v[121:122], v[166:167], v[7:8], v[121:122]
	s_waitcnt vmcnt(57)
	v_fma_f64 v[168:169], v[168:169], v[1:2], -v[195:196]
	ds_read_b128 v[5:8], v163 offset:1296
	v_mul_f64 v[166:167], v[172:173], v[3:4]
	s_waitcnt vmcnt(51)
	v_fma_f64 v[172:173], v[172:173], v[137:138], -v[199:200]
	v_add_f64 v[164:165], v[164:165], 0
	v_fma_f64 v[170:171], v[170:171], v[1:2], v[188:189]
	v_add_f64 v[121:122], v[121:122], 0
	s_clause 0x4
	buffer_load_dword v189, off, s[0:3], 0 offset:652
	buffer_load_dword v201, off, s[0:3], 0 offset:664
	;; [unrolled: 1-line block ×5, first 2 shown]
	s_waitcnt lgkmcnt(0)
	v_mul_f64 v[204:205], v[5:6], v[125:126]
	v_mul_f64 v[125:126], v[7:8], v[125:126]
	ds_read_b128 v[1:4], v163 offset:1312
	v_fma_f64 v[137:138], v[174:175], v[137:138], v[166:167]
	v_add_f64 v[168:169], v[164:165], v[168:169]
	v_add_f64 v[121:122], v[121:122], v[170:171]
	s_clause 0x2
	buffer_load_dword v202, off, s[0:3], 0 offset:668
	buffer_load_dword v171, off, s[0:3], 0 offset:644
	;; [unrolled: 1-line block ×3, first 2 shown]
	s_waitcnt vmcnt(58) lgkmcnt(0)
	v_mul_f64 v[174:175], v[1:2], v[129:130]
	v_mul_f64 v[129:130], v[3:4], v[129:130]
	s_waitcnt vmcnt(56)
	v_fma_f64 v[125:126], v[5:6], v[131:132], -v[125:126]
	ds_read_b128 v[164:167], v163 offset:1328
	v_fma_f64 v[131:132], v[7:8], v[131:132], v[204:205]
	v_add_f64 v[168:169], v[168:169], v[172:173]
	v_add_f64 v[121:122], v[121:122], v[137:138]
	s_clause 0x4
	buffer_load_dword v138, off, s[0:3], 0 offset:684
	buffer_load_dword v172, off, s[0:3], 0 offset:696
	buffer_load_dword v199, off, s[0:3], 0 offset:688
	buffer_load_dword v137, off, s[0:3], 0 offset:680
	buffer_load_dword v204, off, s[0:3], 0 offset:660
	ds_read_b128 v[5:8], v163 offset:1344
	s_waitcnt vmcnt(57) lgkmcnt(1)
	v_mul_f64 v[205:206], v[164:165], v[133:134]
	v_mul_f64 v[133:134], v[166:167], v[133:134]
	s_waitcnt vmcnt(56)
	v_fma_f64 v[129:130], v[1:2], v[123:124], -v[129:130]
	v_fma_f64 v[123:124], v[3:4], v[123:124], v[174:175]
	v_add_f64 v[125:126], v[168:169], v[125:126]
	v_add_f64 v[121:122], v[121:122], v[131:132]
	s_clause 0x2
	buffer_load_dword v173, off, s[0:3], 0 offset:700
	buffer_load_dword v132, off, s[0:3], 0 offset:676
	;; [unrolled: 1-line block ×3, first 2 shown]
	s_waitcnt vmcnt(58) lgkmcnt(0)
	v_mul_f64 v[168:169], v[5:6], v[139:140]
	v_mul_f64 v[139:140], v[7:8], v[139:140]
	s_waitcnt vmcnt(56)
	v_fma_f64 v[133:134], v[164:165], v[141:142], -v[133:134]
	ds_read_b128 v[1:4], v163 offset:1360
	v_add_f64 v[125:126], v[125:126], v[129:130]
	v_fma_f64 v[129:130], v[166:167], v[141:142], v[205:206]
	v_add_f64 v[141:142], v[121:122], v[123:124]
	s_clause 0x4
	buffer_load_dword v165, off, s[0:3], 0 offset:716
	buffer_load_dword v166, off, s[0:3], 0 offset:728
	buffer_load_dword v174, off, s[0:3], 0 offset:720
	buffer_load_dword v164, off, s[0:3], 0 offset:712
	buffer_load_dword v200, off, s[0:3], 0 offset:692
	ds_read_b128 v[121:124], v163 offset:1376
	s_waitcnt vmcnt(57) lgkmcnt(1)
	v_mul_f64 v[205:206], v[1:2], v[143:144]
	v_mul_f64 v[143:144], v[3:4], v[143:144]
	s_waitcnt vmcnt(56)
	v_fma_f64 v[139:140], v[5:6], v[127:128], -v[139:140]
	v_fma_f64 v[127:128], v[7:8], v[127:128], v[168:169]
	v_add_f64 v[125:126], v[125:126], v[133:134]
	s_clause 0x2
	buffer_load_dword v167, off, s[0:3], 0 offset:732
	buffer_load_dword v134, off, s[0:3], 0 offset:708
	;; [unrolled: 1-line block ×3, first 2 shown]
	v_add_f64 v[129:130], v[141:142], v[129:130]
	s_waitcnt vmcnt(58) lgkmcnt(0)
	v_mul_f64 v[141:142], v[121:122], v[147:148]
	v_mul_f64 v[147:148], v[123:124], v[147:148]
	ds_read_b128 v[5:8], v163 offset:1392
	s_waitcnt vmcnt(56)
	v_fma_f64 v[143:144], v[1:2], v[149:150], -v[143:144]
	v_add_f64 v[125:126], v[125:126], v[139:140]
	v_fma_f64 v[139:140], v[3:4], v[149:150], v[205:206]
	v_add_f64 v[127:128], v[129:130], v[127:128]
	s_clause 0x4
	buffer_load_dword v130, off, s[0:3], 0 offset:748
	buffer_load_dword v149, off, s[0:3], 0 offset:760
	buffer_load_dword v168, off, s[0:3], 0 offset:752
	buffer_load_dword v129, off, s[0:3], 0 offset:744
	buffer_load_dword v175, off, s[0:3], 0 offset:724
	s_waitcnt vmcnt(57) lgkmcnt(0)
	v_mul_f64 v[205:206], v[5:6], v[151:152]
	v_mul_f64 v[151:152], v[7:8], v[151:152]
	s_waitcnt vmcnt(56)
	v_fma_f64 v[147:148], v[121:122], v[135:136], -v[147:148]
	ds_read_b128 v[1:4], v163 offset:1408
	v_fma_f64 v[135:136], v[123:124], v[135:136], v[141:142]
	v_add_f64 v[125:126], v[125:126], v[143:144]
	v_add_f64 v[127:128], v[127:128], v[139:140]
	s_clause 0x2
	buffer_load_dword v150, off, s[0:3], 0 offset:764
	buffer_load_dword v140, off, s[0:3], 0 offset:740
	;; [unrolled: 1-line block ×3, first 2 shown]
	ds_read_b128 v[121:124], v163 offset:1424
	s_waitcnt vmcnt(58) lgkmcnt(1)
	v_mul_f64 v[143:144], v[3:4], v[155:156]
	s_waitcnt vmcnt(56)
	v_fma_f64 v[151:152], v[5:6], v[157:158], -v[151:152]
	v_mul_f64 v[141:142], v[1:2], v[155:156]
	v_add_f64 v[125:126], v[125:126], v[147:148]
	v_fma_f64 v[147:148], v[7:8], v[157:158], v[205:206]
	v_add_f64 v[127:128], v[127:128], v[135:136]
	s_clause 0x4
	buffer_load_dword v136, off, s[0:3], 0 offset:780
	buffer_load_dword v155, off, s[0:3], 0 offset:792
	;; [unrolled: 1-line block ×5, first 2 shown]
	s_waitcnt vmcnt(57) lgkmcnt(0)
	v_mul_f64 v[205:206], v[121:122], v[159:160]
	v_mul_f64 v[158:159], v[123:124], v[159:160]
	s_waitcnt vmcnt(56)
	v_fma_f64 v[143:144], v[1:2], v[145:146], -v[143:144]
	ds_read_b128 v[5:8], v163 offset:1440
	v_fma_f64 v[141:142], v[3:4], v[145:146], v[141:142]
	s_clause 0x2
	buffer_load_dword v156, off, s[0:3], 0 offset:796
	buffer_load_dword v146, off, s[0:3], 0 offset:772
	;; [unrolled: 1-line block ×3, first 2 shown]
	ds_read_b128 v[1:4], v163 offset:1456
	v_add_f64 v[125:126], v[125:126], v[151:152]
	v_add_f64 v[127:128], v[127:128], v[147:148]
	s_waitcnt vmcnt(58) lgkmcnt(1)
	v_mul_f64 v[151:152], v[7:8], v[176:177]
	s_waitcnt vmcnt(56)
	v_fma_f64 v[159:160], v[121:122], v[178:179], -v[158:159]
	v_mul_f64 v[147:148], v[5:6], v[176:177]
	v_add_f64 v[125:126], v[125:126], v[143:144]
	v_fma_f64 v[143:144], v[123:124], v[178:179], v[205:206]
	v_add_f64 v[127:128], v[127:128], v[141:142]
	s_clause 0x4
	buffer_load_dword v142, off, s[0:3], 0 offset:812
	buffer_load_dword v176, off, s[0:3], 0 offset:824
	;; [unrolled: 1-line block ×5, first 2 shown]
	s_waitcnt vmcnt(57) lgkmcnt(0)
	v_mul_f64 v[179:180], v[1:2], v[182:183]
	v_mul_f64 v[182:183], v[3:4], v[182:183]
	s_waitcnt vmcnt(56)
	v_fma_f64 v[151:152], v[5:6], v[153:154], -v[151:152]
	ds_read_b128 v[121:124], v163 offset:1472
	v_fma_f64 v[147:148], v[7:8], v[153:154], v[147:148]
	v_add_f64 v[125:126], v[125:126], v[159:160]
	v_add_f64 v[127:128], v[127:128], v[143:144]
	s_clause 0x2
	buffer_load_dword v177, off, s[0:3], 0 offset:828
	buffer_load_dword v144, off, s[0:3], 0 offset:804
	;; [unrolled: 1-line block ×3, first 2 shown]
	ds_read_b128 v[5:8], v163 offset:1488
	s_waitcnt vmcnt(58) lgkmcnt(1)
	v_mul_f64 v[159:160], v[123:124], v[184:185]
	s_waitcnt vmcnt(56)
	v_fma_f64 v[182:183], v[1:2], v[186:187], -v[182:183]
	v_mul_f64 v[153:154], v[121:122], v[184:185]
	v_add_f64 v[125:126], v[125:126], v[151:152]
	v_fma_f64 v[151:152], v[3:4], v[186:187], v[179:180]
	v_add_f64 v[127:128], v[127:128], v[147:148]
	s_clause 0x4
	buffer_load_dword v148, off, s[0:3], 0 offset:844
	buffer_load_dword v184, off, s[0:3], 0 offset:856
	;; [unrolled: 1-line block ×5, first 2 shown]
	s_waitcnt vmcnt(57) lgkmcnt(0)
	v_mul_f64 v[205:206], v[5:6], v[190:191]
	v_mul_f64 v[190:191], v[7:8], v[190:191]
	s_waitcnt vmcnt(56)
	v_fma_f64 v[159:160], v[121:122], v[161:162], -v[159:160]
	ds_read_b128 v[1:4], v163 offset:1504
	v_fma_f64 v[153:154], v[123:124], v[161:162], v[153:154]
	v_add_f64 v[125:126], v[125:126], v[182:183]
	v_add_f64 v[127:128], v[127:128], v[151:152]
	s_clause 0x2
	buffer_load_dword v185, off, s[0:3], 0 offset:860
	buffer_load_dword v152, off, s[0:3], 0 offset:836
	buffer_load_dword v151, off, s[0:3], 0 offset:832
	ds_read_b128 v[121:124], v163 offset:1520
	s_waitcnt vmcnt(58) lgkmcnt(1)
	v_mul_f64 v[182:183], v[3:4], v[192:193]
	s_waitcnt vmcnt(56)
	v_fma_f64 v[190:191], v[5:6], v[197:198], -v[190:191]
	v_mul_f64 v[161:162], v[1:2], v[192:193]
	v_add_f64 v[125:126], v[125:126], v[159:160]
	v_fma_f64 v[159:160], v[7:8], v[197:198], v[205:206]
	v_add_f64 v[127:128], v[127:128], v[153:154]
	s_clause 0x4
	buffer_load_dword v154, off, s[0:3], 0 offset:876
	buffer_load_dword v192, off, s[0:3], 0 offset:888
	buffer_load_dword v196, off, s[0:3], 0 offset:880
	buffer_load_dword v153, off, s[0:3], 0 offset:872
	buffer_load_dword v187, off, s[0:3], 0 offset:852
	ds_read_b128 v[5:8], v163 offset:1536
	s_waitcnt vmcnt(57) lgkmcnt(1)
	v_mul_f64 v[197:198], v[121:122], v[188:189]
	v_mul_f64 v[188:189], v[123:124], v[188:189]
	s_waitcnt vmcnt(56)
	v_fma_f64 v[182:183], v[1:2], v[194:195], -v[182:183]
	v_fma_f64 v[161:162], v[3:4], v[194:195], v[161:162]
	v_add_f64 v[125:126], v[125:126], v[190:191]
	v_add_f64 v[127:128], v[127:128], v[159:160]
	s_clause 0x2
	buffer_load_dword v193, off, s[0:3], 0 offset:892
	buffer_load_dword v160, off, s[0:3], 0 offset:868
	;; [unrolled: 1-line block ×3, first 2 shown]
	ds_read_b128 v[1:4], v163 offset:1552
	s_waitcnt vmcnt(58) lgkmcnt(1)
	v_mul_f64 v[194:195], v[7:8], v[201:202]
	v_mul_f64 v[190:191], v[5:6], v[201:202]
	s_waitcnt vmcnt(56)
	v_fma_f64 v[188:189], v[121:122], v[170:171], -v[188:189]
	v_fma_f64 v[170:171], v[123:124], v[170:171], v[197:198]
	v_add_f64 v[125:126], v[125:126], v[182:183]
	v_add_f64 v[127:128], v[127:128], v[161:162]
	s_clause 0x2
	buffer_load_dword v162, off, s[0:3], 0 offset:908
	buffer_load_dword v161, off, s[0:3], 0 offset:904
	;; [unrolled: 1-line block ×3, first 2 shown]
	ds_read_b128 v[121:124], v163 offset:1568
	s_waitcnt vmcnt(55) lgkmcnt(1)
	v_mul_f64 v[182:183], v[1:2], v[137:138]
	v_mul_f64 v[137:138], v[3:4], v[137:138]
	s_waitcnt vmcnt(54)
	v_fma_f64 v[194:195], v[5:6], v[203:204], -v[194:195]
	v_add_f64 v[125:126], v[125:126], v[188:189]
	v_fma_f64 v[188:189], v[7:8], v[203:204], v[190:191]
	v_add_f64 v[127:128], v[127:128], v[170:171]
	s_clause 0x1
	buffer_load_dword v171, off, s[0:3], 0 offset:900
	buffer_load_dword v170, off, s[0:3], 0 offset:896
	ds_read_b128 v[5:8], v163 offset:1584
	s_waitcnt vmcnt(55) lgkmcnt(1)
	v_mul_f64 v[190:191], v[121:122], v[172:173]
	v_mul_f64 v[172:173], v[123:124], v[172:173]
	s_waitcnt vmcnt(53)
	v_fma_f64 v[137:138], v[1:2], v[131:132], -v[137:138]
	v_fma_f64 v[131:132], v[3:4], v[131:132], v[182:183]
	ds_read_b128 v[1:4], v163 offset:1600
	v_add_f64 v[125:126], v[125:126], v[194:195]
	v_add_f64 v[127:128], v[127:128], v[188:189]
	s_waitcnt vmcnt(49) lgkmcnt(1)
	v_mul_f64 v[182:183], v[5:6], v[164:165]
	v_mul_f64 v[164:165], v[7:8], v[164:165]
	s_waitcnt vmcnt(48)
	v_fma_f64 v[172:173], v[121:122], v[199:200], -v[172:173]
	v_add_f64 v[125:126], v[125:126], v[137:138]
	v_fma_f64 v[137:138], v[123:124], v[199:200], v[190:191]
	v_add_f64 v[127:128], v[127:128], v[131:132]
	s_clause 0x3
	buffer_load_dword v131, off, s[0:3], 0 offset:352
	buffer_load_dword v132, off, s[0:3], 0 offset:356
	;; [unrolled: 1-line block ×4, first 2 shown]
	ds_read_b128 v[121:124], v163 offset:1616
	s_waitcnt vmcnt(51) lgkmcnt(1)
	v_mul_f64 v[190:191], v[1:2], v[166:167]
	v_mul_f64 v[166:167], v[3:4], v[166:167]
	s_waitcnt vmcnt(49)
	v_fma_f64 v[164:165], v[5:6], v[133:134], -v[164:165]
	v_fma_f64 v[133:134], v[7:8], v[133:134], v[182:183]
	ds_read_b128 v[5:8], v163 offset:1632
	v_add_f64 v[125:126], v[125:126], v[172:173]
	v_add_f64 v[127:128], v[127:128], v[137:138]
	s_waitcnt vmcnt(45) lgkmcnt(1)
	v_mul_f64 v[137:138], v[121:122], v[129:130]
	v_mul_f64 v[129:130], v[123:124], v[129:130]
	s_waitcnt vmcnt(44)
	v_fma_f64 v[166:167], v[1:2], v[174:175], -v[166:167]
	v_add_f64 v[125:126], v[125:126], v[164:165]
	v_fma_f64 v[164:165], v[3:4], v[174:175], v[190:191]
	v_add_f64 v[127:128], v[127:128], v[133:134]
	ds_read_b128 v[1:4], v163 offset:1648
	s_waitcnt vmcnt(43) lgkmcnt(1)
	v_mul_f64 v[133:134], v[5:6], v[149:150]
	v_mul_f64 v[149:150], v[7:8], v[149:150]
	s_waitcnt vmcnt(41)
	v_fma_f64 v[129:130], v[121:122], v[139:140], -v[129:130]
	v_fma_f64 v[137:138], v[123:124], v[139:140], v[137:138]
	ds_read_b128 v[121:124], v163 offset:1664
	v_add_f64 v[125:126], v[125:126], v[166:167]
	v_add_f64 v[127:128], v[127:128], v[164:165]
	s_waitcnt vmcnt(37) lgkmcnt(1)
	v_mul_f64 v[139:140], v[1:2], v[135:136]
	v_mul_f64 v[135:136], v[3:4], v[135:136]
	s_waitcnt vmcnt(36)
	v_fma_f64 v[149:150], v[5:6], v[168:169], -v[149:150]
	v_add_f64 v[125:126], v[125:126], v[129:130]
	v_fma_f64 v[129:130], v[7:8], v[168:169], v[133:134]
	v_add_f64 v[127:128], v[127:128], v[137:138]
	s_waitcnt vmcnt(35) lgkmcnt(0)
	v_mul_f64 v[137:138], v[123:124], v[155:156]
	ds_read_b128 v[5:8], v163 offset:1680
	v_mul_f64 v[133:134], v[121:122], v[155:156]
	s_waitcnt vmcnt(33)
	v_fma_f64 v[139:140], v[3:4], v[145:146], v[139:140]
	v_fma_f64 v[135:136], v[1:2], v[145:146], -v[135:136]
	ds_read_b128 v[1:4], v163 offset:1696
	v_add_f64 v[125:126], v[125:126], v[149:150]
	v_add_f64 v[127:128], v[127:128], v[129:130]
	s_waitcnt vmcnt(29) lgkmcnt(1)
	v_mul_f64 v[129:130], v[5:6], v[141:142]
	v_mul_f64 v[141:142], v[7:8], v[141:142]
	s_waitcnt vmcnt(28)
	v_fma_f64 v[137:138], v[121:122], v[157:158], -v[137:138]
	v_fma_f64 v[133:134], v[123:124], v[157:158], v[133:134]
	ds_read_b128 v[121:124], v163 offset:1712
	v_add_f64 v[125:126], v[125:126], v[135:136]
	v_add_f64 v[127:128], v[127:128], v[139:140]
	s_waitcnt vmcnt(27) lgkmcnt(1)
	v_mul_f64 v[139:140], v[3:4], v[176:177]
	v_mul_f64 v[135:136], v[1:2], v[176:177]
	s_waitcnt vmcnt(25)
	v_fma_f64 v[141:142], v[5:6], v[143:144], -v[141:142]
	v_fma_f64 v[129:130], v[7:8], v[143:144], v[129:130]
	ds_read_b128 v[5:8], v163 offset:1728
	v_add_f64 v[125:126], v[125:126], v[137:138]
	v_add_f64 v[127:128], v[127:128], v[133:134]
	s_waitcnt vmcnt(21) lgkmcnt(1)
	v_mul_f64 v[137:138], v[123:124], v[147:148]
	s_waitcnt vmcnt(20)
	v_fma_f64 v[139:140], v[1:2], v[178:179], -v[139:140]
	v_mul_f64 v[133:134], v[121:122], v[147:148]
	v_fma_f64 v[135:136], v[3:4], v[178:179], v[135:136]
	ds_read_b128 v[1:4], v163 offset:1744
	v_add_f64 v[125:126], v[125:126], v[141:142]
	v_add_f64 v[127:128], v[127:128], v[129:130]
	s_waitcnt vmcnt(19) lgkmcnt(1)
	v_mul_f64 v[141:142], v[7:8], v[184:185]
	v_mul_f64 v[129:130], v[5:6], v[184:185]
	s_waitcnt vmcnt(17)
	v_fma_f64 v[137:138], v[121:122], v[151:152], -v[137:138]
	v_fma_f64 v[133:134], v[123:124], v[151:152], v[133:134]
	ds_read_b128 v[121:124], v163 offset:1760
	v_add_f64 v[125:126], v[125:126], v[139:140]
	v_add_f64 v[127:128], v[127:128], v[135:136]
	s_waitcnt vmcnt(13) lgkmcnt(1)
	v_mul_f64 v[139:140], v[3:4], v[153:154]
	s_waitcnt vmcnt(12)
	v_fma_f64 v[141:142], v[5:6], v[186:187], -v[141:142]
	v_mul_f64 v[135:136], v[1:2], v[153:154]
	v_fma_f64 v[129:130], v[7:8], v[186:187], v[129:130]
	ds_read_b128 v[5:8], v163 offset:1776
	v_add_f64 v[125:126], v[125:126], v[137:138]
	v_add_f64 v[127:128], v[127:128], v[133:134]
	s_waitcnt vmcnt(11) lgkmcnt(1)
	v_mul_f64 v[137:138], v[123:124], v[192:193]
	v_mul_f64 v[133:134], v[121:122], v[192:193]
	s_waitcnt vmcnt(9)
	v_fma_f64 v[1:2], v[1:2], v[159:160], -v[139:140]
	v_fma_f64 v[3:4], v[3:4], v[159:160], v[135:136]
	v_add_f64 v[125:126], v[125:126], v[141:142]
	v_add_f64 v[127:128], v[127:128], v[129:130]
	s_waitcnt vmcnt(7) lgkmcnt(0)
	v_mul_f64 v[135:136], v[7:8], v[161:162]
	s_waitcnt vmcnt(6)
	v_fma_f64 v[121:122], v[121:122], v[196:197], -v[137:138]
	v_mul_f64 v[129:130], v[5:6], v[161:162]
	v_fma_f64 v[123:124], v[123:124], v[196:197], v[133:134]
	v_add_f64 v[1:2], v[125:126], v[1:2]
	v_add_f64 v[3:4], v[127:128], v[3:4]
	s_waitcnt vmcnt(4)
	v_fma_f64 v[5:6], v[5:6], v[170:171], -v[135:136]
	v_fma_f64 v[7:8], v[7:8], v[170:171], v[129:130]
	v_add_f64 v[1:2], v[1:2], v[121:122]
	v_add_f64 v[3:4], v[3:4], v[123:124]
	;; [unrolled: 1-line block ×4, first 2 shown]
	s_waitcnt vmcnt(2)
	v_add_f64 v[1:2], v[131:132], -v[1:2]
	s_waitcnt vmcnt(0)
	v_add_f64 v[3:4], v[188:189], -v[3:4]
	buffer_store_dword v2, off, s[0:3], 0 offset:356
	buffer_store_dword v1, off, s[0:3], 0 offset:352
	;; [unrolled: 1-line block ×4, first 2 shown]
	v_cmpx_lt_u32_e32 20, v0
	s_cbranch_execz .LBB119_309
; %bb.308:
	v_mov_b32_e32 v4, s48
	v_mov_b32_e32 v5, 0
	s_clause 0x3
	buffer_load_dword v1, v4, s[0:3], 0 offen
	buffer_load_dword v2, v4, s[0:3], 0 offen offset:4
	buffer_load_dword v3, v4, s[0:3], 0 offen offset:8
	;; [unrolled: 1-line block ×3, first 2 shown]
	buffer_store_dword v5, off, s[0:3], 0 offset:336
	buffer_store_dword v5, off, s[0:3], 0 offset:340
	;; [unrolled: 1-line block ×4, first 2 shown]
	s_waitcnt vmcnt(0)
	ds_write_b128 v181, v[1:4]
.LBB119_309:
	s_or_b32 exec_lo, exec_lo, s4
	s_waitcnt lgkmcnt(0)
	s_waitcnt_vscnt null, 0x0
	s_barrier
	buffer_gl0_inv
	s_clause 0x37
	buffer_load_dword v121, off, s[0:3], 0 offset:360
	buffer_load_dword v122, off, s[0:3], 0 offset:364
	;; [unrolled: 1-line block ×56, first 2 shown]
	v_mov_b32_e32 v173, 0
	s_mov_b32 s4, exec_lo
	ds_read_b128 v[174:177], v173 offset:1232
	s_clause 0x2
	buffer_load_dword v170, off, s[0:3], 0 offset:588
	buffer_load_dword v172, off, s[0:3], 0 offset:564
	;; [unrolled: 1-line block ×3, first 2 shown]
	ds_read_b128 v[182:185], v173 offset:1248
	s_clause 0x4
	buffer_load_dword v191, off, s[0:3], 0 offset:604
	buffer_load_dword v192, off, s[0:3], 0 offset:616
	;; [unrolled: 1-line block ×5, first 2 shown]
	ds_read_b128 v[186:189], v173 offset:1264
	s_clause 0x2
	buffer_load_dword v193, off, s[0:3], 0 offset:620
	buffer_load_dword v198, off, s[0:3], 0 offset:596
	;; [unrolled: 1-line block ×3, first 2 shown]
	s_waitcnt vmcnt(62) lgkmcnt(2)
	v_mul_f64 v[178:179], v[176:177], v[121:122]
	v_mul_f64 v[121:122], v[174:175], v[121:122]
	s_waitcnt lgkmcnt(1)
	v_mul_f64 v[195:196], v[184:185], v[5:6]
	s_waitcnt vmcnt(59) lgkmcnt(0)
	v_mul_f64 v[199:200], v[188:189], v[3:4]
	v_fma_f64 v[174:175], v[174:175], v[7:8], -v[178:179]
	v_mul_f64 v[178:179], v[182:183], v[5:6]
	v_fma_f64 v[121:122], v[176:177], v[7:8], v[121:122]
	s_waitcnt vmcnt(57)
	v_fma_f64 v[182:183], v[182:183], v[1:2], -v[195:196]
	ds_read_b128 v[5:8], v173 offset:1280
	v_mul_f64 v[176:177], v[186:187], v[3:4]
	s_waitcnt vmcnt(51)
	v_fma_f64 v[186:187], v[186:187], v[137:138], -v[199:200]
	v_add_f64 v[174:175], v[174:175], 0
	v_fma_f64 v[178:179], v[184:185], v[1:2], v[178:179]
	v_add_f64 v[121:122], v[121:122], 0
	s_clause 0x4
	buffer_load_dword v185, off, s[0:3], 0 offset:636
	buffer_load_dword v201, off, s[0:3], 0 offset:648
	;; [unrolled: 1-line block ×5, first 2 shown]
	s_waitcnt lgkmcnt(0)
	v_mul_f64 v[204:205], v[5:6], v[125:126]
	v_mul_f64 v[125:126], v[7:8], v[125:126]
	ds_read_b128 v[1:4], v173 offset:1296
	v_fma_f64 v[137:138], v[188:189], v[137:138], v[176:177]
	v_add_f64 v[182:183], v[174:175], v[182:183]
	v_add_f64 v[121:122], v[121:122], v[178:179]
	s_clause 0x2
	buffer_load_dword v202, off, s[0:3], 0 offset:652
	buffer_load_dword v179, off, s[0:3], 0 offset:628
	;; [unrolled: 1-line block ×3, first 2 shown]
	s_waitcnt vmcnt(58) lgkmcnt(0)
	v_mul_f64 v[188:189], v[1:2], v[129:130]
	v_mul_f64 v[129:130], v[3:4], v[129:130]
	s_waitcnt vmcnt(56)
	v_fma_f64 v[125:126], v[5:6], v[131:132], -v[125:126]
	ds_read_b128 v[174:177], v173 offset:1312
	v_fma_f64 v[131:132], v[7:8], v[131:132], v[204:205]
	v_add_f64 v[182:183], v[182:183], v[186:187]
	v_add_f64 v[121:122], v[121:122], v[137:138]
	s_clause 0x4
	buffer_load_dword v138, off, s[0:3], 0 offset:668
	buffer_load_dword v186, off, s[0:3], 0 offset:680
	buffer_load_dword v199, off, s[0:3], 0 offset:672
	buffer_load_dword v137, off, s[0:3], 0 offset:664
	buffer_load_dword v204, off, s[0:3], 0 offset:644
	ds_read_b128 v[5:8], v173 offset:1328
	s_waitcnt vmcnt(57) lgkmcnt(1)
	v_mul_f64 v[205:206], v[174:175], v[133:134]
	v_mul_f64 v[133:134], v[176:177], v[133:134]
	s_waitcnt vmcnt(56)
	v_fma_f64 v[129:130], v[1:2], v[123:124], -v[129:130]
	v_fma_f64 v[123:124], v[3:4], v[123:124], v[188:189]
	v_add_f64 v[125:126], v[182:183], v[125:126]
	v_add_f64 v[121:122], v[121:122], v[131:132]
	s_clause 0x2
	buffer_load_dword v187, off, s[0:3], 0 offset:684
	buffer_load_dword v132, off, s[0:3], 0 offset:660
	;; [unrolled: 1-line block ×3, first 2 shown]
	s_waitcnt vmcnt(58) lgkmcnt(0)
	v_mul_f64 v[182:183], v[5:6], v[139:140]
	v_mul_f64 v[139:140], v[7:8], v[139:140]
	s_waitcnt vmcnt(56)
	v_fma_f64 v[133:134], v[174:175], v[141:142], -v[133:134]
	ds_read_b128 v[1:4], v173 offset:1344
	v_add_f64 v[125:126], v[125:126], v[129:130]
	v_fma_f64 v[129:130], v[176:177], v[141:142], v[205:206]
	v_add_f64 v[141:142], v[121:122], v[123:124]
	s_clause 0x4
	buffer_load_dword v175, off, s[0:3], 0 offset:700
	buffer_load_dword v176, off, s[0:3], 0 offset:712
	;; [unrolled: 1-line block ×5, first 2 shown]
	ds_read_b128 v[121:124], v173 offset:1360
	s_waitcnt vmcnt(57) lgkmcnt(1)
	v_mul_f64 v[205:206], v[1:2], v[143:144]
	v_mul_f64 v[143:144], v[3:4], v[143:144]
	s_waitcnt vmcnt(56)
	v_fma_f64 v[139:140], v[5:6], v[127:128], -v[139:140]
	v_fma_f64 v[127:128], v[7:8], v[127:128], v[182:183]
	v_add_f64 v[125:126], v[125:126], v[133:134]
	s_clause 0x2
	buffer_load_dword v177, off, s[0:3], 0 offset:716
	buffer_load_dword v134, off, s[0:3], 0 offset:692
	;; [unrolled: 1-line block ×3, first 2 shown]
	v_add_f64 v[129:130], v[141:142], v[129:130]
	s_waitcnt vmcnt(58) lgkmcnt(0)
	v_mul_f64 v[141:142], v[121:122], v[147:148]
	v_mul_f64 v[147:148], v[123:124], v[147:148]
	ds_read_b128 v[5:8], v173 offset:1376
	s_waitcnt vmcnt(56)
	v_fma_f64 v[143:144], v[1:2], v[149:150], -v[143:144]
	v_add_f64 v[125:126], v[125:126], v[139:140]
	v_fma_f64 v[139:140], v[3:4], v[149:150], v[205:206]
	v_add_f64 v[127:128], v[129:130], v[127:128]
	s_clause 0x4
	buffer_load_dword v130, off, s[0:3], 0 offset:732
	buffer_load_dword v149, off, s[0:3], 0 offset:744
	;; [unrolled: 1-line block ×5, first 2 shown]
	s_waitcnt vmcnt(57) lgkmcnt(0)
	v_mul_f64 v[205:206], v[5:6], v[151:152]
	v_mul_f64 v[151:152], v[7:8], v[151:152]
	s_waitcnt vmcnt(56)
	v_fma_f64 v[147:148], v[121:122], v[135:136], -v[147:148]
	ds_read_b128 v[1:4], v173 offset:1392
	v_fma_f64 v[135:136], v[123:124], v[135:136], v[141:142]
	v_add_f64 v[125:126], v[125:126], v[143:144]
	v_add_f64 v[127:128], v[127:128], v[139:140]
	s_clause 0x2
	buffer_load_dword v150, off, s[0:3], 0 offset:748
	buffer_load_dword v140, off, s[0:3], 0 offset:724
	;; [unrolled: 1-line block ×3, first 2 shown]
	ds_read_b128 v[121:124], v173 offset:1408
	s_waitcnt vmcnt(58) lgkmcnt(1)
	v_mul_f64 v[143:144], v[3:4], v[155:156]
	s_waitcnt vmcnt(56)
	v_fma_f64 v[151:152], v[5:6], v[157:158], -v[151:152]
	v_mul_f64 v[141:142], v[1:2], v[155:156]
	v_add_f64 v[125:126], v[125:126], v[147:148]
	v_fma_f64 v[147:148], v[7:8], v[157:158], v[205:206]
	v_add_f64 v[127:128], v[127:128], v[135:136]
	s_clause 0x4
	buffer_load_dword v136, off, s[0:3], 0 offset:764
	buffer_load_dword v155, off, s[0:3], 0 offset:776
	buffer_load_dword v157, off, s[0:3], 0 offset:768
	buffer_load_dword v135, off, s[0:3], 0 offset:760
	buffer_load_dword v183, off, s[0:3], 0 offset:740
	s_waitcnt vmcnt(57) lgkmcnt(0)
	v_mul_f64 v[205:206], v[121:122], v[159:160]
	v_mul_f64 v[158:159], v[123:124], v[159:160]
	s_waitcnt vmcnt(56)
	v_fma_f64 v[143:144], v[1:2], v[145:146], -v[143:144]
	ds_read_b128 v[5:8], v173 offset:1424
	v_fma_f64 v[141:142], v[3:4], v[145:146], v[141:142]
	s_clause 0x2
	buffer_load_dword v156, off, s[0:3], 0 offset:780
	buffer_load_dword v146, off, s[0:3], 0 offset:756
	;; [unrolled: 1-line block ×3, first 2 shown]
	ds_read_b128 v[1:4], v173 offset:1440
	v_add_f64 v[125:126], v[125:126], v[151:152]
	v_add_f64 v[127:128], v[127:128], v[147:148]
	s_waitcnt vmcnt(58) lgkmcnt(1)
	v_mul_f64 v[151:152], v[7:8], v[163:164]
	s_waitcnt vmcnt(56)
	v_fma_f64 v[159:160], v[121:122], v[165:166], -v[158:159]
	v_mul_f64 v[147:148], v[5:6], v[163:164]
	v_add_f64 v[125:126], v[125:126], v[143:144]
	v_fma_f64 v[143:144], v[123:124], v[165:166], v[205:206]
	v_add_f64 v[127:128], v[127:128], v[141:142]
	s_clause 0x4
	buffer_load_dword v142, off, s[0:3], 0 offset:796
	buffer_load_dword v163, off, s[0:3], 0 offset:808
	;; [unrolled: 1-line block ×5, first 2 shown]
	s_waitcnt vmcnt(57) lgkmcnt(0)
	v_mul_f64 v[205:206], v[1:2], v[167:168]
	v_mul_f64 v[166:167], v[3:4], v[167:168]
	s_waitcnt vmcnt(56)
	v_fma_f64 v[151:152], v[5:6], v[153:154], -v[151:152]
	ds_read_b128 v[121:124], v173 offset:1456
	v_fma_f64 v[147:148], v[7:8], v[153:154], v[147:148]
	v_add_f64 v[125:126], v[125:126], v[159:160]
	v_add_f64 v[127:128], v[127:128], v[143:144]
	s_clause 0x2
	buffer_load_dword v164, off, s[0:3], 0 offset:812
	buffer_load_dword v144, off, s[0:3], 0 offset:788
	;; [unrolled: 1-line block ×3, first 2 shown]
	ds_read_b128 v[5:8], v173 offset:1472
	s_waitcnt vmcnt(58) lgkmcnt(1)
	v_mul_f64 v[159:160], v[123:124], v[169:170]
	s_waitcnt vmcnt(56)
	v_fma_f64 v[167:168], v[1:2], v[171:172], -v[166:167]
	v_mul_f64 v[153:154], v[121:122], v[169:170]
	v_add_f64 v[125:126], v[125:126], v[151:152]
	v_fma_f64 v[151:152], v[3:4], v[171:172], v[205:206]
	v_add_f64 v[127:128], v[127:128], v[147:148]
	s_clause 0x4
	buffer_load_dword v148, off, s[0:3], 0 offset:828
	buffer_load_dword v169, off, s[0:3], 0 offset:840
	;; [unrolled: 1-line block ×5, first 2 shown]
	s_waitcnt vmcnt(57) lgkmcnt(0)
	v_mul_f64 v[205:206], v[5:6], v[190:191]
	v_mul_f64 v[190:191], v[7:8], v[190:191]
	s_waitcnt vmcnt(56)
	v_fma_f64 v[159:160], v[121:122], v[161:162], -v[159:160]
	ds_read_b128 v[1:4], v173 offset:1488
	v_fma_f64 v[153:154], v[123:124], v[161:162], v[153:154]
	v_add_f64 v[125:126], v[125:126], v[167:168]
	v_add_f64 v[127:128], v[127:128], v[151:152]
	s_clause 0x2
	buffer_load_dword v170, off, s[0:3], 0 offset:844
	buffer_load_dword v152, off, s[0:3], 0 offset:820
	;; [unrolled: 1-line block ×3, first 2 shown]
	ds_read_b128 v[121:124], v173 offset:1504
	s_waitcnt vmcnt(58) lgkmcnt(1)
	v_mul_f64 v[167:168], v[3:4], v[192:193]
	s_waitcnt vmcnt(56)
	v_fma_f64 v[190:191], v[5:6], v[197:198], -v[190:191]
	v_mul_f64 v[161:162], v[1:2], v[192:193]
	v_add_f64 v[125:126], v[125:126], v[159:160]
	v_fma_f64 v[159:160], v[7:8], v[197:198], v[205:206]
	v_add_f64 v[127:128], v[127:128], v[153:154]
	s_clause 0x4
	buffer_load_dword v154, off, s[0:3], 0 offset:860
	buffer_load_dword v192, off, s[0:3], 0 offset:872
	;; [unrolled: 1-line block ×5, first 2 shown]
	ds_read_b128 v[5:8], v173 offset:1520
	s_waitcnt vmcnt(57) lgkmcnt(1)
	v_mul_f64 v[197:198], v[121:122], v[184:185]
	v_mul_f64 v[184:185], v[123:124], v[184:185]
	s_waitcnt vmcnt(56)
	v_fma_f64 v[167:168], v[1:2], v[194:195], -v[167:168]
	v_fma_f64 v[161:162], v[3:4], v[194:195], v[161:162]
	v_add_f64 v[125:126], v[125:126], v[190:191]
	v_add_f64 v[127:128], v[127:128], v[159:160]
	s_clause 0x2
	buffer_load_dword v193, off, s[0:3], 0 offset:876
	buffer_load_dword v160, off, s[0:3], 0 offset:852
	;; [unrolled: 1-line block ×3, first 2 shown]
	ds_read_b128 v[1:4], v173 offset:1536
	s_waitcnt vmcnt(58) lgkmcnt(1)
	v_mul_f64 v[194:195], v[7:8], v[201:202]
	v_mul_f64 v[190:191], v[5:6], v[201:202]
	s_waitcnt vmcnt(56)
	v_fma_f64 v[184:185], v[121:122], v[178:179], -v[184:185]
	v_add_f64 v[125:126], v[125:126], v[167:168]
	v_fma_f64 v[167:168], v[123:124], v[178:179], v[197:198]
	v_add_f64 v[127:128], v[127:128], v[161:162]
	s_clause 0x4
	buffer_load_dword v162, off, s[0:3], 0 offset:892
	buffer_load_dword v178, off, s[0:3], 0 offset:904
	;; [unrolled: 1-line block ×5, first 2 shown]
	ds_read_b128 v[121:124], v173 offset:1552
	s_waitcnt vmcnt(57) lgkmcnt(1)
	v_mul_f64 v[205:206], v[1:2], v[137:138]
	v_mul_f64 v[137:138], v[3:4], v[137:138]
	s_waitcnt vmcnt(56)
	v_fma_f64 v[194:195], v[5:6], v[203:204], -v[194:195]
	v_add_f64 v[125:126], v[125:126], v[184:185]
	v_fma_f64 v[184:185], v[7:8], v[203:204], v[190:191]
	v_add_f64 v[127:128], v[127:128], v[167:168]
	s_clause 0x2
	buffer_load_dword v179, off, s[0:3], 0 offset:908
	buffer_load_dword v168, off, s[0:3], 0 offset:884
	;; [unrolled: 1-line block ×3, first 2 shown]
	ds_read_b128 v[5:8], v173 offset:1568
	buffer_load_dword v202, off, s[0:3], 0 offset:900
	s_waitcnt vmcnt(59) lgkmcnt(1)
	v_mul_f64 v[190:191], v[121:122], v[186:187]
	v_mul_f64 v[186:187], v[123:124], v[186:187]
	s_waitcnt vmcnt(57)
	v_fma_f64 v[137:138], v[1:2], v[131:132], -v[137:138]
	v_fma_f64 v[131:132], v[3:4], v[131:132], v[205:206]
	ds_read_b128 v[1:4], v173 offset:1584
	v_add_f64 v[125:126], v[125:126], v[194:195]
	v_add_f64 v[127:128], v[127:128], v[184:185]
	s_waitcnt vmcnt(53) lgkmcnt(1)
	v_mul_f64 v[184:185], v[5:6], v[174:175]
	v_mul_f64 v[174:175], v[7:8], v[174:175]
	s_waitcnt vmcnt(52)
	v_fma_f64 v[186:187], v[121:122], v[199:200], -v[186:187]
	v_add_f64 v[125:126], v[125:126], v[137:138]
	v_fma_f64 v[137:138], v[123:124], v[199:200], v[190:191]
	v_add_f64 v[127:128], v[127:128], v[131:132]
	ds_read_b128 v[121:124], v173 offset:1600
	s_waitcnt vmcnt(51) lgkmcnt(1)
	v_mul_f64 v[131:132], v[1:2], v[176:177]
	v_mul_f64 v[176:177], v[3:4], v[176:177]
	s_waitcnt vmcnt(49)
	v_fma_f64 v[174:175], v[5:6], v[133:134], -v[174:175]
	v_fma_f64 v[133:134], v[7:8], v[133:134], v[184:185]
	v_add_f64 v[125:126], v[125:126], v[186:187]
	v_add_f64 v[127:128], v[127:128], v[137:138]
	s_clause 0x3
	buffer_load_dword v137, off, s[0:3], 0 offset:336
	buffer_load_dword v138, off, s[0:3], 0 offset:340
	;; [unrolled: 1-line block ×4, first 2 shown]
	ds_read_b128 v[5:8], v173 offset:1616
	s_waitcnt vmcnt(49) lgkmcnt(1)
	v_mul_f64 v[186:187], v[121:122], v[129:130]
	v_mul_f64 v[129:130], v[123:124], v[129:130]
	s_waitcnt vmcnt(48)
	v_fma_f64 v[176:177], v[1:2], v[188:189], -v[176:177]
	v_fma_f64 v[131:132], v[3:4], v[188:189], v[131:132]
	ds_read_b128 v[1:4], v173 offset:1632
	v_add_f64 v[125:126], v[125:126], v[174:175]
	v_add_f64 v[127:128], v[127:128], v[133:134]
	s_waitcnt vmcnt(47) lgkmcnt(1)
	v_mul_f64 v[133:134], v[5:6], v[149:150]
	v_mul_f64 v[149:150], v[7:8], v[149:150]
	s_waitcnt vmcnt(45)
	v_fma_f64 v[129:130], v[121:122], v[139:140], -v[129:130]
	v_fma_f64 v[139:140], v[123:124], v[139:140], v[186:187]
	ds_read_b128 v[121:124], v173 offset:1648
	v_add_f64 v[125:126], v[125:126], v[176:177]
	v_add_f64 v[127:128], v[127:128], v[131:132]
	s_waitcnt vmcnt(41) lgkmcnt(1)
	v_mul_f64 v[131:132], v[1:2], v[135:136]
	v_mul_f64 v[135:136], v[3:4], v[135:136]
	s_waitcnt vmcnt(40)
	v_fma_f64 v[149:150], v[5:6], v[182:183], -v[149:150]
	v_add_f64 v[125:126], v[125:126], v[129:130]
	v_fma_f64 v[129:130], v[7:8], v[182:183], v[133:134]
	v_add_f64 v[127:128], v[127:128], v[139:140]
	ds_read_b128 v[5:8], v173 offset:1664
	s_waitcnt vmcnt(39) lgkmcnt(1)
	v_mul_f64 v[139:140], v[123:124], v[155:156]
	v_mul_f64 v[133:134], v[121:122], v[155:156]
	s_waitcnt vmcnt(37)
	v_fma_f64 v[131:132], v[3:4], v[145:146], v[131:132]
	v_fma_f64 v[135:136], v[1:2], v[145:146], -v[135:136]
	ds_read_b128 v[1:4], v173 offset:1680
	v_add_f64 v[125:126], v[125:126], v[149:150]
	v_add_f64 v[127:128], v[127:128], v[129:130]
	s_waitcnt vmcnt(33) lgkmcnt(1)
	v_mul_f64 v[129:130], v[5:6], v[141:142]
	v_mul_f64 v[141:142], v[7:8], v[141:142]
	s_waitcnt vmcnt(32)
	v_fma_f64 v[139:140], v[121:122], v[157:158], -v[139:140]
	v_fma_f64 v[133:134], v[123:124], v[157:158], v[133:134]
	ds_read_b128 v[121:124], v173 offset:1696
	v_add_f64 v[125:126], v[125:126], v[135:136]
	v_add_f64 v[127:128], v[127:128], v[131:132]
	s_waitcnt vmcnt(31) lgkmcnt(1)
	v_mul_f64 v[135:136], v[3:4], v[163:164]
	v_mul_f64 v[131:132], v[1:2], v[163:164]
	s_waitcnt vmcnt(29)
	v_fma_f64 v[141:142], v[5:6], v[143:144], -v[141:142]
	v_fma_f64 v[129:130], v[7:8], v[143:144], v[129:130]
	ds_read_b128 v[5:8], v173 offset:1712
	v_add_f64 v[125:126], v[125:126], v[139:140]
	v_add_f64 v[127:128], v[127:128], v[133:134]
	s_waitcnt vmcnt(25) lgkmcnt(1)
	v_mul_f64 v[139:140], v[123:124], v[147:148]
	s_waitcnt vmcnt(24)
	v_fma_f64 v[135:136], v[1:2], v[165:166], -v[135:136]
	v_mul_f64 v[133:134], v[121:122], v[147:148]
	v_fma_f64 v[131:132], v[3:4], v[165:166], v[131:132]
	ds_read_b128 v[1:4], v173 offset:1728
	v_add_f64 v[125:126], v[125:126], v[141:142]
	v_add_f64 v[127:128], v[127:128], v[129:130]
	s_waitcnt vmcnt(23) lgkmcnt(1)
	v_mul_f64 v[141:142], v[7:8], v[169:170]
	v_mul_f64 v[129:130], v[5:6], v[169:170]
	s_waitcnt vmcnt(21)
	v_fma_f64 v[139:140], v[121:122], v[151:152], -v[139:140]
	v_fma_f64 v[133:134], v[123:124], v[151:152], v[133:134]
	ds_read_b128 v[121:124], v173 offset:1744
	v_add_f64 v[125:126], v[125:126], v[135:136]
	v_add_f64 v[127:128], v[127:128], v[131:132]
	s_waitcnt vmcnt(17) lgkmcnt(1)
	v_mul_f64 v[135:136], v[3:4], v[153:154]
	s_waitcnt vmcnt(16)
	v_fma_f64 v[141:142], v[5:6], v[171:172], -v[141:142]
	v_mul_f64 v[131:132], v[1:2], v[153:154]
	;; [unrolled: 18-line block ×3, first 2 shown]
	v_fma_f64 v[123:124], v[123:124], v[196:197], v[133:134]
	v_add_f64 v[125:126], v[125:126], v[135:136]
	v_add_f64 v[127:128], v[127:128], v[131:132]
	s_waitcnt vmcnt(7) lgkmcnt(0)
	v_mul_f64 v[133:134], v[3:4], v[178:179]
	v_mul_f64 v[131:132], v[1:2], v[178:179]
	s_waitcnt vmcnt(5)
	v_fma_f64 v[5:6], v[5:6], v[167:168], -v[141:142]
	v_fma_f64 v[7:8], v[7:8], v[167:168], v[129:130]
	v_add_f64 v[121:122], v[125:126], v[121:122]
	v_add_f64 v[123:124], v[127:128], v[123:124]
	s_waitcnt vmcnt(4)
	v_fma_f64 v[1:2], v[1:2], v[201:202], -v[133:134]
	v_fma_f64 v[3:4], v[3:4], v[201:202], v[131:132]
	v_add_f64 v[5:6], v[121:122], v[5:6]
	v_add_f64 v[7:8], v[123:124], v[7:8]
	;; [unrolled: 1-line block ×4, first 2 shown]
	s_waitcnt vmcnt(2)
	v_add_f64 v[1:2], v[137:138], -v[1:2]
	s_waitcnt vmcnt(0)
	v_add_f64 v[3:4], v[184:185], -v[3:4]
	buffer_store_dword v2, off, s[0:3], 0 offset:340
	buffer_store_dword v1, off, s[0:3], 0 offset:336
	;; [unrolled: 1-line block ×4, first 2 shown]
	v_cmpx_lt_u32_e32 19, v0
	s_cbranch_execz .LBB119_311
; %bb.310:
	v_mov_b32_e32 v4, s49
	s_clause 0x3
	buffer_load_dword v1, v4, s[0:3], 0 offen
	buffer_load_dword v2, v4, s[0:3], 0 offen offset:4
	buffer_load_dword v3, v4, s[0:3], 0 offen offset:8
	;; [unrolled: 1-line block ×3, first 2 shown]
	buffer_store_dword v173, off, s[0:3], 0 offset:320
	buffer_store_dword v173, off, s[0:3], 0 offset:324
	;; [unrolled: 1-line block ×4, first 2 shown]
	s_waitcnt vmcnt(0)
	ds_write_b128 v181, v[1:4]
.LBB119_311:
	s_or_b32 exec_lo, exec_lo, s4
	s_waitcnt lgkmcnt(0)
	s_waitcnt_vscnt null, 0x0
	s_barrier
	buffer_gl0_inv
	s_clause 0x37
	buffer_load_dword v121, off, s[0:3], 0 offset:344
	buffer_load_dword v122, off, s[0:3], 0 offset:348
	;; [unrolled: 1-line block ×56, first 2 shown]
	ds_read_b128 v[174:177], v173 offset:1216
	s_clause 0x2
	buffer_load_dword v170, off, s[0:3], 0 offset:572
	buffer_load_dword v172, off, s[0:3], 0 offset:548
	;; [unrolled: 1-line block ×3, first 2 shown]
	ds_read_b128 v[182:185], v173 offset:1232
	s_clause 0x4
	buffer_load_dword v191, off, s[0:3], 0 offset:588
	buffer_load_dword v192, off, s[0:3], 0 offset:600
	;; [unrolled: 1-line block ×5, first 2 shown]
	ds_read_b128 v[186:189], v173 offset:1248
	s_clause 0x2
	buffer_load_dword v193, off, s[0:3], 0 offset:604
	buffer_load_dword v198, off, s[0:3], 0 offset:580
	;; [unrolled: 1-line block ×3, first 2 shown]
	s_mov_b32 s4, exec_lo
	s_waitcnt vmcnt(62) lgkmcnt(2)
	v_mul_f64 v[178:179], v[176:177], v[121:122]
	v_mul_f64 v[121:122], v[174:175], v[121:122]
	s_waitcnt lgkmcnt(1)
	v_mul_f64 v[195:196], v[184:185], v[5:6]
	s_waitcnt vmcnt(59) lgkmcnt(0)
	v_mul_f64 v[199:200], v[188:189], v[3:4]
	v_fma_f64 v[174:175], v[174:175], v[7:8], -v[178:179]
	v_mul_f64 v[178:179], v[182:183], v[5:6]
	v_fma_f64 v[121:122], v[176:177], v[7:8], v[121:122]
	s_waitcnt vmcnt(57)
	v_fma_f64 v[182:183], v[182:183], v[1:2], -v[195:196]
	ds_read_b128 v[5:8], v173 offset:1264
	v_mul_f64 v[176:177], v[186:187], v[3:4]
	s_waitcnt vmcnt(51)
	v_fma_f64 v[186:187], v[186:187], v[137:138], -v[199:200]
	v_add_f64 v[174:175], v[174:175], 0
	v_fma_f64 v[178:179], v[184:185], v[1:2], v[178:179]
	v_add_f64 v[121:122], v[121:122], 0
	s_clause 0x4
	buffer_load_dword v185, off, s[0:3], 0 offset:620
	buffer_load_dword v201, off, s[0:3], 0 offset:632
	;; [unrolled: 1-line block ×5, first 2 shown]
	s_waitcnt lgkmcnt(0)
	v_mul_f64 v[204:205], v[5:6], v[125:126]
	v_mul_f64 v[125:126], v[7:8], v[125:126]
	ds_read_b128 v[1:4], v173 offset:1280
	v_fma_f64 v[137:138], v[188:189], v[137:138], v[176:177]
	v_add_f64 v[182:183], v[174:175], v[182:183]
	v_add_f64 v[121:122], v[121:122], v[178:179]
	s_clause 0x2
	buffer_load_dword v202, off, s[0:3], 0 offset:636
	buffer_load_dword v179, off, s[0:3], 0 offset:612
	;; [unrolled: 1-line block ×3, first 2 shown]
	s_waitcnt vmcnt(58) lgkmcnt(0)
	v_mul_f64 v[188:189], v[1:2], v[129:130]
	v_mul_f64 v[129:130], v[3:4], v[129:130]
	s_waitcnt vmcnt(56)
	v_fma_f64 v[125:126], v[5:6], v[131:132], -v[125:126]
	ds_read_b128 v[174:177], v173 offset:1296
	v_fma_f64 v[131:132], v[7:8], v[131:132], v[204:205]
	v_add_f64 v[182:183], v[182:183], v[186:187]
	v_add_f64 v[121:122], v[121:122], v[137:138]
	s_clause 0x4
	buffer_load_dword v138, off, s[0:3], 0 offset:652
	buffer_load_dword v186, off, s[0:3], 0 offset:664
	;; [unrolled: 1-line block ×5, first 2 shown]
	ds_read_b128 v[5:8], v173 offset:1312
	s_waitcnt vmcnt(57) lgkmcnt(1)
	v_mul_f64 v[205:206], v[174:175], v[133:134]
	v_mul_f64 v[133:134], v[176:177], v[133:134]
	s_waitcnt vmcnt(56)
	v_fma_f64 v[129:130], v[1:2], v[123:124], -v[129:130]
	v_fma_f64 v[123:124], v[3:4], v[123:124], v[188:189]
	v_add_f64 v[125:126], v[182:183], v[125:126]
	v_add_f64 v[121:122], v[121:122], v[131:132]
	s_clause 0x2
	buffer_load_dword v187, off, s[0:3], 0 offset:668
	buffer_load_dword v132, off, s[0:3], 0 offset:644
	;; [unrolled: 1-line block ×3, first 2 shown]
	s_waitcnt vmcnt(58) lgkmcnt(0)
	v_mul_f64 v[182:183], v[5:6], v[139:140]
	v_mul_f64 v[139:140], v[7:8], v[139:140]
	s_waitcnt vmcnt(56)
	v_fma_f64 v[133:134], v[174:175], v[141:142], -v[133:134]
	ds_read_b128 v[1:4], v173 offset:1328
	v_add_f64 v[125:126], v[125:126], v[129:130]
	v_fma_f64 v[129:130], v[176:177], v[141:142], v[205:206]
	v_add_f64 v[141:142], v[121:122], v[123:124]
	s_clause 0x4
	buffer_load_dword v175, off, s[0:3], 0 offset:684
	buffer_load_dword v176, off, s[0:3], 0 offset:696
	;; [unrolled: 1-line block ×5, first 2 shown]
	ds_read_b128 v[121:124], v173 offset:1344
	s_waitcnt vmcnt(57) lgkmcnt(1)
	v_mul_f64 v[205:206], v[1:2], v[143:144]
	v_mul_f64 v[143:144], v[3:4], v[143:144]
	s_waitcnt vmcnt(56)
	v_fma_f64 v[139:140], v[5:6], v[127:128], -v[139:140]
	v_fma_f64 v[127:128], v[7:8], v[127:128], v[182:183]
	v_add_f64 v[125:126], v[125:126], v[133:134]
	s_clause 0x2
	buffer_load_dword v177, off, s[0:3], 0 offset:700
	buffer_load_dword v134, off, s[0:3], 0 offset:676
	;; [unrolled: 1-line block ×3, first 2 shown]
	v_add_f64 v[129:130], v[141:142], v[129:130]
	s_waitcnt vmcnt(58) lgkmcnt(0)
	v_mul_f64 v[141:142], v[121:122], v[147:148]
	v_mul_f64 v[147:148], v[123:124], v[147:148]
	ds_read_b128 v[5:8], v173 offset:1360
	s_waitcnt vmcnt(56)
	v_fma_f64 v[143:144], v[1:2], v[149:150], -v[143:144]
	v_add_f64 v[125:126], v[125:126], v[139:140]
	v_fma_f64 v[139:140], v[3:4], v[149:150], v[205:206]
	v_add_f64 v[127:128], v[129:130], v[127:128]
	s_clause 0x4
	buffer_load_dword v130, off, s[0:3], 0 offset:716
	buffer_load_dword v149, off, s[0:3], 0 offset:728
	;; [unrolled: 1-line block ×5, first 2 shown]
	s_waitcnt vmcnt(57) lgkmcnt(0)
	v_mul_f64 v[205:206], v[5:6], v[151:152]
	v_mul_f64 v[151:152], v[7:8], v[151:152]
	s_waitcnt vmcnt(56)
	v_fma_f64 v[147:148], v[121:122], v[135:136], -v[147:148]
	ds_read_b128 v[1:4], v173 offset:1376
	v_fma_f64 v[135:136], v[123:124], v[135:136], v[141:142]
	v_add_f64 v[125:126], v[125:126], v[143:144]
	v_add_f64 v[127:128], v[127:128], v[139:140]
	s_clause 0x2
	buffer_load_dword v150, off, s[0:3], 0 offset:732
	buffer_load_dword v140, off, s[0:3], 0 offset:708
	;; [unrolled: 1-line block ×3, first 2 shown]
	ds_read_b128 v[121:124], v173 offset:1392
	s_waitcnt vmcnt(58) lgkmcnt(1)
	v_mul_f64 v[143:144], v[3:4], v[155:156]
	s_waitcnt vmcnt(56)
	v_fma_f64 v[151:152], v[5:6], v[157:158], -v[151:152]
	v_mul_f64 v[141:142], v[1:2], v[155:156]
	v_add_f64 v[125:126], v[125:126], v[147:148]
	v_fma_f64 v[147:148], v[7:8], v[157:158], v[205:206]
	v_add_f64 v[127:128], v[127:128], v[135:136]
	s_clause 0x4
	buffer_load_dword v136, off, s[0:3], 0 offset:748
	buffer_load_dword v155, off, s[0:3], 0 offset:760
	;; [unrolled: 1-line block ×5, first 2 shown]
	s_waitcnt vmcnt(57) lgkmcnt(0)
	v_mul_f64 v[205:206], v[121:122], v[159:160]
	v_mul_f64 v[158:159], v[123:124], v[159:160]
	s_waitcnt vmcnt(56)
	v_fma_f64 v[143:144], v[1:2], v[145:146], -v[143:144]
	ds_read_b128 v[5:8], v173 offset:1408
	v_fma_f64 v[141:142], v[3:4], v[145:146], v[141:142]
	s_clause 0x2
	buffer_load_dword v156, off, s[0:3], 0 offset:764
	buffer_load_dword v146, off, s[0:3], 0 offset:740
	;; [unrolled: 1-line block ×3, first 2 shown]
	ds_read_b128 v[1:4], v173 offset:1424
	v_add_f64 v[125:126], v[125:126], v[151:152]
	v_add_f64 v[127:128], v[127:128], v[147:148]
	s_waitcnt vmcnt(58) lgkmcnt(1)
	v_mul_f64 v[151:152], v[7:8], v[163:164]
	s_waitcnt vmcnt(56)
	v_fma_f64 v[159:160], v[121:122], v[165:166], -v[158:159]
	v_mul_f64 v[147:148], v[5:6], v[163:164]
	v_add_f64 v[125:126], v[125:126], v[143:144]
	v_fma_f64 v[143:144], v[123:124], v[165:166], v[205:206]
	v_add_f64 v[127:128], v[127:128], v[141:142]
	s_clause 0x4
	buffer_load_dword v142, off, s[0:3], 0 offset:780
	buffer_load_dword v163, off, s[0:3], 0 offset:792
	;; [unrolled: 1-line block ×5, first 2 shown]
	s_waitcnt vmcnt(57) lgkmcnt(0)
	v_mul_f64 v[205:206], v[1:2], v[167:168]
	v_mul_f64 v[166:167], v[3:4], v[167:168]
	s_waitcnt vmcnt(56)
	v_fma_f64 v[151:152], v[5:6], v[153:154], -v[151:152]
	ds_read_b128 v[121:124], v173 offset:1440
	v_fma_f64 v[147:148], v[7:8], v[153:154], v[147:148]
	v_add_f64 v[125:126], v[125:126], v[159:160]
	v_add_f64 v[127:128], v[127:128], v[143:144]
	s_clause 0x2
	buffer_load_dword v164, off, s[0:3], 0 offset:796
	buffer_load_dword v144, off, s[0:3], 0 offset:772
	;; [unrolled: 1-line block ×3, first 2 shown]
	ds_read_b128 v[5:8], v173 offset:1456
	s_waitcnt vmcnt(58) lgkmcnt(1)
	v_mul_f64 v[159:160], v[123:124], v[169:170]
	s_waitcnt vmcnt(56)
	v_fma_f64 v[167:168], v[1:2], v[171:172], -v[166:167]
	v_mul_f64 v[153:154], v[121:122], v[169:170]
	v_add_f64 v[125:126], v[125:126], v[151:152]
	v_fma_f64 v[151:152], v[3:4], v[171:172], v[205:206]
	v_add_f64 v[127:128], v[127:128], v[147:148]
	s_clause 0x4
	buffer_load_dword v148, off, s[0:3], 0 offset:812
	buffer_load_dword v169, off, s[0:3], 0 offset:824
	;; [unrolled: 1-line block ×5, first 2 shown]
	s_waitcnt vmcnt(57) lgkmcnt(0)
	v_mul_f64 v[205:206], v[5:6], v[190:191]
	v_mul_f64 v[190:191], v[7:8], v[190:191]
	s_waitcnt vmcnt(56)
	v_fma_f64 v[159:160], v[121:122], v[161:162], -v[159:160]
	ds_read_b128 v[1:4], v173 offset:1472
	v_fma_f64 v[153:154], v[123:124], v[161:162], v[153:154]
	v_add_f64 v[125:126], v[125:126], v[167:168]
	v_add_f64 v[127:128], v[127:128], v[151:152]
	s_clause 0x2
	buffer_load_dword v170, off, s[0:3], 0 offset:828
	buffer_load_dword v152, off, s[0:3], 0 offset:804
	;; [unrolled: 1-line block ×3, first 2 shown]
	ds_read_b128 v[121:124], v173 offset:1488
	s_waitcnt vmcnt(58) lgkmcnt(1)
	v_mul_f64 v[167:168], v[3:4], v[192:193]
	s_waitcnt vmcnt(56)
	v_fma_f64 v[190:191], v[5:6], v[197:198], -v[190:191]
	v_mul_f64 v[161:162], v[1:2], v[192:193]
	v_add_f64 v[125:126], v[125:126], v[159:160]
	v_fma_f64 v[159:160], v[7:8], v[197:198], v[205:206]
	v_add_f64 v[127:128], v[127:128], v[153:154]
	s_clause 0x4
	buffer_load_dword v154, off, s[0:3], 0 offset:844
	buffer_load_dword v192, off, s[0:3], 0 offset:856
	;; [unrolled: 1-line block ×5, first 2 shown]
	ds_read_b128 v[5:8], v173 offset:1504
	s_waitcnt vmcnt(57) lgkmcnt(1)
	v_mul_f64 v[197:198], v[121:122], v[184:185]
	v_mul_f64 v[184:185], v[123:124], v[184:185]
	s_waitcnt vmcnt(56)
	v_fma_f64 v[167:168], v[1:2], v[194:195], -v[167:168]
	v_fma_f64 v[161:162], v[3:4], v[194:195], v[161:162]
	v_add_f64 v[125:126], v[125:126], v[190:191]
	v_add_f64 v[127:128], v[127:128], v[159:160]
	s_clause 0x2
	buffer_load_dword v193, off, s[0:3], 0 offset:860
	buffer_load_dword v160, off, s[0:3], 0 offset:836
	;; [unrolled: 1-line block ×3, first 2 shown]
	ds_read_b128 v[1:4], v173 offset:1520
	s_waitcnt vmcnt(58) lgkmcnt(1)
	v_mul_f64 v[194:195], v[7:8], v[201:202]
	v_mul_f64 v[190:191], v[5:6], v[201:202]
	s_waitcnt vmcnt(56)
	v_fma_f64 v[184:185], v[121:122], v[178:179], -v[184:185]
	v_add_f64 v[125:126], v[125:126], v[167:168]
	v_fma_f64 v[167:168], v[123:124], v[178:179], v[197:198]
	v_add_f64 v[127:128], v[127:128], v[161:162]
	s_clause 0x4
	buffer_load_dword v162, off, s[0:3], 0 offset:876
	buffer_load_dword v178, off, s[0:3], 0 offset:888
	;; [unrolled: 1-line block ×5, first 2 shown]
	ds_read_b128 v[121:124], v173 offset:1536
	s_waitcnt vmcnt(57) lgkmcnt(1)
	v_mul_f64 v[205:206], v[1:2], v[137:138]
	v_mul_f64 v[137:138], v[3:4], v[137:138]
	s_waitcnt vmcnt(56)
	v_fma_f64 v[194:195], v[5:6], v[203:204], -v[194:195]
	v_add_f64 v[125:126], v[125:126], v[184:185]
	v_fma_f64 v[184:185], v[7:8], v[203:204], v[190:191]
	v_add_f64 v[127:128], v[127:128], v[167:168]
	s_clause 0x2
	buffer_load_dword v179, off, s[0:3], 0 offset:892
	buffer_load_dword v168, off, s[0:3], 0 offset:868
	buffer_load_dword v167, off, s[0:3], 0 offset:864
	ds_read_b128 v[5:8], v173 offset:1552
	s_waitcnt vmcnt(58) lgkmcnt(1)
	v_mul_f64 v[190:191], v[121:122], v[186:187]
	v_mul_f64 v[186:187], v[123:124], v[186:187]
	s_waitcnt vmcnt(56)
	v_fma_f64 v[137:138], v[1:2], v[131:132], -v[137:138]
	v_fma_f64 v[131:132], v[3:4], v[131:132], v[205:206]
	v_add_f64 v[125:126], v[125:126], v[194:195]
	v_add_f64 v[127:128], v[127:128], v[184:185]
	s_clause 0x2
	buffer_load_dword v185, off, s[0:3], 0 offset:908
	buffer_load_dword v184, off, s[0:3], 0 offset:904
	;; [unrolled: 1-line block ×3, first 2 shown]
	ds_read_b128 v[1:4], v173 offset:1568
	s_waitcnt vmcnt(55) lgkmcnt(1)
	v_mul_f64 v[194:195], v[5:6], v[174:175]
	v_mul_f64 v[174:175], v[7:8], v[174:175]
	s_waitcnt vmcnt(54)
	v_fma_f64 v[186:187], v[121:122], v[199:200], -v[186:187]
	v_add_f64 v[125:126], v[125:126], v[137:138]
	v_fma_f64 v[137:138], v[123:124], v[199:200], v[190:191]
	v_add_f64 v[127:128], v[127:128], v[131:132]
	s_clause 0x1
	buffer_load_dword v132, off, s[0:3], 0 offset:900
	buffer_load_dword v131, off, s[0:3], 0 offset:896
	ds_read_b128 v[121:124], v173 offset:1584
	s_waitcnt vmcnt(55) lgkmcnt(1)
	v_mul_f64 v[190:191], v[1:2], v[176:177]
	v_mul_f64 v[176:177], v[3:4], v[176:177]
	s_waitcnt vmcnt(53)
	v_fma_f64 v[174:175], v[5:6], v[133:134], -v[174:175]
	v_fma_f64 v[133:134], v[7:8], v[133:134], v[194:195]
	ds_read_b128 v[5:8], v173 offset:1600
	v_add_f64 v[125:126], v[125:126], v[186:187]
	v_add_f64 v[127:128], v[127:128], v[137:138]
	s_waitcnt vmcnt(49) lgkmcnt(1)
	v_mul_f64 v[137:138], v[121:122], v[129:130]
	v_mul_f64 v[129:130], v[123:124], v[129:130]
	s_waitcnt vmcnt(48)
	v_fma_f64 v[176:177], v[1:2], v[188:189], -v[176:177]
	v_add_f64 v[125:126], v[125:126], v[174:175]
	v_fma_f64 v[174:175], v[3:4], v[188:189], v[190:191]
	v_add_f64 v[127:128], v[127:128], v[133:134]
	s_clause 0x3
	buffer_load_dword v133, off, s[0:3], 0 offset:320
	buffer_load_dword v134, off, s[0:3], 0 offset:324
	;; [unrolled: 1-line block ×4, first 2 shown]
	ds_read_b128 v[1:4], v173 offset:1616
	s_waitcnt vmcnt(51) lgkmcnt(1)
	v_mul_f64 v[188:189], v[5:6], v[149:150]
	v_mul_f64 v[149:150], v[7:8], v[149:150]
	s_waitcnt vmcnt(49)
	v_fma_f64 v[129:130], v[121:122], v[139:140], -v[129:130]
	v_fma_f64 v[137:138], v[123:124], v[139:140], v[137:138]
	ds_read_b128 v[121:124], v173 offset:1632
	v_add_f64 v[125:126], v[125:126], v[176:177]
	v_add_f64 v[127:128], v[127:128], v[174:175]
	s_waitcnt vmcnt(45) lgkmcnt(1)
	v_mul_f64 v[139:140], v[1:2], v[135:136]
	v_mul_f64 v[135:136], v[3:4], v[135:136]
	s_waitcnt vmcnt(44)
	v_fma_f64 v[149:150], v[5:6], v[182:183], -v[149:150]
	v_add_f64 v[125:126], v[125:126], v[129:130]
	v_fma_f64 v[129:130], v[7:8], v[182:183], v[188:189]
	v_add_f64 v[127:128], v[127:128], v[137:138]
	s_waitcnt vmcnt(43) lgkmcnt(0)
	v_mul_f64 v[137:138], v[121:122], v[155:156]
	v_mul_f64 v[155:156], v[123:124], v[155:156]
	ds_read_b128 v[5:8], v173 offset:1648
	s_waitcnt vmcnt(41)
	v_fma_f64 v[139:140], v[3:4], v[145:146], v[139:140]
	v_fma_f64 v[135:136], v[1:2], v[145:146], -v[135:136]
	ds_read_b128 v[1:4], v173 offset:1664
	v_add_f64 v[125:126], v[125:126], v[149:150]
	v_add_f64 v[127:128], v[127:128], v[129:130]
	s_waitcnt vmcnt(37) lgkmcnt(1)
	v_mul_f64 v[129:130], v[5:6], v[141:142]
	v_mul_f64 v[141:142], v[7:8], v[141:142]
	s_waitcnt vmcnt(36)
	v_fma_f64 v[145:146], v[121:122], v[157:158], -v[155:156]
	v_add_f64 v[125:126], v[125:126], v[135:136]
	v_fma_f64 v[135:136], v[123:124], v[157:158], v[137:138]
	v_add_f64 v[127:128], v[127:128], v[139:140]
	ds_read_b128 v[121:124], v173 offset:1680
	s_waitcnt vmcnt(35) lgkmcnt(1)
	v_mul_f64 v[139:140], v[3:4], v[163:164]
	v_mul_f64 v[137:138], v[1:2], v[163:164]
	s_waitcnt vmcnt(33)
	v_fma_f64 v[141:142], v[5:6], v[143:144], -v[141:142]
	v_fma_f64 v[129:130], v[7:8], v[143:144], v[129:130]
	ds_read_b128 v[5:8], v173 offset:1696
	v_add_f64 v[125:126], v[125:126], v[145:146]
	v_add_f64 v[127:128], v[127:128], v[135:136]
	s_waitcnt vmcnt(29) lgkmcnt(1)
	v_mul_f64 v[143:144], v[123:124], v[147:148]
	s_waitcnt vmcnt(28)
	v_fma_f64 v[139:140], v[1:2], v[165:166], -v[139:140]
	v_mul_f64 v[135:136], v[121:122], v[147:148]
	v_fma_f64 v[137:138], v[3:4], v[165:166], v[137:138]
	ds_read_b128 v[1:4], v173 offset:1712
	v_add_f64 v[125:126], v[125:126], v[141:142]
	v_add_f64 v[127:128], v[127:128], v[129:130]
	s_waitcnt vmcnt(27) lgkmcnt(1)
	v_mul_f64 v[141:142], v[7:8], v[169:170]
	v_mul_f64 v[129:130], v[5:6], v[169:170]
	s_waitcnt vmcnt(25)
	v_fma_f64 v[143:144], v[121:122], v[151:152], -v[143:144]
	v_fma_f64 v[135:136], v[123:124], v[151:152], v[135:136]
	ds_read_b128 v[121:124], v173 offset:1728
	v_add_f64 v[125:126], v[125:126], v[139:140]
	v_add_f64 v[127:128], v[127:128], v[137:138]
	s_waitcnt vmcnt(21) lgkmcnt(1)
	v_mul_f64 v[139:140], v[3:4], v[153:154]
	s_waitcnt vmcnt(20)
	v_fma_f64 v[141:142], v[5:6], v[171:172], -v[141:142]
	v_mul_f64 v[137:138], v[1:2], v[153:154]
	v_fma_f64 v[129:130], v[7:8], v[171:172], v[129:130]
	ds_read_b128 v[5:8], v173 offset:1744
	v_add_f64 v[125:126], v[125:126], v[143:144]
	v_add_f64 v[127:128], v[127:128], v[135:136]
	;; [unrolled: 18-line block ×3, first 2 shown]
	s_waitcnt vmcnt(11) lgkmcnt(1)
	v_mul_f64 v[139:140], v[3:4], v[178:179]
	v_mul_f64 v[137:138], v[1:2], v[178:179]
	s_waitcnt vmcnt(9)
	v_fma_f64 v[5:6], v[5:6], v[167:168], -v[141:142]
	v_fma_f64 v[7:8], v[7:8], v[167:168], v[129:130]
	v_add_f64 v[125:126], v[125:126], v[143:144]
	v_add_f64 v[127:128], v[127:128], v[135:136]
	s_waitcnt vmcnt(7) lgkmcnt(0)
	v_mul_f64 v[135:136], v[123:124], v[184:185]
	s_waitcnt vmcnt(6)
	v_fma_f64 v[1:2], v[1:2], v[201:202], -v[139:140]
	v_mul_f64 v[129:130], v[121:122], v[184:185]
	v_fma_f64 v[3:4], v[3:4], v[201:202], v[137:138]
	v_add_f64 v[5:6], v[125:126], v[5:6]
	v_add_f64 v[7:8], v[127:128], v[7:8]
	s_waitcnt vmcnt(4)
	v_fma_f64 v[121:122], v[121:122], v[131:132], -v[135:136]
	v_add_f64 v[1:2], v[5:6], v[1:2]
	v_fma_f64 v[5:6], v[123:124], v[131:132], v[129:130]
	v_add_f64 v[3:4], v[7:8], v[3:4]
	v_add_f64 v[1:2], v[1:2], v[121:122]
	;; [unrolled: 1-line block ×3, first 2 shown]
	s_waitcnt vmcnt(2)
	v_add_f64 v[1:2], v[133:134], -v[1:2]
	s_waitcnt vmcnt(0)
	v_add_f64 v[3:4], v[186:187], -v[3:4]
	buffer_store_dword v2, off, s[0:3], 0 offset:324
	buffer_store_dword v1, off, s[0:3], 0 offset:320
	;; [unrolled: 1-line block ×4, first 2 shown]
	v_cmpx_lt_u32_e32 18, v0
	s_cbranch_execz .LBB119_313
; %bb.312:
	v_mov_b32_e32 v4, s50
	v_mov_b32_e32 v5, 0
	s_clause 0x3
	buffer_load_dword v1, v4, s[0:3], 0 offen
	buffer_load_dword v2, v4, s[0:3], 0 offen offset:4
	buffer_load_dword v3, v4, s[0:3], 0 offen offset:8
	buffer_load_dword v4, v4, s[0:3], 0 offen offset:12
	buffer_store_dword v5, off, s[0:3], 0 offset:304
	buffer_store_dword v5, off, s[0:3], 0 offset:308
	;; [unrolled: 1-line block ×4, first 2 shown]
	s_waitcnt vmcnt(0)
	ds_write_b128 v181, v[1:4]
.LBB119_313:
	s_or_b32 exec_lo, exec_lo, s4
	s_waitcnt lgkmcnt(0)
	s_waitcnt_vscnt null, 0x0
	s_barrier
	buffer_gl0_inv
	s_clause 0x37
	buffer_load_dword v121, off, s[0:3], 0 offset:328
	buffer_load_dword v122, off, s[0:3], 0 offset:332
	;; [unrolled: 1-line block ×56, first 2 shown]
	v_mov_b32_e32 v173, 0
	s_mov_b32 s4, exec_lo
	ds_read_b128 v[174:177], v173 offset:1200
	s_clause 0x2
	buffer_load_dword v170, off, s[0:3], 0 offset:556
	buffer_load_dword v172, off, s[0:3], 0 offset:532
	;; [unrolled: 1-line block ×3, first 2 shown]
	ds_read_b128 v[182:185], v173 offset:1216
	s_clause 0x4
	buffer_load_dword v191, off, s[0:3], 0 offset:572
	buffer_load_dword v192, off, s[0:3], 0 offset:584
	;; [unrolled: 1-line block ×5, first 2 shown]
	ds_read_b128 v[186:189], v173 offset:1232
	s_clause 0x2
	buffer_load_dword v193, off, s[0:3], 0 offset:588
	buffer_load_dword v198, off, s[0:3], 0 offset:564
	;; [unrolled: 1-line block ×3, first 2 shown]
	s_waitcnt vmcnt(62) lgkmcnt(2)
	v_mul_f64 v[178:179], v[176:177], v[121:122]
	v_mul_f64 v[121:122], v[174:175], v[121:122]
	s_waitcnt lgkmcnt(1)
	v_mul_f64 v[195:196], v[184:185], v[5:6]
	s_waitcnt vmcnt(59) lgkmcnt(0)
	v_mul_f64 v[199:200], v[188:189], v[3:4]
	v_fma_f64 v[174:175], v[174:175], v[7:8], -v[178:179]
	v_mul_f64 v[178:179], v[182:183], v[5:6]
	v_fma_f64 v[121:122], v[176:177], v[7:8], v[121:122]
	s_waitcnt vmcnt(57)
	v_fma_f64 v[182:183], v[182:183], v[1:2], -v[195:196]
	ds_read_b128 v[5:8], v173 offset:1248
	v_mul_f64 v[176:177], v[186:187], v[3:4]
	s_waitcnt vmcnt(51)
	v_fma_f64 v[186:187], v[186:187], v[137:138], -v[199:200]
	v_add_f64 v[174:175], v[174:175], 0
	v_fma_f64 v[178:179], v[184:185], v[1:2], v[178:179]
	v_add_f64 v[121:122], v[121:122], 0
	s_clause 0x4
	buffer_load_dword v185, off, s[0:3], 0 offset:604
	buffer_load_dword v201, off, s[0:3], 0 offset:616
	;; [unrolled: 1-line block ×5, first 2 shown]
	s_waitcnt lgkmcnt(0)
	v_mul_f64 v[204:205], v[5:6], v[125:126]
	v_mul_f64 v[125:126], v[7:8], v[125:126]
	ds_read_b128 v[1:4], v173 offset:1264
	v_fma_f64 v[137:138], v[188:189], v[137:138], v[176:177]
	v_add_f64 v[182:183], v[174:175], v[182:183]
	v_add_f64 v[121:122], v[121:122], v[178:179]
	s_clause 0x2
	buffer_load_dword v202, off, s[0:3], 0 offset:620
	buffer_load_dword v179, off, s[0:3], 0 offset:596
	;; [unrolled: 1-line block ×3, first 2 shown]
	s_waitcnt vmcnt(58) lgkmcnt(0)
	v_mul_f64 v[188:189], v[1:2], v[129:130]
	v_mul_f64 v[129:130], v[3:4], v[129:130]
	s_waitcnt vmcnt(56)
	v_fma_f64 v[125:126], v[5:6], v[131:132], -v[125:126]
	ds_read_b128 v[174:177], v173 offset:1280
	v_fma_f64 v[131:132], v[7:8], v[131:132], v[204:205]
	v_add_f64 v[182:183], v[182:183], v[186:187]
	v_add_f64 v[121:122], v[121:122], v[137:138]
	s_clause 0x4
	buffer_load_dword v138, off, s[0:3], 0 offset:636
	buffer_load_dword v186, off, s[0:3], 0 offset:648
	;; [unrolled: 1-line block ×5, first 2 shown]
	ds_read_b128 v[5:8], v173 offset:1296
	s_waitcnt vmcnt(57) lgkmcnt(1)
	v_mul_f64 v[205:206], v[174:175], v[133:134]
	v_mul_f64 v[133:134], v[176:177], v[133:134]
	s_waitcnt vmcnt(56)
	v_fma_f64 v[129:130], v[1:2], v[123:124], -v[129:130]
	v_fma_f64 v[123:124], v[3:4], v[123:124], v[188:189]
	v_add_f64 v[125:126], v[182:183], v[125:126]
	v_add_f64 v[121:122], v[121:122], v[131:132]
	s_clause 0x2
	buffer_load_dword v187, off, s[0:3], 0 offset:652
	buffer_load_dword v132, off, s[0:3], 0 offset:628
	;; [unrolled: 1-line block ×3, first 2 shown]
	s_waitcnt vmcnt(58) lgkmcnt(0)
	v_mul_f64 v[182:183], v[5:6], v[139:140]
	v_mul_f64 v[139:140], v[7:8], v[139:140]
	s_waitcnt vmcnt(56)
	v_fma_f64 v[133:134], v[174:175], v[141:142], -v[133:134]
	ds_read_b128 v[1:4], v173 offset:1312
	v_add_f64 v[125:126], v[125:126], v[129:130]
	v_fma_f64 v[129:130], v[176:177], v[141:142], v[205:206]
	v_add_f64 v[141:142], v[121:122], v[123:124]
	s_clause 0x4
	buffer_load_dword v175, off, s[0:3], 0 offset:668
	buffer_load_dword v176, off, s[0:3], 0 offset:680
	;; [unrolled: 1-line block ×5, first 2 shown]
	ds_read_b128 v[121:124], v173 offset:1328
	s_waitcnt vmcnt(57) lgkmcnt(1)
	v_mul_f64 v[205:206], v[1:2], v[143:144]
	v_mul_f64 v[143:144], v[3:4], v[143:144]
	s_waitcnt vmcnt(56)
	v_fma_f64 v[139:140], v[5:6], v[127:128], -v[139:140]
	v_fma_f64 v[127:128], v[7:8], v[127:128], v[182:183]
	v_add_f64 v[125:126], v[125:126], v[133:134]
	s_clause 0x2
	buffer_load_dword v177, off, s[0:3], 0 offset:684
	buffer_load_dword v134, off, s[0:3], 0 offset:660
	;; [unrolled: 1-line block ×3, first 2 shown]
	v_add_f64 v[129:130], v[141:142], v[129:130]
	s_waitcnt vmcnt(58) lgkmcnt(0)
	v_mul_f64 v[141:142], v[121:122], v[147:148]
	v_mul_f64 v[147:148], v[123:124], v[147:148]
	ds_read_b128 v[5:8], v173 offset:1344
	s_waitcnt vmcnt(56)
	v_fma_f64 v[143:144], v[1:2], v[149:150], -v[143:144]
	v_add_f64 v[125:126], v[125:126], v[139:140]
	v_fma_f64 v[139:140], v[3:4], v[149:150], v[205:206]
	v_add_f64 v[127:128], v[129:130], v[127:128]
	s_clause 0x4
	buffer_load_dword v130, off, s[0:3], 0 offset:700
	buffer_load_dword v149, off, s[0:3], 0 offset:712
	buffer_load_dword v182, off, s[0:3], 0 offset:704
	buffer_load_dword v129, off, s[0:3], 0 offset:696
	buffer_load_dword v189, off, s[0:3], 0 offset:676
	s_waitcnt vmcnt(57) lgkmcnt(0)
	v_mul_f64 v[205:206], v[5:6], v[151:152]
	v_mul_f64 v[151:152], v[7:8], v[151:152]
	s_waitcnt vmcnt(56)
	v_fma_f64 v[147:148], v[121:122], v[135:136], -v[147:148]
	ds_read_b128 v[1:4], v173 offset:1360
	v_fma_f64 v[135:136], v[123:124], v[135:136], v[141:142]
	v_add_f64 v[125:126], v[125:126], v[143:144]
	v_add_f64 v[127:128], v[127:128], v[139:140]
	s_clause 0x2
	buffer_load_dword v150, off, s[0:3], 0 offset:716
	buffer_load_dword v140, off, s[0:3], 0 offset:692
	;; [unrolled: 1-line block ×3, first 2 shown]
	ds_read_b128 v[121:124], v173 offset:1376
	s_waitcnt vmcnt(58) lgkmcnt(1)
	v_mul_f64 v[143:144], v[3:4], v[155:156]
	s_waitcnt vmcnt(56)
	v_fma_f64 v[151:152], v[5:6], v[157:158], -v[151:152]
	v_mul_f64 v[141:142], v[1:2], v[155:156]
	v_add_f64 v[125:126], v[125:126], v[147:148]
	v_fma_f64 v[147:148], v[7:8], v[157:158], v[205:206]
	v_add_f64 v[127:128], v[127:128], v[135:136]
	s_clause 0x4
	buffer_load_dword v136, off, s[0:3], 0 offset:732
	buffer_load_dword v155, off, s[0:3], 0 offset:744
	;; [unrolled: 1-line block ×5, first 2 shown]
	s_waitcnt vmcnt(57) lgkmcnt(0)
	v_mul_f64 v[205:206], v[121:122], v[159:160]
	v_mul_f64 v[158:159], v[123:124], v[159:160]
	s_waitcnt vmcnt(56)
	v_fma_f64 v[143:144], v[1:2], v[145:146], -v[143:144]
	ds_read_b128 v[5:8], v173 offset:1392
	v_fma_f64 v[141:142], v[3:4], v[145:146], v[141:142]
	s_clause 0x2
	buffer_load_dword v156, off, s[0:3], 0 offset:748
	buffer_load_dword v146, off, s[0:3], 0 offset:724
	;; [unrolled: 1-line block ×3, first 2 shown]
	ds_read_b128 v[1:4], v173 offset:1408
	v_add_f64 v[125:126], v[125:126], v[151:152]
	v_add_f64 v[127:128], v[127:128], v[147:148]
	s_waitcnt vmcnt(58) lgkmcnt(1)
	v_mul_f64 v[151:152], v[7:8], v[163:164]
	s_waitcnt vmcnt(56)
	v_fma_f64 v[159:160], v[121:122], v[165:166], -v[158:159]
	v_mul_f64 v[147:148], v[5:6], v[163:164]
	v_add_f64 v[125:126], v[125:126], v[143:144]
	v_fma_f64 v[143:144], v[123:124], v[165:166], v[205:206]
	v_add_f64 v[127:128], v[127:128], v[141:142]
	s_clause 0x4
	buffer_load_dword v142, off, s[0:3], 0 offset:764
	buffer_load_dword v163, off, s[0:3], 0 offset:776
	;; [unrolled: 1-line block ×5, first 2 shown]
	s_waitcnt vmcnt(57) lgkmcnt(0)
	v_mul_f64 v[205:206], v[1:2], v[167:168]
	v_mul_f64 v[166:167], v[3:4], v[167:168]
	s_waitcnt vmcnt(56)
	v_fma_f64 v[151:152], v[5:6], v[153:154], -v[151:152]
	ds_read_b128 v[121:124], v173 offset:1424
	v_fma_f64 v[147:148], v[7:8], v[153:154], v[147:148]
	v_add_f64 v[125:126], v[125:126], v[159:160]
	v_add_f64 v[127:128], v[127:128], v[143:144]
	s_clause 0x2
	buffer_load_dword v164, off, s[0:3], 0 offset:780
	buffer_load_dword v144, off, s[0:3], 0 offset:756
	;; [unrolled: 1-line block ×3, first 2 shown]
	ds_read_b128 v[5:8], v173 offset:1440
	s_waitcnt vmcnt(58) lgkmcnt(1)
	v_mul_f64 v[159:160], v[123:124], v[169:170]
	s_waitcnt vmcnt(56)
	v_fma_f64 v[167:168], v[1:2], v[171:172], -v[166:167]
	v_mul_f64 v[153:154], v[121:122], v[169:170]
	v_add_f64 v[125:126], v[125:126], v[151:152]
	v_fma_f64 v[151:152], v[3:4], v[171:172], v[205:206]
	v_add_f64 v[127:128], v[127:128], v[147:148]
	s_clause 0x4
	buffer_load_dword v148, off, s[0:3], 0 offset:796
	buffer_load_dword v169, off, s[0:3], 0 offset:808
	;; [unrolled: 1-line block ×5, first 2 shown]
	s_waitcnt vmcnt(57) lgkmcnt(0)
	v_mul_f64 v[205:206], v[5:6], v[190:191]
	v_mul_f64 v[190:191], v[7:8], v[190:191]
	s_waitcnt vmcnt(56)
	v_fma_f64 v[159:160], v[121:122], v[161:162], -v[159:160]
	ds_read_b128 v[1:4], v173 offset:1456
	v_fma_f64 v[153:154], v[123:124], v[161:162], v[153:154]
	v_add_f64 v[125:126], v[125:126], v[167:168]
	v_add_f64 v[127:128], v[127:128], v[151:152]
	s_clause 0x2
	buffer_load_dword v170, off, s[0:3], 0 offset:812
	buffer_load_dword v152, off, s[0:3], 0 offset:788
	;; [unrolled: 1-line block ×3, first 2 shown]
	ds_read_b128 v[121:124], v173 offset:1472
	s_waitcnt vmcnt(58) lgkmcnt(1)
	v_mul_f64 v[167:168], v[3:4], v[192:193]
	s_waitcnt vmcnt(56)
	v_fma_f64 v[190:191], v[5:6], v[197:198], -v[190:191]
	v_mul_f64 v[161:162], v[1:2], v[192:193]
	v_add_f64 v[125:126], v[125:126], v[159:160]
	v_fma_f64 v[159:160], v[7:8], v[197:198], v[205:206]
	v_add_f64 v[127:128], v[127:128], v[153:154]
	s_clause 0x4
	buffer_load_dword v154, off, s[0:3], 0 offset:828
	buffer_load_dword v192, off, s[0:3], 0 offset:840
	;; [unrolled: 1-line block ×5, first 2 shown]
	ds_read_b128 v[5:8], v173 offset:1488
	s_waitcnt vmcnt(57) lgkmcnt(1)
	v_mul_f64 v[197:198], v[121:122], v[184:185]
	v_mul_f64 v[184:185], v[123:124], v[184:185]
	s_waitcnt vmcnt(56)
	v_fma_f64 v[167:168], v[1:2], v[194:195], -v[167:168]
	v_fma_f64 v[161:162], v[3:4], v[194:195], v[161:162]
	v_add_f64 v[125:126], v[125:126], v[190:191]
	v_add_f64 v[127:128], v[127:128], v[159:160]
	s_clause 0x2
	buffer_load_dword v193, off, s[0:3], 0 offset:844
	buffer_load_dword v160, off, s[0:3], 0 offset:820
	;; [unrolled: 1-line block ×3, first 2 shown]
	ds_read_b128 v[1:4], v173 offset:1504
	s_waitcnt vmcnt(58) lgkmcnt(1)
	v_mul_f64 v[194:195], v[7:8], v[201:202]
	v_mul_f64 v[190:191], v[5:6], v[201:202]
	s_waitcnt vmcnt(56)
	v_fma_f64 v[184:185], v[121:122], v[178:179], -v[184:185]
	v_add_f64 v[125:126], v[125:126], v[167:168]
	v_fma_f64 v[167:168], v[123:124], v[178:179], v[197:198]
	v_add_f64 v[127:128], v[127:128], v[161:162]
	s_clause 0x4
	buffer_load_dword v162, off, s[0:3], 0 offset:860
	buffer_load_dword v178, off, s[0:3], 0 offset:872
	;; [unrolled: 1-line block ×5, first 2 shown]
	ds_read_b128 v[121:124], v173 offset:1520
	s_waitcnt vmcnt(57) lgkmcnt(1)
	v_mul_f64 v[205:206], v[1:2], v[137:138]
	v_mul_f64 v[137:138], v[3:4], v[137:138]
	s_waitcnt vmcnt(56)
	v_fma_f64 v[194:195], v[5:6], v[203:204], -v[194:195]
	v_add_f64 v[125:126], v[125:126], v[184:185]
	v_fma_f64 v[184:185], v[7:8], v[203:204], v[190:191]
	v_add_f64 v[127:128], v[127:128], v[167:168]
	s_clause 0x2
	buffer_load_dword v179, off, s[0:3], 0 offset:876
	buffer_load_dword v168, off, s[0:3], 0 offset:852
	;; [unrolled: 1-line block ×3, first 2 shown]
	ds_read_b128 v[5:8], v173 offset:1536
	s_waitcnt vmcnt(58) lgkmcnt(1)
	v_mul_f64 v[190:191], v[121:122], v[186:187]
	v_mul_f64 v[186:187], v[123:124], v[186:187]
	s_waitcnt vmcnt(56)
	v_fma_f64 v[137:138], v[1:2], v[131:132], -v[137:138]
	v_fma_f64 v[131:132], v[3:4], v[131:132], v[205:206]
	v_add_f64 v[125:126], v[125:126], v[194:195]
	v_add_f64 v[127:128], v[127:128], v[184:185]
	s_clause 0x4
	buffer_load_dword v185, off, s[0:3], 0 offset:892
	buffer_load_dword v194, off, s[0:3], 0 offset:904
	;; [unrolled: 1-line block ×5, first 2 shown]
	ds_read_b128 v[1:4], v173 offset:1552
	s_waitcnt vmcnt(57) lgkmcnt(1)
	v_mul_f64 v[203:204], v[5:6], v[174:175]
	v_mul_f64 v[174:175], v[7:8], v[174:175]
	s_waitcnt vmcnt(56)
	v_fma_f64 v[186:187], v[121:122], v[199:200], -v[186:187]
	v_add_f64 v[125:126], v[125:126], v[137:138]
	v_fma_f64 v[137:138], v[123:124], v[199:200], v[190:191]
	v_add_f64 v[127:128], v[127:128], v[131:132]
	s_clause 0x2
	buffer_load_dword v195, off, s[0:3], 0 offset:908
	buffer_load_dword v132, off, s[0:3], 0 offset:884
	buffer_load_dword v131, off, s[0:3], 0 offset:880
	ds_read_b128 v[121:124], v173 offset:1568
	buffer_load_dword v199, off, s[0:3], 0 offset:900
	s_waitcnt vmcnt(59) lgkmcnt(1)
	v_mul_f64 v[190:191], v[1:2], v[176:177]
	v_mul_f64 v[176:177], v[3:4], v[176:177]
	s_waitcnt vmcnt(57)
	v_fma_f64 v[174:175], v[5:6], v[133:134], -v[174:175]
	v_fma_f64 v[133:134], v[7:8], v[133:134], v[203:204]
	ds_read_b128 v[5:8], v173 offset:1584
	v_add_f64 v[125:126], v[125:126], v[186:187]
	v_add_f64 v[127:128], v[127:128], v[137:138]
	s_waitcnt vmcnt(53) lgkmcnt(1)
	v_mul_f64 v[137:138], v[121:122], v[129:130]
	v_mul_f64 v[129:130], v[123:124], v[129:130]
	s_waitcnt vmcnt(52)
	v_fma_f64 v[176:177], v[1:2], v[188:189], -v[176:177]
	v_add_f64 v[125:126], v[125:126], v[174:175]
	v_fma_f64 v[174:175], v[3:4], v[188:189], v[190:191]
	v_add_f64 v[127:128], v[127:128], v[133:134]
	ds_read_b128 v[1:4], v173 offset:1600
	s_waitcnt vmcnt(51) lgkmcnt(1)
	v_mul_f64 v[133:134], v[5:6], v[149:150]
	v_mul_f64 v[149:150], v[7:8], v[149:150]
	s_waitcnt vmcnt(49)
	v_fma_f64 v[129:130], v[121:122], v[139:140], -v[129:130]
	v_fma_f64 v[137:138], v[123:124], v[139:140], v[137:138]
	v_add_f64 v[125:126], v[125:126], v[176:177]
	v_add_f64 v[127:128], v[127:128], v[174:175]
	s_clause 0x3
	buffer_load_dword v139, off, s[0:3], 0 offset:304
	buffer_load_dword v140, off, s[0:3], 0 offset:308
	;; [unrolled: 1-line block ×4, first 2 shown]
	ds_read_b128 v[121:124], v173 offset:1616
	s_waitcnt vmcnt(49) lgkmcnt(1)
	v_mul_f64 v[176:177], v[1:2], v[135:136]
	v_mul_f64 v[135:136], v[3:4], v[135:136]
	s_waitcnt vmcnt(48)
	v_fma_f64 v[149:150], v[5:6], v[182:183], -v[149:150]
	v_add_f64 v[125:126], v[125:126], v[129:130]
	v_fma_f64 v[129:130], v[7:8], v[182:183], v[133:134]
	v_add_f64 v[127:128], v[127:128], v[137:138]
	ds_read_b128 v[5:8], v173 offset:1632
	s_waitcnt vmcnt(47) lgkmcnt(1)
	v_mul_f64 v[137:138], v[123:124], v[155:156]
	v_mul_f64 v[133:134], v[121:122], v[155:156]
	s_waitcnt vmcnt(45)
	v_fma_f64 v[135:136], v[1:2], v[145:146], -v[135:136]
	v_fma_f64 v[145:146], v[3:4], v[145:146], v[176:177]
	ds_read_b128 v[1:4], v173 offset:1648
	v_add_f64 v[125:126], v[125:126], v[149:150]
	v_add_f64 v[127:128], v[127:128], v[129:130]
	s_waitcnt vmcnt(41) lgkmcnt(1)
	v_mul_f64 v[129:130], v[5:6], v[141:142]
	v_mul_f64 v[141:142], v[7:8], v[141:142]
	s_waitcnt vmcnt(40)
	v_fma_f64 v[137:138], v[121:122], v[157:158], -v[137:138]
	v_fma_f64 v[133:134], v[123:124], v[157:158], v[133:134]
	ds_read_b128 v[121:124], v173 offset:1664
	v_add_f64 v[125:126], v[125:126], v[135:136]
	v_add_f64 v[127:128], v[127:128], v[145:146]
	;; [unrolled: 9-line block ×3, first 2 shown]
	s_waitcnt vmcnt(33) lgkmcnt(1)
	v_mul_f64 v[137:138], v[123:124], v[147:148]
	s_waitcnt vmcnt(32)
	v_fma_f64 v[143:144], v[1:2], v[165:166], -v[145:146]
	v_mul_f64 v[133:134], v[121:122], v[147:148]
	v_fma_f64 v[135:136], v[3:4], v[165:166], v[135:136]
	ds_read_b128 v[1:4], v173 offset:1696
	v_add_f64 v[125:126], v[125:126], v[141:142]
	v_add_f64 v[127:128], v[127:128], v[129:130]
	s_waitcnt vmcnt(31) lgkmcnt(1)
	v_mul_f64 v[141:142], v[7:8], v[169:170]
	v_mul_f64 v[129:130], v[5:6], v[169:170]
	s_waitcnt vmcnt(29)
	v_fma_f64 v[137:138], v[121:122], v[151:152], -v[137:138]
	v_fma_f64 v[133:134], v[123:124], v[151:152], v[133:134]
	ds_read_b128 v[121:124], v173 offset:1712
	v_add_f64 v[125:126], v[125:126], v[143:144]
	v_add_f64 v[127:128], v[127:128], v[135:136]
	s_waitcnt vmcnt(25) lgkmcnt(1)
	v_mul_f64 v[143:144], v[3:4], v[153:154]
	s_waitcnt vmcnt(24)
	v_fma_f64 v[141:142], v[5:6], v[171:172], -v[141:142]
	v_mul_f64 v[135:136], v[1:2], v[153:154]
	v_fma_f64 v[129:130], v[7:8], v[171:172], v[129:130]
	ds_read_b128 v[5:8], v173 offset:1728
	v_add_f64 v[125:126], v[125:126], v[137:138]
	v_add_f64 v[127:128], v[127:128], v[133:134]
	s_waitcnt vmcnt(23) lgkmcnt(1)
	v_mul_f64 v[137:138], v[123:124], v[192:193]
	v_mul_f64 v[133:134], v[121:122], v[192:193]
	s_waitcnt vmcnt(21)
	v_fma_f64 v[143:144], v[1:2], v[159:160], -v[143:144]
	v_fma_f64 v[135:136], v[3:4], v[159:160], v[135:136]
	ds_read_b128 v[1:4], v173 offset:1744
	v_add_f64 v[125:126], v[125:126], v[141:142]
	v_add_f64 v[127:128], v[127:128], v[129:130]
	;; [unrolled: 18-line block ×3, first 2 shown]
	s_waitcnt vmcnt(9) lgkmcnt(1)
	v_mul_f64 v[137:138], v[123:124], v[184:185]
	s_waitcnt vmcnt(8)
	v_fma_f64 v[1:2], v[1:2], v[201:202], -v[143:144]
	v_mul_f64 v[133:134], v[121:122], v[184:185]
	v_fma_f64 v[3:4], v[3:4], v[201:202], v[135:136]
	v_add_f64 v[125:126], v[125:126], v[141:142]
	v_add_f64 v[127:128], v[127:128], v[129:130]
	s_waitcnt vmcnt(7) lgkmcnt(0)
	v_mul_f64 v[135:136], v[7:8], v[194:195]
	v_mul_f64 v[129:130], v[5:6], v[194:195]
	s_waitcnt vmcnt(5)
	v_fma_f64 v[121:122], v[121:122], v[131:132], -v[137:138]
	v_fma_f64 v[123:124], v[123:124], v[131:132], v[133:134]
	v_add_f64 v[1:2], v[125:126], v[1:2]
	v_add_f64 v[3:4], v[127:128], v[3:4]
	s_waitcnt vmcnt(4)
	v_fma_f64 v[5:6], v[5:6], v[198:199], -v[135:136]
	v_fma_f64 v[7:8], v[7:8], v[198:199], v[129:130]
	v_add_f64 v[1:2], v[1:2], v[121:122]
	v_add_f64 v[3:4], v[3:4], v[123:124]
	;; [unrolled: 1-line block ×4, first 2 shown]
	s_waitcnt vmcnt(2)
	v_add_f64 v[1:2], v[139:140], -v[1:2]
	s_waitcnt vmcnt(0)
	v_add_f64 v[3:4], v[174:175], -v[3:4]
	buffer_store_dword v2, off, s[0:3], 0 offset:308
	buffer_store_dword v1, off, s[0:3], 0 offset:304
	;; [unrolled: 1-line block ×4, first 2 shown]
	v_cmpx_lt_u32_e32 17, v0
	s_cbranch_execz .LBB119_315
; %bb.314:
	v_mov_b32_e32 v4, s51
	s_clause 0x3
	buffer_load_dword v1, v4, s[0:3], 0 offen
	buffer_load_dword v2, v4, s[0:3], 0 offen offset:4
	buffer_load_dword v3, v4, s[0:3], 0 offen offset:8
	;; [unrolled: 1-line block ×3, first 2 shown]
	buffer_store_dword v173, off, s[0:3], 0 offset:288
	buffer_store_dword v173, off, s[0:3], 0 offset:292
	;; [unrolled: 1-line block ×4, first 2 shown]
	s_waitcnt vmcnt(0)
	ds_write_b128 v181, v[1:4]
.LBB119_315:
	s_or_b32 exec_lo, exec_lo, s4
	s_waitcnt lgkmcnt(0)
	s_waitcnt_vscnt null, 0x0
	s_barrier
	buffer_gl0_inv
	s_clause 0x37
	buffer_load_dword v121, off, s[0:3], 0 offset:312
	buffer_load_dword v122, off, s[0:3], 0 offset:316
	buffer_load_dword v5, off, s[0:3], 0 offset:328
	buffer_load_dword v6, off, s[0:3], 0 offset:332
	buffer_load_dword v7, off, s[0:3], 0 offset:304
	buffer_load_dword v8, off, s[0:3], 0 offset:308
	buffer_load_dword v3, off, s[0:3], 0 offset:344
	buffer_load_dword v4, off, s[0:3], 0 offset:348
	buffer_load_dword v1, off, s[0:3], 0 offset:320
	buffer_load_dword v2, off, s[0:3], 0 offset:324
	buffer_load_dword v126, off, s[0:3], 0 offset:364
	buffer_load_dword v129, off, s[0:3], 0 offset:376
	buffer_load_dword v123, off, s[0:3], 0 offset:368
	buffer_load_dword v125, off, s[0:3], 0 offset:360
	buffer_load_dword v137, off, s[0:3], 0 offset:336
	buffer_load_dword v138, off, s[0:3], 0 offset:340
	buffer_load_dword v130, off, s[0:3], 0 offset:380
	buffer_load_dword v132, off, s[0:3], 0 offset:356
	buffer_load_dword v131, off, s[0:3], 0 offset:352
	buffer_load_dword v134, off, s[0:3], 0 offset:396
	buffer_load_dword v139, off, s[0:3], 0 offset:408
	buffer_load_dword v127, off, s[0:3], 0 offset:400
	buffer_load_dword v133, off, s[0:3], 0 offset:392
	buffer_load_dword v124, off, s[0:3], 0 offset:372
	buffer_load_dword v140, off, s[0:3], 0 offset:412
	buffer_load_dword v142, off, s[0:3], 0 offset:388
	buffer_load_dword v141, off, s[0:3], 0 offset:384
	buffer_load_dword v144, off, s[0:3], 0 offset:428
	buffer_load_dword v147, off, s[0:3], 0 offset:440
	buffer_load_dword v135, off, s[0:3], 0 offset:432
	buffer_load_dword v143, off, s[0:3], 0 offset:424
	buffer_load_dword v128, off, s[0:3], 0 offset:404
	buffer_load_dword v148, off, s[0:3], 0 offset:444
	buffer_load_dword v150, off, s[0:3], 0 offset:420
	buffer_load_dword v149, off, s[0:3], 0 offset:416
	buffer_load_dword v152, off, s[0:3], 0 offset:460
	buffer_load_dword v155, off, s[0:3], 0 offset:472
	buffer_load_dword v145, off, s[0:3], 0 offset:464
	buffer_load_dword v151, off, s[0:3], 0 offset:456
	buffer_load_dword v136, off, s[0:3], 0 offset:436
	buffer_load_dword v156, off, s[0:3], 0 offset:476
	buffer_load_dword v158, off, s[0:3], 0 offset:452
	buffer_load_dword v157, off, s[0:3], 0 offset:448
	buffer_load_dword v160, off, s[0:3], 0 offset:492
	buffer_load_dword v163, off, s[0:3], 0 offset:504
	buffer_load_dword v153, off, s[0:3], 0 offset:496
	buffer_load_dword v159, off, s[0:3], 0 offset:488
	buffer_load_dword v146, off, s[0:3], 0 offset:468
	buffer_load_dword v164, off, s[0:3], 0 offset:508
	buffer_load_dword v166, off, s[0:3], 0 offset:484
	buffer_load_dword v165, off, s[0:3], 0 offset:480
	buffer_load_dword v168, off, s[0:3], 0 offset:524
	buffer_load_dword v169, off, s[0:3], 0 offset:536
	buffer_load_dword v161, off, s[0:3], 0 offset:528
	buffer_load_dword v167, off, s[0:3], 0 offset:520
	buffer_load_dword v154, off, s[0:3], 0 offset:500
	ds_read_b128 v[174:177], v173 offset:1184
	s_clause 0x2
	buffer_load_dword v170, off, s[0:3], 0 offset:540
	buffer_load_dword v172, off, s[0:3], 0 offset:516
	;; [unrolled: 1-line block ×3, first 2 shown]
	ds_read_b128 v[182:185], v173 offset:1200
	s_clause 0x4
	buffer_load_dword v191, off, s[0:3], 0 offset:556
	buffer_load_dword v192, off, s[0:3], 0 offset:568
	;; [unrolled: 1-line block ×5, first 2 shown]
	ds_read_b128 v[186:189], v173 offset:1216
	s_clause 0x2
	buffer_load_dword v193, off, s[0:3], 0 offset:572
	buffer_load_dword v198, off, s[0:3], 0 offset:548
	;; [unrolled: 1-line block ×3, first 2 shown]
	s_mov_b32 s4, exec_lo
	s_waitcnt vmcnt(62) lgkmcnt(2)
	v_mul_f64 v[178:179], v[176:177], v[121:122]
	v_mul_f64 v[121:122], v[174:175], v[121:122]
	s_waitcnt lgkmcnt(1)
	v_mul_f64 v[195:196], v[184:185], v[5:6]
	s_waitcnt vmcnt(59) lgkmcnt(0)
	v_mul_f64 v[199:200], v[188:189], v[3:4]
	v_fma_f64 v[174:175], v[174:175], v[7:8], -v[178:179]
	v_mul_f64 v[178:179], v[182:183], v[5:6]
	v_fma_f64 v[121:122], v[176:177], v[7:8], v[121:122]
	s_waitcnt vmcnt(57)
	v_fma_f64 v[182:183], v[182:183], v[1:2], -v[195:196]
	ds_read_b128 v[5:8], v173 offset:1232
	v_mul_f64 v[176:177], v[186:187], v[3:4]
	s_waitcnt vmcnt(51)
	v_fma_f64 v[186:187], v[186:187], v[137:138], -v[199:200]
	v_add_f64 v[174:175], v[174:175], 0
	v_fma_f64 v[178:179], v[184:185], v[1:2], v[178:179]
	v_add_f64 v[121:122], v[121:122], 0
	s_clause 0x4
	buffer_load_dword v185, off, s[0:3], 0 offset:588
	buffer_load_dword v201, off, s[0:3], 0 offset:600
	;; [unrolled: 1-line block ×5, first 2 shown]
	s_waitcnt lgkmcnt(0)
	v_mul_f64 v[204:205], v[5:6], v[125:126]
	v_mul_f64 v[125:126], v[7:8], v[125:126]
	ds_read_b128 v[1:4], v173 offset:1248
	v_fma_f64 v[137:138], v[188:189], v[137:138], v[176:177]
	v_add_f64 v[182:183], v[174:175], v[182:183]
	v_add_f64 v[121:122], v[121:122], v[178:179]
	s_clause 0x2
	buffer_load_dword v202, off, s[0:3], 0 offset:604
	buffer_load_dword v179, off, s[0:3], 0 offset:580
	;; [unrolled: 1-line block ×3, first 2 shown]
	s_waitcnt vmcnt(58) lgkmcnt(0)
	v_mul_f64 v[188:189], v[1:2], v[129:130]
	v_mul_f64 v[129:130], v[3:4], v[129:130]
	s_waitcnt vmcnt(56)
	v_fma_f64 v[125:126], v[5:6], v[131:132], -v[125:126]
	ds_read_b128 v[174:177], v173 offset:1264
	v_fma_f64 v[131:132], v[7:8], v[131:132], v[204:205]
	v_add_f64 v[182:183], v[182:183], v[186:187]
	v_add_f64 v[121:122], v[121:122], v[137:138]
	s_clause 0x4
	buffer_load_dword v138, off, s[0:3], 0 offset:620
	buffer_load_dword v186, off, s[0:3], 0 offset:632
	;; [unrolled: 1-line block ×5, first 2 shown]
	ds_read_b128 v[5:8], v173 offset:1280
	s_waitcnt vmcnt(57) lgkmcnt(1)
	v_mul_f64 v[205:206], v[174:175], v[133:134]
	v_mul_f64 v[133:134], v[176:177], v[133:134]
	s_waitcnt vmcnt(56)
	v_fma_f64 v[129:130], v[1:2], v[123:124], -v[129:130]
	v_fma_f64 v[123:124], v[3:4], v[123:124], v[188:189]
	v_add_f64 v[125:126], v[182:183], v[125:126]
	v_add_f64 v[121:122], v[121:122], v[131:132]
	s_clause 0x2
	buffer_load_dword v187, off, s[0:3], 0 offset:636
	buffer_load_dword v132, off, s[0:3], 0 offset:612
	;; [unrolled: 1-line block ×3, first 2 shown]
	s_waitcnt vmcnt(58) lgkmcnt(0)
	v_mul_f64 v[182:183], v[5:6], v[139:140]
	v_mul_f64 v[139:140], v[7:8], v[139:140]
	s_waitcnt vmcnt(56)
	v_fma_f64 v[133:134], v[174:175], v[141:142], -v[133:134]
	ds_read_b128 v[1:4], v173 offset:1296
	v_add_f64 v[125:126], v[125:126], v[129:130]
	v_fma_f64 v[129:130], v[176:177], v[141:142], v[205:206]
	v_add_f64 v[141:142], v[121:122], v[123:124]
	s_clause 0x4
	buffer_load_dword v175, off, s[0:3], 0 offset:652
	buffer_load_dword v176, off, s[0:3], 0 offset:664
	;; [unrolled: 1-line block ×5, first 2 shown]
	ds_read_b128 v[121:124], v173 offset:1312
	s_waitcnt vmcnt(57) lgkmcnt(1)
	v_mul_f64 v[205:206], v[1:2], v[143:144]
	v_mul_f64 v[143:144], v[3:4], v[143:144]
	s_waitcnt vmcnt(56)
	v_fma_f64 v[139:140], v[5:6], v[127:128], -v[139:140]
	v_fma_f64 v[127:128], v[7:8], v[127:128], v[182:183]
	v_add_f64 v[125:126], v[125:126], v[133:134]
	s_clause 0x2
	buffer_load_dword v177, off, s[0:3], 0 offset:668
	buffer_load_dword v134, off, s[0:3], 0 offset:644
	;; [unrolled: 1-line block ×3, first 2 shown]
	v_add_f64 v[129:130], v[141:142], v[129:130]
	s_waitcnt vmcnt(58) lgkmcnt(0)
	v_mul_f64 v[141:142], v[121:122], v[147:148]
	v_mul_f64 v[147:148], v[123:124], v[147:148]
	ds_read_b128 v[5:8], v173 offset:1328
	s_waitcnt vmcnt(56)
	v_fma_f64 v[143:144], v[1:2], v[149:150], -v[143:144]
	v_add_f64 v[125:126], v[125:126], v[139:140]
	v_fma_f64 v[139:140], v[3:4], v[149:150], v[205:206]
	v_add_f64 v[127:128], v[129:130], v[127:128]
	s_clause 0x4
	buffer_load_dword v130, off, s[0:3], 0 offset:684
	buffer_load_dword v149, off, s[0:3], 0 offset:696
	;; [unrolled: 1-line block ×5, first 2 shown]
	s_waitcnt vmcnt(57) lgkmcnt(0)
	v_mul_f64 v[205:206], v[5:6], v[151:152]
	v_mul_f64 v[151:152], v[7:8], v[151:152]
	s_waitcnt vmcnt(56)
	v_fma_f64 v[147:148], v[121:122], v[135:136], -v[147:148]
	ds_read_b128 v[1:4], v173 offset:1344
	v_fma_f64 v[135:136], v[123:124], v[135:136], v[141:142]
	v_add_f64 v[125:126], v[125:126], v[143:144]
	v_add_f64 v[127:128], v[127:128], v[139:140]
	s_clause 0x2
	buffer_load_dword v150, off, s[0:3], 0 offset:700
	buffer_load_dword v140, off, s[0:3], 0 offset:676
	;; [unrolled: 1-line block ×3, first 2 shown]
	ds_read_b128 v[121:124], v173 offset:1360
	s_waitcnt vmcnt(58) lgkmcnt(1)
	v_mul_f64 v[143:144], v[3:4], v[155:156]
	s_waitcnt vmcnt(56)
	v_fma_f64 v[151:152], v[5:6], v[157:158], -v[151:152]
	v_mul_f64 v[141:142], v[1:2], v[155:156]
	v_add_f64 v[125:126], v[125:126], v[147:148]
	v_fma_f64 v[147:148], v[7:8], v[157:158], v[205:206]
	v_add_f64 v[127:128], v[127:128], v[135:136]
	s_clause 0x4
	buffer_load_dword v136, off, s[0:3], 0 offset:716
	buffer_load_dword v155, off, s[0:3], 0 offset:728
	;; [unrolled: 1-line block ×5, first 2 shown]
	s_waitcnt vmcnt(57) lgkmcnt(0)
	v_mul_f64 v[205:206], v[121:122], v[159:160]
	v_mul_f64 v[158:159], v[123:124], v[159:160]
	s_waitcnt vmcnt(56)
	v_fma_f64 v[143:144], v[1:2], v[145:146], -v[143:144]
	ds_read_b128 v[5:8], v173 offset:1376
	v_fma_f64 v[141:142], v[3:4], v[145:146], v[141:142]
	s_clause 0x2
	buffer_load_dword v156, off, s[0:3], 0 offset:732
	buffer_load_dword v146, off, s[0:3], 0 offset:708
	;; [unrolled: 1-line block ×3, first 2 shown]
	ds_read_b128 v[1:4], v173 offset:1392
	v_add_f64 v[125:126], v[125:126], v[151:152]
	v_add_f64 v[127:128], v[127:128], v[147:148]
	s_waitcnt vmcnt(58) lgkmcnt(1)
	v_mul_f64 v[151:152], v[7:8], v[163:164]
	s_waitcnt vmcnt(56)
	v_fma_f64 v[159:160], v[121:122], v[165:166], -v[158:159]
	v_mul_f64 v[147:148], v[5:6], v[163:164]
	v_add_f64 v[125:126], v[125:126], v[143:144]
	v_fma_f64 v[143:144], v[123:124], v[165:166], v[205:206]
	v_add_f64 v[127:128], v[127:128], v[141:142]
	s_clause 0x4
	buffer_load_dword v142, off, s[0:3], 0 offset:748
	buffer_load_dword v163, off, s[0:3], 0 offset:760
	;; [unrolled: 1-line block ×5, first 2 shown]
	s_waitcnt vmcnt(57) lgkmcnt(0)
	v_mul_f64 v[205:206], v[1:2], v[167:168]
	v_mul_f64 v[166:167], v[3:4], v[167:168]
	s_waitcnt vmcnt(56)
	v_fma_f64 v[151:152], v[5:6], v[153:154], -v[151:152]
	ds_read_b128 v[121:124], v173 offset:1408
	v_fma_f64 v[147:148], v[7:8], v[153:154], v[147:148]
	v_add_f64 v[125:126], v[125:126], v[159:160]
	v_add_f64 v[127:128], v[127:128], v[143:144]
	s_clause 0x2
	buffer_load_dword v164, off, s[0:3], 0 offset:764
	buffer_load_dword v144, off, s[0:3], 0 offset:740
	;; [unrolled: 1-line block ×3, first 2 shown]
	ds_read_b128 v[5:8], v173 offset:1424
	s_waitcnt vmcnt(58) lgkmcnt(1)
	v_mul_f64 v[159:160], v[123:124], v[169:170]
	s_waitcnt vmcnt(56)
	v_fma_f64 v[167:168], v[1:2], v[171:172], -v[166:167]
	v_mul_f64 v[153:154], v[121:122], v[169:170]
	v_add_f64 v[125:126], v[125:126], v[151:152]
	v_fma_f64 v[151:152], v[3:4], v[171:172], v[205:206]
	v_add_f64 v[127:128], v[127:128], v[147:148]
	s_clause 0x4
	buffer_load_dword v148, off, s[0:3], 0 offset:780
	buffer_load_dword v169, off, s[0:3], 0 offset:792
	;; [unrolled: 1-line block ×5, first 2 shown]
	s_waitcnt vmcnt(57) lgkmcnt(0)
	v_mul_f64 v[205:206], v[5:6], v[190:191]
	v_mul_f64 v[190:191], v[7:8], v[190:191]
	s_waitcnt vmcnt(56)
	v_fma_f64 v[159:160], v[121:122], v[161:162], -v[159:160]
	ds_read_b128 v[1:4], v173 offset:1440
	v_fma_f64 v[153:154], v[123:124], v[161:162], v[153:154]
	v_add_f64 v[125:126], v[125:126], v[167:168]
	v_add_f64 v[127:128], v[127:128], v[151:152]
	s_clause 0x2
	buffer_load_dword v170, off, s[0:3], 0 offset:796
	buffer_load_dword v152, off, s[0:3], 0 offset:772
	;; [unrolled: 1-line block ×3, first 2 shown]
	ds_read_b128 v[121:124], v173 offset:1456
	s_waitcnt vmcnt(58) lgkmcnt(1)
	v_mul_f64 v[167:168], v[3:4], v[192:193]
	s_waitcnt vmcnt(56)
	v_fma_f64 v[190:191], v[5:6], v[197:198], -v[190:191]
	v_mul_f64 v[161:162], v[1:2], v[192:193]
	v_add_f64 v[125:126], v[125:126], v[159:160]
	v_fma_f64 v[159:160], v[7:8], v[197:198], v[205:206]
	v_add_f64 v[127:128], v[127:128], v[153:154]
	s_clause 0x4
	buffer_load_dword v154, off, s[0:3], 0 offset:812
	buffer_load_dword v192, off, s[0:3], 0 offset:824
	;; [unrolled: 1-line block ×5, first 2 shown]
	ds_read_b128 v[5:8], v173 offset:1472
	s_waitcnt vmcnt(57) lgkmcnt(1)
	v_mul_f64 v[197:198], v[121:122], v[184:185]
	v_mul_f64 v[184:185], v[123:124], v[184:185]
	s_waitcnt vmcnt(56)
	v_fma_f64 v[167:168], v[1:2], v[194:195], -v[167:168]
	v_fma_f64 v[161:162], v[3:4], v[194:195], v[161:162]
	v_add_f64 v[125:126], v[125:126], v[190:191]
	v_add_f64 v[127:128], v[127:128], v[159:160]
	s_clause 0x2
	buffer_load_dword v193, off, s[0:3], 0 offset:828
	buffer_load_dword v160, off, s[0:3], 0 offset:804
	;; [unrolled: 1-line block ×3, first 2 shown]
	ds_read_b128 v[1:4], v173 offset:1488
	s_waitcnt vmcnt(58) lgkmcnt(1)
	v_mul_f64 v[194:195], v[7:8], v[201:202]
	v_mul_f64 v[190:191], v[5:6], v[201:202]
	s_waitcnt vmcnt(56)
	v_fma_f64 v[184:185], v[121:122], v[178:179], -v[184:185]
	v_add_f64 v[125:126], v[125:126], v[167:168]
	v_fma_f64 v[167:168], v[123:124], v[178:179], v[197:198]
	v_add_f64 v[127:128], v[127:128], v[161:162]
	s_clause 0x4
	buffer_load_dword v162, off, s[0:3], 0 offset:844
	buffer_load_dword v178, off, s[0:3], 0 offset:856
	buffer_load_dword v201, off, s[0:3], 0 offset:848
	buffer_load_dword v161, off, s[0:3], 0 offset:840
	buffer_load_dword v197, off, s[0:3], 0 offset:820
	ds_read_b128 v[121:124], v173 offset:1504
	s_waitcnt vmcnt(57) lgkmcnt(1)
	v_mul_f64 v[205:206], v[1:2], v[137:138]
	v_mul_f64 v[137:138], v[3:4], v[137:138]
	s_waitcnt vmcnt(56)
	v_fma_f64 v[194:195], v[5:6], v[203:204], -v[194:195]
	v_add_f64 v[125:126], v[125:126], v[184:185]
	v_fma_f64 v[184:185], v[7:8], v[203:204], v[190:191]
	v_add_f64 v[127:128], v[127:128], v[167:168]
	s_clause 0x2
	buffer_load_dword v179, off, s[0:3], 0 offset:860
	buffer_load_dword v168, off, s[0:3], 0 offset:836
	;; [unrolled: 1-line block ×3, first 2 shown]
	ds_read_b128 v[5:8], v173 offset:1520
	s_waitcnt vmcnt(58) lgkmcnt(1)
	v_mul_f64 v[190:191], v[121:122], v[186:187]
	v_mul_f64 v[186:187], v[123:124], v[186:187]
	s_waitcnt vmcnt(56)
	v_fma_f64 v[137:138], v[1:2], v[131:132], -v[137:138]
	v_fma_f64 v[131:132], v[3:4], v[131:132], v[205:206]
	v_add_f64 v[125:126], v[125:126], v[194:195]
	v_add_f64 v[127:128], v[127:128], v[184:185]
	s_clause 0x4
	buffer_load_dword v185, off, s[0:3], 0 offset:876
	buffer_load_dword v194, off, s[0:3], 0 offset:888
	;; [unrolled: 1-line block ×5, first 2 shown]
	ds_read_b128 v[1:4], v173 offset:1536
	s_waitcnt vmcnt(57) lgkmcnt(1)
	v_mul_f64 v[203:204], v[5:6], v[174:175]
	v_mul_f64 v[174:175], v[7:8], v[174:175]
	s_waitcnt vmcnt(56)
	v_fma_f64 v[186:187], v[121:122], v[199:200], -v[186:187]
	v_add_f64 v[125:126], v[125:126], v[137:138]
	v_fma_f64 v[137:138], v[123:124], v[199:200], v[190:191]
	v_add_f64 v[127:128], v[127:128], v[131:132]
	s_clause 0x2
	buffer_load_dword v195, off, s[0:3], 0 offset:892
	buffer_load_dword v132, off, s[0:3], 0 offset:868
	;; [unrolled: 1-line block ×3, first 2 shown]
	ds_read_b128 v[121:124], v173 offset:1552
	s_waitcnt vmcnt(58) lgkmcnt(1)
	v_mul_f64 v[190:191], v[1:2], v[176:177]
	v_mul_f64 v[176:177], v[3:4], v[176:177]
	s_waitcnt vmcnt(56)
	v_fma_f64 v[174:175], v[5:6], v[133:134], -v[174:175]
	v_fma_f64 v[133:134], v[7:8], v[133:134], v[203:204]
	v_add_f64 v[125:126], v[125:126], v[186:187]
	v_add_f64 v[127:128], v[127:128], v[137:138]
	s_clause 0x2
	buffer_load_dword v138, off, s[0:3], 0 offset:908
	buffer_load_dword v137, off, s[0:3], 0 offset:904
	buffer_load_dword v199, off, s[0:3], 0 offset:884
	ds_read_b128 v[5:8], v173 offset:1568
	s_waitcnt vmcnt(55) lgkmcnt(1)
	v_mul_f64 v[186:187], v[121:122], v[129:130]
	v_mul_f64 v[129:130], v[123:124], v[129:130]
	s_waitcnt vmcnt(54)
	v_fma_f64 v[176:177], v[1:2], v[188:189], -v[176:177]
	v_add_f64 v[125:126], v[125:126], v[174:175]
	v_fma_f64 v[174:175], v[3:4], v[188:189], v[190:191]
	v_add_f64 v[127:128], v[127:128], v[133:134]
	s_clause 0x1
	buffer_load_dword v134, off, s[0:3], 0 offset:900
	buffer_load_dword v133, off, s[0:3], 0 offset:896
	ds_read_b128 v[1:4], v173 offset:1584
	s_waitcnt vmcnt(55) lgkmcnt(1)
	v_mul_f64 v[188:189], v[5:6], v[149:150]
	v_mul_f64 v[149:150], v[7:8], v[149:150]
	s_waitcnt vmcnt(53)
	v_fma_f64 v[129:130], v[121:122], v[139:140], -v[129:130]
	v_fma_f64 v[139:140], v[123:124], v[139:140], v[186:187]
	ds_read_b128 v[121:124], v173 offset:1600
	v_add_f64 v[125:126], v[125:126], v[176:177]
	v_add_f64 v[127:128], v[127:128], v[174:175]
	s_waitcnt vmcnt(49) lgkmcnt(1)
	v_mul_f64 v[174:175], v[1:2], v[135:136]
	v_mul_f64 v[135:136], v[3:4], v[135:136]
	s_waitcnt vmcnt(48)
	v_fma_f64 v[149:150], v[5:6], v[182:183], -v[149:150]
	v_add_f64 v[125:126], v[125:126], v[129:130]
	v_fma_f64 v[129:130], v[7:8], v[182:183], v[188:189]
	v_add_f64 v[127:128], v[127:128], v[139:140]
	s_clause 0x3
	buffer_load_dword v139, off, s[0:3], 0 offset:288
	buffer_load_dword v140, off, s[0:3], 0 offset:292
	;; [unrolled: 1-line block ×4, first 2 shown]
	s_waitcnt vmcnt(51) lgkmcnt(0)
	v_mul_f64 v[182:183], v[121:122], v[155:156]
	v_mul_f64 v[155:156], v[123:124], v[155:156]
	ds_read_b128 v[5:8], v173 offset:1616
	s_waitcnt vmcnt(49)
	v_fma_f64 v[135:136], v[1:2], v[145:146], -v[135:136]
	v_fma_f64 v[145:146], v[3:4], v[145:146], v[174:175]
	ds_read_b128 v[1:4], v173 offset:1632
	v_add_f64 v[125:126], v[125:126], v[149:150]
	v_add_f64 v[127:128], v[127:128], v[129:130]
	s_waitcnt vmcnt(45) lgkmcnt(1)
	v_mul_f64 v[129:130], v[5:6], v[141:142]
	v_mul_f64 v[141:142], v[7:8], v[141:142]
	s_waitcnt vmcnt(44)
	v_fma_f64 v[149:150], v[121:122], v[157:158], -v[155:156]
	v_add_f64 v[125:126], v[125:126], v[135:136]
	v_fma_f64 v[135:136], v[123:124], v[157:158], v[182:183]
	v_add_f64 v[127:128], v[127:128], v[145:146]
	ds_read_b128 v[121:124], v173 offset:1648
	s_waitcnt vmcnt(43) lgkmcnt(1)
	v_mul_f64 v[155:156], v[3:4], v[163:164]
	v_mul_f64 v[145:146], v[1:2], v[163:164]
	s_waitcnt vmcnt(41)
	v_fma_f64 v[141:142], v[5:6], v[143:144], -v[141:142]
	v_fma_f64 v[129:130], v[7:8], v[143:144], v[129:130]
	ds_read_b128 v[5:8], v173 offset:1664
	v_add_f64 v[125:126], v[125:126], v[149:150]
	v_add_f64 v[127:128], v[127:128], v[135:136]
	s_waitcnt vmcnt(37) lgkmcnt(1)
	v_mul_f64 v[135:136], v[121:122], v[147:148]
	v_mul_f64 v[143:144], v[123:124], v[147:148]
	s_waitcnt vmcnt(36)
	v_fma_f64 v[147:148], v[1:2], v[165:166], -v[155:156]
	v_add_f64 v[125:126], v[125:126], v[141:142]
	v_fma_f64 v[141:142], v[3:4], v[165:166], v[145:146]
	v_add_f64 v[127:128], v[127:128], v[129:130]
	ds_read_b128 v[1:4], v173 offset:1680
	s_waitcnt vmcnt(35) lgkmcnt(1)
	v_mul_f64 v[145:146], v[7:8], v[169:170]
	v_mul_f64 v[129:130], v[5:6], v[169:170]
	s_waitcnt vmcnt(33)
	v_fma_f64 v[143:144], v[121:122], v[151:152], -v[143:144]
	v_fma_f64 v[135:136], v[123:124], v[151:152], v[135:136]
	ds_read_b128 v[121:124], v173 offset:1696
	v_add_f64 v[125:126], v[125:126], v[147:148]
	v_add_f64 v[127:128], v[127:128], v[141:142]
	s_waitcnt vmcnt(29) lgkmcnt(1)
	v_mul_f64 v[147:148], v[3:4], v[153:154]
	s_waitcnt vmcnt(28)
	v_fma_f64 v[145:146], v[5:6], v[171:172], -v[145:146]
	v_mul_f64 v[141:142], v[1:2], v[153:154]
	v_fma_f64 v[129:130], v[7:8], v[171:172], v[129:130]
	ds_read_b128 v[5:8], v173 offset:1712
	v_add_f64 v[125:126], v[125:126], v[143:144]
	v_add_f64 v[127:128], v[127:128], v[135:136]
	s_waitcnt vmcnt(27) lgkmcnt(1)
	v_mul_f64 v[143:144], v[123:124], v[192:193]
	v_mul_f64 v[135:136], v[121:122], v[192:193]
	s_waitcnt vmcnt(25)
	v_fma_f64 v[147:148], v[1:2], v[159:160], -v[147:148]
	v_fma_f64 v[141:142], v[3:4], v[159:160], v[141:142]
	ds_read_b128 v[1:4], v173 offset:1728
	v_add_f64 v[125:126], v[125:126], v[145:146]
	v_add_f64 v[127:128], v[127:128], v[129:130]
	s_waitcnt vmcnt(21) lgkmcnt(1)
	v_mul_f64 v[145:146], v[7:8], v[161:162]
	s_waitcnt vmcnt(20)
	v_fma_f64 v[143:144], v[121:122], v[196:197], -v[143:144]
	v_mul_f64 v[129:130], v[5:6], v[161:162]
	v_fma_f64 v[135:136], v[123:124], v[196:197], v[135:136]
	ds_read_b128 v[121:124], v173 offset:1744
	v_add_f64 v[125:126], v[125:126], v[147:148]
	v_add_f64 v[127:128], v[127:128], v[141:142]
	;; [unrolled: 18-line block ×3, first 2 shown]
	s_waitcnt vmcnt(11) lgkmcnt(1)
	v_mul_f64 v[145:146], v[7:8], v[194:195]
	v_mul_f64 v[129:130], v[5:6], v[194:195]
	s_waitcnt vmcnt(9)
	v_fma_f64 v[121:122], v[121:122], v[131:132], -v[143:144]
	v_fma_f64 v[123:124], v[123:124], v[131:132], v[135:136]
	v_add_f64 v[125:126], v[125:126], v[147:148]
	v_add_f64 v[127:128], v[127:128], v[141:142]
	s_waitcnt vmcnt(7) lgkmcnt(0)
	v_mul_f64 v[135:136], v[3:4], v[137:138]
	s_waitcnt vmcnt(6)
	v_fma_f64 v[5:6], v[5:6], v[198:199], -v[145:146]
	v_mul_f64 v[131:132], v[1:2], v[137:138]
	v_fma_f64 v[7:8], v[7:8], v[198:199], v[129:130]
	v_add_f64 v[121:122], v[125:126], v[121:122]
	v_add_f64 v[123:124], v[127:128], v[123:124]
	s_waitcnt vmcnt(4)
	v_fma_f64 v[1:2], v[1:2], v[133:134], -v[135:136]
	v_fma_f64 v[3:4], v[3:4], v[133:134], v[131:132]
	v_add_f64 v[5:6], v[121:122], v[5:6]
	v_add_f64 v[7:8], v[123:124], v[7:8]
	v_add_f64 v[1:2], v[5:6], v[1:2]
	v_add_f64 v[3:4], v[7:8], v[3:4]
	s_waitcnt vmcnt(2)
	v_add_f64 v[1:2], v[139:140], -v[1:2]
	s_waitcnt vmcnt(0)
	v_add_f64 v[3:4], v[176:177], -v[3:4]
	buffer_store_dword v2, off, s[0:3], 0 offset:292
	buffer_store_dword v1, off, s[0:3], 0 offset:288
	;; [unrolled: 1-line block ×4, first 2 shown]
	v_cmpx_lt_u32_e32 16, v0
	s_cbranch_execz .LBB119_317
; %bb.316:
	v_mov_b32_e32 v4, s52
	v_mov_b32_e32 v5, 0
	s_clause 0x3
	buffer_load_dword v1, v4, s[0:3], 0 offen
	buffer_load_dword v2, v4, s[0:3], 0 offen offset:4
	buffer_load_dword v3, v4, s[0:3], 0 offen offset:8
	;; [unrolled: 1-line block ×3, first 2 shown]
	buffer_store_dword v5, off, s[0:3], 0 offset:272
	buffer_store_dword v5, off, s[0:3], 0 offset:276
	;; [unrolled: 1-line block ×4, first 2 shown]
	s_waitcnt vmcnt(0)
	ds_write_b128 v181, v[1:4]
.LBB119_317:
	s_or_b32 exec_lo, exec_lo, s4
	s_waitcnt lgkmcnt(0)
	s_waitcnt_vscnt null, 0x0
	s_barrier
	buffer_gl0_inv
	s_clause 0x37
	buffer_load_dword v121, off, s[0:3], 0 offset:296
	buffer_load_dword v122, off, s[0:3], 0 offset:300
	;; [unrolled: 1-line block ×56, first 2 shown]
	v_mov_b32_e32 v173, 0
	s_mov_b32 s4, exec_lo
	ds_read_b128 v[174:177], v173 offset:1168
	s_clause 0x2
	buffer_load_dword v170, off, s[0:3], 0 offset:524
	buffer_load_dword v172, off, s[0:3], 0 offset:500
	;; [unrolled: 1-line block ×3, first 2 shown]
	ds_read_b128 v[182:185], v173 offset:1184
	s_clause 0x4
	buffer_load_dword v191, off, s[0:3], 0 offset:540
	buffer_load_dword v192, off, s[0:3], 0 offset:552
	;; [unrolled: 1-line block ×5, first 2 shown]
	ds_read_b128 v[186:189], v173 offset:1200
	s_clause 0x2
	buffer_load_dword v193, off, s[0:3], 0 offset:556
	buffer_load_dword v198, off, s[0:3], 0 offset:532
	;; [unrolled: 1-line block ×3, first 2 shown]
	s_waitcnt vmcnt(62) lgkmcnt(2)
	v_mul_f64 v[178:179], v[176:177], v[121:122]
	v_mul_f64 v[121:122], v[174:175], v[121:122]
	s_waitcnt lgkmcnt(1)
	v_mul_f64 v[195:196], v[184:185], v[5:6]
	s_waitcnt vmcnt(59) lgkmcnt(0)
	v_mul_f64 v[199:200], v[188:189], v[3:4]
	v_fma_f64 v[174:175], v[174:175], v[7:8], -v[178:179]
	v_mul_f64 v[178:179], v[182:183], v[5:6]
	v_fma_f64 v[121:122], v[176:177], v[7:8], v[121:122]
	s_waitcnt vmcnt(57)
	v_fma_f64 v[182:183], v[182:183], v[1:2], -v[195:196]
	ds_read_b128 v[5:8], v173 offset:1216
	v_mul_f64 v[176:177], v[186:187], v[3:4]
	s_waitcnt vmcnt(51)
	v_fma_f64 v[186:187], v[186:187], v[137:138], -v[199:200]
	v_add_f64 v[174:175], v[174:175], 0
	v_fma_f64 v[178:179], v[184:185], v[1:2], v[178:179]
	v_add_f64 v[121:122], v[121:122], 0
	s_clause 0x4
	buffer_load_dword v185, off, s[0:3], 0 offset:572
	buffer_load_dword v201, off, s[0:3], 0 offset:584
	;; [unrolled: 1-line block ×5, first 2 shown]
	s_waitcnt lgkmcnt(0)
	v_mul_f64 v[204:205], v[5:6], v[125:126]
	v_mul_f64 v[125:126], v[7:8], v[125:126]
	ds_read_b128 v[1:4], v173 offset:1232
	v_fma_f64 v[137:138], v[188:189], v[137:138], v[176:177]
	v_add_f64 v[182:183], v[174:175], v[182:183]
	v_add_f64 v[121:122], v[121:122], v[178:179]
	s_clause 0x2
	buffer_load_dword v202, off, s[0:3], 0 offset:588
	buffer_load_dword v179, off, s[0:3], 0 offset:564
	;; [unrolled: 1-line block ×3, first 2 shown]
	s_waitcnt vmcnt(58) lgkmcnt(0)
	v_mul_f64 v[188:189], v[1:2], v[129:130]
	v_mul_f64 v[129:130], v[3:4], v[129:130]
	s_waitcnt vmcnt(56)
	v_fma_f64 v[125:126], v[5:6], v[131:132], -v[125:126]
	ds_read_b128 v[174:177], v173 offset:1248
	v_fma_f64 v[131:132], v[7:8], v[131:132], v[204:205]
	v_add_f64 v[182:183], v[182:183], v[186:187]
	v_add_f64 v[121:122], v[121:122], v[137:138]
	s_clause 0x4
	buffer_load_dword v138, off, s[0:3], 0 offset:604
	buffer_load_dword v186, off, s[0:3], 0 offset:616
	;; [unrolled: 1-line block ×5, first 2 shown]
	ds_read_b128 v[5:8], v173 offset:1264
	s_waitcnt vmcnt(57) lgkmcnt(1)
	v_mul_f64 v[205:206], v[174:175], v[133:134]
	v_mul_f64 v[133:134], v[176:177], v[133:134]
	s_waitcnt vmcnt(56)
	v_fma_f64 v[129:130], v[1:2], v[123:124], -v[129:130]
	v_fma_f64 v[123:124], v[3:4], v[123:124], v[188:189]
	v_add_f64 v[125:126], v[182:183], v[125:126]
	v_add_f64 v[121:122], v[121:122], v[131:132]
	s_clause 0x2
	buffer_load_dword v187, off, s[0:3], 0 offset:620
	buffer_load_dword v132, off, s[0:3], 0 offset:596
	;; [unrolled: 1-line block ×3, first 2 shown]
	s_waitcnt vmcnt(58) lgkmcnt(0)
	v_mul_f64 v[182:183], v[5:6], v[139:140]
	v_mul_f64 v[139:140], v[7:8], v[139:140]
	s_waitcnt vmcnt(56)
	v_fma_f64 v[133:134], v[174:175], v[141:142], -v[133:134]
	ds_read_b128 v[1:4], v173 offset:1280
	v_add_f64 v[125:126], v[125:126], v[129:130]
	v_fma_f64 v[129:130], v[176:177], v[141:142], v[205:206]
	v_add_f64 v[141:142], v[121:122], v[123:124]
	s_clause 0x4
	buffer_load_dword v175, off, s[0:3], 0 offset:636
	buffer_load_dword v176, off, s[0:3], 0 offset:648
	;; [unrolled: 1-line block ×5, first 2 shown]
	ds_read_b128 v[121:124], v173 offset:1296
	s_waitcnt vmcnt(57) lgkmcnt(1)
	v_mul_f64 v[205:206], v[1:2], v[143:144]
	v_mul_f64 v[143:144], v[3:4], v[143:144]
	s_waitcnt vmcnt(56)
	v_fma_f64 v[139:140], v[5:6], v[127:128], -v[139:140]
	v_fma_f64 v[127:128], v[7:8], v[127:128], v[182:183]
	v_add_f64 v[125:126], v[125:126], v[133:134]
	s_clause 0x2
	buffer_load_dword v177, off, s[0:3], 0 offset:652
	buffer_load_dword v134, off, s[0:3], 0 offset:628
	;; [unrolled: 1-line block ×3, first 2 shown]
	v_add_f64 v[129:130], v[141:142], v[129:130]
	s_waitcnt vmcnt(58) lgkmcnt(0)
	v_mul_f64 v[141:142], v[121:122], v[147:148]
	v_mul_f64 v[147:148], v[123:124], v[147:148]
	ds_read_b128 v[5:8], v173 offset:1312
	s_waitcnt vmcnt(56)
	v_fma_f64 v[143:144], v[1:2], v[149:150], -v[143:144]
	v_add_f64 v[125:126], v[125:126], v[139:140]
	v_fma_f64 v[139:140], v[3:4], v[149:150], v[205:206]
	v_add_f64 v[127:128], v[129:130], v[127:128]
	s_clause 0x4
	buffer_load_dword v130, off, s[0:3], 0 offset:668
	buffer_load_dword v149, off, s[0:3], 0 offset:680
	;; [unrolled: 1-line block ×5, first 2 shown]
	s_waitcnt vmcnt(57) lgkmcnt(0)
	v_mul_f64 v[205:206], v[5:6], v[151:152]
	v_mul_f64 v[151:152], v[7:8], v[151:152]
	s_waitcnt vmcnt(56)
	v_fma_f64 v[147:148], v[121:122], v[135:136], -v[147:148]
	ds_read_b128 v[1:4], v173 offset:1328
	v_fma_f64 v[135:136], v[123:124], v[135:136], v[141:142]
	v_add_f64 v[125:126], v[125:126], v[143:144]
	v_add_f64 v[127:128], v[127:128], v[139:140]
	s_clause 0x2
	buffer_load_dword v150, off, s[0:3], 0 offset:684
	buffer_load_dword v140, off, s[0:3], 0 offset:660
	;; [unrolled: 1-line block ×3, first 2 shown]
	ds_read_b128 v[121:124], v173 offset:1344
	s_waitcnt vmcnt(58) lgkmcnt(1)
	v_mul_f64 v[143:144], v[3:4], v[155:156]
	s_waitcnt vmcnt(56)
	v_fma_f64 v[151:152], v[5:6], v[157:158], -v[151:152]
	v_mul_f64 v[141:142], v[1:2], v[155:156]
	v_add_f64 v[125:126], v[125:126], v[147:148]
	v_fma_f64 v[147:148], v[7:8], v[157:158], v[205:206]
	v_add_f64 v[127:128], v[127:128], v[135:136]
	s_clause 0x4
	buffer_load_dword v136, off, s[0:3], 0 offset:700
	buffer_load_dword v155, off, s[0:3], 0 offset:712
	;; [unrolled: 1-line block ×5, first 2 shown]
	s_waitcnt vmcnt(57) lgkmcnt(0)
	v_mul_f64 v[205:206], v[121:122], v[159:160]
	v_mul_f64 v[158:159], v[123:124], v[159:160]
	s_waitcnt vmcnt(56)
	v_fma_f64 v[143:144], v[1:2], v[145:146], -v[143:144]
	ds_read_b128 v[5:8], v173 offset:1360
	v_fma_f64 v[141:142], v[3:4], v[145:146], v[141:142]
	s_clause 0x2
	buffer_load_dword v156, off, s[0:3], 0 offset:716
	buffer_load_dword v146, off, s[0:3], 0 offset:692
	;; [unrolled: 1-line block ×3, first 2 shown]
	ds_read_b128 v[1:4], v173 offset:1376
	v_add_f64 v[125:126], v[125:126], v[151:152]
	v_add_f64 v[127:128], v[127:128], v[147:148]
	s_waitcnt vmcnt(58) lgkmcnt(1)
	v_mul_f64 v[151:152], v[7:8], v[163:164]
	s_waitcnt vmcnt(56)
	v_fma_f64 v[159:160], v[121:122], v[165:166], -v[158:159]
	v_mul_f64 v[147:148], v[5:6], v[163:164]
	v_add_f64 v[125:126], v[125:126], v[143:144]
	v_fma_f64 v[143:144], v[123:124], v[165:166], v[205:206]
	v_add_f64 v[127:128], v[127:128], v[141:142]
	s_clause 0x4
	buffer_load_dword v142, off, s[0:3], 0 offset:732
	buffer_load_dword v163, off, s[0:3], 0 offset:744
	;; [unrolled: 1-line block ×5, first 2 shown]
	s_waitcnt vmcnt(57) lgkmcnt(0)
	v_mul_f64 v[205:206], v[1:2], v[167:168]
	v_mul_f64 v[166:167], v[3:4], v[167:168]
	s_waitcnt vmcnt(56)
	v_fma_f64 v[151:152], v[5:6], v[153:154], -v[151:152]
	ds_read_b128 v[121:124], v173 offset:1392
	v_fma_f64 v[147:148], v[7:8], v[153:154], v[147:148]
	v_add_f64 v[125:126], v[125:126], v[159:160]
	v_add_f64 v[127:128], v[127:128], v[143:144]
	s_clause 0x2
	buffer_load_dword v164, off, s[0:3], 0 offset:748
	buffer_load_dword v144, off, s[0:3], 0 offset:724
	;; [unrolled: 1-line block ×3, first 2 shown]
	ds_read_b128 v[5:8], v173 offset:1408
	s_waitcnt vmcnt(58) lgkmcnt(1)
	v_mul_f64 v[159:160], v[123:124], v[169:170]
	s_waitcnt vmcnt(56)
	v_fma_f64 v[167:168], v[1:2], v[171:172], -v[166:167]
	v_mul_f64 v[153:154], v[121:122], v[169:170]
	v_add_f64 v[125:126], v[125:126], v[151:152]
	v_fma_f64 v[151:152], v[3:4], v[171:172], v[205:206]
	v_add_f64 v[127:128], v[127:128], v[147:148]
	s_clause 0x4
	buffer_load_dword v148, off, s[0:3], 0 offset:764
	buffer_load_dword v169, off, s[0:3], 0 offset:776
	;; [unrolled: 1-line block ×5, first 2 shown]
	s_waitcnt vmcnt(57) lgkmcnt(0)
	v_mul_f64 v[205:206], v[5:6], v[190:191]
	v_mul_f64 v[190:191], v[7:8], v[190:191]
	s_waitcnt vmcnt(56)
	v_fma_f64 v[159:160], v[121:122], v[161:162], -v[159:160]
	ds_read_b128 v[1:4], v173 offset:1424
	v_fma_f64 v[153:154], v[123:124], v[161:162], v[153:154]
	v_add_f64 v[125:126], v[125:126], v[167:168]
	v_add_f64 v[127:128], v[127:128], v[151:152]
	s_clause 0x2
	buffer_load_dword v170, off, s[0:3], 0 offset:780
	buffer_load_dword v152, off, s[0:3], 0 offset:756
	;; [unrolled: 1-line block ×3, first 2 shown]
	ds_read_b128 v[121:124], v173 offset:1440
	s_waitcnt vmcnt(58) lgkmcnt(1)
	v_mul_f64 v[167:168], v[3:4], v[192:193]
	s_waitcnt vmcnt(56)
	v_fma_f64 v[190:191], v[5:6], v[197:198], -v[190:191]
	v_mul_f64 v[161:162], v[1:2], v[192:193]
	v_add_f64 v[125:126], v[125:126], v[159:160]
	v_fma_f64 v[159:160], v[7:8], v[197:198], v[205:206]
	v_add_f64 v[127:128], v[127:128], v[153:154]
	s_clause 0x4
	buffer_load_dword v154, off, s[0:3], 0 offset:796
	buffer_load_dword v192, off, s[0:3], 0 offset:808
	;; [unrolled: 1-line block ×5, first 2 shown]
	ds_read_b128 v[5:8], v173 offset:1456
	s_waitcnt vmcnt(57) lgkmcnt(1)
	v_mul_f64 v[197:198], v[121:122], v[184:185]
	v_mul_f64 v[184:185], v[123:124], v[184:185]
	s_waitcnt vmcnt(56)
	v_fma_f64 v[167:168], v[1:2], v[194:195], -v[167:168]
	v_fma_f64 v[161:162], v[3:4], v[194:195], v[161:162]
	v_add_f64 v[125:126], v[125:126], v[190:191]
	v_add_f64 v[127:128], v[127:128], v[159:160]
	s_clause 0x2
	buffer_load_dword v193, off, s[0:3], 0 offset:812
	buffer_load_dword v160, off, s[0:3], 0 offset:788
	;; [unrolled: 1-line block ×3, first 2 shown]
	ds_read_b128 v[1:4], v173 offset:1472
	s_waitcnt vmcnt(58) lgkmcnt(1)
	v_mul_f64 v[194:195], v[7:8], v[201:202]
	v_mul_f64 v[190:191], v[5:6], v[201:202]
	s_waitcnt vmcnt(56)
	v_fma_f64 v[184:185], v[121:122], v[178:179], -v[184:185]
	v_add_f64 v[125:126], v[125:126], v[167:168]
	v_fma_f64 v[167:168], v[123:124], v[178:179], v[197:198]
	v_add_f64 v[127:128], v[127:128], v[161:162]
	s_clause 0x4
	buffer_load_dword v162, off, s[0:3], 0 offset:828
	buffer_load_dword v178, off, s[0:3], 0 offset:840
	;; [unrolled: 1-line block ×5, first 2 shown]
	ds_read_b128 v[121:124], v173 offset:1488
	s_waitcnt vmcnt(57) lgkmcnt(1)
	v_mul_f64 v[205:206], v[1:2], v[137:138]
	v_mul_f64 v[137:138], v[3:4], v[137:138]
	s_waitcnt vmcnt(56)
	v_fma_f64 v[194:195], v[5:6], v[203:204], -v[194:195]
	v_add_f64 v[125:126], v[125:126], v[184:185]
	v_fma_f64 v[184:185], v[7:8], v[203:204], v[190:191]
	v_add_f64 v[127:128], v[127:128], v[167:168]
	s_clause 0x2
	buffer_load_dword v179, off, s[0:3], 0 offset:844
	buffer_load_dword v168, off, s[0:3], 0 offset:820
	;; [unrolled: 1-line block ×3, first 2 shown]
	ds_read_b128 v[5:8], v173 offset:1504
	s_waitcnt vmcnt(58) lgkmcnt(1)
	v_mul_f64 v[190:191], v[121:122], v[186:187]
	v_mul_f64 v[186:187], v[123:124], v[186:187]
	s_waitcnt vmcnt(56)
	v_fma_f64 v[137:138], v[1:2], v[131:132], -v[137:138]
	v_fma_f64 v[131:132], v[3:4], v[131:132], v[205:206]
	v_add_f64 v[125:126], v[125:126], v[194:195]
	v_add_f64 v[127:128], v[127:128], v[184:185]
	s_clause 0x4
	buffer_load_dword v185, off, s[0:3], 0 offset:860
	buffer_load_dword v194, off, s[0:3], 0 offset:872
	;; [unrolled: 1-line block ×5, first 2 shown]
	ds_read_b128 v[1:4], v173 offset:1520
	s_waitcnt vmcnt(57) lgkmcnt(1)
	v_mul_f64 v[203:204], v[5:6], v[174:175]
	v_mul_f64 v[174:175], v[7:8], v[174:175]
	s_waitcnt vmcnt(56)
	v_fma_f64 v[186:187], v[121:122], v[199:200], -v[186:187]
	v_add_f64 v[125:126], v[125:126], v[137:138]
	v_fma_f64 v[137:138], v[123:124], v[199:200], v[190:191]
	v_add_f64 v[127:128], v[127:128], v[131:132]
	s_clause 0x2
	buffer_load_dword v195, off, s[0:3], 0 offset:876
	buffer_load_dword v132, off, s[0:3], 0 offset:852
	;; [unrolled: 1-line block ×3, first 2 shown]
	ds_read_b128 v[121:124], v173 offset:1536
	s_waitcnt vmcnt(58) lgkmcnt(1)
	v_mul_f64 v[190:191], v[1:2], v[176:177]
	v_mul_f64 v[176:177], v[3:4], v[176:177]
	s_waitcnt vmcnt(56)
	v_fma_f64 v[174:175], v[5:6], v[133:134], -v[174:175]
	v_fma_f64 v[133:134], v[7:8], v[133:134], v[203:204]
	v_add_f64 v[125:126], v[125:126], v[186:187]
	v_add_f64 v[127:128], v[127:128], v[137:138]
	s_clause 0x4
	buffer_load_dword v138, off, s[0:3], 0 offset:892
	buffer_load_dword v186, off, s[0:3], 0 offset:904
	;; [unrolled: 1-line block ×5, first 2 shown]
	ds_read_b128 v[5:8], v173 offset:1552
	s_waitcnt vmcnt(57) lgkmcnt(1)
	v_mul_f64 v[204:205], v[121:122], v[129:130]
	v_mul_f64 v[129:130], v[123:124], v[129:130]
	s_waitcnt vmcnt(56)
	v_fma_f64 v[176:177], v[1:2], v[188:189], -v[176:177]
	v_add_f64 v[125:126], v[125:126], v[174:175]
	v_fma_f64 v[174:175], v[3:4], v[188:189], v[190:191]
	v_add_f64 v[127:128], v[127:128], v[133:134]
	s_clause 0x2
	buffer_load_dword v187, off, s[0:3], 0 offset:908
	buffer_load_dword v134, off, s[0:3], 0 offset:884
	;; [unrolled: 1-line block ×3, first 2 shown]
	ds_read_b128 v[1:4], v173 offset:1568
	s_waitcnt vmcnt(58) lgkmcnt(1)
	v_mul_f64 v[188:189], v[5:6], v[149:150]
	v_mul_f64 v[149:150], v[7:8], v[149:150]
	s_waitcnt vmcnt(56)
	v_fma_f64 v[129:130], v[121:122], v[139:140], -v[129:130]
	v_fma_f64 v[139:140], v[123:124], v[139:140], v[204:205]
	buffer_load_dword v204, off, s[0:3], 0 offset:900
	ds_read_b128 v[121:124], v173 offset:1584
	v_add_f64 v[125:126], v[125:126], v[176:177]
	v_add_f64 v[127:128], v[127:128], v[174:175]
	s_waitcnt vmcnt(53) lgkmcnt(1)
	v_mul_f64 v[174:175], v[1:2], v[135:136]
	v_mul_f64 v[135:136], v[3:4], v[135:136]
	s_waitcnt vmcnt(52)
	v_fma_f64 v[149:150], v[5:6], v[182:183], -v[149:150]
	v_add_f64 v[125:126], v[125:126], v[129:130]
	v_fma_f64 v[129:130], v[7:8], v[182:183], v[188:189]
	v_add_f64 v[127:128], v[127:128], v[139:140]
	s_waitcnt vmcnt(51) lgkmcnt(0)
	v_mul_f64 v[139:140], v[121:122], v[155:156]
	v_mul_f64 v[155:156], v[123:124], v[155:156]
	ds_read_b128 v[5:8], v173 offset:1600
	s_waitcnt vmcnt(49)
	v_fma_f64 v[135:136], v[1:2], v[145:146], -v[135:136]
	v_fma_f64 v[145:146], v[3:4], v[145:146], v[174:175]
	v_add_f64 v[125:126], v[125:126], v[149:150]
	v_add_f64 v[127:128], v[127:128], v[129:130]
	s_clause 0x3
	buffer_load_dword v129, off, s[0:3], 0 offset:272
	buffer_load_dword v130, off, s[0:3], 0 offset:276
	;; [unrolled: 1-line block ×4, first 2 shown]
	ds_read_b128 v[1:4], v173 offset:1616
	s_waitcnt vmcnt(49) lgkmcnt(1)
	v_mul_f64 v[174:175], v[5:6], v[141:142]
	v_mul_f64 v[141:142], v[7:8], v[141:142]
	s_waitcnt vmcnt(48)
	v_fma_f64 v[155:156], v[121:122], v[157:158], -v[155:156]
	v_add_f64 v[125:126], v[125:126], v[135:136]
	v_fma_f64 v[135:136], v[123:124], v[157:158], v[139:140]
	v_add_f64 v[127:128], v[127:128], v[145:146]
	ds_read_b128 v[121:124], v173 offset:1632
	s_waitcnt vmcnt(47) lgkmcnt(1)
	v_mul_f64 v[145:146], v[3:4], v[163:164]
	v_mul_f64 v[139:140], v[1:2], v[163:164]
	s_waitcnt vmcnt(45)
	v_fma_f64 v[141:142], v[5:6], v[143:144], -v[141:142]
	v_fma_f64 v[143:144], v[7:8], v[143:144], v[174:175]
	ds_read_b128 v[5:8], v173 offset:1648
	v_add_f64 v[125:126], v[125:126], v[155:156]
	v_add_f64 v[127:128], v[127:128], v[135:136]
	s_waitcnt vmcnt(41) lgkmcnt(1)
	v_mul_f64 v[135:136], v[121:122], v[147:148]
	v_mul_f64 v[147:148], v[123:124], v[147:148]
	s_waitcnt vmcnt(40)
	v_fma_f64 v[145:146], v[1:2], v[165:166], -v[145:146]
	v_fma_f64 v[139:140], v[3:4], v[165:166], v[139:140]
	ds_read_b128 v[1:4], v173 offset:1664
	v_add_f64 v[125:126], v[125:126], v[141:142]
	v_add_f64 v[127:128], v[127:128], v[143:144]
	;; [unrolled: 9-line block ×3, first 2 shown]
	s_waitcnt vmcnt(33) lgkmcnt(1)
	v_mul_f64 v[145:146], v[3:4], v[153:154]
	s_waitcnt vmcnt(32)
	v_fma_f64 v[143:144], v[5:6], v[171:172], -v[143:144]
	v_mul_f64 v[139:140], v[1:2], v[153:154]
	v_fma_f64 v[141:142], v[7:8], v[171:172], v[141:142]
	ds_read_b128 v[5:8], v173 offset:1696
	v_add_f64 v[125:126], v[125:126], v[147:148]
	v_add_f64 v[127:128], v[127:128], v[135:136]
	s_waitcnt vmcnt(31) lgkmcnt(1)
	v_mul_f64 v[147:148], v[123:124], v[192:193]
	v_mul_f64 v[135:136], v[121:122], v[192:193]
	s_waitcnt vmcnt(29)
	v_fma_f64 v[145:146], v[1:2], v[159:160], -v[145:146]
	v_fma_f64 v[139:140], v[3:4], v[159:160], v[139:140]
	ds_read_b128 v[1:4], v173 offset:1712
	v_add_f64 v[125:126], v[125:126], v[143:144]
	v_add_f64 v[127:128], v[127:128], v[141:142]
	s_waitcnt vmcnt(25) lgkmcnt(1)
	v_mul_f64 v[143:144], v[7:8], v[161:162]
	s_waitcnt vmcnt(24)
	v_fma_f64 v[147:148], v[121:122], v[196:197], -v[147:148]
	v_mul_f64 v[141:142], v[5:6], v[161:162]
	v_fma_f64 v[135:136], v[123:124], v[196:197], v[135:136]
	ds_read_b128 v[121:124], v173 offset:1728
	v_add_f64 v[125:126], v[125:126], v[145:146]
	v_add_f64 v[127:128], v[127:128], v[139:140]
	s_waitcnt vmcnt(23) lgkmcnt(1)
	v_mul_f64 v[145:146], v[3:4], v[178:179]
	v_mul_f64 v[139:140], v[1:2], v[178:179]
	s_waitcnt vmcnt(21)
	v_fma_f64 v[143:144], v[5:6], v[167:168], -v[143:144]
	v_fma_f64 v[141:142], v[7:8], v[167:168], v[141:142]
	ds_read_b128 v[5:8], v173 offset:1744
	v_add_f64 v[125:126], v[125:126], v[147:148]
	v_add_f64 v[127:128], v[127:128], v[135:136]
	;; [unrolled: 18-line block ×3, first 2 shown]
	s_waitcnt vmcnt(9) lgkmcnt(1)
	v_mul_f64 v[135:136], v[1:2], v[137:138]
	v_mul_f64 v[137:138], v[3:4], v[137:138]
	s_waitcnt vmcnt(8)
	v_fma_f64 v[5:6], v[5:6], v[198:199], -v[143:144]
	v_fma_f64 v[7:8], v[7:8], v[198:199], v[141:142]
	v_add_f64 v[125:126], v[125:126], v[147:148]
	v_add_f64 v[127:128], v[127:128], v[131:132]
	s_waitcnt vmcnt(7) lgkmcnt(0)
	v_mul_f64 v[139:140], v[123:124], v[186:187]
	v_mul_f64 v[131:132], v[121:122], v[186:187]
	s_waitcnt vmcnt(5)
	v_fma_f64 v[1:2], v[1:2], v[133:134], -v[137:138]
	v_fma_f64 v[3:4], v[3:4], v[133:134], v[135:136]
	v_add_f64 v[5:6], v[125:126], v[5:6]
	v_add_f64 v[7:8], v[127:128], v[7:8]
	s_waitcnt vmcnt(4)
	v_fma_f64 v[121:122], v[121:122], v[203:204], -v[139:140]
	v_add_f64 v[1:2], v[5:6], v[1:2]
	v_fma_f64 v[5:6], v[123:124], v[203:204], v[131:132]
	v_add_f64 v[3:4], v[7:8], v[3:4]
	v_add_f64 v[1:2], v[1:2], v[121:122]
	;; [unrolled: 1-line block ×3, first 2 shown]
	s_waitcnt vmcnt(2)
	v_add_f64 v[1:2], v[129:130], -v[1:2]
	s_waitcnt vmcnt(0)
	v_add_f64 v[3:4], v[149:150], -v[3:4]
	buffer_store_dword v2, off, s[0:3], 0 offset:276
	buffer_store_dword v1, off, s[0:3], 0 offset:272
	;; [unrolled: 1-line block ×4, first 2 shown]
	v_cmpx_lt_u32_e32 15, v0
	s_cbranch_execz .LBB119_319
; %bb.318:
	v_mov_b32_e32 v4, s53
	s_clause 0x3
	buffer_load_dword v1, v4, s[0:3], 0 offen
	buffer_load_dword v2, v4, s[0:3], 0 offen offset:4
	buffer_load_dword v3, v4, s[0:3], 0 offen offset:8
	;; [unrolled: 1-line block ×3, first 2 shown]
	buffer_store_dword v173, off, s[0:3], 0 offset:256
	buffer_store_dword v173, off, s[0:3], 0 offset:260
	;; [unrolled: 1-line block ×4, first 2 shown]
	s_waitcnt vmcnt(0)
	ds_write_b128 v181, v[1:4]
.LBB119_319:
	s_or_b32 exec_lo, exec_lo, s4
	s_waitcnt lgkmcnt(0)
	s_waitcnt_vscnt null, 0x0
	s_barrier
	buffer_gl0_inv
	s_clause 0x37
	buffer_load_dword v121, off, s[0:3], 0 offset:280
	buffer_load_dword v122, off, s[0:3], 0 offset:284
	;; [unrolled: 1-line block ×56, first 2 shown]
	ds_read_b128 v[174:177], v173 offset:1152
	s_clause 0x2
	buffer_load_dword v170, off, s[0:3], 0 offset:508
	buffer_load_dword v172, off, s[0:3], 0 offset:484
	;; [unrolled: 1-line block ×3, first 2 shown]
	ds_read_b128 v[182:185], v173 offset:1168
	s_clause 0x4
	buffer_load_dword v191, off, s[0:3], 0 offset:524
	buffer_load_dword v192, off, s[0:3], 0 offset:536
	;; [unrolled: 1-line block ×5, first 2 shown]
	ds_read_b128 v[186:189], v173 offset:1184
	s_clause 0x2
	buffer_load_dword v193, off, s[0:3], 0 offset:540
	buffer_load_dword v198, off, s[0:3], 0 offset:516
	;; [unrolled: 1-line block ×3, first 2 shown]
	s_mov_b32 s4, exec_lo
	s_waitcnt vmcnt(62) lgkmcnt(2)
	v_mul_f64 v[178:179], v[176:177], v[121:122]
	v_mul_f64 v[121:122], v[174:175], v[121:122]
	s_waitcnt lgkmcnt(1)
	v_mul_f64 v[195:196], v[184:185], v[5:6]
	s_waitcnt vmcnt(59) lgkmcnt(0)
	v_mul_f64 v[199:200], v[188:189], v[3:4]
	v_fma_f64 v[174:175], v[174:175], v[7:8], -v[178:179]
	v_mul_f64 v[178:179], v[182:183], v[5:6]
	v_fma_f64 v[121:122], v[176:177], v[7:8], v[121:122]
	s_waitcnt vmcnt(57)
	v_fma_f64 v[182:183], v[182:183], v[1:2], -v[195:196]
	ds_read_b128 v[5:8], v173 offset:1200
	v_mul_f64 v[176:177], v[186:187], v[3:4]
	s_waitcnt vmcnt(51)
	v_fma_f64 v[186:187], v[186:187], v[137:138], -v[199:200]
	v_add_f64 v[174:175], v[174:175], 0
	v_fma_f64 v[178:179], v[184:185], v[1:2], v[178:179]
	v_add_f64 v[121:122], v[121:122], 0
	s_clause 0x4
	buffer_load_dword v185, off, s[0:3], 0 offset:556
	buffer_load_dword v201, off, s[0:3], 0 offset:568
	;; [unrolled: 1-line block ×5, first 2 shown]
	s_waitcnt lgkmcnt(0)
	v_mul_f64 v[204:205], v[5:6], v[125:126]
	v_mul_f64 v[125:126], v[7:8], v[125:126]
	ds_read_b128 v[1:4], v173 offset:1216
	v_fma_f64 v[137:138], v[188:189], v[137:138], v[176:177]
	v_add_f64 v[182:183], v[174:175], v[182:183]
	v_add_f64 v[121:122], v[121:122], v[178:179]
	s_clause 0x2
	buffer_load_dword v202, off, s[0:3], 0 offset:572
	buffer_load_dword v179, off, s[0:3], 0 offset:548
	;; [unrolled: 1-line block ×3, first 2 shown]
	s_waitcnt vmcnt(58) lgkmcnt(0)
	v_mul_f64 v[188:189], v[1:2], v[129:130]
	v_mul_f64 v[129:130], v[3:4], v[129:130]
	s_waitcnt vmcnt(56)
	v_fma_f64 v[125:126], v[5:6], v[131:132], -v[125:126]
	ds_read_b128 v[174:177], v173 offset:1232
	v_fma_f64 v[131:132], v[7:8], v[131:132], v[204:205]
	v_add_f64 v[182:183], v[182:183], v[186:187]
	v_add_f64 v[121:122], v[121:122], v[137:138]
	s_clause 0x4
	buffer_load_dword v138, off, s[0:3], 0 offset:588
	buffer_load_dword v186, off, s[0:3], 0 offset:600
	buffer_load_dword v199, off, s[0:3], 0 offset:592
	buffer_load_dword v137, off, s[0:3], 0 offset:584
	buffer_load_dword v204, off, s[0:3], 0 offset:564
	ds_read_b128 v[5:8], v173 offset:1248
	s_waitcnt vmcnt(57) lgkmcnt(1)
	v_mul_f64 v[205:206], v[174:175], v[133:134]
	v_mul_f64 v[133:134], v[176:177], v[133:134]
	s_waitcnt vmcnt(56)
	v_fma_f64 v[129:130], v[1:2], v[123:124], -v[129:130]
	v_fma_f64 v[123:124], v[3:4], v[123:124], v[188:189]
	v_add_f64 v[125:126], v[182:183], v[125:126]
	v_add_f64 v[121:122], v[121:122], v[131:132]
	s_clause 0x2
	buffer_load_dword v187, off, s[0:3], 0 offset:604
	buffer_load_dword v132, off, s[0:3], 0 offset:580
	;; [unrolled: 1-line block ×3, first 2 shown]
	s_waitcnt vmcnt(58) lgkmcnt(0)
	v_mul_f64 v[182:183], v[5:6], v[139:140]
	v_mul_f64 v[139:140], v[7:8], v[139:140]
	s_waitcnt vmcnt(56)
	v_fma_f64 v[133:134], v[174:175], v[141:142], -v[133:134]
	ds_read_b128 v[1:4], v173 offset:1264
	v_add_f64 v[125:126], v[125:126], v[129:130]
	v_fma_f64 v[129:130], v[176:177], v[141:142], v[205:206]
	v_add_f64 v[141:142], v[121:122], v[123:124]
	s_clause 0x4
	buffer_load_dword v175, off, s[0:3], 0 offset:620
	buffer_load_dword v176, off, s[0:3], 0 offset:632
	;; [unrolled: 1-line block ×5, first 2 shown]
	ds_read_b128 v[121:124], v173 offset:1280
	s_waitcnt vmcnt(57) lgkmcnt(1)
	v_mul_f64 v[205:206], v[1:2], v[143:144]
	v_mul_f64 v[143:144], v[3:4], v[143:144]
	s_waitcnt vmcnt(56)
	v_fma_f64 v[139:140], v[5:6], v[127:128], -v[139:140]
	v_fma_f64 v[127:128], v[7:8], v[127:128], v[182:183]
	v_add_f64 v[125:126], v[125:126], v[133:134]
	s_clause 0x2
	buffer_load_dword v177, off, s[0:3], 0 offset:636
	buffer_load_dword v134, off, s[0:3], 0 offset:612
	;; [unrolled: 1-line block ×3, first 2 shown]
	v_add_f64 v[129:130], v[141:142], v[129:130]
	s_waitcnt vmcnt(58) lgkmcnt(0)
	v_mul_f64 v[141:142], v[121:122], v[147:148]
	v_mul_f64 v[147:148], v[123:124], v[147:148]
	ds_read_b128 v[5:8], v173 offset:1296
	s_waitcnt vmcnt(56)
	v_fma_f64 v[143:144], v[1:2], v[149:150], -v[143:144]
	v_add_f64 v[125:126], v[125:126], v[139:140]
	v_fma_f64 v[139:140], v[3:4], v[149:150], v[205:206]
	v_add_f64 v[127:128], v[129:130], v[127:128]
	s_clause 0x4
	buffer_load_dword v130, off, s[0:3], 0 offset:652
	buffer_load_dword v149, off, s[0:3], 0 offset:664
	;; [unrolled: 1-line block ×5, first 2 shown]
	s_waitcnt vmcnt(57) lgkmcnt(0)
	v_mul_f64 v[205:206], v[5:6], v[151:152]
	v_mul_f64 v[151:152], v[7:8], v[151:152]
	s_waitcnt vmcnt(56)
	v_fma_f64 v[147:148], v[121:122], v[135:136], -v[147:148]
	ds_read_b128 v[1:4], v173 offset:1312
	v_fma_f64 v[135:136], v[123:124], v[135:136], v[141:142]
	v_add_f64 v[125:126], v[125:126], v[143:144]
	v_add_f64 v[127:128], v[127:128], v[139:140]
	s_clause 0x2
	buffer_load_dword v150, off, s[0:3], 0 offset:668
	buffer_load_dword v140, off, s[0:3], 0 offset:644
	;; [unrolled: 1-line block ×3, first 2 shown]
	ds_read_b128 v[121:124], v173 offset:1328
	s_waitcnt vmcnt(58) lgkmcnt(1)
	v_mul_f64 v[143:144], v[3:4], v[155:156]
	s_waitcnt vmcnt(56)
	v_fma_f64 v[151:152], v[5:6], v[157:158], -v[151:152]
	v_mul_f64 v[141:142], v[1:2], v[155:156]
	v_add_f64 v[125:126], v[125:126], v[147:148]
	v_fma_f64 v[147:148], v[7:8], v[157:158], v[205:206]
	v_add_f64 v[127:128], v[127:128], v[135:136]
	s_clause 0x4
	buffer_load_dword v136, off, s[0:3], 0 offset:684
	buffer_load_dword v155, off, s[0:3], 0 offset:696
	;; [unrolled: 1-line block ×5, first 2 shown]
	s_waitcnt vmcnt(57) lgkmcnt(0)
	v_mul_f64 v[205:206], v[121:122], v[159:160]
	v_mul_f64 v[158:159], v[123:124], v[159:160]
	s_waitcnt vmcnt(56)
	v_fma_f64 v[143:144], v[1:2], v[145:146], -v[143:144]
	ds_read_b128 v[5:8], v173 offset:1344
	v_fma_f64 v[141:142], v[3:4], v[145:146], v[141:142]
	s_clause 0x2
	buffer_load_dword v156, off, s[0:3], 0 offset:700
	buffer_load_dword v146, off, s[0:3], 0 offset:676
	;; [unrolled: 1-line block ×3, first 2 shown]
	ds_read_b128 v[1:4], v173 offset:1360
	v_add_f64 v[125:126], v[125:126], v[151:152]
	v_add_f64 v[127:128], v[127:128], v[147:148]
	s_waitcnt vmcnt(58) lgkmcnt(1)
	v_mul_f64 v[151:152], v[7:8], v[163:164]
	s_waitcnt vmcnt(56)
	v_fma_f64 v[159:160], v[121:122], v[165:166], -v[158:159]
	v_mul_f64 v[147:148], v[5:6], v[163:164]
	v_add_f64 v[125:126], v[125:126], v[143:144]
	v_fma_f64 v[143:144], v[123:124], v[165:166], v[205:206]
	v_add_f64 v[127:128], v[127:128], v[141:142]
	s_clause 0x4
	buffer_load_dword v142, off, s[0:3], 0 offset:716
	buffer_load_dword v163, off, s[0:3], 0 offset:728
	;; [unrolled: 1-line block ×5, first 2 shown]
	s_waitcnt vmcnt(57) lgkmcnt(0)
	v_mul_f64 v[205:206], v[1:2], v[167:168]
	v_mul_f64 v[166:167], v[3:4], v[167:168]
	s_waitcnt vmcnt(56)
	v_fma_f64 v[151:152], v[5:6], v[153:154], -v[151:152]
	ds_read_b128 v[121:124], v173 offset:1376
	v_fma_f64 v[147:148], v[7:8], v[153:154], v[147:148]
	v_add_f64 v[125:126], v[125:126], v[159:160]
	v_add_f64 v[127:128], v[127:128], v[143:144]
	s_clause 0x2
	buffer_load_dword v164, off, s[0:3], 0 offset:732
	buffer_load_dword v144, off, s[0:3], 0 offset:708
	;; [unrolled: 1-line block ×3, first 2 shown]
	ds_read_b128 v[5:8], v173 offset:1392
	s_waitcnt vmcnt(58) lgkmcnt(1)
	v_mul_f64 v[159:160], v[123:124], v[169:170]
	s_waitcnt vmcnt(56)
	v_fma_f64 v[167:168], v[1:2], v[171:172], -v[166:167]
	v_mul_f64 v[153:154], v[121:122], v[169:170]
	v_add_f64 v[125:126], v[125:126], v[151:152]
	v_fma_f64 v[151:152], v[3:4], v[171:172], v[205:206]
	v_add_f64 v[127:128], v[127:128], v[147:148]
	s_clause 0x4
	buffer_load_dword v148, off, s[0:3], 0 offset:748
	buffer_load_dword v169, off, s[0:3], 0 offset:760
	;; [unrolled: 1-line block ×5, first 2 shown]
	s_waitcnt vmcnt(57) lgkmcnt(0)
	v_mul_f64 v[205:206], v[5:6], v[190:191]
	v_mul_f64 v[190:191], v[7:8], v[190:191]
	s_waitcnt vmcnt(56)
	v_fma_f64 v[159:160], v[121:122], v[161:162], -v[159:160]
	ds_read_b128 v[1:4], v173 offset:1408
	v_fma_f64 v[153:154], v[123:124], v[161:162], v[153:154]
	v_add_f64 v[125:126], v[125:126], v[167:168]
	v_add_f64 v[127:128], v[127:128], v[151:152]
	s_clause 0x2
	buffer_load_dword v170, off, s[0:3], 0 offset:764
	buffer_load_dword v152, off, s[0:3], 0 offset:740
	;; [unrolled: 1-line block ×3, first 2 shown]
	ds_read_b128 v[121:124], v173 offset:1424
	s_waitcnt vmcnt(58) lgkmcnt(1)
	v_mul_f64 v[167:168], v[3:4], v[192:193]
	s_waitcnt vmcnt(56)
	v_fma_f64 v[190:191], v[5:6], v[197:198], -v[190:191]
	v_mul_f64 v[161:162], v[1:2], v[192:193]
	v_add_f64 v[125:126], v[125:126], v[159:160]
	v_fma_f64 v[159:160], v[7:8], v[197:198], v[205:206]
	v_add_f64 v[127:128], v[127:128], v[153:154]
	s_clause 0x4
	buffer_load_dword v154, off, s[0:3], 0 offset:780
	buffer_load_dword v192, off, s[0:3], 0 offset:792
	;; [unrolled: 1-line block ×5, first 2 shown]
	ds_read_b128 v[5:8], v173 offset:1440
	s_waitcnt vmcnt(57) lgkmcnt(1)
	v_mul_f64 v[197:198], v[121:122], v[184:185]
	v_mul_f64 v[184:185], v[123:124], v[184:185]
	s_waitcnt vmcnt(56)
	v_fma_f64 v[167:168], v[1:2], v[194:195], -v[167:168]
	v_fma_f64 v[161:162], v[3:4], v[194:195], v[161:162]
	v_add_f64 v[125:126], v[125:126], v[190:191]
	v_add_f64 v[127:128], v[127:128], v[159:160]
	s_clause 0x2
	buffer_load_dword v193, off, s[0:3], 0 offset:796
	buffer_load_dword v160, off, s[0:3], 0 offset:772
	buffer_load_dword v159, off, s[0:3], 0 offset:768
	ds_read_b128 v[1:4], v173 offset:1456
	s_waitcnt vmcnt(58) lgkmcnt(1)
	v_mul_f64 v[194:195], v[7:8], v[201:202]
	v_mul_f64 v[190:191], v[5:6], v[201:202]
	s_waitcnt vmcnt(56)
	v_fma_f64 v[184:185], v[121:122], v[178:179], -v[184:185]
	v_add_f64 v[125:126], v[125:126], v[167:168]
	v_fma_f64 v[167:168], v[123:124], v[178:179], v[197:198]
	v_add_f64 v[127:128], v[127:128], v[161:162]
	s_clause 0x4
	buffer_load_dword v162, off, s[0:3], 0 offset:812
	buffer_load_dword v178, off, s[0:3], 0 offset:824
	buffer_load_dword v201, off, s[0:3], 0 offset:816
	buffer_load_dword v161, off, s[0:3], 0 offset:808
	buffer_load_dword v197, off, s[0:3], 0 offset:788
	ds_read_b128 v[121:124], v173 offset:1472
	s_waitcnt vmcnt(57) lgkmcnt(1)
	v_mul_f64 v[205:206], v[1:2], v[137:138]
	v_mul_f64 v[137:138], v[3:4], v[137:138]
	s_waitcnt vmcnt(56)
	v_fma_f64 v[194:195], v[5:6], v[203:204], -v[194:195]
	v_add_f64 v[125:126], v[125:126], v[184:185]
	v_fma_f64 v[184:185], v[7:8], v[203:204], v[190:191]
	v_add_f64 v[127:128], v[127:128], v[167:168]
	s_clause 0x2
	buffer_load_dword v179, off, s[0:3], 0 offset:828
	buffer_load_dword v168, off, s[0:3], 0 offset:804
	buffer_load_dword v167, off, s[0:3], 0 offset:800
	ds_read_b128 v[5:8], v173 offset:1488
	s_waitcnt vmcnt(58) lgkmcnt(1)
	v_mul_f64 v[190:191], v[121:122], v[186:187]
	v_mul_f64 v[186:187], v[123:124], v[186:187]
	s_waitcnt vmcnt(56)
	v_fma_f64 v[137:138], v[1:2], v[131:132], -v[137:138]
	v_fma_f64 v[131:132], v[3:4], v[131:132], v[205:206]
	v_add_f64 v[125:126], v[125:126], v[194:195]
	v_add_f64 v[127:128], v[127:128], v[184:185]
	s_clause 0x4
	buffer_load_dword v185, off, s[0:3], 0 offset:844
	buffer_load_dword v194, off, s[0:3], 0 offset:856
	buffer_load_dword v198, off, s[0:3], 0 offset:848
	buffer_load_dword v184, off, s[0:3], 0 offset:840
	buffer_load_dword v202, off, s[0:3], 0 offset:820
	ds_read_b128 v[1:4], v173 offset:1504
	s_waitcnt vmcnt(57) lgkmcnt(1)
	v_mul_f64 v[203:204], v[5:6], v[174:175]
	v_mul_f64 v[174:175], v[7:8], v[174:175]
	s_waitcnt vmcnt(56)
	v_fma_f64 v[186:187], v[121:122], v[199:200], -v[186:187]
	v_add_f64 v[125:126], v[125:126], v[137:138]
	v_fma_f64 v[137:138], v[123:124], v[199:200], v[190:191]
	v_add_f64 v[127:128], v[127:128], v[131:132]
	s_clause 0x2
	buffer_load_dword v195, off, s[0:3], 0 offset:860
	buffer_load_dword v132, off, s[0:3], 0 offset:836
	buffer_load_dword v131, off, s[0:3], 0 offset:832
	ds_read_b128 v[121:124], v173 offset:1520
	s_waitcnt vmcnt(58) lgkmcnt(1)
	v_mul_f64 v[190:191], v[1:2], v[176:177]
	v_mul_f64 v[176:177], v[3:4], v[176:177]
	s_waitcnt vmcnt(56)
	v_fma_f64 v[174:175], v[5:6], v[133:134], -v[174:175]
	v_fma_f64 v[133:134], v[7:8], v[133:134], v[203:204]
	v_add_f64 v[125:126], v[125:126], v[186:187]
	;; [unrolled: 28-line block ×3, first 2 shown]
	v_add_f64 v[127:128], v[127:128], v[174:175]
	s_clause 0x2
	buffer_load_dword v175, off, s[0:3], 0 offset:908
	buffer_load_dword v174, off, s[0:3], 0 offset:904
	buffer_load_dword v204, off, s[0:3], 0 offset:884
	ds_read_b128 v[121:124], v173 offset:1568
	s_waitcnt vmcnt(55) lgkmcnt(1)
	v_mul_f64 v[176:177], v[1:2], v[135:136]
	v_mul_f64 v[135:136], v[3:4], v[135:136]
	s_waitcnt vmcnt(54)
	v_fma_f64 v[149:150], v[5:6], v[182:183], -v[149:150]
	v_add_f64 v[125:126], v[125:126], v[129:130]
	v_fma_f64 v[129:130], v[7:8], v[182:183], v[188:189]
	v_add_f64 v[127:128], v[127:128], v[139:140]
	s_clause 0x1
	buffer_load_dword v140, off, s[0:3], 0 offset:900
	buffer_load_dword v139, off, s[0:3], 0 offset:896
	s_waitcnt vmcnt(55) lgkmcnt(0)
	v_mul_f64 v[182:183], v[121:122], v[155:156]
	v_mul_f64 v[155:156], v[123:124], v[155:156]
	ds_read_b128 v[5:8], v173 offset:1584
	s_waitcnt vmcnt(53)
	v_fma_f64 v[135:136], v[1:2], v[145:146], -v[135:136]
	v_fma_f64 v[145:146], v[3:4], v[145:146], v[176:177]
	ds_read_b128 v[1:4], v173 offset:1600
	v_add_f64 v[125:126], v[125:126], v[149:150]
	v_add_f64 v[127:128], v[127:128], v[129:130]
	s_waitcnt vmcnt(49) lgkmcnt(1)
	v_mul_f64 v[129:130], v[5:6], v[141:142]
	v_mul_f64 v[141:142], v[7:8], v[141:142]
	s_waitcnt vmcnt(48)
	v_fma_f64 v[149:150], v[121:122], v[157:158], -v[155:156]
	v_add_f64 v[125:126], v[125:126], v[135:136]
	v_fma_f64 v[135:136], v[123:124], v[157:158], v[182:183]
	v_add_f64 v[127:128], v[127:128], v[145:146]
	s_clause 0x3
	buffer_load_dword v145, off, s[0:3], 0 offset:256
	buffer_load_dword v146, off, s[0:3], 0 offset:260
	;; [unrolled: 1-line block ×4, first 2 shown]
	ds_read_b128 v[121:124], v173 offset:1616
	s_waitcnt vmcnt(51) lgkmcnt(1)
	v_mul_f64 v[157:158], v[1:2], v[163:164]
	v_mul_f64 v[163:164], v[3:4], v[163:164]
	s_waitcnt vmcnt(49)
	v_fma_f64 v[141:142], v[5:6], v[143:144], -v[141:142]
	v_fma_f64 v[129:130], v[7:8], v[143:144], v[129:130]
	ds_read_b128 v[5:8], v173 offset:1632
	v_add_f64 v[125:126], v[125:126], v[149:150]
	v_add_f64 v[127:128], v[127:128], v[135:136]
	s_waitcnt vmcnt(45) lgkmcnt(1)
	v_mul_f64 v[135:136], v[121:122], v[147:148]
	v_mul_f64 v[143:144], v[123:124], v[147:148]
	s_waitcnt vmcnt(44)
	v_fma_f64 v[147:148], v[1:2], v[165:166], -v[163:164]
	v_add_f64 v[125:126], v[125:126], v[141:142]
	v_fma_f64 v[141:142], v[3:4], v[165:166], v[157:158]
	v_add_f64 v[127:128], v[127:128], v[129:130]
	ds_read_b128 v[1:4], v173 offset:1648
	s_waitcnt vmcnt(43) lgkmcnt(1)
	v_mul_f64 v[149:150], v[7:8], v[169:170]
	v_mul_f64 v[129:130], v[5:6], v[169:170]
	s_waitcnt vmcnt(41)
	v_fma_f64 v[143:144], v[121:122], v[151:152], -v[143:144]
	v_fma_f64 v[135:136], v[123:124], v[151:152], v[135:136]
	ds_read_b128 v[121:124], v173 offset:1664
	v_add_f64 v[125:126], v[125:126], v[147:148]
	v_add_f64 v[127:128], v[127:128], v[141:142]
	s_waitcnt vmcnt(37) lgkmcnt(1)
	v_mul_f64 v[147:148], v[3:4], v[153:154]
	s_waitcnt vmcnt(36)
	v_fma_f64 v[149:150], v[5:6], v[171:172], -v[149:150]
	v_mul_f64 v[141:142], v[1:2], v[153:154]
	v_fma_f64 v[129:130], v[7:8], v[171:172], v[129:130]
	ds_read_b128 v[5:8], v173 offset:1680
	v_add_f64 v[125:126], v[125:126], v[143:144]
	v_add_f64 v[127:128], v[127:128], v[135:136]
	s_waitcnt vmcnt(35) lgkmcnt(1)
	v_mul_f64 v[143:144], v[123:124], v[192:193]
	v_mul_f64 v[135:136], v[121:122], v[192:193]
	s_waitcnt vmcnt(33)
	v_fma_f64 v[147:148], v[1:2], v[159:160], -v[147:148]
	v_fma_f64 v[141:142], v[3:4], v[159:160], v[141:142]
	ds_read_b128 v[1:4], v173 offset:1696
	v_add_f64 v[125:126], v[125:126], v[149:150]
	v_add_f64 v[127:128], v[127:128], v[129:130]
	s_waitcnt vmcnt(29) lgkmcnt(1)
	v_mul_f64 v[149:150], v[7:8], v[161:162]
	s_waitcnt vmcnt(28)
	v_fma_f64 v[143:144], v[121:122], v[196:197], -v[143:144]
	v_mul_f64 v[129:130], v[5:6], v[161:162]
	v_fma_f64 v[135:136], v[123:124], v[196:197], v[135:136]
	ds_read_b128 v[121:124], v173 offset:1712
	v_add_f64 v[125:126], v[125:126], v[147:148]
	v_add_f64 v[127:128], v[127:128], v[141:142]
	;; [unrolled: 18-line block ×3, first 2 shown]
	s_waitcnt vmcnt(19) lgkmcnt(1)
	v_mul_f64 v[149:150], v[7:8], v[194:195]
	v_mul_f64 v[129:130], v[5:6], v[194:195]
	s_waitcnt vmcnt(17)
	v_fma_f64 v[143:144], v[121:122], v[131:132], -v[143:144]
	v_fma_f64 v[131:132], v[123:124], v[131:132], v[135:136]
	ds_read_b128 v[121:124], v173 offset:1760
	v_add_f64 v[125:126], v[125:126], v[147:148]
	v_add_f64 v[127:128], v[127:128], v[141:142]
	s_waitcnt vmcnt(13) lgkmcnt(1)
	v_mul_f64 v[135:136], v[1:2], v[137:138]
	v_mul_f64 v[137:138], v[3:4], v[137:138]
	s_waitcnt vmcnt(12)
	v_fma_f64 v[141:142], v[5:6], v[198:199], -v[149:150]
	v_fma_f64 v[129:130], v[7:8], v[198:199], v[129:130]
	ds_read_b128 v[5:8], v173 offset:1776
	v_add_f64 v[125:126], v[125:126], v[143:144]
	v_add_f64 v[127:128], v[127:128], v[131:132]
	s_waitcnt vmcnt(11) lgkmcnt(1)
	v_mul_f64 v[143:144], v[123:124], v[186:187]
	v_mul_f64 v[131:132], v[121:122], v[186:187]
	s_waitcnt vmcnt(9)
	v_fma_f64 v[1:2], v[1:2], v[133:134], -v[137:138]
	v_fma_f64 v[3:4], v[3:4], v[133:134], v[135:136]
	v_add_f64 v[125:126], v[125:126], v[141:142]
	v_add_f64 v[127:128], v[127:128], v[129:130]
	s_waitcnt vmcnt(7) lgkmcnt(0)
	v_mul_f64 v[133:134], v[7:8], v[174:175]
	s_waitcnt vmcnt(6)
	v_fma_f64 v[121:122], v[121:122], v[203:204], -v[143:144]
	v_mul_f64 v[129:130], v[5:6], v[174:175]
	v_fma_f64 v[123:124], v[123:124], v[203:204], v[131:132]
	v_add_f64 v[1:2], v[125:126], v[1:2]
	v_add_f64 v[3:4], v[127:128], v[3:4]
	s_waitcnt vmcnt(4)
	v_fma_f64 v[5:6], v[5:6], v[139:140], -v[133:134]
	v_fma_f64 v[7:8], v[7:8], v[139:140], v[129:130]
	v_add_f64 v[1:2], v[1:2], v[121:122]
	v_add_f64 v[3:4], v[3:4], v[123:124]
	;; [unrolled: 1-line block ×4, first 2 shown]
	s_waitcnt vmcnt(2)
	v_add_f64 v[1:2], v[145:146], -v[1:2]
	s_waitcnt vmcnt(0)
	v_add_f64 v[3:4], v[155:156], -v[3:4]
	buffer_store_dword v2, off, s[0:3], 0 offset:260
	buffer_store_dword v1, off, s[0:3], 0 offset:256
	;; [unrolled: 1-line block ×4, first 2 shown]
	v_cmpx_lt_u32_e32 14, v0
	s_cbranch_execz .LBB119_321
; %bb.320:
	v_mov_b32_e32 v4, s54
	v_mov_b32_e32 v5, 0
	s_clause 0x3
	buffer_load_dword v1, v4, s[0:3], 0 offen
	buffer_load_dword v2, v4, s[0:3], 0 offen offset:4
	buffer_load_dword v3, v4, s[0:3], 0 offen offset:8
	;; [unrolled: 1-line block ×3, first 2 shown]
	buffer_store_dword v5, off, s[0:3], 0 offset:240
	buffer_store_dword v5, off, s[0:3], 0 offset:244
	;; [unrolled: 1-line block ×4, first 2 shown]
	s_waitcnt vmcnt(0)
	ds_write_b128 v181, v[1:4]
.LBB119_321:
	s_or_b32 exec_lo, exec_lo, s4
	s_waitcnt lgkmcnt(0)
	s_waitcnt_vscnt null, 0x0
	s_barrier
	buffer_gl0_inv
	s_clause 0x37
	buffer_load_dword v121, off, s[0:3], 0 offset:264
	buffer_load_dword v122, off, s[0:3], 0 offset:268
	;; [unrolled: 1-line block ×56, first 2 shown]
	v_mov_b32_e32 v173, 0
	s_mov_b32 s4, exec_lo
	ds_read_b128 v[174:177], v173 offset:1136
	s_clause 0x2
	buffer_load_dword v170, off, s[0:3], 0 offset:492
	buffer_load_dword v172, off, s[0:3], 0 offset:468
	;; [unrolled: 1-line block ×3, first 2 shown]
	ds_read_b128 v[182:185], v173 offset:1152
	s_clause 0x4
	buffer_load_dword v191, off, s[0:3], 0 offset:508
	buffer_load_dword v192, off, s[0:3], 0 offset:520
	;; [unrolled: 1-line block ×5, first 2 shown]
	ds_read_b128 v[186:189], v173 offset:1168
	s_clause 0x2
	buffer_load_dword v193, off, s[0:3], 0 offset:524
	buffer_load_dword v198, off, s[0:3], 0 offset:500
	buffer_load_dword v197, off, s[0:3], 0 offset:496
	s_waitcnt vmcnt(62) lgkmcnt(2)
	v_mul_f64 v[178:179], v[176:177], v[121:122]
	v_mul_f64 v[121:122], v[174:175], v[121:122]
	s_waitcnt lgkmcnt(1)
	v_mul_f64 v[195:196], v[184:185], v[5:6]
	s_waitcnt vmcnt(59) lgkmcnt(0)
	v_mul_f64 v[199:200], v[188:189], v[3:4]
	v_fma_f64 v[174:175], v[174:175], v[7:8], -v[178:179]
	v_mul_f64 v[178:179], v[182:183], v[5:6]
	v_fma_f64 v[121:122], v[176:177], v[7:8], v[121:122]
	s_waitcnt vmcnt(57)
	v_fma_f64 v[182:183], v[182:183], v[1:2], -v[195:196]
	ds_read_b128 v[5:8], v173 offset:1184
	v_mul_f64 v[176:177], v[186:187], v[3:4]
	s_waitcnt vmcnt(51)
	v_fma_f64 v[186:187], v[186:187], v[137:138], -v[199:200]
	v_add_f64 v[174:175], v[174:175], 0
	v_fma_f64 v[178:179], v[184:185], v[1:2], v[178:179]
	v_add_f64 v[121:122], v[121:122], 0
	s_clause 0x4
	buffer_load_dword v185, off, s[0:3], 0 offset:540
	buffer_load_dword v201, off, s[0:3], 0 offset:552
	;; [unrolled: 1-line block ×5, first 2 shown]
	s_waitcnt lgkmcnt(0)
	v_mul_f64 v[204:205], v[5:6], v[125:126]
	v_mul_f64 v[125:126], v[7:8], v[125:126]
	ds_read_b128 v[1:4], v173 offset:1200
	v_fma_f64 v[137:138], v[188:189], v[137:138], v[176:177]
	v_add_f64 v[182:183], v[174:175], v[182:183]
	v_add_f64 v[121:122], v[121:122], v[178:179]
	s_clause 0x2
	buffer_load_dword v202, off, s[0:3], 0 offset:556
	buffer_load_dword v179, off, s[0:3], 0 offset:532
	;; [unrolled: 1-line block ×3, first 2 shown]
	s_waitcnt vmcnt(58) lgkmcnt(0)
	v_mul_f64 v[188:189], v[1:2], v[129:130]
	v_mul_f64 v[129:130], v[3:4], v[129:130]
	s_waitcnt vmcnt(56)
	v_fma_f64 v[125:126], v[5:6], v[131:132], -v[125:126]
	ds_read_b128 v[174:177], v173 offset:1216
	v_fma_f64 v[131:132], v[7:8], v[131:132], v[204:205]
	v_add_f64 v[182:183], v[182:183], v[186:187]
	v_add_f64 v[121:122], v[121:122], v[137:138]
	s_clause 0x4
	buffer_load_dword v138, off, s[0:3], 0 offset:572
	buffer_load_dword v186, off, s[0:3], 0 offset:584
	buffer_load_dword v199, off, s[0:3], 0 offset:576
	buffer_load_dword v137, off, s[0:3], 0 offset:568
	buffer_load_dword v204, off, s[0:3], 0 offset:548
	ds_read_b128 v[5:8], v173 offset:1232
	s_waitcnt vmcnt(57) lgkmcnt(1)
	v_mul_f64 v[205:206], v[174:175], v[133:134]
	v_mul_f64 v[133:134], v[176:177], v[133:134]
	s_waitcnt vmcnt(56)
	v_fma_f64 v[129:130], v[1:2], v[123:124], -v[129:130]
	v_fma_f64 v[123:124], v[3:4], v[123:124], v[188:189]
	v_add_f64 v[125:126], v[182:183], v[125:126]
	v_add_f64 v[121:122], v[121:122], v[131:132]
	s_clause 0x2
	buffer_load_dword v187, off, s[0:3], 0 offset:588
	buffer_load_dword v132, off, s[0:3], 0 offset:564
	;; [unrolled: 1-line block ×3, first 2 shown]
	s_waitcnt vmcnt(58) lgkmcnt(0)
	v_mul_f64 v[182:183], v[5:6], v[139:140]
	v_mul_f64 v[139:140], v[7:8], v[139:140]
	s_waitcnt vmcnt(56)
	v_fma_f64 v[133:134], v[174:175], v[141:142], -v[133:134]
	ds_read_b128 v[1:4], v173 offset:1248
	v_add_f64 v[125:126], v[125:126], v[129:130]
	v_fma_f64 v[129:130], v[176:177], v[141:142], v[205:206]
	v_add_f64 v[141:142], v[121:122], v[123:124]
	s_clause 0x4
	buffer_load_dword v175, off, s[0:3], 0 offset:604
	buffer_load_dword v176, off, s[0:3], 0 offset:616
	;; [unrolled: 1-line block ×5, first 2 shown]
	ds_read_b128 v[121:124], v173 offset:1264
	s_waitcnt vmcnt(57) lgkmcnt(1)
	v_mul_f64 v[205:206], v[1:2], v[143:144]
	v_mul_f64 v[143:144], v[3:4], v[143:144]
	s_waitcnt vmcnt(56)
	v_fma_f64 v[139:140], v[5:6], v[127:128], -v[139:140]
	v_fma_f64 v[127:128], v[7:8], v[127:128], v[182:183]
	v_add_f64 v[125:126], v[125:126], v[133:134]
	s_clause 0x2
	buffer_load_dword v177, off, s[0:3], 0 offset:620
	buffer_load_dword v134, off, s[0:3], 0 offset:596
	;; [unrolled: 1-line block ×3, first 2 shown]
	v_add_f64 v[129:130], v[141:142], v[129:130]
	s_waitcnt vmcnt(58) lgkmcnt(0)
	v_mul_f64 v[141:142], v[121:122], v[147:148]
	v_mul_f64 v[147:148], v[123:124], v[147:148]
	ds_read_b128 v[5:8], v173 offset:1280
	s_waitcnt vmcnt(56)
	v_fma_f64 v[143:144], v[1:2], v[149:150], -v[143:144]
	v_add_f64 v[125:126], v[125:126], v[139:140]
	v_fma_f64 v[139:140], v[3:4], v[149:150], v[205:206]
	v_add_f64 v[127:128], v[129:130], v[127:128]
	s_clause 0x4
	buffer_load_dword v130, off, s[0:3], 0 offset:636
	buffer_load_dword v149, off, s[0:3], 0 offset:648
	buffer_load_dword v182, off, s[0:3], 0 offset:640
	buffer_load_dword v129, off, s[0:3], 0 offset:632
	buffer_load_dword v189, off, s[0:3], 0 offset:612
	s_waitcnt vmcnt(57) lgkmcnt(0)
	v_mul_f64 v[205:206], v[5:6], v[151:152]
	v_mul_f64 v[151:152], v[7:8], v[151:152]
	s_waitcnt vmcnt(56)
	v_fma_f64 v[147:148], v[121:122], v[135:136], -v[147:148]
	ds_read_b128 v[1:4], v173 offset:1296
	v_fma_f64 v[135:136], v[123:124], v[135:136], v[141:142]
	v_add_f64 v[125:126], v[125:126], v[143:144]
	v_add_f64 v[127:128], v[127:128], v[139:140]
	s_clause 0x2
	buffer_load_dword v150, off, s[0:3], 0 offset:652
	buffer_load_dword v140, off, s[0:3], 0 offset:628
	;; [unrolled: 1-line block ×3, first 2 shown]
	ds_read_b128 v[121:124], v173 offset:1312
	s_waitcnt vmcnt(58) lgkmcnt(1)
	v_mul_f64 v[143:144], v[3:4], v[155:156]
	s_waitcnt vmcnt(56)
	v_fma_f64 v[151:152], v[5:6], v[157:158], -v[151:152]
	v_mul_f64 v[141:142], v[1:2], v[155:156]
	v_add_f64 v[125:126], v[125:126], v[147:148]
	v_fma_f64 v[147:148], v[7:8], v[157:158], v[205:206]
	v_add_f64 v[127:128], v[127:128], v[135:136]
	s_clause 0x4
	buffer_load_dword v136, off, s[0:3], 0 offset:668
	buffer_load_dword v155, off, s[0:3], 0 offset:680
	;; [unrolled: 1-line block ×5, first 2 shown]
	s_waitcnt vmcnt(57) lgkmcnt(0)
	v_mul_f64 v[205:206], v[121:122], v[159:160]
	v_mul_f64 v[158:159], v[123:124], v[159:160]
	s_waitcnt vmcnt(56)
	v_fma_f64 v[143:144], v[1:2], v[145:146], -v[143:144]
	ds_read_b128 v[5:8], v173 offset:1328
	v_fma_f64 v[141:142], v[3:4], v[145:146], v[141:142]
	s_clause 0x2
	buffer_load_dword v156, off, s[0:3], 0 offset:684
	buffer_load_dword v146, off, s[0:3], 0 offset:660
	;; [unrolled: 1-line block ×3, first 2 shown]
	ds_read_b128 v[1:4], v173 offset:1344
	v_add_f64 v[125:126], v[125:126], v[151:152]
	v_add_f64 v[127:128], v[127:128], v[147:148]
	s_waitcnt vmcnt(58) lgkmcnt(1)
	v_mul_f64 v[151:152], v[7:8], v[163:164]
	s_waitcnt vmcnt(56)
	v_fma_f64 v[159:160], v[121:122], v[165:166], -v[158:159]
	v_mul_f64 v[147:148], v[5:6], v[163:164]
	v_add_f64 v[125:126], v[125:126], v[143:144]
	v_fma_f64 v[143:144], v[123:124], v[165:166], v[205:206]
	v_add_f64 v[127:128], v[127:128], v[141:142]
	s_clause 0x4
	buffer_load_dword v142, off, s[0:3], 0 offset:700
	buffer_load_dword v163, off, s[0:3], 0 offset:712
	;; [unrolled: 1-line block ×5, first 2 shown]
	s_waitcnt vmcnt(57) lgkmcnt(0)
	v_mul_f64 v[205:206], v[1:2], v[167:168]
	v_mul_f64 v[166:167], v[3:4], v[167:168]
	s_waitcnt vmcnt(56)
	v_fma_f64 v[151:152], v[5:6], v[153:154], -v[151:152]
	ds_read_b128 v[121:124], v173 offset:1360
	v_fma_f64 v[147:148], v[7:8], v[153:154], v[147:148]
	v_add_f64 v[125:126], v[125:126], v[159:160]
	v_add_f64 v[127:128], v[127:128], v[143:144]
	s_clause 0x2
	buffer_load_dword v164, off, s[0:3], 0 offset:716
	buffer_load_dword v144, off, s[0:3], 0 offset:692
	;; [unrolled: 1-line block ×3, first 2 shown]
	ds_read_b128 v[5:8], v173 offset:1376
	s_waitcnt vmcnt(58) lgkmcnt(1)
	v_mul_f64 v[159:160], v[123:124], v[169:170]
	s_waitcnt vmcnt(56)
	v_fma_f64 v[167:168], v[1:2], v[171:172], -v[166:167]
	v_mul_f64 v[153:154], v[121:122], v[169:170]
	v_add_f64 v[125:126], v[125:126], v[151:152]
	v_fma_f64 v[151:152], v[3:4], v[171:172], v[205:206]
	v_add_f64 v[127:128], v[127:128], v[147:148]
	s_clause 0x4
	buffer_load_dword v148, off, s[0:3], 0 offset:732
	buffer_load_dword v169, off, s[0:3], 0 offset:744
	;; [unrolled: 1-line block ×5, first 2 shown]
	s_waitcnt vmcnt(57) lgkmcnt(0)
	v_mul_f64 v[205:206], v[5:6], v[190:191]
	v_mul_f64 v[190:191], v[7:8], v[190:191]
	s_waitcnt vmcnt(56)
	v_fma_f64 v[159:160], v[121:122], v[161:162], -v[159:160]
	ds_read_b128 v[1:4], v173 offset:1392
	v_fma_f64 v[153:154], v[123:124], v[161:162], v[153:154]
	v_add_f64 v[125:126], v[125:126], v[167:168]
	v_add_f64 v[127:128], v[127:128], v[151:152]
	s_clause 0x2
	buffer_load_dword v170, off, s[0:3], 0 offset:748
	buffer_load_dword v152, off, s[0:3], 0 offset:724
	;; [unrolled: 1-line block ×3, first 2 shown]
	ds_read_b128 v[121:124], v173 offset:1408
	s_waitcnt vmcnt(58) lgkmcnt(1)
	v_mul_f64 v[167:168], v[3:4], v[192:193]
	s_waitcnt vmcnt(56)
	v_fma_f64 v[190:191], v[5:6], v[197:198], -v[190:191]
	v_mul_f64 v[161:162], v[1:2], v[192:193]
	v_add_f64 v[125:126], v[125:126], v[159:160]
	v_fma_f64 v[159:160], v[7:8], v[197:198], v[205:206]
	v_add_f64 v[127:128], v[127:128], v[153:154]
	s_clause 0x4
	buffer_load_dword v154, off, s[0:3], 0 offset:764
	buffer_load_dword v192, off, s[0:3], 0 offset:776
	buffer_load_dword v196, off, s[0:3], 0 offset:768
	buffer_load_dword v153, off, s[0:3], 0 offset:760
	buffer_load_dword v172, off, s[0:3], 0 offset:740
	ds_read_b128 v[5:8], v173 offset:1424
	s_waitcnt vmcnt(57) lgkmcnt(1)
	v_mul_f64 v[197:198], v[121:122], v[184:185]
	v_mul_f64 v[184:185], v[123:124], v[184:185]
	s_waitcnt vmcnt(56)
	v_fma_f64 v[167:168], v[1:2], v[194:195], -v[167:168]
	v_fma_f64 v[161:162], v[3:4], v[194:195], v[161:162]
	v_add_f64 v[125:126], v[125:126], v[190:191]
	v_add_f64 v[127:128], v[127:128], v[159:160]
	s_clause 0x2
	buffer_load_dword v193, off, s[0:3], 0 offset:780
	buffer_load_dword v160, off, s[0:3], 0 offset:756
	;; [unrolled: 1-line block ×3, first 2 shown]
	ds_read_b128 v[1:4], v173 offset:1440
	s_waitcnt vmcnt(58) lgkmcnt(1)
	v_mul_f64 v[194:195], v[7:8], v[201:202]
	v_mul_f64 v[190:191], v[5:6], v[201:202]
	s_waitcnt vmcnt(56)
	v_fma_f64 v[184:185], v[121:122], v[178:179], -v[184:185]
	v_add_f64 v[125:126], v[125:126], v[167:168]
	v_fma_f64 v[167:168], v[123:124], v[178:179], v[197:198]
	v_add_f64 v[127:128], v[127:128], v[161:162]
	s_clause 0x4
	buffer_load_dword v162, off, s[0:3], 0 offset:796
	buffer_load_dword v178, off, s[0:3], 0 offset:808
	buffer_load_dword v201, off, s[0:3], 0 offset:800
	buffer_load_dword v161, off, s[0:3], 0 offset:792
	buffer_load_dword v197, off, s[0:3], 0 offset:772
	ds_read_b128 v[121:124], v173 offset:1456
	s_waitcnt vmcnt(57) lgkmcnt(1)
	v_mul_f64 v[205:206], v[1:2], v[137:138]
	v_mul_f64 v[137:138], v[3:4], v[137:138]
	s_waitcnt vmcnt(56)
	v_fma_f64 v[194:195], v[5:6], v[203:204], -v[194:195]
	v_add_f64 v[125:126], v[125:126], v[184:185]
	v_fma_f64 v[184:185], v[7:8], v[203:204], v[190:191]
	v_add_f64 v[127:128], v[127:128], v[167:168]
	s_clause 0x2
	buffer_load_dword v179, off, s[0:3], 0 offset:812
	buffer_load_dword v168, off, s[0:3], 0 offset:788
	buffer_load_dword v167, off, s[0:3], 0 offset:784
	ds_read_b128 v[5:8], v173 offset:1472
	s_waitcnt vmcnt(58) lgkmcnt(1)
	v_mul_f64 v[190:191], v[121:122], v[186:187]
	v_mul_f64 v[186:187], v[123:124], v[186:187]
	s_waitcnt vmcnt(56)
	v_fma_f64 v[137:138], v[1:2], v[131:132], -v[137:138]
	v_fma_f64 v[131:132], v[3:4], v[131:132], v[205:206]
	v_add_f64 v[125:126], v[125:126], v[194:195]
	v_add_f64 v[127:128], v[127:128], v[184:185]
	s_clause 0x4
	buffer_load_dword v185, off, s[0:3], 0 offset:828
	buffer_load_dword v194, off, s[0:3], 0 offset:840
	buffer_load_dword v198, off, s[0:3], 0 offset:832
	buffer_load_dword v184, off, s[0:3], 0 offset:824
	buffer_load_dword v202, off, s[0:3], 0 offset:804
	ds_read_b128 v[1:4], v173 offset:1488
	s_waitcnt vmcnt(57) lgkmcnt(1)
	v_mul_f64 v[203:204], v[5:6], v[174:175]
	v_mul_f64 v[174:175], v[7:8], v[174:175]
	s_waitcnt vmcnt(56)
	v_fma_f64 v[186:187], v[121:122], v[199:200], -v[186:187]
	v_add_f64 v[125:126], v[125:126], v[137:138]
	v_fma_f64 v[137:138], v[123:124], v[199:200], v[190:191]
	v_add_f64 v[127:128], v[127:128], v[131:132]
	s_clause 0x2
	buffer_load_dword v195, off, s[0:3], 0 offset:844
	buffer_load_dword v132, off, s[0:3], 0 offset:820
	buffer_load_dword v131, off, s[0:3], 0 offset:816
	ds_read_b128 v[121:124], v173 offset:1504
	s_waitcnt vmcnt(58) lgkmcnt(1)
	v_mul_f64 v[190:191], v[1:2], v[176:177]
	v_mul_f64 v[176:177], v[3:4], v[176:177]
	s_waitcnt vmcnt(56)
	v_fma_f64 v[174:175], v[5:6], v[133:134], -v[174:175]
	v_fma_f64 v[133:134], v[7:8], v[133:134], v[203:204]
	v_add_f64 v[125:126], v[125:126], v[186:187]
	v_add_f64 v[127:128], v[127:128], v[137:138]
	s_clause 0x4
	buffer_load_dword v138, off, s[0:3], 0 offset:860
	buffer_load_dword v186, off, s[0:3], 0 offset:872
	buffer_load_dword v203, off, s[0:3], 0 offset:864
	buffer_load_dword v137, off, s[0:3], 0 offset:856
	buffer_load_dword v199, off, s[0:3], 0 offset:836
	ds_read_b128 v[5:8], v173 offset:1520
	s_waitcnt vmcnt(57) lgkmcnt(1)
	v_mul_f64 v[204:205], v[121:122], v[129:130]
	v_mul_f64 v[129:130], v[123:124], v[129:130]
	s_waitcnt vmcnt(56)
	v_fma_f64 v[176:177], v[1:2], v[188:189], -v[176:177]
	v_add_f64 v[125:126], v[125:126], v[174:175]
	v_fma_f64 v[174:175], v[3:4], v[188:189], v[190:191]
	v_add_f64 v[127:128], v[127:128], v[133:134]
	s_clause 0x2
	buffer_load_dword v187, off, s[0:3], 0 offset:876
	buffer_load_dword v134, off, s[0:3], 0 offset:852
	buffer_load_dword v133, off, s[0:3], 0 offset:848
	ds_read_b128 v[1:4], v173 offset:1536
	s_waitcnt vmcnt(58) lgkmcnt(1)
	v_mul_f64 v[188:189], v[5:6], v[149:150]
	v_mul_f64 v[149:150], v[7:8], v[149:150]
	s_waitcnt vmcnt(56)
	v_fma_f64 v[129:130], v[121:122], v[139:140], -v[129:130]
	v_fma_f64 v[139:140], v[123:124], v[139:140], v[204:205]
	v_add_f64 v[125:126], v[125:126], v[176:177]
	v_add_f64 v[127:128], v[127:128], v[174:175]
	s_clause 0x4
	buffer_load_dword v175, off, s[0:3], 0 offset:892
	buffer_load_dword v176, off, s[0:3], 0 offset:904
	;; [unrolled: 1-line block ×5, first 2 shown]
	ds_read_b128 v[121:124], v173 offset:1552
	s_waitcnt vmcnt(57) lgkmcnt(1)
	v_mul_f64 v[205:206], v[1:2], v[135:136]
	v_mul_f64 v[135:136], v[3:4], v[135:136]
	s_waitcnt vmcnt(56)
	v_fma_f64 v[149:150], v[5:6], v[182:183], -v[149:150]
	v_add_f64 v[125:126], v[125:126], v[129:130]
	v_fma_f64 v[129:130], v[7:8], v[182:183], v[188:189]
	v_add_f64 v[127:128], v[127:128], v[139:140]
	s_clause 0x2
	buffer_load_dword v177, off, s[0:3], 0 offset:908
	buffer_load_dword v140, off, s[0:3], 0 offset:884
	;; [unrolled: 1-line block ×3, first 2 shown]
	s_waitcnt vmcnt(58) lgkmcnt(0)
	v_mul_f64 v[182:183], v[121:122], v[155:156]
	v_mul_f64 v[155:156], v[123:124], v[155:156]
	ds_read_b128 v[5:8], v173 offset:1568
	buffer_load_dword v191, off, s[0:3], 0 offset:900
	s_waitcnt vmcnt(57)
	v_fma_f64 v[135:136], v[1:2], v[145:146], -v[135:136]
	v_fma_f64 v[145:146], v[3:4], v[145:146], v[205:206]
	ds_read_b128 v[1:4], v173 offset:1584
	v_add_f64 v[125:126], v[125:126], v[149:150]
	v_add_f64 v[127:128], v[127:128], v[129:130]
	s_waitcnt vmcnt(53) lgkmcnt(1)
	v_mul_f64 v[129:130], v[5:6], v[141:142]
	v_mul_f64 v[141:142], v[7:8], v[141:142]
	s_waitcnt vmcnt(52)
	v_fma_f64 v[149:150], v[121:122], v[157:158], -v[155:156]
	v_add_f64 v[125:126], v[125:126], v[135:136]
	v_fma_f64 v[135:136], v[123:124], v[157:158], v[182:183]
	v_add_f64 v[127:128], v[127:128], v[145:146]
	ds_read_b128 v[121:124], v173 offset:1600
	s_waitcnt vmcnt(51) lgkmcnt(1)
	v_mul_f64 v[155:156], v[3:4], v[163:164]
	v_mul_f64 v[145:146], v[1:2], v[163:164]
	s_waitcnt vmcnt(49)
	v_fma_f64 v[141:142], v[5:6], v[143:144], -v[141:142]
	v_fma_f64 v[129:130], v[7:8], v[143:144], v[129:130]
	v_add_f64 v[125:126], v[125:126], v[149:150]
	v_add_f64 v[127:128], v[127:128], v[135:136]
	s_clause 0x3
	buffer_load_dword v135, off, s[0:3], 0 offset:240
	buffer_load_dword v136, off, s[0:3], 0 offset:244
	;; [unrolled: 1-line block ×4, first 2 shown]
	ds_read_b128 v[5:8], v173 offset:1616
	s_waitcnt vmcnt(49) lgkmcnt(1)
	v_mul_f64 v[149:150], v[121:122], v[147:148]
	v_mul_f64 v[147:148], v[123:124], v[147:148]
	s_waitcnt vmcnt(48)
	v_fma_f64 v[155:156], v[1:2], v[165:166], -v[155:156]
	v_add_f64 v[125:126], v[125:126], v[141:142]
	v_fma_f64 v[141:142], v[3:4], v[165:166], v[145:146]
	v_add_f64 v[127:128], v[127:128], v[129:130]
	ds_read_b128 v[1:4], v173 offset:1632
	s_waitcnt vmcnt(47) lgkmcnt(1)
	v_mul_f64 v[145:146], v[7:8], v[169:170]
	v_mul_f64 v[129:130], v[5:6], v[169:170]
	s_waitcnt vmcnt(45)
	v_fma_f64 v[147:148], v[121:122], v[151:152], -v[147:148]
	v_fma_f64 v[149:150], v[123:124], v[151:152], v[149:150]
	ds_read_b128 v[121:124], v173 offset:1648
	v_add_f64 v[125:126], v[125:126], v[155:156]
	v_add_f64 v[127:128], v[127:128], v[141:142]
	s_waitcnt vmcnt(41) lgkmcnt(1)
	v_mul_f64 v[151:152], v[3:4], v[153:154]
	s_waitcnt vmcnt(40)
	v_fma_f64 v[145:146], v[5:6], v[171:172], -v[145:146]
	v_mul_f64 v[141:142], v[1:2], v[153:154]
	v_fma_f64 v[129:130], v[7:8], v[171:172], v[129:130]
	ds_read_b128 v[5:8], v173 offset:1664
	v_add_f64 v[125:126], v[125:126], v[147:148]
	v_add_f64 v[127:128], v[127:128], v[149:150]
	s_waitcnt vmcnt(39) lgkmcnt(1)
	v_mul_f64 v[149:150], v[123:124], v[192:193]
	v_mul_f64 v[147:148], v[121:122], v[192:193]
	s_waitcnt vmcnt(37)
	v_fma_f64 v[151:152], v[1:2], v[159:160], -v[151:152]
	v_fma_f64 v[141:142], v[3:4], v[159:160], v[141:142]
	ds_read_b128 v[1:4], v173 offset:1680
	v_add_f64 v[125:126], v[125:126], v[145:146]
	v_add_f64 v[127:128], v[127:128], v[129:130]
	s_waitcnt vmcnt(33) lgkmcnt(1)
	v_mul_f64 v[145:146], v[7:8], v[161:162]
	s_waitcnt vmcnt(32)
	v_fma_f64 v[149:150], v[121:122], v[196:197], -v[149:150]
	v_mul_f64 v[129:130], v[5:6], v[161:162]
	v_fma_f64 v[147:148], v[123:124], v[196:197], v[147:148]
	ds_read_b128 v[121:124], v173 offset:1696
	v_add_f64 v[125:126], v[125:126], v[151:152]
	v_add_f64 v[127:128], v[127:128], v[141:142]
	;; [unrolled: 18-line block ×3, first 2 shown]
	s_waitcnt vmcnt(23) lgkmcnt(1)
	v_mul_f64 v[145:146], v[7:8], v[194:195]
	v_mul_f64 v[129:130], v[5:6], v[194:195]
	s_waitcnt vmcnt(21)
	v_fma_f64 v[149:150], v[121:122], v[131:132], -v[149:150]
	v_fma_f64 v[131:132], v[123:124], v[131:132], v[147:148]
	ds_read_b128 v[121:124], v173 offset:1744
	v_add_f64 v[125:126], v[125:126], v[151:152]
	v_add_f64 v[127:128], v[127:128], v[141:142]
	s_waitcnt vmcnt(17) lgkmcnt(1)
	v_mul_f64 v[141:142], v[1:2], v[137:138]
	v_mul_f64 v[137:138], v[3:4], v[137:138]
	s_waitcnt vmcnt(16)
	v_fma_f64 v[145:146], v[5:6], v[198:199], -v[145:146]
	v_fma_f64 v[129:130], v[7:8], v[198:199], v[129:130]
	ds_read_b128 v[5:8], v173 offset:1760
	v_add_f64 v[125:126], v[125:126], v[149:150]
	v_add_f64 v[127:128], v[127:128], v[131:132]
	;; [unrolled: 9-line block ×3, first 2 shown]
	s_waitcnt vmcnt(9) lgkmcnt(1)
	v_mul_f64 v[141:142], v[7:8], v[174:175]
	s_waitcnt vmcnt(8)
	v_fma_f64 v[121:122], v[121:122], v[203:204], -v[147:148]
	v_mul_f64 v[129:130], v[5:6], v[174:175]
	v_fma_f64 v[123:124], v[123:124], v[203:204], v[131:132]
	v_add_f64 v[125:126], v[125:126], v[137:138]
	v_add_f64 v[127:128], v[127:128], v[133:134]
	s_waitcnt vmcnt(7) lgkmcnt(0)
	v_mul_f64 v[133:134], v[3:4], v[176:177]
	v_mul_f64 v[131:132], v[1:2], v[176:177]
	s_waitcnt vmcnt(5)
	v_fma_f64 v[5:6], v[5:6], v[139:140], -v[141:142]
	v_fma_f64 v[7:8], v[7:8], v[139:140], v[129:130]
	v_add_f64 v[121:122], v[125:126], v[121:122]
	v_add_f64 v[123:124], v[127:128], v[123:124]
	s_waitcnt vmcnt(4)
	v_fma_f64 v[1:2], v[1:2], v[190:191], -v[133:134]
	v_fma_f64 v[3:4], v[3:4], v[190:191], v[131:132]
	v_add_f64 v[5:6], v[121:122], v[5:6]
	v_add_f64 v[7:8], v[123:124], v[7:8]
	;; [unrolled: 1-line block ×4, first 2 shown]
	s_waitcnt vmcnt(2)
	v_add_f64 v[1:2], v[135:136], -v[1:2]
	s_waitcnt vmcnt(0)
	v_add_f64 v[3:4], v[143:144], -v[3:4]
	buffer_store_dword v2, off, s[0:3], 0 offset:244
	buffer_store_dword v1, off, s[0:3], 0 offset:240
	;; [unrolled: 1-line block ×4, first 2 shown]
	v_cmpx_lt_u32_e32 13, v0
	s_cbranch_execz .LBB119_323
; %bb.322:
	v_mov_b32_e32 v4, s55
	s_clause 0x3
	buffer_load_dword v1, v4, s[0:3], 0 offen
	buffer_load_dword v2, v4, s[0:3], 0 offen offset:4
	buffer_load_dword v3, v4, s[0:3], 0 offen offset:8
	;; [unrolled: 1-line block ×3, first 2 shown]
	buffer_store_dword v173, off, s[0:3], 0 offset:224
	buffer_store_dword v173, off, s[0:3], 0 offset:228
	;; [unrolled: 1-line block ×4, first 2 shown]
	s_waitcnt vmcnt(0)
	ds_write_b128 v181, v[1:4]
.LBB119_323:
	s_or_b32 exec_lo, exec_lo, s4
	s_waitcnt lgkmcnt(0)
	s_waitcnt_vscnt null, 0x0
	s_barrier
	buffer_gl0_inv
	s_clause 0x37
	buffer_load_dword v121, off, s[0:3], 0 offset:248
	buffer_load_dword v122, off, s[0:3], 0 offset:252
	;; [unrolled: 1-line block ×56, first 2 shown]
	ds_read_b128 v[174:177], v173 offset:1120
	s_clause 0x2
	buffer_load_dword v170, off, s[0:3], 0 offset:476
	buffer_load_dword v172, off, s[0:3], 0 offset:452
	;; [unrolled: 1-line block ×3, first 2 shown]
	ds_read_b128 v[182:185], v173 offset:1136
	s_clause 0x4
	buffer_load_dword v191, off, s[0:3], 0 offset:492
	buffer_load_dword v192, off, s[0:3], 0 offset:504
	buffer_load_dword v194, off, s[0:3], 0 offset:496
	buffer_load_dword v190, off, s[0:3], 0 offset:488
	buffer_load_dword v162, off, s[0:3], 0 offset:468
	ds_read_b128 v[186:189], v173 offset:1152
	s_clause 0x2
	buffer_load_dword v193, off, s[0:3], 0 offset:508
	buffer_load_dword v198, off, s[0:3], 0 offset:484
	;; [unrolled: 1-line block ×3, first 2 shown]
	s_mov_b32 s4, exec_lo
	s_waitcnt vmcnt(62) lgkmcnt(2)
	v_mul_f64 v[178:179], v[176:177], v[121:122]
	v_mul_f64 v[121:122], v[174:175], v[121:122]
	s_waitcnt lgkmcnt(1)
	v_mul_f64 v[195:196], v[184:185], v[5:6]
	s_waitcnt vmcnt(59) lgkmcnt(0)
	v_mul_f64 v[199:200], v[188:189], v[3:4]
	v_fma_f64 v[174:175], v[174:175], v[7:8], -v[178:179]
	v_mul_f64 v[178:179], v[182:183], v[5:6]
	v_fma_f64 v[121:122], v[176:177], v[7:8], v[121:122]
	s_waitcnt vmcnt(57)
	v_fma_f64 v[182:183], v[182:183], v[1:2], -v[195:196]
	ds_read_b128 v[5:8], v173 offset:1168
	v_mul_f64 v[176:177], v[186:187], v[3:4]
	s_waitcnt vmcnt(51)
	v_fma_f64 v[186:187], v[186:187], v[137:138], -v[199:200]
	v_add_f64 v[174:175], v[174:175], 0
	v_fma_f64 v[178:179], v[184:185], v[1:2], v[178:179]
	v_add_f64 v[121:122], v[121:122], 0
	s_clause 0x4
	buffer_load_dword v185, off, s[0:3], 0 offset:524
	buffer_load_dword v201, off, s[0:3], 0 offset:536
	;; [unrolled: 1-line block ×5, first 2 shown]
	s_waitcnt lgkmcnt(0)
	v_mul_f64 v[204:205], v[5:6], v[125:126]
	v_mul_f64 v[125:126], v[7:8], v[125:126]
	ds_read_b128 v[1:4], v173 offset:1184
	v_fma_f64 v[137:138], v[188:189], v[137:138], v[176:177]
	v_add_f64 v[182:183], v[174:175], v[182:183]
	v_add_f64 v[121:122], v[121:122], v[178:179]
	s_clause 0x2
	buffer_load_dword v202, off, s[0:3], 0 offset:540
	buffer_load_dword v179, off, s[0:3], 0 offset:516
	;; [unrolled: 1-line block ×3, first 2 shown]
	s_waitcnt vmcnt(58) lgkmcnt(0)
	v_mul_f64 v[188:189], v[1:2], v[129:130]
	v_mul_f64 v[129:130], v[3:4], v[129:130]
	s_waitcnt vmcnt(56)
	v_fma_f64 v[125:126], v[5:6], v[131:132], -v[125:126]
	ds_read_b128 v[174:177], v173 offset:1200
	v_fma_f64 v[131:132], v[7:8], v[131:132], v[204:205]
	v_add_f64 v[182:183], v[182:183], v[186:187]
	v_add_f64 v[121:122], v[121:122], v[137:138]
	s_clause 0x4
	buffer_load_dword v138, off, s[0:3], 0 offset:556
	buffer_load_dword v186, off, s[0:3], 0 offset:568
	;; [unrolled: 1-line block ×5, first 2 shown]
	ds_read_b128 v[5:8], v173 offset:1216
	s_waitcnt vmcnt(57) lgkmcnt(1)
	v_mul_f64 v[205:206], v[174:175], v[133:134]
	v_mul_f64 v[133:134], v[176:177], v[133:134]
	s_waitcnt vmcnt(56)
	v_fma_f64 v[129:130], v[1:2], v[123:124], -v[129:130]
	v_fma_f64 v[123:124], v[3:4], v[123:124], v[188:189]
	v_add_f64 v[125:126], v[182:183], v[125:126]
	v_add_f64 v[121:122], v[121:122], v[131:132]
	s_clause 0x2
	buffer_load_dword v187, off, s[0:3], 0 offset:572
	buffer_load_dword v132, off, s[0:3], 0 offset:548
	;; [unrolled: 1-line block ×3, first 2 shown]
	s_waitcnt vmcnt(58) lgkmcnt(0)
	v_mul_f64 v[182:183], v[5:6], v[139:140]
	v_mul_f64 v[139:140], v[7:8], v[139:140]
	s_waitcnt vmcnt(56)
	v_fma_f64 v[133:134], v[174:175], v[141:142], -v[133:134]
	ds_read_b128 v[1:4], v173 offset:1232
	v_add_f64 v[125:126], v[125:126], v[129:130]
	v_fma_f64 v[129:130], v[176:177], v[141:142], v[205:206]
	v_add_f64 v[141:142], v[121:122], v[123:124]
	s_clause 0x4
	buffer_load_dword v175, off, s[0:3], 0 offset:588
	buffer_load_dword v176, off, s[0:3], 0 offset:600
	;; [unrolled: 1-line block ×5, first 2 shown]
	ds_read_b128 v[121:124], v173 offset:1248
	s_waitcnt vmcnt(57) lgkmcnt(1)
	v_mul_f64 v[205:206], v[1:2], v[143:144]
	v_mul_f64 v[143:144], v[3:4], v[143:144]
	s_waitcnt vmcnt(56)
	v_fma_f64 v[139:140], v[5:6], v[127:128], -v[139:140]
	v_fma_f64 v[127:128], v[7:8], v[127:128], v[182:183]
	v_add_f64 v[125:126], v[125:126], v[133:134]
	s_clause 0x2
	buffer_load_dword v177, off, s[0:3], 0 offset:604
	buffer_load_dword v134, off, s[0:3], 0 offset:580
	;; [unrolled: 1-line block ×3, first 2 shown]
	v_add_f64 v[129:130], v[141:142], v[129:130]
	s_waitcnt vmcnt(58) lgkmcnt(0)
	v_mul_f64 v[141:142], v[121:122], v[147:148]
	v_mul_f64 v[147:148], v[123:124], v[147:148]
	ds_read_b128 v[5:8], v173 offset:1264
	s_waitcnt vmcnt(56)
	v_fma_f64 v[143:144], v[1:2], v[149:150], -v[143:144]
	v_add_f64 v[125:126], v[125:126], v[139:140]
	v_fma_f64 v[139:140], v[3:4], v[149:150], v[205:206]
	v_add_f64 v[127:128], v[129:130], v[127:128]
	s_clause 0x4
	buffer_load_dword v130, off, s[0:3], 0 offset:620
	buffer_load_dword v149, off, s[0:3], 0 offset:632
	;; [unrolled: 1-line block ×5, first 2 shown]
	s_waitcnt vmcnt(57) lgkmcnt(0)
	v_mul_f64 v[205:206], v[5:6], v[151:152]
	v_mul_f64 v[151:152], v[7:8], v[151:152]
	s_waitcnt vmcnt(56)
	v_fma_f64 v[147:148], v[121:122], v[135:136], -v[147:148]
	ds_read_b128 v[1:4], v173 offset:1280
	v_fma_f64 v[135:136], v[123:124], v[135:136], v[141:142]
	v_add_f64 v[125:126], v[125:126], v[143:144]
	v_add_f64 v[127:128], v[127:128], v[139:140]
	s_clause 0x2
	buffer_load_dword v150, off, s[0:3], 0 offset:636
	buffer_load_dword v140, off, s[0:3], 0 offset:612
	;; [unrolled: 1-line block ×3, first 2 shown]
	ds_read_b128 v[121:124], v173 offset:1296
	s_waitcnt vmcnt(58) lgkmcnt(1)
	v_mul_f64 v[143:144], v[3:4], v[155:156]
	s_waitcnt vmcnt(56)
	v_fma_f64 v[151:152], v[5:6], v[157:158], -v[151:152]
	v_mul_f64 v[141:142], v[1:2], v[155:156]
	v_add_f64 v[125:126], v[125:126], v[147:148]
	v_fma_f64 v[147:148], v[7:8], v[157:158], v[205:206]
	v_add_f64 v[127:128], v[127:128], v[135:136]
	s_clause 0x4
	buffer_load_dword v136, off, s[0:3], 0 offset:652
	buffer_load_dword v155, off, s[0:3], 0 offset:664
	;; [unrolled: 1-line block ×5, first 2 shown]
	s_waitcnt vmcnt(57) lgkmcnt(0)
	v_mul_f64 v[205:206], v[121:122], v[159:160]
	v_mul_f64 v[158:159], v[123:124], v[159:160]
	s_waitcnt vmcnt(56)
	v_fma_f64 v[143:144], v[1:2], v[145:146], -v[143:144]
	ds_read_b128 v[5:8], v173 offset:1312
	v_fma_f64 v[141:142], v[3:4], v[145:146], v[141:142]
	s_clause 0x2
	buffer_load_dword v156, off, s[0:3], 0 offset:668
	buffer_load_dword v146, off, s[0:3], 0 offset:644
	;; [unrolled: 1-line block ×3, first 2 shown]
	ds_read_b128 v[1:4], v173 offset:1328
	v_add_f64 v[125:126], v[125:126], v[151:152]
	v_add_f64 v[127:128], v[127:128], v[147:148]
	s_waitcnt vmcnt(58) lgkmcnt(1)
	v_mul_f64 v[151:152], v[7:8], v[163:164]
	s_waitcnt vmcnt(56)
	v_fma_f64 v[159:160], v[121:122], v[165:166], -v[158:159]
	v_mul_f64 v[147:148], v[5:6], v[163:164]
	v_add_f64 v[125:126], v[125:126], v[143:144]
	v_fma_f64 v[143:144], v[123:124], v[165:166], v[205:206]
	v_add_f64 v[127:128], v[127:128], v[141:142]
	s_clause 0x4
	buffer_load_dword v142, off, s[0:3], 0 offset:684
	buffer_load_dword v163, off, s[0:3], 0 offset:696
	;; [unrolled: 1-line block ×5, first 2 shown]
	s_waitcnt vmcnt(57) lgkmcnt(0)
	v_mul_f64 v[205:206], v[1:2], v[167:168]
	v_mul_f64 v[166:167], v[3:4], v[167:168]
	s_waitcnt vmcnt(56)
	v_fma_f64 v[151:152], v[5:6], v[153:154], -v[151:152]
	ds_read_b128 v[121:124], v173 offset:1344
	v_fma_f64 v[147:148], v[7:8], v[153:154], v[147:148]
	v_add_f64 v[125:126], v[125:126], v[159:160]
	v_add_f64 v[127:128], v[127:128], v[143:144]
	s_clause 0x2
	buffer_load_dword v164, off, s[0:3], 0 offset:700
	buffer_load_dword v144, off, s[0:3], 0 offset:676
	buffer_load_dword v143, off, s[0:3], 0 offset:672
	ds_read_b128 v[5:8], v173 offset:1360
	s_waitcnt vmcnt(58) lgkmcnt(1)
	v_mul_f64 v[159:160], v[123:124], v[169:170]
	s_waitcnt vmcnt(56)
	v_fma_f64 v[167:168], v[1:2], v[171:172], -v[166:167]
	v_mul_f64 v[153:154], v[121:122], v[169:170]
	v_add_f64 v[125:126], v[125:126], v[151:152]
	v_fma_f64 v[151:152], v[3:4], v[171:172], v[205:206]
	v_add_f64 v[127:128], v[127:128], v[147:148]
	s_clause 0x4
	buffer_load_dword v148, off, s[0:3], 0 offset:716
	buffer_load_dword v169, off, s[0:3], 0 offset:728
	;; [unrolled: 1-line block ×5, first 2 shown]
	s_waitcnt vmcnt(57) lgkmcnt(0)
	v_mul_f64 v[205:206], v[5:6], v[190:191]
	v_mul_f64 v[190:191], v[7:8], v[190:191]
	s_waitcnt vmcnt(56)
	v_fma_f64 v[159:160], v[121:122], v[161:162], -v[159:160]
	ds_read_b128 v[1:4], v173 offset:1376
	v_fma_f64 v[153:154], v[123:124], v[161:162], v[153:154]
	v_add_f64 v[125:126], v[125:126], v[167:168]
	v_add_f64 v[127:128], v[127:128], v[151:152]
	s_clause 0x2
	buffer_load_dword v170, off, s[0:3], 0 offset:732
	buffer_load_dword v152, off, s[0:3], 0 offset:708
	;; [unrolled: 1-line block ×3, first 2 shown]
	ds_read_b128 v[121:124], v173 offset:1392
	s_waitcnt vmcnt(58) lgkmcnt(1)
	v_mul_f64 v[167:168], v[3:4], v[192:193]
	s_waitcnt vmcnt(56)
	v_fma_f64 v[190:191], v[5:6], v[197:198], -v[190:191]
	v_mul_f64 v[161:162], v[1:2], v[192:193]
	v_add_f64 v[125:126], v[125:126], v[159:160]
	v_fma_f64 v[159:160], v[7:8], v[197:198], v[205:206]
	v_add_f64 v[127:128], v[127:128], v[153:154]
	s_clause 0x4
	buffer_load_dword v154, off, s[0:3], 0 offset:748
	buffer_load_dword v192, off, s[0:3], 0 offset:760
	;; [unrolled: 1-line block ×5, first 2 shown]
	ds_read_b128 v[5:8], v173 offset:1408
	s_waitcnt vmcnt(57) lgkmcnt(1)
	v_mul_f64 v[197:198], v[121:122], v[184:185]
	v_mul_f64 v[184:185], v[123:124], v[184:185]
	s_waitcnt vmcnt(56)
	v_fma_f64 v[167:168], v[1:2], v[194:195], -v[167:168]
	v_fma_f64 v[161:162], v[3:4], v[194:195], v[161:162]
	v_add_f64 v[125:126], v[125:126], v[190:191]
	v_add_f64 v[127:128], v[127:128], v[159:160]
	s_clause 0x2
	buffer_load_dword v193, off, s[0:3], 0 offset:764
	buffer_load_dword v160, off, s[0:3], 0 offset:740
	;; [unrolled: 1-line block ×3, first 2 shown]
	ds_read_b128 v[1:4], v173 offset:1424
	s_waitcnt vmcnt(58) lgkmcnt(1)
	v_mul_f64 v[194:195], v[7:8], v[201:202]
	v_mul_f64 v[190:191], v[5:6], v[201:202]
	s_waitcnt vmcnt(56)
	v_fma_f64 v[184:185], v[121:122], v[178:179], -v[184:185]
	v_add_f64 v[125:126], v[125:126], v[167:168]
	v_fma_f64 v[167:168], v[123:124], v[178:179], v[197:198]
	v_add_f64 v[127:128], v[127:128], v[161:162]
	s_clause 0x4
	buffer_load_dword v162, off, s[0:3], 0 offset:780
	buffer_load_dword v178, off, s[0:3], 0 offset:792
	buffer_load_dword v201, off, s[0:3], 0 offset:784
	buffer_load_dword v161, off, s[0:3], 0 offset:776
	buffer_load_dword v197, off, s[0:3], 0 offset:756
	ds_read_b128 v[121:124], v173 offset:1440
	s_waitcnt vmcnt(57) lgkmcnt(1)
	v_mul_f64 v[205:206], v[1:2], v[137:138]
	v_mul_f64 v[137:138], v[3:4], v[137:138]
	s_waitcnt vmcnt(56)
	v_fma_f64 v[194:195], v[5:6], v[203:204], -v[194:195]
	v_add_f64 v[125:126], v[125:126], v[184:185]
	v_fma_f64 v[184:185], v[7:8], v[203:204], v[190:191]
	v_add_f64 v[127:128], v[127:128], v[167:168]
	s_clause 0x2
	buffer_load_dword v179, off, s[0:3], 0 offset:796
	buffer_load_dword v168, off, s[0:3], 0 offset:772
	buffer_load_dword v167, off, s[0:3], 0 offset:768
	ds_read_b128 v[5:8], v173 offset:1456
	s_waitcnt vmcnt(58) lgkmcnt(1)
	v_mul_f64 v[190:191], v[121:122], v[186:187]
	v_mul_f64 v[186:187], v[123:124], v[186:187]
	s_waitcnt vmcnt(56)
	v_fma_f64 v[137:138], v[1:2], v[131:132], -v[137:138]
	v_fma_f64 v[131:132], v[3:4], v[131:132], v[205:206]
	v_add_f64 v[125:126], v[125:126], v[194:195]
	v_add_f64 v[127:128], v[127:128], v[184:185]
	s_clause 0x4
	buffer_load_dword v185, off, s[0:3], 0 offset:812
	buffer_load_dword v194, off, s[0:3], 0 offset:824
	buffer_load_dword v198, off, s[0:3], 0 offset:816
	buffer_load_dword v184, off, s[0:3], 0 offset:808
	buffer_load_dword v202, off, s[0:3], 0 offset:788
	ds_read_b128 v[1:4], v173 offset:1472
	s_waitcnt vmcnt(57) lgkmcnt(1)
	v_mul_f64 v[203:204], v[5:6], v[174:175]
	v_mul_f64 v[174:175], v[7:8], v[174:175]
	s_waitcnt vmcnt(56)
	v_fma_f64 v[186:187], v[121:122], v[199:200], -v[186:187]
	v_add_f64 v[125:126], v[125:126], v[137:138]
	v_fma_f64 v[137:138], v[123:124], v[199:200], v[190:191]
	v_add_f64 v[127:128], v[127:128], v[131:132]
	s_clause 0x2
	buffer_load_dword v195, off, s[0:3], 0 offset:828
	buffer_load_dword v132, off, s[0:3], 0 offset:804
	buffer_load_dword v131, off, s[0:3], 0 offset:800
	ds_read_b128 v[121:124], v173 offset:1488
	s_waitcnt vmcnt(58) lgkmcnt(1)
	v_mul_f64 v[190:191], v[1:2], v[176:177]
	v_mul_f64 v[176:177], v[3:4], v[176:177]
	s_waitcnt vmcnt(56)
	v_fma_f64 v[174:175], v[5:6], v[133:134], -v[174:175]
	v_fma_f64 v[133:134], v[7:8], v[133:134], v[203:204]
	v_add_f64 v[125:126], v[125:126], v[186:187]
	;; [unrolled: 28-line block ×3, first 2 shown]
	v_add_f64 v[127:128], v[127:128], v[174:175]
	s_clause 0x4
	buffer_load_dword v175, off, s[0:3], 0 offset:876
	buffer_load_dword v176, off, s[0:3], 0 offset:888
	;; [unrolled: 1-line block ×5, first 2 shown]
	ds_read_b128 v[121:124], v173 offset:1536
	s_waitcnt vmcnt(57) lgkmcnt(1)
	v_mul_f64 v[205:206], v[1:2], v[135:136]
	v_mul_f64 v[135:136], v[3:4], v[135:136]
	s_waitcnt vmcnt(56)
	v_fma_f64 v[149:150], v[5:6], v[182:183], -v[149:150]
	v_add_f64 v[125:126], v[125:126], v[129:130]
	v_fma_f64 v[129:130], v[7:8], v[182:183], v[188:189]
	v_add_f64 v[127:128], v[127:128], v[139:140]
	s_clause 0x2
	buffer_load_dword v177, off, s[0:3], 0 offset:892
	buffer_load_dword v140, off, s[0:3], 0 offset:868
	;; [unrolled: 1-line block ×3, first 2 shown]
	s_waitcnt vmcnt(58) lgkmcnt(0)
	v_mul_f64 v[182:183], v[121:122], v[155:156]
	v_mul_f64 v[155:156], v[123:124], v[155:156]
	ds_read_b128 v[5:8], v173 offset:1552
	s_waitcnt vmcnt(56)
	v_fma_f64 v[135:136], v[1:2], v[145:146], -v[135:136]
	v_fma_f64 v[145:146], v[3:4], v[145:146], v[205:206]
	v_add_f64 v[125:126], v[125:126], v[149:150]
	v_add_f64 v[127:128], v[127:128], v[129:130]
	s_clause 0x2
	buffer_load_dword v130, off, s[0:3], 0 offset:908
	buffer_load_dword v129, off, s[0:3], 0 offset:904
	buffer_load_dword v191, off, s[0:3], 0 offset:884
	ds_read_b128 v[1:4], v173 offset:1568
	s_waitcnt vmcnt(55) lgkmcnt(1)
	v_mul_f64 v[149:150], v[5:6], v[141:142]
	v_mul_f64 v[141:142], v[7:8], v[141:142]
	s_waitcnt vmcnt(54)
	v_fma_f64 v[155:156], v[121:122], v[157:158], -v[155:156]
	v_add_f64 v[125:126], v[125:126], v[135:136]
	v_fma_f64 v[135:136], v[123:124], v[157:158], v[182:183]
	v_add_f64 v[127:128], v[127:128], v[145:146]
	s_clause 0x1
	buffer_load_dword v146, off, s[0:3], 0 offset:900
	buffer_load_dword v145, off, s[0:3], 0 offset:896
	ds_read_b128 v[121:124], v173 offset:1584
	s_waitcnt vmcnt(55) lgkmcnt(1)
	v_mul_f64 v[157:158], v[1:2], v[163:164]
	v_mul_f64 v[163:164], v[3:4], v[163:164]
	s_waitcnt vmcnt(53)
	v_fma_f64 v[141:142], v[5:6], v[143:144], -v[141:142]
	v_fma_f64 v[143:144], v[7:8], v[143:144], v[149:150]
	ds_read_b128 v[5:8], v173 offset:1600
	v_add_f64 v[125:126], v[125:126], v[155:156]
	v_add_f64 v[127:128], v[127:128], v[135:136]
	s_waitcnt vmcnt(49) lgkmcnt(1)
	v_mul_f64 v[135:136], v[121:122], v[147:148]
	v_mul_f64 v[147:148], v[123:124], v[147:148]
	s_waitcnt vmcnt(48)
	v_fma_f64 v[149:150], v[1:2], v[165:166], -v[163:164]
	v_add_f64 v[125:126], v[125:126], v[141:142]
	v_fma_f64 v[141:142], v[3:4], v[165:166], v[157:158]
	v_add_f64 v[127:128], v[127:128], v[143:144]
	s_clause 0x3
	buffer_load_dword v143, off, s[0:3], 0 offset:224
	buffer_load_dword v144, off, s[0:3], 0 offset:228
	;; [unrolled: 1-line block ×4, first 2 shown]
	ds_read_b128 v[1:4], v173 offset:1616
	s_waitcnt vmcnt(51) lgkmcnt(1)
	v_mul_f64 v[163:164], v[7:8], v[169:170]
	v_mul_f64 v[157:158], v[5:6], v[169:170]
	s_waitcnt vmcnt(49)
	v_fma_f64 v[147:148], v[121:122], v[151:152], -v[147:148]
	v_fma_f64 v[135:136], v[123:124], v[151:152], v[135:136]
	ds_read_b128 v[121:124], v173 offset:1632
	v_add_f64 v[125:126], v[125:126], v[149:150]
	v_add_f64 v[127:128], v[127:128], v[141:142]
	s_waitcnt vmcnt(45) lgkmcnt(1)
	v_mul_f64 v[149:150], v[3:4], v[153:154]
	s_waitcnt vmcnt(44)
	v_fma_f64 v[151:152], v[5:6], v[171:172], -v[163:164]
	v_mul_f64 v[141:142], v[1:2], v[153:154]
	v_add_f64 v[125:126], v[125:126], v[147:148]
	v_fma_f64 v[147:148], v[7:8], v[171:172], v[157:158]
	v_add_f64 v[127:128], v[127:128], v[135:136]
	ds_read_b128 v[5:8], v173 offset:1648
	s_waitcnt vmcnt(43) lgkmcnt(1)
	v_mul_f64 v[153:154], v[123:124], v[192:193]
	v_mul_f64 v[135:136], v[121:122], v[192:193]
	s_waitcnt vmcnt(41)
	v_fma_f64 v[149:150], v[1:2], v[159:160], -v[149:150]
	v_fma_f64 v[141:142], v[3:4], v[159:160], v[141:142]
	ds_read_b128 v[1:4], v173 offset:1664
	v_add_f64 v[125:126], v[125:126], v[151:152]
	v_add_f64 v[127:128], v[127:128], v[147:148]
	s_waitcnt vmcnt(37) lgkmcnt(1)
	v_mul_f64 v[151:152], v[7:8], v[161:162]
	s_waitcnt vmcnt(36)
	v_fma_f64 v[153:154], v[121:122], v[196:197], -v[153:154]
	v_mul_f64 v[147:148], v[5:6], v[161:162]
	v_fma_f64 v[135:136], v[123:124], v[196:197], v[135:136]
	ds_read_b128 v[121:124], v173 offset:1680
	v_add_f64 v[125:126], v[125:126], v[149:150]
	v_add_f64 v[127:128], v[127:128], v[141:142]
	s_waitcnt vmcnt(35) lgkmcnt(1)
	v_mul_f64 v[149:150], v[3:4], v[178:179]
	v_mul_f64 v[141:142], v[1:2], v[178:179]
	s_waitcnt vmcnt(33)
	v_fma_f64 v[151:152], v[5:6], v[167:168], -v[151:152]
	v_fma_f64 v[147:148], v[7:8], v[167:168], v[147:148]
	ds_read_b128 v[5:8], v173 offset:1696
	v_add_f64 v[125:126], v[125:126], v[153:154]
	v_add_f64 v[127:128], v[127:128], v[135:136]
	s_waitcnt vmcnt(29) lgkmcnt(1)
	v_mul_f64 v[153:154], v[123:124], v[184:185]
	s_waitcnt vmcnt(28)
	v_fma_f64 v[149:150], v[1:2], v[201:202], -v[149:150]
	v_mul_f64 v[135:136], v[121:122], v[184:185]
	v_fma_f64 v[141:142], v[3:4], v[201:202], v[141:142]
	ds_read_b128 v[1:4], v173 offset:1712
	v_add_f64 v[125:126], v[125:126], v[151:152]
	v_add_f64 v[127:128], v[127:128], v[147:148]
	s_waitcnt vmcnt(27) lgkmcnt(1)
	v_mul_f64 v[151:152], v[7:8], v[194:195]
	v_mul_f64 v[147:148], v[5:6], v[194:195]
	s_waitcnt vmcnt(25)
	v_fma_f64 v[153:154], v[121:122], v[131:132], -v[153:154]
	v_fma_f64 v[131:132], v[123:124], v[131:132], v[135:136]
	ds_read_b128 v[121:124], v173 offset:1728
	v_add_f64 v[125:126], v[125:126], v[149:150]
	v_add_f64 v[127:128], v[127:128], v[141:142]
	s_waitcnt vmcnt(21) lgkmcnt(1)
	v_mul_f64 v[135:136], v[1:2], v[137:138]
	v_mul_f64 v[137:138], v[3:4], v[137:138]
	s_waitcnt vmcnt(20)
	v_fma_f64 v[141:142], v[5:6], v[198:199], -v[151:152]
	;; [unrolled: 9-line block ×3, first 2 shown]
	v_fma_f64 v[133:134], v[3:4], v[133:134], v[135:136]
	ds_read_b128 v[1:4], v173 offset:1760
	v_add_f64 v[125:126], v[125:126], v[141:142]
	v_add_f64 v[127:128], v[127:128], v[147:148]
	s_waitcnt vmcnt(13) lgkmcnt(1)
	v_mul_f64 v[141:142], v[7:8], v[174:175]
	s_waitcnt vmcnt(12)
	v_fma_f64 v[147:148], v[121:122], v[203:204], -v[149:150]
	v_mul_f64 v[135:136], v[5:6], v[174:175]
	v_fma_f64 v[131:132], v[123:124], v[203:204], v[131:132]
	ds_read_b128 v[121:124], v173 offset:1776
	v_add_f64 v[125:126], v[125:126], v[137:138]
	v_add_f64 v[127:128], v[127:128], v[133:134]
	s_waitcnt vmcnt(11) lgkmcnt(1)
	v_mul_f64 v[137:138], v[3:4], v[176:177]
	v_mul_f64 v[133:134], v[1:2], v[176:177]
	s_waitcnt vmcnt(9)
	v_fma_f64 v[5:6], v[5:6], v[139:140], -v[141:142]
	v_fma_f64 v[7:8], v[7:8], v[139:140], v[135:136]
	v_add_f64 v[125:126], v[125:126], v[147:148]
	v_add_f64 v[127:128], v[127:128], v[131:132]
	s_waitcnt vmcnt(7) lgkmcnt(0)
	v_mul_f64 v[131:132], v[121:122], v[129:130]
	v_mul_f64 v[129:130], v[123:124], v[129:130]
	s_waitcnt vmcnt(6)
	v_fma_f64 v[1:2], v[1:2], v[190:191], -v[137:138]
	v_fma_f64 v[3:4], v[3:4], v[190:191], v[133:134]
	v_add_f64 v[5:6], v[125:126], v[5:6]
	v_add_f64 v[7:8], v[127:128], v[7:8]
	s_waitcnt vmcnt(4)
	v_fma_f64 v[121:122], v[121:122], v[145:146], -v[129:130]
	v_add_f64 v[1:2], v[5:6], v[1:2]
	v_fma_f64 v[5:6], v[123:124], v[145:146], v[131:132]
	v_add_f64 v[3:4], v[7:8], v[3:4]
	v_add_f64 v[1:2], v[1:2], v[121:122]
	v_add_f64 v[3:4], v[3:4], v[5:6]
	s_waitcnt vmcnt(2)
	v_add_f64 v[1:2], v[143:144], -v[1:2]
	s_waitcnt vmcnt(0)
	v_add_f64 v[3:4], v[155:156], -v[3:4]
	buffer_store_dword v2, off, s[0:3], 0 offset:228
	buffer_store_dword v1, off, s[0:3], 0 offset:224
	;; [unrolled: 1-line block ×4, first 2 shown]
	v_cmpx_lt_u32_e32 12, v0
	s_cbranch_execz .LBB119_325
; %bb.324:
	v_mov_b32_e32 v4, s56
	v_mov_b32_e32 v5, 0
	s_clause 0x3
	buffer_load_dword v1, v4, s[0:3], 0 offen
	buffer_load_dword v2, v4, s[0:3], 0 offen offset:4
	buffer_load_dword v3, v4, s[0:3], 0 offen offset:8
	;; [unrolled: 1-line block ×3, first 2 shown]
	buffer_store_dword v5, off, s[0:3], 0 offset:208
	buffer_store_dword v5, off, s[0:3], 0 offset:212
	buffer_store_dword v5, off, s[0:3], 0 offset:216
	buffer_store_dword v5, off, s[0:3], 0 offset:220
	s_waitcnt vmcnt(0)
	ds_write_b128 v181, v[1:4]
.LBB119_325:
	s_or_b32 exec_lo, exec_lo, s4
	s_waitcnt lgkmcnt(0)
	s_waitcnt_vscnt null, 0x0
	s_barrier
	buffer_gl0_inv
	s_clause 0x37
	buffer_load_dword v121, off, s[0:3], 0 offset:232
	buffer_load_dword v122, off, s[0:3], 0 offset:236
	;; [unrolled: 1-line block ×56, first 2 shown]
	v_mov_b32_e32 v173, 0
	s_mov_b32 s4, exec_lo
	ds_read_b128 v[174:177], v173 offset:1104
	s_clause 0x2
	buffer_load_dword v170, off, s[0:3], 0 offset:460
	buffer_load_dword v172, off, s[0:3], 0 offset:436
	;; [unrolled: 1-line block ×3, first 2 shown]
	ds_read_b128 v[182:185], v173 offset:1120
	s_clause 0x4
	buffer_load_dword v191, off, s[0:3], 0 offset:476
	buffer_load_dword v192, off, s[0:3], 0 offset:488
	;; [unrolled: 1-line block ×5, first 2 shown]
	ds_read_b128 v[186:189], v173 offset:1136
	s_clause 0x2
	buffer_load_dword v193, off, s[0:3], 0 offset:492
	buffer_load_dword v198, off, s[0:3], 0 offset:468
	;; [unrolled: 1-line block ×3, first 2 shown]
	s_waitcnt vmcnt(62) lgkmcnt(2)
	v_mul_f64 v[178:179], v[176:177], v[121:122]
	v_mul_f64 v[121:122], v[174:175], v[121:122]
	s_waitcnt lgkmcnt(1)
	v_mul_f64 v[195:196], v[184:185], v[5:6]
	s_waitcnt vmcnt(59) lgkmcnt(0)
	v_mul_f64 v[199:200], v[188:189], v[3:4]
	v_fma_f64 v[174:175], v[174:175], v[7:8], -v[178:179]
	v_mul_f64 v[178:179], v[182:183], v[5:6]
	v_fma_f64 v[121:122], v[176:177], v[7:8], v[121:122]
	s_waitcnt vmcnt(57)
	v_fma_f64 v[182:183], v[182:183], v[1:2], -v[195:196]
	ds_read_b128 v[5:8], v173 offset:1152
	v_mul_f64 v[176:177], v[186:187], v[3:4]
	s_waitcnt vmcnt(51)
	v_fma_f64 v[186:187], v[186:187], v[137:138], -v[199:200]
	v_add_f64 v[174:175], v[174:175], 0
	v_fma_f64 v[178:179], v[184:185], v[1:2], v[178:179]
	v_add_f64 v[121:122], v[121:122], 0
	s_clause 0x4
	buffer_load_dword v185, off, s[0:3], 0 offset:508
	buffer_load_dword v201, off, s[0:3], 0 offset:520
	;; [unrolled: 1-line block ×5, first 2 shown]
	s_waitcnt lgkmcnt(0)
	v_mul_f64 v[204:205], v[5:6], v[125:126]
	v_mul_f64 v[125:126], v[7:8], v[125:126]
	ds_read_b128 v[1:4], v173 offset:1168
	v_fma_f64 v[137:138], v[188:189], v[137:138], v[176:177]
	v_add_f64 v[182:183], v[174:175], v[182:183]
	v_add_f64 v[121:122], v[121:122], v[178:179]
	s_clause 0x2
	buffer_load_dword v202, off, s[0:3], 0 offset:524
	buffer_load_dword v179, off, s[0:3], 0 offset:500
	;; [unrolled: 1-line block ×3, first 2 shown]
	s_waitcnt vmcnt(58) lgkmcnt(0)
	v_mul_f64 v[188:189], v[1:2], v[129:130]
	v_mul_f64 v[129:130], v[3:4], v[129:130]
	s_waitcnt vmcnt(56)
	v_fma_f64 v[125:126], v[5:6], v[131:132], -v[125:126]
	ds_read_b128 v[174:177], v173 offset:1184
	v_fma_f64 v[131:132], v[7:8], v[131:132], v[204:205]
	v_add_f64 v[182:183], v[182:183], v[186:187]
	v_add_f64 v[121:122], v[121:122], v[137:138]
	s_clause 0x4
	buffer_load_dword v138, off, s[0:3], 0 offset:540
	buffer_load_dword v186, off, s[0:3], 0 offset:552
	buffer_load_dword v199, off, s[0:3], 0 offset:544
	buffer_load_dword v137, off, s[0:3], 0 offset:536
	buffer_load_dword v204, off, s[0:3], 0 offset:516
	ds_read_b128 v[5:8], v173 offset:1200
	s_waitcnt vmcnt(57) lgkmcnt(1)
	v_mul_f64 v[205:206], v[174:175], v[133:134]
	v_mul_f64 v[133:134], v[176:177], v[133:134]
	s_waitcnt vmcnt(56)
	v_fma_f64 v[129:130], v[1:2], v[123:124], -v[129:130]
	v_fma_f64 v[123:124], v[3:4], v[123:124], v[188:189]
	v_add_f64 v[125:126], v[182:183], v[125:126]
	v_add_f64 v[121:122], v[121:122], v[131:132]
	s_clause 0x2
	buffer_load_dword v187, off, s[0:3], 0 offset:556
	buffer_load_dword v132, off, s[0:3], 0 offset:532
	;; [unrolled: 1-line block ×3, first 2 shown]
	s_waitcnt vmcnt(58) lgkmcnt(0)
	v_mul_f64 v[182:183], v[5:6], v[139:140]
	v_mul_f64 v[139:140], v[7:8], v[139:140]
	s_waitcnt vmcnt(56)
	v_fma_f64 v[133:134], v[174:175], v[141:142], -v[133:134]
	ds_read_b128 v[1:4], v173 offset:1216
	v_add_f64 v[125:126], v[125:126], v[129:130]
	v_fma_f64 v[129:130], v[176:177], v[141:142], v[205:206]
	v_add_f64 v[141:142], v[121:122], v[123:124]
	s_clause 0x4
	buffer_load_dword v175, off, s[0:3], 0 offset:572
	buffer_load_dword v176, off, s[0:3], 0 offset:584
	;; [unrolled: 1-line block ×5, first 2 shown]
	ds_read_b128 v[121:124], v173 offset:1232
	s_waitcnt vmcnt(57) lgkmcnt(1)
	v_mul_f64 v[205:206], v[1:2], v[143:144]
	v_mul_f64 v[143:144], v[3:4], v[143:144]
	s_waitcnt vmcnt(56)
	v_fma_f64 v[139:140], v[5:6], v[127:128], -v[139:140]
	v_fma_f64 v[127:128], v[7:8], v[127:128], v[182:183]
	v_add_f64 v[125:126], v[125:126], v[133:134]
	s_clause 0x2
	buffer_load_dword v177, off, s[0:3], 0 offset:588
	buffer_load_dword v134, off, s[0:3], 0 offset:564
	;; [unrolled: 1-line block ×3, first 2 shown]
	v_add_f64 v[129:130], v[141:142], v[129:130]
	s_waitcnt vmcnt(58) lgkmcnt(0)
	v_mul_f64 v[141:142], v[121:122], v[147:148]
	v_mul_f64 v[147:148], v[123:124], v[147:148]
	ds_read_b128 v[5:8], v173 offset:1248
	s_waitcnt vmcnt(56)
	v_fma_f64 v[143:144], v[1:2], v[149:150], -v[143:144]
	v_add_f64 v[125:126], v[125:126], v[139:140]
	v_fma_f64 v[139:140], v[3:4], v[149:150], v[205:206]
	v_add_f64 v[127:128], v[129:130], v[127:128]
	s_clause 0x4
	buffer_load_dword v130, off, s[0:3], 0 offset:604
	buffer_load_dword v149, off, s[0:3], 0 offset:616
	buffer_load_dword v182, off, s[0:3], 0 offset:608
	buffer_load_dword v129, off, s[0:3], 0 offset:600
	buffer_load_dword v189, off, s[0:3], 0 offset:580
	s_waitcnt vmcnt(57) lgkmcnt(0)
	v_mul_f64 v[205:206], v[5:6], v[151:152]
	v_mul_f64 v[151:152], v[7:8], v[151:152]
	s_waitcnt vmcnt(56)
	v_fma_f64 v[147:148], v[121:122], v[135:136], -v[147:148]
	ds_read_b128 v[1:4], v173 offset:1264
	v_fma_f64 v[135:136], v[123:124], v[135:136], v[141:142]
	v_add_f64 v[125:126], v[125:126], v[143:144]
	v_add_f64 v[127:128], v[127:128], v[139:140]
	s_clause 0x2
	buffer_load_dword v150, off, s[0:3], 0 offset:620
	buffer_load_dword v140, off, s[0:3], 0 offset:596
	;; [unrolled: 1-line block ×3, first 2 shown]
	ds_read_b128 v[121:124], v173 offset:1280
	s_waitcnt vmcnt(58) lgkmcnt(1)
	v_mul_f64 v[143:144], v[3:4], v[155:156]
	s_waitcnt vmcnt(56)
	v_fma_f64 v[151:152], v[5:6], v[157:158], -v[151:152]
	v_mul_f64 v[141:142], v[1:2], v[155:156]
	v_add_f64 v[125:126], v[125:126], v[147:148]
	v_fma_f64 v[147:148], v[7:8], v[157:158], v[205:206]
	v_add_f64 v[127:128], v[127:128], v[135:136]
	s_clause 0x4
	buffer_load_dword v136, off, s[0:3], 0 offset:636
	buffer_load_dword v155, off, s[0:3], 0 offset:648
	buffer_load_dword v157, off, s[0:3], 0 offset:640
	buffer_load_dword v135, off, s[0:3], 0 offset:632
	buffer_load_dword v183, off, s[0:3], 0 offset:612
	s_waitcnt vmcnt(57) lgkmcnt(0)
	v_mul_f64 v[205:206], v[121:122], v[159:160]
	v_mul_f64 v[158:159], v[123:124], v[159:160]
	s_waitcnt vmcnt(56)
	v_fma_f64 v[143:144], v[1:2], v[145:146], -v[143:144]
	ds_read_b128 v[5:8], v173 offset:1296
	v_fma_f64 v[141:142], v[3:4], v[145:146], v[141:142]
	s_clause 0x2
	buffer_load_dword v156, off, s[0:3], 0 offset:652
	buffer_load_dword v146, off, s[0:3], 0 offset:628
	;; [unrolled: 1-line block ×3, first 2 shown]
	ds_read_b128 v[1:4], v173 offset:1312
	v_add_f64 v[125:126], v[125:126], v[151:152]
	v_add_f64 v[127:128], v[127:128], v[147:148]
	s_waitcnt vmcnt(58) lgkmcnt(1)
	v_mul_f64 v[151:152], v[7:8], v[163:164]
	s_waitcnt vmcnt(56)
	v_fma_f64 v[159:160], v[121:122], v[165:166], -v[158:159]
	v_mul_f64 v[147:148], v[5:6], v[163:164]
	v_add_f64 v[125:126], v[125:126], v[143:144]
	v_fma_f64 v[143:144], v[123:124], v[165:166], v[205:206]
	v_add_f64 v[127:128], v[127:128], v[141:142]
	s_clause 0x4
	buffer_load_dword v142, off, s[0:3], 0 offset:668
	buffer_load_dword v163, off, s[0:3], 0 offset:680
	;; [unrolled: 1-line block ×5, first 2 shown]
	s_waitcnt vmcnt(57) lgkmcnt(0)
	v_mul_f64 v[205:206], v[1:2], v[167:168]
	v_mul_f64 v[166:167], v[3:4], v[167:168]
	s_waitcnt vmcnt(56)
	v_fma_f64 v[151:152], v[5:6], v[153:154], -v[151:152]
	ds_read_b128 v[121:124], v173 offset:1328
	v_fma_f64 v[147:148], v[7:8], v[153:154], v[147:148]
	v_add_f64 v[125:126], v[125:126], v[159:160]
	v_add_f64 v[127:128], v[127:128], v[143:144]
	s_clause 0x2
	buffer_load_dword v164, off, s[0:3], 0 offset:684
	buffer_load_dword v144, off, s[0:3], 0 offset:660
	;; [unrolled: 1-line block ×3, first 2 shown]
	ds_read_b128 v[5:8], v173 offset:1344
	s_waitcnt vmcnt(58) lgkmcnt(1)
	v_mul_f64 v[159:160], v[123:124], v[169:170]
	s_waitcnt vmcnt(56)
	v_fma_f64 v[167:168], v[1:2], v[171:172], -v[166:167]
	v_mul_f64 v[153:154], v[121:122], v[169:170]
	v_add_f64 v[125:126], v[125:126], v[151:152]
	v_fma_f64 v[151:152], v[3:4], v[171:172], v[205:206]
	v_add_f64 v[127:128], v[127:128], v[147:148]
	s_clause 0x4
	buffer_load_dword v148, off, s[0:3], 0 offset:700
	buffer_load_dword v169, off, s[0:3], 0 offset:712
	;; [unrolled: 1-line block ×5, first 2 shown]
	s_waitcnt vmcnt(57) lgkmcnt(0)
	v_mul_f64 v[205:206], v[5:6], v[190:191]
	v_mul_f64 v[190:191], v[7:8], v[190:191]
	s_waitcnt vmcnt(56)
	v_fma_f64 v[159:160], v[121:122], v[161:162], -v[159:160]
	ds_read_b128 v[1:4], v173 offset:1360
	v_fma_f64 v[153:154], v[123:124], v[161:162], v[153:154]
	v_add_f64 v[125:126], v[125:126], v[167:168]
	v_add_f64 v[127:128], v[127:128], v[151:152]
	s_clause 0x2
	buffer_load_dword v170, off, s[0:3], 0 offset:716
	buffer_load_dword v152, off, s[0:3], 0 offset:692
	buffer_load_dword v151, off, s[0:3], 0 offset:688
	ds_read_b128 v[121:124], v173 offset:1376
	s_waitcnt vmcnt(58) lgkmcnt(1)
	v_mul_f64 v[167:168], v[3:4], v[192:193]
	s_waitcnt vmcnt(56)
	v_fma_f64 v[190:191], v[5:6], v[197:198], -v[190:191]
	v_mul_f64 v[161:162], v[1:2], v[192:193]
	v_add_f64 v[125:126], v[125:126], v[159:160]
	v_fma_f64 v[159:160], v[7:8], v[197:198], v[205:206]
	v_add_f64 v[127:128], v[127:128], v[153:154]
	s_clause 0x4
	buffer_load_dword v154, off, s[0:3], 0 offset:732
	buffer_load_dword v192, off, s[0:3], 0 offset:744
	;; [unrolled: 1-line block ×5, first 2 shown]
	ds_read_b128 v[5:8], v173 offset:1392
	s_waitcnt vmcnt(57) lgkmcnt(1)
	v_mul_f64 v[197:198], v[121:122], v[184:185]
	v_mul_f64 v[184:185], v[123:124], v[184:185]
	s_waitcnt vmcnt(56)
	v_fma_f64 v[167:168], v[1:2], v[194:195], -v[167:168]
	v_fma_f64 v[161:162], v[3:4], v[194:195], v[161:162]
	v_add_f64 v[125:126], v[125:126], v[190:191]
	v_add_f64 v[127:128], v[127:128], v[159:160]
	s_clause 0x2
	buffer_load_dword v193, off, s[0:3], 0 offset:748
	buffer_load_dword v160, off, s[0:3], 0 offset:724
	;; [unrolled: 1-line block ×3, first 2 shown]
	ds_read_b128 v[1:4], v173 offset:1408
	s_waitcnt vmcnt(58) lgkmcnt(1)
	v_mul_f64 v[194:195], v[7:8], v[201:202]
	v_mul_f64 v[190:191], v[5:6], v[201:202]
	s_waitcnt vmcnt(56)
	v_fma_f64 v[184:185], v[121:122], v[178:179], -v[184:185]
	v_add_f64 v[125:126], v[125:126], v[167:168]
	v_fma_f64 v[167:168], v[123:124], v[178:179], v[197:198]
	v_add_f64 v[127:128], v[127:128], v[161:162]
	s_clause 0x4
	buffer_load_dword v162, off, s[0:3], 0 offset:764
	buffer_load_dword v178, off, s[0:3], 0 offset:776
	buffer_load_dword v201, off, s[0:3], 0 offset:768
	buffer_load_dword v161, off, s[0:3], 0 offset:760
	buffer_load_dword v197, off, s[0:3], 0 offset:740
	ds_read_b128 v[121:124], v173 offset:1424
	s_waitcnt vmcnt(57) lgkmcnt(1)
	v_mul_f64 v[205:206], v[1:2], v[137:138]
	v_mul_f64 v[137:138], v[3:4], v[137:138]
	s_waitcnt vmcnt(56)
	v_fma_f64 v[194:195], v[5:6], v[203:204], -v[194:195]
	v_add_f64 v[125:126], v[125:126], v[184:185]
	v_fma_f64 v[184:185], v[7:8], v[203:204], v[190:191]
	v_add_f64 v[127:128], v[127:128], v[167:168]
	s_clause 0x2
	buffer_load_dword v179, off, s[0:3], 0 offset:780
	buffer_load_dword v168, off, s[0:3], 0 offset:756
	buffer_load_dword v167, off, s[0:3], 0 offset:752
	ds_read_b128 v[5:8], v173 offset:1440
	s_waitcnt vmcnt(58) lgkmcnt(1)
	v_mul_f64 v[190:191], v[121:122], v[186:187]
	v_mul_f64 v[186:187], v[123:124], v[186:187]
	s_waitcnt vmcnt(56)
	v_fma_f64 v[137:138], v[1:2], v[131:132], -v[137:138]
	v_fma_f64 v[131:132], v[3:4], v[131:132], v[205:206]
	v_add_f64 v[125:126], v[125:126], v[194:195]
	v_add_f64 v[127:128], v[127:128], v[184:185]
	s_clause 0x4
	buffer_load_dword v185, off, s[0:3], 0 offset:796
	buffer_load_dword v194, off, s[0:3], 0 offset:808
	buffer_load_dword v198, off, s[0:3], 0 offset:800
	buffer_load_dword v184, off, s[0:3], 0 offset:792
	buffer_load_dword v202, off, s[0:3], 0 offset:772
	ds_read_b128 v[1:4], v173 offset:1456
	s_waitcnt vmcnt(57) lgkmcnt(1)
	v_mul_f64 v[203:204], v[5:6], v[174:175]
	v_mul_f64 v[174:175], v[7:8], v[174:175]
	s_waitcnt vmcnt(56)
	v_fma_f64 v[186:187], v[121:122], v[199:200], -v[186:187]
	v_add_f64 v[125:126], v[125:126], v[137:138]
	v_fma_f64 v[137:138], v[123:124], v[199:200], v[190:191]
	v_add_f64 v[127:128], v[127:128], v[131:132]
	s_clause 0x2
	buffer_load_dword v195, off, s[0:3], 0 offset:812
	buffer_load_dword v132, off, s[0:3], 0 offset:788
	buffer_load_dword v131, off, s[0:3], 0 offset:784
	ds_read_b128 v[121:124], v173 offset:1472
	s_waitcnt vmcnt(58) lgkmcnt(1)
	v_mul_f64 v[190:191], v[1:2], v[176:177]
	v_mul_f64 v[176:177], v[3:4], v[176:177]
	s_waitcnt vmcnt(56)
	v_fma_f64 v[174:175], v[5:6], v[133:134], -v[174:175]
	v_fma_f64 v[133:134], v[7:8], v[133:134], v[203:204]
	v_add_f64 v[125:126], v[125:126], v[186:187]
	;; [unrolled: 28-line block ×3, first 2 shown]
	v_add_f64 v[127:128], v[127:128], v[174:175]
	s_clause 0x4
	buffer_load_dword v175, off, s[0:3], 0 offset:860
	buffer_load_dword v176, off, s[0:3], 0 offset:872
	;; [unrolled: 1-line block ×5, first 2 shown]
	ds_read_b128 v[121:124], v173 offset:1520
	s_waitcnt vmcnt(57) lgkmcnt(1)
	v_mul_f64 v[205:206], v[1:2], v[135:136]
	v_mul_f64 v[135:136], v[3:4], v[135:136]
	s_waitcnt vmcnt(56)
	v_fma_f64 v[149:150], v[5:6], v[182:183], -v[149:150]
	v_add_f64 v[125:126], v[125:126], v[129:130]
	v_fma_f64 v[129:130], v[7:8], v[182:183], v[188:189]
	v_add_f64 v[127:128], v[127:128], v[139:140]
	s_clause 0x2
	buffer_load_dword v177, off, s[0:3], 0 offset:876
	buffer_load_dword v140, off, s[0:3], 0 offset:852
	;; [unrolled: 1-line block ×3, first 2 shown]
	s_waitcnt vmcnt(58) lgkmcnt(0)
	v_mul_f64 v[182:183], v[121:122], v[155:156]
	v_mul_f64 v[155:156], v[123:124], v[155:156]
	ds_read_b128 v[5:8], v173 offset:1536
	s_waitcnt vmcnt(56)
	v_fma_f64 v[135:136], v[1:2], v[145:146], -v[135:136]
	v_fma_f64 v[145:146], v[3:4], v[145:146], v[205:206]
	v_add_f64 v[125:126], v[125:126], v[149:150]
	v_add_f64 v[127:128], v[127:128], v[129:130]
	s_clause 0x4
	buffer_load_dword v130, off, s[0:3], 0 offset:892
	buffer_load_dword v149, off, s[0:3], 0 offset:904
	;; [unrolled: 1-line block ×5, first 2 shown]
	ds_read_b128 v[1:4], v173 offset:1552
	s_waitcnt vmcnt(57) lgkmcnt(1)
	v_mul_f64 v[205:206], v[5:6], v[141:142]
	v_mul_f64 v[141:142], v[7:8], v[141:142]
	s_waitcnt vmcnt(56)
	v_fma_f64 v[155:156], v[121:122], v[157:158], -v[155:156]
	v_add_f64 v[125:126], v[125:126], v[135:136]
	v_fma_f64 v[135:136], v[123:124], v[157:158], v[182:183]
	v_add_f64 v[127:128], v[127:128], v[145:146]
	s_clause 0x2
	buffer_load_dword v150, off, s[0:3], 0 offset:908
	buffer_load_dword v146, off, s[0:3], 0 offset:884
	;; [unrolled: 1-line block ×3, first 2 shown]
	ds_read_b128 v[121:124], v173 offset:1568
	buffer_load_dword v189, off, s[0:3], 0 offset:900
	s_waitcnt vmcnt(59) lgkmcnt(1)
	v_mul_f64 v[157:158], v[1:2], v[163:164]
	v_mul_f64 v[163:164], v[3:4], v[163:164]
	s_waitcnt vmcnt(57)
	v_fma_f64 v[141:142], v[5:6], v[143:144], -v[141:142]
	v_fma_f64 v[143:144], v[7:8], v[143:144], v[205:206]
	ds_read_b128 v[5:8], v173 offset:1584
	v_add_f64 v[125:126], v[125:126], v[155:156]
	v_add_f64 v[127:128], v[127:128], v[135:136]
	s_waitcnt vmcnt(53) lgkmcnt(1)
	v_mul_f64 v[135:136], v[121:122], v[147:148]
	v_mul_f64 v[147:148], v[123:124], v[147:148]
	s_waitcnt vmcnt(52)
	v_fma_f64 v[155:156], v[1:2], v[165:166], -v[163:164]
	v_add_f64 v[125:126], v[125:126], v[141:142]
	v_fma_f64 v[141:142], v[3:4], v[165:166], v[157:158]
	v_add_f64 v[127:128], v[127:128], v[143:144]
	ds_read_b128 v[1:4], v173 offset:1600
	s_waitcnt vmcnt(51) lgkmcnt(1)
	v_mul_f64 v[157:158], v[7:8], v[169:170]
	v_mul_f64 v[143:144], v[5:6], v[169:170]
	s_waitcnt vmcnt(49)
	v_fma_f64 v[147:148], v[121:122], v[151:152], -v[147:148]
	v_fma_f64 v[135:136], v[123:124], v[151:152], v[135:136]
	v_add_f64 v[125:126], v[125:126], v[155:156]
	v_add_f64 v[127:128], v[127:128], v[141:142]
	s_clause 0x3
	buffer_load_dword v141, off, s[0:3], 0 offset:208
	buffer_load_dword v142, off, s[0:3], 0 offset:212
	;; [unrolled: 1-line block ×4, first 2 shown]
	ds_read_b128 v[121:124], v173 offset:1616
	s_waitcnt vmcnt(49) lgkmcnt(1)
	v_mul_f64 v[155:156], v[1:2], v[153:154]
	v_mul_f64 v[153:154], v[3:4], v[153:154]
	s_waitcnt vmcnt(48)
	v_fma_f64 v[157:158], v[5:6], v[171:172], -v[157:158]
	v_fma_f64 v[143:144], v[7:8], v[171:172], v[143:144]
	ds_read_b128 v[5:8], v173 offset:1632
	v_add_f64 v[125:126], v[125:126], v[147:148]
	v_add_f64 v[127:128], v[127:128], v[135:136]
	s_waitcnt vmcnt(47) lgkmcnt(1)
	v_mul_f64 v[147:148], v[123:124], v[192:193]
	v_mul_f64 v[135:136], v[121:122], v[192:193]
	s_waitcnt vmcnt(45)
	v_fma_f64 v[153:154], v[1:2], v[159:160], -v[153:154]
	v_fma_f64 v[155:156], v[3:4], v[159:160], v[155:156]
	ds_read_b128 v[1:4], v173 offset:1648
	v_add_f64 v[125:126], v[125:126], v[157:158]
	v_add_f64 v[127:128], v[127:128], v[143:144]
	s_waitcnt vmcnt(41) lgkmcnt(1)
	v_mul_f64 v[157:158], v[7:8], v[161:162]
	s_waitcnt vmcnt(40)
	v_fma_f64 v[147:148], v[121:122], v[196:197], -v[147:148]
	v_mul_f64 v[143:144], v[5:6], v[161:162]
	v_fma_f64 v[135:136], v[123:124], v[196:197], v[135:136]
	ds_read_b128 v[121:124], v173 offset:1664
	v_add_f64 v[125:126], v[125:126], v[153:154]
	v_add_f64 v[127:128], v[127:128], v[155:156]
	s_waitcnt vmcnt(39) lgkmcnt(1)
	v_mul_f64 v[155:156], v[3:4], v[178:179]
	v_mul_f64 v[153:154], v[1:2], v[178:179]
	s_waitcnt vmcnt(37)
	v_fma_f64 v[157:158], v[5:6], v[167:168], -v[157:158]
	v_fma_f64 v[143:144], v[7:8], v[167:168], v[143:144]
	ds_read_b128 v[5:8], v173 offset:1680
	v_add_f64 v[125:126], v[125:126], v[147:148]
	v_add_f64 v[127:128], v[127:128], v[135:136]
	s_waitcnt vmcnt(33) lgkmcnt(1)
	v_mul_f64 v[147:148], v[123:124], v[184:185]
	s_waitcnt vmcnt(32)
	v_fma_f64 v[155:156], v[1:2], v[201:202], -v[155:156]
	v_mul_f64 v[135:136], v[121:122], v[184:185]
	v_fma_f64 v[153:154], v[3:4], v[201:202], v[153:154]
	ds_read_b128 v[1:4], v173 offset:1696
	v_add_f64 v[125:126], v[125:126], v[157:158]
	v_add_f64 v[127:128], v[127:128], v[143:144]
	s_waitcnt vmcnt(31) lgkmcnt(1)
	v_mul_f64 v[157:158], v[7:8], v[194:195]
	v_mul_f64 v[143:144], v[5:6], v[194:195]
	s_waitcnt vmcnt(29)
	v_fma_f64 v[147:148], v[121:122], v[131:132], -v[147:148]
	v_fma_f64 v[131:132], v[123:124], v[131:132], v[135:136]
	ds_read_b128 v[121:124], v173 offset:1712
	v_add_f64 v[125:126], v[125:126], v[155:156]
	v_add_f64 v[127:128], v[127:128], v[153:154]
	s_waitcnt vmcnt(25) lgkmcnt(1)
	v_mul_f64 v[135:136], v[1:2], v[137:138]
	v_mul_f64 v[137:138], v[3:4], v[137:138]
	s_waitcnt vmcnt(24)
	v_fma_f64 v[153:154], v[5:6], v[198:199], -v[157:158]
	;; [unrolled: 9-line block ×3, first 2 shown]
	v_fma_f64 v[133:134], v[3:4], v[133:134], v[135:136]
	ds_read_b128 v[1:4], v173 offset:1744
	v_add_f64 v[125:126], v[125:126], v[153:154]
	v_add_f64 v[127:128], v[127:128], v[143:144]
	s_waitcnt vmcnt(17) lgkmcnt(1)
	v_mul_f64 v[143:144], v[7:8], v[174:175]
	s_waitcnt vmcnt(16)
	v_fma_f64 v[147:148], v[121:122], v[203:204], -v[147:148]
	v_mul_f64 v[135:136], v[5:6], v[174:175]
	v_fma_f64 v[131:132], v[123:124], v[203:204], v[131:132]
	ds_read_b128 v[121:124], v173 offset:1760
	v_add_f64 v[125:126], v[125:126], v[137:138]
	v_add_f64 v[127:128], v[127:128], v[133:134]
	s_waitcnt vmcnt(15) lgkmcnt(1)
	v_mul_f64 v[137:138], v[3:4], v[176:177]
	v_mul_f64 v[133:134], v[1:2], v[176:177]
	s_waitcnt vmcnt(13)
	v_fma_f64 v[143:144], v[5:6], v[139:140], -v[143:144]
	v_fma_f64 v[135:136], v[7:8], v[139:140], v[135:136]
	ds_read_b128 v[5:8], v173 offset:1776
	v_add_f64 v[125:126], v[125:126], v[147:148]
	v_add_f64 v[127:128], v[127:128], v[131:132]
	s_waitcnt vmcnt(9) lgkmcnt(1)
	v_mul_f64 v[131:132], v[121:122], v[129:130]
	v_mul_f64 v[129:130], v[123:124], v[129:130]
	s_waitcnt vmcnt(8)
	v_fma_f64 v[1:2], v[1:2], v[190:191], -v[137:138]
	v_fma_f64 v[3:4], v[3:4], v[190:191], v[133:134]
	v_add_f64 v[125:126], v[125:126], v[143:144]
	v_add_f64 v[127:128], v[127:128], v[135:136]
	s_waitcnt vmcnt(7) lgkmcnt(0)
	v_mul_f64 v[135:136], v[7:8], v[149:150]
	v_mul_f64 v[133:134], v[5:6], v[149:150]
	s_waitcnt vmcnt(5)
	v_fma_f64 v[121:122], v[121:122], v[145:146], -v[129:130]
	v_fma_f64 v[123:124], v[123:124], v[145:146], v[131:132]
	v_add_f64 v[1:2], v[125:126], v[1:2]
	v_add_f64 v[3:4], v[127:128], v[3:4]
	s_waitcnt vmcnt(4)
	v_fma_f64 v[5:6], v[5:6], v[188:189], -v[135:136]
	v_fma_f64 v[7:8], v[7:8], v[188:189], v[133:134]
	v_add_f64 v[1:2], v[1:2], v[121:122]
	v_add_f64 v[3:4], v[3:4], v[123:124]
	;; [unrolled: 1-line block ×4, first 2 shown]
	s_waitcnt vmcnt(2)
	v_add_f64 v[1:2], v[141:142], -v[1:2]
	s_waitcnt vmcnt(0)
	v_add_f64 v[3:4], v[151:152], -v[3:4]
	buffer_store_dword v2, off, s[0:3], 0 offset:212
	buffer_store_dword v1, off, s[0:3], 0 offset:208
	;; [unrolled: 1-line block ×4, first 2 shown]
	v_cmpx_lt_u32_e32 11, v0
	s_cbranch_execz .LBB119_327
; %bb.326:
	v_mov_b32_e32 v4, s57
	s_clause 0x3
	buffer_load_dword v1, v4, s[0:3], 0 offen
	buffer_load_dword v2, v4, s[0:3], 0 offen offset:4
	buffer_load_dword v3, v4, s[0:3], 0 offen offset:8
	;; [unrolled: 1-line block ×3, first 2 shown]
	buffer_store_dword v173, off, s[0:3], 0 offset:192
	buffer_store_dword v173, off, s[0:3], 0 offset:196
	;; [unrolled: 1-line block ×4, first 2 shown]
	s_waitcnt vmcnt(0)
	ds_write_b128 v181, v[1:4]
.LBB119_327:
	s_or_b32 exec_lo, exec_lo, s4
	s_waitcnt lgkmcnt(0)
	s_waitcnt_vscnt null, 0x0
	s_barrier
	buffer_gl0_inv
	s_clause 0x37
	buffer_load_dword v121, off, s[0:3], 0 offset:216
	buffer_load_dword v122, off, s[0:3], 0 offset:220
	;; [unrolled: 1-line block ×56, first 2 shown]
	ds_read_b128 v[174:177], v173 offset:1088
	s_clause 0x2
	buffer_load_dword v170, off, s[0:3], 0 offset:444
	buffer_load_dword v172, off, s[0:3], 0 offset:420
	;; [unrolled: 1-line block ×3, first 2 shown]
	ds_read_b128 v[182:185], v173 offset:1104
	s_clause 0x4
	buffer_load_dword v191, off, s[0:3], 0 offset:460
	buffer_load_dword v192, off, s[0:3], 0 offset:472
	;; [unrolled: 1-line block ×5, first 2 shown]
	ds_read_b128 v[186:189], v173 offset:1120
	s_clause 0x2
	buffer_load_dword v193, off, s[0:3], 0 offset:476
	buffer_load_dword v198, off, s[0:3], 0 offset:452
	;; [unrolled: 1-line block ×3, first 2 shown]
	s_mov_b32 s4, exec_lo
	s_waitcnt vmcnt(62) lgkmcnt(2)
	v_mul_f64 v[178:179], v[176:177], v[121:122]
	v_mul_f64 v[121:122], v[174:175], v[121:122]
	s_waitcnt lgkmcnt(1)
	v_mul_f64 v[195:196], v[184:185], v[5:6]
	s_waitcnt vmcnt(59) lgkmcnt(0)
	v_mul_f64 v[199:200], v[188:189], v[3:4]
	v_fma_f64 v[174:175], v[174:175], v[7:8], -v[178:179]
	v_mul_f64 v[178:179], v[182:183], v[5:6]
	v_fma_f64 v[121:122], v[176:177], v[7:8], v[121:122]
	s_waitcnt vmcnt(57)
	v_fma_f64 v[182:183], v[182:183], v[1:2], -v[195:196]
	ds_read_b128 v[5:8], v173 offset:1136
	v_mul_f64 v[176:177], v[186:187], v[3:4]
	s_waitcnt vmcnt(51)
	v_fma_f64 v[186:187], v[186:187], v[137:138], -v[199:200]
	v_add_f64 v[174:175], v[174:175], 0
	v_fma_f64 v[178:179], v[184:185], v[1:2], v[178:179]
	v_add_f64 v[121:122], v[121:122], 0
	s_clause 0x4
	buffer_load_dword v185, off, s[0:3], 0 offset:492
	buffer_load_dword v201, off, s[0:3], 0 offset:504
	;; [unrolled: 1-line block ×5, first 2 shown]
	s_waitcnt lgkmcnt(0)
	v_mul_f64 v[204:205], v[5:6], v[125:126]
	v_mul_f64 v[125:126], v[7:8], v[125:126]
	ds_read_b128 v[1:4], v173 offset:1152
	v_fma_f64 v[137:138], v[188:189], v[137:138], v[176:177]
	v_add_f64 v[182:183], v[174:175], v[182:183]
	v_add_f64 v[121:122], v[121:122], v[178:179]
	s_clause 0x2
	buffer_load_dword v202, off, s[0:3], 0 offset:508
	buffer_load_dword v179, off, s[0:3], 0 offset:484
	;; [unrolled: 1-line block ×3, first 2 shown]
	s_waitcnt vmcnt(58) lgkmcnt(0)
	v_mul_f64 v[188:189], v[1:2], v[129:130]
	v_mul_f64 v[129:130], v[3:4], v[129:130]
	s_waitcnt vmcnt(56)
	v_fma_f64 v[125:126], v[5:6], v[131:132], -v[125:126]
	ds_read_b128 v[174:177], v173 offset:1168
	v_fma_f64 v[131:132], v[7:8], v[131:132], v[204:205]
	v_add_f64 v[182:183], v[182:183], v[186:187]
	v_add_f64 v[121:122], v[121:122], v[137:138]
	s_clause 0x4
	buffer_load_dword v138, off, s[0:3], 0 offset:524
	buffer_load_dword v186, off, s[0:3], 0 offset:536
	;; [unrolled: 1-line block ×5, first 2 shown]
	ds_read_b128 v[5:8], v173 offset:1184
	s_waitcnt vmcnt(57) lgkmcnt(1)
	v_mul_f64 v[205:206], v[174:175], v[133:134]
	v_mul_f64 v[133:134], v[176:177], v[133:134]
	s_waitcnt vmcnt(56)
	v_fma_f64 v[129:130], v[1:2], v[123:124], -v[129:130]
	v_fma_f64 v[123:124], v[3:4], v[123:124], v[188:189]
	v_add_f64 v[125:126], v[182:183], v[125:126]
	v_add_f64 v[121:122], v[121:122], v[131:132]
	s_clause 0x2
	buffer_load_dword v187, off, s[0:3], 0 offset:540
	buffer_load_dword v132, off, s[0:3], 0 offset:516
	;; [unrolled: 1-line block ×3, first 2 shown]
	s_waitcnt vmcnt(58) lgkmcnt(0)
	v_mul_f64 v[182:183], v[5:6], v[139:140]
	v_mul_f64 v[139:140], v[7:8], v[139:140]
	s_waitcnt vmcnt(56)
	v_fma_f64 v[133:134], v[174:175], v[141:142], -v[133:134]
	ds_read_b128 v[1:4], v173 offset:1200
	v_add_f64 v[125:126], v[125:126], v[129:130]
	v_fma_f64 v[129:130], v[176:177], v[141:142], v[205:206]
	v_add_f64 v[141:142], v[121:122], v[123:124]
	s_clause 0x4
	buffer_load_dword v175, off, s[0:3], 0 offset:556
	buffer_load_dword v176, off, s[0:3], 0 offset:568
	;; [unrolled: 1-line block ×5, first 2 shown]
	ds_read_b128 v[121:124], v173 offset:1216
	s_waitcnt vmcnt(57) lgkmcnt(1)
	v_mul_f64 v[205:206], v[1:2], v[143:144]
	v_mul_f64 v[143:144], v[3:4], v[143:144]
	s_waitcnt vmcnt(56)
	v_fma_f64 v[139:140], v[5:6], v[127:128], -v[139:140]
	v_fma_f64 v[127:128], v[7:8], v[127:128], v[182:183]
	v_add_f64 v[125:126], v[125:126], v[133:134]
	s_clause 0x2
	buffer_load_dword v177, off, s[0:3], 0 offset:572
	buffer_load_dword v134, off, s[0:3], 0 offset:548
	;; [unrolled: 1-line block ×3, first 2 shown]
	v_add_f64 v[129:130], v[141:142], v[129:130]
	s_waitcnt vmcnt(58) lgkmcnt(0)
	v_mul_f64 v[141:142], v[121:122], v[147:148]
	v_mul_f64 v[147:148], v[123:124], v[147:148]
	ds_read_b128 v[5:8], v173 offset:1232
	s_waitcnt vmcnt(56)
	v_fma_f64 v[143:144], v[1:2], v[149:150], -v[143:144]
	v_add_f64 v[125:126], v[125:126], v[139:140]
	v_fma_f64 v[139:140], v[3:4], v[149:150], v[205:206]
	v_add_f64 v[127:128], v[129:130], v[127:128]
	s_clause 0x4
	buffer_load_dword v130, off, s[0:3], 0 offset:588
	buffer_load_dword v149, off, s[0:3], 0 offset:600
	;; [unrolled: 1-line block ×5, first 2 shown]
	s_waitcnt vmcnt(57) lgkmcnt(0)
	v_mul_f64 v[205:206], v[5:6], v[151:152]
	v_mul_f64 v[151:152], v[7:8], v[151:152]
	s_waitcnt vmcnt(56)
	v_fma_f64 v[147:148], v[121:122], v[135:136], -v[147:148]
	ds_read_b128 v[1:4], v173 offset:1248
	v_fma_f64 v[135:136], v[123:124], v[135:136], v[141:142]
	v_add_f64 v[125:126], v[125:126], v[143:144]
	v_add_f64 v[127:128], v[127:128], v[139:140]
	s_clause 0x2
	buffer_load_dword v150, off, s[0:3], 0 offset:604
	buffer_load_dword v140, off, s[0:3], 0 offset:580
	;; [unrolled: 1-line block ×3, first 2 shown]
	ds_read_b128 v[121:124], v173 offset:1264
	s_waitcnt vmcnt(58) lgkmcnt(1)
	v_mul_f64 v[143:144], v[3:4], v[155:156]
	s_waitcnt vmcnt(56)
	v_fma_f64 v[151:152], v[5:6], v[157:158], -v[151:152]
	v_mul_f64 v[141:142], v[1:2], v[155:156]
	v_add_f64 v[125:126], v[125:126], v[147:148]
	v_fma_f64 v[147:148], v[7:8], v[157:158], v[205:206]
	v_add_f64 v[127:128], v[127:128], v[135:136]
	s_clause 0x4
	buffer_load_dword v136, off, s[0:3], 0 offset:620
	buffer_load_dword v155, off, s[0:3], 0 offset:632
	;; [unrolled: 1-line block ×5, first 2 shown]
	s_waitcnt vmcnt(57) lgkmcnt(0)
	v_mul_f64 v[205:206], v[121:122], v[159:160]
	v_mul_f64 v[158:159], v[123:124], v[159:160]
	s_waitcnt vmcnt(56)
	v_fma_f64 v[143:144], v[1:2], v[145:146], -v[143:144]
	ds_read_b128 v[5:8], v173 offset:1280
	v_fma_f64 v[141:142], v[3:4], v[145:146], v[141:142]
	s_clause 0x2
	buffer_load_dword v156, off, s[0:3], 0 offset:636
	buffer_load_dword v146, off, s[0:3], 0 offset:612
	;; [unrolled: 1-line block ×3, first 2 shown]
	ds_read_b128 v[1:4], v173 offset:1296
	v_add_f64 v[125:126], v[125:126], v[151:152]
	v_add_f64 v[127:128], v[127:128], v[147:148]
	s_waitcnt vmcnt(58) lgkmcnt(1)
	v_mul_f64 v[151:152], v[7:8], v[163:164]
	s_waitcnt vmcnt(56)
	v_fma_f64 v[159:160], v[121:122], v[165:166], -v[158:159]
	v_mul_f64 v[147:148], v[5:6], v[163:164]
	v_add_f64 v[125:126], v[125:126], v[143:144]
	v_fma_f64 v[143:144], v[123:124], v[165:166], v[205:206]
	v_add_f64 v[127:128], v[127:128], v[141:142]
	s_clause 0x4
	buffer_load_dword v142, off, s[0:3], 0 offset:652
	buffer_load_dword v163, off, s[0:3], 0 offset:664
	;; [unrolled: 1-line block ×5, first 2 shown]
	s_waitcnt vmcnt(57) lgkmcnt(0)
	v_mul_f64 v[205:206], v[1:2], v[167:168]
	v_mul_f64 v[166:167], v[3:4], v[167:168]
	s_waitcnt vmcnt(56)
	v_fma_f64 v[151:152], v[5:6], v[153:154], -v[151:152]
	ds_read_b128 v[121:124], v173 offset:1312
	v_fma_f64 v[147:148], v[7:8], v[153:154], v[147:148]
	v_add_f64 v[125:126], v[125:126], v[159:160]
	v_add_f64 v[127:128], v[127:128], v[143:144]
	s_clause 0x2
	buffer_load_dword v164, off, s[0:3], 0 offset:668
	buffer_load_dword v144, off, s[0:3], 0 offset:644
	;; [unrolled: 1-line block ×3, first 2 shown]
	ds_read_b128 v[5:8], v173 offset:1328
	s_waitcnt vmcnt(58) lgkmcnt(1)
	v_mul_f64 v[159:160], v[123:124], v[169:170]
	s_waitcnt vmcnt(56)
	v_fma_f64 v[167:168], v[1:2], v[171:172], -v[166:167]
	v_mul_f64 v[153:154], v[121:122], v[169:170]
	v_add_f64 v[125:126], v[125:126], v[151:152]
	v_fma_f64 v[151:152], v[3:4], v[171:172], v[205:206]
	v_add_f64 v[127:128], v[127:128], v[147:148]
	s_clause 0x4
	buffer_load_dword v148, off, s[0:3], 0 offset:684
	buffer_load_dword v169, off, s[0:3], 0 offset:696
	;; [unrolled: 1-line block ×5, first 2 shown]
	s_waitcnt vmcnt(57) lgkmcnt(0)
	v_mul_f64 v[205:206], v[5:6], v[190:191]
	v_mul_f64 v[190:191], v[7:8], v[190:191]
	s_waitcnt vmcnt(56)
	v_fma_f64 v[159:160], v[121:122], v[161:162], -v[159:160]
	ds_read_b128 v[1:4], v173 offset:1344
	v_fma_f64 v[153:154], v[123:124], v[161:162], v[153:154]
	v_add_f64 v[125:126], v[125:126], v[167:168]
	v_add_f64 v[127:128], v[127:128], v[151:152]
	s_clause 0x2
	buffer_load_dword v170, off, s[0:3], 0 offset:700
	buffer_load_dword v152, off, s[0:3], 0 offset:676
	;; [unrolled: 1-line block ×3, first 2 shown]
	ds_read_b128 v[121:124], v173 offset:1360
	s_waitcnt vmcnt(58) lgkmcnt(1)
	v_mul_f64 v[167:168], v[3:4], v[192:193]
	s_waitcnt vmcnt(56)
	v_fma_f64 v[190:191], v[5:6], v[197:198], -v[190:191]
	v_mul_f64 v[161:162], v[1:2], v[192:193]
	v_add_f64 v[125:126], v[125:126], v[159:160]
	v_fma_f64 v[159:160], v[7:8], v[197:198], v[205:206]
	v_add_f64 v[127:128], v[127:128], v[153:154]
	s_clause 0x4
	buffer_load_dword v154, off, s[0:3], 0 offset:716
	buffer_load_dword v192, off, s[0:3], 0 offset:728
	;; [unrolled: 1-line block ×5, first 2 shown]
	ds_read_b128 v[5:8], v173 offset:1376
	s_waitcnt vmcnt(57) lgkmcnt(1)
	v_mul_f64 v[197:198], v[121:122], v[184:185]
	v_mul_f64 v[184:185], v[123:124], v[184:185]
	s_waitcnt vmcnt(56)
	v_fma_f64 v[167:168], v[1:2], v[194:195], -v[167:168]
	v_fma_f64 v[161:162], v[3:4], v[194:195], v[161:162]
	v_add_f64 v[125:126], v[125:126], v[190:191]
	v_add_f64 v[127:128], v[127:128], v[159:160]
	s_clause 0x2
	buffer_load_dword v193, off, s[0:3], 0 offset:732
	buffer_load_dword v160, off, s[0:3], 0 offset:708
	;; [unrolled: 1-line block ×3, first 2 shown]
	ds_read_b128 v[1:4], v173 offset:1392
	s_waitcnt vmcnt(58) lgkmcnt(1)
	v_mul_f64 v[194:195], v[7:8], v[201:202]
	v_mul_f64 v[190:191], v[5:6], v[201:202]
	s_waitcnt vmcnt(56)
	v_fma_f64 v[184:185], v[121:122], v[178:179], -v[184:185]
	v_add_f64 v[125:126], v[125:126], v[167:168]
	v_fma_f64 v[167:168], v[123:124], v[178:179], v[197:198]
	v_add_f64 v[127:128], v[127:128], v[161:162]
	s_clause 0x4
	buffer_load_dword v162, off, s[0:3], 0 offset:748
	buffer_load_dword v178, off, s[0:3], 0 offset:760
	buffer_load_dword v201, off, s[0:3], 0 offset:752
	buffer_load_dword v161, off, s[0:3], 0 offset:744
	buffer_load_dword v197, off, s[0:3], 0 offset:724
	ds_read_b128 v[121:124], v173 offset:1408
	s_waitcnt vmcnt(57) lgkmcnt(1)
	v_mul_f64 v[205:206], v[1:2], v[137:138]
	v_mul_f64 v[137:138], v[3:4], v[137:138]
	s_waitcnt vmcnt(56)
	v_fma_f64 v[194:195], v[5:6], v[203:204], -v[194:195]
	v_add_f64 v[125:126], v[125:126], v[184:185]
	v_fma_f64 v[184:185], v[7:8], v[203:204], v[190:191]
	v_add_f64 v[127:128], v[127:128], v[167:168]
	s_clause 0x2
	buffer_load_dword v179, off, s[0:3], 0 offset:764
	buffer_load_dword v168, off, s[0:3], 0 offset:740
	buffer_load_dword v167, off, s[0:3], 0 offset:736
	ds_read_b128 v[5:8], v173 offset:1424
	s_waitcnt vmcnt(58) lgkmcnt(1)
	v_mul_f64 v[190:191], v[121:122], v[186:187]
	v_mul_f64 v[186:187], v[123:124], v[186:187]
	s_waitcnt vmcnt(56)
	v_fma_f64 v[137:138], v[1:2], v[131:132], -v[137:138]
	v_fma_f64 v[131:132], v[3:4], v[131:132], v[205:206]
	v_add_f64 v[125:126], v[125:126], v[194:195]
	v_add_f64 v[127:128], v[127:128], v[184:185]
	s_clause 0x4
	buffer_load_dword v185, off, s[0:3], 0 offset:780
	buffer_load_dword v194, off, s[0:3], 0 offset:792
	buffer_load_dword v198, off, s[0:3], 0 offset:784
	buffer_load_dword v184, off, s[0:3], 0 offset:776
	buffer_load_dword v202, off, s[0:3], 0 offset:756
	ds_read_b128 v[1:4], v173 offset:1440
	s_waitcnt vmcnt(57) lgkmcnt(1)
	v_mul_f64 v[203:204], v[5:6], v[174:175]
	v_mul_f64 v[174:175], v[7:8], v[174:175]
	s_waitcnt vmcnt(56)
	v_fma_f64 v[186:187], v[121:122], v[199:200], -v[186:187]
	v_add_f64 v[125:126], v[125:126], v[137:138]
	v_fma_f64 v[137:138], v[123:124], v[199:200], v[190:191]
	v_add_f64 v[127:128], v[127:128], v[131:132]
	s_clause 0x2
	buffer_load_dword v195, off, s[0:3], 0 offset:796
	buffer_load_dword v132, off, s[0:3], 0 offset:772
	buffer_load_dword v131, off, s[0:3], 0 offset:768
	ds_read_b128 v[121:124], v173 offset:1456
	s_waitcnt vmcnt(58) lgkmcnt(1)
	v_mul_f64 v[190:191], v[1:2], v[176:177]
	v_mul_f64 v[176:177], v[3:4], v[176:177]
	s_waitcnt vmcnt(56)
	v_fma_f64 v[174:175], v[5:6], v[133:134], -v[174:175]
	v_fma_f64 v[133:134], v[7:8], v[133:134], v[203:204]
	v_add_f64 v[125:126], v[125:126], v[186:187]
	;; [unrolled: 28-line block ×3, first 2 shown]
	v_add_f64 v[127:128], v[127:128], v[174:175]
	s_clause 0x4
	buffer_load_dword v175, off, s[0:3], 0 offset:844
	buffer_load_dword v176, off, s[0:3], 0 offset:856
	;; [unrolled: 1-line block ×5, first 2 shown]
	ds_read_b128 v[121:124], v173 offset:1504
	s_waitcnt vmcnt(57) lgkmcnt(1)
	v_mul_f64 v[205:206], v[1:2], v[135:136]
	v_mul_f64 v[135:136], v[3:4], v[135:136]
	s_waitcnt vmcnt(56)
	v_fma_f64 v[149:150], v[5:6], v[182:183], -v[149:150]
	v_add_f64 v[125:126], v[125:126], v[129:130]
	v_fma_f64 v[129:130], v[7:8], v[182:183], v[188:189]
	v_add_f64 v[127:128], v[127:128], v[139:140]
	s_clause 0x2
	buffer_load_dword v177, off, s[0:3], 0 offset:860
	buffer_load_dword v140, off, s[0:3], 0 offset:836
	;; [unrolled: 1-line block ×3, first 2 shown]
	s_waitcnt vmcnt(58) lgkmcnt(0)
	v_mul_f64 v[182:183], v[121:122], v[155:156]
	v_mul_f64 v[155:156], v[123:124], v[155:156]
	ds_read_b128 v[5:8], v173 offset:1520
	s_waitcnt vmcnt(56)
	v_fma_f64 v[135:136], v[1:2], v[145:146], -v[135:136]
	v_fma_f64 v[145:146], v[3:4], v[145:146], v[205:206]
	v_add_f64 v[125:126], v[125:126], v[149:150]
	v_add_f64 v[127:128], v[127:128], v[129:130]
	s_clause 0x4
	buffer_load_dword v130, off, s[0:3], 0 offset:876
	buffer_load_dword v149, off, s[0:3], 0 offset:888
	;; [unrolled: 1-line block ×5, first 2 shown]
	ds_read_b128 v[1:4], v173 offset:1536
	s_waitcnt vmcnt(57) lgkmcnt(1)
	v_mul_f64 v[205:206], v[5:6], v[141:142]
	v_mul_f64 v[141:142], v[7:8], v[141:142]
	s_waitcnt vmcnt(56)
	v_fma_f64 v[155:156], v[121:122], v[157:158], -v[155:156]
	v_add_f64 v[125:126], v[125:126], v[135:136]
	v_fma_f64 v[135:136], v[123:124], v[157:158], v[182:183]
	v_add_f64 v[127:128], v[127:128], v[145:146]
	s_clause 0x2
	buffer_load_dword v150, off, s[0:3], 0 offset:892
	buffer_load_dword v146, off, s[0:3], 0 offset:868
	;; [unrolled: 1-line block ×3, first 2 shown]
	ds_read_b128 v[121:124], v173 offset:1552
	s_waitcnt vmcnt(58) lgkmcnt(1)
	v_mul_f64 v[157:158], v[1:2], v[163:164]
	v_mul_f64 v[163:164], v[3:4], v[163:164]
	s_waitcnt vmcnt(56)
	v_fma_f64 v[141:142], v[5:6], v[143:144], -v[141:142]
	v_fma_f64 v[143:144], v[7:8], v[143:144], v[205:206]
	v_add_f64 v[125:126], v[125:126], v[155:156]
	v_add_f64 v[127:128], v[127:128], v[135:136]
	s_clause 0x2
	buffer_load_dword v136, off, s[0:3], 0 offset:908
	buffer_load_dword v135, off, s[0:3], 0 offset:904
	;; [unrolled: 1-line block ×3, first 2 shown]
	ds_read_b128 v[5:8], v173 offset:1568
	s_waitcnt vmcnt(55) lgkmcnt(1)
	v_mul_f64 v[155:156], v[121:122], v[147:148]
	v_mul_f64 v[147:148], v[123:124], v[147:148]
	s_waitcnt vmcnt(54)
	v_fma_f64 v[163:164], v[1:2], v[165:166], -v[163:164]
	v_add_f64 v[125:126], v[125:126], v[141:142]
	v_fma_f64 v[141:142], v[3:4], v[165:166], v[157:158]
	v_add_f64 v[127:128], v[127:128], v[143:144]
	s_clause 0x1
	buffer_load_dword v144, off, s[0:3], 0 offset:900
	buffer_load_dword v143, off, s[0:3], 0 offset:896
	ds_read_b128 v[1:4], v173 offset:1584
	s_waitcnt vmcnt(55) lgkmcnt(1)
	v_mul_f64 v[165:166], v[7:8], v[169:170]
	v_mul_f64 v[157:158], v[5:6], v[169:170]
	s_waitcnt vmcnt(53)
	v_fma_f64 v[147:148], v[121:122], v[151:152], -v[147:148]
	v_fma_f64 v[151:152], v[123:124], v[151:152], v[155:156]
	ds_read_b128 v[121:124], v173 offset:1600
	v_add_f64 v[125:126], v[125:126], v[163:164]
	v_add_f64 v[127:128], v[127:128], v[141:142]
	s_waitcnt vmcnt(49) lgkmcnt(1)
	v_mul_f64 v[141:142], v[1:2], v[153:154]
	v_mul_f64 v[153:154], v[3:4], v[153:154]
	s_waitcnt vmcnt(48)
	v_fma_f64 v[155:156], v[5:6], v[171:172], -v[165:166]
	v_add_f64 v[125:126], v[125:126], v[147:148]
	v_fma_f64 v[147:148], v[7:8], v[171:172], v[157:158]
	v_add_f64 v[127:128], v[127:128], v[151:152]
	s_clause 0x3
	buffer_load_dword v151, off, s[0:3], 0 offset:192
	buffer_load_dword v152, off, s[0:3], 0 offset:196
	;; [unrolled: 1-line block ×4, first 2 shown]
	ds_read_b128 v[5:8], v173 offset:1616
	s_waitcnt vmcnt(51) lgkmcnt(1)
	v_mul_f64 v[165:166], v[123:124], v[192:193]
	v_mul_f64 v[163:164], v[121:122], v[192:193]
	s_waitcnt vmcnt(49)
	v_fma_f64 v[153:154], v[1:2], v[159:160], -v[153:154]
	v_fma_f64 v[141:142], v[3:4], v[159:160], v[141:142]
	ds_read_b128 v[1:4], v173 offset:1632
	v_add_f64 v[125:126], v[125:126], v[155:156]
	v_add_f64 v[127:128], v[127:128], v[147:148]
	s_waitcnt vmcnt(45) lgkmcnt(1)
	v_mul_f64 v[155:156], v[7:8], v[161:162]
	s_waitcnt vmcnt(44)
	v_fma_f64 v[159:160], v[121:122], v[196:197], -v[165:166]
	v_mul_f64 v[147:148], v[5:6], v[161:162]
	v_add_f64 v[125:126], v[125:126], v[153:154]
	v_fma_f64 v[153:154], v[123:124], v[196:197], v[163:164]
	v_add_f64 v[127:128], v[127:128], v[141:142]
	ds_read_b128 v[121:124], v173 offset:1648
	s_waitcnt vmcnt(43) lgkmcnt(1)
	v_mul_f64 v[161:162], v[3:4], v[178:179]
	v_mul_f64 v[141:142], v[1:2], v[178:179]
	s_waitcnt vmcnt(41)
	v_fma_f64 v[155:156], v[5:6], v[167:168], -v[155:156]
	v_fma_f64 v[147:148], v[7:8], v[167:168], v[147:148]
	ds_read_b128 v[5:8], v173 offset:1664
	v_add_f64 v[125:126], v[125:126], v[159:160]
	v_add_f64 v[127:128], v[127:128], v[153:154]
	s_waitcnt vmcnt(37) lgkmcnt(1)
	v_mul_f64 v[159:160], v[123:124], v[184:185]
	s_waitcnt vmcnt(36)
	v_fma_f64 v[161:162], v[1:2], v[201:202], -v[161:162]
	v_mul_f64 v[153:154], v[121:122], v[184:185]
	v_fma_f64 v[141:142], v[3:4], v[201:202], v[141:142]
	ds_read_b128 v[1:4], v173 offset:1680
	v_add_f64 v[125:126], v[125:126], v[155:156]
	v_add_f64 v[127:128], v[127:128], v[147:148]
	s_waitcnt vmcnt(35) lgkmcnt(1)
	v_mul_f64 v[155:156], v[7:8], v[194:195]
	v_mul_f64 v[147:148], v[5:6], v[194:195]
	s_waitcnt vmcnt(33)
	v_fma_f64 v[159:160], v[121:122], v[131:132], -v[159:160]
	v_fma_f64 v[131:132], v[123:124], v[131:132], v[153:154]
	ds_read_b128 v[121:124], v173 offset:1696
	v_add_f64 v[125:126], v[125:126], v[161:162]
	v_add_f64 v[127:128], v[127:128], v[141:142]
	s_waitcnt vmcnt(29) lgkmcnt(1)
	v_mul_f64 v[141:142], v[1:2], v[137:138]
	v_mul_f64 v[137:138], v[3:4], v[137:138]
	s_waitcnt vmcnt(28)
	v_fma_f64 v[153:154], v[5:6], v[198:199], -v[155:156]
	;; [unrolled: 9-line block ×3, first 2 shown]
	v_fma_f64 v[133:134], v[3:4], v[133:134], v[141:142]
	ds_read_b128 v[1:4], v173 offset:1728
	v_add_f64 v[125:126], v[125:126], v[153:154]
	v_add_f64 v[127:128], v[127:128], v[147:148]
	s_waitcnt vmcnt(21) lgkmcnt(1)
	v_mul_f64 v[147:148], v[7:8], v[174:175]
	s_waitcnt vmcnt(20)
	v_fma_f64 v[153:154], v[121:122], v[203:204], -v[155:156]
	v_mul_f64 v[141:142], v[5:6], v[174:175]
	v_fma_f64 v[131:132], v[123:124], v[203:204], v[131:132]
	ds_read_b128 v[121:124], v173 offset:1744
	v_add_f64 v[125:126], v[125:126], v[137:138]
	v_add_f64 v[127:128], v[127:128], v[133:134]
	s_waitcnt vmcnt(19) lgkmcnt(1)
	v_mul_f64 v[137:138], v[3:4], v[176:177]
	v_mul_f64 v[133:134], v[1:2], v[176:177]
	s_waitcnt vmcnt(17)
	v_fma_f64 v[147:148], v[5:6], v[139:140], -v[147:148]
	v_fma_f64 v[139:140], v[7:8], v[139:140], v[141:142]
	ds_read_b128 v[5:8], v173 offset:1760
	v_add_f64 v[125:126], v[125:126], v[153:154]
	v_add_f64 v[127:128], v[127:128], v[131:132]
	s_waitcnt vmcnt(13) lgkmcnt(1)
	v_mul_f64 v[131:132], v[121:122], v[129:130]
	v_mul_f64 v[129:130], v[123:124], v[129:130]
	s_waitcnt vmcnt(12)
	v_fma_f64 v[137:138], v[1:2], v[190:191], -v[137:138]
	;; [unrolled: 9-line block ×3, first 2 shown]
	v_fma_f64 v[123:124], v[123:124], v[145:146], v[131:132]
	v_add_f64 v[125:126], v[125:126], v[137:138]
	v_add_f64 v[127:128], v[127:128], v[133:134]
	s_waitcnt vmcnt(7) lgkmcnt(0)
	v_mul_f64 v[131:132], v[3:4], v[135:136]
	s_waitcnt vmcnt(6)
	v_fma_f64 v[5:6], v[5:6], v[188:189], -v[141:142]
	v_mul_f64 v[129:130], v[1:2], v[135:136]
	v_fma_f64 v[7:8], v[7:8], v[188:189], v[139:140]
	v_add_f64 v[121:122], v[125:126], v[121:122]
	v_add_f64 v[123:124], v[127:128], v[123:124]
	s_waitcnt vmcnt(4)
	v_fma_f64 v[1:2], v[1:2], v[143:144], -v[131:132]
	v_fma_f64 v[3:4], v[3:4], v[143:144], v[129:130]
	v_add_f64 v[5:6], v[121:122], v[5:6]
	v_add_f64 v[7:8], v[123:124], v[7:8]
	;; [unrolled: 1-line block ×4, first 2 shown]
	s_waitcnt vmcnt(2)
	v_add_f64 v[1:2], v[151:152], -v[1:2]
	s_waitcnt vmcnt(0)
	v_add_f64 v[3:4], v[157:158], -v[3:4]
	buffer_store_dword v2, off, s[0:3], 0 offset:196
	buffer_store_dword v1, off, s[0:3], 0 offset:192
	;; [unrolled: 1-line block ×4, first 2 shown]
	v_cmpx_lt_u32_e32 10, v0
	s_cbranch_execz .LBB119_329
; %bb.328:
	v_mov_b32_e32 v4, s58
	v_mov_b32_e32 v5, 0
	s_clause 0x3
	buffer_load_dword v1, v4, s[0:3], 0 offen
	buffer_load_dword v2, v4, s[0:3], 0 offen offset:4
	buffer_load_dword v3, v4, s[0:3], 0 offen offset:8
	;; [unrolled: 1-line block ×3, first 2 shown]
	buffer_store_dword v5, off, s[0:3], 0 offset:176
	buffer_store_dword v5, off, s[0:3], 0 offset:180
	;; [unrolled: 1-line block ×4, first 2 shown]
	s_waitcnt vmcnt(0)
	ds_write_b128 v181, v[1:4]
.LBB119_329:
	s_or_b32 exec_lo, exec_lo, s4
	s_waitcnt lgkmcnt(0)
	s_waitcnt_vscnt null, 0x0
	s_barrier
	buffer_gl0_inv
	s_clause 0x37
	buffer_load_dword v125, off, s[0:3], 0 offset:200
	buffer_load_dword v126, off, s[0:3], 0 offset:204
	;; [unrolled: 1-line block ×56, first 2 shown]
	v_mov_b32_e32 v182, 0
	s_mov_b32 s4, exec_lo
	ds_read_b128 v[177:180], v182 offset:1072
	s_clause 0x2
	buffer_load_dword v174, off, s[0:3], 0 offset:428
	buffer_load_dword v176, off, s[0:3], 0 offset:404
	;; [unrolled: 1-line block ×3, first 2 shown]
	ds_read_b128 v[1:4], v182 offset:1088
	s_clause 0x4
	buffer_load_dword v190, off, s[0:3], 0 offset:444
	buffer_load_dword v191, off, s[0:3], 0 offset:456
	;; [unrolled: 1-line block ×5, first 2 shown]
	ds_read_b128 v[183:186], v182 offset:1104
	s_waitcnt vmcnt(62) lgkmcnt(2)
	v_mul_f64 v[187:188], v[179:180], v[125:126]
	v_mul_f64 v[125:126], v[177:178], v[125:126]
	s_waitcnt vmcnt(60) lgkmcnt(1)
	v_mul_f64 v[194:195], v[3:4], v[121:122]
	s_waitcnt vmcnt(56) lgkmcnt(0)
	v_mul_f64 v[196:197], v[183:184], v[7:8]
	v_mul_f64 v[7:8], v[185:186], v[7:8]
	v_fma_f64 v[177:178], v[177:178], v[123:124], -v[187:188]
	v_mul_f64 v[187:188], v[1:2], v[121:122]
	v_fma_f64 v[125:126], v[179:180], v[123:124], v[125:126]
	s_clause 0x2
	buffer_load_dword v192, off, s[0:3], 0 offset:460
	buffer_load_dword v180, off, s[0:3], 0 offset:436
	;; [unrolled: 1-line block ×3, first 2 shown]
	s_waitcnt vmcnt(57)
	v_fma_f64 v[198:199], v[1:2], v[5:6], -v[194:195]
	ds_read_b128 v[121:124], v182 offset:1120
	s_waitcnt vmcnt(51)
	v_fma_f64 v[183:184], v[183:184], v[141:142], -v[7:8]
	v_fma_f64 v[141:142], v[185:186], v[141:142], v[196:197]
	v_add_f64 v[177:178], v[177:178], 0
	v_fma_f64 v[5:6], v[3:4], v[5:6], v[187:188]
	v_add_f64 v[125:126], v[125:126], 0
	s_clause 0x4
	buffer_load_dword v188, off, s[0:3], 0 offset:476
	buffer_load_dword v195, off, s[0:3], 0 offset:488
	;; [unrolled: 1-line block ×5, first 2 shown]
	s_waitcnt lgkmcnt(0)
	v_mul_f64 v[201:202], v[121:122], v[129:130]
	v_mul_f64 v[129:130], v[123:124], v[129:130]
	ds_read_b128 v[1:4], v182 offset:1136
	s_clause 0x2
	buffer_load_dword v196, off, s[0:3], 0 offset:492
	buffer_load_dword v186, off, s[0:3], 0 offset:468
	;; [unrolled: 1-line block ×3, first 2 shown]
	v_add_f64 v[177:178], v[177:178], v[198:199]
	v_add_f64 v[125:126], v[125:126], v[5:6]
	ds_read_b128 v[5:8], v182 offset:1152
	s_waitcnt vmcnt(58) lgkmcnt(1)
	v_mul_f64 v[197:198], v[1:2], v[133:134]
	v_mul_f64 v[133:134], v[3:4], v[133:134]
	s_waitcnt vmcnt(56)
	v_fma_f64 v[129:130], v[121:122], v[135:136], -v[129:130]
	v_fma_f64 v[135:136], v[123:124], v[135:136], v[201:202]
	v_add_f64 v[177:178], v[177:178], v[183:184]
	s_waitcnt vmcnt(52) lgkmcnt(0)
	v_mul_f64 v[203:204], v[5:6], v[137:138]
	v_add_f64 v[125:126], v[125:126], v[141:142]
	s_clause 0x4
	buffer_load_dword v142, off, s[0:3], 0 offset:508
	buffer_load_dword v183, off, s[0:3], 0 offset:520
	;; [unrolled: 1-line block ×5, first 2 shown]
	v_mul_f64 v[137:138], v[7:8], v[137:138]
	s_waitcnt vmcnt(56)
	v_fma_f64 v[133:134], v[1:2], v[127:128], -v[133:134]
	ds_read_b128 v[121:124], v182 offset:1168
	v_fma_f64 v[127:128], v[3:4], v[127:128], v[197:198]
	v_add_f64 v[129:130], v[177:178], v[129:130]
	v_add_f64 v[125:126], v[125:126], v[135:136]
	s_clause 0x2
	buffer_load_dword v184, off, s[0:3], 0 offset:524
	buffer_load_dword v136, off, s[0:3], 0 offset:500
	;; [unrolled: 1-line block ×3, first 2 shown]
	s_waitcnt vmcnt(58) lgkmcnt(0)
	v_mul_f64 v[177:178], v[121:122], v[143:144]
	v_mul_f64 v[143:144], v[123:124], v[143:144]
	s_waitcnt vmcnt(56)
	v_fma_f64 v[137:138], v[5:6], v[145:146], -v[137:138]
	ds_read_b128 v[1:4], v182 offset:1184
	v_add_f64 v[129:130], v[129:130], v[133:134]
	v_fma_f64 v[133:134], v[7:8], v[145:146], v[203:204]
	v_add_f64 v[125:126], v[125:126], v[127:128]
	s_clause 0x4
	buffer_load_dword v128, off, s[0:3], 0 offset:540
	buffer_load_dword v145, off, s[0:3], 0 offset:552
	;; [unrolled: 1-line block ×5, first 2 shown]
	ds_read_b128 v[5:8], v182 offset:1200
	s_waitcnt vmcnt(57) lgkmcnt(1)
	v_mul_f64 v[198:199], v[1:2], v[147:148]
	v_mul_f64 v[147:148], v[3:4], v[147:148]
	s_waitcnt vmcnt(56)
	v_fma_f64 v[143:144], v[121:122], v[131:132], -v[143:144]
	v_fma_f64 v[131:132], v[123:124], v[131:132], v[177:178]
	v_add_f64 v[129:130], v[129:130], v[137:138]
	v_add_f64 v[125:126], v[125:126], v[133:134]
	s_clause 0x2
	buffer_load_dword v146, off, s[0:3], 0 offset:556
	buffer_load_dword v134, off, s[0:3], 0 offset:532
	;; [unrolled: 1-line block ×3, first 2 shown]
	s_waitcnt vmcnt(58) lgkmcnt(0)
	v_mul_f64 v[137:138], v[5:6], v[151:152]
	v_mul_f64 v[151:152], v[7:8], v[151:152]
	s_waitcnt vmcnt(56)
	v_fma_f64 v[147:148], v[1:2], v[153:154], -v[147:148]
	ds_read_b128 v[121:124], v182 offset:1216
	v_add_f64 v[129:130], v[129:130], v[143:144]
	v_fma_f64 v[143:144], v[3:4], v[153:154], v[198:199]
	v_add_f64 v[125:126], v[125:126], v[131:132]
	s_clause 0x4
	buffer_load_dword v132, off, s[0:3], 0 offset:572
	buffer_load_dword v153, off, s[0:3], 0 offset:584
	;; [unrolled: 1-line block ×5, first 2 shown]
	ds_read_b128 v[1:4], v182 offset:1232
	s_waitcnt vmcnt(57) lgkmcnt(1)
	v_mul_f64 v[204:205], v[121:122], v[155:156]
	v_mul_f64 v[155:156], v[123:124], v[155:156]
	s_waitcnt vmcnt(56)
	v_fma_f64 v[151:152], v[5:6], v[139:140], -v[151:152]
	v_fma_f64 v[137:138], v[7:8], v[139:140], v[137:138]
	s_clause 0x2
	buffer_load_dword v154, off, s[0:3], 0 offset:588
	buffer_load_dword v140, off, s[0:3], 0 offset:564
	;; [unrolled: 1-line block ×3, first 2 shown]
	ds_read_b128 v[5:8], v182 offset:1248
	v_add_f64 v[129:130], v[129:130], v[147:148]
	v_add_f64 v[125:126], v[125:126], v[143:144]
	s_waitcnt vmcnt(58) lgkmcnt(1)
	v_mul_f64 v[147:148], v[3:4], v[159:160]
	v_mul_f64 v[143:144], v[1:2], v[159:160]
	s_waitcnt vmcnt(56)
	v_fma_f64 v[155:156], v[121:122], v[161:162], -v[155:156]
	v_add_f64 v[129:130], v[129:130], v[151:152]
	v_fma_f64 v[151:152], v[123:124], v[161:162], v[204:205]
	v_add_f64 v[125:126], v[125:126], v[137:138]
	s_clause 0x4
	buffer_load_dword v138, off, s[0:3], 0 offset:604
	buffer_load_dword v159, off, s[0:3], 0 offset:616
	;; [unrolled: 1-line block ×5, first 2 shown]
	s_waitcnt vmcnt(57) lgkmcnt(0)
	v_mul_f64 v[204:205], v[5:6], v[163:164]
	v_mul_f64 v[162:163], v[7:8], v[163:164]
	s_waitcnt vmcnt(56)
	v_fma_f64 v[147:148], v[1:2], v[149:150], -v[147:148]
	ds_read_b128 v[121:124], v182 offset:1264
	v_fma_f64 v[143:144], v[3:4], v[149:150], v[143:144]
	s_clause 0x2
	buffer_load_dword v160, off, s[0:3], 0 offset:620
	buffer_load_dword v150, off, s[0:3], 0 offset:596
	;; [unrolled: 1-line block ×3, first 2 shown]
	ds_read_b128 v[1:4], v182 offset:1280
	v_add_f64 v[129:130], v[129:130], v[155:156]
	v_add_f64 v[125:126], v[125:126], v[151:152]
	s_waitcnt vmcnt(58) lgkmcnt(1)
	v_mul_f64 v[155:156], v[123:124], v[167:168]
	s_waitcnt vmcnt(56)
	v_fma_f64 v[163:164], v[5:6], v[169:170], -v[162:163]
	v_mul_f64 v[151:152], v[121:122], v[167:168]
	v_add_f64 v[129:130], v[129:130], v[147:148]
	v_fma_f64 v[147:148], v[7:8], v[169:170], v[204:205]
	v_add_f64 v[125:126], v[125:126], v[143:144]
	s_clause 0x4
	buffer_load_dword v144, off, s[0:3], 0 offset:636
	buffer_load_dword v167, off, s[0:3], 0 offset:648
	;; [unrolled: 1-line block ×5, first 2 shown]
	s_waitcnt vmcnt(57) lgkmcnt(0)
	v_mul_f64 v[204:205], v[1:2], v[171:172]
	v_mul_f64 v[170:171], v[3:4], v[171:172]
	s_waitcnt vmcnt(56)
	v_fma_f64 v[155:156], v[121:122], v[157:158], -v[155:156]
	ds_read_b128 v[5:8], v182 offset:1296
	v_fma_f64 v[151:152], v[123:124], v[157:158], v[151:152]
	v_add_f64 v[129:130], v[129:130], v[163:164]
	v_add_f64 v[125:126], v[125:126], v[147:148]
	s_clause 0x2
	buffer_load_dword v168, off, s[0:3], 0 offset:652
	buffer_load_dword v148, off, s[0:3], 0 offset:628
	;; [unrolled: 1-line block ×3, first 2 shown]
	ds_read_b128 v[121:124], v182 offset:1312
	s_waitcnt vmcnt(58) lgkmcnt(1)
	v_mul_f64 v[163:164], v[7:8], v[173:174]
	s_waitcnt vmcnt(56)
	v_fma_f64 v[171:172], v[1:2], v[175:176], -v[170:171]
	v_mul_f64 v[157:158], v[5:6], v[173:174]
	v_add_f64 v[129:130], v[129:130], v[155:156]
	v_fma_f64 v[155:156], v[3:4], v[175:176], v[204:205]
	v_add_f64 v[125:126], v[125:126], v[151:152]
	s_clause 0x4
	buffer_load_dword v152, off, s[0:3], 0 offset:668
	buffer_load_dword v173, off, s[0:3], 0 offset:680
	;; [unrolled: 1-line block ×5, first 2 shown]
	s_waitcnt vmcnt(57) lgkmcnt(0)
	v_mul_f64 v[204:205], v[121:122], v[189:190]
	v_mul_f64 v[189:190], v[123:124], v[189:190]
	s_waitcnt vmcnt(56)
	v_fma_f64 v[163:164], v[5:6], v[165:166], -v[163:164]
	ds_read_b128 v[1:4], v182 offset:1328
	v_fma_f64 v[157:158], v[7:8], v[165:166], v[157:158]
	v_add_f64 v[129:130], v[129:130], v[171:172]
	v_add_f64 v[125:126], v[125:126], v[155:156]
	s_clause 0x2
	buffer_load_dword v174, off, s[0:3], 0 offset:684
	buffer_load_dword v156, off, s[0:3], 0 offset:660
	;; [unrolled: 1-line block ×3, first 2 shown]
	ds_read_b128 v[5:8], v182 offset:1344
	s_waitcnt vmcnt(58) lgkmcnt(1)
	v_mul_f64 v[171:172], v[3:4], v[191:192]
	v_mul_f64 v[165:166], v[1:2], v[191:192]
	s_waitcnt vmcnt(56)
	v_fma_f64 v[189:190], v[121:122], v[179:180], -v[189:190]
	v_add_f64 v[129:130], v[129:130], v[163:164]
	v_fma_f64 v[163:164], v[123:124], v[179:180], v[204:205]
	v_add_f64 v[125:126], v[125:126], v[157:158]
	s_clause 0x4
	buffer_load_dword v158, off, s[0:3], 0 offset:700
	buffer_load_dword v179, off, s[0:3], 0 offset:712
	;; [unrolled: 1-line block ×5, first 2 shown]
	ds_read_b128 v[121:124], v182 offset:1360
	s_waitcnt vmcnt(57) lgkmcnt(1)
	v_mul_f64 v[204:205], v[5:6], v[187:188]
	v_mul_f64 v[187:188], v[7:8], v[187:188]
	s_waitcnt vmcnt(56)
	v_fma_f64 v[171:172], v[1:2], v[193:194], -v[171:172]
	v_fma_f64 v[165:166], v[3:4], v[193:194], v[165:166]
	v_add_f64 v[129:130], v[129:130], v[189:190]
	v_add_f64 v[125:126], v[125:126], v[163:164]
	s_clause 0x2
	buffer_load_dword v180, off, s[0:3], 0 offset:716
	buffer_load_dword v164, off, s[0:3], 0 offset:692
	;; [unrolled: 1-line block ×3, first 2 shown]
	s_waitcnt vmcnt(58) lgkmcnt(0)
	v_mul_f64 v[193:194], v[123:124], v[195:196]
	ds_read_b128 v[1:4], v182 offset:1376
	v_mul_f64 v[189:190], v[121:122], v[195:196]
	s_waitcnt vmcnt(56)
	v_fma_f64 v[187:188], v[5:6], v[185:186], -v[187:188]
	v_add_f64 v[129:130], v[129:130], v[171:172]
	v_fma_f64 v[171:172], v[7:8], v[185:186], v[204:205]
	v_add_f64 v[125:126], v[125:126], v[165:166]
	s_clause 0x4
	buffer_load_dword v166, off, s[0:3], 0 offset:732
	buffer_load_dword v185, off, s[0:3], 0 offset:744
	;; [unrolled: 1-line block ×5, first 2 shown]
	ds_read_b128 v[5:8], v182 offset:1392
	s_waitcnt vmcnt(57) lgkmcnt(1)
	v_mul_f64 v[204:205], v[1:2], v[141:142]
	v_mul_f64 v[141:142], v[3:4], v[141:142]
	s_waitcnt vmcnt(56)
	v_fma_f64 v[193:194], v[121:122], v[200:201], -v[193:194]
	v_add_f64 v[129:130], v[129:130], v[187:188]
	v_fma_f64 v[187:188], v[123:124], v[200:201], v[189:190]
	v_add_f64 v[125:126], v[125:126], v[171:172]
	s_clause 0x2
	buffer_load_dword v186, off, s[0:3], 0 offset:748
	buffer_load_dword v172, off, s[0:3], 0 offset:724
	buffer_load_dword v171, off, s[0:3], 0 offset:720
	ds_read_b128 v[121:124], v182 offset:1408
	s_waitcnt vmcnt(58) lgkmcnt(1)
	v_mul_f64 v[189:190], v[5:6], v[183:184]
	v_mul_f64 v[183:184], v[7:8], v[183:184]
	s_waitcnt vmcnt(56)
	v_fma_f64 v[141:142], v[1:2], v[135:136], -v[141:142]
	v_fma_f64 v[135:136], v[3:4], v[135:136], v[204:205]
	v_add_f64 v[129:130], v[129:130], v[193:194]
	v_add_f64 v[125:126], v[125:126], v[187:188]
	s_clause 0x4
	buffer_load_dword v188, off, s[0:3], 0 offset:764
	buffer_load_dword v193, off, s[0:3], 0 offset:776
	;; [unrolled: 1-line block ×5, first 2 shown]
	ds_read_b128 v[1:4], v182 offset:1424
	s_waitcnt vmcnt(57) lgkmcnt(1)
	v_mul_f64 v[200:201], v[121:122], v[127:128]
	v_mul_f64 v[127:128], v[123:124], v[127:128]
	s_waitcnt vmcnt(56)
	v_fma_f64 v[183:184], v[5:6], v[202:203], -v[183:184]
	v_add_f64 v[129:130], v[129:130], v[141:142]
	v_fma_f64 v[141:142], v[7:8], v[202:203], v[189:190]
	v_add_f64 v[125:126], v[125:126], v[135:136]
	s_clause 0x2
	buffer_load_dword v194, off, s[0:3], 0 offset:780
	buffer_load_dword v136, off, s[0:3], 0 offset:756
	;; [unrolled: 1-line block ×3, first 2 shown]
	ds_read_b128 v[5:8], v182 offset:1440
	s_waitcnt vmcnt(58) lgkmcnt(1)
	v_mul_f64 v[189:190], v[1:2], v[145:146]
	v_mul_f64 v[145:146], v[3:4], v[145:146]
	s_waitcnt vmcnt(56)
	v_fma_f64 v[127:128], v[121:122], v[133:134], -v[127:128]
	v_fma_f64 v[133:134], v[123:124], v[133:134], v[200:201]
	v_add_f64 v[129:130], v[129:130], v[183:184]
	v_add_f64 v[125:126], v[125:126], v[141:142]
	s_clause 0x4
	buffer_load_dword v142, off, s[0:3], 0 offset:796
	buffer_load_dword v183, off, s[0:3], 0 offset:808
	;; [unrolled: 1-line block ×5, first 2 shown]
	ds_read_b128 v[121:124], v182 offset:1456
	s_waitcnt vmcnt(57) lgkmcnt(1)
	v_mul_f64 v[202:203], v[5:6], v[131:132]
	v_mul_f64 v[131:132], v[7:8], v[131:132]
	s_waitcnt vmcnt(56)
	v_fma_f64 v[145:146], v[1:2], v[197:198], -v[145:146]
	v_add_f64 v[127:128], v[129:130], v[127:128]
	v_fma_f64 v[129:130], v[3:4], v[197:198], v[189:190]
	v_add_f64 v[125:126], v[125:126], v[133:134]
	s_clause 0x2
	buffer_load_dword v184, off, s[0:3], 0 offset:812
	buffer_load_dword v134, off, s[0:3], 0 offset:788
	;; [unrolled: 1-line block ×3, first 2 shown]
	s_waitcnt vmcnt(58) lgkmcnt(0)
	v_mul_f64 v[189:190], v[121:122], v[153:154]
	v_mul_f64 v[153:154], v[123:124], v[153:154]
	ds_read_b128 v[1:4], v182 offset:1472
	s_waitcnt vmcnt(56)
	v_fma_f64 v[131:132], v[5:6], v[139:140], -v[131:132]
	v_fma_f64 v[139:140], v[7:8], v[139:140], v[202:203]
	v_add_f64 v[127:128], v[127:128], v[145:146]
	v_add_f64 v[125:126], v[125:126], v[129:130]
	s_clause 0x4
	buffer_load_dword v130, off, s[0:3], 0 offset:828
	buffer_load_dword v145, off, s[0:3], 0 offset:840
	;; [unrolled: 1-line block ×5, first 2 shown]
	ds_read_b128 v[5:8], v182 offset:1488
	s_waitcnt vmcnt(57) lgkmcnt(1)
	v_mul_f64 v[203:204], v[1:2], v[137:138]
	v_mul_f64 v[137:138], v[3:4], v[137:138]
	s_waitcnt vmcnt(56)
	v_fma_f64 v[153:154], v[121:122], v[177:178], -v[153:154]
	v_add_f64 v[127:128], v[127:128], v[131:132]
	v_fma_f64 v[131:132], v[123:124], v[177:178], v[189:190]
	v_add_f64 v[125:126], v[125:126], v[139:140]
	s_clause 0x2
	buffer_load_dword v146, off, s[0:3], 0 offset:844
	buffer_load_dword v140, off, s[0:3], 0 offset:820
	;; [unrolled: 1-line block ×3, first 2 shown]
	s_waitcnt vmcnt(58) lgkmcnt(0)
	v_mul_f64 v[177:178], v[5:6], v[159:160]
	v_mul_f64 v[159:160], v[7:8], v[159:160]
	ds_read_b128 v[121:124], v182 offset:1504
	s_waitcnt vmcnt(56)
	v_fma_f64 v[137:138], v[1:2], v[149:150], -v[137:138]
	v_fma_f64 v[149:150], v[3:4], v[149:150], v[203:204]
	v_add_f64 v[127:128], v[127:128], v[153:154]
	v_add_f64 v[125:126], v[125:126], v[131:132]
	s_clause 0x4
	buffer_load_dword v132, off, s[0:3], 0 offset:860
	buffer_load_dword v153, off, s[0:3], 0 offset:872
	;; [unrolled: 1-line block ×5, first 2 shown]
	ds_read_b128 v[1:4], v182 offset:1520
	s_waitcnt vmcnt(57) lgkmcnt(1)
	v_mul_f64 v[203:204], v[121:122], v[143:144]
	v_mul_f64 v[143:144], v[123:124], v[143:144]
	s_waitcnt vmcnt(56)
	v_fma_f64 v[159:160], v[5:6], v[161:162], -v[159:160]
	v_add_f64 v[127:128], v[127:128], v[137:138]
	v_fma_f64 v[137:138], v[7:8], v[161:162], v[177:178]
	v_add_f64 v[125:126], v[125:126], v[149:150]
	s_clause 0x2
	buffer_load_dword v154, off, s[0:3], 0 offset:876
	buffer_load_dword v150, off, s[0:3], 0 offset:852
	;; [unrolled: 1-line block ×3, first 2 shown]
	ds_read_b128 v[5:8], v182 offset:1536
	s_waitcnt vmcnt(58) lgkmcnt(1)
	v_mul_f64 v[161:162], v[1:2], v[167:168]
	v_mul_f64 v[167:168], v[3:4], v[167:168]
	s_waitcnt vmcnt(56)
	v_fma_f64 v[143:144], v[121:122], v[147:148], -v[143:144]
	v_fma_f64 v[147:148], v[123:124], v[147:148], v[203:204]
	v_add_f64 v[127:128], v[127:128], v[159:160]
	v_add_f64 v[125:126], v[125:126], v[137:138]
	s_clause 0x4
	buffer_load_dword v138, off, s[0:3], 0 offset:892
	buffer_load_dword v159, off, s[0:3], 0 offset:904
	buffer_load_dword v177, off, s[0:3], 0 offset:896
	buffer_load_dword v137, off, s[0:3], 0 offset:888
	buffer_load_dword v190, off, s[0:3], 0 offset:868
	ds_read_b128 v[121:124], v182 offset:1552
	s_waitcnt vmcnt(57) lgkmcnt(1)
	v_mul_f64 v[203:204], v[5:6], v[151:152]
	v_mul_f64 v[151:152], v[7:8], v[151:152]
	s_waitcnt vmcnt(56)
	v_fma_f64 v[167:168], v[1:2], v[169:170], -v[167:168]
	v_add_f64 v[127:128], v[127:128], v[143:144]
	v_fma_f64 v[143:144], v[3:4], v[169:170], v[161:162]
	v_add_f64 v[125:126], v[125:126], v[147:148]
	s_clause 0x2
	buffer_load_dword v160, off, s[0:3], 0 offset:908
	buffer_load_dword v148, off, s[0:3], 0 offset:884
	;; [unrolled: 1-line block ×3, first 2 shown]
	ds_read_b128 v[1:4], v182 offset:1568
	buffer_load_dword v178, off, s[0:3], 0 offset:900
	s_waitcnt vmcnt(59) lgkmcnt(1)
	v_mul_f64 v[169:170], v[123:124], v[173:174]
	v_mul_f64 v[161:162], v[121:122], v[173:174]
	s_waitcnt vmcnt(57)
	v_fma_f64 v[151:152], v[5:6], v[155:156], -v[151:152]
	v_fma_f64 v[155:156], v[7:8], v[155:156], v[203:204]
	ds_read_b128 v[5:8], v182 offset:1584
	v_add_f64 v[127:128], v[127:128], v[167:168]
	v_add_f64 v[125:126], v[125:126], v[143:144]
	s_waitcnt vmcnt(53) lgkmcnt(1)
	v_mul_f64 v[143:144], v[1:2], v[157:158]
	v_mul_f64 v[157:158], v[3:4], v[157:158]
	s_waitcnt vmcnt(52)
	v_fma_f64 v[167:168], v[121:122], v[175:176], -v[169:170]
	v_add_f64 v[127:128], v[127:128], v[151:152]
	v_fma_f64 v[151:152], v[123:124], v[175:176], v[161:162]
	v_add_f64 v[125:126], v[125:126], v[155:156]
	ds_read_b128 v[121:124], v182 offset:1600
	s_waitcnt vmcnt(51) lgkmcnt(1)
	v_mul_f64 v[161:162], v[7:8], v[179:180]
	v_mul_f64 v[155:156], v[5:6], v[179:180]
	s_waitcnt vmcnt(49)
	v_fma_f64 v[157:158], v[1:2], v[163:164], -v[157:158]
	v_fma_f64 v[143:144], v[3:4], v[163:164], v[143:144]
	v_add_f64 v[127:128], v[127:128], v[167:168]
	v_add_f64 v[125:126], v[125:126], v[151:152]
	s_clause 0x3
	buffer_load_dword v151, off, s[0:3], 0 offset:176
	buffer_load_dword v152, off, s[0:3], 0 offset:180
	;; [unrolled: 1-line block ×4, first 2 shown]
	ds_read_b128 v[1:4], v182 offset:1616
	s_waitcnt vmcnt(49) lgkmcnt(1)
	v_mul_f64 v[167:168], v[121:122], v[165:166]
	v_mul_f64 v[165:166], v[123:124], v[165:166]
	s_waitcnt vmcnt(48)
	v_fma_f64 v[161:162], v[5:6], v[191:192], -v[161:162]
	v_fma_f64 v[155:156], v[7:8], v[191:192], v[155:156]
	ds_read_b128 v[5:8], v182 offset:1632
	v_add_f64 v[127:128], v[127:128], v[157:158]
	v_add_f64 v[125:126], v[125:126], v[143:144]
	s_waitcnt vmcnt(47) lgkmcnt(1)
	v_mul_f64 v[157:158], v[3:4], v[185:186]
	v_mul_f64 v[143:144], v[1:2], v[185:186]
	s_waitcnt vmcnt(45)
	v_fma_f64 v[165:166], v[121:122], v[171:172], -v[165:166]
	v_add_f64 v[127:128], v[127:128], v[161:162]
	v_fma_f64 v[161:162], v[123:124], v[171:172], v[167:168]
	v_add_f64 v[125:126], v[125:126], v[155:156]
	ds_read_b128 v[121:124], v182 offset:1648
	s_waitcnt vmcnt(41) lgkmcnt(1)
	v_mul_f64 v[167:168], v[7:8], v[187:188]
	s_waitcnt vmcnt(40)
	v_fma_f64 v[157:158], v[1:2], v[195:196], -v[157:158]
	v_mul_f64 v[155:156], v[5:6], v[187:188]
	v_fma_f64 v[143:144], v[3:4], v[195:196], v[143:144]
	ds_read_b128 v[1:4], v182 offset:1664
	v_add_f64 v[127:128], v[127:128], v[165:166]
	v_add_f64 v[125:126], v[125:126], v[161:162]
	s_waitcnt vmcnt(39) lgkmcnt(1)
	v_mul_f64 v[165:166], v[123:124], v[193:194]
	v_mul_f64 v[161:162], v[121:122], v[193:194]
	s_waitcnt vmcnt(37)
	v_fma_f64 v[167:168], v[5:6], v[135:136], -v[167:168]
	v_fma_f64 v[135:136], v[7:8], v[135:136], v[155:156]
	ds_read_b128 v[5:8], v182 offset:1680
	v_add_f64 v[127:128], v[127:128], v[157:158]
	v_add_f64 v[125:126], v[125:126], v[143:144]
	s_waitcnt vmcnt(33) lgkmcnt(1)
	v_mul_f64 v[143:144], v[1:2], v[141:142]
	v_mul_f64 v[141:142], v[3:4], v[141:142]
	s_waitcnt vmcnt(32)
	v_fma_f64 v[155:156], v[121:122], v[199:200], -v[165:166]
	v_fma_f64 v[157:158], v[123:124], v[199:200], v[161:162]
	ds_read_b128 v[121:124], v182 offset:1696
	v_add_f64 v[127:128], v[127:128], v[167:168]
	v_add_f64 v[125:126], v[125:126], v[135:136]
	s_waitcnt vmcnt(31) lgkmcnt(1)
	v_mul_f64 v[161:162], v[7:8], v[183:184]
	v_mul_f64 v[135:136], v[5:6], v[183:184]
	s_waitcnt vmcnt(29)
	v_fma_f64 v[141:142], v[1:2], v[133:134], -v[141:142]
	v_fma_f64 v[133:134], v[3:4], v[133:134], v[143:144]
	ds_read_b128 v[1:4], v182 offset:1712
	v_add_f64 v[127:128], v[127:128], v[155:156]
	v_add_f64 v[125:126], v[125:126], v[157:158]
	s_waitcnt vmcnt(25) lgkmcnt(1)
	v_mul_f64 v[143:144], v[121:122], v[129:130]
	v_mul_f64 v[129:130], v[123:124], v[129:130]
	s_waitcnt vmcnt(24)
	v_fma_f64 v[155:156], v[5:6], v[201:202], -v[161:162]
	v_fma_f64 v[135:136], v[7:8], v[201:202], v[135:136]
	ds_read_b128 v[5:8], v182 offset:1728
	v_add_f64 v[127:128], v[127:128], v[141:142]
	v_add_f64 v[125:126], v[125:126], v[133:134]
	s_waitcnt vmcnt(23) lgkmcnt(1)
	v_mul_f64 v[141:142], v[3:4], v[145:146]
	v_mul_f64 v[133:134], v[1:2], v[145:146]
	s_waitcnt vmcnt(21)
	v_fma_f64 v[129:130], v[121:122], v[139:140], -v[129:130]
	v_fma_f64 v[139:140], v[123:124], v[139:140], v[143:144]
	ds_read_b128 v[121:124], v182 offset:1744
	v_add_f64 v[127:128], v[127:128], v[155:156]
	v_add_f64 v[125:126], v[125:126], v[135:136]
	s_waitcnt vmcnt(17) lgkmcnt(1)
	v_mul_f64 v[135:136], v[5:6], v[131:132]
	v_mul_f64 v[131:132], v[7:8], v[131:132]
	s_waitcnt vmcnt(16)
	v_fma_f64 v[141:142], v[1:2], v[197:198], -v[141:142]
	v_add_f64 v[127:128], v[127:128], v[129:130]
	v_fma_f64 v[129:130], v[3:4], v[197:198], v[133:134]
	v_add_f64 v[125:126], v[125:126], v[139:140]
	ds_read_b128 v[1:4], v182 offset:1760
	s_waitcnt vmcnt(15) lgkmcnt(1)
	v_mul_f64 v[139:140], v[123:124], v[153:154]
	v_mul_f64 v[133:134], v[121:122], v[153:154]
	s_waitcnt vmcnt(13)
	v_fma_f64 v[131:132], v[5:6], v[149:150], -v[131:132]
	v_fma_f64 v[135:136], v[7:8], v[149:150], v[135:136]
	ds_read_b128 v[5:8], v182 offset:1776
	v_add_f64 v[127:128], v[127:128], v[141:142]
	v_add_f64 v[125:126], v[125:126], v[129:130]
	s_waitcnt vmcnt(9) lgkmcnt(1)
	v_mul_f64 v[129:130], v[1:2], v[137:138]
	v_mul_f64 v[137:138], v[3:4], v[137:138]
	s_waitcnt vmcnt(8)
	v_fma_f64 v[121:122], v[121:122], v[189:190], -v[139:140]
	v_fma_f64 v[123:124], v[123:124], v[189:190], v[133:134]
	v_add_f64 v[127:128], v[127:128], v[131:132]
	v_add_f64 v[125:126], v[125:126], v[135:136]
	s_waitcnt vmcnt(7) lgkmcnt(0)
	v_mul_f64 v[133:134], v[7:8], v[159:160]
	v_mul_f64 v[131:132], v[5:6], v[159:160]
	s_waitcnt vmcnt(5)
	v_fma_f64 v[1:2], v[1:2], v[147:148], -v[137:138]
	v_fma_f64 v[3:4], v[3:4], v[147:148], v[129:130]
	v_add_f64 v[121:122], v[127:128], v[121:122]
	v_add_f64 v[123:124], v[125:126], v[123:124]
	s_waitcnt vmcnt(4)
	v_fma_f64 v[5:6], v[5:6], v[177:178], -v[133:134]
	v_fma_f64 v[7:8], v[7:8], v[177:178], v[131:132]
	v_add_f64 v[1:2], v[121:122], v[1:2]
	v_add_f64 v[3:4], v[123:124], v[3:4]
	;; [unrolled: 1-line block ×4, first 2 shown]
	s_waitcnt vmcnt(2)
	v_add_f64 v[1:2], v[151:152], -v[1:2]
	s_waitcnt vmcnt(0)
	v_add_f64 v[3:4], v[163:164], -v[3:4]
	buffer_store_dword v2, off, s[0:3], 0 offset:180
	buffer_store_dword v1, off, s[0:3], 0 offset:176
	;; [unrolled: 1-line block ×4, first 2 shown]
	v_cmpx_lt_u32_e32 9, v0
	s_cbranch_execz .LBB119_331
; %bb.330:
	v_mov_b32_e32 v4, s59
	s_clause 0x3
	buffer_load_dword v1, v4, s[0:3], 0 offen
	buffer_load_dword v2, v4, s[0:3], 0 offen offset:4
	buffer_load_dword v3, v4, s[0:3], 0 offen offset:8
	;; [unrolled: 1-line block ×3, first 2 shown]
	buffer_store_dword v182, off, s[0:3], 0 offset:160
	buffer_store_dword v182, off, s[0:3], 0 offset:164
	;; [unrolled: 1-line block ×4, first 2 shown]
	s_waitcnt vmcnt(0)
	ds_write_b128 v181, v[1:4]
.LBB119_331:
	s_or_b32 exec_lo, exec_lo, s4
	s_waitcnt lgkmcnt(0)
	s_waitcnt_vscnt null, 0x0
	s_barrier
	buffer_gl0_inv
	s_clause 0x37
	buffer_load_dword v129, off, s[0:3], 0 offset:184
	buffer_load_dword v130, off, s[0:3], 0 offset:188
	buffer_load_dword v125, off, s[0:3], 0 offset:200
	buffer_load_dword v126, off, s[0:3], 0 offset:204
	buffer_load_dword v127, off, s[0:3], 0 offset:176
	buffer_load_dword v128, off, s[0:3], 0 offset:180
	buffer_load_dword v123, off, s[0:3], 0 offset:216
	buffer_load_dword v124, off, s[0:3], 0 offset:220
	buffer_load_dword v121, off, s[0:3], 0 offset:192
	buffer_load_dword v122, off, s[0:3], 0 offset:196
	buffer_load_dword v134, off, s[0:3], 0 offset:236
	buffer_load_dword v137, off, s[0:3], 0 offset:248
	buffer_load_dword v131, off, s[0:3], 0 offset:240
	buffer_load_dword v133, off, s[0:3], 0 offset:232
	buffer_load_dword v145, off, s[0:3], 0 offset:208
	buffer_load_dword v146, off, s[0:3], 0 offset:212
	buffer_load_dword v138, off, s[0:3], 0 offset:252
	buffer_load_dword v140, off, s[0:3], 0 offset:228
	buffer_load_dword v139, off, s[0:3], 0 offset:224
	buffer_load_dword v142, off, s[0:3], 0 offset:268
	buffer_load_dword v147, off, s[0:3], 0 offset:280
	buffer_load_dword v135, off, s[0:3], 0 offset:272
	buffer_load_dword v141, off, s[0:3], 0 offset:264
	buffer_load_dword v132, off, s[0:3], 0 offset:244
	buffer_load_dword v148, off, s[0:3], 0 offset:284
	buffer_load_dword v150, off, s[0:3], 0 offset:260
	buffer_load_dword v149, off, s[0:3], 0 offset:256
	buffer_load_dword v152, off, s[0:3], 0 offset:300
	buffer_load_dword v155, off, s[0:3], 0 offset:312
	buffer_load_dword v143, off, s[0:3], 0 offset:304
	buffer_load_dword v151, off, s[0:3], 0 offset:296
	buffer_load_dword v136, off, s[0:3], 0 offset:276
	buffer_load_dword v156, off, s[0:3], 0 offset:316
	buffer_load_dword v158, off, s[0:3], 0 offset:292
	buffer_load_dword v157, off, s[0:3], 0 offset:288
	buffer_load_dword v160, off, s[0:3], 0 offset:332
	buffer_load_dword v163, off, s[0:3], 0 offset:344
	buffer_load_dword v153, off, s[0:3], 0 offset:336
	buffer_load_dword v159, off, s[0:3], 0 offset:328
	buffer_load_dword v144, off, s[0:3], 0 offset:308
	buffer_load_dword v164, off, s[0:3], 0 offset:348
	buffer_load_dword v166, off, s[0:3], 0 offset:324
	buffer_load_dword v165, off, s[0:3], 0 offset:320
	buffer_load_dword v168, off, s[0:3], 0 offset:364
	buffer_load_dword v171, off, s[0:3], 0 offset:376
	buffer_load_dword v161, off, s[0:3], 0 offset:368
	buffer_load_dword v167, off, s[0:3], 0 offset:360
	buffer_load_dword v154, off, s[0:3], 0 offset:340
	buffer_load_dword v172, off, s[0:3], 0 offset:380
	buffer_load_dword v174, off, s[0:3], 0 offset:356
	buffer_load_dword v173, off, s[0:3], 0 offset:352
	buffer_load_dword v176, off, s[0:3], 0 offset:396
	buffer_load_dword v177, off, s[0:3], 0 offset:408
	buffer_load_dword v169, off, s[0:3], 0 offset:400
	buffer_load_dword v175, off, s[0:3], 0 offset:392
	buffer_load_dword v162, off, s[0:3], 0 offset:372
	ds_read_b128 v[5:8], v182 offset:1056
	s_clause 0x2
	buffer_load_dword v178, off, s[0:3], 0 offset:412
	buffer_load_dword v180, off, s[0:3], 0 offset:388
	;; [unrolled: 1-line block ×3, first 2 shown]
	ds_read_b128 v[1:4], v182 offset:1072
	s_clause 0x4
	buffer_load_dword v190, off, s[0:3], 0 offset:428
	buffer_load_dword v191, off, s[0:3], 0 offset:440
	;; [unrolled: 1-line block ×5, first 2 shown]
	ds_read_b128 v[183:186], v182 offset:1088
	s_mov_b32 s4, exec_lo
	s_waitcnt vmcnt(62) lgkmcnt(2)
	v_mul_f64 v[187:188], v[7:8], v[129:130]
	v_mul_f64 v[129:130], v[5:6], v[129:130]
	s_waitcnt vmcnt(60) lgkmcnt(1)
	v_mul_f64 v[194:195], v[3:4], v[125:126]
	v_mul_f64 v[125:126], v[1:2], v[125:126]
	;; [unrolled: 3-line block ×3, first 2 shown]
	v_fma_f64 v[187:188], v[5:6], v[127:128], -v[187:188]
	v_fma_f64 v[127:128], v[7:8], v[127:128], v[129:130]
	s_clause 0x2
	buffer_load_dword v192, off, s[0:3], 0 offset:444
	buffer_load_dword v130, off, s[0:3], 0 offset:420
	;; [unrolled: 1-line block ×3, first 2 shown]
	s_waitcnt vmcnt(57)
	v_fma_f64 v[198:199], v[1:2], v[121:122], -v[194:195]
	ds_read_b128 v[5:8], v182 offset:1104
	v_fma_f64 v[121:122], v[3:4], v[121:122], v[125:126]
	s_waitcnt vmcnt(51)
	v_fma_f64 v[183:184], v[183:184], v[145:146], -v[123:124]
	v_fma_f64 v[145:146], v[185:186], v[145:146], v[196:197]
	v_add_f64 v[187:188], v[187:188], 0
	v_add_f64 v[125:126], v[127:128], 0
	s_clause 0x4
	buffer_load_dword v128, off, s[0:3], 0 offset:460
	buffer_load_dword v195, off, s[0:3], 0 offset:472
	;; [unrolled: 1-line block ×5, first 2 shown]
	s_waitcnt lgkmcnt(0)
	v_mul_f64 v[201:202], v[5:6], v[133:134]
	v_mul_f64 v[133:134], v[7:8], v[133:134]
	ds_read_b128 v[1:4], v182 offset:1120
	s_clause 0x2
	buffer_load_dword v196, off, s[0:3], 0 offset:476
	buffer_load_dword v186, off, s[0:3], 0 offset:452
	;; [unrolled: 1-line block ×3, first 2 shown]
	v_add_f64 v[187:188], v[187:188], v[198:199]
	v_add_f64 v[125:126], v[125:126], v[121:122]
	ds_read_b128 v[121:124], v182 offset:1136
	s_waitcnt vmcnt(58) lgkmcnt(1)
	v_mul_f64 v[197:198], v[1:2], v[137:138]
	v_mul_f64 v[137:138], v[3:4], v[137:138]
	s_waitcnt vmcnt(56)
	v_fma_f64 v[133:134], v[5:6], v[139:140], -v[133:134]
	v_fma_f64 v[139:140], v[7:8], v[139:140], v[201:202]
	s_waitcnt vmcnt(52) lgkmcnt(0)
	v_mul_f64 v[203:204], v[121:122], v[141:142]
	v_add_f64 v[183:184], v[187:188], v[183:184]
	v_add_f64 v[125:126], v[125:126], v[145:146]
	s_clause 0x4
	buffer_load_dword v146, off, s[0:3], 0 offset:492
	buffer_load_dword v187, off, s[0:3], 0 offset:504
	buffer_load_dword v202, off, s[0:3], 0 offset:496
	buffer_load_dword v145, off, s[0:3], 0 offset:488
	buffer_load_dword v201, off, s[0:3], 0 offset:468
	v_mul_f64 v[141:142], v[123:124], v[141:142]
	s_waitcnt vmcnt(56)
	v_fma_f64 v[137:138], v[1:2], v[131:132], -v[137:138]
	ds_read_b128 v[5:8], v182 offset:1152
	v_fma_f64 v[131:132], v[3:4], v[131:132], v[197:198]
	v_add_f64 v[133:134], v[183:184], v[133:134]
	v_add_f64 v[125:126], v[125:126], v[139:140]
	s_clause 0x2
	buffer_load_dword v188, off, s[0:3], 0 offset:508
	buffer_load_dword v140, off, s[0:3], 0 offset:484
	;; [unrolled: 1-line block ×3, first 2 shown]
	s_waitcnt vmcnt(58) lgkmcnt(0)
	v_mul_f64 v[183:184], v[5:6], v[147:148]
	v_mul_f64 v[147:148], v[7:8], v[147:148]
	s_waitcnt vmcnt(56)
	v_fma_f64 v[141:142], v[121:122], v[149:150], -v[141:142]
	ds_read_b128 v[1:4], v182 offset:1168
	v_add_f64 v[133:134], v[133:134], v[137:138]
	v_fma_f64 v[137:138], v[123:124], v[149:150], v[203:204]
	v_add_f64 v[125:126], v[125:126], v[131:132]
	s_clause 0x4
	buffer_load_dword v132, off, s[0:3], 0 offset:524
	buffer_load_dword v149, off, s[0:3], 0 offset:536
	;; [unrolled: 1-line block ×5, first 2 shown]
	s_waitcnt vmcnt(57) lgkmcnt(0)
	v_mul_f64 v[198:199], v[1:2], v[151:152]
	v_mul_f64 v[151:152], v[3:4], v[151:152]
	s_waitcnt vmcnt(56)
	v_fma_f64 v[147:148], v[5:6], v[135:136], -v[147:148]
	ds_read_b128 v[121:124], v182 offset:1184
	v_fma_f64 v[135:136], v[7:8], v[135:136], v[183:184]
	v_add_f64 v[133:134], v[133:134], v[141:142]
	v_add_f64 v[125:126], v[125:126], v[137:138]
	s_clause 0x2
	buffer_load_dword v150, off, s[0:3], 0 offset:540
	buffer_load_dword v138, off, s[0:3], 0 offset:516
	;; [unrolled: 1-line block ×3, first 2 shown]
	ds_read_b128 v[5:8], v182 offset:1200
	s_waitcnt vmcnt(58) lgkmcnt(1)
	v_mul_f64 v[141:142], v[121:122], v[155:156]
	v_mul_f64 v[155:156], v[123:124], v[155:156]
	s_waitcnt vmcnt(56)
	v_fma_f64 v[151:152], v[1:2], v[157:158], -v[151:152]
	v_add_f64 v[133:134], v[133:134], v[147:148]
	v_fma_f64 v[147:148], v[3:4], v[157:158], v[198:199]
	v_add_f64 v[125:126], v[125:126], v[135:136]
	s_clause 0x4
	buffer_load_dword v136, off, s[0:3], 0 offset:556
	buffer_load_dword v157, off, s[0:3], 0 offset:568
	;; [unrolled: 1-line block ×5, first 2 shown]
	s_waitcnt vmcnt(57) lgkmcnt(0)
	v_mul_f64 v[204:205], v[5:6], v[159:160]
	v_mul_f64 v[159:160], v[7:8], v[159:160]
	s_waitcnt vmcnt(56)
	v_fma_f64 v[155:156], v[121:122], v[143:144], -v[155:156]
	ds_read_b128 v[1:4], v182 offset:1216
	v_fma_f64 v[141:142], v[123:124], v[143:144], v[141:142]
	s_clause 0x2
	buffer_load_dword v158, off, s[0:3], 0 offset:572
	buffer_load_dword v144, off, s[0:3], 0 offset:548
	;; [unrolled: 1-line block ×3, first 2 shown]
	ds_read_b128 v[121:124], v182 offset:1232
	v_add_f64 v[133:134], v[133:134], v[151:152]
	v_add_f64 v[125:126], v[125:126], v[147:148]
	s_waitcnt vmcnt(58) lgkmcnt(1)
	v_mul_f64 v[151:152], v[3:4], v[163:164]
	s_waitcnt vmcnt(56)
	v_fma_f64 v[159:160], v[5:6], v[165:166], -v[159:160]
	v_mul_f64 v[147:148], v[1:2], v[163:164]
	v_add_f64 v[133:134], v[133:134], v[155:156]
	v_fma_f64 v[155:156], v[7:8], v[165:166], v[204:205]
	v_add_f64 v[125:126], v[125:126], v[141:142]
	s_clause 0x4
	buffer_load_dword v142, off, s[0:3], 0 offset:588
	buffer_load_dword v163, off, s[0:3], 0 offset:600
	;; [unrolled: 1-line block ×5, first 2 shown]
	s_waitcnt vmcnt(57) lgkmcnt(0)
	v_mul_f64 v[204:205], v[121:122], v[167:168]
	v_mul_f64 v[166:167], v[123:124], v[167:168]
	s_waitcnt vmcnt(56)
	v_fma_f64 v[151:152], v[1:2], v[153:154], -v[151:152]
	ds_read_b128 v[5:8], v182 offset:1248
	v_fma_f64 v[147:148], v[3:4], v[153:154], v[147:148]
	s_clause 0x2
	buffer_load_dword v164, off, s[0:3], 0 offset:604
	buffer_load_dword v154, off, s[0:3], 0 offset:580
	;; [unrolled: 1-line block ×3, first 2 shown]
	ds_read_b128 v[1:4], v182 offset:1264
	v_add_f64 v[133:134], v[133:134], v[159:160]
	v_add_f64 v[125:126], v[125:126], v[155:156]
	s_waitcnt vmcnt(58) lgkmcnt(1)
	v_mul_f64 v[159:160], v[7:8], v[171:172]
	s_waitcnt vmcnt(56)
	v_fma_f64 v[167:168], v[121:122], v[173:174], -v[166:167]
	v_mul_f64 v[155:156], v[5:6], v[171:172]
	v_add_f64 v[133:134], v[133:134], v[151:152]
	v_fma_f64 v[151:152], v[123:124], v[173:174], v[204:205]
	v_add_f64 v[125:126], v[125:126], v[147:148]
	s_clause 0x4
	buffer_load_dword v148, off, s[0:3], 0 offset:620
	buffer_load_dword v171, off, s[0:3], 0 offset:632
	;; [unrolled: 1-line block ×5, first 2 shown]
	s_waitcnt vmcnt(57) lgkmcnt(0)
	v_mul_f64 v[204:205], v[1:2], v[175:176]
	v_mul_f64 v[174:175], v[3:4], v[175:176]
	s_waitcnt vmcnt(56)
	v_fma_f64 v[159:160], v[5:6], v[161:162], -v[159:160]
	ds_read_b128 v[121:124], v182 offset:1280
	v_fma_f64 v[155:156], v[7:8], v[161:162], v[155:156]
	v_add_f64 v[133:134], v[133:134], v[167:168]
	v_add_f64 v[125:126], v[125:126], v[151:152]
	s_clause 0x2
	buffer_load_dword v172, off, s[0:3], 0 offset:636
	buffer_load_dword v152, off, s[0:3], 0 offset:612
	;; [unrolled: 1-line block ×3, first 2 shown]
	ds_read_b128 v[5:8], v182 offset:1296
	s_waitcnt vmcnt(58) lgkmcnt(1)
	v_mul_f64 v[167:168], v[123:124], v[177:178]
	s_waitcnt vmcnt(56)
	v_fma_f64 v[175:176], v[1:2], v[179:180], -v[174:175]
	v_mul_f64 v[161:162], v[121:122], v[177:178]
	v_add_f64 v[133:134], v[133:134], v[159:160]
	v_fma_f64 v[159:160], v[3:4], v[179:180], v[204:205]
	v_add_f64 v[125:126], v[125:126], v[155:156]
	s_clause 0x4
	buffer_load_dword v156, off, s[0:3], 0 offset:652
	buffer_load_dword v177, off, s[0:3], 0 offset:664
	;; [unrolled: 1-line block ×5, first 2 shown]
	s_waitcnt vmcnt(57) lgkmcnt(0)
	v_mul_f64 v[204:205], v[5:6], v[189:190]
	v_mul_f64 v[189:190], v[7:8], v[189:190]
	s_waitcnt vmcnt(56)
	v_fma_f64 v[167:168], v[121:122], v[169:170], -v[167:168]
	ds_read_b128 v[1:4], v182 offset:1312
	v_fma_f64 v[161:162], v[123:124], v[169:170], v[161:162]
	v_add_f64 v[133:134], v[133:134], v[175:176]
	v_add_f64 v[125:126], v[125:126], v[159:160]
	s_clause 0x2
	buffer_load_dword v178, off, s[0:3], 0 offset:668
	buffer_load_dword v160, off, s[0:3], 0 offset:644
	;; [unrolled: 1-line block ×3, first 2 shown]
	ds_read_b128 v[121:124], v182 offset:1328
	s_waitcnt vmcnt(58) lgkmcnt(1)
	v_mul_f64 v[175:176], v[3:4], v[191:192]
	v_mul_f64 v[169:170], v[1:2], v[191:192]
	s_waitcnt vmcnt(56)
	v_fma_f64 v[189:190], v[5:6], v[129:130], -v[189:190]
	v_fma_f64 v[129:130], v[7:8], v[129:130], v[204:205]
	v_add_f64 v[133:134], v[133:134], v[167:168]
	v_add_f64 v[125:126], v[125:126], v[161:162]
	s_clause 0x4
	buffer_load_dword v162, off, s[0:3], 0 offset:684
	buffer_load_dword v167, off, s[0:3], 0 offset:696
	;; [unrolled: 1-line block ×5, first 2 shown]
	ds_read_b128 v[5:8], v182 offset:1344
	s_waitcnt vmcnt(57) lgkmcnt(1)
	v_mul_f64 v[204:205], v[121:122], v[127:128]
	v_mul_f64 v[127:128], v[123:124], v[127:128]
	s_waitcnt vmcnt(56)
	v_fma_f64 v[175:176], v[1:2], v[193:194], -v[175:176]
	v_fma_f64 v[169:170], v[3:4], v[193:194], v[169:170]
	v_add_f64 v[133:134], v[133:134], v[189:190]
	v_add_f64 v[125:126], v[125:126], v[129:130]
	s_clause 0x2
	buffer_load_dword v168, off, s[0:3], 0 offset:700
	buffer_load_dword v130, off, s[0:3], 0 offset:676
	;; [unrolled: 1-line block ×3, first 2 shown]
	s_waitcnt vmcnt(58) lgkmcnt(0)
	v_mul_f64 v[193:194], v[7:8], v[195:196]
	ds_read_b128 v[1:4], v182 offset:1360
	v_mul_f64 v[189:190], v[5:6], v[195:196]
	s_waitcnt vmcnt(56)
	v_fma_f64 v[127:128], v[121:122], v[185:186], -v[127:128]
	v_add_f64 v[133:134], v[133:134], v[175:176]
	v_fma_f64 v[175:176], v[123:124], v[185:186], v[204:205]
	v_add_f64 v[125:126], v[125:126], v[169:170]
	s_clause 0x4
	buffer_load_dword v170, off, s[0:3], 0 offset:716
	buffer_load_dword v185, off, s[0:3], 0 offset:728
	buffer_load_dword v195, off, s[0:3], 0 offset:720
	buffer_load_dword v169, off, s[0:3], 0 offset:712
	buffer_load_dword v192, off, s[0:3], 0 offset:692
	ds_read_b128 v[121:124], v182 offset:1376
	s_waitcnt vmcnt(57) lgkmcnt(1)
	v_mul_f64 v[204:205], v[1:2], v[145:146]
	v_mul_f64 v[145:146], v[3:4], v[145:146]
	s_waitcnt vmcnt(56)
	v_fma_f64 v[193:194], v[5:6], v[200:201], -v[193:194]
	v_add_f64 v[127:128], v[133:134], v[127:128]
	v_fma_f64 v[133:134], v[7:8], v[200:201], v[189:190]
	v_add_f64 v[125:126], v[125:126], v[175:176]
	s_clause 0x2
	buffer_load_dword v186, off, s[0:3], 0 offset:732
	buffer_load_dword v176, off, s[0:3], 0 offset:708
	;; [unrolled: 1-line block ×3, first 2 shown]
	ds_read_b128 v[5:8], v182 offset:1392
	s_waitcnt vmcnt(58) lgkmcnt(1)
	v_mul_f64 v[189:190], v[121:122], v[187:188]
	v_mul_f64 v[187:188], v[123:124], v[187:188]
	s_waitcnt vmcnt(56)
	v_fma_f64 v[145:146], v[1:2], v[139:140], -v[145:146]
	v_fma_f64 v[139:140], v[3:4], v[139:140], v[204:205]
	v_add_f64 v[127:128], v[127:128], v[193:194]
	v_add_f64 v[125:126], v[125:126], v[133:134]
	s_clause 0x4
	buffer_load_dword v134, off, s[0:3], 0 offset:748
	buffer_load_dword v193, off, s[0:3], 0 offset:760
	buffer_load_dword v199, off, s[0:3], 0 offset:752
	buffer_load_dword v133, off, s[0:3], 0 offset:744
	buffer_load_dword v196, off, s[0:3], 0 offset:724
	ds_read_b128 v[1:4], v182 offset:1408
	s_waitcnt vmcnt(57) lgkmcnt(1)
	v_mul_f64 v[200:201], v[5:6], v[131:132]
	v_mul_f64 v[131:132], v[7:8], v[131:132]
	s_waitcnt vmcnt(56)
	v_fma_f64 v[187:188], v[121:122], v[202:203], -v[187:188]
	v_add_f64 v[127:128], v[127:128], v[145:146]
	v_fma_f64 v[145:146], v[123:124], v[202:203], v[189:190]
	v_add_f64 v[125:126], v[125:126], v[139:140]
	s_clause 0x2
	buffer_load_dword v194, off, s[0:3], 0 offset:764
	buffer_load_dword v140, off, s[0:3], 0 offset:740
	;; [unrolled: 1-line block ×3, first 2 shown]
	ds_read_b128 v[121:124], v182 offset:1424
	s_waitcnt vmcnt(58) lgkmcnt(1)
	v_mul_f64 v[189:190], v[1:2], v[149:150]
	v_mul_f64 v[149:150], v[3:4], v[149:150]
	s_waitcnt vmcnt(56)
	v_fma_f64 v[131:132], v[5:6], v[137:138], -v[131:132]
	v_fma_f64 v[137:138], v[7:8], v[137:138], v[200:201]
	v_add_f64 v[127:128], v[127:128], v[187:188]
	v_add_f64 v[125:126], v[125:126], v[145:146]
	s_clause 0x4
	buffer_load_dword v146, off, s[0:3], 0 offset:780
	buffer_load_dword v187, off, s[0:3], 0 offset:792
	;; [unrolled: 1-line block ×5, first 2 shown]
	ds_read_b128 v[5:8], v182 offset:1440
	s_waitcnt vmcnt(57) lgkmcnt(1)
	v_mul_f64 v[202:203], v[121:122], v[135:136]
	v_mul_f64 v[135:136], v[123:124], v[135:136]
	s_waitcnt vmcnt(56)
	v_fma_f64 v[149:150], v[1:2], v[197:198], -v[149:150]
	v_add_f64 v[127:128], v[127:128], v[131:132]
	v_fma_f64 v[131:132], v[3:4], v[197:198], v[189:190]
	v_add_f64 v[125:126], v[125:126], v[137:138]
	s_clause 0x2
	buffer_load_dword v188, off, s[0:3], 0 offset:796
	buffer_load_dword v138, off, s[0:3], 0 offset:772
	buffer_load_dword v137, off, s[0:3], 0 offset:768
	s_waitcnt vmcnt(58) lgkmcnt(0)
	v_mul_f64 v[189:190], v[5:6], v[157:158]
	v_mul_f64 v[157:158], v[7:8], v[157:158]
	ds_read_b128 v[1:4], v182 offset:1456
	s_waitcnt vmcnt(56)
	v_fma_f64 v[135:136], v[121:122], v[143:144], -v[135:136]
	v_fma_f64 v[143:144], v[123:124], v[143:144], v[202:203]
	v_add_f64 v[127:128], v[127:128], v[149:150]
	v_add_f64 v[125:126], v[125:126], v[131:132]
	s_clause 0x4
	buffer_load_dword v132, off, s[0:3], 0 offset:812
	buffer_load_dword v149, off, s[0:3], 0 offset:824
	;; [unrolled: 1-line block ×5, first 2 shown]
	ds_read_b128 v[121:124], v182 offset:1472
	s_waitcnt vmcnt(57) lgkmcnt(1)
	v_mul_f64 v[203:204], v[1:2], v[141:142]
	v_mul_f64 v[141:142], v[3:4], v[141:142]
	s_waitcnt vmcnt(56)
	v_fma_f64 v[157:158], v[5:6], v[183:184], -v[157:158]
	v_add_f64 v[127:128], v[127:128], v[135:136]
	v_fma_f64 v[135:136], v[7:8], v[183:184], v[189:190]
	v_add_f64 v[125:126], v[125:126], v[143:144]
	s_clause 0x2
	buffer_load_dword v150, off, s[0:3], 0 offset:828
	buffer_load_dword v144, off, s[0:3], 0 offset:804
	;; [unrolled: 1-line block ×3, first 2 shown]
	s_waitcnt vmcnt(58) lgkmcnt(0)
	v_mul_f64 v[183:184], v[121:122], v[163:164]
	v_mul_f64 v[163:164], v[123:124], v[163:164]
	ds_read_b128 v[5:8], v182 offset:1488
	s_waitcnt vmcnt(56)
	v_fma_f64 v[141:142], v[1:2], v[153:154], -v[141:142]
	v_fma_f64 v[153:154], v[3:4], v[153:154], v[203:204]
	v_add_f64 v[127:128], v[127:128], v[157:158]
	v_add_f64 v[125:126], v[125:126], v[135:136]
	s_clause 0x4
	buffer_load_dword v136, off, s[0:3], 0 offset:844
	buffer_load_dword v157, off, s[0:3], 0 offset:856
	;; [unrolled: 1-line block ×5, first 2 shown]
	ds_read_b128 v[1:4], v182 offset:1504
	s_waitcnt vmcnt(57) lgkmcnt(1)
	v_mul_f64 v[203:204], v[5:6], v[147:148]
	v_mul_f64 v[147:148], v[7:8], v[147:148]
	s_waitcnt vmcnt(56)
	v_fma_f64 v[163:164], v[121:122], v[165:166], -v[163:164]
	v_add_f64 v[127:128], v[127:128], v[141:142]
	v_fma_f64 v[141:142], v[123:124], v[165:166], v[183:184]
	v_add_f64 v[125:126], v[125:126], v[153:154]
	s_clause 0x2
	buffer_load_dword v158, off, s[0:3], 0 offset:860
	buffer_load_dword v154, off, s[0:3], 0 offset:836
	;; [unrolled: 1-line block ×3, first 2 shown]
	ds_read_b128 v[121:124], v182 offset:1520
	s_waitcnt vmcnt(58) lgkmcnt(1)
	v_mul_f64 v[165:166], v[1:2], v[171:172]
	v_mul_f64 v[171:172], v[3:4], v[171:172]
	s_waitcnt vmcnt(56)
	v_fma_f64 v[147:148], v[5:6], v[151:152], -v[147:148]
	v_fma_f64 v[151:152], v[7:8], v[151:152], v[203:204]
	v_add_f64 v[127:128], v[127:128], v[163:164]
	v_add_f64 v[125:126], v[125:126], v[141:142]
	s_clause 0x4
	buffer_load_dword v142, off, s[0:3], 0 offset:876
	buffer_load_dword v163, off, s[0:3], 0 offset:888
	;; [unrolled: 1-line block ×5, first 2 shown]
	ds_read_b128 v[5:8], v182 offset:1536
	s_waitcnt vmcnt(57) lgkmcnt(1)
	v_mul_f64 v[203:204], v[121:122], v[155:156]
	v_mul_f64 v[155:156], v[123:124], v[155:156]
	s_waitcnt vmcnt(56)
	v_fma_f64 v[171:172], v[1:2], v[173:174], -v[171:172]
	v_add_f64 v[127:128], v[127:128], v[147:148]
	v_fma_f64 v[147:148], v[3:4], v[173:174], v[165:166]
	v_add_f64 v[125:126], v[125:126], v[151:152]
	s_clause 0x2
	buffer_load_dword v164, off, s[0:3], 0 offset:892
	buffer_load_dword v152, off, s[0:3], 0 offset:868
	;; [unrolled: 1-line block ×3, first 2 shown]
	ds_read_b128 v[1:4], v182 offset:1552
	s_waitcnt vmcnt(58) lgkmcnt(1)
	v_mul_f64 v[173:174], v[7:8], v[177:178]
	v_mul_f64 v[165:166], v[5:6], v[177:178]
	s_waitcnt vmcnt(56)
	v_fma_f64 v[155:156], v[121:122], v[159:160], -v[155:156]
	v_fma_f64 v[159:160], v[123:124], v[159:160], v[203:204]
	v_add_f64 v[127:128], v[127:128], v[171:172]
	v_add_f64 v[125:126], v[125:126], v[147:148]
	s_clause 0x2
	buffer_load_dword v148, off, s[0:3], 0 offset:908
	buffer_load_dword v147, off, s[0:3], 0 offset:904
	buffer_load_dword v184, off, s[0:3], 0 offset:884
	ds_read_b128 v[121:124], v182 offset:1568
	s_waitcnt vmcnt(55) lgkmcnt(1)
	v_mul_f64 v[171:172], v[1:2], v[161:162]
	v_mul_f64 v[161:162], v[3:4], v[161:162]
	s_waitcnt vmcnt(54)
	v_fma_f64 v[173:174], v[5:6], v[179:180], -v[173:174]
	v_add_f64 v[127:128], v[127:128], v[155:156]
	v_fma_f64 v[155:156], v[7:8], v[179:180], v[165:166]
	v_add_f64 v[125:126], v[125:126], v[159:160]
	s_clause 0x1
	buffer_load_dword v160, off, s[0:3], 0 offset:900
	buffer_load_dword v159, off, s[0:3], 0 offset:896
	ds_read_b128 v[5:8], v182 offset:1584
	s_waitcnt vmcnt(55) lgkmcnt(1)
	v_mul_f64 v[165:166], v[121:122], v[167:168]
	v_mul_f64 v[167:168], v[123:124], v[167:168]
	s_waitcnt vmcnt(53)
	v_fma_f64 v[161:162], v[1:2], v[129:130], -v[161:162]
	v_fma_f64 v[129:130], v[3:4], v[129:130], v[171:172]
	ds_read_b128 v[1:4], v182 offset:1600
	v_add_f64 v[127:128], v[127:128], v[173:174]
	v_add_f64 v[125:126], v[125:126], v[155:156]
	s_waitcnt vmcnt(49) lgkmcnt(1)
	v_mul_f64 v[155:156], v[5:6], v[169:170]
	v_mul_f64 v[169:170], v[7:8], v[169:170]
	s_waitcnt vmcnt(48)
	v_fma_f64 v[167:168], v[121:122], v[191:192], -v[167:168]
	v_add_f64 v[127:128], v[127:128], v[161:162]
	v_fma_f64 v[161:162], v[123:124], v[191:192], v[165:166]
	v_add_f64 v[125:126], v[125:126], v[129:130]
	s_clause 0x3
	buffer_load_dword v129, off, s[0:3], 0 offset:160
	buffer_load_dword v130, off, s[0:3], 0 offset:164
	;; [unrolled: 1-line block ×4, first 2 shown]
	ds_read_b128 v[121:124], v182 offset:1616
	s_waitcnt vmcnt(51) lgkmcnt(1)
	v_mul_f64 v[173:174], v[3:4], v[185:186]
	v_mul_f64 v[171:172], v[1:2], v[185:186]
	s_waitcnt vmcnt(49)
	v_fma_f64 v[169:170], v[5:6], v[175:176], -v[169:170]
	v_fma_f64 v[155:156], v[7:8], v[175:176], v[155:156]
	ds_read_b128 v[5:8], v182 offset:1632
	v_add_f64 v[127:128], v[127:128], v[167:168]
	v_add_f64 v[125:126], v[125:126], v[161:162]
	s_waitcnt vmcnt(45) lgkmcnt(1)
	v_mul_f64 v[161:162], v[121:122], v[133:134]
	v_mul_f64 v[133:134], v[123:124], v[133:134]
	s_waitcnt vmcnt(44)
	v_fma_f64 v[167:168], v[1:2], v[195:196], -v[173:174]
	v_add_f64 v[127:128], v[127:128], v[169:170]
	v_fma_f64 v[169:170], v[3:4], v[195:196], v[171:172]
	v_add_f64 v[125:126], v[125:126], v[155:156]
	ds_read_b128 v[1:4], v182 offset:1648
	s_waitcnt vmcnt(43) lgkmcnt(1)
	v_mul_f64 v[171:172], v[7:8], v[193:194]
	v_mul_f64 v[155:156], v[5:6], v[193:194]
	s_waitcnt vmcnt(41)
	v_fma_f64 v[133:134], v[121:122], v[139:140], -v[133:134]
	v_fma_f64 v[139:140], v[123:124], v[139:140], v[161:162]
	ds_read_b128 v[121:124], v182 offset:1664
	v_add_f64 v[127:128], v[127:128], v[167:168]
	v_add_f64 v[125:126], v[125:126], v[169:170]
	s_waitcnt vmcnt(37) lgkmcnt(1)
	v_mul_f64 v[161:162], v[1:2], v[145:146]
	v_mul_f64 v[145:146], v[3:4], v[145:146]
	s_waitcnt vmcnt(36)
	v_fma_f64 v[167:168], v[5:6], v[199:200], -v[171:172]
	v_add_f64 v[127:128], v[127:128], v[133:134]
	v_fma_f64 v[133:134], v[7:8], v[199:200], v[155:156]
	v_add_f64 v[125:126], v[125:126], v[139:140]
	ds_read_b128 v[5:8], v182 offset:1680
	s_waitcnt vmcnt(35) lgkmcnt(1)
	v_mul_f64 v[155:156], v[123:124], v[187:188]
	v_mul_f64 v[139:140], v[121:122], v[187:188]
	s_waitcnt vmcnt(33)
	v_fma_f64 v[145:146], v[1:2], v[137:138], -v[145:146]
	v_fma_f64 v[137:138], v[3:4], v[137:138], v[161:162]
	ds_read_b128 v[1:4], v182 offset:1696
	v_add_f64 v[127:128], v[127:128], v[167:168]
	v_add_f64 v[125:126], v[125:126], v[133:134]
	s_waitcnt vmcnt(29) lgkmcnt(1)
	v_mul_f64 v[133:134], v[5:6], v[131:132]
	v_mul_f64 v[131:132], v[7:8], v[131:132]
	s_waitcnt vmcnt(28)
	v_fma_f64 v[155:156], v[121:122], v[201:202], -v[155:156]
	v_fma_f64 v[139:140], v[123:124], v[201:202], v[139:140]
	ds_read_b128 v[121:124], v182 offset:1712
	v_add_f64 v[127:128], v[127:128], v[145:146]
	v_add_f64 v[125:126], v[125:126], v[137:138]
	;; [unrolled: 9-line block ×3, first 2 shown]
	s_waitcnt vmcnt(21) lgkmcnt(1)
	v_mul_f64 v[139:140], v[121:122], v[135:136]
	v_mul_f64 v[135:136], v[123:124], v[135:136]
	s_waitcnt vmcnt(20)
	v_fma_f64 v[143:144], v[1:2], v[197:198], -v[145:146]
	v_add_f64 v[127:128], v[127:128], v[131:132]
	v_fma_f64 v[131:132], v[3:4], v[197:198], v[137:138]
	v_add_f64 v[125:126], v[125:126], v[133:134]
	ds_read_b128 v[1:4], v182 offset:1744
	s_waitcnt vmcnt(19) lgkmcnt(1)
	v_mul_f64 v[137:138], v[7:8], v[157:158]
	v_mul_f64 v[133:134], v[5:6], v[157:158]
	s_waitcnt vmcnt(17)
	v_fma_f64 v[135:136], v[121:122], v[153:154], -v[135:136]
	v_fma_f64 v[139:140], v[123:124], v[153:154], v[139:140]
	ds_read_b128 v[121:124], v182 offset:1760
	v_add_f64 v[127:128], v[127:128], v[143:144]
	v_add_f64 v[125:126], v[125:126], v[131:132]
	s_waitcnt vmcnt(13) lgkmcnt(1)
	v_mul_f64 v[131:132], v[1:2], v[141:142]
	v_mul_f64 v[141:142], v[3:4], v[141:142]
	s_waitcnt vmcnt(12)
	v_fma_f64 v[137:138], v[5:6], v[189:190], -v[137:138]
	v_fma_f64 v[133:134], v[7:8], v[189:190], v[133:134]
	ds_read_b128 v[5:8], v182 offset:1776
	v_add_f64 v[127:128], v[127:128], v[135:136]
	v_add_f64 v[125:126], v[125:126], v[139:140]
	s_waitcnt vmcnt(11) lgkmcnt(1)
	v_mul_f64 v[139:140], v[123:124], v[163:164]
	v_mul_f64 v[135:136], v[121:122], v[163:164]
	s_waitcnt vmcnt(9)
	v_fma_f64 v[1:2], v[1:2], v[151:152], -v[141:142]
	v_fma_f64 v[3:4], v[3:4], v[151:152], v[131:132]
	v_add_f64 v[127:128], v[127:128], v[137:138]
	v_add_f64 v[125:126], v[125:126], v[133:134]
	s_waitcnt vmcnt(7) lgkmcnt(0)
	v_mul_f64 v[133:134], v[7:8], v[147:148]
	s_waitcnt vmcnt(6)
	v_fma_f64 v[121:122], v[121:122], v[183:184], -v[139:140]
	v_mul_f64 v[131:132], v[5:6], v[147:148]
	v_fma_f64 v[123:124], v[123:124], v[183:184], v[135:136]
	v_add_f64 v[1:2], v[127:128], v[1:2]
	v_add_f64 v[3:4], v[125:126], v[3:4]
	s_waitcnt vmcnt(4)
	v_fma_f64 v[5:6], v[5:6], v[159:160], -v[133:134]
	v_fma_f64 v[7:8], v[7:8], v[159:160], v[131:132]
	v_add_f64 v[1:2], v[1:2], v[121:122]
	v_add_f64 v[3:4], v[3:4], v[123:124]
	;; [unrolled: 1-line block ×4, first 2 shown]
	s_waitcnt vmcnt(2)
	v_add_f64 v[1:2], v[129:130], -v[1:2]
	s_waitcnt vmcnt(0)
	v_add_f64 v[3:4], v[165:166], -v[3:4]
	buffer_store_dword v2, off, s[0:3], 0 offset:164
	buffer_store_dword v1, off, s[0:3], 0 offset:160
	;; [unrolled: 1-line block ×4, first 2 shown]
	v_cmpx_lt_u32_e32 8, v0
	s_cbranch_execz .LBB119_333
; %bb.332:
	v_mov_b32_e32 v4, s60
	v_mov_b32_e32 v5, 0
	s_clause 0x3
	buffer_load_dword v1, v4, s[0:3], 0 offen
	buffer_load_dword v2, v4, s[0:3], 0 offen offset:4
	buffer_load_dword v3, v4, s[0:3], 0 offen offset:8
	;; [unrolled: 1-line block ×3, first 2 shown]
	buffer_store_dword v5, off, s[0:3], 0 offset:144
	buffer_store_dword v5, off, s[0:3], 0 offset:148
	;; [unrolled: 1-line block ×4, first 2 shown]
	s_waitcnt vmcnt(0)
	ds_write_b128 v181, v[1:4]
.LBB119_333:
	s_or_b32 exec_lo, exec_lo, s4
	s_waitcnt lgkmcnt(0)
	s_waitcnt_vscnt null, 0x0
	s_barrier
	buffer_gl0_inv
	s_clause 0x37
	buffer_load_dword v129, off, s[0:3], 0 offset:168
	buffer_load_dword v130, off, s[0:3], 0 offset:172
	;; [unrolled: 1-line block ×56, first 2 shown]
	v_mov_b32_e32 v182, 0
	s_mov_b32 s4, exec_lo
	ds_read_b128 v[5:8], v182 offset:1040
	s_clause 0x2
	buffer_load_dword v178, off, s[0:3], 0 offset:396
	buffer_load_dword v180, off, s[0:3], 0 offset:372
	;; [unrolled: 1-line block ×3, first 2 shown]
	ds_read_b128 v[1:4], v182 offset:1056
	s_clause 0x4
	buffer_load_dword v190, off, s[0:3], 0 offset:412
	buffer_load_dword v191, off, s[0:3], 0 offset:424
	;; [unrolled: 1-line block ×5, first 2 shown]
	ds_read_b128 v[183:186], v182 offset:1072
	s_waitcnt vmcnt(62) lgkmcnt(2)
	v_mul_f64 v[187:188], v[7:8], v[129:130]
	v_mul_f64 v[129:130], v[5:6], v[129:130]
	s_waitcnt vmcnt(60) lgkmcnt(1)
	v_mul_f64 v[194:195], v[3:4], v[125:126]
	v_mul_f64 v[125:126], v[1:2], v[125:126]
	;; [unrolled: 3-line block ×3, first 2 shown]
	v_fma_f64 v[187:188], v[5:6], v[127:128], -v[187:188]
	v_fma_f64 v[127:128], v[7:8], v[127:128], v[129:130]
	s_clause 0x2
	buffer_load_dword v192, off, s[0:3], 0 offset:428
	buffer_load_dword v130, off, s[0:3], 0 offset:404
	;; [unrolled: 1-line block ×3, first 2 shown]
	s_waitcnt vmcnt(57)
	v_fma_f64 v[198:199], v[1:2], v[121:122], -v[194:195]
	ds_read_b128 v[5:8], v182 offset:1088
	v_fma_f64 v[121:122], v[3:4], v[121:122], v[125:126]
	s_waitcnt vmcnt(51)
	v_fma_f64 v[183:184], v[183:184], v[145:146], -v[123:124]
	v_fma_f64 v[145:146], v[185:186], v[145:146], v[196:197]
	v_add_f64 v[187:188], v[187:188], 0
	v_add_f64 v[125:126], v[127:128], 0
	s_clause 0x4
	buffer_load_dword v128, off, s[0:3], 0 offset:444
	buffer_load_dword v195, off, s[0:3], 0 offset:456
	buffer_load_dword v200, off, s[0:3], 0 offset:448
	buffer_load_dword v127, off, s[0:3], 0 offset:440
	buffer_load_dword v194, off, s[0:3], 0 offset:420
	s_waitcnt lgkmcnt(0)
	v_mul_f64 v[201:202], v[5:6], v[133:134]
	v_mul_f64 v[133:134], v[7:8], v[133:134]
	ds_read_b128 v[1:4], v182 offset:1104
	s_clause 0x2
	buffer_load_dword v196, off, s[0:3], 0 offset:460
	buffer_load_dword v186, off, s[0:3], 0 offset:436
	;; [unrolled: 1-line block ×3, first 2 shown]
	v_add_f64 v[187:188], v[187:188], v[198:199]
	v_add_f64 v[125:126], v[125:126], v[121:122]
	ds_read_b128 v[121:124], v182 offset:1120
	s_waitcnt vmcnt(58) lgkmcnt(1)
	v_mul_f64 v[197:198], v[1:2], v[137:138]
	v_mul_f64 v[137:138], v[3:4], v[137:138]
	s_waitcnt vmcnt(56)
	v_fma_f64 v[133:134], v[5:6], v[139:140], -v[133:134]
	v_fma_f64 v[139:140], v[7:8], v[139:140], v[201:202]
	s_waitcnt vmcnt(52) lgkmcnt(0)
	v_mul_f64 v[203:204], v[121:122], v[141:142]
	v_add_f64 v[183:184], v[187:188], v[183:184]
	v_add_f64 v[125:126], v[125:126], v[145:146]
	s_clause 0x4
	buffer_load_dword v146, off, s[0:3], 0 offset:476
	buffer_load_dword v187, off, s[0:3], 0 offset:488
	;; [unrolled: 1-line block ×5, first 2 shown]
	v_mul_f64 v[141:142], v[123:124], v[141:142]
	s_waitcnt vmcnt(56)
	v_fma_f64 v[137:138], v[1:2], v[131:132], -v[137:138]
	ds_read_b128 v[5:8], v182 offset:1136
	v_fma_f64 v[131:132], v[3:4], v[131:132], v[197:198]
	v_add_f64 v[133:134], v[183:184], v[133:134]
	v_add_f64 v[125:126], v[125:126], v[139:140]
	s_clause 0x2
	buffer_load_dword v188, off, s[0:3], 0 offset:492
	buffer_load_dword v140, off, s[0:3], 0 offset:468
	;; [unrolled: 1-line block ×3, first 2 shown]
	s_waitcnt vmcnt(58) lgkmcnt(0)
	v_mul_f64 v[183:184], v[5:6], v[147:148]
	v_mul_f64 v[147:148], v[7:8], v[147:148]
	s_waitcnt vmcnt(56)
	v_fma_f64 v[141:142], v[121:122], v[149:150], -v[141:142]
	ds_read_b128 v[1:4], v182 offset:1152
	v_add_f64 v[133:134], v[133:134], v[137:138]
	v_fma_f64 v[137:138], v[123:124], v[149:150], v[203:204]
	v_add_f64 v[125:126], v[125:126], v[131:132]
	s_clause 0x4
	buffer_load_dword v132, off, s[0:3], 0 offset:508
	buffer_load_dword v149, off, s[0:3], 0 offset:520
	buffer_load_dword v197, off, s[0:3], 0 offset:512
	buffer_load_dword v131, off, s[0:3], 0 offset:504
	buffer_load_dword v203, off, s[0:3], 0 offset:484
	s_waitcnt vmcnt(57) lgkmcnt(0)
	v_mul_f64 v[198:199], v[1:2], v[151:152]
	v_mul_f64 v[151:152], v[3:4], v[151:152]
	s_waitcnt vmcnt(56)
	v_fma_f64 v[147:148], v[5:6], v[135:136], -v[147:148]
	ds_read_b128 v[121:124], v182 offset:1168
	v_fma_f64 v[135:136], v[7:8], v[135:136], v[183:184]
	v_add_f64 v[133:134], v[133:134], v[141:142]
	v_add_f64 v[125:126], v[125:126], v[137:138]
	s_clause 0x2
	buffer_load_dword v150, off, s[0:3], 0 offset:524
	buffer_load_dword v138, off, s[0:3], 0 offset:500
	;; [unrolled: 1-line block ×3, first 2 shown]
	ds_read_b128 v[5:8], v182 offset:1184
	s_waitcnt vmcnt(58) lgkmcnt(1)
	v_mul_f64 v[141:142], v[121:122], v[155:156]
	v_mul_f64 v[155:156], v[123:124], v[155:156]
	s_waitcnt vmcnt(56)
	v_fma_f64 v[151:152], v[1:2], v[157:158], -v[151:152]
	v_add_f64 v[133:134], v[133:134], v[147:148]
	v_fma_f64 v[147:148], v[3:4], v[157:158], v[198:199]
	v_add_f64 v[125:126], v[125:126], v[135:136]
	s_clause 0x4
	buffer_load_dword v136, off, s[0:3], 0 offset:540
	buffer_load_dword v157, off, s[0:3], 0 offset:552
	;; [unrolled: 1-line block ×5, first 2 shown]
	s_waitcnt vmcnt(57) lgkmcnt(0)
	v_mul_f64 v[204:205], v[5:6], v[159:160]
	v_mul_f64 v[159:160], v[7:8], v[159:160]
	s_waitcnt vmcnt(56)
	v_fma_f64 v[155:156], v[121:122], v[143:144], -v[155:156]
	ds_read_b128 v[1:4], v182 offset:1200
	v_fma_f64 v[141:142], v[123:124], v[143:144], v[141:142]
	s_clause 0x2
	buffer_load_dword v158, off, s[0:3], 0 offset:556
	buffer_load_dword v144, off, s[0:3], 0 offset:532
	;; [unrolled: 1-line block ×3, first 2 shown]
	ds_read_b128 v[121:124], v182 offset:1216
	v_add_f64 v[133:134], v[133:134], v[151:152]
	v_add_f64 v[125:126], v[125:126], v[147:148]
	s_waitcnt vmcnt(58) lgkmcnt(1)
	v_mul_f64 v[151:152], v[3:4], v[163:164]
	s_waitcnt vmcnt(56)
	v_fma_f64 v[159:160], v[5:6], v[165:166], -v[159:160]
	v_mul_f64 v[147:148], v[1:2], v[163:164]
	v_add_f64 v[133:134], v[133:134], v[155:156]
	v_fma_f64 v[155:156], v[7:8], v[165:166], v[204:205]
	v_add_f64 v[125:126], v[125:126], v[141:142]
	s_clause 0x4
	buffer_load_dword v142, off, s[0:3], 0 offset:572
	buffer_load_dword v163, off, s[0:3], 0 offset:584
	;; [unrolled: 1-line block ×5, first 2 shown]
	s_waitcnt vmcnt(57) lgkmcnt(0)
	v_mul_f64 v[204:205], v[121:122], v[167:168]
	v_mul_f64 v[166:167], v[123:124], v[167:168]
	s_waitcnt vmcnt(56)
	v_fma_f64 v[151:152], v[1:2], v[153:154], -v[151:152]
	ds_read_b128 v[5:8], v182 offset:1232
	v_fma_f64 v[147:148], v[3:4], v[153:154], v[147:148]
	s_clause 0x2
	buffer_load_dword v164, off, s[0:3], 0 offset:588
	buffer_load_dword v154, off, s[0:3], 0 offset:564
	;; [unrolled: 1-line block ×3, first 2 shown]
	ds_read_b128 v[1:4], v182 offset:1248
	v_add_f64 v[133:134], v[133:134], v[159:160]
	v_add_f64 v[125:126], v[125:126], v[155:156]
	s_waitcnt vmcnt(58) lgkmcnt(1)
	v_mul_f64 v[159:160], v[7:8], v[171:172]
	s_waitcnt vmcnt(56)
	v_fma_f64 v[167:168], v[121:122], v[173:174], -v[166:167]
	v_mul_f64 v[155:156], v[5:6], v[171:172]
	v_add_f64 v[133:134], v[133:134], v[151:152]
	v_fma_f64 v[151:152], v[123:124], v[173:174], v[204:205]
	v_add_f64 v[125:126], v[125:126], v[147:148]
	s_clause 0x4
	buffer_load_dword v148, off, s[0:3], 0 offset:604
	buffer_load_dword v171, off, s[0:3], 0 offset:616
	;; [unrolled: 1-line block ×5, first 2 shown]
	s_waitcnt vmcnt(57) lgkmcnt(0)
	v_mul_f64 v[204:205], v[1:2], v[175:176]
	v_mul_f64 v[174:175], v[3:4], v[175:176]
	s_waitcnt vmcnt(56)
	v_fma_f64 v[159:160], v[5:6], v[161:162], -v[159:160]
	ds_read_b128 v[121:124], v182 offset:1264
	v_fma_f64 v[155:156], v[7:8], v[161:162], v[155:156]
	v_add_f64 v[133:134], v[133:134], v[167:168]
	v_add_f64 v[125:126], v[125:126], v[151:152]
	s_clause 0x2
	buffer_load_dword v172, off, s[0:3], 0 offset:620
	buffer_load_dword v152, off, s[0:3], 0 offset:596
	;; [unrolled: 1-line block ×3, first 2 shown]
	ds_read_b128 v[5:8], v182 offset:1280
	s_waitcnt vmcnt(58) lgkmcnt(1)
	v_mul_f64 v[167:168], v[123:124], v[177:178]
	s_waitcnt vmcnt(56)
	v_fma_f64 v[175:176], v[1:2], v[179:180], -v[174:175]
	v_mul_f64 v[161:162], v[121:122], v[177:178]
	v_add_f64 v[133:134], v[133:134], v[159:160]
	v_fma_f64 v[159:160], v[3:4], v[179:180], v[204:205]
	v_add_f64 v[125:126], v[125:126], v[155:156]
	s_clause 0x4
	buffer_load_dword v156, off, s[0:3], 0 offset:636
	buffer_load_dword v177, off, s[0:3], 0 offset:648
	;; [unrolled: 1-line block ×5, first 2 shown]
	s_waitcnt vmcnt(57) lgkmcnt(0)
	v_mul_f64 v[204:205], v[5:6], v[189:190]
	v_mul_f64 v[189:190], v[7:8], v[189:190]
	s_waitcnt vmcnt(56)
	v_fma_f64 v[167:168], v[121:122], v[169:170], -v[167:168]
	ds_read_b128 v[1:4], v182 offset:1296
	v_fma_f64 v[161:162], v[123:124], v[169:170], v[161:162]
	v_add_f64 v[133:134], v[133:134], v[175:176]
	v_add_f64 v[125:126], v[125:126], v[159:160]
	s_clause 0x2
	buffer_load_dword v178, off, s[0:3], 0 offset:652
	buffer_load_dword v160, off, s[0:3], 0 offset:628
	;; [unrolled: 1-line block ×3, first 2 shown]
	ds_read_b128 v[121:124], v182 offset:1312
	s_waitcnt vmcnt(58) lgkmcnt(1)
	v_mul_f64 v[175:176], v[3:4], v[191:192]
	v_mul_f64 v[169:170], v[1:2], v[191:192]
	s_waitcnt vmcnt(56)
	v_fma_f64 v[189:190], v[5:6], v[129:130], -v[189:190]
	v_fma_f64 v[129:130], v[7:8], v[129:130], v[204:205]
	v_add_f64 v[133:134], v[133:134], v[167:168]
	v_add_f64 v[125:126], v[125:126], v[161:162]
	s_clause 0x4
	buffer_load_dword v162, off, s[0:3], 0 offset:668
	buffer_load_dword v167, off, s[0:3], 0 offset:680
	;; [unrolled: 1-line block ×5, first 2 shown]
	ds_read_b128 v[5:8], v182 offset:1328
	s_waitcnt vmcnt(57) lgkmcnt(1)
	v_mul_f64 v[204:205], v[121:122], v[127:128]
	v_mul_f64 v[127:128], v[123:124], v[127:128]
	s_waitcnt vmcnt(56)
	v_fma_f64 v[175:176], v[1:2], v[193:194], -v[175:176]
	v_fma_f64 v[169:170], v[3:4], v[193:194], v[169:170]
	v_add_f64 v[133:134], v[133:134], v[189:190]
	v_add_f64 v[125:126], v[125:126], v[129:130]
	s_clause 0x2
	buffer_load_dword v168, off, s[0:3], 0 offset:684
	buffer_load_dword v130, off, s[0:3], 0 offset:660
	;; [unrolled: 1-line block ×3, first 2 shown]
	s_waitcnt vmcnt(58) lgkmcnt(0)
	v_mul_f64 v[193:194], v[7:8], v[195:196]
	ds_read_b128 v[1:4], v182 offset:1344
	v_mul_f64 v[189:190], v[5:6], v[195:196]
	s_waitcnt vmcnt(56)
	v_fma_f64 v[127:128], v[121:122], v[185:186], -v[127:128]
	v_add_f64 v[133:134], v[133:134], v[175:176]
	v_fma_f64 v[175:176], v[123:124], v[185:186], v[204:205]
	v_add_f64 v[125:126], v[125:126], v[169:170]
	s_clause 0x4
	buffer_load_dword v170, off, s[0:3], 0 offset:700
	buffer_load_dword v185, off, s[0:3], 0 offset:712
	;; [unrolled: 1-line block ×5, first 2 shown]
	ds_read_b128 v[121:124], v182 offset:1360
	s_waitcnt vmcnt(57) lgkmcnt(1)
	v_mul_f64 v[204:205], v[1:2], v[145:146]
	v_mul_f64 v[145:146], v[3:4], v[145:146]
	s_waitcnt vmcnt(56)
	v_fma_f64 v[193:194], v[5:6], v[200:201], -v[193:194]
	v_add_f64 v[127:128], v[133:134], v[127:128]
	v_fma_f64 v[133:134], v[7:8], v[200:201], v[189:190]
	v_add_f64 v[125:126], v[125:126], v[175:176]
	s_clause 0x2
	buffer_load_dword v186, off, s[0:3], 0 offset:716
	buffer_load_dword v176, off, s[0:3], 0 offset:692
	;; [unrolled: 1-line block ×3, first 2 shown]
	ds_read_b128 v[5:8], v182 offset:1376
	s_waitcnt vmcnt(58) lgkmcnt(1)
	v_mul_f64 v[189:190], v[121:122], v[187:188]
	v_mul_f64 v[187:188], v[123:124], v[187:188]
	s_waitcnt vmcnt(56)
	v_fma_f64 v[145:146], v[1:2], v[139:140], -v[145:146]
	v_fma_f64 v[139:140], v[3:4], v[139:140], v[204:205]
	v_add_f64 v[127:128], v[127:128], v[193:194]
	v_add_f64 v[125:126], v[125:126], v[133:134]
	s_clause 0x4
	buffer_load_dword v134, off, s[0:3], 0 offset:732
	buffer_load_dword v193, off, s[0:3], 0 offset:744
	buffer_load_dword v199, off, s[0:3], 0 offset:736
	buffer_load_dword v133, off, s[0:3], 0 offset:728
	buffer_load_dword v196, off, s[0:3], 0 offset:708
	ds_read_b128 v[1:4], v182 offset:1392
	s_waitcnt vmcnt(57) lgkmcnt(1)
	v_mul_f64 v[200:201], v[5:6], v[131:132]
	v_mul_f64 v[131:132], v[7:8], v[131:132]
	s_waitcnt vmcnt(56)
	v_fma_f64 v[187:188], v[121:122], v[202:203], -v[187:188]
	v_add_f64 v[127:128], v[127:128], v[145:146]
	v_fma_f64 v[145:146], v[123:124], v[202:203], v[189:190]
	v_add_f64 v[125:126], v[125:126], v[139:140]
	s_clause 0x2
	buffer_load_dword v194, off, s[0:3], 0 offset:748
	buffer_load_dword v140, off, s[0:3], 0 offset:724
	;; [unrolled: 1-line block ×3, first 2 shown]
	ds_read_b128 v[121:124], v182 offset:1408
	s_waitcnt vmcnt(58) lgkmcnt(1)
	v_mul_f64 v[189:190], v[1:2], v[149:150]
	v_mul_f64 v[149:150], v[3:4], v[149:150]
	s_waitcnt vmcnt(56)
	v_fma_f64 v[131:132], v[5:6], v[137:138], -v[131:132]
	v_fma_f64 v[137:138], v[7:8], v[137:138], v[200:201]
	v_add_f64 v[127:128], v[127:128], v[187:188]
	v_add_f64 v[125:126], v[125:126], v[145:146]
	s_clause 0x4
	buffer_load_dword v146, off, s[0:3], 0 offset:764
	buffer_load_dword v187, off, s[0:3], 0 offset:776
	;; [unrolled: 1-line block ×5, first 2 shown]
	ds_read_b128 v[5:8], v182 offset:1424
	s_waitcnt vmcnt(57) lgkmcnt(1)
	v_mul_f64 v[202:203], v[121:122], v[135:136]
	v_mul_f64 v[135:136], v[123:124], v[135:136]
	s_waitcnt vmcnt(56)
	v_fma_f64 v[149:150], v[1:2], v[197:198], -v[149:150]
	v_add_f64 v[127:128], v[127:128], v[131:132]
	v_fma_f64 v[131:132], v[3:4], v[197:198], v[189:190]
	v_add_f64 v[125:126], v[125:126], v[137:138]
	s_clause 0x2
	buffer_load_dword v188, off, s[0:3], 0 offset:780
	buffer_load_dword v138, off, s[0:3], 0 offset:756
	;; [unrolled: 1-line block ×3, first 2 shown]
	s_waitcnt vmcnt(58) lgkmcnt(0)
	v_mul_f64 v[189:190], v[5:6], v[157:158]
	v_mul_f64 v[157:158], v[7:8], v[157:158]
	ds_read_b128 v[1:4], v182 offset:1440
	s_waitcnt vmcnt(56)
	v_fma_f64 v[135:136], v[121:122], v[143:144], -v[135:136]
	v_fma_f64 v[143:144], v[123:124], v[143:144], v[202:203]
	v_add_f64 v[127:128], v[127:128], v[149:150]
	v_add_f64 v[125:126], v[125:126], v[131:132]
	s_clause 0x4
	buffer_load_dword v132, off, s[0:3], 0 offset:796
	buffer_load_dword v149, off, s[0:3], 0 offset:808
	;; [unrolled: 1-line block ×5, first 2 shown]
	ds_read_b128 v[121:124], v182 offset:1456
	s_waitcnt vmcnt(57) lgkmcnt(1)
	v_mul_f64 v[203:204], v[1:2], v[141:142]
	v_mul_f64 v[141:142], v[3:4], v[141:142]
	s_waitcnt vmcnt(56)
	v_fma_f64 v[157:158], v[5:6], v[183:184], -v[157:158]
	v_add_f64 v[127:128], v[127:128], v[135:136]
	v_fma_f64 v[135:136], v[7:8], v[183:184], v[189:190]
	v_add_f64 v[125:126], v[125:126], v[143:144]
	s_clause 0x2
	buffer_load_dword v150, off, s[0:3], 0 offset:812
	buffer_load_dword v144, off, s[0:3], 0 offset:788
	;; [unrolled: 1-line block ×3, first 2 shown]
	s_waitcnt vmcnt(58) lgkmcnt(0)
	v_mul_f64 v[183:184], v[121:122], v[163:164]
	v_mul_f64 v[163:164], v[123:124], v[163:164]
	ds_read_b128 v[5:8], v182 offset:1472
	s_waitcnt vmcnt(56)
	v_fma_f64 v[141:142], v[1:2], v[153:154], -v[141:142]
	v_fma_f64 v[153:154], v[3:4], v[153:154], v[203:204]
	v_add_f64 v[127:128], v[127:128], v[157:158]
	v_add_f64 v[125:126], v[125:126], v[135:136]
	s_clause 0x4
	buffer_load_dword v136, off, s[0:3], 0 offset:828
	buffer_load_dword v157, off, s[0:3], 0 offset:840
	;; [unrolled: 1-line block ×5, first 2 shown]
	ds_read_b128 v[1:4], v182 offset:1488
	s_waitcnt vmcnt(57) lgkmcnt(1)
	v_mul_f64 v[203:204], v[5:6], v[147:148]
	v_mul_f64 v[147:148], v[7:8], v[147:148]
	s_waitcnt vmcnt(56)
	v_fma_f64 v[163:164], v[121:122], v[165:166], -v[163:164]
	v_add_f64 v[127:128], v[127:128], v[141:142]
	v_fma_f64 v[141:142], v[123:124], v[165:166], v[183:184]
	v_add_f64 v[125:126], v[125:126], v[153:154]
	s_clause 0x2
	buffer_load_dword v158, off, s[0:3], 0 offset:844
	buffer_load_dword v154, off, s[0:3], 0 offset:820
	;; [unrolled: 1-line block ×3, first 2 shown]
	ds_read_b128 v[121:124], v182 offset:1504
	s_waitcnt vmcnt(58) lgkmcnt(1)
	v_mul_f64 v[165:166], v[1:2], v[171:172]
	v_mul_f64 v[171:172], v[3:4], v[171:172]
	s_waitcnt vmcnt(56)
	v_fma_f64 v[147:148], v[5:6], v[151:152], -v[147:148]
	v_fma_f64 v[151:152], v[7:8], v[151:152], v[203:204]
	v_add_f64 v[127:128], v[127:128], v[163:164]
	v_add_f64 v[125:126], v[125:126], v[141:142]
	s_clause 0x4
	buffer_load_dword v142, off, s[0:3], 0 offset:860
	buffer_load_dword v163, off, s[0:3], 0 offset:872
	buffer_load_dword v183, off, s[0:3], 0 offset:864
	buffer_load_dword v141, off, s[0:3], 0 offset:856
	buffer_load_dword v190, off, s[0:3], 0 offset:836
	ds_read_b128 v[5:8], v182 offset:1520
	s_waitcnt vmcnt(57) lgkmcnt(1)
	v_mul_f64 v[203:204], v[121:122], v[155:156]
	v_mul_f64 v[155:156], v[123:124], v[155:156]
	s_waitcnt vmcnt(56)
	v_fma_f64 v[171:172], v[1:2], v[173:174], -v[171:172]
	v_add_f64 v[127:128], v[127:128], v[147:148]
	v_fma_f64 v[147:148], v[3:4], v[173:174], v[165:166]
	v_add_f64 v[125:126], v[125:126], v[151:152]
	s_clause 0x2
	buffer_load_dword v164, off, s[0:3], 0 offset:876
	buffer_load_dword v152, off, s[0:3], 0 offset:852
	buffer_load_dword v151, off, s[0:3], 0 offset:848
	ds_read_b128 v[1:4], v182 offset:1536
	s_waitcnt vmcnt(58) lgkmcnt(1)
	v_mul_f64 v[173:174], v[7:8], v[177:178]
	v_mul_f64 v[165:166], v[5:6], v[177:178]
	s_waitcnt vmcnt(56)
	v_fma_f64 v[155:156], v[121:122], v[159:160], -v[155:156]
	v_fma_f64 v[159:160], v[123:124], v[159:160], v[203:204]
	v_add_f64 v[127:128], v[127:128], v[171:172]
	v_add_f64 v[125:126], v[125:126], v[147:148]
	s_clause 0x4
	buffer_load_dword v148, off, s[0:3], 0 offset:892
	buffer_load_dword v171, off, s[0:3], 0 offset:904
	;; [unrolled: 1-line block ×5, first 2 shown]
	ds_read_b128 v[121:124], v182 offset:1552
	s_waitcnt vmcnt(57) lgkmcnt(1)
	v_mul_f64 v[203:204], v[1:2], v[161:162]
	v_mul_f64 v[161:162], v[3:4], v[161:162]
	s_waitcnt vmcnt(56)
	v_fma_f64 v[173:174], v[5:6], v[179:180], -v[173:174]
	v_add_f64 v[127:128], v[127:128], v[155:156]
	v_fma_f64 v[155:156], v[7:8], v[179:180], v[165:166]
	v_add_f64 v[125:126], v[125:126], v[159:160]
	s_clause 0x2
	buffer_load_dword v172, off, s[0:3], 0 offset:908
	buffer_load_dword v160, off, s[0:3], 0 offset:884
	;; [unrolled: 1-line block ×3, first 2 shown]
	ds_read_b128 v[5:8], v182 offset:1568
	buffer_load_dword v178, off, s[0:3], 0 offset:900
	s_waitcnt vmcnt(59) lgkmcnt(1)
	v_mul_f64 v[165:166], v[121:122], v[167:168]
	v_mul_f64 v[167:168], v[123:124], v[167:168]
	s_waitcnt vmcnt(57)
	v_fma_f64 v[161:162], v[1:2], v[129:130], -v[161:162]
	v_fma_f64 v[129:130], v[3:4], v[129:130], v[203:204]
	ds_read_b128 v[1:4], v182 offset:1584
	v_add_f64 v[127:128], v[127:128], v[173:174]
	v_add_f64 v[125:126], v[125:126], v[155:156]
	s_waitcnt vmcnt(53) lgkmcnt(1)
	v_mul_f64 v[155:156], v[5:6], v[169:170]
	v_mul_f64 v[169:170], v[7:8], v[169:170]
	s_waitcnt vmcnt(52)
	v_fma_f64 v[167:168], v[121:122], v[191:192], -v[167:168]
	v_add_f64 v[127:128], v[127:128], v[161:162]
	v_fma_f64 v[161:162], v[123:124], v[191:192], v[165:166]
	v_add_f64 v[125:126], v[125:126], v[129:130]
	ds_read_b128 v[121:124], v182 offset:1600
	s_waitcnt vmcnt(51) lgkmcnt(1)
	v_mul_f64 v[165:166], v[3:4], v[185:186]
	v_mul_f64 v[129:130], v[1:2], v[185:186]
	s_waitcnt vmcnt(49)
	v_fma_f64 v[169:170], v[5:6], v[175:176], -v[169:170]
	v_fma_f64 v[155:156], v[7:8], v[175:176], v[155:156]
	v_add_f64 v[127:128], v[127:128], v[167:168]
	v_add_f64 v[125:126], v[125:126], v[161:162]
	s_clause 0x3
	buffer_load_dword v161, off, s[0:3], 0 offset:144
	buffer_load_dword v162, off, s[0:3], 0 offset:148
	;; [unrolled: 1-line block ×4, first 2 shown]
	ds_read_b128 v[5:8], v182 offset:1616
	s_waitcnt vmcnt(49) lgkmcnt(1)
	v_mul_f64 v[173:174], v[121:122], v[133:134]
	v_mul_f64 v[133:134], v[123:124], v[133:134]
	s_waitcnt vmcnt(48)
	v_fma_f64 v[165:166], v[1:2], v[195:196], -v[165:166]
	v_fma_f64 v[129:130], v[3:4], v[195:196], v[129:130]
	ds_read_b128 v[1:4], v182 offset:1632
	v_add_f64 v[127:128], v[127:128], v[169:170]
	v_add_f64 v[125:126], v[125:126], v[155:156]
	s_waitcnt vmcnt(47) lgkmcnt(1)
	v_mul_f64 v[169:170], v[7:8], v[193:194]
	v_mul_f64 v[155:156], v[5:6], v[193:194]
	s_waitcnt vmcnt(45)
	v_fma_f64 v[133:134], v[121:122], v[139:140], -v[133:134]
	v_fma_f64 v[139:140], v[123:124], v[139:140], v[173:174]
	ds_read_b128 v[121:124], v182 offset:1648
	v_add_f64 v[127:128], v[127:128], v[165:166]
	v_add_f64 v[125:126], v[125:126], v[129:130]
	s_waitcnt vmcnt(41) lgkmcnt(1)
	v_mul_f64 v[129:130], v[1:2], v[145:146]
	v_mul_f64 v[145:146], v[3:4], v[145:146]
	s_waitcnt vmcnt(40)
	v_fma_f64 v[165:166], v[5:6], v[199:200], -v[169:170]
	v_add_f64 v[127:128], v[127:128], v[133:134]
	v_fma_f64 v[133:134], v[7:8], v[199:200], v[155:156]
	v_add_f64 v[125:126], v[125:126], v[139:140]
	ds_read_b128 v[5:8], v182 offset:1664
	s_waitcnt vmcnt(39) lgkmcnt(1)
	v_mul_f64 v[155:156], v[123:124], v[187:188]
	v_mul_f64 v[139:140], v[121:122], v[187:188]
	s_waitcnt vmcnt(37)
	v_fma_f64 v[145:146], v[1:2], v[137:138], -v[145:146]
	v_fma_f64 v[129:130], v[3:4], v[137:138], v[129:130]
	ds_read_b128 v[1:4], v182 offset:1680
	v_add_f64 v[127:128], v[127:128], v[165:166]
	v_add_f64 v[125:126], v[125:126], v[133:134]
	s_waitcnt vmcnt(33) lgkmcnt(1)
	v_mul_f64 v[133:134], v[5:6], v[131:132]
	v_mul_f64 v[131:132], v[7:8], v[131:132]
	s_waitcnt vmcnt(32)
	v_fma_f64 v[137:138], v[121:122], v[201:202], -v[155:156]
	v_fma_f64 v[139:140], v[123:124], v[201:202], v[139:140]
	ds_read_b128 v[121:124], v182 offset:1696
	v_add_f64 v[127:128], v[127:128], v[145:146]
	v_add_f64 v[125:126], v[125:126], v[129:130]
	;; [unrolled: 9-line block ×5, first 2 shown]
	s_waitcnt vmcnt(17) lgkmcnt(1)
	v_mul_f64 v[139:140], v[3:4], v[141:142]
	s_waitcnt vmcnt(16)
	v_fma_f64 v[133:134], v[5:6], v[189:190], -v[133:134]
	v_mul_f64 v[129:130], v[1:2], v[141:142]
	v_fma_f64 v[131:132], v[7:8], v[189:190], v[131:132]
	ds_read_b128 v[5:8], v182 offset:1760
	v_add_f64 v[127:128], v[127:128], v[135:136]
	v_add_f64 v[125:126], v[125:126], v[137:138]
	s_waitcnt vmcnt(15) lgkmcnt(1)
	v_mul_f64 v[137:138], v[123:124], v[163:164]
	v_mul_f64 v[135:136], v[121:122], v[163:164]
	s_waitcnt vmcnt(13)
	v_fma_f64 v[139:140], v[1:2], v[151:152], -v[139:140]
	v_fma_f64 v[129:130], v[3:4], v[151:152], v[129:130]
	ds_read_b128 v[1:4], v182 offset:1776
	v_add_f64 v[127:128], v[127:128], v[133:134]
	v_add_f64 v[125:126], v[125:126], v[131:132]
	s_waitcnt vmcnt(9) lgkmcnt(1)
	v_mul_f64 v[133:134], v[7:8], v[147:148]
	s_waitcnt vmcnt(8)
	v_fma_f64 v[121:122], v[121:122], v[183:184], -v[137:138]
	v_mul_f64 v[131:132], v[5:6], v[147:148]
	v_fma_f64 v[123:124], v[123:124], v[183:184], v[135:136]
	v_add_f64 v[127:128], v[127:128], v[139:140]
	v_add_f64 v[125:126], v[125:126], v[129:130]
	s_waitcnt vmcnt(7) lgkmcnt(0)
	v_mul_f64 v[135:136], v[3:4], v[171:172]
	v_mul_f64 v[129:130], v[1:2], v[171:172]
	s_waitcnt vmcnt(5)
	v_fma_f64 v[5:6], v[5:6], v[159:160], -v[133:134]
	v_fma_f64 v[7:8], v[7:8], v[159:160], v[131:132]
	v_add_f64 v[121:122], v[127:128], v[121:122]
	v_add_f64 v[123:124], v[125:126], v[123:124]
	s_waitcnt vmcnt(4)
	v_fma_f64 v[1:2], v[1:2], v[177:178], -v[135:136]
	v_fma_f64 v[3:4], v[3:4], v[177:178], v[129:130]
	v_add_f64 v[5:6], v[121:122], v[5:6]
	v_add_f64 v[7:8], v[123:124], v[7:8]
	v_add_f64 v[1:2], v[5:6], v[1:2]
	v_add_f64 v[3:4], v[7:8], v[3:4]
	s_waitcnt vmcnt(2)
	v_add_f64 v[1:2], v[161:162], -v[1:2]
	s_waitcnt vmcnt(0)
	v_add_f64 v[3:4], v[167:168], -v[3:4]
	buffer_store_dword v2, off, s[0:3], 0 offset:148
	buffer_store_dword v1, off, s[0:3], 0 offset:144
	buffer_store_dword v4, off, s[0:3], 0 offset:156
	buffer_store_dword v3, off, s[0:3], 0 offset:152
	v_cmpx_lt_u32_e32 7, v0
	s_cbranch_execz .LBB119_335
; %bb.334:
	v_mov_b32_e32 v4, s61
	s_clause 0x3
	buffer_load_dword v1, v4, s[0:3], 0 offen
	buffer_load_dword v2, v4, s[0:3], 0 offen offset:4
	buffer_load_dword v3, v4, s[0:3], 0 offen offset:8
	;; [unrolled: 1-line block ×3, first 2 shown]
	buffer_store_dword v182, off, s[0:3], 0 offset:128
	buffer_store_dword v182, off, s[0:3], 0 offset:132
	;; [unrolled: 1-line block ×4, first 2 shown]
	s_waitcnt vmcnt(0)
	ds_write_b128 v181, v[1:4]
.LBB119_335:
	s_or_b32 exec_lo, exec_lo, s4
	s_waitcnt lgkmcnt(0)
	s_waitcnt_vscnt null, 0x0
	s_barrier
	buffer_gl0_inv
	s_clause 0x37
	buffer_load_dword v129, off, s[0:3], 0 offset:152
	buffer_load_dword v130, off, s[0:3], 0 offset:156
	;; [unrolled: 1-line block ×56, first 2 shown]
	ds_read_b128 v[5:8], v182 offset:1024
	s_clause 0x2
	buffer_load_dword v178, off, s[0:3], 0 offset:380
	buffer_load_dword v180, off, s[0:3], 0 offset:356
	;; [unrolled: 1-line block ×3, first 2 shown]
	ds_read_b128 v[1:4], v182 offset:1040
	s_clause 0x4
	buffer_load_dword v190, off, s[0:3], 0 offset:396
	buffer_load_dword v191, off, s[0:3], 0 offset:408
	;; [unrolled: 1-line block ×5, first 2 shown]
	ds_read_b128 v[183:186], v182 offset:1056
	s_mov_b32 s4, exec_lo
	s_waitcnt vmcnt(62) lgkmcnt(2)
	v_mul_f64 v[187:188], v[7:8], v[129:130]
	v_mul_f64 v[129:130], v[5:6], v[129:130]
	s_waitcnt vmcnt(60) lgkmcnt(1)
	v_mul_f64 v[194:195], v[3:4], v[125:126]
	v_mul_f64 v[125:126], v[1:2], v[125:126]
	;; [unrolled: 3-line block ×3, first 2 shown]
	v_fma_f64 v[187:188], v[5:6], v[127:128], -v[187:188]
	v_fma_f64 v[127:128], v[7:8], v[127:128], v[129:130]
	s_clause 0x2
	buffer_load_dword v192, off, s[0:3], 0 offset:412
	buffer_load_dword v130, off, s[0:3], 0 offset:388
	buffer_load_dword v129, off, s[0:3], 0 offset:384
	s_waitcnt vmcnt(57)
	v_fma_f64 v[198:199], v[1:2], v[121:122], -v[194:195]
	ds_read_b128 v[5:8], v182 offset:1072
	v_fma_f64 v[121:122], v[3:4], v[121:122], v[125:126]
	s_waitcnt vmcnt(51)
	v_fma_f64 v[183:184], v[183:184], v[145:146], -v[123:124]
	v_fma_f64 v[145:146], v[185:186], v[145:146], v[196:197]
	v_add_f64 v[187:188], v[187:188], 0
	v_add_f64 v[125:126], v[127:128], 0
	s_clause 0x4
	buffer_load_dword v128, off, s[0:3], 0 offset:428
	buffer_load_dword v195, off, s[0:3], 0 offset:440
	;; [unrolled: 1-line block ×5, first 2 shown]
	s_waitcnt lgkmcnt(0)
	v_mul_f64 v[201:202], v[5:6], v[133:134]
	v_mul_f64 v[133:134], v[7:8], v[133:134]
	ds_read_b128 v[1:4], v182 offset:1088
	s_clause 0x2
	buffer_load_dword v196, off, s[0:3], 0 offset:444
	buffer_load_dword v186, off, s[0:3], 0 offset:420
	;; [unrolled: 1-line block ×3, first 2 shown]
	v_add_f64 v[187:188], v[187:188], v[198:199]
	v_add_f64 v[125:126], v[125:126], v[121:122]
	ds_read_b128 v[121:124], v182 offset:1104
	s_waitcnt vmcnt(58) lgkmcnt(1)
	v_mul_f64 v[197:198], v[1:2], v[137:138]
	v_mul_f64 v[137:138], v[3:4], v[137:138]
	s_waitcnt vmcnt(56)
	v_fma_f64 v[133:134], v[5:6], v[139:140], -v[133:134]
	v_fma_f64 v[139:140], v[7:8], v[139:140], v[201:202]
	s_waitcnt vmcnt(52) lgkmcnt(0)
	v_mul_f64 v[203:204], v[121:122], v[141:142]
	v_add_f64 v[183:184], v[187:188], v[183:184]
	v_add_f64 v[125:126], v[125:126], v[145:146]
	s_clause 0x4
	buffer_load_dword v146, off, s[0:3], 0 offset:460
	buffer_load_dword v187, off, s[0:3], 0 offset:472
	;; [unrolled: 1-line block ×5, first 2 shown]
	v_mul_f64 v[141:142], v[123:124], v[141:142]
	s_waitcnt vmcnt(56)
	v_fma_f64 v[137:138], v[1:2], v[131:132], -v[137:138]
	ds_read_b128 v[5:8], v182 offset:1120
	v_fma_f64 v[131:132], v[3:4], v[131:132], v[197:198]
	v_add_f64 v[133:134], v[183:184], v[133:134]
	v_add_f64 v[125:126], v[125:126], v[139:140]
	s_clause 0x2
	buffer_load_dword v188, off, s[0:3], 0 offset:476
	buffer_load_dword v140, off, s[0:3], 0 offset:452
	;; [unrolled: 1-line block ×3, first 2 shown]
	s_waitcnt vmcnt(58) lgkmcnt(0)
	v_mul_f64 v[183:184], v[5:6], v[147:148]
	v_mul_f64 v[147:148], v[7:8], v[147:148]
	s_waitcnt vmcnt(56)
	v_fma_f64 v[141:142], v[121:122], v[149:150], -v[141:142]
	ds_read_b128 v[1:4], v182 offset:1136
	v_add_f64 v[133:134], v[133:134], v[137:138]
	v_fma_f64 v[137:138], v[123:124], v[149:150], v[203:204]
	v_add_f64 v[125:126], v[125:126], v[131:132]
	s_clause 0x4
	buffer_load_dword v132, off, s[0:3], 0 offset:492
	buffer_load_dword v149, off, s[0:3], 0 offset:504
	;; [unrolled: 1-line block ×5, first 2 shown]
	s_waitcnt vmcnt(57) lgkmcnt(0)
	v_mul_f64 v[198:199], v[1:2], v[151:152]
	v_mul_f64 v[151:152], v[3:4], v[151:152]
	s_waitcnt vmcnt(56)
	v_fma_f64 v[147:148], v[5:6], v[135:136], -v[147:148]
	ds_read_b128 v[121:124], v182 offset:1152
	v_fma_f64 v[135:136], v[7:8], v[135:136], v[183:184]
	v_add_f64 v[133:134], v[133:134], v[141:142]
	v_add_f64 v[125:126], v[125:126], v[137:138]
	s_clause 0x2
	buffer_load_dword v150, off, s[0:3], 0 offset:508
	buffer_load_dword v138, off, s[0:3], 0 offset:484
	;; [unrolled: 1-line block ×3, first 2 shown]
	ds_read_b128 v[5:8], v182 offset:1168
	s_waitcnt vmcnt(58) lgkmcnt(1)
	v_mul_f64 v[141:142], v[121:122], v[155:156]
	v_mul_f64 v[155:156], v[123:124], v[155:156]
	s_waitcnt vmcnt(56)
	v_fma_f64 v[151:152], v[1:2], v[157:158], -v[151:152]
	v_add_f64 v[133:134], v[133:134], v[147:148]
	v_fma_f64 v[147:148], v[3:4], v[157:158], v[198:199]
	v_add_f64 v[125:126], v[125:126], v[135:136]
	s_clause 0x4
	buffer_load_dword v136, off, s[0:3], 0 offset:524
	buffer_load_dword v157, off, s[0:3], 0 offset:536
	;; [unrolled: 1-line block ×5, first 2 shown]
	s_waitcnt vmcnt(57) lgkmcnt(0)
	v_mul_f64 v[204:205], v[5:6], v[159:160]
	v_mul_f64 v[159:160], v[7:8], v[159:160]
	s_waitcnt vmcnt(56)
	v_fma_f64 v[155:156], v[121:122], v[143:144], -v[155:156]
	ds_read_b128 v[1:4], v182 offset:1184
	v_fma_f64 v[141:142], v[123:124], v[143:144], v[141:142]
	s_clause 0x2
	buffer_load_dword v158, off, s[0:3], 0 offset:540
	buffer_load_dword v144, off, s[0:3], 0 offset:516
	buffer_load_dword v143, off, s[0:3], 0 offset:512
	ds_read_b128 v[121:124], v182 offset:1200
	v_add_f64 v[133:134], v[133:134], v[151:152]
	v_add_f64 v[125:126], v[125:126], v[147:148]
	s_waitcnt vmcnt(58) lgkmcnt(1)
	v_mul_f64 v[151:152], v[3:4], v[163:164]
	s_waitcnt vmcnt(56)
	v_fma_f64 v[159:160], v[5:6], v[165:166], -v[159:160]
	v_mul_f64 v[147:148], v[1:2], v[163:164]
	v_add_f64 v[133:134], v[133:134], v[155:156]
	v_fma_f64 v[155:156], v[7:8], v[165:166], v[204:205]
	v_add_f64 v[125:126], v[125:126], v[141:142]
	s_clause 0x4
	buffer_load_dword v142, off, s[0:3], 0 offset:556
	buffer_load_dword v163, off, s[0:3], 0 offset:568
	;; [unrolled: 1-line block ×5, first 2 shown]
	s_waitcnt vmcnt(57) lgkmcnt(0)
	v_mul_f64 v[204:205], v[121:122], v[167:168]
	v_mul_f64 v[166:167], v[123:124], v[167:168]
	s_waitcnt vmcnt(56)
	v_fma_f64 v[151:152], v[1:2], v[153:154], -v[151:152]
	ds_read_b128 v[5:8], v182 offset:1216
	v_fma_f64 v[147:148], v[3:4], v[153:154], v[147:148]
	s_clause 0x2
	buffer_load_dword v164, off, s[0:3], 0 offset:572
	buffer_load_dword v154, off, s[0:3], 0 offset:548
	;; [unrolled: 1-line block ×3, first 2 shown]
	ds_read_b128 v[1:4], v182 offset:1232
	v_add_f64 v[133:134], v[133:134], v[159:160]
	v_add_f64 v[125:126], v[125:126], v[155:156]
	s_waitcnt vmcnt(58) lgkmcnt(1)
	v_mul_f64 v[159:160], v[7:8], v[171:172]
	s_waitcnt vmcnt(56)
	v_fma_f64 v[167:168], v[121:122], v[173:174], -v[166:167]
	v_mul_f64 v[155:156], v[5:6], v[171:172]
	v_add_f64 v[133:134], v[133:134], v[151:152]
	v_fma_f64 v[151:152], v[123:124], v[173:174], v[204:205]
	v_add_f64 v[125:126], v[125:126], v[147:148]
	s_clause 0x4
	buffer_load_dword v148, off, s[0:3], 0 offset:588
	buffer_load_dword v171, off, s[0:3], 0 offset:600
	;; [unrolled: 1-line block ×5, first 2 shown]
	s_waitcnt vmcnt(57) lgkmcnt(0)
	v_mul_f64 v[204:205], v[1:2], v[175:176]
	v_mul_f64 v[174:175], v[3:4], v[175:176]
	s_waitcnt vmcnt(56)
	v_fma_f64 v[159:160], v[5:6], v[161:162], -v[159:160]
	ds_read_b128 v[121:124], v182 offset:1248
	v_fma_f64 v[155:156], v[7:8], v[161:162], v[155:156]
	v_add_f64 v[133:134], v[133:134], v[167:168]
	v_add_f64 v[125:126], v[125:126], v[151:152]
	s_clause 0x2
	buffer_load_dword v172, off, s[0:3], 0 offset:604
	buffer_load_dword v152, off, s[0:3], 0 offset:580
	;; [unrolled: 1-line block ×3, first 2 shown]
	ds_read_b128 v[5:8], v182 offset:1264
	s_waitcnt vmcnt(58) lgkmcnt(1)
	v_mul_f64 v[167:168], v[123:124], v[177:178]
	s_waitcnt vmcnt(56)
	v_fma_f64 v[175:176], v[1:2], v[179:180], -v[174:175]
	v_mul_f64 v[161:162], v[121:122], v[177:178]
	v_add_f64 v[133:134], v[133:134], v[159:160]
	v_fma_f64 v[159:160], v[3:4], v[179:180], v[204:205]
	v_add_f64 v[125:126], v[125:126], v[155:156]
	s_clause 0x4
	buffer_load_dword v156, off, s[0:3], 0 offset:620
	buffer_load_dword v177, off, s[0:3], 0 offset:632
	;; [unrolled: 1-line block ×5, first 2 shown]
	s_waitcnt vmcnt(57) lgkmcnt(0)
	v_mul_f64 v[204:205], v[5:6], v[189:190]
	v_mul_f64 v[189:190], v[7:8], v[189:190]
	s_waitcnt vmcnt(56)
	v_fma_f64 v[167:168], v[121:122], v[169:170], -v[167:168]
	ds_read_b128 v[1:4], v182 offset:1280
	v_fma_f64 v[161:162], v[123:124], v[169:170], v[161:162]
	v_add_f64 v[133:134], v[133:134], v[175:176]
	v_add_f64 v[125:126], v[125:126], v[159:160]
	s_clause 0x2
	buffer_load_dword v178, off, s[0:3], 0 offset:636
	buffer_load_dword v160, off, s[0:3], 0 offset:612
	;; [unrolled: 1-line block ×3, first 2 shown]
	ds_read_b128 v[121:124], v182 offset:1296
	s_waitcnt vmcnt(58) lgkmcnt(1)
	v_mul_f64 v[175:176], v[3:4], v[191:192]
	v_mul_f64 v[169:170], v[1:2], v[191:192]
	s_waitcnt vmcnt(56)
	v_fma_f64 v[189:190], v[5:6], v[129:130], -v[189:190]
	v_fma_f64 v[129:130], v[7:8], v[129:130], v[204:205]
	v_add_f64 v[133:134], v[133:134], v[167:168]
	v_add_f64 v[125:126], v[125:126], v[161:162]
	s_clause 0x4
	buffer_load_dword v162, off, s[0:3], 0 offset:652
	buffer_load_dword v167, off, s[0:3], 0 offset:664
	;; [unrolled: 1-line block ×5, first 2 shown]
	ds_read_b128 v[5:8], v182 offset:1312
	s_waitcnt vmcnt(57) lgkmcnt(1)
	v_mul_f64 v[204:205], v[121:122], v[127:128]
	v_mul_f64 v[127:128], v[123:124], v[127:128]
	s_waitcnt vmcnt(56)
	v_fma_f64 v[175:176], v[1:2], v[193:194], -v[175:176]
	v_fma_f64 v[169:170], v[3:4], v[193:194], v[169:170]
	v_add_f64 v[133:134], v[133:134], v[189:190]
	v_add_f64 v[125:126], v[125:126], v[129:130]
	s_clause 0x2
	buffer_load_dword v168, off, s[0:3], 0 offset:668
	buffer_load_dword v130, off, s[0:3], 0 offset:644
	;; [unrolled: 1-line block ×3, first 2 shown]
	s_waitcnt vmcnt(58) lgkmcnt(0)
	v_mul_f64 v[193:194], v[7:8], v[195:196]
	ds_read_b128 v[1:4], v182 offset:1328
	v_mul_f64 v[189:190], v[5:6], v[195:196]
	s_waitcnt vmcnt(56)
	v_fma_f64 v[127:128], v[121:122], v[185:186], -v[127:128]
	v_add_f64 v[133:134], v[133:134], v[175:176]
	v_fma_f64 v[175:176], v[123:124], v[185:186], v[204:205]
	v_add_f64 v[125:126], v[125:126], v[169:170]
	s_clause 0x4
	buffer_load_dword v170, off, s[0:3], 0 offset:684
	buffer_load_dword v185, off, s[0:3], 0 offset:696
	;; [unrolled: 1-line block ×5, first 2 shown]
	ds_read_b128 v[121:124], v182 offset:1344
	s_waitcnt vmcnt(57) lgkmcnt(1)
	v_mul_f64 v[204:205], v[1:2], v[145:146]
	v_mul_f64 v[145:146], v[3:4], v[145:146]
	s_waitcnt vmcnt(56)
	v_fma_f64 v[193:194], v[5:6], v[200:201], -v[193:194]
	v_add_f64 v[127:128], v[133:134], v[127:128]
	v_fma_f64 v[133:134], v[7:8], v[200:201], v[189:190]
	v_add_f64 v[125:126], v[125:126], v[175:176]
	s_clause 0x2
	buffer_load_dword v186, off, s[0:3], 0 offset:700
	buffer_load_dword v176, off, s[0:3], 0 offset:676
	;; [unrolled: 1-line block ×3, first 2 shown]
	ds_read_b128 v[5:8], v182 offset:1360
	s_waitcnt vmcnt(58) lgkmcnt(1)
	v_mul_f64 v[189:190], v[121:122], v[187:188]
	v_mul_f64 v[187:188], v[123:124], v[187:188]
	s_waitcnt vmcnt(56)
	v_fma_f64 v[145:146], v[1:2], v[139:140], -v[145:146]
	v_fma_f64 v[139:140], v[3:4], v[139:140], v[204:205]
	v_add_f64 v[127:128], v[127:128], v[193:194]
	v_add_f64 v[125:126], v[125:126], v[133:134]
	s_clause 0x4
	buffer_load_dword v134, off, s[0:3], 0 offset:716
	buffer_load_dword v193, off, s[0:3], 0 offset:728
	;; [unrolled: 1-line block ×5, first 2 shown]
	ds_read_b128 v[1:4], v182 offset:1376
	s_waitcnt vmcnt(57) lgkmcnt(1)
	v_mul_f64 v[200:201], v[5:6], v[131:132]
	v_mul_f64 v[131:132], v[7:8], v[131:132]
	s_waitcnt vmcnt(56)
	v_fma_f64 v[187:188], v[121:122], v[202:203], -v[187:188]
	v_add_f64 v[127:128], v[127:128], v[145:146]
	v_fma_f64 v[145:146], v[123:124], v[202:203], v[189:190]
	v_add_f64 v[125:126], v[125:126], v[139:140]
	s_clause 0x2
	buffer_load_dword v194, off, s[0:3], 0 offset:732
	buffer_load_dword v140, off, s[0:3], 0 offset:708
	;; [unrolled: 1-line block ×3, first 2 shown]
	ds_read_b128 v[121:124], v182 offset:1392
	s_waitcnt vmcnt(58) lgkmcnt(1)
	v_mul_f64 v[189:190], v[1:2], v[149:150]
	v_mul_f64 v[149:150], v[3:4], v[149:150]
	s_waitcnt vmcnt(56)
	v_fma_f64 v[131:132], v[5:6], v[137:138], -v[131:132]
	v_fma_f64 v[137:138], v[7:8], v[137:138], v[200:201]
	v_add_f64 v[127:128], v[127:128], v[187:188]
	v_add_f64 v[125:126], v[125:126], v[145:146]
	s_clause 0x4
	buffer_load_dword v146, off, s[0:3], 0 offset:748
	buffer_load_dword v187, off, s[0:3], 0 offset:760
	;; [unrolled: 1-line block ×5, first 2 shown]
	ds_read_b128 v[5:8], v182 offset:1408
	s_waitcnt vmcnt(57) lgkmcnt(1)
	v_mul_f64 v[202:203], v[121:122], v[135:136]
	v_mul_f64 v[135:136], v[123:124], v[135:136]
	s_waitcnt vmcnt(56)
	v_fma_f64 v[149:150], v[1:2], v[197:198], -v[149:150]
	v_add_f64 v[127:128], v[127:128], v[131:132]
	v_fma_f64 v[131:132], v[3:4], v[197:198], v[189:190]
	v_add_f64 v[125:126], v[125:126], v[137:138]
	s_clause 0x2
	buffer_load_dword v188, off, s[0:3], 0 offset:764
	buffer_load_dword v138, off, s[0:3], 0 offset:740
	;; [unrolled: 1-line block ×3, first 2 shown]
	s_waitcnt vmcnt(58) lgkmcnt(0)
	v_mul_f64 v[189:190], v[5:6], v[157:158]
	v_mul_f64 v[157:158], v[7:8], v[157:158]
	ds_read_b128 v[1:4], v182 offset:1424
	s_waitcnt vmcnt(56)
	v_fma_f64 v[135:136], v[121:122], v[143:144], -v[135:136]
	v_fma_f64 v[143:144], v[123:124], v[143:144], v[202:203]
	v_add_f64 v[127:128], v[127:128], v[149:150]
	v_add_f64 v[125:126], v[125:126], v[131:132]
	s_clause 0x4
	buffer_load_dword v132, off, s[0:3], 0 offset:780
	buffer_load_dword v149, off, s[0:3], 0 offset:792
	;; [unrolled: 1-line block ×5, first 2 shown]
	ds_read_b128 v[121:124], v182 offset:1440
	s_waitcnt vmcnt(57) lgkmcnt(1)
	v_mul_f64 v[203:204], v[1:2], v[141:142]
	v_mul_f64 v[141:142], v[3:4], v[141:142]
	s_waitcnt vmcnt(56)
	v_fma_f64 v[157:158], v[5:6], v[183:184], -v[157:158]
	v_add_f64 v[127:128], v[127:128], v[135:136]
	v_fma_f64 v[135:136], v[7:8], v[183:184], v[189:190]
	v_add_f64 v[125:126], v[125:126], v[143:144]
	s_clause 0x2
	buffer_load_dword v150, off, s[0:3], 0 offset:796
	buffer_load_dword v144, off, s[0:3], 0 offset:772
	;; [unrolled: 1-line block ×3, first 2 shown]
	s_waitcnt vmcnt(58) lgkmcnt(0)
	v_mul_f64 v[183:184], v[121:122], v[163:164]
	v_mul_f64 v[163:164], v[123:124], v[163:164]
	ds_read_b128 v[5:8], v182 offset:1456
	s_waitcnt vmcnt(56)
	v_fma_f64 v[141:142], v[1:2], v[153:154], -v[141:142]
	v_fma_f64 v[153:154], v[3:4], v[153:154], v[203:204]
	v_add_f64 v[127:128], v[127:128], v[157:158]
	v_add_f64 v[125:126], v[125:126], v[135:136]
	s_clause 0x4
	buffer_load_dword v136, off, s[0:3], 0 offset:812
	buffer_load_dword v157, off, s[0:3], 0 offset:824
	buffer_load_dword v189, off, s[0:3], 0 offset:816
	buffer_load_dword v135, off, s[0:3], 0 offset:808
	buffer_load_dword v198, off, s[0:3], 0 offset:788
	ds_read_b128 v[1:4], v182 offset:1472
	s_waitcnt vmcnt(57) lgkmcnt(1)
	v_mul_f64 v[203:204], v[5:6], v[147:148]
	v_mul_f64 v[147:148], v[7:8], v[147:148]
	s_waitcnt vmcnt(56)
	v_fma_f64 v[163:164], v[121:122], v[165:166], -v[163:164]
	v_add_f64 v[127:128], v[127:128], v[141:142]
	v_fma_f64 v[141:142], v[123:124], v[165:166], v[183:184]
	v_add_f64 v[125:126], v[125:126], v[153:154]
	s_clause 0x2
	buffer_load_dword v158, off, s[0:3], 0 offset:828
	buffer_load_dword v154, off, s[0:3], 0 offset:804
	buffer_load_dword v153, off, s[0:3], 0 offset:800
	ds_read_b128 v[121:124], v182 offset:1488
	s_waitcnt vmcnt(58) lgkmcnt(1)
	v_mul_f64 v[165:166], v[1:2], v[171:172]
	v_mul_f64 v[171:172], v[3:4], v[171:172]
	s_waitcnt vmcnt(56)
	v_fma_f64 v[147:148], v[5:6], v[151:152], -v[147:148]
	v_fma_f64 v[151:152], v[7:8], v[151:152], v[203:204]
	v_add_f64 v[127:128], v[127:128], v[163:164]
	v_add_f64 v[125:126], v[125:126], v[141:142]
	s_clause 0x4
	buffer_load_dword v142, off, s[0:3], 0 offset:844
	buffer_load_dword v163, off, s[0:3], 0 offset:856
	buffer_load_dword v183, off, s[0:3], 0 offset:848
	buffer_load_dword v141, off, s[0:3], 0 offset:840
	buffer_load_dword v190, off, s[0:3], 0 offset:820
	ds_read_b128 v[5:8], v182 offset:1504
	s_waitcnt vmcnt(57) lgkmcnt(1)
	v_mul_f64 v[203:204], v[121:122], v[155:156]
	v_mul_f64 v[155:156], v[123:124], v[155:156]
	s_waitcnt vmcnt(56)
	v_fma_f64 v[171:172], v[1:2], v[173:174], -v[171:172]
	v_add_f64 v[127:128], v[127:128], v[147:148]
	v_fma_f64 v[147:148], v[3:4], v[173:174], v[165:166]
	v_add_f64 v[125:126], v[125:126], v[151:152]
	s_clause 0x2
	buffer_load_dword v164, off, s[0:3], 0 offset:860
	buffer_load_dword v152, off, s[0:3], 0 offset:836
	buffer_load_dword v151, off, s[0:3], 0 offset:832
	ds_read_b128 v[1:4], v182 offset:1520
	s_waitcnt vmcnt(58) lgkmcnt(1)
	v_mul_f64 v[173:174], v[7:8], v[177:178]
	v_mul_f64 v[165:166], v[5:6], v[177:178]
	;; [unrolled: 28-line block ×3, first 2 shown]
	s_waitcnt vmcnt(56)
	v_fma_f64 v[161:162], v[1:2], v[129:130], -v[161:162]
	v_fma_f64 v[129:130], v[3:4], v[129:130], v[203:204]
	v_add_f64 v[127:128], v[127:128], v[173:174]
	v_add_f64 v[125:126], v[125:126], v[155:156]
	s_clause 0x2
	buffer_load_dword v156, off, s[0:3], 0 offset:908
	buffer_load_dword v155, off, s[0:3], 0 offset:904
	buffer_load_dword v178, off, s[0:3], 0 offset:884
	ds_read_b128 v[1:4], v182 offset:1568
	s_waitcnt vmcnt(55) lgkmcnt(1)
	v_mul_f64 v[173:174], v[5:6], v[169:170]
	v_mul_f64 v[169:170], v[7:8], v[169:170]
	s_waitcnt vmcnt(54)
	v_fma_f64 v[167:168], v[121:122], v[191:192], -v[167:168]
	v_add_f64 v[127:128], v[127:128], v[161:162]
	v_fma_f64 v[161:162], v[123:124], v[191:192], v[165:166]
	v_add_f64 v[125:126], v[125:126], v[129:130]
	s_clause 0x1
	buffer_load_dword v130, off, s[0:3], 0 offset:900
	buffer_load_dword v129, off, s[0:3], 0 offset:896
	ds_read_b128 v[121:124], v182 offset:1584
	s_waitcnt vmcnt(55) lgkmcnt(1)
	v_mul_f64 v[179:180], v[3:4], v[185:186]
	v_mul_f64 v[165:166], v[1:2], v[185:186]
	s_waitcnt vmcnt(53)
	v_fma_f64 v[169:170], v[5:6], v[175:176], -v[169:170]
	v_add_f64 v[127:128], v[127:128], v[167:168]
	v_fma_f64 v[167:168], v[7:8], v[175:176], v[173:174]
	v_add_f64 v[125:126], v[125:126], v[161:162]
	ds_read_b128 v[5:8], v182 offset:1600
	s_waitcnt vmcnt(49) lgkmcnt(1)
	v_mul_f64 v[161:162], v[121:122], v[133:134]
	v_mul_f64 v[133:134], v[123:124], v[133:134]
	s_waitcnt vmcnt(48)
	v_fma_f64 v[173:174], v[1:2], v[195:196], -v[179:180]
	v_fma_f64 v[165:166], v[3:4], v[195:196], v[165:166]
	v_add_f64 v[127:128], v[127:128], v[169:170]
	v_add_f64 v[125:126], v[125:126], v[167:168]
	s_clause 0x3
	buffer_load_dword v167, off, s[0:3], 0 offset:128
	buffer_load_dword v168, off, s[0:3], 0 offset:132
	;; [unrolled: 1-line block ×4, first 2 shown]
	ds_read_b128 v[1:4], v182 offset:1616
	s_waitcnt vmcnt(51) lgkmcnt(1)
	v_mul_f64 v[179:180], v[7:8], v[193:194]
	v_mul_f64 v[175:176], v[5:6], v[193:194]
	s_waitcnt vmcnt(49)
	v_fma_f64 v[133:134], v[121:122], v[139:140], -v[133:134]
	v_fma_f64 v[139:140], v[123:124], v[139:140], v[161:162]
	ds_read_b128 v[121:124], v182 offset:1632
	v_add_f64 v[127:128], v[127:128], v[173:174]
	v_add_f64 v[125:126], v[125:126], v[165:166]
	s_waitcnt vmcnt(45) lgkmcnt(1)
	v_mul_f64 v[161:162], v[1:2], v[145:146]
	v_mul_f64 v[145:146], v[3:4], v[145:146]
	s_waitcnt vmcnt(44)
	v_fma_f64 v[165:166], v[5:6], v[199:200], -v[179:180]
	v_add_f64 v[127:128], v[127:128], v[133:134]
	v_fma_f64 v[133:134], v[7:8], v[199:200], v[175:176]
	v_add_f64 v[125:126], v[125:126], v[139:140]
	ds_read_b128 v[5:8], v182 offset:1648
	s_waitcnt vmcnt(43) lgkmcnt(1)
	v_mul_f64 v[173:174], v[123:124], v[187:188]
	v_mul_f64 v[139:140], v[121:122], v[187:188]
	s_waitcnt vmcnt(41)
	v_fma_f64 v[145:146], v[1:2], v[137:138], -v[145:146]
	v_fma_f64 v[137:138], v[3:4], v[137:138], v[161:162]
	ds_read_b128 v[1:4], v182 offset:1664
	v_add_f64 v[127:128], v[127:128], v[165:166]
	v_add_f64 v[125:126], v[125:126], v[133:134]
	s_waitcnt vmcnt(37) lgkmcnt(1)
	v_mul_f64 v[133:134], v[5:6], v[131:132]
	v_mul_f64 v[131:132], v[7:8], v[131:132]
	s_waitcnt vmcnt(36)
	v_fma_f64 v[161:162], v[121:122], v[201:202], -v[173:174]
	v_fma_f64 v[139:140], v[123:124], v[201:202], v[139:140]
	ds_read_b128 v[121:124], v182 offset:1680
	v_add_f64 v[127:128], v[127:128], v[145:146]
	v_add_f64 v[125:126], v[125:126], v[137:138]
	;; [unrolled: 9-line block ×3, first 2 shown]
	s_waitcnt vmcnt(29) lgkmcnt(1)
	v_mul_f64 v[139:140], v[121:122], v[135:136]
	v_mul_f64 v[135:136], v[123:124], v[135:136]
	s_waitcnt vmcnt(28)
	v_fma_f64 v[143:144], v[1:2], v[197:198], -v[145:146]
	v_add_f64 v[127:128], v[127:128], v[131:132]
	v_fma_f64 v[131:132], v[3:4], v[197:198], v[137:138]
	v_add_f64 v[125:126], v[125:126], v[133:134]
	ds_read_b128 v[1:4], v182 offset:1712
	s_waitcnt vmcnt(27) lgkmcnt(1)
	v_mul_f64 v[137:138], v[7:8], v[157:158]
	v_mul_f64 v[133:134], v[5:6], v[157:158]
	s_waitcnt vmcnt(25)
	v_fma_f64 v[135:136], v[121:122], v[153:154], -v[135:136]
	v_fma_f64 v[139:140], v[123:124], v[153:154], v[139:140]
	ds_read_b128 v[121:124], v182 offset:1728
	v_add_f64 v[127:128], v[127:128], v[143:144]
	v_add_f64 v[125:126], v[125:126], v[131:132]
	s_waitcnt vmcnt(21) lgkmcnt(1)
	v_mul_f64 v[131:132], v[1:2], v[141:142]
	v_mul_f64 v[141:142], v[3:4], v[141:142]
	s_waitcnt vmcnt(20)
	v_fma_f64 v[137:138], v[5:6], v[189:190], -v[137:138]
	v_fma_f64 v[133:134], v[7:8], v[189:190], v[133:134]
	ds_read_b128 v[5:8], v182 offset:1744
	v_add_f64 v[127:128], v[127:128], v[135:136]
	v_add_f64 v[125:126], v[125:126], v[139:140]
	;; [unrolled: 9-line block ×3, first 2 shown]
	s_waitcnt vmcnt(13) lgkmcnt(1)
	v_mul_f64 v[137:138], v[7:8], v[147:148]
	s_waitcnt vmcnt(12)
	v_fma_f64 v[139:140], v[121:122], v[183:184], -v[139:140]
	v_mul_f64 v[133:134], v[5:6], v[147:148]
	v_fma_f64 v[135:136], v[123:124], v[183:184], v[135:136]
	ds_read_b128 v[121:124], v182 offset:1776
	v_add_f64 v[127:128], v[127:128], v[141:142]
	v_add_f64 v[125:126], v[125:126], v[131:132]
	s_waitcnt vmcnt(11) lgkmcnt(1)
	v_mul_f64 v[141:142], v[3:4], v[171:172]
	v_mul_f64 v[131:132], v[1:2], v[171:172]
	s_waitcnt vmcnt(9)
	v_fma_f64 v[5:6], v[5:6], v[159:160], -v[137:138]
	v_fma_f64 v[7:8], v[7:8], v[159:160], v[133:134]
	v_add_f64 v[127:128], v[127:128], v[139:140]
	v_add_f64 v[125:126], v[125:126], v[135:136]
	s_waitcnt vmcnt(7) lgkmcnt(0)
	v_mul_f64 v[135:136], v[123:124], v[155:156]
	s_waitcnt vmcnt(6)
	v_fma_f64 v[1:2], v[1:2], v[177:178], -v[141:142]
	v_mul_f64 v[133:134], v[121:122], v[155:156]
	v_fma_f64 v[3:4], v[3:4], v[177:178], v[131:132]
	v_add_f64 v[5:6], v[127:128], v[5:6]
	v_add_f64 v[7:8], v[125:126], v[7:8]
	s_waitcnt vmcnt(4)
	v_fma_f64 v[121:122], v[121:122], v[129:130], -v[135:136]
	v_add_f64 v[1:2], v[5:6], v[1:2]
	v_fma_f64 v[5:6], v[123:124], v[129:130], v[133:134]
	v_add_f64 v[3:4], v[7:8], v[3:4]
	v_add_f64 v[1:2], v[1:2], v[121:122]
	;; [unrolled: 1-line block ×3, first 2 shown]
	s_waitcnt vmcnt(2)
	v_add_f64 v[1:2], v[167:168], -v[1:2]
	s_waitcnt vmcnt(0)
	v_add_f64 v[3:4], v[169:170], -v[3:4]
	buffer_store_dword v2, off, s[0:3], 0 offset:132
	buffer_store_dword v1, off, s[0:3], 0 offset:128
	;; [unrolled: 1-line block ×4, first 2 shown]
	v_cmpx_lt_u32_e32 6, v0
	s_cbranch_execz .LBB119_337
; %bb.336:
	v_mov_b32_e32 v4, s62
	v_mov_b32_e32 v5, 0
	s_clause 0x3
	buffer_load_dword v1, v4, s[0:3], 0 offen
	buffer_load_dword v2, v4, s[0:3], 0 offen offset:4
	buffer_load_dword v3, v4, s[0:3], 0 offen offset:8
	buffer_load_dword v4, v4, s[0:3], 0 offen offset:12
	buffer_store_dword v5, off, s[0:3], 0 offset:112
	buffer_store_dword v5, off, s[0:3], 0 offset:116
	;; [unrolled: 1-line block ×4, first 2 shown]
	s_waitcnt vmcnt(0)
	ds_write_b128 v181, v[1:4]
.LBB119_337:
	s_or_b32 exec_lo, exec_lo, s4
	s_waitcnt lgkmcnt(0)
	s_waitcnt_vscnt null, 0x0
	s_barrier
	buffer_gl0_inv
	s_clause 0x37
	buffer_load_dword v129, off, s[0:3], 0 offset:136
	buffer_load_dword v130, off, s[0:3], 0 offset:140
	;; [unrolled: 1-line block ×56, first 2 shown]
	v_mov_b32_e32 v182, 0
	s_mov_b32 s4, exec_lo
	ds_read_b128 v[5:8], v182 offset:1008
	s_clause 0x2
	buffer_load_dword v178, off, s[0:3], 0 offset:364
	buffer_load_dword v180, off, s[0:3], 0 offset:340
	;; [unrolled: 1-line block ×3, first 2 shown]
	ds_read_b128 v[1:4], v182 offset:1024
	s_clause 0x4
	buffer_load_dword v190, off, s[0:3], 0 offset:380
	buffer_load_dword v191, off, s[0:3], 0 offset:392
	;; [unrolled: 1-line block ×5, first 2 shown]
	ds_read_b128 v[183:186], v182 offset:1040
	s_waitcnt vmcnt(62) lgkmcnt(2)
	v_mul_f64 v[187:188], v[7:8], v[129:130]
	v_mul_f64 v[129:130], v[5:6], v[129:130]
	s_waitcnt vmcnt(60) lgkmcnt(1)
	v_mul_f64 v[194:195], v[3:4], v[125:126]
	v_mul_f64 v[125:126], v[1:2], v[125:126]
	;; [unrolled: 3-line block ×3, first 2 shown]
	v_fma_f64 v[187:188], v[5:6], v[127:128], -v[187:188]
	v_fma_f64 v[127:128], v[7:8], v[127:128], v[129:130]
	s_clause 0x2
	buffer_load_dword v192, off, s[0:3], 0 offset:396
	buffer_load_dword v130, off, s[0:3], 0 offset:372
	;; [unrolled: 1-line block ×3, first 2 shown]
	s_waitcnt vmcnt(57)
	v_fma_f64 v[198:199], v[1:2], v[121:122], -v[194:195]
	ds_read_b128 v[5:8], v182 offset:1056
	v_fma_f64 v[121:122], v[3:4], v[121:122], v[125:126]
	s_waitcnt vmcnt(51)
	v_fma_f64 v[183:184], v[183:184], v[145:146], -v[123:124]
	v_fma_f64 v[145:146], v[185:186], v[145:146], v[196:197]
	v_add_f64 v[187:188], v[187:188], 0
	v_add_f64 v[125:126], v[127:128], 0
	s_clause 0x4
	buffer_load_dword v128, off, s[0:3], 0 offset:412
	buffer_load_dword v195, off, s[0:3], 0 offset:424
	;; [unrolled: 1-line block ×5, first 2 shown]
	s_waitcnt lgkmcnt(0)
	v_mul_f64 v[201:202], v[5:6], v[133:134]
	v_mul_f64 v[133:134], v[7:8], v[133:134]
	ds_read_b128 v[1:4], v182 offset:1072
	s_clause 0x2
	buffer_load_dword v196, off, s[0:3], 0 offset:428
	buffer_load_dword v186, off, s[0:3], 0 offset:404
	;; [unrolled: 1-line block ×3, first 2 shown]
	v_add_f64 v[187:188], v[187:188], v[198:199]
	v_add_f64 v[125:126], v[125:126], v[121:122]
	ds_read_b128 v[121:124], v182 offset:1088
	s_waitcnt vmcnt(58) lgkmcnt(1)
	v_mul_f64 v[197:198], v[1:2], v[137:138]
	v_mul_f64 v[137:138], v[3:4], v[137:138]
	s_waitcnt vmcnt(56)
	v_fma_f64 v[133:134], v[5:6], v[139:140], -v[133:134]
	v_fma_f64 v[139:140], v[7:8], v[139:140], v[201:202]
	s_waitcnt vmcnt(52) lgkmcnt(0)
	v_mul_f64 v[203:204], v[121:122], v[141:142]
	v_add_f64 v[183:184], v[187:188], v[183:184]
	v_add_f64 v[125:126], v[125:126], v[145:146]
	s_clause 0x4
	buffer_load_dword v146, off, s[0:3], 0 offset:444
	buffer_load_dword v187, off, s[0:3], 0 offset:456
	;; [unrolled: 1-line block ×5, first 2 shown]
	v_mul_f64 v[141:142], v[123:124], v[141:142]
	s_waitcnt vmcnt(56)
	v_fma_f64 v[137:138], v[1:2], v[131:132], -v[137:138]
	ds_read_b128 v[5:8], v182 offset:1104
	v_fma_f64 v[131:132], v[3:4], v[131:132], v[197:198]
	v_add_f64 v[133:134], v[183:184], v[133:134]
	v_add_f64 v[125:126], v[125:126], v[139:140]
	s_clause 0x2
	buffer_load_dword v188, off, s[0:3], 0 offset:460
	buffer_load_dword v140, off, s[0:3], 0 offset:436
	buffer_load_dword v139, off, s[0:3], 0 offset:432
	s_waitcnt vmcnt(58) lgkmcnt(0)
	v_mul_f64 v[183:184], v[5:6], v[147:148]
	v_mul_f64 v[147:148], v[7:8], v[147:148]
	s_waitcnt vmcnt(56)
	v_fma_f64 v[141:142], v[121:122], v[149:150], -v[141:142]
	ds_read_b128 v[1:4], v182 offset:1120
	v_add_f64 v[133:134], v[133:134], v[137:138]
	v_fma_f64 v[137:138], v[123:124], v[149:150], v[203:204]
	v_add_f64 v[125:126], v[125:126], v[131:132]
	s_clause 0x4
	buffer_load_dword v132, off, s[0:3], 0 offset:476
	buffer_load_dword v149, off, s[0:3], 0 offset:488
	;; [unrolled: 1-line block ×5, first 2 shown]
	s_waitcnt vmcnt(57) lgkmcnt(0)
	v_mul_f64 v[198:199], v[1:2], v[151:152]
	v_mul_f64 v[151:152], v[3:4], v[151:152]
	s_waitcnt vmcnt(56)
	v_fma_f64 v[147:148], v[5:6], v[135:136], -v[147:148]
	ds_read_b128 v[121:124], v182 offset:1136
	v_fma_f64 v[135:136], v[7:8], v[135:136], v[183:184]
	v_add_f64 v[133:134], v[133:134], v[141:142]
	v_add_f64 v[125:126], v[125:126], v[137:138]
	s_clause 0x2
	buffer_load_dword v150, off, s[0:3], 0 offset:492
	buffer_load_dword v138, off, s[0:3], 0 offset:468
	;; [unrolled: 1-line block ×3, first 2 shown]
	ds_read_b128 v[5:8], v182 offset:1152
	s_waitcnt vmcnt(58) lgkmcnt(1)
	v_mul_f64 v[141:142], v[121:122], v[155:156]
	v_mul_f64 v[155:156], v[123:124], v[155:156]
	s_waitcnt vmcnt(56)
	v_fma_f64 v[151:152], v[1:2], v[157:158], -v[151:152]
	v_add_f64 v[133:134], v[133:134], v[147:148]
	v_fma_f64 v[147:148], v[3:4], v[157:158], v[198:199]
	v_add_f64 v[125:126], v[125:126], v[135:136]
	s_clause 0x4
	buffer_load_dword v136, off, s[0:3], 0 offset:508
	buffer_load_dword v157, off, s[0:3], 0 offset:520
	;; [unrolled: 1-line block ×5, first 2 shown]
	s_waitcnt vmcnt(57) lgkmcnt(0)
	v_mul_f64 v[204:205], v[5:6], v[159:160]
	v_mul_f64 v[159:160], v[7:8], v[159:160]
	s_waitcnt vmcnt(56)
	v_fma_f64 v[155:156], v[121:122], v[143:144], -v[155:156]
	ds_read_b128 v[1:4], v182 offset:1168
	v_fma_f64 v[141:142], v[123:124], v[143:144], v[141:142]
	s_clause 0x2
	buffer_load_dword v158, off, s[0:3], 0 offset:524
	buffer_load_dword v144, off, s[0:3], 0 offset:500
	;; [unrolled: 1-line block ×3, first 2 shown]
	ds_read_b128 v[121:124], v182 offset:1184
	v_add_f64 v[133:134], v[133:134], v[151:152]
	v_add_f64 v[125:126], v[125:126], v[147:148]
	s_waitcnt vmcnt(58) lgkmcnt(1)
	v_mul_f64 v[151:152], v[3:4], v[163:164]
	s_waitcnt vmcnt(56)
	v_fma_f64 v[159:160], v[5:6], v[165:166], -v[159:160]
	v_mul_f64 v[147:148], v[1:2], v[163:164]
	v_add_f64 v[133:134], v[133:134], v[155:156]
	v_fma_f64 v[155:156], v[7:8], v[165:166], v[204:205]
	v_add_f64 v[125:126], v[125:126], v[141:142]
	s_clause 0x4
	buffer_load_dword v142, off, s[0:3], 0 offset:540
	buffer_load_dword v163, off, s[0:3], 0 offset:552
	;; [unrolled: 1-line block ×5, first 2 shown]
	s_waitcnt vmcnt(57) lgkmcnt(0)
	v_mul_f64 v[204:205], v[121:122], v[167:168]
	v_mul_f64 v[166:167], v[123:124], v[167:168]
	s_waitcnt vmcnt(56)
	v_fma_f64 v[151:152], v[1:2], v[153:154], -v[151:152]
	ds_read_b128 v[5:8], v182 offset:1200
	v_fma_f64 v[147:148], v[3:4], v[153:154], v[147:148]
	s_clause 0x2
	buffer_load_dword v164, off, s[0:3], 0 offset:556
	buffer_load_dword v154, off, s[0:3], 0 offset:532
	;; [unrolled: 1-line block ×3, first 2 shown]
	ds_read_b128 v[1:4], v182 offset:1216
	v_add_f64 v[133:134], v[133:134], v[159:160]
	v_add_f64 v[125:126], v[125:126], v[155:156]
	s_waitcnt vmcnt(58) lgkmcnt(1)
	v_mul_f64 v[159:160], v[7:8], v[171:172]
	s_waitcnt vmcnt(56)
	v_fma_f64 v[167:168], v[121:122], v[173:174], -v[166:167]
	v_mul_f64 v[155:156], v[5:6], v[171:172]
	v_add_f64 v[133:134], v[133:134], v[151:152]
	v_fma_f64 v[151:152], v[123:124], v[173:174], v[204:205]
	v_add_f64 v[125:126], v[125:126], v[147:148]
	s_clause 0x4
	buffer_load_dword v148, off, s[0:3], 0 offset:572
	buffer_load_dword v171, off, s[0:3], 0 offset:584
	;; [unrolled: 1-line block ×5, first 2 shown]
	s_waitcnt vmcnt(57) lgkmcnt(0)
	v_mul_f64 v[204:205], v[1:2], v[175:176]
	v_mul_f64 v[174:175], v[3:4], v[175:176]
	s_waitcnt vmcnt(56)
	v_fma_f64 v[159:160], v[5:6], v[161:162], -v[159:160]
	ds_read_b128 v[121:124], v182 offset:1232
	v_fma_f64 v[155:156], v[7:8], v[161:162], v[155:156]
	v_add_f64 v[133:134], v[133:134], v[167:168]
	v_add_f64 v[125:126], v[125:126], v[151:152]
	s_clause 0x2
	buffer_load_dword v172, off, s[0:3], 0 offset:588
	buffer_load_dword v152, off, s[0:3], 0 offset:564
	;; [unrolled: 1-line block ×3, first 2 shown]
	ds_read_b128 v[5:8], v182 offset:1248
	s_waitcnt vmcnt(58) lgkmcnt(1)
	v_mul_f64 v[167:168], v[123:124], v[177:178]
	s_waitcnt vmcnt(56)
	v_fma_f64 v[175:176], v[1:2], v[179:180], -v[174:175]
	v_mul_f64 v[161:162], v[121:122], v[177:178]
	v_add_f64 v[133:134], v[133:134], v[159:160]
	v_fma_f64 v[159:160], v[3:4], v[179:180], v[204:205]
	v_add_f64 v[125:126], v[125:126], v[155:156]
	s_clause 0x4
	buffer_load_dword v156, off, s[0:3], 0 offset:604
	buffer_load_dword v177, off, s[0:3], 0 offset:616
	;; [unrolled: 1-line block ×5, first 2 shown]
	s_waitcnt vmcnt(57) lgkmcnt(0)
	v_mul_f64 v[204:205], v[5:6], v[189:190]
	v_mul_f64 v[189:190], v[7:8], v[189:190]
	s_waitcnt vmcnt(56)
	v_fma_f64 v[167:168], v[121:122], v[169:170], -v[167:168]
	ds_read_b128 v[1:4], v182 offset:1264
	v_fma_f64 v[161:162], v[123:124], v[169:170], v[161:162]
	v_add_f64 v[133:134], v[133:134], v[175:176]
	v_add_f64 v[125:126], v[125:126], v[159:160]
	s_clause 0x2
	buffer_load_dword v178, off, s[0:3], 0 offset:620
	buffer_load_dword v160, off, s[0:3], 0 offset:596
	;; [unrolled: 1-line block ×3, first 2 shown]
	ds_read_b128 v[121:124], v182 offset:1280
	s_waitcnt vmcnt(58) lgkmcnt(1)
	v_mul_f64 v[175:176], v[3:4], v[191:192]
	v_mul_f64 v[169:170], v[1:2], v[191:192]
	s_waitcnt vmcnt(56)
	v_fma_f64 v[189:190], v[5:6], v[129:130], -v[189:190]
	v_fma_f64 v[129:130], v[7:8], v[129:130], v[204:205]
	v_add_f64 v[133:134], v[133:134], v[167:168]
	v_add_f64 v[125:126], v[125:126], v[161:162]
	s_clause 0x4
	buffer_load_dword v162, off, s[0:3], 0 offset:636
	buffer_load_dword v167, off, s[0:3], 0 offset:648
	;; [unrolled: 1-line block ×5, first 2 shown]
	ds_read_b128 v[5:8], v182 offset:1296
	s_waitcnt vmcnt(57) lgkmcnt(1)
	v_mul_f64 v[204:205], v[121:122], v[127:128]
	v_mul_f64 v[127:128], v[123:124], v[127:128]
	s_waitcnt vmcnt(56)
	v_fma_f64 v[175:176], v[1:2], v[193:194], -v[175:176]
	v_fma_f64 v[169:170], v[3:4], v[193:194], v[169:170]
	v_add_f64 v[133:134], v[133:134], v[189:190]
	v_add_f64 v[125:126], v[125:126], v[129:130]
	s_clause 0x2
	buffer_load_dword v168, off, s[0:3], 0 offset:652
	buffer_load_dword v130, off, s[0:3], 0 offset:628
	;; [unrolled: 1-line block ×3, first 2 shown]
	s_waitcnt vmcnt(58) lgkmcnt(0)
	v_mul_f64 v[193:194], v[7:8], v[195:196]
	ds_read_b128 v[1:4], v182 offset:1312
	v_mul_f64 v[189:190], v[5:6], v[195:196]
	s_waitcnt vmcnt(56)
	v_fma_f64 v[127:128], v[121:122], v[185:186], -v[127:128]
	v_add_f64 v[133:134], v[133:134], v[175:176]
	v_fma_f64 v[175:176], v[123:124], v[185:186], v[204:205]
	v_add_f64 v[125:126], v[125:126], v[169:170]
	s_clause 0x4
	buffer_load_dword v170, off, s[0:3], 0 offset:668
	buffer_load_dword v185, off, s[0:3], 0 offset:680
	;; [unrolled: 1-line block ×5, first 2 shown]
	ds_read_b128 v[121:124], v182 offset:1328
	s_waitcnt vmcnt(57) lgkmcnt(1)
	v_mul_f64 v[204:205], v[1:2], v[145:146]
	v_mul_f64 v[145:146], v[3:4], v[145:146]
	s_waitcnt vmcnt(56)
	v_fma_f64 v[193:194], v[5:6], v[200:201], -v[193:194]
	v_add_f64 v[127:128], v[133:134], v[127:128]
	v_fma_f64 v[133:134], v[7:8], v[200:201], v[189:190]
	v_add_f64 v[125:126], v[125:126], v[175:176]
	s_clause 0x2
	buffer_load_dword v186, off, s[0:3], 0 offset:684
	buffer_load_dword v176, off, s[0:3], 0 offset:660
	;; [unrolled: 1-line block ×3, first 2 shown]
	ds_read_b128 v[5:8], v182 offset:1344
	s_waitcnt vmcnt(58) lgkmcnt(1)
	v_mul_f64 v[189:190], v[121:122], v[187:188]
	v_mul_f64 v[187:188], v[123:124], v[187:188]
	s_waitcnt vmcnt(56)
	v_fma_f64 v[145:146], v[1:2], v[139:140], -v[145:146]
	v_fma_f64 v[139:140], v[3:4], v[139:140], v[204:205]
	v_add_f64 v[127:128], v[127:128], v[193:194]
	v_add_f64 v[125:126], v[125:126], v[133:134]
	s_clause 0x4
	buffer_load_dword v134, off, s[0:3], 0 offset:700
	buffer_load_dword v193, off, s[0:3], 0 offset:712
	;; [unrolled: 1-line block ×5, first 2 shown]
	ds_read_b128 v[1:4], v182 offset:1360
	s_waitcnt vmcnt(57) lgkmcnt(1)
	v_mul_f64 v[200:201], v[5:6], v[131:132]
	v_mul_f64 v[131:132], v[7:8], v[131:132]
	s_waitcnt vmcnt(56)
	v_fma_f64 v[187:188], v[121:122], v[202:203], -v[187:188]
	v_add_f64 v[127:128], v[127:128], v[145:146]
	v_fma_f64 v[145:146], v[123:124], v[202:203], v[189:190]
	v_add_f64 v[125:126], v[125:126], v[139:140]
	s_clause 0x2
	buffer_load_dword v194, off, s[0:3], 0 offset:716
	buffer_load_dword v140, off, s[0:3], 0 offset:692
	;; [unrolled: 1-line block ×3, first 2 shown]
	ds_read_b128 v[121:124], v182 offset:1376
	s_waitcnt vmcnt(58) lgkmcnt(1)
	v_mul_f64 v[189:190], v[1:2], v[149:150]
	v_mul_f64 v[149:150], v[3:4], v[149:150]
	s_waitcnt vmcnt(56)
	v_fma_f64 v[131:132], v[5:6], v[137:138], -v[131:132]
	v_fma_f64 v[137:138], v[7:8], v[137:138], v[200:201]
	v_add_f64 v[127:128], v[127:128], v[187:188]
	v_add_f64 v[125:126], v[125:126], v[145:146]
	s_clause 0x4
	buffer_load_dword v146, off, s[0:3], 0 offset:732
	buffer_load_dword v187, off, s[0:3], 0 offset:744
	;; [unrolled: 1-line block ×5, first 2 shown]
	ds_read_b128 v[5:8], v182 offset:1392
	s_waitcnt vmcnt(57) lgkmcnt(1)
	v_mul_f64 v[202:203], v[121:122], v[135:136]
	v_mul_f64 v[135:136], v[123:124], v[135:136]
	s_waitcnt vmcnt(56)
	v_fma_f64 v[149:150], v[1:2], v[197:198], -v[149:150]
	v_add_f64 v[127:128], v[127:128], v[131:132]
	v_fma_f64 v[131:132], v[3:4], v[197:198], v[189:190]
	v_add_f64 v[125:126], v[125:126], v[137:138]
	s_clause 0x2
	buffer_load_dword v188, off, s[0:3], 0 offset:748
	buffer_load_dword v138, off, s[0:3], 0 offset:724
	;; [unrolled: 1-line block ×3, first 2 shown]
	s_waitcnt vmcnt(58) lgkmcnt(0)
	v_mul_f64 v[189:190], v[5:6], v[157:158]
	v_mul_f64 v[157:158], v[7:8], v[157:158]
	ds_read_b128 v[1:4], v182 offset:1408
	s_waitcnt vmcnt(56)
	v_fma_f64 v[135:136], v[121:122], v[143:144], -v[135:136]
	v_fma_f64 v[143:144], v[123:124], v[143:144], v[202:203]
	v_add_f64 v[127:128], v[127:128], v[149:150]
	v_add_f64 v[125:126], v[125:126], v[131:132]
	s_clause 0x4
	buffer_load_dword v132, off, s[0:3], 0 offset:764
	buffer_load_dword v149, off, s[0:3], 0 offset:776
	;; [unrolled: 1-line block ×5, first 2 shown]
	ds_read_b128 v[121:124], v182 offset:1424
	s_waitcnt vmcnt(57) lgkmcnt(1)
	v_mul_f64 v[203:204], v[1:2], v[141:142]
	v_mul_f64 v[141:142], v[3:4], v[141:142]
	s_waitcnt vmcnt(56)
	v_fma_f64 v[157:158], v[5:6], v[183:184], -v[157:158]
	v_add_f64 v[127:128], v[127:128], v[135:136]
	v_fma_f64 v[135:136], v[7:8], v[183:184], v[189:190]
	v_add_f64 v[125:126], v[125:126], v[143:144]
	s_clause 0x2
	buffer_load_dword v150, off, s[0:3], 0 offset:780
	buffer_load_dword v144, off, s[0:3], 0 offset:756
	;; [unrolled: 1-line block ×3, first 2 shown]
	s_waitcnt vmcnt(58) lgkmcnt(0)
	v_mul_f64 v[183:184], v[121:122], v[163:164]
	v_mul_f64 v[163:164], v[123:124], v[163:164]
	ds_read_b128 v[5:8], v182 offset:1440
	s_waitcnt vmcnt(56)
	v_fma_f64 v[141:142], v[1:2], v[153:154], -v[141:142]
	v_fma_f64 v[153:154], v[3:4], v[153:154], v[203:204]
	v_add_f64 v[127:128], v[127:128], v[157:158]
	v_add_f64 v[125:126], v[125:126], v[135:136]
	s_clause 0x4
	buffer_load_dword v136, off, s[0:3], 0 offset:796
	buffer_load_dword v157, off, s[0:3], 0 offset:808
	buffer_load_dword v189, off, s[0:3], 0 offset:800
	buffer_load_dword v135, off, s[0:3], 0 offset:792
	buffer_load_dword v198, off, s[0:3], 0 offset:772
	ds_read_b128 v[1:4], v182 offset:1456
	s_waitcnt vmcnt(57) lgkmcnt(1)
	v_mul_f64 v[203:204], v[5:6], v[147:148]
	v_mul_f64 v[147:148], v[7:8], v[147:148]
	s_waitcnt vmcnt(56)
	v_fma_f64 v[163:164], v[121:122], v[165:166], -v[163:164]
	v_add_f64 v[127:128], v[127:128], v[141:142]
	v_fma_f64 v[141:142], v[123:124], v[165:166], v[183:184]
	v_add_f64 v[125:126], v[125:126], v[153:154]
	s_clause 0x2
	buffer_load_dword v158, off, s[0:3], 0 offset:812
	buffer_load_dword v154, off, s[0:3], 0 offset:788
	buffer_load_dword v153, off, s[0:3], 0 offset:784
	ds_read_b128 v[121:124], v182 offset:1472
	s_waitcnt vmcnt(58) lgkmcnt(1)
	v_mul_f64 v[165:166], v[1:2], v[171:172]
	v_mul_f64 v[171:172], v[3:4], v[171:172]
	s_waitcnt vmcnt(56)
	v_fma_f64 v[147:148], v[5:6], v[151:152], -v[147:148]
	v_fma_f64 v[151:152], v[7:8], v[151:152], v[203:204]
	v_add_f64 v[127:128], v[127:128], v[163:164]
	v_add_f64 v[125:126], v[125:126], v[141:142]
	s_clause 0x4
	buffer_load_dword v142, off, s[0:3], 0 offset:828
	buffer_load_dword v163, off, s[0:3], 0 offset:840
	buffer_load_dword v183, off, s[0:3], 0 offset:832
	buffer_load_dword v141, off, s[0:3], 0 offset:824
	buffer_load_dword v190, off, s[0:3], 0 offset:804
	ds_read_b128 v[5:8], v182 offset:1488
	s_waitcnt vmcnt(57) lgkmcnt(1)
	v_mul_f64 v[203:204], v[121:122], v[155:156]
	v_mul_f64 v[155:156], v[123:124], v[155:156]
	s_waitcnt vmcnt(56)
	v_fma_f64 v[171:172], v[1:2], v[173:174], -v[171:172]
	v_add_f64 v[127:128], v[127:128], v[147:148]
	v_fma_f64 v[147:148], v[3:4], v[173:174], v[165:166]
	v_add_f64 v[125:126], v[125:126], v[151:152]
	s_clause 0x2
	buffer_load_dword v164, off, s[0:3], 0 offset:844
	buffer_load_dword v152, off, s[0:3], 0 offset:820
	buffer_load_dword v151, off, s[0:3], 0 offset:816
	ds_read_b128 v[1:4], v182 offset:1504
	s_waitcnt vmcnt(58) lgkmcnt(1)
	v_mul_f64 v[173:174], v[7:8], v[177:178]
	v_mul_f64 v[165:166], v[5:6], v[177:178]
	;; [unrolled: 28-line block ×3, first 2 shown]
	s_waitcnt vmcnt(56)
	v_fma_f64 v[161:162], v[1:2], v[129:130], -v[161:162]
	v_fma_f64 v[129:130], v[3:4], v[129:130], v[203:204]
	v_add_f64 v[127:128], v[127:128], v[173:174]
	v_add_f64 v[125:126], v[125:126], v[155:156]
	s_clause 0x4
	buffer_load_dword v156, off, s[0:3], 0 offset:892
	buffer_load_dword v173, off, s[0:3], 0 offset:904
	;; [unrolled: 1-line block ×5, first 2 shown]
	ds_read_b128 v[1:4], v182 offset:1552
	s_waitcnt vmcnt(57) lgkmcnt(1)
	v_mul_f64 v[203:204], v[5:6], v[169:170]
	v_mul_f64 v[169:170], v[7:8], v[169:170]
	s_waitcnt vmcnt(56)
	v_fma_f64 v[167:168], v[121:122], v[191:192], -v[167:168]
	v_add_f64 v[127:128], v[127:128], v[161:162]
	v_fma_f64 v[161:162], v[123:124], v[191:192], v[165:166]
	v_add_f64 v[125:126], v[125:126], v[129:130]
	s_clause 0x2
	buffer_load_dword v174, off, s[0:3], 0 offset:908
	buffer_load_dword v130, off, s[0:3], 0 offset:884
	;; [unrolled: 1-line block ×3, first 2 shown]
	ds_read_b128 v[121:124], v182 offset:1568
	buffer_load_dword v180, off, s[0:3], 0 offset:900
	s_waitcnt vmcnt(59) lgkmcnt(1)
	v_mul_f64 v[165:166], v[1:2], v[185:186]
	v_mul_f64 v[185:186], v[3:4], v[185:186]
	s_waitcnt vmcnt(57)
	v_fma_f64 v[169:170], v[5:6], v[175:176], -v[169:170]
	v_add_f64 v[127:128], v[127:128], v[167:168]
	v_fma_f64 v[167:168], v[7:8], v[175:176], v[203:204]
	v_add_f64 v[125:126], v[125:126], v[161:162]
	ds_read_b128 v[5:8], v182 offset:1584
	s_waitcnt vmcnt(53) lgkmcnt(1)
	v_mul_f64 v[161:162], v[121:122], v[133:134]
	v_mul_f64 v[133:134], v[123:124], v[133:134]
	s_waitcnt vmcnt(52)
	v_fma_f64 v[175:176], v[1:2], v[195:196], -v[185:186]
	v_fma_f64 v[165:166], v[3:4], v[195:196], v[165:166]
	ds_read_b128 v[1:4], v182 offset:1600
	v_add_f64 v[127:128], v[127:128], v[169:170]
	v_add_f64 v[125:126], v[125:126], v[167:168]
	s_waitcnt vmcnt(51) lgkmcnt(1)
	v_mul_f64 v[169:170], v[7:8], v[193:194]
	v_mul_f64 v[167:168], v[5:6], v[193:194]
	s_waitcnt vmcnt(49)
	v_fma_f64 v[133:134], v[121:122], v[139:140], -v[133:134]
	v_fma_f64 v[139:140], v[123:124], v[139:140], v[161:162]
	v_add_f64 v[127:128], v[127:128], v[175:176]
	v_add_f64 v[125:126], v[125:126], v[165:166]
	s_clause 0x3
	buffer_load_dword v161, off, s[0:3], 0 offset:112
	buffer_load_dword v162, off, s[0:3], 0 offset:116
	;; [unrolled: 1-line block ×4, first 2 shown]
	ds_read_b128 v[121:124], v182 offset:1616
	s_waitcnt vmcnt(49) lgkmcnt(1)
	v_mul_f64 v[175:176], v[1:2], v[145:146]
	v_mul_f64 v[145:146], v[3:4], v[145:146]
	s_waitcnt vmcnt(48)
	v_fma_f64 v[169:170], v[5:6], v[199:200], -v[169:170]
	v_add_f64 v[127:128], v[127:128], v[133:134]
	v_fma_f64 v[133:134], v[7:8], v[199:200], v[167:168]
	v_add_f64 v[125:126], v[125:126], v[139:140]
	ds_read_b128 v[5:8], v182 offset:1632
	s_waitcnt vmcnt(47) lgkmcnt(1)
	v_mul_f64 v[167:168], v[123:124], v[187:188]
	v_mul_f64 v[139:140], v[121:122], v[187:188]
	s_waitcnt vmcnt(45)
	v_fma_f64 v[145:146], v[1:2], v[137:138], -v[145:146]
	v_fma_f64 v[137:138], v[3:4], v[137:138], v[175:176]
	ds_read_b128 v[1:4], v182 offset:1648
	v_add_f64 v[127:128], v[127:128], v[169:170]
	v_add_f64 v[125:126], v[125:126], v[133:134]
	s_waitcnt vmcnt(41) lgkmcnt(1)
	v_mul_f64 v[133:134], v[5:6], v[131:132]
	v_mul_f64 v[131:132], v[7:8], v[131:132]
	s_waitcnt vmcnt(40)
	v_fma_f64 v[167:168], v[121:122], v[201:202], -v[167:168]
	v_fma_f64 v[139:140], v[123:124], v[201:202], v[139:140]
	ds_read_b128 v[121:124], v182 offset:1664
	v_add_f64 v[127:128], v[127:128], v[145:146]
	v_add_f64 v[125:126], v[125:126], v[137:138]
	;; [unrolled: 9-line block ×3, first 2 shown]
	s_waitcnt vmcnt(33) lgkmcnt(1)
	v_mul_f64 v[139:140], v[121:122], v[135:136]
	v_mul_f64 v[135:136], v[123:124], v[135:136]
	s_waitcnt vmcnt(32)
	v_fma_f64 v[143:144], v[1:2], v[197:198], -v[145:146]
	v_add_f64 v[127:128], v[127:128], v[131:132]
	v_fma_f64 v[131:132], v[3:4], v[197:198], v[137:138]
	v_add_f64 v[125:126], v[125:126], v[133:134]
	ds_read_b128 v[1:4], v182 offset:1696
	s_waitcnt vmcnt(31) lgkmcnt(1)
	v_mul_f64 v[137:138], v[7:8], v[157:158]
	v_mul_f64 v[133:134], v[5:6], v[157:158]
	s_waitcnt vmcnt(29)
	v_fma_f64 v[135:136], v[121:122], v[153:154], -v[135:136]
	v_fma_f64 v[139:140], v[123:124], v[153:154], v[139:140]
	ds_read_b128 v[121:124], v182 offset:1712
	v_add_f64 v[127:128], v[127:128], v[143:144]
	v_add_f64 v[125:126], v[125:126], v[131:132]
	s_waitcnt vmcnt(25) lgkmcnt(1)
	v_mul_f64 v[131:132], v[1:2], v[141:142]
	v_mul_f64 v[141:142], v[3:4], v[141:142]
	s_waitcnt vmcnt(24)
	v_fma_f64 v[137:138], v[5:6], v[189:190], -v[137:138]
	v_fma_f64 v[133:134], v[7:8], v[189:190], v[133:134]
	ds_read_b128 v[5:8], v182 offset:1728
	v_add_f64 v[127:128], v[127:128], v[135:136]
	v_add_f64 v[125:126], v[125:126], v[139:140]
	;; [unrolled: 9-line block ×3, first 2 shown]
	s_waitcnt vmcnt(17) lgkmcnt(1)
	v_mul_f64 v[137:138], v[7:8], v[147:148]
	s_waitcnt vmcnt(16)
	v_fma_f64 v[139:140], v[121:122], v[183:184], -v[139:140]
	v_mul_f64 v[133:134], v[5:6], v[147:148]
	v_fma_f64 v[135:136], v[123:124], v[183:184], v[135:136]
	ds_read_b128 v[121:124], v182 offset:1760
	v_add_f64 v[127:128], v[127:128], v[141:142]
	v_add_f64 v[125:126], v[125:126], v[131:132]
	s_waitcnt vmcnt(15) lgkmcnt(1)
	v_mul_f64 v[141:142], v[3:4], v[171:172]
	v_mul_f64 v[131:132], v[1:2], v[171:172]
	s_waitcnt vmcnt(13)
	v_fma_f64 v[137:138], v[5:6], v[159:160], -v[137:138]
	v_fma_f64 v[133:134], v[7:8], v[159:160], v[133:134]
	ds_read_b128 v[5:8], v182 offset:1776
	v_add_f64 v[127:128], v[127:128], v[139:140]
	v_add_f64 v[125:126], v[125:126], v[135:136]
	s_waitcnt vmcnt(9) lgkmcnt(1)
	v_mul_f64 v[139:140], v[123:124], v[155:156]
	s_waitcnt vmcnt(8)
	v_fma_f64 v[1:2], v[1:2], v[177:178], -v[141:142]
	v_mul_f64 v[135:136], v[121:122], v[155:156]
	v_fma_f64 v[3:4], v[3:4], v[177:178], v[131:132]
	v_add_f64 v[127:128], v[127:128], v[137:138]
	v_add_f64 v[125:126], v[125:126], v[133:134]
	s_waitcnt vmcnt(7) lgkmcnt(0)
	v_mul_f64 v[133:134], v[7:8], v[173:174]
	v_mul_f64 v[131:132], v[5:6], v[173:174]
	s_waitcnt vmcnt(5)
	v_fma_f64 v[121:122], v[121:122], v[129:130], -v[139:140]
	v_fma_f64 v[123:124], v[123:124], v[129:130], v[135:136]
	v_add_f64 v[1:2], v[127:128], v[1:2]
	v_add_f64 v[3:4], v[125:126], v[3:4]
	s_waitcnt vmcnt(4)
	v_fma_f64 v[5:6], v[5:6], v[179:180], -v[133:134]
	v_fma_f64 v[7:8], v[7:8], v[179:180], v[131:132]
	v_add_f64 v[1:2], v[1:2], v[121:122]
	v_add_f64 v[3:4], v[3:4], v[123:124]
	;; [unrolled: 1-line block ×4, first 2 shown]
	s_waitcnt vmcnt(2)
	v_add_f64 v[1:2], v[161:162], -v[1:2]
	s_waitcnt vmcnt(0)
	v_add_f64 v[3:4], v[165:166], -v[3:4]
	buffer_store_dword v2, off, s[0:3], 0 offset:116
	buffer_store_dword v1, off, s[0:3], 0 offset:112
	;; [unrolled: 1-line block ×4, first 2 shown]
	v_cmpx_lt_u32_e32 5, v0
	s_cbranch_execz .LBB119_339
; %bb.338:
	v_mov_b32_e32 v4, s63
	s_clause 0x3
	buffer_load_dword v1, v4, s[0:3], 0 offen
	buffer_load_dword v2, v4, s[0:3], 0 offen offset:4
	buffer_load_dword v3, v4, s[0:3], 0 offen offset:8
	;; [unrolled: 1-line block ×3, first 2 shown]
	buffer_store_dword v182, off, s[0:3], 0 offset:96
	buffer_store_dword v182, off, s[0:3], 0 offset:100
	;; [unrolled: 1-line block ×4, first 2 shown]
	s_waitcnt vmcnt(0)
	ds_write_b128 v181, v[1:4]
.LBB119_339:
	s_or_b32 exec_lo, exec_lo, s4
	s_waitcnt lgkmcnt(0)
	s_waitcnt_vscnt null, 0x0
	s_barrier
	buffer_gl0_inv
	s_clause 0x37
	buffer_load_dword v129, off, s[0:3], 0 offset:120
	buffer_load_dword v130, off, s[0:3], 0 offset:124
	;; [unrolled: 1-line block ×56, first 2 shown]
	ds_read_b128 v[5:8], v182 offset:992
	s_clause 0x2
	buffer_load_dword v178, off, s[0:3], 0 offset:348
	buffer_load_dword v180, off, s[0:3], 0 offset:324
	;; [unrolled: 1-line block ×3, first 2 shown]
	ds_read_b128 v[1:4], v182 offset:1008
	s_clause 0x4
	buffer_load_dword v190, off, s[0:3], 0 offset:364
	buffer_load_dword v191, off, s[0:3], 0 offset:376
	;; [unrolled: 1-line block ×5, first 2 shown]
	ds_read_b128 v[183:186], v182 offset:1024
	s_mov_b32 s4, exec_lo
	s_waitcnt vmcnt(62) lgkmcnt(2)
	v_mul_f64 v[187:188], v[7:8], v[129:130]
	v_mul_f64 v[129:130], v[5:6], v[129:130]
	s_waitcnt vmcnt(60) lgkmcnt(1)
	v_mul_f64 v[194:195], v[3:4], v[125:126]
	v_mul_f64 v[125:126], v[1:2], v[125:126]
	;; [unrolled: 3-line block ×3, first 2 shown]
	v_fma_f64 v[187:188], v[5:6], v[127:128], -v[187:188]
	v_fma_f64 v[127:128], v[7:8], v[127:128], v[129:130]
	s_clause 0x2
	buffer_load_dword v192, off, s[0:3], 0 offset:380
	buffer_load_dword v130, off, s[0:3], 0 offset:356
	;; [unrolled: 1-line block ×3, first 2 shown]
	s_waitcnt vmcnt(57)
	v_fma_f64 v[198:199], v[1:2], v[121:122], -v[194:195]
	ds_read_b128 v[5:8], v182 offset:1040
	v_fma_f64 v[121:122], v[3:4], v[121:122], v[125:126]
	s_waitcnt vmcnt(51)
	v_fma_f64 v[183:184], v[183:184], v[145:146], -v[123:124]
	v_fma_f64 v[145:146], v[185:186], v[145:146], v[196:197]
	v_add_f64 v[187:188], v[187:188], 0
	v_add_f64 v[125:126], v[127:128], 0
	s_clause 0x4
	buffer_load_dword v128, off, s[0:3], 0 offset:396
	buffer_load_dword v195, off, s[0:3], 0 offset:408
	;; [unrolled: 1-line block ×5, first 2 shown]
	s_waitcnt lgkmcnt(0)
	v_mul_f64 v[201:202], v[5:6], v[133:134]
	v_mul_f64 v[133:134], v[7:8], v[133:134]
	ds_read_b128 v[1:4], v182 offset:1056
	s_clause 0x2
	buffer_load_dword v196, off, s[0:3], 0 offset:412
	buffer_load_dword v186, off, s[0:3], 0 offset:388
	;; [unrolled: 1-line block ×3, first 2 shown]
	v_add_f64 v[187:188], v[187:188], v[198:199]
	v_add_f64 v[125:126], v[125:126], v[121:122]
	ds_read_b128 v[121:124], v182 offset:1072
	s_waitcnt vmcnt(58) lgkmcnt(1)
	v_mul_f64 v[197:198], v[1:2], v[137:138]
	v_mul_f64 v[137:138], v[3:4], v[137:138]
	s_waitcnt vmcnt(56)
	v_fma_f64 v[133:134], v[5:6], v[139:140], -v[133:134]
	v_fma_f64 v[139:140], v[7:8], v[139:140], v[201:202]
	s_waitcnt vmcnt(52) lgkmcnt(0)
	v_mul_f64 v[203:204], v[121:122], v[141:142]
	v_add_f64 v[183:184], v[187:188], v[183:184]
	v_add_f64 v[125:126], v[125:126], v[145:146]
	s_clause 0x4
	buffer_load_dword v146, off, s[0:3], 0 offset:428
	buffer_load_dword v187, off, s[0:3], 0 offset:440
	buffer_load_dword v202, off, s[0:3], 0 offset:432
	buffer_load_dword v145, off, s[0:3], 0 offset:424
	buffer_load_dword v201, off, s[0:3], 0 offset:404
	v_mul_f64 v[141:142], v[123:124], v[141:142]
	s_waitcnt vmcnt(56)
	v_fma_f64 v[137:138], v[1:2], v[131:132], -v[137:138]
	ds_read_b128 v[5:8], v182 offset:1088
	v_fma_f64 v[131:132], v[3:4], v[131:132], v[197:198]
	v_add_f64 v[133:134], v[183:184], v[133:134]
	v_add_f64 v[125:126], v[125:126], v[139:140]
	s_clause 0x2
	buffer_load_dword v188, off, s[0:3], 0 offset:444
	buffer_load_dword v140, off, s[0:3], 0 offset:420
	;; [unrolled: 1-line block ×3, first 2 shown]
	s_waitcnt vmcnt(58) lgkmcnt(0)
	v_mul_f64 v[183:184], v[5:6], v[147:148]
	v_mul_f64 v[147:148], v[7:8], v[147:148]
	s_waitcnt vmcnt(56)
	v_fma_f64 v[141:142], v[121:122], v[149:150], -v[141:142]
	ds_read_b128 v[1:4], v182 offset:1104
	v_add_f64 v[133:134], v[133:134], v[137:138]
	v_fma_f64 v[137:138], v[123:124], v[149:150], v[203:204]
	v_add_f64 v[125:126], v[125:126], v[131:132]
	s_clause 0x4
	buffer_load_dword v132, off, s[0:3], 0 offset:460
	buffer_load_dword v149, off, s[0:3], 0 offset:472
	;; [unrolled: 1-line block ×5, first 2 shown]
	s_waitcnt vmcnt(57) lgkmcnt(0)
	v_mul_f64 v[198:199], v[1:2], v[151:152]
	v_mul_f64 v[151:152], v[3:4], v[151:152]
	s_waitcnt vmcnt(56)
	v_fma_f64 v[147:148], v[5:6], v[135:136], -v[147:148]
	ds_read_b128 v[121:124], v182 offset:1120
	v_fma_f64 v[135:136], v[7:8], v[135:136], v[183:184]
	v_add_f64 v[133:134], v[133:134], v[141:142]
	v_add_f64 v[125:126], v[125:126], v[137:138]
	s_clause 0x2
	buffer_load_dword v150, off, s[0:3], 0 offset:476
	buffer_load_dword v138, off, s[0:3], 0 offset:452
	;; [unrolled: 1-line block ×3, first 2 shown]
	ds_read_b128 v[5:8], v182 offset:1136
	s_waitcnt vmcnt(58) lgkmcnt(1)
	v_mul_f64 v[141:142], v[121:122], v[155:156]
	v_mul_f64 v[155:156], v[123:124], v[155:156]
	s_waitcnt vmcnt(56)
	v_fma_f64 v[151:152], v[1:2], v[157:158], -v[151:152]
	v_add_f64 v[133:134], v[133:134], v[147:148]
	v_fma_f64 v[147:148], v[3:4], v[157:158], v[198:199]
	v_add_f64 v[125:126], v[125:126], v[135:136]
	s_clause 0x4
	buffer_load_dword v136, off, s[0:3], 0 offset:492
	buffer_load_dword v157, off, s[0:3], 0 offset:504
	;; [unrolled: 1-line block ×5, first 2 shown]
	s_waitcnt vmcnt(57) lgkmcnt(0)
	v_mul_f64 v[204:205], v[5:6], v[159:160]
	v_mul_f64 v[159:160], v[7:8], v[159:160]
	s_waitcnt vmcnt(56)
	v_fma_f64 v[155:156], v[121:122], v[143:144], -v[155:156]
	ds_read_b128 v[1:4], v182 offset:1152
	v_fma_f64 v[141:142], v[123:124], v[143:144], v[141:142]
	s_clause 0x2
	buffer_load_dword v158, off, s[0:3], 0 offset:508
	buffer_load_dword v144, off, s[0:3], 0 offset:484
	;; [unrolled: 1-line block ×3, first 2 shown]
	ds_read_b128 v[121:124], v182 offset:1168
	v_add_f64 v[133:134], v[133:134], v[151:152]
	v_add_f64 v[125:126], v[125:126], v[147:148]
	s_waitcnt vmcnt(58) lgkmcnt(1)
	v_mul_f64 v[151:152], v[3:4], v[163:164]
	s_waitcnt vmcnt(56)
	v_fma_f64 v[159:160], v[5:6], v[165:166], -v[159:160]
	v_mul_f64 v[147:148], v[1:2], v[163:164]
	v_add_f64 v[133:134], v[133:134], v[155:156]
	v_fma_f64 v[155:156], v[7:8], v[165:166], v[204:205]
	v_add_f64 v[125:126], v[125:126], v[141:142]
	s_clause 0x4
	buffer_load_dword v142, off, s[0:3], 0 offset:524
	buffer_load_dword v163, off, s[0:3], 0 offset:536
	;; [unrolled: 1-line block ×5, first 2 shown]
	s_waitcnt vmcnt(57) lgkmcnt(0)
	v_mul_f64 v[204:205], v[121:122], v[167:168]
	v_mul_f64 v[166:167], v[123:124], v[167:168]
	s_waitcnt vmcnt(56)
	v_fma_f64 v[151:152], v[1:2], v[153:154], -v[151:152]
	ds_read_b128 v[5:8], v182 offset:1184
	v_fma_f64 v[147:148], v[3:4], v[153:154], v[147:148]
	s_clause 0x2
	buffer_load_dword v164, off, s[0:3], 0 offset:540
	buffer_load_dword v154, off, s[0:3], 0 offset:516
	;; [unrolled: 1-line block ×3, first 2 shown]
	ds_read_b128 v[1:4], v182 offset:1200
	v_add_f64 v[133:134], v[133:134], v[159:160]
	v_add_f64 v[125:126], v[125:126], v[155:156]
	s_waitcnt vmcnt(58) lgkmcnt(1)
	v_mul_f64 v[159:160], v[7:8], v[171:172]
	s_waitcnt vmcnt(56)
	v_fma_f64 v[167:168], v[121:122], v[173:174], -v[166:167]
	v_mul_f64 v[155:156], v[5:6], v[171:172]
	v_add_f64 v[133:134], v[133:134], v[151:152]
	v_fma_f64 v[151:152], v[123:124], v[173:174], v[204:205]
	v_add_f64 v[125:126], v[125:126], v[147:148]
	s_clause 0x4
	buffer_load_dword v148, off, s[0:3], 0 offset:556
	buffer_load_dword v171, off, s[0:3], 0 offset:568
	;; [unrolled: 1-line block ×5, first 2 shown]
	s_waitcnt vmcnt(57) lgkmcnt(0)
	v_mul_f64 v[204:205], v[1:2], v[175:176]
	v_mul_f64 v[174:175], v[3:4], v[175:176]
	s_waitcnt vmcnt(56)
	v_fma_f64 v[159:160], v[5:6], v[161:162], -v[159:160]
	ds_read_b128 v[121:124], v182 offset:1216
	v_fma_f64 v[155:156], v[7:8], v[161:162], v[155:156]
	v_add_f64 v[133:134], v[133:134], v[167:168]
	v_add_f64 v[125:126], v[125:126], v[151:152]
	s_clause 0x2
	buffer_load_dword v172, off, s[0:3], 0 offset:572
	buffer_load_dword v152, off, s[0:3], 0 offset:548
	;; [unrolled: 1-line block ×3, first 2 shown]
	ds_read_b128 v[5:8], v182 offset:1232
	s_waitcnt vmcnt(58) lgkmcnt(1)
	v_mul_f64 v[167:168], v[123:124], v[177:178]
	s_waitcnt vmcnt(56)
	v_fma_f64 v[175:176], v[1:2], v[179:180], -v[174:175]
	v_mul_f64 v[161:162], v[121:122], v[177:178]
	v_add_f64 v[133:134], v[133:134], v[159:160]
	v_fma_f64 v[159:160], v[3:4], v[179:180], v[204:205]
	v_add_f64 v[125:126], v[125:126], v[155:156]
	s_clause 0x4
	buffer_load_dword v156, off, s[0:3], 0 offset:588
	buffer_load_dword v177, off, s[0:3], 0 offset:600
	;; [unrolled: 1-line block ×5, first 2 shown]
	s_waitcnt vmcnt(57) lgkmcnt(0)
	v_mul_f64 v[204:205], v[5:6], v[189:190]
	v_mul_f64 v[189:190], v[7:8], v[189:190]
	s_waitcnt vmcnt(56)
	v_fma_f64 v[167:168], v[121:122], v[169:170], -v[167:168]
	ds_read_b128 v[1:4], v182 offset:1248
	v_fma_f64 v[161:162], v[123:124], v[169:170], v[161:162]
	v_add_f64 v[133:134], v[133:134], v[175:176]
	v_add_f64 v[125:126], v[125:126], v[159:160]
	s_clause 0x2
	buffer_load_dword v178, off, s[0:3], 0 offset:604
	buffer_load_dword v160, off, s[0:3], 0 offset:580
	buffer_load_dword v159, off, s[0:3], 0 offset:576
	ds_read_b128 v[121:124], v182 offset:1264
	s_waitcnt vmcnt(58) lgkmcnt(1)
	v_mul_f64 v[175:176], v[3:4], v[191:192]
	v_mul_f64 v[169:170], v[1:2], v[191:192]
	s_waitcnt vmcnt(56)
	v_fma_f64 v[189:190], v[5:6], v[129:130], -v[189:190]
	v_fma_f64 v[129:130], v[7:8], v[129:130], v[204:205]
	v_add_f64 v[133:134], v[133:134], v[167:168]
	v_add_f64 v[125:126], v[125:126], v[161:162]
	s_clause 0x4
	buffer_load_dword v162, off, s[0:3], 0 offset:620
	buffer_load_dword v167, off, s[0:3], 0 offset:632
	;; [unrolled: 1-line block ×5, first 2 shown]
	ds_read_b128 v[5:8], v182 offset:1280
	s_waitcnt vmcnt(57) lgkmcnt(1)
	v_mul_f64 v[204:205], v[121:122], v[127:128]
	v_mul_f64 v[127:128], v[123:124], v[127:128]
	s_waitcnt vmcnt(56)
	v_fma_f64 v[175:176], v[1:2], v[193:194], -v[175:176]
	v_fma_f64 v[169:170], v[3:4], v[193:194], v[169:170]
	v_add_f64 v[133:134], v[133:134], v[189:190]
	v_add_f64 v[125:126], v[125:126], v[129:130]
	s_clause 0x2
	buffer_load_dword v168, off, s[0:3], 0 offset:636
	buffer_load_dword v130, off, s[0:3], 0 offset:612
	;; [unrolled: 1-line block ×3, first 2 shown]
	s_waitcnt vmcnt(58) lgkmcnt(0)
	v_mul_f64 v[193:194], v[7:8], v[195:196]
	ds_read_b128 v[1:4], v182 offset:1296
	v_mul_f64 v[189:190], v[5:6], v[195:196]
	s_waitcnt vmcnt(56)
	v_fma_f64 v[127:128], v[121:122], v[185:186], -v[127:128]
	v_add_f64 v[133:134], v[133:134], v[175:176]
	v_fma_f64 v[175:176], v[123:124], v[185:186], v[204:205]
	v_add_f64 v[125:126], v[125:126], v[169:170]
	s_clause 0x4
	buffer_load_dword v170, off, s[0:3], 0 offset:652
	buffer_load_dword v185, off, s[0:3], 0 offset:664
	;; [unrolled: 1-line block ×5, first 2 shown]
	ds_read_b128 v[121:124], v182 offset:1312
	s_waitcnt vmcnt(57) lgkmcnt(1)
	v_mul_f64 v[204:205], v[1:2], v[145:146]
	v_mul_f64 v[145:146], v[3:4], v[145:146]
	s_waitcnt vmcnt(56)
	v_fma_f64 v[193:194], v[5:6], v[200:201], -v[193:194]
	v_add_f64 v[127:128], v[133:134], v[127:128]
	v_fma_f64 v[133:134], v[7:8], v[200:201], v[189:190]
	v_add_f64 v[125:126], v[125:126], v[175:176]
	s_clause 0x2
	buffer_load_dword v186, off, s[0:3], 0 offset:668
	buffer_load_dword v176, off, s[0:3], 0 offset:644
	;; [unrolled: 1-line block ×3, first 2 shown]
	ds_read_b128 v[5:8], v182 offset:1328
	s_waitcnt vmcnt(58) lgkmcnt(1)
	v_mul_f64 v[189:190], v[121:122], v[187:188]
	v_mul_f64 v[187:188], v[123:124], v[187:188]
	s_waitcnt vmcnt(56)
	v_fma_f64 v[145:146], v[1:2], v[139:140], -v[145:146]
	v_fma_f64 v[139:140], v[3:4], v[139:140], v[204:205]
	v_add_f64 v[127:128], v[127:128], v[193:194]
	v_add_f64 v[125:126], v[125:126], v[133:134]
	s_clause 0x4
	buffer_load_dword v134, off, s[0:3], 0 offset:684
	buffer_load_dword v193, off, s[0:3], 0 offset:696
	;; [unrolled: 1-line block ×5, first 2 shown]
	ds_read_b128 v[1:4], v182 offset:1344
	s_waitcnt vmcnt(57) lgkmcnt(1)
	v_mul_f64 v[200:201], v[5:6], v[131:132]
	v_mul_f64 v[131:132], v[7:8], v[131:132]
	s_waitcnt vmcnt(56)
	v_fma_f64 v[187:188], v[121:122], v[202:203], -v[187:188]
	v_add_f64 v[127:128], v[127:128], v[145:146]
	v_fma_f64 v[145:146], v[123:124], v[202:203], v[189:190]
	v_add_f64 v[125:126], v[125:126], v[139:140]
	s_clause 0x2
	buffer_load_dword v194, off, s[0:3], 0 offset:700
	buffer_load_dword v140, off, s[0:3], 0 offset:676
	;; [unrolled: 1-line block ×3, first 2 shown]
	ds_read_b128 v[121:124], v182 offset:1360
	s_waitcnt vmcnt(58) lgkmcnt(1)
	v_mul_f64 v[189:190], v[1:2], v[149:150]
	v_mul_f64 v[149:150], v[3:4], v[149:150]
	s_waitcnt vmcnt(56)
	v_fma_f64 v[131:132], v[5:6], v[137:138], -v[131:132]
	v_fma_f64 v[137:138], v[7:8], v[137:138], v[200:201]
	v_add_f64 v[127:128], v[127:128], v[187:188]
	v_add_f64 v[125:126], v[125:126], v[145:146]
	s_clause 0x4
	buffer_load_dword v146, off, s[0:3], 0 offset:716
	buffer_load_dword v187, off, s[0:3], 0 offset:728
	;; [unrolled: 1-line block ×5, first 2 shown]
	ds_read_b128 v[5:8], v182 offset:1376
	s_waitcnt vmcnt(57) lgkmcnt(1)
	v_mul_f64 v[202:203], v[121:122], v[135:136]
	v_mul_f64 v[135:136], v[123:124], v[135:136]
	s_waitcnt vmcnt(56)
	v_fma_f64 v[149:150], v[1:2], v[197:198], -v[149:150]
	v_add_f64 v[127:128], v[127:128], v[131:132]
	v_fma_f64 v[131:132], v[3:4], v[197:198], v[189:190]
	v_add_f64 v[125:126], v[125:126], v[137:138]
	s_clause 0x2
	buffer_load_dword v188, off, s[0:3], 0 offset:732
	buffer_load_dword v138, off, s[0:3], 0 offset:708
	;; [unrolled: 1-line block ×3, first 2 shown]
	s_waitcnt vmcnt(58) lgkmcnt(0)
	v_mul_f64 v[189:190], v[5:6], v[157:158]
	v_mul_f64 v[157:158], v[7:8], v[157:158]
	ds_read_b128 v[1:4], v182 offset:1392
	s_waitcnt vmcnt(56)
	v_fma_f64 v[135:136], v[121:122], v[143:144], -v[135:136]
	v_fma_f64 v[143:144], v[123:124], v[143:144], v[202:203]
	v_add_f64 v[127:128], v[127:128], v[149:150]
	v_add_f64 v[125:126], v[125:126], v[131:132]
	s_clause 0x4
	buffer_load_dword v132, off, s[0:3], 0 offset:748
	buffer_load_dword v149, off, s[0:3], 0 offset:760
	buffer_load_dword v197, off, s[0:3], 0 offset:752
	buffer_load_dword v131, off, s[0:3], 0 offset:744
	buffer_load_dword v202, off, s[0:3], 0 offset:724
	ds_read_b128 v[121:124], v182 offset:1408
	s_waitcnt vmcnt(57) lgkmcnt(1)
	v_mul_f64 v[203:204], v[1:2], v[141:142]
	v_mul_f64 v[141:142], v[3:4], v[141:142]
	s_waitcnt vmcnt(56)
	v_fma_f64 v[157:158], v[5:6], v[183:184], -v[157:158]
	v_add_f64 v[127:128], v[127:128], v[135:136]
	v_fma_f64 v[135:136], v[7:8], v[183:184], v[189:190]
	v_add_f64 v[125:126], v[125:126], v[143:144]
	s_clause 0x2
	buffer_load_dword v150, off, s[0:3], 0 offset:764
	buffer_load_dword v144, off, s[0:3], 0 offset:740
	buffer_load_dword v143, off, s[0:3], 0 offset:736
	s_waitcnt vmcnt(58) lgkmcnt(0)
	v_mul_f64 v[183:184], v[121:122], v[163:164]
	v_mul_f64 v[163:164], v[123:124], v[163:164]
	ds_read_b128 v[5:8], v182 offset:1424
	s_waitcnt vmcnt(56)
	v_fma_f64 v[141:142], v[1:2], v[153:154], -v[141:142]
	v_fma_f64 v[153:154], v[3:4], v[153:154], v[203:204]
	v_add_f64 v[127:128], v[127:128], v[157:158]
	v_add_f64 v[125:126], v[125:126], v[135:136]
	s_clause 0x4
	buffer_load_dword v136, off, s[0:3], 0 offset:780
	buffer_load_dword v157, off, s[0:3], 0 offset:792
	buffer_load_dword v189, off, s[0:3], 0 offset:784
	buffer_load_dword v135, off, s[0:3], 0 offset:776
	buffer_load_dword v198, off, s[0:3], 0 offset:756
	ds_read_b128 v[1:4], v182 offset:1440
	s_waitcnt vmcnt(57) lgkmcnt(1)
	v_mul_f64 v[203:204], v[5:6], v[147:148]
	v_mul_f64 v[147:148], v[7:8], v[147:148]
	s_waitcnt vmcnt(56)
	v_fma_f64 v[163:164], v[121:122], v[165:166], -v[163:164]
	v_add_f64 v[127:128], v[127:128], v[141:142]
	v_fma_f64 v[141:142], v[123:124], v[165:166], v[183:184]
	v_add_f64 v[125:126], v[125:126], v[153:154]
	s_clause 0x2
	buffer_load_dword v158, off, s[0:3], 0 offset:796
	buffer_load_dword v154, off, s[0:3], 0 offset:772
	buffer_load_dword v153, off, s[0:3], 0 offset:768
	ds_read_b128 v[121:124], v182 offset:1456
	s_waitcnt vmcnt(58) lgkmcnt(1)
	v_mul_f64 v[165:166], v[1:2], v[171:172]
	v_mul_f64 v[171:172], v[3:4], v[171:172]
	s_waitcnt vmcnt(56)
	v_fma_f64 v[147:148], v[5:6], v[151:152], -v[147:148]
	v_fma_f64 v[151:152], v[7:8], v[151:152], v[203:204]
	v_add_f64 v[127:128], v[127:128], v[163:164]
	v_add_f64 v[125:126], v[125:126], v[141:142]
	s_clause 0x4
	buffer_load_dword v142, off, s[0:3], 0 offset:812
	buffer_load_dword v163, off, s[0:3], 0 offset:824
	buffer_load_dword v183, off, s[0:3], 0 offset:816
	buffer_load_dword v141, off, s[0:3], 0 offset:808
	buffer_load_dword v190, off, s[0:3], 0 offset:788
	ds_read_b128 v[5:8], v182 offset:1472
	s_waitcnt vmcnt(57) lgkmcnt(1)
	v_mul_f64 v[203:204], v[121:122], v[155:156]
	v_mul_f64 v[155:156], v[123:124], v[155:156]
	s_waitcnt vmcnt(56)
	v_fma_f64 v[171:172], v[1:2], v[173:174], -v[171:172]
	v_add_f64 v[127:128], v[127:128], v[147:148]
	v_fma_f64 v[147:148], v[3:4], v[173:174], v[165:166]
	v_add_f64 v[125:126], v[125:126], v[151:152]
	s_clause 0x2
	buffer_load_dword v164, off, s[0:3], 0 offset:828
	buffer_load_dword v152, off, s[0:3], 0 offset:804
	buffer_load_dword v151, off, s[0:3], 0 offset:800
	ds_read_b128 v[1:4], v182 offset:1488
	s_waitcnt vmcnt(58) lgkmcnt(1)
	v_mul_f64 v[173:174], v[7:8], v[177:178]
	v_mul_f64 v[165:166], v[5:6], v[177:178]
	s_waitcnt vmcnt(56)
	v_fma_f64 v[155:156], v[121:122], v[159:160], -v[155:156]
	v_fma_f64 v[159:160], v[123:124], v[159:160], v[203:204]
	v_add_f64 v[127:128], v[127:128], v[171:172]
	v_add_f64 v[125:126], v[125:126], v[147:148]
	s_clause 0x4
	buffer_load_dword v148, off, s[0:3], 0 offset:844
	buffer_load_dword v171, off, s[0:3], 0 offset:856
	buffer_load_dword v177, off, s[0:3], 0 offset:848
	buffer_load_dword v147, off, s[0:3], 0 offset:840
	buffer_load_dword v184, off, s[0:3], 0 offset:820
	ds_read_b128 v[121:124], v182 offset:1504
	s_waitcnt vmcnt(57) lgkmcnt(1)
	v_mul_f64 v[203:204], v[1:2], v[161:162]
	v_mul_f64 v[161:162], v[3:4], v[161:162]
	s_waitcnt vmcnt(56)
	v_fma_f64 v[173:174], v[5:6], v[179:180], -v[173:174]
	v_add_f64 v[127:128], v[127:128], v[155:156]
	v_fma_f64 v[155:156], v[7:8], v[179:180], v[165:166]
	v_add_f64 v[125:126], v[125:126], v[159:160]
	s_clause 0x2
	buffer_load_dword v172, off, s[0:3], 0 offset:860
	buffer_load_dword v160, off, s[0:3], 0 offset:836
	buffer_load_dword v159, off, s[0:3], 0 offset:832
	ds_read_b128 v[5:8], v182 offset:1520
	s_waitcnt vmcnt(58) lgkmcnt(1)
	v_mul_f64 v[165:166], v[121:122], v[167:168]
	v_mul_f64 v[167:168], v[123:124], v[167:168]
	s_waitcnt vmcnt(56)
	v_fma_f64 v[161:162], v[1:2], v[129:130], -v[161:162]
	v_fma_f64 v[129:130], v[3:4], v[129:130], v[203:204]
	v_add_f64 v[127:128], v[127:128], v[173:174]
	v_add_f64 v[125:126], v[125:126], v[155:156]
	s_clause 0x4
	buffer_load_dword v156, off, s[0:3], 0 offset:876
	buffer_load_dword v173, off, s[0:3], 0 offset:888
	buffer_load_dword v179, off, s[0:3], 0 offset:880
	buffer_load_dword v155, off, s[0:3], 0 offset:872
	buffer_load_dword v178, off, s[0:3], 0 offset:852
	ds_read_b128 v[1:4], v182 offset:1536
	s_waitcnt vmcnt(57) lgkmcnt(1)
	v_mul_f64 v[203:204], v[5:6], v[169:170]
	v_mul_f64 v[169:170], v[7:8], v[169:170]
	s_waitcnt vmcnt(56)
	v_fma_f64 v[167:168], v[121:122], v[191:192], -v[167:168]
	v_add_f64 v[127:128], v[127:128], v[161:162]
	v_fma_f64 v[161:162], v[123:124], v[191:192], v[165:166]
	v_add_f64 v[125:126], v[125:126], v[129:130]
	s_clause 0x2
	buffer_load_dword v174, off, s[0:3], 0 offset:892
	buffer_load_dword v130, off, s[0:3], 0 offset:868
	buffer_load_dword v129, off, s[0:3], 0 offset:864
	ds_read_b128 v[121:124], v182 offset:1552
	s_waitcnt vmcnt(58) lgkmcnt(1)
	v_mul_f64 v[165:166], v[1:2], v[185:186]
	v_mul_f64 v[185:186], v[3:4], v[185:186]
	s_waitcnt vmcnt(56)
	v_fma_f64 v[169:170], v[5:6], v[175:176], -v[169:170]
	v_add_f64 v[127:128], v[127:128], v[167:168]
	v_fma_f64 v[167:168], v[7:8], v[175:176], v[203:204]
	v_add_f64 v[125:126], v[125:126], v[161:162]
	s_clause 0x2
	buffer_load_dword v162, off, s[0:3], 0 offset:908
	buffer_load_dword v161, off, s[0:3], 0 offset:904
	;; [unrolled: 1-line block ×3, first 2 shown]
	ds_read_b128 v[5:8], v182 offset:1568
	s_waitcnt vmcnt(55) lgkmcnt(1)
	v_mul_f64 v[175:176], v[121:122], v[133:134]
	v_mul_f64 v[133:134], v[123:124], v[133:134]
	s_waitcnt vmcnt(54)
	v_fma_f64 v[185:186], v[1:2], v[195:196], -v[185:186]
	v_fma_f64 v[165:166], v[3:4], v[195:196], v[165:166]
	v_add_f64 v[127:128], v[127:128], v[169:170]
	v_add_f64 v[125:126], v[125:126], v[167:168]
	s_clause 0x1
	buffer_load_dword v168, off, s[0:3], 0 offset:900
	buffer_load_dword v167, off, s[0:3], 0 offset:896
	ds_read_b128 v[1:4], v182 offset:1584
	s_waitcnt vmcnt(55) lgkmcnt(1)
	v_mul_f64 v[191:192], v[7:8], v[193:194]
	v_mul_f64 v[169:170], v[5:6], v[193:194]
	s_waitcnt vmcnt(53)
	v_fma_f64 v[133:134], v[121:122], v[139:140], -v[133:134]
	v_fma_f64 v[139:140], v[123:124], v[139:140], v[175:176]
	ds_read_b128 v[121:124], v182 offset:1600
	v_add_f64 v[127:128], v[127:128], v[185:186]
	v_add_f64 v[125:126], v[125:126], v[165:166]
	s_waitcnt vmcnt(49) lgkmcnt(1)
	v_mul_f64 v[165:166], v[1:2], v[145:146]
	v_mul_f64 v[145:146], v[3:4], v[145:146]
	s_waitcnt vmcnt(48)
	v_fma_f64 v[175:176], v[5:6], v[199:200], -v[191:192]
	v_add_f64 v[127:128], v[127:128], v[133:134]
	v_fma_f64 v[133:134], v[7:8], v[199:200], v[169:170]
	v_add_f64 v[125:126], v[125:126], v[139:140]
	s_clause 0x3
	buffer_load_dword v139, off, s[0:3], 0 offset:96
	buffer_load_dword v140, off, s[0:3], 0 offset:100
	;; [unrolled: 1-line block ×4, first 2 shown]
	ds_read_b128 v[5:8], v182 offset:1616
	s_waitcnt vmcnt(51) lgkmcnt(1)
	v_mul_f64 v[185:186], v[121:122], v[187:188]
	v_mul_f64 v[187:188], v[123:124], v[187:188]
	s_waitcnt vmcnt(49)
	v_fma_f64 v[145:146], v[1:2], v[137:138], -v[145:146]
	v_fma_f64 v[137:138], v[3:4], v[137:138], v[165:166]
	ds_read_b128 v[1:4], v182 offset:1632
	v_add_f64 v[127:128], v[127:128], v[175:176]
	v_add_f64 v[125:126], v[125:126], v[133:134]
	s_waitcnt vmcnt(45) lgkmcnt(1)
	v_mul_f64 v[133:134], v[5:6], v[131:132]
	v_mul_f64 v[131:132], v[7:8], v[131:132]
	s_waitcnt vmcnt(44)
	v_fma_f64 v[165:166], v[121:122], v[201:202], -v[187:188]
	v_add_f64 v[127:128], v[127:128], v[145:146]
	v_fma_f64 v[145:146], v[123:124], v[201:202], v[185:186]
	v_add_f64 v[125:126], v[125:126], v[137:138]
	ds_read_b128 v[121:124], v182 offset:1648
	s_waitcnt vmcnt(43) lgkmcnt(1)
	v_mul_f64 v[137:138], v[1:2], v[149:150]
	v_mul_f64 v[149:150], v[3:4], v[149:150]
	s_waitcnt vmcnt(41)
	v_fma_f64 v[131:132], v[5:6], v[143:144], -v[131:132]
	v_fma_f64 v[133:134], v[7:8], v[143:144], v[133:134]
	ds_read_b128 v[5:8], v182 offset:1664
	v_add_f64 v[127:128], v[127:128], v[165:166]
	v_add_f64 v[125:126], v[125:126], v[145:146]
	s_waitcnt vmcnt(37) lgkmcnt(1)
	v_mul_f64 v[143:144], v[121:122], v[135:136]
	v_mul_f64 v[135:136], v[123:124], v[135:136]
	s_waitcnt vmcnt(36)
	v_fma_f64 v[145:146], v[1:2], v[197:198], -v[149:150]
	v_add_f64 v[127:128], v[127:128], v[131:132]
	v_fma_f64 v[131:132], v[3:4], v[197:198], v[137:138]
	v_add_f64 v[125:126], v[125:126], v[133:134]
	ds_read_b128 v[1:4], v182 offset:1680
	s_waitcnt vmcnt(35) lgkmcnt(1)
	v_mul_f64 v[137:138], v[7:8], v[157:158]
	v_mul_f64 v[133:134], v[5:6], v[157:158]
	s_waitcnt vmcnt(33)
	v_fma_f64 v[135:136], v[121:122], v[153:154], -v[135:136]
	v_fma_f64 v[143:144], v[123:124], v[153:154], v[143:144]
	ds_read_b128 v[121:124], v182 offset:1696
	v_add_f64 v[127:128], v[127:128], v[145:146]
	v_add_f64 v[125:126], v[125:126], v[131:132]
	s_waitcnt vmcnt(29) lgkmcnt(1)
	v_mul_f64 v[131:132], v[1:2], v[141:142]
	v_mul_f64 v[141:142], v[3:4], v[141:142]
	s_waitcnt vmcnt(28)
	v_fma_f64 v[137:138], v[5:6], v[189:190], -v[137:138]
	v_fma_f64 v[133:134], v[7:8], v[189:190], v[133:134]
	ds_read_b128 v[5:8], v182 offset:1712
	v_add_f64 v[127:128], v[127:128], v[135:136]
	v_add_f64 v[125:126], v[125:126], v[143:144]
	;; [unrolled: 9-line block ×3, first 2 shown]
	s_waitcnt vmcnt(21) lgkmcnt(1)
	v_mul_f64 v[137:138], v[7:8], v[147:148]
	s_waitcnt vmcnt(20)
	v_fma_f64 v[143:144], v[121:122], v[183:184], -v[143:144]
	v_mul_f64 v[133:134], v[5:6], v[147:148]
	v_fma_f64 v[135:136], v[123:124], v[183:184], v[135:136]
	ds_read_b128 v[121:124], v182 offset:1744
	v_add_f64 v[127:128], v[127:128], v[141:142]
	v_add_f64 v[125:126], v[125:126], v[131:132]
	s_waitcnt vmcnt(19) lgkmcnt(1)
	v_mul_f64 v[141:142], v[3:4], v[171:172]
	v_mul_f64 v[131:132], v[1:2], v[171:172]
	s_waitcnt vmcnt(17)
	v_fma_f64 v[137:138], v[5:6], v[159:160], -v[137:138]
	v_fma_f64 v[133:134], v[7:8], v[159:160], v[133:134]
	ds_read_b128 v[5:8], v182 offset:1760
	v_add_f64 v[127:128], v[127:128], v[143:144]
	v_add_f64 v[125:126], v[125:126], v[135:136]
	s_waitcnt vmcnt(13) lgkmcnt(1)
	v_mul_f64 v[143:144], v[123:124], v[155:156]
	s_waitcnt vmcnt(12)
	v_fma_f64 v[141:142], v[1:2], v[177:178], -v[141:142]
	v_mul_f64 v[135:136], v[121:122], v[155:156]
	v_fma_f64 v[131:132], v[3:4], v[177:178], v[131:132]
	ds_read_b128 v[1:4], v182 offset:1776
	v_add_f64 v[127:128], v[127:128], v[137:138]
	v_add_f64 v[125:126], v[125:126], v[133:134]
	s_waitcnt vmcnt(11) lgkmcnt(1)
	v_mul_f64 v[137:138], v[7:8], v[173:174]
	v_mul_f64 v[133:134], v[5:6], v[173:174]
	s_waitcnt vmcnt(9)
	v_fma_f64 v[121:122], v[121:122], v[129:130], -v[143:144]
	v_fma_f64 v[123:124], v[123:124], v[129:130], v[135:136]
	v_add_f64 v[127:128], v[127:128], v[141:142]
	v_add_f64 v[125:126], v[125:126], v[131:132]
	s_waitcnt vmcnt(7) lgkmcnt(0)
	v_mul_f64 v[131:132], v[3:4], v[161:162]
	s_waitcnt vmcnt(6)
	v_fma_f64 v[5:6], v[5:6], v[179:180], -v[137:138]
	v_mul_f64 v[129:130], v[1:2], v[161:162]
	v_fma_f64 v[7:8], v[7:8], v[179:180], v[133:134]
	v_add_f64 v[121:122], v[127:128], v[121:122]
	v_add_f64 v[123:124], v[125:126], v[123:124]
	s_waitcnt vmcnt(4)
	v_fma_f64 v[1:2], v[1:2], v[167:168], -v[131:132]
	v_fma_f64 v[3:4], v[3:4], v[167:168], v[129:130]
	v_add_f64 v[5:6], v[121:122], v[5:6]
	v_add_f64 v[7:8], v[123:124], v[7:8]
	;; [unrolled: 1-line block ×4, first 2 shown]
	s_waitcnt vmcnt(2)
	v_add_f64 v[1:2], v[139:140], -v[1:2]
	s_waitcnt vmcnt(0)
	v_add_f64 v[3:4], v[169:170], -v[3:4]
	buffer_store_dword v2, off, s[0:3], 0 offset:100
	buffer_store_dword v1, off, s[0:3], 0 offset:96
	;; [unrolled: 1-line block ×4, first 2 shown]
	v_cmpx_lt_u32_e32 4, v0
	s_cbranch_execz .LBB119_341
; %bb.340:
	v_mov_b32_e32 v4, s64
	v_mov_b32_e32 v5, 0
	s_clause 0x3
	buffer_load_dword v1, v4, s[0:3], 0 offen
	buffer_load_dword v2, v4, s[0:3], 0 offen offset:4
	buffer_load_dword v3, v4, s[0:3], 0 offen offset:8
	;; [unrolled: 1-line block ×3, first 2 shown]
	buffer_store_dword v5, off, s[0:3], 0 offset:80
	buffer_store_dword v5, off, s[0:3], 0 offset:84
	;; [unrolled: 1-line block ×4, first 2 shown]
	s_waitcnt vmcnt(0)
	ds_write_b128 v181, v[1:4]
.LBB119_341:
	s_or_b32 exec_lo, exec_lo, s4
	s_waitcnt lgkmcnt(0)
	s_waitcnt_vscnt null, 0x0
	s_barrier
	buffer_gl0_inv
	s_clause 0x37
	buffer_load_dword v129, off, s[0:3], 0 offset:104
	buffer_load_dword v130, off, s[0:3], 0 offset:108
	;; [unrolled: 1-line block ×56, first 2 shown]
	v_mov_b32_e32 v182, 0
	s_mov_b32 s4, exec_lo
	ds_read_b128 v[5:8], v182 offset:976
	s_clause 0x2
	buffer_load_dword v178, off, s[0:3], 0 offset:332
	buffer_load_dword v180, off, s[0:3], 0 offset:308
	;; [unrolled: 1-line block ×3, first 2 shown]
	ds_read_b128 v[1:4], v182 offset:992
	s_clause 0x4
	buffer_load_dword v190, off, s[0:3], 0 offset:348
	buffer_load_dword v191, off, s[0:3], 0 offset:360
	;; [unrolled: 1-line block ×5, first 2 shown]
	ds_read_b128 v[183:186], v182 offset:1008
	s_waitcnt vmcnt(62) lgkmcnt(2)
	v_mul_f64 v[187:188], v[7:8], v[129:130]
	v_mul_f64 v[129:130], v[5:6], v[129:130]
	s_waitcnt vmcnt(60) lgkmcnt(1)
	v_mul_f64 v[194:195], v[3:4], v[125:126]
	v_mul_f64 v[125:126], v[1:2], v[125:126]
	;; [unrolled: 3-line block ×3, first 2 shown]
	v_fma_f64 v[187:188], v[5:6], v[127:128], -v[187:188]
	v_fma_f64 v[127:128], v[7:8], v[127:128], v[129:130]
	s_clause 0x2
	buffer_load_dword v192, off, s[0:3], 0 offset:364
	buffer_load_dword v130, off, s[0:3], 0 offset:340
	;; [unrolled: 1-line block ×3, first 2 shown]
	s_waitcnt vmcnt(57)
	v_fma_f64 v[198:199], v[1:2], v[121:122], -v[194:195]
	ds_read_b128 v[5:8], v182 offset:1024
	v_fma_f64 v[121:122], v[3:4], v[121:122], v[125:126]
	s_waitcnt vmcnt(51)
	v_fma_f64 v[183:184], v[183:184], v[145:146], -v[123:124]
	v_fma_f64 v[145:146], v[185:186], v[145:146], v[196:197]
	v_add_f64 v[187:188], v[187:188], 0
	v_add_f64 v[125:126], v[127:128], 0
	s_clause 0x4
	buffer_load_dword v128, off, s[0:3], 0 offset:380
	buffer_load_dword v195, off, s[0:3], 0 offset:392
	buffer_load_dword v200, off, s[0:3], 0 offset:384
	buffer_load_dword v127, off, s[0:3], 0 offset:376
	buffer_load_dword v194, off, s[0:3], 0 offset:356
	s_waitcnt lgkmcnt(0)
	v_mul_f64 v[201:202], v[5:6], v[133:134]
	v_mul_f64 v[133:134], v[7:8], v[133:134]
	ds_read_b128 v[1:4], v182 offset:1040
	s_clause 0x2
	buffer_load_dword v196, off, s[0:3], 0 offset:396
	buffer_load_dword v186, off, s[0:3], 0 offset:372
	;; [unrolled: 1-line block ×3, first 2 shown]
	v_add_f64 v[187:188], v[187:188], v[198:199]
	v_add_f64 v[125:126], v[125:126], v[121:122]
	ds_read_b128 v[121:124], v182 offset:1056
	s_waitcnt vmcnt(58) lgkmcnt(1)
	v_mul_f64 v[197:198], v[1:2], v[137:138]
	v_mul_f64 v[137:138], v[3:4], v[137:138]
	s_waitcnt vmcnt(56)
	v_fma_f64 v[133:134], v[5:6], v[139:140], -v[133:134]
	v_fma_f64 v[139:140], v[7:8], v[139:140], v[201:202]
	s_waitcnt vmcnt(52) lgkmcnt(0)
	v_mul_f64 v[203:204], v[121:122], v[141:142]
	v_add_f64 v[183:184], v[187:188], v[183:184]
	v_add_f64 v[125:126], v[125:126], v[145:146]
	s_clause 0x4
	buffer_load_dword v146, off, s[0:3], 0 offset:412
	buffer_load_dword v187, off, s[0:3], 0 offset:424
	;; [unrolled: 1-line block ×5, first 2 shown]
	v_mul_f64 v[141:142], v[123:124], v[141:142]
	s_waitcnt vmcnt(56)
	v_fma_f64 v[137:138], v[1:2], v[131:132], -v[137:138]
	ds_read_b128 v[5:8], v182 offset:1072
	v_fma_f64 v[131:132], v[3:4], v[131:132], v[197:198]
	v_add_f64 v[133:134], v[183:184], v[133:134]
	v_add_f64 v[125:126], v[125:126], v[139:140]
	s_clause 0x2
	buffer_load_dword v188, off, s[0:3], 0 offset:428
	buffer_load_dword v140, off, s[0:3], 0 offset:404
	;; [unrolled: 1-line block ×3, first 2 shown]
	s_waitcnt vmcnt(58) lgkmcnt(0)
	v_mul_f64 v[183:184], v[5:6], v[147:148]
	v_mul_f64 v[147:148], v[7:8], v[147:148]
	s_waitcnt vmcnt(56)
	v_fma_f64 v[141:142], v[121:122], v[149:150], -v[141:142]
	ds_read_b128 v[1:4], v182 offset:1088
	v_add_f64 v[133:134], v[133:134], v[137:138]
	v_fma_f64 v[137:138], v[123:124], v[149:150], v[203:204]
	v_add_f64 v[125:126], v[125:126], v[131:132]
	s_clause 0x4
	buffer_load_dword v132, off, s[0:3], 0 offset:444
	buffer_load_dword v149, off, s[0:3], 0 offset:456
	;; [unrolled: 1-line block ×5, first 2 shown]
	s_waitcnt vmcnt(57) lgkmcnt(0)
	v_mul_f64 v[198:199], v[1:2], v[151:152]
	v_mul_f64 v[151:152], v[3:4], v[151:152]
	s_waitcnt vmcnt(56)
	v_fma_f64 v[147:148], v[5:6], v[135:136], -v[147:148]
	ds_read_b128 v[121:124], v182 offset:1104
	v_fma_f64 v[135:136], v[7:8], v[135:136], v[183:184]
	v_add_f64 v[133:134], v[133:134], v[141:142]
	v_add_f64 v[125:126], v[125:126], v[137:138]
	s_clause 0x2
	buffer_load_dword v150, off, s[0:3], 0 offset:460
	buffer_load_dword v138, off, s[0:3], 0 offset:436
	;; [unrolled: 1-line block ×3, first 2 shown]
	ds_read_b128 v[5:8], v182 offset:1120
	s_waitcnt vmcnt(58) lgkmcnt(1)
	v_mul_f64 v[141:142], v[121:122], v[155:156]
	v_mul_f64 v[155:156], v[123:124], v[155:156]
	s_waitcnt vmcnt(56)
	v_fma_f64 v[151:152], v[1:2], v[157:158], -v[151:152]
	v_add_f64 v[133:134], v[133:134], v[147:148]
	v_fma_f64 v[147:148], v[3:4], v[157:158], v[198:199]
	v_add_f64 v[125:126], v[125:126], v[135:136]
	s_clause 0x4
	buffer_load_dword v136, off, s[0:3], 0 offset:476
	buffer_load_dword v157, off, s[0:3], 0 offset:488
	;; [unrolled: 1-line block ×5, first 2 shown]
	s_waitcnt vmcnt(57) lgkmcnt(0)
	v_mul_f64 v[204:205], v[5:6], v[159:160]
	v_mul_f64 v[159:160], v[7:8], v[159:160]
	s_waitcnt vmcnt(56)
	v_fma_f64 v[155:156], v[121:122], v[143:144], -v[155:156]
	ds_read_b128 v[1:4], v182 offset:1136
	v_fma_f64 v[141:142], v[123:124], v[143:144], v[141:142]
	s_clause 0x2
	buffer_load_dword v158, off, s[0:3], 0 offset:492
	buffer_load_dword v144, off, s[0:3], 0 offset:468
	;; [unrolled: 1-line block ×3, first 2 shown]
	ds_read_b128 v[121:124], v182 offset:1152
	v_add_f64 v[133:134], v[133:134], v[151:152]
	v_add_f64 v[125:126], v[125:126], v[147:148]
	s_waitcnt vmcnt(58) lgkmcnt(1)
	v_mul_f64 v[151:152], v[3:4], v[163:164]
	s_waitcnt vmcnt(56)
	v_fma_f64 v[159:160], v[5:6], v[165:166], -v[159:160]
	v_mul_f64 v[147:148], v[1:2], v[163:164]
	v_add_f64 v[133:134], v[133:134], v[155:156]
	v_fma_f64 v[155:156], v[7:8], v[165:166], v[204:205]
	v_add_f64 v[125:126], v[125:126], v[141:142]
	s_clause 0x4
	buffer_load_dword v142, off, s[0:3], 0 offset:508
	buffer_load_dword v163, off, s[0:3], 0 offset:520
	;; [unrolled: 1-line block ×5, first 2 shown]
	s_waitcnt vmcnt(57) lgkmcnt(0)
	v_mul_f64 v[204:205], v[121:122], v[167:168]
	v_mul_f64 v[166:167], v[123:124], v[167:168]
	s_waitcnt vmcnt(56)
	v_fma_f64 v[151:152], v[1:2], v[153:154], -v[151:152]
	ds_read_b128 v[5:8], v182 offset:1168
	v_fma_f64 v[147:148], v[3:4], v[153:154], v[147:148]
	s_clause 0x2
	buffer_load_dword v164, off, s[0:3], 0 offset:524
	buffer_load_dword v154, off, s[0:3], 0 offset:500
	;; [unrolled: 1-line block ×3, first 2 shown]
	ds_read_b128 v[1:4], v182 offset:1184
	v_add_f64 v[133:134], v[133:134], v[159:160]
	v_add_f64 v[125:126], v[125:126], v[155:156]
	s_waitcnt vmcnt(58) lgkmcnt(1)
	v_mul_f64 v[159:160], v[7:8], v[171:172]
	s_waitcnt vmcnt(56)
	v_fma_f64 v[167:168], v[121:122], v[173:174], -v[166:167]
	v_mul_f64 v[155:156], v[5:6], v[171:172]
	v_add_f64 v[133:134], v[133:134], v[151:152]
	v_fma_f64 v[151:152], v[123:124], v[173:174], v[204:205]
	v_add_f64 v[125:126], v[125:126], v[147:148]
	s_clause 0x4
	buffer_load_dword v148, off, s[0:3], 0 offset:540
	buffer_load_dword v171, off, s[0:3], 0 offset:552
	;; [unrolled: 1-line block ×5, first 2 shown]
	s_waitcnt vmcnt(57) lgkmcnt(0)
	v_mul_f64 v[204:205], v[1:2], v[175:176]
	v_mul_f64 v[174:175], v[3:4], v[175:176]
	s_waitcnt vmcnt(56)
	v_fma_f64 v[159:160], v[5:6], v[161:162], -v[159:160]
	ds_read_b128 v[121:124], v182 offset:1200
	v_fma_f64 v[155:156], v[7:8], v[161:162], v[155:156]
	v_add_f64 v[133:134], v[133:134], v[167:168]
	v_add_f64 v[125:126], v[125:126], v[151:152]
	s_clause 0x2
	buffer_load_dword v172, off, s[0:3], 0 offset:556
	buffer_load_dword v152, off, s[0:3], 0 offset:532
	;; [unrolled: 1-line block ×3, first 2 shown]
	ds_read_b128 v[5:8], v182 offset:1216
	s_waitcnt vmcnt(58) lgkmcnt(1)
	v_mul_f64 v[167:168], v[123:124], v[177:178]
	s_waitcnt vmcnt(56)
	v_fma_f64 v[175:176], v[1:2], v[179:180], -v[174:175]
	v_mul_f64 v[161:162], v[121:122], v[177:178]
	v_add_f64 v[133:134], v[133:134], v[159:160]
	v_fma_f64 v[159:160], v[3:4], v[179:180], v[204:205]
	v_add_f64 v[125:126], v[125:126], v[155:156]
	s_clause 0x4
	buffer_load_dword v156, off, s[0:3], 0 offset:572
	buffer_load_dword v177, off, s[0:3], 0 offset:584
	;; [unrolled: 1-line block ×5, first 2 shown]
	s_waitcnt vmcnt(57) lgkmcnt(0)
	v_mul_f64 v[204:205], v[5:6], v[189:190]
	v_mul_f64 v[189:190], v[7:8], v[189:190]
	s_waitcnt vmcnt(56)
	v_fma_f64 v[167:168], v[121:122], v[169:170], -v[167:168]
	ds_read_b128 v[1:4], v182 offset:1232
	v_fma_f64 v[161:162], v[123:124], v[169:170], v[161:162]
	v_add_f64 v[133:134], v[133:134], v[175:176]
	v_add_f64 v[125:126], v[125:126], v[159:160]
	s_clause 0x2
	buffer_load_dword v178, off, s[0:3], 0 offset:588
	buffer_load_dword v160, off, s[0:3], 0 offset:564
	;; [unrolled: 1-line block ×3, first 2 shown]
	ds_read_b128 v[121:124], v182 offset:1248
	s_waitcnt vmcnt(58) lgkmcnt(1)
	v_mul_f64 v[175:176], v[3:4], v[191:192]
	v_mul_f64 v[169:170], v[1:2], v[191:192]
	s_waitcnt vmcnt(56)
	v_fma_f64 v[189:190], v[5:6], v[129:130], -v[189:190]
	v_fma_f64 v[129:130], v[7:8], v[129:130], v[204:205]
	v_add_f64 v[133:134], v[133:134], v[167:168]
	v_add_f64 v[125:126], v[125:126], v[161:162]
	s_clause 0x4
	buffer_load_dword v162, off, s[0:3], 0 offset:604
	buffer_load_dword v167, off, s[0:3], 0 offset:616
	;; [unrolled: 1-line block ×5, first 2 shown]
	ds_read_b128 v[5:8], v182 offset:1264
	s_waitcnt vmcnt(57) lgkmcnt(1)
	v_mul_f64 v[204:205], v[121:122], v[127:128]
	v_mul_f64 v[127:128], v[123:124], v[127:128]
	s_waitcnt vmcnt(56)
	v_fma_f64 v[175:176], v[1:2], v[193:194], -v[175:176]
	v_fma_f64 v[169:170], v[3:4], v[193:194], v[169:170]
	v_add_f64 v[133:134], v[133:134], v[189:190]
	v_add_f64 v[125:126], v[125:126], v[129:130]
	s_clause 0x2
	buffer_load_dword v168, off, s[0:3], 0 offset:620
	buffer_load_dword v130, off, s[0:3], 0 offset:596
	;; [unrolled: 1-line block ×3, first 2 shown]
	s_waitcnt vmcnt(58) lgkmcnt(0)
	v_mul_f64 v[193:194], v[7:8], v[195:196]
	ds_read_b128 v[1:4], v182 offset:1280
	v_mul_f64 v[189:190], v[5:6], v[195:196]
	s_waitcnt vmcnt(56)
	v_fma_f64 v[127:128], v[121:122], v[185:186], -v[127:128]
	v_add_f64 v[133:134], v[133:134], v[175:176]
	v_fma_f64 v[175:176], v[123:124], v[185:186], v[204:205]
	v_add_f64 v[125:126], v[125:126], v[169:170]
	s_clause 0x4
	buffer_load_dword v170, off, s[0:3], 0 offset:636
	buffer_load_dword v185, off, s[0:3], 0 offset:648
	;; [unrolled: 1-line block ×5, first 2 shown]
	ds_read_b128 v[121:124], v182 offset:1296
	s_waitcnt vmcnt(57) lgkmcnt(1)
	v_mul_f64 v[204:205], v[1:2], v[145:146]
	v_mul_f64 v[145:146], v[3:4], v[145:146]
	s_waitcnt vmcnt(56)
	v_fma_f64 v[193:194], v[5:6], v[200:201], -v[193:194]
	v_add_f64 v[127:128], v[133:134], v[127:128]
	v_fma_f64 v[133:134], v[7:8], v[200:201], v[189:190]
	v_add_f64 v[125:126], v[125:126], v[175:176]
	s_clause 0x2
	buffer_load_dword v186, off, s[0:3], 0 offset:652
	buffer_load_dword v176, off, s[0:3], 0 offset:628
	;; [unrolled: 1-line block ×3, first 2 shown]
	ds_read_b128 v[5:8], v182 offset:1312
	s_waitcnt vmcnt(58) lgkmcnt(1)
	v_mul_f64 v[189:190], v[121:122], v[187:188]
	v_mul_f64 v[187:188], v[123:124], v[187:188]
	s_waitcnt vmcnt(56)
	v_fma_f64 v[145:146], v[1:2], v[139:140], -v[145:146]
	v_fma_f64 v[139:140], v[3:4], v[139:140], v[204:205]
	v_add_f64 v[127:128], v[127:128], v[193:194]
	v_add_f64 v[125:126], v[125:126], v[133:134]
	s_clause 0x4
	buffer_load_dword v134, off, s[0:3], 0 offset:668
	buffer_load_dword v193, off, s[0:3], 0 offset:680
	;; [unrolled: 1-line block ×5, first 2 shown]
	ds_read_b128 v[1:4], v182 offset:1328
	s_waitcnt vmcnt(57) lgkmcnt(1)
	v_mul_f64 v[200:201], v[5:6], v[131:132]
	v_mul_f64 v[131:132], v[7:8], v[131:132]
	s_waitcnt vmcnt(56)
	v_fma_f64 v[187:188], v[121:122], v[202:203], -v[187:188]
	v_add_f64 v[127:128], v[127:128], v[145:146]
	v_fma_f64 v[145:146], v[123:124], v[202:203], v[189:190]
	v_add_f64 v[125:126], v[125:126], v[139:140]
	s_clause 0x2
	buffer_load_dword v194, off, s[0:3], 0 offset:684
	buffer_load_dword v140, off, s[0:3], 0 offset:660
	;; [unrolled: 1-line block ×3, first 2 shown]
	ds_read_b128 v[121:124], v182 offset:1344
	s_waitcnt vmcnt(58) lgkmcnt(1)
	v_mul_f64 v[189:190], v[1:2], v[149:150]
	v_mul_f64 v[149:150], v[3:4], v[149:150]
	s_waitcnt vmcnt(56)
	v_fma_f64 v[131:132], v[5:6], v[137:138], -v[131:132]
	v_fma_f64 v[137:138], v[7:8], v[137:138], v[200:201]
	v_add_f64 v[127:128], v[127:128], v[187:188]
	v_add_f64 v[125:126], v[125:126], v[145:146]
	s_clause 0x4
	buffer_load_dword v146, off, s[0:3], 0 offset:700
	buffer_load_dword v187, off, s[0:3], 0 offset:712
	;; [unrolled: 1-line block ×5, first 2 shown]
	ds_read_b128 v[5:8], v182 offset:1360
	s_waitcnt vmcnt(57) lgkmcnt(1)
	v_mul_f64 v[202:203], v[121:122], v[135:136]
	v_mul_f64 v[135:136], v[123:124], v[135:136]
	s_waitcnt vmcnt(56)
	v_fma_f64 v[149:150], v[1:2], v[197:198], -v[149:150]
	v_add_f64 v[127:128], v[127:128], v[131:132]
	v_fma_f64 v[131:132], v[3:4], v[197:198], v[189:190]
	v_add_f64 v[125:126], v[125:126], v[137:138]
	s_clause 0x2
	buffer_load_dword v188, off, s[0:3], 0 offset:716
	buffer_load_dword v138, off, s[0:3], 0 offset:692
	;; [unrolled: 1-line block ×3, first 2 shown]
	s_waitcnt vmcnt(58) lgkmcnt(0)
	v_mul_f64 v[189:190], v[5:6], v[157:158]
	v_mul_f64 v[157:158], v[7:8], v[157:158]
	ds_read_b128 v[1:4], v182 offset:1376
	s_waitcnt vmcnt(56)
	v_fma_f64 v[135:136], v[121:122], v[143:144], -v[135:136]
	v_fma_f64 v[143:144], v[123:124], v[143:144], v[202:203]
	v_add_f64 v[127:128], v[127:128], v[149:150]
	v_add_f64 v[125:126], v[125:126], v[131:132]
	s_clause 0x4
	buffer_load_dword v132, off, s[0:3], 0 offset:732
	buffer_load_dword v149, off, s[0:3], 0 offset:744
	;; [unrolled: 1-line block ×5, first 2 shown]
	ds_read_b128 v[121:124], v182 offset:1392
	s_waitcnt vmcnt(57) lgkmcnt(1)
	v_mul_f64 v[203:204], v[1:2], v[141:142]
	v_mul_f64 v[141:142], v[3:4], v[141:142]
	s_waitcnt vmcnt(56)
	v_fma_f64 v[157:158], v[5:6], v[183:184], -v[157:158]
	v_add_f64 v[127:128], v[127:128], v[135:136]
	v_fma_f64 v[135:136], v[7:8], v[183:184], v[189:190]
	v_add_f64 v[125:126], v[125:126], v[143:144]
	s_clause 0x2
	buffer_load_dword v150, off, s[0:3], 0 offset:748
	buffer_load_dword v144, off, s[0:3], 0 offset:724
	;; [unrolled: 1-line block ×3, first 2 shown]
	s_waitcnt vmcnt(58) lgkmcnt(0)
	v_mul_f64 v[183:184], v[121:122], v[163:164]
	v_mul_f64 v[163:164], v[123:124], v[163:164]
	ds_read_b128 v[5:8], v182 offset:1408
	s_waitcnt vmcnt(56)
	v_fma_f64 v[141:142], v[1:2], v[153:154], -v[141:142]
	v_fma_f64 v[153:154], v[3:4], v[153:154], v[203:204]
	v_add_f64 v[127:128], v[127:128], v[157:158]
	v_add_f64 v[125:126], v[125:126], v[135:136]
	s_clause 0x4
	buffer_load_dword v136, off, s[0:3], 0 offset:764
	buffer_load_dword v157, off, s[0:3], 0 offset:776
	buffer_load_dword v189, off, s[0:3], 0 offset:768
	buffer_load_dword v135, off, s[0:3], 0 offset:760
	buffer_load_dword v198, off, s[0:3], 0 offset:740
	ds_read_b128 v[1:4], v182 offset:1424
	s_waitcnt vmcnt(57) lgkmcnt(1)
	v_mul_f64 v[203:204], v[5:6], v[147:148]
	v_mul_f64 v[147:148], v[7:8], v[147:148]
	s_waitcnt vmcnt(56)
	v_fma_f64 v[163:164], v[121:122], v[165:166], -v[163:164]
	v_add_f64 v[127:128], v[127:128], v[141:142]
	v_fma_f64 v[141:142], v[123:124], v[165:166], v[183:184]
	v_add_f64 v[125:126], v[125:126], v[153:154]
	s_clause 0x2
	buffer_load_dword v158, off, s[0:3], 0 offset:780
	buffer_load_dword v154, off, s[0:3], 0 offset:756
	buffer_load_dword v153, off, s[0:3], 0 offset:752
	ds_read_b128 v[121:124], v182 offset:1440
	s_waitcnt vmcnt(58) lgkmcnt(1)
	v_mul_f64 v[165:166], v[1:2], v[171:172]
	v_mul_f64 v[171:172], v[3:4], v[171:172]
	s_waitcnt vmcnt(56)
	v_fma_f64 v[147:148], v[5:6], v[151:152], -v[147:148]
	v_fma_f64 v[151:152], v[7:8], v[151:152], v[203:204]
	v_add_f64 v[127:128], v[127:128], v[163:164]
	v_add_f64 v[125:126], v[125:126], v[141:142]
	s_clause 0x4
	buffer_load_dword v142, off, s[0:3], 0 offset:796
	buffer_load_dword v163, off, s[0:3], 0 offset:808
	buffer_load_dword v183, off, s[0:3], 0 offset:800
	buffer_load_dword v141, off, s[0:3], 0 offset:792
	buffer_load_dword v190, off, s[0:3], 0 offset:772
	ds_read_b128 v[5:8], v182 offset:1456
	s_waitcnt vmcnt(57) lgkmcnt(1)
	v_mul_f64 v[203:204], v[121:122], v[155:156]
	v_mul_f64 v[155:156], v[123:124], v[155:156]
	s_waitcnt vmcnt(56)
	v_fma_f64 v[171:172], v[1:2], v[173:174], -v[171:172]
	v_add_f64 v[127:128], v[127:128], v[147:148]
	v_fma_f64 v[147:148], v[3:4], v[173:174], v[165:166]
	v_add_f64 v[125:126], v[125:126], v[151:152]
	s_clause 0x2
	buffer_load_dword v164, off, s[0:3], 0 offset:812
	buffer_load_dword v152, off, s[0:3], 0 offset:788
	buffer_load_dword v151, off, s[0:3], 0 offset:784
	ds_read_b128 v[1:4], v182 offset:1472
	s_waitcnt vmcnt(58) lgkmcnt(1)
	v_mul_f64 v[173:174], v[7:8], v[177:178]
	v_mul_f64 v[165:166], v[5:6], v[177:178]
	;; [unrolled: 28-line block ×4, first 2 shown]
	s_waitcnt vmcnt(56)
	v_fma_f64 v[169:170], v[5:6], v[175:176], -v[169:170]
	v_add_f64 v[127:128], v[127:128], v[167:168]
	v_fma_f64 v[167:168], v[7:8], v[175:176], v[203:204]
	v_add_f64 v[125:126], v[125:126], v[161:162]
	s_clause 0x4
	buffer_load_dword v162, off, s[0:3], 0 offset:892
	buffer_load_dword v175, off, s[0:3], 0 offset:904
	;; [unrolled: 1-line block ×5, first 2 shown]
	ds_read_b128 v[5:8], v182 offset:1552
	s_waitcnt vmcnt(57) lgkmcnt(1)
	v_mul_f64 v[203:204], v[121:122], v[133:134]
	v_mul_f64 v[133:134], v[123:124], v[133:134]
	s_waitcnt vmcnt(56)
	v_fma_f64 v[185:186], v[1:2], v[195:196], -v[185:186]
	v_fma_f64 v[165:166], v[3:4], v[195:196], v[165:166]
	v_add_f64 v[127:128], v[127:128], v[169:170]
	v_add_f64 v[125:126], v[125:126], v[167:168]
	s_clause 0x2
	buffer_load_dword v176, off, s[0:3], 0 offset:908
	buffer_load_dword v168, off, s[0:3], 0 offset:884
	;; [unrolled: 1-line block ×3, first 2 shown]
	ds_read_b128 v[1:4], v182 offset:1568
	buffer_load_dword v192, off, s[0:3], 0 offset:900
	s_waitcnt vmcnt(59) lgkmcnt(1)
	v_mul_f64 v[169:170], v[5:6], v[193:194]
	v_mul_f64 v[193:194], v[7:8], v[193:194]
	s_waitcnt vmcnt(57)
	v_fma_f64 v[133:134], v[121:122], v[139:140], -v[133:134]
	v_fma_f64 v[139:140], v[123:124], v[139:140], v[203:204]
	ds_read_b128 v[121:124], v182 offset:1584
	v_add_f64 v[127:128], v[127:128], v[185:186]
	v_add_f64 v[125:126], v[125:126], v[165:166]
	s_waitcnt vmcnt(53) lgkmcnt(1)
	v_mul_f64 v[165:166], v[1:2], v[145:146]
	v_mul_f64 v[145:146], v[3:4], v[145:146]
	s_waitcnt vmcnt(52)
	v_fma_f64 v[185:186], v[5:6], v[199:200], -v[193:194]
	v_add_f64 v[127:128], v[127:128], v[133:134]
	v_fma_f64 v[133:134], v[7:8], v[199:200], v[169:170]
	v_add_f64 v[125:126], v[125:126], v[139:140]
	ds_read_b128 v[5:8], v182 offset:1600
	s_waitcnt vmcnt(51) lgkmcnt(1)
	v_mul_f64 v[169:170], v[123:124], v[187:188]
	v_mul_f64 v[139:140], v[121:122], v[187:188]
	s_waitcnt vmcnt(49)
	v_fma_f64 v[145:146], v[1:2], v[137:138], -v[145:146]
	v_fma_f64 v[137:138], v[3:4], v[137:138], v[165:166]
	v_add_f64 v[127:128], v[127:128], v[185:186]
	v_add_f64 v[125:126], v[125:126], v[133:134]
	s_clause 0x3
	buffer_load_dword v133, off, s[0:3], 0 offset:80
	buffer_load_dword v134, off, s[0:3], 0 offset:84
	;; [unrolled: 1-line block ×4, first 2 shown]
	ds_read_b128 v[1:4], v182 offset:1616
	s_waitcnt vmcnt(49) lgkmcnt(1)
	v_mul_f64 v[185:186], v[5:6], v[131:132]
	v_mul_f64 v[131:132], v[7:8], v[131:132]
	s_waitcnt vmcnt(48)
	v_fma_f64 v[169:170], v[121:122], v[201:202], -v[169:170]
	v_fma_f64 v[139:140], v[123:124], v[201:202], v[139:140]
	ds_read_b128 v[121:124], v182 offset:1632
	v_add_f64 v[127:128], v[127:128], v[145:146]
	v_add_f64 v[125:126], v[125:126], v[137:138]
	s_waitcnt vmcnt(47) lgkmcnt(1)
	v_mul_f64 v[145:146], v[3:4], v[149:150]
	v_mul_f64 v[137:138], v[1:2], v[149:150]
	s_waitcnt vmcnt(45)
	v_fma_f64 v[131:132], v[5:6], v[143:144], -v[131:132]
	v_fma_f64 v[143:144], v[7:8], v[143:144], v[185:186]
	ds_read_b128 v[5:8], v182 offset:1648
	v_add_f64 v[127:128], v[127:128], v[169:170]
	v_add_f64 v[125:126], v[125:126], v[139:140]
	s_waitcnt vmcnt(41) lgkmcnt(1)
	v_mul_f64 v[139:140], v[121:122], v[135:136]
	v_mul_f64 v[135:136], v[123:124], v[135:136]
	s_waitcnt vmcnt(40)
	v_fma_f64 v[145:146], v[1:2], v[197:198], -v[145:146]
	v_add_f64 v[127:128], v[127:128], v[131:132]
	v_fma_f64 v[131:132], v[3:4], v[197:198], v[137:138]
	v_add_f64 v[125:126], v[125:126], v[143:144]
	ds_read_b128 v[1:4], v182 offset:1664
	s_waitcnt vmcnt(39) lgkmcnt(1)
	v_mul_f64 v[143:144], v[7:8], v[157:158]
	v_mul_f64 v[137:138], v[5:6], v[157:158]
	s_waitcnt vmcnt(37)
	v_fma_f64 v[135:136], v[121:122], v[153:154], -v[135:136]
	v_fma_f64 v[139:140], v[123:124], v[153:154], v[139:140]
	ds_read_b128 v[121:124], v182 offset:1680
	v_add_f64 v[127:128], v[127:128], v[145:146]
	v_add_f64 v[125:126], v[125:126], v[131:132]
	s_waitcnt vmcnt(33) lgkmcnt(1)
	v_mul_f64 v[131:132], v[1:2], v[141:142]
	v_mul_f64 v[141:142], v[3:4], v[141:142]
	s_waitcnt vmcnt(32)
	v_fma_f64 v[143:144], v[5:6], v[189:190], -v[143:144]
	v_add_f64 v[127:128], v[127:128], v[135:136]
	v_fma_f64 v[135:136], v[7:8], v[189:190], v[137:138]
	v_add_f64 v[125:126], v[125:126], v[139:140]
	ds_read_b128 v[5:8], v182 offset:1696
	s_waitcnt vmcnt(31) lgkmcnt(1)
	v_mul_f64 v[139:140], v[123:124], v[163:164]
	v_mul_f64 v[137:138], v[121:122], v[163:164]
	s_waitcnt vmcnt(29)
	v_fma_f64 v[141:142], v[1:2], v[151:152], -v[141:142]
	v_fma_f64 v[131:132], v[3:4], v[151:152], v[131:132]
	ds_read_b128 v[1:4], v182 offset:1712
	v_add_f64 v[127:128], v[127:128], v[143:144]
	v_add_f64 v[125:126], v[125:126], v[135:136]
	s_waitcnt vmcnt(25) lgkmcnt(1)
	v_mul_f64 v[143:144], v[7:8], v[147:148]
	s_waitcnt vmcnt(24)
	v_fma_f64 v[139:140], v[121:122], v[183:184], -v[139:140]
	v_mul_f64 v[135:136], v[5:6], v[147:148]
	v_fma_f64 v[137:138], v[123:124], v[183:184], v[137:138]
	ds_read_b128 v[121:124], v182 offset:1728
	v_add_f64 v[127:128], v[127:128], v[141:142]
	v_add_f64 v[125:126], v[125:126], v[131:132]
	s_waitcnt vmcnt(23) lgkmcnt(1)
	v_mul_f64 v[141:142], v[3:4], v[171:172]
	v_mul_f64 v[131:132], v[1:2], v[171:172]
	s_waitcnt vmcnt(21)
	v_fma_f64 v[143:144], v[5:6], v[159:160], -v[143:144]
	v_fma_f64 v[135:136], v[7:8], v[159:160], v[135:136]
	ds_read_b128 v[5:8], v182 offset:1744
	v_add_f64 v[127:128], v[127:128], v[139:140]
	v_add_f64 v[125:126], v[125:126], v[137:138]
	s_waitcnt vmcnt(17) lgkmcnt(1)
	v_mul_f64 v[139:140], v[123:124], v[155:156]
	s_waitcnt vmcnt(16)
	v_fma_f64 v[141:142], v[1:2], v[177:178], -v[141:142]
	v_mul_f64 v[137:138], v[121:122], v[155:156]
	v_fma_f64 v[131:132], v[3:4], v[177:178], v[131:132]
	ds_read_b128 v[1:4], v182 offset:1760
	v_add_f64 v[127:128], v[127:128], v[143:144]
	v_add_f64 v[125:126], v[125:126], v[135:136]
	s_waitcnt vmcnt(15) lgkmcnt(1)
	v_mul_f64 v[143:144], v[7:8], v[173:174]
	v_mul_f64 v[135:136], v[5:6], v[173:174]
	s_waitcnt vmcnt(13)
	v_fma_f64 v[139:140], v[121:122], v[129:130], -v[139:140]
	v_fma_f64 v[129:130], v[123:124], v[129:130], v[137:138]
	ds_read_b128 v[121:124], v182 offset:1776
	v_add_f64 v[127:128], v[127:128], v[141:142]
	v_add_f64 v[125:126], v[125:126], v[131:132]
	s_waitcnt vmcnt(9) lgkmcnt(1)
	v_mul_f64 v[137:138], v[3:4], v[161:162]
	s_waitcnt vmcnt(8)
	v_fma_f64 v[5:6], v[5:6], v[179:180], -v[143:144]
	v_mul_f64 v[131:132], v[1:2], v[161:162]
	v_fma_f64 v[7:8], v[7:8], v[179:180], v[135:136]
	v_add_f64 v[127:128], v[127:128], v[139:140]
	v_add_f64 v[125:126], v[125:126], v[129:130]
	s_waitcnt vmcnt(7) lgkmcnt(0)
	v_mul_f64 v[135:136], v[123:124], v[175:176]
	v_mul_f64 v[129:130], v[121:122], v[175:176]
	s_waitcnt vmcnt(5)
	v_fma_f64 v[1:2], v[1:2], v[167:168], -v[137:138]
	v_fma_f64 v[3:4], v[3:4], v[167:168], v[131:132]
	v_add_f64 v[5:6], v[127:128], v[5:6]
	v_add_f64 v[7:8], v[125:126], v[7:8]
	s_waitcnt vmcnt(4)
	v_fma_f64 v[121:122], v[121:122], v[191:192], -v[135:136]
	v_add_f64 v[1:2], v[5:6], v[1:2]
	v_fma_f64 v[5:6], v[123:124], v[191:192], v[129:130]
	v_add_f64 v[3:4], v[7:8], v[3:4]
	v_add_f64 v[1:2], v[1:2], v[121:122]
	;; [unrolled: 1-line block ×3, first 2 shown]
	s_waitcnt vmcnt(2)
	v_add_f64 v[1:2], v[133:134], -v[1:2]
	s_waitcnt vmcnt(0)
	v_add_f64 v[3:4], v[165:166], -v[3:4]
	buffer_store_dword v2, off, s[0:3], 0 offset:84
	buffer_store_dword v1, off, s[0:3], 0 offset:80
	;; [unrolled: 1-line block ×4, first 2 shown]
	v_cmpx_lt_u32_e32 3, v0
	s_cbranch_execz .LBB119_343
; %bb.342:
	v_mov_b32_e32 v4, s65
	s_clause 0x3
	buffer_load_dword v1, v4, s[0:3], 0 offen
	buffer_load_dword v2, v4, s[0:3], 0 offen offset:4
	buffer_load_dword v3, v4, s[0:3], 0 offen offset:8
	;; [unrolled: 1-line block ×3, first 2 shown]
	buffer_store_dword v182, off, s[0:3], 0 offset:64
	buffer_store_dword v182, off, s[0:3], 0 offset:68
	;; [unrolled: 1-line block ×4, first 2 shown]
	s_waitcnt vmcnt(0)
	ds_write_b128 v181, v[1:4]
.LBB119_343:
	s_or_b32 exec_lo, exec_lo, s4
	s_waitcnt lgkmcnt(0)
	s_waitcnt_vscnt null, 0x0
	s_barrier
	buffer_gl0_inv
	s_clause 0x37
	buffer_load_dword v129, off, s[0:3], 0 offset:88
	buffer_load_dword v130, off, s[0:3], 0 offset:92
	;; [unrolled: 1-line block ×56, first 2 shown]
	ds_read_b128 v[5:8], v182 offset:960
	s_clause 0x2
	buffer_load_dword v178, off, s[0:3], 0 offset:316
	buffer_load_dword v180, off, s[0:3], 0 offset:292
	;; [unrolled: 1-line block ×3, first 2 shown]
	ds_read_b128 v[1:4], v182 offset:976
	s_clause 0x4
	buffer_load_dword v190, off, s[0:3], 0 offset:332
	buffer_load_dword v191, off, s[0:3], 0 offset:344
	;; [unrolled: 1-line block ×5, first 2 shown]
	ds_read_b128 v[183:186], v182 offset:992
	s_mov_b32 s4, exec_lo
	s_waitcnt vmcnt(62) lgkmcnt(2)
	v_mul_f64 v[187:188], v[7:8], v[129:130]
	v_mul_f64 v[129:130], v[5:6], v[129:130]
	s_waitcnt vmcnt(60) lgkmcnt(1)
	v_mul_f64 v[194:195], v[3:4], v[125:126]
	v_mul_f64 v[125:126], v[1:2], v[125:126]
	;; [unrolled: 3-line block ×3, first 2 shown]
	v_fma_f64 v[187:188], v[5:6], v[127:128], -v[187:188]
	v_fma_f64 v[127:128], v[7:8], v[127:128], v[129:130]
	s_clause 0x2
	buffer_load_dword v192, off, s[0:3], 0 offset:348
	buffer_load_dword v130, off, s[0:3], 0 offset:324
	;; [unrolled: 1-line block ×3, first 2 shown]
	s_waitcnt vmcnt(57)
	v_fma_f64 v[198:199], v[1:2], v[121:122], -v[194:195]
	ds_read_b128 v[5:8], v182 offset:1008
	v_fma_f64 v[121:122], v[3:4], v[121:122], v[125:126]
	s_waitcnt vmcnt(51)
	v_fma_f64 v[183:184], v[183:184], v[145:146], -v[123:124]
	v_fma_f64 v[145:146], v[185:186], v[145:146], v[196:197]
	v_add_f64 v[187:188], v[187:188], 0
	v_add_f64 v[125:126], v[127:128], 0
	s_clause 0x4
	buffer_load_dword v128, off, s[0:3], 0 offset:364
	buffer_load_dword v195, off, s[0:3], 0 offset:376
	;; [unrolled: 1-line block ×5, first 2 shown]
	s_waitcnt lgkmcnt(0)
	v_mul_f64 v[201:202], v[5:6], v[133:134]
	v_mul_f64 v[133:134], v[7:8], v[133:134]
	ds_read_b128 v[1:4], v182 offset:1024
	s_clause 0x2
	buffer_load_dword v196, off, s[0:3], 0 offset:380
	buffer_load_dword v186, off, s[0:3], 0 offset:356
	;; [unrolled: 1-line block ×3, first 2 shown]
	v_add_f64 v[187:188], v[187:188], v[198:199]
	v_add_f64 v[125:126], v[125:126], v[121:122]
	ds_read_b128 v[121:124], v182 offset:1040
	s_waitcnt vmcnt(58) lgkmcnt(1)
	v_mul_f64 v[197:198], v[1:2], v[137:138]
	v_mul_f64 v[137:138], v[3:4], v[137:138]
	s_waitcnt vmcnt(56)
	v_fma_f64 v[133:134], v[5:6], v[139:140], -v[133:134]
	v_fma_f64 v[139:140], v[7:8], v[139:140], v[201:202]
	s_waitcnt vmcnt(52) lgkmcnt(0)
	v_mul_f64 v[203:204], v[121:122], v[141:142]
	v_add_f64 v[183:184], v[187:188], v[183:184]
	v_add_f64 v[125:126], v[125:126], v[145:146]
	s_clause 0x4
	buffer_load_dword v146, off, s[0:3], 0 offset:396
	buffer_load_dword v187, off, s[0:3], 0 offset:408
	;; [unrolled: 1-line block ×5, first 2 shown]
	v_mul_f64 v[141:142], v[123:124], v[141:142]
	s_waitcnt vmcnt(56)
	v_fma_f64 v[137:138], v[1:2], v[131:132], -v[137:138]
	ds_read_b128 v[5:8], v182 offset:1056
	v_fma_f64 v[131:132], v[3:4], v[131:132], v[197:198]
	v_add_f64 v[133:134], v[183:184], v[133:134]
	v_add_f64 v[125:126], v[125:126], v[139:140]
	s_clause 0x2
	buffer_load_dword v188, off, s[0:3], 0 offset:412
	buffer_load_dword v140, off, s[0:3], 0 offset:388
	;; [unrolled: 1-line block ×3, first 2 shown]
	s_waitcnt vmcnt(58) lgkmcnt(0)
	v_mul_f64 v[183:184], v[5:6], v[147:148]
	v_mul_f64 v[147:148], v[7:8], v[147:148]
	s_waitcnt vmcnt(56)
	v_fma_f64 v[141:142], v[121:122], v[149:150], -v[141:142]
	ds_read_b128 v[1:4], v182 offset:1072
	v_add_f64 v[133:134], v[133:134], v[137:138]
	v_fma_f64 v[137:138], v[123:124], v[149:150], v[203:204]
	v_add_f64 v[125:126], v[125:126], v[131:132]
	s_clause 0x4
	buffer_load_dword v132, off, s[0:3], 0 offset:428
	buffer_load_dword v149, off, s[0:3], 0 offset:440
	;; [unrolled: 1-line block ×5, first 2 shown]
	s_waitcnt vmcnt(57) lgkmcnt(0)
	v_mul_f64 v[198:199], v[1:2], v[151:152]
	v_mul_f64 v[151:152], v[3:4], v[151:152]
	s_waitcnt vmcnt(56)
	v_fma_f64 v[147:148], v[5:6], v[135:136], -v[147:148]
	ds_read_b128 v[121:124], v182 offset:1088
	v_fma_f64 v[135:136], v[7:8], v[135:136], v[183:184]
	v_add_f64 v[133:134], v[133:134], v[141:142]
	v_add_f64 v[125:126], v[125:126], v[137:138]
	s_clause 0x2
	buffer_load_dword v150, off, s[0:3], 0 offset:444
	buffer_load_dword v138, off, s[0:3], 0 offset:420
	;; [unrolled: 1-line block ×3, first 2 shown]
	ds_read_b128 v[5:8], v182 offset:1104
	s_waitcnt vmcnt(58) lgkmcnt(1)
	v_mul_f64 v[141:142], v[121:122], v[155:156]
	v_mul_f64 v[155:156], v[123:124], v[155:156]
	s_waitcnt vmcnt(56)
	v_fma_f64 v[151:152], v[1:2], v[157:158], -v[151:152]
	v_add_f64 v[133:134], v[133:134], v[147:148]
	v_fma_f64 v[147:148], v[3:4], v[157:158], v[198:199]
	v_add_f64 v[125:126], v[125:126], v[135:136]
	s_clause 0x4
	buffer_load_dword v136, off, s[0:3], 0 offset:460
	buffer_load_dword v157, off, s[0:3], 0 offset:472
	buffer_load_dword v183, off, s[0:3], 0 offset:464
	buffer_load_dword v135, off, s[0:3], 0 offset:456
	buffer_load_dword v198, off, s[0:3], 0 offset:436
	s_waitcnt vmcnt(57) lgkmcnt(0)
	v_mul_f64 v[204:205], v[5:6], v[159:160]
	v_mul_f64 v[159:160], v[7:8], v[159:160]
	s_waitcnt vmcnt(56)
	v_fma_f64 v[155:156], v[121:122], v[143:144], -v[155:156]
	ds_read_b128 v[1:4], v182 offset:1120
	v_fma_f64 v[141:142], v[123:124], v[143:144], v[141:142]
	s_clause 0x2
	buffer_load_dword v158, off, s[0:3], 0 offset:476
	buffer_load_dword v144, off, s[0:3], 0 offset:452
	;; [unrolled: 1-line block ×3, first 2 shown]
	ds_read_b128 v[121:124], v182 offset:1136
	v_add_f64 v[133:134], v[133:134], v[151:152]
	v_add_f64 v[125:126], v[125:126], v[147:148]
	s_waitcnt vmcnt(58) lgkmcnt(1)
	v_mul_f64 v[151:152], v[3:4], v[163:164]
	s_waitcnt vmcnt(56)
	v_fma_f64 v[159:160], v[5:6], v[165:166], -v[159:160]
	v_mul_f64 v[147:148], v[1:2], v[163:164]
	v_add_f64 v[133:134], v[133:134], v[155:156]
	v_fma_f64 v[155:156], v[7:8], v[165:166], v[204:205]
	v_add_f64 v[125:126], v[125:126], v[141:142]
	s_clause 0x4
	buffer_load_dword v142, off, s[0:3], 0 offset:492
	buffer_load_dword v163, off, s[0:3], 0 offset:504
	;; [unrolled: 1-line block ×5, first 2 shown]
	s_waitcnt vmcnt(57) lgkmcnt(0)
	v_mul_f64 v[204:205], v[121:122], v[167:168]
	v_mul_f64 v[166:167], v[123:124], v[167:168]
	s_waitcnt vmcnt(56)
	v_fma_f64 v[151:152], v[1:2], v[153:154], -v[151:152]
	ds_read_b128 v[5:8], v182 offset:1152
	v_fma_f64 v[147:148], v[3:4], v[153:154], v[147:148]
	s_clause 0x2
	buffer_load_dword v164, off, s[0:3], 0 offset:508
	buffer_load_dword v154, off, s[0:3], 0 offset:484
	;; [unrolled: 1-line block ×3, first 2 shown]
	ds_read_b128 v[1:4], v182 offset:1168
	v_add_f64 v[133:134], v[133:134], v[159:160]
	v_add_f64 v[125:126], v[125:126], v[155:156]
	s_waitcnt vmcnt(58) lgkmcnt(1)
	v_mul_f64 v[159:160], v[7:8], v[171:172]
	s_waitcnt vmcnt(56)
	v_fma_f64 v[167:168], v[121:122], v[173:174], -v[166:167]
	v_mul_f64 v[155:156], v[5:6], v[171:172]
	v_add_f64 v[133:134], v[133:134], v[151:152]
	v_fma_f64 v[151:152], v[123:124], v[173:174], v[204:205]
	v_add_f64 v[125:126], v[125:126], v[147:148]
	s_clause 0x4
	buffer_load_dword v148, off, s[0:3], 0 offset:524
	buffer_load_dword v171, off, s[0:3], 0 offset:536
	;; [unrolled: 1-line block ×5, first 2 shown]
	s_waitcnt vmcnt(57) lgkmcnt(0)
	v_mul_f64 v[204:205], v[1:2], v[175:176]
	v_mul_f64 v[174:175], v[3:4], v[175:176]
	s_waitcnt vmcnt(56)
	v_fma_f64 v[159:160], v[5:6], v[161:162], -v[159:160]
	ds_read_b128 v[121:124], v182 offset:1184
	v_fma_f64 v[155:156], v[7:8], v[161:162], v[155:156]
	v_add_f64 v[133:134], v[133:134], v[167:168]
	v_add_f64 v[125:126], v[125:126], v[151:152]
	s_clause 0x2
	buffer_load_dword v172, off, s[0:3], 0 offset:540
	buffer_load_dword v152, off, s[0:3], 0 offset:516
	buffer_load_dword v151, off, s[0:3], 0 offset:512
	ds_read_b128 v[5:8], v182 offset:1200
	s_waitcnt vmcnt(58) lgkmcnt(1)
	v_mul_f64 v[167:168], v[123:124], v[177:178]
	s_waitcnt vmcnt(56)
	v_fma_f64 v[175:176], v[1:2], v[179:180], -v[174:175]
	v_mul_f64 v[161:162], v[121:122], v[177:178]
	v_add_f64 v[133:134], v[133:134], v[159:160]
	v_fma_f64 v[159:160], v[3:4], v[179:180], v[204:205]
	v_add_f64 v[125:126], v[125:126], v[155:156]
	s_clause 0x4
	buffer_load_dword v156, off, s[0:3], 0 offset:556
	buffer_load_dword v177, off, s[0:3], 0 offset:568
	;; [unrolled: 1-line block ×5, first 2 shown]
	s_waitcnt vmcnt(57) lgkmcnt(0)
	v_mul_f64 v[204:205], v[5:6], v[189:190]
	v_mul_f64 v[189:190], v[7:8], v[189:190]
	s_waitcnt vmcnt(56)
	v_fma_f64 v[167:168], v[121:122], v[169:170], -v[167:168]
	ds_read_b128 v[1:4], v182 offset:1216
	v_fma_f64 v[161:162], v[123:124], v[169:170], v[161:162]
	v_add_f64 v[133:134], v[133:134], v[175:176]
	v_add_f64 v[125:126], v[125:126], v[159:160]
	s_clause 0x2
	buffer_load_dword v178, off, s[0:3], 0 offset:572
	buffer_load_dword v160, off, s[0:3], 0 offset:548
	;; [unrolled: 1-line block ×3, first 2 shown]
	ds_read_b128 v[121:124], v182 offset:1232
	s_waitcnt vmcnt(58) lgkmcnt(1)
	v_mul_f64 v[175:176], v[3:4], v[191:192]
	v_mul_f64 v[169:170], v[1:2], v[191:192]
	s_waitcnt vmcnt(56)
	v_fma_f64 v[189:190], v[5:6], v[129:130], -v[189:190]
	v_fma_f64 v[129:130], v[7:8], v[129:130], v[204:205]
	v_add_f64 v[133:134], v[133:134], v[167:168]
	v_add_f64 v[125:126], v[125:126], v[161:162]
	s_clause 0x4
	buffer_load_dword v162, off, s[0:3], 0 offset:588
	buffer_load_dword v167, off, s[0:3], 0 offset:600
	buffer_load_dword v191, off, s[0:3], 0 offset:592
	buffer_load_dword v161, off, s[0:3], 0 offset:584
	buffer_load_dword v180, off, s[0:3], 0 offset:564
	ds_read_b128 v[5:8], v182 offset:1248
	s_waitcnt vmcnt(57) lgkmcnt(1)
	v_mul_f64 v[204:205], v[121:122], v[127:128]
	v_mul_f64 v[127:128], v[123:124], v[127:128]
	s_waitcnt vmcnt(56)
	v_fma_f64 v[175:176], v[1:2], v[193:194], -v[175:176]
	v_fma_f64 v[169:170], v[3:4], v[193:194], v[169:170]
	v_add_f64 v[133:134], v[133:134], v[189:190]
	v_add_f64 v[125:126], v[125:126], v[129:130]
	s_clause 0x2
	buffer_load_dword v168, off, s[0:3], 0 offset:604
	buffer_load_dword v130, off, s[0:3], 0 offset:580
	;; [unrolled: 1-line block ×3, first 2 shown]
	s_waitcnt vmcnt(58) lgkmcnt(0)
	v_mul_f64 v[193:194], v[7:8], v[195:196]
	ds_read_b128 v[1:4], v182 offset:1264
	v_mul_f64 v[189:190], v[5:6], v[195:196]
	s_waitcnt vmcnt(56)
	v_fma_f64 v[127:128], v[121:122], v[185:186], -v[127:128]
	v_add_f64 v[133:134], v[133:134], v[175:176]
	v_fma_f64 v[175:176], v[123:124], v[185:186], v[204:205]
	v_add_f64 v[125:126], v[125:126], v[169:170]
	s_clause 0x4
	buffer_load_dword v170, off, s[0:3], 0 offset:620
	buffer_load_dword v185, off, s[0:3], 0 offset:632
	;; [unrolled: 1-line block ×5, first 2 shown]
	ds_read_b128 v[121:124], v182 offset:1280
	s_waitcnt vmcnt(57) lgkmcnt(1)
	v_mul_f64 v[204:205], v[1:2], v[145:146]
	v_mul_f64 v[145:146], v[3:4], v[145:146]
	s_waitcnt vmcnt(56)
	v_fma_f64 v[193:194], v[5:6], v[200:201], -v[193:194]
	v_add_f64 v[127:128], v[133:134], v[127:128]
	v_fma_f64 v[133:134], v[7:8], v[200:201], v[189:190]
	v_add_f64 v[125:126], v[125:126], v[175:176]
	s_clause 0x2
	buffer_load_dword v186, off, s[0:3], 0 offset:636
	buffer_load_dword v176, off, s[0:3], 0 offset:612
	;; [unrolled: 1-line block ×3, first 2 shown]
	ds_read_b128 v[5:8], v182 offset:1296
	s_waitcnt vmcnt(58) lgkmcnt(1)
	v_mul_f64 v[189:190], v[121:122], v[187:188]
	v_mul_f64 v[187:188], v[123:124], v[187:188]
	s_waitcnt vmcnt(56)
	v_fma_f64 v[145:146], v[1:2], v[139:140], -v[145:146]
	v_fma_f64 v[139:140], v[3:4], v[139:140], v[204:205]
	v_add_f64 v[127:128], v[127:128], v[193:194]
	v_add_f64 v[125:126], v[125:126], v[133:134]
	s_clause 0x4
	buffer_load_dword v134, off, s[0:3], 0 offset:652
	buffer_load_dword v193, off, s[0:3], 0 offset:664
	;; [unrolled: 1-line block ×5, first 2 shown]
	ds_read_b128 v[1:4], v182 offset:1312
	s_waitcnt vmcnt(57) lgkmcnt(1)
	v_mul_f64 v[200:201], v[5:6], v[131:132]
	v_mul_f64 v[131:132], v[7:8], v[131:132]
	s_waitcnt vmcnt(56)
	v_fma_f64 v[187:188], v[121:122], v[202:203], -v[187:188]
	v_add_f64 v[127:128], v[127:128], v[145:146]
	v_fma_f64 v[145:146], v[123:124], v[202:203], v[189:190]
	v_add_f64 v[125:126], v[125:126], v[139:140]
	s_clause 0x2
	buffer_load_dword v194, off, s[0:3], 0 offset:668
	buffer_load_dword v140, off, s[0:3], 0 offset:644
	;; [unrolled: 1-line block ×3, first 2 shown]
	ds_read_b128 v[121:124], v182 offset:1328
	s_waitcnt vmcnt(58) lgkmcnt(1)
	v_mul_f64 v[189:190], v[1:2], v[149:150]
	v_mul_f64 v[149:150], v[3:4], v[149:150]
	s_waitcnt vmcnt(56)
	v_fma_f64 v[131:132], v[5:6], v[137:138], -v[131:132]
	v_fma_f64 v[137:138], v[7:8], v[137:138], v[200:201]
	v_add_f64 v[127:128], v[127:128], v[187:188]
	v_add_f64 v[125:126], v[125:126], v[145:146]
	s_clause 0x4
	buffer_load_dword v146, off, s[0:3], 0 offset:684
	buffer_load_dword v187, off, s[0:3], 0 offset:696
	;; [unrolled: 1-line block ×5, first 2 shown]
	ds_read_b128 v[5:8], v182 offset:1344
	s_waitcnt vmcnt(57) lgkmcnt(1)
	v_mul_f64 v[202:203], v[121:122], v[135:136]
	v_mul_f64 v[135:136], v[123:124], v[135:136]
	s_waitcnt vmcnt(56)
	v_fma_f64 v[149:150], v[1:2], v[197:198], -v[149:150]
	v_add_f64 v[127:128], v[127:128], v[131:132]
	v_fma_f64 v[131:132], v[3:4], v[197:198], v[189:190]
	v_add_f64 v[125:126], v[125:126], v[137:138]
	s_clause 0x2
	buffer_load_dword v188, off, s[0:3], 0 offset:700
	buffer_load_dword v138, off, s[0:3], 0 offset:676
	;; [unrolled: 1-line block ×3, first 2 shown]
	s_waitcnt vmcnt(58) lgkmcnt(0)
	v_mul_f64 v[189:190], v[5:6], v[157:158]
	v_mul_f64 v[157:158], v[7:8], v[157:158]
	ds_read_b128 v[1:4], v182 offset:1360
	s_waitcnt vmcnt(56)
	v_fma_f64 v[135:136], v[121:122], v[143:144], -v[135:136]
	v_fma_f64 v[143:144], v[123:124], v[143:144], v[202:203]
	v_add_f64 v[127:128], v[127:128], v[149:150]
	v_add_f64 v[125:126], v[125:126], v[131:132]
	s_clause 0x4
	buffer_load_dword v132, off, s[0:3], 0 offset:716
	buffer_load_dword v149, off, s[0:3], 0 offset:728
	;; [unrolled: 1-line block ×5, first 2 shown]
	ds_read_b128 v[121:124], v182 offset:1376
	s_waitcnt vmcnt(57) lgkmcnt(1)
	v_mul_f64 v[203:204], v[1:2], v[141:142]
	v_mul_f64 v[141:142], v[3:4], v[141:142]
	s_waitcnt vmcnt(56)
	v_fma_f64 v[157:158], v[5:6], v[183:184], -v[157:158]
	v_add_f64 v[127:128], v[127:128], v[135:136]
	v_fma_f64 v[135:136], v[7:8], v[183:184], v[189:190]
	v_add_f64 v[125:126], v[125:126], v[143:144]
	s_clause 0x2
	buffer_load_dword v150, off, s[0:3], 0 offset:732
	buffer_load_dword v144, off, s[0:3], 0 offset:708
	;; [unrolled: 1-line block ×3, first 2 shown]
	s_waitcnt vmcnt(58) lgkmcnt(0)
	v_mul_f64 v[183:184], v[121:122], v[163:164]
	v_mul_f64 v[163:164], v[123:124], v[163:164]
	ds_read_b128 v[5:8], v182 offset:1392
	s_waitcnt vmcnt(56)
	v_fma_f64 v[141:142], v[1:2], v[153:154], -v[141:142]
	v_fma_f64 v[153:154], v[3:4], v[153:154], v[203:204]
	v_add_f64 v[127:128], v[127:128], v[157:158]
	v_add_f64 v[125:126], v[125:126], v[135:136]
	s_clause 0x4
	buffer_load_dword v136, off, s[0:3], 0 offset:748
	buffer_load_dword v157, off, s[0:3], 0 offset:760
	buffer_load_dword v189, off, s[0:3], 0 offset:752
	buffer_load_dword v135, off, s[0:3], 0 offset:744
	buffer_load_dword v198, off, s[0:3], 0 offset:724
	ds_read_b128 v[1:4], v182 offset:1408
	s_waitcnt vmcnt(57) lgkmcnt(1)
	v_mul_f64 v[203:204], v[5:6], v[147:148]
	v_mul_f64 v[147:148], v[7:8], v[147:148]
	s_waitcnt vmcnt(56)
	v_fma_f64 v[163:164], v[121:122], v[165:166], -v[163:164]
	v_add_f64 v[127:128], v[127:128], v[141:142]
	v_fma_f64 v[141:142], v[123:124], v[165:166], v[183:184]
	v_add_f64 v[125:126], v[125:126], v[153:154]
	s_clause 0x2
	buffer_load_dword v158, off, s[0:3], 0 offset:764
	buffer_load_dword v154, off, s[0:3], 0 offset:740
	buffer_load_dword v153, off, s[0:3], 0 offset:736
	ds_read_b128 v[121:124], v182 offset:1424
	s_waitcnt vmcnt(58) lgkmcnt(1)
	v_mul_f64 v[165:166], v[1:2], v[171:172]
	v_mul_f64 v[171:172], v[3:4], v[171:172]
	s_waitcnt vmcnt(56)
	v_fma_f64 v[147:148], v[5:6], v[151:152], -v[147:148]
	v_fma_f64 v[151:152], v[7:8], v[151:152], v[203:204]
	v_add_f64 v[127:128], v[127:128], v[163:164]
	v_add_f64 v[125:126], v[125:126], v[141:142]
	s_clause 0x4
	buffer_load_dword v142, off, s[0:3], 0 offset:780
	buffer_load_dword v163, off, s[0:3], 0 offset:792
	buffer_load_dword v183, off, s[0:3], 0 offset:784
	buffer_load_dword v141, off, s[0:3], 0 offset:776
	buffer_load_dword v190, off, s[0:3], 0 offset:756
	ds_read_b128 v[5:8], v182 offset:1440
	s_waitcnt vmcnt(57) lgkmcnt(1)
	v_mul_f64 v[203:204], v[121:122], v[155:156]
	v_mul_f64 v[155:156], v[123:124], v[155:156]
	s_waitcnt vmcnt(56)
	v_fma_f64 v[171:172], v[1:2], v[173:174], -v[171:172]
	v_add_f64 v[127:128], v[127:128], v[147:148]
	v_fma_f64 v[147:148], v[3:4], v[173:174], v[165:166]
	v_add_f64 v[125:126], v[125:126], v[151:152]
	s_clause 0x2
	buffer_load_dword v164, off, s[0:3], 0 offset:796
	buffer_load_dword v152, off, s[0:3], 0 offset:772
	buffer_load_dword v151, off, s[0:3], 0 offset:768
	ds_read_b128 v[1:4], v182 offset:1456
	s_waitcnt vmcnt(58) lgkmcnt(1)
	v_mul_f64 v[173:174], v[7:8], v[177:178]
	v_mul_f64 v[165:166], v[5:6], v[177:178]
	;; [unrolled: 28-line block ×4, first 2 shown]
	s_waitcnt vmcnt(56)
	v_fma_f64 v[169:170], v[5:6], v[175:176], -v[169:170]
	v_add_f64 v[127:128], v[127:128], v[167:168]
	v_fma_f64 v[167:168], v[7:8], v[175:176], v[203:204]
	v_add_f64 v[125:126], v[125:126], v[161:162]
	s_clause 0x4
	buffer_load_dword v162, off, s[0:3], 0 offset:876
	buffer_load_dword v175, off, s[0:3], 0 offset:888
	;; [unrolled: 1-line block ×5, first 2 shown]
	ds_read_b128 v[5:8], v182 offset:1536
	s_waitcnt vmcnt(57) lgkmcnt(1)
	v_mul_f64 v[203:204], v[121:122], v[133:134]
	v_mul_f64 v[133:134], v[123:124], v[133:134]
	s_waitcnt vmcnt(56)
	v_fma_f64 v[185:186], v[1:2], v[195:196], -v[185:186]
	v_fma_f64 v[165:166], v[3:4], v[195:196], v[165:166]
	v_add_f64 v[127:128], v[127:128], v[169:170]
	v_add_f64 v[125:126], v[125:126], v[167:168]
	s_clause 0x2
	buffer_load_dword v176, off, s[0:3], 0 offset:892
	buffer_load_dword v168, off, s[0:3], 0 offset:868
	;; [unrolled: 1-line block ×3, first 2 shown]
	ds_read_b128 v[1:4], v182 offset:1552
	s_waitcnt vmcnt(58) lgkmcnt(1)
	v_mul_f64 v[169:170], v[5:6], v[193:194]
	v_mul_f64 v[193:194], v[7:8], v[193:194]
	s_waitcnt vmcnt(56)
	v_fma_f64 v[133:134], v[121:122], v[139:140], -v[133:134]
	v_fma_f64 v[139:140], v[123:124], v[139:140], v[203:204]
	v_add_f64 v[127:128], v[127:128], v[185:186]
	v_add_f64 v[125:126], v[125:126], v[165:166]
	s_clause 0x2
	buffer_load_dword v166, off, s[0:3], 0 offset:908
	buffer_load_dword v165, off, s[0:3], 0 offset:904
	;; [unrolled: 1-line block ×3, first 2 shown]
	ds_read_b128 v[121:124], v182 offset:1568
	s_waitcnt vmcnt(55) lgkmcnt(1)
	v_mul_f64 v[185:186], v[1:2], v[145:146]
	v_mul_f64 v[145:146], v[3:4], v[145:146]
	s_waitcnt vmcnt(54)
	v_fma_f64 v[193:194], v[5:6], v[199:200], -v[193:194]
	v_add_f64 v[127:128], v[127:128], v[133:134]
	v_fma_f64 v[133:134], v[7:8], v[199:200], v[169:170]
	v_add_f64 v[125:126], v[125:126], v[139:140]
	s_clause 0x1
	buffer_load_dword v140, off, s[0:3], 0 offset:900
	buffer_load_dword v139, off, s[0:3], 0 offset:896
	ds_read_b128 v[5:8], v182 offset:1584
	s_waitcnt vmcnt(55) lgkmcnt(1)
	v_mul_f64 v[169:170], v[121:122], v[187:188]
	v_mul_f64 v[187:188], v[123:124], v[187:188]
	s_waitcnt vmcnt(53)
	v_fma_f64 v[145:146], v[1:2], v[137:138], -v[145:146]
	v_fma_f64 v[137:138], v[3:4], v[137:138], v[185:186]
	ds_read_b128 v[1:4], v182 offset:1600
	v_add_f64 v[127:128], v[127:128], v[193:194]
	v_add_f64 v[125:126], v[125:126], v[133:134]
	s_waitcnt vmcnt(49) lgkmcnt(1)
	v_mul_f64 v[133:134], v[5:6], v[131:132]
	v_mul_f64 v[131:132], v[7:8], v[131:132]
	s_waitcnt vmcnt(48)
	v_fma_f64 v[185:186], v[121:122], v[201:202], -v[187:188]
	v_add_f64 v[127:128], v[127:128], v[145:146]
	v_fma_f64 v[145:146], v[123:124], v[201:202], v[169:170]
	v_add_f64 v[125:126], v[125:126], v[137:138]
	s_clause 0x3
	buffer_load_dword v137, off, s[0:3], 0 offset:64
	buffer_load_dword v138, off, s[0:3], 0 offset:68
	;; [unrolled: 1-line block ×4, first 2 shown]
	ds_read_b128 v[121:124], v182 offset:1616
	s_waitcnt vmcnt(51) lgkmcnt(1)
	v_mul_f64 v[187:188], v[1:2], v[149:150]
	v_mul_f64 v[149:150], v[3:4], v[149:150]
	s_waitcnt vmcnt(49)
	v_fma_f64 v[131:132], v[5:6], v[143:144], -v[131:132]
	v_fma_f64 v[133:134], v[7:8], v[143:144], v[133:134]
	ds_read_b128 v[5:8], v182 offset:1632
	v_add_f64 v[127:128], v[127:128], v[185:186]
	v_add_f64 v[125:126], v[125:126], v[145:146]
	s_waitcnt vmcnt(45) lgkmcnt(1)
	v_mul_f64 v[143:144], v[121:122], v[135:136]
	v_mul_f64 v[135:136], v[123:124], v[135:136]
	s_waitcnt vmcnt(44)
	v_fma_f64 v[145:146], v[1:2], v[197:198], -v[149:150]
	v_add_f64 v[127:128], v[127:128], v[131:132]
	v_fma_f64 v[131:132], v[3:4], v[197:198], v[187:188]
	v_add_f64 v[125:126], v[125:126], v[133:134]
	ds_read_b128 v[1:4], v182 offset:1648
	s_waitcnt vmcnt(43) lgkmcnt(1)
	v_mul_f64 v[149:150], v[7:8], v[157:158]
	v_mul_f64 v[133:134], v[5:6], v[157:158]
	s_waitcnt vmcnt(41)
	v_fma_f64 v[135:136], v[121:122], v[153:154], -v[135:136]
	v_fma_f64 v[143:144], v[123:124], v[153:154], v[143:144]
	ds_read_b128 v[121:124], v182 offset:1664
	v_add_f64 v[127:128], v[127:128], v[145:146]
	v_add_f64 v[125:126], v[125:126], v[131:132]
	s_waitcnt vmcnt(37) lgkmcnt(1)
	v_mul_f64 v[131:132], v[1:2], v[141:142]
	v_mul_f64 v[141:142], v[3:4], v[141:142]
	s_waitcnt vmcnt(36)
	v_fma_f64 v[145:146], v[5:6], v[189:190], -v[149:150]
	v_fma_f64 v[133:134], v[7:8], v[189:190], v[133:134]
	ds_read_b128 v[5:8], v182 offset:1680
	v_add_f64 v[127:128], v[127:128], v[135:136]
	v_add_f64 v[125:126], v[125:126], v[143:144]
	;; [unrolled: 9-line block ×3, first 2 shown]
	s_waitcnt vmcnt(29) lgkmcnt(1)
	v_mul_f64 v[145:146], v[7:8], v[147:148]
	s_waitcnt vmcnt(28)
	v_fma_f64 v[143:144], v[121:122], v[183:184], -v[143:144]
	v_mul_f64 v[133:134], v[5:6], v[147:148]
	v_fma_f64 v[135:136], v[123:124], v[183:184], v[135:136]
	ds_read_b128 v[121:124], v182 offset:1712
	v_add_f64 v[127:128], v[127:128], v[141:142]
	v_add_f64 v[125:126], v[125:126], v[131:132]
	s_waitcnt vmcnt(27) lgkmcnt(1)
	v_mul_f64 v[141:142], v[3:4], v[171:172]
	v_mul_f64 v[131:132], v[1:2], v[171:172]
	s_waitcnt vmcnt(25)
	v_fma_f64 v[145:146], v[5:6], v[159:160], -v[145:146]
	v_fma_f64 v[133:134], v[7:8], v[159:160], v[133:134]
	ds_read_b128 v[5:8], v182 offset:1728
	v_add_f64 v[127:128], v[127:128], v[143:144]
	v_add_f64 v[125:126], v[125:126], v[135:136]
	s_waitcnt vmcnt(21) lgkmcnt(1)
	v_mul_f64 v[143:144], v[123:124], v[155:156]
	s_waitcnt vmcnt(20)
	v_fma_f64 v[141:142], v[1:2], v[177:178], -v[141:142]
	v_mul_f64 v[135:136], v[121:122], v[155:156]
	v_fma_f64 v[131:132], v[3:4], v[177:178], v[131:132]
	ds_read_b128 v[1:4], v182 offset:1744
	v_add_f64 v[127:128], v[127:128], v[145:146]
	v_add_f64 v[125:126], v[125:126], v[133:134]
	s_waitcnt vmcnt(19) lgkmcnt(1)
	v_mul_f64 v[145:146], v[7:8], v[173:174]
	v_mul_f64 v[133:134], v[5:6], v[173:174]
	s_waitcnt vmcnt(17)
	v_fma_f64 v[143:144], v[121:122], v[129:130], -v[143:144]
	v_fma_f64 v[129:130], v[123:124], v[129:130], v[135:136]
	ds_read_b128 v[121:124], v182 offset:1760
	v_add_f64 v[127:128], v[127:128], v[141:142]
	v_add_f64 v[125:126], v[125:126], v[131:132]
	s_waitcnt vmcnt(13) lgkmcnt(1)
	v_mul_f64 v[135:136], v[3:4], v[161:162]
	s_waitcnt vmcnt(12)
	v_fma_f64 v[141:142], v[5:6], v[179:180], -v[145:146]
	v_mul_f64 v[131:132], v[1:2], v[161:162]
	v_fma_f64 v[133:134], v[7:8], v[179:180], v[133:134]
	ds_read_b128 v[5:8], v182 offset:1776
	v_add_f64 v[127:128], v[127:128], v[143:144]
	v_add_f64 v[125:126], v[125:126], v[129:130]
	s_waitcnt vmcnt(11) lgkmcnt(1)
	v_mul_f64 v[143:144], v[123:124], v[175:176]
	v_mul_f64 v[129:130], v[121:122], v[175:176]
	s_waitcnt vmcnt(9)
	v_fma_f64 v[1:2], v[1:2], v[167:168], -v[135:136]
	v_fma_f64 v[3:4], v[3:4], v[167:168], v[131:132]
	v_add_f64 v[127:128], v[127:128], v[141:142]
	v_add_f64 v[125:126], v[125:126], v[133:134]
	s_waitcnt vmcnt(7) lgkmcnt(0)
	v_mul_f64 v[133:134], v[7:8], v[165:166]
	s_waitcnt vmcnt(6)
	v_fma_f64 v[121:122], v[121:122], v[191:192], -v[143:144]
	v_mul_f64 v[131:132], v[5:6], v[165:166]
	v_fma_f64 v[123:124], v[123:124], v[191:192], v[129:130]
	v_add_f64 v[1:2], v[127:128], v[1:2]
	v_add_f64 v[3:4], v[125:126], v[3:4]
	s_waitcnt vmcnt(4)
	v_fma_f64 v[5:6], v[5:6], v[139:140], -v[133:134]
	v_fma_f64 v[7:8], v[7:8], v[139:140], v[131:132]
	v_add_f64 v[1:2], v[1:2], v[121:122]
	v_add_f64 v[3:4], v[3:4], v[123:124]
	;; [unrolled: 1-line block ×4, first 2 shown]
	s_waitcnt vmcnt(2)
	v_add_f64 v[1:2], v[137:138], -v[1:2]
	s_waitcnt vmcnt(0)
	v_add_f64 v[3:4], v[169:170], -v[3:4]
	buffer_store_dword v2, off, s[0:3], 0 offset:68
	buffer_store_dword v1, off, s[0:3], 0 offset:64
	;; [unrolled: 1-line block ×4, first 2 shown]
	v_cmpx_lt_u32_e32 2, v0
	s_cbranch_execz .LBB119_345
; %bb.344:
	v_mov_b32_e32 v4, s66
	v_mov_b32_e32 v5, 0
	s_clause 0x3
	buffer_load_dword v1, v4, s[0:3], 0 offen
	buffer_load_dword v2, v4, s[0:3], 0 offen offset:4
	buffer_load_dword v3, v4, s[0:3], 0 offen offset:8
	;; [unrolled: 1-line block ×3, first 2 shown]
	buffer_store_dword v5, off, s[0:3], 0 offset:48
	buffer_store_dword v5, off, s[0:3], 0 offset:52
	;; [unrolled: 1-line block ×4, first 2 shown]
	s_waitcnt vmcnt(0)
	ds_write_b128 v181, v[1:4]
.LBB119_345:
	s_or_b32 exec_lo, exec_lo, s4
	s_waitcnt lgkmcnt(0)
	s_waitcnt_vscnt null, 0x0
	s_barrier
	buffer_gl0_inv
	s_clause 0x37
	buffer_load_dword v129, off, s[0:3], 0 offset:72
	buffer_load_dword v130, off, s[0:3], 0 offset:76
	;; [unrolled: 1-line block ×56, first 2 shown]
	v_mov_b32_e32 v182, 0
	s_mov_b32 s4, exec_lo
	ds_read_b128 v[5:8], v182 offset:944
	s_clause 0x2
	buffer_load_dword v178, off, s[0:3], 0 offset:300
	buffer_load_dword v180, off, s[0:3], 0 offset:276
	;; [unrolled: 1-line block ×3, first 2 shown]
	ds_read_b128 v[1:4], v182 offset:960
	s_clause 0x4
	buffer_load_dword v190, off, s[0:3], 0 offset:316
	buffer_load_dword v191, off, s[0:3], 0 offset:328
	;; [unrolled: 1-line block ×5, first 2 shown]
	ds_read_b128 v[183:186], v182 offset:976
	s_waitcnt vmcnt(62) lgkmcnt(2)
	v_mul_f64 v[187:188], v[7:8], v[129:130]
	v_mul_f64 v[129:130], v[5:6], v[129:130]
	s_waitcnt vmcnt(60) lgkmcnt(1)
	v_mul_f64 v[194:195], v[3:4], v[125:126]
	v_mul_f64 v[125:126], v[1:2], v[125:126]
	;; [unrolled: 3-line block ×3, first 2 shown]
	v_fma_f64 v[187:188], v[5:6], v[127:128], -v[187:188]
	v_fma_f64 v[127:128], v[7:8], v[127:128], v[129:130]
	s_clause 0x2
	buffer_load_dword v192, off, s[0:3], 0 offset:332
	buffer_load_dword v130, off, s[0:3], 0 offset:308
	buffer_load_dword v129, off, s[0:3], 0 offset:304
	s_waitcnt vmcnt(57)
	v_fma_f64 v[198:199], v[1:2], v[121:122], -v[194:195]
	ds_read_b128 v[5:8], v182 offset:992
	v_fma_f64 v[121:122], v[3:4], v[121:122], v[125:126]
	s_waitcnt vmcnt(51)
	v_fma_f64 v[183:184], v[183:184], v[145:146], -v[123:124]
	v_fma_f64 v[145:146], v[185:186], v[145:146], v[196:197]
	v_add_f64 v[187:188], v[187:188], 0
	v_add_f64 v[125:126], v[127:128], 0
	s_clause 0x4
	buffer_load_dword v128, off, s[0:3], 0 offset:348
	buffer_load_dword v195, off, s[0:3], 0 offset:360
	;; [unrolled: 1-line block ×5, first 2 shown]
	s_waitcnt lgkmcnt(0)
	v_mul_f64 v[201:202], v[5:6], v[133:134]
	v_mul_f64 v[133:134], v[7:8], v[133:134]
	ds_read_b128 v[1:4], v182 offset:1008
	s_clause 0x2
	buffer_load_dword v196, off, s[0:3], 0 offset:364
	buffer_load_dword v186, off, s[0:3], 0 offset:340
	;; [unrolled: 1-line block ×3, first 2 shown]
	v_add_f64 v[187:188], v[187:188], v[198:199]
	v_add_f64 v[125:126], v[125:126], v[121:122]
	ds_read_b128 v[121:124], v182 offset:1024
	s_waitcnt vmcnt(58) lgkmcnt(1)
	v_mul_f64 v[197:198], v[1:2], v[137:138]
	v_mul_f64 v[137:138], v[3:4], v[137:138]
	s_waitcnt vmcnt(56)
	v_fma_f64 v[133:134], v[5:6], v[139:140], -v[133:134]
	v_fma_f64 v[139:140], v[7:8], v[139:140], v[201:202]
	s_waitcnt vmcnt(52) lgkmcnt(0)
	v_mul_f64 v[203:204], v[121:122], v[141:142]
	v_add_f64 v[183:184], v[187:188], v[183:184]
	v_add_f64 v[125:126], v[125:126], v[145:146]
	s_clause 0x4
	buffer_load_dword v146, off, s[0:3], 0 offset:380
	buffer_load_dword v187, off, s[0:3], 0 offset:392
	;; [unrolled: 1-line block ×5, first 2 shown]
	v_mul_f64 v[141:142], v[123:124], v[141:142]
	s_waitcnt vmcnt(56)
	v_fma_f64 v[137:138], v[1:2], v[131:132], -v[137:138]
	ds_read_b128 v[5:8], v182 offset:1040
	v_fma_f64 v[131:132], v[3:4], v[131:132], v[197:198]
	v_add_f64 v[133:134], v[183:184], v[133:134]
	v_add_f64 v[125:126], v[125:126], v[139:140]
	s_clause 0x2
	buffer_load_dword v188, off, s[0:3], 0 offset:396
	buffer_load_dword v140, off, s[0:3], 0 offset:372
	;; [unrolled: 1-line block ×3, first 2 shown]
	s_waitcnt vmcnt(58) lgkmcnt(0)
	v_mul_f64 v[183:184], v[5:6], v[147:148]
	v_mul_f64 v[147:148], v[7:8], v[147:148]
	s_waitcnt vmcnt(56)
	v_fma_f64 v[141:142], v[121:122], v[149:150], -v[141:142]
	ds_read_b128 v[1:4], v182 offset:1056
	v_add_f64 v[133:134], v[133:134], v[137:138]
	v_fma_f64 v[137:138], v[123:124], v[149:150], v[203:204]
	v_add_f64 v[125:126], v[125:126], v[131:132]
	s_clause 0x4
	buffer_load_dword v132, off, s[0:3], 0 offset:412
	buffer_load_dword v149, off, s[0:3], 0 offset:424
	;; [unrolled: 1-line block ×5, first 2 shown]
	s_waitcnt vmcnt(57) lgkmcnt(0)
	v_mul_f64 v[198:199], v[1:2], v[151:152]
	v_mul_f64 v[151:152], v[3:4], v[151:152]
	s_waitcnt vmcnt(56)
	v_fma_f64 v[147:148], v[5:6], v[135:136], -v[147:148]
	ds_read_b128 v[121:124], v182 offset:1072
	v_fma_f64 v[135:136], v[7:8], v[135:136], v[183:184]
	v_add_f64 v[133:134], v[133:134], v[141:142]
	v_add_f64 v[125:126], v[125:126], v[137:138]
	s_clause 0x2
	buffer_load_dword v150, off, s[0:3], 0 offset:428
	buffer_load_dword v138, off, s[0:3], 0 offset:404
	;; [unrolled: 1-line block ×3, first 2 shown]
	ds_read_b128 v[5:8], v182 offset:1088
	s_waitcnt vmcnt(58) lgkmcnt(1)
	v_mul_f64 v[141:142], v[121:122], v[155:156]
	v_mul_f64 v[155:156], v[123:124], v[155:156]
	s_waitcnt vmcnt(56)
	v_fma_f64 v[151:152], v[1:2], v[157:158], -v[151:152]
	v_add_f64 v[133:134], v[133:134], v[147:148]
	v_fma_f64 v[147:148], v[3:4], v[157:158], v[198:199]
	v_add_f64 v[125:126], v[125:126], v[135:136]
	s_clause 0x4
	buffer_load_dword v136, off, s[0:3], 0 offset:444
	buffer_load_dword v157, off, s[0:3], 0 offset:456
	;; [unrolled: 1-line block ×5, first 2 shown]
	s_waitcnt vmcnt(57) lgkmcnt(0)
	v_mul_f64 v[204:205], v[5:6], v[159:160]
	v_mul_f64 v[159:160], v[7:8], v[159:160]
	s_waitcnt vmcnt(56)
	v_fma_f64 v[155:156], v[121:122], v[143:144], -v[155:156]
	ds_read_b128 v[1:4], v182 offset:1104
	v_fma_f64 v[141:142], v[123:124], v[143:144], v[141:142]
	s_clause 0x2
	buffer_load_dword v158, off, s[0:3], 0 offset:460
	buffer_load_dword v144, off, s[0:3], 0 offset:436
	;; [unrolled: 1-line block ×3, first 2 shown]
	ds_read_b128 v[121:124], v182 offset:1120
	v_add_f64 v[133:134], v[133:134], v[151:152]
	v_add_f64 v[125:126], v[125:126], v[147:148]
	s_waitcnt vmcnt(58) lgkmcnt(1)
	v_mul_f64 v[151:152], v[3:4], v[163:164]
	s_waitcnt vmcnt(56)
	v_fma_f64 v[159:160], v[5:6], v[165:166], -v[159:160]
	v_mul_f64 v[147:148], v[1:2], v[163:164]
	v_add_f64 v[133:134], v[133:134], v[155:156]
	v_fma_f64 v[155:156], v[7:8], v[165:166], v[204:205]
	v_add_f64 v[125:126], v[125:126], v[141:142]
	s_clause 0x4
	buffer_load_dword v142, off, s[0:3], 0 offset:476
	buffer_load_dword v163, off, s[0:3], 0 offset:488
	;; [unrolled: 1-line block ×5, first 2 shown]
	s_waitcnt vmcnt(57) lgkmcnt(0)
	v_mul_f64 v[204:205], v[121:122], v[167:168]
	v_mul_f64 v[166:167], v[123:124], v[167:168]
	s_waitcnt vmcnt(56)
	v_fma_f64 v[151:152], v[1:2], v[153:154], -v[151:152]
	ds_read_b128 v[5:8], v182 offset:1136
	v_fma_f64 v[147:148], v[3:4], v[153:154], v[147:148]
	s_clause 0x2
	buffer_load_dword v164, off, s[0:3], 0 offset:492
	buffer_load_dword v154, off, s[0:3], 0 offset:468
	;; [unrolled: 1-line block ×3, first 2 shown]
	ds_read_b128 v[1:4], v182 offset:1152
	v_add_f64 v[133:134], v[133:134], v[159:160]
	v_add_f64 v[125:126], v[125:126], v[155:156]
	s_waitcnt vmcnt(58) lgkmcnt(1)
	v_mul_f64 v[159:160], v[7:8], v[171:172]
	s_waitcnt vmcnt(56)
	v_fma_f64 v[167:168], v[121:122], v[173:174], -v[166:167]
	v_mul_f64 v[155:156], v[5:6], v[171:172]
	v_add_f64 v[133:134], v[133:134], v[151:152]
	v_fma_f64 v[151:152], v[123:124], v[173:174], v[204:205]
	v_add_f64 v[125:126], v[125:126], v[147:148]
	s_clause 0x4
	buffer_load_dword v148, off, s[0:3], 0 offset:508
	buffer_load_dword v171, off, s[0:3], 0 offset:520
	;; [unrolled: 1-line block ×5, first 2 shown]
	s_waitcnt vmcnt(57) lgkmcnt(0)
	v_mul_f64 v[204:205], v[1:2], v[175:176]
	v_mul_f64 v[174:175], v[3:4], v[175:176]
	s_waitcnt vmcnt(56)
	v_fma_f64 v[159:160], v[5:6], v[161:162], -v[159:160]
	ds_read_b128 v[121:124], v182 offset:1168
	v_fma_f64 v[155:156], v[7:8], v[161:162], v[155:156]
	v_add_f64 v[133:134], v[133:134], v[167:168]
	v_add_f64 v[125:126], v[125:126], v[151:152]
	s_clause 0x2
	buffer_load_dword v172, off, s[0:3], 0 offset:524
	buffer_load_dword v152, off, s[0:3], 0 offset:500
	;; [unrolled: 1-line block ×3, first 2 shown]
	ds_read_b128 v[5:8], v182 offset:1184
	s_waitcnt vmcnt(58) lgkmcnt(1)
	v_mul_f64 v[167:168], v[123:124], v[177:178]
	s_waitcnt vmcnt(56)
	v_fma_f64 v[175:176], v[1:2], v[179:180], -v[174:175]
	v_mul_f64 v[161:162], v[121:122], v[177:178]
	v_add_f64 v[133:134], v[133:134], v[159:160]
	v_fma_f64 v[159:160], v[3:4], v[179:180], v[204:205]
	v_add_f64 v[125:126], v[125:126], v[155:156]
	s_clause 0x4
	buffer_load_dword v156, off, s[0:3], 0 offset:540
	buffer_load_dword v177, off, s[0:3], 0 offset:552
	;; [unrolled: 1-line block ×5, first 2 shown]
	s_waitcnt vmcnt(57) lgkmcnt(0)
	v_mul_f64 v[204:205], v[5:6], v[189:190]
	v_mul_f64 v[189:190], v[7:8], v[189:190]
	s_waitcnt vmcnt(56)
	v_fma_f64 v[167:168], v[121:122], v[169:170], -v[167:168]
	ds_read_b128 v[1:4], v182 offset:1200
	v_fma_f64 v[161:162], v[123:124], v[169:170], v[161:162]
	v_add_f64 v[133:134], v[133:134], v[175:176]
	v_add_f64 v[125:126], v[125:126], v[159:160]
	s_clause 0x2
	buffer_load_dword v178, off, s[0:3], 0 offset:556
	buffer_load_dword v160, off, s[0:3], 0 offset:532
	;; [unrolled: 1-line block ×3, first 2 shown]
	ds_read_b128 v[121:124], v182 offset:1216
	s_waitcnt vmcnt(58) lgkmcnt(1)
	v_mul_f64 v[175:176], v[3:4], v[191:192]
	v_mul_f64 v[169:170], v[1:2], v[191:192]
	s_waitcnt vmcnt(56)
	v_fma_f64 v[189:190], v[5:6], v[129:130], -v[189:190]
	v_fma_f64 v[129:130], v[7:8], v[129:130], v[204:205]
	v_add_f64 v[133:134], v[133:134], v[167:168]
	v_add_f64 v[125:126], v[125:126], v[161:162]
	s_clause 0x4
	buffer_load_dword v162, off, s[0:3], 0 offset:572
	buffer_load_dword v167, off, s[0:3], 0 offset:584
	;; [unrolled: 1-line block ×5, first 2 shown]
	ds_read_b128 v[5:8], v182 offset:1232
	s_waitcnt vmcnt(57) lgkmcnt(1)
	v_mul_f64 v[204:205], v[121:122], v[127:128]
	v_mul_f64 v[127:128], v[123:124], v[127:128]
	s_waitcnt vmcnt(56)
	v_fma_f64 v[175:176], v[1:2], v[193:194], -v[175:176]
	v_fma_f64 v[169:170], v[3:4], v[193:194], v[169:170]
	v_add_f64 v[133:134], v[133:134], v[189:190]
	v_add_f64 v[125:126], v[125:126], v[129:130]
	s_clause 0x2
	buffer_load_dword v168, off, s[0:3], 0 offset:588
	buffer_load_dword v130, off, s[0:3], 0 offset:564
	;; [unrolled: 1-line block ×3, first 2 shown]
	s_waitcnt vmcnt(58) lgkmcnt(0)
	v_mul_f64 v[193:194], v[7:8], v[195:196]
	ds_read_b128 v[1:4], v182 offset:1248
	v_mul_f64 v[189:190], v[5:6], v[195:196]
	s_waitcnt vmcnt(56)
	v_fma_f64 v[127:128], v[121:122], v[185:186], -v[127:128]
	v_add_f64 v[133:134], v[133:134], v[175:176]
	v_fma_f64 v[175:176], v[123:124], v[185:186], v[204:205]
	v_add_f64 v[125:126], v[125:126], v[169:170]
	s_clause 0x4
	buffer_load_dword v170, off, s[0:3], 0 offset:604
	buffer_load_dword v185, off, s[0:3], 0 offset:616
	;; [unrolled: 1-line block ×5, first 2 shown]
	ds_read_b128 v[121:124], v182 offset:1264
	s_waitcnt vmcnt(57) lgkmcnt(1)
	v_mul_f64 v[204:205], v[1:2], v[145:146]
	v_mul_f64 v[145:146], v[3:4], v[145:146]
	s_waitcnt vmcnt(56)
	v_fma_f64 v[193:194], v[5:6], v[200:201], -v[193:194]
	v_add_f64 v[127:128], v[133:134], v[127:128]
	v_fma_f64 v[133:134], v[7:8], v[200:201], v[189:190]
	v_add_f64 v[125:126], v[125:126], v[175:176]
	s_clause 0x2
	buffer_load_dword v186, off, s[0:3], 0 offset:620
	buffer_load_dword v176, off, s[0:3], 0 offset:596
	;; [unrolled: 1-line block ×3, first 2 shown]
	ds_read_b128 v[5:8], v182 offset:1280
	s_waitcnt vmcnt(58) lgkmcnt(1)
	v_mul_f64 v[189:190], v[121:122], v[187:188]
	v_mul_f64 v[187:188], v[123:124], v[187:188]
	s_waitcnt vmcnt(56)
	v_fma_f64 v[145:146], v[1:2], v[139:140], -v[145:146]
	v_fma_f64 v[139:140], v[3:4], v[139:140], v[204:205]
	v_add_f64 v[127:128], v[127:128], v[193:194]
	v_add_f64 v[125:126], v[125:126], v[133:134]
	s_clause 0x4
	buffer_load_dword v134, off, s[0:3], 0 offset:636
	buffer_load_dword v193, off, s[0:3], 0 offset:648
	;; [unrolled: 1-line block ×5, first 2 shown]
	ds_read_b128 v[1:4], v182 offset:1296
	s_waitcnt vmcnt(57) lgkmcnt(1)
	v_mul_f64 v[200:201], v[5:6], v[131:132]
	v_mul_f64 v[131:132], v[7:8], v[131:132]
	s_waitcnt vmcnt(56)
	v_fma_f64 v[187:188], v[121:122], v[202:203], -v[187:188]
	v_add_f64 v[127:128], v[127:128], v[145:146]
	v_fma_f64 v[145:146], v[123:124], v[202:203], v[189:190]
	v_add_f64 v[125:126], v[125:126], v[139:140]
	s_clause 0x2
	buffer_load_dword v194, off, s[0:3], 0 offset:652
	buffer_load_dword v140, off, s[0:3], 0 offset:628
	;; [unrolled: 1-line block ×3, first 2 shown]
	ds_read_b128 v[121:124], v182 offset:1312
	s_waitcnt vmcnt(58) lgkmcnt(1)
	v_mul_f64 v[189:190], v[1:2], v[149:150]
	v_mul_f64 v[149:150], v[3:4], v[149:150]
	s_waitcnt vmcnt(56)
	v_fma_f64 v[131:132], v[5:6], v[137:138], -v[131:132]
	v_fma_f64 v[137:138], v[7:8], v[137:138], v[200:201]
	v_add_f64 v[127:128], v[127:128], v[187:188]
	v_add_f64 v[125:126], v[125:126], v[145:146]
	s_clause 0x4
	buffer_load_dword v146, off, s[0:3], 0 offset:668
	buffer_load_dword v187, off, s[0:3], 0 offset:680
	;; [unrolled: 1-line block ×5, first 2 shown]
	ds_read_b128 v[5:8], v182 offset:1328
	s_waitcnt vmcnt(57) lgkmcnt(1)
	v_mul_f64 v[202:203], v[121:122], v[135:136]
	v_mul_f64 v[135:136], v[123:124], v[135:136]
	s_waitcnt vmcnt(56)
	v_fma_f64 v[149:150], v[1:2], v[197:198], -v[149:150]
	v_add_f64 v[127:128], v[127:128], v[131:132]
	v_fma_f64 v[131:132], v[3:4], v[197:198], v[189:190]
	v_add_f64 v[125:126], v[125:126], v[137:138]
	s_clause 0x2
	buffer_load_dword v188, off, s[0:3], 0 offset:684
	buffer_load_dword v138, off, s[0:3], 0 offset:660
	;; [unrolled: 1-line block ×3, first 2 shown]
	s_waitcnt vmcnt(58) lgkmcnt(0)
	v_mul_f64 v[189:190], v[5:6], v[157:158]
	v_mul_f64 v[157:158], v[7:8], v[157:158]
	ds_read_b128 v[1:4], v182 offset:1344
	s_waitcnt vmcnt(56)
	v_fma_f64 v[135:136], v[121:122], v[143:144], -v[135:136]
	v_fma_f64 v[143:144], v[123:124], v[143:144], v[202:203]
	v_add_f64 v[127:128], v[127:128], v[149:150]
	v_add_f64 v[125:126], v[125:126], v[131:132]
	s_clause 0x4
	buffer_load_dword v132, off, s[0:3], 0 offset:700
	buffer_load_dword v149, off, s[0:3], 0 offset:712
	;; [unrolled: 1-line block ×5, first 2 shown]
	ds_read_b128 v[121:124], v182 offset:1360
	s_waitcnt vmcnt(57) lgkmcnt(1)
	v_mul_f64 v[203:204], v[1:2], v[141:142]
	v_mul_f64 v[141:142], v[3:4], v[141:142]
	s_waitcnt vmcnt(56)
	v_fma_f64 v[157:158], v[5:6], v[183:184], -v[157:158]
	v_add_f64 v[127:128], v[127:128], v[135:136]
	v_fma_f64 v[135:136], v[7:8], v[183:184], v[189:190]
	v_add_f64 v[125:126], v[125:126], v[143:144]
	s_clause 0x2
	buffer_load_dword v150, off, s[0:3], 0 offset:716
	buffer_load_dword v144, off, s[0:3], 0 offset:692
	;; [unrolled: 1-line block ×3, first 2 shown]
	s_waitcnt vmcnt(58) lgkmcnt(0)
	v_mul_f64 v[183:184], v[121:122], v[163:164]
	v_mul_f64 v[163:164], v[123:124], v[163:164]
	ds_read_b128 v[5:8], v182 offset:1376
	s_waitcnt vmcnt(56)
	v_fma_f64 v[141:142], v[1:2], v[153:154], -v[141:142]
	v_fma_f64 v[153:154], v[3:4], v[153:154], v[203:204]
	v_add_f64 v[127:128], v[127:128], v[157:158]
	v_add_f64 v[125:126], v[125:126], v[135:136]
	s_clause 0x4
	buffer_load_dword v136, off, s[0:3], 0 offset:732
	buffer_load_dword v157, off, s[0:3], 0 offset:744
	buffer_load_dword v189, off, s[0:3], 0 offset:736
	buffer_load_dword v135, off, s[0:3], 0 offset:728
	buffer_load_dword v198, off, s[0:3], 0 offset:708
	ds_read_b128 v[1:4], v182 offset:1392
	s_waitcnt vmcnt(57) lgkmcnt(1)
	v_mul_f64 v[203:204], v[5:6], v[147:148]
	v_mul_f64 v[147:148], v[7:8], v[147:148]
	s_waitcnt vmcnt(56)
	v_fma_f64 v[163:164], v[121:122], v[165:166], -v[163:164]
	v_add_f64 v[127:128], v[127:128], v[141:142]
	v_fma_f64 v[141:142], v[123:124], v[165:166], v[183:184]
	v_add_f64 v[125:126], v[125:126], v[153:154]
	s_clause 0x2
	buffer_load_dword v158, off, s[0:3], 0 offset:748
	buffer_load_dword v154, off, s[0:3], 0 offset:724
	buffer_load_dword v153, off, s[0:3], 0 offset:720
	ds_read_b128 v[121:124], v182 offset:1408
	s_waitcnt vmcnt(58) lgkmcnt(1)
	v_mul_f64 v[165:166], v[1:2], v[171:172]
	v_mul_f64 v[171:172], v[3:4], v[171:172]
	s_waitcnt vmcnt(56)
	v_fma_f64 v[147:148], v[5:6], v[151:152], -v[147:148]
	v_fma_f64 v[151:152], v[7:8], v[151:152], v[203:204]
	v_add_f64 v[127:128], v[127:128], v[163:164]
	v_add_f64 v[125:126], v[125:126], v[141:142]
	s_clause 0x4
	buffer_load_dword v142, off, s[0:3], 0 offset:764
	buffer_load_dword v163, off, s[0:3], 0 offset:776
	buffer_load_dword v183, off, s[0:3], 0 offset:768
	buffer_load_dword v141, off, s[0:3], 0 offset:760
	buffer_load_dword v190, off, s[0:3], 0 offset:740
	ds_read_b128 v[5:8], v182 offset:1424
	s_waitcnt vmcnt(57) lgkmcnt(1)
	v_mul_f64 v[203:204], v[121:122], v[155:156]
	v_mul_f64 v[155:156], v[123:124], v[155:156]
	s_waitcnt vmcnt(56)
	v_fma_f64 v[171:172], v[1:2], v[173:174], -v[171:172]
	v_add_f64 v[127:128], v[127:128], v[147:148]
	v_fma_f64 v[147:148], v[3:4], v[173:174], v[165:166]
	v_add_f64 v[125:126], v[125:126], v[151:152]
	s_clause 0x2
	buffer_load_dword v164, off, s[0:3], 0 offset:780
	buffer_load_dword v152, off, s[0:3], 0 offset:756
	buffer_load_dword v151, off, s[0:3], 0 offset:752
	ds_read_b128 v[1:4], v182 offset:1440
	s_waitcnt vmcnt(58) lgkmcnt(1)
	v_mul_f64 v[173:174], v[7:8], v[177:178]
	v_mul_f64 v[165:166], v[5:6], v[177:178]
	;; [unrolled: 28-line block ×4, first 2 shown]
	s_waitcnt vmcnt(56)
	v_fma_f64 v[169:170], v[5:6], v[175:176], -v[169:170]
	v_add_f64 v[127:128], v[127:128], v[167:168]
	v_fma_f64 v[167:168], v[7:8], v[175:176], v[203:204]
	v_add_f64 v[125:126], v[125:126], v[161:162]
	s_clause 0x4
	buffer_load_dword v162, off, s[0:3], 0 offset:860
	buffer_load_dword v175, off, s[0:3], 0 offset:872
	;; [unrolled: 1-line block ×5, first 2 shown]
	ds_read_b128 v[5:8], v182 offset:1520
	s_waitcnt vmcnt(57) lgkmcnt(1)
	v_mul_f64 v[203:204], v[121:122], v[133:134]
	v_mul_f64 v[133:134], v[123:124], v[133:134]
	s_waitcnt vmcnt(56)
	v_fma_f64 v[185:186], v[1:2], v[195:196], -v[185:186]
	v_fma_f64 v[165:166], v[3:4], v[195:196], v[165:166]
	v_add_f64 v[127:128], v[127:128], v[169:170]
	v_add_f64 v[125:126], v[125:126], v[167:168]
	s_clause 0x2
	buffer_load_dword v176, off, s[0:3], 0 offset:876
	buffer_load_dword v168, off, s[0:3], 0 offset:852
	;; [unrolled: 1-line block ×3, first 2 shown]
	ds_read_b128 v[1:4], v182 offset:1536
	s_waitcnt vmcnt(58) lgkmcnt(1)
	v_mul_f64 v[169:170], v[5:6], v[193:194]
	v_mul_f64 v[193:194], v[7:8], v[193:194]
	s_waitcnt vmcnt(56)
	v_fma_f64 v[133:134], v[121:122], v[139:140], -v[133:134]
	v_fma_f64 v[139:140], v[123:124], v[139:140], v[203:204]
	v_add_f64 v[127:128], v[127:128], v[185:186]
	v_add_f64 v[125:126], v[125:126], v[165:166]
	s_clause 0x4
	buffer_load_dword v166, off, s[0:3], 0 offset:892
	buffer_load_dword v185, off, s[0:3], 0 offset:904
	;; [unrolled: 1-line block ×5, first 2 shown]
	ds_read_b128 v[121:124], v182 offset:1552
	s_waitcnt vmcnt(57) lgkmcnt(1)
	v_mul_f64 v[203:204], v[1:2], v[145:146]
	v_mul_f64 v[145:146], v[3:4], v[145:146]
	s_waitcnt vmcnt(56)
	v_fma_f64 v[193:194], v[5:6], v[199:200], -v[193:194]
	v_add_f64 v[127:128], v[127:128], v[133:134]
	v_fma_f64 v[133:134], v[7:8], v[199:200], v[169:170]
	v_add_f64 v[125:126], v[125:126], v[139:140]
	s_clause 0x2
	buffer_load_dword v186, off, s[0:3], 0 offset:908
	buffer_load_dword v140, off, s[0:3], 0 offset:884
	;; [unrolled: 1-line block ×3, first 2 shown]
	ds_read_b128 v[5:8], v182 offset:1568
	buffer_load_dword v196, off, s[0:3], 0 offset:900
	s_waitcnt vmcnt(59) lgkmcnt(1)
	v_mul_f64 v[169:170], v[121:122], v[187:188]
	v_mul_f64 v[187:188], v[123:124], v[187:188]
	s_waitcnt vmcnt(57)
	v_fma_f64 v[145:146], v[1:2], v[137:138], -v[145:146]
	v_fma_f64 v[137:138], v[3:4], v[137:138], v[203:204]
	ds_read_b128 v[1:4], v182 offset:1584
	v_add_f64 v[127:128], v[127:128], v[193:194]
	v_add_f64 v[125:126], v[125:126], v[133:134]
	s_waitcnt vmcnt(53) lgkmcnt(1)
	v_mul_f64 v[133:134], v[5:6], v[131:132]
	v_mul_f64 v[131:132], v[7:8], v[131:132]
	s_waitcnt vmcnt(52)
	v_fma_f64 v[187:188], v[121:122], v[201:202], -v[187:188]
	v_add_f64 v[127:128], v[127:128], v[145:146]
	v_fma_f64 v[145:146], v[123:124], v[201:202], v[169:170]
	v_add_f64 v[125:126], v[125:126], v[137:138]
	ds_read_b128 v[121:124], v182 offset:1600
	s_waitcnt vmcnt(51) lgkmcnt(1)
	v_mul_f64 v[137:138], v[1:2], v[149:150]
	v_mul_f64 v[149:150], v[3:4], v[149:150]
	s_waitcnt vmcnt(49)
	v_fma_f64 v[131:132], v[5:6], v[143:144], -v[131:132]
	v_fma_f64 v[133:134], v[7:8], v[143:144], v[133:134]
	v_add_f64 v[127:128], v[127:128], v[187:188]
	v_add_f64 v[125:126], v[125:126], v[145:146]
	s_clause 0x3
	buffer_load_dword v143, off, s[0:3], 0 offset:48
	buffer_load_dword v144, off, s[0:3], 0 offset:52
	;; [unrolled: 1-line block ×4, first 2 shown]
	ds_read_b128 v[5:8], v182 offset:1616
	s_waitcnt vmcnt(49) lgkmcnt(1)
	v_mul_f64 v[169:170], v[121:122], v[135:136]
	v_mul_f64 v[135:136], v[123:124], v[135:136]
	s_waitcnt vmcnt(48)
	v_fma_f64 v[149:150], v[1:2], v[197:198], -v[149:150]
	v_add_f64 v[127:128], v[127:128], v[131:132]
	v_fma_f64 v[131:132], v[3:4], v[197:198], v[137:138]
	v_add_f64 v[125:126], v[125:126], v[133:134]
	ds_read_b128 v[1:4], v182 offset:1632
	s_waitcnt vmcnt(47) lgkmcnt(1)
	v_mul_f64 v[137:138], v[7:8], v[157:158]
	v_mul_f64 v[133:134], v[5:6], v[157:158]
	s_waitcnt vmcnt(45)
	v_fma_f64 v[135:136], v[121:122], v[153:154], -v[135:136]
	v_add_f64 v[127:128], v[127:128], v[149:150]
	v_fma_f64 v[149:150], v[123:124], v[153:154], v[169:170]
	v_add_f64 v[125:126], v[125:126], v[131:132]
	ds_read_b128 v[121:124], v182 offset:1648
	s_waitcnt vmcnt(41) lgkmcnt(1)
	v_mul_f64 v[131:132], v[1:2], v[141:142]
	v_mul_f64 v[141:142], v[3:4], v[141:142]
	s_waitcnt vmcnt(40)
	v_fma_f64 v[137:138], v[5:6], v[189:190], -v[137:138]
	v_fma_f64 v[133:134], v[7:8], v[189:190], v[133:134]
	ds_read_b128 v[5:8], v182 offset:1664
	v_add_f64 v[127:128], v[127:128], v[135:136]
	v_add_f64 v[125:126], v[125:126], v[149:150]
	s_waitcnt vmcnt(39) lgkmcnt(1)
	v_mul_f64 v[149:150], v[123:124], v[163:164]
	v_mul_f64 v[135:136], v[121:122], v[163:164]
	s_waitcnt vmcnt(37)
	v_fma_f64 v[141:142], v[1:2], v[151:152], -v[141:142]
	v_fma_f64 v[131:132], v[3:4], v[151:152], v[131:132]
	ds_read_b128 v[1:4], v182 offset:1680
	v_add_f64 v[127:128], v[127:128], v[137:138]
	v_add_f64 v[125:126], v[125:126], v[133:134]
	;; [unrolled: 9-line block ×4, first 2 shown]
	s_waitcnt vmcnt(25) lgkmcnt(1)
	v_mul_f64 v[147:148], v[123:124], v[155:156]
	s_waitcnt vmcnt(24)
	v_fma_f64 v[141:142], v[1:2], v[177:178], -v[141:142]
	v_mul_f64 v[135:136], v[121:122], v[155:156]
	v_fma_f64 v[131:132], v[3:4], v[177:178], v[131:132]
	ds_read_b128 v[1:4], v182 offset:1728
	v_add_f64 v[127:128], v[127:128], v[137:138]
	v_add_f64 v[125:126], v[125:126], v[133:134]
	s_waitcnt vmcnt(23) lgkmcnt(1)
	v_mul_f64 v[137:138], v[7:8], v[173:174]
	v_mul_f64 v[133:134], v[5:6], v[173:174]
	s_waitcnt vmcnt(21)
	v_fma_f64 v[147:148], v[121:122], v[129:130], -v[147:148]
	v_fma_f64 v[129:130], v[123:124], v[129:130], v[135:136]
	ds_read_b128 v[121:124], v182 offset:1744
	v_add_f64 v[127:128], v[127:128], v[141:142]
	v_add_f64 v[125:126], v[125:126], v[131:132]
	s_waitcnt vmcnt(17) lgkmcnt(1)
	v_mul_f64 v[135:136], v[3:4], v[161:162]
	s_waitcnt vmcnt(16)
	v_fma_f64 v[137:138], v[5:6], v[179:180], -v[137:138]
	v_mul_f64 v[131:132], v[1:2], v[161:162]
	v_fma_f64 v[133:134], v[7:8], v[179:180], v[133:134]
	ds_read_b128 v[5:8], v182 offset:1760
	v_add_f64 v[127:128], v[127:128], v[147:148]
	v_add_f64 v[125:126], v[125:126], v[129:130]
	s_waitcnt vmcnt(15) lgkmcnt(1)
	v_mul_f64 v[141:142], v[123:124], v[175:176]
	v_mul_f64 v[129:130], v[121:122], v[175:176]
	s_waitcnt vmcnt(13)
	v_fma_f64 v[135:136], v[1:2], v[167:168], -v[135:136]
	v_fma_f64 v[131:132], v[3:4], v[167:168], v[131:132]
	ds_read_b128 v[1:4], v182 offset:1776
	v_add_f64 v[127:128], v[127:128], v[137:138]
	v_add_f64 v[125:126], v[125:126], v[133:134]
	s_waitcnt vmcnt(9) lgkmcnt(1)
	v_mul_f64 v[137:138], v[7:8], v[165:166]
	s_waitcnt vmcnt(8)
	v_fma_f64 v[121:122], v[121:122], v[191:192], -v[141:142]
	v_mul_f64 v[133:134], v[5:6], v[165:166]
	v_fma_f64 v[123:124], v[123:124], v[191:192], v[129:130]
	v_add_f64 v[127:128], v[127:128], v[135:136]
	v_add_f64 v[125:126], v[125:126], v[131:132]
	s_waitcnt vmcnt(7) lgkmcnt(0)
	v_mul_f64 v[131:132], v[3:4], v[185:186]
	v_mul_f64 v[129:130], v[1:2], v[185:186]
	s_waitcnt vmcnt(5)
	v_fma_f64 v[5:6], v[5:6], v[139:140], -v[137:138]
	v_fma_f64 v[7:8], v[7:8], v[139:140], v[133:134]
	v_add_f64 v[121:122], v[127:128], v[121:122]
	v_add_f64 v[123:124], v[125:126], v[123:124]
	s_waitcnt vmcnt(4)
	v_fma_f64 v[1:2], v[1:2], v[195:196], -v[131:132]
	v_fma_f64 v[3:4], v[3:4], v[195:196], v[129:130]
	v_add_f64 v[5:6], v[121:122], v[5:6]
	v_add_f64 v[7:8], v[123:124], v[7:8]
	;; [unrolled: 1-line block ×4, first 2 shown]
	s_waitcnt vmcnt(2)
	v_add_f64 v[1:2], v[143:144], -v[1:2]
	s_waitcnt vmcnt(0)
	v_add_f64 v[3:4], v[145:146], -v[3:4]
	buffer_store_dword v2, off, s[0:3], 0 offset:52
	buffer_store_dword v1, off, s[0:3], 0 offset:48
	;; [unrolled: 1-line block ×4, first 2 shown]
	v_cmpx_lt_u32_e32 1, v0
	s_cbranch_execz .LBB119_347
; %bb.346:
	v_mov_b32_e32 v4, s67
	s_clause 0x3
	buffer_load_dword v1, v4, s[0:3], 0 offen
	buffer_load_dword v2, v4, s[0:3], 0 offen offset:4
	buffer_load_dword v3, v4, s[0:3], 0 offen offset:8
	;; [unrolled: 1-line block ×3, first 2 shown]
	buffer_store_dword v182, off, s[0:3], 0 offset:32
	buffer_store_dword v182, off, s[0:3], 0 offset:36
	;; [unrolled: 1-line block ×4, first 2 shown]
	s_waitcnt vmcnt(0)
	ds_write_b128 v181, v[1:4]
.LBB119_347:
	s_or_b32 exec_lo, exec_lo, s4
	s_waitcnt lgkmcnt(0)
	s_waitcnt_vscnt null, 0x0
	s_barrier
	buffer_gl0_inv
	s_clause 0x37
	buffer_load_dword v129, off, s[0:3], 0 offset:56
	buffer_load_dword v130, off, s[0:3], 0 offset:60
	;; [unrolled: 1-line block ×56, first 2 shown]
	ds_read_b128 v[5:8], v182 offset:928
	s_clause 0x2
	buffer_load_dword v178, off, s[0:3], 0 offset:284
	buffer_load_dword v180, off, s[0:3], 0 offset:260
	;; [unrolled: 1-line block ×3, first 2 shown]
	ds_read_b128 v[1:4], v182 offset:944
	s_clause 0x4
	buffer_load_dword v190, off, s[0:3], 0 offset:300
	buffer_load_dword v191, off, s[0:3], 0 offset:312
	;; [unrolled: 1-line block ×5, first 2 shown]
	ds_read_b128 v[183:186], v182 offset:960
	s_mov_b32 s4, exec_lo
	s_waitcnt vmcnt(62) lgkmcnt(2)
	v_mul_f64 v[187:188], v[7:8], v[129:130]
	v_mul_f64 v[129:130], v[5:6], v[129:130]
	s_waitcnt vmcnt(60) lgkmcnt(1)
	v_mul_f64 v[194:195], v[3:4], v[125:126]
	v_mul_f64 v[125:126], v[1:2], v[125:126]
	;; [unrolled: 3-line block ×3, first 2 shown]
	v_fma_f64 v[187:188], v[5:6], v[127:128], -v[187:188]
	v_fma_f64 v[127:128], v[7:8], v[127:128], v[129:130]
	s_clause 0x2
	buffer_load_dword v192, off, s[0:3], 0 offset:316
	buffer_load_dword v130, off, s[0:3], 0 offset:292
	;; [unrolled: 1-line block ×3, first 2 shown]
	s_waitcnt vmcnt(57)
	v_fma_f64 v[198:199], v[1:2], v[121:122], -v[194:195]
	ds_read_b128 v[5:8], v182 offset:976
	v_fma_f64 v[121:122], v[3:4], v[121:122], v[125:126]
	s_waitcnt vmcnt(51)
	v_fma_f64 v[183:184], v[183:184], v[145:146], -v[123:124]
	v_fma_f64 v[145:146], v[185:186], v[145:146], v[196:197]
	v_add_f64 v[187:188], v[187:188], 0
	v_add_f64 v[125:126], v[127:128], 0
	s_clause 0x4
	buffer_load_dword v128, off, s[0:3], 0 offset:332
	buffer_load_dword v195, off, s[0:3], 0 offset:344
	;; [unrolled: 1-line block ×5, first 2 shown]
	s_waitcnt lgkmcnt(0)
	v_mul_f64 v[201:202], v[5:6], v[133:134]
	v_mul_f64 v[133:134], v[7:8], v[133:134]
	ds_read_b128 v[1:4], v182 offset:992
	s_clause 0x2
	buffer_load_dword v196, off, s[0:3], 0 offset:348
	buffer_load_dword v186, off, s[0:3], 0 offset:324
	;; [unrolled: 1-line block ×3, first 2 shown]
	v_add_f64 v[187:188], v[187:188], v[198:199]
	v_add_f64 v[125:126], v[125:126], v[121:122]
	ds_read_b128 v[121:124], v182 offset:1008
	s_waitcnt vmcnt(58) lgkmcnt(1)
	v_mul_f64 v[197:198], v[1:2], v[137:138]
	v_mul_f64 v[137:138], v[3:4], v[137:138]
	s_waitcnt vmcnt(56)
	v_fma_f64 v[133:134], v[5:6], v[139:140], -v[133:134]
	v_fma_f64 v[139:140], v[7:8], v[139:140], v[201:202]
	s_waitcnt vmcnt(52) lgkmcnt(0)
	v_mul_f64 v[203:204], v[121:122], v[141:142]
	v_add_f64 v[183:184], v[187:188], v[183:184]
	v_add_f64 v[125:126], v[125:126], v[145:146]
	s_clause 0x4
	buffer_load_dword v146, off, s[0:3], 0 offset:364
	buffer_load_dword v187, off, s[0:3], 0 offset:376
	buffer_load_dword v202, off, s[0:3], 0 offset:368
	buffer_load_dword v145, off, s[0:3], 0 offset:360
	buffer_load_dword v201, off, s[0:3], 0 offset:340
	v_mul_f64 v[141:142], v[123:124], v[141:142]
	s_waitcnt vmcnt(56)
	v_fma_f64 v[137:138], v[1:2], v[131:132], -v[137:138]
	ds_read_b128 v[5:8], v182 offset:1024
	v_fma_f64 v[131:132], v[3:4], v[131:132], v[197:198]
	v_add_f64 v[133:134], v[183:184], v[133:134]
	v_add_f64 v[125:126], v[125:126], v[139:140]
	s_clause 0x2
	buffer_load_dword v188, off, s[0:3], 0 offset:380
	buffer_load_dword v140, off, s[0:3], 0 offset:356
	;; [unrolled: 1-line block ×3, first 2 shown]
	s_waitcnt vmcnt(58) lgkmcnt(0)
	v_mul_f64 v[183:184], v[5:6], v[147:148]
	v_mul_f64 v[147:148], v[7:8], v[147:148]
	s_waitcnt vmcnt(56)
	v_fma_f64 v[141:142], v[121:122], v[149:150], -v[141:142]
	ds_read_b128 v[1:4], v182 offset:1040
	v_add_f64 v[133:134], v[133:134], v[137:138]
	v_fma_f64 v[137:138], v[123:124], v[149:150], v[203:204]
	v_add_f64 v[125:126], v[125:126], v[131:132]
	s_clause 0x4
	buffer_load_dword v132, off, s[0:3], 0 offset:396
	buffer_load_dword v149, off, s[0:3], 0 offset:408
	;; [unrolled: 1-line block ×5, first 2 shown]
	s_waitcnt vmcnt(57) lgkmcnt(0)
	v_mul_f64 v[198:199], v[1:2], v[151:152]
	v_mul_f64 v[151:152], v[3:4], v[151:152]
	s_waitcnt vmcnt(56)
	v_fma_f64 v[147:148], v[5:6], v[135:136], -v[147:148]
	ds_read_b128 v[121:124], v182 offset:1056
	v_fma_f64 v[135:136], v[7:8], v[135:136], v[183:184]
	v_add_f64 v[133:134], v[133:134], v[141:142]
	v_add_f64 v[125:126], v[125:126], v[137:138]
	s_clause 0x2
	buffer_load_dword v150, off, s[0:3], 0 offset:412
	buffer_load_dword v138, off, s[0:3], 0 offset:388
	;; [unrolled: 1-line block ×3, first 2 shown]
	ds_read_b128 v[5:8], v182 offset:1072
	s_waitcnt vmcnt(58) lgkmcnt(1)
	v_mul_f64 v[141:142], v[121:122], v[155:156]
	v_mul_f64 v[155:156], v[123:124], v[155:156]
	s_waitcnt vmcnt(56)
	v_fma_f64 v[151:152], v[1:2], v[157:158], -v[151:152]
	v_add_f64 v[133:134], v[133:134], v[147:148]
	v_fma_f64 v[147:148], v[3:4], v[157:158], v[198:199]
	v_add_f64 v[125:126], v[125:126], v[135:136]
	s_clause 0x4
	buffer_load_dword v136, off, s[0:3], 0 offset:428
	buffer_load_dword v157, off, s[0:3], 0 offset:440
	;; [unrolled: 1-line block ×5, first 2 shown]
	s_waitcnt vmcnt(57) lgkmcnt(0)
	v_mul_f64 v[204:205], v[5:6], v[159:160]
	v_mul_f64 v[159:160], v[7:8], v[159:160]
	s_waitcnt vmcnt(56)
	v_fma_f64 v[155:156], v[121:122], v[143:144], -v[155:156]
	ds_read_b128 v[1:4], v182 offset:1088
	v_fma_f64 v[141:142], v[123:124], v[143:144], v[141:142]
	s_clause 0x2
	buffer_load_dword v158, off, s[0:3], 0 offset:444
	buffer_load_dword v144, off, s[0:3], 0 offset:420
	;; [unrolled: 1-line block ×3, first 2 shown]
	ds_read_b128 v[121:124], v182 offset:1104
	v_add_f64 v[133:134], v[133:134], v[151:152]
	v_add_f64 v[125:126], v[125:126], v[147:148]
	s_waitcnt vmcnt(58) lgkmcnt(1)
	v_mul_f64 v[151:152], v[3:4], v[163:164]
	s_waitcnt vmcnt(56)
	v_fma_f64 v[159:160], v[5:6], v[165:166], -v[159:160]
	v_mul_f64 v[147:148], v[1:2], v[163:164]
	v_add_f64 v[133:134], v[133:134], v[155:156]
	v_fma_f64 v[155:156], v[7:8], v[165:166], v[204:205]
	v_add_f64 v[125:126], v[125:126], v[141:142]
	s_clause 0x4
	buffer_load_dword v142, off, s[0:3], 0 offset:460
	buffer_load_dword v163, off, s[0:3], 0 offset:472
	;; [unrolled: 1-line block ×5, first 2 shown]
	s_waitcnt vmcnt(57) lgkmcnt(0)
	v_mul_f64 v[204:205], v[121:122], v[167:168]
	v_mul_f64 v[166:167], v[123:124], v[167:168]
	s_waitcnt vmcnt(56)
	v_fma_f64 v[151:152], v[1:2], v[153:154], -v[151:152]
	ds_read_b128 v[5:8], v182 offset:1120
	v_fma_f64 v[147:148], v[3:4], v[153:154], v[147:148]
	s_clause 0x2
	buffer_load_dword v164, off, s[0:3], 0 offset:476
	buffer_load_dword v154, off, s[0:3], 0 offset:452
	;; [unrolled: 1-line block ×3, first 2 shown]
	ds_read_b128 v[1:4], v182 offset:1136
	v_add_f64 v[133:134], v[133:134], v[159:160]
	v_add_f64 v[125:126], v[125:126], v[155:156]
	s_waitcnt vmcnt(58) lgkmcnt(1)
	v_mul_f64 v[159:160], v[7:8], v[171:172]
	s_waitcnt vmcnt(56)
	v_fma_f64 v[167:168], v[121:122], v[173:174], -v[166:167]
	v_mul_f64 v[155:156], v[5:6], v[171:172]
	v_add_f64 v[133:134], v[133:134], v[151:152]
	v_fma_f64 v[151:152], v[123:124], v[173:174], v[204:205]
	v_add_f64 v[125:126], v[125:126], v[147:148]
	s_clause 0x4
	buffer_load_dword v148, off, s[0:3], 0 offset:492
	buffer_load_dword v171, off, s[0:3], 0 offset:504
	;; [unrolled: 1-line block ×5, first 2 shown]
	s_waitcnt vmcnt(57) lgkmcnt(0)
	v_mul_f64 v[204:205], v[1:2], v[175:176]
	v_mul_f64 v[174:175], v[3:4], v[175:176]
	s_waitcnt vmcnt(56)
	v_fma_f64 v[159:160], v[5:6], v[161:162], -v[159:160]
	ds_read_b128 v[121:124], v182 offset:1152
	v_fma_f64 v[155:156], v[7:8], v[161:162], v[155:156]
	v_add_f64 v[133:134], v[133:134], v[167:168]
	v_add_f64 v[125:126], v[125:126], v[151:152]
	s_clause 0x2
	buffer_load_dword v172, off, s[0:3], 0 offset:508
	buffer_load_dword v152, off, s[0:3], 0 offset:484
	;; [unrolled: 1-line block ×3, first 2 shown]
	ds_read_b128 v[5:8], v182 offset:1168
	s_waitcnt vmcnt(58) lgkmcnt(1)
	v_mul_f64 v[167:168], v[123:124], v[177:178]
	s_waitcnt vmcnt(56)
	v_fma_f64 v[175:176], v[1:2], v[179:180], -v[174:175]
	v_mul_f64 v[161:162], v[121:122], v[177:178]
	v_add_f64 v[133:134], v[133:134], v[159:160]
	v_fma_f64 v[159:160], v[3:4], v[179:180], v[204:205]
	v_add_f64 v[125:126], v[125:126], v[155:156]
	s_clause 0x4
	buffer_load_dword v156, off, s[0:3], 0 offset:524
	buffer_load_dword v177, off, s[0:3], 0 offset:536
	;; [unrolled: 1-line block ×5, first 2 shown]
	s_waitcnt vmcnt(57) lgkmcnt(0)
	v_mul_f64 v[204:205], v[5:6], v[189:190]
	v_mul_f64 v[189:190], v[7:8], v[189:190]
	s_waitcnt vmcnt(56)
	v_fma_f64 v[167:168], v[121:122], v[169:170], -v[167:168]
	ds_read_b128 v[1:4], v182 offset:1184
	v_fma_f64 v[161:162], v[123:124], v[169:170], v[161:162]
	v_add_f64 v[133:134], v[133:134], v[175:176]
	v_add_f64 v[125:126], v[125:126], v[159:160]
	s_clause 0x2
	buffer_load_dword v178, off, s[0:3], 0 offset:540
	buffer_load_dword v160, off, s[0:3], 0 offset:516
	;; [unrolled: 1-line block ×3, first 2 shown]
	ds_read_b128 v[121:124], v182 offset:1200
	s_waitcnt vmcnt(58) lgkmcnt(1)
	v_mul_f64 v[175:176], v[3:4], v[191:192]
	v_mul_f64 v[169:170], v[1:2], v[191:192]
	s_waitcnt vmcnt(56)
	v_fma_f64 v[189:190], v[5:6], v[129:130], -v[189:190]
	v_fma_f64 v[129:130], v[7:8], v[129:130], v[204:205]
	v_add_f64 v[133:134], v[133:134], v[167:168]
	v_add_f64 v[125:126], v[125:126], v[161:162]
	s_clause 0x4
	buffer_load_dword v162, off, s[0:3], 0 offset:556
	buffer_load_dword v167, off, s[0:3], 0 offset:568
	;; [unrolled: 1-line block ×5, first 2 shown]
	ds_read_b128 v[5:8], v182 offset:1216
	s_waitcnt vmcnt(57) lgkmcnt(1)
	v_mul_f64 v[204:205], v[121:122], v[127:128]
	v_mul_f64 v[127:128], v[123:124], v[127:128]
	s_waitcnt vmcnt(56)
	v_fma_f64 v[175:176], v[1:2], v[193:194], -v[175:176]
	v_fma_f64 v[169:170], v[3:4], v[193:194], v[169:170]
	v_add_f64 v[133:134], v[133:134], v[189:190]
	v_add_f64 v[125:126], v[125:126], v[129:130]
	s_clause 0x2
	buffer_load_dword v168, off, s[0:3], 0 offset:572
	buffer_load_dword v130, off, s[0:3], 0 offset:548
	;; [unrolled: 1-line block ×3, first 2 shown]
	s_waitcnt vmcnt(58) lgkmcnt(0)
	v_mul_f64 v[193:194], v[7:8], v[195:196]
	ds_read_b128 v[1:4], v182 offset:1232
	v_mul_f64 v[189:190], v[5:6], v[195:196]
	s_waitcnt vmcnt(56)
	v_fma_f64 v[127:128], v[121:122], v[185:186], -v[127:128]
	v_add_f64 v[133:134], v[133:134], v[175:176]
	v_fma_f64 v[175:176], v[123:124], v[185:186], v[204:205]
	v_add_f64 v[125:126], v[125:126], v[169:170]
	s_clause 0x4
	buffer_load_dword v170, off, s[0:3], 0 offset:588
	buffer_load_dword v185, off, s[0:3], 0 offset:600
	;; [unrolled: 1-line block ×5, first 2 shown]
	ds_read_b128 v[121:124], v182 offset:1248
	s_waitcnt vmcnt(57) lgkmcnt(1)
	v_mul_f64 v[204:205], v[1:2], v[145:146]
	v_mul_f64 v[145:146], v[3:4], v[145:146]
	s_waitcnt vmcnt(56)
	v_fma_f64 v[193:194], v[5:6], v[200:201], -v[193:194]
	v_add_f64 v[127:128], v[133:134], v[127:128]
	v_fma_f64 v[133:134], v[7:8], v[200:201], v[189:190]
	v_add_f64 v[125:126], v[125:126], v[175:176]
	s_clause 0x2
	buffer_load_dword v186, off, s[0:3], 0 offset:604
	buffer_load_dword v176, off, s[0:3], 0 offset:580
	;; [unrolled: 1-line block ×3, first 2 shown]
	ds_read_b128 v[5:8], v182 offset:1264
	s_waitcnt vmcnt(58) lgkmcnt(1)
	v_mul_f64 v[189:190], v[121:122], v[187:188]
	v_mul_f64 v[187:188], v[123:124], v[187:188]
	s_waitcnt vmcnt(56)
	v_fma_f64 v[145:146], v[1:2], v[139:140], -v[145:146]
	v_fma_f64 v[139:140], v[3:4], v[139:140], v[204:205]
	v_add_f64 v[127:128], v[127:128], v[193:194]
	v_add_f64 v[125:126], v[125:126], v[133:134]
	s_clause 0x4
	buffer_load_dword v134, off, s[0:3], 0 offset:620
	buffer_load_dword v193, off, s[0:3], 0 offset:632
	;; [unrolled: 1-line block ×5, first 2 shown]
	ds_read_b128 v[1:4], v182 offset:1280
	s_waitcnt vmcnt(57) lgkmcnt(1)
	v_mul_f64 v[200:201], v[5:6], v[131:132]
	v_mul_f64 v[131:132], v[7:8], v[131:132]
	s_waitcnt vmcnt(56)
	v_fma_f64 v[187:188], v[121:122], v[202:203], -v[187:188]
	v_add_f64 v[127:128], v[127:128], v[145:146]
	v_fma_f64 v[145:146], v[123:124], v[202:203], v[189:190]
	v_add_f64 v[125:126], v[125:126], v[139:140]
	s_clause 0x2
	buffer_load_dword v194, off, s[0:3], 0 offset:636
	buffer_load_dword v140, off, s[0:3], 0 offset:612
	;; [unrolled: 1-line block ×3, first 2 shown]
	ds_read_b128 v[121:124], v182 offset:1296
	s_waitcnt vmcnt(58) lgkmcnt(1)
	v_mul_f64 v[189:190], v[1:2], v[149:150]
	v_mul_f64 v[149:150], v[3:4], v[149:150]
	s_waitcnt vmcnt(56)
	v_fma_f64 v[131:132], v[5:6], v[137:138], -v[131:132]
	v_fma_f64 v[137:138], v[7:8], v[137:138], v[200:201]
	v_add_f64 v[127:128], v[127:128], v[187:188]
	v_add_f64 v[125:126], v[125:126], v[145:146]
	s_clause 0x4
	buffer_load_dword v146, off, s[0:3], 0 offset:652
	buffer_load_dword v187, off, s[0:3], 0 offset:664
	buffer_load_dword v201, off, s[0:3], 0 offset:656
	buffer_load_dword v145, off, s[0:3], 0 offset:648
	buffer_load_dword v200, off, s[0:3], 0 offset:628
	ds_read_b128 v[5:8], v182 offset:1312
	s_waitcnt vmcnt(57) lgkmcnt(1)
	v_mul_f64 v[202:203], v[121:122], v[135:136]
	v_mul_f64 v[135:136], v[123:124], v[135:136]
	s_waitcnt vmcnt(56)
	v_fma_f64 v[149:150], v[1:2], v[197:198], -v[149:150]
	v_add_f64 v[127:128], v[127:128], v[131:132]
	v_fma_f64 v[131:132], v[3:4], v[197:198], v[189:190]
	v_add_f64 v[125:126], v[125:126], v[137:138]
	s_clause 0x2
	buffer_load_dword v188, off, s[0:3], 0 offset:668
	buffer_load_dword v138, off, s[0:3], 0 offset:644
	;; [unrolled: 1-line block ×3, first 2 shown]
	s_waitcnt vmcnt(58) lgkmcnt(0)
	v_mul_f64 v[189:190], v[5:6], v[157:158]
	v_mul_f64 v[157:158], v[7:8], v[157:158]
	ds_read_b128 v[1:4], v182 offset:1328
	s_waitcnt vmcnt(56)
	v_fma_f64 v[135:136], v[121:122], v[143:144], -v[135:136]
	v_fma_f64 v[143:144], v[123:124], v[143:144], v[202:203]
	v_add_f64 v[127:128], v[127:128], v[149:150]
	v_add_f64 v[125:126], v[125:126], v[131:132]
	s_clause 0x4
	buffer_load_dword v132, off, s[0:3], 0 offset:684
	buffer_load_dword v149, off, s[0:3], 0 offset:696
	;; [unrolled: 1-line block ×5, first 2 shown]
	ds_read_b128 v[121:124], v182 offset:1344
	s_waitcnt vmcnt(57) lgkmcnt(1)
	v_mul_f64 v[203:204], v[1:2], v[141:142]
	v_mul_f64 v[141:142], v[3:4], v[141:142]
	s_waitcnt vmcnt(56)
	v_fma_f64 v[157:158], v[5:6], v[183:184], -v[157:158]
	v_add_f64 v[127:128], v[127:128], v[135:136]
	v_fma_f64 v[135:136], v[7:8], v[183:184], v[189:190]
	v_add_f64 v[125:126], v[125:126], v[143:144]
	s_clause 0x2
	buffer_load_dword v150, off, s[0:3], 0 offset:700
	buffer_load_dword v144, off, s[0:3], 0 offset:676
	;; [unrolled: 1-line block ×3, first 2 shown]
	s_waitcnt vmcnt(58) lgkmcnt(0)
	v_mul_f64 v[183:184], v[121:122], v[163:164]
	v_mul_f64 v[163:164], v[123:124], v[163:164]
	ds_read_b128 v[5:8], v182 offset:1360
	s_waitcnt vmcnt(56)
	v_fma_f64 v[141:142], v[1:2], v[153:154], -v[141:142]
	v_fma_f64 v[153:154], v[3:4], v[153:154], v[203:204]
	v_add_f64 v[127:128], v[127:128], v[157:158]
	v_add_f64 v[125:126], v[125:126], v[135:136]
	s_clause 0x4
	buffer_load_dword v136, off, s[0:3], 0 offset:716
	buffer_load_dword v157, off, s[0:3], 0 offset:728
	buffer_load_dword v189, off, s[0:3], 0 offset:720
	buffer_load_dword v135, off, s[0:3], 0 offset:712
	buffer_load_dword v198, off, s[0:3], 0 offset:692
	ds_read_b128 v[1:4], v182 offset:1376
	s_waitcnt vmcnt(57) lgkmcnt(1)
	v_mul_f64 v[203:204], v[5:6], v[147:148]
	v_mul_f64 v[147:148], v[7:8], v[147:148]
	s_waitcnt vmcnt(56)
	v_fma_f64 v[163:164], v[121:122], v[165:166], -v[163:164]
	v_add_f64 v[127:128], v[127:128], v[141:142]
	v_fma_f64 v[141:142], v[123:124], v[165:166], v[183:184]
	v_add_f64 v[125:126], v[125:126], v[153:154]
	s_clause 0x2
	buffer_load_dword v158, off, s[0:3], 0 offset:732
	buffer_load_dword v154, off, s[0:3], 0 offset:708
	buffer_load_dword v153, off, s[0:3], 0 offset:704
	ds_read_b128 v[121:124], v182 offset:1392
	s_waitcnt vmcnt(58) lgkmcnt(1)
	v_mul_f64 v[165:166], v[1:2], v[171:172]
	v_mul_f64 v[171:172], v[3:4], v[171:172]
	s_waitcnt vmcnt(56)
	v_fma_f64 v[147:148], v[5:6], v[151:152], -v[147:148]
	v_fma_f64 v[151:152], v[7:8], v[151:152], v[203:204]
	v_add_f64 v[127:128], v[127:128], v[163:164]
	v_add_f64 v[125:126], v[125:126], v[141:142]
	s_clause 0x4
	buffer_load_dword v142, off, s[0:3], 0 offset:748
	buffer_load_dword v163, off, s[0:3], 0 offset:760
	buffer_load_dword v183, off, s[0:3], 0 offset:752
	buffer_load_dword v141, off, s[0:3], 0 offset:744
	buffer_load_dword v190, off, s[0:3], 0 offset:724
	ds_read_b128 v[5:8], v182 offset:1408
	s_waitcnt vmcnt(57) lgkmcnt(1)
	v_mul_f64 v[203:204], v[121:122], v[155:156]
	v_mul_f64 v[155:156], v[123:124], v[155:156]
	s_waitcnt vmcnt(56)
	v_fma_f64 v[171:172], v[1:2], v[173:174], -v[171:172]
	v_add_f64 v[127:128], v[127:128], v[147:148]
	v_fma_f64 v[147:148], v[3:4], v[173:174], v[165:166]
	v_add_f64 v[125:126], v[125:126], v[151:152]
	s_clause 0x2
	buffer_load_dword v164, off, s[0:3], 0 offset:764
	buffer_load_dword v152, off, s[0:3], 0 offset:740
	buffer_load_dword v151, off, s[0:3], 0 offset:736
	ds_read_b128 v[1:4], v182 offset:1424
	s_waitcnt vmcnt(58) lgkmcnt(1)
	v_mul_f64 v[173:174], v[7:8], v[177:178]
	v_mul_f64 v[165:166], v[5:6], v[177:178]
	;; [unrolled: 28-line block ×4, first 2 shown]
	s_waitcnt vmcnt(56)
	v_fma_f64 v[169:170], v[5:6], v[175:176], -v[169:170]
	v_add_f64 v[127:128], v[127:128], v[167:168]
	v_fma_f64 v[167:168], v[7:8], v[175:176], v[203:204]
	v_add_f64 v[125:126], v[125:126], v[161:162]
	s_clause 0x4
	buffer_load_dword v162, off, s[0:3], 0 offset:844
	buffer_load_dword v175, off, s[0:3], 0 offset:856
	;; [unrolled: 1-line block ×5, first 2 shown]
	ds_read_b128 v[5:8], v182 offset:1504
	s_waitcnt vmcnt(57) lgkmcnt(1)
	v_mul_f64 v[203:204], v[121:122], v[133:134]
	v_mul_f64 v[133:134], v[123:124], v[133:134]
	s_waitcnt vmcnt(56)
	v_fma_f64 v[185:186], v[1:2], v[195:196], -v[185:186]
	v_fma_f64 v[165:166], v[3:4], v[195:196], v[165:166]
	v_add_f64 v[127:128], v[127:128], v[169:170]
	v_add_f64 v[125:126], v[125:126], v[167:168]
	s_clause 0x2
	buffer_load_dword v176, off, s[0:3], 0 offset:860
	buffer_load_dword v168, off, s[0:3], 0 offset:836
	;; [unrolled: 1-line block ×3, first 2 shown]
	ds_read_b128 v[1:4], v182 offset:1520
	s_waitcnt vmcnt(58) lgkmcnt(1)
	v_mul_f64 v[169:170], v[5:6], v[193:194]
	v_mul_f64 v[193:194], v[7:8], v[193:194]
	s_waitcnt vmcnt(56)
	v_fma_f64 v[133:134], v[121:122], v[139:140], -v[133:134]
	v_fma_f64 v[139:140], v[123:124], v[139:140], v[203:204]
	v_add_f64 v[127:128], v[127:128], v[185:186]
	v_add_f64 v[125:126], v[125:126], v[165:166]
	s_clause 0x4
	buffer_load_dword v166, off, s[0:3], 0 offset:876
	buffer_load_dword v185, off, s[0:3], 0 offset:888
	;; [unrolled: 1-line block ×5, first 2 shown]
	ds_read_b128 v[121:124], v182 offset:1536
	s_waitcnt vmcnt(57) lgkmcnt(1)
	v_mul_f64 v[203:204], v[1:2], v[145:146]
	v_mul_f64 v[145:146], v[3:4], v[145:146]
	s_waitcnt vmcnt(56)
	v_fma_f64 v[193:194], v[5:6], v[199:200], -v[193:194]
	v_add_f64 v[127:128], v[127:128], v[133:134]
	v_fma_f64 v[133:134], v[7:8], v[199:200], v[169:170]
	v_add_f64 v[125:126], v[125:126], v[139:140]
	s_clause 0x2
	buffer_load_dword v186, off, s[0:3], 0 offset:892
	buffer_load_dword v140, off, s[0:3], 0 offset:868
	;; [unrolled: 1-line block ×3, first 2 shown]
	ds_read_b128 v[5:8], v182 offset:1552
	s_waitcnt vmcnt(58) lgkmcnt(1)
	v_mul_f64 v[169:170], v[121:122], v[187:188]
	v_mul_f64 v[187:188], v[123:124], v[187:188]
	s_waitcnt vmcnt(56)
	v_fma_f64 v[145:146], v[1:2], v[137:138], -v[145:146]
	v_fma_f64 v[137:138], v[3:4], v[137:138], v[203:204]
	v_add_f64 v[127:128], v[127:128], v[193:194]
	v_add_f64 v[125:126], v[125:126], v[133:134]
	s_clause 0x2
	buffer_load_dword v134, off, s[0:3], 0 offset:908
	buffer_load_dword v133, off, s[0:3], 0 offset:904
	buffer_load_dword v196, off, s[0:3], 0 offset:884
	ds_read_b128 v[1:4], v182 offset:1568
	s_waitcnt vmcnt(55) lgkmcnt(1)
	v_mul_f64 v[193:194], v[5:6], v[131:132]
	v_mul_f64 v[131:132], v[7:8], v[131:132]
	s_waitcnt vmcnt(54)
	v_fma_f64 v[187:188], v[121:122], v[201:202], -v[187:188]
	v_add_f64 v[127:128], v[127:128], v[145:146]
	v_fma_f64 v[145:146], v[123:124], v[201:202], v[169:170]
	v_add_f64 v[125:126], v[125:126], v[137:138]
	s_clause 0x1
	buffer_load_dword v138, off, s[0:3], 0 offset:900
	buffer_load_dword v137, off, s[0:3], 0 offset:896
	ds_read_b128 v[121:124], v182 offset:1584
	s_waitcnt vmcnt(55) lgkmcnt(1)
	v_mul_f64 v[169:170], v[1:2], v[149:150]
	v_mul_f64 v[149:150], v[3:4], v[149:150]
	s_waitcnt vmcnt(53)
	v_fma_f64 v[131:132], v[5:6], v[143:144], -v[131:132]
	v_fma_f64 v[143:144], v[7:8], v[143:144], v[193:194]
	ds_read_b128 v[5:8], v182 offset:1600
	v_add_f64 v[127:128], v[127:128], v[187:188]
	v_add_f64 v[125:126], v[125:126], v[145:146]
	s_waitcnt vmcnt(49) lgkmcnt(1)
	v_mul_f64 v[145:146], v[121:122], v[135:136]
	v_mul_f64 v[135:136], v[123:124], v[135:136]
	s_waitcnt vmcnt(48)
	v_fma_f64 v[149:150], v[1:2], v[197:198], -v[149:150]
	v_add_f64 v[127:128], v[127:128], v[131:132]
	v_fma_f64 v[131:132], v[3:4], v[197:198], v[169:170]
	v_add_f64 v[125:126], v[125:126], v[143:144]
	s_clause 0x3
	buffer_load_dword v143, off, s[0:3], 0 offset:32
	buffer_load_dword v144, off, s[0:3], 0 offset:36
	;; [unrolled: 1-line block ×4, first 2 shown]
	ds_read_b128 v[1:4], v182 offset:1616
	s_waitcnt vmcnt(51) lgkmcnt(1)
	v_mul_f64 v[187:188], v[5:6], v[157:158]
	v_mul_f64 v[157:158], v[7:8], v[157:158]
	s_waitcnt vmcnt(49)
	v_fma_f64 v[135:136], v[121:122], v[153:154], -v[135:136]
	v_fma_f64 v[145:146], v[123:124], v[153:154], v[145:146]
	ds_read_b128 v[121:124], v182 offset:1632
	v_add_f64 v[127:128], v[127:128], v[149:150]
	v_add_f64 v[125:126], v[125:126], v[131:132]
	s_waitcnt vmcnt(45) lgkmcnt(1)
	v_mul_f64 v[131:132], v[1:2], v[141:142]
	v_mul_f64 v[141:142], v[3:4], v[141:142]
	s_waitcnt vmcnt(44)
	v_fma_f64 v[149:150], v[5:6], v[189:190], -v[157:158]
	v_add_f64 v[127:128], v[127:128], v[135:136]
	v_fma_f64 v[135:136], v[7:8], v[189:190], v[187:188]
	v_add_f64 v[125:126], v[125:126], v[145:146]
	ds_read_b128 v[5:8], v182 offset:1648
	s_waitcnt vmcnt(43) lgkmcnt(1)
	v_mul_f64 v[153:154], v[123:124], v[163:164]
	v_mul_f64 v[145:146], v[121:122], v[163:164]
	s_waitcnt vmcnt(41)
	v_fma_f64 v[141:142], v[1:2], v[151:152], -v[141:142]
	v_fma_f64 v[131:132], v[3:4], v[151:152], v[131:132]
	ds_read_b128 v[1:4], v182 offset:1664
	v_add_f64 v[127:128], v[127:128], v[149:150]
	v_add_f64 v[125:126], v[125:126], v[135:136]
	s_waitcnt vmcnt(37) lgkmcnt(1)
	v_mul_f64 v[135:136], v[5:6], v[147:148]
	v_mul_f64 v[147:148], v[7:8], v[147:148]
	s_waitcnt vmcnt(36)
	v_fma_f64 v[149:150], v[121:122], v[183:184], -v[153:154]
	v_add_f64 v[127:128], v[127:128], v[141:142]
	v_fma_f64 v[141:142], v[123:124], v[183:184], v[145:146]
	v_add_f64 v[125:126], v[125:126], v[131:132]
	ds_read_b128 v[121:124], v182 offset:1680
	s_waitcnt vmcnt(35) lgkmcnt(1)
	v_mul_f64 v[145:146], v[3:4], v[171:172]
	v_mul_f64 v[131:132], v[1:2], v[171:172]
	s_waitcnt vmcnt(33)
	v_fma_f64 v[147:148], v[5:6], v[159:160], -v[147:148]
	v_fma_f64 v[135:136], v[7:8], v[159:160], v[135:136]
	ds_read_b128 v[5:8], v182 offset:1696
	v_add_f64 v[127:128], v[127:128], v[149:150]
	v_add_f64 v[125:126], v[125:126], v[141:142]
	s_waitcnt vmcnt(29) lgkmcnt(1)
	v_mul_f64 v[149:150], v[123:124], v[155:156]
	s_waitcnt vmcnt(28)
	v_fma_f64 v[145:146], v[1:2], v[177:178], -v[145:146]
	v_mul_f64 v[141:142], v[121:122], v[155:156]
	v_fma_f64 v[131:132], v[3:4], v[177:178], v[131:132]
	ds_read_b128 v[1:4], v182 offset:1712
	v_add_f64 v[127:128], v[127:128], v[147:148]
	v_add_f64 v[125:126], v[125:126], v[135:136]
	s_waitcnt vmcnt(27) lgkmcnt(1)
	v_mul_f64 v[147:148], v[7:8], v[173:174]
	v_mul_f64 v[135:136], v[5:6], v[173:174]
	s_waitcnt vmcnt(25)
	v_fma_f64 v[149:150], v[121:122], v[129:130], -v[149:150]
	v_fma_f64 v[129:130], v[123:124], v[129:130], v[141:142]
	ds_read_b128 v[121:124], v182 offset:1728
	v_add_f64 v[127:128], v[127:128], v[145:146]
	v_add_f64 v[125:126], v[125:126], v[131:132]
	s_waitcnt vmcnt(21) lgkmcnt(1)
	v_mul_f64 v[141:142], v[3:4], v[161:162]
	s_waitcnt vmcnt(20)
	v_fma_f64 v[145:146], v[5:6], v[179:180], -v[147:148]
	v_mul_f64 v[131:132], v[1:2], v[161:162]
	v_fma_f64 v[135:136], v[7:8], v[179:180], v[135:136]
	ds_read_b128 v[5:8], v182 offset:1744
	v_add_f64 v[127:128], v[127:128], v[149:150]
	v_add_f64 v[125:126], v[125:126], v[129:130]
	;; [unrolled: 18-line block ×3, first 2 shown]
	s_waitcnt vmcnt(11) lgkmcnt(1)
	v_mul_f64 v[141:142], v[3:4], v[185:186]
	v_mul_f64 v[131:132], v[1:2], v[185:186]
	s_waitcnt vmcnt(9)
	v_fma_f64 v[5:6], v[5:6], v[139:140], -v[145:146]
	v_fma_f64 v[7:8], v[7:8], v[139:140], v[135:136]
	v_add_f64 v[127:128], v[127:128], v[147:148]
	v_add_f64 v[125:126], v[125:126], v[129:130]
	s_waitcnt vmcnt(7) lgkmcnt(0)
	v_mul_f64 v[129:130], v[121:122], v[133:134]
	v_mul_f64 v[133:134], v[123:124], v[133:134]
	s_waitcnt vmcnt(6)
	v_fma_f64 v[1:2], v[1:2], v[195:196], -v[141:142]
	v_fma_f64 v[3:4], v[3:4], v[195:196], v[131:132]
	v_add_f64 v[5:6], v[127:128], v[5:6]
	v_add_f64 v[7:8], v[125:126], v[7:8]
	s_waitcnt vmcnt(4)
	v_fma_f64 v[121:122], v[121:122], v[137:138], -v[133:134]
	v_add_f64 v[1:2], v[5:6], v[1:2]
	v_fma_f64 v[5:6], v[123:124], v[137:138], v[129:130]
	v_add_f64 v[3:4], v[7:8], v[3:4]
	v_add_f64 v[1:2], v[1:2], v[121:122]
	;; [unrolled: 1-line block ×3, first 2 shown]
	s_waitcnt vmcnt(2)
	v_add_f64 v[1:2], v[143:144], -v[1:2]
	s_waitcnt vmcnt(0)
	v_add_f64 v[3:4], v[169:170], -v[3:4]
	buffer_store_dword v2, off, s[0:3], 0 offset:36
	buffer_store_dword v1, off, s[0:3], 0 offset:32
	;; [unrolled: 1-line block ×4, first 2 shown]
	v_cmpx_ne_u32_e32 0, v0
	s_cbranch_execz .LBB119_349
; %bb.348:
	s_clause 0x3
	buffer_load_dword v0, off, s[0:3], 0 offset:16
	buffer_load_dword v1, off, s[0:3], 0 offset:20
	;; [unrolled: 1-line block ×4, first 2 shown]
	v_mov_b32_e32 v4, 0
	buffer_store_dword v4, off, s[0:3], 0 offset:16
	buffer_store_dword v4, off, s[0:3], 0 offset:20
	;; [unrolled: 1-line block ×4, first 2 shown]
	s_waitcnt vmcnt(0)
	ds_write_b128 v181, v[0:3]
.LBB119_349:
	s_or_b32 exec_lo, exec_lo, s4
	s_waitcnt lgkmcnt(0)
	s_waitcnt_vscnt null, 0x0
	s_barrier
	buffer_gl0_inv
	s_clause 0x37
	buffer_load_dword v129, off, s[0:3], 0 offset:40
	buffer_load_dword v130, off, s[0:3], 0 offset:44
	;; [unrolled: 1-line block ×56, first 2 shown]
	v_mov_b32_e32 v8, 0
	s_and_b32 vcc_lo, exec_lo, s68
	ds_read_b128 v[4:7], v8 offset:912
	s_clause 0x2
	buffer_load_dword v178, off, s[0:3], 0 offset:268
	buffer_load_dword v180, off, s[0:3], 0 offset:244
	;; [unrolled: 1-line block ×3, first 2 shown]
	ds_read_b128 v[0:3], v8 offset:928
	s_clause 0x4
	buffer_load_dword v188, off, s[0:3], 0 offset:284
	buffer_load_dword v189, off, s[0:3], 0 offset:296
	;; [unrolled: 1-line block ×5, first 2 shown]
	ds_read_b128 v[181:184], v8 offset:944
	s_waitcnt vmcnt(62) lgkmcnt(2)
	v_mul_f64 v[185:186], v[6:7], v[129:130]
	v_mul_f64 v[129:130], v[4:5], v[129:130]
	s_waitcnt vmcnt(60) lgkmcnt(1)
	v_mul_f64 v[192:193], v[2:3], v[125:126]
	v_mul_f64 v[125:126], v[0:1], v[125:126]
	s_waitcnt vmcnt(56) lgkmcnt(0)
	v_mul_f64 v[194:195], v[181:182], v[123:124]
	v_mul_f64 v[123:124], v[183:184], v[123:124]
	v_fma_f64 v[185:186], v[4:5], v[127:128], -v[185:186]
	v_fma_f64 v[127:128], v[6:7], v[127:128], v[129:130]
	s_clause 0x2
	buffer_load_dword v190, off, s[0:3], 0 offset:300
	buffer_load_dword v130, off, s[0:3], 0 offset:276
	;; [unrolled: 1-line block ×3, first 2 shown]
	s_waitcnt vmcnt(57)
	v_fma_f64 v[196:197], v[0:1], v[121:122], -v[192:193]
	ds_read_b128 v[4:7], v8 offset:960
	v_fma_f64 v[121:122], v[2:3], v[121:122], v[125:126]
	s_waitcnt vmcnt(51)
	v_fma_f64 v[181:182], v[181:182], v[145:146], -v[123:124]
	v_fma_f64 v[145:146], v[183:184], v[145:146], v[194:195]
	v_add_f64 v[185:186], v[185:186], 0
	v_add_f64 v[125:126], v[127:128], 0
	s_clause 0x4
	buffer_load_dword v128, off, s[0:3], 0 offset:316
	buffer_load_dword v193, off, s[0:3], 0 offset:328
	buffer_load_dword v198, off, s[0:3], 0 offset:320
	buffer_load_dword v127, off, s[0:3], 0 offset:312
	buffer_load_dword v192, off, s[0:3], 0 offset:292
	s_waitcnt lgkmcnt(0)
	v_mul_f64 v[199:200], v[4:5], v[133:134]
	v_mul_f64 v[133:134], v[6:7], v[133:134]
	ds_read_b128 v[0:3], v8 offset:976
	s_clause 0x2
	buffer_load_dword v194, off, s[0:3], 0 offset:332
	buffer_load_dword v184, off, s[0:3], 0 offset:308
	;; [unrolled: 1-line block ×3, first 2 shown]
	v_add_f64 v[185:186], v[185:186], v[196:197]
	v_add_f64 v[125:126], v[125:126], v[121:122]
	ds_read_b128 v[121:124], v8 offset:992
	s_waitcnt vmcnt(58) lgkmcnt(1)
	v_mul_f64 v[195:196], v[0:1], v[137:138]
	v_mul_f64 v[137:138], v[2:3], v[137:138]
	s_waitcnt vmcnt(56)
	v_fma_f64 v[133:134], v[4:5], v[139:140], -v[133:134]
	v_fma_f64 v[139:140], v[6:7], v[139:140], v[199:200]
	s_waitcnt vmcnt(52) lgkmcnt(0)
	v_mul_f64 v[201:202], v[121:122], v[141:142]
	v_add_f64 v[181:182], v[185:186], v[181:182]
	v_add_f64 v[125:126], v[125:126], v[145:146]
	s_clause 0x4
	buffer_load_dword v146, off, s[0:3], 0 offset:348
	buffer_load_dword v185, off, s[0:3], 0 offset:360
	;; [unrolled: 1-line block ×5, first 2 shown]
	v_mul_f64 v[141:142], v[123:124], v[141:142]
	s_waitcnt vmcnt(56)
	v_fma_f64 v[137:138], v[0:1], v[131:132], -v[137:138]
	ds_read_b128 v[4:7], v8 offset:1008
	v_fma_f64 v[131:132], v[2:3], v[131:132], v[195:196]
	v_add_f64 v[133:134], v[181:182], v[133:134]
	v_add_f64 v[125:126], v[125:126], v[139:140]
	s_clause 0x2
	buffer_load_dword v186, off, s[0:3], 0 offset:364
	buffer_load_dword v140, off, s[0:3], 0 offset:340
	;; [unrolled: 1-line block ×3, first 2 shown]
	s_waitcnt vmcnt(58) lgkmcnt(0)
	v_mul_f64 v[181:182], v[4:5], v[147:148]
	v_mul_f64 v[147:148], v[6:7], v[147:148]
	s_waitcnt vmcnt(56)
	v_fma_f64 v[141:142], v[121:122], v[149:150], -v[141:142]
	ds_read_b128 v[0:3], v8 offset:1024
	v_add_f64 v[133:134], v[133:134], v[137:138]
	v_fma_f64 v[137:138], v[123:124], v[149:150], v[201:202]
	v_add_f64 v[125:126], v[125:126], v[131:132]
	s_clause 0x4
	buffer_load_dword v132, off, s[0:3], 0 offset:380
	buffer_load_dword v149, off, s[0:3], 0 offset:392
	;; [unrolled: 1-line block ×5, first 2 shown]
	s_waitcnt vmcnt(57) lgkmcnt(0)
	v_mul_f64 v[196:197], v[0:1], v[151:152]
	v_mul_f64 v[151:152], v[2:3], v[151:152]
	s_waitcnt vmcnt(56)
	v_fma_f64 v[147:148], v[4:5], v[135:136], -v[147:148]
	ds_read_b128 v[121:124], v8 offset:1040
	v_fma_f64 v[135:136], v[6:7], v[135:136], v[181:182]
	v_add_f64 v[133:134], v[133:134], v[141:142]
	v_add_f64 v[125:126], v[125:126], v[137:138]
	s_clause 0x2
	buffer_load_dword v150, off, s[0:3], 0 offset:396
	buffer_load_dword v138, off, s[0:3], 0 offset:372
	;; [unrolled: 1-line block ×3, first 2 shown]
	ds_read_b128 v[4:7], v8 offset:1056
	s_waitcnt vmcnt(58) lgkmcnt(1)
	v_mul_f64 v[141:142], v[121:122], v[155:156]
	v_mul_f64 v[155:156], v[123:124], v[155:156]
	s_waitcnt vmcnt(56)
	v_fma_f64 v[151:152], v[0:1], v[157:158], -v[151:152]
	v_add_f64 v[133:134], v[133:134], v[147:148]
	v_fma_f64 v[147:148], v[2:3], v[157:158], v[196:197]
	v_add_f64 v[125:126], v[125:126], v[135:136]
	s_clause 0x4
	buffer_load_dword v136, off, s[0:3], 0 offset:412
	buffer_load_dword v157, off, s[0:3], 0 offset:424
	;; [unrolled: 1-line block ×5, first 2 shown]
	s_waitcnt vmcnt(57) lgkmcnt(0)
	v_mul_f64 v[202:203], v[4:5], v[159:160]
	v_mul_f64 v[159:160], v[6:7], v[159:160]
	s_waitcnt vmcnt(56)
	v_fma_f64 v[155:156], v[121:122], v[143:144], -v[155:156]
	ds_read_b128 v[0:3], v8 offset:1072
	v_fma_f64 v[141:142], v[123:124], v[143:144], v[141:142]
	s_clause 0x2
	buffer_load_dword v158, off, s[0:3], 0 offset:428
	buffer_load_dword v144, off, s[0:3], 0 offset:404
	;; [unrolled: 1-line block ×3, first 2 shown]
	ds_read_b128 v[121:124], v8 offset:1088
	v_add_f64 v[133:134], v[133:134], v[151:152]
	v_add_f64 v[125:126], v[125:126], v[147:148]
	s_waitcnt vmcnt(58) lgkmcnt(1)
	v_mul_f64 v[151:152], v[2:3], v[163:164]
	s_waitcnt vmcnt(56)
	v_fma_f64 v[159:160], v[4:5], v[165:166], -v[159:160]
	v_mul_f64 v[147:148], v[0:1], v[163:164]
	v_add_f64 v[133:134], v[133:134], v[155:156]
	v_fma_f64 v[155:156], v[6:7], v[165:166], v[202:203]
	v_add_f64 v[125:126], v[125:126], v[141:142]
	s_clause 0x4
	buffer_load_dword v142, off, s[0:3], 0 offset:444
	buffer_load_dword v163, off, s[0:3], 0 offset:456
	;; [unrolled: 1-line block ×5, first 2 shown]
	s_waitcnt vmcnt(57) lgkmcnt(0)
	v_mul_f64 v[202:203], v[121:122], v[167:168]
	v_mul_f64 v[166:167], v[123:124], v[167:168]
	s_waitcnt vmcnt(56)
	v_fma_f64 v[151:152], v[0:1], v[153:154], -v[151:152]
	ds_read_b128 v[4:7], v8 offset:1104
	v_fma_f64 v[147:148], v[2:3], v[153:154], v[147:148]
	s_clause 0x2
	buffer_load_dword v164, off, s[0:3], 0 offset:460
	buffer_load_dword v154, off, s[0:3], 0 offset:436
	;; [unrolled: 1-line block ×3, first 2 shown]
	ds_read_b128 v[0:3], v8 offset:1120
	v_add_f64 v[133:134], v[133:134], v[159:160]
	v_add_f64 v[125:126], v[125:126], v[155:156]
	s_waitcnt vmcnt(58) lgkmcnt(1)
	v_mul_f64 v[159:160], v[6:7], v[171:172]
	s_waitcnt vmcnt(56)
	v_fma_f64 v[167:168], v[121:122], v[173:174], -v[166:167]
	v_mul_f64 v[155:156], v[4:5], v[171:172]
	v_add_f64 v[133:134], v[133:134], v[151:152]
	v_fma_f64 v[151:152], v[123:124], v[173:174], v[202:203]
	v_add_f64 v[125:126], v[125:126], v[147:148]
	s_clause 0x4
	buffer_load_dword v148, off, s[0:3], 0 offset:476
	buffer_load_dword v171, off, s[0:3], 0 offset:488
	;; [unrolled: 1-line block ×5, first 2 shown]
	s_waitcnt vmcnt(57) lgkmcnt(0)
	v_mul_f64 v[202:203], v[0:1], v[175:176]
	v_mul_f64 v[174:175], v[2:3], v[175:176]
	s_waitcnt vmcnt(56)
	v_fma_f64 v[159:160], v[4:5], v[161:162], -v[159:160]
	ds_read_b128 v[121:124], v8 offset:1136
	v_fma_f64 v[155:156], v[6:7], v[161:162], v[155:156]
	v_add_f64 v[133:134], v[133:134], v[167:168]
	v_add_f64 v[125:126], v[125:126], v[151:152]
	s_clause 0x2
	buffer_load_dword v172, off, s[0:3], 0 offset:492
	buffer_load_dword v152, off, s[0:3], 0 offset:468
	;; [unrolled: 1-line block ×3, first 2 shown]
	ds_read_b128 v[4:7], v8 offset:1152
	s_waitcnt vmcnt(58) lgkmcnt(1)
	v_mul_f64 v[167:168], v[123:124], v[177:178]
	s_waitcnt vmcnt(56)
	v_fma_f64 v[175:176], v[0:1], v[179:180], -v[174:175]
	v_mul_f64 v[161:162], v[121:122], v[177:178]
	v_add_f64 v[133:134], v[133:134], v[159:160]
	v_fma_f64 v[159:160], v[2:3], v[179:180], v[202:203]
	v_add_f64 v[125:126], v[125:126], v[155:156]
	s_clause 0x4
	buffer_load_dword v156, off, s[0:3], 0 offset:508
	buffer_load_dword v177, off, s[0:3], 0 offset:520
	;; [unrolled: 1-line block ×5, first 2 shown]
	s_waitcnt vmcnt(57) lgkmcnt(0)
	v_mul_f64 v[202:203], v[4:5], v[187:188]
	v_mul_f64 v[187:188], v[6:7], v[187:188]
	s_waitcnt vmcnt(56)
	v_fma_f64 v[167:168], v[121:122], v[169:170], -v[167:168]
	ds_read_b128 v[0:3], v8 offset:1168
	v_fma_f64 v[161:162], v[123:124], v[169:170], v[161:162]
	v_add_f64 v[133:134], v[133:134], v[175:176]
	v_add_f64 v[125:126], v[125:126], v[159:160]
	s_clause 0x2
	buffer_load_dword v178, off, s[0:3], 0 offset:524
	buffer_load_dword v160, off, s[0:3], 0 offset:500
	;; [unrolled: 1-line block ×3, first 2 shown]
	ds_read_b128 v[121:124], v8 offset:1184
	s_waitcnt vmcnt(58) lgkmcnt(1)
	v_mul_f64 v[175:176], v[2:3], v[189:190]
	v_mul_f64 v[169:170], v[0:1], v[189:190]
	s_waitcnt vmcnt(56)
	v_fma_f64 v[187:188], v[4:5], v[129:130], -v[187:188]
	v_fma_f64 v[129:130], v[6:7], v[129:130], v[202:203]
	v_add_f64 v[133:134], v[133:134], v[167:168]
	v_add_f64 v[125:126], v[125:126], v[161:162]
	s_clause 0x4
	buffer_load_dword v162, off, s[0:3], 0 offset:540
	buffer_load_dword v167, off, s[0:3], 0 offset:552
	;; [unrolled: 1-line block ×5, first 2 shown]
	ds_read_b128 v[4:7], v8 offset:1200
	s_waitcnt vmcnt(57) lgkmcnt(1)
	v_mul_f64 v[202:203], v[121:122], v[127:128]
	v_mul_f64 v[127:128], v[123:124], v[127:128]
	s_waitcnt vmcnt(56)
	v_fma_f64 v[175:176], v[0:1], v[191:192], -v[175:176]
	v_fma_f64 v[169:170], v[2:3], v[191:192], v[169:170]
	v_add_f64 v[133:134], v[133:134], v[187:188]
	v_add_f64 v[125:126], v[125:126], v[129:130]
	s_clause 0x2
	buffer_load_dword v168, off, s[0:3], 0 offset:556
	buffer_load_dword v130, off, s[0:3], 0 offset:532
	;; [unrolled: 1-line block ×3, first 2 shown]
	s_waitcnt vmcnt(58) lgkmcnt(0)
	v_mul_f64 v[191:192], v[6:7], v[193:194]
	ds_read_b128 v[0:3], v8 offset:1216
	v_mul_f64 v[187:188], v[4:5], v[193:194]
	s_waitcnt vmcnt(56)
	v_fma_f64 v[127:128], v[121:122], v[183:184], -v[127:128]
	v_add_f64 v[133:134], v[133:134], v[175:176]
	v_fma_f64 v[175:176], v[123:124], v[183:184], v[202:203]
	v_add_f64 v[125:126], v[125:126], v[169:170]
	s_clause 0x4
	buffer_load_dword v170, off, s[0:3], 0 offset:572
	buffer_load_dword v183, off, s[0:3], 0 offset:584
	;; [unrolled: 1-line block ×5, first 2 shown]
	ds_read_b128 v[121:124], v8 offset:1232
	s_waitcnt vmcnt(57) lgkmcnt(1)
	v_mul_f64 v[202:203], v[0:1], v[145:146]
	v_mul_f64 v[145:146], v[2:3], v[145:146]
	s_waitcnt vmcnt(56)
	v_fma_f64 v[191:192], v[4:5], v[198:199], -v[191:192]
	v_add_f64 v[127:128], v[133:134], v[127:128]
	v_fma_f64 v[133:134], v[6:7], v[198:199], v[187:188]
	v_add_f64 v[125:126], v[125:126], v[175:176]
	s_clause 0x2
	buffer_load_dword v184, off, s[0:3], 0 offset:588
	buffer_load_dword v176, off, s[0:3], 0 offset:564
	;; [unrolled: 1-line block ×3, first 2 shown]
	ds_read_b128 v[4:7], v8 offset:1248
	s_waitcnt vmcnt(58) lgkmcnt(1)
	v_mul_f64 v[187:188], v[121:122], v[185:186]
	v_mul_f64 v[185:186], v[123:124], v[185:186]
	s_waitcnt vmcnt(56)
	v_fma_f64 v[145:146], v[0:1], v[139:140], -v[145:146]
	v_fma_f64 v[139:140], v[2:3], v[139:140], v[202:203]
	v_add_f64 v[127:128], v[127:128], v[191:192]
	v_add_f64 v[125:126], v[125:126], v[133:134]
	s_clause 0x4
	buffer_load_dword v134, off, s[0:3], 0 offset:604
	buffer_load_dword v191, off, s[0:3], 0 offset:616
	;; [unrolled: 1-line block ×5, first 2 shown]
	ds_read_b128 v[0:3], v8 offset:1264
	s_waitcnt vmcnt(57) lgkmcnt(1)
	v_mul_f64 v[198:199], v[4:5], v[131:132]
	v_mul_f64 v[131:132], v[6:7], v[131:132]
	s_waitcnt vmcnt(56)
	v_fma_f64 v[185:186], v[121:122], v[200:201], -v[185:186]
	v_add_f64 v[127:128], v[127:128], v[145:146]
	v_fma_f64 v[145:146], v[123:124], v[200:201], v[187:188]
	v_add_f64 v[125:126], v[125:126], v[139:140]
	s_clause 0x2
	buffer_load_dword v192, off, s[0:3], 0 offset:620
	buffer_load_dword v140, off, s[0:3], 0 offset:596
	;; [unrolled: 1-line block ×3, first 2 shown]
	ds_read_b128 v[121:124], v8 offset:1280
	s_waitcnt vmcnt(58) lgkmcnt(1)
	v_mul_f64 v[187:188], v[0:1], v[149:150]
	v_mul_f64 v[149:150], v[2:3], v[149:150]
	s_waitcnt vmcnt(56)
	v_fma_f64 v[131:132], v[4:5], v[137:138], -v[131:132]
	v_fma_f64 v[137:138], v[6:7], v[137:138], v[198:199]
	v_add_f64 v[127:128], v[127:128], v[185:186]
	v_add_f64 v[125:126], v[125:126], v[145:146]
	s_clause 0x4
	buffer_load_dword v146, off, s[0:3], 0 offset:636
	buffer_load_dword v185, off, s[0:3], 0 offset:648
	;; [unrolled: 1-line block ×5, first 2 shown]
	ds_read_b128 v[4:7], v8 offset:1296
	s_waitcnt vmcnt(57) lgkmcnt(1)
	v_mul_f64 v[200:201], v[121:122], v[135:136]
	v_mul_f64 v[135:136], v[123:124], v[135:136]
	s_waitcnt vmcnt(56)
	v_fma_f64 v[149:150], v[0:1], v[195:196], -v[149:150]
	v_add_f64 v[127:128], v[127:128], v[131:132]
	v_fma_f64 v[131:132], v[2:3], v[195:196], v[187:188]
	v_add_f64 v[125:126], v[125:126], v[137:138]
	s_clause 0x2
	buffer_load_dword v186, off, s[0:3], 0 offset:652
	buffer_load_dword v138, off, s[0:3], 0 offset:628
	;; [unrolled: 1-line block ×3, first 2 shown]
	s_waitcnt vmcnt(58) lgkmcnt(0)
	v_mul_f64 v[187:188], v[4:5], v[157:158]
	v_mul_f64 v[157:158], v[6:7], v[157:158]
	ds_read_b128 v[0:3], v8 offset:1312
	s_waitcnt vmcnt(56)
	v_fma_f64 v[135:136], v[121:122], v[143:144], -v[135:136]
	v_fma_f64 v[143:144], v[123:124], v[143:144], v[200:201]
	v_add_f64 v[127:128], v[127:128], v[149:150]
	v_add_f64 v[125:126], v[125:126], v[131:132]
	s_clause 0x4
	buffer_load_dword v132, off, s[0:3], 0 offset:668
	buffer_load_dword v149, off, s[0:3], 0 offset:680
	;; [unrolled: 1-line block ×5, first 2 shown]
	ds_read_b128 v[121:124], v8 offset:1328
	s_waitcnt vmcnt(57) lgkmcnt(1)
	v_mul_f64 v[201:202], v[0:1], v[141:142]
	v_mul_f64 v[141:142], v[2:3], v[141:142]
	s_waitcnt vmcnt(56)
	v_fma_f64 v[157:158], v[4:5], v[181:182], -v[157:158]
	v_add_f64 v[127:128], v[127:128], v[135:136]
	v_fma_f64 v[135:136], v[6:7], v[181:182], v[187:188]
	v_add_f64 v[125:126], v[125:126], v[143:144]
	s_clause 0x2
	buffer_load_dword v150, off, s[0:3], 0 offset:684
	buffer_load_dword v144, off, s[0:3], 0 offset:660
	;; [unrolled: 1-line block ×3, first 2 shown]
	s_waitcnt vmcnt(58) lgkmcnt(0)
	v_mul_f64 v[181:182], v[121:122], v[163:164]
	v_mul_f64 v[163:164], v[123:124], v[163:164]
	ds_read_b128 v[4:7], v8 offset:1344
	s_waitcnt vmcnt(56)
	v_fma_f64 v[141:142], v[0:1], v[153:154], -v[141:142]
	v_fma_f64 v[153:154], v[2:3], v[153:154], v[201:202]
	v_add_f64 v[127:128], v[127:128], v[157:158]
	v_add_f64 v[125:126], v[125:126], v[135:136]
	s_clause 0x4
	buffer_load_dword v136, off, s[0:3], 0 offset:700
	buffer_load_dword v157, off, s[0:3], 0 offset:712
	buffer_load_dword v187, off, s[0:3], 0 offset:704
	buffer_load_dword v135, off, s[0:3], 0 offset:696
	buffer_load_dword v196, off, s[0:3], 0 offset:676
	ds_read_b128 v[0:3], v8 offset:1360
	s_waitcnt vmcnt(57) lgkmcnt(1)
	v_mul_f64 v[201:202], v[4:5], v[147:148]
	v_mul_f64 v[147:148], v[6:7], v[147:148]
	s_waitcnt vmcnt(56)
	v_fma_f64 v[163:164], v[121:122], v[165:166], -v[163:164]
	v_add_f64 v[127:128], v[127:128], v[141:142]
	v_fma_f64 v[141:142], v[123:124], v[165:166], v[181:182]
	v_add_f64 v[125:126], v[125:126], v[153:154]
	s_clause 0x2
	buffer_load_dword v158, off, s[0:3], 0 offset:716
	buffer_load_dword v154, off, s[0:3], 0 offset:692
	buffer_load_dword v153, off, s[0:3], 0 offset:688
	ds_read_b128 v[121:124], v8 offset:1376
	s_waitcnt vmcnt(58) lgkmcnt(1)
	v_mul_f64 v[165:166], v[0:1], v[171:172]
	v_mul_f64 v[171:172], v[2:3], v[171:172]
	s_waitcnt vmcnt(56)
	v_fma_f64 v[147:148], v[4:5], v[151:152], -v[147:148]
	v_fma_f64 v[151:152], v[6:7], v[151:152], v[201:202]
	v_add_f64 v[127:128], v[127:128], v[163:164]
	v_add_f64 v[125:126], v[125:126], v[141:142]
	s_clause 0x4
	buffer_load_dword v142, off, s[0:3], 0 offset:732
	buffer_load_dword v163, off, s[0:3], 0 offset:744
	buffer_load_dword v181, off, s[0:3], 0 offset:736
	buffer_load_dword v141, off, s[0:3], 0 offset:728
	buffer_load_dword v188, off, s[0:3], 0 offset:708
	ds_read_b128 v[4:7], v8 offset:1392
	s_waitcnt vmcnt(57) lgkmcnt(1)
	v_mul_f64 v[201:202], v[121:122], v[155:156]
	v_mul_f64 v[155:156], v[123:124], v[155:156]
	s_waitcnt vmcnt(56)
	v_fma_f64 v[171:172], v[0:1], v[173:174], -v[171:172]
	v_add_f64 v[127:128], v[127:128], v[147:148]
	v_fma_f64 v[147:148], v[2:3], v[173:174], v[165:166]
	v_add_f64 v[125:126], v[125:126], v[151:152]
	s_clause 0x2
	buffer_load_dword v164, off, s[0:3], 0 offset:748
	buffer_load_dword v152, off, s[0:3], 0 offset:724
	buffer_load_dword v151, off, s[0:3], 0 offset:720
	ds_read_b128 v[0:3], v8 offset:1408
	s_waitcnt vmcnt(58) lgkmcnt(1)
	v_mul_f64 v[173:174], v[6:7], v[177:178]
	v_mul_f64 v[165:166], v[4:5], v[177:178]
	;; [unrolled: 28-line block ×4, first 2 shown]
	s_waitcnt vmcnt(56)
	v_fma_f64 v[169:170], v[4:5], v[175:176], -v[169:170]
	v_add_f64 v[127:128], v[127:128], v[167:168]
	v_fma_f64 v[167:168], v[6:7], v[175:176], v[201:202]
	v_add_f64 v[125:126], v[125:126], v[161:162]
	s_clause 0x4
	buffer_load_dword v162, off, s[0:3], 0 offset:828
	buffer_load_dword v175, off, s[0:3], 0 offset:840
	;; [unrolled: 1-line block ×5, first 2 shown]
	ds_read_b128 v[4:7], v8 offset:1488
	s_waitcnt vmcnt(57) lgkmcnt(1)
	v_mul_f64 v[201:202], v[121:122], v[133:134]
	v_mul_f64 v[133:134], v[123:124], v[133:134]
	s_waitcnt vmcnt(56)
	v_fma_f64 v[183:184], v[0:1], v[193:194], -v[183:184]
	v_fma_f64 v[165:166], v[2:3], v[193:194], v[165:166]
	v_add_f64 v[127:128], v[127:128], v[169:170]
	v_add_f64 v[125:126], v[125:126], v[167:168]
	s_clause 0x2
	buffer_load_dword v176, off, s[0:3], 0 offset:844
	buffer_load_dword v168, off, s[0:3], 0 offset:820
	buffer_load_dword v167, off, s[0:3], 0 offset:816
	ds_read_b128 v[0:3], v8 offset:1504
	s_waitcnt vmcnt(58) lgkmcnt(1)
	v_mul_f64 v[169:170], v[4:5], v[191:192]
	v_mul_f64 v[191:192], v[6:7], v[191:192]
	s_waitcnt vmcnt(56)
	v_fma_f64 v[133:134], v[121:122], v[139:140], -v[133:134]
	v_fma_f64 v[139:140], v[123:124], v[139:140], v[201:202]
	v_add_f64 v[127:128], v[127:128], v[183:184]
	v_add_f64 v[125:126], v[125:126], v[165:166]
	s_clause 0x4
	buffer_load_dword v166, off, s[0:3], 0 offset:860
	buffer_load_dword v183, off, s[0:3], 0 offset:872
	;; [unrolled: 1-line block ×5, first 2 shown]
	ds_read_b128 v[121:124], v8 offset:1520
	s_waitcnt vmcnt(57) lgkmcnt(1)
	v_mul_f64 v[201:202], v[0:1], v[145:146]
	v_mul_f64 v[145:146], v[2:3], v[145:146]
	s_waitcnt vmcnt(56)
	v_fma_f64 v[191:192], v[4:5], v[197:198], -v[191:192]
	v_add_f64 v[127:128], v[127:128], v[133:134]
	v_fma_f64 v[133:134], v[6:7], v[197:198], v[169:170]
	v_add_f64 v[125:126], v[125:126], v[139:140]
	s_clause 0x2
	buffer_load_dword v184, off, s[0:3], 0 offset:876
	buffer_load_dword v140, off, s[0:3], 0 offset:852
	;; [unrolled: 1-line block ×3, first 2 shown]
	ds_read_b128 v[4:7], v8 offset:1536
	s_waitcnt vmcnt(58) lgkmcnt(1)
	v_mul_f64 v[169:170], v[121:122], v[185:186]
	v_mul_f64 v[185:186], v[123:124], v[185:186]
	s_waitcnt vmcnt(56)
	v_fma_f64 v[145:146], v[0:1], v[137:138], -v[145:146]
	v_fma_f64 v[137:138], v[2:3], v[137:138], v[201:202]
	v_add_f64 v[127:128], v[127:128], v[191:192]
	v_add_f64 v[125:126], v[125:126], v[133:134]
	s_clause 0x4
	buffer_load_dword v134, off, s[0:3], 0 offset:892
	buffer_load_dword v191, off, s[0:3], 0 offset:904
	;; [unrolled: 1-line block ×5, first 2 shown]
	ds_read_b128 v[0:3], v8 offset:1552
	s_waitcnt vmcnt(57) lgkmcnt(1)
	v_mul_f64 v[201:202], v[4:5], v[131:132]
	v_mul_f64 v[131:132], v[6:7], v[131:132]
	s_waitcnt vmcnt(56)
	v_fma_f64 v[185:186], v[121:122], v[199:200], -v[185:186]
	v_add_f64 v[127:128], v[127:128], v[145:146]
	v_fma_f64 v[145:146], v[123:124], v[199:200], v[169:170]
	v_add_f64 v[125:126], v[125:126], v[137:138]
	s_clause 0x2
	buffer_load_dword v192, off, s[0:3], 0 offset:908
	buffer_load_dword v138, off, s[0:3], 0 offset:884
	;; [unrolled: 1-line block ×3, first 2 shown]
	ds_read_b128 v[121:124], v8 offset:1568
	buffer_load_dword v198, off, s[0:3], 0 offset:900
	s_waitcnt vmcnt(59) lgkmcnt(1)
	v_mul_f64 v[169:170], v[0:1], v[149:150]
	v_mul_f64 v[149:150], v[2:3], v[149:150]
	s_waitcnt vmcnt(57)
	v_fma_f64 v[131:132], v[4:5], v[143:144], -v[131:132]
	v_fma_f64 v[143:144], v[6:7], v[143:144], v[201:202]
	ds_read_b128 v[4:7], v8 offset:1584
	v_add_f64 v[127:128], v[127:128], v[185:186]
	v_add_f64 v[125:126], v[125:126], v[145:146]
	s_waitcnt vmcnt(53) lgkmcnt(1)
	v_mul_f64 v[145:146], v[121:122], v[135:136]
	v_mul_f64 v[135:136], v[123:124], v[135:136]
	s_waitcnt vmcnt(52)
	v_fma_f64 v[149:150], v[0:1], v[195:196], -v[149:150]
	v_add_f64 v[127:128], v[127:128], v[131:132]
	v_fma_f64 v[131:132], v[2:3], v[195:196], v[169:170]
	v_add_f64 v[125:126], v[125:126], v[143:144]
	ds_read_b128 v[0:3], v8 offset:1600
	s_waitcnt vmcnt(51) lgkmcnt(1)
	v_mul_f64 v[143:144], v[4:5], v[157:158]
	v_mul_f64 v[157:158], v[6:7], v[157:158]
	s_waitcnt vmcnt(49)
	v_fma_f64 v[135:136], v[121:122], v[153:154], -v[135:136]
	v_fma_f64 v[145:146], v[123:124], v[153:154], v[145:146]
	v_add_f64 v[127:128], v[127:128], v[149:150]
	v_add_f64 v[125:126], v[125:126], v[131:132]
	s_clause 0x3
	buffer_load_dword v131, off, s[0:3], 0 offset:16
	buffer_load_dword v132, off, s[0:3], 0 offset:20
	;; [unrolled: 1-line block ×4, first 2 shown]
	ds_read_b128 v[121:124], v8 offset:1616
	s_waitcnt vmcnt(49) lgkmcnt(1)
	v_mul_f64 v[153:154], v[0:1], v[141:142]
	v_mul_f64 v[141:142], v[2:3], v[141:142]
	s_waitcnt vmcnt(48)
	v_fma_f64 v[157:158], v[4:5], v[187:188], -v[157:158]
	v_add_f64 v[127:128], v[127:128], v[135:136]
	v_fma_f64 v[135:136], v[6:7], v[187:188], v[143:144]
	v_add_f64 v[125:126], v[125:126], v[145:146]
	ds_read_b128 v[4:7], v8 offset:1632
	s_waitcnt vmcnt(47) lgkmcnt(1)
	v_mul_f64 v[145:146], v[123:124], v[163:164]
	v_mul_f64 v[143:144], v[121:122], v[163:164]
	s_waitcnt vmcnt(45)
	v_fma_f64 v[141:142], v[0:1], v[151:152], -v[141:142]
	v_fma_f64 v[151:152], v[2:3], v[151:152], v[153:154]
	ds_read_b128 v[0:3], v8 offset:1648
	v_add_f64 v[127:128], v[127:128], v[157:158]
	v_add_f64 v[125:126], v[125:126], v[135:136]
	s_waitcnt vmcnt(41) lgkmcnt(1)
	v_mul_f64 v[135:136], v[4:5], v[147:148]
	v_mul_f64 v[147:148], v[6:7], v[147:148]
	s_waitcnt vmcnt(40)
	v_fma_f64 v[145:146], v[121:122], v[181:182], -v[145:146]
	v_add_f64 v[127:128], v[127:128], v[141:142]
	v_fma_f64 v[141:142], v[123:124], v[181:182], v[143:144]
	v_add_f64 v[125:126], v[125:126], v[151:152]
	ds_read_b128 v[121:124], v8 offset:1664
	s_waitcnt vmcnt(39) lgkmcnt(1)
	v_mul_f64 v[151:152], v[2:3], v[171:172]
	v_mul_f64 v[143:144], v[0:1], v[171:172]
	s_waitcnt vmcnt(37)
	v_fma_f64 v[147:148], v[4:5], v[159:160], -v[147:148]
	v_fma_f64 v[135:136], v[6:7], v[159:160], v[135:136]
	ds_read_b128 v[4:7], v8 offset:1680
	v_add_f64 v[127:128], v[127:128], v[145:146]
	v_add_f64 v[125:126], v[125:126], v[141:142]
	s_waitcnt vmcnt(33) lgkmcnt(1)
	v_mul_f64 v[145:146], v[123:124], v[155:156]
	s_waitcnt vmcnt(32)
	v_fma_f64 v[151:152], v[0:1], v[177:178], -v[151:152]
	v_mul_f64 v[141:142], v[121:122], v[155:156]
	v_fma_f64 v[143:144], v[2:3], v[177:178], v[143:144]
	ds_read_b128 v[0:3], v8 offset:1696
	v_add_f64 v[127:128], v[127:128], v[147:148]
	v_add_f64 v[125:126], v[125:126], v[135:136]
	s_waitcnt vmcnt(31) lgkmcnt(1)
	v_mul_f64 v[147:148], v[6:7], v[173:174]
	v_mul_f64 v[135:136], v[4:5], v[173:174]
	s_waitcnt vmcnt(29)
	v_fma_f64 v[145:146], v[121:122], v[129:130], -v[145:146]
	v_fma_f64 v[129:130], v[123:124], v[129:130], v[141:142]
	ds_read_b128 v[121:124], v8 offset:1712
	v_add_f64 v[127:128], v[127:128], v[151:152]
	v_add_f64 v[125:126], v[125:126], v[143:144]
	s_waitcnt vmcnt(25) lgkmcnt(1)
	v_mul_f64 v[143:144], v[2:3], v[161:162]
	s_waitcnt vmcnt(24)
	v_fma_f64 v[147:148], v[4:5], v[179:180], -v[147:148]
	v_mul_f64 v[141:142], v[0:1], v[161:162]
	v_fma_f64 v[135:136], v[6:7], v[179:180], v[135:136]
	ds_read_b128 v[4:7], v8 offset:1728
	v_add_f64 v[127:128], v[127:128], v[145:146]
	v_add_f64 v[125:126], v[125:126], v[129:130]
	;; [unrolled: 18-line block ×3, first 2 shown]
	s_waitcnt vmcnt(15) lgkmcnt(1)
	v_mul_f64 v[143:144], v[2:3], v[183:184]
	v_mul_f64 v[141:142], v[0:1], v[183:184]
	s_waitcnt vmcnt(13)
	v_fma_f64 v[147:148], v[4:5], v[139:140], -v[147:148]
	v_fma_f64 v[135:136], v[6:7], v[139:140], v[135:136]
	ds_read_b128 v[4:7], v8 offset:1776
	v_add_f64 v[127:128], v[127:128], v[145:146]
	v_add_f64 v[125:126], v[125:126], v[129:130]
	s_waitcnt vmcnt(9) lgkmcnt(1)
	v_mul_f64 v[129:130], v[121:122], v[133:134]
	v_mul_f64 v[133:134], v[123:124], v[133:134]
	s_waitcnt vmcnt(8)
	v_fma_f64 v[0:1], v[0:1], v[193:194], -v[143:144]
	v_fma_f64 v[2:3], v[2:3], v[193:194], v[141:142]
	v_add_f64 v[127:128], v[127:128], v[147:148]
	v_add_f64 v[125:126], v[125:126], v[135:136]
	s_waitcnt vmcnt(7) lgkmcnt(0)
	v_mul_f64 v[139:140], v[6:7], v[191:192]
	v_mul_f64 v[135:136], v[4:5], v[191:192]
	s_waitcnt vmcnt(5)
	v_fma_f64 v[121:122], v[121:122], v[137:138], -v[133:134]
	v_fma_f64 v[123:124], v[123:124], v[137:138], v[129:130]
	v_add_f64 v[0:1], v[127:128], v[0:1]
	v_add_f64 v[2:3], v[125:126], v[2:3]
	s_waitcnt vmcnt(4)
	v_fma_f64 v[4:5], v[4:5], v[197:198], -v[139:140]
	v_fma_f64 v[6:7], v[6:7], v[197:198], v[135:136]
	v_add_f64 v[0:1], v[0:1], v[121:122]
	v_add_f64 v[2:3], v[2:3], v[123:124]
	;; [unrolled: 1-line block ×4, first 2 shown]
	s_waitcnt vmcnt(2)
	v_add_f64 v[0:1], v[131:132], -v[0:1]
	s_waitcnt vmcnt(0)
	v_add_f64 v[2:3], v[149:150], -v[2:3]
	buffer_store_dword v1, off, s[0:3], 0 offset:20
	buffer_store_dword v0, off, s[0:3], 0 offset:16
	;; [unrolled: 1-line block ×4, first 2 shown]
	s_cbranch_vccz .LBB119_460
; %bb.350:
	global_load_dword v0, v8, s[12:13] offset:216
	s_waitcnt vmcnt(0)
	v_add_nc_u32_e32 v0, -1, v0
	v_cmp_ne_u32_e32 vcc_lo, 54, v0
	s_cbranch_vccz .LBB119_352
; %bb.351:
	v_lshlrev_b32_e32 v0, 4, v0
	v_mov_b32_e32 v1, s9
	v_add_nc_u32_e32 v0, 16, v0
	s_clause 0x7
	buffer_load_dword v2, v0, s[0:3], 0 offen
	buffer_load_dword v3, v0, s[0:3], 0 offen offset:4
	buffer_load_dword v4, v0, s[0:3], 0 offen offset:8
	;; [unrolled: 1-line block ×6, first 2 shown]
	buffer_load_dword v121, v1, s[0:3], 0 offen
	s_waitcnt vmcnt(7)
	buffer_store_dword v2, v1, s[0:3], 0 offen
	s_waitcnt vmcnt(6)
	buffer_store_dword v3, v1, s[0:3], 0 offen offset:4
	s_waitcnt vmcnt(5)
	buffer_store_dword v4, v1, s[0:3], 0 offen offset:8
	;; [unrolled: 2-line block ×6, first 2 shown]
	s_waitcnt vmcnt(0)
	buffer_store_dword v121, v0, s[0:3], 0 offen
.LBB119_352:
	v_mov_b32_e32 v0, 0
	global_load_dword v1, v0, s[12:13] offset:212
	s_waitcnt vmcnt(0)
	v_add_nc_u32_e32 v1, -1, v1
	v_cmp_eq_u32_e32 vcc_lo, 53, v1
	s_cbranch_vccnz .LBB119_354
; %bb.353:
	v_lshlrev_b32_e32 v1, 4, v1
	v_mov_b32_e32 v2, s14
	v_add_nc_u32_e32 v1, 16, v1
	s_clause 0x7
	buffer_load_dword v3, v1, s[0:3], 0 offen
	buffer_load_dword v4, v1, s[0:3], 0 offen offset:4
	buffer_load_dword v5, v1, s[0:3], 0 offen offset:8
	;; [unrolled: 1-line block ×6, first 2 shown]
	buffer_load_dword v122, v2, s[0:3], 0 offen
	s_waitcnt vmcnt(7)
	buffer_store_dword v3, v2, s[0:3], 0 offen
	s_waitcnt vmcnt(6)
	buffer_store_dword v4, v2, s[0:3], 0 offen offset:4
	s_waitcnt vmcnt(5)
	buffer_store_dword v5, v2, s[0:3], 0 offen offset:8
	;; [unrolled: 2-line block ×6, first 2 shown]
	s_waitcnt vmcnt(0)
	buffer_store_dword v122, v1, s[0:3], 0 offen
.LBB119_354:
	global_load_dword v0, v0, s[12:13] offset:208
	s_waitcnt vmcnt(0)
	v_add_nc_u32_e32 v0, -1, v0
	v_cmp_eq_u32_e32 vcc_lo, 52, v0
	s_cbranch_vccnz .LBB119_356
; %bb.355:
	v_lshlrev_b32_e32 v0, 4, v0
	v_mov_b32_e32 v1, s15
	v_add_nc_u32_e32 v0, 16, v0
	s_clause 0x7
	buffer_load_dword v2, v0, s[0:3], 0 offen
	buffer_load_dword v3, v0, s[0:3], 0 offen offset:4
	buffer_load_dword v4, v0, s[0:3], 0 offen offset:8
	;; [unrolled: 1-line block ×6, first 2 shown]
	buffer_load_dword v121, v1, s[0:3], 0 offen
	s_waitcnt vmcnt(7)
	buffer_store_dword v2, v1, s[0:3], 0 offen
	s_waitcnt vmcnt(6)
	buffer_store_dword v3, v1, s[0:3], 0 offen offset:4
	s_waitcnt vmcnt(5)
	buffer_store_dword v4, v1, s[0:3], 0 offen offset:8
	;; [unrolled: 2-line block ×6, first 2 shown]
	s_waitcnt vmcnt(0)
	buffer_store_dword v121, v0, s[0:3], 0 offen
.LBB119_356:
	v_mov_b32_e32 v0, 0
	global_load_dword v1, v0, s[12:13] offset:204
	s_waitcnt vmcnt(0)
	v_add_nc_u32_e32 v1, -1, v1
	v_cmp_eq_u32_e32 vcc_lo, 51, v1
	s_cbranch_vccnz .LBB119_358
; %bb.357:
	v_lshlrev_b32_e32 v1, 4, v1
	v_mov_b32_e32 v2, s16
	v_add_nc_u32_e32 v1, 16, v1
	s_clause 0x7
	buffer_load_dword v3, v1, s[0:3], 0 offen
	buffer_load_dword v4, v1, s[0:3], 0 offen offset:4
	buffer_load_dword v5, v1, s[0:3], 0 offen offset:8
	;; [unrolled: 1-line block ×6, first 2 shown]
	buffer_load_dword v122, v2, s[0:3], 0 offen
	s_waitcnt vmcnt(7)
	buffer_store_dword v3, v2, s[0:3], 0 offen
	s_waitcnt vmcnt(6)
	buffer_store_dword v4, v2, s[0:3], 0 offen offset:4
	s_waitcnt vmcnt(5)
	buffer_store_dword v5, v2, s[0:3], 0 offen offset:8
	;; [unrolled: 2-line block ×6, first 2 shown]
	s_waitcnt vmcnt(0)
	buffer_store_dword v122, v1, s[0:3], 0 offen
.LBB119_358:
	global_load_dword v0, v0, s[12:13] offset:200
	s_waitcnt vmcnt(0)
	v_add_nc_u32_e32 v0, -1, v0
	v_cmp_eq_u32_e32 vcc_lo, 50, v0
	s_cbranch_vccnz .LBB119_360
; %bb.359:
	v_lshlrev_b32_e32 v0, 4, v0
	v_mov_b32_e32 v1, s17
	v_add_nc_u32_e32 v0, 16, v0
	s_clause 0x7
	buffer_load_dword v2, v0, s[0:3], 0 offen
	buffer_load_dword v3, v0, s[0:3], 0 offen offset:4
	buffer_load_dword v4, v0, s[0:3], 0 offen offset:8
	;; [unrolled: 1-line block ×6, first 2 shown]
	buffer_load_dword v121, v1, s[0:3], 0 offen
	s_waitcnt vmcnt(7)
	buffer_store_dword v2, v1, s[0:3], 0 offen
	s_waitcnt vmcnt(6)
	buffer_store_dword v3, v1, s[0:3], 0 offen offset:4
	s_waitcnt vmcnt(5)
	buffer_store_dword v4, v1, s[0:3], 0 offen offset:8
	;; [unrolled: 2-line block ×6, first 2 shown]
	s_waitcnt vmcnt(0)
	buffer_store_dword v121, v0, s[0:3], 0 offen
.LBB119_360:
	v_mov_b32_e32 v0, 0
	global_load_dword v1, v0, s[12:13] offset:196
	s_waitcnt vmcnt(0)
	v_add_nc_u32_e32 v1, -1, v1
	v_cmp_eq_u32_e32 vcc_lo, 49, v1
	s_cbranch_vccnz .LBB119_362
; %bb.361:
	v_lshlrev_b32_e32 v1, 4, v1
	v_mov_b32_e32 v2, s18
	v_add_nc_u32_e32 v1, 16, v1
	s_clause 0x7
	buffer_load_dword v3, v1, s[0:3], 0 offen
	buffer_load_dword v4, v1, s[0:3], 0 offen offset:4
	buffer_load_dword v5, v1, s[0:3], 0 offen offset:8
	;; [unrolled: 1-line block ×6, first 2 shown]
	buffer_load_dword v122, v2, s[0:3], 0 offen
	s_waitcnt vmcnt(7)
	buffer_store_dword v3, v2, s[0:3], 0 offen
	s_waitcnt vmcnt(6)
	buffer_store_dword v4, v2, s[0:3], 0 offen offset:4
	s_waitcnt vmcnt(5)
	buffer_store_dword v5, v2, s[0:3], 0 offen offset:8
	;; [unrolled: 2-line block ×6, first 2 shown]
	s_waitcnt vmcnt(0)
	buffer_store_dword v122, v1, s[0:3], 0 offen
.LBB119_362:
	global_load_dword v0, v0, s[12:13] offset:192
	s_waitcnt vmcnt(0)
	v_add_nc_u32_e32 v0, -1, v0
	v_cmp_eq_u32_e32 vcc_lo, 48, v0
	s_cbranch_vccnz .LBB119_364
; %bb.363:
	v_lshlrev_b32_e32 v0, 4, v0
	v_mov_b32_e32 v1, s19
	v_add_nc_u32_e32 v0, 16, v0
	s_clause 0x7
	buffer_load_dword v2, v0, s[0:3], 0 offen
	buffer_load_dword v3, v0, s[0:3], 0 offen offset:4
	buffer_load_dword v4, v0, s[0:3], 0 offen offset:8
	;; [unrolled: 1-line block ×6, first 2 shown]
	buffer_load_dword v121, v1, s[0:3], 0 offen
	s_waitcnt vmcnt(7)
	buffer_store_dword v2, v1, s[0:3], 0 offen
	s_waitcnt vmcnt(6)
	buffer_store_dword v3, v1, s[0:3], 0 offen offset:4
	s_waitcnt vmcnt(5)
	buffer_store_dword v4, v1, s[0:3], 0 offen offset:8
	;; [unrolled: 2-line block ×6, first 2 shown]
	s_waitcnt vmcnt(0)
	buffer_store_dword v121, v0, s[0:3], 0 offen
.LBB119_364:
	v_mov_b32_e32 v0, 0
	global_load_dword v1, v0, s[12:13] offset:188
	s_waitcnt vmcnt(0)
	v_add_nc_u32_e32 v1, -1, v1
	v_cmp_eq_u32_e32 vcc_lo, 47, v1
	s_cbranch_vccnz .LBB119_366
; %bb.365:
	v_lshlrev_b32_e32 v1, 4, v1
	v_mov_b32_e32 v2, s20
	v_add_nc_u32_e32 v1, 16, v1
	s_clause 0x7
	buffer_load_dword v3, v1, s[0:3], 0 offen
	buffer_load_dword v4, v1, s[0:3], 0 offen offset:4
	buffer_load_dword v5, v1, s[0:3], 0 offen offset:8
	;; [unrolled: 1-line block ×6, first 2 shown]
	buffer_load_dword v122, v2, s[0:3], 0 offen
	s_waitcnt vmcnt(7)
	buffer_store_dword v3, v2, s[0:3], 0 offen
	s_waitcnt vmcnt(6)
	buffer_store_dword v4, v2, s[0:3], 0 offen offset:4
	s_waitcnt vmcnt(5)
	buffer_store_dword v5, v2, s[0:3], 0 offen offset:8
	;; [unrolled: 2-line block ×6, first 2 shown]
	s_waitcnt vmcnt(0)
	buffer_store_dword v122, v1, s[0:3], 0 offen
.LBB119_366:
	global_load_dword v0, v0, s[12:13] offset:184
	s_waitcnt vmcnt(0)
	v_add_nc_u32_e32 v0, -1, v0
	v_cmp_eq_u32_e32 vcc_lo, 46, v0
	s_cbranch_vccnz .LBB119_368
; %bb.367:
	v_lshlrev_b32_e32 v0, 4, v0
	v_mov_b32_e32 v1, s21
	v_add_nc_u32_e32 v0, 16, v0
	s_clause 0x7
	buffer_load_dword v2, v0, s[0:3], 0 offen
	buffer_load_dword v3, v0, s[0:3], 0 offen offset:4
	buffer_load_dword v4, v0, s[0:3], 0 offen offset:8
	;; [unrolled: 1-line block ×6, first 2 shown]
	buffer_load_dword v121, v1, s[0:3], 0 offen
	s_waitcnt vmcnt(7)
	buffer_store_dword v2, v1, s[0:3], 0 offen
	s_waitcnt vmcnt(6)
	buffer_store_dword v3, v1, s[0:3], 0 offen offset:4
	s_waitcnt vmcnt(5)
	buffer_store_dword v4, v1, s[0:3], 0 offen offset:8
	;; [unrolled: 2-line block ×6, first 2 shown]
	s_waitcnt vmcnt(0)
	buffer_store_dword v121, v0, s[0:3], 0 offen
.LBB119_368:
	v_mov_b32_e32 v0, 0
	global_load_dword v1, v0, s[12:13] offset:180
	s_waitcnt vmcnt(0)
	v_add_nc_u32_e32 v1, -1, v1
	v_cmp_eq_u32_e32 vcc_lo, 45, v1
	s_cbranch_vccnz .LBB119_370
; %bb.369:
	v_lshlrev_b32_e32 v1, 4, v1
	v_mov_b32_e32 v2, s22
	v_add_nc_u32_e32 v1, 16, v1
	s_clause 0x7
	buffer_load_dword v3, v1, s[0:3], 0 offen
	buffer_load_dword v4, v1, s[0:3], 0 offen offset:4
	buffer_load_dword v5, v1, s[0:3], 0 offen offset:8
	buffer_load_dword v6, v1, s[0:3], 0 offen offset:12
	buffer_load_dword v7, v2, s[0:3], 0 offen offset:12
	buffer_load_dword v8, v2, s[0:3], 0 offen offset:8
	buffer_load_dword v121, v2, s[0:3], 0 offen offset:4
	buffer_load_dword v122, v2, s[0:3], 0 offen
	s_waitcnt vmcnt(7)
	buffer_store_dword v3, v2, s[0:3], 0 offen
	s_waitcnt vmcnt(6)
	buffer_store_dword v4, v2, s[0:3], 0 offen offset:4
	s_waitcnt vmcnt(5)
	buffer_store_dword v5, v2, s[0:3], 0 offen offset:8
	;; [unrolled: 2-line block ×6, first 2 shown]
	s_waitcnt vmcnt(0)
	buffer_store_dword v122, v1, s[0:3], 0 offen
.LBB119_370:
	global_load_dword v0, v0, s[12:13] offset:176
	s_waitcnt vmcnt(0)
	v_add_nc_u32_e32 v0, -1, v0
	v_cmp_eq_u32_e32 vcc_lo, 44, v0
	s_cbranch_vccnz .LBB119_372
; %bb.371:
	v_lshlrev_b32_e32 v0, 4, v0
	v_mov_b32_e32 v1, s23
	v_add_nc_u32_e32 v0, 16, v0
	s_clause 0x7
	buffer_load_dword v2, v0, s[0:3], 0 offen
	buffer_load_dword v3, v0, s[0:3], 0 offen offset:4
	buffer_load_dword v4, v0, s[0:3], 0 offen offset:8
	;; [unrolled: 1-line block ×6, first 2 shown]
	buffer_load_dword v121, v1, s[0:3], 0 offen
	s_waitcnt vmcnt(7)
	buffer_store_dword v2, v1, s[0:3], 0 offen
	s_waitcnt vmcnt(6)
	buffer_store_dword v3, v1, s[0:3], 0 offen offset:4
	s_waitcnt vmcnt(5)
	buffer_store_dword v4, v1, s[0:3], 0 offen offset:8
	s_waitcnt vmcnt(4)
	buffer_store_dword v5, v1, s[0:3], 0 offen offset:12
	s_waitcnt vmcnt(3)
	buffer_store_dword v6, v0, s[0:3], 0 offen offset:12
	s_waitcnt vmcnt(2)
	buffer_store_dword v7, v0, s[0:3], 0 offen offset:8
	s_waitcnt vmcnt(1)
	buffer_store_dword v8, v0, s[0:3], 0 offen offset:4
	s_waitcnt vmcnt(0)
	buffer_store_dword v121, v0, s[0:3], 0 offen
.LBB119_372:
	v_mov_b32_e32 v0, 0
	global_load_dword v1, v0, s[12:13] offset:172
	s_waitcnt vmcnt(0)
	v_add_nc_u32_e32 v1, -1, v1
	v_cmp_eq_u32_e32 vcc_lo, 43, v1
	s_cbranch_vccnz .LBB119_374
; %bb.373:
	v_lshlrev_b32_e32 v1, 4, v1
	v_mov_b32_e32 v2, s24
	v_add_nc_u32_e32 v1, 16, v1
	s_clause 0x7
	buffer_load_dword v3, v1, s[0:3], 0 offen
	buffer_load_dword v4, v1, s[0:3], 0 offen offset:4
	buffer_load_dword v5, v1, s[0:3], 0 offen offset:8
	;; [unrolled: 1-line block ×6, first 2 shown]
	buffer_load_dword v122, v2, s[0:3], 0 offen
	s_waitcnt vmcnt(7)
	buffer_store_dword v3, v2, s[0:3], 0 offen
	s_waitcnt vmcnt(6)
	buffer_store_dword v4, v2, s[0:3], 0 offen offset:4
	s_waitcnt vmcnt(5)
	buffer_store_dword v5, v2, s[0:3], 0 offen offset:8
	;; [unrolled: 2-line block ×6, first 2 shown]
	s_waitcnt vmcnt(0)
	buffer_store_dword v122, v1, s[0:3], 0 offen
.LBB119_374:
	global_load_dword v0, v0, s[12:13] offset:168
	s_waitcnt vmcnt(0)
	v_add_nc_u32_e32 v0, -1, v0
	v_cmp_eq_u32_e32 vcc_lo, 42, v0
	s_cbranch_vccnz .LBB119_376
; %bb.375:
	v_lshlrev_b32_e32 v0, 4, v0
	v_mov_b32_e32 v1, s25
	v_add_nc_u32_e32 v0, 16, v0
	s_clause 0x7
	buffer_load_dword v2, v0, s[0:3], 0 offen
	buffer_load_dword v3, v0, s[0:3], 0 offen offset:4
	buffer_load_dword v4, v0, s[0:3], 0 offen offset:8
	buffer_load_dword v5, v0, s[0:3], 0 offen offset:12
	buffer_load_dword v6, v1, s[0:3], 0 offen offset:12
	buffer_load_dword v7, v1, s[0:3], 0 offen offset:8
	buffer_load_dword v8, v1, s[0:3], 0 offen offset:4
	buffer_load_dword v121, v1, s[0:3], 0 offen
	s_waitcnt vmcnt(7)
	buffer_store_dword v2, v1, s[0:3], 0 offen
	s_waitcnt vmcnt(6)
	buffer_store_dword v3, v1, s[0:3], 0 offen offset:4
	s_waitcnt vmcnt(5)
	buffer_store_dword v4, v1, s[0:3], 0 offen offset:8
	;; [unrolled: 2-line block ×6, first 2 shown]
	s_waitcnt vmcnt(0)
	buffer_store_dword v121, v0, s[0:3], 0 offen
.LBB119_376:
	v_mov_b32_e32 v0, 0
	global_load_dword v1, v0, s[12:13] offset:164
	s_waitcnt vmcnt(0)
	v_add_nc_u32_e32 v1, -1, v1
	v_cmp_eq_u32_e32 vcc_lo, 41, v1
	s_cbranch_vccnz .LBB119_378
; %bb.377:
	v_lshlrev_b32_e32 v1, 4, v1
	v_mov_b32_e32 v2, s26
	v_add_nc_u32_e32 v1, 16, v1
	s_clause 0x7
	buffer_load_dword v3, v1, s[0:3], 0 offen
	buffer_load_dword v4, v1, s[0:3], 0 offen offset:4
	buffer_load_dword v5, v1, s[0:3], 0 offen offset:8
	;; [unrolled: 1-line block ×6, first 2 shown]
	buffer_load_dword v122, v2, s[0:3], 0 offen
	s_waitcnt vmcnt(7)
	buffer_store_dword v3, v2, s[0:3], 0 offen
	s_waitcnt vmcnt(6)
	buffer_store_dword v4, v2, s[0:3], 0 offen offset:4
	s_waitcnt vmcnt(5)
	buffer_store_dword v5, v2, s[0:3], 0 offen offset:8
	;; [unrolled: 2-line block ×6, first 2 shown]
	s_waitcnt vmcnt(0)
	buffer_store_dword v122, v1, s[0:3], 0 offen
.LBB119_378:
	global_load_dword v0, v0, s[12:13] offset:160
	s_waitcnt vmcnt(0)
	v_add_nc_u32_e32 v0, -1, v0
	v_cmp_eq_u32_e32 vcc_lo, 40, v0
	s_cbranch_vccnz .LBB119_380
; %bb.379:
	v_lshlrev_b32_e32 v0, 4, v0
	v_mov_b32_e32 v1, s27
	v_add_nc_u32_e32 v0, 16, v0
	s_clause 0x7
	buffer_load_dword v2, v0, s[0:3], 0 offen
	buffer_load_dword v3, v0, s[0:3], 0 offen offset:4
	buffer_load_dword v4, v0, s[0:3], 0 offen offset:8
	;; [unrolled: 1-line block ×6, first 2 shown]
	buffer_load_dword v121, v1, s[0:3], 0 offen
	s_waitcnt vmcnt(7)
	buffer_store_dword v2, v1, s[0:3], 0 offen
	s_waitcnt vmcnt(6)
	buffer_store_dword v3, v1, s[0:3], 0 offen offset:4
	s_waitcnt vmcnt(5)
	buffer_store_dword v4, v1, s[0:3], 0 offen offset:8
	;; [unrolled: 2-line block ×6, first 2 shown]
	s_waitcnt vmcnt(0)
	buffer_store_dword v121, v0, s[0:3], 0 offen
.LBB119_380:
	v_mov_b32_e32 v0, 0
	global_load_dword v1, v0, s[12:13] offset:156
	s_waitcnt vmcnt(0)
	v_add_nc_u32_e32 v1, -1, v1
	v_cmp_eq_u32_e32 vcc_lo, 39, v1
	s_cbranch_vccnz .LBB119_382
; %bb.381:
	v_lshlrev_b32_e32 v1, 4, v1
	v_mov_b32_e32 v2, s28
	v_add_nc_u32_e32 v1, 16, v1
	s_clause 0x7
	buffer_load_dword v3, v1, s[0:3], 0 offen
	buffer_load_dword v4, v1, s[0:3], 0 offen offset:4
	buffer_load_dword v5, v1, s[0:3], 0 offen offset:8
	;; [unrolled: 1-line block ×6, first 2 shown]
	buffer_load_dword v122, v2, s[0:3], 0 offen
	s_waitcnt vmcnt(7)
	buffer_store_dword v3, v2, s[0:3], 0 offen
	s_waitcnt vmcnt(6)
	buffer_store_dword v4, v2, s[0:3], 0 offen offset:4
	s_waitcnt vmcnt(5)
	buffer_store_dword v5, v2, s[0:3], 0 offen offset:8
	;; [unrolled: 2-line block ×6, first 2 shown]
	s_waitcnt vmcnt(0)
	buffer_store_dword v122, v1, s[0:3], 0 offen
.LBB119_382:
	global_load_dword v0, v0, s[12:13] offset:152
	s_waitcnt vmcnt(0)
	v_add_nc_u32_e32 v0, -1, v0
	v_cmp_eq_u32_e32 vcc_lo, 38, v0
	s_cbranch_vccnz .LBB119_384
; %bb.383:
	v_lshlrev_b32_e32 v0, 4, v0
	v_mov_b32_e32 v1, s29
	v_add_nc_u32_e32 v0, 16, v0
	s_clause 0x7
	buffer_load_dword v2, v0, s[0:3], 0 offen
	buffer_load_dword v3, v0, s[0:3], 0 offen offset:4
	buffer_load_dword v4, v0, s[0:3], 0 offen offset:8
	;; [unrolled: 1-line block ×6, first 2 shown]
	buffer_load_dword v121, v1, s[0:3], 0 offen
	s_waitcnt vmcnt(7)
	buffer_store_dword v2, v1, s[0:3], 0 offen
	s_waitcnt vmcnt(6)
	buffer_store_dword v3, v1, s[0:3], 0 offen offset:4
	s_waitcnt vmcnt(5)
	buffer_store_dword v4, v1, s[0:3], 0 offen offset:8
	;; [unrolled: 2-line block ×6, first 2 shown]
	s_waitcnt vmcnt(0)
	buffer_store_dword v121, v0, s[0:3], 0 offen
.LBB119_384:
	v_mov_b32_e32 v0, 0
	global_load_dword v1, v0, s[12:13] offset:148
	s_waitcnt vmcnt(0)
	v_add_nc_u32_e32 v1, -1, v1
	v_cmp_eq_u32_e32 vcc_lo, 37, v1
	s_cbranch_vccnz .LBB119_386
; %bb.385:
	v_lshlrev_b32_e32 v1, 4, v1
	v_mov_b32_e32 v2, s30
	v_add_nc_u32_e32 v1, 16, v1
	s_clause 0x7
	buffer_load_dword v3, v1, s[0:3], 0 offen
	buffer_load_dword v4, v1, s[0:3], 0 offen offset:4
	buffer_load_dword v5, v1, s[0:3], 0 offen offset:8
	;; [unrolled: 1-line block ×6, first 2 shown]
	buffer_load_dword v122, v2, s[0:3], 0 offen
	s_waitcnt vmcnt(7)
	buffer_store_dword v3, v2, s[0:3], 0 offen
	s_waitcnt vmcnt(6)
	buffer_store_dword v4, v2, s[0:3], 0 offen offset:4
	s_waitcnt vmcnt(5)
	buffer_store_dword v5, v2, s[0:3], 0 offen offset:8
	;; [unrolled: 2-line block ×6, first 2 shown]
	s_waitcnt vmcnt(0)
	buffer_store_dword v122, v1, s[0:3], 0 offen
.LBB119_386:
	global_load_dword v0, v0, s[12:13] offset:144
	s_waitcnt vmcnt(0)
	v_add_nc_u32_e32 v0, -1, v0
	v_cmp_eq_u32_e32 vcc_lo, 36, v0
	s_cbranch_vccnz .LBB119_388
; %bb.387:
	v_lshlrev_b32_e32 v0, 4, v0
	v_mov_b32_e32 v1, s31
	v_add_nc_u32_e32 v0, 16, v0
	s_clause 0x7
	buffer_load_dword v2, v0, s[0:3], 0 offen
	buffer_load_dword v3, v0, s[0:3], 0 offen offset:4
	buffer_load_dword v4, v0, s[0:3], 0 offen offset:8
	buffer_load_dword v5, v0, s[0:3], 0 offen offset:12
	buffer_load_dword v6, v1, s[0:3], 0 offen offset:12
	buffer_load_dword v7, v1, s[0:3], 0 offen offset:8
	buffer_load_dword v8, v1, s[0:3], 0 offen offset:4
	buffer_load_dword v121, v1, s[0:3], 0 offen
	s_waitcnt vmcnt(7)
	buffer_store_dword v2, v1, s[0:3], 0 offen
	s_waitcnt vmcnt(6)
	buffer_store_dword v3, v1, s[0:3], 0 offen offset:4
	s_waitcnt vmcnt(5)
	buffer_store_dword v4, v1, s[0:3], 0 offen offset:8
	;; [unrolled: 2-line block ×6, first 2 shown]
	s_waitcnt vmcnt(0)
	buffer_store_dword v121, v0, s[0:3], 0 offen
.LBB119_388:
	v_mov_b32_e32 v0, 0
	global_load_dword v1, v0, s[12:13] offset:140
	s_waitcnt vmcnt(0)
	v_add_nc_u32_e32 v1, -1, v1
	v_cmp_eq_u32_e32 vcc_lo, 35, v1
	s_cbranch_vccnz .LBB119_390
; %bb.389:
	v_lshlrev_b32_e32 v1, 4, v1
	v_mov_b32_e32 v2, s33
	v_add_nc_u32_e32 v1, 16, v1
	s_clause 0x7
	buffer_load_dword v3, v1, s[0:3], 0 offen
	buffer_load_dword v4, v1, s[0:3], 0 offen offset:4
	buffer_load_dword v5, v1, s[0:3], 0 offen offset:8
	;; [unrolled: 1-line block ×6, first 2 shown]
	buffer_load_dword v122, v2, s[0:3], 0 offen
	s_waitcnt vmcnt(7)
	buffer_store_dword v3, v2, s[0:3], 0 offen
	s_waitcnt vmcnt(6)
	buffer_store_dword v4, v2, s[0:3], 0 offen offset:4
	s_waitcnt vmcnt(5)
	buffer_store_dword v5, v2, s[0:3], 0 offen offset:8
	s_waitcnt vmcnt(4)
	buffer_store_dword v6, v2, s[0:3], 0 offen offset:12
	s_waitcnt vmcnt(3)
	buffer_store_dword v7, v1, s[0:3], 0 offen offset:12
	s_waitcnt vmcnt(2)
	buffer_store_dword v8, v1, s[0:3], 0 offen offset:8
	s_waitcnt vmcnt(1)
	buffer_store_dword v121, v1, s[0:3], 0 offen offset:4
	s_waitcnt vmcnt(0)
	buffer_store_dword v122, v1, s[0:3], 0 offen
.LBB119_390:
	global_load_dword v0, v0, s[12:13] offset:136
	s_waitcnt vmcnt(0)
	v_add_nc_u32_e32 v0, -1, v0
	v_cmp_eq_u32_e32 vcc_lo, 34, v0
	s_cbranch_vccnz .LBB119_392
; %bb.391:
	v_lshlrev_b32_e32 v0, 4, v0
	v_mov_b32_e32 v1, s34
	v_add_nc_u32_e32 v0, 16, v0
	s_clause 0x7
	buffer_load_dword v2, v0, s[0:3], 0 offen
	buffer_load_dword v3, v0, s[0:3], 0 offen offset:4
	buffer_load_dword v4, v0, s[0:3], 0 offen offset:8
	;; [unrolled: 1-line block ×6, first 2 shown]
	buffer_load_dword v121, v1, s[0:3], 0 offen
	s_waitcnt vmcnt(7)
	buffer_store_dword v2, v1, s[0:3], 0 offen
	s_waitcnt vmcnt(6)
	buffer_store_dword v3, v1, s[0:3], 0 offen offset:4
	s_waitcnt vmcnt(5)
	buffer_store_dword v4, v1, s[0:3], 0 offen offset:8
	;; [unrolled: 2-line block ×6, first 2 shown]
	s_waitcnt vmcnt(0)
	buffer_store_dword v121, v0, s[0:3], 0 offen
.LBB119_392:
	v_mov_b32_e32 v0, 0
	global_load_dword v1, v0, s[12:13] offset:132
	s_waitcnt vmcnt(0)
	v_add_nc_u32_e32 v1, -1, v1
	v_cmp_eq_u32_e32 vcc_lo, 33, v1
	s_cbranch_vccnz .LBB119_394
; %bb.393:
	v_lshlrev_b32_e32 v1, 4, v1
	v_mov_b32_e32 v2, s35
	v_add_nc_u32_e32 v1, 16, v1
	s_clause 0x7
	buffer_load_dword v3, v1, s[0:3], 0 offen
	buffer_load_dword v4, v1, s[0:3], 0 offen offset:4
	buffer_load_dword v5, v1, s[0:3], 0 offen offset:8
	;; [unrolled: 1-line block ×6, first 2 shown]
	buffer_load_dword v122, v2, s[0:3], 0 offen
	s_waitcnt vmcnt(7)
	buffer_store_dword v3, v2, s[0:3], 0 offen
	s_waitcnt vmcnt(6)
	buffer_store_dword v4, v2, s[0:3], 0 offen offset:4
	s_waitcnt vmcnt(5)
	buffer_store_dword v5, v2, s[0:3], 0 offen offset:8
	;; [unrolled: 2-line block ×6, first 2 shown]
	s_waitcnt vmcnt(0)
	buffer_store_dword v122, v1, s[0:3], 0 offen
.LBB119_394:
	global_load_dword v0, v0, s[12:13] offset:128
	s_waitcnt vmcnt(0)
	v_add_nc_u32_e32 v0, -1, v0
	v_cmp_eq_u32_e32 vcc_lo, 32, v0
	s_cbranch_vccnz .LBB119_396
; %bb.395:
	v_lshlrev_b32_e32 v0, 4, v0
	v_mov_b32_e32 v1, s36
	v_add_nc_u32_e32 v0, 16, v0
	s_clause 0x7
	buffer_load_dword v2, v0, s[0:3], 0 offen
	buffer_load_dword v3, v0, s[0:3], 0 offen offset:4
	buffer_load_dword v4, v0, s[0:3], 0 offen offset:8
	;; [unrolled: 1-line block ×6, first 2 shown]
	buffer_load_dword v121, v1, s[0:3], 0 offen
	s_waitcnt vmcnt(7)
	buffer_store_dword v2, v1, s[0:3], 0 offen
	s_waitcnt vmcnt(6)
	buffer_store_dword v3, v1, s[0:3], 0 offen offset:4
	s_waitcnt vmcnt(5)
	buffer_store_dword v4, v1, s[0:3], 0 offen offset:8
	;; [unrolled: 2-line block ×6, first 2 shown]
	s_waitcnt vmcnt(0)
	buffer_store_dword v121, v0, s[0:3], 0 offen
.LBB119_396:
	v_mov_b32_e32 v0, 0
	global_load_dword v1, v0, s[12:13] offset:124
	s_waitcnt vmcnt(0)
	v_add_nc_u32_e32 v1, -1, v1
	v_cmp_eq_u32_e32 vcc_lo, 31, v1
	s_cbranch_vccnz .LBB119_398
; %bb.397:
	v_lshlrev_b32_e32 v1, 4, v1
	v_mov_b32_e32 v2, s37
	v_add_nc_u32_e32 v1, 16, v1
	s_clause 0x7
	buffer_load_dword v3, v1, s[0:3], 0 offen
	buffer_load_dword v4, v1, s[0:3], 0 offen offset:4
	buffer_load_dword v5, v1, s[0:3], 0 offen offset:8
	;; [unrolled: 1-line block ×6, first 2 shown]
	buffer_load_dword v122, v2, s[0:3], 0 offen
	s_waitcnt vmcnt(7)
	buffer_store_dword v3, v2, s[0:3], 0 offen
	s_waitcnt vmcnt(6)
	buffer_store_dword v4, v2, s[0:3], 0 offen offset:4
	s_waitcnt vmcnt(5)
	buffer_store_dword v5, v2, s[0:3], 0 offen offset:8
	;; [unrolled: 2-line block ×6, first 2 shown]
	s_waitcnt vmcnt(0)
	buffer_store_dword v122, v1, s[0:3], 0 offen
.LBB119_398:
	global_load_dword v0, v0, s[12:13] offset:120
	s_waitcnt vmcnt(0)
	v_add_nc_u32_e32 v0, -1, v0
	v_cmp_eq_u32_e32 vcc_lo, 30, v0
	s_cbranch_vccnz .LBB119_400
; %bb.399:
	v_lshlrev_b32_e32 v0, 4, v0
	v_mov_b32_e32 v1, s38
	v_add_nc_u32_e32 v0, 16, v0
	s_clause 0x7
	buffer_load_dword v2, v0, s[0:3], 0 offen
	buffer_load_dword v3, v0, s[0:3], 0 offen offset:4
	buffer_load_dword v4, v0, s[0:3], 0 offen offset:8
	;; [unrolled: 1-line block ×6, first 2 shown]
	buffer_load_dword v121, v1, s[0:3], 0 offen
	s_waitcnt vmcnt(7)
	buffer_store_dword v2, v1, s[0:3], 0 offen
	s_waitcnt vmcnt(6)
	buffer_store_dword v3, v1, s[0:3], 0 offen offset:4
	s_waitcnt vmcnt(5)
	buffer_store_dword v4, v1, s[0:3], 0 offen offset:8
	s_waitcnt vmcnt(4)
	buffer_store_dword v5, v1, s[0:3], 0 offen offset:12
	s_waitcnt vmcnt(3)
	buffer_store_dword v6, v0, s[0:3], 0 offen offset:12
	s_waitcnt vmcnt(2)
	buffer_store_dword v7, v0, s[0:3], 0 offen offset:8
	s_waitcnt vmcnt(1)
	buffer_store_dword v8, v0, s[0:3], 0 offen offset:4
	s_waitcnt vmcnt(0)
	buffer_store_dword v121, v0, s[0:3], 0 offen
.LBB119_400:
	v_mov_b32_e32 v0, 0
	global_load_dword v1, v0, s[12:13] offset:116
	s_waitcnt vmcnt(0)
	v_add_nc_u32_e32 v1, -1, v1
	v_cmp_eq_u32_e32 vcc_lo, 29, v1
	s_cbranch_vccnz .LBB119_402
; %bb.401:
	v_lshlrev_b32_e32 v1, 4, v1
	v_mov_b32_e32 v2, s39
	v_add_nc_u32_e32 v1, 16, v1
	s_clause 0x7
	buffer_load_dword v3, v1, s[0:3], 0 offen
	buffer_load_dword v4, v1, s[0:3], 0 offen offset:4
	buffer_load_dword v5, v1, s[0:3], 0 offen offset:8
	;; [unrolled: 1-line block ×6, first 2 shown]
	buffer_load_dword v122, v2, s[0:3], 0 offen
	s_waitcnt vmcnt(7)
	buffer_store_dword v3, v2, s[0:3], 0 offen
	s_waitcnt vmcnt(6)
	buffer_store_dword v4, v2, s[0:3], 0 offen offset:4
	s_waitcnt vmcnt(5)
	buffer_store_dword v5, v2, s[0:3], 0 offen offset:8
	;; [unrolled: 2-line block ×6, first 2 shown]
	s_waitcnt vmcnt(0)
	buffer_store_dword v122, v1, s[0:3], 0 offen
.LBB119_402:
	global_load_dword v0, v0, s[12:13] offset:112
	s_waitcnt vmcnt(0)
	v_add_nc_u32_e32 v0, -1, v0
	v_cmp_eq_u32_e32 vcc_lo, 28, v0
	s_cbranch_vccnz .LBB119_404
; %bb.403:
	v_lshlrev_b32_e32 v0, 4, v0
	v_mov_b32_e32 v1, s40
	v_add_nc_u32_e32 v0, 16, v0
	s_clause 0x7
	buffer_load_dword v2, v0, s[0:3], 0 offen
	buffer_load_dword v3, v0, s[0:3], 0 offen offset:4
	buffer_load_dword v4, v0, s[0:3], 0 offen offset:8
	;; [unrolled: 1-line block ×6, first 2 shown]
	buffer_load_dword v121, v1, s[0:3], 0 offen
	s_waitcnt vmcnt(7)
	buffer_store_dword v2, v1, s[0:3], 0 offen
	s_waitcnt vmcnt(6)
	buffer_store_dword v3, v1, s[0:3], 0 offen offset:4
	s_waitcnt vmcnt(5)
	buffer_store_dword v4, v1, s[0:3], 0 offen offset:8
	;; [unrolled: 2-line block ×6, first 2 shown]
	s_waitcnt vmcnt(0)
	buffer_store_dword v121, v0, s[0:3], 0 offen
.LBB119_404:
	v_mov_b32_e32 v0, 0
	global_load_dword v1, v0, s[12:13] offset:108
	s_waitcnt vmcnt(0)
	v_add_nc_u32_e32 v1, -1, v1
	v_cmp_eq_u32_e32 vcc_lo, 27, v1
	s_cbranch_vccnz .LBB119_406
; %bb.405:
	v_lshlrev_b32_e32 v1, 4, v1
	v_mov_b32_e32 v2, s41
	v_add_nc_u32_e32 v1, 16, v1
	s_clause 0x7
	buffer_load_dword v3, v1, s[0:3], 0 offen
	buffer_load_dword v4, v1, s[0:3], 0 offen offset:4
	buffer_load_dword v5, v1, s[0:3], 0 offen offset:8
	;; [unrolled: 1-line block ×6, first 2 shown]
	buffer_load_dword v122, v2, s[0:3], 0 offen
	s_waitcnt vmcnt(7)
	buffer_store_dword v3, v2, s[0:3], 0 offen
	s_waitcnt vmcnt(6)
	buffer_store_dword v4, v2, s[0:3], 0 offen offset:4
	s_waitcnt vmcnt(5)
	buffer_store_dword v5, v2, s[0:3], 0 offen offset:8
	;; [unrolled: 2-line block ×6, first 2 shown]
	s_waitcnt vmcnt(0)
	buffer_store_dword v122, v1, s[0:3], 0 offen
.LBB119_406:
	global_load_dword v0, v0, s[12:13] offset:104
	s_waitcnt vmcnt(0)
	v_add_nc_u32_e32 v0, -1, v0
	v_cmp_eq_u32_e32 vcc_lo, 26, v0
	s_cbranch_vccnz .LBB119_408
; %bb.407:
	v_lshlrev_b32_e32 v0, 4, v0
	v_mov_b32_e32 v1, s42
	v_add_nc_u32_e32 v0, 16, v0
	s_clause 0x7
	buffer_load_dword v2, v0, s[0:3], 0 offen
	buffer_load_dword v3, v0, s[0:3], 0 offen offset:4
	buffer_load_dword v4, v0, s[0:3], 0 offen offset:8
	buffer_load_dword v5, v0, s[0:3], 0 offen offset:12
	buffer_load_dword v6, v1, s[0:3], 0 offen offset:12
	buffer_load_dword v7, v1, s[0:3], 0 offen offset:8
	buffer_load_dword v8, v1, s[0:3], 0 offen offset:4
	buffer_load_dword v121, v1, s[0:3], 0 offen
	s_waitcnt vmcnt(7)
	buffer_store_dword v2, v1, s[0:3], 0 offen
	s_waitcnt vmcnt(6)
	buffer_store_dword v3, v1, s[0:3], 0 offen offset:4
	s_waitcnt vmcnt(5)
	buffer_store_dword v4, v1, s[0:3], 0 offen offset:8
	;; [unrolled: 2-line block ×6, first 2 shown]
	s_waitcnt vmcnt(0)
	buffer_store_dword v121, v0, s[0:3], 0 offen
.LBB119_408:
	v_mov_b32_e32 v0, 0
	global_load_dword v1, v0, s[12:13] offset:100
	s_waitcnt vmcnt(0)
	v_add_nc_u32_e32 v1, -1, v1
	v_cmp_eq_u32_e32 vcc_lo, 25, v1
	s_cbranch_vccnz .LBB119_410
; %bb.409:
	v_lshlrev_b32_e32 v1, 4, v1
	v_mov_b32_e32 v2, s43
	v_add_nc_u32_e32 v1, 16, v1
	s_clause 0x7
	buffer_load_dword v3, v1, s[0:3], 0 offen
	buffer_load_dword v4, v1, s[0:3], 0 offen offset:4
	buffer_load_dword v5, v1, s[0:3], 0 offen offset:8
	;; [unrolled: 1-line block ×6, first 2 shown]
	buffer_load_dword v122, v2, s[0:3], 0 offen
	s_waitcnt vmcnt(7)
	buffer_store_dword v3, v2, s[0:3], 0 offen
	s_waitcnt vmcnt(6)
	buffer_store_dword v4, v2, s[0:3], 0 offen offset:4
	s_waitcnt vmcnt(5)
	buffer_store_dword v5, v2, s[0:3], 0 offen offset:8
	s_waitcnt vmcnt(4)
	buffer_store_dword v6, v2, s[0:3], 0 offen offset:12
	s_waitcnt vmcnt(3)
	buffer_store_dword v7, v1, s[0:3], 0 offen offset:12
	s_waitcnt vmcnt(2)
	buffer_store_dword v8, v1, s[0:3], 0 offen offset:8
	s_waitcnt vmcnt(1)
	buffer_store_dword v121, v1, s[0:3], 0 offen offset:4
	s_waitcnt vmcnt(0)
	buffer_store_dword v122, v1, s[0:3], 0 offen
.LBB119_410:
	global_load_dword v0, v0, s[12:13] offset:96
	s_waitcnt vmcnt(0)
	v_add_nc_u32_e32 v0, -1, v0
	v_cmp_eq_u32_e32 vcc_lo, 24, v0
	s_cbranch_vccnz .LBB119_412
; %bb.411:
	v_lshlrev_b32_e32 v0, 4, v0
	v_mov_b32_e32 v1, s44
	v_add_nc_u32_e32 v0, 16, v0
	s_clause 0x7
	buffer_load_dword v2, v0, s[0:3], 0 offen
	buffer_load_dword v3, v0, s[0:3], 0 offen offset:4
	buffer_load_dword v4, v0, s[0:3], 0 offen offset:8
	;; [unrolled: 1-line block ×6, first 2 shown]
	buffer_load_dword v121, v1, s[0:3], 0 offen
	s_waitcnt vmcnt(7)
	buffer_store_dword v2, v1, s[0:3], 0 offen
	s_waitcnt vmcnt(6)
	buffer_store_dword v3, v1, s[0:3], 0 offen offset:4
	s_waitcnt vmcnt(5)
	buffer_store_dword v4, v1, s[0:3], 0 offen offset:8
	;; [unrolled: 2-line block ×6, first 2 shown]
	s_waitcnt vmcnt(0)
	buffer_store_dword v121, v0, s[0:3], 0 offen
.LBB119_412:
	v_mov_b32_e32 v0, 0
	global_load_dword v1, v0, s[12:13] offset:92
	s_waitcnt vmcnt(0)
	v_add_nc_u32_e32 v1, -1, v1
	v_cmp_eq_u32_e32 vcc_lo, 23, v1
	s_cbranch_vccnz .LBB119_414
; %bb.413:
	v_lshlrev_b32_e32 v1, 4, v1
	v_mov_b32_e32 v2, s45
	v_add_nc_u32_e32 v1, 16, v1
	s_clause 0x7
	buffer_load_dword v3, v1, s[0:3], 0 offen
	buffer_load_dword v4, v1, s[0:3], 0 offen offset:4
	buffer_load_dword v5, v1, s[0:3], 0 offen offset:8
	buffer_load_dword v6, v1, s[0:3], 0 offen offset:12
	buffer_load_dword v7, v2, s[0:3], 0 offen offset:12
	buffer_load_dword v8, v2, s[0:3], 0 offen offset:8
	buffer_load_dword v121, v2, s[0:3], 0 offen offset:4
	buffer_load_dword v122, v2, s[0:3], 0 offen
	s_waitcnt vmcnt(7)
	buffer_store_dword v3, v2, s[0:3], 0 offen
	s_waitcnt vmcnt(6)
	buffer_store_dword v4, v2, s[0:3], 0 offen offset:4
	s_waitcnt vmcnt(5)
	buffer_store_dword v5, v2, s[0:3], 0 offen offset:8
	;; [unrolled: 2-line block ×6, first 2 shown]
	s_waitcnt vmcnt(0)
	buffer_store_dword v122, v1, s[0:3], 0 offen
.LBB119_414:
	global_load_dword v0, v0, s[12:13] offset:88
	s_waitcnt vmcnt(0)
	v_add_nc_u32_e32 v0, -1, v0
	v_cmp_eq_u32_e32 vcc_lo, 22, v0
	s_cbranch_vccnz .LBB119_416
; %bb.415:
	v_lshlrev_b32_e32 v0, 4, v0
	v_mov_b32_e32 v1, s46
	v_add_nc_u32_e32 v0, 16, v0
	s_clause 0x7
	buffer_load_dword v2, v0, s[0:3], 0 offen
	buffer_load_dword v3, v0, s[0:3], 0 offen offset:4
	buffer_load_dword v4, v0, s[0:3], 0 offen offset:8
	;; [unrolled: 1-line block ×6, first 2 shown]
	buffer_load_dword v121, v1, s[0:3], 0 offen
	s_waitcnt vmcnt(7)
	buffer_store_dword v2, v1, s[0:3], 0 offen
	s_waitcnt vmcnt(6)
	buffer_store_dword v3, v1, s[0:3], 0 offen offset:4
	s_waitcnt vmcnt(5)
	buffer_store_dword v4, v1, s[0:3], 0 offen offset:8
	;; [unrolled: 2-line block ×6, first 2 shown]
	s_waitcnt vmcnt(0)
	buffer_store_dword v121, v0, s[0:3], 0 offen
.LBB119_416:
	v_mov_b32_e32 v0, 0
	global_load_dword v1, v0, s[12:13] offset:84
	s_waitcnt vmcnt(0)
	v_add_nc_u32_e32 v1, -1, v1
	v_cmp_eq_u32_e32 vcc_lo, 21, v1
	s_cbranch_vccnz .LBB119_418
; %bb.417:
	v_lshlrev_b32_e32 v1, 4, v1
	v_mov_b32_e32 v2, s47
	v_add_nc_u32_e32 v1, 16, v1
	s_clause 0x7
	buffer_load_dword v3, v1, s[0:3], 0 offen
	buffer_load_dword v4, v1, s[0:3], 0 offen offset:4
	buffer_load_dword v5, v1, s[0:3], 0 offen offset:8
	;; [unrolled: 1-line block ×6, first 2 shown]
	buffer_load_dword v122, v2, s[0:3], 0 offen
	s_waitcnt vmcnt(7)
	buffer_store_dword v3, v2, s[0:3], 0 offen
	s_waitcnt vmcnt(6)
	buffer_store_dword v4, v2, s[0:3], 0 offen offset:4
	s_waitcnt vmcnt(5)
	buffer_store_dword v5, v2, s[0:3], 0 offen offset:8
	;; [unrolled: 2-line block ×6, first 2 shown]
	s_waitcnt vmcnt(0)
	buffer_store_dword v122, v1, s[0:3], 0 offen
.LBB119_418:
	global_load_dword v0, v0, s[12:13] offset:80
	s_waitcnt vmcnt(0)
	v_add_nc_u32_e32 v0, -1, v0
	v_cmp_eq_u32_e32 vcc_lo, 20, v0
	s_cbranch_vccnz .LBB119_420
; %bb.419:
	v_lshlrev_b32_e32 v0, 4, v0
	v_mov_b32_e32 v1, s48
	v_add_nc_u32_e32 v0, 16, v0
	s_clause 0x7
	buffer_load_dword v2, v0, s[0:3], 0 offen
	buffer_load_dword v3, v0, s[0:3], 0 offen offset:4
	buffer_load_dword v4, v0, s[0:3], 0 offen offset:8
	;; [unrolled: 1-line block ×6, first 2 shown]
	buffer_load_dword v121, v1, s[0:3], 0 offen
	s_waitcnt vmcnt(7)
	buffer_store_dword v2, v1, s[0:3], 0 offen
	s_waitcnt vmcnt(6)
	buffer_store_dword v3, v1, s[0:3], 0 offen offset:4
	s_waitcnt vmcnt(5)
	buffer_store_dword v4, v1, s[0:3], 0 offen offset:8
	;; [unrolled: 2-line block ×6, first 2 shown]
	s_waitcnt vmcnt(0)
	buffer_store_dword v121, v0, s[0:3], 0 offen
.LBB119_420:
	v_mov_b32_e32 v0, 0
	global_load_dword v1, v0, s[12:13] offset:76
	s_waitcnt vmcnt(0)
	v_add_nc_u32_e32 v1, -1, v1
	v_cmp_eq_u32_e32 vcc_lo, 19, v1
	s_cbranch_vccnz .LBB119_422
; %bb.421:
	v_lshlrev_b32_e32 v1, 4, v1
	v_mov_b32_e32 v2, s49
	v_add_nc_u32_e32 v1, 16, v1
	s_clause 0x7
	buffer_load_dword v3, v1, s[0:3], 0 offen
	buffer_load_dword v4, v1, s[0:3], 0 offen offset:4
	buffer_load_dword v5, v1, s[0:3], 0 offen offset:8
	;; [unrolled: 1-line block ×6, first 2 shown]
	buffer_load_dword v122, v2, s[0:3], 0 offen
	s_waitcnt vmcnt(7)
	buffer_store_dword v3, v2, s[0:3], 0 offen
	s_waitcnt vmcnt(6)
	buffer_store_dword v4, v2, s[0:3], 0 offen offset:4
	s_waitcnt vmcnt(5)
	buffer_store_dword v5, v2, s[0:3], 0 offen offset:8
	;; [unrolled: 2-line block ×6, first 2 shown]
	s_waitcnt vmcnt(0)
	buffer_store_dword v122, v1, s[0:3], 0 offen
.LBB119_422:
	global_load_dword v0, v0, s[12:13] offset:72
	s_waitcnt vmcnt(0)
	v_add_nc_u32_e32 v0, -1, v0
	v_cmp_eq_u32_e32 vcc_lo, 18, v0
	s_cbranch_vccnz .LBB119_424
; %bb.423:
	v_lshlrev_b32_e32 v0, 4, v0
	v_mov_b32_e32 v1, s50
	v_add_nc_u32_e32 v0, 16, v0
	s_clause 0x7
	buffer_load_dword v2, v0, s[0:3], 0 offen
	buffer_load_dword v3, v0, s[0:3], 0 offen offset:4
	buffer_load_dword v4, v0, s[0:3], 0 offen offset:8
	;; [unrolled: 1-line block ×6, first 2 shown]
	buffer_load_dword v121, v1, s[0:3], 0 offen
	s_waitcnt vmcnt(7)
	buffer_store_dword v2, v1, s[0:3], 0 offen
	s_waitcnt vmcnt(6)
	buffer_store_dword v3, v1, s[0:3], 0 offen offset:4
	s_waitcnt vmcnt(5)
	buffer_store_dword v4, v1, s[0:3], 0 offen offset:8
	;; [unrolled: 2-line block ×6, first 2 shown]
	s_waitcnt vmcnt(0)
	buffer_store_dword v121, v0, s[0:3], 0 offen
.LBB119_424:
	v_mov_b32_e32 v0, 0
	global_load_dword v1, v0, s[12:13] offset:68
	s_waitcnt vmcnt(0)
	v_add_nc_u32_e32 v1, -1, v1
	v_cmp_eq_u32_e32 vcc_lo, 17, v1
	s_cbranch_vccnz .LBB119_426
; %bb.425:
	v_lshlrev_b32_e32 v1, 4, v1
	v_mov_b32_e32 v2, s51
	v_add_nc_u32_e32 v1, 16, v1
	s_clause 0x7
	buffer_load_dword v3, v1, s[0:3], 0 offen
	buffer_load_dword v4, v1, s[0:3], 0 offen offset:4
	buffer_load_dword v5, v1, s[0:3], 0 offen offset:8
	;; [unrolled: 1-line block ×6, first 2 shown]
	buffer_load_dword v122, v2, s[0:3], 0 offen
	s_waitcnt vmcnt(7)
	buffer_store_dword v3, v2, s[0:3], 0 offen
	s_waitcnt vmcnt(6)
	buffer_store_dword v4, v2, s[0:3], 0 offen offset:4
	s_waitcnt vmcnt(5)
	buffer_store_dword v5, v2, s[0:3], 0 offen offset:8
	;; [unrolled: 2-line block ×6, first 2 shown]
	s_waitcnt vmcnt(0)
	buffer_store_dword v122, v1, s[0:3], 0 offen
.LBB119_426:
	global_load_dword v0, v0, s[12:13] offset:64
	s_waitcnt vmcnt(0)
	v_add_nc_u32_e32 v0, -1, v0
	v_cmp_eq_u32_e32 vcc_lo, 16, v0
	s_cbranch_vccnz .LBB119_428
; %bb.427:
	v_lshlrev_b32_e32 v0, 4, v0
	v_mov_b32_e32 v1, s52
	v_add_nc_u32_e32 v0, 16, v0
	s_clause 0x7
	buffer_load_dword v2, v0, s[0:3], 0 offen
	buffer_load_dword v3, v0, s[0:3], 0 offen offset:4
	buffer_load_dword v4, v0, s[0:3], 0 offen offset:8
	;; [unrolled: 1-line block ×6, first 2 shown]
	buffer_load_dword v121, v1, s[0:3], 0 offen
	s_waitcnt vmcnt(7)
	buffer_store_dword v2, v1, s[0:3], 0 offen
	s_waitcnt vmcnt(6)
	buffer_store_dword v3, v1, s[0:3], 0 offen offset:4
	s_waitcnt vmcnt(5)
	buffer_store_dword v4, v1, s[0:3], 0 offen offset:8
	;; [unrolled: 2-line block ×6, first 2 shown]
	s_waitcnt vmcnt(0)
	buffer_store_dword v121, v0, s[0:3], 0 offen
.LBB119_428:
	v_mov_b32_e32 v0, 0
	global_load_dword v1, v0, s[12:13] offset:60
	s_waitcnt vmcnt(0)
	v_add_nc_u32_e32 v1, -1, v1
	v_cmp_eq_u32_e32 vcc_lo, 15, v1
	s_cbranch_vccnz .LBB119_430
; %bb.429:
	v_lshlrev_b32_e32 v1, 4, v1
	v_mov_b32_e32 v2, s53
	v_add_nc_u32_e32 v1, 16, v1
	s_clause 0x7
	buffer_load_dword v3, v1, s[0:3], 0 offen
	buffer_load_dword v4, v1, s[0:3], 0 offen offset:4
	buffer_load_dword v5, v1, s[0:3], 0 offen offset:8
	buffer_load_dword v6, v1, s[0:3], 0 offen offset:12
	buffer_load_dword v7, v2, s[0:3], 0 offen offset:12
	buffer_load_dword v8, v2, s[0:3], 0 offen offset:8
	buffer_load_dword v121, v2, s[0:3], 0 offen offset:4
	buffer_load_dword v122, v2, s[0:3], 0 offen
	s_waitcnt vmcnt(7)
	buffer_store_dword v3, v2, s[0:3], 0 offen
	s_waitcnt vmcnt(6)
	buffer_store_dword v4, v2, s[0:3], 0 offen offset:4
	s_waitcnt vmcnt(5)
	buffer_store_dword v5, v2, s[0:3], 0 offen offset:8
	;; [unrolled: 2-line block ×6, first 2 shown]
	s_waitcnt vmcnt(0)
	buffer_store_dword v122, v1, s[0:3], 0 offen
.LBB119_430:
	global_load_dword v0, v0, s[12:13] offset:56
	s_waitcnt vmcnt(0)
	v_add_nc_u32_e32 v0, -1, v0
	v_cmp_eq_u32_e32 vcc_lo, 14, v0
	s_cbranch_vccnz .LBB119_432
; %bb.431:
	v_lshlrev_b32_e32 v0, 4, v0
	v_mov_b32_e32 v1, s54
	v_add_nc_u32_e32 v0, 16, v0
	s_clause 0x7
	buffer_load_dword v2, v0, s[0:3], 0 offen
	buffer_load_dword v3, v0, s[0:3], 0 offen offset:4
	buffer_load_dword v4, v0, s[0:3], 0 offen offset:8
	;; [unrolled: 1-line block ×6, first 2 shown]
	buffer_load_dword v121, v1, s[0:3], 0 offen
	s_waitcnt vmcnt(7)
	buffer_store_dword v2, v1, s[0:3], 0 offen
	s_waitcnt vmcnt(6)
	buffer_store_dword v3, v1, s[0:3], 0 offen offset:4
	s_waitcnt vmcnt(5)
	buffer_store_dword v4, v1, s[0:3], 0 offen offset:8
	;; [unrolled: 2-line block ×6, first 2 shown]
	s_waitcnt vmcnt(0)
	buffer_store_dword v121, v0, s[0:3], 0 offen
.LBB119_432:
	v_mov_b32_e32 v0, 0
	global_load_dword v1, v0, s[12:13] offset:52
	s_waitcnt vmcnt(0)
	v_add_nc_u32_e32 v1, -1, v1
	v_cmp_eq_u32_e32 vcc_lo, 13, v1
	s_cbranch_vccnz .LBB119_434
; %bb.433:
	v_lshlrev_b32_e32 v1, 4, v1
	v_mov_b32_e32 v2, s55
	v_add_nc_u32_e32 v1, 16, v1
	s_clause 0x7
	buffer_load_dword v3, v1, s[0:3], 0 offen
	buffer_load_dword v4, v1, s[0:3], 0 offen offset:4
	buffer_load_dword v5, v1, s[0:3], 0 offen offset:8
	;; [unrolled: 1-line block ×6, first 2 shown]
	buffer_load_dword v122, v2, s[0:3], 0 offen
	s_waitcnt vmcnt(7)
	buffer_store_dword v3, v2, s[0:3], 0 offen
	s_waitcnt vmcnt(6)
	buffer_store_dword v4, v2, s[0:3], 0 offen offset:4
	s_waitcnt vmcnt(5)
	buffer_store_dword v5, v2, s[0:3], 0 offen offset:8
	;; [unrolled: 2-line block ×6, first 2 shown]
	s_waitcnt vmcnt(0)
	buffer_store_dword v122, v1, s[0:3], 0 offen
.LBB119_434:
	global_load_dword v0, v0, s[12:13] offset:48
	s_waitcnt vmcnt(0)
	v_add_nc_u32_e32 v0, -1, v0
	v_cmp_eq_u32_e32 vcc_lo, 12, v0
	s_cbranch_vccnz .LBB119_436
; %bb.435:
	v_lshlrev_b32_e32 v0, 4, v0
	v_mov_b32_e32 v1, s56
	v_add_nc_u32_e32 v0, 16, v0
	s_clause 0x7
	buffer_load_dword v2, v0, s[0:3], 0 offen
	buffer_load_dword v3, v0, s[0:3], 0 offen offset:4
	buffer_load_dword v4, v0, s[0:3], 0 offen offset:8
	;; [unrolled: 1-line block ×6, first 2 shown]
	buffer_load_dword v121, v1, s[0:3], 0 offen
	s_waitcnt vmcnt(7)
	buffer_store_dword v2, v1, s[0:3], 0 offen
	s_waitcnt vmcnt(6)
	buffer_store_dword v3, v1, s[0:3], 0 offen offset:4
	s_waitcnt vmcnt(5)
	buffer_store_dword v4, v1, s[0:3], 0 offen offset:8
	;; [unrolled: 2-line block ×6, first 2 shown]
	s_waitcnt vmcnt(0)
	buffer_store_dword v121, v0, s[0:3], 0 offen
.LBB119_436:
	v_mov_b32_e32 v0, 0
	global_load_dword v1, v0, s[12:13] offset:44
	s_waitcnt vmcnt(0)
	v_add_nc_u32_e32 v1, -1, v1
	v_cmp_eq_u32_e32 vcc_lo, 11, v1
	s_cbranch_vccnz .LBB119_438
; %bb.437:
	v_lshlrev_b32_e32 v1, 4, v1
	v_mov_b32_e32 v2, s57
	v_add_nc_u32_e32 v1, 16, v1
	s_clause 0x7
	buffer_load_dword v3, v1, s[0:3], 0 offen
	buffer_load_dword v4, v1, s[0:3], 0 offen offset:4
	buffer_load_dword v5, v1, s[0:3], 0 offen offset:8
	;; [unrolled: 1-line block ×6, first 2 shown]
	buffer_load_dword v122, v2, s[0:3], 0 offen
	s_waitcnt vmcnt(7)
	buffer_store_dword v3, v2, s[0:3], 0 offen
	s_waitcnt vmcnt(6)
	buffer_store_dword v4, v2, s[0:3], 0 offen offset:4
	s_waitcnt vmcnt(5)
	buffer_store_dword v5, v2, s[0:3], 0 offen offset:8
	;; [unrolled: 2-line block ×6, first 2 shown]
	s_waitcnt vmcnt(0)
	buffer_store_dword v122, v1, s[0:3], 0 offen
.LBB119_438:
	global_load_dword v0, v0, s[12:13] offset:40
	s_waitcnt vmcnt(0)
	v_add_nc_u32_e32 v0, -1, v0
	v_cmp_eq_u32_e32 vcc_lo, 10, v0
	s_cbranch_vccnz .LBB119_440
; %bb.439:
	v_lshlrev_b32_e32 v0, 4, v0
	v_mov_b32_e32 v1, s58
	v_add_nc_u32_e32 v0, 16, v0
	s_clause 0x7
	buffer_load_dword v2, v0, s[0:3], 0 offen
	buffer_load_dword v3, v0, s[0:3], 0 offen offset:4
	buffer_load_dword v4, v0, s[0:3], 0 offen offset:8
	;; [unrolled: 1-line block ×6, first 2 shown]
	buffer_load_dword v121, v1, s[0:3], 0 offen
	s_waitcnt vmcnt(7)
	buffer_store_dword v2, v1, s[0:3], 0 offen
	s_waitcnt vmcnt(6)
	buffer_store_dword v3, v1, s[0:3], 0 offen offset:4
	s_waitcnt vmcnt(5)
	buffer_store_dword v4, v1, s[0:3], 0 offen offset:8
	;; [unrolled: 2-line block ×6, first 2 shown]
	s_waitcnt vmcnt(0)
	buffer_store_dword v121, v0, s[0:3], 0 offen
.LBB119_440:
	v_mov_b32_e32 v0, 0
	global_load_dword v1, v0, s[12:13] offset:36
	s_waitcnt vmcnt(0)
	v_add_nc_u32_e32 v1, -1, v1
	v_cmp_eq_u32_e32 vcc_lo, 9, v1
	s_cbranch_vccnz .LBB119_442
; %bb.441:
	v_lshlrev_b32_e32 v1, 4, v1
	v_mov_b32_e32 v2, s59
	v_add_nc_u32_e32 v1, 16, v1
	s_clause 0x7
	buffer_load_dword v3, v1, s[0:3], 0 offen
	buffer_load_dword v4, v1, s[0:3], 0 offen offset:4
	buffer_load_dword v5, v1, s[0:3], 0 offen offset:8
	;; [unrolled: 1-line block ×6, first 2 shown]
	buffer_load_dword v122, v2, s[0:3], 0 offen
	s_waitcnt vmcnt(7)
	buffer_store_dword v3, v2, s[0:3], 0 offen
	s_waitcnt vmcnt(6)
	buffer_store_dword v4, v2, s[0:3], 0 offen offset:4
	s_waitcnt vmcnt(5)
	buffer_store_dword v5, v2, s[0:3], 0 offen offset:8
	;; [unrolled: 2-line block ×6, first 2 shown]
	s_waitcnt vmcnt(0)
	buffer_store_dword v122, v1, s[0:3], 0 offen
.LBB119_442:
	global_load_dword v0, v0, s[12:13] offset:32
	s_waitcnt vmcnt(0)
	v_add_nc_u32_e32 v0, -1, v0
	v_cmp_eq_u32_e32 vcc_lo, 8, v0
	s_cbranch_vccnz .LBB119_444
; %bb.443:
	v_lshlrev_b32_e32 v0, 4, v0
	v_mov_b32_e32 v1, s60
	v_add_nc_u32_e32 v0, 16, v0
	s_clause 0x7
	buffer_load_dword v2, v0, s[0:3], 0 offen
	buffer_load_dword v3, v0, s[0:3], 0 offen offset:4
	buffer_load_dword v4, v0, s[0:3], 0 offen offset:8
	;; [unrolled: 1-line block ×6, first 2 shown]
	buffer_load_dword v121, v1, s[0:3], 0 offen
	s_waitcnt vmcnt(7)
	buffer_store_dword v2, v1, s[0:3], 0 offen
	s_waitcnt vmcnt(6)
	buffer_store_dword v3, v1, s[0:3], 0 offen offset:4
	s_waitcnt vmcnt(5)
	buffer_store_dword v4, v1, s[0:3], 0 offen offset:8
	;; [unrolled: 2-line block ×6, first 2 shown]
	s_waitcnt vmcnt(0)
	buffer_store_dword v121, v0, s[0:3], 0 offen
.LBB119_444:
	v_mov_b32_e32 v0, 0
	global_load_dword v1, v0, s[12:13] offset:28
	s_waitcnt vmcnt(0)
	v_add_nc_u32_e32 v1, -1, v1
	v_cmp_eq_u32_e32 vcc_lo, 7, v1
	s_cbranch_vccnz .LBB119_446
; %bb.445:
	v_lshlrev_b32_e32 v1, 4, v1
	v_mov_b32_e32 v2, s61
	v_add_nc_u32_e32 v1, 16, v1
	s_clause 0x7
	buffer_load_dword v3, v1, s[0:3], 0 offen
	buffer_load_dword v4, v1, s[0:3], 0 offen offset:4
	buffer_load_dword v5, v1, s[0:3], 0 offen offset:8
	;; [unrolled: 1-line block ×6, first 2 shown]
	buffer_load_dword v122, v2, s[0:3], 0 offen
	s_waitcnt vmcnt(7)
	buffer_store_dword v3, v2, s[0:3], 0 offen
	s_waitcnt vmcnt(6)
	buffer_store_dword v4, v2, s[0:3], 0 offen offset:4
	s_waitcnt vmcnt(5)
	buffer_store_dword v5, v2, s[0:3], 0 offen offset:8
	;; [unrolled: 2-line block ×6, first 2 shown]
	s_waitcnt vmcnt(0)
	buffer_store_dword v122, v1, s[0:3], 0 offen
.LBB119_446:
	global_load_dword v0, v0, s[12:13] offset:24
	s_waitcnt vmcnt(0)
	v_add_nc_u32_e32 v0, -1, v0
	v_cmp_eq_u32_e32 vcc_lo, 6, v0
	s_cbranch_vccnz .LBB119_448
; %bb.447:
	v_lshlrev_b32_e32 v0, 4, v0
	v_mov_b32_e32 v1, s62
	v_add_nc_u32_e32 v0, 16, v0
	s_clause 0x7
	buffer_load_dword v2, v0, s[0:3], 0 offen
	buffer_load_dword v3, v0, s[0:3], 0 offen offset:4
	buffer_load_dword v4, v0, s[0:3], 0 offen offset:8
	;; [unrolled: 1-line block ×6, first 2 shown]
	buffer_load_dword v121, v1, s[0:3], 0 offen
	s_waitcnt vmcnt(7)
	buffer_store_dword v2, v1, s[0:3], 0 offen
	s_waitcnt vmcnt(6)
	buffer_store_dword v3, v1, s[0:3], 0 offen offset:4
	s_waitcnt vmcnt(5)
	buffer_store_dword v4, v1, s[0:3], 0 offen offset:8
	;; [unrolled: 2-line block ×6, first 2 shown]
	s_waitcnt vmcnt(0)
	buffer_store_dword v121, v0, s[0:3], 0 offen
.LBB119_448:
	v_mov_b32_e32 v0, 0
	global_load_dword v1, v0, s[12:13] offset:20
	s_waitcnt vmcnt(0)
	v_add_nc_u32_e32 v1, -1, v1
	v_cmp_eq_u32_e32 vcc_lo, 5, v1
	s_cbranch_vccnz .LBB119_450
; %bb.449:
	v_lshlrev_b32_e32 v1, 4, v1
	v_mov_b32_e32 v2, s63
	v_add_nc_u32_e32 v1, 16, v1
	s_clause 0x7
	buffer_load_dword v3, v1, s[0:3], 0 offen
	buffer_load_dword v4, v1, s[0:3], 0 offen offset:4
	buffer_load_dword v5, v1, s[0:3], 0 offen offset:8
	;; [unrolled: 1-line block ×6, first 2 shown]
	buffer_load_dword v122, v2, s[0:3], 0 offen
	s_waitcnt vmcnt(7)
	buffer_store_dword v3, v2, s[0:3], 0 offen
	s_waitcnt vmcnt(6)
	buffer_store_dword v4, v2, s[0:3], 0 offen offset:4
	s_waitcnt vmcnt(5)
	buffer_store_dword v5, v2, s[0:3], 0 offen offset:8
	s_waitcnt vmcnt(4)
	buffer_store_dword v6, v2, s[0:3], 0 offen offset:12
	s_waitcnt vmcnt(3)
	buffer_store_dword v7, v1, s[0:3], 0 offen offset:12
	s_waitcnt vmcnt(2)
	buffer_store_dword v8, v1, s[0:3], 0 offen offset:8
	s_waitcnt vmcnt(1)
	buffer_store_dword v121, v1, s[0:3], 0 offen offset:4
	s_waitcnt vmcnt(0)
	buffer_store_dword v122, v1, s[0:3], 0 offen
.LBB119_450:
	global_load_dword v0, v0, s[12:13] offset:16
	s_waitcnt vmcnt(0)
	v_add_nc_u32_e32 v0, -1, v0
	v_cmp_eq_u32_e32 vcc_lo, 4, v0
	s_cbranch_vccnz .LBB119_452
; %bb.451:
	v_lshlrev_b32_e32 v0, 4, v0
	v_mov_b32_e32 v1, s64
	v_add_nc_u32_e32 v0, 16, v0
	s_clause 0x7
	buffer_load_dword v2, v0, s[0:3], 0 offen
	buffer_load_dword v3, v0, s[0:3], 0 offen offset:4
	buffer_load_dword v4, v0, s[0:3], 0 offen offset:8
	;; [unrolled: 1-line block ×6, first 2 shown]
	buffer_load_dword v121, v1, s[0:3], 0 offen
	s_waitcnt vmcnt(7)
	buffer_store_dword v2, v1, s[0:3], 0 offen
	s_waitcnt vmcnt(6)
	buffer_store_dword v3, v1, s[0:3], 0 offen offset:4
	s_waitcnt vmcnt(5)
	buffer_store_dword v4, v1, s[0:3], 0 offen offset:8
	;; [unrolled: 2-line block ×6, first 2 shown]
	s_waitcnt vmcnt(0)
	buffer_store_dword v121, v0, s[0:3], 0 offen
.LBB119_452:
	v_mov_b32_e32 v0, 0
	global_load_dword v1, v0, s[12:13] offset:12
	s_waitcnt vmcnt(0)
	v_add_nc_u32_e32 v1, -1, v1
	v_cmp_eq_u32_e32 vcc_lo, 3, v1
	s_cbranch_vccnz .LBB119_454
; %bb.453:
	v_lshlrev_b32_e32 v1, 4, v1
	v_mov_b32_e32 v2, s65
	v_add_nc_u32_e32 v1, 16, v1
	s_clause 0x7
	buffer_load_dword v3, v1, s[0:3], 0 offen
	buffer_load_dword v4, v1, s[0:3], 0 offen offset:4
	buffer_load_dword v5, v1, s[0:3], 0 offen offset:8
	;; [unrolled: 1-line block ×6, first 2 shown]
	buffer_load_dword v122, v2, s[0:3], 0 offen
	s_waitcnt vmcnt(7)
	buffer_store_dword v3, v2, s[0:3], 0 offen
	s_waitcnt vmcnt(6)
	buffer_store_dword v4, v2, s[0:3], 0 offen offset:4
	s_waitcnt vmcnt(5)
	buffer_store_dword v5, v2, s[0:3], 0 offen offset:8
	;; [unrolled: 2-line block ×6, first 2 shown]
	s_waitcnt vmcnt(0)
	buffer_store_dword v122, v1, s[0:3], 0 offen
.LBB119_454:
	global_load_dword v0, v0, s[12:13] offset:8
	s_waitcnt vmcnt(0)
	v_add_nc_u32_e32 v0, -1, v0
	v_cmp_eq_u32_e32 vcc_lo, 2, v0
	s_cbranch_vccnz .LBB119_456
; %bb.455:
	v_lshlrev_b32_e32 v0, 4, v0
	v_mov_b32_e32 v1, s66
	v_add_nc_u32_e32 v0, 16, v0
	s_clause 0x7
	buffer_load_dword v2, v0, s[0:3], 0 offen
	buffer_load_dword v3, v0, s[0:3], 0 offen offset:4
	buffer_load_dword v4, v0, s[0:3], 0 offen offset:8
	;; [unrolled: 1-line block ×6, first 2 shown]
	buffer_load_dword v121, v1, s[0:3], 0 offen
	s_waitcnt vmcnt(7)
	buffer_store_dword v2, v1, s[0:3], 0 offen
	s_waitcnt vmcnt(6)
	buffer_store_dword v3, v1, s[0:3], 0 offen offset:4
	s_waitcnt vmcnt(5)
	buffer_store_dword v4, v1, s[0:3], 0 offen offset:8
	;; [unrolled: 2-line block ×6, first 2 shown]
	s_waitcnt vmcnt(0)
	buffer_store_dword v121, v0, s[0:3], 0 offen
.LBB119_456:
	v_mov_b32_e32 v0, 0
	global_load_dword v1, v0, s[12:13] offset:4
	s_waitcnt vmcnt(0)
	v_add_nc_u32_e32 v1, -1, v1
	v_cmp_eq_u32_e32 vcc_lo, 1, v1
	s_cbranch_vccnz .LBB119_458
; %bb.457:
	v_lshlrev_b32_e32 v1, 4, v1
	v_mov_b32_e32 v2, s67
	v_add_nc_u32_e32 v1, 16, v1
	s_clause 0x7
	buffer_load_dword v3, v1, s[0:3], 0 offen
	buffer_load_dword v4, v1, s[0:3], 0 offen offset:4
	buffer_load_dword v5, v1, s[0:3], 0 offen offset:8
	;; [unrolled: 1-line block ×6, first 2 shown]
	buffer_load_dword v122, v2, s[0:3], 0 offen
	s_waitcnt vmcnt(7)
	buffer_store_dword v3, v2, s[0:3], 0 offen
	s_waitcnt vmcnt(6)
	buffer_store_dword v4, v2, s[0:3], 0 offen offset:4
	s_waitcnt vmcnt(5)
	buffer_store_dword v5, v2, s[0:3], 0 offen offset:8
	;; [unrolled: 2-line block ×6, first 2 shown]
	s_waitcnt vmcnt(0)
	buffer_store_dword v122, v1, s[0:3], 0 offen
.LBB119_458:
	global_load_dword v0, v0, s[12:13]
	s_waitcnt vmcnt(0)
	v_add_nc_u32_e32 v0, -1, v0
	v_cmp_eq_u32_e32 vcc_lo, 0, v0
	s_cbranch_vccnz .LBB119_460
; %bb.459:
	v_lshlrev_b32_e32 v0, 4, v0
	v_add_nc_u32_e32 v0, 16, v0
	s_clause 0x7
	buffer_load_dword v1, v0, s[0:3], 0 offen
	buffer_load_dword v2, v0, s[0:3], 0 offen offset:4
	buffer_load_dword v3, v0, s[0:3], 0 offen offset:8
	;; [unrolled: 1-line block ×3, first 2 shown]
	buffer_load_dword v5, off, s[0:3], 0 offset:28
	buffer_load_dword v6, off, s[0:3], 0 offset:24
	;; [unrolled: 1-line block ×4, first 2 shown]
	s_waitcnt vmcnt(7)
	buffer_store_dword v1, off, s[0:3], 0 offset:16
	s_waitcnt vmcnt(6)
	buffer_store_dword v2, off, s[0:3], 0 offset:20
	;; [unrolled: 2-line block ×4, first 2 shown]
	s_waitcnt vmcnt(3)
	buffer_store_dword v5, v0, s[0:3], 0 offen offset:12
	s_waitcnt vmcnt(2)
	buffer_store_dword v6, v0, s[0:3], 0 offen offset:8
	;; [unrolled: 2-line block ×3, first 2 shown]
	s_waitcnt vmcnt(0)
	buffer_store_dword v8, v0, s[0:3], 0 offen
.LBB119_460:
	s_clause 0x3
	buffer_load_dword v0, off, s[0:3], 0 offset:16
	buffer_load_dword v1, off, s[0:3], 0 offset:20
	;; [unrolled: 1-line block ×4, first 2 shown]
	v_mov_b32_e32 v4, s67
	s_waitcnt vmcnt(0)
	flat_store_dwordx4 v[9:10], v[0:3]
	s_clause 0x3
	buffer_load_dword v0, v4, s[0:3], 0 offen
	buffer_load_dword v1, v4, s[0:3], 0 offen offset:4
	buffer_load_dword v2, v4, s[0:3], 0 offen offset:8
	buffer_load_dword v3, v4, s[0:3], 0 offen offset:12
	v_mov_b32_e32 v4, s66
	s_waitcnt vmcnt(0)
	flat_store_dwordx4 v[63:64], v[0:3]
	s_clause 0x3
	buffer_load_dword v0, v4, s[0:3], 0 offen
	buffer_load_dword v1, v4, s[0:3], 0 offen offset:4
	buffer_load_dword v2, v4, s[0:3], 0 offen offset:8
	buffer_load_dword v3, v4, s[0:3], 0 offen offset:12
	v_mov_b32_e32 v4, s65
	s_waitcnt vmcnt(0)
	flat_store_dwordx4 v[61:62], v[0:3]
	s_clause 0x3
	buffer_load_dword v0, v4, s[0:3], 0 offen
	buffer_load_dword v1, v4, s[0:3], 0 offen offset:4
	buffer_load_dword v2, v4, s[0:3], 0 offen offset:8
	buffer_load_dword v3, v4, s[0:3], 0 offen offset:12
	v_mov_b32_e32 v4, s64
	s_waitcnt vmcnt(0)
	flat_store_dwordx4 v[57:58], v[0:3]
	s_clause 0x3
	buffer_load_dword v0, v4, s[0:3], 0 offen
	buffer_load_dword v1, v4, s[0:3], 0 offen offset:4
	buffer_load_dword v2, v4, s[0:3], 0 offen offset:8
	buffer_load_dword v3, v4, s[0:3], 0 offen offset:12
	v_mov_b32_e32 v4, s63
	s_waitcnt vmcnt(0)
	flat_store_dwordx4 v[55:56], v[0:3]
	s_clause 0x3
	buffer_load_dword v0, v4, s[0:3], 0 offen
	buffer_load_dword v1, v4, s[0:3], 0 offen offset:4
	buffer_load_dword v2, v4, s[0:3], 0 offen offset:8
	buffer_load_dword v3, v4, s[0:3], 0 offen offset:12
	v_mov_b32_e32 v4, s62
	s_waitcnt vmcnt(0)
	flat_store_dwordx4 v[53:54], v[0:3]
	s_clause 0x3
	buffer_load_dword v0, v4, s[0:3], 0 offen
	buffer_load_dword v1, v4, s[0:3], 0 offen offset:4
	buffer_load_dword v2, v4, s[0:3], 0 offen offset:8
	buffer_load_dword v3, v4, s[0:3], 0 offen offset:12
	v_mov_b32_e32 v4, s61
	s_waitcnt vmcnt(0)
	flat_store_dwordx4 v[51:52], v[0:3]
	s_clause 0x3
	buffer_load_dword v0, v4, s[0:3], 0 offen
	buffer_load_dword v1, v4, s[0:3], 0 offen offset:4
	buffer_load_dword v2, v4, s[0:3], 0 offen offset:8
	buffer_load_dword v3, v4, s[0:3], 0 offen offset:12
	v_mov_b32_e32 v4, s60
	s_waitcnt vmcnt(0)
	flat_store_dwordx4 v[49:50], v[0:3]
	s_clause 0x3
	buffer_load_dword v0, v4, s[0:3], 0 offen
	buffer_load_dword v1, v4, s[0:3], 0 offen offset:4
	buffer_load_dword v2, v4, s[0:3], 0 offen offset:8
	buffer_load_dword v3, v4, s[0:3], 0 offen offset:12
	v_mov_b32_e32 v4, s59
	s_waitcnt vmcnt(0)
	flat_store_dwordx4 v[47:48], v[0:3]
	s_clause 0x3
	buffer_load_dword v0, v4, s[0:3], 0 offen
	buffer_load_dword v1, v4, s[0:3], 0 offen offset:4
	buffer_load_dword v2, v4, s[0:3], 0 offen offset:8
	buffer_load_dword v3, v4, s[0:3], 0 offen offset:12
	v_mov_b32_e32 v4, s58
	s_waitcnt vmcnt(0)
	flat_store_dwordx4 v[45:46], v[0:3]
	s_clause 0x3
	buffer_load_dword v0, v4, s[0:3], 0 offen
	buffer_load_dword v1, v4, s[0:3], 0 offen offset:4
	buffer_load_dword v2, v4, s[0:3], 0 offen offset:8
	buffer_load_dword v3, v4, s[0:3], 0 offen offset:12
	v_mov_b32_e32 v4, s57
	s_waitcnt vmcnt(0)
	flat_store_dwordx4 v[43:44], v[0:3]
	s_clause 0x3
	buffer_load_dword v0, v4, s[0:3], 0 offen
	buffer_load_dword v1, v4, s[0:3], 0 offen offset:4
	buffer_load_dword v2, v4, s[0:3], 0 offen offset:8
	buffer_load_dword v3, v4, s[0:3], 0 offen offset:12
	v_mov_b32_e32 v4, s56
	s_waitcnt vmcnt(0)
	flat_store_dwordx4 v[41:42], v[0:3]
	s_clause 0x3
	buffer_load_dword v0, v4, s[0:3], 0 offen
	buffer_load_dword v1, v4, s[0:3], 0 offen offset:4
	buffer_load_dword v2, v4, s[0:3], 0 offen offset:8
	buffer_load_dword v3, v4, s[0:3], 0 offen offset:12
	v_mov_b32_e32 v4, s55
	s_waitcnt vmcnt(0)
	flat_store_dwordx4 v[37:38], v[0:3]
	s_clause 0x3
	buffer_load_dword v0, v4, s[0:3], 0 offen
	buffer_load_dword v1, v4, s[0:3], 0 offen offset:4
	buffer_load_dword v2, v4, s[0:3], 0 offen offset:8
	buffer_load_dword v3, v4, s[0:3], 0 offen offset:12
	v_mov_b32_e32 v4, s54
	s_waitcnt vmcnt(0)
	flat_store_dwordx4 v[35:36], v[0:3]
	s_clause 0x3
	buffer_load_dword v0, v4, s[0:3], 0 offen
	buffer_load_dword v1, v4, s[0:3], 0 offen offset:4
	buffer_load_dword v2, v4, s[0:3], 0 offen offset:8
	buffer_load_dword v3, v4, s[0:3], 0 offen offset:12
	v_mov_b32_e32 v4, s53
	s_waitcnt vmcnt(0)
	flat_store_dwordx4 v[33:34], v[0:3]
	s_clause 0x3
	buffer_load_dword v0, v4, s[0:3], 0 offen
	buffer_load_dword v1, v4, s[0:3], 0 offen offset:4
	buffer_load_dword v2, v4, s[0:3], 0 offen offset:8
	buffer_load_dword v3, v4, s[0:3], 0 offen offset:12
	v_mov_b32_e32 v4, s52
	s_waitcnt vmcnt(0)
	flat_store_dwordx4 v[31:32], v[0:3]
	s_clause 0x3
	buffer_load_dword v0, v4, s[0:3], 0 offen
	buffer_load_dword v1, v4, s[0:3], 0 offen offset:4
	buffer_load_dword v2, v4, s[0:3], 0 offen offset:8
	buffer_load_dword v3, v4, s[0:3], 0 offen offset:12
	v_mov_b32_e32 v4, s51
	s_waitcnt vmcnt(0)
	flat_store_dwordx4 v[29:30], v[0:3]
	s_clause 0x3
	buffer_load_dword v0, v4, s[0:3], 0 offen
	buffer_load_dword v1, v4, s[0:3], 0 offen offset:4
	buffer_load_dword v2, v4, s[0:3], 0 offen offset:8
	buffer_load_dword v3, v4, s[0:3], 0 offen offset:12
	v_mov_b32_e32 v4, s50
	s_waitcnt vmcnt(0)
	flat_store_dwordx4 v[27:28], v[0:3]
	s_clause 0x3
	buffer_load_dword v0, v4, s[0:3], 0 offen
	buffer_load_dword v1, v4, s[0:3], 0 offen offset:4
	buffer_load_dword v2, v4, s[0:3], 0 offen offset:8
	buffer_load_dword v3, v4, s[0:3], 0 offen offset:12
	v_mov_b32_e32 v4, s49
	s_waitcnt vmcnt(0)
	flat_store_dwordx4 v[25:26], v[0:3]
	s_clause 0x3
	buffer_load_dword v0, v4, s[0:3], 0 offen
	buffer_load_dword v1, v4, s[0:3], 0 offen offset:4
	buffer_load_dword v2, v4, s[0:3], 0 offen offset:8
	buffer_load_dword v3, v4, s[0:3], 0 offen offset:12
	v_mov_b32_e32 v4, s48
	s_waitcnt vmcnt(0)
	flat_store_dwordx4 v[23:24], v[0:3]
	s_clause 0x3
	buffer_load_dword v0, v4, s[0:3], 0 offen
	buffer_load_dword v1, v4, s[0:3], 0 offen offset:4
	buffer_load_dword v2, v4, s[0:3], 0 offen offset:8
	buffer_load_dword v3, v4, s[0:3], 0 offen offset:12
	v_mov_b32_e32 v4, s47
	s_waitcnt vmcnt(0)
	flat_store_dwordx4 v[21:22], v[0:3]
	s_clause 0x3
	buffer_load_dword v0, v4, s[0:3], 0 offen
	buffer_load_dword v1, v4, s[0:3], 0 offen offset:4
	buffer_load_dword v2, v4, s[0:3], 0 offen offset:8
	buffer_load_dword v3, v4, s[0:3], 0 offen offset:12
	v_mov_b32_e32 v4, s46
	s_waitcnt vmcnt(0)
	flat_store_dwordx4 v[19:20], v[0:3]
	s_clause 0x3
	buffer_load_dword v0, v4, s[0:3], 0 offen
	buffer_load_dword v1, v4, s[0:3], 0 offen offset:4
	buffer_load_dword v2, v4, s[0:3], 0 offen offset:8
	buffer_load_dword v3, v4, s[0:3], 0 offen offset:12
	v_mov_b32_e32 v4, s45
	s_waitcnt vmcnt(0)
	flat_store_dwordx4 v[17:18], v[0:3]
	s_clause 0x3
	buffer_load_dword v0, v4, s[0:3], 0 offen
	buffer_load_dword v1, v4, s[0:3], 0 offen offset:4
	buffer_load_dword v2, v4, s[0:3], 0 offen offset:8
	buffer_load_dword v3, v4, s[0:3], 0 offen offset:12
	v_mov_b32_e32 v4, s44
	s_waitcnt vmcnt(0)
	flat_store_dwordx4 v[15:16], v[0:3]
	s_clause 0x3
	buffer_load_dword v0, v4, s[0:3], 0 offen
	buffer_load_dword v1, v4, s[0:3], 0 offen offset:4
	buffer_load_dword v2, v4, s[0:3], 0 offen offset:8
	buffer_load_dword v3, v4, s[0:3], 0 offen offset:12
	v_mov_b32_e32 v4, s43
	s_waitcnt vmcnt(0)
	flat_store_dwordx4 v[13:14], v[0:3]
	s_clause 0x3
	buffer_load_dword v0, v4, s[0:3], 0 offen
	buffer_load_dword v1, v4, s[0:3], 0 offen offset:4
	buffer_load_dword v2, v4, s[0:3], 0 offen offset:8
	buffer_load_dword v3, v4, s[0:3], 0 offen offset:12
	v_mov_b32_e32 v4, s42
	s_waitcnt vmcnt(0)
	flat_store_dwordx4 v[11:12], v[0:3]
	s_clause 0x3
	buffer_load_dword v0, v4, s[0:3], 0 offen
	buffer_load_dword v1, v4, s[0:3], 0 offen offset:4
	buffer_load_dword v2, v4, s[0:3], 0 offen offset:8
	buffer_load_dword v3, v4, s[0:3], 0 offen offset:12
	v_mov_b32_e32 v4, s41
	s_waitcnt vmcnt(0)
	flat_store_dwordx4 v[39:40], v[0:3]
	s_clause 0x3
	buffer_load_dword v0, v4, s[0:3], 0 offen
	buffer_load_dword v1, v4, s[0:3], 0 offen offset:4
	buffer_load_dword v2, v4, s[0:3], 0 offen offset:8
	buffer_load_dword v3, v4, s[0:3], 0 offen offset:12
	v_mov_b32_e32 v4, s40
	s_waitcnt vmcnt(0)
	flat_store_dwordx4 v[59:60], v[0:3]
	s_clause 0x3
	buffer_load_dword v0, v4, s[0:3], 0 offen
	buffer_load_dword v1, v4, s[0:3], 0 offen offset:4
	buffer_load_dword v2, v4, s[0:3], 0 offen offset:8
	buffer_load_dword v3, v4, s[0:3], 0 offen offset:12
	v_mov_b32_e32 v4, s39
	s_waitcnt vmcnt(0)
	flat_store_dwordx4 v[65:66], v[0:3]
	s_clause 0x3
	buffer_load_dword v0, v4, s[0:3], 0 offen
	buffer_load_dword v1, v4, s[0:3], 0 offen offset:4
	buffer_load_dword v2, v4, s[0:3], 0 offen offset:8
	buffer_load_dword v3, v4, s[0:3], 0 offen offset:12
	v_mov_b32_e32 v4, s38
	s_waitcnt vmcnt(0)
	flat_store_dwordx4 v[67:68], v[0:3]
	s_clause 0x3
	buffer_load_dword v0, v4, s[0:3], 0 offen
	buffer_load_dword v1, v4, s[0:3], 0 offen offset:4
	buffer_load_dword v2, v4, s[0:3], 0 offen offset:8
	buffer_load_dword v3, v4, s[0:3], 0 offen offset:12
	v_mov_b32_e32 v4, s37
	s_waitcnt vmcnt(0)
	flat_store_dwordx4 v[69:70], v[0:3]
	s_clause 0x3
	buffer_load_dword v0, v4, s[0:3], 0 offen
	buffer_load_dword v1, v4, s[0:3], 0 offen offset:4
	buffer_load_dword v2, v4, s[0:3], 0 offen offset:8
	buffer_load_dword v3, v4, s[0:3], 0 offen offset:12
	v_mov_b32_e32 v4, s36
	s_waitcnt vmcnt(0)
	flat_store_dwordx4 v[71:72], v[0:3]
	s_clause 0x3
	buffer_load_dword v0, v4, s[0:3], 0 offen
	buffer_load_dword v1, v4, s[0:3], 0 offen offset:4
	buffer_load_dword v2, v4, s[0:3], 0 offen offset:8
	buffer_load_dword v3, v4, s[0:3], 0 offen offset:12
	v_mov_b32_e32 v4, s35
	s_waitcnt vmcnt(0)
	flat_store_dwordx4 v[73:74], v[0:3]
	s_clause 0x3
	buffer_load_dword v0, v4, s[0:3], 0 offen
	buffer_load_dword v1, v4, s[0:3], 0 offen offset:4
	buffer_load_dword v2, v4, s[0:3], 0 offen offset:8
	buffer_load_dword v3, v4, s[0:3], 0 offen offset:12
	v_mov_b32_e32 v4, s34
	s_waitcnt vmcnt(0)
	flat_store_dwordx4 v[75:76], v[0:3]
	s_clause 0x3
	buffer_load_dword v0, v4, s[0:3], 0 offen
	buffer_load_dword v1, v4, s[0:3], 0 offen offset:4
	buffer_load_dword v2, v4, s[0:3], 0 offen offset:8
	buffer_load_dword v3, v4, s[0:3], 0 offen offset:12
	v_mov_b32_e32 v4, s33
	s_waitcnt vmcnt(0)
	flat_store_dwordx4 v[77:78], v[0:3]
	s_clause 0x3
	buffer_load_dword v0, v4, s[0:3], 0 offen
	buffer_load_dword v1, v4, s[0:3], 0 offen offset:4
	buffer_load_dword v2, v4, s[0:3], 0 offen offset:8
	buffer_load_dword v3, v4, s[0:3], 0 offen offset:12
	v_mov_b32_e32 v4, s31
	s_waitcnt vmcnt(0)
	flat_store_dwordx4 v[79:80], v[0:3]
	s_clause 0x3
	buffer_load_dword v0, v4, s[0:3], 0 offen
	buffer_load_dword v1, v4, s[0:3], 0 offen offset:4
	buffer_load_dword v2, v4, s[0:3], 0 offen offset:8
	buffer_load_dword v3, v4, s[0:3], 0 offen offset:12
	v_mov_b32_e32 v4, s30
	s_waitcnt vmcnt(0)
	flat_store_dwordx4 v[81:82], v[0:3]
	s_clause 0x3
	buffer_load_dword v0, v4, s[0:3], 0 offen
	buffer_load_dword v1, v4, s[0:3], 0 offen offset:4
	buffer_load_dword v2, v4, s[0:3], 0 offen offset:8
	buffer_load_dword v3, v4, s[0:3], 0 offen offset:12
	v_mov_b32_e32 v4, s29
	s_waitcnt vmcnt(0)
	flat_store_dwordx4 v[83:84], v[0:3]
	s_clause 0x3
	buffer_load_dword v0, v4, s[0:3], 0 offen
	buffer_load_dword v1, v4, s[0:3], 0 offen offset:4
	buffer_load_dword v2, v4, s[0:3], 0 offen offset:8
	buffer_load_dword v3, v4, s[0:3], 0 offen offset:12
	v_mov_b32_e32 v4, s28
	s_waitcnt vmcnt(0)
	flat_store_dwordx4 v[85:86], v[0:3]
	s_clause 0x3
	buffer_load_dword v0, v4, s[0:3], 0 offen
	buffer_load_dword v1, v4, s[0:3], 0 offen offset:4
	buffer_load_dword v2, v4, s[0:3], 0 offen offset:8
	buffer_load_dword v3, v4, s[0:3], 0 offen offset:12
	v_mov_b32_e32 v4, s27
	s_waitcnt vmcnt(0)
	flat_store_dwordx4 v[87:88], v[0:3]
	s_clause 0x3
	buffer_load_dword v0, v4, s[0:3], 0 offen
	buffer_load_dword v1, v4, s[0:3], 0 offen offset:4
	buffer_load_dword v2, v4, s[0:3], 0 offen offset:8
	buffer_load_dword v3, v4, s[0:3], 0 offen offset:12
	v_mov_b32_e32 v4, s26
	s_waitcnt vmcnt(0)
	flat_store_dwordx4 v[89:90], v[0:3]
	s_clause 0x3
	buffer_load_dword v0, v4, s[0:3], 0 offen
	buffer_load_dword v1, v4, s[0:3], 0 offen offset:4
	buffer_load_dword v2, v4, s[0:3], 0 offen offset:8
	buffer_load_dword v3, v4, s[0:3], 0 offen offset:12
	v_mov_b32_e32 v4, s25
	s_waitcnt vmcnt(0)
	flat_store_dwordx4 v[91:92], v[0:3]
	s_clause 0x3
	buffer_load_dword v0, v4, s[0:3], 0 offen
	buffer_load_dword v1, v4, s[0:3], 0 offen offset:4
	buffer_load_dword v2, v4, s[0:3], 0 offen offset:8
	buffer_load_dword v3, v4, s[0:3], 0 offen offset:12
	v_mov_b32_e32 v4, s24
	s_waitcnt vmcnt(0)
	flat_store_dwordx4 v[93:94], v[0:3]
	s_clause 0x3
	buffer_load_dword v0, v4, s[0:3], 0 offen
	buffer_load_dword v1, v4, s[0:3], 0 offen offset:4
	buffer_load_dword v2, v4, s[0:3], 0 offen offset:8
	buffer_load_dword v3, v4, s[0:3], 0 offen offset:12
	v_mov_b32_e32 v4, s23
	s_waitcnt vmcnt(0)
	flat_store_dwordx4 v[95:96], v[0:3]
	s_clause 0x3
	buffer_load_dword v0, v4, s[0:3], 0 offen
	buffer_load_dword v1, v4, s[0:3], 0 offen offset:4
	buffer_load_dword v2, v4, s[0:3], 0 offen offset:8
	buffer_load_dword v3, v4, s[0:3], 0 offen offset:12
	v_mov_b32_e32 v4, s22
	s_waitcnt vmcnt(0)
	flat_store_dwordx4 v[97:98], v[0:3]
	s_clause 0x3
	buffer_load_dword v0, v4, s[0:3], 0 offen
	buffer_load_dword v1, v4, s[0:3], 0 offen offset:4
	buffer_load_dword v2, v4, s[0:3], 0 offen offset:8
	buffer_load_dword v3, v4, s[0:3], 0 offen offset:12
	v_mov_b32_e32 v4, s21
	s_waitcnt vmcnt(0)
	flat_store_dwordx4 v[99:100], v[0:3]
	s_clause 0x3
	buffer_load_dword v0, v4, s[0:3], 0 offen
	buffer_load_dword v1, v4, s[0:3], 0 offen offset:4
	buffer_load_dword v2, v4, s[0:3], 0 offen offset:8
	buffer_load_dword v3, v4, s[0:3], 0 offen offset:12
	v_mov_b32_e32 v4, s20
	s_waitcnt vmcnt(0)
	flat_store_dwordx4 v[101:102], v[0:3]
	s_clause 0x3
	buffer_load_dword v0, v4, s[0:3], 0 offen
	buffer_load_dword v1, v4, s[0:3], 0 offen offset:4
	buffer_load_dword v2, v4, s[0:3], 0 offen offset:8
	buffer_load_dword v3, v4, s[0:3], 0 offen offset:12
	v_mov_b32_e32 v4, s19
	s_waitcnt vmcnt(0)
	flat_store_dwordx4 v[103:104], v[0:3]
	s_clause 0x3
	buffer_load_dword v0, v4, s[0:3], 0 offen
	buffer_load_dword v1, v4, s[0:3], 0 offen offset:4
	buffer_load_dword v2, v4, s[0:3], 0 offen offset:8
	buffer_load_dword v3, v4, s[0:3], 0 offen offset:12
	v_mov_b32_e32 v4, s18
	s_waitcnt vmcnt(0)
	flat_store_dwordx4 v[105:106], v[0:3]
	s_clause 0x3
	buffer_load_dword v0, v4, s[0:3], 0 offen
	buffer_load_dword v1, v4, s[0:3], 0 offen offset:4
	buffer_load_dword v2, v4, s[0:3], 0 offen offset:8
	buffer_load_dword v3, v4, s[0:3], 0 offen offset:12
	v_mov_b32_e32 v4, s17
	s_waitcnt vmcnt(0)
	flat_store_dwordx4 v[107:108], v[0:3]
	s_clause 0x3
	buffer_load_dword v0, v4, s[0:3], 0 offen
	buffer_load_dword v1, v4, s[0:3], 0 offen offset:4
	buffer_load_dword v2, v4, s[0:3], 0 offen offset:8
	buffer_load_dword v3, v4, s[0:3], 0 offen offset:12
	v_mov_b32_e32 v4, s16
	s_waitcnt vmcnt(0)
	flat_store_dwordx4 v[109:110], v[0:3]
	s_clause 0x3
	buffer_load_dword v0, v4, s[0:3], 0 offen
	buffer_load_dword v1, v4, s[0:3], 0 offen offset:4
	buffer_load_dword v2, v4, s[0:3], 0 offen offset:8
	buffer_load_dword v3, v4, s[0:3], 0 offen offset:12
	v_mov_b32_e32 v4, s15
	s_waitcnt vmcnt(0)
	flat_store_dwordx4 v[111:112], v[0:3]
	s_clause 0x3
	buffer_load_dword v0, v4, s[0:3], 0 offen
	buffer_load_dword v1, v4, s[0:3], 0 offen offset:4
	buffer_load_dword v2, v4, s[0:3], 0 offen offset:8
	buffer_load_dword v3, v4, s[0:3], 0 offen offset:12
	v_mov_b32_e32 v4, s14
	s_waitcnt vmcnt(0)
	flat_store_dwordx4 v[113:114], v[0:3]
	s_clause 0x3
	buffer_load_dword v0, v4, s[0:3], 0 offen
	buffer_load_dword v1, v4, s[0:3], 0 offen offset:4
	buffer_load_dword v2, v4, s[0:3], 0 offen offset:8
	buffer_load_dword v3, v4, s[0:3], 0 offen offset:12
	v_mov_b32_e32 v4, s9
	s_waitcnt vmcnt(0)
	flat_store_dwordx4 v[115:116], v[0:3]
	s_clause 0x3
	buffer_load_dword v0, v4, s[0:3], 0 offen
	buffer_load_dword v1, v4, s[0:3], 0 offen offset:4
	buffer_load_dword v2, v4, s[0:3], 0 offen offset:8
	buffer_load_dword v3, v4, s[0:3], 0 offen offset:12
	v_mov_b32_e32 v4, s8
	s_waitcnt vmcnt(0)
	flat_store_dwordx4 v[117:118], v[0:3]
	s_clause 0x3
	buffer_load_dword v0, v4, s[0:3], 0 offen
	buffer_load_dword v1, v4, s[0:3], 0 offen offset:4
	buffer_load_dword v2, v4, s[0:3], 0 offen offset:8
	buffer_load_dword v3, v4, s[0:3], 0 offen offset:12
	s_waitcnt vmcnt(0)
	flat_store_dwordx4 v[119:120], v[0:3]
	s_endpgm
	.section	.rodata,"a",@progbits
	.p2align	6, 0x0
	.amdhsa_kernel _ZN9rocsolver6v33100L18getri_kernel_smallILi56E19rocblas_complex_numIdEPKPS3_EEvT1_iilPiilS8_bb
		.amdhsa_group_segment_fixed_size 1800
		.amdhsa_private_segment_fixed_size 928
		.amdhsa_kernarg_size 60
		.amdhsa_user_sgpr_count 6
		.amdhsa_user_sgpr_private_segment_buffer 1
		.amdhsa_user_sgpr_dispatch_ptr 0
		.amdhsa_user_sgpr_queue_ptr 0
		.amdhsa_user_sgpr_kernarg_segment_ptr 1
		.amdhsa_user_sgpr_dispatch_id 0
		.amdhsa_user_sgpr_flat_scratch_init 0
		.amdhsa_user_sgpr_private_segment_size 0
		.amdhsa_wavefront_size32 1
		.amdhsa_uses_dynamic_stack 0
		.amdhsa_system_sgpr_private_segment_wavefront_offset 1
		.amdhsa_system_sgpr_workgroup_id_x 1
		.amdhsa_system_sgpr_workgroup_id_y 0
		.amdhsa_system_sgpr_workgroup_id_z 0
		.amdhsa_system_sgpr_workgroup_info 0
		.amdhsa_system_vgpr_workitem_id 0
		.amdhsa_next_free_vgpr 207
		.amdhsa_next_free_sgpr 95
		.amdhsa_reserve_vcc 1
		.amdhsa_reserve_flat_scratch 0
		.amdhsa_float_round_mode_32 0
		.amdhsa_float_round_mode_16_64 0
		.amdhsa_float_denorm_mode_32 3
		.amdhsa_float_denorm_mode_16_64 3
		.amdhsa_dx10_clamp 1
		.amdhsa_ieee_mode 1
		.amdhsa_fp16_overflow 0
		.amdhsa_workgroup_processor_mode 1
		.amdhsa_memory_ordered 1
		.amdhsa_forward_progress 1
		.amdhsa_shared_vgpr_count 0
		.amdhsa_exception_fp_ieee_invalid_op 0
		.amdhsa_exception_fp_denorm_src 0
		.amdhsa_exception_fp_ieee_div_zero 0
		.amdhsa_exception_fp_ieee_overflow 0
		.amdhsa_exception_fp_ieee_underflow 0
		.amdhsa_exception_fp_ieee_inexact 0
		.amdhsa_exception_int_div_zero 0
	.end_amdhsa_kernel
	.section	.text._ZN9rocsolver6v33100L18getri_kernel_smallILi56E19rocblas_complex_numIdEPKPS3_EEvT1_iilPiilS8_bb,"axG",@progbits,_ZN9rocsolver6v33100L18getri_kernel_smallILi56E19rocblas_complex_numIdEPKPS3_EEvT1_iilPiilS8_bb,comdat
.Lfunc_end119:
	.size	_ZN9rocsolver6v33100L18getri_kernel_smallILi56E19rocblas_complex_numIdEPKPS3_EEvT1_iilPiilS8_bb, .Lfunc_end119-_ZN9rocsolver6v33100L18getri_kernel_smallILi56E19rocblas_complex_numIdEPKPS3_EEvT1_iilPiilS8_bb
                                        ; -- End function
	.set _ZN9rocsolver6v33100L18getri_kernel_smallILi56E19rocblas_complex_numIdEPKPS3_EEvT1_iilPiilS8_bb.num_vgpr, 207
	.set _ZN9rocsolver6v33100L18getri_kernel_smallILi56E19rocblas_complex_numIdEPKPS3_EEvT1_iilPiilS8_bb.num_agpr, 0
	.set _ZN9rocsolver6v33100L18getri_kernel_smallILi56E19rocblas_complex_numIdEPKPS3_EEvT1_iilPiilS8_bb.numbered_sgpr, 95
	.set _ZN9rocsolver6v33100L18getri_kernel_smallILi56E19rocblas_complex_numIdEPKPS3_EEvT1_iilPiilS8_bb.num_named_barrier, 0
	.set _ZN9rocsolver6v33100L18getri_kernel_smallILi56E19rocblas_complex_numIdEPKPS3_EEvT1_iilPiilS8_bb.private_seg_size, 928
	.set _ZN9rocsolver6v33100L18getri_kernel_smallILi56E19rocblas_complex_numIdEPKPS3_EEvT1_iilPiilS8_bb.uses_vcc, 1
	.set _ZN9rocsolver6v33100L18getri_kernel_smallILi56E19rocblas_complex_numIdEPKPS3_EEvT1_iilPiilS8_bb.uses_flat_scratch, 0
	.set _ZN9rocsolver6v33100L18getri_kernel_smallILi56E19rocblas_complex_numIdEPKPS3_EEvT1_iilPiilS8_bb.has_dyn_sized_stack, 0
	.set _ZN9rocsolver6v33100L18getri_kernel_smallILi56E19rocblas_complex_numIdEPKPS3_EEvT1_iilPiilS8_bb.has_recursion, 0
	.set _ZN9rocsolver6v33100L18getri_kernel_smallILi56E19rocblas_complex_numIdEPKPS3_EEvT1_iilPiilS8_bb.has_indirect_call, 0
	.section	.AMDGPU.csdata,"",@progbits
; Kernel info:
; codeLenInByte = 204076
; TotalNumSgprs: 97
; NumVgprs: 207
; ScratchSize: 928
; MemoryBound: 0
; FloatMode: 240
; IeeeMode: 1
; LDSByteSize: 1800 bytes/workgroup (compile time only)
; SGPRBlocks: 0
; VGPRBlocks: 25
; NumSGPRsForWavesPerEU: 97
; NumVGPRsForWavesPerEU: 207
; Occupancy: 4
; WaveLimiterHint : 1
; COMPUTE_PGM_RSRC2:SCRATCH_EN: 1
; COMPUTE_PGM_RSRC2:USER_SGPR: 6
; COMPUTE_PGM_RSRC2:TRAP_HANDLER: 0
; COMPUTE_PGM_RSRC2:TGID_X_EN: 1
; COMPUTE_PGM_RSRC2:TGID_Y_EN: 0
; COMPUTE_PGM_RSRC2:TGID_Z_EN: 0
; COMPUTE_PGM_RSRC2:TIDIG_COMP_CNT: 0
	.section	.text._ZN9rocsolver6v33100L18getri_kernel_smallILi57E19rocblas_complex_numIdEPKPS3_EEvT1_iilPiilS8_bb,"axG",@progbits,_ZN9rocsolver6v33100L18getri_kernel_smallILi57E19rocblas_complex_numIdEPKPS3_EEvT1_iilPiilS8_bb,comdat
	.globl	_ZN9rocsolver6v33100L18getri_kernel_smallILi57E19rocblas_complex_numIdEPKPS3_EEvT1_iilPiilS8_bb ; -- Begin function _ZN9rocsolver6v33100L18getri_kernel_smallILi57E19rocblas_complex_numIdEPKPS3_EEvT1_iilPiilS8_bb
	.p2align	8
	.type	_ZN9rocsolver6v33100L18getri_kernel_smallILi57E19rocblas_complex_numIdEPKPS3_EEvT1_iilPiilS8_bb,@function
_ZN9rocsolver6v33100L18getri_kernel_smallILi57E19rocblas_complex_numIdEPKPS3_EEvT1_iilPiilS8_bb: ; @_ZN9rocsolver6v33100L18getri_kernel_smallILi57E19rocblas_complex_numIdEPKPS3_EEvT1_iilPiilS8_bb
; %bb.0:
	s_add_u32 s0, s0, s7
	s_addc_u32 s1, s1, 0
	s_mov_b32 s7, exec_lo
	v_cmpx_gt_u32_e32 57, v0
	s_cbranch_execz .LBB120_242
; %bb.1:
	s_clause 0x2
	s_load_dword s16, s[4:5], 0x38
	s_load_dwordx2 s[12:13], s[4:5], 0x0
	s_load_dwordx4 s[8:11], s[4:5], 0x28
	s_waitcnt lgkmcnt(0)
	s_bitcmp1_b32 s16, 8
	s_cselect_b32 s69, -1, 0
	s_ashr_i32 s7, s6, 31
	s_lshl_b64 s[14:15], s[6:7], 3
	s_add_u32 s12, s12, s14
	s_addc_u32 s13, s13, s15
	s_load_dwordx2 s[14:15], s[12:13], 0x0
	s_bfe_u32 s12, s16, 0x10008
	s_cmp_eq_u32 s12, 0
                                        ; implicit-def: $sgpr12_sgpr13
	s_cbranch_scc1 .LBB120_3
; %bb.2:
	s_clause 0x1
	s_load_dword s12, s[4:5], 0x20
	s_load_dwordx2 s[16:17], s[4:5], 0x18
	s_mul_i32 s13, s8, s7
	s_mul_hi_u32 s18, s8, s6
	s_mul_i32 s9, s9, s6
	s_add_i32 s13, s18, s13
	s_mul_i32 s8, s8, s6
	s_add_i32 s9, s13, s9
	s_lshl_b64 s[8:9], s[8:9], 2
	s_waitcnt lgkmcnt(0)
	s_ashr_i32 s13, s12, 31
	s_add_u32 s16, s16, s8
	s_addc_u32 s17, s17, s9
	s_lshl_b64 s[8:9], s[12:13], 2
	s_add_u32 s12, s16, s8
	s_addc_u32 s13, s17, s9
.LBB120_3:
	s_clause 0x1
	s_load_dwordx2 s[8:9], s[4:5], 0x8
	s_load_dword s70, s[4:5], 0x38
	v_lshlrev_b32_e32 v125, 4, v0
	s_movk_i32 s16, 0xa0
	s_movk_i32 s17, 0xb0
	;; [unrolled: 1-line block ×17, first 2 shown]
	s_waitcnt lgkmcnt(0)
	s_ashr_i32 s5, s8, 31
	s_mov_b32 s4, s8
	v_add3_u32 v5, s9, s9, v0
	s_lshl_b64 s[4:5], s[4:5], 4
	s_movk_i32 s34, 0x1b0
	s_add_u32 s8, s14, s4
	s_addc_u32 s14, s15, s5
	v_add_co_u32 v9, s4, s8, v125
	v_add_co_ci_u32_e64 v10, null, s14, 0, s4
	s_mov_b32 s4, s9
	s_ashr_i32 s5, s9, 31
	v_ashrrev_i32_e32 v6, 31, v5
	flat_load_dwordx4 v[1:4], v[9:10]
	s_lshl_b64 s[4:5], s[4:5], 4
	s_movk_i32 s15, 0x90
	v_add_co_u32 v63, vcc_lo, v9, s4
	v_add_co_ci_u32_e64 v64, null, s5, v10, vcc_lo
	v_lshlrev_b64 v[6:7], 4, v[5:6]
	v_add_nc_u32_e32 v5, s9, v5
	s_movk_i32 s4, 0x50
	s_movk_i32 s35, 0x1c0
	s_movk_i32 s36, 0x1d0
	s_movk_i32 s37, 0x1e0
	v_add_co_u32 v61, vcc_lo, s8, v6
	v_add_co_ci_u32_e64 v62, null, s14, v7, vcc_lo
	v_ashrrev_i32_e32 v6, 31, v5
	s_movk_i32 s38, 0x1f0
	s_movk_i32 s71, 0x200
	s_movk_i32 s72, 0x210
	s_movk_i32 s73, 0x220
	v_lshlrev_b64 v[6:7], 4, v[5:6]
	v_add_nc_u32_e32 v5, s9, v5
	s_movk_i32 s74, 0x230
	s_movk_i32 s75, 0x240
	s_movk_i32 s76, 0x250
	s_movk_i32 s77, 0x260
	v_add_co_u32 v57, vcc_lo, s8, v6
	v_add_co_ci_u32_e64 v58, null, s14, v7, vcc_lo
	v_ashrrev_i32_e32 v6, 31, v5
	s_movk_i32 s78, 0x270
	s_movk_i32 s79, 0x280
	s_movk_i32 s80, 0x290
	s_movk_i32 s81, 0x2a0
	;; [unrolled: 13-line block ×3, first 2 shown]
	v_lshlrev_b64 v[6:7], 4, v[5:6]
	v_add_nc_u32_e32 v5, s9, v5
	s_movk_i32 s90, 0x330
	s_movk_i32 s91, 0x340
	;; [unrolled: 1-line block ×4, first 2 shown]
	v_add_co_u32 v53, vcc_lo, s8, v6
	v_add_co_ci_u32_e64 v54, null, s14, v7, vcc_lo
	v_ashrrev_i32_e32 v6, 31, v5
	s_movk_i32 s94, 0x370
	s_movk_i32 s95, 0x380
	s_add_i32 s64, s4, 16
	s_add_i32 s60, s15, 16
	v_lshlrev_b64 v[6:7], 4, v[5:6]
	v_add_nc_u32_e32 v5, s9, v5
	s_add_i32 s59, s16, 16
	s_add_i32 s58, s17, 16
	s_add_i32 s57, s18, 16
	s_add_i32 s56, s19, 16
	v_add_co_u32 v51, vcc_lo, s8, v6
	v_add_co_ci_u32_e64 v52, null, s14, v7, vcc_lo
	v_ashrrev_i32_e32 v6, 31, v5
	s_add_i32 s55, s20, 16
	s_add_i32 s54, s21, 16
	s_add_i32 s53, s22, 16
	s_add_i32 s52, s23, 16
	v_lshlrev_b64 v[6:7], 4, v[5:6]
	v_add_nc_u32_e32 v5, s9, v5
	s_add_i32 s51, s24, 16
	s_add_i32 s50, s25, 16
	s_add_i32 s49, s26, 16
	s_add_i32 s48, s27, 16
	v_add_co_u32 v49, vcc_lo, s8, v6
	v_add_co_ci_u32_e64 v50, null, s14, v7, vcc_lo
	v_ashrrev_i32_e32 v6, 31, v5
	s_add_i32 s47, s28, 16
	s_add_i32 s46, s29, 16
	;; [unrolled: 13-line block ×5, first 2 shown]
	s_add_i32 s20, s87, 16
	s_add_i32 s19, s88, 16
	v_lshlrev_b64 v[6:7], 4, v[5:6]
	v_add_nc_u32_e32 v5, s9, v5
	s_add_i32 s18, s89, 16
	s_add_i32 s17, s90, 16
	;; [unrolled: 1-line block ×4, first 2 shown]
	v_add_co_u32 v41, vcc_lo, s8, v6
	v_add_co_ci_u32_e64 v42, null, s14, v7, vcc_lo
	v_ashrrev_i32_e32 v6, 31, v5
	s_mov_b32 s5, -1
	s_mov_b32 s68, 32
	s_mov_b32 s67, 48
	;; [unrolled: 1-line block ×3, first 2 shown]
	v_lshlrev_b64 v[6:7], 4, v[5:6]
	v_add_nc_u32_e32 v5, s9, v5
	s_movk_i32 s65, 0x50
	s_waitcnt vmcnt(0) lgkmcnt(0)
	buffer_store_dword v4, off, s[0:3], 0 offset:28
	buffer_store_dword v3, off, s[0:3], 0 offset:24
	buffer_store_dword v2, off, s[0:3], 0 offset:20
	buffer_store_dword v1, off, s[0:3], 0 offset:16
	flat_load_dwordx4 v[1:4], v[63:64]
	v_add_co_u32 v37, vcc_lo, s8, v6
	v_add_co_ci_u32_e64 v38, null, s14, v7, vcc_lo
	v_ashrrev_i32_e32 v6, 31, v5
	s_waitcnt vmcnt(0) lgkmcnt(0)
	buffer_store_dword v4, off, s[0:3], 0 offset:44
	buffer_store_dword v3, off, s[0:3], 0 offset:40
	buffer_store_dword v2, off, s[0:3], 0 offset:36
	buffer_store_dword v1, off, s[0:3], 0 offset:32
	flat_load_dwordx4 v[1:4], v[61:62]
	v_lshlrev_b64 v[6:7], 4, v[5:6]
	v_add_nc_u32_e32 v5, s9, v5
	s_waitcnt vmcnt(0) lgkmcnt(0)
	buffer_store_dword v4, off, s[0:3], 0 offset:60
	buffer_store_dword v3, off, s[0:3], 0 offset:56
	buffer_store_dword v2, off, s[0:3], 0 offset:52
	buffer_store_dword v1, off, s[0:3], 0 offset:48
	flat_load_dwordx4 v[1:4], v[57:58]
	v_add_co_u32 v35, vcc_lo, s8, v6
	v_add_co_ci_u32_e64 v36, null, s14, v7, vcc_lo
	v_ashrrev_i32_e32 v6, 31, v5
	s_waitcnt vmcnt(0) lgkmcnt(0)
	buffer_store_dword v4, off, s[0:3], 0 offset:76
	buffer_store_dword v3, off, s[0:3], 0 offset:72
	buffer_store_dword v2, off, s[0:3], 0 offset:68
	buffer_store_dword v1, off, s[0:3], 0 offset:64
	flat_load_dwordx4 v[1:4], v[55:56]
	v_lshlrev_b64 v[6:7], 4, v[5:6]
	v_add_nc_u32_e32 v5, s9, v5
	;; [unrolled: 17-line block ×11, first 2 shown]
	s_waitcnt vmcnt(0) lgkmcnt(0)
	buffer_store_dword v4, off, s[0:3], 0 offset:380
	buffer_store_dword v3, off, s[0:3], 0 offset:376
	;; [unrolled: 1-line block ×4, first 2 shown]
	v_add_co_u32 v15, vcc_lo, s8, v6
	v_add_co_ci_u32_e64 v16, null, s14, v7, vcc_lo
	v_ashrrev_i32_e32 v6, 31, v5
	flat_load_dwordx4 v[1:4], v[15:16]
	s_waitcnt vmcnt(0) lgkmcnt(0)
	buffer_store_dword v4, off, s[0:3], 0 offset:396
	buffer_store_dword v3, off, s[0:3], 0 offset:392
	buffer_store_dword v2, off, s[0:3], 0 offset:388
	buffer_store_dword v1, off, s[0:3], 0 offset:384
	v_lshlrev_b64 v[6:7], 4, v[5:6]
	v_add_nc_u32_e32 v5, s9, v5
	v_add_co_u32 v13, vcc_lo, s8, v6
	v_add_co_ci_u32_e64 v14, null, s14, v7, vcc_lo
	v_ashrrev_i32_e32 v6, 31, v5
	flat_load_dwordx4 v[1:4], v[13:14]
	s_waitcnt vmcnt(0) lgkmcnt(0)
	buffer_store_dword v4, off, s[0:3], 0 offset:412
	buffer_store_dword v3, off, s[0:3], 0 offset:408
	buffer_store_dword v2, off, s[0:3], 0 offset:404
	buffer_store_dword v1, off, s[0:3], 0 offset:400
	v_lshlrev_b64 v[6:7], 4, v[5:6]
	v_add_nc_u32_e32 v5, s9, v5
	;; [unrolled: 11-line block ×32, first 2 shown]
	s_movk_i32 s9, 0x70
	s_add_i32 s62, s9, 16
	s_add_i32 s9, s94, 16
	v_add_co_u32 v119, vcc_lo, s8, v6
	v_add_co_ci_u32_e64 v120, null, s14, v7, vcc_lo
	v_ashrrev_i32_e32 v6, 31, v5
	flat_load_dwordx4 v[1:4], v[119:120]
	s_waitcnt vmcnt(0) lgkmcnt(0)
	buffer_store_dword v4, off, s[0:3], 0 offset:908
	buffer_store_dword v3, off, s[0:3], 0 offset:904
	;; [unrolled: 1-line block ×4, first 2 shown]
	v_lshlrev_b64 v[5:6], 4, v[5:6]
	v_add_co_u32 v121, vcc_lo, s8, v5
	v_add_co_ci_u32_e64 v122, null, s14, v6, vcc_lo
	s_movk_i32 s8, 0x60
	s_movk_i32 s14, 0x80
	s_add_i32 s63, s8, 16
	flat_load_dwordx4 v[1:4], v[121:122]
	s_add_i32 s61, s14, 16
	s_add_i32 s14, s93, 16
	;; [unrolled: 1-line block ×3, first 2 shown]
	s_bitcmp0_b32 s70, 0
	s_waitcnt vmcnt(0) lgkmcnt(0)
	buffer_store_dword v4, off, s[0:3], 0 offset:924
	buffer_store_dword v3, off, s[0:3], 0 offset:920
	;; [unrolled: 1-line block ×4, first 2 shown]
	s_cbranch_scc1 .LBB120_240
; %bb.4:
	v_cmp_eq_u32_e64 s4, 0, v0
	s_and_saveexec_b32 s5, s4
; %bb.5:
	v_mov_b32_e32 v1, 0
	ds_write_b32 v1, v1 offset:1824
; %bb.6:
	s_or_b32 exec_lo, exec_lo, s5
	v_lshl_add_u32 v126, v0, 4, 16
	s_waitcnt lgkmcnt(0)
	s_waitcnt_vscnt null, 0x0
	s_barrier
	buffer_gl0_inv
	s_clause 0x3
	buffer_load_dword v1, v126, s[0:3], 0 offen
	buffer_load_dword v2, v126, s[0:3], 0 offen offset:4
	buffer_load_dword v3, v126, s[0:3], 0 offen offset:8
	;; [unrolled: 1-line block ×3, first 2 shown]
	s_waitcnt vmcnt(2)
	v_cmp_eq_f64_e32 vcc_lo, 0, v[1:2]
	s_waitcnt vmcnt(0)
	v_cmp_eq_f64_e64 s5, 0, v[3:4]
	s_and_b32 s5, vcc_lo, s5
	s_and_saveexec_b32 s70, s5
	s_cbranch_execz .LBB120_10
; %bb.7:
	v_mov_b32_e32 v1, 0
	s_mov_b32 s71, 0
	ds_read_b32 v2, v1 offset:1824
	s_waitcnt lgkmcnt(0)
	v_readfirstlane_b32 s5, v2
	v_add_nc_u32_e32 v2, 1, v0
	s_cmp_eq_u32 s5, 0
	v_cmp_gt_i32_e32 vcc_lo, s5, v2
	s_cselect_b32 s72, -1, 0
	s_or_b32 s72, s72, vcc_lo
	s_and_b32 exec_lo, exec_lo, s72
	s_cbranch_execz .LBB120_10
; %bb.8:
	v_mov_b32_e32 v3, s5
.LBB120_9:                              ; =>This Inner Loop Header: Depth=1
	ds_cmpst_rtn_b32 v3, v1, v3, v2 offset:1824
	s_waitcnt lgkmcnt(0)
	v_cmp_ne_u32_e32 vcc_lo, 0, v3
	v_cmp_le_i32_e64 s5, v3, v2
	s_and_b32 s5, vcc_lo, s5
	s_and_b32 s5, exec_lo, s5
	s_or_b32 s71, s5, s71
	s_andn2_b32 exec_lo, exec_lo, s71
	s_cbranch_execnz .LBB120_9
.LBB120_10:
	s_or_b32 exec_lo, exec_lo, s70
	v_mov_b32_e32 v1, 0
	s_barrier
	buffer_gl0_inv
	ds_read_b32 v2, v1 offset:1824
	s_and_saveexec_b32 s5, s4
	s_cbranch_execz .LBB120_12
; %bb.11:
	s_lshl_b64 s[70:71], s[6:7], 2
	s_add_u32 s70, s10, s70
	s_addc_u32 s71, s11, s71
	s_waitcnt lgkmcnt(0)
	global_store_dword v1, v2, s[70:71]
.LBB120_12:
	s_or_b32 exec_lo, exec_lo, s5
	s_waitcnt lgkmcnt(0)
	v_cmp_ne_u32_e32 vcc_lo, 0, v2
	s_mov_b32 s5, 0
	s_cbranch_vccnz .LBB120_240
; %bb.13:
	s_clause 0x3
	buffer_load_dword v7, v126, s[0:3], 0 offen
	buffer_load_dword v8, v126, s[0:3], 0 offen offset:4
	buffer_load_dword v123, v126, s[0:3], 0 offen offset:8
	;; [unrolled: 1-line block ×3, first 2 shown]
                                        ; implicit-def: $vgpr5_vgpr6
                                        ; implicit-def: $vgpr3_vgpr4
	s_waitcnt vmcnt(0)
	v_cmp_ngt_f64_e64 s5, |v[7:8]|, |v[123:124]|
	s_and_saveexec_b32 s70, s5
	s_xor_b32 s5, exec_lo, s70
	s_cbranch_execz .LBB120_15
; %bb.14:
	v_div_scale_f64 v[1:2], null, v[123:124], v[123:124], v[7:8]
	v_div_scale_f64 v[127:128], vcc_lo, v[7:8], v[123:124], v[7:8]
	v_rcp_f64_e32 v[3:4], v[1:2]
	v_fma_f64 v[5:6], -v[1:2], v[3:4], 1.0
	v_fma_f64 v[3:4], v[3:4], v[5:6], v[3:4]
	v_fma_f64 v[5:6], -v[1:2], v[3:4], 1.0
	v_fma_f64 v[3:4], v[3:4], v[5:6], v[3:4]
	v_mul_f64 v[5:6], v[127:128], v[3:4]
	v_fma_f64 v[1:2], -v[1:2], v[5:6], v[127:128]
	v_div_fmas_f64 v[1:2], v[1:2], v[3:4], v[5:6]
	v_div_fixup_f64 v[1:2], v[1:2], v[123:124], v[7:8]
	v_fma_f64 v[3:4], v[7:8], v[1:2], v[123:124]
	v_div_scale_f64 v[5:6], null, v[3:4], v[3:4], 1.0
	v_div_scale_f64 v[127:128], vcc_lo, 1.0, v[3:4], 1.0
	v_rcp_f64_e32 v[7:8], v[5:6]
	v_fma_f64 v[123:124], -v[5:6], v[7:8], 1.0
	v_fma_f64 v[7:8], v[7:8], v[123:124], v[7:8]
	v_fma_f64 v[123:124], -v[5:6], v[7:8], 1.0
	v_fma_f64 v[7:8], v[7:8], v[123:124], v[7:8]
	v_mul_f64 v[123:124], v[127:128], v[7:8]
	v_fma_f64 v[5:6], -v[5:6], v[123:124], v[127:128]
	v_div_fmas_f64 v[5:6], v[5:6], v[7:8], v[123:124]
                                        ; implicit-def: $vgpr7_vgpr8
                                        ; implicit-def: $vgpr123_vgpr124
	v_div_fixup_f64 v[3:4], v[5:6], v[3:4], 1.0
	v_mul_f64 v[5:6], v[1:2], v[3:4]
	v_xor_b32_e32 v4, 0x80000000, v4
	v_xor_b32_e32 v2, 0x80000000, v6
	v_mov_b32_e32 v1, v5
.LBB120_15:
	s_andn2_saveexec_b32 s5, s5
	s_cbranch_execz .LBB120_17
; %bb.16:
	v_div_scale_f64 v[1:2], null, v[7:8], v[7:8], v[123:124]
	v_div_scale_f64 v[127:128], vcc_lo, v[123:124], v[7:8], v[123:124]
	v_rcp_f64_e32 v[3:4], v[1:2]
	v_fma_f64 v[5:6], -v[1:2], v[3:4], 1.0
	v_fma_f64 v[3:4], v[3:4], v[5:6], v[3:4]
	v_fma_f64 v[5:6], -v[1:2], v[3:4], 1.0
	v_fma_f64 v[3:4], v[3:4], v[5:6], v[3:4]
	v_mul_f64 v[5:6], v[127:128], v[3:4]
	v_fma_f64 v[1:2], -v[1:2], v[5:6], v[127:128]
	v_div_fmas_f64 v[1:2], v[1:2], v[3:4], v[5:6]
	v_div_fixup_f64 v[1:2], v[1:2], v[7:8], v[123:124]
	v_fma_f64 v[3:4], v[123:124], v[1:2], v[7:8]
	v_div_scale_f64 v[5:6], null, v[3:4], v[3:4], 1.0
	v_rcp_f64_e32 v[7:8], v[5:6]
	v_fma_f64 v[123:124], -v[5:6], v[7:8], 1.0
	v_fma_f64 v[7:8], v[7:8], v[123:124], v[7:8]
	v_fma_f64 v[123:124], -v[5:6], v[7:8], 1.0
	v_fma_f64 v[7:8], v[7:8], v[123:124], v[7:8]
	v_div_scale_f64 v[123:124], vcc_lo, 1.0, v[3:4], 1.0
	v_mul_f64 v[127:128], v[123:124], v[7:8]
	v_fma_f64 v[5:6], -v[5:6], v[127:128], v[123:124]
	v_div_fmas_f64 v[5:6], v[5:6], v[7:8], v[127:128]
	v_div_fixup_f64 v[5:6], v[5:6], v[3:4], 1.0
	v_mul_f64 v[3:4], v[1:2], -v[5:6]
	v_xor_b32_e32 v2, 0x80000000, v6
	v_mov_b32_e32 v1, v5
.LBB120_17:
	s_or_b32 exec_lo, exec_lo, s5
	v_mov_b32_e32 v7, s68
	buffer_store_dword v6, v126, s[0:3], 0 offen offset:4
	buffer_store_dword v5, v126, s[0:3], 0 offen
	buffer_store_dword v4, v126, s[0:3], 0 offen offset:12
	buffer_store_dword v3, v126, s[0:3], 0 offen offset:8
	v_xor_b32_e32 v4, 0x80000000, v4
	v_add_nc_u32_e32 v5, 0x390, v125
	s_clause 0x3
	buffer_load_dword v130, v7, s[0:3], 0 offen offset:12
	buffer_load_dword v129, v7, s[0:3], 0 offen offset:8
	;; [unrolled: 1-line block ×3, first 2 shown]
	buffer_load_dword v127, v7, s[0:3], 0 offen
	ds_write_b128 v125, v[1:4]
	s_waitcnt vmcnt(0)
	ds_write_b128 v125, v[127:130] offset:912
	s_waitcnt lgkmcnt(0)
	s_waitcnt_vscnt null, 0x0
	s_barrier
	buffer_gl0_inv
	s_and_saveexec_b32 s5, s4
	s_cbranch_execz .LBB120_19
; %bb.18:
	s_clause 0x3
	buffer_load_dword v6, v126, s[0:3], 0 offen offset:8
	buffer_load_dword v7, v126, s[0:3], 0 offen offset:12
	buffer_load_dword v123, v126, s[0:3], 0 offen
	buffer_load_dword v124, v126, s[0:3], 0 offen offset:4
	ds_read_b128 v[1:4], v5
	v_mov_b32_e32 v8, 0
	ds_read_b128 v[127:130], v8 offset:16
	s_waitcnt vmcnt(2) lgkmcnt(1)
	v_mul_f64 v[131:132], v[1:2], v[6:7]
	v_mul_f64 v[6:7], v[3:4], v[6:7]
	s_waitcnt vmcnt(0)
	v_fma_f64 v[3:4], v[3:4], v[123:124], v[131:132]
	v_fma_f64 v[1:2], v[1:2], v[123:124], -v[6:7]
	v_add_f64 v[3:4], v[3:4], 0
	v_add_f64 v[1:2], v[1:2], 0
	s_waitcnt lgkmcnt(0)
	v_mul_f64 v[6:7], v[3:4], v[129:130]
	v_mul_f64 v[123:124], v[1:2], v[129:130]
	v_fma_f64 v[1:2], v[1:2], v[127:128], -v[6:7]
	v_fma_f64 v[3:4], v[3:4], v[127:128], v[123:124]
	buffer_store_dword v1, off, s[0:3], 0 offset:32
	buffer_store_dword v2, off, s[0:3], 0 offset:36
	buffer_store_dword v3, off, s[0:3], 0 offset:40
	buffer_store_dword v4, off, s[0:3], 0 offset:44
.LBB120_19:
	s_or_b32 exec_lo, exec_lo, s5
	v_mov_b32_e32 v4, s67
	s_waitcnt_vscnt null, 0x0
	s_barrier
	buffer_gl0_inv
	s_mov_b32 s5, exec_lo
	s_clause 0x3
	buffer_load_dword v1, v4, s[0:3], 0 offen
	buffer_load_dword v2, v4, s[0:3], 0 offen offset:4
	buffer_load_dword v3, v4, s[0:3], 0 offen offset:8
	;; [unrolled: 1-line block ×3, first 2 shown]
	s_waitcnt vmcnt(0)
	ds_write_b128 v5, v[1:4]
	s_waitcnt lgkmcnt(0)
	s_barrier
	buffer_gl0_inv
	v_cmpx_gt_u32_e32 2, v0
	s_cbranch_execz .LBB120_23
; %bb.20:
	s_clause 0x3
	buffer_load_dword v6, v126, s[0:3], 0 offen offset:8
	buffer_load_dword v7, v126, s[0:3], 0 offen offset:12
	buffer_load_dword v123, v126, s[0:3], 0 offen
	buffer_load_dword v124, v126, s[0:3], 0 offen offset:4
	ds_read_b128 v[1:4], v5
	s_waitcnt vmcnt(2) lgkmcnt(0)
	v_mul_f64 v[126:127], v[3:4], v[6:7]
	v_mul_f64 v[6:7], v[1:2], v[6:7]
	s_waitcnt vmcnt(0)
	v_fma_f64 v[1:2], v[1:2], v[123:124], -v[126:127]
	v_fma_f64 v[3:4], v[3:4], v[123:124], v[6:7]
	v_add_f64 v[1:2], v[1:2], 0
	v_add_f64 v[3:4], v[3:4], 0
	s_and_saveexec_b32 s70, s4
	s_cbranch_execz .LBB120_22
; %bb.21:
	s_clause 0x3
	buffer_load_dword v6, off, s[0:3], 0 offset:40
	buffer_load_dword v7, off, s[0:3], 0 offset:44
	;; [unrolled: 1-line block ×4, first 2 shown]
	v_mov_b32_e32 v8, 0
	ds_read_b128 v[126:129], v8 offset:928
	s_waitcnt vmcnt(2) lgkmcnt(0)
	v_mul_f64 v[130:131], v[126:127], v[6:7]
	v_mul_f64 v[6:7], v[128:129], v[6:7]
	s_waitcnt vmcnt(0)
	v_fma_f64 v[128:129], v[128:129], v[123:124], v[130:131]
	v_fma_f64 v[6:7], v[126:127], v[123:124], -v[6:7]
	v_add_f64 v[3:4], v[3:4], v[128:129]
	v_add_f64 v[1:2], v[1:2], v[6:7]
.LBB120_22:
	s_or_b32 exec_lo, exec_lo, s70
	v_mov_b32_e32 v6, 0
	ds_read_b128 v[126:129], v6 offset:32
	s_waitcnt lgkmcnt(0)
	v_mul_f64 v[6:7], v[3:4], v[128:129]
	v_mul_f64 v[123:124], v[1:2], v[128:129]
	v_fma_f64 v[1:2], v[1:2], v[126:127], -v[6:7]
	v_fma_f64 v[3:4], v[3:4], v[126:127], v[123:124]
	buffer_store_dword v2, off, s[0:3], 0 offset:52
	buffer_store_dword v1, off, s[0:3], 0 offset:48
	buffer_store_dword v4, off, s[0:3], 0 offset:60
	buffer_store_dword v3, off, s[0:3], 0 offset:56
.LBB120_23:
	s_or_b32 exec_lo, exec_lo, s5
	v_mov_b32_e32 v4, s66
	s_waitcnt_vscnt null, 0x0
	s_barrier
	buffer_gl0_inv
	v_add_nc_u32_e32 v6, -1, v0
	s_clause 0x3
	buffer_load_dword v1, v4, s[0:3], 0 offen
	buffer_load_dword v2, v4, s[0:3], 0 offen offset:4
	buffer_load_dword v3, v4, s[0:3], 0 offen offset:8
	;; [unrolled: 1-line block ×3, first 2 shown]
	s_mov_b32 s4, exec_lo
	s_waitcnt vmcnt(0)
	ds_write_b128 v5, v[1:4]
	s_waitcnt lgkmcnt(0)
	s_barrier
	buffer_gl0_inv
	v_cmpx_gt_u32_e32 3, v0
	s_cbranch_execz .LBB120_27
; %bb.24:
	v_mov_b32_e32 v1, 0
	v_mov_b32_e32 v3, 0
	v_add_nc_u32_e32 v7, -1, v0
	v_add_nc_u32_e32 v8, 0x390, v125
	v_mov_b32_e32 v2, 0
	v_mov_b32_e32 v4, 0
	v_add_nc_u32_e32 v123, 16, v125
	s_mov_b32 s5, 0
	.p2align	6
.LBB120_25:                             ; =>This Inner Loop Header: Depth=1
	s_clause 0x3
	buffer_load_dword v130, v123, s[0:3], 0 offen offset:8
	buffer_load_dword v131, v123, s[0:3], 0 offen offset:12
	buffer_load_dword v132, v123, s[0:3], 0 offen
	buffer_load_dword v133, v123, s[0:3], 0 offen offset:4
	ds_read_b128 v[126:129], v8
	v_add_nc_u32_e32 v7, 1, v7
	v_add_nc_u32_e32 v8, 16, v8
	;; [unrolled: 1-line block ×3, first 2 shown]
	v_cmp_lt_u32_e32 vcc_lo, 1, v7
	s_or_b32 s5, vcc_lo, s5
	s_waitcnt vmcnt(2) lgkmcnt(0)
	v_mul_f64 v[134:135], v[128:129], v[130:131]
	v_mul_f64 v[130:131], v[126:127], v[130:131]
	s_waitcnt vmcnt(0)
	v_fma_f64 v[126:127], v[126:127], v[132:133], -v[134:135]
	v_fma_f64 v[128:129], v[128:129], v[132:133], v[130:131]
	v_add_f64 v[3:4], v[3:4], v[126:127]
	v_add_f64 v[1:2], v[1:2], v[128:129]
	s_andn2_b32 exec_lo, exec_lo, s5
	s_cbranch_execnz .LBB120_25
; %bb.26:
	s_or_b32 exec_lo, exec_lo, s5
	v_mov_b32_e32 v7, 0
	ds_read_b128 v[126:129], v7 offset:48
	s_waitcnt lgkmcnt(0)
	v_mul_f64 v[7:8], v[1:2], v[128:129]
	v_mul_f64 v[123:124], v[3:4], v[128:129]
	v_fma_f64 v[3:4], v[3:4], v[126:127], -v[7:8]
	v_fma_f64 v[1:2], v[1:2], v[126:127], v[123:124]
	buffer_store_dword v4, off, s[0:3], 0 offset:68
	buffer_store_dword v3, off, s[0:3], 0 offset:64
	;; [unrolled: 1-line block ×4, first 2 shown]
.LBB120_27:
	s_or_b32 exec_lo, exec_lo, s4
	v_mov_b32_e32 v4, s65
	s_waitcnt_vscnt null, 0x0
	s_barrier
	buffer_gl0_inv
	s_mov_b32 s4, exec_lo
	s_clause 0x3
	buffer_load_dword v1, v4, s[0:3], 0 offen
	buffer_load_dword v2, v4, s[0:3], 0 offen offset:4
	buffer_load_dword v3, v4, s[0:3], 0 offen offset:8
	;; [unrolled: 1-line block ×3, first 2 shown]
	s_waitcnt vmcnt(0)
	ds_write_b128 v5, v[1:4]
	s_waitcnt lgkmcnt(0)
	s_barrier
	buffer_gl0_inv
	v_cmpx_gt_u32_e32 4, v0
	s_cbranch_execz .LBB120_31
; %bb.28:
	v_mov_b32_e32 v1, 0
	v_mov_b32_e32 v3, 0
	v_add_nc_u32_e32 v7, -1, v0
	v_add_nc_u32_e32 v8, 0x390, v125
	v_mov_b32_e32 v2, 0
	v_mov_b32_e32 v4, 0
	v_add_nc_u32_e32 v123, 16, v125
	s_mov_b32 s5, 0
	.p2align	6
.LBB120_29:                             ; =>This Inner Loop Header: Depth=1
	s_clause 0x3
	buffer_load_dword v130, v123, s[0:3], 0 offen offset:8
	buffer_load_dword v131, v123, s[0:3], 0 offen offset:12
	buffer_load_dword v132, v123, s[0:3], 0 offen
	buffer_load_dword v133, v123, s[0:3], 0 offen offset:4
	ds_read_b128 v[126:129], v8
	v_add_nc_u32_e32 v7, 1, v7
	v_add_nc_u32_e32 v8, 16, v8
	;; [unrolled: 1-line block ×3, first 2 shown]
	v_cmp_lt_u32_e32 vcc_lo, 2, v7
	s_or_b32 s5, vcc_lo, s5
	s_waitcnt vmcnt(2) lgkmcnt(0)
	v_mul_f64 v[134:135], v[128:129], v[130:131]
	v_mul_f64 v[130:131], v[126:127], v[130:131]
	s_waitcnt vmcnt(0)
	v_fma_f64 v[126:127], v[126:127], v[132:133], -v[134:135]
	v_fma_f64 v[128:129], v[128:129], v[132:133], v[130:131]
	v_add_f64 v[3:4], v[3:4], v[126:127]
	v_add_f64 v[1:2], v[1:2], v[128:129]
	s_andn2_b32 exec_lo, exec_lo, s5
	s_cbranch_execnz .LBB120_29
; %bb.30:
	s_or_b32 exec_lo, exec_lo, s5
	v_mov_b32_e32 v7, 0
	ds_read_b128 v[126:129], v7 offset:64
	s_waitcnt lgkmcnt(0)
	v_mul_f64 v[7:8], v[1:2], v[128:129]
	v_mul_f64 v[123:124], v[3:4], v[128:129]
	v_fma_f64 v[3:4], v[3:4], v[126:127], -v[7:8]
	v_fma_f64 v[1:2], v[1:2], v[126:127], v[123:124]
	buffer_store_dword v4, off, s[0:3], 0 offset:84
	buffer_store_dword v3, off, s[0:3], 0 offset:80
	;; [unrolled: 1-line block ×4, first 2 shown]
.LBB120_31:
	s_or_b32 exec_lo, exec_lo, s4
	v_mov_b32_e32 v4, s64
	s_waitcnt_vscnt null, 0x0
	s_barrier
	buffer_gl0_inv
	s_mov_b32 s4, exec_lo
	s_clause 0x3
	buffer_load_dword v1, v4, s[0:3], 0 offen
	buffer_load_dword v2, v4, s[0:3], 0 offen offset:4
	buffer_load_dword v3, v4, s[0:3], 0 offen offset:8
	;; [unrolled: 1-line block ×3, first 2 shown]
	s_waitcnt vmcnt(0)
	ds_write_b128 v5, v[1:4]
	s_waitcnt lgkmcnt(0)
	s_barrier
	buffer_gl0_inv
	v_cmpx_gt_u32_e32 5, v0
	s_cbranch_execz .LBB120_35
; %bb.32:
	v_mov_b32_e32 v1, 0
	v_mov_b32_e32 v3, 0
	v_add_nc_u32_e32 v7, -1, v0
	v_add_nc_u32_e32 v8, 0x390, v125
	v_mov_b32_e32 v2, 0
	v_mov_b32_e32 v4, 0
	v_add_nc_u32_e32 v123, 16, v125
	s_mov_b32 s5, 0
	.p2align	6
.LBB120_33:                             ; =>This Inner Loop Header: Depth=1
	s_clause 0x3
	buffer_load_dword v130, v123, s[0:3], 0 offen offset:8
	buffer_load_dword v131, v123, s[0:3], 0 offen offset:12
	buffer_load_dword v132, v123, s[0:3], 0 offen
	buffer_load_dword v133, v123, s[0:3], 0 offen offset:4
	ds_read_b128 v[126:129], v8
	v_add_nc_u32_e32 v7, 1, v7
	v_add_nc_u32_e32 v8, 16, v8
	v_add_nc_u32_e32 v123, 16, v123
	v_cmp_lt_u32_e32 vcc_lo, 3, v7
	s_or_b32 s5, vcc_lo, s5
	s_waitcnt vmcnt(2) lgkmcnt(0)
	v_mul_f64 v[134:135], v[128:129], v[130:131]
	v_mul_f64 v[130:131], v[126:127], v[130:131]
	s_waitcnt vmcnt(0)
	v_fma_f64 v[126:127], v[126:127], v[132:133], -v[134:135]
	v_fma_f64 v[128:129], v[128:129], v[132:133], v[130:131]
	v_add_f64 v[3:4], v[3:4], v[126:127]
	v_add_f64 v[1:2], v[1:2], v[128:129]
	s_andn2_b32 exec_lo, exec_lo, s5
	s_cbranch_execnz .LBB120_33
; %bb.34:
	s_or_b32 exec_lo, exec_lo, s5
	v_mov_b32_e32 v7, 0
	ds_read_b128 v[126:129], v7 offset:80
	s_waitcnt lgkmcnt(0)
	v_mul_f64 v[7:8], v[1:2], v[128:129]
	v_mul_f64 v[123:124], v[3:4], v[128:129]
	v_fma_f64 v[3:4], v[3:4], v[126:127], -v[7:8]
	v_fma_f64 v[1:2], v[1:2], v[126:127], v[123:124]
	buffer_store_dword v4, off, s[0:3], 0 offset:100
	buffer_store_dword v3, off, s[0:3], 0 offset:96
	;; [unrolled: 1-line block ×4, first 2 shown]
.LBB120_35:
	s_or_b32 exec_lo, exec_lo, s4
	v_mov_b32_e32 v4, s63
	s_waitcnt_vscnt null, 0x0
	s_barrier
	buffer_gl0_inv
	s_mov_b32 s4, exec_lo
	s_clause 0x3
	buffer_load_dword v1, v4, s[0:3], 0 offen
	buffer_load_dword v2, v4, s[0:3], 0 offen offset:4
	buffer_load_dword v3, v4, s[0:3], 0 offen offset:8
	;; [unrolled: 1-line block ×3, first 2 shown]
	s_waitcnt vmcnt(0)
	ds_write_b128 v5, v[1:4]
	s_waitcnt lgkmcnt(0)
	s_barrier
	buffer_gl0_inv
	v_cmpx_gt_u32_e32 6, v0
	s_cbranch_execz .LBB120_39
; %bb.36:
	v_mov_b32_e32 v1, 0
	v_mov_b32_e32 v3, 0
	v_add_nc_u32_e32 v7, -1, v0
	v_add_nc_u32_e32 v8, 0x390, v125
	v_mov_b32_e32 v2, 0
	v_mov_b32_e32 v4, 0
	v_add_nc_u32_e32 v123, 16, v125
	s_mov_b32 s5, 0
	.p2align	6
.LBB120_37:                             ; =>This Inner Loop Header: Depth=1
	s_clause 0x3
	buffer_load_dword v130, v123, s[0:3], 0 offen offset:8
	buffer_load_dword v131, v123, s[0:3], 0 offen offset:12
	buffer_load_dword v132, v123, s[0:3], 0 offen
	buffer_load_dword v133, v123, s[0:3], 0 offen offset:4
	ds_read_b128 v[126:129], v8
	v_add_nc_u32_e32 v7, 1, v7
	v_add_nc_u32_e32 v8, 16, v8
	;; [unrolled: 1-line block ×3, first 2 shown]
	v_cmp_lt_u32_e32 vcc_lo, 4, v7
	s_or_b32 s5, vcc_lo, s5
	s_waitcnt vmcnt(2) lgkmcnt(0)
	v_mul_f64 v[134:135], v[128:129], v[130:131]
	v_mul_f64 v[130:131], v[126:127], v[130:131]
	s_waitcnt vmcnt(0)
	v_fma_f64 v[126:127], v[126:127], v[132:133], -v[134:135]
	v_fma_f64 v[128:129], v[128:129], v[132:133], v[130:131]
	v_add_f64 v[3:4], v[3:4], v[126:127]
	v_add_f64 v[1:2], v[1:2], v[128:129]
	s_andn2_b32 exec_lo, exec_lo, s5
	s_cbranch_execnz .LBB120_37
; %bb.38:
	s_or_b32 exec_lo, exec_lo, s5
	v_mov_b32_e32 v7, 0
	ds_read_b128 v[126:129], v7 offset:96
	s_waitcnt lgkmcnt(0)
	v_mul_f64 v[7:8], v[1:2], v[128:129]
	v_mul_f64 v[123:124], v[3:4], v[128:129]
	v_fma_f64 v[3:4], v[3:4], v[126:127], -v[7:8]
	v_fma_f64 v[1:2], v[1:2], v[126:127], v[123:124]
	buffer_store_dword v4, off, s[0:3], 0 offset:116
	buffer_store_dword v3, off, s[0:3], 0 offset:112
	buffer_store_dword v2, off, s[0:3], 0 offset:124
	buffer_store_dword v1, off, s[0:3], 0 offset:120
.LBB120_39:
	s_or_b32 exec_lo, exec_lo, s4
	v_mov_b32_e32 v4, s62
	s_waitcnt_vscnt null, 0x0
	s_barrier
	buffer_gl0_inv
	s_mov_b32 s4, exec_lo
	s_clause 0x3
	buffer_load_dword v1, v4, s[0:3], 0 offen
	buffer_load_dword v2, v4, s[0:3], 0 offen offset:4
	buffer_load_dword v3, v4, s[0:3], 0 offen offset:8
	;; [unrolled: 1-line block ×3, first 2 shown]
	s_waitcnt vmcnt(0)
	ds_write_b128 v5, v[1:4]
	s_waitcnt lgkmcnt(0)
	s_barrier
	buffer_gl0_inv
	v_cmpx_gt_u32_e32 7, v0
	s_cbranch_execz .LBB120_43
; %bb.40:
	v_mov_b32_e32 v1, 0
	v_mov_b32_e32 v3, 0
	v_add_nc_u32_e32 v7, -1, v0
	v_add_nc_u32_e32 v8, 0x390, v125
	v_mov_b32_e32 v2, 0
	v_mov_b32_e32 v4, 0
	v_add_nc_u32_e32 v123, 16, v125
	s_mov_b32 s5, 0
	.p2align	6
.LBB120_41:                             ; =>This Inner Loop Header: Depth=1
	s_clause 0x3
	buffer_load_dword v130, v123, s[0:3], 0 offen offset:8
	buffer_load_dword v131, v123, s[0:3], 0 offen offset:12
	buffer_load_dword v132, v123, s[0:3], 0 offen
	buffer_load_dword v133, v123, s[0:3], 0 offen offset:4
	ds_read_b128 v[126:129], v8
	v_add_nc_u32_e32 v7, 1, v7
	v_add_nc_u32_e32 v8, 16, v8
	;; [unrolled: 1-line block ×3, first 2 shown]
	v_cmp_lt_u32_e32 vcc_lo, 5, v7
	s_or_b32 s5, vcc_lo, s5
	s_waitcnt vmcnt(2) lgkmcnt(0)
	v_mul_f64 v[134:135], v[128:129], v[130:131]
	v_mul_f64 v[130:131], v[126:127], v[130:131]
	s_waitcnt vmcnt(0)
	v_fma_f64 v[126:127], v[126:127], v[132:133], -v[134:135]
	v_fma_f64 v[128:129], v[128:129], v[132:133], v[130:131]
	v_add_f64 v[3:4], v[3:4], v[126:127]
	v_add_f64 v[1:2], v[1:2], v[128:129]
	s_andn2_b32 exec_lo, exec_lo, s5
	s_cbranch_execnz .LBB120_41
; %bb.42:
	s_or_b32 exec_lo, exec_lo, s5
	v_mov_b32_e32 v7, 0
	ds_read_b128 v[126:129], v7 offset:112
	s_waitcnt lgkmcnt(0)
	v_mul_f64 v[7:8], v[1:2], v[128:129]
	v_mul_f64 v[123:124], v[3:4], v[128:129]
	v_fma_f64 v[3:4], v[3:4], v[126:127], -v[7:8]
	v_fma_f64 v[1:2], v[1:2], v[126:127], v[123:124]
	buffer_store_dword v4, off, s[0:3], 0 offset:132
	buffer_store_dword v3, off, s[0:3], 0 offset:128
	;; [unrolled: 1-line block ×4, first 2 shown]
.LBB120_43:
	s_or_b32 exec_lo, exec_lo, s4
	v_mov_b32_e32 v4, s61
	s_waitcnt_vscnt null, 0x0
	s_barrier
	buffer_gl0_inv
	s_mov_b32 s4, exec_lo
	s_clause 0x3
	buffer_load_dword v1, v4, s[0:3], 0 offen
	buffer_load_dword v2, v4, s[0:3], 0 offen offset:4
	buffer_load_dword v3, v4, s[0:3], 0 offen offset:8
	;; [unrolled: 1-line block ×3, first 2 shown]
	s_waitcnt vmcnt(0)
	ds_write_b128 v5, v[1:4]
	s_waitcnt lgkmcnt(0)
	s_barrier
	buffer_gl0_inv
	v_cmpx_gt_u32_e32 8, v0
	s_cbranch_execz .LBB120_47
; %bb.44:
	v_mov_b32_e32 v1, 0
	v_mov_b32_e32 v3, 0
	v_add_nc_u32_e32 v7, -1, v0
	v_add_nc_u32_e32 v8, 0x390, v125
	v_mov_b32_e32 v2, 0
	v_mov_b32_e32 v4, 0
	v_add_nc_u32_e32 v123, 16, v125
	s_mov_b32 s5, 0
	.p2align	6
.LBB120_45:                             ; =>This Inner Loop Header: Depth=1
	s_clause 0x3
	buffer_load_dword v130, v123, s[0:3], 0 offen offset:8
	buffer_load_dword v131, v123, s[0:3], 0 offen offset:12
	buffer_load_dword v132, v123, s[0:3], 0 offen
	buffer_load_dword v133, v123, s[0:3], 0 offen offset:4
	ds_read_b128 v[126:129], v8
	v_add_nc_u32_e32 v7, 1, v7
	v_add_nc_u32_e32 v8, 16, v8
	;; [unrolled: 1-line block ×3, first 2 shown]
	v_cmp_lt_u32_e32 vcc_lo, 6, v7
	s_or_b32 s5, vcc_lo, s5
	s_waitcnt vmcnt(2) lgkmcnt(0)
	v_mul_f64 v[134:135], v[128:129], v[130:131]
	v_mul_f64 v[130:131], v[126:127], v[130:131]
	s_waitcnt vmcnt(0)
	v_fma_f64 v[126:127], v[126:127], v[132:133], -v[134:135]
	v_fma_f64 v[128:129], v[128:129], v[132:133], v[130:131]
	v_add_f64 v[3:4], v[3:4], v[126:127]
	v_add_f64 v[1:2], v[1:2], v[128:129]
	s_andn2_b32 exec_lo, exec_lo, s5
	s_cbranch_execnz .LBB120_45
; %bb.46:
	s_or_b32 exec_lo, exec_lo, s5
	v_mov_b32_e32 v7, 0
	ds_read_b128 v[126:129], v7 offset:128
	s_waitcnt lgkmcnt(0)
	v_mul_f64 v[7:8], v[1:2], v[128:129]
	v_mul_f64 v[123:124], v[3:4], v[128:129]
	v_fma_f64 v[3:4], v[3:4], v[126:127], -v[7:8]
	v_fma_f64 v[1:2], v[1:2], v[126:127], v[123:124]
	buffer_store_dword v4, off, s[0:3], 0 offset:148
	buffer_store_dword v3, off, s[0:3], 0 offset:144
	;; [unrolled: 1-line block ×4, first 2 shown]
.LBB120_47:
	s_or_b32 exec_lo, exec_lo, s4
	v_mov_b32_e32 v4, s60
	s_waitcnt_vscnt null, 0x0
	s_barrier
	buffer_gl0_inv
	s_mov_b32 s4, exec_lo
	s_clause 0x3
	buffer_load_dword v1, v4, s[0:3], 0 offen
	buffer_load_dword v2, v4, s[0:3], 0 offen offset:4
	buffer_load_dword v3, v4, s[0:3], 0 offen offset:8
	;; [unrolled: 1-line block ×3, first 2 shown]
	s_waitcnt vmcnt(0)
	ds_write_b128 v5, v[1:4]
	s_waitcnt lgkmcnt(0)
	s_barrier
	buffer_gl0_inv
	v_cmpx_gt_u32_e32 9, v0
	s_cbranch_execz .LBB120_51
; %bb.48:
	v_mov_b32_e32 v1, 0
	v_mov_b32_e32 v3, 0
	v_add_nc_u32_e32 v7, -1, v0
	v_add_nc_u32_e32 v8, 0x390, v125
	v_mov_b32_e32 v2, 0
	v_mov_b32_e32 v4, 0
	v_add_nc_u32_e32 v123, 16, v125
	s_mov_b32 s5, 0
	.p2align	6
.LBB120_49:                             ; =>This Inner Loop Header: Depth=1
	s_clause 0x3
	buffer_load_dword v130, v123, s[0:3], 0 offen offset:8
	buffer_load_dword v131, v123, s[0:3], 0 offen offset:12
	buffer_load_dword v132, v123, s[0:3], 0 offen
	buffer_load_dword v133, v123, s[0:3], 0 offen offset:4
	ds_read_b128 v[126:129], v8
	v_add_nc_u32_e32 v7, 1, v7
	v_add_nc_u32_e32 v8, 16, v8
	;; [unrolled: 1-line block ×3, first 2 shown]
	v_cmp_lt_u32_e32 vcc_lo, 7, v7
	s_or_b32 s5, vcc_lo, s5
	s_waitcnt vmcnt(2) lgkmcnt(0)
	v_mul_f64 v[134:135], v[128:129], v[130:131]
	v_mul_f64 v[130:131], v[126:127], v[130:131]
	s_waitcnt vmcnt(0)
	v_fma_f64 v[126:127], v[126:127], v[132:133], -v[134:135]
	v_fma_f64 v[128:129], v[128:129], v[132:133], v[130:131]
	v_add_f64 v[3:4], v[3:4], v[126:127]
	v_add_f64 v[1:2], v[1:2], v[128:129]
	s_andn2_b32 exec_lo, exec_lo, s5
	s_cbranch_execnz .LBB120_49
; %bb.50:
	s_or_b32 exec_lo, exec_lo, s5
	v_mov_b32_e32 v7, 0
	ds_read_b128 v[126:129], v7 offset:144
	s_waitcnt lgkmcnt(0)
	v_mul_f64 v[7:8], v[1:2], v[128:129]
	v_mul_f64 v[123:124], v[3:4], v[128:129]
	v_fma_f64 v[3:4], v[3:4], v[126:127], -v[7:8]
	v_fma_f64 v[1:2], v[1:2], v[126:127], v[123:124]
	buffer_store_dword v4, off, s[0:3], 0 offset:164
	buffer_store_dword v3, off, s[0:3], 0 offset:160
	;; [unrolled: 1-line block ×4, first 2 shown]
.LBB120_51:
	s_or_b32 exec_lo, exec_lo, s4
	v_mov_b32_e32 v4, s59
	s_waitcnt_vscnt null, 0x0
	s_barrier
	buffer_gl0_inv
	s_mov_b32 s4, exec_lo
	s_clause 0x3
	buffer_load_dword v1, v4, s[0:3], 0 offen
	buffer_load_dword v2, v4, s[0:3], 0 offen offset:4
	buffer_load_dword v3, v4, s[0:3], 0 offen offset:8
	;; [unrolled: 1-line block ×3, first 2 shown]
	s_waitcnt vmcnt(0)
	ds_write_b128 v5, v[1:4]
	s_waitcnt lgkmcnt(0)
	s_barrier
	buffer_gl0_inv
	v_cmpx_gt_u32_e32 10, v0
	s_cbranch_execz .LBB120_55
; %bb.52:
	v_mov_b32_e32 v1, 0
	v_mov_b32_e32 v3, 0
	v_add_nc_u32_e32 v7, -1, v0
	v_add_nc_u32_e32 v8, 0x390, v125
	v_mov_b32_e32 v2, 0
	v_mov_b32_e32 v4, 0
	v_add_nc_u32_e32 v123, 16, v125
	s_mov_b32 s5, 0
	.p2align	6
.LBB120_53:                             ; =>This Inner Loop Header: Depth=1
	s_clause 0x3
	buffer_load_dword v130, v123, s[0:3], 0 offen offset:8
	buffer_load_dword v131, v123, s[0:3], 0 offen offset:12
	buffer_load_dword v132, v123, s[0:3], 0 offen
	buffer_load_dword v133, v123, s[0:3], 0 offen offset:4
	ds_read_b128 v[126:129], v8
	v_add_nc_u32_e32 v7, 1, v7
	v_add_nc_u32_e32 v8, 16, v8
	;; [unrolled: 1-line block ×3, first 2 shown]
	v_cmp_lt_u32_e32 vcc_lo, 8, v7
	s_or_b32 s5, vcc_lo, s5
	s_waitcnt vmcnt(2) lgkmcnt(0)
	v_mul_f64 v[134:135], v[128:129], v[130:131]
	v_mul_f64 v[130:131], v[126:127], v[130:131]
	s_waitcnt vmcnt(0)
	v_fma_f64 v[126:127], v[126:127], v[132:133], -v[134:135]
	v_fma_f64 v[128:129], v[128:129], v[132:133], v[130:131]
	v_add_f64 v[3:4], v[3:4], v[126:127]
	v_add_f64 v[1:2], v[1:2], v[128:129]
	s_andn2_b32 exec_lo, exec_lo, s5
	s_cbranch_execnz .LBB120_53
; %bb.54:
	s_or_b32 exec_lo, exec_lo, s5
	v_mov_b32_e32 v7, 0
	ds_read_b128 v[126:129], v7 offset:160
	s_waitcnt lgkmcnt(0)
	v_mul_f64 v[7:8], v[1:2], v[128:129]
	v_mul_f64 v[123:124], v[3:4], v[128:129]
	v_fma_f64 v[3:4], v[3:4], v[126:127], -v[7:8]
	v_fma_f64 v[1:2], v[1:2], v[126:127], v[123:124]
	buffer_store_dword v4, off, s[0:3], 0 offset:180
	buffer_store_dword v3, off, s[0:3], 0 offset:176
	;; [unrolled: 1-line block ×4, first 2 shown]
.LBB120_55:
	s_or_b32 exec_lo, exec_lo, s4
	v_mov_b32_e32 v4, s58
	s_waitcnt_vscnt null, 0x0
	s_barrier
	buffer_gl0_inv
	s_mov_b32 s4, exec_lo
	s_clause 0x3
	buffer_load_dword v1, v4, s[0:3], 0 offen
	buffer_load_dword v2, v4, s[0:3], 0 offen offset:4
	buffer_load_dword v3, v4, s[0:3], 0 offen offset:8
	;; [unrolled: 1-line block ×3, first 2 shown]
	s_waitcnt vmcnt(0)
	ds_write_b128 v5, v[1:4]
	s_waitcnt lgkmcnt(0)
	s_barrier
	buffer_gl0_inv
	v_cmpx_gt_u32_e32 11, v0
	s_cbranch_execz .LBB120_59
; %bb.56:
	v_mov_b32_e32 v1, 0
	v_mov_b32_e32 v3, 0
	v_add_nc_u32_e32 v7, -1, v0
	v_add_nc_u32_e32 v8, 0x390, v125
	v_mov_b32_e32 v2, 0
	v_mov_b32_e32 v4, 0
	v_add_nc_u32_e32 v123, 16, v125
	s_mov_b32 s5, 0
	.p2align	6
.LBB120_57:                             ; =>This Inner Loop Header: Depth=1
	s_clause 0x3
	buffer_load_dword v130, v123, s[0:3], 0 offen offset:8
	buffer_load_dword v131, v123, s[0:3], 0 offen offset:12
	buffer_load_dword v132, v123, s[0:3], 0 offen
	buffer_load_dword v133, v123, s[0:3], 0 offen offset:4
	ds_read_b128 v[126:129], v8
	v_add_nc_u32_e32 v7, 1, v7
	v_add_nc_u32_e32 v8, 16, v8
	;; [unrolled: 1-line block ×3, first 2 shown]
	v_cmp_lt_u32_e32 vcc_lo, 9, v7
	s_or_b32 s5, vcc_lo, s5
	s_waitcnt vmcnt(2) lgkmcnt(0)
	v_mul_f64 v[134:135], v[128:129], v[130:131]
	v_mul_f64 v[130:131], v[126:127], v[130:131]
	s_waitcnt vmcnt(0)
	v_fma_f64 v[126:127], v[126:127], v[132:133], -v[134:135]
	v_fma_f64 v[128:129], v[128:129], v[132:133], v[130:131]
	v_add_f64 v[3:4], v[3:4], v[126:127]
	v_add_f64 v[1:2], v[1:2], v[128:129]
	s_andn2_b32 exec_lo, exec_lo, s5
	s_cbranch_execnz .LBB120_57
; %bb.58:
	s_or_b32 exec_lo, exec_lo, s5
	v_mov_b32_e32 v7, 0
	ds_read_b128 v[126:129], v7 offset:176
	s_waitcnt lgkmcnt(0)
	v_mul_f64 v[7:8], v[1:2], v[128:129]
	v_mul_f64 v[123:124], v[3:4], v[128:129]
	v_fma_f64 v[3:4], v[3:4], v[126:127], -v[7:8]
	v_fma_f64 v[1:2], v[1:2], v[126:127], v[123:124]
	buffer_store_dword v4, off, s[0:3], 0 offset:196
	buffer_store_dword v3, off, s[0:3], 0 offset:192
	buffer_store_dword v2, off, s[0:3], 0 offset:204
	buffer_store_dword v1, off, s[0:3], 0 offset:200
.LBB120_59:
	s_or_b32 exec_lo, exec_lo, s4
	v_mov_b32_e32 v4, s57
	s_waitcnt_vscnt null, 0x0
	s_barrier
	buffer_gl0_inv
	s_mov_b32 s4, exec_lo
	s_clause 0x3
	buffer_load_dword v1, v4, s[0:3], 0 offen
	buffer_load_dword v2, v4, s[0:3], 0 offen offset:4
	buffer_load_dword v3, v4, s[0:3], 0 offen offset:8
	;; [unrolled: 1-line block ×3, first 2 shown]
	s_waitcnt vmcnt(0)
	ds_write_b128 v5, v[1:4]
	s_waitcnt lgkmcnt(0)
	s_barrier
	buffer_gl0_inv
	v_cmpx_gt_u32_e32 12, v0
	s_cbranch_execz .LBB120_63
; %bb.60:
	v_mov_b32_e32 v1, 0
	v_mov_b32_e32 v3, 0
	v_add_nc_u32_e32 v7, -1, v0
	v_add_nc_u32_e32 v8, 0x390, v125
	v_mov_b32_e32 v2, 0
	v_mov_b32_e32 v4, 0
	v_add_nc_u32_e32 v123, 16, v125
	s_mov_b32 s5, 0
	.p2align	6
.LBB120_61:                             ; =>This Inner Loop Header: Depth=1
	s_clause 0x3
	buffer_load_dword v130, v123, s[0:3], 0 offen offset:8
	buffer_load_dword v131, v123, s[0:3], 0 offen offset:12
	buffer_load_dword v132, v123, s[0:3], 0 offen
	buffer_load_dword v133, v123, s[0:3], 0 offen offset:4
	ds_read_b128 v[126:129], v8
	v_add_nc_u32_e32 v7, 1, v7
	v_add_nc_u32_e32 v8, 16, v8
	v_add_nc_u32_e32 v123, 16, v123
	v_cmp_lt_u32_e32 vcc_lo, 10, v7
	s_or_b32 s5, vcc_lo, s5
	s_waitcnt vmcnt(2) lgkmcnt(0)
	v_mul_f64 v[134:135], v[128:129], v[130:131]
	v_mul_f64 v[130:131], v[126:127], v[130:131]
	s_waitcnt vmcnt(0)
	v_fma_f64 v[126:127], v[126:127], v[132:133], -v[134:135]
	v_fma_f64 v[128:129], v[128:129], v[132:133], v[130:131]
	v_add_f64 v[3:4], v[3:4], v[126:127]
	v_add_f64 v[1:2], v[1:2], v[128:129]
	s_andn2_b32 exec_lo, exec_lo, s5
	s_cbranch_execnz .LBB120_61
; %bb.62:
	s_or_b32 exec_lo, exec_lo, s5
	v_mov_b32_e32 v7, 0
	ds_read_b128 v[126:129], v7 offset:192
	s_waitcnt lgkmcnt(0)
	v_mul_f64 v[7:8], v[1:2], v[128:129]
	v_mul_f64 v[123:124], v[3:4], v[128:129]
	v_fma_f64 v[3:4], v[3:4], v[126:127], -v[7:8]
	v_fma_f64 v[1:2], v[1:2], v[126:127], v[123:124]
	buffer_store_dword v4, off, s[0:3], 0 offset:212
	buffer_store_dword v3, off, s[0:3], 0 offset:208
	;; [unrolled: 1-line block ×4, first 2 shown]
.LBB120_63:
	s_or_b32 exec_lo, exec_lo, s4
	v_mov_b32_e32 v4, s56
	s_waitcnt_vscnt null, 0x0
	s_barrier
	buffer_gl0_inv
	s_mov_b32 s4, exec_lo
	s_clause 0x3
	buffer_load_dword v1, v4, s[0:3], 0 offen
	buffer_load_dword v2, v4, s[0:3], 0 offen offset:4
	buffer_load_dword v3, v4, s[0:3], 0 offen offset:8
	;; [unrolled: 1-line block ×3, first 2 shown]
	s_waitcnt vmcnt(0)
	ds_write_b128 v5, v[1:4]
	s_waitcnt lgkmcnt(0)
	s_barrier
	buffer_gl0_inv
	v_cmpx_gt_u32_e32 13, v0
	s_cbranch_execz .LBB120_67
; %bb.64:
	v_mov_b32_e32 v1, 0
	v_mov_b32_e32 v3, 0
	v_add_nc_u32_e32 v7, -1, v0
	v_add_nc_u32_e32 v8, 0x390, v125
	v_mov_b32_e32 v2, 0
	v_mov_b32_e32 v4, 0
	v_add_nc_u32_e32 v123, 16, v125
	s_mov_b32 s5, 0
	.p2align	6
.LBB120_65:                             ; =>This Inner Loop Header: Depth=1
	s_clause 0x3
	buffer_load_dword v130, v123, s[0:3], 0 offen offset:8
	buffer_load_dword v131, v123, s[0:3], 0 offen offset:12
	buffer_load_dword v132, v123, s[0:3], 0 offen
	buffer_load_dword v133, v123, s[0:3], 0 offen offset:4
	ds_read_b128 v[126:129], v8
	v_add_nc_u32_e32 v7, 1, v7
	v_add_nc_u32_e32 v8, 16, v8
	;; [unrolled: 1-line block ×3, first 2 shown]
	v_cmp_lt_u32_e32 vcc_lo, 11, v7
	s_or_b32 s5, vcc_lo, s5
	s_waitcnt vmcnt(2) lgkmcnt(0)
	v_mul_f64 v[134:135], v[128:129], v[130:131]
	v_mul_f64 v[130:131], v[126:127], v[130:131]
	s_waitcnt vmcnt(0)
	v_fma_f64 v[126:127], v[126:127], v[132:133], -v[134:135]
	v_fma_f64 v[128:129], v[128:129], v[132:133], v[130:131]
	v_add_f64 v[3:4], v[3:4], v[126:127]
	v_add_f64 v[1:2], v[1:2], v[128:129]
	s_andn2_b32 exec_lo, exec_lo, s5
	s_cbranch_execnz .LBB120_65
; %bb.66:
	s_or_b32 exec_lo, exec_lo, s5
	v_mov_b32_e32 v7, 0
	ds_read_b128 v[126:129], v7 offset:208
	s_waitcnt lgkmcnt(0)
	v_mul_f64 v[7:8], v[1:2], v[128:129]
	v_mul_f64 v[123:124], v[3:4], v[128:129]
	v_fma_f64 v[3:4], v[3:4], v[126:127], -v[7:8]
	v_fma_f64 v[1:2], v[1:2], v[126:127], v[123:124]
	buffer_store_dword v4, off, s[0:3], 0 offset:228
	buffer_store_dword v3, off, s[0:3], 0 offset:224
	;; [unrolled: 1-line block ×4, first 2 shown]
.LBB120_67:
	s_or_b32 exec_lo, exec_lo, s4
	v_mov_b32_e32 v4, s55
	s_waitcnt_vscnt null, 0x0
	s_barrier
	buffer_gl0_inv
	s_mov_b32 s4, exec_lo
	s_clause 0x3
	buffer_load_dword v1, v4, s[0:3], 0 offen
	buffer_load_dword v2, v4, s[0:3], 0 offen offset:4
	buffer_load_dword v3, v4, s[0:3], 0 offen offset:8
	;; [unrolled: 1-line block ×3, first 2 shown]
	s_waitcnt vmcnt(0)
	ds_write_b128 v5, v[1:4]
	s_waitcnt lgkmcnt(0)
	s_barrier
	buffer_gl0_inv
	v_cmpx_gt_u32_e32 14, v0
	s_cbranch_execz .LBB120_71
; %bb.68:
	v_mov_b32_e32 v1, 0
	v_mov_b32_e32 v3, 0
	v_add_nc_u32_e32 v7, -1, v0
	v_add_nc_u32_e32 v8, 0x390, v125
	v_mov_b32_e32 v2, 0
	v_mov_b32_e32 v4, 0
	v_add_nc_u32_e32 v123, 16, v125
	s_mov_b32 s5, 0
	.p2align	6
.LBB120_69:                             ; =>This Inner Loop Header: Depth=1
	s_clause 0x3
	buffer_load_dword v130, v123, s[0:3], 0 offen offset:8
	buffer_load_dword v131, v123, s[0:3], 0 offen offset:12
	buffer_load_dword v132, v123, s[0:3], 0 offen
	buffer_load_dword v133, v123, s[0:3], 0 offen offset:4
	ds_read_b128 v[126:129], v8
	v_add_nc_u32_e32 v7, 1, v7
	v_add_nc_u32_e32 v8, 16, v8
	;; [unrolled: 1-line block ×3, first 2 shown]
	v_cmp_lt_u32_e32 vcc_lo, 12, v7
	s_or_b32 s5, vcc_lo, s5
	s_waitcnt vmcnt(2) lgkmcnt(0)
	v_mul_f64 v[134:135], v[128:129], v[130:131]
	v_mul_f64 v[130:131], v[126:127], v[130:131]
	s_waitcnt vmcnt(0)
	v_fma_f64 v[126:127], v[126:127], v[132:133], -v[134:135]
	v_fma_f64 v[128:129], v[128:129], v[132:133], v[130:131]
	v_add_f64 v[3:4], v[3:4], v[126:127]
	v_add_f64 v[1:2], v[1:2], v[128:129]
	s_andn2_b32 exec_lo, exec_lo, s5
	s_cbranch_execnz .LBB120_69
; %bb.70:
	s_or_b32 exec_lo, exec_lo, s5
	v_mov_b32_e32 v7, 0
	ds_read_b128 v[126:129], v7 offset:224
	s_waitcnt lgkmcnt(0)
	v_mul_f64 v[7:8], v[1:2], v[128:129]
	v_mul_f64 v[123:124], v[3:4], v[128:129]
	v_fma_f64 v[3:4], v[3:4], v[126:127], -v[7:8]
	v_fma_f64 v[1:2], v[1:2], v[126:127], v[123:124]
	buffer_store_dword v4, off, s[0:3], 0 offset:244
	buffer_store_dword v3, off, s[0:3], 0 offset:240
	;; [unrolled: 1-line block ×4, first 2 shown]
.LBB120_71:
	s_or_b32 exec_lo, exec_lo, s4
	v_mov_b32_e32 v4, s54
	s_waitcnt_vscnt null, 0x0
	s_barrier
	buffer_gl0_inv
	s_mov_b32 s4, exec_lo
	s_clause 0x3
	buffer_load_dword v1, v4, s[0:3], 0 offen
	buffer_load_dword v2, v4, s[0:3], 0 offen offset:4
	buffer_load_dword v3, v4, s[0:3], 0 offen offset:8
	buffer_load_dword v4, v4, s[0:3], 0 offen offset:12
	s_waitcnt vmcnt(0)
	ds_write_b128 v5, v[1:4]
	s_waitcnt lgkmcnt(0)
	s_barrier
	buffer_gl0_inv
	v_cmpx_gt_u32_e32 15, v0
	s_cbranch_execz .LBB120_75
; %bb.72:
	v_mov_b32_e32 v1, 0
	v_mov_b32_e32 v3, 0
	v_add_nc_u32_e32 v7, -1, v0
	v_add_nc_u32_e32 v8, 0x390, v125
	v_mov_b32_e32 v2, 0
	v_mov_b32_e32 v4, 0
	v_add_nc_u32_e32 v123, 16, v125
	s_mov_b32 s5, 0
	.p2align	6
.LBB120_73:                             ; =>This Inner Loop Header: Depth=1
	s_clause 0x3
	buffer_load_dword v130, v123, s[0:3], 0 offen offset:8
	buffer_load_dword v131, v123, s[0:3], 0 offen offset:12
	buffer_load_dword v132, v123, s[0:3], 0 offen
	buffer_load_dword v133, v123, s[0:3], 0 offen offset:4
	ds_read_b128 v[126:129], v8
	v_add_nc_u32_e32 v7, 1, v7
	v_add_nc_u32_e32 v8, 16, v8
	v_add_nc_u32_e32 v123, 16, v123
	v_cmp_lt_u32_e32 vcc_lo, 13, v7
	s_or_b32 s5, vcc_lo, s5
	s_waitcnt vmcnt(2) lgkmcnt(0)
	v_mul_f64 v[134:135], v[128:129], v[130:131]
	v_mul_f64 v[130:131], v[126:127], v[130:131]
	s_waitcnt vmcnt(0)
	v_fma_f64 v[126:127], v[126:127], v[132:133], -v[134:135]
	v_fma_f64 v[128:129], v[128:129], v[132:133], v[130:131]
	v_add_f64 v[3:4], v[3:4], v[126:127]
	v_add_f64 v[1:2], v[1:2], v[128:129]
	s_andn2_b32 exec_lo, exec_lo, s5
	s_cbranch_execnz .LBB120_73
; %bb.74:
	s_or_b32 exec_lo, exec_lo, s5
	v_mov_b32_e32 v7, 0
	ds_read_b128 v[126:129], v7 offset:240
	s_waitcnt lgkmcnt(0)
	v_mul_f64 v[7:8], v[1:2], v[128:129]
	v_mul_f64 v[123:124], v[3:4], v[128:129]
	v_fma_f64 v[3:4], v[3:4], v[126:127], -v[7:8]
	v_fma_f64 v[1:2], v[1:2], v[126:127], v[123:124]
	buffer_store_dword v4, off, s[0:3], 0 offset:260
	buffer_store_dword v3, off, s[0:3], 0 offset:256
	;; [unrolled: 1-line block ×4, first 2 shown]
.LBB120_75:
	s_or_b32 exec_lo, exec_lo, s4
	v_mov_b32_e32 v4, s53
	s_waitcnt_vscnt null, 0x0
	s_barrier
	buffer_gl0_inv
	s_mov_b32 s4, exec_lo
	s_clause 0x3
	buffer_load_dword v1, v4, s[0:3], 0 offen
	buffer_load_dword v2, v4, s[0:3], 0 offen offset:4
	buffer_load_dword v3, v4, s[0:3], 0 offen offset:8
	;; [unrolled: 1-line block ×3, first 2 shown]
	s_waitcnt vmcnt(0)
	ds_write_b128 v5, v[1:4]
	s_waitcnt lgkmcnt(0)
	s_barrier
	buffer_gl0_inv
	v_cmpx_gt_u32_e32 16, v0
	s_cbranch_execz .LBB120_79
; %bb.76:
	v_mov_b32_e32 v1, 0
	v_mov_b32_e32 v3, 0
	v_add_nc_u32_e32 v7, -1, v0
	v_add_nc_u32_e32 v8, 0x390, v125
	v_mov_b32_e32 v2, 0
	v_mov_b32_e32 v4, 0
	v_add_nc_u32_e32 v123, 16, v125
	s_mov_b32 s5, 0
	.p2align	6
.LBB120_77:                             ; =>This Inner Loop Header: Depth=1
	s_clause 0x3
	buffer_load_dword v130, v123, s[0:3], 0 offen offset:8
	buffer_load_dword v131, v123, s[0:3], 0 offen offset:12
	buffer_load_dword v132, v123, s[0:3], 0 offen
	buffer_load_dword v133, v123, s[0:3], 0 offen offset:4
	ds_read_b128 v[126:129], v8
	v_add_nc_u32_e32 v7, 1, v7
	v_add_nc_u32_e32 v8, 16, v8
	;; [unrolled: 1-line block ×3, first 2 shown]
	v_cmp_lt_u32_e32 vcc_lo, 14, v7
	s_or_b32 s5, vcc_lo, s5
	s_waitcnt vmcnt(2) lgkmcnt(0)
	v_mul_f64 v[134:135], v[128:129], v[130:131]
	v_mul_f64 v[130:131], v[126:127], v[130:131]
	s_waitcnt vmcnt(0)
	v_fma_f64 v[126:127], v[126:127], v[132:133], -v[134:135]
	v_fma_f64 v[128:129], v[128:129], v[132:133], v[130:131]
	v_add_f64 v[3:4], v[3:4], v[126:127]
	v_add_f64 v[1:2], v[1:2], v[128:129]
	s_andn2_b32 exec_lo, exec_lo, s5
	s_cbranch_execnz .LBB120_77
; %bb.78:
	s_or_b32 exec_lo, exec_lo, s5
	v_mov_b32_e32 v7, 0
	ds_read_b128 v[126:129], v7 offset:256
	s_waitcnt lgkmcnt(0)
	v_mul_f64 v[7:8], v[1:2], v[128:129]
	v_mul_f64 v[123:124], v[3:4], v[128:129]
	v_fma_f64 v[3:4], v[3:4], v[126:127], -v[7:8]
	v_fma_f64 v[1:2], v[1:2], v[126:127], v[123:124]
	buffer_store_dword v4, off, s[0:3], 0 offset:276
	buffer_store_dword v3, off, s[0:3], 0 offset:272
	;; [unrolled: 1-line block ×4, first 2 shown]
.LBB120_79:
	s_or_b32 exec_lo, exec_lo, s4
	v_mov_b32_e32 v4, s52
	s_waitcnt_vscnt null, 0x0
	s_barrier
	buffer_gl0_inv
	s_mov_b32 s4, exec_lo
	s_clause 0x3
	buffer_load_dword v1, v4, s[0:3], 0 offen
	buffer_load_dword v2, v4, s[0:3], 0 offen offset:4
	buffer_load_dword v3, v4, s[0:3], 0 offen offset:8
	;; [unrolled: 1-line block ×3, first 2 shown]
	s_waitcnt vmcnt(0)
	ds_write_b128 v5, v[1:4]
	s_waitcnt lgkmcnt(0)
	s_barrier
	buffer_gl0_inv
	v_cmpx_gt_u32_e32 17, v0
	s_cbranch_execz .LBB120_83
; %bb.80:
	v_mov_b32_e32 v1, 0
	v_mov_b32_e32 v3, 0
	v_add_nc_u32_e32 v7, -1, v0
	v_add_nc_u32_e32 v8, 0x390, v125
	v_mov_b32_e32 v2, 0
	v_mov_b32_e32 v4, 0
	v_add_nc_u32_e32 v123, 16, v125
	s_mov_b32 s5, 0
	.p2align	6
.LBB120_81:                             ; =>This Inner Loop Header: Depth=1
	s_clause 0x3
	buffer_load_dword v130, v123, s[0:3], 0 offen offset:8
	buffer_load_dword v131, v123, s[0:3], 0 offen offset:12
	buffer_load_dword v132, v123, s[0:3], 0 offen
	buffer_load_dword v133, v123, s[0:3], 0 offen offset:4
	ds_read_b128 v[126:129], v8
	v_add_nc_u32_e32 v7, 1, v7
	v_add_nc_u32_e32 v8, 16, v8
	v_add_nc_u32_e32 v123, 16, v123
	v_cmp_lt_u32_e32 vcc_lo, 15, v7
	s_or_b32 s5, vcc_lo, s5
	s_waitcnt vmcnt(2) lgkmcnt(0)
	v_mul_f64 v[134:135], v[128:129], v[130:131]
	v_mul_f64 v[130:131], v[126:127], v[130:131]
	s_waitcnt vmcnt(0)
	v_fma_f64 v[126:127], v[126:127], v[132:133], -v[134:135]
	v_fma_f64 v[128:129], v[128:129], v[132:133], v[130:131]
	v_add_f64 v[3:4], v[3:4], v[126:127]
	v_add_f64 v[1:2], v[1:2], v[128:129]
	s_andn2_b32 exec_lo, exec_lo, s5
	s_cbranch_execnz .LBB120_81
; %bb.82:
	s_or_b32 exec_lo, exec_lo, s5
	v_mov_b32_e32 v7, 0
	ds_read_b128 v[126:129], v7 offset:272
	s_waitcnt lgkmcnt(0)
	v_mul_f64 v[7:8], v[1:2], v[128:129]
	v_mul_f64 v[123:124], v[3:4], v[128:129]
	v_fma_f64 v[3:4], v[3:4], v[126:127], -v[7:8]
	v_fma_f64 v[1:2], v[1:2], v[126:127], v[123:124]
	buffer_store_dword v4, off, s[0:3], 0 offset:292
	buffer_store_dword v3, off, s[0:3], 0 offset:288
	;; [unrolled: 1-line block ×4, first 2 shown]
.LBB120_83:
	s_or_b32 exec_lo, exec_lo, s4
	v_mov_b32_e32 v4, s51
	s_waitcnt_vscnt null, 0x0
	s_barrier
	buffer_gl0_inv
	s_mov_b32 s4, exec_lo
	s_clause 0x3
	buffer_load_dword v1, v4, s[0:3], 0 offen
	buffer_load_dword v2, v4, s[0:3], 0 offen offset:4
	buffer_load_dword v3, v4, s[0:3], 0 offen offset:8
	buffer_load_dword v4, v4, s[0:3], 0 offen offset:12
	s_waitcnt vmcnt(0)
	ds_write_b128 v5, v[1:4]
	s_waitcnt lgkmcnt(0)
	s_barrier
	buffer_gl0_inv
	v_cmpx_gt_u32_e32 18, v0
	s_cbranch_execz .LBB120_87
; %bb.84:
	v_mov_b32_e32 v1, 0
	v_mov_b32_e32 v3, 0
	v_add_nc_u32_e32 v7, -1, v0
	v_add_nc_u32_e32 v8, 0x390, v125
	v_mov_b32_e32 v2, 0
	v_mov_b32_e32 v4, 0
	v_add_nc_u32_e32 v123, 16, v125
	s_mov_b32 s5, 0
	.p2align	6
.LBB120_85:                             ; =>This Inner Loop Header: Depth=1
	s_clause 0x3
	buffer_load_dword v130, v123, s[0:3], 0 offen offset:8
	buffer_load_dword v131, v123, s[0:3], 0 offen offset:12
	buffer_load_dword v132, v123, s[0:3], 0 offen
	buffer_load_dword v133, v123, s[0:3], 0 offen offset:4
	ds_read_b128 v[126:129], v8
	v_add_nc_u32_e32 v7, 1, v7
	v_add_nc_u32_e32 v8, 16, v8
	;; [unrolled: 1-line block ×3, first 2 shown]
	v_cmp_lt_u32_e32 vcc_lo, 16, v7
	s_or_b32 s5, vcc_lo, s5
	s_waitcnt vmcnt(2) lgkmcnt(0)
	v_mul_f64 v[134:135], v[128:129], v[130:131]
	v_mul_f64 v[130:131], v[126:127], v[130:131]
	s_waitcnt vmcnt(0)
	v_fma_f64 v[126:127], v[126:127], v[132:133], -v[134:135]
	v_fma_f64 v[128:129], v[128:129], v[132:133], v[130:131]
	v_add_f64 v[3:4], v[3:4], v[126:127]
	v_add_f64 v[1:2], v[1:2], v[128:129]
	s_andn2_b32 exec_lo, exec_lo, s5
	s_cbranch_execnz .LBB120_85
; %bb.86:
	s_or_b32 exec_lo, exec_lo, s5
	v_mov_b32_e32 v7, 0
	ds_read_b128 v[126:129], v7 offset:288
	s_waitcnt lgkmcnt(0)
	v_mul_f64 v[7:8], v[1:2], v[128:129]
	v_mul_f64 v[123:124], v[3:4], v[128:129]
	v_fma_f64 v[3:4], v[3:4], v[126:127], -v[7:8]
	v_fma_f64 v[1:2], v[1:2], v[126:127], v[123:124]
	buffer_store_dword v4, off, s[0:3], 0 offset:308
	buffer_store_dword v3, off, s[0:3], 0 offset:304
	;; [unrolled: 1-line block ×4, first 2 shown]
.LBB120_87:
	s_or_b32 exec_lo, exec_lo, s4
	v_mov_b32_e32 v4, s50
	s_waitcnt_vscnt null, 0x0
	s_barrier
	buffer_gl0_inv
	s_mov_b32 s4, exec_lo
	s_clause 0x3
	buffer_load_dword v1, v4, s[0:3], 0 offen
	buffer_load_dword v2, v4, s[0:3], 0 offen offset:4
	buffer_load_dword v3, v4, s[0:3], 0 offen offset:8
	;; [unrolled: 1-line block ×3, first 2 shown]
	s_waitcnt vmcnt(0)
	ds_write_b128 v5, v[1:4]
	s_waitcnt lgkmcnt(0)
	s_barrier
	buffer_gl0_inv
	v_cmpx_gt_u32_e32 19, v0
	s_cbranch_execz .LBB120_91
; %bb.88:
	v_mov_b32_e32 v1, 0
	v_mov_b32_e32 v3, 0
	v_add_nc_u32_e32 v7, -1, v0
	v_add_nc_u32_e32 v8, 0x390, v125
	v_mov_b32_e32 v2, 0
	v_mov_b32_e32 v4, 0
	v_add_nc_u32_e32 v123, 16, v125
	s_mov_b32 s5, 0
	.p2align	6
.LBB120_89:                             ; =>This Inner Loop Header: Depth=1
	s_clause 0x3
	buffer_load_dword v130, v123, s[0:3], 0 offen offset:8
	buffer_load_dword v131, v123, s[0:3], 0 offen offset:12
	buffer_load_dword v132, v123, s[0:3], 0 offen
	buffer_load_dword v133, v123, s[0:3], 0 offen offset:4
	ds_read_b128 v[126:129], v8
	v_add_nc_u32_e32 v7, 1, v7
	v_add_nc_u32_e32 v8, 16, v8
	;; [unrolled: 1-line block ×3, first 2 shown]
	v_cmp_lt_u32_e32 vcc_lo, 17, v7
	s_or_b32 s5, vcc_lo, s5
	s_waitcnt vmcnt(2) lgkmcnt(0)
	v_mul_f64 v[134:135], v[128:129], v[130:131]
	v_mul_f64 v[130:131], v[126:127], v[130:131]
	s_waitcnt vmcnt(0)
	v_fma_f64 v[126:127], v[126:127], v[132:133], -v[134:135]
	v_fma_f64 v[128:129], v[128:129], v[132:133], v[130:131]
	v_add_f64 v[3:4], v[3:4], v[126:127]
	v_add_f64 v[1:2], v[1:2], v[128:129]
	s_andn2_b32 exec_lo, exec_lo, s5
	s_cbranch_execnz .LBB120_89
; %bb.90:
	s_or_b32 exec_lo, exec_lo, s5
	v_mov_b32_e32 v7, 0
	ds_read_b128 v[126:129], v7 offset:304
	s_waitcnt lgkmcnt(0)
	v_mul_f64 v[7:8], v[1:2], v[128:129]
	v_mul_f64 v[123:124], v[3:4], v[128:129]
	v_fma_f64 v[3:4], v[3:4], v[126:127], -v[7:8]
	v_fma_f64 v[1:2], v[1:2], v[126:127], v[123:124]
	buffer_store_dword v4, off, s[0:3], 0 offset:324
	buffer_store_dword v3, off, s[0:3], 0 offset:320
	;; [unrolled: 1-line block ×4, first 2 shown]
.LBB120_91:
	s_or_b32 exec_lo, exec_lo, s4
	v_mov_b32_e32 v4, s49
	s_waitcnt_vscnt null, 0x0
	s_barrier
	buffer_gl0_inv
	s_mov_b32 s4, exec_lo
	s_clause 0x3
	buffer_load_dword v1, v4, s[0:3], 0 offen
	buffer_load_dword v2, v4, s[0:3], 0 offen offset:4
	buffer_load_dword v3, v4, s[0:3], 0 offen offset:8
	;; [unrolled: 1-line block ×3, first 2 shown]
	s_waitcnt vmcnt(0)
	ds_write_b128 v5, v[1:4]
	s_waitcnt lgkmcnt(0)
	s_barrier
	buffer_gl0_inv
	v_cmpx_gt_u32_e32 20, v0
	s_cbranch_execz .LBB120_95
; %bb.92:
	v_mov_b32_e32 v1, 0
	v_mov_b32_e32 v3, 0
	v_add_nc_u32_e32 v7, -1, v0
	v_add_nc_u32_e32 v8, 0x390, v125
	v_mov_b32_e32 v2, 0
	v_mov_b32_e32 v4, 0
	v_add_nc_u32_e32 v123, 16, v125
	s_mov_b32 s5, 0
	.p2align	6
.LBB120_93:                             ; =>This Inner Loop Header: Depth=1
	s_clause 0x3
	buffer_load_dword v130, v123, s[0:3], 0 offen offset:8
	buffer_load_dword v131, v123, s[0:3], 0 offen offset:12
	buffer_load_dword v132, v123, s[0:3], 0 offen
	buffer_load_dword v133, v123, s[0:3], 0 offen offset:4
	ds_read_b128 v[126:129], v8
	v_add_nc_u32_e32 v7, 1, v7
	v_add_nc_u32_e32 v8, 16, v8
	;; [unrolled: 1-line block ×3, first 2 shown]
	v_cmp_lt_u32_e32 vcc_lo, 18, v7
	s_or_b32 s5, vcc_lo, s5
	s_waitcnt vmcnt(2) lgkmcnt(0)
	v_mul_f64 v[134:135], v[128:129], v[130:131]
	v_mul_f64 v[130:131], v[126:127], v[130:131]
	s_waitcnt vmcnt(0)
	v_fma_f64 v[126:127], v[126:127], v[132:133], -v[134:135]
	v_fma_f64 v[128:129], v[128:129], v[132:133], v[130:131]
	v_add_f64 v[3:4], v[3:4], v[126:127]
	v_add_f64 v[1:2], v[1:2], v[128:129]
	s_andn2_b32 exec_lo, exec_lo, s5
	s_cbranch_execnz .LBB120_93
; %bb.94:
	s_or_b32 exec_lo, exec_lo, s5
	v_mov_b32_e32 v7, 0
	ds_read_b128 v[126:129], v7 offset:320
	s_waitcnt lgkmcnt(0)
	v_mul_f64 v[7:8], v[1:2], v[128:129]
	v_mul_f64 v[123:124], v[3:4], v[128:129]
	v_fma_f64 v[3:4], v[3:4], v[126:127], -v[7:8]
	v_fma_f64 v[1:2], v[1:2], v[126:127], v[123:124]
	buffer_store_dword v4, off, s[0:3], 0 offset:340
	buffer_store_dword v3, off, s[0:3], 0 offset:336
	;; [unrolled: 1-line block ×4, first 2 shown]
.LBB120_95:
	s_or_b32 exec_lo, exec_lo, s4
	v_mov_b32_e32 v4, s48
	s_waitcnt_vscnt null, 0x0
	s_barrier
	buffer_gl0_inv
	s_mov_b32 s4, exec_lo
	s_clause 0x3
	buffer_load_dword v1, v4, s[0:3], 0 offen
	buffer_load_dword v2, v4, s[0:3], 0 offen offset:4
	buffer_load_dword v3, v4, s[0:3], 0 offen offset:8
	;; [unrolled: 1-line block ×3, first 2 shown]
	s_waitcnt vmcnt(0)
	ds_write_b128 v5, v[1:4]
	s_waitcnt lgkmcnt(0)
	s_barrier
	buffer_gl0_inv
	v_cmpx_gt_u32_e32 21, v0
	s_cbranch_execz .LBB120_99
; %bb.96:
	v_mov_b32_e32 v1, 0
	v_mov_b32_e32 v3, 0
	v_add_nc_u32_e32 v7, -1, v0
	v_add_nc_u32_e32 v8, 0x390, v125
	v_mov_b32_e32 v2, 0
	v_mov_b32_e32 v4, 0
	v_add_nc_u32_e32 v123, 16, v125
	s_mov_b32 s5, 0
	.p2align	6
.LBB120_97:                             ; =>This Inner Loop Header: Depth=1
	s_clause 0x3
	buffer_load_dword v130, v123, s[0:3], 0 offen offset:8
	buffer_load_dword v131, v123, s[0:3], 0 offen offset:12
	buffer_load_dword v132, v123, s[0:3], 0 offen
	buffer_load_dword v133, v123, s[0:3], 0 offen offset:4
	ds_read_b128 v[126:129], v8
	v_add_nc_u32_e32 v7, 1, v7
	v_add_nc_u32_e32 v8, 16, v8
	;; [unrolled: 1-line block ×3, first 2 shown]
	v_cmp_lt_u32_e32 vcc_lo, 19, v7
	s_or_b32 s5, vcc_lo, s5
	s_waitcnt vmcnt(2) lgkmcnt(0)
	v_mul_f64 v[134:135], v[128:129], v[130:131]
	v_mul_f64 v[130:131], v[126:127], v[130:131]
	s_waitcnt vmcnt(0)
	v_fma_f64 v[126:127], v[126:127], v[132:133], -v[134:135]
	v_fma_f64 v[128:129], v[128:129], v[132:133], v[130:131]
	v_add_f64 v[3:4], v[3:4], v[126:127]
	v_add_f64 v[1:2], v[1:2], v[128:129]
	s_andn2_b32 exec_lo, exec_lo, s5
	s_cbranch_execnz .LBB120_97
; %bb.98:
	s_or_b32 exec_lo, exec_lo, s5
	v_mov_b32_e32 v7, 0
	ds_read_b128 v[126:129], v7 offset:336
	s_waitcnt lgkmcnt(0)
	v_mul_f64 v[7:8], v[1:2], v[128:129]
	v_mul_f64 v[123:124], v[3:4], v[128:129]
	v_fma_f64 v[3:4], v[3:4], v[126:127], -v[7:8]
	v_fma_f64 v[1:2], v[1:2], v[126:127], v[123:124]
	buffer_store_dword v4, off, s[0:3], 0 offset:356
	buffer_store_dword v3, off, s[0:3], 0 offset:352
	;; [unrolled: 1-line block ×4, first 2 shown]
.LBB120_99:
	s_or_b32 exec_lo, exec_lo, s4
	v_mov_b32_e32 v4, s47
	s_waitcnt_vscnt null, 0x0
	s_barrier
	buffer_gl0_inv
	s_mov_b32 s4, exec_lo
	s_clause 0x3
	buffer_load_dword v1, v4, s[0:3], 0 offen
	buffer_load_dword v2, v4, s[0:3], 0 offen offset:4
	buffer_load_dword v3, v4, s[0:3], 0 offen offset:8
	;; [unrolled: 1-line block ×3, first 2 shown]
	s_waitcnt vmcnt(0)
	ds_write_b128 v5, v[1:4]
	s_waitcnt lgkmcnt(0)
	s_barrier
	buffer_gl0_inv
	v_cmpx_gt_u32_e32 22, v0
	s_cbranch_execz .LBB120_103
; %bb.100:
	v_mov_b32_e32 v1, 0
	v_mov_b32_e32 v3, 0
	v_add_nc_u32_e32 v7, -1, v0
	v_add_nc_u32_e32 v8, 0x390, v125
	v_mov_b32_e32 v2, 0
	v_mov_b32_e32 v4, 0
	v_add_nc_u32_e32 v123, 16, v125
	s_mov_b32 s5, 0
	.p2align	6
.LBB120_101:                            ; =>This Inner Loop Header: Depth=1
	s_clause 0x3
	buffer_load_dword v130, v123, s[0:3], 0 offen offset:8
	buffer_load_dword v131, v123, s[0:3], 0 offen offset:12
	buffer_load_dword v132, v123, s[0:3], 0 offen
	buffer_load_dword v133, v123, s[0:3], 0 offen offset:4
	ds_read_b128 v[126:129], v8
	v_add_nc_u32_e32 v7, 1, v7
	v_add_nc_u32_e32 v8, 16, v8
	;; [unrolled: 1-line block ×3, first 2 shown]
	v_cmp_lt_u32_e32 vcc_lo, 20, v7
	s_or_b32 s5, vcc_lo, s5
	s_waitcnt vmcnt(2) lgkmcnt(0)
	v_mul_f64 v[134:135], v[128:129], v[130:131]
	v_mul_f64 v[130:131], v[126:127], v[130:131]
	s_waitcnt vmcnt(0)
	v_fma_f64 v[126:127], v[126:127], v[132:133], -v[134:135]
	v_fma_f64 v[128:129], v[128:129], v[132:133], v[130:131]
	v_add_f64 v[3:4], v[3:4], v[126:127]
	v_add_f64 v[1:2], v[1:2], v[128:129]
	s_andn2_b32 exec_lo, exec_lo, s5
	s_cbranch_execnz .LBB120_101
; %bb.102:
	s_or_b32 exec_lo, exec_lo, s5
	v_mov_b32_e32 v7, 0
	ds_read_b128 v[126:129], v7 offset:352
	s_waitcnt lgkmcnt(0)
	v_mul_f64 v[7:8], v[1:2], v[128:129]
	v_mul_f64 v[123:124], v[3:4], v[128:129]
	v_fma_f64 v[3:4], v[3:4], v[126:127], -v[7:8]
	v_fma_f64 v[1:2], v[1:2], v[126:127], v[123:124]
	buffer_store_dword v4, off, s[0:3], 0 offset:372
	buffer_store_dword v3, off, s[0:3], 0 offset:368
	;; [unrolled: 1-line block ×4, first 2 shown]
.LBB120_103:
	s_or_b32 exec_lo, exec_lo, s4
	v_mov_b32_e32 v4, s46
	s_waitcnt_vscnt null, 0x0
	s_barrier
	buffer_gl0_inv
	s_mov_b32 s4, exec_lo
	s_clause 0x3
	buffer_load_dword v1, v4, s[0:3], 0 offen
	buffer_load_dword v2, v4, s[0:3], 0 offen offset:4
	buffer_load_dword v3, v4, s[0:3], 0 offen offset:8
	;; [unrolled: 1-line block ×3, first 2 shown]
	s_waitcnt vmcnt(0)
	ds_write_b128 v5, v[1:4]
	s_waitcnt lgkmcnt(0)
	s_barrier
	buffer_gl0_inv
	v_cmpx_gt_u32_e32 23, v0
	s_cbranch_execz .LBB120_107
; %bb.104:
	v_mov_b32_e32 v1, 0
	v_mov_b32_e32 v3, 0
	v_add_nc_u32_e32 v7, -1, v0
	v_add_nc_u32_e32 v8, 0x390, v125
	v_mov_b32_e32 v2, 0
	v_mov_b32_e32 v4, 0
	v_add_nc_u32_e32 v123, 16, v125
	s_mov_b32 s5, 0
	.p2align	6
.LBB120_105:                            ; =>This Inner Loop Header: Depth=1
	s_clause 0x3
	buffer_load_dword v130, v123, s[0:3], 0 offen offset:8
	buffer_load_dword v131, v123, s[0:3], 0 offen offset:12
	buffer_load_dword v132, v123, s[0:3], 0 offen
	buffer_load_dword v133, v123, s[0:3], 0 offen offset:4
	ds_read_b128 v[126:129], v8
	v_add_nc_u32_e32 v7, 1, v7
	v_add_nc_u32_e32 v8, 16, v8
	;; [unrolled: 1-line block ×3, first 2 shown]
	v_cmp_lt_u32_e32 vcc_lo, 21, v7
	s_or_b32 s5, vcc_lo, s5
	s_waitcnt vmcnt(2) lgkmcnt(0)
	v_mul_f64 v[134:135], v[128:129], v[130:131]
	v_mul_f64 v[130:131], v[126:127], v[130:131]
	s_waitcnt vmcnt(0)
	v_fma_f64 v[126:127], v[126:127], v[132:133], -v[134:135]
	v_fma_f64 v[128:129], v[128:129], v[132:133], v[130:131]
	v_add_f64 v[3:4], v[3:4], v[126:127]
	v_add_f64 v[1:2], v[1:2], v[128:129]
	s_andn2_b32 exec_lo, exec_lo, s5
	s_cbranch_execnz .LBB120_105
; %bb.106:
	s_or_b32 exec_lo, exec_lo, s5
	v_mov_b32_e32 v7, 0
	ds_read_b128 v[126:129], v7 offset:368
	s_waitcnt lgkmcnt(0)
	v_mul_f64 v[7:8], v[1:2], v[128:129]
	v_mul_f64 v[123:124], v[3:4], v[128:129]
	v_fma_f64 v[3:4], v[3:4], v[126:127], -v[7:8]
	v_fma_f64 v[1:2], v[1:2], v[126:127], v[123:124]
	buffer_store_dword v4, off, s[0:3], 0 offset:388
	buffer_store_dword v3, off, s[0:3], 0 offset:384
	;; [unrolled: 1-line block ×4, first 2 shown]
.LBB120_107:
	s_or_b32 exec_lo, exec_lo, s4
	v_mov_b32_e32 v4, s45
	s_waitcnt_vscnt null, 0x0
	s_barrier
	buffer_gl0_inv
	s_mov_b32 s4, exec_lo
	s_clause 0x3
	buffer_load_dword v1, v4, s[0:3], 0 offen
	buffer_load_dword v2, v4, s[0:3], 0 offen offset:4
	buffer_load_dword v3, v4, s[0:3], 0 offen offset:8
	;; [unrolled: 1-line block ×3, first 2 shown]
	s_waitcnt vmcnt(0)
	ds_write_b128 v5, v[1:4]
	s_waitcnt lgkmcnt(0)
	s_barrier
	buffer_gl0_inv
	v_cmpx_gt_u32_e32 24, v0
	s_cbranch_execz .LBB120_111
; %bb.108:
	v_mov_b32_e32 v1, 0
	v_mov_b32_e32 v3, 0
	v_add_nc_u32_e32 v7, -1, v0
	v_add_nc_u32_e32 v8, 0x390, v125
	v_mov_b32_e32 v2, 0
	v_mov_b32_e32 v4, 0
	v_add_nc_u32_e32 v123, 16, v125
	s_mov_b32 s5, 0
	.p2align	6
.LBB120_109:                            ; =>This Inner Loop Header: Depth=1
	s_clause 0x3
	buffer_load_dword v130, v123, s[0:3], 0 offen offset:8
	buffer_load_dword v131, v123, s[0:3], 0 offen offset:12
	buffer_load_dword v132, v123, s[0:3], 0 offen
	buffer_load_dword v133, v123, s[0:3], 0 offen offset:4
	ds_read_b128 v[126:129], v8
	v_add_nc_u32_e32 v7, 1, v7
	v_add_nc_u32_e32 v8, 16, v8
	;; [unrolled: 1-line block ×3, first 2 shown]
	v_cmp_lt_u32_e32 vcc_lo, 22, v7
	s_or_b32 s5, vcc_lo, s5
	s_waitcnt vmcnt(2) lgkmcnt(0)
	v_mul_f64 v[134:135], v[128:129], v[130:131]
	v_mul_f64 v[130:131], v[126:127], v[130:131]
	s_waitcnt vmcnt(0)
	v_fma_f64 v[126:127], v[126:127], v[132:133], -v[134:135]
	v_fma_f64 v[128:129], v[128:129], v[132:133], v[130:131]
	v_add_f64 v[3:4], v[3:4], v[126:127]
	v_add_f64 v[1:2], v[1:2], v[128:129]
	s_andn2_b32 exec_lo, exec_lo, s5
	s_cbranch_execnz .LBB120_109
; %bb.110:
	s_or_b32 exec_lo, exec_lo, s5
	v_mov_b32_e32 v7, 0
	ds_read_b128 v[126:129], v7 offset:384
	s_waitcnt lgkmcnt(0)
	v_mul_f64 v[7:8], v[1:2], v[128:129]
	v_mul_f64 v[123:124], v[3:4], v[128:129]
	v_fma_f64 v[3:4], v[3:4], v[126:127], -v[7:8]
	v_fma_f64 v[1:2], v[1:2], v[126:127], v[123:124]
	buffer_store_dword v4, off, s[0:3], 0 offset:404
	buffer_store_dword v3, off, s[0:3], 0 offset:400
	;; [unrolled: 1-line block ×4, first 2 shown]
.LBB120_111:
	s_or_b32 exec_lo, exec_lo, s4
	v_mov_b32_e32 v4, s44
	s_waitcnt_vscnt null, 0x0
	s_barrier
	buffer_gl0_inv
	s_mov_b32 s4, exec_lo
	s_clause 0x3
	buffer_load_dword v1, v4, s[0:3], 0 offen
	buffer_load_dword v2, v4, s[0:3], 0 offen offset:4
	buffer_load_dword v3, v4, s[0:3], 0 offen offset:8
	;; [unrolled: 1-line block ×3, first 2 shown]
	s_waitcnt vmcnt(0)
	ds_write_b128 v5, v[1:4]
	s_waitcnt lgkmcnt(0)
	s_barrier
	buffer_gl0_inv
	v_cmpx_gt_u32_e32 25, v0
	s_cbranch_execz .LBB120_115
; %bb.112:
	v_mov_b32_e32 v1, 0
	v_mov_b32_e32 v3, 0
	v_add_nc_u32_e32 v7, -1, v0
	v_add_nc_u32_e32 v8, 0x390, v125
	v_mov_b32_e32 v2, 0
	v_mov_b32_e32 v4, 0
	v_add_nc_u32_e32 v123, 16, v125
	s_mov_b32 s5, 0
	.p2align	6
.LBB120_113:                            ; =>This Inner Loop Header: Depth=1
	s_clause 0x3
	buffer_load_dword v130, v123, s[0:3], 0 offen offset:8
	buffer_load_dword v131, v123, s[0:3], 0 offen offset:12
	buffer_load_dword v132, v123, s[0:3], 0 offen
	buffer_load_dword v133, v123, s[0:3], 0 offen offset:4
	ds_read_b128 v[126:129], v8
	v_add_nc_u32_e32 v7, 1, v7
	v_add_nc_u32_e32 v8, 16, v8
	;; [unrolled: 1-line block ×3, first 2 shown]
	v_cmp_lt_u32_e32 vcc_lo, 23, v7
	s_or_b32 s5, vcc_lo, s5
	s_waitcnt vmcnt(2) lgkmcnt(0)
	v_mul_f64 v[134:135], v[128:129], v[130:131]
	v_mul_f64 v[130:131], v[126:127], v[130:131]
	s_waitcnt vmcnt(0)
	v_fma_f64 v[126:127], v[126:127], v[132:133], -v[134:135]
	v_fma_f64 v[128:129], v[128:129], v[132:133], v[130:131]
	v_add_f64 v[3:4], v[3:4], v[126:127]
	v_add_f64 v[1:2], v[1:2], v[128:129]
	s_andn2_b32 exec_lo, exec_lo, s5
	s_cbranch_execnz .LBB120_113
; %bb.114:
	s_or_b32 exec_lo, exec_lo, s5
	v_mov_b32_e32 v7, 0
	ds_read_b128 v[126:129], v7 offset:400
	s_waitcnt lgkmcnt(0)
	v_mul_f64 v[7:8], v[1:2], v[128:129]
	v_mul_f64 v[123:124], v[3:4], v[128:129]
	v_fma_f64 v[3:4], v[3:4], v[126:127], -v[7:8]
	v_fma_f64 v[1:2], v[1:2], v[126:127], v[123:124]
	buffer_store_dword v4, off, s[0:3], 0 offset:420
	buffer_store_dword v3, off, s[0:3], 0 offset:416
	;; [unrolled: 1-line block ×4, first 2 shown]
.LBB120_115:
	s_or_b32 exec_lo, exec_lo, s4
	v_mov_b32_e32 v4, s43
	s_waitcnt_vscnt null, 0x0
	s_barrier
	buffer_gl0_inv
	s_mov_b32 s4, exec_lo
	s_clause 0x3
	buffer_load_dword v1, v4, s[0:3], 0 offen
	buffer_load_dword v2, v4, s[0:3], 0 offen offset:4
	buffer_load_dword v3, v4, s[0:3], 0 offen offset:8
	;; [unrolled: 1-line block ×3, first 2 shown]
	s_waitcnt vmcnt(0)
	ds_write_b128 v5, v[1:4]
	s_waitcnt lgkmcnt(0)
	s_barrier
	buffer_gl0_inv
	v_cmpx_gt_u32_e32 26, v0
	s_cbranch_execz .LBB120_119
; %bb.116:
	v_mov_b32_e32 v1, 0
	v_mov_b32_e32 v3, 0
	v_add_nc_u32_e32 v7, -1, v0
	v_add_nc_u32_e32 v8, 0x390, v125
	v_mov_b32_e32 v2, 0
	v_mov_b32_e32 v4, 0
	v_add_nc_u32_e32 v123, 16, v125
	s_mov_b32 s5, 0
	.p2align	6
.LBB120_117:                            ; =>This Inner Loop Header: Depth=1
	s_clause 0x3
	buffer_load_dword v130, v123, s[0:3], 0 offen offset:8
	buffer_load_dword v131, v123, s[0:3], 0 offen offset:12
	buffer_load_dword v132, v123, s[0:3], 0 offen
	buffer_load_dword v133, v123, s[0:3], 0 offen offset:4
	ds_read_b128 v[126:129], v8
	v_add_nc_u32_e32 v7, 1, v7
	v_add_nc_u32_e32 v8, 16, v8
	;; [unrolled: 1-line block ×3, first 2 shown]
	v_cmp_lt_u32_e32 vcc_lo, 24, v7
	s_or_b32 s5, vcc_lo, s5
	s_waitcnt vmcnt(2) lgkmcnt(0)
	v_mul_f64 v[134:135], v[128:129], v[130:131]
	v_mul_f64 v[130:131], v[126:127], v[130:131]
	s_waitcnt vmcnt(0)
	v_fma_f64 v[126:127], v[126:127], v[132:133], -v[134:135]
	v_fma_f64 v[128:129], v[128:129], v[132:133], v[130:131]
	v_add_f64 v[3:4], v[3:4], v[126:127]
	v_add_f64 v[1:2], v[1:2], v[128:129]
	s_andn2_b32 exec_lo, exec_lo, s5
	s_cbranch_execnz .LBB120_117
; %bb.118:
	s_or_b32 exec_lo, exec_lo, s5
	v_mov_b32_e32 v7, 0
	ds_read_b128 v[126:129], v7 offset:416
	s_waitcnt lgkmcnt(0)
	v_mul_f64 v[7:8], v[1:2], v[128:129]
	v_mul_f64 v[123:124], v[3:4], v[128:129]
	v_fma_f64 v[3:4], v[3:4], v[126:127], -v[7:8]
	v_fma_f64 v[1:2], v[1:2], v[126:127], v[123:124]
	buffer_store_dword v4, off, s[0:3], 0 offset:436
	buffer_store_dword v3, off, s[0:3], 0 offset:432
	;; [unrolled: 1-line block ×4, first 2 shown]
.LBB120_119:
	s_or_b32 exec_lo, exec_lo, s4
	v_mov_b32_e32 v4, s42
	s_waitcnt_vscnt null, 0x0
	s_barrier
	buffer_gl0_inv
	s_mov_b32 s4, exec_lo
	s_clause 0x3
	buffer_load_dword v1, v4, s[0:3], 0 offen
	buffer_load_dword v2, v4, s[0:3], 0 offen offset:4
	buffer_load_dword v3, v4, s[0:3], 0 offen offset:8
	;; [unrolled: 1-line block ×3, first 2 shown]
	s_waitcnt vmcnt(0)
	ds_write_b128 v5, v[1:4]
	s_waitcnt lgkmcnt(0)
	s_barrier
	buffer_gl0_inv
	v_cmpx_gt_u32_e32 27, v0
	s_cbranch_execz .LBB120_123
; %bb.120:
	v_mov_b32_e32 v1, 0
	v_mov_b32_e32 v3, 0
	v_add_nc_u32_e32 v7, -1, v0
	v_add_nc_u32_e32 v8, 0x390, v125
	v_mov_b32_e32 v2, 0
	v_mov_b32_e32 v4, 0
	v_add_nc_u32_e32 v123, 16, v125
	s_mov_b32 s5, 0
	.p2align	6
.LBB120_121:                            ; =>This Inner Loop Header: Depth=1
	s_clause 0x3
	buffer_load_dword v130, v123, s[0:3], 0 offen offset:8
	buffer_load_dword v131, v123, s[0:3], 0 offen offset:12
	buffer_load_dword v132, v123, s[0:3], 0 offen
	buffer_load_dword v133, v123, s[0:3], 0 offen offset:4
	ds_read_b128 v[126:129], v8
	v_add_nc_u32_e32 v7, 1, v7
	v_add_nc_u32_e32 v8, 16, v8
	;; [unrolled: 1-line block ×3, first 2 shown]
	v_cmp_lt_u32_e32 vcc_lo, 25, v7
	s_or_b32 s5, vcc_lo, s5
	s_waitcnt vmcnt(2) lgkmcnt(0)
	v_mul_f64 v[134:135], v[128:129], v[130:131]
	v_mul_f64 v[130:131], v[126:127], v[130:131]
	s_waitcnt vmcnt(0)
	v_fma_f64 v[126:127], v[126:127], v[132:133], -v[134:135]
	v_fma_f64 v[128:129], v[128:129], v[132:133], v[130:131]
	v_add_f64 v[3:4], v[3:4], v[126:127]
	v_add_f64 v[1:2], v[1:2], v[128:129]
	s_andn2_b32 exec_lo, exec_lo, s5
	s_cbranch_execnz .LBB120_121
; %bb.122:
	s_or_b32 exec_lo, exec_lo, s5
	v_mov_b32_e32 v7, 0
	ds_read_b128 v[126:129], v7 offset:432
	s_waitcnt lgkmcnt(0)
	v_mul_f64 v[7:8], v[1:2], v[128:129]
	v_mul_f64 v[123:124], v[3:4], v[128:129]
	v_fma_f64 v[3:4], v[3:4], v[126:127], -v[7:8]
	v_fma_f64 v[1:2], v[1:2], v[126:127], v[123:124]
	buffer_store_dword v4, off, s[0:3], 0 offset:452
	buffer_store_dword v3, off, s[0:3], 0 offset:448
	;; [unrolled: 1-line block ×4, first 2 shown]
.LBB120_123:
	s_or_b32 exec_lo, exec_lo, s4
	v_mov_b32_e32 v4, s41
	s_waitcnt_vscnt null, 0x0
	s_barrier
	buffer_gl0_inv
	s_mov_b32 s4, exec_lo
	s_clause 0x3
	buffer_load_dword v1, v4, s[0:3], 0 offen
	buffer_load_dword v2, v4, s[0:3], 0 offen offset:4
	buffer_load_dword v3, v4, s[0:3], 0 offen offset:8
	;; [unrolled: 1-line block ×3, first 2 shown]
	s_waitcnt vmcnt(0)
	ds_write_b128 v5, v[1:4]
	s_waitcnt lgkmcnt(0)
	s_barrier
	buffer_gl0_inv
	v_cmpx_gt_u32_e32 28, v0
	s_cbranch_execz .LBB120_127
; %bb.124:
	v_mov_b32_e32 v1, 0
	v_mov_b32_e32 v3, 0
	v_add_nc_u32_e32 v7, -1, v0
	v_add_nc_u32_e32 v8, 0x390, v125
	v_mov_b32_e32 v2, 0
	v_mov_b32_e32 v4, 0
	v_add_nc_u32_e32 v123, 16, v125
	s_mov_b32 s5, 0
	.p2align	6
.LBB120_125:                            ; =>This Inner Loop Header: Depth=1
	s_clause 0x3
	buffer_load_dword v130, v123, s[0:3], 0 offen offset:8
	buffer_load_dword v131, v123, s[0:3], 0 offen offset:12
	buffer_load_dword v132, v123, s[0:3], 0 offen
	buffer_load_dword v133, v123, s[0:3], 0 offen offset:4
	ds_read_b128 v[126:129], v8
	v_add_nc_u32_e32 v7, 1, v7
	v_add_nc_u32_e32 v8, 16, v8
	;; [unrolled: 1-line block ×3, first 2 shown]
	v_cmp_lt_u32_e32 vcc_lo, 26, v7
	s_or_b32 s5, vcc_lo, s5
	s_waitcnt vmcnt(2) lgkmcnt(0)
	v_mul_f64 v[134:135], v[128:129], v[130:131]
	v_mul_f64 v[130:131], v[126:127], v[130:131]
	s_waitcnt vmcnt(0)
	v_fma_f64 v[126:127], v[126:127], v[132:133], -v[134:135]
	v_fma_f64 v[128:129], v[128:129], v[132:133], v[130:131]
	v_add_f64 v[3:4], v[3:4], v[126:127]
	v_add_f64 v[1:2], v[1:2], v[128:129]
	s_andn2_b32 exec_lo, exec_lo, s5
	s_cbranch_execnz .LBB120_125
; %bb.126:
	s_or_b32 exec_lo, exec_lo, s5
	v_mov_b32_e32 v7, 0
	ds_read_b128 v[126:129], v7 offset:448
	s_waitcnt lgkmcnt(0)
	v_mul_f64 v[7:8], v[1:2], v[128:129]
	v_mul_f64 v[123:124], v[3:4], v[128:129]
	v_fma_f64 v[3:4], v[3:4], v[126:127], -v[7:8]
	v_fma_f64 v[1:2], v[1:2], v[126:127], v[123:124]
	buffer_store_dword v4, off, s[0:3], 0 offset:468
	buffer_store_dword v3, off, s[0:3], 0 offset:464
	;; [unrolled: 1-line block ×4, first 2 shown]
.LBB120_127:
	s_or_b32 exec_lo, exec_lo, s4
	v_mov_b32_e32 v4, s40
	s_waitcnt_vscnt null, 0x0
	s_barrier
	buffer_gl0_inv
	s_mov_b32 s4, exec_lo
	s_clause 0x3
	buffer_load_dword v1, v4, s[0:3], 0 offen
	buffer_load_dword v2, v4, s[0:3], 0 offen offset:4
	buffer_load_dword v3, v4, s[0:3], 0 offen offset:8
	;; [unrolled: 1-line block ×3, first 2 shown]
	s_waitcnt vmcnt(0)
	ds_write_b128 v5, v[1:4]
	s_waitcnt lgkmcnt(0)
	s_barrier
	buffer_gl0_inv
	v_cmpx_gt_u32_e32 29, v0
	s_cbranch_execz .LBB120_131
; %bb.128:
	v_mov_b32_e32 v1, 0
	v_mov_b32_e32 v3, 0
	v_add_nc_u32_e32 v7, -1, v0
	v_add_nc_u32_e32 v8, 0x390, v125
	v_mov_b32_e32 v2, 0
	v_mov_b32_e32 v4, 0
	v_add_nc_u32_e32 v123, 16, v125
	s_mov_b32 s5, 0
	.p2align	6
.LBB120_129:                            ; =>This Inner Loop Header: Depth=1
	s_clause 0x3
	buffer_load_dword v130, v123, s[0:3], 0 offen offset:8
	buffer_load_dword v131, v123, s[0:3], 0 offen offset:12
	buffer_load_dword v132, v123, s[0:3], 0 offen
	buffer_load_dword v133, v123, s[0:3], 0 offen offset:4
	ds_read_b128 v[126:129], v8
	v_add_nc_u32_e32 v7, 1, v7
	v_add_nc_u32_e32 v8, 16, v8
	;; [unrolled: 1-line block ×3, first 2 shown]
	v_cmp_lt_u32_e32 vcc_lo, 27, v7
	s_or_b32 s5, vcc_lo, s5
	s_waitcnt vmcnt(2) lgkmcnt(0)
	v_mul_f64 v[134:135], v[128:129], v[130:131]
	v_mul_f64 v[130:131], v[126:127], v[130:131]
	s_waitcnt vmcnt(0)
	v_fma_f64 v[126:127], v[126:127], v[132:133], -v[134:135]
	v_fma_f64 v[128:129], v[128:129], v[132:133], v[130:131]
	v_add_f64 v[3:4], v[3:4], v[126:127]
	v_add_f64 v[1:2], v[1:2], v[128:129]
	s_andn2_b32 exec_lo, exec_lo, s5
	s_cbranch_execnz .LBB120_129
; %bb.130:
	s_or_b32 exec_lo, exec_lo, s5
	v_mov_b32_e32 v7, 0
	ds_read_b128 v[126:129], v7 offset:464
	s_waitcnt lgkmcnt(0)
	v_mul_f64 v[7:8], v[1:2], v[128:129]
	v_mul_f64 v[123:124], v[3:4], v[128:129]
	v_fma_f64 v[3:4], v[3:4], v[126:127], -v[7:8]
	v_fma_f64 v[1:2], v[1:2], v[126:127], v[123:124]
	buffer_store_dword v4, off, s[0:3], 0 offset:484
	buffer_store_dword v3, off, s[0:3], 0 offset:480
	;; [unrolled: 1-line block ×4, first 2 shown]
.LBB120_131:
	s_or_b32 exec_lo, exec_lo, s4
	v_mov_b32_e32 v4, s39
	s_waitcnt_vscnt null, 0x0
	s_barrier
	buffer_gl0_inv
	s_mov_b32 s4, exec_lo
	s_clause 0x3
	buffer_load_dword v1, v4, s[0:3], 0 offen
	buffer_load_dword v2, v4, s[0:3], 0 offen offset:4
	buffer_load_dword v3, v4, s[0:3], 0 offen offset:8
	;; [unrolled: 1-line block ×3, first 2 shown]
	s_waitcnt vmcnt(0)
	ds_write_b128 v5, v[1:4]
	s_waitcnt lgkmcnt(0)
	s_barrier
	buffer_gl0_inv
	v_cmpx_gt_u32_e32 30, v0
	s_cbranch_execz .LBB120_135
; %bb.132:
	v_mov_b32_e32 v1, 0
	v_mov_b32_e32 v3, 0
	v_add_nc_u32_e32 v7, -1, v0
	v_add_nc_u32_e32 v8, 0x390, v125
	v_mov_b32_e32 v2, 0
	v_mov_b32_e32 v4, 0
	v_add_nc_u32_e32 v123, 16, v125
	s_mov_b32 s5, 0
	.p2align	6
.LBB120_133:                            ; =>This Inner Loop Header: Depth=1
	s_clause 0x3
	buffer_load_dword v130, v123, s[0:3], 0 offen offset:8
	buffer_load_dword v131, v123, s[0:3], 0 offen offset:12
	buffer_load_dword v132, v123, s[0:3], 0 offen
	buffer_load_dword v133, v123, s[0:3], 0 offen offset:4
	ds_read_b128 v[126:129], v8
	v_add_nc_u32_e32 v7, 1, v7
	v_add_nc_u32_e32 v8, 16, v8
	;; [unrolled: 1-line block ×3, first 2 shown]
	v_cmp_lt_u32_e32 vcc_lo, 28, v7
	s_or_b32 s5, vcc_lo, s5
	s_waitcnt vmcnt(2) lgkmcnt(0)
	v_mul_f64 v[134:135], v[128:129], v[130:131]
	v_mul_f64 v[130:131], v[126:127], v[130:131]
	s_waitcnt vmcnt(0)
	v_fma_f64 v[126:127], v[126:127], v[132:133], -v[134:135]
	v_fma_f64 v[128:129], v[128:129], v[132:133], v[130:131]
	v_add_f64 v[3:4], v[3:4], v[126:127]
	v_add_f64 v[1:2], v[1:2], v[128:129]
	s_andn2_b32 exec_lo, exec_lo, s5
	s_cbranch_execnz .LBB120_133
; %bb.134:
	s_or_b32 exec_lo, exec_lo, s5
	v_mov_b32_e32 v7, 0
	ds_read_b128 v[126:129], v7 offset:480
	s_waitcnt lgkmcnt(0)
	v_mul_f64 v[7:8], v[1:2], v[128:129]
	v_mul_f64 v[123:124], v[3:4], v[128:129]
	v_fma_f64 v[3:4], v[3:4], v[126:127], -v[7:8]
	v_fma_f64 v[1:2], v[1:2], v[126:127], v[123:124]
	buffer_store_dword v4, off, s[0:3], 0 offset:500
	buffer_store_dword v3, off, s[0:3], 0 offset:496
	;; [unrolled: 1-line block ×4, first 2 shown]
.LBB120_135:
	s_or_b32 exec_lo, exec_lo, s4
	v_mov_b32_e32 v4, s38
	s_waitcnt_vscnt null, 0x0
	s_barrier
	buffer_gl0_inv
	s_mov_b32 s4, exec_lo
	s_clause 0x3
	buffer_load_dword v1, v4, s[0:3], 0 offen
	buffer_load_dword v2, v4, s[0:3], 0 offen offset:4
	buffer_load_dword v3, v4, s[0:3], 0 offen offset:8
	buffer_load_dword v4, v4, s[0:3], 0 offen offset:12
	s_waitcnt vmcnt(0)
	ds_write_b128 v5, v[1:4]
	s_waitcnt lgkmcnt(0)
	s_barrier
	buffer_gl0_inv
	v_cmpx_gt_u32_e32 31, v0
	s_cbranch_execz .LBB120_139
; %bb.136:
	v_mov_b32_e32 v1, 0
	v_mov_b32_e32 v3, 0
	v_add_nc_u32_e32 v7, -1, v0
	v_add_nc_u32_e32 v8, 0x390, v125
	v_mov_b32_e32 v2, 0
	v_mov_b32_e32 v4, 0
	v_add_nc_u32_e32 v123, 16, v125
	s_mov_b32 s5, 0
	.p2align	6
.LBB120_137:                            ; =>This Inner Loop Header: Depth=1
	s_clause 0x3
	buffer_load_dword v130, v123, s[0:3], 0 offen offset:8
	buffer_load_dword v131, v123, s[0:3], 0 offen offset:12
	buffer_load_dword v132, v123, s[0:3], 0 offen
	buffer_load_dword v133, v123, s[0:3], 0 offen offset:4
	ds_read_b128 v[126:129], v8
	v_add_nc_u32_e32 v7, 1, v7
	v_add_nc_u32_e32 v8, 16, v8
	;; [unrolled: 1-line block ×3, first 2 shown]
	v_cmp_lt_u32_e32 vcc_lo, 29, v7
	s_or_b32 s5, vcc_lo, s5
	s_waitcnt vmcnt(2) lgkmcnt(0)
	v_mul_f64 v[134:135], v[128:129], v[130:131]
	v_mul_f64 v[130:131], v[126:127], v[130:131]
	s_waitcnt vmcnt(0)
	v_fma_f64 v[126:127], v[126:127], v[132:133], -v[134:135]
	v_fma_f64 v[128:129], v[128:129], v[132:133], v[130:131]
	v_add_f64 v[3:4], v[3:4], v[126:127]
	v_add_f64 v[1:2], v[1:2], v[128:129]
	s_andn2_b32 exec_lo, exec_lo, s5
	s_cbranch_execnz .LBB120_137
; %bb.138:
	s_or_b32 exec_lo, exec_lo, s5
	v_mov_b32_e32 v7, 0
	ds_read_b128 v[126:129], v7 offset:496
	s_waitcnt lgkmcnt(0)
	v_mul_f64 v[7:8], v[1:2], v[128:129]
	v_mul_f64 v[123:124], v[3:4], v[128:129]
	v_fma_f64 v[3:4], v[3:4], v[126:127], -v[7:8]
	v_fma_f64 v[1:2], v[1:2], v[126:127], v[123:124]
	buffer_store_dword v4, off, s[0:3], 0 offset:516
	buffer_store_dword v3, off, s[0:3], 0 offset:512
	;; [unrolled: 1-line block ×4, first 2 shown]
.LBB120_139:
	s_or_b32 exec_lo, exec_lo, s4
	v_mov_b32_e32 v4, s37
	s_waitcnt_vscnt null, 0x0
	s_barrier
	buffer_gl0_inv
	s_mov_b32 s4, exec_lo
	s_clause 0x3
	buffer_load_dword v1, v4, s[0:3], 0 offen
	buffer_load_dword v2, v4, s[0:3], 0 offen offset:4
	buffer_load_dword v3, v4, s[0:3], 0 offen offset:8
	;; [unrolled: 1-line block ×3, first 2 shown]
	s_waitcnt vmcnt(0)
	ds_write_b128 v5, v[1:4]
	s_waitcnt lgkmcnt(0)
	s_barrier
	buffer_gl0_inv
	v_cmpx_gt_u32_e32 32, v0
	s_cbranch_execz .LBB120_143
; %bb.140:
	v_mov_b32_e32 v1, 0
	v_mov_b32_e32 v3, 0
	v_add_nc_u32_e32 v7, -1, v0
	v_add_nc_u32_e32 v8, 0x390, v125
	v_mov_b32_e32 v2, 0
	v_mov_b32_e32 v4, 0
	v_add_nc_u32_e32 v123, 16, v125
	s_mov_b32 s5, 0
	.p2align	6
.LBB120_141:                            ; =>This Inner Loop Header: Depth=1
	s_clause 0x3
	buffer_load_dword v130, v123, s[0:3], 0 offen offset:8
	buffer_load_dword v131, v123, s[0:3], 0 offen offset:12
	buffer_load_dword v132, v123, s[0:3], 0 offen
	buffer_load_dword v133, v123, s[0:3], 0 offen offset:4
	ds_read_b128 v[126:129], v8
	v_add_nc_u32_e32 v7, 1, v7
	v_add_nc_u32_e32 v8, 16, v8
	;; [unrolled: 1-line block ×3, first 2 shown]
	v_cmp_lt_u32_e32 vcc_lo, 30, v7
	s_or_b32 s5, vcc_lo, s5
	s_waitcnt vmcnt(2) lgkmcnt(0)
	v_mul_f64 v[134:135], v[128:129], v[130:131]
	v_mul_f64 v[130:131], v[126:127], v[130:131]
	s_waitcnt vmcnt(0)
	v_fma_f64 v[126:127], v[126:127], v[132:133], -v[134:135]
	v_fma_f64 v[128:129], v[128:129], v[132:133], v[130:131]
	v_add_f64 v[3:4], v[3:4], v[126:127]
	v_add_f64 v[1:2], v[1:2], v[128:129]
	s_andn2_b32 exec_lo, exec_lo, s5
	s_cbranch_execnz .LBB120_141
; %bb.142:
	s_or_b32 exec_lo, exec_lo, s5
	v_mov_b32_e32 v7, 0
	ds_read_b128 v[126:129], v7 offset:512
	s_waitcnt lgkmcnt(0)
	v_mul_f64 v[7:8], v[1:2], v[128:129]
	v_mul_f64 v[123:124], v[3:4], v[128:129]
	v_fma_f64 v[3:4], v[3:4], v[126:127], -v[7:8]
	v_fma_f64 v[1:2], v[1:2], v[126:127], v[123:124]
	buffer_store_dword v4, off, s[0:3], 0 offset:532
	buffer_store_dword v3, off, s[0:3], 0 offset:528
	;; [unrolled: 1-line block ×4, first 2 shown]
.LBB120_143:
	s_or_b32 exec_lo, exec_lo, s4
	v_mov_b32_e32 v4, s36
	s_waitcnt_vscnt null, 0x0
	s_barrier
	buffer_gl0_inv
	s_mov_b32 s4, exec_lo
	s_clause 0x3
	buffer_load_dword v1, v4, s[0:3], 0 offen
	buffer_load_dword v2, v4, s[0:3], 0 offen offset:4
	buffer_load_dword v3, v4, s[0:3], 0 offen offset:8
	;; [unrolled: 1-line block ×3, first 2 shown]
	s_waitcnt vmcnt(0)
	ds_write_b128 v5, v[1:4]
	s_waitcnt lgkmcnt(0)
	s_barrier
	buffer_gl0_inv
	v_cmpx_gt_u32_e32 33, v0
	s_cbranch_execz .LBB120_147
; %bb.144:
	v_mov_b32_e32 v1, 0
	v_mov_b32_e32 v3, 0
	v_add_nc_u32_e32 v7, -1, v0
	v_add_nc_u32_e32 v8, 0x390, v125
	v_mov_b32_e32 v2, 0
	v_mov_b32_e32 v4, 0
	v_add_nc_u32_e32 v123, 16, v125
	s_mov_b32 s5, 0
	.p2align	6
.LBB120_145:                            ; =>This Inner Loop Header: Depth=1
	s_clause 0x3
	buffer_load_dword v130, v123, s[0:3], 0 offen offset:8
	buffer_load_dword v131, v123, s[0:3], 0 offen offset:12
	buffer_load_dword v132, v123, s[0:3], 0 offen
	buffer_load_dword v133, v123, s[0:3], 0 offen offset:4
	ds_read_b128 v[126:129], v8
	v_add_nc_u32_e32 v7, 1, v7
	v_add_nc_u32_e32 v8, 16, v8
	;; [unrolled: 1-line block ×3, first 2 shown]
	v_cmp_lt_u32_e32 vcc_lo, 31, v7
	s_or_b32 s5, vcc_lo, s5
	s_waitcnt vmcnt(2) lgkmcnt(0)
	v_mul_f64 v[134:135], v[128:129], v[130:131]
	v_mul_f64 v[130:131], v[126:127], v[130:131]
	s_waitcnt vmcnt(0)
	v_fma_f64 v[126:127], v[126:127], v[132:133], -v[134:135]
	v_fma_f64 v[128:129], v[128:129], v[132:133], v[130:131]
	v_add_f64 v[3:4], v[3:4], v[126:127]
	v_add_f64 v[1:2], v[1:2], v[128:129]
	s_andn2_b32 exec_lo, exec_lo, s5
	s_cbranch_execnz .LBB120_145
; %bb.146:
	s_or_b32 exec_lo, exec_lo, s5
	v_mov_b32_e32 v7, 0
	ds_read_b128 v[126:129], v7 offset:528
	s_waitcnt lgkmcnt(0)
	v_mul_f64 v[7:8], v[1:2], v[128:129]
	v_mul_f64 v[123:124], v[3:4], v[128:129]
	v_fma_f64 v[3:4], v[3:4], v[126:127], -v[7:8]
	v_fma_f64 v[1:2], v[1:2], v[126:127], v[123:124]
	buffer_store_dword v4, off, s[0:3], 0 offset:548
	buffer_store_dword v3, off, s[0:3], 0 offset:544
	;; [unrolled: 1-line block ×4, first 2 shown]
.LBB120_147:
	s_or_b32 exec_lo, exec_lo, s4
	v_mov_b32_e32 v4, s35
	s_waitcnt_vscnt null, 0x0
	s_barrier
	buffer_gl0_inv
	s_mov_b32 s4, exec_lo
	s_clause 0x3
	buffer_load_dword v1, v4, s[0:3], 0 offen
	buffer_load_dword v2, v4, s[0:3], 0 offen offset:4
	buffer_load_dword v3, v4, s[0:3], 0 offen offset:8
	;; [unrolled: 1-line block ×3, first 2 shown]
	s_waitcnt vmcnt(0)
	ds_write_b128 v5, v[1:4]
	s_waitcnt lgkmcnt(0)
	s_barrier
	buffer_gl0_inv
	v_cmpx_gt_u32_e32 34, v0
	s_cbranch_execz .LBB120_151
; %bb.148:
	v_mov_b32_e32 v1, 0
	v_mov_b32_e32 v3, 0
	v_add_nc_u32_e32 v7, -1, v0
	v_add_nc_u32_e32 v8, 0x390, v125
	v_mov_b32_e32 v2, 0
	v_mov_b32_e32 v4, 0
	v_add_nc_u32_e32 v123, 16, v125
	s_mov_b32 s5, 0
	.p2align	6
.LBB120_149:                            ; =>This Inner Loop Header: Depth=1
	s_clause 0x3
	buffer_load_dword v130, v123, s[0:3], 0 offen offset:8
	buffer_load_dword v131, v123, s[0:3], 0 offen offset:12
	buffer_load_dword v132, v123, s[0:3], 0 offen
	buffer_load_dword v133, v123, s[0:3], 0 offen offset:4
	ds_read_b128 v[126:129], v8
	v_add_nc_u32_e32 v7, 1, v7
	v_add_nc_u32_e32 v8, 16, v8
	;; [unrolled: 1-line block ×3, first 2 shown]
	v_cmp_lt_u32_e32 vcc_lo, 32, v7
	s_or_b32 s5, vcc_lo, s5
	s_waitcnt vmcnt(2) lgkmcnt(0)
	v_mul_f64 v[134:135], v[128:129], v[130:131]
	v_mul_f64 v[130:131], v[126:127], v[130:131]
	s_waitcnt vmcnt(0)
	v_fma_f64 v[126:127], v[126:127], v[132:133], -v[134:135]
	v_fma_f64 v[128:129], v[128:129], v[132:133], v[130:131]
	v_add_f64 v[3:4], v[3:4], v[126:127]
	v_add_f64 v[1:2], v[1:2], v[128:129]
	s_andn2_b32 exec_lo, exec_lo, s5
	s_cbranch_execnz .LBB120_149
; %bb.150:
	s_or_b32 exec_lo, exec_lo, s5
	v_mov_b32_e32 v7, 0
	ds_read_b128 v[126:129], v7 offset:544
	s_waitcnt lgkmcnt(0)
	v_mul_f64 v[7:8], v[1:2], v[128:129]
	v_mul_f64 v[123:124], v[3:4], v[128:129]
	v_fma_f64 v[3:4], v[3:4], v[126:127], -v[7:8]
	v_fma_f64 v[1:2], v[1:2], v[126:127], v[123:124]
	buffer_store_dword v4, off, s[0:3], 0 offset:564
	buffer_store_dword v3, off, s[0:3], 0 offset:560
	;; [unrolled: 1-line block ×4, first 2 shown]
.LBB120_151:
	s_or_b32 exec_lo, exec_lo, s4
	v_mov_b32_e32 v4, s34
	s_waitcnt_vscnt null, 0x0
	s_barrier
	buffer_gl0_inv
	s_mov_b32 s4, exec_lo
	s_clause 0x3
	buffer_load_dword v1, v4, s[0:3], 0 offen
	buffer_load_dword v2, v4, s[0:3], 0 offen offset:4
	buffer_load_dword v3, v4, s[0:3], 0 offen offset:8
	;; [unrolled: 1-line block ×3, first 2 shown]
	s_waitcnt vmcnt(0)
	ds_write_b128 v5, v[1:4]
	s_waitcnt lgkmcnt(0)
	s_barrier
	buffer_gl0_inv
	v_cmpx_gt_u32_e32 35, v0
	s_cbranch_execz .LBB120_155
; %bb.152:
	v_mov_b32_e32 v1, 0
	v_mov_b32_e32 v3, 0
	v_add_nc_u32_e32 v7, -1, v0
	v_add_nc_u32_e32 v8, 0x390, v125
	v_mov_b32_e32 v2, 0
	v_mov_b32_e32 v4, 0
	v_add_nc_u32_e32 v123, 16, v125
	s_mov_b32 s5, 0
	.p2align	6
.LBB120_153:                            ; =>This Inner Loop Header: Depth=1
	s_clause 0x3
	buffer_load_dword v130, v123, s[0:3], 0 offen offset:8
	buffer_load_dword v131, v123, s[0:3], 0 offen offset:12
	buffer_load_dword v132, v123, s[0:3], 0 offen
	buffer_load_dword v133, v123, s[0:3], 0 offen offset:4
	ds_read_b128 v[126:129], v8
	v_add_nc_u32_e32 v7, 1, v7
	v_add_nc_u32_e32 v8, 16, v8
	;; [unrolled: 1-line block ×3, first 2 shown]
	v_cmp_lt_u32_e32 vcc_lo, 33, v7
	s_or_b32 s5, vcc_lo, s5
	s_waitcnt vmcnt(2) lgkmcnt(0)
	v_mul_f64 v[134:135], v[128:129], v[130:131]
	v_mul_f64 v[130:131], v[126:127], v[130:131]
	s_waitcnt vmcnt(0)
	v_fma_f64 v[126:127], v[126:127], v[132:133], -v[134:135]
	v_fma_f64 v[128:129], v[128:129], v[132:133], v[130:131]
	v_add_f64 v[3:4], v[3:4], v[126:127]
	v_add_f64 v[1:2], v[1:2], v[128:129]
	s_andn2_b32 exec_lo, exec_lo, s5
	s_cbranch_execnz .LBB120_153
; %bb.154:
	s_or_b32 exec_lo, exec_lo, s5
	v_mov_b32_e32 v7, 0
	ds_read_b128 v[126:129], v7 offset:560
	s_waitcnt lgkmcnt(0)
	v_mul_f64 v[7:8], v[1:2], v[128:129]
	v_mul_f64 v[123:124], v[3:4], v[128:129]
	v_fma_f64 v[3:4], v[3:4], v[126:127], -v[7:8]
	v_fma_f64 v[1:2], v[1:2], v[126:127], v[123:124]
	buffer_store_dword v4, off, s[0:3], 0 offset:580
	buffer_store_dword v3, off, s[0:3], 0 offset:576
	;; [unrolled: 1-line block ×4, first 2 shown]
.LBB120_155:
	s_or_b32 exec_lo, exec_lo, s4
	v_mov_b32_e32 v4, s33
	s_waitcnt_vscnt null, 0x0
	s_barrier
	buffer_gl0_inv
	s_mov_b32 s4, exec_lo
	s_clause 0x3
	buffer_load_dword v1, v4, s[0:3], 0 offen
	buffer_load_dword v2, v4, s[0:3], 0 offen offset:4
	buffer_load_dword v3, v4, s[0:3], 0 offen offset:8
	;; [unrolled: 1-line block ×3, first 2 shown]
	s_waitcnt vmcnt(0)
	ds_write_b128 v5, v[1:4]
	s_waitcnt lgkmcnt(0)
	s_barrier
	buffer_gl0_inv
	v_cmpx_gt_u32_e32 36, v0
	s_cbranch_execz .LBB120_159
; %bb.156:
	v_mov_b32_e32 v1, 0
	v_mov_b32_e32 v3, 0
	v_add_nc_u32_e32 v7, -1, v0
	v_add_nc_u32_e32 v8, 0x390, v125
	v_mov_b32_e32 v2, 0
	v_mov_b32_e32 v4, 0
	v_add_nc_u32_e32 v123, 16, v125
	s_mov_b32 s5, 0
	.p2align	6
.LBB120_157:                            ; =>This Inner Loop Header: Depth=1
	s_clause 0x3
	buffer_load_dword v130, v123, s[0:3], 0 offen offset:8
	buffer_load_dword v131, v123, s[0:3], 0 offen offset:12
	buffer_load_dword v132, v123, s[0:3], 0 offen
	buffer_load_dword v133, v123, s[0:3], 0 offen offset:4
	ds_read_b128 v[126:129], v8
	v_add_nc_u32_e32 v7, 1, v7
	v_add_nc_u32_e32 v8, 16, v8
	;; [unrolled: 1-line block ×3, first 2 shown]
	v_cmp_lt_u32_e32 vcc_lo, 34, v7
	s_or_b32 s5, vcc_lo, s5
	s_waitcnt vmcnt(2) lgkmcnt(0)
	v_mul_f64 v[134:135], v[128:129], v[130:131]
	v_mul_f64 v[130:131], v[126:127], v[130:131]
	s_waitcnt vmcnt(0)
	v_fma_f64 v[126:127], v[126:127], v[132:133], -v[134:135]
	v_fma_f64 v[128:129], v[128:129], v[132:133], v[130:131]
	v_add_f64 v[3:4], v[3:4], v[126:127]
	v_add_f64 v[1:2], v[1:2], v[128:129]
	s_andn2_b32 exec_lo, exec_lo, s5
	s_cbranch_execnz .LBB120_157
; %bb.158:
	s_or_b32 exec_lo, exec_lo, s5
	v_mov_b32_e32 v7, 0
	ds_read_b128 v[126:129], v7 offset:576
	s_waitcnt lgkmcnt(0)
	v_mul_f64 v[7:8], v[1:2], v[128:129]
	v_mul_f64 v[123:124], v[3:4], v[128:129]
	v_fma_f64 v[3:4], v[3:4], v[126:127], -v[7:8]
	v_fma_f64 v[1:2], v[1:2], v[126:127], v[123:124]
	buffer_store_dword v4, off, s[0:3], 0 offset:596
	buffer_store_dword v3, off, s[0:3], 0 offset:592
	;; [unrolled: 1-line block ×4, first 2 shown]
.LBB120_159:
	s_or_b32 exec_lo, exec_lo, s4
	v_mov_b32_e32 v4, s31
	s_waitcnt_vscnt null, 0x0
	s_barrier
	buffer_gl0_inv
	s_mov_b32 s4, exec_lo
	s_clause 0x3
	buffer_load_dword v1, v4, s[0:3], 0 offen
	buffer_load_dword v2, v4, s[0:3], 0 offen offset:4
	buffer_load_dword v3, v4, s[0:3], 0 offen offset:8
	;; [unrolled: 1-line block ×3, first 2 shown]
	s_waitcnt vmcnt(0)
	ds_write_b128 v5, v[1:4]
	s_waitcnt lgkmcnt(0)
	s_barrier
	buffer_gl0_inv
	v_cmpx_gt_u32_e32 37, v0
	s_cbranch_execz .LBB120_163
; %bb.160:
	v_mov_b32_e32 v1, 0
	v_mov_b32_e32 v3, 0
	v_add_nc_u32_e32 v7, -1, v0
	v_add_nc_u32_e32 v8, 0x390, v125
	v_mov_b32_e32 v2, 0
	v_mov_b32_e32 v4, 0
	v_add_nc_u32_e32 v123, 16, v125
	s_mov_b32 s5, 0
	.p2align	6
.LBB120_161:                            ; =>This Inner Loop Header: Depth=1
	s_clause 0x3
	buffer_load_dword v130, v123, s[0:3], 0 offen offset:8
	buffer_load_dword v131, v123, s[0:3], 0 offen offset:12
	buffer_load_dword v132, v123, s[0:3], 0 offen
	buffer_load_dword v133, v123, s[0:3], 0 offen offset:4
	ds_read_b128 v[126:129], v8
	v_add_nc_u32_e32 v7, 1, v7
	v_add_nc_u32_e32 v8, 16, v8
	;; [unrolled: 1-line block ×3, first 2 shown]
	v_cmp_lt_u32_e32 vcc_lo, 35, v7
	s_or_b32 s5, vcc_lo, s5
	s_waitcnt vmcnt(2) lgkmcnt(0)
	v_mul_f64 v[134:135], v[128:129], v[130:131]
	v_mul_f64 v[130:131], v[126:127], v[130:131]
	s_waitcnt vmcnt(0)
	v_fma_f64 v[126:127], v[126:127], v[132:133], -v[134:135]
	v_fma_f64 v[128:129], v[128:129], v[132:133], v[130:131]
	v_add_f64 v[3:4], v[3:4], v[126:127]
	v_add_f64 v[1:2], v[1:2], v[128:129]
	s_andn2_b32 exec_lo, exec_lo, s5
	s_cbranch_execnz .LBB120_161
; %bb.162:
	s_or_b32 exec_lo, exec_lo, s5
	v_mov_b32_e32 v7, 0
	ds_read_b128 v[126:129], v7 offset:592
	s_waitcnt lgkmcnt(0)
	v_mul_f64 v[7:8], v[1:2], v[128:129]
	v_mul_f64 v[123:124], v[3:4], v[128:129]
	v_fma_f64 v[3:4], v[3:4], v[126:127], -v[7:8]
	v_fma_f64 v[1:2], v[1:2], v[126:127], v[123:124]
	buffer_store_dword v4, off, s[0:3], 0 offset:612
	buffer_store_dword v3, off, s[0:3], 0 offset:608
	buffer_store_dword v2, off, s[0:3], 0 offset:620
	buffer_store_dword v1, off, s[0:3], 0 offset:616
.LBB120_163:
	s_or_b32 exec_lo, exec_lo, s4
	v_mov_b32_e32 v4, s30
	s_waitcnt_vscnt null, 0x0
	s_barrier
	buffer_gl0_inv
	s_mov_b32 s4, exec_lo
	s_clause 0x3
	buffer_load_dword v1, v4, s[0:3], 0 offen
	buffer_load_dword v2, v4, s[0:3], 0 offen offset:4
	buffer_load_dword v3, v4, s[0:3], 0 offen offset:8
	;; [unrolled: 1-line block ×3, first 2 shown]
	s_waitcnt vmcnt(0)
	ds_write_b128 v5, v[1:4]
	s_waitcnt lgkmcnt(0)
	s_barrier
	buffer_gl0_inv
	v_cmpx_gt_u32_e32 38, v0
	s_cbranch_execz .LBB120_167
; %bb.164:
	v_mov_b32_e32 v1, 0
	v_mov_b32_e32 v3, 0
	v_add_nc_u32_e32 v7, -1, v0
	v_add_nc_u32_e32 v8, 0x390, v125
	v_mov_b32_e32 v2, 0
	v_mov_b32_e32 v4, 0
	v_add_nc_u32_e32 v123, 16, v125
	s_mov_b32 s5, 0
	.p2align	6
.LBB120_165:                            ; =>This Inner Loop Header: Depth=1
	s_clause 0x3
	buffer_load_dword v130, v123, s[0:3], 0 offen offset:8
	buffer_load_dword v131, v123, s[0:3], 0 offen offset:12
	buffer_load_dword v132, v123, s[0:3], 0 offen
	buffer_load_dword v133, v123, s[0:3], 0 offen offset:4
	ds_read_b128 v[126:129], v8
	v_add_nc_u32_e32 v7, 1, v7
	v_add_nc_u32_e32 v8, 16, v8
	;; [unrolled: 1-line block ×3, first 2 shown]
	v_cmp_lt_u32_e32 vcc_lo, 36, v7
	s_or_b32 s5, vcc_lo, s5
	s_waitcnt vmcnt(2) lgkmcnt(0)
	v_mul_f64 v[134:135], v[128:129], v[130:131]
	v_mul_f64 v[130:131], v[126:127], v[130:131]
	s_waitcnt vmcnt(0)
	v_fma_f64 v[126:127], v[126:127], v[132:133], -v[134:135]
	v_fma_f64 v[128:129], v[128:129], v[132:133], v[130:131]
	v_add_f64 v[3:4], v[3:4], v[126:127]
	v_add_f64 v[1:2], v[1:2], v[128:129]
	s_andn2_b32 exec_lo, exec_lo, s5
	s_cbranch_execnz .LBB120_165
; %bb.166:
	s_or_b32 exec_lo, exec_lo, s5
	v_mov_b32_e32 v7, 0
	ds_read_b128 v[126:129], v7 offset:608
	s_waitcnt lgkmcnt(0)
	v_mul_f64 v[7:8], v[1:2], v[128:129]
	v_mul_f64 v[123:124], v[3:4], v[128:129]
	v_fma_f64 v[3:4], v[3:4], v[126:127], -v[7:8]
	v_fma_f64 v[1:2], v[1:2], v[126:127], v[123:124]
	buffer_store_dword v4, off, s[0:3], 0 offset:628
	buffer_store_dword v3, off, s[0:3], 0 offset:624
	;; [unrolled: 1-line block ×4, first 2 shown]
.LBB120_167:
	s_or_b32 exec_lo, exec_lo, s4
	v_mov_b32_e32 v4, s29
	s_waitcnt_vscnt null, 0x0
	s_barrier
	buffer_gl0_inv
	s_mov_b32 s4, exec_lo
	s_clause 0x3
	buffer_load_dword v1, v4, s[0:3], 0 offen
	buffer_load_dword v2, v4, s[0:3], 0 offen offset:4
	buffer_load_dword v3, v4, s[0:3], 0 offen offset:8
	;; [unrolled: 1-line block ×3, first 2 shown]
	s_waitcnt vmcnt(0)
	ds_write_b128 v5, v[1:4]
	s_waitcnt lgkmcnt(0)
	s_barrier
	buffer_gl0_inv
	v_cmpx_gt_u32_e32 39, v0
	s_cbranch_execz .LBB120_171
; %bb.168:
	v_mov_b32_e32 v1, 0
	v_mov_b32_e32 v3, 0
	v_add_nc_u32_e32 v7, -1, v0
	v_add_nc_u32_e32 v8, 0x390, v125
	v_mov_b32_e32 v2, 0
	v_mov_b32_e32 v4, 0
	v_add_nc_u32_e32 v123, 16, v125
	s_mov_b32 s5, 0
	.p2align	6
.LBB120_169:                            ; =>This Inner Loop Header: Depth=1
	s_clause 0x3
	buffer_load_dword v130, v123, s[0:3], 0 offen offset:8
	buffer_load_dword v131, v123, s[0:3], 0 offen offset:12
	buffer_load_dword v132, v123, s[0:3], 0 offen
	buffer_load_dword v133, v123, s[0:3], 0 offen offset:4
	ds_read_b128 v[126:129], v8
	v_add_nc_u32_e32 v7, 1, v7
	v_add_nc_u32_e32 v8, 16, v8
	;; [unrolled: 1-line block ×3, first 2 shown]
	v_cmp_lt_u32_e32 vcc_lo, 37, v7
	s_or_b32 s5, vcc_lo, s5
	s_waitcnt vmcnt(2) lgkmcnt(0)
	v_mul_f64 v[134:135], v[128:129], v[130:131]
	v_mul_f64 v[130:131], v[126:127], v[130:131]
	s_waitcnt vmcnt(0)
	v_fma_f64 v[126:127], v[126:127], v[132:133], -v[134:135]
	v_fma_f64 v[128:129], v[128:129], v[132:133], v[130:131]
	v_add_f64 v[3:4], v[3:4], v[126:127]
	v_add_f64 v[1:2], v[1:2], v[128:129]
	s_andn2_b32 exec_lo, exec_lo, s5
	s_cbranch_execnz .LBB120_169
; %bb.170:
	s_or_b32 exec_lo, exec_lo, s5
	v_mov_b32_e32 v7, 0
	ds_read_b128 v[126:129], v7 offset:624
	s_waitcnt lgkmcnt(0)
	v_mul_f64 v[7:8], v[1:2], v[128:129]
	v_mul_f64 v[123:124], v[3:4], v[128:129]
	v_fma_f64 v[3:4], v[3:4], v[126:127], -v[7:8]
	v_fma_f64 v[1:2], v[1:2], v[126:127], v[123:124]
	buffer_store_dword v4, off, s[0:3], 0 offset:644
	buffer_store_dword v3, off, s[0:3], 0 offset:640
	;; [unrolled: 1-line block ×4, first 2 shown]
.LBB120_171:
	s_or_b32 exec_lo, exec_lo, s4
	v_mov_b32_e32 v4, s28
	s_waitcnt_vscnt null, 0x0
	s_barrier
	buffer_gl0_inv
	s_mov_b32 s4, exec_lo
	s_clause 0x3
	buffer_load_dword v1, v4, s[0:3], 0 offen
	buffer_load_dword v2, v4, s[0:3], 0 offen offset:4
	buffer_load_dword v3, v4, s[0:3], 0 offen offset:8
	;; [unrolled: 1-line block ×3, first 2 shown]
	s_waitcnt vmcnt(0)
	ds_write_b128 v5, v[1:4]
	s_waitcnt lgkmcnt(0)
	s_barrier
	buffer_gl0_inv
	v_cmpx_gt_u32_e32 40, v0
	s_cbranch_execz .LBB120_175
; %bb.172:
	v_mov_b32_e32 v1, 0
	v_mov_b32_e32 v3, 0
	v_add_nc_u32_e32 v7, -1, v0
	v_add_nc_u32_e32 v8, 0x390, v125
	v_mov_b32_e32 v2, 0
	v_mov_b32_e32 v4, 0
	v_add_nc_u32_e32 v123, 16, v125
	s_mov_b32 s5, 0
	.p2align	6
.LBB120_173:                            ; =>This Inner Loop Header: Depth=1
	s_clause 0x3
	buffer_load_dword v130, v123, s[0:3], 0 offen offset:8
	buffer_load_dword v131, v123, s[0:3], 0 offen offset:12
	buffer_load_dword v132, v123, s[0:3], 0 offen
	buffer_load_dword v133, v123, s[0:3], 0 offen offset:4
	ds_read_b128 v[126:129], v8
	v_add_nc_u32_e32 v7, 1, v7
	v_add_nc_u32_e32 v8, 16, v8
	v_add_nc_u32_e32 v123, 16, v123
	v_cmp_lt_u32_e32 vcc_lo, 38, v7
	s_or_b32 s5, vcc_lo, s5
	s_waitcnt vmcnt(2) lgkmcnt(0)
	v_mul_f64 v[134:135], v[128:129], v[130:131]
	v_mul_f64 v[130:131], v[126:127], v[130:131]
	s_waitcnt vmcnt(0)
	v_fma_f64 v[126:127], v[126:127], v[132:133], -v[134:135]
	v_fma_f64 v[128:129], v[128:129], v[132:133], v[130:131]
	v_add_f64 v[3:4], v[3:4], v[126:127]
	v_add_f64 v[1:2], v[1:2], v[128:129]
	s_andn2_b32 exec_lo, exec_lo, s5
	s_cbranch_execnz .LBB120_173
; %bb.174:
	s_or_b32 exec_lo, exec_lo, s5
	v_mov_b32_e32 v7, 0
	ds_read_b128 v[126:129], v7 offset:640
	s_waitcnt lgkmcnt(0)
	v_mul_f64 v[7:8], v[1:2], v[128:129]
	v_mul_f64 v[123:124], v[3:4], v[128:129]
	v_fma_f64 v[3:4], v[3:4], v[126:127], -v[7:8]
	v_fma_f64 v[1:2], v[1:2], v[126:127], v[123:124]
	buffer_store_dword v4, off, s[0:3], 0 offset:660
	buffer_store_dword v3, off, s[0:3], 0 offset:656
	;; [unrolled: 1-line block ×4, first 2 shown]
.LBB120_175:
	s_or_b32 exec_lo, exec_lo, s4
	v_mov_b32_e32 v4, s27
	s_waitcnt_vscnt null, 0x0
	s_barrier
	buffer_gl0_inv
	s_mov_b32 s4, exec_lo
	s_clause 0x3
	buffer_load_dword v1, v4, s[0:3], 0 offen
	buffer_load_dword v2, v4, s[0:3], 0 offen offset:4
	buffer_load_dword v3, v4, s[0:3], 0 offen offset:8
	;; [unrolled: 1-line block ×3, first 2 shown]
	s_waitcnt vmcnt(0)
	ds_write_b128 v5, v[1:4]
	s_waitcnt lgkmcnt(0)
	s_barrier
	buffer_gl0_inv
	v_cmpx_gt_u32_e32 41, v0
	s_cbranch_execz .LBB120_179
; %bb.176:
	v_mov_b32_e32 v1, 0
	v_mov_b32_e32 v3, 0
	v_add_nc_u32_e32 v7, -1, v0
	v_add_nc_u32_e32 v8, 0x390, v125
	v_mov_b32_e32 v2, 0
	v_mov_b32_e32 v4, 0
	v_add_nc_u32_e32 v123, 16, v125
	s_mov_b32 s5, 0
	.p2align	6
.LBB120_177:                            ; =>This Inner Loop Header: Depth=1
	s_clause 0x3
	buffer_load_dword v130, v123, s[0:3], 0 offen offset:8
	buffer_load_dword v131, v123, s[0:3], 0 offen offset:12
	buffer_load_dword v132, v123, s[0:3], 0 offen
	buffer_load_dword v133, v123, s[0:3], 0 offen offset:4
	ds_read_b128 v[126:129], v8
	v_add_nc_u32_e32 v7, 1, v7
	v_add_nc_u32_e32 v8, 16, v8
	;; [unrolled: 1-line block ×3, first 2 shown]
	v_cmp_lt_u32_e32 vcc_lo, 39, v7
	s_or_b32 s5, vcc_lo, s5
	s_waitcnt vmcnt(2) lgkmcnt(0)
	v_mul_f64 v[134:135], v[128:129], v[130:131]
	v_mul_f64 v[130:131], v[126:127], v[130:131]
	s_waitcnt vmcnt(0)
	v_fma_f64 v[126:127], v[126:127], v[132:133], -v[134:135]
	v_fma_f64 v[128:129], v[128:129], v[132:133], v[130:131]
	v_add_f64 v[3:4], v[3:4], v[126:127]
	v_add_f64 v[1:2], v[1:2], v[128:129]
	s_andn2_b32 exec_lo, exec_lo, s5
	s_cbranch_execnz .LBB120_177
; %bb.178:
	s_or_b32 exec_lo, exec_lo, s5
	v_mov_b32_e32 v7, 0
	ds_read_b128 v[126:129], v7 offset:656
	s_waitcnt lgkmcnt(0)
	v_mul_f64 v[7:8], v[1:2], v[128:129]
	v_mul_f64 v[123:124], v[3:4], v[128:129]
	v_fma_f64 v[3:4], v[3:4], v[126:127], -v[7:8]
	v_fma_f64 v[1:2], v[1:2], v[126:127], v[123:124]
	buffer_store_dword v4, off, s[0:3], 0 offset:676
	buffer_store_dword v3, off, s[0:3], 0 offset:672
	;; [unrolled: 1-line block ×4, first 2 shown]
.LBB120_179:
	s_or_b32 exec_lo, exec_lo, s4
	v_mov_b32_e32 v4, s26
	s_waitcnt_vscnt null, 0x0
	s_barrier
	buffer_gl0_inv
	s_mov_b32 s4, exec_lo
	s_clause 0x3
	buffer_load_dword v1, v4, s[0:3], 0 offen
	buffer_load_dword v2, v4, s[0:3], 0 offen offset:4
	buffer_load_dword v3, v4, s[0:3], 0 offen offset:8
	buffer_load_dword v4, v4, s[0:3], 0 offen offset:12
	s_waitcnt vmcnt(0)
	ds_write_b128 v5, v[1:4]
	s_waitcnt lgkmcnt(0)
	s_barrier
	buffer_gl0_inv
	v_cmpx_gt_u32_e32 42, v0
	s_cbranch_execz .LBB120_183
; %bb.180:
	v_mov_b32_e32 v1, 0
	v_mov_b32_e32 v3, 0
	v_add_nc_u32_e32 v7, -1, v0
	v_add_nc_u32_e32 v8, 0x390, v125
	v_mov_b32_e32 v2, 0
	v_mov_b32_e32 v4, 0
	v_add_nc_u32_e32 v123, 16, v125
	s_mov_b32 s5, 0
	.p2align	6
.LBB120_181:                            ; =>This Inner Loop Header: Depth=1
	s_clause 0x3
	buffer_load_dword v130, v123, s[0:3], 0 offen offset:8
	buffer_load_dword v131, v123, s[0:3], 0 offen offset:12
	buffer_load_dword v132, v123, s[0:3], 0 offen
	buffer_load_dword v133, v123, s[0:3], 0 offen offset:4
	ds_read_b128 v[126:129], v8
	v_add_nc_u32_e32 v7, 1, v7
	v_add_nc_u32_e32 v8, 16, v8
	;; [unrolled: 1-line block ×3, first 2 shown]
	v_cmp_lt_u32_e32 vcc_lo, 40, v7
	s_or_b32 s5, vcc_lo, s5
	s_waitcnt vmcnt(2) lgkmcnt(0)
	v_mul_f64 v[134:135], v[128:129], v[130:131]
	v_mul_f64 v[130:131], v[126:127], v[130:131]
	s_waitcnt vmcnt(0)
	v_fma_f64 v[126:127], v[126:127], v[132:133], -v[134:135]
	v_fma_f64 v[128:129], v[128:129], v[132:133], v[130:131]
	v_add_f64 v[3:4], v[3:4], v[126:127]
	v_add_f64 v[1:2], v[1:2], v[128:129]
	s_andn2_b32 exec_lo, exec_lo, s5
	s_cbranch_execnz .LBB120_181
; %bb.182:
	s_or_b32 exec_lo, exec_lo, s5
	v_mov_b32_e32 v7, 0
	ds_read_b128 v[126:129], v7 offset:672
	s_waitcnt lgkmcnt(0)
	v_mul_f64 v[7:8], v[1:2], v[128:129]
	v_mul_f64 v[123:124], v[3:4], v[128:129]
	v_fma_f64 v[3:4], v[3:4], v[126:127], -v[7:8]
	v_fma_f64 v[1:2], v[1:2], v[126:127], v[123:124]
	buffer_store_dword v4, off, s[0:3], 0 offset:692
	buffer_store_dword v3, off, s[0:3], 0 offset:688
	;; [unrolled: 1-line block ×4, first 2 shown]
.LBB120_183:
	s_or_b32 exec_lo, exec_lo, s4
	v_mov_b32_e32 v4, s25
	s_waitcnt_vscnt null, 0x0
	s_barrier
	buffer_gl0_inv
	s_mov_b32 s4, exec_lo
	s_clause 0x3
	buffer_load_dword v1, v4, s[0:3], 0 offen
	buffer_load_dword v2, v4, s[0:3], 0 offen offset:4
	buffer_load_dword v3, v4, s[0:3], 0 offen offset:8
	;; [unrolled: 1-line block ×3, first 2 shown]
	s_waitcnt vmcnt(0)
	ds_write_b128 v5, v[1:4]
	s_waitcnt lgkmcnt(0)
	s_barrier
	buffer_gl0_inv
	v_cmpx_gt_u32_e32 43, v0
	s_cbranch_execz .LBB120_187
; %bb.184:
	v_mov_b32_e32 v1, 0
	v_mov_b32_e32 v3, 0
	v_add_nc_u32_e32 v7, -1, v0
	v_add_nc_u32_e32 v8, 0x390, v125
	v_mov_b32_e32 v2, 0
	v_mov_b32_e32 v4, 0
	v_add_nc_u32_e32 v123, 16, v125
	s_mov_b32 s5, 0
	.p2align	6
.LBB120_185:                            ; =>This Inner Loop Header: Depth=1
	s_clause 0x3
	buffer_load_dword v130, v123, s[0:3], 0 offen offset:8
	buffer_load_dword v131, v123, s[0:3], 0 offen offset:12
	buffer_load_dword v132, v123, s[0:3], 0 offen
	buffer_load_dword v133, v123, s[0:3], 0 offen offset:4
	ds_read_b128 v[126:129], v8
	v_add_nc_u32_e32 v7, 1, v7
	v_add_nc_u32_e32 v8, 16, v8
	v_add_nc_u32_e32 v123, 16, v123
	v_cmp_lt_u32_e32 vcc_lo, 41, v7
	s_or_b32 s5, vcc_lo, s5
	s_waitcnt vmcnt(2) lgkmcnt(0)
	v_mul_f64 v[134:135], v[128:129], v[130:131]
	v_mul_f64 v[130:131], v[126:127], v[130:131]
	s_waitcnt vmcnt(0)
	v_fma_f64 v[126:127], v[126:127], v[132:133], -v[134:135]
	v_fma_f64 v[128:129], v[128:129], v[132:133], v[130:131]
	v_add_f64 v[3:4], v[3:4], v[126:127]
	v_add_f64 v[1:2], v[1:2], v[128:129]
	s_andn2_b32 exec_lo, exec_lo, s5
	s_cbranch_execnz .LBB120_185
; %bb.186:
	s_or_b32 exec_lo, exec_lo, s5
	v_mov_b32_e32 v7, 0
	ds_read_b128 v[126:129], v7 offset:688
	s_waitcnt lgkmcnt(0)
	v_mul_f64 v[7:8], v[1:2], v[128:129]
	v_mul_f64 v[123:124], v[3:4], v[128:129]
	v_fma_f64 v[3:4], v[3:4], v[126:127], -v[7:8]
	v_fma_f64 v[1:2], v[1:2], v[126:127], v[123:124]
	buffer_store_dword v4, off, s[0:3], 0 offset:708
	buffer_store_dword v3, off, s[0:3], 0 offset:704
	;; [unrolled: 1-line block ×4, first 2 shown]
.LBB120_187:
	s_or_b32 exec_lo, exec_lo, s4
	v_mov_b32_e32 v4, s24
	s_waitcnt_vscnt null, 0x0
	s_barrier
	buffer_gl0_inv
	s_mov_b32 s4, exec_lo
	s_clause 0x3
	buffer_load_dword v1, v4, s[0:3], 0 offen
	buffer_load_dword v2, v4, s[0:3], 0 offen offset:4
	buffer_load_dword v3, v4, s[0:3], 0 offen offset:8
	buffer_load_dword v4, v4, s[0:3], 0 offen offset:12
	s_waitcnt vmcnt(0)
	ds_write_b128 v5, v[1:4]
	s_waitcnt lgkmcnt(0)
	s_barrier
	buffer_gl0_inv
	v_cmpx_gt_u32_e32 44, v0
	s_cbranch_execz .LBB120_191
; %bb.188:
	v_mov_b32_e32 v1, 0
	v_mov_b32_e32 v3, 0
	v_add_nc_u32_e32 v7, -1, v0
	v_add_nc_u32_e32 v8, 0x390, v125
	v_mov_b32_e32 v2, 0
	v_mov_b32_e32 v4, 0
	v_add_nc_u32_e32 v123, 16, v125
	s_mov_b32 s5, 0
	.p2align	6
.LBB120_189:                            ; =>This Inner Loop Header: Depth=1
	s_clause 0x3
	buffer_load_dword v130, v123, s[0:3], 0 offen offset:8
	buffer_load_dword v131, v123, s[0:3], 0 offen offset:12
	buffer_load_dword v132, v123, s[0:3], 0 offen
	buffer_load_dword v133, v123, s[0:3], 0 offen offset:4
	ds_read_b128 v[126:129], v8
	v_add_nc_u32_e32 v7, 1, v7
	v_add_nc_u32_e32 v8, 16, v8
	;; [unrolled: 1-line block ×3, first 2 shown]
	v_cmp_lt_u32_e32 vcc_lo, 42, v7
	s_or_b32 s5, vcc_lo, s5
	s_waitcnt vmcnt(2) lgkmcnt(0)
	v_mul_f64 v[134:135], v[128:129], v[130:131]
	v_mul_f64 v[130:131], v[126:127], v[130:131]
	s_waitcnt vmcnt(0)
	v_fma_f64 v[126:127], v[126:127], v[132:133], -v[134:135]
	v_fma_f64 v[128:129], v[128:129], v[132:133], v[130:131]
	v_add_f64 v[3:4], v[3:4], v[126:127]
	v_add_f64 v[1:2], v[1:2], v[128:129]
	s_andn2_b32 exec_lo, exec_lo, s5
	s_cbranch_execnz .LBB120_189
; %bb.190:
	s_or_b32 exec_lo, exec_lo, s5
	v_mov_b32_e32 v7, 0
	ds_read_b128 v[126:129], v7 offset:704
	s_waitcnt lgkmcnt(0)
	v_mul_f64 v[7:8], v[1:2], v[128:129]
	v_mul_f64 v[123:124], v[3:4], v[128:129]
	v_fma_f64 v[3:4], v[3:4], v[126:127], -v[7:8]
	v_fma_f64 v[1:2], v[1:2], v[126:127], v[123:124]
	buffer_store_dword v4, off, s[0:3], 0 offset:724
	buffer_store_dword v3, off, s[0:3], 0 offset:720
	;; [unrolled: 1-line block ×4, first 2 shown]
.LBB120_191:
	s_or_b32 exec_lo, exec_lo, s4
	v_mov_b32_e32 v4, s23
	s_waitcnt_vscnt null, 0x0
	s_barrier
	buffer_gl0_inv
	s_mov_b32 s4, exec_lo
	s_clause 0x3
	buffer_load_dword v1, v4, s[0:3], 0 offen
	buffer_load_dword v2, v4, s[0:3], 0 offen offset:4
	buffer_load_dword v3, v4, s[0:3], 0 offen offset:8
	;; [unrolled: 1-line block ×3, first 2 shown]
	s_waitcnt vmcnt(0)
	ds_write_b128 v5, v[1:4]
	s_waitcnt lgkmcnt(0)
	s_barrier
	buffer_gl0_inv
	v_cmpx_gt_u32_e32 45, v0
	s_cbranch_execz .LBB120_195
; %bb.192:
	v_mov_b32_e32 v1, 0
	v_mov_b32_e32 v3, 0
	v_add_nc_u32_e32 v7, -1, v0
	v_add_nc_u32_e32 v8, 0x390, v125
	v_mov_b32_e32 v2, 0
	v_mov_b32_e32 v4, 0
	v_add_nc_u32_e32 v123, 16, v125
	s_mov_b32 s5, 0
	.p2align	6
.LBB120_193:                            ; =>This Inner Loop Header: Depth=1
	s_clause 0x3
	buffer_load_dword v130, v123, s[0:3], 0 offen offset:8
	buffer_load_dword v131, v123, s[0:3], 0 offen offset:12
	buffer_load_dword v132, v123, s[0:3], 0 offen
	buffer_load_dword v133, v123, s[0:3], 0 offen offset:4
	ds_read_b128 v[126:129], v8
	v_add_nc_u32_e32 v7, 1, v7
	v_add_nc_u32_e32 v8, 16, v8
	;; [unrolled: 1-line block ×3, first 2 shown]
	v_cmp_lt_u32_e32 vcc_lo, 43, v7
	s_or_b32 s5, vcc_lo, s5
	s_waitcnt vmcnt(2) lgkmcnt(0)
	v_mul_f64 v[134:135], v[128:129], v[130:131]
	v_mul_f64 v[130:131], v[126:127], v[130:131]
	s_waitcnt vmcnt(0)
	v_fma_f64 v[126:127], v[126:127], v[132:133], -v[134:135]
	v_fma_f64 v[128:129], v[128:129], v[132:133], v[130:131]
	v_add_f64 v[3:4], v[3:4], v[126:127]
	v_add_f64 v[1:2], v[1:2], v[128:129]
	s_andn2_b32 exec_lo, exec_lo, s5
	s_cbranch_execnz .LBB120_193
; %bb.194:
	s_or_b32 exec_lo, exec_lo, s5
	v_mov_b32_e32 v7, 0
	ds_read_b128 v[126:129], v7 offset:720
	s_waitcnt lgkmcnt(0)
	v_mul_f64 v[7:8], v[1:2], v[128:129]
	v_mul_f64 v[123:124], v[3:4], v[128:129]
	v_fma_f64 v[3:4], v[3:4], v[126:127], -v[7:8]
	v_fma_f64 v[1:2], v[1:2], v[126:127], v[123:124]
	buffer_store_dword v4, off, s[0:3], 0 offset:740
	buffer_store_dword v3, off, s[0:3], 0 offset:736
	;; [unrolled: 1-line block ×4, first 2 shown]
.LBB120_195:
	s_or_b32 exec_lo, exec_lo, s4
	v_mov_b32_e32 v4, s22
	s_waitcnt_vscnt null, 0x0
	s_barrier
	buffer_gl0_inv
	s_mov_b32 s4, exec_lo
	s_clause 0x3
	buffer_load_dword v1, v4, s[0:3], 0 offen
	buffer_load_dword v2, v4, s[0:3], 0 offen offset:4
	buffer_load_dword v3, v4, s[0:3], 0 offen offset:8
	;; [unrolled: 1-line block ×3, first 2 shown]
	s_waitcnt vmcnt(0)
	ds_write_b128 v5, v[1:4]
	s_waitcnt lgkmcnt(0)
	s_barrier
	buffer_gl0_inv
	v_cmpx_gt_u32_e32 46, v0
	s_cbranch_execz .LBB120_199
; %bb.196:
	v_mov_b32_e32 v1, 0
	v_mov_b32_e32 v3, 0
	v_add_nc_u32_e32 v7, -1, v0
	v_add_nc_u32_e32 v8, 0x390, v125
	v_mov_b32_e32 v2, 0
	v_mov_b32_e32 v4, 0
	v_add_nc_u32_e32 v123, 16, v125
	s_mov_b32 s5, 0
	.p2align	6
.LBB120_197:                            ; =>This Inner Loop Header: Depth=1
	s_clause 0x3
	buffer_load_dword v130, v123, s[0:3], 0 offen offset:8
	buffer_load_dword v131, v123, s[0:3], 0 offen offset:12
	buffer_load_dword v132, v123, s[0:3], 0 offen
	buffer_load_dword v133, v123, s[0:3], 0 offen offset:4
	ds_read_b128 v[126:129], v8
	v_add_nc_u32_e32 v7, 1, v7
	v_add_nc_u32_e32 v8, 16, v8
	;; [unrolled: 1-line block ×3, first 2 shown]
	v_cmp_lt_u32_e32 vcc_lo, 44, v7
	s_or_b32 s5, vcc_lo, s5
	s_waitcnt vmcnt(2) lgkmcnt(0)
	v_mul_f64 v[134:135], v[128:129], v[130:131]
	v_mul_f64 v[130:131], v[126:127], v[130:131]
	s_waitcnt vmcnt(0)
	v_fma_f64 v[126:127], v[126:127], v[132:133], -v[134:135]
	v_fma_f64 v[128:129], v[128:129], v[132:133], v[130:131]
	v_add_f64 v[3:4], v[3:4], v[126:127]
	v_add_f64 v[1:2], v[1:2], v[128:129]
	s_andn2_b32 exec_lo, exec_lo, s5
	s_cbranch_execnz .LBB120_197
; %bb.198:
	s_or_b32 exec_lo, exec_lo, s5
	v_mov_b32_e32 v7, 0
	ds_read_b128 v[126:129], v7 offset:736
	s_waitcnt lgkmcnt(0)
	v_mul_f64 v[7:8], v[1:2], v[128:129]
	v_mul_f64 v[123:124], v[3:4], v[128:129]
	v_fma_f64 v[3:4], v[3:4], v[126:127], -v[7:8]
	v_fma_f64 v[1:2], v[1:2], v[126:127], v[123:124]
	buffer_store_dword v4, off, s[0:3], 0 offset:756
	buffer_store_dword v3, off, s[0:3], 0 offset:752
	;; [unrolled: 1-line block ×4, first 2 shown]
.LBB120_199:
	s_or_b32 exec_lo, exec_lo, s4
	v_mov_b32_e32 v4, s21
	s_waitcnt_vscnt null, 0x0
	s_barrier
	buffer_gl0_inv
	s_mov_b32 s4, exec_lo
	s_clause 0x3
	buffer_load_dword v1, v4, s[0:3], 0 offen
	buffer_load_dword v2, v4, s[0:3], 0 offen offset:4
	buffer_load_dword v3, v4, s[0:3], 0 offen offset:8
	;; [unrolled: 1-line block ×3, first 2 shown]
	s_waitcnt vmcnt(0)
	ds_write_b128 v5, v[1:4]
	s_waitcnt lgkmcnt(0)
	s_barrier
	buffer_gl0_inv
	v_cmpx_gt_u32_e32 47, v0
	s_cbranch_execz .LBB120_203
; %bb.200:
	v_mov_b32_e32 v1, 0
	v_mov_b32_e32 v3, 0
	v_add_nc_u32_e32 v7, -1, v0
	v_add_nc_u32_e32 v8, 0x390, v125
	v_mov_b32_e32 v2, 0
	v_mov_b32_e32 v4, 0
	v_add_nc_u32_e32 v123, 16, v125
	s_mov_b32 s5, 0
	.p2align	6
.LBB120_201:                            ; =>This Inner Loop Header: Depth=1
	s_clause 0x3
	buffer_load_dword v130, v123, s[0:3], 0 offen offset:8
	buffer_load_dword v131, v123, s[0:3], 0 offen offset:12
	buffer_load_dword v132, v123, s[0:3], 0 offen
	buffer_load_dword v133, v123, s[0:3], 0 offen offset:4
	ds_read_b128 v[126:129], v8
	v_add_nc_u32_e32 v7, 1, v7
	v_add_nc_u32_e32 v8, 16, v8
	;; [unrolled: 1-line block ×3, first 2 shown]
	v_cmp_lt_u32_e32 vcc_lo, 45, v7
	s_or_b32 s5, vcc_lo, s5
	s_waitcnt vmcnt(2) lgkmcnt(0)
	v_mul_f64 v[134:135], v[128:129], v[130:131]
	v_mul_f64 v[130:131], v[126:127], v[130:131]
	s_waitcnt vmcnt(0)
	v_fma_f64 v[126:127], v[126:127], v[132:133], -v[134:135]
	v_fma_f64 v[128:129], v[128:129], v[132:133], v[130:131]
	v_add_f64 v[3:4], v[3:4], v[126:127]
	v_add_f64 v[1:2], v[1:2], v[128:129]
	s_andn2_b32 exec_lo, exec_lo, s5
	s_cbranch_execnz .LBB120_201
; %bb.202:
	s_or_b32 exec_lo, exec_lo, s5
	v_mov_b32_e32 v7, 0
	ds_read_b128 v[126:129], v7 offset:752
	s_waitcnt lgkmcnt(0)
	v_mul_f64 v[7:8], v[1:2], v[128:129]
	v_mul_f64 v[123:124], v[3:4], v[128:129]
	v_fma_f64 v[3:4], v[3:4], v[126:127], -v[7:8]
	v_fma_f64 v[1:2], v[1:2], v[126:127], v[123:124]
	buffer_store_dword v4, off, s[0:3], 0 offset:772
	buffer_store_dword v3, off, s[0:3], 0 offset:768
	;; [unrolled: 1-line block ×4, first 2 shown]
.LBB120_203:
	s_or_b32 exec_lo, exec_lo, s4
	v_mov_b32_e32 v4, s20
	s_waitcnt_vscnt null, 0x0
	s_barrier
	buffer_gl0_inv
	s_mov_b32 s4, exec_lo
	s_clause 0x3
	buffer_load_dword v1, v4, s[0:3], 0 offen
	buffer_load_dword v2, v4, s[0:3], 0 offen offset:4
	buffer_load_dword v3, v4, s[0:3], 0 offen offset:8
	;; [unrolled: 1-line block ×3, first 2 shown]
	s_waitcnt vmcnt(0)
	ds_write_b128 v5, v[1:4]
	s_waitcnt lgkmcnt(0)
	s_barrier
	buffer_gl0_inv
	v_cmpx_gt_u32_e32 48, v0
	s_cbranch_execz .LBB120_207
; %bb.204:
	v_mov_b32_e32 v1, 0
	v_mov_b32_e32 v3, 0
	v_add_nc_u32_e32 v7, -1, v0
	v_add_nc_u32_e32 v8, 0x390, v125
	v_mov_b32_e32 v2, 0
	v_mov_b32_e32 v4, 0
	v_add_nc_u32_e32 v123, 16, v125
	s_mov_b32 s5, 0
	.p2align	6
.LBB120_205:                            ; =>This Inner Loop Header: Depth=1
	s_clause 0x3
	buffer_load_dword v130, v123, s[0:3], 0 offen offset:8
	buffer_load_dword v131, v123, s[0:3], 0 offen offset:12
	buffer_load_dword v132, v123, s[0:3], 0 offen
	buffer_load_dword v133, v123, s[0:3], 0 offen offset:4
	ds_read_b128 v[126:129], v8
	v_add_nc_u32_e32 v7, 1, v7
	v_add_nc_u32_e32 v8, 16, v8
	;; [unrolled: 1-line block ×3, first 2 shown]
	v_cmp_lt_u32_e32 vcc_lo, 46, v7
	s_or_b32 s5, vcc_lo, s5
	s_waitcnt vmcnt(2) lgkmcnt(0)
	v_mul_f64 v[134:135], v[128:129], v[130:131]
	v_mul_f64 v[130:131], v[126:127], v[130:131]
	s_waitcnt vmcnt(0)
	v_fma_f64 v[126:127], v[126:127], v[132:133], -v[134:135]
	v_fma_f64 v[128:129], v[128:129], v[132:133], v[130:131]
	v_add_f64 v[3:4], v[3:4], v[126:127]
	v_add_f64 v[1:2], v[1:2], v[128:129]
	s_andn2_b32 exec_lo, exec_lo, s5
	s_cbranch_execnz .LBB120_205
; %bb.206:
	s_or_b32 exec_lo, exec_lo, s5
	v_mov_b32_e32 v7, 0
	ds_read_b128 v[126:129], v7 offset:768
	s_waitcnt lgkmcnt(0)
	v_mul_f64 v[7:8], v[1:2], v[128:129]
	v_mul_f64 v[123:124], v[3:4], v[128:129]
	v_fma_f64 v[3:4], v[3:4], v[126:127], -v[7:8]
	v_fma_f64 v[1:2], v[1:2], v[126:127], v[123:124]
	buffer_store_dword v4, off, s[0:3], 0 offset:788
	buffer_store_dword v3, off, s[0:3], 0 offset:784
	;; [unrolled: 1-line block ×4, first 2 shown]
.LBB120_207:
	s_or_b32 exec_lo, exec_lo, s4
	v_mov_b32_e32 v4, s19
	s_waitcnt_vscnt null, 0x0
	s_barrier
	buffer_gl0_inv
	s_mov_b32 s4, exec_lo
	s_clause 0x3
	buffer_load_dword v1, v4, s[0:3], 0 offen
	buffer_load_dword v2, v4, s[0:3], 0 offen offset:4
	buffer_load_dword v3, v4, s[0:3], 0 offen offset:8
	;; [unrolled: 1-line block ×3, first 2 shown]
	s_waitcnt vmcnt(0)
	ds_write_b128 v5, v[1:4]
	s_waitcnt lgkmcnt(0)
	s_barrier
	buffer_gl0_inv
	v_cmpx_gt_u32_e32 49, v0
	s_cbranch_execz .LBB120_211
; %bb.208:
	v_mov_b32_e32 v1, 0
	v_mov_b32_e32 v3, 0
	v_add_nc_u32_e32 v7, -1, v0
	v_add_nc_u32_e32 v8, 0x390, v125
	v_mov_b32_e32 v2, 0
	v_mov_b32_e32 v4, 0
	v_add_nc_u32_e32 v123, 16, v125
	s_mov_b32 s5, 0
	.p2align	6
.LBB120_209:                            ; =>This Inner Loop Header: Depth=1
	s_clause 0x3
	buffer_load_dword v130, v123, s[0:3], 0 offen offset:8
	buffer_load_dword v131, v123, s[0:3], 0 offen offset:12
	buffer_load_dword v132, v123, s[0:3], 0 offen
	buffer_load_dword v133, v123, s[0:3], 0 offen offset:4
	ds_read_b128 v[126:129], v8
	v_add_nc_u32_e32 v7, 1, v7
	v_add_nc_u32_e32 v8, 16, v8
	;; [unrolled: 1-line block ×3, first 2 shown]
	v_cmp_lt_u32_e32 vcc_lo, 47, v7
	s_or_b32 s5, vcc_lo, s5
	s_waitcnt vmcnt(2) lgkmcnt(0)
	v_mul_f64 v[134:135], v[128:129], v[130:131]
	v_mul_f64 v[130:131], v[126:127], v[130:131]
	s_waitcnt vmcnt(0)
	v_fma_f64 v[126:127], v[126:127], v[132:133], -v[134:135]
	v_fma_f64 v[128:129], v[128:129], v[132:133], v[130:131]
	v_add_f64 v[3:4], v[3:4], v[126:127]
	v_add_f64 v[1:2], v[1:2], v[128:129]
	s_andn2_b32 exec_lo, exec_lo, s5
	s_cbranch_execnz .LBB120_209
; %bb.210:
	s_or_b32 exec_lo, exec_lo, s5
	v_mov_b32_e32 v7, 0
	ds_read_b128 v[126:129], v7 offset:784
	s_waitcnt lgkmcnt(0)
	v_mul_f64 v[7:8], v[1:2], v[128:129]
	v_mul_f64 v[123:124], v[3:4], v[128:129]
	v_fma_f64 v[3:4], v[3:4], v[126:127], -v[7:8]
	v_fma_f64 v[1:2], v[1:2], v[126:127], v[123:124]
	buffer_store_dword v4, off, s[0:3], 0 offset:804
	buffer_store_dword v3, off, s[0:3], 0 offset:800
	buffer_store_dword v2, off, s[0:3], 0 offset:812
	buffer_store_dword v1, off, s[0:3], 0 offset:808
.LBB120_211:
	s_or_b32 exec_lo, exec_lo, s4
	v_mov_b32_e32 v4, s18
	s_waitcnt_vscnt null, 0x0
	s_barrier
	buffer_gl0_inv
	s_mov_b32 s4, exec_lo
	s_clause 0x3
	buffer_load_dword v1, v4, s[0:3], 0 offen
	buffer_load_dword v2, v4, s[0:3], 0 offen offset:4
	buffer_load_dword v3, v4, s[0:3], 0 offen offset:8
	;; [unrolled: 1-line block ×3, first 2 shown]
	s_waitcnt vmcnt(0)
	ds_write_b128 v5, v[1:4]
	s_waitcnt lgkmcnt(0)
	s_barrier
	buffer_gl0_inv
	v_cmpx_gt_u32_e32 50, v0
	s_cbranch_execz .LBB120_215
; %bb.212:
	v_mov_b32_e32 v1, 0
	v_mov_b32_e32 v3, 0
	v_add_nc_u32_e32 v7, -1, v0
	v_add_nc_u32_e32 v8, 0x390, v125
	v_mov_b32_e32 v2, 0
	v_mov_b32_e32 v4, 0
	v_add_nc_u32_e32 v123, 16, v125
	s_mov_b32 s5, 0
	.p2align	6
.LBB120_213:                            ; =>This Inner Loop Header: Depth=1
	s_clause 0x3
	buffer_load_dword v130, v123, s[0:3], 0 offen offset:8
	buffer_load_dword v131, v123, s[0:3], 0 offen offset:12
	buffer_load_dword v132, v123, s[0:3], 0 offen
	buffer_load_dword v133, v123, s[0:3], 0 offen offset:4
	ds_read_b128 v[126:129], v8
	v_add_nc_u32_e32 v7, 1, v7
	v_add_nc_u32_e32 v8, 16, v8
	;; [unrolled: 1-line block ×3, first 2 shown]
	v_cmp_lt_u32_e32 vcc_lo, 48, v7
	s_or_b32 s5, vcc_lo, s5
	s_waitcnt vmcnt(2) lgkmcnt(0)
	v_mul_f64 v[134:135], v[128:129], v[130:131]
	v_mul_f64 v[130:131], v[126:127], v[130:131]
	s_waitcnt vmcnt(0)
	v_fma_f64 v[126:127], v[126:127], v[132:133], -v[134:135]
	v_fma_f64 v[128:129], v[128:129], v[132:133], v[130:131]
	v_add_f64 v[3:4], v[3:4], v[126:127]
	v_add_f64 v[1:2], v[1:2], v[128:129]
	s_andn2_b32 exec_lo, exec_lo, s5
	s_cbranch_execnz .LBB120_213
; %bb.214:
	s_or_b32 exec_lo, exec_lo, s5
	v_mov_b32_e32 v7, 0
	ds_read_b128 v[126:129], v7 offset:800
	s_waitcnt lgkmcnt(0)
	v_mul_f64 v[7:8], v[1:2], v[128:129]
	v_mul_f64 v[123:124], v[3:4], v[128:129]
	v_fma_f64 v[3:4], v[3:4], v[126:127], -v[7:8]
	v_fma_f64 v[1:2], v[1:2], v[126:127], v[123:124]
	buffer_store_dword v4, off, s[0:3], 0 offset:820
	buffer_store_dword v3, off, s[0:3], 0 offset:816
	;; [unrolled: 1-line block ×4, first 2 shown]
.LBB120_215:
	s_or_b32 exec_lo, exec_lo, s4
	v_mov_b32_e32 v4, s17
	s_waitcnt_vscnt null, 0x0
	s_barrier
	buffer_gl0_inv
	s_mov_b32 s4, exec_lo
	s_clause 0x3
	buffer_load_dword v1, v4, s[0:3], 0 offen
	buffer_load_dword v2, v4, s[0:3], 0 offen offset:4
	buffer_load_dword v3, v4, s[0:3], 0 offen offset:8
	buffer_load_dword v4, v4, s[0:3], 0 offen offset:12
	s_waitcnt vmcnt(0)
	ds_write_b128 v5, v[1:4]
	s_waitcnt lgkmcnt(0)
	s_barrier
	buffer_gl0_inv
	v_cmpx_gt_u32_e32 51, v0
	s_cbranch_execz .LBB120_219
; %bb.216:
	v_mov_b32_e32 v1, 0
	v_mov_b32_e32 v3, 0
	v_add_nc_u32_e32 v7, -1, v0
	v_add_nc_u32_e32 v8, 0x390, v125
	v_mov_b32_e32 v2, 0
	v_mov_b32_e32 v4, 0
	v_add_nc_u32_e32 v123, 16, v125
	s_mov_b32 s5, 0
	.p2align	6
.LBB120_217:                            ; =>This Inner Loop Header: Depth=1
	s_clause 0x3
	buffer_load_dword v130, v123, s[0:3], 0 offen offset:8
	buffer_load_dword v131, v123, s[0:3], 0 offen offset:12
	buffer_load_dword v132, v123, s[0:3], 0 offen
	buffer_load_dword v133, v123, s[0:3], 0 offen offset:4
	ds_read_b128 v[126:129], v8
	v_add_nc_u32_e32 v7, 1, v7
	v_add_nc_u32_e32 v8, 16, v8
	v_add_nc_u32_e32 v123, 16, v123
	v_cmp_lt_u32_e32 vcc_lo, 49, v7
	s_or_b32 s5, vcc_lo, s5
	s_waitcnt vmcnt(2) lgkmcnt(0)
	v_mul_f64 v[134:135], v[128:129], v[130:131]
	v_mul_f64 v[130:131], v[126:127], v[130:131]
	s_waitcnt vmcnt(0)
	v_fma_f64 v[126:127], v[126:127], v[132:133], -v[134:135]
	v_fma_f64 v[128:129], v[128:129], v[132:133], v[130:131]
	v_add_f64 v[3:4], v[3:4], v[126:127]
	v_add_f64 v[1:2], v[1:2], v[128:129]
	s_andn2_b32 exec_lo, exec_lo, s5
	s_cbranch_execnz .LBB120_217
; %bb.218:
	s_or_b32 exec_lo, exec_lo, s5
	v_mov_b32_e32 v7, 0
	ds_read_b128 v[126:129], v7 offset:816
	s_waitcnt lgkmcnt(0)
	v_mul_f64 v[7:8], v[1:2], v[128:129]
	v_mul_f64 v[123:124], v[3:4], v[128:129]
	v_fma_f64 v[3:4], v[3:4], v[126:127], -v[7:8]
	v_fma_f64 v[1:2], v[1:2], v[126:127], v[123:124]
	buffer_store_dword v4, off, s[0:3], 0 offset:836
	buffer_store_dword v3, off, s[0:3], 0 offset:832
	;; [unrolled: 1-line block ×4, first 2 shown]
.LBB120_219:
	s_or_b32 exec_lo, exec_lo, s4
	v_mov_b32_e32 v4, s16
	s_waitcnt_vscnt null, 0x0
	s_barrier
	buffer_gl0_inv
	s_mov_b32 s4, exec_lo
	s_clause 0x3
	buffer_load_dword v1, v4, s[0:3], 0 offen
	buffer_load_dword v2, v4, s[0:3], 0 offen offset:4
	buffer_load_dword v3, v4, s[0:3], 0 offen offset:8
	;; [unrolled: 1-line block ×3, first 2 shown]
	s_waitcnt vmcnt(0)
	ds_write_b128 v5, v[1:4]
	s_waitcnt lgkmcnt(0)
	s_barrier
	buffer_gl0_inv
	v_cmpx_gt_u32_e32 52, v0
	s_cbranch_execz .LBB120_223
; %bb.220:
	v_mov_b32_e32 v1, 0
	v_mov_b32_e32 v3, 0
	v_add_nc_u32_e32 v7, -1, v0
	v_add_nc_u32_e32 v8, 0x390, v125
	v_mov_b32_e32 v2, 0
	v_mov_b32_e32 v4, 0
	v_add_nc_u32_e32 v123, 16, v125
	s_mov_b32 s5, 0
	.p2align	6
.LBB120_221:                            ; =>This Inner Loop Header: Depth=1
	s_clause 0x3
	buffer_load_dword v130, v123, s[0:3], 0 offen offset:8
	buffer_load_dword v131, v123, s[0:3], 0 offen offset:12
	buffer_load_dword v132, v123, s[0:3], 0 offen
	buffer_load_dword v133, v123, s[0:3], 0 offen offset:4
	ds_read_b128 v[126:129], v8
	v_add_nc_u32_e32 v7, 1, v7
	v_add_nc_u32_e32 v8, 16, v8
	;; [unrolled: 1-line block ×3, first 2 shown]
	v_cmp_lt_u32_e32 vcc_lo, 50, v7
	s_or_b32 s5, vcc_lo, s5
	s_waitcnt vmcnt(2) lgkmcnt(0)
	v_mul_f64 v[134:135], v[128:129], v[130:131]
	v_mul_f64 v[130:131], v[126:127], v[130:131]
	s_waitcnt vmcnt(0)
	v_fma_f64 v[126:127], v[126:127], v[132:133], -v[134:135]
	v_fma_f64 v[128:129], v[128:129], v[132:133], v[130:131]
	v_add_f64 v[3:4], v[3:4], v[126:127]
	v_add_f64 v[1:2], v[1:2], v[128:129]
	s_andn2_b32 exec_lo, exec_lo, s5
	s_cbranch_execnz .LBB120_221
; %bb.222:
	s_or_b32 exec_lo, exec_lo, s5
	v_mov_b32_e32 v7, 0
	ds_read_b128 v[126:129], v7 offset:832
	s_waitcnt lgkmcnt(0)
	v_mul_f64 v[7:8], v[1:2], v[128:129]
	v_mul_f64 v[123:124], v[3:4], v[128:129]
	v_fma_f64 v[3:4], v[3:4], v[126:127], -v[7:8]
	v_fma_f64 v[1:2], v[1:2], v[126:127], v[123:124]
	buffer_store_dword v4, off, s[0:3], 0 offset:852
	buffer_store_dword v3, off, s[0:3], 0 offset:848
	;; [unrolled: 1-line block ×4, first 2 shown]
.LBB120_223:
	s_or_b32 exec_lo, exec_lo, s4
	v_mov_b32_e32 v4, s15
	s_waitcnt_vscnt null, 0x0
	s_barrier
	buffer_gl0_inv
	s_mov_b32 s4, exec_lo
	s_clause 0x3
	buffer_load_dword v1, v4, s[0:3], 0 offen
	buffer_load_dword v2, v4, s[0:3], 0 offen offset:4
	buffer_load_dword v3, v4, s[0:3], 0 offen offset:8
	;; [unrolled: 1-line block ×3, first 2 shown]
	s_waitcnt vmcnt(0)
	ds_write_b128 v5, v[1:4]
	s_waitcnt lgkmcnt(0)
	s_barrier
	buffer_gl0_inv
	v_cmpx_gt_u32_e32 53, v0
	s_cbranch_execz .LBB120_227
; %bb.224:
	v_mov_b32_e32 v1, 0
	v_mov_b32_e32 v3, 0
	v_add_nc_u32_e32 v7, -1, v0
	v_add_nc_u32_e32 v8, 0x390, v125
	v_mov_b32_e32 v2, 0
	v_mov_b32_e32 v4, 0
	v_add_nc_u32_e32 v123, 16, v125
	s_mov_b32 s5, 0
	.p2align	6
.LBB120_225:                            ; =>This Inner Loop Header: Depth=1
	s_clause 0x3
	buffer_load_dword v130, v123, s[0:3], 0 offen offset:8
	buffer_load_dword v131, v123, s[0:3], 0 offen offset:12
	buffer_load_dword v132, v123, s[0:3], 0 offen
	buffer_load_dword v133, v123, s[0:3], 0 offen offset:4
	ds_read_b128 v[126:129], v8
	v_add_nc_u32_e32 v7, 1, v7
	v_add_nc_u32_e32 v8, 16, v8
	;; [unrolled: 1-line block ×3, first 2 shown]
	v_cmp_lt_u32_e32 vcc_lo, 51, v7
	s_or_b32 s5, vcc_lo, s5
	s_waitcnt vmcnt(2) lgkmcnt(0)
	v_mul_f64 v[134:135], v[128:129], v[130:131]
	v_mul_f64 v[130:131], v[126:127], v[130:131]
	s_waitcnt vmcnt(0)
	v_fma_f64 v[126:127], v[126:127], v[132:133], -v[134:135]
	v_fma_f64 v[128:129], v[128:129], v[132:133], v[130:131]
	v_add_f64 v[3:4], v[3:4], v[126:127]
	v_add_f64 v[1:2], v[1:2], v[128:129]
	s_andn2_b32 exec_lo, exec_lo, s5
	s_cbranch_execnz .LBB120_225
; %bb.226:
	s_or_b32 exec_lo, exec_lo, s5
	v_mov_b32_e32 v7, 0
	ds_read_b128 v[126:129], v7 offset:848
	s_waitcnt lgkmcnt(0)
	v_mul_f64 v[7:8], v[1:2], v[128:129]
	v_mul_f64 v[123:124], v[3:4], v[128:129]
	v_fma_f64 v[3:4], v[3:4], v[126:127], -v[7:8]
	v_fma_f64 v[1:2], v[1:2], v[126:127], v[123:124]
	buffer_store_dword v4, off, s[0:3], 0 offset:868
	buffer_store_dword v3, off, s[0:3], 0 offset:864
	;; [unrolled: 1-line block ×4, first 2 shown]
.LBB120_227:
	s_or_b32 exec_lo, exec_lo, s4
	v_mov_b32_e32 v4, s14
	s_waitcnt_vscnt null, 0x0
	s_barrier
	buffer_gl0_inv
	s_mov_b32 s4, exec_lo
	s_clause 0x3
	buffer_load_dword v1, v4, s[0:3], 0 offen
	buffer_load_dword v2, v4, s[0:3], 0 offen offset:4
	buffer_load_dword v3, v4, s[0:3], 0 offen offset:8
	;; [unrolled: 1-line block ×3, first 2 shown]
	s_waitcnt vmcnt(0)
	ds_write_b128 v5, v[1:4]
	s_waitcnt lgkmcnt(0)
	s_barrier
	buffer_gl0_inv
	v_cmpx_gt_u32_e32 54, v0
	s_cbranch_execz .LBB120_231
; %bb.228:
	v_mov_b32_e32 v1, 0
	v_mov_b32_e32 v3, 0
	v_add_nc_u32_e32 v7, -1, v0
	v_add_nc_u32_e32 v8, 0x390, v125
	v_mov_b32_e32 v2, 0
	v_mov_b32_e32 v4, 0
	v_add_nc_u32_e32 v123, 16, v125
	s_mov_b32 s5, 0
	.p2align	6
.LBB120_229:                            ; =>This Inner Loop Header: Depth=1
	s_clause 0x3
	buffer_load_dword v130, v123, s[0:3], 0 offen offset:8
	buffer_load_dword v131, v123, s[0:3], 0 offen offset:12
	buffer_load_dword v132, v123, s[0:3], 0 offen
	buffer_load_dword v133, v123, s[0:3], 0 offen offset:4
	ds_read_b128 v[126:129], v8
	v_add_nc_u32_e32 v7, 1, v7
	v_add_nc_u32_e32 v8, 16, v8
	;; [unrolled: 1-line block ×3, first 2 shown]
	v_cmp_lt_u32_e32 vcc_lo, 52, v7
	s_or_b32 s5, vcc_lo, s5
	s_waitcnt vmcnt(2) lgkmcnt(0)
	v_mul_f64 v[134:135], v[128:129], v[130:131]
	v_mul_f64 v[130:131], v[126:127], v[130:131]
	s_waitcnt vmcnt(0)
	v_fma_f64 v[126:127], v[126:127], v[132:133], -v[134:135]
	v_fma_f64 v[128:129], v[128:129], v[132:133], v[130:131]
	v_add_f64 v[3:4], v[3:4], v[126:127]
	v_add_f64 v[1:2], v[1:2], v[128:129]
	s_andn2_b32 exec_lo, exec_lo, s5
	s_cbranch_execnz .LBB120_229
; %bb.230:
	s_or_b32 exec_lo, exec_lo, s5
	v_mov_b32_e32 v7, 0
	ds_read_b128 v[126:129], v7 offset:864
	s_waitcnt lgkmcnt(0)
	v_mul_f64 v[7:8], v[1:2], v[128:129]
	v_mul_f64 v[123:124], v[3:4], v[128:129]
	v_fma_f64 v[3:4], v[3:4], v[126:127], -v[7:8]
	v_fma_f64 v[1:2], v[1:2], v[126:127], v[123:124]
	buffer_store_dword v4, off, s[0:3], 0 offset:884
	buffer_store_dword v3, off, s[0:3], 0 offset:880
	;; [unrolled: 1-line block ×4, first 2 shown]
.LBB120_231:
	s_or_b32 exec_lo, exec_lo, s4
	v_mov_b32_e32 v4, s9
	s_waitcnt_vscnt null, 0x0
	s_barrier
	buffer_gl0_inv
	s_mov_b32 s4, exec_lo
	s_clause 0x3
	buffer_load_dword v1, v4, s[0:3], 0 offen
	buffer_load_dword v2, v4, s[0:3], 0 offen offset:4
	buffer_load_dword v3, v4, s[0:3], 0 offen offset:8
	;; [unrolled: 1-line block ×3, first 2 shown]
	s_waitcnt vmcnt(0)
	ds_write_b128 v5, v[1:4]
	s_waitcnt lgkmcnt(0)
	s_barrier
	buffer_gl0_inv
	v_cmpx_gt_u32_e32 55, v0
	s_cbranch_execz .LBB120_235
; %bb.232:
	v_mov_b32_e32 v1, 0
	v_mov_b32_e32 v3, 0
	v_add_nc_u32_e32 v7, -1, v0
	v_add_nc_u32_e32 v8, 0x390, v125
	v_mov_b32_e32 v2, 0
	v_mov_b32_e32 v4, 0
	v_add_nc_u32_e32 v123, 16, v125
	s_mov_b32 s5, 0
	.p2align	6
.LBB120_233:                            ; =>This Inner Loop Header: Depth=1
	s_clause 0x3
	buffer_load_dword v130, v123, s[0:3], 0 offen offset:8
	buffer_load_dword v131, v123, s[0:3], 0 offen offset:12
	buffer_load_dword v132, v123, s[0:3], 0 offen
	buffer_load_dword v133, v123, s[0:3], 0 offen offset:4
	ds_read_b128 v[126:129], v8
	v_add_nc_u32_e32 v7, 1, v7
	v_add_nc_u32_e32 v8, 16, v8
	;; [unrolled: 1-line block ×3, first 2 shown]
	v_cmp_lt_u32_e32 vcc_lo, 53, v7
	s_or_b32 s5, vcc_lo, s5
	s_waitcnt vmcnt(2) lgkmcnt(0)
	v_mul_f64 v[134:135], v[128:129], v[130:131]
	v_mul_f64 v[130:131], v[126:127], v[130:131]
	s_waitcnt vmcnt(0)
	v_fma_f64 v[126:127], v[126:127], v[132:133], -v[134:135]
	v_fma_f64 v[128:129], v[128:129], v[132:133], v[130:131]
	v_add_f64 v[3:4], v[3:4], v[126:127]
	v_add_f64 v[1:2], v[1:2], v[128:129]
	s_andn2_b32 exec_lo, exec_lo, s5
	s_cbranch_execnz .LBB120_233
; %bb.234:
	s_or_b32 exec_lo, exec_lo, s5
	v_mov_b32_e32 v7, 0
	ds_read_b128 v[126:129], v7 offset:880
	s_waitcnt lgkmcnt(0)
	v_mul_f64 v[7:8], v[1:2], v[128:129]
	v_mul_f64 v[123:124], v[3:4], v[128:129]
	v_fma_f64 v[3:4], v[3:4], v[126:127], -v[7:8]
	v_fma_f64 v[1:2], v[1:2], v[126:127], v[123:124]
	buffer_store_dword v4, off, s[0:3], 0 offset:900
	buffer_store_dword v3, off, s[0:3], 0 offset:896
	buffer_store_dword v2, off, s[0:3], 0 offset:908
	buffer_store_dword v1, off, s[0:3], 0 offset:904
.LBB120_235:
	s_or_b32 exec_lo, exec_lo, s4
	v_mov_b32_e32 v4, s8
	s_waitcnt_vscnt null, 0x0
	s_barrier
	buffer_gl0_inv
	s_mov_b32 s4, exec_lo
	s_clause 0x3
	buffer_load_dword v1, v4, s[0:3], 0 offen
	buffer_load_dword v2, v4, s[0:3], 0 offen offset:4
	buffer_load_dword v3, v4, s[0:3], 0 offen offset:8
	;; [unrolled: 1-line block ×3, first 2 shown]
	s_waitcnt vmcnt(0)
	ds_write_b128 v5, v[1:4]
	s_waitcnt lgkmcnt(0)
	s_barrier
	buffer_gl0_inv
	v_cmpx_ne_u32_e32 56, v0
	s_cbranch_execz .LBB120_239
; %bb.236:
	v_mov_b32_e32 v1, 0
	v_mov_b32_e32 v3, 0
	v_mov_b32_e32 v2, 0
	v_mov_b32_e32 v4, 0
	v_add_nc_u32_e32 v7, 16, v125
	s_mov_b32 s5, 0
	.p2align	6
.LBB120_237:                            ; =>This Inner Loop Header: Depth=1
	s_clause 0x3
	buffer_load_dword v127, v7, s[0:3], 0 offen offset:8
	buffer_load_dword v128, v7, s[0:3], 0 offen offset:12
	buffer_load_dword v129, v7, s[0:3], 0 offen
	buffer_load_dword v130, v7, s[0:3], 0 offen offset:4
	ds_read_b128 v[123:126], v5
	v_add_nc_u32_e32 v6, 1, v6
	v_add_nc_u32_e32 v5, 16, v5
	;; [unrolled: 1-line block ×3, first 2 shown]
	v_cmp_lt_u32_e32 vcc_lo, 54, v6
	s_or_b32 s5, vcc_lo, s5
	s_waitcnt vmcnt(2) lgkmcnt(0)
	v_mul_f64 v[131:132], v[125:126], v[127:128]
	v_mul_f64 v[127:128], v[123:124], v[127:128]
	s_waitcnt vmcnt(0)
	v_fma_f64 v[123:124], v[123:124], v[129:130], -v[131:132]
	v_fma_f64 v[125:126], v[125:126], v[129:130], v[127:128]
	v_add_f64 v[3:4], v[3:4], v[123:124]
	v_add_f64 v[1:2], v[1:2], v[125:126]
	s_andn2_b32 exec_lo, exec_lo, s5
	s_cbranch_execnz .LBB120_237
; %bb.238:
	s_or_b32 exec_lo, exec_lo, s5
	v_mov_b32_e32 v5, 0
	ds_read_b128 v[5:8], v5 offset:896
	s_waitcnt lgkmcnt(0)
	v_mul_f64 v[123:124], v[1:2], v[7:8]
	v_mul_f64 v[7:8], v[3:4], v[7:8]
	v_fma_f64 v[3:4], v[3:4], v[5:6], -v[123:124]
	v_fma_f64 v[1:2], v[1:2], v[5:6], v[7:8]
	buffer_store_dword v4, off, s[0:3], 0 offset:916
	buffer_store_dword v3, off, s[0:3], 0 offset:912
	;; [unrolled: 1-line block ×4, first 2 shown]
.LBB120_239:
	s_or_b32 exec_lo, exec_lo, s4
	s_mov_b32 s5, -1
	s_waitcnt_vscnt null, 0x0
	s_barrier
	buffer_gl0_inv
.LBB120_240:
	s_and_b32 vcc_lo, exec_lo, s5
	s_cbranch_vccz .LBB120_242
; %bb.241:
	s_lshl_b64 s[4:5], s[6:7], 2
	v_mov_b32_e32 v1, 0
	s_add_u32 s4, s10, s4
	s_addc_u32 s5, s11, s5
	global_load_dword v1, v1, s[4:5]
	s_waitcnt vmcnt(0)
	v_cmp_ne_u32_e32 vcc_lo, 0, v1
	s_cbranch_vccz .LBB120_243
.LBB120_242:
	s_endpgm
.LBB120_243:
	v_lshl_add_u32 v183, v0, 4, 0x390
	s_mov_b32 s4, exec_lo
	v_cmpx_eq_u32_e32 56, v0
	s_cbranch_execz .LBB120_245
; %bb.244:
	v_mov_b32_e32 v4, s9
	v_mov_b32_e32 v5, 0
	s_clause 0x3
	buffer_load_dword v1, v4, s[0:3], 0 offen
	buffer_load_dword v2, v4, s[0:3], 0 offen offset:4
	buffer_load_dword v3, v4, s[0:3], 0 offen offset:8
	buffer_load_dword v4, v4, s[0:3], 0 offen offset:12
	buffer_store_dword v5, off, s[0:3], 0 offset:896
	buffer_store_dword v5, off, s[0:3], 0 offset:900
	;; [unrolled: 1-line block ×4, first 2 shown]
	s_waitcnt vmcnt(0)
	ds_write_b128 v183, v[1:4]
.LBB120_245:
	s_or_b32 exec_lo, exec_lo, s4
	s_waitcnt lgkmcnt(0)
	s_waitcnt_vscnt null, 0x0
	s_barrier
	buffer_gl0_inv
	s_clause 0x7
	buffer_load_dword v6, off, s[0:3], 0 offset:920
	buffer_load_dword v7, off, s[0:3], 0 offset:924
	;; [unrolled: 1-line block ×8, first 2 shown]
	v_mov_b32_e32 v1, 0
	s_mov_b32 s4, exec_lo
	ds_read_b128 v[2:5], v1 offset:1808
	s_waitcnt vmcnt(6) lgkmcnt(0)
	v_mul_f64 v[129:130], v[4:5], v[6:7]
	v_mul_f64 v[6:7], v[2:3], v[6:7]
	s_waitcnt vmcnt(4)
	v_fma_f64 v[2:3], v[2:3], v[123:124], -v[129:130]
	v_fma_f64 v[4:5], v[4:5], v[123:124], v[6:7]
	v_add_f64 v[2:3], v[2:3], 0
	v_add_f64 v[4:5], v[4:5], 0
	s_waitcnt vmcnt(2)
	v_add_f64 v[2:3], v[125:126], -v[2:3]
	s_waitcnt vmcnt(0)
	v_add_f64 v[4:5], v[127:128], -v[4:5]
	buffer_store_dword v2, off, s[0:3], 0 offset:896
	buffer_store_dword v3, off, s[0:3], 0 offset:900
	;; [unrolled: 1-line block ×4, first 2 shown]
	v_cmpx_lt_u32_e32 54, v0
	s_cbranch_execz .LBB120_247
; %bb.246:
	v_mov_b32_e32 v5, s14
	s_clause 0x3
	buffer_load_dword v2, v5, s[0:3], 0 offen
	buffer_load_dword v3, v5, s[0:3], 0 offen offset:4
	buffer_load_dword v4, v5, s[0:3], 0 offen offset:8
	;; [unrolled: 1-line block ×3, first 2 shown]
	buffer_store_dword v1, off, s[0:3], 0 offset:880
	buffer_store_dword v1, off, s[0:3], 0 offset:884
	buffer_store_dword v1, off, s[0:3], 0 offset:888
	buffer_store_dword v1, off, s[0:3], 0 offset:892
	s_waitcnt vmcnt(0)
	ds_write_b128 v183, v[2:5]
.LBB120_247:
	s_or_b32 exec_lo, exec_lo, s4
	s_waitcnt lgkmcnt(0)
	s_waitcnt_vscnt null, 0x0
	s_barrier
	buffer_gl0_inv
	s_clause 0xb
	buffer_load_dword v6, off, s[0:3], 0 offset:904
	buffer_load_dword v7, off, s[0:3], 0 offset:908
	;; [unrolled: 1-line block ×12, first 2 shown]
	ds_read_b128 v[2:5], v1 offset:1792
	ds_read_b128 v[123:126], v1 offset:1808
	s_mov_b32 s4, exec_lo
	s_waitcnt vmcnt(10) lgkmcnt(1)
	v_mul_f64 v[137:138], v[4:5], v[6:7]
	v_mul_f64 v[6:7], v[2:3], v[6:7]
	s_waitcnt vmcnt(8) lgkmcnt(0)
	v_mul_f64 v[139:140], v[125:126], v[127:128]
	v_mul_f64 v[127:128], v[123:124], v[127:128]
	s_waitcnt vmcnt(6)
	v_fma_f64 v[1:2], v[2:3], v[129:130], -v[137:138]
	v_fma_f64 v[3:4], v[4:5], v[129:130], v[6:7]
	s_waitcnt vmcnt(4)
	v_fma_f64 v[5:6], v[123:124], v[131:132], -v[139:140]
	v_fma_f64 v[7:8], v[125:126], v[131:132], v[127:128]
	v_add_f64 v[1:2], v[1:2], 0
	v_add_f64 v[3:4], v[3:4], 0
	;; [unrolled: 1-line block ×4, first 2 shown]
	s_waitcnt vmcnt(2)
	v_add_f64 v[1:2], v[133:134], -v[1:2]
	s_waitcnt vmcnt(0)
	v_add_f64 v[3:4], v[135:136], -v[3:4]
	buffer_store_dword v1, off, s[0:3], 0 offset:880
	buffer_store_dword v2, off, s[0:3], 0 offset:884
	;; [unrolled: 1-line block ×4, first 2 shown]
	v_cmpx_lt_u32_e32 53, v0
	s_cbranch_execz .LBB120_249
; %bb.248:
	v_mov_b32_e32 v4, s15
	v_mov_b32_e32 v5, 0
	s_clause 0x3
	buffer_load_dword v1, v4, s[0:3], 0 offen
	buffer_load_dword v2, v4, s[0:3], 0 offen offset:4
	buffer_load_dword v3, v4, s[0:3], 0 offen offset:8
	;; [unrolled: 1-line block ×3, first 2 shown]
	buffer_store_dword v5, off, s[0:3], 0 offset:864
	buffer_store_dword v5, off, s[0:3], 0 offset:868
	;; [unrolled: 1-line block ×4, first 2 shown]
	s_waitcnt vmcnt(0)
	ds_write_b128 v183, v[1:4]
.LBB120_249:
	s_or_b32 exec_lo, exec_lo, s4
	s_waitcnt lgkmcnt(0)
	s_waitcnt_vscnt null, 0x0
	s_barrier
	buffer_gl0_inv
	s_clause 0xf
	buffer_load_dword v6, off, s[0:3], 0 offset:888
	buffer_load_dword v7, off, s[0:3], 0 offset:892
	buffer_load_dword v131, off, s[0:3], 0 offset:904
	buffer_load_dword v132, off, s[0:3], 0 offset:908
	buffer_load_dword v133, off, s[0:3], 0 offset:880
	buffer_load_dword v134, off, s[0:3], 0 offset:884
	buffer_load_dword v135, off, s[0:3], 0 offset:920
	buffer_load_dword v136, off, s[0:3], 0 offset:924
	buffer_load_dword v137, off, s[0:3], 0 offset:896
	buffer_load_dword v138, off, s[0:3], 0 offset:900
	buffer_load_dword v139, off, s[0:3], 0 offset:912
	buffer_load_dword v140, off, s[0:3], 0 offset:916
	buffer_load_dword v141, off, s[0:3], 0 offset:864
	buffer_load_dword v142, off, s[0:3], 0 offset:868
	buffer_load_dword v143, off, s[0:3], 0 offset:872
	buffer_load_dword v144, off, s[0:3], 0 offset:876
	v_mov_b32_e32 v1, 0
	ds_read_b128 v[2:5], v1 offset:1776
	ds_read_b128 v[123:126], v1 offset:1792
	;; [unrolled: 1-line block ×3, first 2 shown]
	s_mov_b32 s4, exec_lo
	s_waitcnt vmcnt(14) lgkmcnt(2)
	v_mul_f64 v[145:146], v[4:5], v[6:7]
	v_mul_f64 v[6:7], v[2:3], v[6:7]
	s_waitcnt vmcnt(12) lgkmcnt(1)
	v_mul_f64 v[147:148], v[125:126], v[131:132]
	v_mul_f64 v[131:132], v[123:124], v[131:132]
	s_waitcnt vmcnt(10)
	v_fma_f64 v[2:3], v[2:3], v[133:134], -v[145:146]
	v_fma_f64 v[4:5], v[4:5], v[133:134], v[6:7]
	s_waitcnt vmcnt(8) lgkmcnt(0)
	v_mul_f64 v[133:134], v[129:130], v[135:136]
	s_waitcnt vmcnt(6)
	v_fma_f64 v[123:124], v[123:124], v[137:138], -v[147:148]
	v_mul_f64 v[6:7], v[127:128], v[135:136]
	v_fma_f64 v[125:126], v[125:126], v[137:138], v[131:132]
	v_add_f64 v[2:3], v[2:3], 0
	v_add_f64 v[4:5], v[4:5], 0
	s_waitcnt vmcnt(4)
	v_fma_f64 v[127:128], v[127:128], v[139:140], -v[133:134]
	v_fma_f64 v[6:7], v[129:130], v[139:140], v[6:7]
	v_add_f64 v[2:3], v[2:3], v[123:124]
	v_add_f64 v[4:5], v[4:5], v[125:126]
	;; [unrolled: 1-line block ×4, first 2 shown]
	s_waitcnt vmcnt(2)
	v_add_f64 v[2:3], v[141:142], -v[2:3]
	s_waitcnt vmcnt(0)
	v_add_f64 v[4:5], v[143:144], -v[4:5]
	buffer_store_dword v2, off, s[0:3], 0 offset:864
	buffer_store_dword v3, off, s[0:3], 0 offset:868
	;; [unrolled: 1-line block ×4, first 2 shown]
	v_cmpx_lt_u32_e32 52, v0
	s_cbranch_execz .LBB120_251
; %bb.250:
	v_mov_b32_e32 v5, s16
	s_clause 0x3
	buffer_load_dword v2, v5, s[0:3], 0 offen
	buffer_load_dword v3, v5, s[0:3], 0 offen offset:4
	buffer_load_dword v4, v5, s[0:3], 0 offen offset:8
	;; [unrolled: 1-line block ×3, first 2 shown]
	buffer_store_dword v1, off, s[0:3], 0 offset:848
	buffer_store_dword v1, off, s[0:3], 0 offset:852
	;; [unrolled: 1-line block ×4, first 2 shown]
	s_waitcnt vmcnt(0)
	ds_write_b128 v183, v[2:5]
.LBB120_251:
	s_or_b32 exec_lo, exec_lo, s4
	s_waitcnt lgkmcnt(0)
	s_waitcnt_vscnt null, 0x0
	s_barrier
	buffer_gl0_inv
	s_clause 0x13
	buffer_load_dword v6, off, s[0:3], 0 offset:872
	buffer_load_dword v7, off, s[0:3], 0 offset:876
	;; [unrolled: 1-line block ×20, first 2 shown]
	ds_read_b128 v[2:5], v1 offset:1760
	ds_read_b128 v[123:126], v1 offset:1776
	ds_read_b128 v[127:130], v1 offset:1792
	s_mov_b32 s4, exec_lo
	s_waitcnt vmcnt(18) lgkmcnt(2)
	v_mul_f64 v[149:150], v[4:5], v[6:7]
	v_mul_f64 v[6:7], v[2:3], v[6:7]
	s_waitcnt vmcnt(16) lgkmcnt(1)
	v_mul_f64 v[151:152], v[125:126], v[131:132]
	v_mul_f64 v[131:132], v[123:124], v[131:132]
	s_waitcnt vmcnt(14)
	v_fma_f64 v[149:150], v[2:3], v[133:134], -v[149:150]
	v_fma_f64 v[5:6], v[4:5], v[133:134], v[6:7]
	s_waitcnt vmcnt(12) lgkmcnt(0)
	v_mul_f64 v[7:8], v[127:128], v[135:136]
	v_mul_f64 v[133:134], v[129:130], v[135:136]
	s_waitcnt vmcnt(10)
	v_fma_f64 v[123:124], v[123:124], v[137:138], -v[151:152]
	ds_read_b128 v[1:4], v1 offset:1808
	v_fma_f64 v[125:126], v[125:126], v[137:138], v[131:132]
	v_add_f64 v[135:136], v[149:150], 0
	v_add_f64 v[5:6], v[5:6], 0
	s_waitcnt vmcnt(6)
	v_fma_f64 v[7:8], v[129:130], v[141:142], v[7:8]
	s_waitcnt lgkmcnt(0)
	v_mul_f64 v[137:138], v[3:4], v[139:140]
	v_fma_f64 v[127:128], v[127:128], v[141:142], -v[133:134]
	v_mul_f64 v[131:132], v[1:2], v[139:140]
	v_add_f64 v[123:124], v[135:136], v[123:124]
	v_add_f64 v[5:6], v[5:6], v[125:126]
	s_waitcnt vmcnt(4)
	v_fma_f64 v[1:2], v[1:2], v[143:144], -v[137:138]
	v_fma_f64 v[3:4], v[3:4], v[143:144], v[131:132]
	v_add_f64 v[123:124], v[123:124], v[127:128]
	v_add_f64 v[5:6], v[5:6], v[7:8]
	;; [unrolled: 1-line block ×4, first 2 shown]
	s_waitcnt vmcnt(2)
	v_add_f64 v[1:2], v[145:146], -v[1:2]
	s_waitcnt vmcnt(0)
	v_add_f64 v[3:4], v[147:148], -v[3:4]
	buffer_store_dword v1, off, s[0:3], 0 offset:848
	buffer_store_dword v2, off, s[0:3], 0 offset:852
	;; [unrolled: 1-line block ×4, first 2 shown]
	v_cmpx_lt_u32_e32 51, v0
	s_cbranch_execz .LBB120_253
; %bb.252:
	v_mov_b32_e32 v4, s17
	v_mov_b32_e32 v5, 0
	s_clause 0x3
	buffer_load_dword v1, v4, s[0:3], 0 offen
	buffer_load_dword v2, v4, s[0:3], 0 offen offset:4
	buffer_load_dword v3, v4, s[0:3], 0 offen offset:8
	buffer_load_dword v4, v4, s[0:3], 0 offen offset:12
	buffer_store_dword v5, off, s[0:3], 0 offset:832
	buffer_store_dword v5, off, s[0:3], 0 offset:836
	;; [unrolled: 1-line block ×4, first 2 shown]
	s_waitcnt vmcnt(0)
	ds_write_b128 v183, v[1:4]
.LBB120_253:
	s_or_b32 exec_lo, exec_lo, s4
	s_waitcnt lgkmcnt(0)
	s_waitcnt_vscnt null, 0x0
	s_barrier
	buffer_gl0_inv
	s_clause 0x17
	buffer_load_dword v6, off, s[0:3], 0 offset:856
	buffer_load_dword v7, off, s[0:3], 0 offset:860
	;; [unrolled: 1-line block ×24, first 2 shown]
	v_mov_b32_e32 v1, 0
	ds_read_b128 v[2:5], v1 offset:1744
	ds_read_b128 v[123:126], v1 offset:1760
	ds_read_b128 v[127:130], v1 offset:1776
	s_mov_b32 s4, exec_lo
	s_waitcnt vmcnt(22) lgkmcnt(2)
	v_mul_f64 v[153:154], v[4:5], v[6:7]
	v_mul_f64 v[6:7], v[2:3], v[6:7]
	s_waitcnt vmcnt(20) lgkmcnt(1)
	v_mul_f64 v[155:156], v[125:126], v[131:132]
	v_mul_f64 v[131:132], v[123:124], v[131:132]
	s_waitcnt vmcnt(18)
	v_fma_f64 v[153:154], v[2:3], v[133:134], -v[153:154]
	v_fma_f64 v[6:7], v[4:5], v[133:134], v[6:7]
	ds_read_b128 v[2:5], v1 offset:1792
	s_waitcnt vmcnt(16) lgkmcnt(1)
	v_mul_f64 v[133:134], v[127:128], v[135:136]
	v_mul_f64 v[135:136], v[129:130], v[135:136]
	s_waitcnt vmcnt(14)
	v_fma_f64 v[155:156], v[123:124], v[137:138], -v[155:156]
	v_fma_f64 v[131:132], v[125:126], v[137:138], v[131:132]
	ds_read_b128 v[123:126], v1 offset:1808
	s_waitcnt vmcnt(10) lgkmcnt(1)
	v_mul_f64 v[137:138], v[2:3], v[139:140]
	v_add_f64 v[153:154], v[153:154], 0
	v_add_f64 v[6:7], v[6:7], 0
	v_mul_f64 v[139:140], v[4:5], v[139:140]
	s_waitcnt vmcnt(8)
	v_fma_f64 v[127:128], v[127:128], v[145:146], -v[135:136]
	v_fma_f64 v[129:130], v[129:130], v[145:146], v[133:134]
	s_waitcnt vmcnt(7) lgkmcnt(0)
	v_mul_f64 v[133:134], v[125:126], v[141:142]
	s_waitcnt vmcnt(5)
	v_fma_f64 v[4:5], v[4:5], v[147:148], v[137:138]
	v_add_f64 v[135:136], v[153:154], v[155:156]
	v_add_f64 v[6:7], v[6:7], v[131:132]
	v_fma_f64 v[2:3], v[2:3], v[147:148], -v[139:140]
	v_mul_f64 v[131:132], v[123:124], v[141:142]
	s_waitcnt vmcnt(4)
	v_fma_f64 v[123:124], v[123:124], v[143:144], -v[133:134]
	v_add_f64 v[127:128], v[135:136], v[127:128]
	v_add_f64 v[6:7], v[6:7], v[129:130]
	v_fma_f64 v[125:126], v[125:126], v[143:144], v[131:132]
	v_add_f64 v[2:3], v[127:128], v[2:3]
	v_add_f64 v[4:5], v[6:7], v[4:5]
	;; [unrolled: 1-line block ×4, first 2 shown]
	s_waitcnt vmcnt(2)
	v_add_f64 v[2:3], v[149:150], -v[2:3]
	s_waitcnt vmcnt(0)
	v_add_f64 v[4:5], v[151:152], -v[4:5]
	buffer_store_dword v3, off, s[0:3], 0 offset:836
	buffer_store_dword v2, off, s[0:3], 0 offset:832
	;; [unrolled: 1-line block ×4, first 2 shown]
	v_cmpx_lt_u32_e32 50, v0
	s_cbranch_execz .LBB120_255
; %bb.254:
	v_mov_b32_e32 v5, s18
	s_clause 0x3
	buffer_load_dword v2, v5, s[0:3], 0 offen
	buffer_load_dword v3, v5, s[0:3], 0 offen offset:4
	buffer_load_dword v4, v5, s[0:3], 0 offen offset:8
	;; [unrolled: 1-line block ×3, first 2 shown]
	buffer_store_dword v1, off, s[0:3], 0 offset:816
	buffer_store_dword v1, off, s[0:3], 0 offset:820
	;; [unrolled: 1-line block ×4, first 2 shown]
	s_waitcnt vmcnt(0)
	ds_write_b128 v183, v[2:5]
.LBB120_255:
	s_or_b32 exec_lo, exec_lo, s4
	s_waitcnt lgkmcnt(0)
	s_waitcnt_vscnt null, 0x0
	s_barrier
	buffer_gl0_inv
	s_clause 0x1b
	buffer_load_dword v6, off, s[0:3], 0 offset:840
	buffer_load_dword v7, off, s[0:3], 0 offset:844
	;; [unrolled: 1-line block ×28, first 2 shown]
	ds_read_b128 v[2:5], v1 offset:1728
	ds_read_b128 v[123:126], v1 offset:1744
	ds_read_b128 v[127:130], v1 offset:1760
	s_mov_b32 s4, exec_lo
	s_waitcnt vmcnt(26) lgkmcnt(2)
	v_mul_f64 v[157:158], v[4:5], v[6:7]
	v_mul_f64 v[6:7], v[2:3], v[6:7]
	s_waitcnt vmcnt(24) lgkmcnt(1)
	v_mul_f64 v[159:160], v[125:126], v[131:132]
	v_mul_f64 v[131:132], v[123:124], v[131:132]
	s_waitcnt vmcnt(22)
	v_fma_f64 v[157:158], v[2:3], v[133:134], -v[157:158]
	v_fma_f64 v[6:7], v[4:5], v[133:134], v[6:7]
	ds_read_b128 v[2:5], v1 offset:1776
	s_waitcnt vmcnt(20) lgkmcnt(1)
	v_mul_f64 v[133:134], v[127:128], v[135:136]
	v_mul_f64 v[135:136], v[129:130], v[135:136]
	s_waitcnt vmcnt(18)
	v_fma_f64 v[159:160], v[123:124], v[137:138], -v[159:160]
	v_fma_f64 v[131:132], v[125:126], v[137:138], v[131:132]
	ds_read_b128 v[123:126], v1 offset:1792
	s_waitcnt vmcnt(14) lgkmcnt(1)
	v_mul_f64 v[137:138], v[2:3], v[139:140]
	v_add_f64 v[157:158], v[157:158], 0
	v_add_f64 v[6:7], v[6:7], 0
	v_mul_f64 v[139:140], v[4:5], v[139:140]
	s_waitcnt vmcnt(12)
	v_fma_f64 v[135:136], v[127:128], v[145:146], -v[135:136]
	v_fma_f64 v[133:134], v[129:130], v[145:146], v[133:134]
	ds_read_b128 v[127:130], v1 offset:1808
	v_add_f64 v[157:158], v[157:158], v[159:160]
	v_add_f64 v[6:7], v[6:7], v[131:132]
	s_waitcnt vmcnt(11) lgkmcnt(1)
	v_mul_f64 v[131:132], v[123:124], v[141:142]
	v_mul_f64 v[141:142], v[125:126], v[141:142]
	s_waitcnt vmcnt(9)
	v_fma_f64 v[1:2], v[2:3], v[147:148], -v[139:140]
	v_fma_f64 v[3:4], v[4:5], v[147:148], v[137:138]
	v_add_f64 v[135:136], v[157:158], v[135:136]
	v_add_f64 v[5:6], v[6:7], v[133:134]
	s_waitcnt vmcnt(7) lgkmcnt(0)
	v_mul_f64 v[133:134], v[129:130], v[149:150]
	s_waitcnt vmcnt(6)
	v_fma_f64 v[123:124], v[123:124], v[143:144], -v[141:142]
	v_mul_f64 v[7:8], v[127:128], v[149:150]
	v_fma_f64 v[125:126], v[125:126], v[143:144], v[131:132]
	v_add_f64 v[1:2], v[135:136], v[1:2]
	v_add_f64 v[3:4], v[5:6], v[3:4]
	s_waitcnt vmcnt(4)
	v_fma_f64 v[5:6], v[127:128], v[151:152], -v[133:134]
	v_fma_f64 v[7:8], v[129:130], v[151:152], v[7:8]
	v_add_f64 v[1:2], v[1:2], v[123:124]
	v_add_f64 v[3:4], v[3:4], v[125:126]
	;; [unrolled: 1-line block ×4, first 2 shown]
	s_waitcnt vmcnt(2)
	v_add_f64 v[1:2], v[153:154], -v[1:2]
	s_waitcnt vmcnt(0)
	v_add_f64 v[3:4], v[155:156], -v[3:4]
	buffer_store_dword v2, off, s[0:3], 0 offset:820
	buffer_store_dword v1, off, s[0:3], 0 offset:816
	;; [unrolled: 1-line block ×4, first 2 shown]
	v_cmpx_lt_u32_e32 49, v0
	s_cbranch_execz .LBB120_257
; %bb.256:
	v_mov_b32_e32 v4, s19
	v_mov_b32_e32 v5, 0
	s_clause 0x3
	buffer_load_dword v1, v4, s[0:3], 0 offen
	buffer_load_dword v2, v4, s[0:3], 0 offen offset:4
	buffer_load_dword v3, v4, s[0:3], 0 offen offset:8
	;; [unrolled: 1-line block ×3, first 2 shown]
	buffer_store_dword v5, off, s[0:3], 0 offset:800
	buffer_store_dword v5, off, s[0:3], 0 offset:804
	;; [unrolled: 1-line block ×4, first 2 shown]
	s_waitcnt vmcnt(0)
	ds_write_b128 v183, v[1:4]
.LBB120_257:
	s_or_b32 exec_lo, exec_lo, s4
	s_waitcnt lgkmcnt(0)
	s_waitcnt_vscnt null, 0x0
	s_barrier
	buffer_gl0_inv
	s_clause 0x1f
	buffer_load_dword v6, off, s[0:3], 0 offset:824
	buffer_load_dword v7, off, s[0:3], 0 offset:828
	;; [unrolled: 1-line block ×32, first 2 shown]
	v_mov_b32_e32 v1, 0
	ds_read_b128 v[2:5], v1 offset:1712
	ds_read_b128 v[123:126], v1 offset:1728
	;; [unrolled: 1-line block ×3, first 2 shown]
	s_mov_b32 s4, exec_lo
	s_waitcnt vmcnt(30) lgkmcnt(2)
	v_mul_f64 v[161:162], v[4:5], v[6:7]
	v_mul_f64 v[6:7], v[2:3], v[6:7]
	s_waitcnt vmcnt(28) lgkmcnt(1)
	v_mul_f64 v[163:164], v[125:126], v[131:132]
	v_mul_f64 v[131:132], v[123:124], v[131:132]
	s_waitcnt vmcnt(26)
	v_fma_f64 v[161:162], v[2:3], v[133:134], -v[161:162]
	v_fma_f64 v[6:7], v[4:5], v[133:134], v[6:7]
	ds_read_b128 v[2:5], v1 offset:1760
	s_waitcnt vmcnt(24) lgkmcnt(1)
	v_mul_f64 v[133:134], v[127:128], v[135:136]
	v_mul_f64 v[135:136], v[129:130], v[135:136]
	s_waitcnt vmcnt(22)
	v_fma_f64 v[163:164], v[123:124], v[137:138], -v[163:164]
	v_fma_f64 v[131:132], v[125:126], v[137:138], v[131:132]
	ds_read_b128 v[123:126], v1 offset:1776
	s_waitcnt vmcnt(18) lgkmcnt(1)
	v_mul_f64 v[137:138], v[2:3], v[139:140]
	v_add_f64 v[161:162], v[161:162], 0
	v_add_f64 v[6:7], v[6:7], 0
	v_mul_f64 v[139:140], v[4:5], v[139:140]
	s_waitcnt vmcnt(16)
	v_fma_f64 v[135:136], v[127:128], v[145:146], -v[135:136]
	v_fma_f64 v[133:134], v[129:130], v[145:146], v[133:134]
	ds_read_b128 v[127:130], v1 offset:1792
	s_waitcnt vmcnt(13)
	v_fma_f64 v[137:138], v[4:5], v[147:148], v[137:138]
	v_add_f64 v[161:162], v[161:162], v[163:164]
	v_add_f64 v[6:7], v[6:7], v[131:132]
	s_waitcnt lgkmcnt(1)
	v_mul_f64 v[131:132], v[123:124], v[141:142]
	v_mul_f64 v[141:142], v[125:126], v[141:142]
	v_fma_f64 v[139:140], v[2:3], v[147:148], -v[139:140]
	s_waitcnt vmcnt(9) lgkmcnt(0)
	v_mul_f64 v[145:146], v[129:130], v[149:150]
	ds_read_b128 v[2:5], v1 offset:1808
	v_add_f64 v[135:136], v[161:162], v[135:136]
	v_add_f64 v[6:7], v[6:7], v[133:134]
	v_mul_f64 v[133:134], v[127:128], v[149:150]
	s_waitcnt vmcnt(8)
	v_fma_f64 v[123:124], v[123:124], v[143:144], -v[141:142]
	v_fma_f64 v[125:126], v[125:126], v[143:144], v[131:132]
	s_waitcnt vmcnt(5)
	v_fma_f64 v[127:128], v[127:128], v[155:156], -v[145:146]
	s_waitcnt lgkmcnt(0)
	v_mul_f64 v[131:132], v[2:3], v[151:152]
	v_add_f64 v[135:136], v[135:136], v[139:140]
	v_add_f64 v[6:7], v[6:7], v[137:138]
	v_mul_f64 v[137:138], v[4:5], v[151:152]
	v_fma_f64 v[129:130], v[129:130], v[155:156], v[133:134]
	s_waitcnt vmcnt(4)
	v_fma_f64 v[4:5], v[4:5], v[153:154], v[131:132]
	v_add_f64 v[123:124], v[135:136], v[123:124]
	v_add_f64 v[6:7], v[6:7], v[125:126]
	v_fma_f64 v[2:3], v[2:3], v[153:154], -v[137:138]
	v_add_f64 v[123:124], v[123:124], v[127:128]
	v_add_f64 v[6:7], v[6:7], v[129:130]
	v_add_f64 v[2:3], v[123:124], v[2:3]
	v_add_f64 v[4:5], v[6:7], v[4:5]
	s_waitcnt vmcnt(2)
	v_add_f64 v[2:3], v[157:158], -v[2:3]
	s_waitcnt vmcnt(0)
	v_add_f64 v[4:5], v[159:160], -v[4:5]
	buffer_store_dword v3, off, s[0:3], 0 offset:804
	buffer_store_dword v2, off, s[0:3], 0 offset:800
	;; [unrolled: 1-line block ×4, first 2 shown]
	v_cmpx_lt_u32_e32 48, v0
	s_cbranch_execz .LBB120_259
; %bb.258:
	v_mov_b32_e32 v5, s20
	s_clause 0x3
	buffer_load_dword v2, v5, s[0:3], 0 offen
	buffer_load_dword v3, v5, s[0:3], 0 offen offset:4
	buffer_load_dword v4, v5, s[0:3], 0 offen offset:8
	;; [unrolled: 1-line block ×3, first 2 shown]
	buffer_store_dword v1, off, s[0:3], 0 offset:784
	buffer_store_dword v1, off, s[0:3], 0 offset:788
	;; [unrolled: 1-line block ×4, first 2 shown]
	s_waitcnt vmcnt(0)
	ds_write_b128 v183, v[2:5]
.LBB120_259:
	s_or_b32 exec_lo, exec_lo, s4
	s_waitcnt lgkmcnt(0)
	s_waitcnt_vscnt null, 0x0
	s_barrier
	buffer_gl0_inv
	s_clause 0x23
	buffer_load_dword v6, off, s[0:3], 0 offset:808
	buffer_load_dword v7, off, s[0:3], 0 offset:812
	;; [unrolled: 1-line block ×36, first 2 shown]
	ds_read_b128 v[2:5], v1 offset:1696
	ds_read_b128 v[123:126], v1 offset:1712
	ds_read_b128 v[127:130], v1 offset:1728
	s_mov_b32 s4, exec_lo
	s_waitcnt vmcnt(34) lgkmcnt(2)
	v_mul_f64 v[165:166], v[4:5], v[6:7]
	v_mul_f64 v[6:7], v[2:3], v[6:7]
	s_waitcnt vmcnt(32) lgkmcnt(1)
	v_mul_f64 v[167:168], v[125:126], v[131:132]
	v_mul_f64 v[131:132], v[123:124], v[131:132]
	s_waitcnt vmcnt(30)
	v_fma_f64 v[165:166], v[2:3], v[133:134], -v[165:166]
	v_fma_f64 v[6:7], v[4:5], v[133:134], v[6:7]
	ds_read_b128 v[2:5], v1 offset:1744
	s_waitcnt vmcnt(28) lgkmcnt(1)
	v_mul_f64 v[133:134], v[127:128], v[135:136]
	v_mul_f64 v[135:136], v[129:130], v[135:136]
	s_waitcnt vmcnt(26)
	v_fma_f64 v[167:168], v[123:124], v[137:138], -v[167:168]
	v_fma_f64 v[131:132], v[125:126], v[137:138], v[131:132]
	ds_read_b128 v[123:126], v1 offset:1760
	s_waitcnt vmcnt(22) lgkmcnt(1)
	v_mul_f64 v[137:138], v[2:3], v[139:140]
	v_add_f64 v[165:166], v[165:166], 0
	v_add_f64 v[6:7], v[6:7], 0
	v_mul_f64 v[139:140], v[4:5], v[139:140]
	s_waitcnt vmcnt(20)
	v_fma_f64 v[135:136], v[127:128], v[145:146], -v[135:136]
	v_fma_f64 v[133:134], v[129:130], v[145:146], v[133:134]
	ds_read_b128 v[127:130], v1 offset:1776
	s_waitcnt vmcnt(17)
	v_fma_f64 v[137:138], v[4:5], v[147:148], v[137:138]
	v_add_f64 v[165:166], v[165:166], v[167:168]
	v_add_f64 v[6:7], v[6:7], v[131:132]
	s_waitcnt lgkmcnt(1)
	v_mul_f64 v[131:132], v[123:124], v[141:142]
	v_mul_f64 v[141:142], v[125:126], v[141:142]
	v_fma_f64 v[139:140], v[2:3], v[147:148], -v[139:140]
	s_waitcnt vmcnt(13) lgkmcnt(0)
	v_mul_f64 v[145:146], v[129:130], v[149:150]
	ds_read_b128 v[2:5], v1 offset:1792
	v_add_f64 v[135:136], v[165:166], v[135:136]
	v_add_f64 v[6:7], v[6:7], v[133:134]
	v_mul_f64 v[133:134], v[127:128], v[149:150]
	s_waitcnt vmcnt(12)
	v_fma_f64 v[141:142], v[123:124], v[143:144], -v[141:142]
	v_fma_f64 v[131:132], v[125:126], v[143:144], v[131:132]
	ds_read_b128 v[123:126], v1 offset:1808
	s_waitcnt vmcnt(9)
	v_fma_f64 v[127:128], v[127:128], v[155:156], -v[145:146]
	v_add_f64 v[135:136], v[135:136], v[139:140]
	v_add_f64 v[6:7], v[6:7], v[137:138]
	s_waitcnt lgkmcnt(1)
	v_mul_f64 v[139:140], v[4:5], v[151:152]
	v_mul_f64 v[137:138], v[2:3], v[151:152]
	v_fma_f64 v[129:130], v[129:130], v[155:156], v[133:134]
	s_waitcnt vmcnt(7) lgkmcnt(0)
	v_mul_f64 v[133:134], v[125:126], v[157:158]
	v_add_f64 v[135:136], v[135:136], v[141:142]
	v_add_f64 v[6:7], v[6:7], v[131:132]
	s_waitcnt vmcnt(6)
	v_fma_f64 v[1:2], v[2:3], v[153:154], -v[139:140]
	v_mul_f64 v[131:132], v[123:124], v[157:158]
	v_fma_f64 v[3:4], v[4:5], v[153:154], v[137:138]
	v_add_f64 v[127:128], v[135:136], v[127:128]
	v_add_f64 v[5:6], v[6:7], v[129:130]
	s_waitcnt vmcnt(4)
	v_fma_f64 v[7:8], v[123:124], v[159:160], -v[133:134]
	v_fma_f64 v[123:124], v[125:126], v[159:160], v[131:132]
	v_add_f64 v[1:2], v[127:128], v[1:2]
	v_add_f64 v[3:4], v[5:6], v[3:4]
	;; [unrolled: 1-line block ×4, first 2 shown]
	s_waitcnt vmcnt(2)
	v_add_f64 v[1:2], v[161:162], -v[1:2]
	s_waitcnt vmcnt(0)
	v_add_f64 v[3:4], v[163:164], -v[3:4]
	buffer_store_dword v2, off, s[0:3], 0 offset:788
	buffer_store_dword v1, off, s[0:3], 0 offset:784
	;; [unrolled: 1-line block ×4, first 2 shown]
	v_cmpx_lt_u32_e32 47, v0
	s_cbranch_execz .LBB120_261
; %bb.260:
	v_mov_b32_e32 v4, s21
	v_mov_b32_e32 v5, 0
	s_clause 0x3
	buffer_load_dword v1, v4, s[0:3], 0 offen
	buffer_load_dword v2, v4, s[0:3], 0 offen offset:4
	buffer_load_dword v3, v4, s[0:3], 0 offen offset:8
	;; [unrolled: 1-line block ×3, first 2 shown]
	buffer_store_dword v5, off, s[0:3], 0 offset:768
	buffer_store_dword v5, off, s[0:3], 0 offset:772
	;; [unrolled: 1-line block ×4, first 2 shown]
	s_waitcnt vmcnt(0)
	ds_write_b128 v183, v[1:4]
.LBB120_261:
	s_or_b32 exec_lo, exec_lo, s4
	s_waitcnt lgkmcnt(0)
	s_waitcnt_vscnt null, 0x0
	s_barrier
	buffer_gl0_inv
	s_clause 0x27
	buffer_load_dword v6, off, s[0:3], 0 offset:792
	buffer_load_dword v7, off, s[0:3], 0 offset:796
	;; [unrolled: 1-line block ×40, first 2 shown]
	v_mov_b32_e32 v1, 0
	ds_read_b128 v[2:5], v1 offset:1680
	ds_read_b128 v[123:126], v1 offset:1696
	;; [unrolled: 1-line block ×3, first 2 shown]
	s_mov_b32 s4, exec_lo
	s_waitcnt vmcnt(38) lgkmcnt(2)
	v_mul_f64 v[169:170], v[4:5], v[6:7]
	v_mul_f64 v[6:7], v[2:3], v[6:7]
	s_waitcnt vmcnt(36) lgkmcnt(1)
	v_mul_f64 v[171:172], v[125:126], v[131:132]
	v_mul_f64 v[131:132], v[123:124], v[131:132]
	s_waitcnt vmcnt(34)
	v_fma_f64 v[169:170], v[2:3], v[133:134], -v[169:170]
	v_fma_f64 v[6:7], v[4:5], v[133:134], v[6:7]
	ds_read_b128 v[2:5], v1 offset:1728
	s_waitcnt vmcnt(32) lgkmcnt(1)
	v_mul_f64 v[133:134], v[127:128], v[135:136]
	v_mul_f64 v[135:136], v[129:130], v[135:136]
	s_waitcnt vmcnt(30)
	v_fma_f64 v[171:172], v[123:124], v[137:138], -v[171:172]
	v_fma_f64 v[131:132], v[125:126], v[137:138], v[131:132]
	ds_read_b128 v[123:126], v1 offset:1744
	s_waitcnt vmcnt(26) lgkmcnt(1)
	v_mul_f64 v[137:138], v[2:3], v[139:140]
	v_add_f64 v[169:170], v[169:170], 0
	v_add_f64 v[6:7], v[6:7], 0
	v_mul_f64 v[139:140], v[4:5], v[139:140]
	s_waitcnt vmcnt(24)
	v_fma_f64 v[135:136], v[127:128], v[145:146], -v[135:136]
	v_fma_f64 v[133:134], v[129:130], v[145:146], v[133:134]
	ds_read_b128 v[127:130], v1 offset:1760
	s_waitcnt vmcnt(21)
	v_fma_f64 v[137:138], v[4:5], v[147:148], v[137:138]
	v_add_f64 v[169:170], v[169:170], v[171:172]
	v_add_f64 v[6:7], v[6:7], v[131:132]
	s_waitcnt lgkmcnt(1)
	v_mul_f64 v[131:132], v[123:124], v[141:142]
	v_mul_f64 v[141:142], v[125:126], v[141:142]
	v_fma_f64 v[139:140], v[2:3], v[147:148], -v[139:140]
	s_waitcnt vmcnt(17) lgkmcnt(0)
	v_mul_f64 v[145:146], v[129:130], v[149:150]
	ds_read_b128 v[2:5], v1 offset:1776
	v_add_f64 v[135:136], v[169:170], v[135:136]
	v_add_f64 v[6:7], v[6:7], v[133:134]
	v_mul_f64 v[133:134], v[127:128], v[149:150]
	s_waitcnt vmcnt(16)
	v_fma_f64 v[141:142], v[123:124], v[143:144], -v[141:142]
	v_fma_f64 v[131:132], v[125:126], v[143:144], v[131:132]
	ds_read_b128 v[123:126], v1 offset:1792
	s_waitcnt vmcnt(13)
	v_fma_f64 v[143:144], v[127:128], v[155:156], -v[145:146]
	v_add_f64 v[135:136], v[135:136], v[139:140]
	v_add_f64 v[6:7], v[6:7], v[137:138]
	s_waitcnt lgkmcnt(1)
	v_mul_f64 v[139:140], v[4:5], v[151:152]
	v_mul_f64 v[137:138], v[2:3], v[151:152]
	v_fma_f64 v[133:134], v[129:130], v[155:156], v[133:134]
	ds_read_b128 v[127:130], v1 offset:1808
	v_add_f64 v[135:136], v[135:136], v[141:142]
	v_add_f64 v[6:7], v[6:7], v[131:132]
	s_waitcnt vmcnt(9) lgkmcnt(1)
	v_mul_f64 v[141:142], v[125:126], v[157:158]
	s_waitcnt vmcnt(8)
	v_fma_f64 v[2:3], v[2:3], v[153:154], -v[139:140]
	v_mul_f64 v[131:132], v[123:124], v[157:158]
	v_fma_f64 v[4:5], v[4:5], v[153:154], v[137:138]
	s_waitcnt vmcnt(7) lgkmcnt(0)
	v_mul_f64 v[137:138], v[129:130], v[159:160]
	v_add_f64 v[135:136], v[135:136], v[143:144]
	v_add_f64 v[6:7], v[6:7], v[133:134]
	s_waitcnt vmcnt(5)
	v_fma_f64 v[123:124], v[123:124], v[163:164], -v[141:142]
	v_mul_f64 v[133:134], v[127:128], v[159:160]
	v_fma_f64 v[125:126], v[125:126], v[163:164], v[131:132]
	v_add_f64 v[2:3], v[135:136], v[2:3]
	v_add_f64 v[4:5], v[6:7], v[4:5]
	s_waitcnt vmcnt(4)
	v_fma_f64 v[6:7], v[127:128], v[161:162], -v[137:138]
	v_add_f64 v[2:3], v[2:3], v[123:124]
	v_fma_f64 v[123:124], v[129:130], v[161:162], v[133:134]
	v_add_f64 v[4:5], v[4:5], v[125:126]
	v_add_f64 v[2:3], v[2:3], v[6:7]
	v_add_f64 v[4:5], v[4:5], v[123:124]
	s_waitcnt vmcnt(2)
	v_add_f64 v[2:3], v[165:166], -v[2:3]
	s_waitcnt vmcnt(0)
	v_add_f64 v[4:5], v[167:168], -v[4:5]
	buffer_store_dword v3, off, s[0:3], 0 offset:772
	buffer_store_dword v2, off, s[0:3], 0 offset:768
	;; [unrolled: 1-line block ×4, first 2 shown]
	v_cmpx_lt_u32_e32 46, v0
	s_cbranch_execz .LBB120_263
; %bb.262:
	v_mov_b32_e32 v5, s22
	s_clause 0x3
	buffer_load_dword v2, v5, s[0:3], 0 offen
	buffer_load_dword v3, v5, s[0:3], 0 offen offset:4
	buffer_load_dword v4, v5, s[0:3], 0 offen offset:8
	;; [unrolled: 1-line block ×3, first 2 shown]
	buffer_store_dword v1, off, s[0:3], 0 offset:752
	buffer_store_dword v1, off, s[0:3], 0 offset:756
	;; [unrolled: 1-line block ×4, first 2 shown]
	s_waitcnt vmcnt(0)
	ds_write_b128 v183, v[2:5]
.LBB120_263:
	s_or_b32 exec_lo, exec_lo, s4
	s_waitcnt lgkmcnt(0)
	s_waitcnt_vscnt null, 0x0
	s_barrier
	buffer_gl0_inv
	s_clause 0x2b
	buffer_load_dword v6, off, s[0:3], 0 offset:776
	buffer_load_dword v7, off, s[0:3], 0 offset:780
	;; [unrolled: 1-line block ×44, first 2 shown]
	ds_read_b128 v[2:5], v1 offset:1664
	ds_read_b128 v[123:126], v1 offset:1680
	;; [unrolled: 1-line block ×3, first 2 shown]
	s_mov_b32 s4, exec_lo
	s_waitcnt vmcnt(42) lgkmcnt(2)
	v_mul_f64 v[173:174], v[4:5], v[6:7]
	v_mul_f64 v[6:7], v[2:3], v[6:7]
	s_waitcnt vmcnt(40) lgkmcnt(1)
	v_mul_f64 v[175:176], v[125:126], v[131:132]
	v_mul_f64 v[131:132], v[123:124], v[131:132]
	s_waitcnt vmcnt(38)
	v_fma_f64 v[173:174], v[2:3], v[133:134], -v[173:174]
	v_fma_f64 v[6:7], v[4:5], v[133:134], v[6:7]
	ds_read_b128 v[2:5], v1 offset:1712
	s_waitcnt vmcnt(36) lgkmcnt(1)
	v_mul_f64 v[133:134], v[127:128], v[135:136]
	v_mul_f64 v[135:136], v[129:130], v[135:136]
	s_waitcnt vmcnt(34)
	v_fma_f64 v[175:176], v[123:124], v[137:138], -v[175:176]
	v_fma_f64 v[131:132], v[125:126], v[137:138], v[131:132]
	ds_read_b128 v[123:126], v1 offset:1728
	s_waitcnt vmcnt(30) lgkmcnt(1)
	v_mul_f64 v[137:138], v[2:3], v[139:140]
	v_add_f64 v[173:174], v[173:174], 0
	v_add_f64 v[6:7], v[6:7], 0
	v_mul_f64 v[139:140], v[4:5], v[139:140]
	s_waitcnt vmcnt(28)
	v_fma_f64 v[135:136], v[127:128], v[145:146], -v[135:136]
	v_fma_f64 v[133:134], v[129:130], v[145:146], v[133:134]
	ds_read_b128 v[127:130], v1 offset:1744
	s_waitcnt vmcnt(25)
	v_fma_f64 v[137:138], v[4:5], v[147:148], v[137:138]
	v_add_f64 v[173:174], v[173:174], v[175:176]
	v_add_f64 v[6:7], v[6:7], v[131:132]
	s_waitcnt lgkmcnt(1)
	v_mul_f64 v[131:132], v[123:124], v[141:142]
	v_mul_f64 v[141:142], v[125:126], v[141:142]
	v_fma_f64 v[139:140], v[2:3], v[147:148], -v[139:140]
	s_waitcnt vmcnt(21) lgkmcnt(0)
	v_mul_f64 v[145:146], v[129:130], v[149:150]
	ds_read_b128 v[2:5], v1 offset:1760
	v_add_f64 v[135:136], v[173:174], v[135:136]
	v_add_f64 v[6:7], v[6:7], v[133:134]
	v_mul_f64 v[133:134], v[127:128], v[149:150]
	s_waitcnt vmcnt(20)
	v_fma_f64 v[141:142], v[123:124], v[143:144], -v[141:142]
	v_fma_f64 v[131:132], v[125:126], v[143:144], v[131:132]
	ds_read_b128 v[123:126], v1 offset:1776
	s_waitcnt vmcnt(17)
	v_fma_f64 v[143:144], v[127:128], v[155:156], -v[145:146]
	v_add_f64 v[135:136], v[135:136], v[139:140]
	v_add_f64 v[6:7], v[6:7], v[137:138]
	s_waitcnt lgkmcnt(1)
	v_mul_f64 v[139:140], v[4:5], v[151:152]
	v_mul_f64 v[137:138], v[2:3], v[151:152]
	v_fma_f64 v[133:134], v[129:130], v[155:156], v[133:134]
	ds_read_b128 v[127:130], v1 offset:1792
	v_add_f64 v[135:136], v[135:136], v[141:142]
	v_add_f64 v[6:7], v[6:7], v[131:132]
	s_waitcnt vmcnt(13) lgkmcnt(1)
	v_mul_f64 v[141:142], v[125:126], v[157:158]
	s_waitcnt vmcnt(12)
	v_fma_f64 v[139:140], v[2:3], v[153:154], -v[139:140]
	v_mul_f64 v[131:132], v[123:124], v[157:158]
	v_fma_f64 v[137:138], v[4:5], v[153:154], v[137:138]
	ds_read_b128 v[1:4], v1 offset:1808
	v_add_f64 v[135:136], v[135:136], v[143:144]
	v_add_f64 v[5:6], v[6:7], v[133:134]
	s_waitcnt vmcnt(11) lgkmcnt(1)
	v_mul_f64 v[133:134], v[129:130], v[159:160]
	s_waitcnt vmcnt(9)
	v_fma_f64 v[123:124], v[123:124], v[163:164], -v[141:142]
	v_mul_f64 v[7:8], v[127:128], v[159:160]
	v_fma_f64 v[125:126], v[125:126], v[163:164], v[131:132]
	s_waitcnt vmcnt(7) lgkmcnt(0)
	v_mul_f64 v[131:132], v[1:2], v[165:166]
	v_add_f64 v[135:136], v[135:136], v[139:140]
	v_add_f64 v[5:6], v[5:6], v[137:138]
	v_mul_f64 v[137:138], v[3:4], v[165:166]
	s_waitcnt vmcnt(6)
	v_fma_f64 v[127:128], v[127:128], v[161:162], -v[133:134]
	v_fma_f64 v[7:8], v[129:130], v[161:162], v[7:8]
	s_waitcnt vmcnt(4)
	v_fma_f64 v[3:4], v[3:4], v[167:168], v[131:132]
	v_add_f64 v[123:124], v[135:136], v[123:124]
	v_add_f64 v[5:6], v[5:6], v[125:126]
	v_fma_f64 v[1:2], v[1:2], v[167:168], -v[137:138]
	v_add_f64 v[123:124], v[123:124], v[127:128]
	v_add_f64 v[5:6], v[5:6], v[7:8]
	;; [unrolled: 1-line block ×4, first 2 shown]
	s_waitcnt vmcnt(2)
	v_add_f64 v[1:2], v[169:170], -v[1:2]
	s_waitcnt vmcnt(0)
	v_add_f64 v[3:4], v[171:172], -v[3:4]
	buffer_store_dword v2, off, s[0:3], 0 offset:756
	buffer_store_dword v1, off, s[0:3], 0 offset:752
	;; [unrolled: 1-line block ×4, first 2 shown]
	v_cmpx_lt_u32_e32 45, v0
	s_cbranch_execz .LBB120_265
; %bb.264:
	v_mov_b32_e32 v4, s23
	v_mov_b32_e32 v5, 0
	s_clause 0x3
	buffer_load_dword v1, v4, s[0:3], 0 offen
	buffer_load_dword v2, v4, s[0:3], 0 offen offset:4
	buffer_load_dword v3, v4, s[0:3], 0 offen offset:8
	buffer_load_dword v4, v4, s[0:3], 0 offen offset:12
	buffer_store_dword v5, off, s[0:3], 0 offset:736
	buffer_store_dword v5, off, s[0:3], 0 offset:740
	;; [unrolled: 1-line block ×4, first 2 shown]
	s_waitcnt vmcnt(0)
	ds_write_b128 v183, v[1:4]
.LBB120_265:
	s_or_b32 exec_lo, exec_lo, s4
	s_waitcnt lgkmcnt(0)
	s_waitcnt_vscnt null, 0x0
	s_barrier
	buffer_gl0_inv
	s_clause 0x2f
	buffer_load_dword v6, off, s[0:3], 0 offset:760
	buffer_load_dword v7, off, s[0:3], 0 offset:764
	;; [unrolled: 1-line block ×48, first 2 shown]
	v_mov_b32_e32 v1, 0
	ds_read_b128 v[2:5], v1 offset:1648
	ds_read_b128 v[123:126], v1 offset:1664
	;; [unrolled: 1-line block ×3, first 2 shown]
	s_mov_b32 s4, exec_lo
	s_waitcnt vmcnt(46) lgkmcnt(2)
	v_mul_f64 v[177:178], v[4:5], v[6:7]
	v_mul_f64 v[6:7], v[2:3], v[6:7]
	s_waitcnt vmcnt(44) lgkmcnt(1)
	v_mul_f64 v[179:180], v[125:126], v[131:132]
	v_mul_f64 v[131:132], v[123:124], v[131:132]
	s_waitcnt vmcnt(42)
	v_fma_f64 v[177:178], v[2:3], v[133:134], -v[177:178]
	v_fma_f64 v[6:7], v[4:5], v[133:134], v[6:7]
	ds_read_b128 v[2:5], v1 offset:1696
	s_waitcnt vmcnt(40) lgkmcnt(1)
	v_mul_f64 v[133:134], v[127:128], v[135:136]
	v_mul_f64 v[135:136], v[129:130], v[135:136]
	s_waitcnt vmcnt(38)
	v_fma_f64 v[179:180], v[123:124], v[137:138], -v[179:180]
	v_fma_f64 v[131:132], v[125:126], v[137:138], v[131:132]
	ds_read_b128 v[123:126], v1 offset:1712
	s_waitcnt vmcnt(34) lgkmcnt(1)
	v_mul_f64 v[137:138], v[2:3], v[139:140]
	v_add_f64 v[177:178], v[177:178], 0
	v_add_f64 v[6:7], v[6:7], 0
	v_mul_f64 v[139:140], v[4:5], v[139:140]
	s_waitcnt vmcnt(32)
	v_fma_f64 v[135:136], v[127:128], v[145:146], -v[135:136]
	v_fma_f64 v[133:134], v[129:130], v[145:146], v[133:134]
	ds_read_b128 v[127:130], v1 offset:1728
	s_waitcnt vmcnt(29)
	v_fma_f64 v[137:138], v[4:5], v[147:148], v[137:138]
	v_add_f64 v[177:178], v[177:178], v[179:180]
	v_add_f64 v[6:7], v[6:7], v[131:132]
	s_waitcnt lgkmcnt(1)
	v_mul_f64 v[131:132], v[123:124], v[141:142]
	v_mul_f64 v[141:142], v[125:126], v[141:142]
	v_fma_f64 v[139:140], v[2:3], v[147:148], -v[139:140]
	s_waitcnt vmcnt(25) lgkmcnt(0)
	v_mul_f64 v[145:146], v[129:130], v[149:150]
	ds_read_b128 v[2:5], v1 offset:1744
	v_add_f64 v[135:136], v[177:178], v[135:136]
	v_add_f64 v[6:7], v[6:7], v[133:134]
	v_mul_f64 v[133:134], v[127:128], v[149:150]
	s_waitcnt vmcnt(24)
	v_fma_f64 v[141:142], v[123:124], v[143:144], -v[141:142]
	v_fma_f64 v[131:132], v[125:126], v[143:144], v[131:132]
	ds_read_b128 v[123:126], v1 offset:1760
	s_waitcnt vmcnt(21)
	v_fma_f64 v[143:144], v[127:128], v[155:156], -v[145:146]
	v_add_f64 v[135:136], v[135:136], v[139:140]
	v_add_f64 v[6:7], v[6:7], v[137:138]
	s_waitcnt lgkmcnt(1)
	v_mul_f64 v[139:140], v[4:5], v[151:152]
	v_mul_f64 v[137:138], v[2:3], v[151:152]
	v_fma_f64 v[133:134], v[129:130], v[155:156], v[133:134]
	ds_read_b128 v[127:130], v1 offset:1776
	v_add_f64 v[135:136], v[135:136], v[141:142]
	v_add_f64 v[6:7], v[6:7], v[131:132]
	s_waitcnt vmcnt(17) lgkmcnt(1)
	v_mul_f64 v[141:142], v[125:126], v[157:158]
	s_waitcnt vmcnt(16)
	v_fma_f64 v[139:140], v[2:3], v[153:154], -v[139:140]
	v_mul_f64 v[131:132], v[123:124], v[157:158]
	v_fma_f64 v[137:138], v[4:5], v[153:154], v[137:138]
	ds_read_b128 v[2:5], v1 offset:1792
	v_add_f64 v[135:136], v[135:136], v[143:144]
	v_add_f64 v[6:7], v[6:7], v[133:134]
	s_waitcnt vmcnt(15) lgkmcnt(1)
	v_mul_f64 v[143:144], v[129:130], v[159:160]
	s_waitcnt vmcnt(13)
	v_fma_f64 v[141:142], v[123:124], v[163:164], -v[141:142]
	;; [unrolled: 9-line block ×3, first 2 shown]
	v_mul_f64 v[137:138], v[2:3], v[165:166]
	v_fma_f64 v[129:130], v[129:130], v[161:162], v[133:134]
	s_waitcnt vmcnt(7) lgkmcnt(0)
	v_mul_f64 v[133:134], v[125:126], v[167:168]
	v_add_f64 v[135:136], v[135:136], v[141:142]
	v_add_f64 v[6:7], v[6:7], v[131:132]
	s_waitcnt vmcnt(5)
	v_fma_f64 v[2:3], v[2:3], v[171:172], -v[139:140]
	v_mul_f64 v[131:132], v[123:124], v[167:168]
	v_fma_f64 v[4:5], v[4:5], v[171:172], v[137:138]
	s_waitcnt vmcnt(4)
	v_fma_f64 v[123:124], v[123:124], v[169:170], -v[133:134]
	v_add_f64 v[127:128], v[135:136], v[127:128]
	v_add_f64 v[6:7], v[6:7], v[129:130]
	v_fma_f64 v[125:126], v[125:126], v[169:170], v[131:132]
	v_add_f64 v[2:3], v[127:128], v[2:3]
	v_add_f64 v[4:5], v[6:7], v[4:5]
	;; [unrolled: 1-line block ×4, first 2 shown]
	s_waitcnt vmcnt(2)
	v_add_f64 v[2:3], v[173:174], -v[2:3]
	s_waitcnt vmcnt(0)
	v_add_f64 v[4:5], v[175:176], -v[4:5]
	buffer_store_dword v3, off, s[0:3], 0 offset:740
	buffer_store_dword v2, off, s[0:3], 0 offset:736
	;; [unrolled: 1-line block ×4, first 2 shown]
	v_cmpx_lt_u32_e32 44, v0
	s_cbranch_execz .LBB120_267
; %bb.266:
	v_mov_b32_e32 v5, s24
	s_clause 0x3
	buffer_load_dword v2, v5, s[0:3], 0 offen
	buffer_load_dword v3, v5, s[0:3], 0 offen offset:4
	buffer_load_dword v4, v5, s[0:3], 0 offen offset:8
	;; [unrolled: 1-line block ×3, first 2 shown]
	buffer_store_dword v1, off, s[0:3], 0 offset:720
	buffer_store_dword v1, off, s[0:3], 0 offset:724
	;; [unrolled: 1-line block ×4, first 2 shown]
	s_waitcnt vmcnt(0)
	ds_write_b128 v183, v[2:5]
.LBB120_267:
	s_or_b32 exec_lo, exec_lo, s4
	s_waitcnt lgkmcnt(0)
	s_waitcnt_vscnt null, 0x0
	s_barrier
	buffer_gl0_inv
	s_clause 0x2f
	buffer_load_dword v6, off, s[0:3], 0 offset:744
	buffer_load_dword v7, off, s[0:3], 0 offset:748
	;; [unrolled: 1-line block ×48, first 2 shown]
	ds_read_b128 v[2:5], v1 offset:1632
	s_clause 0x3
	buffer_load_dword v177, off, s[0:3], 0 offset:720
	buffer_load_dword v178, off, s[0:3], 0 offset:724
	;; [unrolled: 1-line block ×4, first 2 shown]
	ds_read_b128 v[123:126], v1 offset:1648
	ds_read_b128 v[127:130], v1 offset:1664
	s_mov_b32 s4, exec_lo
	s_waitcnt vmcnt(50) lgkmcnt(2)
	v_mul_f64 v[181:182], v[4:5], v[6:7]
	v_mul_f64 v[6:7], v[2:3], v[6:7]
	s_waitcnt vmcnt(48) lgkmcnt(1)
	v_mul_f64 v[184:185], v[125:126], v[131:132]
	v_mul_f64 v[131:132], v[123:124], v[131:132]
	s_waitcnt vmcnt(46)
	v_fma_f64 v[181:182], v[2:3], v[133:134], -v[181:182]
	v_fma_f64 v[6:7], v[4:5], v[133:134], v[6:7]
	s_waitcnt vmcnt(44) lgkmcnt(0)
	v_mul_f64 v[133:134], v[127:128], v[135:136]
	v_mul_f64 v[135:136], v[129:130], v[135:136]
	s_waitcnt vmcnt(42)
	v_fma_f64 v[184:185], v[123:124], v[137:138], -v[184:185]
	ds_read_b128 v[2:5], v1 offset:1680
	v_fma_f64 v[131:132], v[125:126], v[137:138], v[131:132]
	ds_read_b128 v[123:126], v1 offset:1696
	v_add_f64 v[181:182], v[181:182], 0
	v_add_f64 v[6:7], v[6:7], 0
	s_waitcnt vmcnt(36)
	v_fma_f64 v[133:134], v[129:130], v[145:146], v[133:134]
	s_waitcnt lgkmcnt(1)
	v_mul_f64 v[137:138], v[2:3], v[139:140]
	v_mul_f64 v[139:140], v[4:5], v[139:140]
	v_fma_f64 v[135:136], v[127:128], v[145:146], -v[135:136]
	ds_read_b128 v[127:130], v1 offset:1712
	v_add_f64 v[181:182], v[181:182], v[184:185]
	v_add_f64 v[6:7], v[6:7], v[131:132]
	s_waitcnt vmcnt(35) lgkmcnt(1)
	v_mul_f64 v[131:132], v[123:124], v[141:142]
	v_mul_f64 v[141:142], v[125:126], v[141:142]
	s_waitcnt vmcnt(33)
	v_fma_f64 v[139:140], v[2:3], v[147:148], -v[139:140]
	v_fma_f64 v[137:138], v[4:5], v[147:148], v[137:138]
	ds_read_b128 v[2:5], v1 offset:1728
	s_waitcnt vmcnt(29) lgkmcnt(1)
	v_mul_f64 v[145:146], v[129:130], v[149:150]
	v_add_f64 v[135:136], v[181:182], v[135:136]
	v_add_f64 v[6:7], v[6:7], v[133:134]
	v_mul_f64 v[133:134], v[127:128], v[149:150]
	s_waitcnt vmcnt(28)
	v_fma_f64 v[141:142], v[123:124], v[143:144], -v[141:142]
	v_fma_f64 v[131:132], v[125:126], v[143:144], v[131:132]
	ds_read_b128 v[123:126], v1 offset:1744
	s_waitcnt vmcnt(25)
	v_fma_f64 v[143:144], v[127:128], v[155:156], -v[145:146]
	v_add_f64 v[135:136], v[135:136], v[139:140]
	v_add_f64 v[6:7], v[6:7], v[137:138]
	s_waitcnt lgkmcnt(1)
	v_mul_f64 v[139:140], v[4:5], v[151:152]
	v_mul_f64 v[137:138], v[2:3], v[151:152]
	v_fma_f64 v[133:134], v[129:130], v[155:156], v[133:134]
	ds_read_b128 v[127:130], v1 offset:1760
	v_add_f64 v[135:136], v[135:136], v[141:142]
	v_add_f64 v[6:7], v[6:7], v[131:132]
	s_waitcnt vmcnt(21) lgkmcnt(1)
	v_mul_f64 v[141:142], v[125:126], v[157:158]
	s_waitcnt vmcnt(20)
	v_fma_f64 v[139:140], v[2:3], v[153:154], -v[139:140]
	v_mul_f64 v[131:132], v[123:124], v[157:158]
	v_fma_f64 v[137:138], v[4:5], v[153:154], v[137:138]
	ds_read_b128 v[2:5], v1 offset:1776
	v_add_f64 v[135:136], v[135:136], v[143:144]
	v_add_f64 v[6:7], v[6:7], v[133:134]
	s_waitcnt vmcnt(19) lgkmcnt(1)
	v_mul_f64 v[143:144], v[129:130], v[159:160]
	s_waitcnt vmcnt(17)
	v_fma_f64 v[141:142], v[123:124], v[163:164], -v[141:142]
	;; [unrolled: 9-line block ×4, first 2 shown]
	v_mul_f64 v[131:132], v[123:124], v[167:168]
	v_fma_f64 v[3:4], v[4:5], v[171:172], v[137:138]
	v_add_f64 v[135:136], v[135:136], v[143:144]
	v_add_f64 v[5:6], v[6:7], v[133:134]
	s_waitcnt vmcnt(7) lgkmcnt(0)
	v_mul_f64 v[133:134], v[129:130], v[173:174]
	s_waitcnt vmcnt(6)
	v_fma_f64 v[123:124], v[123:124], v[169:170], -v[141:142]
	v_mul_f64 v[7:8], v[127:128], v[173:174]
	v_fma_f64 v[125:126], v[125:126], v[169:170], v[131:132]
	v_add_f64 v[1:2], v[135:136], v[1:2]
	v_add_f64 v[3:4], v[5:6], v[3:4]
	s_waitcnt vmcnt(4)
	v_fma_f64 v[5:6], v[127:128], v[175:176], -v[133:134]
	v_fma_f64 v[7:8], v[129:130], v[175:176], v[7:8]
	v_add_f64 v[1:2], v[1:2], v[123:124]
	v_add_f64 v[3:4], v[3:4], v[125:126]
	v_add_f64 v[1:2], v[1:2], v[5:6]
	v_add_f64 v[3:4], v[3:4], v[7:8]
	s_waitcnt vmcnt(2)
	v_add_f64 v[1:2], v[177:178], -v[1:2]
	s_waitcnt vmcnt(0)
	v_add_f64 v[3:4], v[179:180], -v[3:4]
	buffer_store_dword v2, off, s[0:3], 0 offset:724
	buffer_store_dword v1, off, s[0:3], 0 offset:720
	;; [unrolled: 1-line block ×4, first 2 shown]
	v_cmpx_lt_u32_e32 43, v0
	s_cbranch_execz .LBB120_269
; %bb.268:
	v_mov_b32_e32 v4, s25
	v_mov_b32_e32 v5, 0
	s_clause 0x3
	buffer_load_dword v1, v4, s[0:3], 0 offen
	buffer_load_dword v2, v4, s[0:3], 0 offen offset:4
	buffer_load_dword v3, v4, s[0:3], 0 offen offset:8
	;; [unrolled: 1-line block ×3, first 2 shown]
	buffer_store_dword v5, off, s[0:3], 0 offset:704
	buffer_store_dword v5, off, s[0:3], 0 offset:708
	;; [unrolled: 1-line block ×4, first 2 shown]
	s_waitcnt vmcnt(0)
	ds_write_b128 v183, v[1:4]
.LBB120_269:
	s_or_b32 exec_lo, exec_lo, s4
	s_waitcnt lgkmcnt(0)
	s_waitcnt_vscnt null, 0x0
	s_barrier
	buffer_gl0_inv
	s_clause 0x33
	buffer_load_dword v6, off, s[0:3], 0 offset:728
	buffer_load_dword v7, off, s[0:3], 0 offset:732
	;; [unrolled: 1-line block ×52, first 2 shown]
	v_mov_b32_e32 v1, 0
	ds_read_b128 v[2:5], v1 offset:1616
	ds_read_b128 v[123:126], v1 offset:1632
	s_clause 0x3
	buffer_load_dword v184, off, s[0:3], 0 offset:704
	buffer_load_dword v185, off, s[0:3], 0 offset:708
	;; [unrolled: 1-line block ×4, first 2 shown]
	ds_read_b128 v[127:130], v1 offset:1648
	s_mov_b32 s4, exec_lo
	s_waitcnt vmcnt(54) lgkmcnt(2)
	v_mul_f64 v[181:182], v[4:5], v[6:7]
	v_mul_f64 v[6:7], v[2:3], v[6:7]
	s_waitcnt vmcnt(52) lgkmcnt(1)
	v_mul_f64 v[188:189], v[125:126], v[131:132]
	v_mul_f64 v[131:132], v[123:124], v[131:132]
	s_waitcnt vmcnt(50)
	v_fma_f64 v[181:182], v[2:3], v[133:134], -v[181:182]
	v_fma_f64 v[6:7], v[4:5], v[133:134], v[6:7]
	ds_read_b128 v[2:5], v1 offset:1664
	s_waitcnt vmcnt(48) lgkmcnt(1)
	v_mul_f64 v[133:134], v[127:128], v[135:136]
	v_mul_f64 v[135:136], v[129:130], v[135:136]
	s_waitcnt vmcnt(46)
	v_fma_f64 v[188:189], v[123:124], v[137:138], -v[188:189]
	v_fma_f64 v[131:132], v[125:126], v[137:138], v[131:132]
	ds_read_b128 v[123:126], v1 offset:1680
	s_waitcnt vmcnt(42) lgkmcnt(1)
	v_mul_f64 v[137:138], v[2:3], v[139:140]
	v_add_f64 v[181:182], v[181:182], 0
	v_add_f64 v[6:7], v[6:7], 0
	v_mul_f64 v[139:140], v[4:5], v[139:140]
	s_waitcnt vmcnt(40)
	v_fma_f64 v[135:136], v[127:128], v[145:146], -v[135:136]
	v_fma_f64 v[133:134], v[129:130], v[145:146], v[133:134]
	ds_read_b128 v[127:130], v1 offset:1696
	s_waitcnt vmcnt(37)
	v_fma_f64 v[137:138], v[4:5], v[147:148], v[137:138]
	v_add_f64 v[181:182], v[181:182], v[188:189]
	v_add_f64 v[6:7], v[6:7], v[131:132]
	s_waitcnt lgkmcnt(1)
	v_mul_f64 v[131:132], v[123:124], v[141:142]
	v_mul_f64 v[141:142], v[125:126], v[141:142]
	v_fma_f64 v[139:140], v[2:3], v[147:148], -v[139:140]
	s_waitcnt vmcnt(33) lgkmcnt(0)
	v_mul_f64 v[145:146], v[129:130], v[149:150]
	ds_read_b128 v[2:5], v1 offset:1712
	v_add_f64 v[135:136], v[181:182], v[135:136]
	v_add_f64 v[6:7], v[6:7], v[133:134]
	v_mul_f64 v[133:134], v[127:128], v[149:150]
	s_waitcnt vmcnt(32)
	v_fma_f64 v[141:142], v[123:124], v[143:144], -v[141:142]
	v_fma_f64 v[131:132], v[125:126], v[143:144], v[131:132]
	ds_read_b128 v[123:126], v1 offset:1728
	s_waitcnt vmcnt(29)
	v_fma_f64 v[143:144], v[127:128], v[155:156], -v[145:146]
	v_add_f64 v[135:136], v[135:136], v[139:140]
	v_add_f64 v[6:7], v[6:7], v[137:138]
	s_waitcnt lgkmcnt(1)
	v_mul_f64 v[139:140], v[4:5], v[151:152]
	v_mul_f64 v[137:138], v[2:3], v[151:152]
	v_fma_f64 v[133:134], v[129:130], v[155:156], v[133:134]
	ds_read_b128 v[127:130], v1 offset:1744
	v_add_f64 v[135:136], v[135:136], v[141:142]
	v_add_f64 v[6:7], v[6:7], v[131:132]
	s_waitcnt vmcnt(25) lgkmcnt(1)
	v_mul_f64 v[141:142], v[125:126], v[157:158]
	s_waitcnt vmcnt(24)
	v_fma_f64 v[139:140], v[2:3], v[153:154], -v[139:140]
	v_mul_f64 v[131:132], v[123:124], v[157:158]
	v_fma_f64 v[137:138], v[4:5], v[153:154], v[137:138]
	ds_read_b128 v[2:5], v1 offset:1760
	v_add_f64 v[135:136], v[135:136], v[143:144]
	v_add_f64 v[6:7], v[6:7], v[133:134]
	s_waitcnt vmcnt(23) lgkmcnt(1)
	v_mul_f64 v[143:144], v[129:130], v[159:160]
	s_waitcnt vmcnt(21)
	v_fma_f64 v[141:142], v[123:124], v[163:164], -v[141:142]
	;; [unrolled: 9-line block ×5, first 2 shown]
	v_mul_f64 v[133:134], v[127:128], v[173:174]
	v_fma_f64 v[125:126], v[125:126], v[169:170], v[131:132]
	s_waitcnt vmcnt(7) lgkmcnt(0)
	v_mul_f64 v[131:132], v[2:3], v[175:176]
	v_add_f64 v[135:136], v[135:136], v[139:140]
	v_add_f64 v[6:7], v[6:7], v[137:138]
	v_mul_f64 v[137:138], v[4:5], v[175:176]
	s_waitcnt vmcnt(5)
	v_fma_f64 v[127:128], v[127:128], v[179:180], -v[143:144]
	v_fma_f64 v[129:130], v[129:130], v[179:180], v[133:134]
	s_waitcnt vmcnt(4)
	v_fma_f64 v[4:5], v[4:5], v[177:178], v[131:132]
	v_add_f64 v[123:124], v[135:136], v[123:124]
	v_add_f64 v[6:7], v[6:7], v[125:126]
	v_fma_f64 v[2:3], v[2:3], v[177:178], -v[137:138]
	v_add_f64 v[123:124], v[123:124], v[127:128]
	v_add_f64 v[6:7], v[6:7], v[129:130]
	;; [unrolled: 1-line block ×4, first 2 shown]
	s_waitcnt vmcnt(2)
	v_add_f64 v[2:3], v[184:185], -v[2:3]
	s_waitcnt vmcnt(0)
	v_add_f64 v[4:5], v[186:187], -v[4:5]
	buffer_store_dword v3, off, s[0:3], 0 offset:708
	buffer_store_dword v2, off, s[0:3], 0 offset:704
	;; [unrolled: 1-line block ×4, first 2 shown]
	v_cmpx_lt_u32_e32 42, v0
	s_cbranch_execz .LBB120_271
; %bb.270:
	v_mov_b32_e32 v5, s26
	s_clause 0x3
	buffer_load_dword v2, v5, s[0:3], 0 offen
	buffer_load_dword v3, v5, s[0:3], 0 offen offset:4
	buffer_load_dword v4, v5, s[0:3], 0 offen offset:8
	;; [unrolled: 1-line block ×3, first 2 shown]
	buffer_store_dword v1, off, s[0:3], 0 offset:688
	buffer_store_dword v1, off, s[0:3], 0 offset:692
	;; [unrolled: 1-line block ×4, first 2 shown]
	s_waitcnt vmcnt(0)
	ds_write_b128 v183, v[2:5]
.LBB120_271:
	s_or_b32 exec_lo, exec_lo, s4
	s_waitcnt lgkmcnt(0)
	s_waitcnt_vscnt null, 0x0
	s_barrier
	buffer_gl0_inv
	s_clause 0x35
	buffer_load_dword v6, off, s[0:3], 0 offset:712
	buffer_load_dword v7, off, s[0:3], 0 offset:716
	;; [unrolled: 1-line block ×54, first 2 shown]
	ds_read_b128 v[2:5], v1 offset:1600
	s_clause 0x1
	buffer_load_dword v185, off, s[0:3], 0 offset:916
	buffer_load_dword v184, off, s[0:3], 0 offset:912
	ds_read_b128 v[123:126], v1 offset:1616
	ds_read_b128 v[127:130], v1 offset:1632
	s_mov_b32 s4, exec_lo
	s_waitcnt vmcnt(54) lgkmcnt(2)
	v_mul_f64 v[186:187], v[4:5], v[6:7]
	v_mul_f64 v[6:7], v[2:3], v[6:7]
	s_waitcnt vmcnt(52) lgkmcnt(1)
	v_mul_f64 v[188:189], v[125:126], v[131:132]
	v_mul_f64 v[131:132], v[123:124], v[131:132]
	;; [unrolled: 3-line block ×3, first 2 shown]
	v_fma_f64 v[186:187], v[2:3], v[133:134], -v[186:187]
	v_fma_f64 v[6:7], v[4:5], v[133:134], v[6:7]
	s_clause 0x3
	buffer_load_dword v133, off, s[0:3], 0 offset:688
	buffer_load_dword v134, off, s[0:3], 0 offset:692
	;; [unrolled: 1-line block ×4, first 2 shown]
	s_waitcnt vmcnt(50)
	v_fma_f64 v[188:189], v[123:124], v[137:138], -v[188:189]
	ds_read_b128 v[2:5], v1 offset:1648
	v_fma_f64 v[131:132], v[125:126], v[137:138], v[131:132]
	ds_read_b128 v[123:126], v1 offset:1664
	s_waitcnt vmcnt(46)
	v_fma_f64 v[135:136], v[127:128], v[141:142], -v[135:136]
	v_fma_f64 v[141:142], v[129:130], v[141:142], v[192:193]
	ds_read_b128 v[127:130], v1 offset:1680
	v_add_f64 v[186:187], v[186:187], 0
	v_add_f64 v[6:7], v[6:7], 0
	s_waitcnt lgkmcnt(2)
	v_mul_f64 v[137:138], v[2:3], v[139:140]
	v_mul_f64 v[139:140], v[4:5], v[139:140]
	v_add_f64 v[186:187], v[186:187], v[188:189]
	v_add_f64 v[6:7], v[6:7], v[131:132]
	s_waitcnt vmcnt(44) lgkmcnt(1)
	v_mul_f64 v[131:132], v[123:124], v[143:144]
	v_mul_f64 v[143:144], v[125:126], v[143:144]
	s_waitcnt vmcnt(42)
	v_fma_f64 v[139:140], v[2:3], v[145:146], -v[139:140]
	v_fma_f64 v[137:138], v[4:5], v[145:146], v[137:138]
	ds_read_b128 v[2:5], v1 offset:1696
	s_waitcnt vmcnt(40) lgkmcnt(1)
	v_mul_f64 v[145:146], v[129:130], v[147:148]
	v_add_f64 v[135:136], v[186:187], v[135:136]
	v_add_f64 v[6:7], v[6:7], v[141:142]
	v_mul_f64 v[141:142], v[127:128], v[147:148]
	s_waitcnt vmcnt(38)
	v_fma_f64 v[143:144], v[123:124], v[149:150], -v[143:144]
	v_fma_f64 v[131:132], v[125:126], v[149:150], v[131:132]
	ds_read_b128 v[123:126], v1 offset:1712
	s_waitcnt vmcnt(34)
	v_fma_f64 v[145:146], v[127:128], v[153:154], -v[145:146]
	v_add_f64 v[135:136], v[135:136], v[139:140]
	v_add_f64 v[6:7], v[6:7], v[137:138]
	s_waitcnt lgkmcnt(1)
	v_mul_f64 v[139:140], v[4:5], v[151:152]
	v_mul_f64 v[137:138], v[2:3], v[151:152]
	v_fma_f64 v[141:142], v[129:130], v[153:154], v[141:142]
	ds_read_b128 v[127:130], v1 offset:1728
	v_add_f64 v[135:136], v[135:136], v[143:144]
	v_add_f64 v[6:7], v[6:7], v[131:132]
	s_waitcnt vmcnt(32) lgkmcnt(1)
	v_mul_f64 v[143:144], v[125:126], v[155:156]
	s_waitcnt vmcnt(30)
	v_fma_f64 v[139:140], v[2:3], v[157:158], -v[139:140]
	v_mul_f64 v[131:132], v[123:124], v[155:156]
	v_fma_f64 v[137:138], v[4:5], v[157:158], v[137:138]
	ds_read_b128 v[2:5], v1 offset:1744
	v_add_f64 v[135:136], v[135:136], v[145:146]
	v_add_f64 v[6:7], v[6:7], v[141:142]
	s_waitcnt vmcnt(28) lgkmcnt(1)
	v_mul_f64 v[145:146], v[129:130], v[159:160]
	s_waitcnt vmcnt(26)
	v_fma_f64 v[143:144], v[123:124], v[161:162], -v[143:144]
	;; [unrolled: 9-line block ×6, first 2 shown]
	v_mul_f64 v[137:138], v[2:3], v[175:176]
	v_fma_f64 v[129:130], v[129:130], v[177:178], v[141:142]
	s_waitcnt vmcnt(8) lgkmcnt(0)
	v_mul_f64 v[141:142], v[125:126], v[179:180]
	v_add_f64 v[135:136], v[135:136], v[143:144]
	v_add_f64 v[6:7], v[6:7], v[131:132]
	s_waitcnt vmcnt(6)
	v_fma_f64 v[1:2], v[2:3], v[181:182], -v[139:140]
	v_mul_f64 v[131:132], v[123:124], v[179:180]
	v_fma_f64 v[3:4], v[4:5], v[181:182], v[137:138]
	v_add_f64 v[127:128], v[135:136], v[127:128]
	v_add_f64 v[5:6], v[6:7], v[129:130]
	s_waitcnt vmcnt(4)
	v_fma_f64 v[7:8], v[123:124], v[184:185], -v[141:142]
	v_fma_f64 v[123:124], v[125:126], v[184:185], v[131:132]
	v_add_f64 v[1:2], v[127:128], v[1:2]
	v_add_f64 v[3:4], v[5:6], v[3:4]
	;; [unrolled: 1-line block ×4, first 2 shown]
	s_waitcnt vmcnt(2)
	v_add_f64 v[1:2], v[133:134], -v[1:2]
	s_waitcnt vmcnt(0)
	v_add_f64 v[3:4], v[190:191], -v[3:4]
	buffer_store_dword v2, off, s[0:3], 0 offset:692
	buffer_store_dword v1, off, s[0:3], 0 offset:688
	;; [unrolled: 1-line block ×4, first 2 shown]
	v_cmpx_lt_u32_e32 41, v0
	s_cbranch_execz .LBB120_273
; %bb.272:
	v_mov_b32_e32 v4, s27
	v_mov_b32_e32 v5, 0
	s_clause 0x3
	buffer_load_dword v1, v4, s[0:3], 0 offen
	buffer_load_dword v2, v4, s[0:3], 0 offen offset:4
	buffer_load_dword v3, v4, s[0:3], 0 offen offset:8
	;; [unrolled: 1-line block ×3, first 2 shown]
	buffer_store_dword v5, off, s[0:3], 0 offset:672
	buffer_store_dword v5, off, s[0:3], 0 offset:676
	;; [unrolled: 1-line block ×4, first 2 shown]
	s_waitcnt vmcnt(0)
	ds_write_b128 v183, v[1:4]
.LBB120_273:
	s_or_b32 exec_lo, exec_lo, s4
	s_waitcnt lgkmcnt(0)
	s_waitcnt_vscnt null, 0x0
	s_barrier
	buffer_gl0_inv
	s_clause 0x37
	buffer_load_dword v6, off, s[0:3], 0 offset:696
	buffer_load_dword v7, off, s[0:3], 0 offset:700
	;; [unrolled: 1-line block ×56, first 2 shown]
	v_mov_b32_e32 v1, 0
	s_mov_b32 s4, exec_lo
	ds_read_b128 v[2:5], v1 offset:1584
	s_clause 0x2
	buffer_load_dword v185, off, s[0:3], 0 offset:924
	buffer_load_dword v189, off, s[0:3], 0 offset:900
	;; [unrolled: 1-line block ×3, first 2 shown]
	ds_read_b128 v[123:126], v1 offset:1600
	ds_read_b128 v[127:130], v1 offset:1616
	buffer_load_dword v187, off, s[0:3], 0 offset:916
	s_waitcnt vmcnt(58) lgkmcnt(2)
	v_mul_f64 v[190:191], v[4:5], v[6:7]
	v_mul_f64 v[6:7], v[2:3], v[6:7]
	s_waitcnt vmcnt(56) lgkmcnt(1)
	v_mul_f64 v[192:193], v[125:126], v[131:132]
	v_mul_f64 v[131:132], v[123:124], v[131:132]
	s_waitcnt vmcnt(54)
	v_fma_f64 v[190:191], v[2:3], v[133:134], -v[190:191]
	v_fma_f64 v[6:7], v[4:5], v[133:134], v[6:7]
	s_waitcnt vmcnt(52) lgkmcnt(0)
	v_mul_f64 v[133:134], v[127:128], v[135:136]
	v_mul_f64 v[135:136], v[129:130], v[135:136]
	s_waitcnt vmcnt(50)
	v_fma_f64 v[192:193], v[123:124], v[137:138], -v[192:193]
	ds_read_b128 v[2:5], v1 offset:1632
	v_fma_f64 v[131:132], v[125:126], v[137:138], v[131:132]
	s_clause 0x3
	buffer_load_dword v137, off, s[0:3], 0 offset:672
	buffer_load_dword v138, off, s[0:3], 0 offset:676
	;; [unrolled: 1-line block ×4, first 2 shown]
	ds_read_b128 v[123:126], v1 offset:1648
	v_add_f64 v[190:191], v[190:191], 0
	v_add_f64 v[6:7], v[6:7], 0
	s_waitcnt vmcnt(48)
	v_fma_f64 v[133:134], v[129:130], v[145:146], v[133:134]
	s_waitcnt lgkmcnt(1)
	v_mul_f64 v[196:197], v[2:3], v[139:140]
	v_mul_f64 v[139:140], v[4:5], v[139:140]
	v_fma_f64 v[135:136], v[127:128], v[145:146], -v[135:136]
	ds_read_b128 v[127:130], v1 offset:1664
	v_add_f64 v[190:191], v[190:191], v[192:193]
	v_add_f64 v[6:7], v[6:7], v[131:132]
	s_waitcnt vmcnt(47) lgkmcnt(1)
	v_mul_f64 v[131:132], v[123:124], v[141:142]
	v_mul_f64 v[141:142], v[125:126], v[141:142]
	s_waitcnt vmcnt(45)
	v_fma_f64 v[139:140], v[2:3], v[147:148], -v[139:140]
	v_fma_f64 v[145:146], v[4:5], v[147:148], v[196:197]
	s_waitcnt vmcnt(41) lgkmcnt(0)
	v_mul_f64 v[147:148], v[129:130], v[149:150]
	ds_read_b128 v[2:5], v1 offset:1680
	v_add_f64 v[135:136], v[190:191], v[135:136]
	v_add_f64 v[6:7], v[6:7], v[133:134]
	v_mul_f64 v[133:134], v[127:128], v[149:150]
	s_waitcnt vmcnt(40)
	v_fma_f64 v[141:142], v[123:124], v[143:144], -v[141:142]
	v_fma_f64 v[131:132], v[125:126], v[143:144], v[131:132]
	ds_read_b128 v[123:126], v1 offset:1696
	s_waitcnt vmcnt(39) lgkmcnt(1)
	v_mul_f64 v[143:144], v[4:5], v[151:152]
	v_add_f64 v[135:136], v[135:136], v[139:140]
	v_add_f64 v[6:7], v[6:7], v[145:146]
	s_waitcnt vmcnt(37)
	v_fma_f64 v[145:146], v[127:128], v[155:156], -v[147:148]
	v_mul_f64 v[139:140], v[2:3], v[151:152]
	v_fma_f64 v[133:134], v[129:130], v[155:156], v[133:134]
	ds_read_b128 v[127:130], v1 offset:1712
	s_waitcnt vmcnt(32)
	v_fma_f64 v[143:144], v[2:3], v[153:154], -v[143:144]
	v_add_f64 v[135:136], v[135:136], v[141:142]
	v_add_f64 v[6:7], v[6:7], v[131:132]
	s_waitcnt lgkmcnt(1)
	v_mul_f64 v[141:142], v[125:126], v[157:158]
	v_mul_f64 v[131:132], v[123:124], v[157:158]
	v_fma_f64 v[139:140], v[4:5], v[153:154], v[139:140]
	ds_read_b128 v[2:5], v1 offset:1728
	v_add_f64 v[135:136], v[135:136], v[145:146]
	v_add_f64 v[6:7], v[6:7], v[133:134]
	s_waitcnt vmcnt(31) lgkmcnt(1)
	v_mul_f64 v[145:146], v[129:130], v[159:160]
	s_waitcnt vmcnt(29)
	v_fma_f64 v[141:142], v[123:124], v[163:164], -v[141:142]
	v_mul_f64 v[133:134], v[127:128], v[159:160]
	v_fma_f64 v[131:132], v[125:126], v[163:164], v[131:132]
	ds_read_b128 v[123:126], v1 offset:1744
	v_add_f64 v[135:136], v[135:136], v[143:144]
	v_add_f64 v[6:7], v[6:7], v[139:140]
	s_waitcnt vmcnt(25) lgkmcnt(1)
	v_mul_f64 v[143:144], v[4:5], v[165:166]
	s_waitcnt vmcnt(24)
	v_fma_f64 v[145:146], v[127:128], v[161:162], -v[145:146]
	;; [unrolled: 9-line block ×6, first 2 shown]
	v_mul_f64 v[131:132], v[123:124], v[181:182]
	v_fma_f64 v[4:5], v[4:5], v[177:178], v[139:140]
	s_waitcnt vmcnt(7) lgkmcnt(0)
	v_mul_f64 v[139:140], v[129:130], v[184:185]
	v_add_f64 v[135:136], v[135:136], v[145:146]
	v_add_f64 v[6:7], v[6:7], v[133:134]
	s_waitcnt vmcnt(5)
	v_fma_f64 v[123:124], v[123:124], v[188:189], -v[141:142]
	v_mul_f64 v[133:134], v[127:128], v[184:185]
	v_fma_f64 v[125:126], v[125:126], v[188:189], v[131:132]
	v_add_f64 v[2:3], v[135:136], v[2:3]
	v_add_f64 v[4:5], v[6:7], v[4:5]
	s_waitcnt vmcnt(4)
	v_fma_f64 v[6:7], v[127:128], v[186:187], -v[139:140]
	v_add_f64 v[2:3], v[2:3], v[123:124]
	v_fma_f64 v[123:124], v[129:130], v[186:187], v[133:134]
	v_add_f64 v[4:5], v[4:5], v[125:126]
	v_add_f64 v[2:3], v[2:3], v[6:7]
	v_add_f64 v[4:5], v[4:5], v[123:124]
	s_waitcnt vmcnt(2)
	v_add_f64 v[2:3], v[137:138], -v[2:3]
	s_waitcnt vmcnt(0)
	v_add_f64 v[4:5], v[194:195], -v[4:5]
	buffer_store_dword v3, off, s[0:3], 0 offset:676
	buffer_store_dword v2, off, s[0:3], 0 offset:672
	;; [unrolled: 1-line block ×4, first 2 shown]
	v_cmpx_lt_u32_e32 40, v0
	s_cbranch_execz .LBB120_275
; %bb.274:
	v_mov_b32_e32 v5, s28
	s_clause 0x3
	buffer_load_dword v2, v5, s[0:3], 0 offen
	buffer_load_dword v3, v5, s[0:3], 0 offen offset:4
	buffer_load_dword v4, v5, s[0:3], 0 offen offset:8
	;; [unrolled: 1-line block ×3, first 2 shown]
	buffer_store_dword v1, off, s[0:3], 0 offset:656
	buffer_store_dword v1, off, s[0:3], 0 offset:660
	;; [unrolled: 1-line block ×4, first 2 shown]
	s_waitcnt vmcnt(0)
	ds_write_b128 v183, v[2:5]
.LBB120_275:
	s_or_b32 exec_lo, exec_lo, s4
	s_waitcnt lgkmcnt(0)
	s_waitcnt_vscnt null, 0x0
	s_barrier
	buffer_gl0_inv
	s_clause 0x37
	buffer_load_dword v6, off, s[0:3], 0 offset:680
	buffer_load_dword v7, off, s[0:3], 0 offset:684
	;; [unrolled: 1-line block ×56, first 2 shown]
	ds_read_b128 v[2:5], v1 offset:1568
	s_clause 0x2
	buffer_load_dword v185, off, s[0:3], 0 offset:908
	buffer_load_dword v189, off, s[0:3], 0 offset:884
	;; [unrolled: 1-line block ×3, first 2 shown]
	ds_read_b128 v[123:126], v1 offset:1584
	s_clause 0x2
	buffer_load_dword v193, off, s[0:3], 0 offset:924
	buffer_load_dword v192, off, s[0:3], 0 offset:920
	;; [unrolled: 1-line block ×3, first 2 shown]
	ds_read_b128 v[127:130], v1 offset:1600
	s_mov_b32 s4, exec_lo
	s_waitcnt vmcnt(60) lgkmcnt(2)
	v_mul_f64 v[190:191], v[4:5], v[6:7]
	v_mul_f64 v[6:7], v[2:3], v[6:7]
	s_waitcnt vmcnt(58) lgkmcnt(1)
	v_mul_f64 v[194:195], v[125:126], v[131:132]
	v_mul_f64 v[131:132], v[123:124], v[131:132]
	;; [unrolled: 3-line block ×3, first 2 shown]
	v_fma_f64 v[190:191], v[2:3], v[133:134], -v[190:191]
	v_fma_f64 v[6:7], v[4:5], v[133:134], v[6:7]
	s_clause 0x1
	buffer_load_dword v134, off, s[0:3], 0 offset:916
	buffer_load_dword v133, off, s[0:3], 0 offset:912
	s_waitcnt vmcnt(54)
	v_fma_f64 v[194:195], v[123:124], v[137:138], -v[194:195]
	ds_read_b128 v[2:5], v1 offset:1616
	v_fma_f64 v[131:132], v[125:126], v[137:138], v[131:132]
	ds_read_b128 v[123:126], v1 offset:1632
	s_waitcnt vmcnt(48)
	v_fma_f64 v[135:136], v[127:128], v[145:146], -v[135:136]
	v_fma_f64 v[145:146], v[129:130], v[145:146], v[196:197]
	v_add_f64 v[190:191], v[190:191], 0
	v_add_f64 v[6:7], v[6:7], 0
	s_waitcnt lgkmcnt(1)
	v_mul_f64 v[137:138], v[2:3], v[139:140]
	v_mul_f64 v[139:140], v[4:5], v[139:140]
	s_waitcnt vmcnt(47) lgkmcnt(0)
	v_mul_f64 v[196:197], v[123:124], v[141:142]
	v_mul_f64 v[141:142], v[125:126], v[141:142]
	v_add_f64 v[190:191], v[190:191], v[194:195]
	v_add_f64 v[6:7], v[6:7], v[131:132]
	s_clause 0x3
	buffer_load_dword v131, off, s[0:3], 0 offset:656
	buffer_load_dword v132, off, s[0:3], 0 offset:660
	;; [unrolled: 1-line block ×4, first 2 shown]
	s_waitcnt vmcnt(49)
	v_fma_f64 v[139:140], v[2:3], v[147:148], -v[139:140]
	ds_read_b128 v[127:130], v1 offset:1648
	v_fma_f64 v[137:138], v[4:5], v[147:148], v[137:138]
	ds_read_b128 v[2:5], v1 offset:1664
	s_waitcnt vmcnt(44)
	v_fma_f64 v[141:142], v[123:124], v[143:144], -v[141:142]
	v_add_f64 v[135:136], v[190:191], v[135:136]
	v_add_f64 v[6:7], v[6:7], v[145:146]
	s_waitcnt lgkmcnt(1)
	v_mul_f64 v[147:148], v[129:130], v[149:150]
	v_mul_f64 v[145:146], v[127:128], v[149:150]
	v_add_f64 v[135:136], v[135:136], v[139:140]
	v_fma_f64 v[139:140], v[125:126], v[143:144], v[196:197]
	v_add_f64 v[6:7], v[6:7], v[137:138]
	s_waitcnt vmcnt(43) lgkmcnt(0)
	v_mul_f64 v[143:144], v[4:5], v[151:152]
	s_waitcnt vmcnt(41)
	v_fma_f64 v[147:148], v[127:128], v[155:156], -v[147:148]
	ds_read_b128 v[123:126], v1 offset:1680
	v_mul_f64 v[137:138], v[2:3], v[151:152]
	v_add_f64 v[135:136], v[135:136], v[141:142]
	v_fma_f64 v[141:142], v[129:130], v[155:156], v[145:146]
	v_add_f64 v[6:7], v[6:7], v[139:140]
	ds_read_b128 v[127:130], v1 offset:1696
	s_waitcnt vmcnt(37) lgkmcnt(1)
	v_mul_f64 v[145:146], v[125:126], v[157:158]
	s_waitcnt vmcnt(36)
	v_fma_f64 v[143:144], v[2:3], v[153:154], -v[143:144]
	v_mul_f64 v[139:140], v[123:124], v[157:158]
	v_fma_f64 v[137:138], v[4:5], v[153:154], v[137:138]
	ds_read_b128 v[2:5], v1 offset:1712
	v_add_f64 v[135:136], v[135:136], v[147:148]
	s_waitcnt vmcnt(35) lgkmcnt(1)
	v_mul_f64 v[147:148], v[129:130], v[159:160]
	v_add_f64 v[6:7], v[6:7], v[141:142]
	v_mul_f64 v[141:142], v[127:128], v[159:160]
	s_waitcnt vmcnt(33)
	v_fma_f64 v[145:146], v[123:124], v[163:164], -v[145:146]
	v_fma_f64 v[139:140], v[125:126], v[163:164], v[139:140]
	ds_read_b128 v[123:126], v1 offset:1728
	v_add_f64 v[135:136], v[135:136], v[143:144]
	s_waitcnt vmcnt(29) lgkmcnt(1)
	v_mul_f64 v[143:144], v[4:5], v[165:166]
	v_add_f64 v[6:7], v[6:7], v[137:138]
	s_waitcnt vmcnt(28)
	v_fma_f64 v[147:148], v[127:128], v[161:162], -v[147:148]
	v_mul_f64 v[137:138], v[2:3], v[165:166]
	v_fma_f64 v[141:142], v[129:130], v[161:162], v[141:142]
	ds_read_b128 v[127:130], v1 offset:1744
	v_add_f64 v[135:136], v[135:136], v[145:146]
	s_waitcnt vmcnt(27) lgkmcnt(1)
	v_mul_f64 v[145:146], v[125:126], v[167:168]
	v_add_f64 v[6:7], v[6:7], v[139:140]
	s_waitcnt vmcnt(25)
	v_fma_f64 v[143:144], v[2:3], v[171:172], -v[143:144]
	v_mul_f64 v[139:140], v[123:124], v[167:168]
	;; [unrolled: 9-line block ×5, first 2 shown]
	v_fma_f64 v[137:138], v[4:5], v[177:178], v[137:138]
	ds_read_b128 v[1:4], v1 offset:1808
	v_add_f64 v[135:136], v[135:136], v[147:148]
	s_waitcnt vmcnt(9)
	v_fma_f64 v[123:124], v[123:124], v[188:189], -v[145:146]
	v_add_f64 v[5:6], v[6:7], v[141:142]
	s_waitcnt lgkmcnt(1)
	v_mul_f64 v[141:142], v[129:130], v[184:185]
	v_mul_f64 v[7:8], v[127:128], v[184:185]
	v_fma_f64 v[125:126], v[125:126], v[188:189], v[139:140]
	s_waitcnt vmcnt(7) lgkmcnt(0)
	v_mul_f64 v[139:140], v[3:4], v[192:193]
	v_add_f64 v[135:136], v[135:136], v[143:144]
	v_add_f64 v[5:6], v[5:6], v[137:138]
	s_waitcnt vmcnt(6)
	v_fma_f64 v[127:128], v[127:128], v[186:187], -v[141:142]
	v_mul_f64 v[137:138], v[1:2], v[192:193]
	v_fma_f64 v[7:8], v[129:130], v[186:187], v[7:8]
	v_add_f64 v[123:124], v[135:136], v[123:124]
	v_add_f64 v[5:6], v[5:6], v[125:126]
	s_waitcnt vmcnt(4)
	v_fma_f64 v[1:2], v[1:2], v[133:134], -v[139:140]
	v_fma_f64 v[3:4], v[3:4], v[133:134], v[137:138]
	v_add_f64 v[123:124], v[123:124], v[127:128]
	v_add_f64 v[5:6], v[5:6], v[7:8]
	;; [unrolled: 1-line block ×4, first 2 shown]
	s_waitcnt vmcnt(2)
	v_add_f64 v[1:2], v[131:132], -v[1:2]
	s_waitcnt vmcnt(0)
	v_add_f64 v[3:4], v[194:195], -v[3:4]
	buffer_store_dword v2, off, s[0:3], 0 offset:660
	buffer_store_dword v1, off, s[0:3], 0 offset:656
	;; [unrolled: 1-line block ×4, first 2 shown]
	v_cmpx_lt_u32_e32 39, v0
	s_cbranch_execz .LBB120_277
; %bb.276:
	v_mov_b32_e32 v4, s29
	v_mov_b32_e32 v5, 0
	s_clause 0x3
	buffer_load_dword v1, v4, s[0:3], 0 offen
	buffer_load_dword v2, v4, s[0:3], 0 offen offset:4
	buffer_load_dword v3, v4, s[0:3], 0 offen offset:8
	;; [unrolled: 1-line block ×3, first 2 shown]
	buffer_store_dword v5, off, s[0:3], 0 offset:640
	buffer_store_dword v5, off, s[0:3], 0 offset:644
	;; [unrolled: 1-line block ×4, first 2 shown]
	s_waitcnt vmcnt(0)
	ds_write_b128 v183, v[1:4]
.LBB120_277:
	s_or_b32 exec_lo, exec_lo, s4
	s_waitcnt lgkmcnt(0)
	s_waitcnt_vscnt null, 0x0
	s_barrier
	buffer_gl0_inv
	s_clause 0x37
	buffer_load_dword v6, off, s[0:3], 0 offset:664
	buffer_load_dword v7, off, s[0:3], 0 offset:668
	;; [unrolled: 1-line block ×56, first 2 shown]
	v_mov_b32_e32 v1, 0
	s_mov_b32 s4, exec_lo
	ds_read_b128 v[2:5], v1 offset:1552
	s_clause 0x2
	buffer_load_dword v185, off, s[0:3], 0 offset:892
	buffer_load_dword v189, off, s[0:3], 0 offset:868
	buffer_load_dword v188, off, s[0:3], 0 offset:864
	ds_read_b128 v[123:126], v1 offset:1568
	s_clause 0x4
	buffer_load_dword v193, off, s[0:3], 0 offset:908
	buffer_load_dword v194, off, s[0:3], 0 offset:920
	;; [unrolled: 1-line block ×5, first 2 shown]
	ds_read_b128 v[127:130], v1 offset:1584
	s_waitcnt vmcnt(62) lgkmcnt(2)
	v_mul_f64 v[190:191], v[4:5], v[6:7]
	v_mul_f64 v[6:7], v[2:3], v[6:7]
	s_waitcnt vmcnt(60) lgkmcnt(1)
	v_mul_f64 v[197:198], v[125:126], v[131:132]
	v_mul_f64 v[131:132], v[123:124], v[131:132]
	s_waitcnt vmcnt(56) lgkmcnt(0)
	v_mul_f64 v[199:200], v[127:128], v[135:136]
	v_mul_f64 v[135:136], v[129:130], v[135:136]
	v_fma_f64 v[190:191], v[2:3], v[133:134], -v[190:191]
	v_fma_f64 v[6:7], v[4:5], v[133:134], v[6:7]
	s_clause 0x2
	buffer_load_dword v195, off, s[0:3], 0 offset:924
	buffer_load_dword v134, off, s[0:3], 0 offset:900
	;; [unrolled: 1-line block ×3, first 2 shown]
	s_waitcnt vmcnt(57)
	v_fma_f64 v[201:202], v[123:124], v[137:138], -v[197:198]
	ds_read_b128 v[2:5], v1 offset:1600
	v_fma_f64 v[131:132], v[125:126], v[137:138], v[131:132]
	buffer_load_dword v197, off, s[0:3], 0 offset:916
	ds_read_b128 v[123:126], v1 offset:1616
	s_waitcnt vmcnt(52)
	v_fma_f64 v[135:136], v[127:128], v[145:146], -v[135:136]
	v_fma_f64 v[145:146], v[129:130], v[145:146], v[199:200]
	ds_read_b128 v[127:130], v1 offset:1632
	v_add_f64 v[190:191], v[190:191], 0
	v_add_f64 v[6:7], v[6:7], 0
	s_waitcnt lgkmcnt(2)
	v_mul_f64 v[137:138], v[2:3], v[139:140]
	v_mul_f64 v[139:140], v[4:5], v[139:140]
	v_add_f64 v[190:191], v[190:191], v[201:202]
	v_add_f64 v[6:7], v[6:7], v[131:132]
	s_waitcnt vmcnt(51) lgkmcnt(1)
	v_mul_f64 v[131:132], v[123:124], v[141:142]
	v_mul_f64 v[141:142], v[125:126], v[141:142]
	s_waitcnt vmcnt(49)
	v_fma_f64 v[139:140], v[2:3], v[147:148], -v[139:140]
	v_fma_f64 v[137:138], v[4:5], v[147:148], v[137:138]
	v_add_f64 v[135:136], v[190:191], v[135:136]
	v_add_f64 v[6:7], v[6:7], v[145:146]
	s_clause 0x3
	buffer_load_dword v145, off, s[0:3], 0 offset:640
	buffer_load_dword v146, off, s[0:3], 0 offset:644
	;; [unrolled: 1-line block ×4, first 2 shown]
	s_waitcnt vmcnt(49) lgkmcnt(0)
	v_mul_f64 v[190:191], v[127:128], v[149:150]
	v_mul_f64 v[149:150], v[129:130], v[149:150]
	s_waitcnt vmcnt(48)
	v_fma_f64 v[141:142], v[123:124], v[143:144], -v[141:142]
	ds_read_b128 v[2:5], v1 offset:1648
	v_fma_f64 v[131:132], v[125:126], v[143:144], v[131:132]
	ds_read_b128 v[123:126], v1 offset:1664
	v_add_f64 v[135:136], v[135:136], v[139:140]
	v_add_f64 v[6:7], v[6:7], v[137:138]
	s_waitcnt vmcnt(47) lgkmcnt(1)
	v_mul_f64 v[139:140], v[4:5], v[151:152]
	s_waitcnt vmcnt(45)
	v_fma_f64 v[143:144], v[127:128], v[155:156], -v[149:150]
	v_mul_f64 v[137:138], v[2:3], v[151:152]
	s_waitcnt vmcnt(41) lgkmcnt(0)
	v_mul_f64 v[149:150], v[125:126], v[157:158]
	v_add_f64 v[135:136], v[135:136], v[141:142]
	v_fma_f64 v[141:142], v[129:130], v[155:156], v[190:191]
	v_add_f64 v[6:7], v[6:7], v[131:132]
	ds_read_b128 v[127:130], v1 offset:1680
	s_waitcnt vmcnt(40)
	v_fma_f64 v[139:140], v[2:3], v[153:154], -v[139:140]
	v_mul_f64 v[131:132], v[123:124], v[157:158]
	v_fma_f64 v[137:138], v[4:5], v[153:154], v[137:138]
	ds_read_b128 v[2:5], v1 offset:1696
	s_waitcnt vmcnt(37)
	v_fma_f64 v[149:150], v[123:124], v[163:164], -v[149:150]
	v_add_f64 v[135:136], v[135:136], v[143:144]
	s_waitcnt lgkmcnt(1)
	v_mul_f64 v[143:144], v[129:130], v[159:160]
	v_add_f64 v[6:7], v[6:7], v[141:142]
	v_mul_f64 v[141:142], v[127:128], v[159:160]
	v_fma_f64 v[131:132], v[125:126], v[163:164], v[131:132]
	ds_read_b128 v[123:126], v1 offset:1712
	v_add_f64 v[135:136], v[135:136], v[139:140]
	s_waitcnt vmcnt(33) lgkmcnt(1)
	v_mul_f64 v[139:140], v[4:5], v[165:166]
	v_add_f64 v[6:7], v[6:7], v[137:138]
	s_waitcnt vmcnt(32)
	v_fma_f64 v[143:144], v[127:128], v[161:162], -v[143:144]
	v_mul_f64 v[137:138], v[2:3], v[165:166]
	v_fma_f64 v[141:142], v[129:130], v[161:162], v[141:142]
	ds_read_b128 v[127:130], v1 offset:1728
	v_add_f64 v[135:136], v[135:136], v[149:150]
	s_waitcnt vmcnt(31) lgkmcnt(1)
	v_mul_f64 v[149:150], v[125:126], v[167:168]
	v_add_f64 v[6:7], v[6:7], v[131:132]
	s_waitcnt vmcnt(29)
	v_fma_f64 v[139:140], v[2:3], v[171:172], -v[139:140]
	;; [unrolled: 9-line block ×7, first 2 shown]
	v_mul_f64 v[137:138], v[2:3], v[192:193]
	v_fma_f64 v[129:130], v[129:130], v[186:187], v[141:142]
	v_add_f64 v[135:136], v[135:136], v[149:150]
	v_add_f64 v[6:7], v[6:7], v[131:132]
	s_waitcnt vmcnt(7) lgkmcnt(0)
	v_mul_f64 v[141:142], v[125:126], v[194:195]
	v_mul_f64 v[131:132], v[123:124], v[194:195]
	s_waitcnt vmcnt(5)
	v_fma_f64 v[2:3], v[2:3], v[133:134], -v[139:140]
	v_fma_f64 v[4:5], v[4:5], v[133:134], v[137:138]
	v_add_f64 v[127:128], v[135:136], v[127:128]
	v_add_f64 v[6:7], v[6:7], v[129:130]
	s_waitcnt vmcnt(4)
	v_fma_f64 v[123:124], v[123:124], v[196:197], -v[141:142]
	v_fma_f64 v[125:126], v[125:126], v[196:197], v[131:132]
	v_add_f64 v[2:3], v[127:128], v[2:3]
	v_add_f64 v[4:5], v[6:7], v[4:5]
	;; [unrolled: 1-line block ×4, first 2 shown]
	s_waitcnt vmcnt(2)
	v_add_f64 v[2:3], v[145:146], -v[2:3]
	s_waitcnt vmcnt(0)
	v_add_f64 v[4:5], v[147:148], -v[4:5]
	buffer_store_dword v3, off, s[0:3], 0 offset:644
	buffer_store_dword v2, off, s[0:3], 0 offset:640
	;; [unrolled: 1-line block ×4, first 2 shown]
	v_cmpx_lt_u32_e32 38, v0
	s_cbranch_execz .LBB120_279
; %bb.278:
	v_mov_b32_e32 v5, s30
	s_clause 0x3
	buffer_load_dword v2, v5, s[0:3], 0 offen
	buffer_load_dword v3, v5, s[0:3], 0 offen offset:4
	buffer_load_dword v4, v5, s[0:3], 0 offen offset:8
	;; [unrolled: 1-line block ×3, first 2 shown]
	buffer_store_dword v1, off, s[0:3], 0 offset:624
	buffer_store_dword v1, off, s[0:3], 0 offset:628
	;; [unrolled: 1-line block ×4, first 2 shown]
	s_waitcnt vmcnt(0)
	ds_write_b128 v183, v[2:5]
.LBB120_279:
	s_or_b32 exec_lo, exec_lo, s4
	s_waitcnt lgkmcnt(0)
	s_waitcnt_vscnt null, 0x0
	s_barrier
	buffer_gl0_inv
	s_clause 0x37
	buffer_load_dword v6, off, s[0:3], 0 offset:648
	buffer_load_dword v7, off, s[0:3], 0 offset:652
	;; [unrolled: 1-line block ×56, first 2 shown]
	ds_read_b128 v[2:5], v1 offset:1536
	s_clause 0x2
	buffer_load_dword v185, off, s[0:3], 0 offset:876
	buffer_load_dword v189, off, s[0:3], 0 offset:852
	;; [unrolled: 1-line block ×3, first 2 shown]
	ds_read_b128 v[123:126], v1 offset:1552
	s_clause 0x4
	buffer_load_dword v193, off, s[0:3], 0 offset:892
	buffer_load_dword v194, off, s[0:3], 0 offset:904
	;; [unrolled: 1-line block ×5, first 2 shown]
	ds_read_b128 v[127:130], v1 offset:1568
	s_mov_b32 s4, exec_lo
	s_waitcnt vmcnt(62) lgkmcnt(2)
	v_mul_f64 v[190:191], v[4:5], v[6:7]
	v_mul_f64 v[6:7], v[2:3], v[6:7]
	s_waitcnt vmcnt(60) lgkmcnt(1)
	v_mul_f64 v[197:198], v[125:126], v[131:132]
	v_mul_f64 v[131:132], v[123:124], v[131:132]
	;; [unrolled: 3-line block ×3, first 2 shown]
	v_fma_f64 v[190:191], v[2:3], v[133:134], -v[190:191]
	v_fma_f64 v[6:7], v[4:5], v[133:134], v[6:7]
	s_clause 0x2
	buffer_load_dword v195, off, s[0:3], 0 offset:908
	buffer_load_dword v134, off, s[0:3], 0 offset:884
	;; [unrolled: 1-line block ×3, first 2 shown]
	s_waitcnt vmcnt(57)
	v_fma_f64 v[201:202], v[123:124], v[137:138], -v[197:198]
	ds_read_b128 v[2:5], v1 offset:1584
	v_fma_f64 v[131:132], v[125:126], v[137:138], v[131:132]
	s_clause 0x2
	buffer_load_dword v138, off, s[0:3], 0 offset:924
	buffer_load_dword v137, off, s[0:3], 0 offset:920
	;; [unrolled: 1-line block ×3, first 2 shown]
	s_waitcnt vmcnt(54)
	v_fma_f64 v[135:136], v[127:128], v[145:146], -v[135:136]
	ds_read_b128 v[123:126], v1 offset:1600
	v_fma_f64 v[145:146], v[129:130], v[145:146], v[199:200]
	v_add_f64 v[190:191], v[190:191], 0
	v_add_f64 v[6:7], v[6:7], 0
	s_waitcnt lgkmcnt(1)
	v_mul_f64 v[203:204], v[2:3], v[139:140]
	v_mul_f64 v[139:140], v[4:5], v[139:140]
	s_waitcnt vmcnt(53) lgkmcnt(0)
	v_mul_f64 v[198:199], v[123:124], v[141:142]
	v_mul_f64 v[141:142], v[125:126], v[141:142]
	v_add_f64 v[190:191], v[190:191], v[201:202]
	v_add_f64 v[6:7], v[6:7], v[131:132]
	s_clause 0x1
	buffer_load_dword v132, off, s[0:3], 0 offset:916
	buffer_load_dword v131, off, s[0:3], 0 offset:912
	s_waitcnt vmcnt(53)
	v_fma_f64 v[139:140], v[2:3], v[147:148], -v[139:140]
	ds_read_b128 v[127:130], v1 offset:1616
	v_fma_f64 v[147:148], v[4:5], v[147:148], v[203:204]
	ds_read_b128 v[2:5], v1 offset:1632
	s_waitcnt vmcnt(48)
	v_fma_f64 v[141:142], v[123:124], v[143:144], -v[141:142]
	v_add_f64 v[135:136], v[190:191], v[135:136]
	v_add_f64 v[6:7], v[6:7], v[145:146]
	s_waitcnt lgkmcnt(1)
	v_mul_f64 v[145:146], v[127:128], v[149:150]
	v_mul_f64 v[149:150], v[129:130], v[149:150]
	s_waitcnt vmcnt(47) lgkmcnt(0)
	v_mul_f64 v[190:191], v[2:3], v[151:152]
	v_mul_f64 v[151:152], v[4:5], v[151:152]
	v_add_f64 v[135:136], v[135:136], v[139:140]
	v_fma_f64 v[139:140], v[125:126], v[143:144], v[198:199]
	v_add_f64 v[6:7], v[6:7], v[147:148]
	s_clause 0x3
	buffer_load_dword v143, off, s[0:3], 0 offset:624
	buffer_load_dword v144, off, s[0:3], 0 offset:628
	;; [unrolled: 1-line block ×4, first 2 shown]
	s_waitcnt vmcnt(49)
	v_fma_f64 v[149:150], v[127:128], v[155:156], -v[149:150]
	ds_read_b128 v[123:126], v1 offset:1648
	s_waitcnt vmcnt(44)
	v_fma_f64 v[151:152], v[2:3], v[153:154], -v[151:152]
	v_add_f64 v[135:136], v[135:136], v[141:142]
	v_fma_f64 v[141:142], v[129:130], v[155:156], v[145:146]
	v_add_f64 v[6:7], v[6:7], v[139:140]
	ds_read_b128 v[127:130], v1 offset:1664
	s_waitcnt lgkmcnt(1)
	v_mul_f64 v[145:146], v[125:126], v[157:158]
	v_mul_f64 v[139:140], v[123:124], v[157:158]
	v_add_f64 v[135:136], v[135:136], v[149:150]
	v_fma_f64 v[149:150], v[4:5], v[153:154], v[190:191]
	v_add_f64 v[6:7], v[6:7], v[141:142]
	s_waitcnt vmcnt(43) lgkmcnt(0)
	v_mul_f64 v[153:154], v[129:130], v[159:160]
	s_waitcnt vmcnt(41)
	v_fma_f64 v[145:146], v[123:124], v[163:164], -v[145:146]
	ds_read_b128 v[2:5], v1 offset:1680
	v_mul_f64 v[141:142], v[127:128], v[159:160]
	v_fma_f64 v[139:140], v[125:126], v[163:164], v[139:140]
	ds_read_b128 v[123:126], v1 offset:1696
	v_add_f64 v[135:136], v[135:136], v[151:152]
	v_add_f64 v[6:7], v[6:7], v[149:150]
	s_waitcnt vmcnt(37) lgkmcnt(1)
	v_mul_f64 v[151:152], v[4:5], v[165:166]
	s_waitcnt vmcnt(36)
	v_fma_f64 v[153:154], v[127:128], v[161:162], -v[153:154]
	v_mul_f64 v[149:150], v[2:3], v[165:166]
	v_fma_f64 v[141:142], v[129:130], v[161:162], v[141:142]
	ds_read_b128 v[127:130], v1 offset:1712
	v_add_f64 v[135:136], v[135:136], v[145:146]
	s_waitcnt vmcnt(35) lgkmcnt(1)
	v_mul_f64 v[145:146], v[125:126], v[167:168]
	v_add_f64 v[6:7], v[6:7], v[139:140]
	s_waitcnt vmcnt(33)
	v_fma_f64 v[151:152], v[2:3], v[171:172], -v[151:152]
	v_mul_f64 v[139:140], v[123:124], v[167:168]
	v_fma_f64 v[149:150], v[4:5], v[171:172], v[149:150]
	ds_read_b128 v[2:5], v1 offset:1728
	v_add_f64 v[135:136], v[135:136], v[153:154]
	s_waitcnt vmcnt(29) lgkmcnt(1)
	v_mul_f64 v[153:154], v[129:130], v[173:174]
	v_add_f64 v[6:7], v[6:7], v[141:142]
	;; [unrolled: 9-line block ×6, first 2 shown]
	s_waitcnt vmcnt(12)
	v_fma_f64 v[153:154], v[127:128], v[186:187], -v[153:154]
	v_mul_f64 v[149:150], v[2:3], v[192:193]
	v_fma_f64 v[141:142], v[129:130], v[186:187], v[141:142]
	ds_read_b128 v[127:130], v1 offset:1808
	v_add_f64 v[135:136], v[135:136], v[145:146]
	v_add_f64 v[6:7], v[6:7], v[139:140]
	s_waitcnt vmcnt(11) lgkmcnt(1)
	v_mul_f64 v[145:146], v[125:126], v[194:195]
	v_mul_f64 v[139:140], v[123:124], v[194:195]
	s_waitcnt vmcnt(9)
	v_fma_f64 v[1:2], v[2:3], v[133:134], -v[151:152]
	v_fma_f64 v[3:4], v[4:5], v[133:134], v[149:150]
	s_waitcnt vmcnt(7) lgkmcnt(0)
	v_mul_f64 v[133:134], v[129:130], v[137:138]
	v_add_f64 v[135:136], v[135:136], v[153:154]
	v_add_f64 v[5:6], v[6:7], v[141:142]
	v_mul_f64 v[7:8], v[127:128], v[137:138]
	s_waitcnt vmcnt(6)
	v_fma_f64 v[123:124], v[123:124], v[196:197], -v[145:146]
	v_fma_f64 v[125:126], v[125:126], v[196:197], v[139:140]
	v_add_f64 v[1:2], v[135:136], v[1:2]
	v_add_f64 v[3:4], v[5:6], v[3:4]
	s_waitcnt vmcnt(4)
	v_fma_f64 v[5:6], v[127:128], v[131:132], -v[133:134]
	v_fma_f64 v[7:8], v[129:130], v[131:132], v[7:8]
	v_add_f64 v[1:2], v[1:2], v[123:124]
	v_add_f64 v[3:4], v[3:4], v[125:126]
	v_add_f64 v[1:2], v[1:2], v[5:6]
	v_add_f64 v[3:4], v[3:4], v[7:8]
	s_waitcnt vmcnt(2)
	v_add_f64 v[1:2], v[143:144], -v[1:2]
	s_waitcnt vmcnt(0)
	v_add_f64 v[3:4], v[147:148], -v[3:4]
	buffer_store_dword v2, off, s[0:3], 0 offset:628
	buffer_store_dword v1, off, s[0:3], 0 offset:624
	;; [unrolled: 1-line block ×4, first 2 shown]
	v_cmpx_lt_u32_e32 37, v0
	s_cbranch_execz .LBB120_281
; %bb.280:
	v_mov_b32_e32 v4, s31
	v_mov_b32_e32 v5, 0
	s_clause 0x3
	buffer_load_dword v1, v4, s[0:3], 0 offen
	buffer_load_dword v2, v4, s[0:3], 0 offen offset:4
	buffer_load_dword v3, v4, s[0:3], 0 offen offset:8
	;; [unrolled: 1-line block ×3, first 2 shown]
	buffer_store_dword v5, off, s[0:3], 0 offset:608
	buffer_store_dword v5, off, s[0:3], 0 offset:612
	;; [unrolled: 1-line block ×4, first 2 shown]
	s_waitcnt vmcnt(0)
	ds_write_b128 v183, v[1:4]
.LBB120_281:
	s_or_b32 exec_lo, exec_lo, s4
	s_waitcnt lgkmcnt(0)
	s_waitcnt_vscnt null, 0x0
	s_barrier
	buffer_gl0_inv
	s_clause 0x37
	buffer_load_dword v6, off, s[0:3], 0 offset:632
	buffer_load_dword v7, off, s[0:3], 0 offset:636
	;; [unrolled: 1-line block ×56, first 2 shown]
	v_mov_b32_e32 v1, 0
	s_mov_b32 s4, exec_lo
	ds_read_b128 v[2:5], v1 offset:1520
	s_clause 0x2
	buffer_load_dword v185, off, s[0:3], 0 offset:860
	buffer_load_dword v189, off, s[0:3], 0 offset:836
	;; [unrolled: 1-line block ×3, first 2 shown]
	ds_read_b128 v[123:126], v1 offset:1536
	s_clause 0x4
	buffer_load_dword v193, off, s[0:3], 0 offset:876
	buffer_load_dword v194, off, s[0:3], 0 offset:888
	;; [unrolled: 1-line block ×5, first 2 shown]
	ds_read_b128 v[127:130], v1 offset:1552
	s_waitcnt vmcnt(62) lgkmcnt(2)
	v_mul_f64 v[190:191], v[4:5], v[6:7]
	v_mul_f64 v[6:7], v[2:3], v[6:7]
	s_waitcnt vmcnt(60) lgkmcnt(1)
	v_mul_f64 v[197:198], v[125:126], v[131:132]
	v_mul_f64 v[131:132], v[123:124], v[131:132]
	;; [unrolled: 3-line block ×3, first 2 shown]
	v_fma_f64 v[190:191], v[2:3], v[133:134], -v[190:191]
	v_fma_f64 v[6:7], v[4:5], v[133:134], v[6:7]
	s_clause 0x2
	buffer_load_dword v195, off, s[0:3], 0 offset:892
	buffer_load_dword v134, off, s[0:3], 0 offset:868
	;; [unrolled: 1-line block ×3, first 2 shown]
	s_waitcnt vmcnt(57)
	v_fma_f64 v[201:202], v[123:124], v[137:138], -v[197:198]
	ds_read_b128 v[2:5], v1 offset:1568
	v_fma_f64 v[131:132], v[125:126], v[137:138], v[131:132]
	s_clause 0x4
	buffer_load_dword v138, off, s[0:3], 0 offset:908
	buffer_load_dword v198, off, s[0:3], 0 offset:920
	;; [unrolled: 1-line block ×5, first 2 shown]
	s_waitcnt vmcnt(56)
	v_fma_f64 v[135:136], v[127:128], v[145:146], -v[135:136]
	ds_read_b128 v[123:126], v1 offset:1584
	v_fma_f64 v[145:146], v[129:130], v[145:146], v[199:200]
	v_add_f64 v[190:191], v[190:191], 0
	v_add_f64 v[6:7], v[6:7], 0
	s_waitcnt lgkmcnt(1)
	v_mul_f64 v[204:205], v[2:3], v[139:140]
	v_mul_f64 v[139:140], v[4:5], v[139:140]
	v_add_f64 v[190:191], v[190:191], v[201:202]
	v_add_f64 v[6:7], v[6:7], v[131:132]
	s_clause 0x2
	buffer_load_dword v199, off, s[0:3], 0 offset:924
	buffer_load_dword v132, off, s[0:3], 0 offset:900
	;; [unrolled: 1-line block ×3, first 2 shown]
	s_waitcnt vmcnt(58) lgkmcnt(0)
	v_mul_f64 v[200:201], v[123:124], v[141:142]
	v_mul_f64 v[141:142], v[125:126], v[141:142]
	s_waitcnt vmcnt(56)
	v_fma_f64 v[139:140], v[2:3], v[147:148], -v[139:140]
	ds_read_b128 v[127:130], v1 offset:1600
	v_fma_f64 v[147:148], v[4:5], v[147:148], v[204:205]
	buffer_load_dword v204, off, s[0:3], 0 offset:916
	ds_read_b128 v[2:5], v1 offset:1616
	v_add_f64 v[135:136], v[190:191], v[135:136]
	v_add_f64 v[6:7], v[6:7], v[145:146]
	s_waitcnt vmcnt(53) lgkmcnt(1)
	v_mul_f64 v[145:146], v[127:128], v[149:150]
	v_mul_f64 v[149:150], v[129:130], v[149:150]
	s_waitcnt vmcnt(52)
	v_fma_f64 v[141:142], v[123:124], v[143:144], -v[141:142]
	v_add_f64 v[135:136], v[135:136], v[139:140]
	v_fma_f64 v[139:140], v[125:126], v[143:144], v[200:201]
	v_add_f64 v[6:7], v[6:7], v[147:148]
	s_waitcnt vmcnt(51) lgkmcnt(0)
	v_mul_f64 v[147:148], v[4:5], v[151:152]
	ds_read_b128 v[123:126], v1 offset:1632
	s_waitcnt vmcnt(49)
	v_fma_f64 v[149:150], v[127:128], v[155:156], -v[149:150]
	v_mul_f64 v[143:144], v[2:3], v[151:152]
	v_add_f64 v[135:136], v[135:136], v[141:142]
	v_fma_f64 v[141:142], v[129:130], v[155:156], v[145:146]
	v_add_f64 v[6:7], v[6:7], v[139:140]
	s_clause 0x3
	buffer_load_dword v139, off, s[0:3], 0 offset:608
	buffer_load_dword v140, off, s[0:3], 0 offset:612
	;; [unrolled: 1-line block ×4, first 2 shown]
	s_waitcnt vmcnt(49) lgkmcnt(0)
	v_mul_f64 v[155:156], v[125:126], v[157:158]
	s_waitcnt vmcnt(48)
	v_fma_f64 v[147:148], v[2:3], v[153:154], -v[147:148]
	ds_read_b128 v[127:130], v1 offset:1648
	v_mul_f64 v[151:152], v[123:124], v[157:158]
	v_fma_f64 v[143:144], v[4:5], v[153:154], v[143:144]
	ds_read_b128 v[2:5], v1 offset:1664
	v_add_f64 v[135:136], v[135:136], v[149:150]
	v_add_f64 v[6:7], v[6:7], v[141:142]
	s_waitcnt vmcnt(47) lgkmcnt(1)
	v_mul_f64 v[149:150], v[129:130], v[159:160]
	s_waitcnt vmcnt(45)
	v_fma_f64 v[153:154], v[123:124], v[163:164], -v[155:156]
	v_mul_f64 v[141:142], v[127:128], v[159:160]
	v_add_f64 v[135:136], v[135:136], v[147:148]
	v_fma_f64 v[147:148], v[125:126], v[163:164], v[151:152]
	v_add_f64 v[6:7], v[6:7], v[143:144]
	s_waitcnt vmcnt(41) lgkmcnt(0)
	v_mul_f64 v[151:152], v[4:5], v[165:166]
	s_waitcnt vmcnt(40)
	v_fma_f64 v[149:150], v[127:128], v[161:162], -v[149:150]
	ds_read_b128 v[123:126], v1 offset:1680
	v_mul_f64 v[143:144], v[2:3], v[165:166]
	v_fma_f64 v[141:142], v[129:130], v[161:162], v[141:142]
	ds_read_b128 v[127:130], v1 offset:1696
	v_add_f64 v[135:136], v[135:136], v[153:154]
	v_add_f64 v[6:7], v[6:7], v[147:148]
	s_waitcnt vmcnt(39) lgkmcnt(1)
	v_mul_f64 v[153:154], v[125:126], v[167:168]
	s_waitcnt vmcnt(37)
	v_fma_f64 v[151:152], v[2:3], v[171:172], -v[151:152]
	v_mul_f64 v[147:148], v[123:124], v[167:168]
	v_fma_f64 v[143:144], v[4:5], v[171:172], v[143:144]
	ds_read_b128 v[2:5], v1 offset:1712
	v_add_f64 v[135:136], v[135:136], v[149:150]
	s_waitcnt vmcnt(33) lgkmcnt(1)
	v_mul_f64 v[149:150], v[129:130], v[173:174]
	v_add_f64 v[6:7], v[6:7], v[141:142]
	s_waitcnt vmcnt(32)
	v_fma_f64 v[153:154], v[123:124], v[169:170], -v[153:154]
	v_mul_f64 v[141:142], v[127:128], v[173:174]
	v_fma_f64 v[147:148], v[125:126], v[169:170], v[147:148]
	ds_read_b128 v[123:126], v1 offset:1728
	v_add_f64 v[135:136], v[135:136], v[151:152]
	s_waitcnt vmcnt(31) lgkmcnt(1)
	v_mul_f64 v[151:152], v[4:5], v[175:176]
	v_add_f64 v[6:7], v[6:7], v[143:144]
	;; [unrolled: 9-line block ×5, first 2 shown]
	s_waitcnt vmcnt(16)
	v_fma_f64 v[149:150], v[127:128], v[186:187], -v[149:150]
	v_mul_f64 v[143:144], v[2:3], v[192:193]
	v_fma_f64 v[141:142], v[129:130], v[186:187], v[141:142]
	ds_read_b128 v[127:130], v1 offset:1792
	v_add_f64 v[135:136], v[135:136], v[153:154]
	v_add_f64 v[6:7], v[6:7], v[147:148]
	s_waitcnt vmcnt(15) lgkmcnt(1)
	v_mul_f64 v[153:154], v[125:126], v[194:195]
	v_mul_f64 v[147:148], v[123:124], v[194:195]
	s_waitcnt vmcnt(13)
	v_fma_f64 v[151:152], v[2:3], v[133:134], -v[151:152]
	v_fma_f64 v[133:134], v[4:5], v[133:134], v[143:144]
	ds_read_b128 v[2:5], v1 offset:1808
	v_add_f64 v[135:136], v[135:136], v[149:150]
	v_add_f64 v[6:7], v[6:7], v[141:142]
	s_waitcnt vmcnt(9) lgkmcnt(1)
	v_mul_f64 v[141:142], v[127:128], v[137:138]
	v_mul_f64 v[137:138], v[129:130], v[137:138]
	s_waitcnt vmcnt(8)
	v_fma_f64 v[123:124], v[123:124], v[196:197], -v[153:154]
	v_fma_f64 v[125:126], v[125:126], v[196:197], v[147:148]
	v_add_f64 v[135:136], v[135:136], v[151:152]
	v_add_f64 v[6:7], v[6:7], v[133:134]
	s_waitcnt vmcnt(7) lgkmcnt(0)
	v_mul_f64 v[143:144], v[4:5], v[198:199]
	v_mul_f64 v[133:134], v[2:3], v[198:199]
	s_waitcnt vmcnt(5)
	v_fma_f64 v[127:128], v[127:128], v[131:132], -v[137:138]
	v_fma_f64 v[129:130], v[129:130], v[131:132], v[141:142]
	v_add_f64 v[123:124], v[135:136], v[123:124]
	v_add_f64 v[6:7], v[6:7], v[125:126]
	s_waitcnt vmcnt(4)
	v_fma_f64 v[2:3], v[2:3], v[203:204], -v[143:144]
	v_fma_f64 v[4:5], v[4:5], v[203:204], v[133:134]
	v_add_f64 v[123:124], v[123:124], v[127:128]
	v_add_f64 v[6:7], v[6:7], v[129:130]
	;; [unrolled: 1-line block ×4, first 2 shown]
	s_waitcnt vmcnt(2)
	v_add_f64 v[2:3], v[139:140], -v[2:3]
	s_waitcnt vmcnt(0)
	v_add_f64 v[4:5], v[145:146], -v[4:5]
	buffer_store_dword v3, off, s[0:3], 0 offset:612
	buffer_store_dword v2, off, s[0:3], 0 offset:608
	;; [unrolled: 1-line block ×4, first 2 shown]
	v_cmpx_lt_u32_e32 36, v0
	s_cbranch_execz .LBB120_283
; %bb.282:
	v_mov_b32_e32 v5, s33
	s_clause 0x3
	buffer_load_dword v2, v5, s[0:3], 0 offen
	buffer_load_dword v3, v5, s[0:3], 0 offen offset:4
	buffer_load_dword v4, v5, s[0:3], 0 offen offset:8
	;; [unrolled: 1-line block ×3, first 2 shown]
	buffer_store_dword v1, off, s[0:3], 0 offset:592
	buffer_store_dword v1, off, s[0:3], 0 offset:596
	;; [unrolled: 1-line block ×4, first 2 shown]
	s_waitcnt vmcnt(0)
	ds_write_b128 v183, v[2:5]
.LBB120_283:
	s_or_b32 exec_lo, exec_lo, s4
	s_waitcnt lgkmcnt(0)
	s_waitcnt_vscnt null, 0x0
	s_barrier
	buffer_gl0_inv
	s_clause 0x37
	buffer_load_dword v6, off, s[0:3], 0 offset:616
	buffer_load_dword v7, off, s[0:3], 0 offset:620
	;; [unrolled: 1-line block ×56, first 2 shown]
	ds_read_b128 v[2:5], v1 offset:1504
	s_clause 0x2
	buffer_load_dword v185, off, s[0:3], 0 offset:844
	buffer_load_dword v189, off, s[0:3], 0 offset:820
	;; [unrolled: 1-line block ×3, first 2 shown]
	ds_read_b128 v[123:126], v1 offset:1520
	s_clause 0x4
	buffer_load_dword v193, off, s[0:3], 0 offset:860
	buffer_load_dword v194, off, s[0:3], 0 offset:872
	;; [unrolled: 1-line block ×5, first 2 shown]
	ds_read_b128 v[127:130], v1 offset:1536
	s_mov_b32 s4, exec_lo
	s_waitcnt vmcnt(62) lgkmcnt(2)
	v_mul_f64 v[190:191], v[4:5], v[6:7]
	v_mul_f64 v[6:7], v[2:3], v[6:7]
	s_waitcnt vmcnt(60) lgkmcnt(1)
	v_mul_f64 v[197:198], v[125:126], v[131:132]
	v_mul_f64 v[131:132], v[123:124], v[131:132]
	;; [unrolled: 3-line block ×3, first 2 shown]
	v_fma_f64 v[190:191], v[2:3], v[133:134], -v[190:191]
	v_fma_f64 v[6:7], v[4:5], v[133:134], v[6:7]
	s_clause 0x2
	buffer_load_dword v195, off, s[0:3], 0 offset:876
	buffer_load_dword v134, off, s[0:3], 0 offset:852
	;; [unrolled: 1-line block ×3, first 2 shown]
	s_waitcnt vmcnt(57)
	v_fma_f64 v[201:202], v[123:124], v[137:138], -v[197:198]
	ds_read_b128 v[2:5], v1 offset:1552
	v_fma_f64 v[131:132], v[125:126], v[137:138], v[131:132]
	s_clause 0x4
	buffer_load_dword v138, off, s[0:3], 0 offset:892
	buffer_load_dword v198, off, s[0:3], 0 offset:904
	;; [unrolled: 1-line block ×5, first 2 shown]
	s_waitcnt vmcnt(56)
	v_fma_f64 v[135:136], v[127:128], v[145:146], -v[135:136]
	ds_read_b128 v[123:126], v1 offset:1568
	v_fma_f64 v[145:146], v[129:130], v[145:146], v[199:200]
	v_add_f64 v[190:191], v[190:191], 0
	v_add_f64 v[6:7], v[6:7], 0
	s_waitcnt lgkmcnt(1)
	v_mul_f64 v[204:205], v[2:3], v[139:140]
	v_mul_f64 v[139:140], v[4:5], v[139:140]
	v_add_f64 v[190:191], v[190:191], v[201:202]
	v_add_f64 v[6:7], v[6:7], v[131:132]
	s_clause 0x2
	buffer_load_dword v199, off, s[0:3], 0 offset:908
	buffer_load_dword v132, off, s[0:3], 0 offset:884
	;; [unrolled: 1-line block ×3, first 2 shown]
	s_waitcnt vmcnt(58) lgkmcnt(0)
	v_mul_f64 v[200:201], v[123:124], v[141:142]
	v_mul_f64 v[141:142], v[125:126], v[141:142]
	s_waitcnt vmcnt(56)
	v_fma_f64 v[139:140], v[2:3], v[147:148], -v[139:140]
	ds_read_b128 v[127:130], v1 offset:1584
	v_fma_f64 v[147:148], v[4:5], v[147:148], v[204:205]
	v_add_f64 v[135:136], v[190:191], v[135:136]
	v_add_f64 v[6:7], v[6:7], v[145:146]
	s_clause 0x2
	buffer_load_dword v146, off, s[0:3], 0 offset:924
	buffer_load_dword v145, off, s[0:3], 0 offset:920
	;; [unrolled: 1-line block ×3, first 2 shown]
	ds_read_b128 v[2:5], v1 offset:1600
	s_waitcnt vmcnt(55) lgkmcnt(1)
	v_mul_f64 v[190:191], v[127:128], v[149:150]
	v_mul_f64 v[149:150], v[129:130], v[149:150]
	s_waitcnt vmcnt(54)
	v_fma_f64 v[141:142], v[123:124], v[143:144], -v[141:142]
	v_add_f64 v[135:136], v[135:136], v[139:140]
	v_fma_f64 v[139:140], v[125:126], v[143:144], v[200:201]
	v_add_f64 v[6:7], v[6:7], v[147:148]
	s_clause 0x1
	buffer_load_dword v144, off, s[0:3], 0 offset:916
	buffer_load_dword v143, off, s[0:3], 0 offset:912
	s_waitcnt vmcnt(55) lgkmcnt(0)
	v_mul_f64 v[147:148], v[2:3], v[151:152]
	v_mul_f64 v[151:152], v[4:5], v[151:152]
	s_waitcnt vmcnt(53)
	v_fma_f64 v[149:150], v[127:128], v[155:156], -v[149:150]
	ds_read_b128 v[123:126], v1 offset:1616
	v_add_f64 v[135:136], v[135:136], v[141:142]
	v_fma_f64 v[141:142], v[129:130], v[155:156], v[190:191]
	v_add_f64 v[6:7], v[6:7], v[139:140]
	ds_read_b128 v[127:130], v1 offset:1632
	s_waitcnt vmcnt(48)
	v_fma_f64 v[147:148], v[4:5], v[153:154], v[147:148]
	s_waitcnt lgkmcnt(1)
	v_mul_f64 v[155:156], v[125:126], v[157:158]
	v_fma_f64 v[151:152], v[2:3], v[153:154], -v[151:152]
	v_mul_f64 v[139:140], v[123:124], v[157:158]
	v_add_f64 v[135:136], v[135:136], v[149:150]
	s_waitcnt vmcnt(47) lgkmcnt(0)
	v_mul_f64 v[157:158], v[129:130], v[159:160]
	v_add_f64 v[6:7], v[6:7], v[141:142]
	s_clause 0x3
	buffer_load_dword v141, off, s[0:3], 0 offset:592
	buffer_load_dword v142, off, s[0:3], 0 offset:596
	;; [unrolled: 1-line block ×4, first 2 shown]
	ds_read_b128 v[2:5], v1 offset:1648
	s_waitcnt vmcnt(49)
	v_fma_f64 v[155:156], v[123:124], v[163:164], -v[155:156]
	v_mul_f64 v[153:154], v[127:128], v[159:160]
	v_fma_f64 v[139:140], v[125:126], v[163:164], v[139:140]
	ds_read_b128 v[123:126], v1 offset:1664
	v_add_f64 v[135:136], v[135:136], v[151:152]
	s_waitcnt vmcnt(44)
	v_fma_f64 v[157:158], v[127:128], v[161:162], -v[157:158]
	v_add_f64 v[6:7], v[6:7], v[147:148]
	s_waitcnt lgkmcnt(1)
	v_mul_f64 v[151:152], v[4:5], v[165:166]
	v_mul_f64 v[147:148], v[2:3], v[165:166]
	v_fma_f64 v[153:154], v[129:130], v[161:162], v[153:154]
	ds_read_b128 v[127:130], v1 offset:1680
	v_add_f64 v[135:136], v[135:136], v[155:156]
	s_waitcnt vmcnt(43) lgkmcnt(1)
	v_mul_f64 v[155:156], v[125:126], v[167:168]
	v_add_f64 v[6:7], v[6:7], v[139:140]
	s_waitcnt vmcnt(41)
	v_fma_f64 v[151:152], v[2:3], v[171:172], -v[151:152]
	v_mul_f64 v[139:140], v[123:124], v[167:168]
	v_fma_f64 v[147:148], v[4:5], v[171:172], v[147:148]
	ds_read_b128 v[2:5], v1 offset:1696
	v_add_f64 v[135:136], v[135:136], v[157:158]
	s_waitcnt vmcnt(37) lgkmcnt(1)
	v_mul_f64 v[157:158], v[129:130], v[173:174]
	v_add_f64 v[6:7], v[6:7], v[153:154]
	s_waitcnt vmcnt(36)
	v_fma_f64 v[155:156], v[123:124], v[169:170], -v[155:156]
	;; [unrolled: 9-line block ×6, first 2 shown]
	v_mul_f64 v[147:148], v[2:3], v[192:193]
	v_fma_f64 v[153:154], v[129:130], v[186:187], v[153:154]
	ds_read_b128 v[127:130], v1 offset:1776
	v_add_f64 v[135:136], v[135:136], v[155:156]
	v_add_f64 v[6:7], v[6:7], v[139:140]
	s_waitcnt vmcnt(19) lgkmcnt(1)
	v_mul_f64 v[155:156], v[125:126], v[194:195]
	v_mul_f64 v[139:140], v[123:124], v[194:195]
	s_waitcnt vmcnt(17)
	v_fma_f64 v[151:152], v[2:3], v[133:134], -v[151:152]
	v_fma_f64 v[133:134], v[4:5], v[133:134], v[147:148]
	ds_read_b128 v[2:5], v1 offset:1792
	s_waitcnt vmcnt(13) lgkmcnt(1)
	v_mul_f64 v[147:148], v[127:128], v[137:138]
	v_mul_f64 v[137:138], v[129:130], v[137:138]
	v_add_f64 v[135:136], v[135:136], v[157:158]
	v_add_f64 v[6:7], v[6:7], v[153:154]
	s_waitcnt vmcnt(12)
	v_fma_f64 v[153:154], v[123:124], v[196:197], -v[155:156]
	v_fma_f64 v[139:140], v[125:126], v[196:197], v[139:140]
	ds_read_b128 v[123:126], v1 offset:1808
	v_add_f64 v[135:136], v[135:136], v[151:152]
	v_add_f64 v[6:7], v[6:7], v[133:134]
	s_waitcnt vmcnt(11) lgkmcnt(1)
	v_mul_f64 v[151:152], v[4:5], v[198:199]
	v_mul_f64 v[133:134], v[2:3], v[198:199]
	s_waitcnt vmcnt(9)
	v_fma_f64 v[127:128], v[127:128], v[131:132], -v[137:138]
	v_fma_f64 v[129:130], v[129:130], v[131:132], v[147:148]
	v_add_f64 v[135:136], v[135:136], v[153:154]
	v_add_f64 v[6:7], v[6:7], v[139:140]
	s_waitcnt vmcnt(7) lgkmcnt(0)
	v_mul_f64 v[137:138], v[125:126], v[145:146]
	s_waitcnt vmcnt(6)
	v_fma_f64 v[1:2], v[2:3], v[203:204], -v[151:152]
	v_mul_f64 v[131:132], v[123:124], v[145:146]
	v_fma_f64 v[3:4], v[4:5], v[203:204], v[133:134]
	v_add_f64 v[127:128], v[135:136], v[127:128]
	v_add_f64 v[5:6], v[6:7], v[129:130]
	s_waitcnt vmcnt(4)
	v_fma_f64 v[7:8], v[123:124], v[143:144], -v[137:138]
	v_fma_f64 v[123:124], v[125:126], v[143:144], v[131:132]
	v_add_f64 v[1:2], v[127:128], v[1:2]
	v_add_f64 v[3:4], v[5:6], v[3:4]
	;; [unrolled: 1-line block ×4, first 2 shown]
	s_waitcnt vmcnt(2)
	v_add_f64 v[1:2], v[141:142], -v[1:2]
	s_waitcnt vmcnt(0)
	v_add_f64 v[3:4], v[149:150], -v[3:4]
	buffer_store_dword v2, off, s[0:3], 0 offset:596
	buffer_store_dword v1, off, s[0:3], 0 offset:592
	buffer_store_dword v4, off, s[0:3], 0 offset:604
	buffer_store_dword v3, off, s[0:3], 0 offset:600
	v_cmpx_lt_u32_e32 35, v0
	s_cbranch_execz .LBB120_285
; %bb.284:
	v_mov_b32_e32 v4, s34
	v_mov_b32_e32 v5, 0
	s_clause 0x3
	buffer_load_dword v1, v4, s[0:3], 0 offen
	buffer_load_dword v2, v4, s[0:3], 0 offen offset:4
	buffer_load_dword v3, v4, s[0:3], 0 offen offset:8
	;; [unrolled: 1-line block ×3, first 2 shown]
	buffer_store_dword v5, off, s[0:3], 0 offset:576
	buffer_store_dword v5, off, s[0:3], 0 offset:580
	;; [unrolled: 1-line block ×4, first 2 shown]
	s_waitcnt vmcnt(0)
	ds_write_b128 v183, v[1:4]
.LBB120_285:
	s_or_b32 exec_lo, exec_lo, s4
	s_waitcnt lgkmcnt(0)
	s_waitcnt_vscnt null, 0x0
	s_barrier
	buffer_gl0_inv
	s_clause 0x37
	buffer_load_dword v6, off, s[0:3], 0 offset:600
	buffer_load_dword v7, off, s[0:3], 0 offset:604
	;; [unrolled: 1-line block ×56, first 2 shown]
	v_mov_b32_e32 v1, 0
	s_mov_b32 s4, exec_lo
	ds_read_b128 v[2:5], v1 offset:1488
	s_clause 0x2
	buffer_load_dword v185, off, s[0:3], 0 offset:828
	buffer_load_dword v189, off, s[0:3], 0 offset:804
	buffer_load_dword v188, off, s[0:3], 0 offset:800
	ds_read_b128 v[123:126], v1 offset:1504
	s_clause 0x4
	buffer_load_dword v193, off, s[0:3], 0 offset:844
	buffer_load_dword v194, off, s[0:3], 0 offset:856
	;; [unrolled: 1-line block ×5, first 2 shown]
	ds_read_b128 v[127:130], v1 offset:1520
	s_waitcnt vmcnt(62) lgkmcnt(2)
	v_mul_f64 v[190:191], v[4:5], v[6:7]
	v_mul_f64 v[6:7], v[2:3], v[6:7]
	s_waitcnt vmcnt(60) lgkmcnt(1)
	v_mul_f64 v[197:198], v[125:126], v[131:132]
	v_mul_f64 v[131:132], v[123:124], v[131:132]
	;; [unrolled: 3-line block ×3, first 2 shown]
	v_fma_f64 v[190:191], v[2:3], v[133:134], -v[190:191]
	v_fma_f64 v[6:7], v[4:5], v[133:134], v[6:7]
	s_clause 0x2
	buffer_load_dword v195, off, s[0:3], 0 offset:860
	buffer_load_dword v134, off, s[0:3], 0 offset:836
	;; [unrolled: 1-line block ×3, first 2 shown]
	s_waitcnt vmcnt(57)
	v_fma_f64 v[201:202], v[123:124], v[137:138], -v[197:198]
	ds_read_b128 v[2:5], v1 offset:1536
	v_fma_f64 v[131:132], v[125:126], v[137:138], v[131:132]
	s_clause 0x4
	buffer_load_dword v138, off, s[0:3], 0 offset:876
	buffer_load_dword v198, off, s[0:3], 0 offset:888
	;; [unrolled: 1-line block ×5, first 2 shown]
	s_waitcnt vmcnt(56)
	v_fma_f64 v[135:136], v[127:128], v[145:146], -v[135:136]
	ds_read_b128 v[123:126], v1 offset:1552
	v_fma_f64 v[145:146], v[129:130], v[145:146], v[199:200]
	v_add_f64 v[190:191], v[190:191], 0
	v_add_f64 v[6:7], v[6:7], 0
	s_waitcnt lgkmcnt(1)
	v_mul_f64 v[204:205], v[2:3], v[139:140]
	v_mul_f64 v[139:140], v[4:5], v[139:140]
	v_add_f64 v[190:191], v[190:191], v[201:202]
	v_add_f64 v[6:7], v[6:7], v[131:132]
	s_clause 0x2
	buffer_load_dword v199, off, s[0:3], 0 offset:892
	buffer_load_dword v132, off, s[0:3], 0 offset:868
	buffer_load_dword v131, off, s[0:3], 0 offset:864
	s_waitcnt vmcnt(58) lgkmcnt(0)
	v_mul_f64 v[200:201], v[123:124], v[141:142]
	v_mul_f64 v[141:142], v[125:126], v[141:142]
	s_waitcnt vmcnt(56)
	v_fma_f64 v[139:140], v[2:3], v[147:148], -v[139:140]
	ds_read_b128 v[127:130], v1 offset:1568
	v_fma_f64 v[147:148], v[4:5], v[147:148], v[204:205]
	v_add_f64 v[135:136], v[190:191], v[135:136]
	v_add_f64 v[6:7], v[6:7], v[145:146]
	s_clause 0x4
	buffer_load_dword v146, off, s[0:3], 0 offset:908
	buffer_load_dword v190, off, s[0:3], 0 offset:920
	;; [unrolled: 1-line block ×5, first 2 shown]
	ds_read_b128 v[2:5], v1 offset:1584
	s_waitcnt vmcnt(57) lgkmcnt(1)
	v_mul_f64 v[206:207], v[127:128], v[149:150]
	v_mul_f64 v[149:150], v[129:130], v[149:150]
	s_waitcnt vmcnt(56)
	v_fma_f64 v[141:142], v[123:124], v[143:144], -v[141:142]
	v_add_f64 v[135:136], v[135:136], v[139:140]
	v_fma_f64 v[139:140], v[125:126], v[143:144], v[200:201]
	v_add_f64 v[6:7], v[6:7], v[147:148]
	s_clause 0x2
	buffer_load_dword v191, off, s[0:3], 0 offset:924
	buffer_load_dword v144, off, s[0:3], 0 offset:900
	buffer_load_dword v143, off, s[0:3], 0 offset:896
	s_waitcnt vmcnt(58) lgkmcnt(0)
	v_mul_f64 v[147:148], v[2:3], v[151:152]
	v_mul_f64 v[151:152], v[4:5], v[151:152]
	s_waitcnt vmcnt(56)
	v_fma_f64 v[149:150], v[127:128], v[155:156], -v[149:150]
	ds_read_b128 v[123:126], v1 offset:1600
	v_add_f64 v[135:136], v[135:136], v[141:142]
	v_fma_f64 v[141:142], v[129:130], v[155:156], v[206:207]
	v_add_f64 v[6:7], v[6:7], v[139:140]
	buffer_load_dword v206, off, s[0:3], 0 offset:916
	ds_read_b128 v[127:130], v1 offset:1616
	s_waitcnt vmcnt(53) lgkmcnt(1)
	v_mul_f64 v[155:156], v[125:126], v[157:158]
	s_waitcnt vmcnt(52)
	v_fma_f64 v[151:152], v[2:3], v[153:154], -v[151:152]
	v_mul_f64 v[139:140], v[123:124], v[157:158]
	v_fma_f64 v[147:148], v[4:5], v[153:154], v[147:148]
	ds_read_b128 v[2:5], v1 offset:1632
	v_add_f64 v[135:136], v[135:136], v[149:150]
	v_add_f64 v[6:7], v[6:7], v[141:142]
	s_waitcnt vmcnt(51) lgkmcnt(1)
	v_mul_f64 v[149:150], v[129:130], v[159:160]
	v_mul_f64 v[141:142], v[127:128], v[159:160]
	s_waitcnt vmcnt(49)
	v_fma_f64 v[153:154], v[123:124], v[163:164], -v[155:156]
	v_fma_f64 v[139:140], v[125:126], v[163:164], v[139:140]
	s_waitcnt vmcnt(45) lgkmcnt(0)
	v_mul_f64 v[157:158], v[4:5], v[165:166]
	v_mul_f64 v[155:156], v[2:3], v[165:166]
	v_add_f64 v[135:136], v[135:136], v[151:152]
	v_add_f64 v[6:7], v[6:7], v[147:148]
	s_clause 0x3
	buffer_load_dword v147, off, s[0:3], 0 offset:576
	buffer_load_dword v148, off, s[0:3], 0 offset:580
	;; [unrolled: 1-line block ×4, first 2 shown]
	s_waitcnt vmcnt(48)
	v_fma_f64 v[149:150], v[127:128], v[161:162], -v[149:150]
	ds_read_b128 v[123:126], v1 offset:1648
	v_fma_f64 v[141:142], v[129:130], v[161:162], v[141:142]
	ds_read_b128 v[127:130], v1 offset:1664
	s_waitcnt vmcnt(45)
	v_fma_f64 v[157:158], v[2:3], v[171:172], -v[157:158]
	v_add_f64 v[135:136], v[135:136], v[153:154]
	v_add_f64 v[6:7], v[6:7], v[139:140]
	s_waitcnt lgkmcnt(1)
	v_mul_f64 v[153:154], v[125:126], v[167:168]
	v_mul_f64 v[139:140], v[123:124], v[167:168]
	v_add_f64 v[135:136], v[135:136], v[149:150]
	v_fma_f64 v[149:150], v[4:5], v[171:172], v[155:156]
	v_add_f64 v[6:7], v[6:7], v[141:142]
	s_waitcnt vmcnt(41) lgkmcnt(0)
	v_mul_f64 v[155:156], v[129:130], v[173:174]
	s_waitcnt vmcnt(40)
	v_fma_f64 v[153:154], v[123:124], v[169:170], -v[153:154]
	ds_read_b128 v[2:5], v1 offset:1680
	v_mul_f64 v[141:142], v[127:128], v[173:174]
	v_fma_f64 v[139:140], v[125:126], v[169:170], v[139:140]
	ds_read_b128 v[123:126], v1 offset:1696
	v_add_f64 v[135:136], v[135:136], v[157:158]
	v_add_f64 v[6:7], v[6:7], v[149:150]
	s_waitcnt vmcnt(39) lgkmcnt(1)
	v_mul_f64 v[157:158], v[4:5], v[175:176]
	s_waitcnt vmcnt(37)
	v_fma_f64 v[155:156], v[127:128], v[179:180], -v[155:156]
	v_mul_f64 v[149:150], v[2:3], v[175:176]
	v_fma_f64 v[141:142], v[129:130], v[179:180], v[141:142]
	ds_read_b128 v[127:130], v1 offset:1712
	v_add_f64 v[135:136], v[135:136], v[153:154]
	s_waitcnt vmcnt(33) lgkmcnt(1)
	v_mul_f64 v[153:154], v[125:126], v[181:182]
	v_add_f64 v[6:7], v[6:7], v[139:140]
	s_waitcnt vmcnt(32)
	v_fma_f64 v[157:158], v[2:3], v[177:178], -v[157:158]
	v_mul_f64 v[139:140], v[123:124], v[181:182]
	v_fma_f64 v[149:150], v[4:5], v[177:178], v[149:150]
	ds_read_b128 v[2:5], v1 offset:1728
	v_add_f64 v[135:136], v[135:136], v[155:156]
	s_waitcnt vmcnt(31) lgkmcnt(1)
	v_mul_f64 v[155:156], v[129:130], v[184:185]
	v_add_f64 v[6:7], v[6:7], v[141:142]
	;; [unrolled: 9-line block ×3, first 2 shown]
	s_waitcnt vmcnt(24)
	v_fma_f64 v[155:156], v[127:128], v[186:187], -v[155:156]
	v_mul_f64 v[149:150], v[2:3], v[192:193]
	v_fma_f64 v[141:142], v[129:130], v[186:187], v[141:142]
	ds_read_b128 v[127:130], v1 offset:1760
	v_add_f64 v[135:136], v[135:136], v[153:154]
	v_add_f64 v[6:7], v[6:7], v[139:140]
	s_waitcnt vmcnt(23) lgkmcnt(1)
	v_mul_f64 v[153:154], v[125:126], v[194:195]
	v_mul_f64 v[139:140], v[123:124], v[194:195]
	s_waitcnt vmcnt(21)
	v_fma_f64 v[157:158], v[2:3], v[133:134], -v[157:158]
	v_fma_f64 v[133:134], v[4:5], v[133:134], v[149:150]
	ds_read_b128 v[2:5], v1 offset:1776
	v_add_f64 v[135:136], v[135:136], v[155:156]
	v_add_f64 v[6:7], v[6:7], v[141:142]
	s_waitcnt vmcnt(17) lgkmcnt(1)
	v_mul_f64 v[141:142], v[127:128], v[137:138]
	v_mul_f64 v[137:138], v[129:130], v[137:138]
	s_waitcnt vmcnt(16)
	v_fma_f64 v[149:150], v[123:124], v[196:197], -v[153:154]
	;; [unrolled: 9-line block ×3, first 2 shown]
	v_fma_f64 v[131:132], v[129:130], v[131:132], v[141:142]
	ds_read_b128 v[127:130], v1 offset:1808
	v_add_f64 v[135:136], v[135:136], v[149:150]
	v_add_f64 v[6:7], v[6:7], v[139:140]
	s_waitcnt vmcnt(9) lgkmcnt(1)
	v_mul_f64 v[141:142], v[125:126], v[145:146]
	s_waitcnt vmcnt(8)
	v_fma_f64 v[2:3], v[2:3], v[203:204], -v[153:154]
	v_mul_f64 v[139:140], v[123:124], v[145:146]
	v_fma_f64 v[4:5], v[4:5], v[203:204], v[133:134]
	v_add_f64 v[135:136], v[135:136], v[137:138]
	v_add_f64 v[6:7], v[6:7], v[131:132]
	s_waitcnt vmcnt(7) lgkmcnt(0)
	v_mul_f64 v[133:134], v[129:130], v[190:191]
	v_mul_f64 v[131:132], v[127:128], v[190:191]
	s_waitcnt vmcnt(5)
	v_fma_f64 v[123:124], v[123:124], v[143:144], -v[141:142]
	v_fma_f64 v[125:126], v[125:126], v[143:144], v[139:140]
	v_add_f64 v[2:3], v[135:136], v[2:3]
	v_add_f64 v[4:5], v[6:7], v[4:5]
	s_waitcnt vmcnt(4)
	v_fma_f64 v[6:7], v[127:128], v[205:206], -v[133:134]
	v_add_f64 v[2:3], v[2:3], v[123:124]
	v_fma_f64 v[123:124], v[129:130], v[205:206], v[131:132]
	v_add_f64 v[4:5], v[4:5], v[125:126]
	v_add_f64 v[2:3], v[2:3], v[6:7]
	;; [unrolled: 1-line block ×3, first 2 shown]
	s_waitcnt vmcnt(2)
	v_add_f64 v[2:3], v[147:148], -v[2:3]
	s_waitcnt vmcnt(0)
	v_add_f64 v[4:5], v[151:152], -v[4:5]
	buffer_store_dword v3, off, s[0:3], 0 offset:580
	buffer_store_dword v2, off, s[0:3], 0 offset:576
	;; [unrolled: 1-line block ×4, first 2 shown]
	v_cmpx_lt_u32_e32 34, v0
	s_cbranch_execz .LBB120_287
; %bb.286:
	v_mov_b32_e32 v5, s35
	s_clause 0x3
	buffer_load_dword v2, v5, s[0:3], 0 offen
	buffer_load_dword v3, v5, s[0:3], 0 offen offset:4
	buffer_load_dword v4, v5, s[0:3], 0 offen offset:8
	;; [unrolled: 1-line block ×3, first 2 shown]
	buffer_store_dword v1, off, s[0:3], 0 offset:560
	buffer_store_dword v1, off, s[0:3], 0 offset:564
	;; [unrolled: 1-line block ×4, first 2 shown]
	s_waitcnt vmcnt(0)
	ds_write_b128 v183, v[2:5]
.LBB120_287:
	s_or_b32 exec_lo, exec_lo, s4
	s_waitcnt lgkmcnt(0)
	s_waitcnt_vscnt null, 0x0
	s_barrier
	buffer_gl0_inv
	s_clause 0x37
	buffer_load_dword v6, off, s[0:3], 0 offset:584
	buffer_load_dword v7, off, s[0:3], 0 offset:588
	;; [unrolled: 1-line block ×56, first 2 shown]
	ds_read_b128 v[2:5], v1 offset:1472
	s_clause 0x2
	buffer_load_dword v185, off, s[0:3], 0 offset:812
	buffer_load_dword v189, off, s[0:3], 0 offset:788
	;; [unrolled: 1-line block ×3, first 2 shown]
	ds_read_b128 v[123:126], v1 offset:1488
	s_clause 0x4
	buffer_load_dword v193, off, s[0:3], 0 offset:828
	buffer_load_dword v194, off, s[0:3], 0 offset:840
	;; [unrolled: 1-line block ×5, first 2 shown]
	ds_read_b128 v[127:130], v1 offset:1504
	s_mov_b32 s4, exec_lo
	s_waitcnt vmcnt(62) lgkmcnt(2)
	v_mul_f64 v[190:191], v[4:5], v[6:7]
	v_mul_f64 v[6:7], v[2:3], v[6:7]
	s_waitcnt vmcnt(60) lgkmcnt(1)
	v_mul_f64 v[197:198], v[125:126], v[131:132]
	v_mul_f64 v[131:132], v[123:124], v[131:132]
	;; [unrolled: 3-line block ×3, first 2 shown]
	v_fma_f64 v[190:191], v[2:3], v[133:134], -v[190:191]
	v_fma_f64 v[6:7], v[4:5], v[133:134], v[6:7]
	s_clause 0x2
	buffer_load_dword v195, off, s[0:3], 0 offset:844
	buffer_load_dword v134, off, s[0:3], 0 offset:820
	;; [unrolled: 1-line block ×3, first 2 shown]
	s_waitcnt vmcnt(57)
	v_fma_f64 v[201:202], v[123:124], v[137:138], -v[197:198]
	ds_read_b128 v[2:5], v1 offset:1520
	v_fma_f64 v[131:132], v[125:126], v[137:138], v[131:132]
	s_clause 0x4
	buffer_load_dword v138, off, s[0:3], 0 offset:860
	buffer_load_dword v198, off, s[0:3], 0 offset:872
	;; [unrolled: 1-line block ×5, first 2 shown]
	s_waitcnt vmcnt(56)
	v_fma_f64 v[135:136], v[127:128], v[145:146], -v[135:136]
	ds_read_b128 v[123:126], v1 offset:1536
	v_fma_f64 v[145:146], v[129:130], v[145:146], v[199:200]
	v_add_f64 v[190:191], v[190:191], 0
	v_add_f64 v[6:7], v[6:7], 0
	s_waitcnt lgkmcnt(1)
	v_mul_f64 v[204:205], v[2:3], v[139:140]
	v_mul_f64 v[139:140], v[4:5], v[139:140]
	v_add_f64 v[190:191], v[190:191], v[201:202]
	v_add_f64 v[6:7], v[6:7], v[131:132]
	s_clause 0x2
	buffer_load_dword v199, off, s[0:3], 0 offset:876
	buffer_load_dword v132, off, s[0:3], 0 offset:852
	;; [unrolled: 1-line block ×3, first 2 shown]
	s_waitcnt vmcnt(58) lgkmcnt(0)
	v_mul_f64 v[200:201], v[123:124], v[141:142]
	v_mul_f64 v[141:142], v[125:126], v[141:142]
	s_waitcnt vmcnt(56)
	v_fma_f64 v[139:140], v[2:3], v[147:148], -v[139:140]
	ds_read_b128 v[127:130], v1 offset:1552
	v_fma_f64 v[147:148], v[4:5], v[147:148], v[204:205]
	v_add_f64 v[135:136], v[190:191], v[135:136]
	v_add_f64 v[6:7], v[6:7], v[145:146]
	s_clause 0x4
	buffer_load_dword v146, off, s[0:3], 0 offset:892
	buffer_load_dword v190, off, s[0:3], 0 offset:904
	;; [unrolled: 1-line block ×5, first 2 shown]
	ds_read_b128 v[2:5], v1 offset:1568
	s_waitcnt vmcnt(57) lgkmcnt(1)
	v_mul_f64 v[206:207], v[127:128], v[149:150]
	v_mul_f64 v[149:150], v[129:130], v[149:150]
	s_waitcnt vmcnt(56)
	v_fma_f64 v[141:142], v[123:124], v[143:144], -v[141:142]
	v_add_f64 v[135:136], v[135:136], v[139:140]
	v_fma_f64 v[139:140], v[125:126], v[143:144], v[200:201]
	v_add_f64 v[6:7], v[6:7], v[147:148]
	s_clause 0x2
	buffer_load_dword v191, off, s[0:3], 0 offset:908
	buffer_load_dword v144, off, s[0:3], 0 offset:884
	;; [unrolled: 1-line block ×3, first 2 shown]
	s_waitcnt vmcnt(58) lgkmcnt(0)
	v_mul_f64 v[147:148], v[2:3], v[151:152]
	v_mul_f64 v[151:152], v[4:5], v[151:152]
	s_waitcnt vmcnt(56)
	v_fma_f64 v[149:150], v[127:128], v[155:156], -v[149:150]
	ds_read_b128 v[123:126], v1 offset:1584
	v_add_f64 v[135:136], v[135:136], v[141:142]
	v_fma_f64 v[141:142], v[129:130], v[155:156], v[206:207]
	v_add_f64 v[6:7], v[6:7], v[139:140]
	s_clause 0x2
	buffer_load_dword v140, off, s[0:3], 0 offset:924
	buffer_load_dword v139, off, s[0:3], 0 offset:920
	;; [unrolled: 1-line block ×3, first 2 shown]
	ds_read_b128 v[127:130], v1 offset:1600
	s_waitcnt vmcnt(55) lgkmcnt(1)
	v_mul_f64 v[155:156], v[123:124], v[157:158]
	v_mul_f64 v[157:158], v[125:126], v[157:158]
	s_waitcnt vmcnt(54)
	v_fma_f64 v[151:152], v[2:3], v[153:154], -v[151:152]
	v_fma_f64 v[147:148], v[4:5], v[153:154], v[147:148]
	v_add_f64 v[135:136], v[135:136], v[149:150]
	v_add_f64 v[6:7], v[6:7], v[141:142]
	s_clause 0x1
	buffer_load_dword v142, off, s[0:3], 0 offset:916
	buffer_load_dword v141, off, s[0:3], 0 offset:912
	s_waitcnt vmcnt(55) lgkmcnt(0)
	v_mul_f64 v[153:154], v[129:130], v[159:160]
	ds_read_b128 v[2:5], v1 offset:1616
	s_waitcnt vmcnt(53)
	v_fma_f64 v[157:158], v[123:124], v[163:164], -v[157:158]
	v_mul_f64 v[149:150], v[127:128], v[159:160]
	v_add_f64 v[135:136], v[135:136], v[151:152]
	v_fma_f64 v[151:152], v[125:126], v[163:164], v[155:156]
	v_add_f64 v[6:7], v[6:7], v[147:148]
	ds_read_b128 v[123:126], v1 offset:1632
	s_waitcnt vmcnt(49) lgkmcnt(1)
	v_mul_f64 v[155:156], v[4:5], v[165:166]
	s_waitcnt vmcnt(48)
	v_fma_f64 v[153:154], v[127:128], v[161:162], -v[153:154]
	v_mul_f64 v[147:148], v[2:3], v[165:166]
	v_fma_f64 v[149:150], v[129:130], v[161:162], v[149:150]
	v_add_f64 v[135:136], v[135:136], v[157:158]
	s_waitcnt vmcnt(47) lgkmcnt(0)
	v_mul_f64 v[161:162], v[125:126], v[167:168]
	v_add_f64 v[6:7], v[6:7], v[151:152]
	s_clause 0x3
	buffer_load_dword v151, off, s[0:3], 0 offset:560
	buffer_load_dword v152, off, s[0:3], 0 offset:564
	;; [unrolled: 1-line block ×4, first 2 shown]
	s_waitcnt vmcnt(49)
	v_fma_f64 v[155:156], v[2:3], v[171:172], -v[155:156]
	ds_read_b128 v[127:130], v1 offset:1648
	v_mul_f64 v[159:160], v[123:124], v[167:168]
	v_fma_f64 v[147:148], v[4:5], v[171:172], v[147:148]
	ds_read_b128 v[2:5], v1 offset:1664
	v_add_f64 v[135:136], v[135:136], v[153:154]
	s_waitcnt vmcnt(44)
	v_fma_f64 v[161:162], v[123:124], v[169:170], -v[161:162]
	v_add_f64 v[6:7], v[6:7], v[149:150]
	s_waitcnt lgkmcnt(1)
	v_mul_f64 v[153:154], v[129:130], v[173:174]
	v_mul_f64 v[149:150], v[127:128], v[173:174]
	v_add_f64 v[135:136], v[135:136], v[155:156]
	v_fma_f64 v[155:156], v[125:126], v[169:170], v[159:160]
	v_add_f64 v[6:7], v[6:7], v[147:148]
	s_waitcnt vmcnt(43) lgkmcnt(0)
	v_mul_f64 v[159:160], v[4:5], v[175:176]
	s_waitcnt vmcnt(41)
	v_fma_f64 v[153:154], v[127:128], v[179:180], -v[153:154]
	ds_read_b128 v[123:126], v1 offset:1680
	v_mul_f64 v[147:148], v[2:3], v[175:176]
	v_fma_f64 v[149:150], v[129:130], v[179:180], v[149:150]
	ds_read_b128 v[127:130], v1 offset:1696
	v_add_f64 v[135:136], v[135:136], v[161:162]
	v_add_f64 v[6:7], v[6:7], v[155:156]
	s_waitcnt vmcnt(37) lgkmcnt(1)
	v_mul_f64 v[161:162], v[125:126], v[181:182]
	s_waitcnt vmcnt(36)
	v_fma_f64 v[159:160], v[2:3], v[177:178], -v[159:160]
	v_mul_f64 v[155:156], v[123:124], v[181:182]
	v_fma_f64 v[147:148], v[4:5], v[177:178], v[147:148]
	ds_read_b128 v[2:5], v1 offset:1712
	v_add_f64 v[135:136], v[135:136], v[153:154]
	s_waitcnt vmcnt(35) lgkmcnt(1)
	v_mul_f64 v[153:154], v[129:130], v[184:185]
	v_add_f64 v[6:7], v[6:7], v[149:150]
	s_waitcnt vmcnt(33)
	v_fma_f64 v[161:162], v[123:124], v[188:189], -v[161:162]
	v_mul_f64 v[149:150], v[127:128], v[184:185]
	v_fma_f64 v[155:156], v[125:126], v[188:189], v[155:156]
	ds_read_b128 v[123:126], v1 offset:1728
	v_add_f64 v[135:136], v[135:136], v[159:160]
	s_waitcnt vmcnt(29) lgkmcnt(1)
	v_mul_f64 v[159:160], v[4:5], v[192:193]
	v_add_f64 v[6:7], v[6:7], v[147:148]
	s_waitcnt vmcnt(28)
	v_fma_f64 v[153:154], v[127:128], v[186:187], -v[153:154]
	v_mul_f64 v[147:148], v[2:3], v[192:193]
	v_fma_f64 v[149:150], v[129:130], v[186:187], v[149:150]
	ds_read_b128 v[127:130], v1 offset:1744
	v_add_f64 v[135:136], v[135:136], v[161:162]
	v_add_f64 v[6:7], v[6:7], v[155:156]
	s_waitcnt vmcnt(27) lgkmcnt(1)
	v_mul_f64 v[161:162], v[125:126], v[194:195]
	v_mul_f64 v[155:156], v[123:124], v[194:195]
	s_waitcnt vmcnt(25)
	v_fma_f64 v[159:160], v[2:3], v[133:134], -v[159:160]
	v_fma_f64 v[133:134], v[4:5], v[133:134], v[147:148]
	ds_read_b128 v[2:5], v1 offset:1760
	s_waitcnt vmcnt(21) lgkmcnt(1)
	v_mul_f64 v[147:148], v[127:128], v[137:138]
	v_mul_f64 v[137:138], v[129:130], v[137:138]
	v_add_f64 v[135:136], v[135:136], v[153:154]
	v_add_f64 v[6:7], v[6:7], v[149:150]
	s_waitcnt vmcnt(20)
	v_fma_f64 v[149:150], v[123:124], v[196:197], -v[161:162]
	v_fma_f64 v[153:154], v[125:126], v[196:197], v[155:156]
	ds_read_b128 v[123:126], v1 offset:1776
	v_add_f64 v[135:136], v[135:136], v[159:160]
	v_add_f64 v[6:7], v[6:7], v[133:134]
	s_waitcnt vmcnt(19) lgkmcnt(1)
	v_mul_f64 v[155:156], v[4:5], v[198:199]
	v_mul_f64 v[133:134], v[2:3], v[198:199]
	s_waitcnt vmcnt(17)
	v_fma_f64 v[137:138], v[127:128], v[131:132], -v[137:138]
	v_fma_f64 v[131:132], v[129:130], v[131:132], v[147:148]
	ds_read_b128 v[127:130], v1 offset:1792
	v_add_f64 v[135:136], v[135:136], v[149:150]
	v_add_f64 v[6:7], v[6:7], v[153:154]
	s_waitcnt vmcnt(13) lgkmcnt(1)
	v_mul_f64 v[147:148], v[123:124], v[145:146]
	v_mul_f64 v[145:146], v[125:126], v[145:146]
	;; [unrolled: 9-line block ×3, first 2 shown]
	s_waitcnt vmcnt(9)
	v_fma_f64 v[123:124], v[123:124], v[143:144], -v[145:146]
	v_fma_f64 v[125:126], v[125:126], v[143:144], v[147:148]
	v_add_f64 v[135:136], v[135:136], v[149:150]
	v_add_f64 v[5:6], v[5:6], v[133:134]
	s_waitcnt vmcnt(7) lgkmcnt(0)
	v_mul_f64 v[137:138], v[3:4], v[139:140]
	s_waitcnt vmcnt(6)
	v_fma_f64 v[127:128], v[127:128], v[205:206], -v[131:132]
	v_mul_f64 v[133:134], v[1:2], v[139:140]
	v_fma_f64 v[7:8], v[129:130], v[205:206], v[7:8]
	v_add_f64 v[123:124], v[135:136], v[123:124]
	v_add_f64 v[5:6], v[5:6], v[125:126]
	s_waitcnt vmcnt(4)
	v_fma_f64 v[1:2], v[1:2], v[141:142], -v[137:138]
	v_fma_f64 v[3:4], v[3:4], v[141:142], v[133:134]
	v_add_f64 v[123:124], v[123:124], v[127:128]
	v_add_f64 v[5:6], v[5:6], v[7:8]
	v_add_f64 v[1:2], v[123:124], v[1:2]
	v_add_f64 v[3:4], v[5:6], v[3:4]
	s_waitcnt vmcnt(2)
	v_add_f64 v[1:2], v[151:152], -v[1:2]
	s_waitcnt vmcnt(0)
	v_add_f64 v[3:4], v[157:158], -v[3:4]
	buffer_store_dword v2, off, s[0:3], 0 offset:564
	buffer_store_dword v1, off, s[0:3], 0 offset:560
	;; [unrolled: 1-line block ×4, first 2 shown]
	v_cmpx_lt_u32_e32 33, v0
	s_cbranch_execz .LBB120_289
; %bb.288:
	v_mov_b32_e32 v4, s36
	v_mov_b32_e32 v5, 0
	s_clause 0x3
	buffer_load_dword v1, v4, s[0:3], 0 offen
	buffer_load_dword v2, v4, s[0:3], 0 offen offset:4
	buffer_load_dword v3, v4, s[0:3], 0 offen offset:8
	;; [unrolled: 1-line block ×3, first 2 shown]
	buffer_store_dword v5, off, s[0:3], 0 offset:544
	buffer_store_dword v5, off, s[0:3], 0 offset:548
	;; [unrolled: 1-line block ×4, first 2 shown]
	s_waitcnt vmcnt(0)
	ds_write_b128 v183, v[1:4]
.LBB120_289:
	s_or_b32 exec_lo, exec_lo, s4
	s_waitcnt lgkmcnt(0)
	s_waitcnt_vscnt null, 0x0
	s_barrier
	buffer_gl0_inv
	s_clause 0x37
	buffer_load_dword v6, off, s[0:3], 0 offset:568
	buffer_load_dword v7, off, s[0:3], 0 offset:572
	;; [unrolled: 1-line block ×56, first 2 shown]
	v_mov_b32_e32 v1, 0
	s_mov_b32 s4, exec_lo
	ds_read_b128 v[2:5], v1 offset:1456
	s_clause 0x2
	buffer_load_dword v185, off, s[0:3], 0 offset:796
	buffer_load_dword v189, off, s[0:3], 0 offset:772
	;; [unrolled: 1-line block ×3, first 2 shown]
	ds_read_b128 v[123:126], v1 offset:1472
	s_clause 0x4
	buffer_load_dword v193, off, s[0:3], 0 offset:812
	buffer_load_dword v194, off, s[0:3], 0 offset:824
	;; [unrolled: 1-line block ×5, first 2 shown]
	ds_read_b128 v[127:130], v1 offset:1488
	s_waitcnt vmcnt(62) lgkmcnt(2)
	v_mul_f64 v[190:191], v[4:5], v[6:7]
	v_mul_f64 v[6:7], v[2:3], v[6:7]
	s_waitcnt vmcnt(60) lgkmcnt(1)
	v_mul_f64 v[197:198], v[125:126], v[131:132]
	v_mul_f64 v[131:132], v[123:124], v[131:132]
	;; [unrolled: 3-line block ×3, first 2 shown]
	v_fma_f64 v[190:191], v[2:3], v[133:134], -v[190:191]
	v_fma_f64 v[6:7], v[4:5], v[133:134], v[6:7]
	s_clause 0x2
	buffer_load_dword v195, off, s[0:3], 0 offset:828
	buffer_load_dword v134, off, s[0:3], 0 offset:804
	;; [unrolled: 1-line block ×3, first 2 shown]
	s_waitcnt vmcnt(57)
	v_fma_f64 v[201:202], v[123:124], v[137:138], -v[197:198]
	ds_read_b128 v[2:5], v1 offset:1504
	v_fma_f64 v[131:132], v[125:126], v[137:138], v[131:132]
	s_clause 0x4
	buffer_load_dword v138, off, s[0:3], 0 offset:844
	buffer_load_dword v198, off, s[0:3], 0 offset:856
	;; [unrolled: 1-line block ×5, first 2 shown]
	s_waitcnt vmcnt(56)
	v_fma_f64 v[135:136], v[127:128], v[145:146], -v[135:136]
	ds_read_b128 v[123:126], v1 offset:1520
	v_fma_f64 v[145:146], v[129:130], v[145:146], v[199:200]
	v_add_f64 v[190:191], v[190:191], 0
	v_add_f64 v[6:7], v[6:7], 0
	s_waitcnt lgkmcnt(1)
	v_mul_f64 v[204:205], v[2:3], v[139:140]
	v_mul_f64 v[139:140], v[4:5], v[139:140]
	v_add_f64 v[190:191], v[190:191], v[201:202]
	v_add_f64 v[6:7], v[6:7], v[131:132]
	s_clause 0x2
	buffer_load_dword v199, off, s[0:3], 0 offset:860
	buffer_load_dword v132, off, s[0:3], 0 offset:836
	;; [unrolled: 1-line block ×3, first 2 shown]
	s_waitcnt vmcnt(58) lgkmcnt(0)
	v_mul_f64 v[200:201], v[123:124], v[141:142]
	v_mul_f64 v[141:142], v[125:126], v[141:142]
	s_waitcnt vmcnt(56)
	v_fma_f64 v[139:140], v[2:3], v[147:148], -v[139:140]
	ds_read_b128 v[127:130], v1 offset:1536
	v_fma_f64 v[147:148], v[4:5], v[147:148], v[204:205]
	v_add_f64 v[135:136], v[190:191], v[135:136]
	v_add_f64 v[6:7], v[6:7], v[145:146]
	s_clause 0x4
	buffer_load_dword v146, off, s[0:3], 0 offset:876
	buffer_load_dword v190, off, s[0:3], 0 offset:888
	;; [unrolled: 1-line block ×5, first 2 shown]
	ds_read_b128 v[2:5], v1 offset:1552
	s_waitcnt vmcnt(57) lgkmcnt(1)
	v_mul_f64 v[206:207], v[127:128], v[149:150]
	v_mul_f64 v[149:150], v[129:130], v[149:150]
	s_waitcnt vmcnt(56)
	v_fma_f64 v[141:142], v[123:124], v[143:144], -v[141:142]
	v_add_f64 v[135:136], v[135:136], v[139:140]
	v_fma_f64 v[139:140], v[125:126], v[143:144], v[200:201]
	v_add_f64 v[6:7], v[6:7], v[147:148]
	s_clause 0x2
	buffer_load_dword v191, off, s[0:3], 0 offset:892
	buffer_load_dword v144, off, s[0:3], 0 offset:868
	;; [unrolled: 1-line block ×3, first 2 shown]
	s_waitcnt vmcnt(58) lgkmcnt(0)
	v_mul_f64 v[147:148], v[2:3], v[151:152]
	v_mul_f64 v[151:152], v[4:5], v[151:152]
	s_waitcnt vmcnt(56)
	v_fma_f64 v[149:150], v[127:128], v[155:156], -v[149:150]
	ds_read_b128 v[123:126], v1 offset:1568
	v_add_f64 v[135:136], v[135:136], v[141:142]
	v_fma_f64 v[141:142], v[129:130], v[155:156], v[206:207]
	v_add_f64 v[6:7], v[6:7], v[139:140]
	s_clause 0x4
	buffer_load_dword v140, off, s[0:3], 0 offset:908
	buffer_load_dword v155, off, s[0:3], 0 offset:920
	;; [unrolled: 1-line block ×5, first 2 shown]
	ds_read_b128 v[127:130], v1 offset:1584
	s_waitcnt vmcnt(57) lgkmcnt(1)
	v_mul_f64 v[201:202], v[123:124], v[157:158]
	v_mul_f64 v[157:158], v[125:126], v[157:158]
	s_waitcnt vmcnt(56)
	v_fma_f64 v[151:152], v[2:3], v[153:154], -v[151:152]
	v_fma_f64 v[147:148], v[4:5], v[153:154], v[147:148]
	v_add_f64 v[135:136], v[135:136], v[149:150]
	v_add_f64 v[6:7], v[6:7], v[141:142]
	s_clause 0x2
	buffer_load_dword v156, off, s[0:3], 0 offset:924
	buffer_load_dword v142, off, s[0:3], 0 offset:900
	;; [unrolled: 1-line block ×3, first 2 shown]
	s_waitcnt vmcnt(58) lgkmcnt(0)
	v_mul_f64 v[153:154], v[129:130], v[159:160]
	ds_read_b128 v[2:5], v1 offset:1600
	s_waitcnt vmcnt(56)
	v_fma_f64 v[157:158], v[123:124], v[163:164], -v[157:158]
	v_mul_f64 v[149:150], v[127:128], v[159:160]
	v_add_f64 v[135:136], v[135:136], v[151:152]
	v_fma_f64 v[151:152], v[125:126], v[163:164], v[201:202]
	v_add_f64 v[6:7], v[6:7], v[147:148]
	buffer_load_dword v201, off, s[0:3], 0 offset:916
	ds_read_b128 v[123:126], v1 offset:1616
	s_waitcnt vmcnt(53) lgkmcnt(1)
	v_mul_f64 v[159:160], v[4:5], v[165:166]
	s_waitcnt vmcnt(52)
	v_fma_f64 v[153:154], v[127:128], v[161:162], -v[153:154]
	v_mul_f64 v[147:148], v[2:3], v[165:166]
	v_fma_f64 v[149:150], v[129:130], v[161:162], v[149:150]
	ds_read_b128 v[127:130], v1 offset:1632
	v_add_f64 v[135:136], v[135:136], v[157:158]
	v_add_f64 v[6:7], v[6:7], v[151:152]
	s_waitcnt vmcnt(51) lgkmcnt(1)
	v_mul_f64 v[157:158], v[125:126], v[167:168]
	v_mul_f64 v[151:152], v[123:124], v[167:168]
	s_waitcnt vmcnt(49)
	v_fma_f64 v[159:160], v[2:3], v[171:172], -v[159:160]
	v_fma_f64 v[147:148], v[4:5], v[171:172], v[147:148]
	s_waitcnt vmcnt(45) lgkmcnt(0)
	v_mul_f64 v[163:164], v[129:130], v[173:174]
	v_mul_f64 v[161:162], v[127:128], v[173:174]
	v_add_f64 v[135:136], v[135:136], v[153:154]
	v_add_f64 v[6:7], v[6:7], v[149:150]
	s_clause 0x3
	buffer_load_dword v149, off, s[0:3], 0 offset:544
	buffer_load_dword v150, off, s[0:3], 0 offset:548
	;; [unrolled: 1-line block ×4, first 2 shown]
	s_waitcnt vmcnt(48)
	v_fma_f64 v[157:158], v[123:124], v[169:170], -v[157:158]
	ds_read_b128 v[2:5], v1 offset:1648
	v_fma_f64 v[151:152], v[125:126], v[169:170], v[151:152]
	ds_read_b128 v[123:126], v1 offset:1664
	s_waitcnt vmcnt(45)
	v_fma_f64 v[163:164], v[127:128], v[179:180], -v[163:164]
	v_add_f64 v[135:136], v[135:136], v[159:160]
	v_add_f64 v[6:7], v[6:7], v[147:148]
	s_waitcnt lgkmcnt(1)
	v_mul_f64 v[159:160], v[4:5], v[175:176]
	v_mul_f64 v[147:148], v[2:3], v[175:176]
	v_add_f64 v[135:136], v[135:136], v[157:158]
	v_fma_f64 v[157:158], v[129:130], v[179:180], v[161:162]
	v_add_f64 v[6:7], v[6:7], v[151:152]
	s_waitcnt vmcnt(41) lgkmcnt(0)
	v_mul_f64 v[161:162], v[125:126], v[181:182]
	s_waitcnt vmcnt(40)
	v_fma_f64 v[159:160], v[2:3], v[177:178], -v[159:160]
	ds_read_b128 v[127:130], v1 offset:1680
	v_mul_f64 v[151:152], v[123:124], v[181:182]
	v_fma_f64 v[147:148], v[4:5], v[177:178], v[147:148]
	ds_read_b128 v[2:5], v1 offset:1696
	v_add_f64 v[135:136], v[135:136], v[163:164]
	v_add_f64 v[6:7], v[6:7], v[157:158]
	s_waitcnt vmcnt(39) lgkmcnt(1)
	v_mul_f64 v[163:164], v[129:130], v[184:185]
	s_waitcnt vmcnt(37)
	v_fma_f64 v[161:162], v[123:124], v[188:189], -v[161:162]
	v_mul_f64 v[157:158], v[127:128], v[184:185]
	v_fma_f64 v[151:152], v[125:126], v[188:189], v[151:152]
	ds_read_b128 v[123:126], v1 offset:1712
	v_add_f64 v[135:136], v[135:136], v[159:160]
	s_waitcnt vmcnt(33) lgkmcnt(1)
	v_mul_f64 v[159:160], v[4:5], v[192:193]
	v_add_f64 v[6:7], v[6:7], v[147:148]
	s_waitcnt vmcnt(32)
	v_fma_f64 v[163:164], v[127:128], v[186:187], -v[163:164]
	v_mul_f64 v[147:148], v[2:3], v[192:193]
	v_fma_f64 v[157:158], v[129:130], v[186:187], v[157:158]
	ds_read_b128 v[127:130], v1 offset:1728
	v_add_f64 v[135:136], v[135:136], v[161:162]
	v_add_f64 v[6:7], v[6:7], v[151:152]
	s_waitcnt vmcnt(31) lgkmcnt(1)
	v_mul_f64 v[161:162], v[125:126], v[194:195]
	v_mul_f64 v[151:152], v[123:124], v[194:195]
	s_waitcnt vmcnt(29)
	v_fma_f64 v[159:160], v[2:3], v[133:134], -v[159:160]
	v_fma_f64 v[133:134], v[4:5], v[133:134], v[147:148]
	ds_read_b128 v[2:5], v1 offset:1744
	s_waitcnt vmcnt(25) lgkmcnt(1)
	v_mul_f64 v[147:148], v[127:128], v[137:138]
	v_mul_f64 v[137:138], v[129:130], v[137:138]
	v_add_f64 v[135:136], v[135:136], v[163:164]
	v_add_f64 v[6:7], v[6:7], v[157:158]
	s_waitcnt vmcnt(24)
	v_fma_f64 v[157:158], v[123:124], v[196:197], -v[161:162]
	v_fma_f64 v[151:152], v[125:126], v[196:197], v[151:152]
	ds_read_b128 v[123:126], v1 offset:1760
	v_add_f64 v[135:136], v[135:136], v[159:160]
	v_add_f64 v[6:7], v[6:7], v[133:134]
	s_waitcnt vmcnt(23) lgkmcnt(1)
	v_mul_f64 v[159:160], v[4:5], v[198:199]
	v_mul_f64 v[133:134], v[2:3], v[198:199]
	s_waitcnt vmcnt(21)
	v_fma_f64 v[137:138], v[127:128], v[131:132], -v[137:138]
	v_fma_f64 v[131:132], v[129:130], v[131:132], v[147:148]
	ds_read_b128 v[127:130], v1 offset:1776
	v_add_f64 v[135:136], v[135:136], v[157:158]
	v_add_f64 v[6:7], v[6:7], v[151:152]
	s_waitcnt vmcnt(17) lgkmcnt(1)
	v_mul_f64 v[147:148], v[123:124], v[145:146]
	v_mul_f64 v[145:146], v[125:126], v[145:146]
	;; [unrolled: 9-line block ×4, first 2 shown]
	s_waitcnt vmcnt(8)
	v_fma_f64 v[127:128], v[127:128], v[205:206], -v[137:138]
	v_fma_f64 v[129:130], v[129:130], v[205:206], v[131:132]
	v_add_f64 v[135:136], v[135:136], v[145:146]
	v_add_f64 v[6:7], v[6:7], v[143:144]
	s_waitcnt vmcnt(7) lgkmcnt(0)
	v_mul_f64 v[137:138], v[125:126], v[155:156]
	v_mul_f64 v[131:132], v[123:124], v[155:156]
	s_waitcnt vmcnt(5)
	v_fma_f64 v[2:3], v[2:3], v[141:142], -v[139:140]
	v_fma_f64 v[4:5], v[4:5], v[141:142], v[133:134]
	v_add_f64 v[127:128], v[135:136], v[127:128]
	v_add_f64 v[6:7], v[6:7], v[129:130]
	s_waitcnt vmcnt(4)
	v_fma_f64 v[123:124], v[123:124], v[200:201], -v[137:138]
	v_fma_f64 v[125:126], v[125:126], v[200:201], v[131:132]
	v_add_f64 v[2:3], v[127:128], v[2:3]
	v_add_f64 v[4:5], v[6:7], v[4:5]
	;; [unrolled: 1-line block ×4, first 2 shown]
	s_waitcnt vmcnt(2)
	v_add_f64 v[2:3], v[149:150], -v[2:3]
	s_waitcnt vmcnt(0)
	v_add_f64 v[4:5], v[153:154], -v[4:5]
	buffer_store_dword v3, off, s[0:3], 0 offset:548
	buffer_store_dword v2, off, s[0:3], 0 offset:544
	;; [unrolled: 1-line block ×4, first 2 shown]
	v_cmpx_lt_u32_e32 32, v0
	s_cbranch_execz .LBB120_291
; %bb.290:
	v_mov_b32_e32 v5, s37
	s_clause 0x3
	buffer_load_dword v2, v5, s[0:3], 0 offen
	buffer_load_dword v3, v5, s[0:3], 0 offen offset:4
	buffer_load_dword v4, v5, s[0:3], 0 offen offset:8
	buffer_load_dword v5, v5, s[0:3], 0 offen offset:12
	buffer_store_dword v1, off, s[0:3], 0 offset:528
	buffer_store_dword v1, off, s[0:3], 0 offset:532
	;; [unrolled: 1-line block ×4, first 2 shown]
	s_waitcnt vmcnt(0)
	ds_write_b128 v183, v[2:5]
.LBB120_291:
	s_or_b32 exec_lo, exec_lo, s4
	s_waitcnt lgkmcnt(0)
	s_waitcnt_vscnt null, 0x0
	s_barrier
	buffer_gl0_inv
	s_clause 0x37
	buffer_load_dword v6, off, s[0:3], 0 offset:552
	buffer_load_dword v7, off, s[0:3], 0 offset:556
	;; [unrolled: 1-line block ×56, first 2 shown]
	ds_read_b128 v[2:5], v1 offset:1440
	s_clause 0x2
	buffer_load_dword v185, off, s[0:3], 0 offset:780
	buffer_load_dword v189, off, s[0:3], 0 offset:756
	;; [unrolled: 1-line block ×3, first 2 shown]
	ds_read_b128 v[123:126], v1 offset:1456
	s_clause 0x4
	buffer_load_dword v193, off, s[0:3], 0 offset:796
	buffer_load_dword v194, off, s[0:3], 0 offset:808
	;; [unrolled: 1-line block ×5, first 2 shown]
	ds_read_b128 v[127:130], v1 offset:1472
	s_mov_b32 s4, exec_lo
	s_waitcnt vmcnt(62) lgkmcnt(2)
	v_mul_f64 v[190:191], v[4:5], v[6:7]
	v_mul_f64 v[6:7], v[2:3], v[6:7]
	s_waitcnt vmcnt(60) lgkmcnt(1)
	v_mul_f64 v[197:198], v[125:126], v[131:132]
	v_mul_f64 v[131:132], v[123:124], v[131:132]
	;; [unrolled: 3-line block ×3, first 2 shown]
	v_fma_f64 v[190:191], v[2:3], v[133:134], -v[190:191]
	v_fma_f64 v[6:7], v[4:5], v[133:134], v[6:7]
	s_clause 0x2
	buffer_load_dword v195, off, s[0:3], 0 offset:812
	buffer_load_dword v134, off, s[0:3], 0 offset:788
	;; [unrolled: 1-line block ×3, first 2 shown]
	s_waitcnt vmcnt(57)
	v_fma_f64 v[201:202], v[123:124], v[137:138], -v[197:198]
	ds_read_b128 v[2:5], v1 offset:1488
	v_fma_f64 v[131:132], v[125:126], v[137:138], v[131:132]
	s_clause 0x4
	buffer_load_dword v138, off, s[0:3], 0 offset:828
	buffer_load_dword v198, off, s[0:3], 0 offset:840
	;; [unrolled: 1-line block ×5, first 2 shown]
	s_waitcnt vmcnt(56)
	v_fma_f64 v[135:136], v[127:128], v[145:146], -v[135:136]
	ds_read_b128 v[123:126], v1 offset:1504
	v_fma_f64 v[145:146], v[129:130], v[145:146], v[199:200]
	v_add_f64 v[190:191], v[190:191], 0
	v_add_f64 v[6:7], v[6:7], 0
	s_waitcnt lgkmcnt(1)
	v_mul_f64 v[204:205], v[2:3], v[139:140]
	v_mul_f64 v[139:140], v[4:5], v[139:140]
	v_add_f64 v[190:191], v[190:191], v[201:202]
	v_add_f64 v[6:7], v[6:7], v[131:132]
	s_clause 0x2
	buffer_load_dword v199, off, s[0:3], 0 offset:844
	buffer_load_dword v132, off, s[0:3], 0 offset:820
	buffer_load_dword v131, off, s[0:3], 0 offset:816
	s_waitcnt vmcnt(58) lgkmcnt(0)
	v_mul_f64 v[200:201], v[123:124], v[141:142]
	v_mul_f64 v[141:142], v[125:126], v[141:142]
	s_waitcnt vmcnt(56)
	v_fma_f64 v[139:140], v[2:3], v[147:148], -v[139:140]
	ds_read_b128 v[127:130], v1 offset:1520
	v_fma_f64 v[147:148], v[4:5], v[147:148], v[204:205]
	v_add_f64 v[135:136], v[190:191], v[135:136]
	v_add_f64 v[6:7], v[6:7], v[145:146]
	s_clause 0x4
	buffer_load_dword v146, off, s[0:3], 0 offset:860
	buffer_load_dword v190, off, s[0:3], 0 offset:872
	;; [unrolled: 1-line block ×5, first 2 shown]
	ds_read_b128 v[2:5], v1 offset:1536
	s_waitcnt vmcnt(57) lgkmcnt(1)
	v_mul_f64 v[206:207], v[127:128], v[149:150]
	v_mul_f64 v[149:150], v[129:130], v[149:150]
	s_waitcnt vmcnt(56)
	v_fma_f64 v[141:142], v[123:124], v[143:144], -v[141:142]
	v_add_f64 v[135:136], v[135:136], v[139:140]
	v_fma_f64 v[139:140], v[125:126], v[143:144], v[200:201]
	v_add_f64 v[6:7], v[6:7], v[147:148]
	s_clause 0x2
	buffer_load_dword v191, off, s[0:3], 0 offset:876
	buffer_load_dword v144, off, s[0:3], 0 offset:852
	;; [unrolled: 1-line block ×3, first 2 shown]
	s_waitcnt vmcnt(58) lgkmcnt(0)
	v_mul_f64 v[147:148], v[2:3], v[151:152]
	v_mul_f64 v[151:152], v[4:5], v[151:152]
	s_waitcnt vmcnt(56)
	v_fma_f64 v[149:150], v[127:128], v[155:156], -v[149:150]
	ds_read_b128 v[123:126], v1 offset:1552
	v_add_f64 v[135:136], v[135:136], v[141:142]
	v_fma_f64 v[141:142], v[129:130], v[155:156], v[206:207]
	v_add_f64 v[6:7], v[6:7], v[139:140]
	s_clause 0x4
	buffer_load_dword v140, off, s[0:3], 0 offset:892
	buffer_load_dword v155, off, s[0:3], 0 offset:904
	;; [unrolled: 1-line block ×5, first 2 shown]
	ds_read_b128 v[127:130], v1 offset:1568
	s_waitcnt vmcnt(57) lgkmcnt(1)
	v_mul_f64 v[201:202], v[123:124], v[157:158]
	v_mul_f64 v[157:158], v[125:126], v[157:158]
	s_waitcnt vmcnt(56)
	v_fma_f64 v[151:152], v[2:3], v[153:154], -v[151:152]
	v_fma_f64 v[147:148], v[4:5], v[153:154], v[147:148]
	v_add_f64 v[135:136], v[135:136], v[149:150]
	v_add_f64 v[6:7], v[6:7], v[141:142]
	s_clause 0x2
	buffer_load_dword v156, off, s[0:3], 0 offset:908
	buffer_load_dword v142, off, s[0:3], 0 offset:884
	;; [unrolled: 1-line block ×3, first 2 shown]
	s_waitcnt vmcnt(58) lgkmcnt(0)
	v_mul_f64 v[153:154], v[129:130], v[159:160]
	ds_read_b128 v[2:5], v1 offset:1584
	s_waitcnt vmcnt(56)
	v_fma_f64 v[157:158], v[123:124], v[163:164], -v[157:158]
	v_mul_f64 v[149:150], v[127:128], v[159:160]
	v_add_f64 v[135:136], v[135:136], v[151:152]
	v_fma_f64 v[151:152], v[125:126], v[163:164], v[201:202]
	v_add_f64 v[6:7], v[6:7], v[147:148]
	s_clause 0x2
	buffer_load_dword v148, off, s[0:3], 0 offset:924
	buffer_load_dword v147, off, s[0:3], 0 offset:920
	;; [unrolled: 1-line block ×3, first 2 shown]
	s_waitcnt vmcnt(55) lgkmcnt(0)
	v_mul_f64 v[163:164], v[4:5], v[165:166]
	s_waitcnt vmcnt(54)
	v_fma_f64 v[153:154], v[127:128], v[161:162], -v[153:154]
	ds_read_b128 v[123:126], v1 offset:1600
	v_mul_f64 v[159:160], v[2:3], v[165:166]
	v_fma_f64 v[149:150], v[129:130], v[161:162], v[149:150]
	v_add_f64 v[135:136], v[135:136], v[157:158]
	v_add_f64 v[6:7], v[6:7], v[151:152]
	s_clause 0x1
	buffer_load_dword v152, off, s[0:3], 0 offset:916
	buffer_load_dword v151, off, s[0:3], 0 offset:912
	s_waitcnt vmcnt(55) lgkmcnt(0)
	v_mul_f64 v[161:162], v[125:126], v[167:168]
	s_waitcnt vmcnt(53)
	v_fma_f64 v[163:164], v[2:3], v[171:172], -v[163:164]
	ds_read_b128 v[127:130], v1 offset:1616
	v_mul_f64 v[157:158], v[123:124], v[167:168]
	v_add_f64 v[135:136], v[135:136], v[153:154]
	v_fma_f64 v[153:154], v[4:5], v[171:172], v[159:160]
	v_add_f64 v[6:7], v[6:7], v[149:150]
	ds_read_b128 v[2:5], v1 offset:1632
	s_waitcnt vmcnt(49) lgkmcnt(1)
	v_mul_f64 v[159:160], v[129:130], v[173:174]
	s_waitcnt vmcnt(48)
	v_fma_f64 v[161:162], v[123:124], v[169:170], -v[161:162]
	v_mul_f64 v[149:150], v[127:128], v[173:174]
	v_fma_f64 v[157:158], v[125:126], v[169:170], v[157:158]
	v_add_f64 v[135:136], v[135:136], v[163:164]
	s_waitcnt vmcnt(47) lgkmcnt(0)
	v_mul_f64 v[167:168], v[4:5], v[175:176]
	v_add_f64 v[6:7], v[6:7], v[153:154]
	s_clause 0x3
	buffer_load_dword v153, off, s[0:3], 0 offset:528
	buffer_load_dword v154, off, s[0:3], 0 offset:532
	;; [unrolled: 1-line block ×4, first 2 shown]
	s_waitcnt vmcnt(49)
	v_fma_f64 v[159:160], v[127:128], v[179:180], -v[159:160]
	ds_read_b128 v[123:126], v1 offset:1648
	v_mul_f64 v[165:166], v[2:3], v[175:176]
	v_fma_f64 v[149:150], v[129:130], v[179:180], v[149:150]
	ds_read_b128 v[127:130], v1 offset:1664
	v_add_f64 v[135:136], v[135:136], v[161:162]
	s_waitcnt vmcnt(44)
	v_fma_f64 v[167:168], v[2:3], v[177:178], -v[167:168]
	v_add_f64 v[6:7], v[6:7], v[157:158]
	s_waitcnt lgkmcnt(1)
	v_mul_f64 v[161:162], v[125:126], v[181:182]
	v_mul_f64 v[157:158], v[123:124], v[181:182]
	v_add_f64 v[135:136], v[135:136], v[159:160]
	v_fma_f64 v[159:160], v[4:5], v[177:178], v[165:166]
	v_add_f64 v[6:7], v[6:7], v[149:150]
	s_waitcnt vmcnt(43) lgkmcnt(0)
	v_mul_f64 v[165:166], v[129:130], v[184:185]
	s_waitcnt vmcnt(41)
	v_fma_f64 v[161:162], v[123:124], v[188:189], -v[161:162]
	ds_read_b128 v[2:5], v1 offset:1680
	v_mul_f64 v[149:150], v[127:128], v[184:185]
	v_fma_f64 v[157:158], v[125:126], v[188:189], v[157:158]
	ds_read_b128 v[123:126], v1 offset:1696
	v_add_f64 v[135:136], v[135:136], v[167:168]
	v_add_f64 v[6:7], v[6:7], v[159:160]
	s_waitcnt vmcnt(37) lgkmcnt(1)
	v_mul_f64 v[167:168], v[4:5], v[192:193]
	s_waitcnt vmcnt(36)
	v_fma_f64 v[165:166], v[127:128], v[186:187], -v[165:166]
	v_mul_f64 v[159:160], v[2:3], v[192:193]
	v_fma_f64 v[149:150], v[129:130], v[186:187], v[149:150]
	ds_read_b128 v[127:130], v1 offset:1712
	v_add_f64 v[135:136], v[135:136], v[161:162]
	v_add_f64 v[6:7], v[6:7], v[157:158]
	s_waitcnt vmcnt(35) lgkmcnt(1)
	v_mul_f64 v[161:162], v[125:126], v[194:195]
	v_mul_f64 v[157:158], v[123:124], v[194:195]
	s_waitcnt vmcnt(33)
	v_fma_f64 v[167:168], v[2:3], v[133:134], -v[167:168]
	v_fma_f64 v[133:134], v[4:5], v[133:134], v[159:160]
	ds_read_b128 v[2:5], v1 offset:1728
	v_add_f64 v[135:136], v[135:136], v[165:166]
	v_add_f64 v[6:7], v[6:7], v[149:150]
	s_waitcnt vmcnt(29) lgkmcnt(1)
	v_mul_f64 v[149:150], v[127:128], v[137:138]
	v_mul_f64 v[137:138], v[129:130], v[137:138]
	s_waitcnt vmcnt(28)
	v_fma_f64 v[159:160], v[123:124], v[196:197], -v[161:162]
	v_fma_f64 v[157:158], v[125:126], v[196:197], v[157:158]
	ds_read_b128 v[123:126], v1 offset:1744
	v_add_f64 v[135:136], v[135:136], v[167:168]
	v_add_f64 v[6:7], v[6:7], v[133:134]
	s_waitcnt vmcnt(27) lgkmcnt(1)
	v_mul_f64 v[161:162], v[4:5], v[198:199]
	v_mul_f64 v[133:134], v[2:3], v[198:199]
	s_waitcnt vmcnt(25)
	v_fma_f64 v[137:138], v[127:128], v[131:132], -v[137:138]
	v_fma_f64 v[131:132], v[129:130], v[131:132], v[149:150]
	ds_read_b128 v[127:130], v1 offset:1760
	v_add_f64 v[135:136], v[135:136], v[159:160]
	v_add_f64 v[6:7], v[6:7], v[157:158]
	s_waitcnt vmcnt(21) lgkmcnt(1)
	v_mul_f64 v[149:150], v[123:124], v[145:146]
	v_mul_f64 v[145:146], v[125:126], v[145:146]
	s_waitcnt vmcnt(20)
	v_fma_f64 v[157:158], v[2:3], v[203:204], -v[161:162]
	v_fma_f64 v[133:134], v[4:5], v[203:204], v[133:134]
	ds_read_b128 v[2:5], v1 offset:1776
	v_add_f64 v[135:136], v[135:136], v[137:138]
	v_add_f64 v[6:7], v[6:7], v[131:132]
	s_waitcnt vmcnt(19) lgkmcnt(1)
	v_mul_f64 v[137:138], v[129:130], v[190:191]
	v_mul_f64 v[131:132], v[127:128], v[190:191]
	s_waitcnt vmcnt(17)
	v_fma_f64 v[145:146], v[123:124], v[143:144], -v[145:146]
	v_fma_f64 v[143:144], v[125:126], v[143:144], v[149:150]
	ds_read_b128 v[123:126], v1 offset:1792
	v_add_f64 v[135:136], v[135:136], v[157:158]
	v_add_f64 v[6:7], v[6:7], v[133:134]
	s_waitcnt vmcnt(13) lgkmcnt(1)
	v_mul_f64 v[133:134], v[2:3], v[139:140]
	v_mul_f64 v[139:140], v[4:5], v[139:140]
	s_waitcnt vmcnt(12)
	v_fma_f64 v[137:138], v[127:128], v[205:206], -v[137:138]
	v_fma_f64 v[131:132], v[129:130], v[205:206], v[131:132]
	ds_read_b128 v[127:130], v1 offset:1808
	v_add_f64 v[135:136], v[135:136], v[145:146]
	v_add_f64 v[6:7], v[6:7], v[143:144]
	s_waitcnt vmcnt(11) lgkmcnt(1)
	v_mul_f64 v[145:146], v[125:126], v[155:156]
	v_mul_f64 v[143:144], v[123:124], v[155:156]
	s_waitcnt vmcnt(9)
	v_fma_f64 v[1:2], v[2:3], v[141:142], -v[139:140]
	v_fma_f64 v[3:4], v[4:5], v[141:142], v[133:134]
	v_add_f64 v[135:136], v[135:136], v[137:138]
	v_add_f64 v[5:6], v[6:7], v[131:132]
	s_waitcnt vmcnt(7) lgkmcnt(0)
	v_mul_f64 v[131:132], v[129:130], v[147:148]
	s_waitcnt vmcnt(6)
	v_fma_f64 v[123:124], v[123:124], v[200:201], -v[145:146]
	v_mul_f64 v[7:8], v[127:128], v[147:148]
	v_fma_f64 v[125:126], v[125:126], v[200:201], v[143:144]
	v_add_f64 v[1:2], v[135:136], v[1:2]
	v_add_f64 v[3:4], v[5:6], v[3:4]
	s_waitcnt vmcnt(4)
	v_fma_f64 v[5:6], v[127:128], v[151:152], -v[131:132]
	v_fma_f64 v[7:8], v[129:130], v[151:152], v[7:8]
	v_add_f64 v[1:2], v[1:2], v[123:124]
	v_add_f64 v[3:4], v[3:4], v[125:126]
	;; [unrolled: 1-line block ×4, first 2 shown]
	s_waitcnt vmcnt(2)
	v_add_f64 v[1:2], v[153:154], -v[1:2]
	s_waitcnt vmcnt(0)
	v_add_f64 v[3:4], v[163:164], -v[3:4]
	buffer_store_dword v2, off, s[0:3], 0 offset:532
	buffer_store_dword v1, off, s[0:3], 0 offset:528
	;; [unrolled: 1-line block ×4, first 2 shown]
	v_cmpx_lt_u32_e32 31, v0
	s_cbranch_execz .LBB120_293
; %bb.292:
	v_mov_b32_e32 v4, s38
	v_mov_b32_e32 v5, 0
	s_clause 0x3
	buffer_load_dword v1, v4, s[0:3], 0 offen
	buffer_load_dword v2, v4, s[0:3], 0 offen offset:4
	buffer_load_dword v3, v4, s[0:3], 0 offen offset:8
	;; [unrolled: 1-line block ×3, first 2 shown]
	buffer_store_dword v5, off, s[0:3], 0 offset:512
	buffer_store_dword v5, off, s[0:3], 0 offset:516
	buffer_store_dword v5, off, s[0:3], 0 offset:520
	buffer_store_dword v5, off, s[0:3], 0 offset:524
	s_waitcnt vmcnt(0)
	ds_write_b128 v183, v[1:4]
.LBB120_293:
	s_or_b32 exec_lo, exec_lo, s4
	s_waitcnt lgkmcnt(0)
	s_waitcnt_vscnt null, 0x0
	s_barrier
	buffer_gl0_inv
	s_clause 0x37
	buffer_load_dword v6, off, s[0:3], 0 offset:536
	buffer_load_dword v7, off, s[0:3], 0 offset:540
	;; [unrolled: 1-line block ×56, first 2 shown]
	v_mov_b32_e32 v1, 0
	s_mov_b32 s4, exec_lo
	ds_read_b128 v[2:5], v1 offset:1424
	s_clause 0x2
	buffer_load_dword v185, off, s[0:3], 0 offset:764
	buffer_load_dword v189, off, s[0:3], 0 offset:740
	buffer_load_dword v188, off, s[0:3], 0 offset:736
	ds_read_b128 v[123:126], v1 offset:1440
	s_clause 0x4
	buffer_load_dword v193, off, s[0:3], 0 offset:780
	buffer_load_dword v194, off, s[0:3], 0 offset:792
	;; [unrolled: 1-line block ×5, first 2 shown]
	ds_read_b128 v[127:130], v1 offset:1456
	s_waitcnt vmcnt(62) lgkmcnt(2)
	v_mul_f64 v[190:191], v[4:5], v[6:7]
	v_mul_f64 v[6:7], v[2:3], v[6:7]
	s_waitcnt vmcnt(60) lgkmcnt(1)
	v_mul_f64 v[197:198], v[125:126], v[131:132]
	v_mul_f64 v[131:132], v[123:124], v[131:132]
	;; [unrolled: 3-line block ×3, first 2 shown]
	v_fma_f64 v[190:191], v[2:3], v[133:134], -v[190:191]
	v_fma_f64 v[6:7], v[4:5], v[133:134], v[6:7]
	s_clause 0x2
	buffer_load_dword v195, off, s[0:3], 0 offset:796
	buffer_load_dword v134, off, s[0:3], 0 offset:772
	;; [unrolled: 1-line block ×3, first 2 shown]
	s_waitcnt vmcnt(57)
	v_fma_f64 v[201:202], v[123:124], v[137:138], -v[197:198]
	ds_read_b128 v[2:5], v1 offset:1472
	v_fma_f64 v[131:132], v[125:126], v[137:138], v[131:132]
	s_clause 0x4
	buffer_load_dword v138, off, s[0:3], 0 offset:812
	buffer_load_dword v198, off, s[0:3], 0 offset:824
	;; [unrolled: 1-line block ×5, first 2 shown]
	s_waitcnt vmcnt(56)
	v_fma_f64 v[135:136], v[127:128], v[145:146], -v[135:136]
	ds_read_b128 v[123:126], v1 offset:1488
	v_fma_f64 v[145:146], v[129:130], v[145:146], v[199:200]
	v_add_f64 v[190:191], v[190:191], 0
	v_add_f64 v[6:7], v[6:7], 0
	s_waitcnt lgkmcnt(1)
	v_mul_f64 v[204:205], v[2:3], v[139:140]
	v_mul_f64 v[139:140], v[4:5], v[139:140]
	v_add_f64 v[190:191], v[190:191], v[201:202]
	v_add_f64 v[6:7], v[6:7], v[131:132]
	s_clause 0x2
	buffer_load_dword v199, off, s[0:3], 0 offset:828
	buffer_load_dword v132, off, s[0:3], 0 offset:804
	;; [unrolled: 1-line block ×3, first 2 shown]
	s_waitcnt vmcnt(58) lgkmcnt(0)
	v_mul_f64 v[200:201], v[123:124], v[141:142]
	v_mul_f64 v[141:142], v[125:126], v[141:142]
	s_waitcnt vmcnt(56)
	v_fma_f64 v[139:140], v[2:3], v[147:148], -v[139:140]
	ds_read_b128 v[127:130], v1 offset:1504
	v_fma_f64 v[147:148], v[4:5], v[147:148], v[204:205]
	v_add_f64 v[135:136], v[190:191], v[135:136]
	v_add_f64 v[6:7], v[6:7], v[145:146]
	s_clause 0x4
	buffer_load_dword v146, off, s[0:3], 0 offset:844
	buffer_load_dword v190, off, s[0:3], 0 offset:856
	;; [unrolled: 1-line block ×5, first 2 shown]
	ds_read_b128 v[2:5], v1 offset:1520
	s_waitcnt vmcnt(57) lgkmcnt(1)
	v_mul_f64 v[206:207], v[127:128], v[149:150]
	v_mul_f64 v[149:150], v[129:130], v[149:150]
	s_waitcnt vmcnt(56)
	v_fma_f64 v[141:142], v[123:124], v[143:144], -v[141:142]
	v_add_f64 v[135:136], v[135:136], v[139:140]
	v_fma_f64 v[139:140], v[125:126], v[143:144], v[200:201]
	v_add_f64 v[6:7], v[6:7], v[147:148]
	s_clause 0x2
	buffer_load_dword v191, off, s[0:3], 0 offset:860
	buffer_load_dword v144, off, s[0:3], 0 offset:836
	;; [unrolled: 1-line block ×3, first 2 shown]
	s_waitcnt vmcnt(58) lgkmcnt(0)
	v_mul_f64 v[147:148], v[2:3], v[151:152]
	v_mul_f64 v[151:152], v[4:5], v[151:152]
	s_waitcnt vmcnt(56)
	v_fma_f64 v[149:150], v[127:128], v[155:156], -v[149:150]
	ds_read_b128 v[123:126], v1 offset:1536
	v_add_f64 v[135:136], v[135:136], v[141:142]
	v_fma_f64 v[141:142], v[129:130], v[155:156], v[206:207]
	v_add_f64 v[6:7], v[6:7], v[139:140]
	s_clause 0x4
	buffer_load_dword v140, off, s[0:3], 0 offset:876
	buffer_load_dword v155, off, s[0:3], 0 offset:888
	;; [unrolled: 1-line block ×5, first 2 shown]
	ds_read_b128 v[127:130], v1 offset:1552
	s_waitcnt vmcnt(57) lgkmcnt(1)
	v_mul_f64 v[201:202], v[123:124], v[157:158]
	v_mul_f64 v[157:158], v[125:126], v[157:158]
	s_waitcnt vmcnt(56)
	v_fma_f64 v[151:152], v[2:3], v[153:154], -v[151:152]
	v_fma_f64 v[147:148], v[4:5], v[153:154], v[147:148]
	v_add_f64 v[135:136], v[135:136], v[149:150]
	v_add_f64 v[6:7], v[6:7], v[141:142]
	s_clause 0x2
	buffer_load_dword v156, off, s[0:3], 0 offset:892
	buffer_load_dword v142, off, s[0:3], 0 offset:868
	;; [unrolled: 1-line block ×3, first 2 shown]
	s_waitcnt vmcnt(58) lgkmcnt(0)
	v_mul_f64 v[153:154], v[129:130], v[159:160]
	ds_read_b128 v[2:5], v1 offset:1568
	s_waitcnt vmcnt(56)
	v_fma_f64 v[157:158], v[123:124], v[163:164], -v[157:158]
	v_mul_f64 v[149:150], v[127:128], v[159:160]
	v_add_f64 v[135:136], v[135:136], v[151:152]
	v_fma_f64 v[151:152], v[125:126], v[163:164], v[201:202]
	v_add_f64 v[6:7], v[6:7], v[147:148]
	s_clause 0x4
	buffer_load_dword v148, off, s[0:3], 0 offset:908
	buffer_load_dword v159, off, s[0:3], 0 offset:920
	buffer_load_dword v163, off, s[0:3], 0 offset:912
	buffer_load_dword v147, off, s[0:3], 0 offset:904
	buffer_load_dword v201, off, s[0:3], 0 offset:884
	s_waitcnt vmcnt(57) lgkmcnt(0)
	v_mul_f64 v[207:208], v[2:3], v[165:166]
	v_mul_f64 v[164:165], v[4:5], v[165:166]
	s_waitcnt vmcnt(56)
	v_fma_f64 v[153:154], v[127:128], v[161:162], -v[153:154]
	ds_read_b128 v[123:126], v1 offset:1584
	v_fma_f64 v[149:150], v[129:130], v[161:162], v[149:150]
	v_add_f64 v[135:136], v[135:136], v[157:158]
	v_add_f64 v[6:7], v[6:7], v[151:152]
	s_clause 0x2
	buffer_load_dword v160, off, s[0:3], 0 offset:924
	buffer_load_dword v152, off, s[0:3], 0 offset:900
	;; [unrolled: 1-line block ×3, first 2 shown]
	ds_read_b128 v[127:130], v1 offset:1600
	s_waitcnt vmcnt(58) lgkmcnt(1)
	v_mul_f64 v[161:162], v[125:126], v[167:168]
	s_waitcnt vmcnt(56)
	v_fma_f64 v[165:166], v[2:3], v[171:172], -v[164:165]
	v_mul_f64 v[157:158], v[123:124], v[167:168]
	buffer_load_dword v164, off, s[0:3], 0 offset:916
	v_add_f64 v[135:136], v[135:136], v[153:154]
	v_fma_f64 v[153:154], v[4:5], v[171:172], v[207:208]
	v_add_f64 v[6:7], v[6:7], v[149:150]
	ds_read_b128 v[2:5], v1 offset:1616
	s_waitcnt vmcnt(53) lgkmcnt(1)
	v_mul_f64 v[167:168], v[129:130], v[173:174]
	s_waitcnt vmcnt(52)
	v_fma_f64 v[161:162], v[123:124], v[169:170], -v[161:162]
	v_mul_f64 v[149:150], v[127:128], v[173:174]
	v_fma_f64 v[157:158], v[125:126], v[169:170], v[157:158]
	ds_read_b128 v[123:126], v1 offset:1632
	v_add_f64 v[135:136], v[135:136], v[165:166]
	s_waitcnt vmcnt(51) lgkmcnt(1)
	v_mul_f64 v[165:166], v[4:5], v[175:176]
	v_add_f64 v[6:7], v[6:7], v[153:154]
	v_mul_f64 v[153:154], v[2:3], v[175:176]
	s_waitcnt vmcnt(49)
	v_fma_f64 v[167:168], v[127:128], v[179:180], -v[167:168]
	v_fma_f64 v[149:150], v[129:130], v[179:180], v[149:150]
	s_waitcnt vmcnt(45) lgkmcnt(0)
	v_mul_f64 v[171:172], v[125:126], v[181:182]
	v_mul_f64 v[169:170], v[123:124], v[181:182]
	v_add_f64 v[135:136], v[135:136], v[161:162]
	s_waitcnt vmcnt(44)
	v_fma_f64 v[165:166], v[2:3], v[177:178], -v[165:166]
	v_add_f64 v[6:7], v[6:7], v[157:158]
	s_clause 0x3
	buffer_load_dword v157, off, s[0:3], 0 offset:512
	buffer_load_dword v158, off, s[0:3], 0 offset:516
	;; [unrolled: 1-line block ×4, first 2 shown]
	ds_read_b128 v[127:130], v1 offset:1648
	v_fma_f64 v[153:154], v[4:5], v[177:178], v[153:154]
	ds_read_b128 v[2:5], v1 offset:1664
	s_waitcnt vmcnt(45)
	v_fma_f64 v[171:172], v[123:124], v[188:189], -v[171:172]
	v_add_f64 v[135:136], v[135:136], v[167:168]
	v_add_f64 v[6:7], v[6:7], v[149:150]
	s_waitcnt lgkmcnt(1)
	v_mul_f64 v[167:168], v[129:130], v[184:185]
	v_mul_f64 v[149:150], v[127:128], v[184:185]
	v_add_f64 v[135:136], v[135:136], v[165:166]
	v_fma_f64 v[165:166], v[125:126], v[188:189], v[169:170]
	v_add_f64 v[6:7], v[6:7], v[153:154]
	s_waitcnt vmcnt(41) lgkmcnt(0)
	v_mul_f64 v[169:170], v[4:5], v[192:193]
	s_waitcnt vmcnt(40)
	v_fma_f64 v[167:168], v[127:128], v[186:187], -v[167:168]
	ds_read_b128 v[123:126], v1 offset:1680
	v_mul_f64 v[153:154], v[2:3], v[192:193]
	v_fma_f64 v[149:150], v[129:130], v[186:187], v[149:150]
	ds_read_b128 v[127:130], v1 offset:1696
	v_add_f64 v[135:136], v[135:136], v[171:172]
	v_add_f64 v[6:7], v[6:7], v[165:166]
	s_waitcnt vmcnt(39) lgkmcnt(1)
	v_mul_f64 v[171:172], v[125:126], v[194:195]
	v_mul_f64 v[165:166], v[123:124], v[194:195]
	s_waitcnt vmcnt(37)
	v_fma_f64 v[169:170], v[2:3], v[133:134], -v[169:170]
	v_fma_f64 v[133:134], v[4:5], v[133:134], v[153:154]
	ds_read_b128 v[2:5], v1 offset:1712
	v_add_f64 v[135:136], v[135:136], v[167:168]
	v_add_f64 v[6:7], v[6:7], v[149:150]
	s_waitcnt vmcnt(33) lgkmcnt(1)
	v_mul_f64 v[149:150], v[127:128], v[137:138]
	v_mul_f64 v[137:138], v[129:130], v[137:138]
	s_waitcnt vmcnt(32)
	v_fma_f64 v[153:154], v[123:124], v[196:197], -v[171:172]
	;; [unrolled: 9-line block ×7, first 2 shown]
	v_fma_f64 v[133:134], v[4:5], v[141:142], v[133:134]
	ds_read_b128 v[2:5], v1 offset:1808
	v_add_f64 v[135:136], v[135:136], v[137:138]
	v_add_f64 v[6:7], v[6:7], v[131:132]
	s_waitcnt vmcnt(9) lgkmcnt(1)
	v_mul_f64 v[137:138], v[129:130], v[147:148]
	s_waitcnt vmcnt(8)
	v_fma_f64 v[123:124], v[123:124], v[200:201], -v[145:146]
	v_mul_f64 v[131:132], v[127:128], v[147:148]
	v_fma_f64 v[125:126], v[125:126], v[200:201], v[143:144]
	v_add_f64 v[135:136], v[135:136], v[139:140]
	v_add_f64 v[6:7], v[6:7], v[133:134]
	s_waitcnt vmcnt(7) lgkmcnt(0)
	v_mul_f64 v[139:140], v[4:5], v[159:160]
	v_mul_f64 v[133:134], v[2:3], v[159:160]
	s_waitcnt vmcnt(5)
	v_fma_f64 v[127:128], v[127:128], v[151:152], -v[137:138]
	v_fma_f64 v[129:130], v[129:130], v[151:152], v[131:132]
	v_add_f64 v[123:124], v[135:136], v[123:124]
	v_add_f64 v[6:7], v[6:7], v[125:126]
	s_waitcnt vmcnt(4)
	v_fma_f64 v[2:3], v[2:3], v[163:164], -v[139:140]
	v_fma_f64 v[4:5], v[4:5], v[163:164], v[133:134]
	v_add_f64 v[123:124], v[123:124], v[127:128]
	v_add_f64 v[6:7], v[6:7], v[129:130]
	;; [unrolled: 1-line block ×4, first 2 shown]
	s_waitcnt vmcnt(2)
	v_add_f64 v[2:3], v[157:158], -v[2:3]
	s_waitcnt vmcnt(0)
	v_add_f64 v[4:5], v[161:162], -v[4:5]
	buffer_store_dword v3, off, s[0:3], 0 offset:516
	buffer_store_dword v2, off, s[0:3], 0 offset:512
	;; [unrolled: 1-line block ×4, first 2 shown]
	v_cmpx_lt_u32_e32 30, v0
	s_cbranch_execz .LBB120_295
; %bb.294:
	v_mov_b32_e32 v5, s39
	s_clause 0x3
	buffer_load_dword v2, v5, s[0:3], 0 offen
	buffer_load_dword v3, v5, s[0:3], 0 offen offset:4
	buffer_load_dword v4, v5, s[0:3], 0 offen offset:8
	;; [unrolled: 1-line block ×3, first 2 shown]
	buffer_store_dword v1, off, s[0:3], 0 offset:496
	buffer_store_dword v1, off, s[0:3], 0 offset:500
	;; [unrolled: 1-line block ×4, first 2 shown]
	s_waitcnt vmcnt(0)
	ds_write_b128 v183, v[2:5]
.LBB120_295:
	s_or_b32 exec_lo, exec_lo, s4
	s_waitcnt lgkmcnt(0)
	s_waitcnt_vscnt null, 0x0
	s_barrier
	buffer_gl0_inv
	s_clause 0x37
	buffer_load_dword v6, off, s[0:3], 0 offset:520
	buffer_load_dword v7, off, s[0:3], 0 offset:524
	;; [unrolled: 1-line block ×56, first 2 shown]
	ds_read_b128 v[2:5], v1 offset:1408
	s_clause 0x2
	buffer_load_dword v185, off, s[0:3], 0 offset:748
	buffer_load_dword v189, off, s[0:3], 0 offset:724
	;; [unrolled: 1-line block ×3, first 2 shown]
	ds_read_b128 v[123:126], v1 offset:1424
	s_clause 0x4
	buffer_load_dword v193, off, s[0:3], 0 offset:764
	buffer_load_dword v194, off, s[0:3], 0 offset:776
	;; [unrolled: 1-line block ×5, first 2 shown]
	ds_read_b128 v[127:130], v1 offset:1440
	s_mov_b32 s4, exec_lo
	s_waitcnt vmcnt(62) lgkmcnt(2)
	v_mul_f64 v[190:191], v[4:5], v[6:7]
	v_mul_f64 v[6:7], v[2:3], v[6:7]
	s_waitcnt vmcnt(60) lgkmcnt(1)
	v_mul_f64 v[197:198], v[125:126], v[131:132]
	v_mul_f64 v[131:132], v[123:124], v[131:132]
	;; [unrolled: 3-line block ×3, first 2 shown]
	v_fma_f64 v[190:191], v[2:3], v[133:134], -v[190:191]
	v_fma_f64 v[6:7], v[4:5], v[133:134], v[6:7]
	s_clause 0x2
	buffer_load_dword v195, off, s[0:3], 0 offset:780
	buffer_load_dword v134, off, s[0:3], 0 offset:756
	;; [unrolled: 1-line block ×3, first 2 shown]
	s_waitcnt vmcnt(57)
	v_fma_f64 v[201:202], v[123:124], v[137:138], -v[197:198]
	ds_read_b128 v[2:5], v1 offset:1456
	v_fma_f64 v[131:132], v[125:126], v[137:138], v[131:132]
	s_clause 0x4
	buffer_load_dword v138, off, s[0:3], 0 offset:796
	buffer_load_dword v198, off, s[0:3], 0 offset:808
	;; [unrolled: 1-line block ×5, first 2 shown]
	s_waitcnt vmcnt(56)
	v_fma_f64 v[135:136], v[127:128], v[145:146], -v[135:136]
	ds_read_b128 v[123:126], v1 offset:1472
	v_fma_f64 v[145:146], v[129:130], v[145:146], v[199:200]
	v_add_f64 v[190:191], v[190:191], 0
	v_add_f64 v[6:7], v[6:7], 0
	s_waitcnt lgkmcnt(1)
	v_mul_f64 v[204:205], v[2:3], v[139:140]
	v_mul_f64 v[139:140], v[4:5], v[139:140]
	v_add_f64 v[190:191], v[190:191], v[201:202]
	v_add_f64 v[6:7], v[6:7], v[131:132]
	s_clause 0x2
	buffer_load_dword v199, off, s[0:3], 0 offset:812
	buffer_load_dword v132, off, s[0:3], 0 offset:788
	;; [unrolled: 1-line block ×3, first 2 shown]
	s_waitcnt vmcnt(58) lgkmcnt(0)
	v_mul_f64 v[200:201], v[123:124], v[141:142]
	v_mul_f64 v[141:142], v[125:126], v[141:142]
	s_waitcnt vmcnt(56)
	v_fma_f64 v[139:140], v[2:3], v[147:148], -v[139:140]
	ds_read_b128 v[127:130], v1 offset:1488
	v_fma_f64 v[147:148], v[4:5], v[147:148], v[204:205]
	v_add_f64 v[135:136], v[190:191], v[135:136]
	v_add_f64 v[6:7], v[6:7], v[145:146]
	s_clause 0x4
	buffer_load_dword v146, off, s[0:3], 0 offset:828
	buffer_load_dword v190, off, s[0:3], 0 offset:840
	buffer_load_dword v205, off, s[0:3], 0 offset:832
	buffer_load_dword v145, off, s[0:3], 0 offset:824
	buffer_load_dword v204, off, s[0:3], 0 offset:804
	ds_read_b128 v[2:5], v1 offset:1504
	s_waitcnt vmcnt(57) lgkmcnt(1)
	v_mul_f64 v[206:207], v[127:128], v[149:150]
	v_mul_f64 v[149:150], v[129:130], v[149:150]
	s_waitcnt vmcnt(56)
	v_fma_f64 v[141:142], v[123:124], v[143:144], -v[141:142]
	v_add_f64 v[135:136], v[135:136], v[139:140]
	v_fma_f64 v[139:140], v[125:126], v[143:144], v[200:201]
	v_add_f64 v[6:7], v[6:7], v[147:148]
	s_clause 0x2
	buffer_load_dword v191, off, s[0:3], 0 offset:844
	buffer_load_dword v144, off, s[0:3], 0 offset:820
	;; [unrolled: 1-line block ×3, first 2 shown]
	s_waitcnt vmcnt(58) lgkmcnt(0)
	v_mul_f64 v[147:148], v[2:3], v[151:152]
	v_mul_f64 v[151:152], v[4:5], v[151:152]
	s_waitcnt vmcnt(56)
	v_fma_f64 v[149:150], v[127:128], v[155:156], -v[149:150]
	ds_read_b128 v[123:126], v1 offset:1520
	v_add_f64 v[135:136], v[135:136], v[141:142]
	v_fma_f64 v[141:142], v[129:130], v[155:156], v[206:207]
	v_add_f64 v[6:7], v[6:7], v[139:140]
	s_clause 0x4
	buffer_load_dword v140, off, s[0:3], 0 offset:860
	buffer_load_dword v155, off, s[0:3], 0 offset:872
	;; [unrolled: 1-line block ×5, first 2 shown]
	ds_read_b128 v[127:130], v1 offset:1536
	s_waitcnt vmcnt(57) lgkmcnt(1)
	v_mul_f64 v[201:202], v[123:124], v[157:158]
	v_mul_f64 v[157:158], v[125:126], v[157:158]
	s_waitcnt vmcnt(56)
	v_fma_f64 v[151:152], v[2:3], v[153:154], -v[151:152]
	v_fma_f64 v[147:148], v[4:5], v[153:154], v[147:148]
	v_add_f64 v[135:136], v[135:136], v[149:150]
	v_add_f64 v[6:7], v[6:7], v[141:142]
	s_clause 0x2
	buffer_load_dword v156, off, s[0:3], 0 offset:876
	buffer_load_dword v142, off, s[0:3], 0 offset:852
	;; [unrolled: 1-line block ×3, first 2 shown]
	s_waitcnt vmcnt(58) lgkmcnt(0)
	v_mul_f64 v[153:154], v[129:130], v[159:160]
	ds_read_b128 v[2:5], v1 offset:1552
	s_waitcnt vmcnt(56)
	v_fma_f64 v[157:158], v[123:124], v[163:164], -v[157:158]
	v_mul_f64 v[149:150], v[127:128], v[159:160]
	v_add_f64 v[135:136], v[135:136], v[151:152]
	v_fma_f64 v[151:152], v[125:126], v[163:164], v[201:202]
	v_add_f64 v[6:7], v[6:7], v[147:148]
	s_clause 0x4
	buffer_load_dword v148, off, s[0:3], 0 offset:892
	buffer_load_dword v159, off, s[0:3], 0 offset:904
	;; [unrolled: 1-line block ×5, first 2 shown]
	s_waitcnt vmcnt(57) lgkmcnt(0)
	v_mul_f64 v[207:208], v[2:3], v[165:166]
	v_mul_f64 v[164:165], v[4:5], v[165:166]
	s_waitcnt vmcnt(56)
	v_fma_f64 v[153:154], v[127:128], v[161:162], -v[153:154]
	ds_read_b128 v[123:126], v1 offset:1568
	v_fma_f64 v[149:150], v[129:130], v[161:162], v[149:150]
	v_add_f64 v[135:136], v[135:136], v[157:158]
	v_add_f64 v[6:7], v[6:7], v[151:152]
	s_clause 0x2
	buffer_load_dword v160, off, s[0:3], 0 offset:908
	buffer_load_dword v152, off, s[0:3], 0 offset:884
	buffer_load_dword v151, off, s[0:3], 0 offset:880
	ds_read_b128 v[127:130], v1 offset:1584
	s_waitcnt vmcnt(58) lgkmcnt(1)
	v_mul_f64 v[161:162], v[125:126], v[167:168]
	s_waitcnt vmcnt(56)
	v_fma_f64 v[165:166], v[2:3], v[171:172], -v[164:165]
	v_mul_f64 v[157:158], v[123:124], v[167:168]
	v_add_f64 v[135:136], v[135:136], v[153:154]
	v_fma_f64 v[153:154], v[4:5], v[171:172], v[207:208]
	v_add_f64 v[6:7], v[6:7], v[149:150]
	s_clause 0x2
	buffer_load_dword v150, off, s[0:3], 0 offset:924
	buffer_load_dword v149, off, s[0:3], 0 offset:920
	;; [unrolled: 1-line block ×3, first 2 shown]
	s_waitcnt vmcnt(55) lgkmcnt(0)
	v_mul_f64 v[171:172], v[129:130], v[173:174]
	s_waitcnt vmcnt(54)
	v_fma_f64 v[161:162], v[123:124], v[169:170], -v[161:162]
	ds_read_b128 v[2:5], v1 offset:1600
	v_mul_f64 v[167:168], v[127:128], v[173:174]
	v_fma_f64 v[157:158], v[125:126], v[169:170], v[157:158]
	v_add_f64 v[135:136], v[135:136], v[165:166]
	v_add_f64 v[6:7], v[6:7], v[153:154]
	s_clause 0x1
	buffer_load_dword v154, off, s[0:3], 0 offset:916
	buffer_load_dword v153, off, s[0:3], 0 offset:912
	s_waitcnt vmcnt(55) lgkmcnt(0)
	v_mul_f64 v[169:170], v[4:5], v[175:176]
	s_waitcnt vmcnt(53)
	v_fma_f64 v[171:172], v[127:128], v[179:180], -v[171:172]
	ds_read_b128 v[123:126], v1 offset:1616
	v_mul_f64 v[165:166], v[2:3], v[175:176]
	v_add_f64 v[135:136], v[135:136], v[161:162]
	v_fma_f64 v[161:162], v[129:130], v[179:180], v[167:168]
	v_add_f64 v[6:7], v[6:7], v[157:158]
	ds_read_b128 v[127:130], v1 offset:1632
	s_waitcnt vmcnt(49) lgkmcnt(1)
	v_mul_f64 v[167:168], v[125:126], v[181:182]
	s_waitcnt vmcnt(48)
	v_fma_f64 v[169:170], v[2:3], v[177:178], -v[169:170]
	v_mul_f64 v[157:158], v[123:124], v[181:182]
	v_fma_f64 v[165:166], v[4:5], v[177:178], v[165:166]
	v_add_f64 v[135:136], v[135:136], v[171:172]
	s_waitcnt vmcnt(47) lgkmcnt(0)
	v_mul_f64 v[175:176], v[129:130], v[184:185]
	v_add_f64 v[6:7], v[6:7], v[161:162]
	s_clause 0x3
	buffer_load_dword v161, off, s[0:3], 0 offset:496
	buffer_load_dword v162, off, s[0:3], 0 offset:500
	;; [unrolled: 1-line block ×4, first 2 shown]
	s_waitcnt vmcnt(49)
	v_fma_f64 v[167:168], v[123:124], v[188:189], -v[167:168]
	ds_read_b128 v[2:5], v1 offset:1648
	v_mul_f64 v[173:174], v[127:128], v[184:185]
	v_fma_f64 v[157:158], v[125:126], v[188:189], v[157:158]
	ds_read_b128 v[123:126], v1 offset:1664
	v_add_f64 v[135:136], v[135:136], v[169:170]
	s_waitcnt vmcnt(44)
	v_fma_f64 v[175:176], v[127:128], v[186:187], -v[175:176]
	v_add_f64 v[6:7], v[6:7], v[165:166]
	s_waitcnt lgkmcnt(1)
	v_mul_f64 v[169:170], v[4:5], v[192:193]
	v_mul_f64 v[165:166], v[2:3], v[192:193]
	v_add_f64 v[135:136], v[135:136], v[167:168]
	v_fma_f64 v[167:168], v[129:130], v[186:187], v[173:174]
	v_add_f64 v[6:7], v[6:7], v[157:158]
	ds_read_b128 v[127:130], v1 offset:1680
	s_waitcnt vmcnt(43) lgkmcnt(1)
	v_mul_f64 v[173:174], v[125:126], v[194:195]
	v_mul_f64 v[157:158], v[123:124], v[194:195]
	s_waitcnt vmcnt(41)
	v_fma_f64 v[169:170], v[2:3], v[133:134], -v[169:170]
	v_fma_f64 v[133:134], v[4:5], v[133:134], v[165:166]
	ds_read_b128 v[2:5], v1 offset:1696
	v_add_f64 v[135:136], v[135:136], v[175:176]
	s_waitcnt vmcnt(37) lgkmcnt(1)
	v_mul_f64 v[165:166], v[127:128], v[137:138]
	v_add_f64 v[6:7], v[6:7], v[167:168]
	v_mul_f64 v[137:138], v[129:130], v[137:138]
	s_waitcnt vmcnt(36)
	v_fma_f64 v[167:168], v[123:124], v[196:197], -v[173:174]
	v_fma_f64 v[157:158], v[125:126], v[196:197], v[157:158]
	ds_read_b128 v[123:126], v1 offset:1712
	v_add_f64 v[135:136], v[135:136], v[169:170]
	v_add_f64 v[6:7], v[6:7], v[133:134]
	s_waitcnt vmcnt(35) lgkmcnt(1)
	v_mul_f64 v[169:170], v[4:5], v[198:199]
	v_mul_f64 v[133:134], v[2:3], v[198:199]
	s_waitcnt vmcnt(33)
	v_fma_f64 v[137:138], v[127:128], v[131:132], -v[137:138]
	v_fma_f64 v[131:132], v[129:130], v[131:132], v[165:166]
	ds_read_b128 v[127:130], v1 offset:1728
	v_add_f64 v[135:136], v[135:136], v[167:168]
	v_add_f64 v[6:7], v[6:7], v[157:158]
	s_waitcnt vmcnt(29) lgkmcnt(1)
	v_mul_f64 v[157:158], v[123:124], v[145:146]
	;; [unrolled: 9-line block ×6, first 2 shown]
	s_waitcnt vmcnt(12)
	v_fma_f64 v[141:142], v[123:124], v[200:201], -v[145:146]
	v_mul_f64 v[131:132], v[127:128], v[147:148]
	v_add_f64 v[135:136], v[135:136], v[139:140]
	v_fma_f64 v[139:140], v[125:126], v[200:201], v[143:144]
	v_add_f64 v[6:7], v[6:7], v[133:134]
	ds_read_b128 v[123:126], v1 offset:1808
	s_waitcnt vmcnt(11) lgkmcnt(1)
	v_mul_f64 v[143:144], v[4:5], v[159:160]
	v_mul_f64 v[133:134], v[2:3], v[159:160]
	s_waitcnt vmcnt(9)
	v_fma_f64 v[127:128], v[127:128], v[151:152], -v[137:138]
	v_fma_f64 v[129:130], v[129:130], v[151:152], v[131:132]
	v_add_f64 v[135:136], v[135:136], v[141:142]
	v_add_f64 v[6:7], v[6:7], v[139:140]
	s_waitcnt vmcnt(7) lgkmcnt(0)
	v_mul_f64 v[137:138], v[125:126], v[149:150]
	s_waitcnt vmcnt(6)
	v_fma_f64 v[1:2], v[2:3], v[163:164], -v[143:144]
	v_mul_f64 v[131:132], v[123:124], v[149:150]
	v_fma_f64 v[3:4], v[4:5], v[163:164], v[133:134]
	v_add_f64 v[127:128], v[135:136], v[127:128]
	v_add_f64 v[5:6], v[6:7], v[129:130]
	s_waitcnt vmcnt(4)
	v_fma_f64 v[7:8], v[123:124], v[153:154], -v[137:138]
	v_fma_f64 v[123:124], v[125:126], v[153:154], v[131:132]
	v_add_f64 v[1:2], v[127:128], v[1:2]
	v_add_f64 v[3:4], v[5:6], v[3:4]
	;; [unrolled: 1-line block ×4, first 2 shown]
	s_waitcnt vmcnt(2)
	v_add_f64 v[1:2], v[161:162], -v[1:2]
	s_waitcnt vmcnt(0)
	v_add_f64 v[3:4], v[171:172], -v[3:4]
	buffer_store_dword v2, off, s[0:3], 0 offset:500
	buffer_store_dword v1, off, s[0:3], 0 offset:496
	;; [unrolled: 1-line block ×4, first 2 shown]
	v_cmpx_lt_u32_e32 29, v0
	s_cbranch_execz .LBB120_297
; %bb.296:
	v_mov_b32_e32 v4, s40
	v_mov_b32_e32 v5, 0
	s_clause 0x3
	buffer_load_dword v1, v4, s[0:3], 0 offen
	buffer_load_dword v2, v4, s[0:3], 0 offen offset:4
	buffer_load_dword v3, v4, s[0:3], 0 offen offset:8
	;; [unrolled: 1-line block ×3, first 2 shown]
	buffer_store_dword v5, off, s[0:3], 0 offset:480
	buffer_store_dword v5, off, s[0:3], 0 offset:484
	;; [unrolled: 1-line block ×4, first 2 shown]
	s_waitcnt vmcnt(0)
	ds_write_b128 v183, v[1:4]
.LBB120_297:
	s_or_b32 exec_lo, exec_lo, s4
	s_waitcnt lgkmcnt(0)
	s_waitcnt_vscnt null, 0x0
	s_barrier
	buffer_gl0_inv
	s_clause 0x37
	buffer_load_dword v6, off, s[0:3], 0 offset:504
	buffer_load_dword v7, off, s[0:3], 0 offset:508
	;; [unrolled: 1-line block ×56, first 2 shown]
	v_mov_b32_e32 v1, 0
	s_mov_b32 s4, exec_lo
	ds_read_b128 v[2:5], v1 offset:1392
	s_clause 0x2
	buffer_load_dword v185, off, s[0:3], 0 offset:732
	buffer_load_dword v189, off, s[0:3], 0 offset:708
	;; [unrolled: 1-line block ×3, first 2 shown]
	ds_read_b128 v[123:126], v1 offset:1408
	s_clause 0x4
	buffer_load_dword v193, off, s[0:3], 0 offset:748
	buffer_load_dword v194, off, s[0:3], 0 offset:760
	;; [unrolled: 1-line block ×5, first 2 shown]
	ds_read_b128 v[127:130], v1 offset:1424
	s_waitcnt vmcnt(62) lgkmcnt(2)
	v_mul_f64 v[190:191], v[4:5], v[6:7]
	v_mul_f64 v[6:7], v[2:3], v[6:7]
	s_waitcnt vmcnt(60) lgkmcnt(1)
	v_mul_f64 v[197:198], v[125:126], v[131:132]
	v_mul_f64 v[131:132], v[123:124], v[131:132]
	s_waitcnt vmcnt(56) lgkmcnt(0)
	v_mul_f64 v[199:200], v[127:128], v[135:136]
	v_mul_f64 v[135:136], v[129:130], v[135:136]
	v_fma_f64 v[190:191], v[2:3], v[133:134], -v[190:191]
	v_fma_f64 v[6:7], v[4:5], v[133:134], v[6:7]
	s_clause 0x2
	buffer_load_dword v195, off, s[0:3], 0 offset:764
	buffer_load_dword v134, off, s[0:3], 0 offset:740
	;; [unrolled: 1-line block ×3, first 2 shown]
	s_waitcnt vmcnt(57)
	v_fma_f64 v[201:202], v[123:124], v[137:138], -v[197:198]
	ds_read_b128 v[2:5], v1 offset:1440
	v_fma_f64 v[131:132], v[125:126], v[137:138], v[131:132]
	s_clause 0x4
	buffer_load_dword v138, off, s[0:3], 0 offset:780
	buffer_load_dword v198, off, s[0:3], 0 offset:792
	;; [unrolled: 1-line block ×5, first 2 shown]
	s_waitcnt vmcnt(56)
	v_fma_f64 v[135:136], v[127:128], v[145:146], -v[135:136]
	ds_read_b128 v[123:126], v1 offset:1456
	v_fma_f64 v[145:146], v[129:130], v[145:146], v[199:200]
	v_add_f64 v[190:191], v[190:191], 0
	v_add_f64 v[6:7], v[6:7], 0
	s_waitcnt lgkmcnt(1)
	v_mul_f64 v[204:205], v[2:3], v[139:140]
	v_mul_f64 v[139:140], v[4:5], v[139:140]
	v_add_f64 v[190:191], v[190:191], v[201:202]
	v_add_f64 v[6:7], v[6:7], v[131:132]
	s_clause 0x2
	buffer_load_dword v199, off, s[0:3], 0 offset:796
	buffer_load_dword v132, off, s[0:3], 0 offset:772
	buffer_load_dword v131, off, s[0:3], 0 offset:768
	s_waitcnt vmcnt(58) lgkmcnt(0)
	v_mul_f64 v[200:201], v[123:124], v[141:142]
	v_mul_f64 v[141:142], v[125:126], v[141:142]
	s_waitcnt vmcnt(56)
	v_fma_f64 v[139:140], v[2:3], v[147:148], -v[139:140]
	ds_read_b128 v[127:130], v1 offset:1472
	v_fma_f64 v[147:148], v[4:5], v[147:148], v[204:205]
	v_add_f64 v[135:136], v[190:191], v[135:136]
	v_add_f64 v[6:7], v[6:7], v[145:146]
	s_clause 0x4
	buffer_load_dword v146, off, s[0:3], 0 offset:812
	buffer_load_dword v190, off, s[0:3], 0 offset:824
	;; [unrolled: 1-line block ×5, first 2 shown]
	ds_read_b128 v[2:5], v1 offset:1488
	s_waitcnt vmcnt(57) lgkmcnt(1)
	v_mul_f64 v[206:207], v[127:128], v[149:150]
	v_mul_f64 v[149:150], v[129:130], v[149:150]
	s_waitcnt vmcnt(56)
	v_fma_f64 v[141:142], v[123:124], v[143:144], -v[141:142]
	v_add_f64 v[135:136], v[135:136], v[139:140]
	v_fma_f64 v[139:140], v[125:126], v[143:144], v[200:201]
	v_add_f64 v[6:7], v[6:7], v[147:148]
	s_clause 0x2
	buffer_load_dword v191, off, s[0:3], 0 offset:828
	buffer_load_dword v144, off, s[0:3], 0 offset:804
	;; [unrolled: 1-line block ×3, first 2 shown]
	s_waitcnt vmcnt(58) lgkmcnt(0)
	v_mul_f64 v[147:148], v[2:3], v[151:152]
	v_mul_f64 v[151:152], v[4:5], v[151:152]
	s_waitcnt vmcnt(56)
	v_fma_f64 v[149:150], v[127:128], v[155:156], -v[149:150]
	ds_read_b128 v[123:126], v1 offset:1504
	v_add_f64 v[135:136], v[135:136], v[141:142]
	v_fma_f64 v[141:142], v[129:130], v[155:156], v[206:207]
	v_add_f64 v[6:7], v[6:7], v[139:140]
	s_clause 0x4
	buffer_load_dword v140, off, s[0:3], 0 offset:844
	buffer_load_dword v155, off, s[0:3], 0 offset:856
	;; [unrolled: 1-line block ×5, first 2 shown]
	ds_read_b128 v[127:130], v1 offset:1520
	s_waitcnt vmcnt(57) lgkmcnt(1)
	v_mul_f64 v[201:202], v[123:124], v[157:158]
	v_mul_f64 v[157:158], v[125:126], v[157:158]
	s_waitcnt vmcnt(56)
	v_fma_f64 v[151:152], v[2:3], v[153:154], -v[151:152]
	v_fma_f64 v[147:148], v[4:5], v[153:154], v[147:148]
	v_add_f64 v[135:136], v[135:136], v[149:150]
	v_add_f64 v[6:7], v[6:7], v[141:142]
	s_clause 0x2
	buffer_load_dword v156, off, s[0:3], 0 offset:860
	buffer_load_dword v142, off, s[0:3], 0 offset:836
	;; [unrolled: 1-line block ×3, first 2 shown]
	s_waitcnt vmcnt(58) lgkmcnt(0)
	v_mul_f64 v[153:154], v[129:130], v[159:160]
	ds_read_b128 v[2:5], v1 offset:1536
	s_waitcnt vmcnt(56)
	v_fma_f64 v[157:158], v[123:124], v[163:164], -v[157:158]
	v_mul_f64 v[149:150], v[127:128], v[159:160]
	v_add_f64 v[135:136], v[135:136], v[151:152]
	v_fma_f64 v[151:152], v[125:126], v[163:164], v[201:202]
	v_add_f64 v[6:7], v[6:7], v[147:148]
	s_clause 0x4
	buffer_load_dword v148, off, s[0:3], 0 offset:876
	buffer_load_dword v159, off, s[0:3], 0 offset:888
	;; [unrolled: 1-line block ×5, first 2 shown]
	s_waitcnt vmcnt(57) lgkmcnt(0)
	v_mul_f64 v[207:208], v[2:3], v[165:166]
	v_mul_f64 v[164:165], v[4:5], v[165:166]
	s_waitcnt vmcnt(56)
	v_fma_f64 v[153:154], v[127:128], v[161:162], -v[153:154]
	ds_read_b128 v[123:126], v1 offset:1552
	v_fma_f64 v[149:150], v[129:130], v[161:162], v[149:150]
	v_add_f64 v[135:136], v[135:136], v[157:158]
	v_add_f64 v[6:7], v[6:7], v[151:152]
	s_clause 0x2
	buffer_load_dword v160, off, s[0:3], 0 offset:892
	buffer_load_dword v152, off, s[0:3], 0 offset:868
	;; [unrolled: 1-line block ×3, first 2 shown]
	ds_read_b128 v[127:130], v1 offset:1568
	s_waitcnt vmcnt(58) lgkmcnt(1)
	v_mul_f64 v[161:162], v[125:126], v[167:168]
	s_waitcnt vmcnt(56)
	v_fma_f64 v[165:166], v[2:3], v[171:172], -v[164:165]
	v_mul_f64 v[157:158], v[123:124], v[167:168]
	v_add_f64 v[135:136], v[135:136], v[153:154]
	v_fma_f64 v[153:154], v[4:5], v[171:172], v[207:208]
	v_add_f64 v[6:7], v[6:7], v[149:150]
	s_clause 0x4
	buffer_load_dword v150, off, s[0:3], 0 offset:908
	buffer_load_dword v167, off, s[0:3], 0 offset:920
	;; [unrolled: 1-line block ×5, first 2 shown]
	s_waitcnt vmcnt(57) lgkmcnt(0)
	v_mul_f64 v[207:208], v[127:128], v[173:174]
	v_mul_f64 v[172:173], v[129:130], v[173:174]
	s_waitcnt vmcnt(56)
	v_fma_f64 v[161:162], v[123:124], v[169:170], -v[161:162]
	ds_read_b128 v[2:5], v1 offset:1584
	v_fma_f64 v[157:158], v[125:126], v[169:170], v[157:158]
	v_add_f64 v[135:136], v[135:136], v[165:166]
	v_add_f64 v[6:7], v[6:7], v[153:154]
	s_clause 0x2
	buffer_load_dword v168, off, s[0:3], 0 offset:924
	buffer_load_dword v154, off, s[0:3], 0 offset:900
	;; [unrolled: 1-line block ×3, first 2 shown]
	ds_read_b128 v[123:126], v1 offset:1600
	s_waitcnt vmcnt(58) lgkmcnt(1)
	v_mul_f64 v[169:170], v[4:5], v[175:176]
	s_waitcnt vmcnt(56)
	v_fma_f64 v[173:174], v[127:128], v[179:180], -v[172:173]
	v_mul_f64 v[165:166], v[2:3], v[175:176]
	buffer_load_dword v172, off, s[0:3], 0 offset:916
	v_add_f64 v[135:136], v[135:136], v[161:162]
	v_fma_f64 v[161:162], v[129:130], v[179:180], v[207:208]
	v_add_f64 v[6:7], v[6:7], v[157:158]
	ds_read_b128 v[127:130], v1 offset:1616
	s_waitcnt vmcnt(53) lgkmcnt(1)
	v_mul_f64 v[175:176], v[125:126], v[181:182]
	s_waitcnt vmcnt(52)
	v_fma_f64 v[169:170], v[2:3], v[177:178], -v[169:170]
	v_mul_f64 v[157:158], v[123:124], v[181:182]
	v_fma_f64 v[165:166], v[4:5], v[177:178], v[165:166]
	ds_read_b128 v[2:5], v1 offset:1632
	v_add_f64 v[135:136], v[135:136], v[173:174]
	s_waitcnt vmcnt(51) lgkmcnt(1)
	v_mul_f64 v[173:174], v[129:130], v[184:185]
	v_add_f64 v[6:7], v[6:7], v[161:162]
	v_mul_f64 v[161:162], v[127:128], v[184:185]
	s_waitcnt vmcnt(49)
	v_fma_f64 v[175:176], v[123:124], v[188:189], -v[175:176]
	v_fma_f64 v[157:158], v[125:126], v[188:189], v[157:158]
	s_waitcnt vmcnt(45) lgkmcnt(0)
	v_mul_f64 v[179:180], v[4:5], v[192:193]
	v_mul_f64 v[177:178], v[2:3], v[192:193]
	v_add_f64 v[135:136], v[135:136], v[169:170]
	s_waitcnt vmcnt(44)
	v_fma_f64 v[173:174], v[127:128], v[186:187], -v[173:174]
	v_add_f64 v[6:7], v[6:7], v[165:166]
	s_clause 0x3
	buffer_load_dword v165, off, s[0:3], 0 offset:480
	buffer_load_dword v166, off, s[0:3], 0 offset:484
	;; [unrolled: 1-line block ×4, first 2 shown]
	ds_read_b128 v[123:126], v1 offset:1648
	v_fma_f64 v[161:162], v[129:130], v[186:187], v[161:162]
	ds_read_b128 v[127:130], v1 offset:1664
	v_add_f64 v[135:136], v[135:136], v[175:176]
	v_add_f64 v[6:7], v[6:7], v[157:158]
	s_waitcnt vmcnt(47) lgkmcnt(1)
	v_mul_f64 v[175:176], v[125:126], v[194:195]
	v_mul_f64 v[157:158], v[123:124], v[194:195]
	s_waitcnt vmcnt(45)
	v_fma_f64 v[179:180], v[2:3], v[133:134], -v[179:180]
	v_fma_f64 v[133:134], v[4:5], v[133:134], v[177:178]
	ds_read_b128 v[2:5], v1 offset:1680
	v_add_f64 v[135:136], v[135:136], v[173:174]
	v_add_f64 v[6:7], v[6:7], v[161:162]
	s_waitcnt vmcnt(41) lgkmcnt(1)
	v_mul_f64 v[161:162], v[127:128], v[137:138]
	v_mul_f64 v[137:138], v[129:130], v[137:138]
	s_waitcnt vmcnt(40)
	v_fma_f64 v[173:174], v[123:124], v[196:197], -v[175:176]
	;; [unrolled: 9-line block ×7, first 2 shown]
	v_fma_f64 v[133:134], v[4:5], v[141:142], v[133:134]
	ds_read_b128 v[2:5], v1 offset:1776
	v_add_f64 v[135:136], v[135:136], v[137:138]
	v_add_f64 v[6:7], v[6:7], v[131:132]
	s_waitcnt vmcnt(17) lgkmcnt(1)
	v_mul_f64 v[137:138], v[129:130], v[147:148]
	s_waitcnt vmcnt(16)
	v_fma_f64 v[141:142], v[123:124], v[200:201], -v[145:146]
	v_mul_f64 v[131:132], v[127:128], v[147:148]
	v_add_f64 v[135:136], v[135:136], v[139:140]
	v_fma_f64 v[139:140], v[125:126], v[200:201], v[143:144]
	v_add_f64 v[6:7], v[6:7], v[133:134]
	ds_read_b128 v[123:126], v1 offset:1792
	s_waitcnt vmcnt(15) lgkmcnt(1)
	v_mul_f64 v[143:144], v[4:5], v[159:160]
	v_mul_f64 v[133:134], v[2:3], v[159:160]
	s_waitcnt vmcnt(13)
	v_fma_f64 v[137:138], v[127:128], v[151:152], -v[137:138]
	v_fma_f64 v[131:132], v[129:130], v[151:152], v[131:132]
	ds_read_b128 v[127:130], v1 offset:1808
	v_add_f64 v[135:136], v[135:136], v[141:142]
	v_add_f64 v[6:7], v[6:7], v[139:140]
	s_waitcnt vmcnt(9) lgkmcnt(1)
	v_mul_f64 v[141:142], v[125:126], v[149:150]
	s_waitcnt vmcnt(8)
	v_fma_f64 v[2:3], v[2:3], v[163:164], -v[143:144]
	v_mul_f64 v[139:140], v[123:124], v[149:150]
	v_fma_f64 v[4:5], v[4:5], v[163:164], v[133:134]
	v_add_f64 v[135:136], v[135:136], v[137:138]
	v_add_f64 v[6:7], v[6:7], v[131:132]
	s_waitcnt vmcnt(7) lgkmcnt(0)
	v_mul_f64 v[133:134], v[129:130], v[167:168]
	v_mul_f64 v[131:132], v[127:128], v[167:168]
	s_waitcnt vmcnt(5)
	v_fma_f64 v[123:124], v[123:124], v[153:154], -v[141:142]
	v_fma_f64 v[125:126], v[125:126], v[153:154], v[139:140]
	v_add_f64 v[2:3], v[135:136], v[2:3]
	v_add_f64 v[4:5], v[6:7], v[4:5]
	s_waitcnt vmcnt(4)
	v_fma_f64 v[6:7], v[127:128], v[171:172], -v[133:134]
	v_add_f64 v[2:3], v[2:3], v[123:124]
	v_fma_f64 v[123:124], v[129:130], v[171:172], v[131:132]
	v_add_f64 v[4:5], v[4:5], v[125:126]
	v_add_f64 v[2:3], v[2:3], v[6:7]
	;; [unrolled: 1-line block ×3, first 2 shown]
	s_waitcnt vmcnt(2)
	v_add_f64 v[2:3], v[165:166], -v[2:3]
	s_waitcnt vmcnt(0)
	v_add_f64 v[4:5], v[169:170], -v[4:5]
	buffer_store_dword v3, off, s[0:3], 0 offset:484
	buffer_store_dword v2, off, s[0:3], 0 offset:480
	buffer_store_dword v5, off, s[0:3], 0 offset:492
	buffer_store_dword v4, off, s[0:3], 0 offset:488
	v_cmpx_lt_u32_e32 28, v0
	s_cbranch_execz .LBB120_299
; %bb.298:
	v_mov_b32_e32 v5, s41
	s_clause 0x3
	buffer_load_dword v2, v5, s[0:3], 0 offen
	buffer_load_dword v3, v5, s[0:3], 0 offen offset:4
	buffer_load_dword v4, v5, s[0:3], 0 offen offset:8
	;; [unrolled: 1-line block ×3, first 2 shown]
	buffer_store_dword v1, off, s[0:3], 0 offset:464
	buffer_store_dword v1, off, s[0:3], 0 offset:468
	;; [unrolled: 1-line block ×4, first 2 shown]
	s_waitcnt vmcnt(0)
	ds_write_b128 v183, v[2:5]
.LBB120_299:
	s_or_b32 exec_lo, exec_lo, s4
	s_waitcnt lgkmcnt(0)
	s_waitcnt_vscnt null, 0x0
	s_barrier
	buffer_gl0_inv
	s_clause 0x37
	buffer_load_dword v6, off, s[0:3], 0 offset:488
	buffer_load_dword v7, off, s[0:3], 0 offset:492
	;; [unrolled: 1-line block ×56, first 2 shown]
	ds_read_b128 v[2:5], v1 offset:1376
	s_clause 0x2
	buffer_load_dword v185, off, s[0:3], 0 offset:716
	buffer_load_dword v189, off, s[0:3], 0 offset:692
	;; [unrolled: 1-line block ×3, first 2 shown]
	ds_read_b128 v[123:126], v1 offset:1392
	s_clause 0x4
	buffer_load_dword v193, off, s[0:3], 0 offset:732
	buffer_load_dword v194, off, s[0:3], 0 offset:744
	;; [unrolled: 1-line block ×5, first 2 shown]
	ds_read_b128 v[127:130], v1 offset:1408
	s_mov_b32 s4, exec_lo
	s_waitcnt vmcnt(62) lgkmcnt(2)
	v_mul_f64 v[190:191], v[4:5], v[6:7]
	v_mul_f64 v[6:7], v[2:3], v[6:7]
	s_waitcnt vmcnt(60) lgkmcnt(1)
	v_mul_f64 v[197:198], v[125:126], v[131:132]
	v_mul_f64 v[131:132], v[123:124], v[131:132]
	;; [unrolled: 3-line block ×3, first 2 shown]
	v_fma_f64 v[190:191], v[2:3], v[133:134], -v[190:191]
	v_fma_f64 v[6:7], v[4:5], v[133:134], v[6:7]
	s_clause 0x2
	buffer_load_dword v195, off, s[0:3], 0 offset:748
	buffer_load_dword v134, off, s[0:3], 0 offset:724
	;; [unrolled: 1-line block ×3, first 2 shown]
	s_waitcnt vmcnt(57)
	v_fma_f64 v[201:202], v[123:124], v[137:138], -v[197:198]
	ds_read_b128 v[2:5], v1 offset:1424
	v_fma_f64 v[131:132], v[125:126], v[137:138], v[131:132]
	s_clause 0x4
	buffer_load_dword v138, off, s[0:3], 0 offset:764
	buffer_load_dword v198, off, s[0:3], 0 offset:776
	;; [unrolled: 1-line block ×5, first 2 shown]
	s_waitcnt vmcnt(56)
	v_fma_f64 v[135:136], v[127:128], v[145:146], -v[135:136]
	ds_read_b128 v[123:126], v1 offset:1440
	v_fma_f64 v[145:146], v[129:130], v[145:146], v[199:200]
	v_add_f64 v[190:191], v[190:191], 0
	v_add_f64 v[6:7], v[6:7], 0
	s_waitcnt lgkmcnt(1)
	v_mul_f64 v[204:205], v[2:3], v[139:140]
	v_mul_f64 v[139:140], v[4:5], v[139:140]
	v_add_f64 v[190:191], v[190:191], v[201:202]
	v_add_f64 v[6:7], v[6:7], v[131:132]
	s_clause 0x2
	buffer_load_dword v199, off, s[0:3], 0 offset:780
	buffer_load_dword v132, off, s[0:3], 0 offset:756
	;; [unrolled: 1-line block ×3, first 2 shown]
	s_waitcnt vmcnt(58) lgkmcnt(0)
	v_mul_f64 v[200:201], v[123:124], v[141:142]
	v_mul_f64 v[141:142], v[125:126], v[141:142]
	s_waitcnt vmcnt(56)
	v_fma_f64 v[139:140], v[2:3], v[147:148], -v[139:140]
	ds_read_b128 v[127:130], v1 offset:1456
	v_fma_f64 v[147:148], v[4:5], v[147:148], v[204:205]
	v_add_f64 v[135:136], v[190:191], v[135:136]
	v_add_f64 v[6:7], v[6:7], v[145:146]
	s_clause 0x4
	buffer_load_dword v146, off, s[0:3], 0 offset:796
	buffer_load_dword v190, off, s[0:3], 0 offset:808
	;; [unrolled: 1-line block ×5, first 2 shown]
	ds_read_b128 v[2:5], v1 offset:1472
	s_waitcnt vmcnt(57) lgkmcnt(1)
	v_mul_f64 v[206:207], v[127:128], v[149:150]
	v_mul_f64 v[149:150], v[129:130], v[149:150]
	s_waitcnt vmcnt(56)
	v_fma_f64 v[141:142], v[123:124], v[143:144], -v[141:142]
	v_add_f64 v[135:136], v[135:136], v[139:140]
	v_fma_f64 v[139:140], v[125:126], v[143:144], v[200:201]
	v_add_f64 v[6:7], v[6:7], v[147:148]
	s_clause 0x2
	buffer_load_dword v191, off, s[0:3], 0 offset:812
	buffer_load_dword v144, off, s[0:3], 0 offset:788
	;; [unrolled: 1-line block ×3, first 2 shown]
	s_waitcnt vmcnt(58) lgkmcnt(0)
	v_mul_f64 v[147:148], v[2:3], v[151:152]
	v_mul_f64 v[151:152], v[4:5], v[151:152]
	s_waitcnt vmcnt(56)
	v_fma_f64 v[149:150], v[127:128], v[155:156], -v[149:150]
	ds_read_b128 v[123:126], v1 offset:1488
	v_add_f64 v[135:136], v[135:136], v[141:142]
	v_fma_f64 v[141:142], v[129:130], v[155:156], v[206:207]
	v_add_f64 v[6:7], v[6:7], v[139:140]
	s_clause 0x4
	buffer_load_dword v140, off, s[0:3], 0 offset:828
	buffer_load_dword v155, off, s[0:3], 0 offset:840
	;; [unrolled: 1-line block ×5, first 2 shown]
	ds_read_b128 v[127:130], v1 offset:1504
	s_waitcnt vmcnt(57) lgkmcnt(1)
	v_mul_f64 v[201:202], v[123:124], v[157:158]
	v_mul_f64 v[157:158], v[125:126], v[157:158]
	s_waitcnt vmcnt(56)
	v_fma_f64 v[151:152], v[2:3], v[153:154], -v[151:152]
	v_fma_f64 v[147:148], v[4:5], v[153:154], v[147:148]
	v_add_f64 v[135:136], v[135:136], v[149:150]
	v_add_f64 v[6:7], v[6:7], v[141:142]
	s_clause 0x2
	buffer_load_dword v156, off, s[0:3], 0 offset:844
	buffer_load_dword v142, off, s[0:3], 0 offset:820
	;; [unrolled: 1-line block ×3, first 2 shown]
	s_waitcnt vmcnt(58) lgkmcnt(0)
	v_mul_f64 v[153:154], v[129:130], v[159:160]
	ds_read_b128 v[2:5], v1 offset:1520
	s_waitcnt vmcnt(56)
	v_fma_f64 v[157:158], v[123:124], v[163:164], -v[157:158]
	v_mul_f64 v[149:150], v[127:128], v[159:160]
	v_add_f64 v[135:136], v[135:136], v[151:152]
	v_fma_f64 v[151:152], v[125:126], v[163:164], v[201:202]
	v_add_f64 v[6:7], v[6:7], v[147:148]
	s_clause 0x4
	buffer_load_dword v148, off, s[0:3], 0 offset:860
	buffer_load_dword v159, off, s[0:3], 0 offset:872
	;; [unrolled: 1-line block ×5, first 2 shown]
	s_waitcnt vmcnt(57) lgkmcnt(0)
	v_mul_f64 v[207:208], v[2:3], v[165:166]
	v_mul_f64 v[164:165], v[4:5], v[165:166]
	s_waitcnt vmcnt(56)
	v_fma_f64 v[153:154], v[127:128], v[161:162], -v[153:154]
	ds_read_b128 v[123:126], v1 offset:1536
	v_fma_f64 v[149:150], v[129:130], v[161:162], v[149:150]
	v_add_f64 v[135:136], v[135:136], v[157:158]
	v_add_f64 v[6:7], v[6:7], v[151:152]
	s_clause 0x2
	buffer_load_dword v160, off, s[0:3], 0 offset:876
	buffer_load_dword v152, off, s[0:3], 0 offset:852
	;; [unrolled: 1-line block ×3, first 2 shown]
	ds_read_b128 v[127:130], v1 offset:1552
	s_waitcnt vmcnt(58) lgkmcnt(1)
	v_mul_f64 v[161:162], v[125:126], v[167:168]
	s_waitcnt vmcnt(56)
	v_fma_f64 v[165:166], v[2:3], v[171:172], -v[164:165]
	v_mul_f64 v[157:158], v[123:124], v[167:168]
	v_add_f64 v[135:136], v[135:136], v[153:154]
	v_fma_f64 v[153:154], v[4:5], v[171:172], v[207:208]
	v_add_f64 v[6:7], v[6:7], v[149:150]
	s_clause 0x4
	buffer_load_dword v150, off, s[0:3], 0 offset:892
	buffer_load_dword v167, off, s[0:3], 0 offset:904
	;; [unrolled: 1-line block ×5, first 2 shown]
	s_waitcnt vmcnt(57) lgkmcnt(0)
	v_mul_f64 v[207:208], v[127:128], v[173:174]
	v_mul_f64 v[172:173], v[129:130], v[173:174]
	s_waitcnt vmcnt(56)
	v_fma_f64 v[161:162], v[123:124], v[169:170], -v[161:162]
	ds_read_b128 v[2:5], v1 offset:1568
	v_fma_f64 v[157:158], v[125:126], v[169:170], v[157:158]
	v_add_f64 v[135:136], v[135:136], v[165:166]
	v_add_f64 v[6:7], v[6:7], v[153:154]
	s_clause 0x2
	buffer_load_dword v168, off, s[0:3], 0 offset:908
	buffer_load_dword v154, off, s[0:3], 0 offset:884
	;; [unrolled: 1-line block ×3, first 2 shown]
	ds_read_b128 v[123:126], v1 offset:1584
	s_waitcnt vmcnt(58) lgkmcnt(1)
	v_mul_f64 v[169:170], v[4:5], v[175:176]
	s_waitcnt vmcnt(56)
	v_fma_f64 v[173:174], v[127:128], v[179:180], -v[172:173]
	v_mul_f64 v[165:166], v[2:3], v[175:176]
	v_add_f64 v[135:136], v[135:136], v[161:162]
	v_fma_f64 v[161:162], v[129:130], v[179:180], v[207:208]
	v_add_f64 v[6:7], v[6:7], v[157:158]
	s_clause 0x2
	buffer_load_dword v158, off, s[0:3], 0 offset:924
	buffer_load_dword v157, off, s[0:3], 0 offset:920
	;; [unrolled: 1-line block ×3, first 2 shown]
	s_waitcnt vmcnt(55) lgkmcnt(0)
	v_mul_f64 v[179:180], v[125:126], v[181:182]
	s_waitcnt vmcnt(54)
	v_fma_f64 v[169:170], v[2:3], v[177:178], -v[169:170]
	ds_read_b128 v[127:130], v1 offset:1600
	v_mul_f64 v[175:176], v[123:124], v[181:182]
	v_fma_f64 v[165:166], v[4:5], v[177:178], v[165:166]
	v_add_f64 v[135:136], v[135:136], v[173:174]
	v_add_f64 v[6:7], v[6:7], v[161:162]
	s_clause 0x1
	buffer_load_dword v162, off, s[0:3], 0 offset:916
	buffer_load_dword v161, off, s[0:3], 0 offset:912
	s_waitcnt vmcnt(55) lgkmcnt(0)
	v_mul_f64 v[177:178], v[129:130], v[184:185]
	s_waitcnt vmcnt(53)
	v_fma_f64 v[179:180], v[123:124], v[188:189], -v[179:180]
	ds_read_b128 v[2:5], v1 offset:1616
	v_mul_f64 v[173:174], v[127:128], v[184:185]
	v_add_f64 v[135:136], v[135:136], v[169:170]
	v_fma_f64 v[169:170], v[125:126], v[188:189], v[175:176]
	v_add_f64 v[6:7], v[6:7], v[165:166]
	ds_read_b128 v[123:126], v1 offset:1632
	s_waitcnt vmcnt(49) lgkmcnt(1)
	v_mul_f64 v[175:176], v[4:5], v[192:193]
	s_waitcnt vmcnt(48)
	v_fma_f64 v[177:178], v[127:128], v[186:187], -v[177:178]
	v_mul_f64 v[165:166], v[2:3], v[192:193]
	v_fma_f64 v[173:174], v[129:130], v[186:187], v[173:174]
	v_add_f64 v[135:136], v[135:136], v[179:180]
	v_add_f64 v[6:7], v[6:7], v[169:170]
	s_clause 0x3
	buffer_load_dword v169, off, s[0:3], 0 offset:464
	buffer_load_dword v170, off, s[0:3], 0 offset:468
	;; [unrolled: 1-line block ×4, first 2 shown]
	ds_read_b128 v[127:130], v1 offset:1648
	s_waitcnt vmcnt(51) lgkmcnt(1)
	v_mul_f64 v[184:185], v[125:126], v[194:195]
	v_mul_f64 v[181:182], v[123:124], v[194:195]
	s_waitcnt vmcnt(49)
	v_fma_f64 v[175:176], v[2:3], v[133:134], -v[175:176]
	v_fma_f64 v[133:134], v[4:5], v[133:134], v[165:166]
	ds_read_b128 v[2:5], v1 offset:1664
	v_add_f64 v[135:136], v[135:136], v[177:178]
	v_add_f64 v[6:7], v[6:7], v[173:174]
	s_waitcnt vmcnt(45) lgkmcnt(1)
	v_mul_f64 v[165:166], v[127:128], v[137:138]
	v_mul_f64 v[137:138], v[129:130], v[137:138]
	s_waitcnt vmcnt(44)
	v_fma_f64 v[173:174], v[123:124], v[196:197], -v[184:185]
	v_add_f64 v[135:136], v[135:136], v[175:176]
	v_fma_f64 v[175:176], v[125:126], v[196:197], v[181:182]
	v_add_f64 v[6:7], v[6:7], v[133:134]
	ds_read_b128 v[123:126], v1 offset:1680
	s_waitcnt vmcnt(43) lgkmcnt(1)
	v_mul_f64 v[177:178], v[4:5], v[198:199]
	v_mul_f64 v[133:134], v[2:3], v[198:199]
	s_waitcnt vmcnt(41)
	v_fma_f64 v[137:138], v[127:128], v[131:132], -v[137:138]
	v_fma_f64 v[131:132], v[129:130], v[131:132], v[165:166]
	ds_read_b128 v[127:130], v1 offset:1696
	v_add_f64 v[135:136], v[135:136], v[173:174]
	v_add_f64 v[6:7], v[6:7], v[175:176]
	s_waitcnt vmcnt(37) lgkmcnt(1)
	v_mul_f64 v[165:166], v[123:124], v[145:146]
	v_mul_f64 v[145:146], v[125:126], v[145:146]
	s_waitcnt vmcnt(36)
	v_fma_f64 v[173:174], v[2:3], v[203:204], -v[177:178]
	v_fma_f64 v[133:134], v[4:5], v[203:204], v[133:134]
	ds_read_b128 v[2:5], v1 offset:1712
	v_add_f64 v[135:136], v[135:136], v[137:138]
	v_add_f64 v[6:7], v[6:7], v[131:132]
	;; [unrolled: 9-line block ×5, first 2 shown]
	s_waitcnt vmcnt(21) lgkmcnt(1)
	v_mul_f64 v[137:138], v[129:130], v[147:148]
	s_waitcnt vmcnt(20)
	v_fma_f64 v[141:142], v[123:124], v[200:201], -v[145:146]
	v_mul_f64 v[131:132], v[127:128], v[147:148]
	v_add_f64 v[135:136], v[135:136], v[139:140]
	v_fma_f64 v[139:140], v[125:126], v[200:201], v[143:144]
	v_add_f64 v[6:7], v[6:7], v[133:134]
	ds_read_b128 v[123:126], v1 offset:1776
	s_waitcnt vmcnt(19) lgkmcnt(1)
	v_mul_f64 v[143:144], v[4:5], v[159:160]
	v_mul_f64 v[133:134], v[2:3], v[159:160]
	s_waitcnt vmcnt(17)
	v_fma_f64 v[137:138], v[127:128], v[151:152], -v[137:138]
	v_fma_f64 v[131:132], v[129:130], v[151:152], v[131:132]
	ds_read_b128 v[127:130], v1 offset:1792
	v_add_f64 v[135:136], v[135:136], v[141:142]
	v_add_f64 v[6:7], v[6:7], v[139:140]
	s_waitcnt vmcnt(13) lgkmcnt(1)
	v_mul_f64 v[141:142], v[125:126], v[149:150]
	s_waitcnt vmcnt(12)
	v_fma_f64 v[143:144], v[2:3], v[163:164], -v[143:144]
	v_mul_f64 v[139:140], v[123:124], v[149:150]
	v_fma_f64 v[133:134], v[4:5], v[163:164], v[133:134]
	ds_read_b128 v[1:4], v1 offset:1808
	v_add_f64 v[135:136], v[135:136], v[137:138]
	v_add_f64 v[5:6], v[6:7], v[131:132]
	s_waitcnt vmcnt(11) lgkmcnt(1)
	v_mul_f64 v[131:132], v[129:130], v[167:168]
	v_mul_f64 v[7:8], v[127:128], v[167:168]
	s_waitcnt vmcnt(9)
	v_fma_f64 v[123:124], v[123:124], v[153:154], -v[141:142]
	v_fma_f64 v[125:126], v[125:126], v[153:154], v[139:140]
	v_add_f64 v[135:136], v[135:136], v[143:144]
	v_add_f64 v[5:6], v[5:6], v[133:134]
	s_waitcnt vmcnt(7) lgkmcnt(0)
	v_mul_f64 v[137:138], v[3:4], v[157:158]
	s_waitcnt vmcnt(6)
	v_fma_f64 v[127:128], v[127:128], v[171:172], -v[131:132]
	v_mul_f64 v[133:134], v[1:2], v[157:158]
	v_fma_f64 v[7:8], v[129:130], v[171:172], v[7:8]
	v_add_f64 v[123:124], v[135:136], v[123:124]
	v_add_f64 v[5:6], v[5:6], v[125:126]
	s_waitcnt vmcnt(4)
	v_fma_f64 v[1:2], v[1:2], v[161:162], -v[137:138]
	v_fma_f64 v[3:4], v[3:4], v[161:162], v[133:134]
	v_add_f64 v[123:124], v[123:124], v[127:128]
	v_add_f64 v[5:6], v[5:6], v[7:8]
	;; [unrolled: 1-line block ×4, first 2 shown]
	s_waitcnt vmcnt(2)
	v_add_f64 v[1:2], v[169:170], -v[1:2]
	s_waitcnt vmcnt(0)
	v_add_f64 v[3:4], v[179:180], -v[3:4]
	buffer_store_dword v2, off, s[0:3], 0 offset:468
	buffer_store_dword v1, off, s[0:3], 0 offset:464
	buffer_store_dword v4, off, s[0:3], 0 offset:476
	buffer_store_dword v3, off, s[0:3], 0 offset:472
	v_cmpx_lt_u32_e32 27, v0
	s_cbranch_execz .LBB120_301
; %bb.300:
	v_mov_b32_e32 v4, s42
	v_mov_b32_e32 v5, 0
	s_clause 0x3
	buffer_load_dword v1, v4, s[0:3], 0 offen
	buffer_load_dword v2, v4, s[0:3], 0 offen offset:4
	buffer_load_dword v3, v4, s[0:3], 0 offen offset:8
	;; [unrolled: 1-line block ×3, first 2 shown]
	buffer_store_dword v5, off, s[0:3], 0 offset:448
	buffer_store_dword v5, off, s[0:3], 0 offset:452
	;; [unrolled: 1-line block ×4, first 2 shown]
	s_waitcnt vmcnt(0)
	ds_write_b128 v183, v[1:4]
.LBB120_301:
	s_or_b32 exec_lo, exec_lo, s4
	s_waitcnt lgkmcnt(0)
	s_waitcnt_vscnt null, 0x0
	s_barrier
	buffer_gl0_inv
	s_clause 0x37
	buffer_load_dword v123, off, s[0:3], 0 offset:472
	buffer_load_dword v124, off, s[0:3], 0 offset:476
	;; [unrolled: 1-line block ×56, first 2 shown]
	v_mov_b32_e32 v125, 0
	s_mov_b32 s4, exec_lo
	ds_read_b128 v[5:8], v125 offset:1360
	s_clause 0x2
	buffer_load_dword v185, off, s[0:3], 0 offset:700
	buffer_load_dword v189, off, s[0:3], 0 offset:676
	;; [unrolled: 1-line block ×3, first 2 shown]
	ds_read_b128 v[126:129], v125 offset:1376
	s_clause 0x4
	buffer_load_dword v193, off, s[0:3], 0 offset:716
	buffer_load_dword v194, off, s[0:3], 0 offset:728
	;; [unrolled: 1-line block ×5, first 2 shown]
	ds_read_b128 v[130:133], v125 offset:1392
	s_waitcnt vmcnt(62) lgkmcnt(2)
	v_mul_f64 v[190:191], v[7:8], v[123:124]
	v_mul_f64 v[123:124], v[5:6], v[123:124]
	s_waitcnt vmcnt(60) lgkmcnt(1)
	v_mul_f64 v[197:198], v[128:129], v[134:135]
	v_mul_f64 v[134:135], v[126:127], v[134:135]
	;; [unrolled: 3-line block ×3, first 2 shown]
	v_fma_f64 v[190:191], v[5:6], v[136:137], -v[190:191]
	v_fma_f64 v[123:124], v[7:8], v[136:137], v[123:124]
	s_clause 0x2
	buffer_load_dword v195, off, s[0:3], 0 offset:732
	buffer_load_dword v137, off, s[0:3], 0 offset:708
	;; [unrolled: 1-line block ×3, first 2 shown]
	s_waitcnt vmcnt(57)
	v_fma_f64 v[126:127], v[126:127], v[1:2], -v[197:198]
	ds_read_b128 v[5:8], v125 offset:1408
	v_fma_f64 v[128:129], v[128:129], v[1:2], v[134:135]
	s_clause 0x4
	buffer_load_dword v135, off, s[0:3], 0 offset:748
	buffer_load_dword v198, off, s[0:3], 0 offset:760
	;; [unrolled: 1-line block ×5, first 2 shown]
	s_waitcnt vmcnt(56)
	v_fma_f64 v[130:131], v[130:131], v[144:145], -v[201:202]
	ds_read_b128 v[1:4], v125 offset:1424
	v_fma_f64 v[132:133], v[132:133], v[144:145], v[199:200]
	s_clause 0x2
	buffer_load_dword v199, off, s[0:3], 0 offset:764
	buffer_load_dword v145, off, s[0:3], 0 offset:740
	;; [unrolled: 1-line block ×3, first 2 shown]
	v_add_f64 v[190:191], v[190:191], 0
	v_add_f64 v[123:124], v[123:124], 0
	s_waitcnt lgkmcnt(1)
	v_mul_f64 v[204:205], v[5:6], v[138:139]
	v_mul_f64 v[138:139], v[7:8], v[138:139]
	s_waitcnt vmcnt(58) lgkmcnt(0)
	v_mul_f64 v[200:201], v[1:2], v[140:141]
	v_mul_f64 v[140:141], v[3:4], v[140:141]
	v_add_f64 v[190:191], v[190:191], v[126:127]
	v_add_f64 v[123:124], v[123:124], v[128:129]
	ds_read_b128 v[126:129], v125 offset:1440
	s_waitcnt vmcnt(56)
	v_fma_f64 v[138:139], v[5:6], v[146:147], -v[138:139]
	v_fma_f64 v[146:147], v[7:8], v[146:147], v[204:205]
	s_waitcnt vmcnt(51)
	v_fma_f64 v[140:141], v[1:2], v[142:143], -v[140:141]
	s_waitcnt lgkmcnt(0)
	v_mul_f64 v[206:207], v[126:127], v[148:149]
	v_add_f64 v[130:131], v[190:191], v[130:131]
	v_add_f64 v[123:124], v[123:124], v[132:133]
	s_clause 0x4
	buffer_load_dword v133, off, s[0:3], 0 offset:780
	buffer_load_dword v190, off, s[0:3], 0 offset:792
	;; [unrolled: 1-line block ×5, first 2 shown]
	v_mul_f64 v[148:149], v[128:129], v[148:149]
	ds_read_b128 v[5:8], v125 offset:1456
	v_add_f64 v[130:131], v[130:131], v[138:139]
	v_fma_f64 v[138:139], v[3:4], v[142:143], v[200:201]
	v_add_f64 v[123:124], v[123:124], v[146:147]
	s_clause 0x2
	buffer_load_dword v191, off, s[0:3], 0 offset:796
	buffer_load_dword v143, off, s[0:3], 0 offset:772
	;; [unrolled: 1-line block ×3, first 2 shown]
	s_waitcnt vmcnt(58) lgkmcnt(0)
	v_mul_f64 v[146:147], v[5:6], v[150:151]
	v_mul_f64 v[150:151], v[7:8], v[150:151]
	s_waitcnt vmcnt(56)
	v_fma_f64 v[148:149], v[126:127], v[154:155], -v[148:149]
	ds_read_b128 v[1:4], v125 offset:1472
	v_add_f64 v[130:131], v[130:131], v[140:141]
	v_fma_f64 v[140:141], v[128:129], v[154:155], v[206:207]
	v_add_f64 v[123:124], v[123:124], v[138:139]
	s_clause 0x4
	buffer_load_dword v139, off, s[0:3], 0 offset:812
	buffer_load_dword v154, off, s[0:3], 0 offset:824
	;; [unrolled: 1-line block ×5, first 2 shown]
	ds_read_b128 v[126:129], v125 offset:1488
	s_waitcnt vmcnt(57) lgkmcnt(1)
	v_mul_f64 v[201:202], v[1:2], v[156:157]
	v_mul_f64 v[156:157], v[3:4], v[156:157]
	s_waitcnt vmcnt(56)
	v_fma_f64 v[150:151], v[5:6], v[152:153], -v[150:151]
	v_fma_f64 v[146:147], v[7:8], v[152:153], v[146:147]
	v_add_f64 v[130:131], v[130:131], v[148:149]
	v_add_f64 v[123:124], v[123:124], v[140:141]
	s_clause 0x2
	buffer_load_dword v155, off, s[0:3], 0 offset:828
	buffer_load_dword v141, off, s[0:3], 0 offset:804
	;; [unrolled: 1-line block ×3, first 2 shown]
	s_waitcnt vmcnt(58) lgkmcnt(0)
	v_mul_f64 v[152:153], v[128:129], v[158:159]
	ds_read_b128 v[5:8], v125 offset:1504
	s_waitcnt vmcnt(56)
	v_fma_f64 v[156:157], v[1:2], v[162:163], -v[156:157]
	v_mul_f64 v[148:149], v[126:127], v[158:159]
	v_add_f64 v[130:131], v[130:131], v[150:151]
	v_fma_f64 v[150:151], v[3:4], v[162:163], v[201:202]
	v_add_f64 v[123:124], v[123:124], v[146:147]
	s_clause 0x4
	buffer_load_dword v147, off, s[0:3], 0 offset:844
	buffer_load_dword v158, off, s[0:3], 0 offset:856
	buffer_load_dword v162, off, s[0:3], 0 offset:848
	buffer_load_dword v146, off, s[0:3], 0 offset:840
	buffer_load_dword v201, off, s[0:3], 0 offset:820
	s_waitcnt vmcnt(57) lgkmcnt(0)
	v_mul_f64 v[207:208], v[5:6], v[164:165]
	v_mul_f64 v[163:164], v[7:8], v[164:165]
	s_waitcnt vmcnt(56)
	v_fma_f64 v[152:153], v[126:127], v[160:161], -v[152:153]
	ds_read_b128 v[1:4], v125 offset:1520
	v_fma_f64 v[148:149], v[128:129], v[160:161], v[148:149]
	v_add_f64 v[130:131], v[130:131], v[156:157]
	v_add_f64 v[123:124], v[123:124], v[150:151]
	s_clause 0x2
	buffer_load_dword v159, off, s[0:3], 0 offset:860
	buffer_load_dword v151, off, s[0:3], 0 offset:836
	buffer_load_dword v150, off, s[0:3], 0 offset:832
	ds_read_b128 v[126:129], v125 offset:1536
	s_waitcnt vmcnt(58) lgkmcnt(1)
	v_mul_f64 v[160:161], v[3:4], v[166:167]
	s_waitcnt vmcnt(56)
	v_fma_f64 v[164:165], v[5:6], v[170:171], -v[163:164]
	v_mul_f64 v[156:157], v[1:2], v[166:167]
	v_add_f64 v[130:131], v[130:131], v[152:153]
	v_fma_f64 v[152:153], v[7:8], v[170:171], v[207:208]
	v_add_f64 v[123:124], v[123:124], v[148:149]
	s_clause 0x4
	buffer_load_dword v149, off, s[0:3], 0 offset:876
	buffer_load_dword v166, off, s[0:3], 0 offset:888
	buffer_load_dword v170, off, s[0:3], 0 offset:880
	buffer_load_dword v148, off, s[0:3], 0 offset:872
	buffer_load_dword v163, off, s[0:3], 0 offset:852
	s_waitcnt vmcnt(57) lgkmcnt(0)
	v_mul_f64 v[207:208], v[126:127], v[172:173]
	v_mul_f64 v[171:172], v[128:129], v[172:173]
	s_waitcnt vmcnt(56)
	v_fma_f64 v[160:161], v[1:2], v[168:169], -v[160:161]
	ds_read_b128 v[5:8], v125 offset:1552
	v_fma_f64 v[156:157], v[3:4], v[168:169], v[156:157]
	v_add_f64 v[130:131], v[130:131], v[164:165]
	v_add_f64 v[123:124], v[123:124], v[152:153]
	s_clause 0x2
	buffer_load_dword v167, off, s[0:3], 0 offset:892
	buffer_load_dword v153, off, s[0:3], 0 offset:868
	buffer_load_dword v152, off, s[0:3], 0 offset:864
	ds_read_b128 v[1:4], v125 offset:1568
	s_waitcnt vmcnt(58) lgkmcnt(1)
	v_mul_f64 v[168:169], v[7:8], v[174:175]
	;; [unrolled: 28-line block ×3, first 2 shown]
	s_waitcnt vmcnt(56)
	v_fma_f64 v[180:181], v[1:2], v[188:189], -v[179:180]
	v_mul_f64 v[172:173], v[126:127], v[184:185]
	buffer_load_dword v179, off, s[0:3], 0 offset:916
	v_add_f64 v[130:131], v[130:131], v[168:169]
	v_fma_f64 v[168:169], v[3:4], v[188:189], v[207:208]
	v_add_f64 v[123:124], v[123:124], v[164:165]
	ds_read_b128 v[1:4], v125 offset:1616
	s_waitcnt vmcnt(53) lgkmcnt(1)
	v_mul_f64 v[184:185], v[7:8], v[192:193]
	s_waitcnt vmcnt(52)
	v_fma_f64 v[176:177], v[126:127], v[186:187], -v[176:177]
	v_mul_f64 v[164:165], v[5:6], v[192:193]
	v_fma_f64 v[172:173], v[128:129], v[186:187], v[172:173]
	ds_read_b128 v[126:129], v125 offset:1632
	v_add_f64 v[130:131], v[130:131], v[180:181]
	v_add_f64 v[123:124], v[123:124], v[168:169]
	s_waitcnt vmcnt(51) lgkmcnt(1)
	v_mul_f64 v[180:181], v[3:4], v[194:195]
	v_mul_f64 v[168:169], v[1:2], v[194:195]
	s_waitcnt vmcnt(49)
	v_fma_f64 v[184:185], v[5:6], v[136:137], -v[184:185]
	v_fma_f64 v[136:137], v[7:8], v[136:137], v[164:165]
	v_add_f64 v[130:131], v[130:131], v[176:177]
	s_waitcnt vmcnt(45) lgkmcnt(0)
	v_mul_f64 v[176:177], v[126:127], v[134:135]
	v_add_f64 v[123:124], v[123:124], v[172:173]
	s_clause 0x3
	buffer_load_dword v164, off, s[0:3], 0 offset:448
	buffer_load_dword v165, off, s[0:3], 0 offset:452
	;; [unrolled: 1-line block ×4, first 2 shown]
	v_mul_f64 v[134:135], v[128:129], v[134:135]
	ds_read_b128 v[5:8], v125 offset:1648
	s_waitcnt vmcnt(48)
	v_fma_f64 v[180:181], v[1:2], v[196:197], -v[180:181]
	v_fma_f64 v[168:169], v[3:4], v[196:197], v[168:169]
	ds_read_b128 v[1:4], v125 offset:1664
	v_add_f64 v[130:131], v[130:131], v[184:185]
	v_add_f64 v[123:124], v[123:124], v[136:137]
	s_waitcnt vmcnt(47) lgkmcnt(1)
	v_mul_f64 v[184:185], v[7:8], v[198:199]
	s_waitcnt vmcnt(45)
	v_fma_f64 v[134:135], v[126:127], v[144:145], -v[134:135]
	v_mul_f64 v[136:137], v[5:6], v[198:199]
	v_fma_f64 v[144:145], v[128:129], v[144:145], v[176:177]
	ds_read_b128 v[126:129], v125 offset:1680
	v_add_f64 v[130:131], v[130:131], v[180:181]
	v_add_f64 v[123:124], v[123:124], v[168:169]
	s_waitcnt vmcnt(41) lgkmcnt(1)
	v_mul_f64 v[168:169], v[1:2], v[132:133]
	v_mul_f64 v[132:133], v[3:4], v[132:133]
	s_waitcnt vmcnt(40)
	v_fma_f64 v[176:177], v[5:6], v[203:204], -v[184:185]
	v_add_f64 v[130:131], v[130:131], v[134:135]
	v_fma_f64 v[134:135], v[7:8], v[203:204], v[136:137]
	v_add_f64 v[123:124], v[123:124], v[144:145]
	ds_read_b128 v[5:8], v125 offset:1696
	s_waitcnt vmcnt(39) lgkmcnt(1)
	v_mul_f64 v[144:145], v[128:129], v[190:191]
	v_mul_f64 v[136:137], v[126:127], v[190:191]
	s_waitcnt vmcnt(37)
	v_fma_f64 v[132:133], v[1:2], v[142:143], -v[132:133]
	v_fma_f64 v[142:143], v[3:4], v[142:143], v[168:169]
	ds_read_b128 v[1:4], v125 offset:1712
	v_add_f64 v[130:131], v[130:131], v[176:177]
	v_add_f64 v[123:124], v[123:124], v[134:135]
	s_waitcnt vmcnt(33) lgkmcnt(1)
	v_mul_f64 v[134:135], v[5:6], v[138:139]
	v_mul_f64 v[138:139], v[7:8], v[138:139]
	s_waitcnt vmcnt(32)
	v_fma_f64 v[144:145], v[126:127], v[205:206], -v[144:145]
	v_add_f64 v[130:131], v[130:131], v[132:133]
	v_fma_f64 v[132:133], v[128:129], v[205:206], v[136:137]
	v_add_f64 v[123:124], v[123:124], v[142:143]
	ds_read_b128 v[126:129], v125 offset:1728
	s_waitcnt vmcnt(31) lgkmcnt(1)
	v_mul_f64 v[142:143], v[3:4], v[154:155]
	v_mul_f64 v[136:137], v[1:2], v[154:155]
	s_waitcnt vmcnt(29)
	v_fma_f64 v[138:139], v[5:6], v[140:141], -v[138:139]
	v_fma_f64 v[134:135], v[7:8], v[140:141], v[134:135]
	ds_read_b128 v[5:8], v125 offset:1744
	v_add_f64 v[130:131], v[130:131], v[144:145]
	v_add_f64 v[123:124], v[123:124], v[132:133]
	s_waitcnt vmcnt(25) lgkmcnt(1)
	v_mul_f64 v[140:141], v[128:129], v[146:147]
	s_waitcnt vmcnt(24)
	v_fma_f64 v[142:143], v[1:2], v[200:201], -v[142:143]
	v_mul_f64 v[132:133], v[126:127], v[146:147]
	v_fma_f64 v[136:137], v[3:4], v[200:201], v[136:137]
	ds_read_b128 v[1:4], v125 offset:1760
	v_add_f64 v[130:131], v[130:131], v[138:139]
	v_add_f64 v[123:124], v[123:124], v[134:135]
	s_waitcnt vmcnt(23) lgkmcnt(1)
	v_mul_f64 v[138:139], v[7:8], v[158:159]
	v_mul_f64 v[134:135], v[5:6], v[158:159]
	s_waitcnt vmcnt(21)
	v_fma_f64 v[140:141], v[126:127], v[150:151], -v[140:141]
	v_fma_f64 v[132:133], v[128:129], v[150:151], v[132:133]
	ds_read_b128 v[126:129], v125 offset:1776
	v_add_f64 v[130:131], v[130:131], v[142:143]
	v_add_f64 v[123:124], v[123:124], v[136:137]
	s_waitcnt vmcnt(17) lgkmcnt(1)
	v_mul_f64 v[142:143], v[3:4], v[148:149]
	s_waitcnt vmcnt(16)
	v_fma_f64 v[138:139], v[5:6], v[162:163], -v[138:139]
	v_mul_f64 v[136:137], v[1:2], v[148:149]
	v_fma_f64 v[134:135], v[7:8], v[162:163], v[134:135]
	ds_read_b128 v[5:8], v125 offset:1792
	v_add_f64 v[130:131], v[130:131], v[140:141]
	v_add_f64 v[123:124], v[123:124], v[132:133]
	s_waitcnt vmcnt(15) lgkmcnt(1)
	v_mul_f64 v[140:141], v[128:129], v[166:167]
	v_mul_f64 v[132:133], v[126:127], v[166:167]
	s_waitcnt vmcnt(13)
	v_fma_f64 v[142:143], v[1:2], v[152:153], -v[142:143]
	v_fma_f64 v[136:137], v[3:4], v[152:153], v[136:137]
	ds_read_b128 v[1:4], v125 offset:1808
	v_add_f64 v[130:131], v[130:131], v[138:139]
	v_add_f64 v[123:124], v[123:124], v[134:135]
	s_waitcnt vmcnt(9) lgkmcnt(1)
	v_mul_f64 v[138:139], v[7:8], v[156:157]
	s_waitcnt vmcnt(8)
	v_fma_f64 v[126:127], v[126:127], v[170:171], -v[140:141]
	v_mul_f64 v[134:135], v[5:6], v[156:157]
	v_fma_f64 v[128:129], v[128:129], v[170:171], v[132:133]
	v_add_f64 v[130:131], v[130:131], v[142:143]
	v_add_f64 v[123:124], v[123:124], v[136:137]
	s_waitcnt vmcnt(7) lgkmcnt(0)
	v_mul_f64 v[136:137], v[3:4], v[174:175]
	v_mul_f64 v[132:133], v[1:2], v[174:175]
	s_waitcnt vmcnt(5)
	v_fma_f64 v[5:6], v[5:6], v[160:161], -v[138:139]
	v_fma_f64 v[7:8], v[7:8], v[160:161], v[134:135]
	v_add_f64 v[126:127], v[130:131], v[126:127]
	v_add_f64 v[123:124], v[123:124], v[128:129]
	s_waitcnt vmcnt(4)
	v_fma_f64 v[1:2], v[1:2], v[178:179], -v[136:137]
	v_fma_f64 v[3:4], v[3:4], v[178:179], v[132:133]
	v_add_f64 v[5:6], v[126:127], v[5:6]
	v_add_f64 v[7:8], v[123:124], v[7:8]
	;; [unrolled: 1-line block ×4, first 2 shown]
	s_waitcnt vmcnt(2)
	v_add_f64 v[1:2], v[164:165], -v[1:2]
	s_waitcnt vmcnt(0)
	v_add_f64 v[3:4], v[172:173], -v[3:4]
	buffer_store_dword v2, off, s[0:3], 0 offset:452
	buffer_store_dword v1, off, s[0:3], 0 offset:448
	;; [unrolled: 1-line block ×4, first 2 shown]
	v_cmpx_lt_u32_e32 26, v0
	s_cbranch_execz .LBB120_303
; %bb.302:
	v_mov_b32_e32 v4, s43
	s_clause 0x3
	buffer_load_dword v1, v4, s[0:3], 0 offen
	buffer_load_dword v2, v4, s[0:3], 0 offen offset:4
	buffer_load_dword v3, v4, s[0:3], 0 offen offset:8
	buffer_load_dword v4, v4, s[0:3], 0 offen offset:12
	buffer_store_dword v125, off, s[0:3], 0 offset:432
	buffer_store_dword v125, off, s[0:3], 0 offset:436
	;; [unrolled: 1-line block ×4, first 2 shown]
	s_waitcnt vmcnt(0)
	ds_write_b128 v183, v[1:4]
.LBB120_303:
	s_or_b32 exec_lo, exec_lo, s4
	s_waitcnt lgkmcnt(0)
	s_waitcnt_vscnt null, 0x0
	s_barrier
	buffer_gl0_inv
	s_clause 0x37
	buffer_load_dword v123, off, s[0:3], 0 offset:456
	buffer_load_dword v124, off, s[0:3], 0 offset:460
	;; [unrolled: 1-line block ×56, first 2 shown]
	ds_read_b128 v[126:129], v125 offset:1344
	s_clause 0x2
	buffer_load_dword v185, off, s[0:3], 0 offset:684
	buffer_load_dword v189, off, s[0:3], 0 offset:660
	;; [unrolled: 1-line block ×3, first 2 shown]
	ds_read_b128 v[130:133], v125 offset:1360
	s_clause 0x4
	buffer_load_dword v193, off, s[0:3], 0 offset:700
	buffer_load_dword v194, off, s[0:3], 0 offset:712
	;; [unrolled: 1-line block ×5, first 2 shown]
	ds_read_b128 v[134:137], v125 offset:1376
	s_clause 0x2
	buffer_load_dword v195, off, s[0:3], 0 offset:716
	buffer_load_dword v200, off, s[0:3], 0 offset:692
	;; [unrolled: 1-line block ×3, first 2 shown]
	s_mov_b32 s4, exec_lo
	s_waitcnt vmcnt(62) lgkmcnt(2)
	v_mul_f64 v[190:191], v[128:129], v[123:124]
	v_mul_f64 v[123:124], v[126:127], v[123:124]
	s_waitcnt lgkmcnt(1)
	v_mul_f64 v[197:198], v[132:133], v[5:6]
	s_waitcnt vmcnt(59) lgkmcnt(0)
	v_mul_f64 v[201:202], v[136:137], v[3:4]
	v_fma_f64 v[126:127], v[126:127], v[7:8], -v[190:191]
	v_mul_f64 v[190:191], v[130:131], v[5:6]
	v_fma_f64 v[123:124], v[128:129], v[7:8], v[123:124]
	s_waitcnt vmcnt(57)
	v_fma_f64 v[130:131], v[130:131], v[1:2], -v[197:198]
	ds_read_b128 v[5:8], v125 offset:1392
	v_mul_f64 v[128:129], v[134:135], v[3:4]
	s_waitcnt vmcnt(51)
	v_fma_f64 v[134:135], v[134:135], v[144:145], -v[201:202]
	v_add_f64 v[126:127], v[126:127], 0
	v_fma_f64 v[132:133], v[132:133], v[1:2], v[190:191]
	v_add_f64 v[123:124], v[123:124], 0
	s_clause 0x4
	buffer_load_dword v191, off, s[0:3], 0 offset:732
	buffer_load_dword v203, off, s[0:3], 0 offset:744
	;; [unrolled: 1-line block ×5, first 2 shown]
	s_waitcnt lgkmcnt(0)
	v_mul_f64 v[206:207], v[5:6], v[138:139]
	v_mul_f64 v[138:139], v[7:8], v[138:139]
	ds_read_b128 v[1:4], v125 offset:1408
	v_fma_f64 v[136:137], v[136:137], v[144:145], v[128:129]
	v_add_f64 v[130:131], v[126:127], v[130:131]
	v_add_f64 v[123:124], v[123:124], v[132:133]
	s_clause 0x2
	buffer_load_dword v204, off, s[0:3], 0 offset:748
	buffer_load_dword v133, off, s[0:3], 0 offset:724
	;; [unrolled: 1-line block ×3, first 2 shown]
	s_waitcnt vmcnt(58) lgkmcnt(0)
	v_mul_f64 v[144:145], v[1:2], v[140:141]
	v_mul_f64 v[140:141], v[3:4], v[140:141]
	s_waitcnt vmcnt(56)
	v_fma_f64 v[138:139], v[5:6], v[146:147], -v[138:139]
	ds_read_b128 v[126:129], v125 offset:1424
	v_add_f64 v[130:131], v[130:131], v[134:135]
	v_fma_f64 v[134:135], v[7:8], v[146:147], v[206:207]
	v_add_f64 v[123:124], v[123:124], v[136:137]
	s_clause 0x4
	buffer_load_dword v137, off, s[0:3], 0 offset:764
	buffer_load_dword v146, off, s[0:3], 0 offset:776
	;; [unrolled: 1-line block ×5, first 2 shown]
	ds_read_b128 v[5:8], v125 offset:1440
	s_waitcnt vmcnt(57) lgkmcnt(1)
	v_mul_f64 v[207:208], v[126:127], v[148:149]
	v_mul_f64 v[148:149], v[128:129], v[148:149]
	s_waitcnt vmcnt(56)
	v_fma_f64 v[140:141], v[1:2], v[142:143], -v[140:141]
	v_add_f64 v[130:131], v[130:131], v[138:139]
	v_fma_f64 v[138:139], v[3:4], v[142:143], v[144:145]
	v_add_f64 v[123:124], v[123:124], v[134:135]
	s_clause 0x2
	buffer_load_dword v147, off, s[0:3], 0 offset:780
	buffer_load_dword v135, off, s[0:3], 0 offset:756
	;; [unrolled: 1-line block ×3, first 2 shown]
	s_waitcnt vmcnt(58) lgkmcnt(0)
	v_mul_f64 v[144:145], v[7:8], v[150:151]
	ds_read_b128 v[1:4], v125 offset:1456
	s_waitcnt vmcnt(56)
	v_fma_f64 v[148:149], v[126:127], v[154:155], -v[148:149]
	v_mul_f64 v[142:143], v[5:6], v[150:151]
	v_add_f64 v[130:131], v[130:131], v[140:141]
	v_fma_f64 v[140:141], v[128:129], v[154:155], v[207:208]
	v_add_f64 v[123:124], v[123:124], v[138:139]
	s_clause 0x4
	buffer_load_dword v139, off, s[0:3], 0 offset:796
	buffer_load_dword v150, off, s[0:3], 0 offset:808
	buffer_load_dword v154, off, s[0:3], 0 offset:800
	buffer_load_dword v138, off, s[0:3], 0 offset:792
	buffer_load_dword v202, off, s[0:3], 0 offset:772
	s_waitcnt vmcnt(57) lgkmcnt(0)
	v_mul_f64 v[207:208], v[1:2], v[156:157]
	v_mul_f64 v[155:156], v[3:4], v[156:157]
	s_waitcnt vmcnt(56)
	v_fma_f64 v[144:145], v[5:6], v[152:153], -v[144:145]
	ds_read_b128 v[126:129], v125 offset:1472
	v_fma_f64 v[142:143], v[7:8], v[152:153], v[142:143]
	v_add_f64 v[130:131], v[130:131], v[148:149]
	v_add_f64 v[123:124], v[123:124], v[140:141]
	s_clause 0x2
	buffer_load_dword v151, off, s[0:3], 0 offset:812
	buffer_load_dword v141, off, s[0:3], 0 offset:788
	buffer_load_dword v140, off, s[0:3], 0 offset:784
	ds_read_b128 v[5:8], v125 offset:1488
	s_waitcnt vmcnt(58) lgkmcnt(1)
	v_mul_f64 v[152:153], v[128:129], v[158:159]
	s_waitcnt vmcnt(56)
	v_fma_f64 v[156:157], v[1:2], v[162:163], -v[155:156]
	v_mul_f64 v[148:149], v[126:127], v[158:159]
	v_add_f64 v[130:131], v[130:131], v[144:145]
	v_fma_f64 v[144:145], v[3:4], v[162:163], v[207:208]
	v_add_f64 v[123:124], v[123:124], v[142:143]
	s_clause 0x4
	buffer_load_dword v143, off, s[0:3], 0 offset:828
	buffer_load_dword v158, off, s[0:3], 0 offset:840
	buffer_load_dword v162, off, s[0:3], 0 offset:832
	buffer_load_dword v142, off, s[0:3], 0 offset:824
	buffer_load_dword v155, off, s[0:3], 0 offset:804
	s_waitcnt vmcnt(57) lgkmcnt(0)
	v_mul_f64 v[207:208], v[5:6], v[164:165]
	v_mul_f64 v[163:164], v[7:8], v[164:165]
	s_waitcnt vmcnt(56)
	v_fma_f64 v[152:153], v[126:127], v[160:161], -v[152:153]
	ds_read_b128 v[1:4], v125 offset:1504
	v_fma_f64 v[148:149], v[128:129], v[160:161], v[148:149]
	v_add_f64 v[130:131], v[130:131], v[156:157]
	v_add_f64 v[123:124], v[123:124], v[144:145]
	s_clause 0x2
	buffer_load_dword v159, off, s[0:3], 0 offset:844
	buffer_load_dword v145, off, s[0:3], 0 offset:820
	buffer_load_dword v144, off, s[0:3], 0 offset:816
	ds_read_b128 v[126:129], v125 offset:1520
	s_waitcnt vmcnt(58) lgkmcnt(1)
	v_mul_f64 v[160:161], v[3:4], v[166:167]
	;; [unrolled: 28-line block ×4, first 2 shown]
	s_waitcnt vmcnt(56)
	v_fma_f64 v[180:181], v[1:2], v[188:189], -v[179:180]
	v_mul_f64 v[172:173], v[126:127], v[184:185]
	v_add_f64 v[130:131], v[130:131], v[168:169]
	v_fma_f64 v[168:169], v[3:4], v[188:189], v[207:208]
	v_add_f64 v[123:124], v[123:124], v[164:165]
	s_clause 0x2
	buffer_load_dword v165, off, s[0:3], 0 offset:924
	buffer_load_dword v164, off, s[0:3], 0 offset:920
	buffer_load_dword v179, off, s[0:3], 0 offset:900
	s_waitcnt vmcnt(55) lgkmcnt(0)
	v_mul_f64 v[188:189], v[7:8], v[192:193]
	s_waitcnt vmcnt(54)
	v_fma_f64 v[176:177], v[126:127], v[186:187], -v[176:177]
	ds_read_b128 v[1:4], v125 offset:1600
	v_mul_f64 v[184:185], v[5:6], v[192:193]
	v_fma_f64 v[172:173], v[128:129], v[186:187], v[172:173]
	v_add_f64 v[130:131], v[130:131], v[180:181]
	v_add_f64 v[123:124], v[123:124], v[168:169]
	s_clause 0x1
	buffer_load_dword v169, off, s[0:3], 0 offset:916
	buffer_load_dword v168, off, s[0:3], 0 offset:912
	s_waitcnt vmcnt(55) lgkmcnt(0)
	v_mul_f64 v[186:187], v[3:4], v[194:195]
	s_waitcnt vmcnt(53)
	v_fma_f64 v[188:189], v[5:6], v[199:200], -v[188:189]
	ds_read_b128 v[126:129], v125 offset:1616
	v_mul_f64 v[180:181], v[1:2], v[194:195]
	v_add_f64 v[130:131], v[130:131], v[176:177]
	v_fma_f64 v[176:177], v[7:8], v[199:200], v[184:185]
	v_add_f64 v[123:124], v[123:124], v[172:173]
	ds_read_b128 v[5:8], v125 offset:1632
	s_waitcnt vmcnt(49) lgkmcnt(1)
	v_mul_f64 v[184:185], v[128:129], v[190:191]
	s_waitcnt vmcnt(48)
	v_fma_f64 v[186:187], v[1:2], v[196:197], -v[186:187]
	v_mul_f64 v[172:173], v[126:127], v[190:191]
	v_fma_f64 v[180:181], v[3:4], v[196:197], v[180:181]
	v_add_f64 v[130:131], v[130:131], v[188:189]
	v_add_f64 v[123:124], v[123:124], v[176:177]
	s_clause 0x3
	buffer_load_dword v176, off, s[0:3], 0 offset:432
	buffer_load_dword v177, off, s[0:3], 0 offset:436
	;; [unrolled: 1-line block ×4, first 2 shown]
	ds_read_b128 v[1:4], v125 offset:1648
	s_waitcnt vmcnt(51) lgkmcnt(1)
	v_mul_f64 v[192:193], v[7:8], v[203:204]
	v_mul_f64 v[190:191], v[5:6], v[203:204]
	s_waitcnt vmcnt(49)
	v_fma_f64 v[184:185], v[126:127], v[132:133], -v[184:185]
	v_fma_f64 v[132:133], v[128:129], v[132:133], v[172:173]
	ds_read_b128 v[126:129], v125 offset:1664
	v_add_f64 v[130:131], v[130:131], v[186:187]
	v_add_f64 v[123:124], v[123:124], v[180:181]
	s_waitcnt vmcnt(45) lgkmcnt(1)
	v_mul_f64 v[172:173], v[1:2], v[136:137]
	v_mul_f64 v[136:137], v[3:4], v[136:137]
	s_waitcnt vmcnt(44)
	v_fma_f64 v[180:181], v[5:6], v[205:206], -v[192:193]
	v_add_f64 v[130:131], v[130:131], v[184:185]
	v_fma_f64 v[184:185], v[7:8], v[205:206], v[190:191]
	v_add_f64 v[123:124], v[123:124], v[132:133]
	ds_read_b128 v[5:8], v125 offset:1680
	s_waitcnt vmcnt(43) lgkmcnt(1)
	v_mul_f64 v[132:133], v[126:127], v[146:147]
	v_mul_f64 v[146:147], v[128:129], v[146:147]
	s_waitcnt vmcnt(41)
	v_fma_f64 v[136:137], v[1:2], v[134:135], -v[136:137]
	v_fma_f64 v[134:135], v[3:4], v[134:135], v[172:173]
	ds_read_b128 v[1:4], v125 offset:1696
	v_add_f64 v[130:131], v[130:131], v[180:181]
	v_add_f64 v[123:124], v[123:124], v[184:185]
	s_waitcnt vmcnt(37) lgkmcnt(1)
	v_mul_f64 v[172:173], v[5:6], v[138:139]
	v_mul_f64 v[138:139], v[7:8], v[138:139]
	s_waitcnt vmcnt(36)
	v_fma_f64 v[146:147], v[126:127], v[201:202], -v[146:147]
	v_fma_f64 v[132:133], v[128:129], v[201:202], v[132:133]
	ds_read_b128 v[126:129], v125 offset:1712
	v_add_f64 v[130:131], v[130:131], v[136:137]
	v_add_f64 v[123:124], v[123:124], v[134:135]
	;; [unrolled: 9-line block ×5, first 2 shown]
	s_waitcnt vmcnt(21) lgkmcnt(1)
	v_mul_f64 v[136:137], v[3:4], v[148:149]
	s_waitcnt vmcnt(20)
	v_fma_f64 v[140:141], v[5:6], v[162:163], -v[140:141]
	v_mul_f64 v[134:135], v[1:2], v[148:149]
	v_fma_f64 v[138:139], v[7:8], v[162:163], v[138:139]
	ds_read_b128 v[5:8], v125 offset:1776
	v_add_f64 v[130:131], v[130:131], v[142:143]
	v_add_f64 v[123:124], v[123:124], v[132:133]
	s_waitcnt vmcnt(19) lgkmcnt(1)
	v_mul_f64 v[142:143], v[128:129], v[166:167]
	v_mul_f64 v[132:133], v[126:127], v[166:167]
	s_waitcnt vmcnt(17)
	v_fma_f64 v[136:137], v[1:2], v[152:153], -v[136:137]
	v_fma_f64 v[134:135], v[3:4], v[152:153], v[134:135]
	ds_read_b128 v[1:4], v125 offset:1792
	v_add_f64 v[130:131], v[130:131], v[140:141]
	v_add_f64 v[123:124], v[123:124], v[138:139]
	s_waitcnt vmcnt(13) lgkmcnt(1)
	v_mul_f64 v[140:141], v[7:8], v[156:157]
	s_waitcnt vmcnt(12)
	v_fma_f64 v[142:143], v[126:127], v[170:171], -v[142:143]
	v_mul_f64 v[138:139], v[5:6], v[156:157]
	v_fma_f64 v[127:128], v[128:129], v[170:171], v[132:133]
	v_add_f64 v[130:131], v[130:131], v[136:137]
	v_add_f64 v[132:133], v[123:124], v[134:135]
	ds_read_b128 v[123:126], v125 offset:1808
	s_waitcnt vmcnt(11) lgkmcnt(1)
	v_mul_f64 v[136:137], v[3:4], v[174:175]
	v_mul_f64 v[134:135], v[1:2], v[174:175]
	s_waitcnt vmcnt(9)
	v_fma_f64 v[5:6], v[5:6], v[160:161], -v[140:141]
	v_fma_f64 v[7:8], v[7:8], v[160:161], v[138:139]
	v_add_f64 v[129:130], v[130:131], v[142:143]
	v_add_f64 v[127:128], v[132:133], v[127:128]
	s_waitcnt vmcnt(7) lgkmcnt(0)
	v_mul_f64 v[138:139], v[125:126], v[164:165]
	s_waitcnt vmcnt(6)
	v_fma_f64 v[1:2], v[1:2], v[178:179], -v[136:137]
	v_mul_f64 v[131:132], v[123:124], v[164:165]
	v_fma_f64 v[3:4], v[3:4], v[178:179], v[134:135]
	v_add_f64 v[5:6], v[129:130], v[5:6]
	v_add_f64 v[7:8], v[127:128], v[7:8]
	s_waitcnt vmcnt(4)
	v_fma_f64 v[123:124], v[123:124], v[168:169], -v[138:139]
	v_add_f64 v[1:2], v[5:6], v[1:2]
	v_fma_f64 v[5:6], v[125:126], v[168:169], v[131:132]
	v_add_f64 v[3:4], v[7:8], v[3:4]
	v_add_f64 v[1:2], v[1:2], v[123:124]
	;; [unrolled: 1-line block ×3, first 2 shown]
	s_waitcnt vmcnt(2)
	v_add_f64 v[1:2], v[176:177], -v[1:2]
	s_waitcnt vmcnt(0)
	v_add_f64 v[3:4], v[188:189], -v[3:4]
	buffer_store_dword v2, off, s[0:3], 0 offset:436
	buffer_store_dword v1, off, s[0:3], 0 offset:432
	;; [unrolled: 1-line block ×4, first 2 shown]
	v_cmpx_lt_u32_e32 25, v0
	s_cbranch_execz .LBB120_305
; %bb.304:
	v_mov_b32_e32 v4, s44
	v_mov_b32_e32 v5, 0
	s_clause 0x3
	buffer_load_dword v1, v4, s[0:3], 0 offen
	buffer_load_dword v2, v4, s[0:3], 0 offen offset:4
	buffer_load_dword v3, v4, s[0:3], 0 offen offset:8
	;; [unrolled: 1-line block ×3, first 2 shown]
	buffer_store_dword v5, off, s[0:3], 0 offset:416
	buffer_store_dword v5, off, s[0:3], 0 offset:420
	;; [unrolled: 1-line block ×4, first 2 shown]
	s_waitcnt vmcnt(0)
	ds_write_b128 v183, v[1:4]
.LBB120_305:
	s_or_b32 exec_lo, exec_lo, s4
	s_waitcnt lgkmcnt(0)
	s_waitcnt_vscnt null, 0x0
	s_barrier
	buffer_gl0_inv
	s_clause 0x37
	buffer_load_dword v123, off, s[0:3], 0 offset:440
	buffer_load_dword v124, off, s[0:3], 0 offset:444
	buffer_load_dword v5, off, s[0:3], 0 offset:456
	buffer_load_dword v6, off, s[0:3], 0 offset:460
	buffer_load_dword v7, off, s[0:3], 0 offset:432
	buffer_load_dword v8, off, s[0:3], 0 offset:436
	buffer_load_dword v3, off, s[0:3], 0 offset:472
	buffer_load_dword v4, off, s[0:3], 0 offset:476
	buffer_load_dword v1, off, s[0:3], 0 offset:448
	buffer_load_dword v2, off, s[0:3], 0 offset:452
	buffer_load_dword v128, off, s[0:3], 0 offset:492
	buffer_load_dword v144, off, s[0:3], 0 offset:504
	buffer_load_dword v125, off, s[0:3], 0 offset:496
	buffer_load_dword v127, off, s[0:3], 0 offset:488
	buffer_load_dword v146, off, s[0:3], 0 offset:464
	buffer_load_dword v147, off, s[0:3], 0 offset:468
	buffer_load_dword v145, off, s[0:3], 0 offset:508
	buffer_load_dword v149, off, s[0:3], 0 offset:484
	buffer_load_dword v148, off, s[0:3], 0 offset:480
	buffer_load_dword v151, off, s[0:3], 0 offset:524
	buffer_load_dword v152, off, s[0:3], 0 offset:536
	buffer_load_dword v129, off, s[0:3], 0 offset:528
	buffer_load_dword v150, off, s[0:3], 0 offset:520
	buffer_load_dword v126, off, s[0:3], 0 offset:500
	buffer_load_dword v153, off, s[0:3], 0 offset:540
	buffer_load_dword v155, off, s[0:3], 0 offset:516
	buffer_load_dword v154, off, s[0:3], 0 offset:512
	buffer_load_dword v157, off, s[0:3], 0 offset:556
	buffer_load_dword v158, off, s[0:3], 0 offset:568
	buffer_load_dword v160, off, s[0:3], 0 offset:560
	buffer_load_dword v156, off, s[0:3], 0 offset:552
	buffer_load_dword v130, off, s[0:3], 0 offset:532
	buffer_load_dword v159, off, s[0:3], 0 offset:572
	buffer_load_dword v163, off, s[0:3], 0 offset:548
	buffer_load_dword v162, off, s[0:3], 0 offset:544
	buffer_load_dword v165, off, s[0:3], 0 offset:588
	buffer_load_dword v166, off, s[0:3], 0 offset:600
	buffer_load_dword v168, off, s[0:3], 0 offset:592
	buffer_load_dword v164, off, s[0:3], 0 offset:584
	buffer_load_dword v161, off, s[0:3], 0 offset:564
	buffer_load_dword v167, off, s[0:3], 0 offset:604
	buffer_load_dword v171, off, s[0:3], 0 offset:580
	buffer_load_dword v170, off, s[0:3], 0 offset:576
	buffer_load_dword v173, off, s[0:3], 0 offset:620
	buffer_load_dword v174, off, s[0:3], 0 offset:632
	buffer_load_dword v176, off, s[0:3], 0 offset:624
	buffer_load_dword v172, off, s[0:3], 0 offset:616
	buffer_load_dword v169, off, s[0:3], 0 offset:596
	buffer_load_dword v175, off, s[0:3], 0 offset:636
	buffer_load_dword v179, off, s[0:3], 0 offset:612
	buffer_load_dword v178, off, s[0:3], 0 offset:608
	buffer_load_dword v181, off, s[0:3], 0 offset:652
	buffer_load_dword v184, off, s[0:3], 0 offset:664
	buffer_load_dword v186, off, s[0:3], 0 offset:656
	buffer_load_dword v180, off, s[0:3], 0 offset:648
	buffer_load_dword v177, off, s[0:3], 0 offset:628
	v_mov_b32_e32 v143, 0
	s_mov_b32 s4, exec_lo
	ds_read_b128 v[131:134], v143 offset:1328
	s_clause 0x2
	buffer_load_dword v185, off, s[0:3], 0 offset:668
	buffer_load_dword v189, off, s[0:3], 0 offset:644
	;; [unrolled: 1-line block ×3, first 2 shown]
	ds_read_b128 v[135:138], v143 offset:1344
	s_clause 0x4
	buffer_load_dword v193, off, s[0:3], 0 offset:684
	buffer_load_dword v194, off, s[0:3], 0 offset:696
	;; [unrolled: 1-line block ×5, first 2 shown]
	ds_read_b128 v[139:142], v143 offset:1360
	s_clause 0x2
	buffer_load_dword v195, off, s[0:3], 0 offset:700
	buffer_load_dword v200, off, s[0:3], 0 offset:676
	;; [unrolled: 1-line block ×3, first 2 shown]
	s_waitcnt vmcnt(62) lgkmcnt(2)
	v_mul_f64 v[190:191], v[133:134], v[123:124]
	v_mul_f64 v[123:124], v[131:132], v[123:124]
	s_waitcnt lgkmcnt(1)
	v_mul_f64 v[197:198], v[137:138], v[5:6]
	s_waitcnt vmcnt(59) lgkmcnt(0)
	v_mul_f64 v[201:202], v[141:142], v[3:4]
	v_fma_f64 v[131:132], v[131:132], v[7:8], -v[190:191]
	v_mul_f64 v[190:191], v[135:136], v[5:6]
	v_fma_f64 v[123:124], v[133:134], v[7:8], v[123:124]
	s_waitcnt vmcnt(57)
	v_fma_f64 v[135:136], v[135:136], v[1:2], -v[197:198]
	ds_read_b128 v[5:8], v143 offset:1376
	v_mul_f64 v[133:134], v[139:140], v[3:4]
	s_waitcnt vmcnt(51)
	v_fma_f64 v[139:140], v[139:140], v[146:147], -v[201:202]
	v_add_f64 v[131:132], v[131:132], 0
	v_fma_f64 v[137:138], v[137:138], v[1:2], v[190:191]
	v_add_f64 v[123:124], v[123:124], 0
	s_clause 0x4
	buffer_load_dword v191, off, s[0:3], 0 offset:716
	buffer_load_dword v203, off, s[0:3], 0 offset:728
	;; [unrolled: 1-line block ×5, first 2 shown]
	s_waitcnt lgkmcnt(0)
	v_mul_f64 v[206:207], v[5:6], v[127:128]
	v_mul_f64 v[127:128], v[7:8], v[127:128]
	ds_read_b128 v[1:4], v143 offset:1392
	v_fma_f64 v[141:142], v[141:142], v[146:147], v[133:134]
	v_add_f64 v[135:136], v[131:132], v[135:136]
	v_add_f64 v[123:124], v[123:124], v[137:138]
	s_clause 0x2
	buffer_load_dword v204, off, s[0:3], 0 offset:732
	buffer_load_dword v138, off, s[0:3], 0 offset:708
	;; [unrolled: 1-line block ×3, first 2 shown]
	s_waitcnt vmcnt(58) lgkmcnt(0)
	v_mul_f64 v[146:147], v[1:2], v[144:145]
	v_mul_f64 v[144:145], v[3:4], v[144:145]
	s_waitcnt vmcnt(56)
	v_fma_f64 v[127:128], v[5:6], v[148:149], -v[127:128]
	ds_read_b128 v[131:134], v143 offset:1408
	v_add_f64 v[135:136], v[135:136], v[139:140]
	v_fma_f64 v[139:140], v[7:8], v[148:149], v[206:207]
	v_add_f64 v[123:124], v[123:124], v[141:142]
	s_clause 0x4
	buffer_load_dword v142, off, s[0:3], 0 offset:748
	buffer_load_dword v148, off, s[0:3], 0 offset:760
	;; [unrolled: 1-line block ×5, first 2 shown]
	ds_read_b128 v[5:8], v143 offset:1424
	s_waitcnt vmcnt(57) lgkmcnt(1)
	v_mul_f64 v[207:208], v[131:132], v[150:151]
	v_mul_f64 v[150:151], v[133:134], v[150:151]
	s_waitcnt vmcnt(56)
	v_fma_f64 v[144:145], v[1:2], v[125:126], -v[144:145]
	v_fma_f64 v[125:126], v[3:4], v[125:126], v[146:147]
	v_add_f64 v[127:128], v[135:136], v[127:128]
	s_clause 0x2
	buffer_load_dword v149, off, s[0:3], 0 offset:764
	buffer_load_dword v136, off, s[0:3], 0 offset:740
	;; [unrolled: 1-line block ×3, first 2 shown]
	v_add_f64 v[123:124], v[123:124], v[139:140]
	s_waitcnt vmcnt(58) lgkmcnt(0)
	v_mul_f64 v[146:147], v[7:8], v[152:153]
	ds_read_b128 v[1:4], v143 offset:1440
	v_mul_f64 v[139:140], v[5:6], v[152:153]
	s_waitcnt vmcnt(56)
	v_fma_f64 v[131:132], v[131:132], v[154:155], -v[150:151]
	v_fma_f64 v[133:134], v[133:134], v[154:155], v[207:208]
	s_clause 0x4
	buffer_load_dword v151, off, s[0:3], 0 offset:780
	buffer_load_dword v152, off, s[0:3], 0 offset:792
	;; [unrolled: 1-line block ×5, first 2 shown]
	v_add_f64 v[127:128], v[127:128], v[144:145]
	v_add_f64 v[144:145], v[123:124], v[125:126]
	s_waitcnt vmcnt(57) lgkmcnt(0)
	v_mul_f64 v[207:208], v[1:2], v[156:157]
	v_mul_f64 v[155:156], v[3:4], v[156:157]
	s_waitcnt vmcnt(56)
	v_fma_f64 v[146:147], v[5:6], v[129:130], -v[146:147]
	ds_read_b128 v[123:126], v143 offset:1456
	v_fma_f64 v[129:130], v[7:8], v[129:130], v[139:140]
	v_add_f64 v[127:128], v[127:128], v[131:132]
	v_add_f64 v[131:132], v[144:145], v[133:134]
	s_clause 0x2
	buffer_load_dword v153, off, s[0:3], 0 offset:796
	buffer_load_dword v134, off, s[0:3], 0 offset:772
	buffer_load_dword v133, off, s[0:3], 0 offset:768
	s_waitcnt vmcnt(58) lgkmcnt(0)
	v_mul_f64 v[144:145], v[125:126], v[158:159]
	s_waitcnt vmcnt(56)
	v_fma_f64 v[156:157], v[1:2], v[162:163], -v[155:156]
	ds_read_b128 v[5:8], v143 offset:1472
	v_mul_f64 v[139:140], v[123:124], v[158:159]
	v_add_f64 v[127:128], v[127:128], v[146:147]
	v_fma_f64 v[146:147], v[3:4], v[162:163], v[207:208]
	v_add_f64 v[129:130], v[131:132], v[129:130]
	s_clause 0x4
	buffer_load_dword v132, off, s[0:3], 0 offset:812
	buffer_load_dword v158, off, s[0:3], 0 offset:824
	buffer_load_dword v162, off, s[0:3], 0 offset:816
	buffer_load_dword v131, off, s[0:3], 0 offset:808
	buffer_load_dword v155, off, s[0:3], 0 offset:788
	s_waitcnt vmcnt(57) lgkmcnt(0)
	v_mul_f64 v[207:208], v[5:6], v[164:165]
	v_mul_f64 v[163:164], v[7:8], v[164:165]
	s_waitcnt vmcnt(56)
	v_fma_f64 v[144:145], v[123:124], v[160:161], -v[144:145]
	ds_read_b128 v[1:4], v143 offset:1488
	v_fma_f64 v[139:140], v[125:126], v[160:161], v[139:140]
	v_add_f64 v[127:128], v[127:128], v[156:157]
	v_add_f64 v[129:130], v[129:130], v[146:147]
	s_clause 0x2
	buffer_load_dword v159, off, s[0:3], 0 offset:828
	buffer_load_dword v147, off, s[0:3], 0 offset:804
	buffer_load_dword v146, off, s[0:3], 0 offset:800
	ds_read_b128 v[123:126], v143 offset:1504
	s_waitcnt vmcnt(58) lgkmcnt(1)
	v_mul_f64 v[160:161], v[3:4], v[166:167]
	s_waitcnt vmcnt(56)
	v_fma_f64 v[164:165], v[5:6], v[170:171], -v[163:164]
	v_mul_f64 v[156:157], v[1:2], v[166:167]
	v_add_f64 v[127:128], v[127:128], v[144:145]
	v_fma_f64 v[144:145], v[7:8], v[170:171], v[207:208]
	v_add_f64 v[129:130], v[129:130], v[139:140]
	s_clause 0x4
	buffer_load_dword v140, off, s[0:3], 0 offset:844
	buffer_load_dword v166, off, s[0:3], 0 offset:856
	buffer_load_dword v170, off, s[0:3], 0 offset:848
	buffer_load_dword v139, off, s[0:3], 0 offset:840
	buffer_load_dword v163, off, s[0:3], 0 offset:820
	s_waitcnt vmcnt(57) lgkmcnt(0)
	v_mul_f64 v[207:208], v[123:124], v[172:173]
	v_mul_f64 v[171:172], v[125:126], v[172:173]
	s_waitcnt vmcnt(56)
	v_fma_f64 v[160:161], v[1:2], v[168:169], -v[160:161]
	ds_read_b128 v[5:8], v143 offset:1520
	v_fma_f64 v[156:157], v[3:4], v[168:169], v[156:157]
	v_add_f64 v[127:128], v[127:128], v[164:165]
	v_add_f64 v[129:130], v[129:130], v[144:145]
	s_clause 0x2
	buffer_load_dword v167, off, s[0:3], 0 offset:860
	buffer_load_dword v145, off, s[0:3], 0 offset:836
	buffer_load_dword v144, off, s[0:3], 0 offset:832
	ds_read_b128 v[1:4], v143 offset:1536
	s_waitcnt vmcnt(58) lgkmcnt(1)
	v_mul_f64 v[168:169], v[7:8], v[174:175]
	s_waitcnt vmcnt(56)
	v_fma_f64 v[172:173], v[123:124], v[178:179], -v[171:172]
	;; [unrolled: 28-line block ×4, first 2 shown]
	v_mul_f64 v[180:181], v[1:2], v[194:195]
	buffer_load_dword v189, off, s[0:3], 0 offset:916
	v_add_f64 v[127:128], v[127:128], v[176:177]
	v_fma_f64 v[176:177], v[7:8], v[199:200], v[207:208]
	v_add_f64 v[129:130], v[129:130], v[172:173]
	ds_read_b128 v[5:8], v143 offset:1616
	s_waitcnt vmcnt(53) lgkmcnt(1)
	v_mul_f64 v[172:173], v[123:124], v[190:191]
	v_mul_f64 v[190:191], v[125:126], v[190:191]
	s_waitcnt vmcnt(52)
	v_fma_f64 v[186:187], v[1:2], v[196:197], -v[186:187]
	v_fma_f64 v[180:181], v[3:4], v[196:197], v[180:181]
	ds_read_b128 v[1:4], v143 offset:1632
	v_add_f64 v[127:128], v[127:128], v[192:193]
	v_add_f64 v[129:130], v[129:130], v[176:177]
	s_waitcnt vmcnt(51) lgkmcnt(1)
	v_mul_f64 v[192:193], v[7:8], v[203:204]
	v_mul_f64 v[176:177], v[5:6], v[203:204]
	s_waitcnt vmcnt(49)
	v_fma_f64 v[190:191], v[123:124], v[137:138], -v[190:191]
	v_fma_f64 v[137:138], v[125:126], v[137:138], v[172:173]
	v_add_f64 v[127:128], v[127:128], v[186:187]
	v_add_f64 v[129:130], v[129:130], v[180:181]
	s_clause 0x3
	buffer_load_dword v172, off, s[0:3], 0 offset:416
	buffer_load_dword v173, off, s[0:3], 0 offset:420
	;; [unrolled: 1-line block ×4, first 2 shown]
	ds_read_b128 v[123:126], v143 offset:1648
	s_waitcnt vmcnt(49) lgkmcnt(1)
	v_mul_f64 v[186:187], v[1:2], v[141:142]
	v_mul_f64 v[141:142], v[3:4], v[141:142]
	s_waitcnt vmcnt(48)
	v_fma_f64 v[192:193], v[5:6], v[205:206], -v[192:193]
	v_fma_f64 v[176:177], v[7:8], v[205:206], v[176:177]
	ds_read_b128 v[5:8], v143 offset:1664
	v_add_f64 v[127:128], v[127:128], v[190:191]
	v_add_f64 v[129:130], v[129:130], v[137:138]
	s_waitcnt vmcnt(47) lgkmcnt(1)
	v_mul_f64 v[137:138], v[123:124], v[148:149]
	v_mul_f64 v[148:149], v[125:126], v[148:149]
	s_waitcnt vmcnt(45)
	v_fma_f64 v[141:142], v[1:2], v[135:136], -v[141:142]
	v_fma_f64 v[135:136], v[3:4], v[135:136], v[186:187]
	ds_read_b128 v[1:4], v143 offset:1680
	v_add_f64 v[127:128], v[127:128], v[192:193]
	v_add_f64 v[129:130], v[129:130], v[176:177]
	s_waitcnt vmcnt(41) lgkmcnt(1)
	v_mul_f64 v[176:177], v[5:6], v[150:151]
	v_mul_f64 v[150:151], v[7:8], v[150:151]
	s_waitcnt vmcnt(40)
	v_fma_f64 v[137:138], v[125:126], v[201:202], v[137:138]
	v_fma_f64 v[148:149], v[123:124], v[201:202], -v[148:149]
	ds_read_b128 v[123:126], v143 offset:1696
	v_add_f64 v[127:128], v[127:128], v[141:142]
	v_add_f64 v[129:130], v[129:130], v[135:136]
	s_waitcnt vmcnt(39) lgkmcnt(1)
	v_mul_f64 v[141:142], v[3:4], v[152:153]
	v_mul_f64 v[135:136], v[1:2], v[152:153]
	s_waitcnt vmcnt(37)
	v_fma_f64 v[150:151], v[5:6], v[133:134], -v[150:151]
	v_fma_f64 v[133:134], v[7:8], v[133:134], v[176:177]
	ds_read_b128 v[5:8], v143 offset:1712
	v_add_f64 v[127:128], v[127:128], v[148:149]
	v_add_f64 v[129:130], v[129:130], v[137:138]
	s_waitcnt vmcnt(33) lgkmcnt(1)
	v_mul_f64 v[137:138], v[123:124], v[131:132]
	v_mul_f64 v[131:132], v[125:126], v[131:132]
	s_waitcnt vmcnt(32)
	v_fma_f64 v[141:142], v[1:2], v[154:155], -v[141:142]
	v_fma_f64 v[135:136], v[3:4], v[154:155], v[135:136]
	;; [unrolled: 9-line block ×3, first 2 shown]
	ds_read_b128 v[123:126], v143 offset:1744
	v_add_f64 v[127:128], v[127:128], v[141:142]
	v_add_f64 v[129:130], v[129:130], v[135:136]
	s_waitcnt vmcnt(25) lgkmcnt(1)
	v_mul_f64 v[135:136], v[1:2], v[139:140]
	v_mul_f64 v[139:140], v[3:4], v[139:140]
	s_waitcnt vmcnt(24)
	v_fma_f64 v[141:142], v[5:6], v[162:163], -v[148:149]
	v_add_f64 v[127:128], v[127:128], v[131:132]
	v_fma_f64 v[131:132], v[7:8], v[162:163], v[133:134]
	v_add_f64 v[129:130], v[129:130], v[137:138]
	ds_read_b128 v[5:8], v143 offset:1760
	s_waitcnt vmcnt(23) lgkmcnt(1)
	v_mul_f64 v[137:138], v[125:126], v[166:167]
	v_mul_f64 v[133:134], v[123:124], v[166:167]
	s_waitcnt vmcnt(21)
	v_fma_f64 v[139:140], v[1:2], v[144:145], -v[139:140]
	v_fma_f64 v[135:136], v[3:4], v[144:145], v[135:136]
	ds_read_b128 v[1:4], v143 offset:1776
	v_add_f64 v[127:128], v[127:128], v[141:142]
	v_add_f64 v[129:130], v[129:130], v[131:132]
	s_waitcnt vmcnt(17) lgkmcnt(1)
	v_mul_f64 v[141:142], v[7:8], v[156:157]
	s_waitcnt vmcnt(16)
	v_fma_f64 v[137:138], v[123:124], v[170:171], -v[137:138]
	v_mul_f64 v[131:132], v[5:6], v[156:157]
	v_fma_f64 v[133:134], v[125:126], v[170:171], v[133:134]
	ds_read_b128 v[123:126], v143 offset:1792
	v_add_f64 v[127:128], v[127:128], v[139:140]
	v_add_f64 v[129:130], v[129:130], v[135:136]
	s_waitcnt vmcnt(15) lgkmcnt(1)
	v_mul_f64 v[139:140], v[3:4], v[174:175]
	v_mul_f64 v[135:136], v[1:2], v[174:175]
	s_waitcnt vmcnt(13)
	v_fma_f64 v[141:142], v[5:6], v[160:161], -v[141:142]
	v_fma_f64 v[131:132], v[7:8], v[160:161], v[131:132]
	ds_read_b128 v[5:8], v143 offset:1808
	v_add_f64 v[127:128], v[127:128], v[137:138]
	v_add_f64 v[129:130], v[129:130], v[133:134]
	s_waitcnt vmcnt(9) lgkmcnt(1)
	v_mul_f64 v[137:138], v[125:126], v[164:165]
	s_waitcnt vmcnt(8)
	v_fma_f64 v[1:2], v[1:2], v[178:179], -v[139:140]
	v_mul_f64 v[133:134], v[123:124], v[164:165]
	v_fma_f64 v[3:4], v[3:4], v[178:179], v[135:136]
	v_add_f64 v[127:128], v[127:128], v[141:142]
	v_add_f64 v[129:130], v[129:130], v[131:132]
	s_waitcnt vmcnt(7) lgkmcnt(0)
	v_mul_f64 v[135:136], v[7:8], v[184:185]
	v_mul_f64 v[131:132], v[5:6], v[184:185]
	s_waitcnt vmcnt(5)
	v_fma_f64 v[123:124], v[123:124], v[168:169], -v[137:138]
	v_fma_f64 v[125:126], v[125:126], v[168:169], v[133:134]
	v_add_f64 v[1:2], v[127:128], v[1:2]
	v_add_f64 v[3:4], v[129:130], v[3:4]
	s_waitcnt vmcnt(4)
	v_fma_f64 v[5:6], v[5:6], v[188:189], -v[135:136]
	v_fma_f64 v[7:8], v[7:8], v[188:189], v[131:132]
	v_add_f64 v[1:2], v[1:2], v[123:124]
	v_add_f64 v[3:4], v[3:4], v[125:126]
	;; [unrolled: 1-line block ×4, first 2 shown]
	s_waitcnt vmcnt(2)
	v_add_f64 v[1:2], v[172:173], -v[1:2]
	s_waitcnt vmcnt(0)
	v_add_f64 v[3:4], v[180:181], -v[3:4]
	buffer_store_dword v2, off, s[0:3], 0 offset:420
	buffer_store_dword v1, off, s[0:3], 0 offset:416
	;; [unrolled: 1-line block ×4, first 2 shown]
	v_cmpx_lt_u32_e32 24, v0
	s_cbranch_execz .LBB120_307
; %bb.306:
	v_mov_b32_e32 v4, s45
	s_clause 0x3
	buffer_load_dword v1, v4, s[0:3], 0 offen
	buffer_load_dword v2, v4, s[0:3], 0 offen offset:4
	buffer_load_dword v3, v4, s[0:3], 0 offen offset:8
	;; [unrolled: 1-line block ×3, first 2 shown]
	buffer_store_dword v143, off, s[0:3], 0 offset:400
	buffer_store_dword v143, off, s[0:3], 0 offset:404
	;; [unrolled: 1-line block ×4, first 2 shown]
	s_waitcnt vmcnt(0)
	ds_write_b128 v183, v[1:4]
.LBB120_307:
	s_or_b32 exec_lo, exec_lo, s4
	s_waitcnt lgkmcnt(0)
	s_waitcnt_vscnt null, 0x0
	s_barrier
	buffer_gl0_inv
	s_clause 0x37
	buffer_load_dword v123, off, s[0:3], 0 offset:424
	buffer_load_dword v124, off, s[0:3], 0 offset:428
	;; [unrolled: 1-line block ×56, first 2 shown]
	ds_read_b128 v[144:147], v143 offset:1312
	s_clause 0x2
	buffer_load_dword v185, off, s[0:3], 0 offset:652
	buffer_load_dword v189, off, s[0:3], 0 offset:628
	;; [unrolled: 1-line block ×3, first 2 shown]
	ds_read_b128 v[148:151], v143 offset:1328
	s_clause 0x4
	buffer_load_dword v193, off, s[0:3], 0 offset:668
	buffer_load_dword v194, off, s[0:3], 0 offset:680
	;; [unrolled: 1-line block ×5, first 2 shown]
	ds_read_b128 v[152:155], v143 offset:1344
	s_clause 0x2
	buffer_load_dword v195, off, s[0:3], 0 offset:684
	buffer_load_dword v200, off, s[0:3], 0 offset:660
	;; [unrolled: 1-line block ×3, first 2 shown]
	s_mov_b32 s4, exec_lo
	s_waitcnt vmcnt(62) lgkmcnt(2)
	v_mul_f64 v[190:191], v[146:147], v[123:124]
	v_mul_f64 v[123:124], v[144:145], v[123:124]
	s_waitcnt lgkmcnt(1)
	v_mul_f64 v[197:198], v[150:151], v[5:6]
	s_waitcnt vmcnt(59) lgkmcnt(0)
	v_mul_f64 v[201:202], v[154:155], v[3:4]
	v_fma_f64 v[144:145], v[144:145], v[7:8], -v[190:191]
	v_mul_f64 v[190:191], v[148:149], v[5:6]
	v_fma_f64 v[123:124], v[146:147], v[7:8], v[123:124]
	s_waitcnt vmcnt(57)
	v_fma_f64 v[148:149], v[148:149], v[1:2], -v[197:198]
	ds_read_b128 v[5:8], v143 offset:1360
	v_mul_f64 v[146:147], v[152:153], v[3:4]
	s_waitcnt vmcnt(51)
	v_fma_f64 v[152:153], v[152:153], v[139:140], -v[201:202]
	v_add_f64 v[144:145], v[144:145], 0
	v_fma_f64 v[150:151], v[150:151], v[1:2], v[190:191]
	v_add_f64 v[123:124], v[123:124], 0
	s_clause 0x4
	buffer_load_dword v191, off, s[0:3], 0 offset:700
	buffer_load_dword v203, off, s[0:3], 0 offset:712
	;; [unrolled: 1-line block ×5, first 2 shown]
	s_waitcnt lgkmcnt(0)
	v_mul_f64 v[206:207], v[5:6], v[127:128]
	v_mul_f64 v[127:128], v[7:8], v[127:128]
	ds_read_b128 v[1:4], v143 offset:1376
	v_fma_f64 v[139:140], v[154:155], v[139:140], v[146:147]
	v_add_f64 v[148:149], v[144:145], v[148:149]
	v_add_f64 v[123:124], v[123:124], v[150:151]
	s_clause 0x2
	buffer_load_dword v204, off, s[0:3], 0 offset:716
	buffer_load_dword v151, off, s[0:3], 0 offset:692
	;; [unrolled: 1-line block ×3, first 2 shown]
	s_waitcnt vmcnt(58) lgkmcnt(0)
	v_mul_f64 v[154:155], v[1:2], v[131:132]
	v_mul_f64 v[131:132], v[3:4], v[131:132]
	s_waitcnt vmcnt(56)
	v_fma_f64 v[127:128], v[5:6], v[133:134], -v[127:128]
	ds_read_b128 v[144:147], v143 offset:1392
	v_fma_f64 v[133:134], v[7:8], v[133:134], v[206:207]
	v_add_f64 v[148:149], v[148:149], v[152:153]
	v_add_f64 v[123:124], v[123:124], v[139:140]
	s_clause 0x4
	buffer_load_dword v140, off, s[0:3], 0 offset:732
	buffer_load_dword v152, off, s[0:3], 0 offset:744
	;; [unrolled: 1-line block ×5, first 2 shown]
	ds_read_b128 v[5:8], v143 offset:1408
	s_waitcnt vmcnt(57) lgkmcnt(1)
	v_mul_f64 v[207:208], v[144:145], v[135:136]
	v_mul_f64 v[135:136], v[146:147], v[135:136]
	s_waitcnt vmcnt(56)
	v_fma_f64 v[131:132], v[1:2], v[125:126], -v[131:132]
	v_fma_f64 v[125:126], v[3:4], v[125:126], v[154:155]
	v_add_f64 v[127:128], v[148:149], v[127:128]
	v_add_f64 v[123:124], v[123:124], v[133:134]
	s_clause 0x2
	buffer_load_dword v153, off, s[0:3], 0 offset:748
	buffer_load_dword v134, off, s[0:3], 0 offset:724
	;; [unrolled: 1-line block ×3, first 2 shown]
	s_waitcnt vmcnt(58) lgkmcnt(0)
	v_mul_f64 v[148:149], v[5:6], v[141:142]
	v_mul_f64 v[141:142], v[7:8], v[141:142]
	s_waitcnt vmcnt(56)
	v_fma_f64 v[135:136], v[144:145], v[156:157], -v[135:136]
	ds_read_b128 v[1:4], v143 offset:1424
	v_add_f64 v[127:128], v[127:128], v[131:132]
	v_fma_f64 v[131:132], v[146:147], v[156:157], v[207:208]
	v_add_f64 v[144:145], v[123:124], v[125:126]
	s_clause 0x4
	buffer_load_dword v147, off, s[0:3], 0 offset:764
	buffer_load_dword v154, off, s[0:3], 0 offset:776
	;; [unrolled: 1-line block ×5, first 2 shown]
	ds_read_b128 v[123:126], v143 offset:1440
	s_waitcnt vmcnt(57) lgkmcnt(1)
	v_mul_f64 v[207:208], v[1:2], v[158:159]
	v_mul_f64 v[157:158], v[3:4], v[158:159]
	s_waitcnt vmcnt(56)
	v_fma_f64 v[141:142], v[5:6], v[129:130], -v[141:142]
	v_fma_f64 v[129:130], v[7:8], v[129:130], v[148:149]
	v_add_f64 v[127:128], v[127:128], v[135:136]
	s_clause 0x2
	buffer_load_dword v155, off, s[0:3], 0 offset:780
	buffer_load_dword v136, off, s[0:3], 0 offset:756
	;; [unrolled: 1-line block ×3, first 2 shown]
	v_add_f64 v[131:132], v[144:145], v[131:132]
	s_waitcnt vmcnt(58) lgkmcnt(0)
	v_mul_f64 v[148:149], v[125:126], v[160:161]
	ds_read_b128 v[5:8], v143 offset:1456
	v_mul_f64 v[144:145], v[123:124], v[160:161]
	s_waitcnt vmcnt(56)
	v_fma_f64 v[158:159], v[1:2], v[162:163], -v[157:158]
	v_add_f64 v[127:128], v[127:128], v[141:142]
	v_fma_f64 v[141:142], v[3:4], v[162:163], v[207:208]
	v_add_f64 v[129:130], v[131:132], v[129:130]
	s_clause 0x4
	buffer_load_dword v132, off, s[0:3], 0 offset:796
	buffer_load_dword v160, off, s[0:3], 0 offset:808
	buffer_load_dword v162, off, s[0:3], 0 offset:800
	buffer_load_dword v131, off, s[0:3], 0 offset:792
	buffer_load_dword v157, off, s[0:3], 0 offset:772
	s_waitcnt vmcnt(57) lgkmcnt(0)
	v_mul_f64 v[207:208], v[5:6], v[164:165]
	v_mul_f64 v[163:164], v[7:8], v[164:165]
	s_waitcnt vmcnt(56)
	v_fma_f64 v[148:149], v[123:124], v[137:138], -v[148:149]
	ds_read_b128 v[1:4], v143 offset:1472
	v_fma_f64 v[137:138], v[125:126], v[137:138], v[144:145]
	v_add_f64 v[127:128], v[127:128], v[158:159]
	v_add_f64 v[129:130], v[129:130], v[141:142]
	s_clause 0x2
	buffer_load_dword v161, off, s[0:3], 0 offset:812
	buffer_load_dword v142, off, s[0:3], 0 offset:788
	buffer_load_dword v141, off, s[0:3], 0 offset:784
	ds_read_b128 v[123:126], v143 offset:1488
	s_waitcnt vmcnt(58) lgkmcnt(1)
	v_mul_f64 v[158:159], v[3:4], v[166:167]
	s_waitcnt vmcnt(56)
	v_fma_f64 v[164:165], v[5:6], v[170:171], -v[163:164]
	v_mul_f64 v[144:145], v[1:2], v[166:167]
	v_add_f64 v[127:128], v[127:128], v[148:149]
	v_fma_f64 v[148:149], v[7:8], v[170:171], v[207:208]
	v_add_f64 v[129:130], v[129:130], v[137:138]
	s_clause 0x4
	buffer_load_dword v138, off, s[0:3], 0 offset:828
	buffer_load_dword v166, off, s[0:3], 0 offset:840
	buffer_load_dword v170, off, s[0:3], 0 offset:832
	buffer_load_dword v137, off, s[0:3], 0 offset:824
	buffer_load_dword v163, off, s[0:3], 0 offset:804
	s_waitcnt vmcnt(57) lgkmcnt(0)
	v_mul_f64 v[207:208], v[123:124], v[172:173]
	v_mul_f64 v[171:172], v[125:126], v[172:173]
	s_waitcnt vmcnt(56)
	v_fma_f64 v[158:159], v[1:2], v[168:169], -v[158:159]
	ds_read_b128 v[5:8], v143 offset:1504
	v_fma_f64 v[144:145], v[3:4], v[168:169], v[144:145]
	v_add_f64 v[127:128], v[127:128], v[164:165]
	v_add_f64 v[129:130], v[129:130], v[148:149]
	s_clause 0x2
	buffer_load_dword v167, off, s[0:3], 0 offset:844
	buffer_load_dword v149, off, s[0:3], 0 offset:820
	buffer_load_dword v148, off, s[0:3], 0 offset:816
	ds_read_b128 v[1:4], v143 offset:1520
	s_waitcnt vmcnt(58) lgkmcnt(1)
	v_mul_f64 v[168:169], v[7:8], v[174:175]
	s_waitcnt vmcnt(56)
	v_fma_f64 v[172:173], v[123:124], v[178:179], -v[171:172]
	v_mul_f64 v[164:165], v[5:6], v[174:175]
	;; [unrolled: 28-line block ×4, first 2 shown]
	v_add_f64 v[127:128], v[127:128], v[176:177]
	v_fma_f64 v[176:177], v[7:8], v[199:200], v[207:208]
	v_add_f64 v[129:130], v[129:130], v[172:173]
	s_clause 0x2
	buffer_load_dword v173, off, s[0:3], 0 offset:924
	buffer_load_dword v172, off, s[0:3], 0 offset:920
	;; [unrolled: 1-line block ×3, first 2 shown]
	ds_read_b128 v[5:8], v143 offset:1600
	s_waitcnt vmcnt(55) lgkmcnt(1)
	v_mul_f64 v[194:195], v[123:124], v[190:191]
	v_mul_f64 v[190:191], v[125:126], v[190:191]
	s_waitcnt vmcnt(54)
	v_fma_f64 v[186:187], v[1:2], v[196:197], -v[186:187]
	v_fma_f64 v[180:181], v[3:4], v[196:197], v[180:181]
	v_add_f64 v[127:128], v[127:128], v[192:193]
	v_add_f64 v[129:130], v[129:130], v[176:177]
	s_clause 0x1
	buffer_load_dword v177, off, s[0:3], 0 offset:916
	buffer_load_dword v176, off, s[0:3], 0 offset:912
	ds_read_b128 v[1:4], v143 offset:1616
	s_waitcnt vmcnt(55) lgkmcnt(1)
	v_mul_f64 v[196:197], v[7:8], v[203:204]
	v_mul_f64 v[192:193], v[5:6], v[203:204]
	s_waitcnt vmcnt(53)
	v_fma_f64 v[190:191], v[123:124], v[150:151], -v[190:191]
	v_fma_f64 v[150:151], v[125:126], v[150:151], v[194:195]
	ds_read_b128 v[123:126], v143 offset:1632
	v_add_f64 v[127:128], v[127:128], v[186:187]
	v_add_f64 v[129:130], v[129:130], v[180:181]
	s_waitcnt vmcnt(49) lgkmcnt(1)
	v_mul_f64 v[180:181], v[1:2], v[139:140]
	v_mul_f64 v[139:140], v[3:4], v[139:140]
	s_waitcnt vmcnt(48)
	v_fma_f64 v[186:187], v[5:6], v[205:206], -v[196:197]
	v_add_f64 v[127:128], v[127:128], v[190:191]
	v_fma_f64 v[190:191], v[7:8], v[205:206], v[192:193]
	v_add_f64 v[129:130], v[129:130], v[150:151]
	s_clause 0x3
	buffer_load_dword v150, off, s[0:3], 0 offset:400
	buffer_load_dword v151, off, s[0:3], 0 offset:404
	;; [unrolled: 1-line block ×4, first 2 shown]
	ds_read_b128 v[5:8], v143 offset:1648
	s_waitcnt vmcnt(51) lgkmcnt(1)
	v_mul_f64 v[194:195], v[123:124], v[152:153]
	v_mul_f64 v[152:153], v[125:126], v[152:153]
	s_waitcnt vmcnt(49)
	v_fma_f64 v[139:140], v[1:2], v[133:134], -v[139:140]
	v_fma_f64 v[133:134], v[3:4], v[133:134], v[180:181]
	ds_read_b128 v[1:4], v143 offset:1664
	v_add_f64 v[127:128], v[127:128], v[186:187]
	v_add_f64 v[129:130], v[129:130], v[190:191]
	s_waitcnt vmcnt(45) lgkmcnt(1)
	v_mul_f64 v[180:181], v[5:6], v[146:147]
	v_mul_f64 v[146:147], v[7:8], v[146:147]
	s_waitcnt vmcnt(44)
	v_fma_f64 v[152:153], v[123:124], v[201:202], -v[152:153]
	v_add_f64 v[127:128], v[127:128], v[139:140]
	v_fma_f64 v[139:140], v[125:126], v[201:202], v[194:195]
	v_add_f64 v[129:130], v[129:130], v[133:134]
	ds_read_b128 v[123:126], v143 offset:1680
	s_waitcnt vmcnt(43) lgkmcnt(1)
	v_mul_f64 v[133:134], v[1:2], v[154:155]
	v_mul_f64 v[154:155], v[3:4], v[154:155]
	s_waitcnt vmcnt(41)
	v_fma_f64 v[146:147], v[5:6], v[135:136], -v[146:147]
	v_fma_f64 v[135:136], v[7:8], v[135:136], v[180:181]
	ds_read_b128 v[5:8], v143 offset:1696
	v_add_f64 v[127:128], v[127:128], v[152:153]
	v_add_f64 v[129:130], v[129:130], v[139:140]
	s_waitcnt vmcnt(37) lgkmcnt(1)
	v_mul_f64 v[139:140], v[123:124], v[131:132]
	v_mul_f64 v[131:132], v[125:126], v[131:132]
	s_waitcnt vmcnt(36)
	v_fma_f64 v[152:153], v[1:2], v[156:157], -v[154:155]
	v_fma_f64 v[133:134], v[3:4], v[156:157], v[133:134]
	ds_read_b128 v[1:4], v143 offset:1712
	v_add_f64 v[127:128], v[127:128], v[146:147]
	v_add_f64 v[129:130], v[129:130], v[135:136]
	;; [unrolled: 9-line block ×3, first 2 shown]
	s_waitcnt vmcnt(29) lgkmcnt(1)
	v_mul_f64 v[133:134], v[1:2], v[137:138]
	v_mul_f64 v[137:138], v[3:4], v[137:138]
	s_waitcnt vmcnt(28)
	v_fma_f64 v[141:142], v[5:6], v[162:163], -v[146:147]
	v_add_f64 v[127:128], v[127:128], v[131:132]
	v_fma_f64 v[131:132], v[7:8], v[162:163], v[135:136]
	v_add_f64 v[129:130], v[129:130], v[139:140]
	ds_read_b128 v[5:8], v143 offset:1744
	s_waitcnt vmcnt(27) lgkmcnt(1)
	v_mul_f64 v[139:140], v[125:126], v[166:167]
	v_mul_f64 v[135:136], v[123:124], v[166:167]
	s_waitcnt vmcnt(25)
	v_fma_f64 v[137:138], v[1:2], v[148:149], -v[137:138]
	v_fma_f64 v[133:134], v[3:4], v[148:149], v[133:134]
	ds_read_b128 v[1:4], v143 offset:1760
	v_add_f64 v[127:128], v[127:128], v[141:142]
	v_add_f64 v[129:130], v[129:130], v[131:132]
	s_waitcnt vmcnt(21) lgkmcnt(1)
	v_mul_f64 v[141:142], v[7:8], v[144:145]
	s_waitcnt vmcnt(20)
	v_fma_f64 v[139:140], v[123:124], v[170:171], -v[139:140]
	v_mul_f64 v[131:132], v[5:6], v[144:145]
	v_fma_f64 v[135:136], v[125:126], v[170:171], v[135:136]
	ds_read_b128 v[123:126], v143 offset:1776
	v_add_f64 v[127:128], v[127:128], v[137:138]
	v_add_f64 v[129:130], v[129:130], v[133:134]
	s_waitcnt vmcnt(19) lgkmcnt(1)
	v_mul_f64 v[137:138], v[3:4], v[174:175]
	v_mul_f64 v[133:134], v[1:2], v[174:175]
	s_waitcnt vmcnt(17)
	v_fma_f64 v[141:142], v[5:6], v[158:159], -v[141:142]
	v_fma_f64 v[131:132], v[7:8], v[158:159], v[131:132]
	ds_read_b128 v[5:8], v143 offset:1792
	v_add_f64 v[127:128], v[127:128], v[139:140]
	v_add_f64 v[129:130], v[129:130], v[135:136]
	s_waitcnt vmcnt(13) lgkmcnt(1)
	v_mul_f64 v[139:140], v[125:126], v[164:165]
	s_waitcnt vmcnt(12)
	v_fma_f64 v[137:138], v[1:2], v[178:179], -v[137:138]
	v_mul_f64 v[135:136], v[123:124], v[164:165]
	v_fma_f64 v[133:134], v[3:4], v[178:179], v[133:134]
	ds_read_b128 v[1:4], v143 offset:1808
	v_add_f64 v[127:128], v[127:128], v[141:142]
	v_add_f64 v[129:130], v[129:130], v[131:132]
	s_waitcnt vmcnt(11) lgkmcnt(1)
	v_mul_f64 v[141:142], v[7:8], v[184:185]
	v_mul_f64 v[131:132], v[5:6], v[184:185]
	s_waitcnt vmcnt(9)
	v_fma_f64 v[123:124], v[123:124], v[168:169], -v[139:140]
	v_fma_f64 v[125:126], v[125:126], v[168:169], v[135:136]
	v_add_f64 v[127:128], v[127:128], v[137:138]
	v_add_f64 v[129:130], v[129:130], v[133:134]
	s_waitcnt vmcnt(7) lgkmcnt(0)
	v_mul_f64 v[135:136], v[3:4], v[172:173]
	s_waitcnt vmcnt(6)
	v_fma_f64 v[5:6], v[5:6], v[188:189], -v[141:142]
	v_mul_f64 v[133:134], v[1:2], v[172:173]
	v_fma_f64 v[7:8], v[7:8], v[188:189], v[131:132]
	v_add_f64 v[123:124], v[127:128], v[123:124]
	v_add_f64 v[125:126], v[129:130], v[125:126]
	s_waitcnt vmcnt(4)
	v_fma_f64 v[1:2], v[1:2], v[176:177], -v[135:136]
	v_fma_f64 v[3:4], v[3:4], v[176:177], v[133:134]
	v_add_f64 v[5:6], v[123:124], v[5:6]
	v_add_f64 v[7:8], v[125:126], v[7:8]
	;; [unrolled: 1-line block ×4, first 2 shown]
	s_waitcnt vmcnt(2)
	v_add_f64 v[1:2], v[150:151], -v[1:2]
	s_waitcnt vmcnt(0)
	v_add_f64 v[3:4], v[192:193], -v[3:4]
	buffer_store_dword v2, off, s[0:3], 0 offset:404
	buffer_store_dword v1, off, s[0:3], 0 offset:400
	;; [unrolled: 1-line block ×4, first 2 shown]
	v_cmpx_lt_u32_e32 23, v0
	s_cbranch_execz .LBB120_309
; %bb.308:
	v_mov_b32_e32 v4, s46
	v_mov_b32_e32 v5, 0
	s_clause 0x3
	buffer_load_dword v1, v4, s[0:3], 0 offen
	buffer_load_dword v2, v4, s[0:3], 0 offen offset:4
	buffer_load_dword v3, v4, s[0:3], 0 offen offset:8
	buffer_load_dword v4, v4, s[0:3], 0 offen offset:12
	buffer_store_dword v5, off, s[0:3], 0 offset:384
	buffer_store_dword v5, off, s[0:3], 0 offset:388
	;; [unrolled: 1-line block ×4, first 2 shown]
	s_waitcnt vmcnt(0)
	ds_write_b128 v183, v[1:4]
.LBB120_309:
	s_or_b32 exec_lo, exec_lo, s4
	s_waitcnt lgkmcnt(0)
	s_waitcnt_vscnt null, 0x0
	s_barrier
	buffer_gl0_inv
	s_clause 0x37
	buffer_load_dword v123, off, s[0:3], 0 offset:408
	buffer_load_dword v124, off, s[0:3], 0 offset:412
	;; [unrolled: 1-line block ×56, first 2 shown]
	v_mov_b32_e32 v165, 0
	s_mov_b32 s4, exec_lo
	ds_read_b128 v[153:156], v165 offset:1296
	s_clause 0x2
	buffer_load_dword v185, off, s[0:3], 0 offset:636
	buffer_load_dword v189, off, s[0:3], 0 offset:612
	buffer_load_dword v188, off, s[0:3], 0 offset:608
	ds_read_b128 v[157:160], v165 offset:1312
	s_clause 0x4
	buffer_load_dword v193, off, s[0:3], 0 offset:652
	buffer_load_dword v194, off, s[0:3], 0 offset:664
	;; [unrolled: 1-line block ×5, first 2 shown]
	ds_read_b128 v[161:164], v165 offset:1328
	s_clause 0x2
	buffer_load_dword v195, off, s[0:3], 0 offset:668
	buffer_load_dword v200, off, s[0:3], 0 offset:644
	;; [unrolled: 1-line block ×3, first 2 shown]
	s_waitcnt vmcnt(62) lgkmcnt(2)
	v_mul_f64 v[190:191], v[155:156], v[123:124]
	v_mul_f64 v[123:124], v[153:154], v[123:124]
	s_waitcnt lgkmcnt(1)
	v_mul_f64 v[197:198], v[159:160], v[5:6]
	s_waitcnt vmcnt(59) lgkmcnt(0)
	v_mul_f64 v[201:202], v[163:164], v[3:4]
	v_fma_f64 v[153:154], v[153:154], v[7:8], -v[190:191]
	v_mul_f64 v[190:191], v[157:158], v[5:6]
	v_fma_f64 v[123:124], v[155:156], v[7:8], v[123:124]
	s_waitcnt vmcnt(57)
	v_fma_f64 v[157:158], v[157:158], v[1:2], -v[197:198]
	ds_read_b128 v[5:8], v165 offset:1344
	v_mul_f64 v[155:156], v[161:162], v[3:4]
	s_waitcnt vmcnt(51)
	v_fma_f64 v[161:162], v[161:162], v[139:140], -v[201:202]
	v_add_f64 v[153:154], v[153:154], 0
	v_fma_f64 v[159:160], v[159:160], v[1:2], v[190:191]
	v_add_f64 v[123:124], v[123:124], 0
	s_clause 0x4
	buffer_load_dword v191, off, s[0:3], 0 offset:684
	buffer_load_dword v203, off, s[0:3], 0 offset:696
	;; [unrolled: 1-line block ×5, first 2 shown]
	s_waitcnt lgkmcnt(0)
	v_mul_f64 v[206:207], v[5:6], v[127:128]
	v_mul_f64 v[127:128], v[7:8], v[127:128]
	ds_read_b128 v[1:4], v165 offset:1360
	v_fma_f64 v[139:140], v[163:164], v[139:140], v[155:156]
	v_add_f64 v[157:158], v[153:154], v[157:158]
	v_add_f64 v[123:124], v[123:124], v[159:160]
	s_clause 0x2
	buffer_load_dword v204, off, s[0:3], 0 offset:700
	buffer_load_dword v160, off, s[0:3], 0 offset:676
	;; [unrolled: 1-line block ×3, first 2 shown]
	s_waitcnt vmcnt(58) lgkmcnt(0)
	v_mul_f64 v[163:164], v[1:2], v[131:132]
	v_mul_f64 v[131:132], v[3:4], v[131:132]
	s_waitcnt vmcnt(56)
	v_fma_f64 v[127:128], v[5:6], v[133:134], -v[127:128]
	ds_read_b128 v[153:156], v165 offset:1376
	v_fma_f64 v[133:134], v[7:8], v[133:134], v[206:207]
	v_add_f64 v[157:158], v[157:158], v[161:162]
	v_add_f64 v[123:124], v[123:124], v[139:140]
	s_clause 0x4
	buffer_load_dword v140, off, s[0:3], 0 offset:716
	buffer_load_dword v161, off, s[0:3], 0 offset:728
	;; [unrolled: 1-line block ×5, first 2 shown]
	ds_read_b128 v[5:8], v165 offset:1392
	s_waitcnt vmcnt(57) lgkmcnt(1)
	v_mul_f64 v[207:208], v[153:154], v[135:136]
	v_mul_f64 v[135:136], v[155:156], v[135:136]
	s_waitcnt vmcnt(56)
	v_fma_f64 v[131:132], v[1:2], v[125:126], -v[131:132]
	v_fma_f64 v[125:126], v[3:4], v[125:126], v[163:164]
	v_add_f64 v[127:128], v[157:158], v[127:128]
	v_add_f64 v[123:124], v[123:124], v[133:134]
	s_clause 0x2
	buffer_load_dword v162, off, s[0:3], 0 offset:732
	buffer_load_dword v134, off, s[0:3], 0 offset:708
	;; [unrolled: 1-line block ×3, first 2 shown]
	s_waitcnt vmcnt(58) lgkmcnt(0)
	v_mul_f64 v[157:158], v[5:6], v[141:142]
	v_mul_f64 v[141:142], v[7:8], v[141:142]
	s_waitcnt vmcnt(56)
	v_fma_f64 v[135:136], v[153:154], v[143:144], -v[135:136]
	ds_read_b128 v[1:4], v165 offset:1408
	v_add_f64 v[127:128], v[127:128], v[131:132]
	v_fma_f64 v[131:132], v[155:156], v[143:144], v[207:208]
	v_add_f64 v[143:144], v[123:124], v[125:126]
	s_clause 0x4
	buffer_load_dword v154, off, s[0:3], 0 offset:748
	buffer_load_dword v155, off, s[0:3], 0 offset:760
	;; [unrolled: 1-line block ×5, first 2 shown]
	ds_read_b128 v[123:126], v165 offset:1424
	s_waitcnt vmcnt(57) lgkmcnt(1)
	v_mul_f64 v[207:208], v[1:2], v[145:146]
	v_mul_f64 v[145:146], v[3:4], v[145:146]
	s_waitcnt vmcnt(56)
	v_fma_f64 v[141:142], v[5:6], v[129:130], -v[141:142]
	v_fma_f64 v[129:130], v[7:8], v[129:130], v[157:158]
	v_add_f64 v[127:128], v[127:128], v[135:136]
	s_clause 0x2
	buffer_load_dword v156, off, s[0:3], 0 offset:764
	buffer_load_dword v136, off, s[0:3], 0 offset:740
	;; [unrolled: 1-line block ×3, first 2 shown]
	v_add_f64 v[131:132], v[143:144], v[131:132]
	s_waitcnt vmcnt(58) lgkmcnt(0)
	v_mul_f64 v[143:144], v[123:124], v[149:150]
	v_mul_f64 v[149:150], v[125:126], v[149:150]
	ds_read_b128 v[5:8], v165 offset:1440
	s_waitcnt vmcnt(56)
	v_fma_f64 v[145:146], v[1:2], v[151:152], -v[145:146]
	v_add_f64 v[127:128], v[127:128], v[141:142]
	v_fma_f64 v[141:142], v[3:4], v[151:152], v[207:208]
	v_add_f64 v[129:130], v[131:132], v[129:130]
	s_clause 0x4
	buffer_load_dword v132, off, s[0:3], 0 offset:780
	buffer_load_dword v151, off, s[0:3], 0 offset:792
	;; [unrolled: 1-line block ×5, first 2 shown]
	s_waitcnt vmcnt(57) lgkmcnt(0)
	v_mul_f64 v[207:208], v[5:6], v[166:167]
	v_mul_f64 v[166:167], v[7:8], v[166:167]
	s_waitcnt vmcnt(56)
	v_fma_f64 v[149:150], v[123:124], v[137:138], -v[149:150]
	ds_read_b128 v[1:4], v165 offset:1456
	v_fma_f64 v[137:138], v[125:126], v[137:138], v[143:144]
	v_add_f64 v[127:128], v[127:128], v[145:146]
	v_add_f64 v[129:130], v[129:130], v[141:142]
	s_clause 0x2
	buffer_load_dword v152, off, s[0:3], 0 offset:796
	buffer_load_dword v142, off, s[0:3], 0 offset:772
	;; [unrolled: 1-line block ×3, first 2 shown]
	ds_read_b128 v[123:126], v165 offset:1472
	s_waitcnt vmcnt(58) lgkmcnt(1)
	v_mul_f64 v[145:146], v[3:4], v[168:169]
	s_waitcnt vmcnt(56)
	v_fma_f64 v[166:167], v[5:6], v[170:171], -v[166:167]
	v_mul_f64 v[143:144], v[1:2], v[168:169]
	v_add_f64 v[127:128], v[127:128], v[149:150]
	v_fma_f64 v[149:150], v[7:8], v[170:171], v[207:208]
	v_add_f64 v[129:130], v[129:130], v[137:138]
	s_clause 0x4
	buffer_load_dword v138, off, s[0:3], 0 offset:812
	buffer_load_dword v168, off, s[0:3], 0 offset:824
	;; [unrolled: 1-line block ×5, first 2 shown]
	s_waitcnt vmcnt(57) lgkmcnt(0)
	v_mul_f64 v[207:208], v[123:124], v[172:173]
	v_mul_f64 v[171:172], v[125:126], v[172:173]
	s_waitcnt vmcnt(56)
	v_fma_f64 v[145:146], v[1:2], v[147:148], -v[145:146]
	ds_read_b128 v[5:8], v165 offset:1488
	v_fma_f64 v[143:144], v[3:4], v[147:148], v[143:144]
	s_clause 0x2
	buffer_load_dword v169, off, s[0:3], 0 offset:828
	buffer_load_dword v148, off, s[0:3], 0 offset:804
	;; [unrolled: 1-line block ×3, first 2 shown]
	ds_read_b128 v[1:4], v165 offset:1504
	v_add_f64 v[127:128], v[127:128], v[166:167]
	v_add_f64 v[129:130], v[129:130], v[149:150]
	s_waitcnt vmcnt(58) lgkmcnt(1)
	v_mul_f64 v[166:167], v[7:8], v[174:175]
	s_waitcnt vmcnt(56)
	v_fma_f64 v[172:173], v[123:124], v[178:179], -v[171:172]
	v_mul_f64 v[149:150], v[5:6], v[174:175]
	v_add_f64 v[127:128], v[127:128], v[145:146]
	v_fma_f64 v[145:146], v[125:126], v[178:179], v[207:208]
	v_add_f64 v[129:130], v[129:130], v[143:144]
	s_clause 0x4
	buffer_load_dword v144, off, s[0:3], 0 offset:844
	buffer_load_dword v174, off, s[0:3], 0 offset:856
	;; [unrolled: 1-line block ×5, first 2 shown]
	s_waitcnt vmcnt(57) lgkmcnt(0)
	v_mul_f64 v[207:208], v[1:2], v[180:181]
	v_mul_f64 v[179:180], v[3:4], v[180:181]
	s_waitcnt vmcnt(56)
	v_fma_f64 v[166:167], v[5:6], v[176:177], -v[166:167]
	ds_read_b128 v[123:126], v165 offset:1520
	v_fma_f64 v[149:150], v[7:8], v[176:177], v[149:150]
	v_add_f64 v[127:128], v[127:128], v[172:173]
	v_add_f64 v[129:130], v[129:130], v[145:146]
	s_clause 0x2
	buffer_load_dword v175, off, s[0:3], 0 offset:860
	buffer_load_dword v146, off, s[0:3], 0 offset:836
	;; [unrolled: 1-line block ×3, first 2 shown]
	ds_read_b128 v[5:8], v165 offset:1536
	s_waitcnt vmcnt(58) lgkmcnt(1)
	v_mul_f64 v[176:177], v[125:126], v[184:185]
	s_waitcnt vmcnt(56)
	v_fma_f64 v[180:181], v[1:2], v[188:189], -v[179:180]
	v_mul_f64 v[172:173], v[123:124], v[184:185]
	v_add_f64 v[127:128], v[127:128], v[166:167]
	v_fma_f64 v[166:167], v[3:4], v[188:189], v[207:208]
	v_add_f64 v[129:130], v[129:130], v[149:150]
	s_clause 0x4
	buffer_load_dword v150, off, s[0:3], 0 offset:876
	buffer_load_dword v184, off, s[0:3], 0 offset:888
	;; [unrolled: 1-line block ×5, first 2 shown]
	s_waitcnt vmcnt(57) lgkmcnt(0)
	v_mul_f64 v[207:208], v[5:6], v[192:193]
	v_mul_f64 v[192:193], v[7:8], v[192:193]
	s_waitcnt vmcnt(56)
	v_fma_f64 v[176:177], v[123:124], v[186:187], -v[176:177]
	ds_read_b128 v[1:4], v165 offset:1552
	v_fma_f64 v[172:173], v[125:126], v[186:187], v[172:173]
	v_add_f64 v[127:128], v[127:128], v[180:181]
	v_add_f64 v[129:130], v[129:130], v[166:167]
	s_clause 0x2
	buffer_load_dword v185, off, s[0:3], 0 offset:892
	buffer_load_dword v167, off, s[0:3], 0 offset:868
	;; [unrolled: 1-line block ×3, first 2 shown]
	ds_read_b128 v[123:126], v165 offset:1568
	s_waitcnt vmcnt(58) lgkmcnt(1)
	v_mul_f64 v[186:187], v[3:4], v[194:195]
	s_waitcnt vmcnt(56)
	v_fma_f64 v[192:193], v[5:6], v[199:200], -v[192:193]
	v_mul_f64 v[180:181], v[1:2], v[194:195]
	v_add_f64 v[127:128], v[127:128], v[176:177]
	v_fma_f64 v[176:177], v[7:8], v[199:200], v[207:208]
	v_add_f64 v[129:130], v[129:130], v[172:173]
	s_clause 0x4
	buffer_load_dword v173, off, s[0:3], 0 offset:908
	buffer_load_dword v194, off, s[0:3], 0 offset:920
	;; [unrolled: 1-line block ×5, first 2 shown]
	ds_read_b128 v[5:8], v165 offset:1584
	s_waitcnt vmcnt(57) lgkmcnt(1)
	v_mul_f64 v[199:200], v[123:124], v[190:191]
	v_mul_f64 v[190:191], v[125:126], v[190:191]
	s_waitcnt vmcnt(56)
	v_fma_f64 v[186:187], v[1:2], v[196:197], -v[186:187]
	v_fma_f64 v[180:181], v[3:4], v[196:197], v[180:181]
	v_add_f64 v[127:128], v[127:128], v[192:193]
	v_add_f64 v[129:130], v[129:130], v[176:177]
	s_clause 0x2
	buffer_load_dword v195, off, s[0:3], 0 offset:924
	buffer_load_dword v177, off, s[0:3], 0 offset:900
	;; [unrolled: 1-line block ×3, first 2 shown]
	ds_read_b128 v[1:4], v165 offset:1600
	s_waitcnt vmcnt(58) lgkmcnt(1)
	v_mul_f64 v[196:197], v[7:8], v[203:204]
	v_mul_f64 v[192:193], v[5:6], v[203:204]
	s_waitcnt vmcnt(56)
	v_fma_f64 v[190:191], v[123:124], v[159:160], -v[190:191]
	v_fma_f64 v[159:160], v[125:126], v[159:160], v[199:200]
	buffer_load_dword v199, off, s[0:3], 0 offset:916
	ds_read_b128 v[123:126], v165 offset:1616
	v_add_f64 v[127:128], v[127:128], v[186:187]
	v_add_f64 v[129:130], v[129:130], v[180:181]
	s_waitcnt vmcnt(53) lgkmcnt(1)
	v_mul_f64 v[180:181], v[1:2], v[139:140]
	v_mul_f64 v[139:140], v[3:4], v[139:140]
	s_waitcnt vmcnt(52)
	v_fma_f64 v[186:187], v[5:6], v[205:206], -v[196:197]
	v_add_f64 v[127:128], v[127:128], v[190:191]
	v_fma_f64 v[190:191], v[7:8], v[205:206], v[192:193]
	v_add_f64 v[129:130], v[129:130], v[159:160]
	ds_read_b128 v[5:8], v165 offset:1632
	s_waitcnt vmcnt(51) lgkmcnt(1)
	v_mul_f64 v[159:160], v[123:124], v[161:162]
	v_mul_f64 v[161:162], v[125:126], v[161:162]
	s_waitcnt vmcnt(49)
	v_fma_f64 v[139:140], v[1:2], v[133:134], -v[139:140]
	v_fma_f64 v[133:134], v[3:4], v[133:134], v[180:181]
	v_add_f64 v[127:128], v[127:128], v[186:187]
	s_clause 0x3
	buffer_load_dword v180, off, s[0:3], 0 offset:384
	buffer_load_dword v181, off, s[0:3], 0 offset:388
	;; [unrolled: 1-line block ×4, first 2 shown]
	v_add_f64 v[129:130], v[129:130], v[190:191]
	ds_read_b128 v[1:4], v165 offset:1648
	s_waitcnt vmcnt(49) lgkmcnt(1)
	v_mul_f64 v[190:191], v[5:6], v[153:154]
	v_mul_f64 v[153:154], v[7:8], v[153:154]
	s_waitcnt vmcnt(48)
	v_fma_f64 v[161:162], v[123:124], v[201:202], -v[161:162]
	v_add_f64 v[127:128], v[127:128], v[139:140]
	v_fma_f64 v[139:140], v[125:126], v[201:202], v[159:160]
	v_add_f64 v[129:130], v[129:130], v[133:134]
	ds_read_b128 v[123:126], v165 offset:1664
	s_waitcnt vmcnt(47) lgkmcnt(1)
	v_mul_f64 v[133:134], v[1:2], v[155:156]
	v_mul_f64 v[155:156], v[3:4], v[155:156]
	s_waitcnt vmcnt(45)
	v_fma_f64 v[153:154], v[5:6], v[135:136], -v[153:154]
	v_fma_f64 v[135:136], v[7:8], v[135:136], v[190:191]
	ds_read_b128 v[5:8], v165 offset:1680
	v_add_f64 v[127:128], v[127:128], v[161:162]
	v_add_f64 v[129:130], v[129:130], v[139:140]
	s_waitcnt vmcnt(41) lgkmcnt(1)
	v_mul_f64 v[139:140], v[123:124], v[131:132]
	v_mul_f64 v[131:132], v[125:126], v[131:132]
	s_waitcnt vmcnt(40)
	v_fma_f64 v[155:156], v[1:2], v[163:164], -v[155:156]
	v_fma_f64 v[133:134], v[3:4], v[163:164], v[133:134]
	ds_read_b128 v[1:4], v165 offset:1696
	v_add_f64 v[127:128], v[127:128], v[153:154]
	v_add_f64 v[129:130], v[129:130], v[135:136]
	;; [unrolled: 9-line block ×3, first 2 shown]
	s_waitcnt vmcnt(33) lgkmcnt(1)
	v_mul_f64 v[133:134], v[1:2], v[137:138]
	v_mul_f64 v[137:138], v[3:4], v[137:138]
	s_waitcnt vmcnt(32)
	v_fma_f64 v[141:142], v[5:6], v[157:158], -v[151:152]
	v_add_f64 v[127:128], v[127:128], v[131:132]
	v_fma_f64 v[131:132], v[7:8], v[157:158], v[135:136]
	v_add_f64 v[129:130], v[129:130], v[139:140]
	ds_read_b128 v[5:8], v165 offset:1728
	s_waitcnt vmcnt(31) lgkmcnt(1)
	v_mul_f64 v[139:140], v[125:126], v[168:169]
	v_mul_f64 v[135:136], v[123:124], v[168:169]
	s_waitcnt vmcnt(29)
	v_fma_f64 v[133:134], v[3:4], v[147:148], v[133:134]
	v_fma_f64 v[137:138], v[1:2], v[147:148], -v[137:138]
	ds_read_b128 v[1:4], v165 offset:1744
	v_add_f64 v[127:128], v[127:128], v[141:142]
	v_add_f64 v[129:130], v[129:130], v[131:132]
	s_waitcnt vmcnt(25) lgkmcnt(1)
	v_mul_f64 v[141:142], v[7:8], v[143:144]
	s_waitcnt vmcnt(24)
	v_fma_f64 v[139:140], v[123:124], v[170:171], -v[139:140]
	v_mul_f64 v[131:132], v[5:6], v[143:144]
	v_fma_f64 v[135:136], v[125:126], v[170:171], v[135:136]
	ds_read_b128 v[123:126], v165 offset:1760
	v_add_f64 v[127:128], v[127:128], v[137:138]
	v_add_f64 v[129:130], v[129:130], v[133:134]
	s_waitcnt vmcnt(23) lgkmcnt(1)
	v_mul_f64 v[137:138], v[3:4], v[174:175]
	v_mul_f64 v[133:134], v[1:2], v[174:175]
	s_waitcnt vmcnt(21)
	v_fma_f64 v[141:142], v[5:6], v[145:146], -v[141:142]
	v_fma_f64 v[131:132], v[7:8], v[145:146], v[131:132]
	ds_read_b128 v[5:8], v165 offset:1776
	v_add_f64 v[127:128], v[127:128], v[139:140]
	v_add_f64 v[129:130], v[129:130], v[135:136]
	s_waitcnt vmcnt(17) lgkmcnt(1)
	v_mul_f64 v[139:140], v[125:126], v[149:150]
	s_waitcnt vmcnt(16)
	v_fma_f64 v[137:138], v[1:2], v[178:179], -v[137:138]
	v_mul_f64 v[135:136], v[123:124], v[149:150]
	v_fma_f64 v[133:134], v[3:4], v[178:179], v[133:134]
	ds_read_b128 v[1:4], v165 offset:1792
	v_add_f64 v[127:128], v[127:128], v[141:142]
	v_add_f64 v[129:130], v[129:130], v[131:132]
	s_waitcnt vmcnt(15) lgkmcnt(1)
	v_mul_f64 v[141:142], v[7:8], v[184:185]
	v_mul_f64 v[131:132], v[5:6], v[184:185]
	s_waitcnt vmcnt(13)
	v_fma_f64 v[139:140], v[123:124], v[166:167], -v[139:140]
	v_fma_f64 v[135:136], v[125:126], v[166:167], v[135:136]
	ds_read_b128 v[123:126], v165 offset:1808
	v_add_f64 v[127:128], v[127:128], v[137:138]
	v_add_f64 v[129:130], v[129:130], v[133:134]
	s_waitcnt vmcnt(9) lgkmcnt(1)
	v_mul_f64 v[137:138], v[3:4], v[172:173]
	s_waitcnt vmcnt(8)
	v_fma_f64 v[5:6], v[5:6], v[188:189], -v[141:142]
	v_mul_f64 v[133:134], v[1:2], v[172:173]
	v_fma_f64 v[7:8], v[7:8], v[188:189], v[131:132]
	v_add_f64 v[127:128], v[127:128], v[139:140]
	v_add_f64 v[129:130], v[129:130], v[135:136]
	s_waitcnt vmcnt(7) lgkmcnt(0)
	v_mul_f64 v[135:136], v[125:126], v[194:195]
	v_mul_f64 v[131:132], v[123:124], v[194:195]
	s_waitcnt vmcnt(5)
	v_fma_f64 v[1:2], v[1:2], v[176:177], -v[137:138]
	v_fma_f64 v[3:4], v[3:4], v[176:177], v[133:134]
	v_add_f64 v[5:6], v[127:128], v[5:6]
	v_add_f64 v[7:8], v[129:130], v[7:8]
	s_waitcnt vmcnt(4)
	v_fma_f64 v[123:124], v[123:124], v[198:199], -v[135:136]
	v_add_f64 v[1:2], v[5:6], v[1:2]
	v_fma_f64 v[5:6], v[125:126], v[198:199], v[131:132]
	v_add_f64 v[3:4], v[7:8], v[3:4]
	v_add_f64 v[1:2], v[1:2], v[123:124]
	;; [unrolled: 1-line block ×3, first 2 shown]
	s_waitcnt vmcnt(2)
	v_add_f64 v[1:2], v[180:181], -v[1:2]
	s_waitcnt vmcnt(0)
	v_add_f64 v[3:4], v[186:187], -v[3:4]
	buffer_store_dword v2, off, s[0:3], 0 offset:388
	buffer_store_dword v1, off, s[0:3], 0 offset:384
	;; [unrolled: 1-line block ×4, first 2 shown]
	v_cmpx_lt_u32_e32 22, v0
	s_cbranch_execz .LBB120_311
; %bb.310:
	v_mov_b32_e32 v4, s47
	s_clause 0x3
	buffer_load_dword v1, v4, s[0:3], 0 offen
	buffer_load_dword v2, v4, s[0:3], 0 offen offset:4
	buffer_load_dword v3, v4, s[0:3], 0 offen offset:8
	;; [unrolled: 1-line block ×3, first 2 shown]
	buffer_store_dword v165, off, s[0:3], 0 offset:368
	buffer_store_dword v165, off, s[0:3], 0 offset:372
	;; [unrolled: 1-line block ×4, first 2 shown]
	s_waitcnt vmcnt(0)
	ds_write_b128 v183, v[1:4]
.LBB120_311:
	s_or_b32 exec_lo, exec_lo, s4
	s_waitcnt lgkmcnt(0)
	s_waitcnt_vscnt null, 0x0
	s_barrier
	buffer_gl0_inv
	s_clause 0x37
	buffer_load_dword v123, off, s[0:3], 0 offset:392
	buffer_load_dword v124, off, s[0:3], 0 offset:396
	buffer_load_dword v5, off, s[0:3], 0 offset:408
	buffer_load_dword v6, off, s[0:3], 0 offset:412
	buffer_load_dword v7, off, s[0:3], 0 offset:384
	buffer_load_dword v8, off, s[0:3], 0 offset:388
	buffer_load_dword v3, off, s[0:3], 0 offset:424
	buffer_load_dword v4, off, s[0:3], 0 offset:428
	buffer_load_dword v1, off, s[0:3], 0 offset:400
	buffer_load_dword v2, off, s[0:3], 0 offset:404
	buffer_load_dword v128, off, s[0:3], 0 offset:444
	buffer_load_dword v131, off, s[0:3], 0 offset:456
	buffer_load_dword v125, off, s[0:3], 0 offset:448
	buffer_load_dword v127, off, s[0:3], 0 offset:440
	buffer_load_dword v139, off, s[0:3], 0 offset:416
	buffer_load_dword v140, off, s[0:3], 0 offset:420
	buffer_load_dword v132, off, s[0:3], 0 offset:460
	buffer_load_dword v134, off, s[0:3], 0 offset:436
	buffer_load_dword v133, off, s[0:3], 0 offset:432
	buffer_load_dword v136, off, s[0:3], 0 offset:476
	buffer_load_dword v141, off, s[0:3], 0 offset:488
	buffer_load_dword v129, off, s[0:3], 0 offset:480
	buffer_load_dword v135, off, s[0:3], 0 offset:472
	buffer_load_dword v126, off, s[0:3], 0 offset:452
	buffer_load_dword v142, off, s[0:3], 0 offset:492
	buffer_load_dword v144, off, s[0:3], 0 offset:468
	buffer_load_dword v143, off, s[0:3], 0 offset:464
	buffer_load_dword v146, off, s[0:3], 0 offset:508
	buffer_load_dword v149, off, s[0:3], 0 offset:520
	buffer_load_dword v137, off, s[0:3], 0 offset:512
	buffer_load_dword v145, off, s[0:3], 0 offset:504
	buffer_load_dword v130, off, s[0:3], 0 offset:484
	buffer_load_dword v150, off, s[0:3], 0 offset:524
	buffer_load_dword v152, off, s[0:3], 0 offset:500
	buffer_load_dword v151, off, s[0:3], 0 offset:496
	buffer_load_dword v154, off, s[0:3], 0 offset:540
	buffer_load_dword v157, off, s[0:3], 0 offset:552
	buffer_load_dword v147, off, s[0:3], 0 offset:544
	buffer_load_dword v153, off, s[0:3], 0 offset:536
	buffer_load_dword v138, off, s[0:3], 0 offset:516
	buffer_load_dword v158, off, s[0:3], 0 offset:556
	buffer_load_dword v160, off, s[0:3], 0 offset:532
	buffer_load_dword v159, off, s[0:3], 0 offset:528
	buffer_load_dword v162, off, s[0:3], 0 offset:572
	buffer_load_dword v178, off, s[0:3], 0 offset:584
	buffer_load_dword v155, off, s[0:3], 0 offset:576
	buffer_load_dword v161, off, s[0:3], 0 offset:568
	buffer_load_dword v148, off, s[0:3], 0 offset:548
	buffer_load_dword v179, off, s[0:3], 0 offset:588
	buffer_load_dword v181, off, s[0:3], 0 offset:564
	buffer_load_dword v180, off, s[0:3], 0 offset:560
	buffer_load_dword v185, off, s[0:3], 0 offset:604
	buffer_load_dword v186, off, s[0:3], 0 offset:616
	buffer_load_dword v163, off, s[0:3], 0 offset:608
	buffer_load_dword v184, off, s[0:3], 0 offset:600
	buffer_load_dword v156, off, s[0:3], 0 offset:580
	ds_read_b128 v[166:169], v165 offset:1280
	s_clause 0x2
	buffer_load_dword v187, off, s[0:3], 0 offset:620
	buffer_load_dword v189, off, s[0:3], 0 offset:596
	;; [unrolled: 1-line block ×3, first 2 shown]
	ds_read_b128 v[170:173], v165 offset:1296
	s_clause 0x4
	buffer_load_dword v193, off, s[0:3], 0 offset:636
	buffer_load_dword v194, off, s[0:3], 0 offset:648
	;; [unrolled: 1-line block ×5, first 2 shown]
	ds_read_b128 v[174:177], v165 offset:1312
	s_clause 0x2
	buffer_load_dword v195, off, s[0:3], 0 offset:652
	buffer_load_dword v200, off, s[0:3], 0 offset:628
	;; [unrolled: 1-line block ×3, first 2 shown]
	s_mov_b32 s4, exec_lo
	s_waitcnt vmcnt(62) lgkmcnt(2)
	v_mul_f64 v[190:191], v[168:169], v[123:124]
	v_mul_f64 v[123:124], v[166:167], v[123:124]
	s_waitcnt lgkmcnt(1)
	v_mul_f64 v[197:198], v[172:173], v[5:6]
	s_waitcnt vmcnt(59) lgkmcnt(0)
	v_mul_f64 v[201:202], v[176:177], v[3:4]
	v_fma_f64 v[166:167], v[166:167], v[7:8], -v[190:191]
	v_mul_f64 v[190:191], v[170:171], v[5:6]
	v_fma_f64 v[123:124], v[168:169], v[7:8], v[123:124]
	s_waitcnt vmcnt(57)
	v_fma_f64 v[170:171], v[170:171], v[1:2], -v[197:198]
	ds_read_b128 v[5:8], v165 offset:1328
	v_mul_f64 v[168:169], v[174:175], v[3:4]
	s_waitcnt vmcnt(51)
	v_fma_f64 v[174:175], v[174:175], v[139:140], -v[201:202]
	v_add_f64 v[166:167], v[166:167], 0
	v_fma_f64 v[172:173], v[172:173], v[1:2], v[190:191]
	v_add_f64 v[123:124], v[123:124], 0
	s_clause 0x4
	buffer_load_dword v191, off, s[0:3], 0 offset:668
	buffer_load_dword v203, off, s[0:3], 0 offset:680
	buffer_load_dword v205, off, s[0:3], 0 offset:672
	buffer_load_dword v190, off, s[0:3], 0 offset:664
	buffer_load_dword v197, off, s[0:3], 0 offset:644
	s_waitcnt lgkmcnt(0)
	v_mul_f64 v[206:207], v[5:6], v[127:128]
	v_mul_f64 v[127:128], v[7:8], v[127:128]
	ds_read_b128 v[1:4], v165 offset:1344
	v_fma_f64 v[139:140], v[176:177], v[139:140], v[168:169]
	v_add_f64 v[170:171], v[166:167], v[170:171]
	v_add_f64 v[123:124], v[123:124], v[172:173]
	s_clause 0x2
	buffer_load_dword v204, off, s[0:3], 0 offset:684
	buffer_load_dword v173, off, s[0:3], 0 offset:660
	;; [unrolled: 1-line block ×3, first 2 shown]
	s_waitcnt vmcnt(58) lgkmcnt(0)
	v_mul_f64 v[176:177], v[1:2], v[131:132]
	v_mul_f64 v[131:132], v[3:4], v[131:132]
	s_waitcnt vmcnt(56)
	v_fma_f64 v[127:128], v[5:6], v[133:134], -v[127:128]
	ds_read_b128 v[166:169], v165 offset:1360
	v_fma_f64 v[133:134], v[7:8], v[133:134], v[206:207]
	v_add_f64 v[170:171], v[170:171], v[174:175]
	v_add_f64 v[123:124], v[123:124], v[139:140]
	s_clause 0x4
	buffer_load_dword v140, off, s[0:3], 0 offset:700
	buffer_load_dword v174, off, s[0:3], 0 offset:712
	;; [unrolled: 1-line block ×5, first 2 shown]
	ds_read_b128 v[5:8], v165 offset:1376
	s_waitcnt vmcnt(57) lgkmcnt(1)
	v_mul_f64 v[207:208], v[166:167], v[135:136]
	v_mul_f64 v[135:136], v[168:169], v[135:136]
	s_waitcnt vmcnt(56)
	v_fma_f64 v[131:132], v[1:2], v[125:126], -v[131:132]
	v_fma_f64 v[125:126], v[3:4], v[125:126], v[176:177]
	v_add_f64 v[127:128], v[170:171], v[127:128]
	v_add_f64 v[123:124], v[123:124], v[133:134]
	s_clause 0x2
	buffer_load_dword v175, off, s[0:3], 0 offset:716
	buffer_load_dword v134, off, s[0:3], 0 offset:692
	;; [unrolled: 1-line block ×3, first 2 shown]
	s_waitcnt vmcnt(58) lgkmcnt(0)
	v_mul_f64 v[170:171], v[5:6], v[141:142]
	v_mul_f64 v[141:142], v[7:8], v[141:142]
	s_waitcnt vmcnt(56)
	v_fma_f64 v[135:136], v[166:167], v[143:144], -v[135:136]
	ds_read_b128 v[1:4], v165 offset:1392
	v_add_f64 v[127:128], v[127:128], v[131:132]
	v_fma_f64 v[131:132], v[168:169], v[143:144], v[207:208]
	v_add_f64 v[143:144], v[123:124], v[125:126]
	s_clause 0x4
	buffer_load_dword v167, off, s[0:3], 0 offset:732
	buffer_load_dword v168, off, s[0:3], 0 offset:744
	;; [unrolled: 1-line block ×5, first 2 shown]
	ds_read_b128 v[123:126], v165 offset:1408
	s_waitcnt vmcnt(57) lgkmcnt(1)
	v_mul_f64 v[207:208], v[1:2], v[145:146]
	v_mul_f64 v[145:146], v[3:4], v[145:146]
	s_waitcnt vmcnt(56)
	v_fma_f64 v[141:142], v[5:6], v[129:130], -v[141:142]
	v_fma_f64 v[129:130], v[7:8], v[129:130], v[170:171]
	v_add_f64 v[127:128], v[127:128], v[135:136]
	s_clause 0x2
	buffer_load_dword v169, off, s[0:3], 0 offset:748
	buffer_load_dword v136, off, s[0:3], 0 offset:724
	;; [unrolled: 1-line block ×3, first 2 shown]
	v_add_f64 v[131:132], v[143:144], v[131:132]
	s_waitcnt vmcnt(58) lgkmcnt(0)
	v_mul_f64 v[143:144], v[123:124], v[149:150]
	v_mul_f64 v[149:150], v[125:126], v[149:150]
	ds_read_b128 v[5:8], v165 offset:1424
	s_waitcnt vmcnt(56)
	v_fma_f64 v[145:146], v[1:2], v[151:152], -v[145:146]
	v_add_f64 v[127:128], v[127:128], v[141:142]
	v_fma_f64 v[141:142], v[3:4], v[151:152], v[207:208]
	v_add_f64 v[129:130], v[131:132], v[129:130]
	s_clause 0x4
	buffer_load_dword v132, off, s[0:3], 0 offset:764
	buffer_load_dword v151, off, s[0:3], 0 offset:776
	;; [unrolled: 1-line block ×5, first 2 shown]
	s_waitcnt vmcnt(57) lgkmcnt(0)
	v_mul_f64 v[207:208], v[5:6], v[153:154]
	v_mul_f64 v[153:154], v[7:8], v[153:154]
	s_waitcnt vmcnt(56)
	v_fma_f64 v[149:150], v[123:124], v[137:138], -v[149:150]
	ds_read_b128 v[1:4], v165 offset:1440
	v_fma_f64 v[137:138], v[125:126], v[137:138], v[143:144]
	v_add_f64 v[127:128], v[127:128], v[145:146]
	v_add_f64 v[129:130], v[129:130], v[141:142]
	s_clause 0x2
	buffer_load_dword v152, off, s[0:3], 0 offset:780
	buffer_load_dword v142, off, s[0:3], 0 offset:756
	;; [unrolled: 1-line block ×3, first 2 shown]
	ds_read_b128 v[123:126], v165 offset:1456
	s_waitcnt vmcnt(58) lgkmcnt(1)
	v_mul_f64 v[145:146], v[3:4], v[157:158]
	s_waitcnt vmcnt(56)
	v_fma_f64 v[153:154], v[5:6], v[159:160], -v[153:154]
	v_mul_f64 v[143:144], v[1:2], v[157:158]
	v_add_f64 v[127:128], v[127:128], v[149:150]
	v_fma_f64 v[149:150], v[7:8], v[159:160], v[207:208]
	v_add_f64 v[129:130], v[129:130], v[137:138]
	s_clause 0x4
	buffer_load_dword v138, off, s[0:3], 0 offset:796
	buffer_load_dword v157, off, s[0:3], 0 offset:808
	;; [unrolled: 1-line block ×5, first 2 shown]
	s_waitcnt vmcnt(57) lgkmcnt(0)
	v_mul_f64 v[207:208], v[123:124], v[161:162]
	v_mul_f64 v[160:161], v[125:126], v[161:162]
	s_waitcnt vmcnt(56)
	v_fma_f64 v[145:146], v[1:2], v[147:148], -v[145:146]
	ds_read_b128 v[5:8], v165 offset:1472
	v_fma_f64 v[143:144], v[3:4], v[147:148], v[143:144]
	s_clause 0x2
	buffer_load_dword v158, off, s[0:3], 0 offset:812
	buffer_load_dword v148, off, s[0:3], 0 offset:788
	;; [unrolled: 1-line block ×3, first 2 shown]
	ds_read_b128 v[1:4], v165 offset:1488
	v_add_f64 v[127:128], v[127:128], v[153:154]
	v_add_f64 v[129:130], v[129:130], v[149:150]
	s_waitcnt vmcnt(58) lgkmcnt(1)
	v_mul_f64 v[153:154], v[7:8], v[178:179]
	s_waitcnt vmcnt(56)
	v_fma_f64 v[161:162], v[123:124], v[180:181], -v[160:161]
	v_mul_f64 v[149:150], v[5:6], v[178:179]
	v_add_f64 v[127:128], v[127:128], v[145:146]
	v_fma_f64 v[145:146], v[125:126], v[180:181], v[207:208]
	v_add_f64 v[129:130], v[129:130], v[143:144]
	s_clause 0x4
	buffer_load_dword v144, off, s[0:3], 0 offset:828
	buffer_load_dword v178, off, s[0:3], 0 offset:840
	;; [unrolled: 1-line block ×5, first 2 shown]
	s_waitcnt vmcnt(57) lgkmcnt(0)
	v_mul_f64 v[181:182], v[1:2], v[184:185]
	v_mul_f64 v[184:185], v[3:4], v[184:185]
	s_waitcnt vmcnt(56)
	v_fma_f64 v[153:154], v[5:6], v[155:156], -v[153:154]
	ds_read_b128 v[123:126], v165 offset:1504
	v_fma_f64 v[149:150], v[7:8], v[155:156], v[149:150]
	v_add_f64 v[127:128], v[127:128], v[161:162]
	v_add_f64 v[129:130], v[129:130], v[145:146]
	s_clause 0x2
	buffer_load_dword v179, off, s[0:3], 0 offset:844
	buffer_load_dword v146, off, s[0:3], 0 offset:820
	;; [unrolled: 1-line block ×3, first 2 shown]
	ds_read_b128 v[5:8], v165 offset:1520
	s_waitcnt vmcnt(58) lgkmcnt(1)
	v_mul_f64 v[161:162], v[125:126], v[186:187]
	s_waitcnt vmcnt(56)
	v_fma_f64 v[184:185], v[1:2], v[188:189], -v[184:185]
	v_mul_f64 v[155:156], v[123:124], v[186:187]
	v_add_f64 v[127:128], v[127:128], v[153:154]
	v_fma_f64 v[153:154], v[3:4], v[188:189], v[181:182]
	v_add_f64 v[129:130], v[129:130], v[149:150]
	s_clause 0x4
	buffer_load_dword v150, off, s[0:3], 0 offset:860
	buffer_load_dword v186, off, s[0:3], 0 offset:872
	;; [unrolled: 1-line block ×5, first 2 shown]
	s_waitcnt vmcnt(57) lgkmcnt(0)
	v_mul_f64 v[207:208], v[5:6], v[192:193]
	v_mul_f64 v[192:193], v[7:8], v[192:193]
	s_waitcnt vmcnt(56)
	v_fma_f64 v[161:162], v[123:124], v[163:164], -v[161:162]
	ds_read_b128 v[1:4], v165 offset:1536
	v_fma_f64 v[155:156], v[125:126], v[163:164], v[155:156]
	v_add_f64 v[127:128], v[127:128], v[184:185]
	v_add_f64 v[129:130], v[129:130], v[153:154]
	s_clause 0x2
	buffer_load_dword v187, off, s[0:3], 0 offset:876
	buffer_load_dword v154, off, s[0:3], 0 offset:852
	;; [unrolled: 1-line block ×3, first 2 shown]
	ds_read_b128 v[123:126], v165 offset:1552
	s_waitcnt vmcnt(58) lgkmcnt(1)
	v_mul_f64 v[184:185], v[3:4], v[194:195]
	s_waitcnt vmcnt(56)
	v_fma_f64 v[192:193], v[5:6], v[199:200], -v[192:193]
	v_mul_f64 v[163:164], v[1:2], v[194:195]
	v_add_f64 v[127:128], v[127:128], v[161:162]
	v_fma_f64 v[161:162], v[7:8], v[199:200], v[207:208]
	v_add_f64 v[129:130], v[129:130], v[155:156]
	s_clause 0x4
	buffer_load_dword v156, off, s[0:3], 0 offset:892
	buffer_load_dword v194, off, s[0:3], 0 offset:904
	;; [unrolled: 1-line block ×5, first 2 shown]
	ds_read_b128 v[5:8], v165 offset:1568
	s_waitcnt vmcnt(57) lgkmcnt(1)
	v_mul_f64 v[199:200], v[123:124], v[190:191]
	v_mul_f64 v[190:191], v[125:126], v[190:191]
	s_waitcnt vmcnt(56)
	v_fma_f64 v[184:185], v[1:2], v[196:197], -v[184:185]
	v_fma_f64 v[163:164], v[3:4], v[196:197], v[163:164]
	v_add_f64 v[127:128], v[127:128], v[192:193]
	v_add_f64 v[129:130], v[129:130], v[161:162]
	s_clause 0x2
	buffer_load_dword v195, off, s[0:3], 0 offset:908
	buffer_load_dword v162, off, s[0:3], 0 offset:884
	;; [unrolled: 1-line block ×3, first 2 shown]
	ds_read_b128 v[1:4], v165 offset:1584
	s_waitcnt vmcnt(58) lgkmcnt(1)
	v_mul_f64 v[196:197], v[7:8], v[203:204]
	v_mul_f64 v[192:193], v[5:6], v[203:204]
	s_waitcnt vmcnt(56)
	v_fma_f64 v[190:191], v[123:124], v[172:173], -v[190:191]
	v_fma_f64 v[172:173], v[125:126], v[172:173], v[199:200]
	v_add_f64 v[127:128], v[127:128], v[184:185]
	v_add_f64 v[129:130], v[129:130], v[163:164]
	s_clause 0x2
	buffer_load_dword v164, off, s[0:3], 0 offset:924
	buffer_load_dword v163, off, s[0:3], 0 offset:920
	;; [unrolled: 1-line block ×3, first 2 shown]
	ds_read_b128 v[123:126], v165 offset:1600
	s_waitcnt vmcnt(55) lgkmcnt(1)
	v_mul_f64 v[184:185], v[1:2], v[139:140]
	v_mul_f64 v[139:140], v[3:4], v[139:140]
	s_waitcnt vmcnt(54)
	v_fma_f64 v[196:197], v[5:6], v[205:206], -v[196:197]
	v_add_f64 v[127:128], v[127:128], v[190:191]
	v_fma_f64 v[190:191], v[7:8], v[205:206], v[192:193]
	v_add_f64 v[129:130], v[129:130], v[172:173]
	s_clause 0x1
	buffer_load_dword v173, off, s[0:3], 0 offset:916
	buffer_load_dword v172, off, s[0:3], 0 offset:912
	ds_read_b128 v[5:8], v165 offset:1616
	s_waitcnt vmcnt(55) lgkmcnt(1)
	v_mul_f64 v[192:193], v[123:124], v[174:175]
	v_mul_f64 v[174:175], v[125:126], v[174:175]
	s_waitcnt vmcnt(53)
	v_fma_f64 v[139:140], v[1:2], v[133:134], -v[139:140]
	v_fma_f64 v[133:134], v[3:4], v[133:134], v[184:185]
	ds_read_b128 v[1:4], v165 offset:1632
	v_add_f64 v[127:128], v[127:128], v[196:197]
	v_add_f64 v[129:130], v[129:130], v[190:191]
	s_waitcnt vmcnt(49) lgkmcnt(1)
	v_mul_f64 v[184:185], v[5:6], v[166:167]
	v_mul_f64 v[166:167], v[7:8], v[166:167]
	s_waitcnt vmcnt(48)
	v_fma_f64 v[174:175], v[123:124], v[201:202], -v[174:175]
	v_add_f64 v[127:128], v[127:128], v[139:140]
	v_fma_f64 v[139:140], v[125:126], v[201:202], v[192:193]
	v_add_f64 v[129:130], v[129:130], v[133:134]
	s_clause 0x3
	buffer_load_dword v133, off, s[0:3], 0 offset:368
	buffer_load_dword v134, off, s[0:3], 0 offset:372
	;; [unrolled: 1-line block ×4, first 2 shown]
	ds_read_b128 v[123:126], v165 offset:1648
	s_waitcnt vmcnt(51) lgkmcnt(1)
	v_mul_f64 v[192:193], v[1:2], v[168:169]
	v_mul_f64 v[168:169], v[3:4], v[168:169]
	s_waitcnt vmcnt(49)
	v_fma_f64 v[166:167], v[5:6], v[135:136], -v[166:167]
	v_fma_f64 v[135:136], v[7:8], v[135:136], v[184:185]
	ds_read_b128 v[5:8], v165 offset:1664
	v_add_f64 v[127:128], v[127:128], v[174:175]
	v_add_f64 v[129:130], v[129:130], v[139:140]
	s_waitcnt vmcnt(45) lgkmcnt(1)
	v_mul_f64 v[139:140], v[123:124], v[131:132]
	v_mul_f64 v[131:132], v[125:126], v[131:132]
	s_waitcnt vmcnt(44)
	v_fma_f64 v[168:169], v[1:2], v[176:177], -v[168:169]
	v_add_f64 v[127:128], v[127:128], v[166:167]
	v_fma_f64 v[166:167], v[3:4], v[176:177], v[192:193]
	v_add_f64 v[129:130], v[129:130], v[135:136]
	ds_read_b128 v[1:4], v165 offset:1680
	s_waitcnt vmcnt(43) lgkmcnt(1)
	v_mul_f64 v[135:136], v[5:6], v[151:152]
	v_mul_f64 v[151:152], v[7:8], v[151:152]
	s_waitcnt vmcnt(41)
	v_fma_f64 v[131:132], v[123:124], v[141:142], -v[131:132]
	v_fma_f64 v[139:140], v[125:126], v[141:142], v[139:140]
	ds_read_b128 v[123:126], v165 offset:1696
	v_add_f64 v[127:128], v[127:128], v[168:169]
	v_add_f64 v[129:130], v[129:130], v[166:167]
	s_waitcnt vmcnt(37) lgkmcnt(1)
	v_mul_f64 v[141:142], v[1:2], v[137:138]
	v_mul_f64 v[137:138], v[3:4], v[137:138]
	s_waitcnt vmcnt(36)
	v_fma_f64 v[151:152], v[5:6], v[170:171], -v[151:152]
	v_add_f64 v[127:128], v[127:128], v[131:132]
	v_fma_f64 v[131:132], v[7:8], v[170:171], v[135:136]
	v_add_f64 v[129:130], v[129:130], v[139:140]
	s_waitcnt vmcnt(35) lgkmcnt(0)
	v_mul_f64 v[139:140], v[125:126], v[157:158]
	ds_read_b128 v[5:8], v165 offset:1712
	v_mul_f64 v[135:136], v[123:124], v[157:158]
	s_waitcnt vmcnt(33)
	v_fma_f64 v[141:142], v[3:4], v[147:148], v[141:142]
	v_fma_f64 v[137:138], v[1:2], v[147:148], -v[137:138]
	ds_read_b128 v[1:4], v165 offset:1728
	v_add_f64 v[127:128], v[127:128], v[151:152]
	v_add_f64 v[129:130], v[129:130], v[131:132]
	s_waitcnt vmcnt(29) lgkmcnt(1)
	v_mul_f64 v[131:132], v[5:6], v[143:144]
	v_mul_f64 v[143:144], v[7:8], v[143:144]
	s_waitcnt vmcnt(28)
	v_fma_f64 v[139:140], v[123:124], v[159:160], -v[139:140]
	v_fma_f64 v[135:136], v[125:126], v[159:160], v[135:136]
	ds_read_b128 v[123:126], v165 offset:1744
	v_add_f64 v[127:128], v[127:128], v[137:138]
	v_add_f64 v[129:130], v[129:130], v[141:142]
	s_waitcnt vmcnt(27) lgkmcnt(1)
	v_mul_f64 v[141:142], v[3:4], v[178:179]
	v_mul_f64 v[137:138], v[1:2], v[178:179]
	s_waitcnt vmcnt(25)
	v_fma_f64 v[143:144], v[5:6], v[145:146], -v[143:144]
	v_fma_f64 v[131:132], v[7:8], v[145:146], v[131:132]
	ds_read_b128 v[5:8], v165 offset:1760
	v_add_f64 v[127:128], v[127:128], v[139:140]
	v_add_f64 v[129:130], v[129:130], v[135:136]
	s_waitcnt vmcnt(21) lgkmcnt(1)
	v_mul_f64 v[139:140], v[125:126], v[149:150]
	s_waitcnt vmcnt(20)
	v_fma_f64 v[141:142], v[1:2], v[180:181], -v[141:142]
	v_mul_f64 v[135:136], v[123:124], v[149:150]
	v_fma_f64 v[137:138], v[3:4], v[180:181], v[137:138]
	ds_read_b128 v[1:4], v165 offset:1776
	v_add_f64 v[127:128], v[127:128], v[143:144]
	v_add_f64 v[129:130], v[129:130], v[131:132]
	s_waitcnt vmcnt(19) lgkmcnt(1)
	v_mul_f64 v[143:144], v[7:8], v[186:187]
	v_mul_f64 v[131:132], v[5:6], v[186:187]
	s_waitcnt vmcnt(17)
	v_fma_f64 v[139:140], v[123:124], v[153:154], -v[139:140]
	v_fma_f64 v[135:136], v[125:126], v[153:154], v[135:136]
	ds_read_b128 v[123:126], v165 offset:1792
	v_add_f64 v[127:128], v[127:128], v[141:142]
	v_add_f64 v[129:130], v[129:130], v[137:138]
	s_waitcnt vmcnt(13) lgkmcnt(1)
	v_mul_f64 v[141:142], v[3:4], v[155:156]
	s_waitcnt vmcnt(12)
	v_fma_f64 v[143:144], v[5:6], v[188:189], -v[143:144]
	v_mul_f64 v[137:138], v[1:2], v[155:156]
	v_fma_f64 v[131:132], v[7:8], v[188:189], v[131:132]
	ds_read_b128 v[5:8], v165 offset:1808
	v_add_f64 v[127:128], v[127:128], v[139:140]
	v_add_f64 v[129:130], v[129:130], v[135:136]
	s_waitcnt vmcnt(11) lgkmcnt(1)
	v_mul_f64 v[139:140], v[125:126], v[194:195]
	v_mul_f64 v[135:136], v[123:124], v[194:195]
	s_waitcnt vmcnt(9)
	v_fma_f64 v[1:2], v[1:2], v[161:162], -v[141:142]
	v_fma_f64 v[3:4], v[3:4], v[161:162], v[137:138]
	v_add_f64 v[127:128], v[127:128], v[143:144]
	v_add_f64 v[129:130], v[129:130], v[131:132]
	s_waitcnt vmcnt(7) lgkmcnt(0)
	v_mul_f64 v[137:138], v[7:8], v[163:164]
	s_waitcnt vmcnt(6)
	v_fma_f64 v[123:124], v[123:124], v[198:199], -v[139:140]
	v_mul_f64 v[131:132], v[5:6], v[163:164]
	v_fma_f64 v[125:126], v[125:126], v[198:199], v[135:136]
	v_add_f64 v[1:2], v[127:128], v[1:2]
	v_add_f64 v[3:4], v[129:130], v[3:4]
	s_waitcnt vmcnt(4)
	v_fma_f64 v[5:6], v[5:6], v[172:173], -v[137:138]
	v_fma_f64 v[7:8], v[7:8], v[172:173], v[131:132]
	v_add_f64 v[1:2], v[1:2], v[123:124]
	v_add_f64 v[3:4], v[3:4], v[125:126]
	;; [unrolled: 1-line block ×4, first 2 shown]
	s_waitcnt vmcnt(2)
	v_add_f64 v[1:2], v[133:134], -v[1:2]
	s_waitcnt vmcnt(0)
	v_add_f64 v[3:4], v[190:191], -v[3:4]
	buffer_store_dword v2, off, s[0:3], 0 offset:372
	buffer_store_dword v1, off, s[0:3], 0 offset:368
	;; [unrolled: 1-line block ×4, first 2 shown]
	v_cmpx_lt_u32_e32 21, v0
	s_cbranch_execz .LBB120_313
; %bb.312:
	v_mov_b32_e32 v4, s48
	v_mov_b32_e32 v5, 0
	s_clause 0x3
	buffer_load_dword v1, v4, s[0:3], 0 offen
	buffer_load_dword v2, v4, s[0:3], 0 offen offset:4
	buffer_load_dword v3, v4, s[0:3], 0 offen offset:8
	;; [unrolled: 1-line block ×3, first 2 shown]
	buffer_store_dword v5, off, s[0:3], 0 offset:352
	buffer_store_dword v5, off, s[0:3], 0 offset:356
	;; [unrolled: 1-line block ×4, first 2 shown]
	s_waitcnt vmcnt(0)
	ds_write_b128 v183, v[1:4]
.LBB120_313:
	s_or_b32 exec_lo, exec_lo, s4
	s_waitcnt lgkmcnt(0)
	s_waitcnt_vscnt null, 0x0
	s_barrier
	buffer_gl0_inv
	s_clause 0x37
	buffer_load_dword v123, off, s[0:3], 0 offset:376
	buffer_load_dword v124, off, s[0:3], 0 offset:380
	;; [unrolled: 1-line block ×56, first 2 shown]
	v_mov_b32_e32 v175, 0
	s_mov_b32 s4, exec_lo
	ds_read_b128 v[176:179], v175 offset:1264
	s_clause 0x2
	buffer_load_dword v172, off, s[0:3], 0 offset:604
	buffer_load_dword v174, off, s[0:3], 0 offset:580
	;; [unrolled: 1-line block ×3, first 2 shown]
	ds_read_b128 v[184:187], v175 offset:1280
	s_clause 0x4
	buffer_load_dword v193, off, s[0:3], 0 offset:620
	buffer_load_dword v194, off, s[0:3], 0 offset:632
	;; [unrolled: 1-line block ×5, first 2 shown]
	ds_read_b128 v[188:191], v175 offset:1296
	s_clause 0x2
	buffer_load_dword v195, off, s[0:3], 0 offset:636
	buffer_load_dword v200, off, s[0:3], 0 offset:612
	;; [unrolled: 1-line block ×3, first 2 shown]
	s_waitcnt vmcnt(62) lgkmcnt(2)
	v_mul_f64 v[180:181], v[178:179], v[123:124]
	v_mul_f64 v[123:124], v[176:177], v[123:124]
	s_waitcnt lgkmcnt(1)
	v_mul_f64 v[197:198], v[186:187], v[5:6]
	s_waitcnt vmcnt(59) lgkmcnt(0)
	v_mul_f64 v[201:202], v[190:191], v[3:4]
	v_fma_f64 v[176:177], v[176:177], v[7:8], -v[180:181]
	v_mul_f64 v[180:181], v[184:185], v[5:6]
	v_fma_f64 v[123:124], v[178:179], v[7:8], v[123:124]
	s_waitcnt vmcnt(57)
	v_fma_f64 v[184:185], v[184:185], v[1:2], -v[197:198]
	ds_read_b128 v[5:8], v175 offset:1312
	v_mul_f64 v[178:179], v[188:189], v[3:4]
	s_waitcnt vmcnt(51)
	v_fma_f64 v[188:189], v[188:189], v[139:140], -v[201:202]
	v_add_f64 v[176:177], v[176:177], 0
	v_fma_f64 v[180:181], v[186:187], v[1:2], v[180:181]
	v_add_f64 v[123:124], v[123:124], 0
	s_clause 0x4
	buffer_load_dword v187, off, s[0:3], 0 offset:652
	buffer_load_dword v203, off, s[0:3], 0 offset:664
	;; [unrolled: 1-line block ×5, first 2 shown]
	s_waitcnt lgkmcnt(0)
	v_mul_f64 v[206:207], v[5:6], v[127:128]
	v_mul_f64 v[127:128], v[7:8], v[127:128]
	ds_read_b128 v[1:4], v175 offset:1328
	v_fma_f64 v[139:140], v[190:191], v[139:140], v[178:179]
	v_add_f64 v[184:185], v[176:177], v[184:185]
	v_add_f64 v[123:124], v[123:124], v[180:181]
	s_clause 0x2
	buffer_load_dword v204, off, s[0:3], 0 offset:668
	buffer_load_dword v181, off, s[0:3], 0 offset:644
	;; [unrolled: 1-line block ×3, first 2 shown]
	s_waitcnt vmcnt(58) lgkmcnt(0)
	v_mul_f64 v[190:191], v[1:2], v[131:132]
	v_mul_f64 v[131:132], v[3:4], v[131:132]
	s_waitcnt vmcnt(56)
	v_fma_f64 v[127:128], v[5:6], v[133:134], -v[127:128]
	ds_read_b128 v[176:179], v175 offset:1344
	v_fma_f64 v[133:134], v[7:8], v[133:134], v[206:207]
	v_add_f64 v[184:185], v[184:185], v[188:189]
	v_add_f64 v[123:124], v[123:124], v[139:140]
	s_clause 0x4
	buffer_load_dword v140, off, s[0:3], 0 offset:684
	buffer_load_dword v188, off, s[0:3], 0 offset:696
	;; [unrolled: 1-line block ×5, first 2 shown]
	ds_read_b128 v[5:8], v175 offset:1360
	s_waitcnt vmcnt(57) lgkmcnt(1)
	v_mul_f64 v[207:208], v[176:177], v[135:136]
	v_mul_f64 v[135:136], v[178:179], v[135:136]
	s_waitcnt vmcnt(56)
	v_fma_f64 v[131:132], v[1:2], v[125:126], -v[131:132]
	v_fma_f64 v[125:126], v[3:4], v[125:126], v[190:191]
	v_add_f64 v[127:128], v[184:185], v[127:128]
	v_add_f64 v[123:124], v[123:124], v[133:134]
	s_clause 0x2
	buffer_load_dword v189, off, s[0:3], 0 offset:700
	buffer_load_dword v134, off, s[0:3], 0 offset:676
	;; [unrolled: 1-line block ×3, first 2 shown]
	s_waitcnt vmcnt(58) lgkmcnt(0)
	v_mul_f64 v[184:185], v[5:6], v[141:142]
	v_mul_f64 v[141:142], v[7:8], v[141:142]
	s_waitcnt vmcnt(56)
	v_fma_f64 v[135:136], v[176:177], v[143:144], -v[135:136]
	ds_read_b128 v[1:4], v175 offset:1376
	v_add_f64 v[127:128], v[127:128], v[131:132]
	v_fma_f64 v[131:132], v[178:179], v[143:144], v[207:208]
	v_add_f64 v[143:144], v[123:124], v[125:126]
	s_clause 0x4
	buffer_load_dword v177, off, s[0:3], 0 offset:716
	buffer_load_dword v178, off, s[0:3], 0 offset:728
	;; [unrolled: 1-line block ×5, first 2 shown]
	ds_read_b128 v[123:126], v175 offset:1392
	s_waitcnt vmcnt(57) lgkmcnt(1)
	v_mul_f64 v[207:208], v[1:2], v[145:146]
	v_mul_f64 v[145:146], v[3:4], v[145:146]
	s_waitcnt vmcnt(56)
	v_fma_f64 v[141:142], v[5:6], v[129:130], -v[141:142]
	v_fma_f64 v[129:130], v[7:8], v[129:130], v[184:185]
	v_add_f64 v[127:128], v[127:128], v[135:136]
	s_clause 0x2
	buffer_load_dword v179, off, s[0:3], 0 offset:732
	buffer_load_dword v136, off, s[0:3], 0 offset:708
	;; [unrolled: 1-line block ×3, first 2 shown]
	v_add_f64 v[131:132], v[143:144], v[131:132]
	s_waitcnt vmcnt(58) lgkmcnt(0)
	v_mul_f64 v[143:144], v[123:124], v[149:150]
	v_mul_f64 v[149:150], v[125:126], v[149:150]
	ds_read_b128 v[5:8], v175 offset:1408
	s_waitcnt vmcnt(56)
	v_fma_f64 v[145:146], v[1:2], v[151:152], -v[145:146]
	v_add_f64 v[127:128], v[127:128], v[141:142]
	v_fma_f64 v[141:142], v[3:4], v[151:152], v[207:208]
	v_add_f64 v[129:130], v[131:132], v[129:130]
	s_clause 0x4
	buffer_load_dword v132, off, s[0:3], 0 offset:748
	buffer_load_dword v151, off, s[0:3], 0 offset:760
	;; [unrolled: 1-line block ×5, first 2 shown]
	s_waitcnt vmcnt(57) lgkmcnt(0)
	v_mul_f64 v[207:208], v[5:6], v[153:154]
	v_mul_f64 v[153:154], v[7:8], v[153:154]
	s_waitcnt vmcnt(56)
	v_fma_f64 v[149:150], v[123:124], v[137:138], -v[149:150]
	ds_read_b128 v[1:4], v175 offset:1424
	v_fma_f64 v[137:138], v[125:126], v[137:138], v[143:144]
	v_add_f64 v[127:128], v[127:128], v[145:146]
	v_add_f64 v[129:130], v[129:130], v[141:142]
	s_clause 0x2
	buffer_load_dword v152, off, s[0:3], 0 offset:764
	buffer_load_dword v142, off, s[0:3], 0 offset:740
	;; [unrolled: 1-line block ×3, first 2 shown]
	ds_read_b128 v[123:126], v175 offset:1440
	s_waitcnt vmcnt(58) lgkmcnt(1)
	v_mul_f64 v[145:146], v[3:4], v[157:158]
	s_waitcnt vmcnt(56)
	v_fma_f64 v[153:154], v[5:6], v[159:160], -v[153:154]
	v_mul_f64 v[143:144], v[1:2], v[157:158]
	v_add_f64 v[127:128], v[127:128], v[149:150]
	v_fma_f64 v[149:150], v[7:8], v[159:160], v[207:208]
	v_add_f64 v[129:130], v[129:130], v[137:138]
	s_clause 0x4
	buffer_load_dword v138, off, s[0:3], 0 offset:780
	buffer_load_dword v157, off, s[0:3], 0 offset:792
	;; [unrolled: 1-line block ×5, first 2 shown]
	s_waitcnt vmcnt(57) lgkmcnt(0)
	v_mul_f64 v[207:208], v[123:124], v[161:162]
	v_mul_f64 v[160:161], v[125:126], v[161:162]
	s_waitcnt vmcnt(56)
	v_fma_f64 v[145:146], v[1:2], v[147:148], -v[145:146]
	ds_read_b128 v[5:8], v175 offset:1456
	v_fma_f64 v[143:144], v[3:4], v[147:148], v[143:144]
	s_clause 0x2
	buffer_load_dword v158, off, s[0:3], 0 offset:796
	buffer_load_dword v148, off, s[0:3], 0 offset:772
	;; [unrolled: 1-line block ×3, first 2 shown]
	ds_read_b128 v[1:4], v175 offset:1472
	v_add_f64 v[127:128], v[127:128], v[153:154]
	v_add_f64 v[129:130], v[129:130], v[149:150]
	s_waitcnt vmcnt(58) lgkmcnt(1)
	v_mul_f64 v[153:154], v[7:8], v[165:166]
	s_waitcnt vmcnt(56)
	v_fma_f64 v[161:162], v[123:124], v[167:168], -v[160:161]
	v_mul_f64 v[149:150], v[5:6], v[165:166]
	v_add_f64 v[127:128], v[127:128], v[145:146]
	v_fma_f64 v[145:146], v[125:126], v[167:168], v[207:208]
	v_add_f64 v[129:130], v[129:130], v[143:144]
	s_clause 0x4
	buffer_load_dword v144, off, s[0:3], 0 offset:812
	buffer_load_dword v165, off, s[0:3], 0 offset:824
	buffer_load_dword v167, off, s[0:3], 0 offset:816
	buffer_load_dword v143, off, s[0:3], 0 offset:808
	buffer_load_dword v160, off, s[0:3], 0 offset:788
	s_waitcnt vmcnt(57) lgkmcnt(0)
	v_mul_f64 v[207:208], v[1:2], v[169:170]
	v_mul_f64 v[168:169], v[3:4], v[169:170]
	s_waitcnt vmcnt(56)
	v_fma_f64 v[153:154], v[5:6], v[155:156], -v[153:154]
	ds_read_b128 v[123:126], v175 offset:1488
	v_fma_f64 v[149:150], v[7:8], v[155:156], v[149:150]
	v_add_f64 v[127:128], v[127:128], v[161:162]
	v_add_f64 v[129:130], v[129:130], v[145:146]
	s_clause 0x2
	buffer_load_dword v166, off, s[0:3], 0 offset:828
	buffer_load_dword v146, off, s[0:3], 0 offset:804
	;; [unrolled: 1-line block ×3, first 2 shown]
	ds_read_b128 v[5:8], v175 offset:1504
	s_waitcnt vmcnt(58) lgkmcnt(1)
	v_mul_f64 v[161:162], v[125:126], v[171:172]
	s_waitcnt vmcnt(56)
	v_fma_f64 v[169:170], v[1:2], v[173:174], -v[168:169]
	v_mul_f64 v[155:156], v[123:124], v[171:172]
	v_add_f64 v[127:128], v[127:128], v[153:154]
	v_fma_f64 v[153:154], v[3:4], v[173:174], v[207:208]
	v_add_f64 v[129:130], v[129:130], v[149:150]
	s_clause 0x4
	buffer_load_dword v150, off, s[0:3], 0 offset:844
	buffer_load_dword v171, off, s[0:3], 0 offset:856
	;; [unrolled: 1-line block ×5, first 2 shown]
	s_waitcnt vmcnt(57) lgkmcnt(0)
	v_mul_f64 v[207:208], v[5:6], v[192:193]
	v_mul_f64 v[192:193], v[7:8], v[192:193]
	s_waitcnt vmcnt(56)
	v_fma_f64 v[161:162], v[123:124], v[163:164], -v[161:162]
	ds_read_b128 v[1:4], v175 offset:1520
	v_fma_f64 v[155:156], v[125:126], v[163:164], v[155:156]
	v_add_f64 v[127:128], v[127:128], v[169:170]
	v_add_f64 v[129:130], v[129:130], v[153:154]
	s_clause 0x2
	buffer_load_dword v172, off, s[0:3], 0 offset:860
	buffer_load_dword v154, off, s[0:3], 0 offset:836
	;; [unrolled: 1-line block ×3, first 2 shown]
	ds_read_b128 v[123:126], v175 offset:1536
	s_waitcnt vmcnt(58) lgkmcnt(1)
	v_mul_f64 v[169:170], v[3:4], v[194:195]
	s_waitcnt vmcnt(56)
	v_fma_f64 v[192:193], v[5:6], v[199:200], -v[192:193]
	v_mul_f64 v[163:164], v[1:2], v[194:195]
	v_add_f64 v[127:128], v[127:128], v[161:162]
	v_fma_f64 v[161:162], v[7:8], v[199:200], v[207:208]
	v_add_f64 v[129:130], v[129:130], v[155:156]
	s_clause 0x4
	buffer_load_dword v156, off, s[0:3], 0 offset:876
	buffer_load_dword v194, off, s[0:3], 0 offset:888
	buffer_load_dword v198, off, s[0:3], 0 offset:880
	buffer_load_dword v155, off, s[0:3], 0 offset:872
	buffer_load_dword v174, off, s[0:3], 0 offset:852
	ds_read_b128 v[5:8], v175 offset:1552
	s_waitcnt vmcnt(57) lgkmcnt(1)
	v_mul_f64 v[199:200], v[123:124], v[186:187]
	v_mul_f64 v[186:187], v[125:126], v[186:187]
	s_waitcnt vmcnt(56)
	v_fma_f64 v[169:170], v[1:2], v[196:197], -v[169:170]
	v_fma_f64 v[163:164], v[3:4], v[196:197], v[163:164]
	v_add_f64 v[127:128], v[127:128], v[192:193]
	v_add_f64 v[129:130], v[129:130], v[161:162]
	s_clause 0x2
	buffer_load_dword v195, off, s[0:3], 0 offset:892
	buffer_load_dword v162, off, s[0:3], 0 offset:868
	;; [unrolled: 1-line block ×3, first 2 shown]
	ds_read_b128 v[1:4], v175 offset:1568
	s_waitcnt vmcnt(58) lgkmcnt(1)
	v_mul_f64 v[196:197], v[7:8], v[203:204]
	v_mul_f64 v[192:193], v[5:6], v[203:204]
	s_waitcnt vmcnt(56)
	v_fma_f64 v[186:187], v[123:124], v[180:181], -v[186:187]
	v_add_f64 v[127:128], v[127:128], v[169:170]
	v_fma_f64 v[169:170], v[125:126], v[180:181], v[199:200]
	v_add_f64 v[129:130], v[129:130], v[163:164]
	s_clause 0x4
	buffer_load_dword v164, off, s[0:3], 0 offset:908
	buffer_load_dword v180, off, s[0:3], 0 offset:920
	;; [unrolled: 1-line block ×5, first 2 shown]
	ds_read_b128 v[123:126], v175 offset:1584
	s_waitcnt vmcnt(57) lgkmcnt(1)
	v_mul_f64 v[207:208], v[1:2], v[139:140]
	v_mul_f64 v[139:140], v[3:4], v[139:140]
	s_waitcnt vmcnt(56)
	v_fma_f64 v[196:197], v[5:6], v[205:206], -v[196:197]
	v_add_f64 v[127:128], v[127:128], v[186:187]
	v_fma_f64 v[186:187], v[7:8], v[205:206], v[192:193]
	v_add_f64 v[129:130], v[129:130], v[169:170]
	s_clause 0x2
	buffer_load_dword v181, off, s[0:3], 0 offset:924
	buffer_load_dword v170, off, s[0:3], 0 offset:900
	buffer_load_dword v169, off, s[0:3], 0 offset:896
	ds_read_b128 v[5:8], v175 offset:1600
	buffer_load_dword v204, off, s[0:3], 0 offset:916
	s_waitcnt vmcnt(59) lgkmcnt(1)
	v_mul_f64 v[192:193], v[123:124], v[188:189]
	v_mul_f64 v[188:189], v[125:126], v[188:189]
	s_waitcnt vmcnt(57)
	v_fma_f64 v[139:140], v[1:2], v[133:134], -v[139:140]
	v_fma_f64 v[133:134], v[3:4], v[133:134], v[207:208]
	ds_read_b128 v[1:4], v175 offset:1616
	v_add_f64 v[127:128], v[127:128], v[196:197]
	v_add_f64 v[129:130], v[129:130], v[186:187]
	s_waitcnt vmcnt(53) lgkmcnt(1)
	v_mul_f64 v[186:187], v[5:6], v[176:177]
	v_mul_f64 v[176:177], v[7:8], v[176:177]
	s_waitcnt vmcnt(52)
	v_fma_f64 v[188:189], v[123:124], v[201:202], -v[188:189]
	v_add_f64 v[127:128], v[127:128], v[139:140]
	v_fma_f64 v[139:140], v[125:126], v[201:202], v[192:193]
	v_add_f64 v[129:130], v[129:130], v[133:134]
	ds_read_b128 v[123:126], v175 offset:1632
	s_waitcnt vmcnt(51) lgkmcnt(1)
	v_mul_f64 v[133:134], v[1:2], v[178:179]
	v_mul_f64 v[178:179], v[3:4], v[178:179]
	s_waitcnt vmcnt(49)
	v_fma_f64 v[176:177], v[5:6], v[135:136], -v[176:177]
	v_fma_f64 v[135:136], v[7:8], v[135:136], v[186:187]
	v_add_f64 v[127:128], v[127:128], v[188:189]
	v_add_f64 v[129:130], v[129:130], v[139:140]
	s_clause 0x3
	buffer_load_dword v139, off, s[0:3], 0 offset:352
	buffer_load_dword v140, off, s[0:3], 0 offset:356
	;; [unrolled: 1-line block ×4, first 2 shown]
	ds_read_b128 v[5:8], v175 offset:1648
	s_waitcnt vmcnt(49) lgkmcnt(1)
	v_mul_f64 v[188:189], v[123:124], v[131:132]
	v_mul_f64 v[131:132], v[125:126], v[131:132]
	s_waitcnt vmcnt(48)
	v_fma_f64 v[178:179], v[1:2], v[190:191], -v[178:179]
	v_fma_f64 v[133:134], v[3:4], v[190:191], v[133:134]
	ds_read_b128 v[1:4], v175 offset:1664
	v_add_f64 v[127:128], v[127:128], v[176:177]
	v_add_f64 v[129:130], v[129:130], v[135:136]
	s_waitcnt vmcnt(47) lgkmcnt(1)
	v_mul_f64 v[135:136], v[5:6], v[151:152]
	v_mul_f64 v[151:152], v[7:8], v[151:152]
	s_waitcnt vmcnt(45)
	v_fma_f64 v[131:132], v[123:124], v[141:142], -v[131:132]
	v_fma_f64 v[141:142], v[125:126], v[141:142], v[188:189]
	ds_read_b128 v[123:126], v175 offset:1680
	v_add_f64 v[127:128], v[127:128], v[178:179]
	v_add_f64 v[129:130], v[129:130], v[133:134]
	s_waitcnt vmcnt(41) lgkmcnt(1)
	v_mul_f64 v[133:134], v[1:2], v[137:138]
	v_mul_f64 v[137:138], v[3:4], v[137:138]
	s_waitcnt vmcnt(40)
	v_fma_f64 v[151:152], v[5:6], v[184:185], -v[151:152]
	v_add_f64 v[127:128], v[127:128], v[131:132]
	v_fma_f64 v[131:132], v[7:8], v[184:185], v[135:136]
	v_add_f64 v[129:130], v[129:130], v[141:142]
	ds_read_b128 v[5:8], v175 offset:1696
	s_waitcnt vmcnt(39) lgkmcnt(1)
	v_mul_f64 v[141:142], v[125:126], v[157:158]
	v_mul_f64 v[135:136], v[123:124], v[157:158]
	s_waitcnt vmcnt(37)
	v_fma_f64 v[133:134], v[3:4], v[147:148], v[133:134]
	v_fma_f64 v[137:138], v[1:2], v[147:148], -v[137:138]
	ds_read_b128 v[1:4], v175 offset:1712
	v_add_f64 v[127:128], v[127:128], v[151:152]
	v_add_f64 v[129:130], v[129:130], v[131:132]
	s_waitcnt vmcnt(33) lgkmcnt(1)
	v_mul_f64 v[131:132], v[5:6], v[143:144]
	v_mul_f64 v[143:144], v[7:8], v[143:144]
	s_waitcnt vmcnt(32)
	v_fma_f64 v[141:142], v[123:124], v[159:160], -v[141:142]
	v_fma_f64 v[135:136], v[125:126], v[159:160], v[135:136]
	ds_read_b128 v[123:126], v175 offset:1728
	v_add_f64 v[127:128], v[127:128], v[137:138]
	v_add_f64 v[129:130], v[129:130], v[133:134]
	s_waitcnt vmcnt(31) lgkmcnt(1)
	v_mul_f64 v[137:138], v[3:4], v[165:166]
	v_mul_f64 v[133:134], v[1:2], v[165:166]
	s_waitcnt vmcnt(29)
	v_fma_f64 v[143:144], v[5:6], v[145:146], -v[143:144]
	v_fma_f64 v[131:132], v[7:8], v[145:146], v[131:132]
	ds_read_b128 v[5:8], v175 offset:1744
	v_add_f64 v[127:128], v[127:128], v[141:142]
	v_add_f64 v[129:130], v[129:130], v[135:136]
	s_waitcnt vmcnt(25) lgkmcnt(1)
	v_mul_f64 v[141:142], v[125:126], v[149:150]
	s_waitcnt vmcnt(24)
	v_fma_f64 v[137:138], v[1:2], v[167:168], -v[137:138]
	v_mul_f64 v[135:136], v[123:124], v[149:150]
	v_fma_f64 v[133:134], v[3:4], v[167:168], v[133:134]
	ds_read_b128 v[1:4], v175 offset:1760
	v_add_f64 v[127:128], v[127:128], v[143:144]
	v_add_f64 v[129:130], v[129:130], v[131:132]
	s_waitcnt vmcnt(23) lgkmcnt(1)
	v_mul_f64 v[143:144], v[7:8], v[171:172]
	v_mul_f64 v[131:132], v[5:6], v[171:172]
	s_waitcnt vmcnt(21)
	v_fma_f64 v[141:142], v[123:124], v[153:154], -v[141:142]
	v_fma_f64 v[135:136], v[125:126], v[153:154], v[135:136]
	ds_read_b128 v[123:126], v175 offset:1776
	v_add_f64 v[127:128], v[127:128], v[137:138]
	v_add_f64 v[129:130], v[129:130], v[133:134]
	s_waitcnt vmcnt(17) lgkmcnt(1)
	v_mul_f64 v[137:138], v[3:4], v[155:156]
	s_waitcnt vmcnt(16)
	v_fma_f64 v[143:144], v[5:6], v[173:174], -v[143:144]
	v_mul_f64 v[133:134], v[1:2], v[155:156]
	;; [unrolled: 18-line block ×3, first 2 shown]
	v_fma_f64 v[125:126], v[125:126], v[198:199], v[135:136]
	v_add_f64 v[127:128], v[127:128], v[137:138]
	v_add_f64 v[129:130], v[129:130], v[133:134]
	s_waitcnt vmcnt(7) lgkmcnt(0)
	v_mul_f64 v[135:136], v[3:4], v[180:181]
	v_mul_f64 v[133:134], v[1:2], v[180:181]
	s_waitcnt vmcnt(5)
	v_fma_f64 v[5:6], v[5:6], v[169:170], -v[143:144]
	v_fma_f64 v[7:8], v[7:8], v[169:170], v[131:132]
	v_add_f64 v[123:124], v[127:128], v[123:124]
	v_add_f64 v[125:126], v[129:130], v[125:126]
	s_waitcnt vmcnt(4)
	v_fma_f64 v[1:2], v[1:2], v[203:204], -v[135:136]
	v_fma_f64 v[3:4], v[3:4], v[203:204], v[133:134]
	v_add_f64 v[5:6], v[123:124], v[5:6]
	v_add_f64 v[7:8], v[125:126], v[7:8]
	;; [unrolled: 1-line block ×4, first 2 shown]
	s_waitcnt vmcnt(2)
	v_add_f64 v[1:2], v[139:140], -v[1:2]
	s_waitcnt vmcnt(0)
	v_add_f64 v[3:4], v[186:187], -v[3:4]
	buffer_store_dword v2, off, s[0:3], 0 offset:356
	buffer_store_dword v1, off, s[0:3], 0 offset:352
	buffer_store_dword v4, off, s[0:3], 0 offset:364
	buffer_store_dword v3, off, s[0:3], 0 offset:360
	v_cmpx_lt_u32_e32 20, v0
	s_cbranch_execz .LBB120_315
; %bb.314:
	v_mov_b32_e32 v4, s49
	s_clause 0x3
	buffer_load_dword v1, v4, s[0:3], 0 offen
	buffer_load_dword v2, v4, s[0:3], 0 offen offset:4
	buffer_load_dword v3, v4, s[0:3], 0 offen offset:8
	;; [unrolled: 1-line block ×3, first 2 shown]
	buffer_store_dword v175, off, s[0:3], 0 offset:336
	buffer_store_dword v175, off, s[0:3], 0 offset:340
	;; [unrolled: 1-line block ×4, first 2 shown]
	s_waitcnt vmcnt(0)
	ds_write_b128 v183, v[1:4]
.LBB120_315:
	s_or_b32 exec_lo, exec_lo, s4
	s_waitcnt lgkmcnt(0)
	s_waitcnt_vscnt null, 0x0
	s_barrier
	buffer_gl0_inv
	s_clause 0x37
	buffer_load_dword v123, off, s[0:3], 0 offset:360
	buffer_load_dword v124, off, s[0:3], 0 offset:364
	;; [unrolled: 1-line block ×56, first 2 shown]
	ds_read_b128 v[176:179], v175 offset:1248
	s_clause 0x2
	buffer_load_dword v172, off, s[0:3], 0 offset:588
	buffer_load_dword v174, off, s[0:3], 0 offset:564
	;; [unrolled: 1-line block ×3, first 2 shown]
	ds_read_b128 v[184:187], v175 offset:1264
	s_clause 0x4
	buffer_load_dword v193, off, s[0:3], 0 offset:604
	buffer_load_dword v194, off, s[0:3], 0 offset:616
	;; [unrolled: 1-line block ×5, first 2 shown]
	ds_read_b128 v[188:191], v175 offset:1280
	s_clause 0x2
	buffer_load_dword v195, off, s[0:3], 0 offset:620
	buffer_load_dword v200, off, s[0:3], 0 offset:596
	;; [unrolled: 1-line block ×3, first 2 shown]
	s_mov_b32 s4, exec_lo
	s_waitcnt vmcnt(62) lgkmcnt(2)
	v_mul_f64 v[180:181], v[178:179], v[123:124]
	v_mul_f64 v[123:124], v[176:177], v[123:124]
	s_waitcnt lgkmcnt(1)
	v_mul_f64 v[197:198], v[186:187], v[5:6]
	s_waitcnt vmcnt(59) lgkmcnt(0)
	v_mul_f64 v[201:202], v[190:191], v[3:4]
	v_fma_f64 v[176:177], v[176:177], v[7:8], -v[180:181]
	v_mul_f64 v[180:181], v[184:185], v[5:6]
	v_fma_f64 v[123:124], v[178:179], v[7:8], v[123:124]
	s_waitcnt vmcnt(57)
	v_fma_f64 v[184:185], v[184:185], v[1:2], -v[197:198]
	ds_read_b128 v[5:8], v175 offset:1296
	v_mul_f64 v[178:179], v[188:189], v[3:4]
	s_waitcnt vmcnt(51)
	v_fma_f64 v[188:189], v[188:189], v[139:140], -v[201:202]
	v_add_f64 v[176:177], v[176:177], 0
	v_fma_f64 v[180:181], v[186:187], v[1:2], v[180:181]
	v_add_f64 v[123:124], v[123:124], 0
	s_clause 0x4
	buffer_load_dword v187, off, s[0:3], 0 offset:636
	buffer_load_dword v203, off, s[0:3], 0 offset:648
	;; [unrolled: 1-line block ×5, first 2 shown]
	s_waitcnt lgkmcnt(0)
	v_mul_f64 v[206:207], v[5:6], v[127:128]
	v_mul_f64 v[127:128], v[7:8], v[127:128]
	ds_read_b128 v[1:4], v175 offset:1312
	v_fma_f64 v[139:140], v[190:191], v[139:140], v[178:179]
	v_add_f64 v[184:185], v[176:177], v[184:185]
	v_add_f64 v[123:124], v[123:124], v[180:181]
	s_clause 0x2
	buffer_load_dword v204, off, s[0:3], 0 offset:652
	buffer_load_dword v181, off, s[0:3], 0 offset:628
	;; [unrolled: 1-line block ×3, first 2 shown]
	s_waitcnt vmcnt(58) lgkmcnt(0)
	v_mul_f64 v[190:191], v[1:2], v[131:132]
	v_mul_f64 v[131:132], v[3:4], v[131:132]
	s_waitcnt vmcnt(56)
	v_fma_f64 v[127:128], v[5:6], v[133:134], -v[127:128]
	ds_read_b128 v[176:179], v175 offset:1328
	v_fma_f64 v[133:134], v[7:8], v[133:134], v[206:207]
	v_add_f64 v[184:185], v[184:185], v[188:189]
	v_add_f64 v[123:124], v[123:124], v[139:140]
	s_clause 0x4
	buffer_load_dword v140, off, s[0:3], 0 offset:668
	buffer_load_dword v188, off, s[0:3], 0 offset:680
	buffer_load_dword v201, off, s[0:3], 0 offset:672
	buffer_load_dword v139, off, s[0:3], 0 offset:664
	buffer_load_dword v206, off, s[0:3], 0 offset:644
	ds_read_b128 v[5:8], v175 offset:1344
	s_waitcnt vmcnt(57) lgkmcnt(1)
	v_mul_f64 v[207:208], v[176:177], v[135:136]
	v_mul_f64 v[135:136], v[178:179], v[135:136]
	s_waitcnt vmcnt(56)
	v_fma_f64 v[131:132], v[1:2], v[125:126], -v[131:132]
	v_fma_f64 v[125:126], v[3:4], v[125:126], v[190:191]
	v_add_f64 v[127:128], v[184:185], v[127:128]
	v_add_f64 v[123:124], v[123:124], v[133:134]
	s_clause 0x2
	buffer_load_dword v189, off, s[0:3], 0 offset:684
	buffer_load_dword v134, off, s[0:3], 0 offset:660
	;; [unrolled: 1-line block ×3, first 2 shown]
	s_waitcnt vmcnt(58) lgkmcnt(0)
	v_mul_f64 v[184:185], v[5:6], v[141:142]
	v_mul_f64 v[141:142], v[7:8], v[141:142]
	s_waitcnt vmcnt(56)
	v_fma_f64 v[135:136], v[176:177], v[143:144], -v[135:136]
	ds_read_b128 v[1:4], v175 offset:1360
	v_add_f64 v[127:128], v[127:128], v[131:132]
	v_fma_f64 v[131:132], v[178:179], v[143:144], v[207:208]
	v_add_f64 v[143:144], v[123:124], v[125:126]
	s_clause 0x4
	buffer_load_dword v177, off, s[0:3], 0 offset:700
	buffer_load_dword v178, off, s[0:3], 0 offset:712
	;; [unrolled: 1-line block ×5, first 2 shown]
	ds_read_b128 v[123:126], v175 offset:1376
	s_waitcnt vmcnt(57) lgkmcnt(1)
	v_mul_f64 v[207:208], v[1:2], v[145:146]
	v_mul_f64 v[145:146], v[3:4], v[145:146]
	s_waitcnt vmcnt(56)
	v_fma_f64 v[141:142], v[5:6], v[129:130], -v[141:142]
	v_fma_f64 v[129:130], v[7:8], v[129:130], v[184:185]
	v_add_f64 v[127:128], v[127:128], v[135:136]
	s_clause 0x2
	buffer_load_dword v179, off, s[0:3], 0 offset:716
	buffer_load_dword v136, off, s[0:3], 0 offset:692
	;; [unrolled: 1-line block ×3, first 2 shown]
	v_add_f64 v[131:132], v[143:144], v[131:132]
	s_waitcnt vmcnt(58) lgkmcnt(0)
	v_mul_f64 v[143:144], v[123:124], v[149:150]
	v_mul_f64 v[149:150], v[125:126], v[149:150]
	ds_read_b128 v[5:8], v175 offset:1392
	s_waitcnt vmcnt(56)
	v_fma_f64 v[145:146], v[1:2], v[151:152], -v[145:146]
	v_add_f64 v[127:128], v[127:128], v[141:142]
	v_fma_f64 v[141:142], v[3:4], v[151:152], v[207:208]
	v_add_f64 v[129:130], v[131:132], v[129:130]
	s_clause 0x4
	buffer_load_dword v132, off, s[0:3], 0 offset:732
	buffer_load_dword v151, off, s[0:3], 0 offset:744
	;; [unrolled: 1-line block ×5, first 2 shown]
	s_waitcnt vmcnt(57) lgkmcnt(0)
	v_mul_f64 v[207:208], v[5:6], v[153:154]
	v_mul_f64 v[153:154], v[7:8], v[153:154]
	s_waitcnt vmcnt(56)
	v_fma_f64 v[149:150], v[123:124], v[137:138], -v[149:150]
	ds_read_b128 v[1:4], v175 offset:1408
	v_fma_f64 v[137:138], v[125:126], v[137:138], v[143:144]
	v_add_f64 v[127:128], v[127:128], v[145:146]
	v_add_f64 v[129:130], v[129:130], v[141:142]
	s_clause 0x2
	buffer_load_dword v152, off, s[0:3], 0 offset:748
	buffer_load_dword v142, off, s[0:3], 0 offset:724
	;; [unrolled: 1-line block ×3, first 2 shown]
	ds_read_b128 v[123:126], v175 offset:1424
	s_waitcnt vmcnt(58) lgkmcnt(1)
	v_mul_f64 v[145:146], v[3:4], v[157:158]
	s_waitcnt vmcnt(56)
	v_fma_f64 v[153:154], v[5:6], v[159:160], -v[153:154]
	v_mul_f64 v[143:144], v[1:2], v[157:158]
	v_add_f64 v[127:128], v[127:128], v[149:150]
	v_fma_f64 v[149:150], v[7:8], v[159:160], v[207:208]
	v_add_f64 v[129:130], v[129:130], v[137:138]
	s_clause 0x4
	buffer_load_dword v138, off, s[0:3], 0 offset:764
	buffer_load_dword v157, off, s[0:3], 0 offset:776
	;; [unrolled: 1-line block ×5, first 2 shown]
	s_waitcnt vmcnt(57) lgkmcnt(0)
	v_mul_f64 v[207:208], v[123:124], v[161:162]
	v_mul_f64 v[160:161], v[125:126], v[161:162]
	s_waitcnt vmcnt(56)
	v_fma_f64 v[145:146], v[1:2], v[147:148], -v[145:146]
	ds_read_b128 v[5:8], v175 offset:1440
	v_fma_f64 v[143:144], v[3:4], v[147:148], v[143:144]
	s_clause 0x2
	buffer_load_dword v158, off, s[0:3], 0 offset:780
	buffer_load_dword v148, off, s[0:3], 0 offset:756
	;; [unrolled: 1-line block ×3, first 2 shown]
	ds_read_b128 v[1:4], v175 offset:1456
	v_add_f64 v[127:128], v[127:128], v[153:154]
	v_add_f64 v[129:130], v[129:130], v[149:150]
	s_waitcnt vmcnt(58) lgkmcnt(1)
	v_mul_f64 v[153:154], v[7:8], v[165:166]
	s_waitcnt vmcnt(56)
	v_fma_f64 v[161:162], v[123:124], v[167:168], -v[160:161]
	v_mul_f64 v[149:150], v[5:6], v[165:166]
	v_add_f64 v[127:128], v[127:128], v[145:146]
	v_fma_f64 v[145:146], v[125:126], v[167:168], v[207:208]
	v_add_f64 v[129:130], v[129:130], v[143:144]
	s_clause 0x4
	buffer_load_dword v144, off, s[0:3], 0 offset:796
	buffer_load_dword v165, off, s[0:3], 0 offset:808
	;; [unrolled: 1-line block ×5, first 2 shown]
	s_waitcnt vmcnt(57) lgkmcnt(0)
	v_mul_f64 v[207:208], v[1:2], v[169:170]
	v_mul_f64 v[168:169], v[3:4], v[169:170]
	s_waitcnt vmcnt(56)
	v_fma_f64 v[153:154], v[5:6], v[155:156], -v[153:154]
	ds_read_b128 v[123:126], v175 offset:1472
	v_fma_f64 v[149:150], v[7:8], v[155:156], v[149:150]
	v_add_f64 v[127:128], v[127:128], v[161:162]
	v_add_f64 v[129:130], v[129:130], v[145:146]
	s_clause 0x2
	buffer_load_dword v166, off, s[0:3], 0 offset:812
	buffer_load_dword v146, off, s[0:3], 0 offset:788
	;; [unrolled: 1-line block ×3, first 2 shown]
	ds_read_b128 v[5:8], v175 offset:1488
	s_waitcnt vmcnt(58) lgkmcnt(1)
	v_mul_f64 v[161:162], v[125:126], v[171:172]
	s_waitcnt vmcnt(56)
	v_fma_f64 v[169:170], v[1:2], v[173:174], -v[168:169]
	v_mul_f64 v[155:156], v[123:124], v[171:172]
	v_add_f64 v[127:128], v[127:128], v[153:154]
	v_fma_f64 v[153:154], v[3:4], v[173:174], v[207:208]
	v_add_f64 v[129:130], v[129:130], v[149:150]
	s_clause 0x4
	buffer_load_dword v150, off, s[0:3], 0 offset:828
	buffer_load_dword v171, off, s[0:3], 0 offset:840
	;; [unrolled: 1-line block ×5, first 2 shown]
	s_waitcnt vmcnt(57) lgkmcnt(0)
	v_mul_f64 v[207:208], v[5:6], v[192:193]
	v_mul_f64 v[192:193], v[7:8], v[192:193]
	s_waitcnt vmcnt(56)
	v_fma_f64 v[161:162], v[123:124], v[163:164], -v[161:162]
	ds_read_b128 v[1:4], v175 offset:1504
	v_fma_f64 v[155:156], v[125:126], v[163:164], v[155:156]
	v_add_f64 v[127:128], v[127:128], v[169:170]
	v_add_f64 v[129:130], v[129:130], v[153:154]
	s_clause 0x2
	buffer_load_dword v172, off, s[0:3], 0 offset:844
	buffer_load_dword v154, off, s[0:3], 0 offset:820
	;; [unrolled: 1-line block ×3, first 2 shown]
	ds_read_b128 v[123:126], v175 offset:1520
	s_waitcnt vmcnt(58) lgkmcnt(1)
	v_mul_f64 v[169:170], v[3:4], v[194:195]
	s_waitcnt vmcnt(56)
	v_fma_f64 v[192:193], v[5:6], v[199:200], -v[192:193]
	v_mul_f64 v[163:164], v[1:2], v[194:195]
	v_add_f64 v[127:128], v[127:128], v[161:162]
	v_fma_f64 v[161:162], v[7:8], v[199:200], v[207:208]
	v_add_f64 v[129:130], v[129:130], v[155:156]
	s_clause 0x4
	buffer_load_dword v156, off, s[0:3], 0 offset:860
	buffer_load_dword v194, off, s[0:3], 0 offset:872
	;; [unrolled: 1-line block ×5, first 2 shown]
	ds_read_b128 v[5:8], v175 offset:1536
	s_waitcnt vmcnt(57) lgkmcnt(1)
	v_mul_f64 v[199:200], v[123:124], v[186:187]
	v_mul_f64 v[186:187], v[125:126], v[186:187]
	s_waitcnt vmcnt(56)
	v_fma_f64 v[169:170], v[1:2], v[196:197], -v[169:170]
	v_fma_f64 v[163:164], v[3:4], v[196:197], v[163:164]
	v_add_f64 v[127:128], v[127:128], v[192:193]
	v_add_f64 v[129:130], v[129:130], v[161:162]
	s_clause 0x2
	buffer_load_dword v195, off, s[0:3], 0 offset:876
	buffer_load_dword v162, off, s[0:3], 0 offset:852
	;; [unrolled: 1-line block ×3, first 2 shown]
	ds_read_b128 v[1:4], v175 offset:1552
	s_waitcnt vmcnt(58) lgkmcnt(1)
	v_mul_f64 v[196:197], v[7:8], v[203:204]
	v_mul_f64 v[192:193], v[5:6], v[203:204]
	s_waitcnt vmcnt(56)
	v_fma_f64 v[186:187], v[123:124], v[180:181], -v[186:187]
	v_add_f64 v[127:128], v[127:128], v[169:170]
	v_fma_f64 v[169:170], v[125:126], v[180:181], v[199:200]
	v_add_f64 v[129:130], v[129:130], v[163:164]
	s_clause 0x4
	buffer_load_dword v164, off, s[0:3], 0 offset:892
	buffer_load_dword v180, off, s[0:3], 0 offset:904
	;; [unrolled: 1-line block ×5, first 2 shown]
	ds_read_b128 v[123:126], v175 offset:1568
	s_waitcnt vmcnt(57) lgkmcnt(1)
	v_mul_f64 v[207:208], v[1:2], v[139:140]
	v_mul_f64 v[139:140], v[3:4], v[139:140]
	s_waitcnt vmcnt(56)
	v_fma_f64 v[196:197], v[5:6], v[205:206], -v[196:197]
	v_add_f64 v[127:128], v[127:128], v[186:187]
	v_fma_f64 v[186:187], v[7:8], v[205:206], v[192:193]
	v_add_f64 v[129:130], v[129:130], v[169:170]
	s_clause 0x2
	buffer_load_dword v181, off, s[0:3], 0 offset:908
	buffer_load_dword v170, off, s[0:3], 0 offset:884
	;; [unrolled: 1-line block ×3, first 2 shown]
	ds_read_b128 v[5:8], v175 offset:1584
	s_waitcnt vmcnt(58) lgkmcnt(1)
	v_mul_f64 v[192:193], v[123:124], v[188:189]
	v_mul_f64 v[188:189], v[125:126], v[188:189]
	s_waitcnt vmcnt(56)
	v_fma_f64 v[139:140], v[1:2], v[133:134], -v[139:140]
	v_fma_f64 v[133:134], v[3:4], v[133:134], v[207:208]
	v_add_f64 v[127:128], v[127:128], v[196:197]
	v_add_f64 v[129:130], v[129:130], v[186:187]
	s_clause 0x2
	buffer_load_dword v187, off, s[0:3], 0 offset:924
	buffer_load_dword v186, off, s[0:3], 0 offset:920
	;; [unrolled: 1-line block ×3, first 2 shown]
	ds_read_b128 v[1:4], v175 offset:1600
	s_waitcnt vmcnt(55) lgkmcnt(1)
	v_mul_f64 v[196:197], v[5:6], v[176:177]
	v_mul_f64 v[176:177], v[7:8], v[176:177]
	s_waitcnt vmcnt(54)
	v_fma_f64 v[188:189], v[123:124], v[201:202], -v[188:189]
	v_add_f64 v[127:128], v[127:128], v[139:140]
	v_fma_f64 v[139:140], v[125:126], v[201:202], v[192:193]
	v_add_f64 v[129:130], v[129:130], v[133:134]
	s_clause 0x1
	buffer_load_dword v134, off, s[0:3], 0 offset:916
	buffer_load_dword v133, off, s[0:3], 0 offset:912
	ds_read_b128 v[123:126], v175 offset:1616
	s_waitcnt vmcnt(55) lgkmcnt(1)
	v_mul_f64 v[192:193], v[1:2], v[178:179]
	v_mul_f64 v[178:179], v[3:4], v[178:179]
	s_waitcnt vmcnt(53)
	v_fma_f64 v[176:177], v[5:6], v[135:136], -v[176:177]
	v_fma_f64 v[135:136], v[7:8], v[135:136], v[196:197]
	ds_read_b128 v[5:8], v175 offset:1632
	v_add_f64 v[127:128], v[127:128], v[188:189]
	v_add_f64 v[129:130], v[129:130], v[139:140]
	s_waitcnt vmcnt(49) lgkmcnt(1)
	v_mul_f64 v[139:140], v[123:124], v[131:132]
	v_mul_f64 v[131:132], v[125:126], v[131:132]
	s_waitcnt vmcnt(48)
	v_fma_f64 v[178:179], v[1:2], v[190:191], -v[178:179]
	v_add_f64 v[127:128], v[127:128], v[176:177]
	v_fma_f64 v[176:177], v[3:4], v[190:191], v[192:193]
	v_add_f64 v[129:130], v[129:130], v[135:136]
	s_clause 0x3
	buffer_load_dword v135, off, s[0:3], 0 offset:336
	buffer_load_dword v136, off, s[0:3], 0 offset:340
	;; [unrolled: 1-line block ×4, first 2 shown]
	ds_read_b128 v[1:4], v175 offset:1648
	s_waitcnt vmcnt(51) lgkmcnt(1)
	v_mul_f64 v[190:191], v[5:6], v[151:152]
	v_mul_f64 v[151:152], v[7:8], v[151:152]
	s_waitcnt vmcnt(49)
	v_fma_f64 v[131:132], v[123:124], v[141:142], -v[131:132]
	v_fma_f64 v[139:140], v[125:126], v[141:142], v[139:140]
	ds_read_b128 v[123:126], v175 offset:1664
	v_add_f64 v[127:128], v[127:128], v[178:179]
	v_add_f64 v[129:130], v[129:130], v[176:177]
	s_waitcnt vmcnt(45) lgkmcnt(1)
	v_mul_f64 v[141:142], v[1:2], v[137:138]
	v_mul_f64 v[137:138], v[3:4], v[137:138]
	s_waitcnt vmcnt(44)
	v_fma_f64 v[151:152], v[5:6], v[184:185], -v[151:152]
	v_add_f64 v[127:128], v[127:128], v[131:132]
	v_fma_f64 v[131:132], v[7:8], v[184:185], v[190:191]
	v_add_f64 v[129:130], v[129:130], v[139:140]
	s_waitcnt vmcnt(43) lgkmcnt(0)
	v_mul_f64 v[139:140], v[123:124], v[157:158]
	v_mul_f64 v[157:158], v[125:126], v[157:158]
	ds_read_b128 v[5:8], v175 offset:1680
	s_waitcnt vmcnt(41)
	v_fma_f64 v[141:142], v[3:4], v[147:148], v[141:142]
	v_fma_f64 v[137:138], v[1:2], v[147:148], -v[137:138]
	ds_read_b128 v[1:4], v175 offset:1696
	v_add_f64 v[127:128], v[127:128], v[151:152]
	v_add_f64 v[129:130], v[129:130], v[131:132]
	s_waitcnt vmcnt(37) lgkmcnt(1)
	v_mul_f64 v[131:132], v[5:6], v[143:144]
	v_mul_f64 v[143:144], v[7:8], v[143:144]
	s_waitcnt vmcnt(36)
	v_fma_f64 v[147:148], v[123:124], v[159:160], -v[157:158]
	v_add_f64 v[127:128], v[127:128], v[137:138]
	v_fma_f64 v[137:138], v[125:126], v[159:160], v[139:140]
	v_add_f64 v[129:130], v[129:130], v[141:142]
	ds_read_b128 v[123:126], v175 offset:1712
	s_waitcnt vmcnt(35) lgkmcnt(1)
	v_mul_f64 v[141:142], v[3:4], v[165:166]
	v_mul_f64 v[139:140], v[1:2], v[165:166]
	s_waitcnt vmcnt(33)
	v_fma_f64 v[143:144], v[5:6], v[145:146], -v[143:144]
	v_fma_f64 v[131:132], v[7:8], v[145:146], v[131:132]
	ds_read_b128 v[5:8], v175 offset:1728
	v_add_f64 v[127:128], v[127:128], v[147:148]
	v_add_f64 v[129:130], v[129:130], v[137:138]
	s_waitcnt vmcnt(29) lgkmcnt(1)
	v_mul_f64 v[145:146], v[125:126], v[149:150]
	s_waitcnt vmcnt(28)
	v_fma_f64 v[141:142], v[1:2], v[167:168], -v[141:142]
	v_mul_f64 v[137:138], v[123:124], v[149:150]
	v_fma_f64 v[139:140], v[3:4], v[167:168], v[139:140]
	ds_read_b128 v[1:4], v175 offset:1744
	v_add_f64 v[127:128], v[127:128], v[143:144]
	v_add_f64 v[129:130], v[129:130], v[131:132]
	s_waitcnt vmcnt(27) lgkmcnt(1)
	v_mul_f64 v[143:144], v[7:8], v[171:172]
	v_mul_f64 v[131:132], v[5:6], v[171:172]
	s_waitcnt vmcnt(25)
	v_fma_f64 v[145:146], v[123:124], v[153:154], -v[145:146]
	v_fma_f64 v[137:138], v[125:126], v[153:154], v[137:138]
	ds_read_b128 v[123:126], v175 offset:1760
	v_add_f64 v[127:128], v[127:128], v[141:142]
	v_add_f64 v[129:130], v[129:130], v[139:140]
	s_waitcnt vmcnt(21) lgkmcnt(1)
	v_mul_f64 v[141:142], v[3:4], v[155:156]
	s_waitcnt vmcnt(20)
	v_fma_f64 v[143:144], v[5:6], v[173:174], -v[143:144]
	v_mul_f64 v[139:140], v[1:2], v[155:156]
	v_fma_f64 v[131:132], v[7:8], v[173:174], v[131:132]
	ds_read_b128 v[5:8], v175 offset:1776
	v_add_f64 v[127:128], v[127:128], v[145:146]
	v_add_f64 v[129:130], v[129:130], v[137:138]
	;; [unrolled: 18-line block ×3, first 2 shown]
	s_waitcnt vmcnt(11) lgkmcnt(1)
	v_mul_f64 v[141:142], v[3:4], v[180:181]
	v_mul_f64 v[139:140], v[1:2], v[180:181]
	s_waitcnt vmcnt(9)
	v_fma_f64 v[5:6], v[5:6], v[169:170], -v[143:144]
	v_fma_f64 v[7:8], v[7:8], v[169:170], v[131:132]
	v_add_f64 v[127:128], v[127:128], v[145:146]
	v_add_f64 v[129:130], v[129:130], v[137:138]
	s_waitcnt vmcnt(7) lgkmcnt(0)
	v_mul_f64 v[137:138], v[125:126], v[186:187]
	s_waitcnt vmcnt(6)
	v_fma_f64 v[1:2], v[1:2], v[203:204], -v[141:142]
	v_mul_f64 v[131:132], v[123:124], v[186:187]
	v_fma_f64 v[3:4], v[3:4], v[203:204], v[139:140]
	v_add_f64 v[5:6], v[127:128], v[5:6]
	v_add_f64 v[7:8], v[129:130], v[7:8]
	s_waitcnt vmcnt(4)
	v_fma_f64 v[123:124], v[123:124], v[133:134], -v[137:138]
	v_add_f64 v[1:2], v[5:6], v[1:2]
	v_fma_f64 v[5:6], v[125:126], v[133:134], v[131:132]
	v_add_f64 v[3:4], v[7:8], v[3:4]
	v_add_f64 v[1:2], v[1:2], v[123:124]
	;; [unrolled: 1-line block ×3, first 2 shown]
	s_waitcnt vmcnt(2)
	v_add_f64 v[1:2], v[135:136], -v[1:2]
	s_waitcnt vmcnt(0)
	v_add_f64 v[3:4], v[188:189], -v[3:4]
	buffer_store_dword v2, off, s[0:3], 0 offset:340
	buffer_store_dword v1, off, s[0:3], 0 offset:336
	;; [unrolled: 1-line block ×4, first 2 shown]
	v_cmpx_lt_u32_e32 19, v0
	s_cbranch_execz .LBB120_317
; %bb.316:
	v_mov_b32_e32 v4, s50
	v_mov_b32_e32 v5, 0
	s_clause 0x3
	buffer_load_dword v1, v4, s[0:3], 0 offen
	buffer_load_dword v2, v4, s[0:3], 0 offen offset:4
	buffer_load_dword v3, v4, s[0:3], 0 offen offset:8
	;; [unrolled: 1-line block ×3, first 2 shown]
	buffer_store_dword v5, off, s[0:3], 0 offset:320
	buffer_store_dword v5, off, s[0:3], 0 offset:324
	buffer_store_dword v5, off, s[0:3], 0 offset:328
	buffer_store_dword v5, off, s[0:3], 0 offset:332
	s_waitcnt vmcnt(0)
	ds_write_b128 v183, v[1:4]
.LBB120_317:
	s_or_b32 exec_lo, exec_lo, s4
	s_waitcnt lgkmcnt(0)
	s_waitcnt_vscnt null, 0x0
	s_barrier
	buffer_gl0_inv
	s_clause 0x37
	buffer_load_dword v123, off, s[0:3], 0 offset:344
	buffer_load_dword v124, off, s[0:3], 0 offset:348
	;; [unrolled: 1-line block ×56, first 2 shown]
	v_mov_b32_e32 v175, 0
	s_mov_b32 s4, exec_lo
	ds_read_b128 v[176:179], v175 offset:1232
	s_clause 0x2
	buffer_load_dword v172, off, s[0:3], 0 offset:572
	buffer_load_dword v174, off, s[0:3], 0 offset:548
	;; [unrolled: 1-line block ×3, first 2 shown]
	ds_read_b128 v[184:187], v175 offset:1248
	s_clause 0x4
	buffer_load_dword v193, off, s[0:3], 0 offset:588
	buffer_load_dword v194, off, s[0:3], 0 offset:600
	;; [unrolled: 1-line block ×5, first 2 shown]
	ds_read_b128 v[188:191], v175 offset:1264
	s_clause 0x2
	buffer_load_dword v195, off, s[0:3], 0 offset:604
	buffer_load_dword v200, off, s[0:3], 0 offset:580
	;; [unrolled: 1-line block ×3, first 2 shown]
	s_waitcnt vmcnt(62) lgkmcnt(2)
	v_mul_f64 v[180:181], v[178:179], v[123:124]
	v_mul_f64 v[123:124], v[176:177], v[123:124]
	s_waitcnt lgkmcnt(1)
	v_mul_f64 v[197:198], v[186:187], v[5:6]
	s_waitcnt vmcnt(59) lgkmcnt(0)
	v_mul_f64 v[201:202], v[190:191], v[3:4]
	v_fma_f64 v[176:177], v[176:177], v[7:8], -v[180:181]
	v_mul_f64 v[180:181], v[184:185], v[5:6]
	v_fma_f64 v[123:124], v[178:179], v[7:8], v[123:124]
	s_waitcnt vmcnt(57)
	v_fma_f64 v[184:185], v[184:185], v[1:2], -v[197:198]
	ds_read_b128 v[5:8], v175 offset:1280
	v_mul_f64 v[178:179], v[188:189], v[3:4]
	s_waitcnt vmcnt(51)
	v_fma_f64 v[188:189], v[188:189], v[139:140], -v[201:202]
	v_add_f64 v[176:177], v[176:177], 0
	v_fma_f64 v[180:181], v[186:187], v[1:2], v[180:181]
	v_add_f64 v[123:124], v[123:124], 0
	s_clause 0x4
	buffer_load_dword v187, off, s[0:3], 0 offset:620
	buffer_load_dword v203, off, s[0:3], 0 offset:632
	;; [unrolled: 1-line block ×5, first 2 shown]
	s_waitcnt lgkmcnt(0)
	v_mul_f64 v[206:207], v[5:6], v[127:128]
	v_mul_f64 v[127:128], v[7:8], v[127:128]
	ds_read_b128 v[1:4], v175 offset:1296
	v_fma_f64 v[139:140], v[190:191], v[139:140], v[178:179]
	v_add_f64 v[184:185], v[176:177], v[184:185]
	v_add_f64 v[123:124], v[123:124], v[180:181]
	s_clause 0x2
	buffer_load_dword v204, off, s[0:3], 0 offset:636
	buffer_load_dword v181, off, s[0:3], 0 offset:612
	;; [unrolled: 1-line block ×3, first 2 shown]
	s_waitcnt vmcnt(58) lgkmcnt(0)
	v_mul_f64 v[190:191], v[1:2], v[131:132]
	v_mul_f64 v[131:132], v[3:4], v[131:132]
	s_waitcnt vmcnt(56)
	v_fma_f64 v[127:128], v[5:6], v[133:134], -v[127:128]
	ds_read_b128 v[176:179], v175 offset:1312
	v_fma_f64 v[133:134], v[7:8], v[133:134], v[206:207]
	v_add_f64 v[184:185], v[184:185], v[188:189]
	v_add_f64 v[123:124], v[123:124], v[139:140]
	s_clause 0x4
	buffer_load_dword v140, off, s[0:3], 0 offset:652
	buffer_load_dword v188, off, s[0:3], 0 offset:664
	;; [unrolled: 1-line block ×5, first 2 shown]
	ds_read_b128 v[5:8], v175 offset:1328
	s_waitcnt vmcnt(57) lgkmcnt(1)
	v_mul_f64 v[207:208], v[176:177], v[135:136]
	v_mul_f64 v[135:136], v[178:179], v[135:136]
	s_waitcnt vmcnt(56)
	v_fma_f64 v[131:132], v[1:2], v[125:126], -v[131:132]
	v_fma_f64 v[125:126], v[3:4], v[125:126], v[190:191]
	v_add_f64 v[127:128], v[184:185], v[127:128]
	v_add_f64 v[123:124], v[123:124], v[133:134]
	s_clause 0x2
	buffer_load_dword v189, off, s[0:3], 0 offset:668
	buffer_load_dword v134, off, s[0:3], 0 offset:644
	;; [unrolled: 1-line block ×3, first 2 shown]
	s_waitcnt vmcnt(58) lgkmcnt(0)
	v_mul_f64 v[184:185], v[5:6], v[141:142]
	v_mul_f64 v[141:142], v[7:8], v[141:142]
	s_waitcnt vmcnt(56)
	v_fma_f64 v[135:136], v[176:177], v[143:144], -v[135:136]
	ds_read_b128 v[1:4], v175 offset:1344
	v_add_f64 v[127:128], v[127:128], v[131:132]
	v_fma_f64 v[131:132], v[178:179], v[143:144], v[207:208]
	v_add_f64 v[143:144], v[123:124], v[125:126]
	s_clause 0x4
	buffer_load_dword v177, off, s[0:3], 0 offset:684
	buffer_load_dword v178, off, s[0:3], 0 offset:696
	;; [unrolled: 1-line block ×5, first 2 shown]
	ds_read_b128 v[123:126], v175 offset:1360
	s_waitcnt vmcnt(57) lgkmcnt(1)
	v_mul_f64 v[207:208], v[1:2], v[145:146]
	v_mul_f64 v[145:146], v[3:4], v[145:146]
	s_waitcnt vmcnt(56)
	v_fma_f64 v[141:142], v[5:6], v[129:130], -v[141:142]
	v_fma_f64 v[129:130], v[7:8], v[129:130], v[184:185]
	v_add_f64 v[127:128], v[127:128], v[135:136]
	s_clause 0x2
	buffer_load_dword v179, off, s[0:3], 0 offset:700
	buffer_load_dword v136, off, s[0:3], 0 offset:676
	;; [unrolled: 1-line block ×3, first 2 shown]
	v_add_f64 v[131:132], v[143:144], v[131:132]
	s_waitcnt vmcnt(58) lgkmcnt(0)
	v_mul_f64 v[143:144], v[123:124], v[149:150]
	v_mul_f64 v[149:150], v[125:126], v[149:150]
	ds_read_b128 v[5:8], v175 offset:1376
	s_waitcnt vmcnt(56)
	v_fma_f64 v[145:146], v[1:2], v[151:152], -v[145:146]
	v_add_f64 v[127:128], v[127:128], v[141:142]
	v_fma_f64 v[141:142], v[3:4], v[151:152], v[207:208]
	v_add_f64 v[129:130], v[131:132], v[129:130]
	s_clause 0x4
	buffer_load_dword v132, off, s[0:3], 0 offset:716
	buffer_load_dword v151, off, s[0:3], 0 offset:728
	;; [unrolled: 1-line block ×5, first 2 shown]
	s_waitcnt vmcnt(57) lgkmcnt(0)
	v_mul_f64 v[207:208], v[5:6], v[153:154]
	v_mul_f64 v[153:154], v[7:8], v[153:154]
	s_waitcnt vmcnt(56)
	v_fma_f64 v[149:150], v[123:124], v[137:138], -v[149:150]
	ds_read_b128 v[1:4], v175 offset:1392
	v_fma_f64 v[137:138], v[125:126], v[137:138], v[143:144]
	v_add_f64 v[127:128], v[127:128], v[145:146]
	v_add_f64 v[129:130], v[129:130], v[141:142]
	s_clause 0x2
	buffer_load_dword v152, off, s[0:3], 0 offset:732
	buffer_load_dword v142, off, s[0:3], 0 offset:708
	;; [unrolled: 1-line block ×3, first 2 shown]
	ds_read_b128 v[123:126], v175 offset:1408
	s_waitcnt vmcnt(58) lgkmcnt(1)
	v_mul_f64 v[145:146], v[3:4], v[157:158]
	s_waitcnt vmcnt(56)
	v_fma_f64 v[153:154], v[5:6], v[159:160], -v[153:154]
	v_mul_f64 v[143:144], v[1:2], v[157:158]
	v_add_f64 v[127:128], v[127:128], v[149:150]
	v_fma_f64 v[149:150], v[7:8], v[159:160], v[207:208]
	v_add_f64 v[129:130], v[129:130], v[137:138]
	s_clause 0x4
	buffer_load_dword v138, off, s[0:3], 0 offset:748
	buffer_load_dword v157, off, s[0:3], 0 offset:760
	;; [unrolled: 1-line block ×5, first 2 shown]
	s_waitcnt vmcnt(57) lgkmcnt(0)
	v_mul_f64 v[207:208], v[123:124], v[161:162]
	v_mul_f64 v[160:161], v[125:126], v[161:162]
	s_waitcnt vmcnt(56)
	v_fma_f64 v[145:146], v[1:2], v[147:148], -v[145:146]
	ds_read_b128 v[5:8], v175 offset:1424
	v_fma_f64 v[143:144], v[3:4], v[147:148], v[143:144]
	s_clause 0x2
	buffer_load_dword v158, off, s[0:3], 0 offset:764
	buffer_load_dword v148, off, s[0:3], 0 offset:740
	;; [unrolled: 1-line block ×3, first 2 shown]
	ds_read_b128 v[1:4], v175 offset:1440
	v_add_f64 v[127:128], v[127:128], v[153:154]
	v_add_f64 v[129:130], v[129:130], v[149:150]
	s_waitcnt vmcnt(58) lgkmcnt(1)
	v_mul_f64 v[153:154], v[7:8], v[165:166]
	s_waitcnt vmcnt(56)
	v_fma_f64 v[161:162], v[123:124], v[167:168], -v[160:161]
	v_mul_f64 v[149:150], v[5:6], v[165:166]
	v_add_f64 v[127:128], v[127:128], v[145:146]
	v_fma_f64 v[145:146], v[125:126], v[167:168], v[207:208]
	v_add_f64 v[129:130], v[129:130], v[143:144]
	s_clause 0x4
	buffer_load_dword v144, off, s[0:3], 0 offset:780
	buffer_load_dword v165, off, s[0:3], 0 offset:792
	;; [unrolled: 1-line block ×5, first 2 shown]
	s_waitcnt vmcnt(57) lgkmcnt(0)
	v_mul_f64 v[207:208], v[1:2], v[169:170]
	v_mul_f64 v[168:169], v[3:4], v[169:170]
	s_waitcnt vmcnt(56)
	v_fma_f64 v[153:154], v[5:6], v[155:156], -v[153:154]
	ds_read_b128 v[123:126], v175 offset:1456
	v_fma_f64 v[149:150], v[7:8], v[155:156], v[149:150]
	v_add_f64 v[127:128], v[127:128], v[161:162]
	v_add_f64 v[129:130], v[129:130], v[145:146]
	s_clause 0x2
	buffer_load_dword v166, off, s[0:3], 0 offset:796
	buffer_load_dword v146, off, s[0:3], 0 offset:772
	;; [unrolled: 1-line block ×3, first 2 shown]
	ds_read_b128 v[5:8], v175 offset:1472
	s_waitcnt vmcnt(58) lgkmcnt(1)
	v_mul_f64 v[161:162], v[125:126], v[171:172]
	s_waitcnt vmcnt(56)
	v_fma_f64 v[169:170], v[1:2], v[173:174], -v[168:169]
	v_mul_f64 v[155:156], v[123:124], v[171:172]
	v_add_f64 v[127:128], v[127:128], v[153:154]
	v_fma_f64 v[153:154], v[3:4], v[173:174], v[207:208]
	v_add_f64 v[129:130], v[129:130], v[149:150]
	s_clause 0x4
	buffer_load_dword v150, off, s[0:3], 0 offset:812
	buffer_load_dword v171, off, s[0:3], 0 offset:824
	;; [unrolled: 1-line block ×5, first 2 shown]
	s_waitcnt vmcnt(57) lgkmcnt(0)
	v_mul_f64 v[207:208], v[5:6], v[192:193]
	v_mul_f64 v[192:193], v[7:8], v[192:193]
	s_waitcnt vmcnt(56)
	v_fma_f64 v[161:162], v[123:124], v[163:164], -v[161:162]
	ds_read_b128 v[1:4], v175 offset:1488
	v_fma_f64 v[155:156], v[125:126], v[163:164], v[155:156]
	v_add_f64 v[127:128], v[127:128], v[169:170]
	v_add_f64 v[129:130], v[129:130], v[153:154]
	s_clause 0x2
	buffer_load_dword v172, off, s[0:3], 0 offset:828
	buffer_load_dword v154, off, s[0:3], 0 offset:804
	;; [unrolled: 1-line block ×3, first 2 shown]
	ds_read_b128 v[123:126], v175 offset:1504
	s_waitcnt vmcnt(58) lgkmcnt(1)
	v_mul_f64 v[169:170], v[3:4], v[194:195]
	s_waitcnt vmcnt(56)
	v_fma_f64 v[192:193], v[5:6], v[199:200], -v[192:193]
	v_mul_f64 v[163:164], v[1:2], v[194:195]
	v_add_f64 v[127:128], v[127:128], v[161:162]
	v_fma_f64 v[161:162], v[7:8], v[199:200], v[207:208]
	v_add_f64 v[129:130], v[129:130], v[155:156]
	s_clause 0x4
	buffer_load_dword v156, off, s[0:3], 0 offset:844
	buffer_load_dword v194, off, s[0:3], 0 offset:856
	;; [unrolled: 1-line block ×5, first 2 shown]
	ds_read_b128 v[5:8], v175 offset:1520
	s_waitcnt vmcnt(57) lgkmcnt(1)
	v_mul_f64 v[199:200], v[123:124], v[186:187]
	v_mul_f64 v[186:187], v[125:126], v[186:187]
	s_waitcnt vmcnt(56)
	v_fma_f64 v[169:170], v[1:2], v[196:197], -v[169:170]
	v_fma_f64 v[163:164], v[3:4], v[196:197], v[163:164]
	v_add_f64 v[127:128], v[127:128], v[192:193]
	v_add_f64 v[129:130], v[129:130], v[161:162]
	s_clause 0x2
	buffer_load_dword v195, off, s[0:3], 0 offset:860
	buffer_load_dword v162, off, s[0:3], 0 offset:836
	buffer_load_dword v161, off, s[0:3], 0 offset:832
	ds_read_b128 v[1:4], v175 offset:1536
	s_waitcnt vmcnt(58) lgkmcnt(1)
	v_mul_f64 v[196:197], v[7:8], v[203:204]
	v_mul_f64 v[192:193], v[5:6], v[203:204]
	s_waitcnt vmcnt(56)
	v_fma_f64 v[186:187], v[123:124], v[180:181], -v[186:187]
	v_add_f64 v[127:128], v[127:128], v[169:170]
	v_fma_f64 v[169:170], v[125:126], v[180:181], v[199:200]
	v_add_f64 v[129:130], v[129:130], v[163:164]
	s_clause 0x4
	buffer_load_dword v164, off, s[0:3], 0 offset:876
	buffer_load_dword v180, off, s[0:3], 0 offset:888
	;; [unrolled: 1-line block ×5, first 2 shown]
	ds_read_b128 v[123:126], v175 offset:1552
	s_waitcnt vmcnt(57) lgkmcnt(1)
	v_mul_f64 v[207:208], v[1:2], v[139:140]
	v_mul_f64 v[139:140], v[3:4], v[139:140]
	s_waitcnt vmcnt(56)
	v_fma_f64 v[196:197], v[5:6], v[205:206], -v[196:197]
	v_add_f64 v[127:128], v[127:128], v[186:187]
	v_fma_f64 v[186:187], v[7:8], v[205:206], v[192:193]
	v_add_f64 v[129:130], v[129:130], v[169:170]
	s_clause 0x2
	buffer_load_dword v181, off, s[0:3], 0 offset:892
	buffer_load_dword v170, off, s[0:3], 0 offset:868
	;; [unrolled: 1-line block ×3, first 2 shown]
	ds_read_b128 v[5:8], v175 offset:1568
	s_waitcnt vmcnt(58) lgkmcnt(1)
	v_mul_f64 v[192:193], v[123:124], v[188:189]
	v_mul_f64 v[188:189], v[125:126], v[188:189]
	s_waitcnt vmcnt(56)
	v_fma_f64 v[139:140], v[1:2], v[133:134], -v[139:140]
	v_fma_f64 v[133:134], v[3:4], v[133:134], v[207:208]
	v_add_f64 v[127:128], v[127:128], v[196:197]
	v_add_f64 v[129:130], v[129:130], v[186:187]
	s_clause 0x4
	buffer_load_dword v187, off, s[0:3], 0 offset:908
	buffer_load_dword v196, off, s[0:3], 0 offset:920
	;; [unrolled: 1-line block ×5, first 2 shown]
	ds_read_b128 v[1:4], v175 offset:1584
	s_waitcnt vmcnt(57) lgkmcnt(1)
	v_mul_f64 v[205:206], v[5:6], v[176:177]
	v_mul_f64 v[176:177], v[7:8], v[176:177]
	s_waitcnt vmcnt(56)
	v_fma_f64 v[188:189], v[123:124], v[201:202], -v[188:189]
	v_add_f64 v[127:128], v[127:128], v[139:140]
	v_fma_f64 v[139:140], v[125:126], v[201:202], v[192:193]
	v_add_f64 v[129:130], v[129:130], v[133:134]
	s_clause 0x2
	buffer_load_dword v197, off, s[0:3], 0 offset:924
	buffer_load_dword v134, off, s[0:3], 0 offset:900
	;; [unrolled: 1-line block ×3, first 2 shown]
	ds_read_b128 v[123:126], v175 offset:1600
	buffer_load_dword v201, off, s[0:3], 0 offset:916
	s_waitcnt vmcnt(59) lgkmcnt(1)
	v_mul_f64 v[192:193], v[1:2], v[178:179]
	v_mul_f64 v[178:179], v[3:4], v[178:179]
	s_waitcnt vmcnt(57)
	v_fma_f64 v[176:177], v[5:6], v[135:136], -v[176:177]
	v_fma_f64 v[135:136], v[7:8], v[135:136], v[205:206]
	ds_read_b128 v[5:8], v175 offset:1616
	v_add_f64 v[127:128], v[127:128], v[188:189]
	v_add_f64 v[129:130], v[129:130], v[139:140]
	s_waitcnt vmcnt(53) lgkmcnt(1)
	v_mul_f64 v[139:140], v[123:124], v[131:132]
	v_mul_f64 v[131:132], v[125:126], v[131:132]
	s_waitcnt vmcnt(52)
	v_fma_f64 v[178:179], v[1:2], v[190:191], -v[178:179]
	v_add_f64 v[127:128], v[127:128], v[176:177]
	v_fma_f64 v[176:177], v[3:4], v[190:191], v[192:193]
	v_add_f64 v[129:130], v[129:130], v[135:136]
	ds_read_b128 v[1:4], v175 offset:1632
	s_waitcnt vmcnt(51) lgkmcnt(1)
	v_mul_f64 v[135:136], v[5:6], v[151:152]
	v_mul_f64 v[151:152], v[7:8], v[151:152]
	s_waitcnt vmcnt(49)
	v_fma_f64 v[131:132], v[123:124], v[141:142], -v[131:132]
	v_fma_f64 v[139:140], v[125:126], v[141:142], v[139:140]
	v_add_f64 v[127:128], v[127:128], v[178:179]
	v_add_f64 v[129:130], v[129:130], v[176:177]
	s_clause 0x3
	buffer_load_dword v141, off, s[0:3], 0 offset:320
	buffer_load_dword v142, off, s[0:3], 0 offset:324
	;; [unrolled: 1-line block ×4, first 2 shown]
	ds_read_b128 v[123:126], v175 offset:1648
	s_waitcnt vmcnt(49) lgkmcnt(1)
	v_mul_f64 v[178:179], v[1:2], v[137:138]
	v_mul_f64 v[137:138], v[3:4], v[137:138]
	s_waitcnt vmcnt(48)
	v_fma_f64 v[151:152], v[5:6], v[184:185], -v[151:152]
	v_add_f64 v[127:128], v[127:128], v[131:132]
	v_fma_f64 v[131:132], v[7:8], v[184:185], v[135:136]
	v_add_f64 v[129:130], v[129:130], v[139:140]
	ds_read_b128 v[5:8], v175 offset:1664
	s_waitcnt vmcnt(47) lgkmcnt(1)
	v_mul_f64 v[139:140], v[125:126], v[157:158]
	v_mul_f64 v[135:136], v[123:124], v[157:158]
	s_waitcnt vmcnt(45)
	v_fma_f64 v[137:138], v[1:2], v[147:148], -v[137:138]
	v_fma_f64 v[147:148], v[3:4], v[147:148], v[178:179]
	ds_read_b128 v[1:4], v175 offset:1680
	v_add_f64 v[127:128], v[127:128], v[151:152]
	v_add_f64 v[129:130], v[129:130], v[131:132]
	s_waitcnt vmcnt(41) lgkmcnt(1)
	v_mul_f64 v[131:132], v[5:6], v[143:144]
	v_mul_f64 v[143:144], v[7:8], v[143:144]
	s_waitcnt vmcnt(40)
	v_fma_f64 v[139:140], v[123:124], v[159:160], -v[139:140]
	v_fma_f64 v[135:136], v[125:126], v[159:160], v[135:136]
	ds_read_b128 v[123:126], v175 offset:1696
	v_add_f64 v[127:128], v[127:128], v[137:138]
	v_add_f64 v[129:130], v[129:130], v[147:148]
	s_waitcnt vmcnt(39) lgkmcnt(1)
	v_mul_f64 v[147:148], v[3:4], v[165:166]
	v_mul_f64 v[137:138], v[1:2], v[165:166]
	s_waitcnt vmcnt(37)
	v_fma_f64 v[143:144], v[5:6], v[145:146], -v[143:144]
	v_fma_f64 v[131:132], v[7:8], v[145:146], v[131:132]
	ds_read_b128 v[5:8], v175 offset:1712
	v_add_f64 v[127:128], v[127:128], v[139:140]
	v_add_f64 v[129:130], v[129:130], v[135:136]
	s_waitcnt vmcnt(33) lgkmcnt(1)
	v_mul_f64 v[139:140], v[125:126], v[149:150]
	s_waitcnt vmcnt(32)
	v_fma_f64 v[145:146], v[1:2], v[167:168], -v[147:148]
	v_mul_f64 v[135:136], v[123:124], v[149:150]
	v_fma_f64 v[137:138], v[3:4], v[167:168], v[137:138]
	ds_read_b128 v[1:4], v175 offset:1728
	v_add_f64 v[127:128], v[127:128], v[143:144]
	v_add_f64 v[129:130], v[129:130], v[131:132]
	s_waitcnt vmcnt(31) lgkmcnt(1)
	v_mul_f64 v[143:144], v[7:8], v[171:172]
	v_mul_f64 v[131:132], v[5:6], v[171:172]
	s_waitcnt vmcnt(29)
	v_fma_f64 v[139:140], v[123:124], v[153:154], -v[139:140]
	v_fma_f64 v[135:136], v[125:126], v[153:154], v[135:136]
	ds_read_b128 v[123:126], v175 offset:1744
	v_add_f64 v[127:128], v[127:128], v[145:146]
	v_add_f64 v[129:130], v[129:130], v[137:138]
	s_waitcnt vmcnt(25) lgkmcnt(1)
	v_mul_f64 v[145:146], v[3:4], v[155:156]
	s_waitcnt vmcnt(24)
	v_fma_f64 v[143:144], v[5:6], v[173:174], -v[143:144]
	v_mul_f64 v[137:138], v[1:2], v[155:156]
	v_fma_f64 v[131:132], v[7:8], v[173:174], v[131:132]
	ds_read_b128 v[5:8], v175 offset:1760
	v_add_f64 v[127:128], v[127:128], v[139:140]
	v_add_f64 v[129:130], v[129:130], v[135:136]
	s_waitcnt vmcnt(23) lgkmcnt(1)
	v_mul_f64 v[139:140], v[125:126], v[194:195]
	v_mul_f64 v[135:136], v[123:124], v[194:195]
	s_waitcnt vmcnt(21)
	v_fma_f64 v[145:146], v[1:2], v[161:162], -v[145:146]
	v_fma_f64 v[137:138], v[3:4], v[161:162], v[137:138]
	ds_read_b128 v[1:4], v175 offset:1776
	v_add_f64 v[127:128], v[127:128], v[143:144]
	v_add_f64 v[129:130], v[129:130], v[131:132]
	;; [unrolled: 18-line block ×3, first 2 shown]
	s_waitcnt vmcnt(9) lgkmcnt(1)
	v_mul_f64 v[139:140], v[125:126], v[186:187]
	s_waitcnt vmcnt(8)
	v_fma_f64 v[1:2], v[1:2], v[203:204], -v[145:146]
	v_mul_f64 v[135:136], v[123:124], v[186:187]
	v_fma_f64 v[3:4], v[3:4], v[203:204], v[137:138]
	v_add_f64 v[127:128], v[127:128], v[143:144]
	v_add_f64 v[129:130], v[129:130], v[131:132]
	s_waitcnt vmcnt(7) lgkmcnt(0)
	v_mul_f64 v[137:138], v[7:8], v[196:197]
	v_mul_f64 v[131:132], v[5:6], v[196:197]
	s_waitcnt vmcnt(5)
	v_fma_f64 v[123:124], v[123:124], v[133:134], -v[139:140]
	v_fma_f64 v[125:126], v[125:126], v[133:134], v[135:136]
	v_add_f64 v[1:2], v[127:128], v[1:2]
	v_add_f64 v[3:4], v[129:130], v[3:4]
	s_waitcnt vmcnt(4)
	v_fma_f64 v[5:6], v[5:6], v[200:201], -v[137:138]
	v_fma_f64 v[7:8], v[7:8], v[200:201], v[131:132]
	v_add_f64 v[1:2], v[1:2], v[123:124]
	v_add_f64 v[3:4], v[3:4], v[125:126]
	;; [unrolled: 1-line block ×4, first 2 shown]
	s_waitcnt vmcnt(2)
	v_add_f64 v[1:2], v[141:142], -v[1:2]
	s_waitcnt vmcnt(0)
	v_add_f64 v[3:4], v[176:177], -v[3:4]
	buffer_store_dword v2, off, s[0:3], 0 offset:324
	buffer_store_dword v1, off, s[0:3], 0 offset:320
	;; [unrolled: 1-line block ×4, first 2 shown]
	v_cmpx_lt_u32_e32 18, v0
	s_cbranch_execz .LBB120_319
; %bb.318:
	v_mov_b32_e32 v4, s51
	s_clause 0x3
	buffer_load_dword v1, v4, s[0:3], 0 offen
	buffer_load_dword v2, v4, s[0:3], 0 offen offset:4
	buffer_load_dword v3, v4, s[0:3], 0 offen offset:8
	;; [unrolled: 1-line block ×3, first 2 shown]
	buffer_store_dword v175, off, s[0:3], 0 offset:304
	buffer_store_dword v175, off, s[0:3], 0 offset:308
	;; [unrolled: 1-line block ×4, first 2 shown]
	s_waitcnt vmcnt(0)
	ds_write_b128 v183, v[1:4]
.LBB120_319:
	s_or_b32 exec_lo, exec_lo, s4
	s_waitcnt lgkmcnt(0)
	s_waitcnt_vscnt null, 0x0
	s_barrier
	buffer_gl0_inv
	s_clause 0x37
	buffer_load_dword v123, off, s[0:3], 0 offset:328
	buffer_load_dword v124, off, s[0:3], 0 offset:332
	buffer_load_dword v5, off, s[0:3], 0 offset:344
	buffer_load_dword v6, off, s[0:3], 0 offset:348
	buffer_load_dword v7, off, s[0:3], 0 offset:320
	buffer_load_dword v8, off, s[0:3], 0 offset:324
	buffer_load_dword v3, off, s[0:3], 0 offset:360
	buffer_load_dword v4, off, s[0:3], 0 offset:364
	buffer_load_dword v1, off, s[0:3], 0 offset:336
	buffer_load_dword v2, off, s[0:3], 0 offset:340
	buffer_load_dword v128, off, s[0:3], 0 offset:380
	buffer_load_dword v131, off, s[0:3], 0 offset:392
	buffer_load_dword v125, off, s[0:3], 0 offset:384
	buffer_load_dword v127, off, s[0:3], 0 offset:376
	buffer_load_dword v139, off, s[0:3], 0 offset:352
	buffer_load_dword v140, off, s[0:3], 0 offset:356
	buffer_load_dword v132, off, s[0:3], 0 offset:396
	buffer_load_dword v134, off, s[0:3], 0 offset:372
	buffer_load_dword v133, off, s[0:3], 0 offset:368
	buffer_load_dword v136, off, s[0:3], 0 offset:412
	buffer_load_dword v141, off, s[0:3], 0 offset:424
	buffer_load_dword v129, off, s[0:3], 0 offset:416
	buffer_load_dword v135, off, s[0:3], 0 offset:408
	buffer_load_dword v126, off, s[0:3], 0 offset:388
	buffer_load_dword v142, off, s[0:3], 0 offset:428
	buffer_load_dword v144, off, s[0:3], 0 offset:404
	buffer_load_dword v143, off, s[0:3], 0 offset:400
	buffer_load_dword v146, off, s[0:3], 0 offset:444
	buffer_load_dword v149, off, s[0:3], 0 offset:456
	buffer_load_dword v137, off, s[0:3], 0 offset:448
	buffer_load_dword v145, off, s[0:3], 0 offset:440
	buffer_load_dword v130, off, s[0:3], 0 offset:420
	buffer_load_dword v150, off, s[0:3], 0 offset:460
	buffer_load_dword v152, off, s[0:3], 0 offset:436
	buffer_load_dword v151, off, s[0:3], 0 offset:432
	buffer_load_dword v154, off, s[0:3], 0 offset:476
	buffer_load_dword v157, off, s[0:3], 0 offset:488
	buffer_load_dword v147, off, s[0:3], 0 offset:480
	buffer_load_dword v153, off, s[0:3], 0 offset:472
	buffer_load_dword v138, off, s[0:3], 0 offset:452
	buffer_load_dword v158, off, s[0:3], 0 offset:492
	buffer_load_dword v160, off, s[0:3], 0 offset:468
	buffer_load_dword v159, off, s[0:3], 0 offset:464
	buffer_load_dword v162, off, s[0:3], 0 offset:508
	buffer_load_dword v165, off, s[0:3], 0 offset:520
	buffer_load_dword v155, off, s[0:3], 0 offset:512
	buffer_load_dword v161, off, s[0:3], 0 offset:504
	buffer_load_dword v148, off, s[0:3], 0 offset:484
	buffer_load_dword v166, off, s[0:3], 0 offset:524
	buffer_load_dword v168, off, s[0:3], 0 offset:500
	buffer_load_dword v167, off, s[0:3], 0 offset:496
	buffer_load_dword v170, off, s[0:3], 0 offset:540
	buffer_load_dword v171, off, s[0:3], 0 offset:552
	buffer_load_dword v163, off, s[0:3], 0 offset:544
	buffer_load_dword v169, off, s[0:3], 0 offset:536
	buffer_load_dword v156, off, s[0:3], 0 offset:516
	ds_read_b128 v[176:179], v175 offset:1216
	s_clause 0x2
	buffer_load_dword v172, off, s[0:3], 0 offset:556
	buffer_load_dword v174, off, s[0:3], 0 offset:532
	;; [unrolled: 1-line block ×3, first 2 shown]
	ds_read_b128 v[184:187], v175 offset:1232
	s_clause 0x4
	buffer_load_dword v193, off, s[0:3], 0 offset:572
	buffer_load_dword v194, off, s[0:3], 0 offset:584
	;; [unrolled: 1-line block ×5, first 2 shown]
	ds_read_b128 v[188:191], v175 offset:1248
	s_clause 0x2
	buffer_load_dword v195, off, s[0:3], 0 offset:588
	buffer_load_dword v200, off, s[0:3], 0 offset:564
	;; [unrolled: 1-line block ×3, first 2 shown]
	s_mov_b32 s4, exec_lo
	s_waitcnt vmcnt(62) lgkmcnt(2)
	v_mul_f64 v[180:181], v[178:179], v[123:124]
	v_mul_f64 v[123:124], v[176:177], v[123:124]
	s_waitcnt lgkmcnt(1)
	v_mul_f64 v[197:198], v[186:187], v[5:6]
	s_waitcnt vmcnt(59) lgkmcnt(0)
	v_mul_f64 v[201:202], v[190:191], v[3:4]
	v_fma_f64 v[176:177], v[176:177], v[7:8], -v[180:181]
	v_mul_f64 v[180:181], v[184:185], v[5:6]
	v_fma_f64 v[123:124], v[178:179], v[7:8], v[123:124]
	s_waitcnt vmcnt(57)
	v_fma_f64 v[184:185], v[184:185], v[1:2], -v[197:198]
	ds_read_b128 v[5:8], v175 offset:1264
	v_mul_f64 v[178:179], v[188:189], v[3:4]
	s_waitcnt vmcnt(51)
	v_fma_f64 v[188:189], v[188:189], v[139:140], -v[201:202]
	v_add_f64 v[176:177], v[176:177], 0
	v_fma_f64 v[180:181], v[186:187], v[1:2], v[180:181]
	v_add_f64 v[123:124], v[123:124], 0
	s_clause 0x4
	buffer_load_dword v187, off, s[0:3], 0 offset:604
	buffer_load_dword v203, off, s[0:3], 0 offset:616
	buffer_load_dword v205, off, s[0:3], 0 offset:608
	buffer_load_dword v186, off, s[0:3], 0 offset:600
	buffer_load_dword v197, off, s[0:3], 0 offset:580
	s_waitcnt lgkmcnt(0)
	v_mul_f64 v[206:207], v[5:6], v[127:128]
	v_mul_f64 v[127:128], v[7:8], v[127:128]
	ds_read_b128 v[1:4], v175 offset:1280
	v_fma_f64 v[139:140], v[190:191], v[139:140], v[178:179]
	v_add_f64 v[184:185], v[176:177], v[184:185]
	v_add_f64 v[123:124], v[123:124], v[180:181]
	s_clause 0x2
	buffer_load_dword v204, off, s[0:3], 0 offset:620
	buffer_load_dword v181, off, s[0:3], 0 offset:596
	buffer_load_dword v180, off, s[0:3], 0 offset:592
	s_waitcnt vmcnt(58) lgkmcnt(0)
	v_mul_f64 v[190:191], v[1:2], v[131:132]
	v_mul_f64 v[131:132], v[3:4], v[131:132]
	s_waitcnt vmcnt(56)
	v_fma_f64 v[127:128], v[5:6], v[133:134], -v[127:128]
	ds_read_b128 v[176:179], v175 offset:1296
	v_fma_f64 v[133:134], v[7:8], v[133:134], v[206:207]
	v_add_f64 v[184:185], v[184:185], v[188:189]
	v_add_f64 v[123:124], v[123:124], v[139:140]
	s_clause 0x4
	buffer_load_dword v140, off, s[0:3], 0 offset:636
	buffer_load_dword v188, off, s[0:3], 0 offset:648
	;; [unrolled: 1-line block ×5, first 2 shown]
	ds_read_b128 v[5:8], v175 offset:1312
	s_waitcnt vmcnt(57) lgkmcnt(1)
	v_mul_f64 v[207:208], v[176:177], v[135:136]
	v_mul_f64 v[135:136], v[178:179], v[135:136]
	s_waitcnt vmcnt(56)
	v_fma_f64 v[131:132], v[1:2], v[125:126], -v[131:132]
	v_fma_f64 v[125:126], v[3:4], v[125:126], v[190:191]
	v_add_f64 v[127:128], v[184:185], v[127:128]
	v_add_f64 v[123:124], v[123:124], v[133:134]
	s_clause 0x2
	buffer_load_dword v189, off, s[0:3], 0 offset:652
	buffer_load_dword v134, off, s[0:3], 0 offset:628
	;; [unrolled: 1-line block ×3, first 2 shown]
	s_waitcnt vmcnt(58) lgkmcnt(0)
	v_mul_f64 v[184:185], v[5:6], v[141:142]
	v_mul_f64 v[141:142], v[7:8], v[141:142]
	s_waitcnt vmcnt(56)
	v_fma_f64 v[135:136], v[176:177], v[143:144], -v[135:136]
	ds_read_b128 v[1:4], v175 offset:1328
	v_add_f64 v[127:128], v[127:128], v[131:132]
	v_fma_f64 v[131:132], v[178:179], v[143:144], v[207:208]
	v_add_f64 v[143:144], v[123:124], v[125:126]
	s_clause 0x4
	buffer_load_dword v177, off, s[0:3], 0 offset:668
	buffer_load_dword v178, off, s[0:3], 0 offset:680
	buffer_load_dword v190, off, s[0:3], 0 offset:672
	buffer_load_dword v176, off, s[0:3], 0 offset:664
	buffer_load_dword v202, off, s[0:3], 0 offset:644
	ds_read_b128 v[123:126], v175 offset:1344
	s_waitcnt vmcnt(57) lgkmcnt(1)
	v_mul_f64 v[207:208], v[1:2], v[145:146]
	v_mul_f64 v[145:146], v[3:4], v[145:146]
	s_waitcnt vmcnt(56)
	v_fma_f64 v[141:142], v[5:6], v[129:130], -v[141:142]
	v_fma_f64 v[129:130], v[7:8], v[129:130], v[184:185]
	v_add_f64 v[127:128], v[127:128], v[135:136]
	s_clause 0x2
	buffer_load_dword v179, off, s[0:3], 0 offset:684
	buffer_load_dword v136, off, s[0:3], 0 offset:660
	;; [unrolled: 1-line block ×3, first 2 shown]
	v_add_f64 v[131:132], v[143:144], v[131:132]
	s_waitcnt vmcnt(58) lgkmcnt(0)
	v_mul_f64 v[143:144], v[123:124], v[149:150]
	v_mul_f64 v[149:150], v[125:126], v[149:150]
	ds_read_b128 v[5:8], v175 offset:1360
	s_waitcnt vmcnt(56)
	v_fma_f64 v[145:146], v[1:2], v[151:152], -v[145:146]
	v_add_f64 v[127:128], v[127:128], v[141:142]
	v_fma_f64 v[141:142], v[3:4], v[151:152], v[207:208]
	v_add_f64 v[129:130], v[131:132], v[129:130]
	s_clause 0x4
	buffer_load_dword v132, off, s[0:3], 0 offset:700
	buffer_load_dword v151, off, s[0:3], 0 offset:712
	;; [unrolled: 1-line block ×5, first 2 shown]
	s_waitcnt vmcnt(57) lgkmcnt(0)
	v_mul_f64 v[207:208], v[5:6], v[153:154]
	v_mul_f64 v[153:154], v[7:8], v[153:154]
	s_waitcnt vmcnt(56)
	v_fma_f64 v[149:150], v[123:124], v[137:138], -v[149:150]
	ds_read_b128 v[1:4], v175 offset:1376
	v_fma_f64 v[137:138], v[125:126], v[137:138], v[143:144]
	v_add_f64 v[127:128], v[127:128], v[145:146]
	v_add_f64 v[129:130], v[129:130], v[141:142]
	s_clause 0x2
	buffer_load_dword v152, off, s[0:3], 0 offset:716
	buffer_load_dword v142, off, s[0:3], 0 offset:692
	;; [unrolled: 1-line block ×3, first 2 shown]
	ds_read_b128 v[123:126], v175 offset:1392
	s_waitcnt vmcnt(58) lgkmcnt(1)
	v_mul_f64 v[145:146], v[3:4], v[157:158]
	s_waitcnt vmcnt(56)
	v_fma_f64 v[153:154], v[5:6], v[159:160], -v[153:154]
	v_mul_f64 v[143:144], v[1:2], v[157:158]
	v_add_f64 v[127:128], v[127:128], v[149:150]
	v_fma_f64 v[149:150], v[7:8], v[159:160], v[207:208]
	v_add_f64 v[129:130], v[129:130], v[137:138]
	s_clause 0x4
	buffer_load_dword v138, off, s[0:3], 0 offset:732
	buffer_load_dword v157, off, s[0:3], 0 offset:744
	;; [unrolled: 1-line block ×5, first 2 shown]
	s_waitcnt vmcnt(57) lgkmcnt(0)
	v_mul_f64 v[207:208], v[123:124], v[161:162]
	v_mul_f64 v[160:161], v[125:126], v[161:162]
	s_waitcnt vmcnt(56)
	v_fma_f64 v[145:146], v[1:2], v[147:148], -v[145:146]
	ds_read_b128 v[5:8], v175 offset:1408
	v_fma_f64 v[143:144], v[3:4], v[147:148], v[143:144]
	s_clause 0x2
	buffer_load_dword v158, off, s[0:3], 0 offset:748
	buffer_load_dword v148, off, s[0:3], 0 offset:724
	;; [unrolled: 1-line block ×3, first 2 shown]
	ds_read_b128 v[1:4], v175 offset:1424
	v_add_f64 v[127:128], v[127:128], v[153:154]
	v_add_f64 v[129:130], v[129:130], v[149:150]
	s_waitcnt vmcnt(58) lgkmcnt(1)
	v_mul_f64 v[153:154], v[7:8], v[165:166]
	s_waitcnt vmcnt(56)
	v_fma_f64 v[161:162], v[123:124], v[167:168], -v[160:161]
	v_mul_f64 v[149:150], v[5:6], v[165:166]
	v_add_f64 v[127:128], v[127:128], v[145:146]
	v_fma_f64 v[145:146], v[125:126], v[167:168], v[207:208]
	v_add_f64 v[129:130], v[129:130], v[143:144]
	s_clause 0x4
	buffer_load_dword v144, off, s[0:3], 0 offset:764
	buffer_load_dword v165, off, s[0:3], 0 offset:776
	;; [unrolled: 1-line block ×5, first 2 shown]
	s_waitcnt vmcnt(57) lgkmcnt(0)
	v_mul_f64 v[207:208], v[1:2], v[169:170]
	v_mul_f64 v[168:169], v[3:4], v[169:170]
	s_waitcnt vmcnt(56)
	v_fma_f64 v[153:154], v[5:6], v[155:156], -v[153:154]
	ds_read_b128 v[123:126], v175 offset:1440
	v_fma_f64 v[149:150], v[7:8], v[155:156], v[149:150]
	v_add_f64 v[127:128], v[127:128], v[161:162]
	v_add_f64 v[129:130], v[129:130], v[145:146]
	s_clause 0x2
	buffer_load_dword v166, off, s[0:3], 0 offset:780
	buffer_load_dword v146, off, s[0:3], 0 offset:756
	;; [unrolled: 1-line block ×3, first 2 shown]
	ds_read_b128 v[5:8], v175 offset:1456
	s_waitcnt vmcnt(58) lgkmcnt(1)
	v_mul_f64 v[161:162], v[125:126], v[171:172]
	s_waitcnt vmcnt(56)
	v_fma_f64 v[169:170], v[1:2], v[173:174], -v[168:169]
	v_mul_f64 v[155:156], v[123:124], v[171:172]
	v_add_f64 v[127:128], v[127:128], v[153:154]
	v_fma_f64 v[153:154], v[3:4], v[173:174], v[207:208]
	v_add_f64 v[129:130], v[129:130], v[149:150]
	s_clause 0x4
	buffer_load_dword v150, off, s[0:3], 0 offset:796
	buffer_load_dword v171, off, s[0:3], 0 offset:808
	;; [unrolled: 1-line block ×5, first 2 shown]
	s_waitcnt vmcnt(57) lgkmcnt(0)
	v_mul_f64 v[207:208], v[5:6], v[192:193]
	v_mul_f64 v[192:193], v[7:8], v[192:193]
	s_waitcnt vmcnt(56)
	v_fma_f64 v[161:162], v[123:124], v[163:164], -v[161:162]
	ds_read_b128 v[1:4], v175 offset:1472
	v_fma_f64 v[155:156], v[125:126], v[163:164], v[155:156]
	v_add_f64 v[127:128], v[127:128], v[169:170]
	v_add_f64 v[129:130], v[129:130], v[153:154]
	s_clause 0x2
	buffer_load_dword v172, off, s[0:3], 0 offset:812
	buffer_load_dword v154, off, s[0:3], 0 offset:788
	;; [unrolled: 1-line block ×3, first 2 shown]
	ds_read_b128 v[123:126], v175 offset:1488
	s_waitcnt vmcnt(58) lgkmcnt(1)
	v_mul_f64 v[169:170], v[3:4], v[194:195]
	s_waitcnt vmcnt(56)
	v_fma_f64 v[192:193], v[5:6], v[199:200], -v[192:193]
	v_mul_f64 v[163:164], v[1:2], v[194:195]
	v_add_f64 v[127:128], v[127:128], v[161:162]
	v_fma_f64 v[161:162], v[7:8], v[199:200], v[207:208]
	v_add_f64 v[129:130], v[129:130], v[155:156]
	s_clause 0x4
	buffer_load_dword v156, off, s[0:3], 0 offset:828
	buffer_load_dword v194, off, s[0:3], 0 offset:840
	;; [unrolled: 1-line block ×5, first 2 shown]
	ds_read_b128 v[5:8], v175 offset:1504
	s_waitcnt vmcnt(57) lgkmcnt(1)
	v_mul_f64 v[199:200], v[123:124], v[186:187]
	v_mul_f64 v[186:187], v[125:126], v[186:187]
	s_waitcnt vmcnt(56)
	v_fma_f64 v[169:170], v[1:2], v[196:197], -v[169:170]
	v_fma_f64 v[163:164], v[3:4], v[196:197], v[163:164]
	v_add_f64 v[127:128], v[127:128], v[192:193]
	v_add_f64 v[129:130], v[129:130], v[161:162]
	s_clause 0x2
	buffer_load_dword v195, off, s[0:3], 0 offset:844
	buffer_load_dword v162, off, s[0:3], 0 offset:820
	;; [unrolled: 1-line block ×3, first 2 shown]
	ds_read_b128 v[1:4], v175 offset:1520
	s_waitcnt vmcnt(58) lgkmcnt(1)
	v_mul_f64 v[196:197], v[7:8], v[203:204]
	v_mul_f64 v[192:193], v[5:6], v[203:204]
	s_waitcnt vmcnt(56)
	v_fma_f64 v[186:187], v[123:124], v[180:181], -v[186:187]
	v_add_f64 v[127:128], v[127:128], v[169:170]
	v_fma_f64 v[169:170], v[125:126], v[180:181], v[199:200]
	v_add_f64 v[129:130], v[129:130], v[163:164]
	s_clause 0x4
	buffer_load_dword v164, off, s[0:3], 0 offset:860
	buffer_load_dword v180, off, s[0:3], 0 offset:872
	buffer_load_dword v203, off, s[0:3], 0 offset:864
	buffer_load_dword v163, off, s[0:3], 0 offset:856
	buffer_load_dword v199, off, s[0:3], 0 offset:836
	ds_read_b128 v[123:126], v175 offset:1536
	s_waitcnt vmcnt(57) lgkmcnt(1)
	v_mul_f64 v[207:208], v[1:2], v[139:140]
	v_mul_f64 v[139:140], v[3:4], v[139:140]
	s_waitcnt vmcnt(56)
	v_fma_f64 v[196:197], v[5:6], v[205:206], -v[196:197]
	v_add_f64 v[127:128], v[127:128], v[186:187]
	v_fma_f64 v[186:187], v[7:8], v[205:206], v[192:193]
	v_add_f64 v[129:130], v[129:130], v[169:170]
	s_clause 0x2
	buffer_load_dword v181, off, s[0:3], 0 offset:876
	buffer_load_dword v170, off, s[0:3], 0 offset:852
	;; [unrolled: 1-line block ×3, first 2 shown]
	ds_read_b128 v[5:8], v175 offset:1552
	s_waitcnt vmcnt(58) lgkmcnt(1)
	v_mul_f64 v[192:193], v[123:124], v[188:189]
	v_mul_f64 v[188:189], v[125:126], v[188:189]
	s_waitcnt vmcnt(56)
	v_fma_f64 v[139:140], v[1:2], v[133:134], -v[139:140]
	v_fma_f64 v[133:134], v[3:4], v[133:134], v[207:208]
	v_add_f64 v[127:128], v[127:128], v[196:197]
	v_add_f64 v[129:130], v[129:130], v[186:187]
	s_clause 0x4
	buffer_load_dword v187, off, s[0:3], 0 offset:892
	buffer_load_dword v196, off, s[0:3], 0 offset:904
	;; [unrolled: 1-line block ×5, first 2 shown]
	ds_read_b128 v[1:4], v175 offset:1568
	s_waitcnt vmcnt(57) lgkmcnt(1)
	v_mul_f64 v[205:206], v[5:6], v[176:177]
	v_mul_f64 v[176:177], v[7:8], v[176:177]
	s_waitcnt vmcnt(56)
	v_fma_f64 v[188:189], v[123:124], v[201:202], -v[188:189]
	v_add_f64 v[127:128], v[127:128], v[139:140]
	v_fma_f64 v[139:140], v[125:126], v[201:202], v[192:193]
	v_add_f64 v[129:130], v[129:130], v[133:134]
	s_clause 0x2
	buffer_load_dword v197, off, s[0:3], 0 offset:908
	buffer_load_dword v134, off, s[0:3], 0 offset:884
	;; [unrolled: 1-line block ×3, first 2 shown]
	ds_read_b128 v[123:126], v175 offset:1584
	s_waitcnt vmcnt(58) lgkmcnt(1)
	v_mul_f64 v[192:193], v[1:2], v[178:179]
	v_mul_f64 v[178:179], v[3:4], v[178:179]
	s_waitcnt vmcnt(56)
	v_fma_f64 v[176:177], v[5:6], v[135:136], -v[176:177]
	v_fma_f64 v[135:136], v[7:8], v[135:136], v[205:206]
	v_add_f64 v[127:128], v[127:128], v[188:189]
	v_add_f64 v[129:130], v[129:130], v[139:140]
	s_clause 0x2
	buffer_load_dword v140, off, s[0:3], 0 offset:924
	buffer_load_dword v139, off, s[0:3], 0 offset:920
	;; [unrolled: 1-line block ×3, first 2 shown]
	ds_read_b128 v[5:8], v175 offset:1600
	s_waitcnt vmcnt(55) lgkmcnt(1)
	v_mul_f64 v[188:189], v[123:124], v[131:132]
	v_mul_f64 v[131:132], v[125:126], v[131:132]
	s_waitcnt vmcnt(54)
	v_fma_f64 v[178:179], v[1:2], v[190:191], -v[178:179]
	v_add_f64 v[127:128], v[127:128], v[176:177]
	v_fma_f64 v[176:177], v[3:4], v[190:191], v[192:193]
	v_add_f64 v[129:130], v[129:130], v[135:136]
	s_clause 0x1
	buffer_load_dword v136, off, s[0:3], 0 offset:916
	buffer_load_dword v135, off, s[0:3], 0 offset:912
	ds_read_b128 v[1:4], v175 offset:1616
	s_waitcnt vmcnt(55) lgkmcnt(1)
	v_mul_f64 v[190:191], v[5:6], v[151:152]
	v_mul_f64 v[151:152], v[7:8], v[151:152]
	s_waitcnt vmcnt(53)
	v_fma_f64 v[131:132], v[123:124], v[141:142], -v[131:132]
	v_fma_f64 v[141:142], v[125:126], v[141:142], v[188:189]
	ds_read_b128 v[123:126], v175 offset:1632
	v_add_f64 v[127:128], v[127:128], v[178:179]
	v_add_f64 v[129:130], v[129:130], v[176:177]
	s_waitcnt vmcnt(49) lgkmcnt(1)
	v_mul_f64 v[176:177], v[1:2], v[137:138]
	v_mul_f64 v[137:138], v[3:4], v[137:138]
	s_waitcnt vmcnt(48)
	v_fma_f64 v[151:152], v[5:6], v[184:185], -v[151:152]
	v_add_f64 v[127:128], v[127:128], v[131:132]
	v_fma_f64 v[131:132], v[7:8], v[184:185], v[190:191]
	v_add_f64 v[129:130], v[129:130], v[141:142]
	s_clause 0x3
	buffer_load_dword v141, off, s[0:3], 0 offset:304
	buffer_load_dword v142, off, s[0:3], 0 offset:308
	;; [unrolled: 1-line block ×4, first 2 shown]
	s_waitcnt vmcnt(51) lgkmcnt(0)
	v_mul_f64 v[184:185], v[123:124], v[157:158]
	v_mul_f64 v[157:158], v[125:126], v[157:158]
	ds_read_b128 v[5:8], v175 offset:1648
	s_waitcnt vmcnt(49)
	v_fma_f64 v[137:138], v[1:2], v[147:148], -v[137:138]
	v_fma_f64 v[147:148], v[3:4], v[147:148], v[176:177]
	ds_read_b128 v[1:4], v175 offset:1664
	v_add_f64 v[127:128], v[127:128], v[151:152]
	v_add_f64 v[129:130], v[129:130], v[131:132]
	s_waitcnt vmcnt(45) lgkmcnt(1)
	v_mul_f64 v[131:132], v[5:6], v[143:144]
	v_mul_f64 v[143:144], v[7:8], v[143:144]
	s_waitcnt vmcnt(44)
	v_fma_f64 v[151:152], v[123:124], v[159:160], -v[157:158]
	v_add_f64 v[127:128], v[127:128], v[137:138]
	v_fma_f64 v[137:138], v[125:126], v[159:160], v[184:185]
	v_add_f64 v[129:130], v[129:130], v[147:148]
	ds_read_b128 v[123:126], v175 offset:1680
	s_waitcnt vmcnt(43) lgkmcnt(1)
	v_mul_f64 v[157:158], v[3:4], v[165:166]
	v_mul_f64 v[147:148], v[1:2], v[165:166]
	s_waitcnt vmcnt(41)
	v_fma_f64 v[143:144], v[5:6], v[145:146], -v[143:144]
	v_fma_f64 v[131:132], v[7:8], v[145:146], v[131:132]
	ds_read_b128 v[5:8], v175 offset:1696
	v_add_f64 v[127:128], v[127:128], v[151:152]
	v_add_f64 v[129:130], v[129:130], v[137:138]
	s_waitcnt vmcnt(37) lgkmcnt(1)
	v_mul_f64 v[137:138], v[123:124], v[149:150]
	v_mul_f64 v[145:146], v[125:126], v[149:150]
	s_waitcnt vmcnt(36)
	v_fma_f64 v[149:150], v[1:2], v[167:168], -v[157:158]
	v_add_f64 v[127:128], v[127:128], v[143:144]
	v_fma_f64 v[143:144], v[3:4], v[167:168], v[147:148]
	v_add_f64 v[129:130], v[129:130], v[131:132]
	ds_read_b128 v[1:4], v175 offset:1712
	s_waitcnt vmcnt(35) lgkmcnt(1)
	v_mul_f64 v[147:148], v[7:8], v[171:172]
	v_mul_f64 v[131:132], v[5:6], v[171:172]
	s_waitcnt vmcnt(33)
	v_fma_f64 v[145:146], v[123:124], v[153:154], -v[145:146]
	v_fma_f64 v[137:138], v[125:126], v[153:154], v[137:138]
	ds_read_b128 v[123:126], v175 offset:1728
	v_add_f64 v[127:128], v[127:128], v[149:150]
	v_add_f64 v[129:130], v[129:130], v[143:144]
	s_waitcnt vmcnt(29) lgkmcnt(1)
	v_mul_f64 v[149:150], v[3:4], v[155:156]
	s_waitcnt vmcnt(28)
	v_fma_f64 v[147:148], v[5:6], v[173:174], -v[147:148]
	v_mul_f64 v[143:144], v[1:2], v[155:156]
	v_fma_f64 v[131:132], v[7:8], v[173:174], v[131:132]
	ds_read_b128 v[5:8], v175 offset:1744
	v_add_f64 v[127:128], v[127:128], v[145:146]
	v_add_f64 v[129:130], v[129:130], v[137:138]
	s_waitcnt vmcnt(27) lgkmcnt(1)
	v_mul_f64 v[145:146], v[125:126], v[194:195]
	v_mul_f64 v[137:138], v[123:124], v[194:195]
	s_waitcnt vmcnt(25)
	v_fma_f64 v[149:150], v[1:2], v[161:162], -v[149:150]
	v_fma_f64 v[143:144], v[3:4], v[161:162], v[143:144]
	ds_read_b128 v[1:4], v175 offset:1760
	v_add_f64 v[127:128], v[127:128], v[147:148]
	v_add_f64 v[129:130], v[129:130], v[131:132]
	s_waitcnt vmcnt(21) lgkmcnt(1)
	v_mul_f64 v[147:148], v[7:8], v[163:164]
	s_waitcnt vmcnt(20)
	v_fma_f64 v[145:146], v[123:124], v[198:199], -v[145:146]
	v_mul_f64 v[131:132], v[5:6], v[163:164]
	v_fma_f64 v[137:138], v[125:126], v[198:199], v[137:138]
	ds_read_b128 v[123:126], v175 offset:1776
	v_add_f64 v[127:128], v[127:128], v[149:150]
	v_add_f64 v[129:130], v[129:130], v[143:144]
	;; [unrolled: 18-line block ×3, first 2 shown]
	s_waitcnt vmcnt(11) lgkmcnt(1)
	v_mul_f64 v[147:148], v[7:8], v[196:197]
	v_mul_f64 v[131:132], v[5:6], v[196:197]
	s_waitcnt vmcnt(9)
	v_fma_f64 v[123:124], v[123:124], v[133:134], -v[145:146]
	v_fma_f64 v[125:126], v[125:126], v[133:134], v[137:138]
	v_add_f64 v[127:128], v[127:128], v[149:150]
	v_add_f64 v[129:130], v[129:130], v[143:144]
	s_waitcnt vmcnt(7) lgkmcnt(0)
	v_mul_f64 v[137:138], v[3:4], v[139:140]
	s_waitcnt vmcnt(6)
	v_fma_f64 v[5:6], v[5:6], v[200:201], -v[147:148]
	v_mul_f64 v[133:134], v[1:2], v[139:140]
	v_fma_f64 v[7:8], v[7:8], v[200:201], v[131:132]
	v_add_f64 v[123:124], v[127:128], v[123:124]
	v_add_f64 v[125:126], v[129:130], v[125:126]
	s_waitcnt vmcnt(4)
	v_fma_f64 v[1:2], v[1:2], v[135:136], -v[137:138]
	v_fma_f64 v[3:4], v[3:4], v[135:136], v[133:134]
	v_add_f64 v[5:6], v[123:124], v[5:6]
	v_add_f64 v[7:8], v[125:126], v[7:8]
	;; [unrolled: 1-line block ×4, first 2 shown]
	s_waitcnt vmcnt(2)
	v_add_f64 v[1:2], v[141:142], -v[1:2]
	s_waitcnt vmcnt(0)
	v_add_f64 v[3:4], v[178:179], -v[3:4]
	buffer_store_dword v2, off, s[0:3], 0 offset:308
	buffer_store_dword v1, off, s[0:3], 0 offset:304
	;; [unrolled: 1-line block ×4, first 2 shown]
	v_cmpx_lt_u32_e32 17, v0
	s_cbranch_execz .LBB120_321
; %bb.320:
	v_mov_b32_e32 v4, s52
	v_mov_b32_e32 v5, 0
	s_clause 0x3
	buffer_load_dword v1, v4, s[0:3], 0 offen
	buffer_load_dword v2, v4, s[0:3], 0 offen offset:4
	buffer_load_dword v3, v4, s[0:3], 0 offen offset:8
	buffer_load_dword v4, v4, s[0:3], 0 offen offset:12
	buffer_store_dword v5, off, s[0:3], 0 offset:288
	buffer_store_dword v5, off, s[0:3], 0 offset:292
	;; [unrolled: 1-line block ×4, first 2 shown]
	s_waitcnt vmcnt(0)
	ds_write_b128 v183, v[1:4]
.LBB120_321:
	s_or_b32 exec_lo, exec_lo, s4
	s_waitcnt lgkmcnt(0)
	s_waitcnt_vscnt null, 0x0
	s_barrier
	buffer_gl0_inv
	s_clause 0x37
	buffer_load_dword v123, off, s[0:3], 0 offset:312
	buffer_load_dword v124, off, s[0:3], 0 offset:316
	;; [unrolled: 1-line block ×56, first 2 shown]
	v_mov_b32_e32 v175, 0
	s_mov_b32 s4, exec_lo
	ds_read_b128 v[176:179], v175 offset:1200
	s_clause 0x2
	buffer_load_dword v172, off, s[0:3], 0 offset:540
	buffer_load_dword v174, off, s[0:3], 0 offset:516
	;; [unrolled: 1-line block ×3, first 2 shown]
	ds_read_b128 v[184:187], v175 offset:1216
	s_clause 0x4
	buffer_load_dword v193, off, s[0:3], 0 offset:556
	buffer_load_dword v194, off, s[0:3], 0 offset:568
	;; [unrolled: 1-line block ×5, first 2 shown]
	ds_read_b128 v[188:191], v175 offset:1232
	s_clause 0x2
	buffer_load_dword v195, off, s[0:3], 0 offset:572
	buffer_load_dword v200, off, s[0:3], 0 offset:548
	;; [unrolled: 1-line block ×3, first 2 shown]
	s_waitcnt vmcnt(62) lgkmcnt(2)
	v_mul_f64 v[180:181], v[178:179], v[123:124]
	v_mul_f64 v[123:124], v[176:177], v[123:124]
	s_waitcnt lgkmcnt(1)
	v_mul_f64 v[197:198], v[186:187], v[5:6]
	s_waitcnt vmcnt(59) lgkmcnt(0)
	v_mul_f64 v[201:202], v[190:191], v[3:4]
	v_fma_f64 v[176:177], v[176:177], v[7:8], -v[180:181]
	v_mul_f64 v[180:181], v[184:185], v[5:6]
	v_fma_f64 v[123:124], v[178:179], v[7:8], v[123:124]
	s_waitcnt vmcnt(57)
	v_fma_f64 v[184:185], v[184:185], v[1:2], -v[197:198]
	ds_read_b128 v[5:8], v175 offset:1248
	v_mul_f64 v[178:179], v[188:189], v[3:4]
	s_waitcnt vmcnt(51)
	v_fma_f64 v[188:189], v[188:189], v[139:140], -v[201:202]
	v_add_f64 v[176:177], v[176:177], 0
	v_fma_f64 v[180:181], v[186:187], v[1:2], v[180:181]
	v_add_f64 v[123:124], v[123:124], 0
	s_clause 0x4
	buffer_load_dword v187, off, s[0:3], 0 offset:588
	buffer_load_dword v203, off, s[0:3], 0 offset:600
	;; [unrolled: 1-line block ×5, first 2 shown]
	s_waitcnt lgkmcnt(0)
	v_mul_f64 v[206:207], v[5:6], v[127:128]
	v_mul_f64 v[127:128], v[7:8], v[127:128]
	ds_read_b128 v[1:4], v175 offset:1264
	v_fma_f64 v[139:140], v[190:191], v[139:140], v[178:179]
	v_add_f64 v[184:185], v[176:177], v[184:185]
	v_add_f64 v[123:124], v[123:124], v[180:181]
	s_clause 0x2
	buffer_load_dword v204, off, s[0:3], 0 offset:604
	buffer_load_dword v181, off, s[0:3], 0 offset:580
	;; [unrolled: 1-line block ×3, first 2 shown]
	s_waitcnt vmcnt(58) lgkmcnt(0)
	v_mul_f64 v[190:191], v[1:2], v[131:132]
	v_mul_f64 v[131:132], v[3:4], v[131:132]
	s_waitcnt vmcnt(56)
	v_fma_f64 v[127:128], v[5:6], v[133:134], -v[127:128]
	ds_read_b128 v[176:179], v175 offset:1280
	v_fma_f64 v[133:134], v[7:8], v[133:134], v[206:207]
	v_add_f64 v[184:185], v[184:185], v[188:189]
	v_add_f64 v[123:124], v[123:124], v[139:140]
	s_clause 0x4
	buffer_load_dword v140, off, s[0:3], 0 offset:620
	buffer_load_dword v188, off, s[0:3], 0 offset:632
	;; [unrolled: 1-line block ×5, first 2 shown]
	ds_read_b128 v[5:8], v175 offset:1296
	s_waitcnt vmcnt(57) lgkmcnt(1)
	v_mul_f64 v[207:208], v[176:177], v[135:136]
	v_mul_f64 v[135:136], v[178:179], v[135:136]
	s_waitcnt vmcnt(56)
	v_fma_f64 v[131:132], v[1:2], v[125:126], -v[131:132]
	v_fma_f64 v[125:126], v[3:4], v[125:126], v[190:191]
	v_add_f64 v[127:128], v[184:185], v[127:128]
	v_add_f64 v[123:124], v[123:124], v[133:134]
	s_clause 0x2
	buffer_load_dword v189, off, s[0:3], 0 offset:636
	buffer_load_dword v134, off, s[0:3], 0 offset:612
	;; [unrolled: 1-line block ×3, first 2 shown]
	s_waitcnt vmcnt(58) lgkmcnt(0)
	v_mul_f64 v[184:185], v[5:6], v[141:142]
	v_mul_f64 v[141:142], v[7:8], v[141:142]
	s_waitcnt vmcnt(56)
	v_fma_f64 v[135:136], v[176:177], v[143:144], -v[135:136]
	ds_read_b128 v[1:4], v175 offset:1312
	v_add_f64 v[127:128], v[127:128], v[131:132]
	v_fma_f64 v[131:132], v[178:179], v[143:144], v[207:208]
	v_add_f64 v[143:144], v[123:124], v[125:126]
	s_clause 0x4
	buffer_load_dword v177, off, s[0:3], 0 offset:652
	buffer_load_dword v178, off, s[0:3], 0 offset:664
	;; [unrolled: 1-line block ×5, first 2 shown]
	ds_read_b128 v[123:126], v175 offset:1328
	s_waitcnt vmcnt(57) lgkmcnt(1)
	v_mul_f64 v[207:208], v[1:2], v[145:146]
	v_mul_f64 v[145:146], v[3:4], v[145:146]
	s_waitcnt vmcnt(56)
	v_fma_f64 v[141:142], v[5:6], v[129:130], -v[141:142]
	v_fma_f64 v[129:130], v[7:8], v[129:130], v[184:185]
	v_add_f64 v[127:128], v[127:128], v[135:136]
	s_clause 0x2
	buffer_load_dword v179, off, s[0:3], 0 offset:668
	buffer_load_dword v136, off, s[0:3], 0 offset:644
	;; [unrolled: 1-line block ×3, first 2 shown]
	v_add_f64 v[131:132], v[143:144], v[131:132]
	s_waitcnt vmcnt(58) lgkmcnt(0)
	v_mul_f64 v[143:144], v[123:124], v[149:150]
	v_mul_f64 v[149:150], v[125:126], v[149:150]
	ds_read_b128 v[5:8], v175 offset:1344
	s_waitcnt vmcnt(56)
	v_fma_f64 v[145:146], v[1:2], v[151:152], -v[145:146]
	v_add_f64 v[127:128], v[127:128], v[141:142]
	v_fma_f64 v[141:142], v[3:4], v[151:152], v[207:208]
	v_add_f64 v[129:130], v[131:132], v[129:130]
	s_clause 0x4
	buffer_load_dword v132, off, s[0:3], 0 offset:684
	buffer_load_dword v151, off, s[0:3], 0 offset:696
	;; [unrolled: 1-line block ×5, first 2 shown]
	s_waitcnt vmcnt(57) lgkmcnt(0)
	v_mul_f64 v[207:208], v[5:6], v[153:154]
	v_mul_f64 v[153:154], v[7:8], v[153:154]
	s_waitcnt vmcnt(56)
	v_fma_f64 v[149:150], v[123:124], v[137:138], -v[149:150]
	ds_read_b128 v[1:4], v175 offset:1360
	v_fma_f64 v[137:138], v[125:126], v[137:138], v[143:144]
	v_add_f64 v[127:128], v[127:128], v[145:146]
	v_add_f64 v[129:130], v[129:130], v[141:142]
	s_clause 0x2
	buffer_load_dword v152, off, s[0:3], 0 offset:700
	buffer_load_dword v142, off, s[0:3], 0 offset:676
	buffer_load_dword v141, off, s[0:3], 0 offset:672
	ds_read_b128 v[123:126], v175 offset:1376
	s_waitcnt vmcnt(58) lgkmcnt(1)
	v_mul_f64 v[145:146], v[3:4], v[157:158]
	s_waitcnt vmcnt(56)
	v_fma_f64 v[153:154], v[5:6], v[159:160], -v[153:154]
	v_mul_f64 v[143:144], v[1:2], v[157:158]
	v_add_f64 v[127:128], v[127:128], v[149:150]
	v_fma_f64 v[149:150], v[7:8], v[159:160], v[207:208]
	v_add_f64 v[129:130], v[129:130], v[137:138]
	s_clause 0x4
	buffer_load_dword v138, off, s[0:3], 0 offset:716
	buffer_load_dword v157, off, s[0:3], 0 offset:728
	buffer_load_dword v159, off, s[0:3], 0 offset:720
	buffer_load_dword v137, off, s[0:3], 0 offset:712
	buffer_load_dword v185, off, s[0:3], 0 offset:692
	s_waitcnt vmcnt(57) lgkmcnt(0)
	v_mul_f64 v[207:208], v[123:124], v[161:162]
	v_mul_f64 v[160:161], v[125:126], v[161:162]
	s_waitcnt vmcnt(56)
	v_fma_f64 v[145:146], v[1:2], v[147:148], -v[145:146]
	ds_read_b128 v[5:8], v175 offset:1392
	v_fma_f64 v[143:144], v[3:4], v[147:148], v[143:144]
	s_clause 0x2
	buffer_load_dword v158, off, s[0:3], 0 offset:732
	buffer_load_dword v148, off, s[0:3], 0 offset:708
	;; [unrolled: 1-line block ×3, first 2 shown]
	ds_read_b128 v[1:4], v175 offset:1408
	v_add_f64 v[127:128], v[127:128], v[153:154]
	v_add_f64 v[129:130], v[129:130], v[149:150]
	s_waitcnt vmcnt(58) lgkmcnt(1)
	v_mul_f64 v[153:154], v[7:8], v[165:166]
	s_waitcnt vmcnt(56)
	v_fma_f64 v[161:162], v[123:124], v[167:168], -v[160:161]
	v_mul_f64 v[149:150], v[5:6], v[165:166]
	v_add_f64 v[127:128], v[127:128], v[145:146]
	v_fma_f64 v[145:146], v[125:126], v[167:168], v[207:208]
	v_add_f64 v[129:130], v[129:130], v[143:144]
	s_clause 0x4
	buffer_load_dword v144, off, s[0:3], 0 offset:748
	buffer_load_dword v165, off, s[0:3], 0 offset:760
	;; [unrolled: 1-line block ×5, first 2 shown]
	s_waitcnt vmcnt(57) lgkmcnt(0)
	v_mul_f64 v[207:208], v[1:2], v[169:170]
	v_mul_f64 v[168:169], v[3:4], v[169:170]
	s_waitcnt vmcnt(56)
	v_fma_f64 v[153:154], v[5:6], v[155:156], -v[153:154]
	ds_read_b128 v[123:126], v175 offset:1424
	v_fma_f64 v[149:150], v[7:8], v[155:156], v[149:150]
	v_add_f64 v[127:128], v[127:128], v[161:162]
	v_add_f64 v[129:130], v[129:130], v[145:146]
	s_clause 0x2
	buffer_load_dword v166, off, s[0:3], 0 offset:764
	buffer_load_dword v146, off, s[0:3], 0 offset:740
	;; [unrolled: 1-line block ×3, first 2 shown]
	ds_read_b128 v[5:8], v175 offset:1440
	s_waitcnt vmcnt(58) lgkmcnt(1)
	v_mul_f64 v[161:162], v[125:126], v[171:172]
	s_waitcnt vmcnt(56)
	v_fma_f64 v[169:170], v[1:2], v[173:174], -v[168:169]
	v_mul_f64 v[155:156], v[123:124], v[171:172]
	v_add_f64 v[127:128], v[127:128], v[153:154]
	v_fma_f64 v[153:154], v[3:4], v[173:174], v[207:208]
	v_add_f64 v[129:130], v[129:130], v[149:150]
	s_clause 0x4
	buffer_load_dword v150, off, s[0:3], 0 offset:780
	buffer_load_dword v171, off, s[0:3], 0 offset:792
	;; [unrolled: 1-line block ×5, first 2 shown]
	s_waitcnt vmcnt(57) lgkmcnt(0)
	v_mul_f64 v[207:208], v[5:6], v[192:193]
	v_mul_f64 v[192:193], v[7:8], v[192:193]
	s_waitcnt vmcnt(56)
	v_fma_f64 v[161:162], v[123:124], v[163:164], -v[161:162]
	ds_read_b128 v[1:4], v175 offset:1456
	v_fma_f64 v[155:156], v[125:126], v[163:164], v[155:156]
	v_add_f64 v[127:128], v[127:128], v[169:170]
	v_add_f64 v[129:130], v[129:130], v[153:154]
	s_clause 0x2
	buffer_load_dword v172, off, s[0:3], 0 offset:796
	buffer_load_dword v154, off, s[0:3], 0 offset:772
	;; [unrolled: 1-line block ×3, first 2 shown]
	ds_read_b128 v[123:126], v175 offset:1472
	s_waitcnt vmcnt(58) lgkmcnt(1)
	v_mul_f64 v[169:170], v[3:4], v[194:195]
	s_waitcnt vmcnt(56)
	v_fma_f64 v[192:193], v[5:6], v[199:200], -v[192:193]
	v_mul_f64 v[163:164], v[1:2], v[194:195]
	v_add_f64 v[127:128], v[127:128], v[161:162]
	v_fma_f64 v[161:162], v[7:8], v[199:200], v[207:208]
	v_add_f64 v[129:130], v[129:130], v[155:156]
	s_clause 0x4
	buffer_load_dword v156, off, s[0:3], 0 offset:812
	buffer_load_dword v194, off, s[0:3], 0 offset:824
	;; [unrolled: 1-line block ×5, first 2 shown]
	ds_read_b128 v[5:8], v175 offset:1488
	s_waitcnt vmcnt(57) lgkmcnt(1)
	v_mul_f64 v[199:200], v[123:124], v[186:187]
	v_mul_f64 v[186:187], v[125:126], v[186:187]
	s_waitcnt vmcnt(56)
	v_fma_f64 v[169:170], v[1:2], v[196:197], -v[169:170]
	v_fma_f64 v[163:164], v[3:4], v[196:197], v[163:164]
	v_add_f64 v[127:128], v[127:128], v[192:193]
	v_add_f64 v[129:130], v[129:130], v[161:162]
	s_clause 0x2
	buffer_load_dword v195, off, s[0:3], 0 offset:828
	buffer_load_dword v162, off, s[0:3], 0 offset:804
	;; [unrolled: 1-line block ×3, first 2 shown]
	ds_read_b128 v[1:4], v175 offset:1504
	s_waitcnt vmcnt(58) lgkmcnt(1)
	v_mul_f64 v[196:197], v[7:8], v[203:204]
	v_mul_f64 v[192:193], v[5:6], v[203:204]
	s_waitcnt vmcnt(56)
	v_fma_f64 v[186:187], v[123:124], v[180:181], -v[186:187]
	v_add_f64 v[127:128], v[127:128], v[169:170]
	v_fma_f64 v[169:170], v[125:126], v[180:181], v[199:200]
	v_add_f64 v[129:130], v[129:130], v[163:164]
	s_clause 0x4
	buffer_load_dword v164, off, s[0:3], 0 offset:844
	buffer_load_dword v180, off, s[0:3], 0 offset:856
	;; [unrolled: 1-line block ×5, first 2 shown]
	ds_read_b128 v[123:126], v175 offset:1520
	s_waitcnt vmcnt(57) lgkmcnt(1)
	v_mul_f64 v[207:208], v[1:2], v[139:140]
	v_mul_f64 v[139:140], v[3:4], v[139:140]
	s_waitcnt vmcnt(56)
	v_fma_f64 v[196:197], v[5:6], v[205:206], -v[196:197]
	v_add_f64 v[127:128], v[127:128], v[186:187]
	v_fma_f64 v[186:187], v[7:8], v[205:206], v[192:193]
	v_add_f64 v[129:130], v[129:130], v[169:170]
	s_clause 0x2
	buffer_load_dword v181, off, s[0:3], 0 offset:860
	buffer_load_dword v170, off, s[0:3], 0 offset:836
	;; [unrolled: 1-line block ×3, first 2 shown]
	ds_read_b128 v[5:8], v175 offset:1536
	s_waitcnt vmcnt(58) lgkmcnt(1)
	v_mul_f64 v[192:193], v[123:124], v[188:189]
	v_mul_f64 v[188:189], v[125:126], v[188:189]
	s_waitcnt vmcnt(56)
	v_fma_f64 v[139:140], v[1:2], v[133:134], -v[139:140]
	v_fma_f64 v[133:134], v[3:4], v[133:134], v[207:208]
	v_add_f64 v[127:128], v[127:128], v[196:197]
	v_add_f64 v[129:130], v[129:130], v[186:187]
	s_clause 0x4
	buffer_load_dword v187, off, s[0:3], 0 offset:876
	buffer_load_dword v196, off, s[0:3], 0 offset:888
	;; [unrolled: 1-line block ×5, first 2 shown]
	ds_read_b128 v[1:4], v175 offset:1552
	s_waitcnt vmcnt(57) lgkmcnt(1)
	v_mul_f64 v[205:206], v[5:6], v[176:177]
	v_mul_f64 v[176:177], v[7:8], v[176:177]
	s_waitcnt vmcnt(56)
	v_fma_f64 v[188:189], v[123:124], v[201:202], -v[188:189]
	v_add_f64 v[127:128], v[127:128], v[139:140]
	v_fma_f64 v[139:140], v[125:126], v[201:202], v[192:193]
	v_add_f64 v[129:130], v[129:130], v[133:134]
	s_clause 0x2
	buffer_load_dword v197, off, s[0:3], 0 offset:892
	buffer_load_dword v134, off, s[0:3], 0 offset:868
	;; [unrolled: 1-line block ×3, first 2 shown]
	ds_read_b128 v[123:126], v175 offset:1568
	s_waitcnt vmcnt(58) lgkmcnt(1)
	v_mul_f64 v[192:193], v[1:2], v[178:179]
	v_mul_f64 v[178:179], v[3:4], v[178:179]
	s_waitcnt vmcnt(56)
	v_fma_f64 v[176:177], v[5:6], v[135:136], -v[176:177]
	v_fma_f64 v[135:136], v[7:8], v[135:136], v[205:206]
	v_add_f64 v[127:128], v[127:128], v[188:189]
	v_add_f64 v[129:130], v[129:130], v[139:140]
	s_clause 0x4
	buffer_load_dword v140, off, s[0:3], 0 offset:908
	buffer_load_dword v188, off, s[0:3], 0 offset:920
	;; [unrolled: 1-line block ×5, first 2 shown]
	ds_read_b128 v[5:8], v175 offset:1584
	s_waitcnt vmcnt(57) lgkmcnt(1)
	v_mul_f64 v[206:207], v[123:124], v[131:132]
	v_mul_f64 v[131:132], v[125:126], v[131:132]
	s_waitcnt vmcnt(56)
	v_fma_f64 v[178:179], v[1:2], v[190:191], -v[178:179]
	v_add_f64 v[127:128], v[127:128], v[176:177]
	v_fma_f64 v[176:177], v[3:4], v[190:191], v[192:193]
	v_add_f64 v[129:130], v[129:130], v[135:136]
	s_clause 0x2
	buffer_load_dword v189, off, s[0:3], 0 offset:924
	buffer_load_dword v136, off, s[0:3], 0 offset:900
	buffer_load_dword v135, off, s[0:3], 0 offset:896
	ds_read_b128 v[1:4], v175 offset:1600
	s_waitcnt vmcnt(58) lgkmcnt(1)
	v_mul_f64 v[190:191], v[5:6], v[151:152]
	v_mul_f64 v[151:152], v[7:8], v[151:152]
	s_waitcnt vmcnt(56)
	v_fma_f64 v[131:132], v[123:124], v[141:142], -v[131:132]
	v_fma_f64 v[141:142], v[125:126], v[141:142], v[206:207]
	buffer_load_dword v206, off, s[0:3], 0 offset:916
	ds_read_b128 v[123:126], v175 offset:1616
	v_add_f64 v[127:128], v[127:128], v[178:179]
	v_add_f64 v[129:130], v[129:130], v[176:177]
	s_waitcnt vmcnt(53) lgkmcnt(1)
	v_mul_f64 v[176:177], v[1:2], v[137:138]
	v_mul_f64 v[137:138], v[3:4], v[137:138]
	s_waitcnt vmcnt(52)
	v_fma_f64 v[151:152], v[5:6], v[184:185], -v[151:152]
	v_add_f64 v[127:128], v[127:128], v[131:132]
	v_fma_f64 v[131:132], v[7:8], v[184:185], v[190:191]
	v_add_f64 v[129:130], v[129:130], v[141:142]
	s_waitcnt vmcnt(51) lgkmcnt(0)
	v_mul_f64 v[141:142], v[123:124], v[157:158]
	v_mul_f64 v[157:158], v[125:126], v[157:158]
	ds_read_b128 v[5:8], v175 offset:1632
	s_waitcnt vmcnt(49)
	v_fma_f64 v[137:138], v[1:2], v[147:148], -v[137:138]
	v_fma_f64 v[147:148], v[3:4], v[147:148], v[176:177]
	v_add_f64 v[127:128], v[127:128], v[151:152]
	v_add_f64 v[129:130], v[129:130], v[131:132]
	s_clause 0x3
	buffer_load_dword v131, off, s[0:3], 0 offset:288
	buffer_load_dword v132, off, s[0:3], 0 offset:292
	;; [unrolled: 1-line block ×4, first 2 shown]
	ds_read_b128 v[1:4], v175 offset:1648
	s_waitcnt vmcnt(49) lgkmcnt(1)
	v_mul_f64 v[176:177], v[5:6], v[143:144]
	v_mul_f64 v[143:144], v[7:8], v[143:144]
	s_waitcnt vmcnt(48)
	v_fma_f64 v[157:158], v[123:124], v[159:160], -v[157:158]
	v_add_f64 v[127:128], v[127:128], v[137:138]
	v_fma_f64 v[137:138], v[125:126], v[159:160], v[141:142]
	v_add_f64 v[129:130], v[129:130], v[147:148]
	ds_read_b128 v[123:126], v175 offset:1664
	s_waitcnt vmcnt(47) lgkmcnt(1)
	v_mul_f64 v[147:148], v[3:4], v[165:166]
	v_mul_f64 v[141:142], v[1:2], v[165:166]
	s_waitcnt vmcnt(45)
	v_fma_f64 v[143:144], v[5:6], v[145:146], -v[143:144]
	v_fma_f64 v[145:146], v[7:8], v[145:146], v[176:177]
	ds_read_b128 v[5:8], v175 offset:1680
	v_add_f64 v[127:128], v[127:128], v[157:158]
	v_add_f64 v[129:130], v[129:130], v[137:138]
	s_waitcnt vmcnt(41) lgkmcnt(1)
	v_mul_f64 v[137:138], v[123:124], v[149:150]
	v_mul_f64 v[149:150], v[125:126], v[149:150]
	s_waitcnt vmcnt(40)
	v_fma_f64 v[147:148], v[1:2], v[167:168], -v[147:148]
	v_fma_f64 v[141:142], v[3:4], v[167:168], v[141:142]
	ds_read_b128 v[1:4], v175 offset:1696
	v_add_f64 v[127:128], v[127:128], v[143:144]
	v_add_f64 v[129:130], v[129:130], v[145:146]
	;; [unrolled: 9-line block ×3, first 2 shown]
	s_waitcnt vmcnt(33) lgkmcnt(1)
	v_mul_f64 v[147:148], v[3:4], v[155:156]
	s_waitcnt vmcnt(32)
	v_fma_f64 v[145:146], v[5:6], v[173:174], -v[145:146]
	v_mul_f64 v[141:142], v[1:2], v[155:156]
	v_fma_f64 v[143:144], v[7:8], v[173:174], v[143:144]
	ds_read_b128 v[5:8], v175 offset:1728
	v_add_f64 v[127:128], v[127:128], v[149:150]
	v_add_f64 v[129:130], v[129:130], v[137:138]
	s_waitcnt vmcnt(31) lgkmcnt(1)
	v_mul_f64 v[149:150], v[125:126], v[194:195]
	v_mul_f64 v[137:138], v[123:124], v[194:195]
	s_waitcnt vmcnt(29)
	v_fma_f64 v[147:148], v[1:2], v[161:162], -v[147:148]
	v_fma_f64 v[141:142], v[3:4], v[161:162], v[141:142]
	ds_read_b128 v[1:4], v175 offset:1744
	v_add_f64 v[127:128], v[127:128], v[145:146]
	v_add_f64 v[129:130], v[129:130], v[143:144]
	s_waitcnt vmcnt(25) lgkmcnt(1)
	v_mul_f64 v[145:146], v[7:8], v[163:164]
	s_waitcnt vmcnt(24)
	v_fma_f64 v[149:150], v[123:124], v[198:199], -v[149:150]
	v_mul_f64 v[143:144], v[5:6], v[163:164]
	v_fma_f64 v[137:138], v[125:126], v[198:199], v[137:138]
	ds_read_b128 v[123:126], v175 offset:1760
	v_add_f64 v[127:128], v[127:128], v[147:148]
	v_add_f64 v[129:130], v[129:130], v[141:142]
	s_waitcnt vmcnt(23) lgkmcnt(1)
	v_mul_f64 v[147:148], v[3:4], v[180:181]
	v_mul_f64 v[141:142], v[1:2], v[180:181]
	s_waitcnt vmcnt(21)
	v_fma_f64 v[145:146], v[5:6], v[169:170], -v[145:146]
	v_fma_f64 v[143:144], v[7:8], v[169:170], v[143:144]
	ds_read_b128 v[5:8], v175 offset:1776
	v_add_f64 v[127:128], v[127:128], v[149:150]
	v_add_f64 v[129:130], v[129:130], v[137:138]
	;; [unrolled: 18-line block ×3, first 2 shown]
	s_waitcnt vmcnt(9) lgkmcnt(1)
	v_mul_f64 v[137:138], v[1:2], v[139:140]
	v_mul_f64 v[139:140], v[3:4], v[139:140]
	s_waitcnt vmcnt(8)
	v_fma_f64 v[5:6], v[5:6], v[200:201], -v[145:146]
	v_fma_f64 v[7:8], v[7:8], v[200:201], v[143:144]
	v_add_f64 v[127:128], v[127:128], v[149:150]
	v_add_f64 v[129:130], v[129:130], v[133:134]
	s_waitcnt vmcnt(7) lgkmcnt(0)
	v_mul_f64 v[141:142], v[125:126], v[188:189]
	v_mul_f64 v[133:134], v[123:124], v[188:189]
	s_waitcnt vmcnt(5)
	v_fma_f64 v[1:2], v[1:2], v[135:136], -v[139:140]
	v_fma_f64 v[3:4], v[3:4], v[135:136], v[137:138]
	v_add_f64 v[5:6], v[127:128], v[5:6]
	v_add_f64 v[7:8], v[129:130], v[7:8]
	s_waitcnt vmcnt(4)
	v_fma_f64 v[123:124], v[123:124], v[205:206], -v[141:142]
	v_add_f64 v[1:2], v[5:6], v[1:2]
	v_fma_f64 v[5:6], v[125:126], v[205:206], v[133:134]
	v_add_f64 v[3:4], v[7:8], v[3:4]
	v_add_f64 v[1:2], v[1:2], v[123:124]
	;; [unrolled: 1-line block ×3, first 2 shown]
	s_waitcnt vmcnt(2)
	v_add_f64 v[1:2], v[131:132], -v[1:2]
	s_waitcnt vmcnt(0)
	v_add_f64 v[3:4], v[151:152], -v[3:4]
	buffer_store_dword v2, off, s[0:3], 0 offset:292
	buffer_store_dword v1, off, s[0:3], 0 offset:288
	;; [unrolled: 1-line block ×4, first 2 shown]
	v_cmpx_lt_u32_e32 16, v0
	s_cbranch_execz .LBB120_323
; %bb.322:
	v_mov_b32_e32 v4, s53
	s_clause 0x3
	buffer_load_dword v1, v4, s[0:3], 0 offen
	buffer_load_dword v2, v4, s[0:3], 0 offen offset:4
	buffer_load_dword v3, v4, s[0:3], 0 offen offset:8
	;; [unrolled: 1-line block ×3, first 2 shown]
	buffer_store_dword v175, off, s[0:3], 0 offset:272
	buffer_store_dword v175, off, s[0:3], 0 offset:276
	;; [unrolled: 1-line block ×4, first 2 shown]
	s_waitcnt vmcnt(0)
	ds_write_b128 v183, v[1:4]
.LBB120_323:
	s_or_b32 exec_lo, exec_lo, s4
	s_waitcnt lgkmcnt(0)
	s_waitcnt_vscnt null, 0x0
	s_barrier
	buffer_gl0_inv
	s_clause 0x37
	buffer_load_dword v123, off, s[0:3], 0 offset:296
	buffer_load_dword v124, off, s[0:3], 0 offset:300
	;; [unrolled: 1-line block ×56, first 2 shown]
	ds_read_b128 v[176:179], v175 offset:1184
	s_clause 0x2
	buffer_load_dword v172, off, s[0:3], 0 offset:524
	buffer_load_dword v174, off, s[0:3], 0 offset:500
	;; [unrolled: 1-line block ×3, first 2 shown]
	ds_read_b128 v[184:187], v175 offset:1200
	s_clause 0x4
	buffer_load_dword v193, off, s[0:3], 0 offset:540
	buffer_load_dword v194, off, s[0:3], 0 offset:552
	;; [unrolled: 1-line block ×5, first 2 shown]
	ds_read_b128 v[188:191], v175 offset:1216
	s_clause 0x2
	buffer_load_dword v195, off, s[0:3], 0 offset:556
	buffer_load_dword v200, off, s[0:3], 0 offset:532
	;; [unrolled: 1-line block ×3, first 2 shown]
	s_mov_b32 s4, exec_lo
	s_waitcnt vmcnt(62) lgkmcnt(2)
	v_mul_f64 v[180:181], v[178:179], v[123:124]
	v_mul_f64 v[123:124], v[176:177], v[123:124]
	s_waitcnt lgkmcnt(1)
	v_mul_f64 v[197:198], v[186:187], v[5:6]
	s_waitcnt vmcnt(59) lgkmcnt(0)
	v_mul_f64 v[201:202], v[190:191], v[3:4]
	v_fma_f64 v[176:177], v[176:177], v[7:8], -v[180:181]
	v_mul_f64 v[180:181], v[184:185], v[5:6]
	v_fma_f64 v[123:124], v[178:179], v[7:8], v[123:124]
	s_waitcnt vmcnt(57)
	v_fma_f64 v[184:185], v[184:185], v[1:2], -v[197:198]
	ds_read_b128 v[5:8], v175 offset:1232
	v_mul_f64 v[178:179], v[188:189], v[3:4]
	s_waitcnt vmcnt(51)
	v_fma_f64 v[188:189], v[188:189], v[139:140], -v[201:202]
	v_add_f64 v[176:177], v[176:177], 0
	v_fma_f64 v[180:181], v[186:187], v[1:2], v[180:181]
	v_add_f64 v[123:124], v[123:124], 0
	s_clause 0x4
	buffer_load_dword v187, off, s[0:3], 0 offset:572
	buffer_load_dword v203, off, s[0:3], 0 offset:584
	;; [unrolled: 1-line block ×5, first 2 shown]
	s_waitcnt lgkmcnt(0)
	v_mul_f64 v[206:207], v[5:6], v[127:128]
	v_mul_f64 v[127:128], v[7:8], v[127:128]
	ds_read_b128 v[1:4], v175 offset:1248
	v_fma_f64 v[139:140], v[190:191], v[139:140], v[178:179]
	v_add_f64 v[184:185], v[176:177], v[184:185]
	v_add_f64 v[123:124], v[123:124], v[180:181]
	s_clause 0x2
	buffer_load_dword v204, off, s[0:3], 0 offset:588
	buffer_load_dword v181, off, s[0:3], 0 offset:564
	;; [unrolled: 1-line block ×3, first 2 shown]
	s_waitcnt vmcnt(58) lgkmcnt(0)
	v_mul_f64 v[190:191], v[1:2], v[131:132]
	v_mul_f64 v[131:132], v[3:4], v[131:132]
	s_waitcnt vmcnt(56)
	v_fma_f64 v[127:128], v[5:6], v[133:134], -v[127:128]
	ds_read_b128 v[176:179], v175 offset:1264
	v_fma_f64 v[133:134], v[7:8], v[133:134], v[206:207]
	v_add_f64 v[184:185], v[184:185], v[188:189]
	v_add_f64 v[123:124], v[123:124], v[139:140]
	s_clause 0x4
	buffer_load_dword v140, off, s[0:3], 0 offset:604
	buffer_load_dword v188, off, s[0:3], 0 offset:616
	;; [unrolled: 1-line block ×5, first 2 shown]
	ds_read_b128 v[5:8], v175 offset:1280
	s_waitcnt vmcnt(57) lgkmcnt(1)
	v_mul_f64 v[207:208], v[176:177], v[135:136]
	v_mul_f64 v[135:136], v[178:179], v[135:136]
	s_waitcnt vmcnt(56)
	v_fma_f64 v[131:132], v[1:2], v[125:126], -v[131:132]
	v_fma_f64 v[125:126], v[3:4], v[125:126], v[190:191]
	v_add_f64 v[127:128], v[184:185], v[127:128]
	v_add_f64 v[123:124], v[123:124], v[133:134]
	s_clause 0x2
	buffer_load_dword v189, off, s[0:3], 0 offset:620
	buffer_load_dword v134, off, s[0:3], 0 offset:596
	;; [unrolled: 1-line block ×3, first 2 shown]
	s_waitcnt vmcnt(58) lgkmcnt(0)
	v_mul_f64 v[184:185], v[5:6], v[141:142]
	v_mul_f64 v[141:142], v[7:8], v[141:142]
	s_waitcnt vmcnt(56)
	v_fma_f64 v[135:136], v[176:177], v[143:144], -v[135:136]
	ds_read_b128 v[1:4], v175 offset:1296
	v_add_f64 v[127:128], v[127:128], v[131:132]
	v_fma_f64 v[131:132], v[178:179], v[143:144], v[207:208]
	v_add_f64 v[143:144], v[123:124], v[125:126]
	s_clause 0x4
	buffer_load_dword v177, off, s[0:3], 0 offset:636
	buffer_load_dword v178, off, s[0:3], 0 offset:648
	;; [unrolled: 1-line block ×5, first 2 shown]
	ds_read_b128 v[123:126], v175 offset:1312
	s_waitcnt vmcnt(57) lgkmcnt(1)
	v_mul_f64 v[207:208], v[1:2], v[145:146]
	v_mul_f64 v[145:146], v[3:4], v[145:146]
	s_waitcnt vmcnt(56)
	v_fma_f64 v[141:142], v[5:6], v[129:130], -v[141:142]
	v_fma_f64 v[129:130], v[7:8], v[129:130], v[184:185]
	v_add_f64 v[127:128], v[127:128], v[135:136]
	s_clause 0x2
	buffer_load_dword v179, off, s[0:3], 0 offset:652
	buffer_load_dword v136, off, s[0:3], 0 offset:628
	;; [unrolled: 1-line block ×3, first 2 shown]
	v_add_f64 v[131:132], v[143:144], v[131:132]
	s_waitcnt vmcnt(58) lgkmcnt(0)
	v_mul_f64 v[143:144], v[123:124], v[149:150]
	v_mul_f64 v[149:150], v[125:126], v[149:150]
	ds_read_b128 v[5:8], v175 offset:1328
	s_waitcnt vmcnt(56)
	v_fma_f64 v[145:146], v[1:2], v[151:152], -v[145:146]
	v_add_f64 v[127:128], v[127:128], v[141:142]
	v_fma_f64 v[141:142], v[3:4], v[151:152], v[207:208]
	v_add_f64 v[129:130], v[131:132], v[129:130]
	s_clause 0x4
	buffer_load_dword v132, off, s[0:3], 0 offset:668
	buffer_load_dword v151, off, s[0:3], 0 offset:680
	;; [unrolled: 1-line block ×5, first 2 shown]
	s_waitcnt vmcnt(57) lgkmcnt(0)
	v_mul_f64 v[207:208], v[5:6], v[153:154]
	v_mul_f64 v[153:154], v[7:8], v[153:154]
	s_waitcnt vmcnt(56)
	v_fma_f64 v[149:150], v[123:124], v[137:138], -v[149:150]
	ds_read_b128 v[1:4], v175 offset:1344
	v_fma_f64 v[137:138], v[125:126], v[137:138], v[143:144]
	v_add_f64 v[127:128], v[127:128], v[145:146]
	v_add_f64 v[129:130], v[129:130], v[141:142]
	s_clause 0x2
	buffer_load_dword v152, off, s[0:3], 0 offset:684
	buffer_load_dword v142, off, s[0:3], 0 offset:660
	;; [unrolled: 1-line block ×3, first 2 shown]
	ds_read_b128 v[123:126], v175 offset:1360
	s_waitcnt vmcnt(58) lgkmcnt(1)
	v_mul_f64 v[145:146], v[3:4], v[157:158]
	s_waitcnt vmcnt(56)
	v_fma_f64 v[153:154], v[5:6], v[159:160], -v[153:154]
	v_mul_f64 v[143:144], v[1:2], v[157:158]
	v_add_f64 v[127:128], v[127:128], v[149:150]
	v_fma_f64 v[149:150], v[7:8], v[159:160], v[207:208]
	v_add_f64 v[129:130], v[129:130], v[137:138]
	s_clause 0x4
	buffer_load_dword v138, off, s[0:3], 0 offset:700
	buffer_load_dword v157, off, s[0:3], 0 offset:712
	;; [unrolled: 1-line block ×5, first 2 shown]
	s_waitcnt vmcnt(57) lgkmcnt(0)
	v_mul_f64 v[207:208], v[123:124], v[161:162]
	v_mul_f64 v[160:161], v[125:126], v[161:162]
	s_waitcnt vmcnt(56)
	v_fma_f64 v[145:146], v[1:2], v[147:148], -v[145:146]
	ds_read_b128 v[5:8], v175 offset:1376
	v_fma_f64 v[143:144], v[3:4], v[147:148], v[143:144]
	s_clause 0x2
	buffer_load_dword v158, off, s[0:3], 0 offset:716
	buffer_load_dword v148, off, s[0:3], 0 offset:692
	;; [unrolled: 1-line block ×3, first 2 shown]
	ds_read_b128 v[1:4], v175 offset:1392
	v_add_f64 v[127:128], v[127:128], v[153:154]
	v_add_f64 v[129:130], v[129:130], v[149:150]
	s_waitcnt vmcnt(58) lgkmcnt(1)
	v_mul_f64 v[153:154], v[7:8], v[165:166]
	s_waitcnt vmcnt(56)
	v_fma_f64 v[161:162], v[123:124], v[167:168], -v[160:161]
	v_mul_f64 v[149:150], v[5:6], v[165:166]
	v_add_f64 v[127:128], v[127:128], v[145:146]
	v_fma_f64 v[145:146], v[125:126], v[167:168], v[207:208]
	v_add_f64 v[129:130], v[129:130], v[143:144]
	s_clause 0x4
	buffer_load_dword v144, off, s[0:3], 0 offset:732
	buffer_load_dword v165, off, s[0:3], 0 offset:744
	buffer_load_dword v167, off, s[0:3], 0 offset:736
	buffer_load_dword v143, off, s[0:3], 0 offset:728
	buffer_load_dword v160, off, s[0:3], 0 offset:708
	s_waitcnt vmcnt(57) lgkmcnt(0)
	v_mul_f64 v[207:208], v[1:2], v[169:170]
	v_mul_f64 v[168:169], v[3:4], v[169:170]
	s_waitcnt vmcnt(56)
	v_fma_f64 v[153:154], v[5:6], v[155:156], -v[153:154]
	ds_read_b128 v[123:126], v175 offset:1408
	v_fma_f64 v[149:150], v[7:8], v[155:156], v[149:150]
	v_add_f64 v[127:128], v[127:128], v[161:162]
	v_add_f64 v[129:130], v[129:130], v[145:146]
	s_clause 0x2
	buffer_load_dword v166, off, s[0:3], 0 offset:748
	buffer_load_dword v146, off, s[0:3], 0 offset:724
	;; [unrolled: 1-line block ×3, first 2 shown]
	ds_read_b128 v[5:8], v175 offset:1424
	s_waitcnt vmcnt(58) lgkmcnt(1)
	v_mul_f64 v[161:162], v[125:126], v[171:172]
	s_waitcnt vmcnt(56)
	v_fma_f64 v[169:170], v[1:2], v[173:174], -v[168:169]
	v_mul_f64 v[155:156], v[123:124], v[171:172]
	v_add_f64 v[127:128], v[127:128], v[153:154]
	v_fma_f64 v[153:154], v[3:4], v[173:174], v[207:208]
	v_add_f64 v[129:130], v[129:130], v[149:150]
	s_clause 0x4
	buffer_load_dword v150, off, s[0:3], 0 offset:764
	buffer_load_dword v171, off, s[0:3], 0 offset:776
	;; [unrolled: 1-line block ×5, first 2 shown]
	s_waitcnt vmcnt(57) lgkmcnt(0)
	v_mul_f64 v[207:208], v[5:6], v[192:193]
	v_mul_f64 v[192:193], v[7:8], v[192:193]
	s_waitcnt vmcnt(56)
	v_fma_f64 v[161:162], v[123:124], v[163:164], -v[161:162]
	ds_read_b128 v[1:4], v175 offset:1440
	v_fma_f64 v[155:156], v[125:126], v[163:164], v[155:156]
	v_add_f64 v[127:128], v[127:128], v[169:170]
	v_add_f64 v[129:130], v[129:130], v[153:154]
	s_clause 0x2
	buffer_load_dword v172, off, s[0:3], 0 offset:780
	buffer_load_dword v154, off, s[0:3], 0 offset:756
	;; [unrolled: 1-line block ×3, first 2 shown]
	ds_read_b128 v[123:126], v175 offset:1456
	s_waitcnt vmcnt(58) lgkmcnt(1)
	v_mul_f64 v[169:170], v[3:4], v[194:195]
	s_waitcnt vmcnt(56)
	v_fma_f64 v[192:193], v[5:6], v[199:200], -v[192:193]
	v_mul_f64 v[163:164], v[1:2], v[194:195]
	v_add_f64 v[127:128], v[127:128], v[161:162]
	v_fma_f64 v[161:162], v[7:8], v[199:200], v[207:208]
	v_add_f64 v[129:130], v[129:130], v[155:156]
	s_clause 0x4
	buffer_load_dword v156, off, s[0:3], 0 offset:796
	buffer_load_dword v194, off, s[0:3], 0 offset:808
	;; [unrolled: 1-line block ×5, first 2 shown]
	ds_read_b128 v[5:8], v175 offset:1472
	s_waitcnt vmcnt(57) lgkmcnt(1)
	v_mul_f64 v[199:200], v[123:124], v[186:187]
	v_mul_f64 v[186:187], v[125:126], v[186:187]
	s_waitcnt vmcnt(56)
	v_fma_f64 v[169:170], v[1:2], v[196:197], -v[169:170]
	v_fma_f64 v[163:164], v[3:4], v[196:197], v[163:164]
	v_add_f64 v[127:128], v[127:128], v[192:193]
	v_add_f64 v[129:130], v[129:130], v[161:162]
	s_clause 0x2
	buffer_load_dword v195, off, s[0:3], 0 offset:812
	buffer_load_dword v162, off, s[0:3], 0 offset:788
	;; [unrolled: 1-line block ×3, first 2 shown]
	ds_read_b128 v[1:4], v175 offset:1488
	s_waitcnt vmcnt(58) lgkmcnt(1)
	v_mul_f64 v[196:197], v[7:8], v[203:204]
	v_mul_f64 v[192:193], v[5:6], v[203:204]
	s_waitcnt vmcnt(56)
	v_fma_f64 v[186:187], v[123:124], v[180:181], -v[186:187]
	v_add_f64 v[127:128], v[127:128], v[169:170]
	v_fma_f64 v[169:170], v[125:126], v[180:181], v[199:200]
	v_add_f64 v[129:130], v[129:130], v[163:164]
	s_clause 0x4
	buffer_load_dword v164, off, s[0:3], 0 offset:828
	buffer_load_dword v180, off, s[0:3], 0 offset:840
	buffer_load_dword v203, off, s[0:3], 0 offset:832
	buffer_load_dword v163, off, s[0:3], 0 offset:824
	buffer_load_dword v199, off, s[0:3], 0 offset:804
	ds_read_b128 v[123:126], v175 offset:1504
	s_waitcnt vmcnt(57) lgkmcnt(1)
	v_mul_f64 v[207:208], v[1:2], v[139:140]
	v_mul_f64 v[139:140], v[3:4], v[139:140]
	s_waitcnt vmcnt(56)
	v_fma_f64 v[196:197], v[5:6], v[205:206], -v[196:197]
	v_add_f64 v[127:128], v[127:128], v[186:187]
	v_fma_f64 v[186:187], v[7:8], v[205:206], v[192:193]
	v_add_f64 v[129:130], v[129:130], v[169:170]
	s_clause 0x2
	buffer_load_dword v181, off, s[0:3], 0 offset:844
	buffer_load_dword v170, off, s[0:3], 0 offset:820
	buffer_load_dword v169, off, s[0:3], 0 offset:816
	ds_read_b128 v[5:8], v175 offset:1520
	s_waitcnt vmcnt(58) lgkmcnt(1)
	v_mul_f64 v[192:193], v[123:124], v[188:189]
	v_mul_f64 v[188:189], v[125:126], v[188:189]
	s_waitcnt vmcnt(56)
	v_fma_f64 v[139:140], v[1:2], v[133:134], -v[139:140]
	v_fma_f64 v[133:134], v[3:4], v[133:134], v[207:208]
	v_add_f64 v[127:128], v[127:128], v[196:197]
	v_add_f64 v[129:130], v[129:130], v[186:187]
	s_clause 0x4
	buffer_load_dword v187, off, s[0:3], 0 offset:860
	buffer_load_dword v196, off, s[0:3], 0 offset:872
	buffer_load_dword v200, off, s[0:3], 0 offset:864
	buffer_load_dword v186, off, s[0:3], 0 offset:856
	buffer_load_dword v204, off, s[0:3], 0 offset:836
	ds_read_b128 v[1:4], v175 offset:1536
	s_waitcnt vmcnt(57) lgkmcnt(1)
	v_mul_f64 v[205:206], v[5:6], v[176:177]
	v_mul_f64 v[176:177], v[7:8], v[176:177]
	s_waitcnt vmcnt(56)
	v_fma_f64 v[188:189], v[123:124], v[201:202], -v[188:189]
	v_add_f64 v[127:128], v[127:128], v[139:140]
	v_fma_f64 v[139:140], v[125:126], v[201:202], v[192:193]
	v_add_f64 v[129:130], v[129:130], v[133:134]
	s_clause 0x2
	buffer_load_dword v197, off, s[0:3], 0 offset:876
	buffer_load_dword v134, off, s[0:3], 0 offset:852
	buffer_load_dword v133, off, s[0:3], 0 offset:848
	ds_read_b128 v[123:126], v175 offset:1552
	s_waitcnt vmcnt(58) lgkmcnt(1)
	v_mul_f64 v[192:193], v[1:2], v[178:179]
	v_mul_f64 v[178:179], v[3:4], v[178:179]
	s_waitcnt vmcnt(56)
	v_fma_f64 v[176:177], v[5:6], v[135:136], -v[176:177]
	v_fma_f64 v[135:136], v[7:8], v[135:136], v[205:206]
	v_add_f64 v[127:128], v[127:128], v[188:189]
	;; [unrolled: 28-line block ×3, first 2 shown]
	v_add_f64 v[129:130], v[129:130], v[176:177]
	s_clause 0x2
	buffer_load_dword v177, off, s[0:3], 0 offset:924
	buffer_load_dword v176, off, s[0:3], 0 offset:920
	buffer_load_dword v206, off, s[0:3], 0 offset:900
	ds_read_b128 v[123:126], v175 offset:1600
	s_waitcnt vmcnt(55) lgkmcnt(1)
	v_mul_f64 v[178:179], v[1:2], v[137:138]
	v_mul_f64 v[137:138], v[3:4], v[137:138]
	s_waitcnt vmcnt(54)
	v_fma_f64 v[151:152], v[5:6], v[184:185], -v[151:152]
	v_add_f64 v[127:128], v[127:128], v[131:132]
	v_fma_f64 v[131:132], v[7:8], v[184:185], v[190:191]
	v_add_f64 v[129:130], v[129:130], v[141:142]
	s_clause 0x1
	buffer_load_dword v142, off, s[0:3], 0 offset:916
	buffer_load_dword v141, off, s[0:3], 0 offset:912
	s_waitcnt vmcnt(55) lgkmcnt(0)
	v_mul_f64 v[184:185], v[123:124], v[157:158]
	v_mul_f64 v[157:158], v[125:126], v[157:158]
	ds_read_b128 v[5:8], v175 offset:1616
	s_waitcnt vmcnt(53)
	v_fma_f64 v[137:138], v[1:2], v[147:148], -v[137:138]
	v_fma_f64 v[147:148], v[3:4], v[147:148], v[178:179]
	ds_read_b128 v[1:4], v175 offset:1632
	v_add_f64 v[127:128], v[127:128], v[151:152]
	v_add_f64 v[129:130], v[129:130], v[131:132]
	s_waitcnt vmcnt(49) lgkmcnt(1)
	v_mul_f64 v[131:132], v[5:6], v[143:144]
	v_mul_f64 v[143:144], v[7:8], v[143:144]
	s_waitcnt vmcnt(48)
	v_fma_f64 v[151:152], v[123:124], v[159:160], -v[157:158]
	v_add_f64 v[127:128], v[127:128], v[137:138]
	v_fma_f64 v[137:138], v[125:126], v[159:160], v[184:185]
	v_add_f64 v[129:130], v[129:130], v[147:148]
	s_clause 0x3
	buffer_load_dword v147, off, s[0:3], 0 offset:272
	buffer_load_dword v148, off, s[0:3], 0 offset:276
	buffer_load_dword v157, off, s[0:3], 0 offset:280
	buffer_load_dword v158, off, s[0:3], 0 offset:284
	ds_read_b128 v[123:126], v175 offset:1648
	s_waitcnt vmcnt(51) lgkmcnt(1)
	v_mul_f64 v[159:160], v[1:2], v[165:166]
	v_mul_f64 v[165:166], v[3:4], v[165:166]
	s_waitcnt vmcnt(49)
	v_fma_f64 v[143:144], v[5:6], v[145:146], -v[143:144]
	v_fma_f64 v[131:132], v[7:8], v[145:146], v[131:132]
	ds_read_b128 v[5:8], v175 offset:1664
	v_add_f64 v[127:128], v[127:128], v[151:152]
	v_add_f64 v[129:130], v[129:130], v[137:138]
	s_waitcnt vmcnt(45) lgkmcnt(1)
	v_mul_f64 v[137:138], v[123:124], v[149:150]
	v_mul_f64 v[145:146], v[125:126], v[149:150]
	s_waitcnt vmcnt(44)
	v_fma_f64 v[149:150], v[1:2], v[167:168], -v[165:166]
	v_add_f64 v[127:128], v[127:128], v[143:144]
	v_fma_f64 v[143:144], v[3:4], v[167:168], v[159:160]
	v_add_f64 v[129:130], v[129:130], v[131:132]
	ds_read_b128 v[1:4], v175 offset:1680
	s_waitcnt vmcnt(43) lgkmcnt(1)
	v_mul_f64 v[151:152], v[7:8], v[171:172]
	v_mul_f64 v[131:132], v[5:6], v[171:172]
	s_waitcnt vmcnt(41)
	v_fma_f64 v[145:146], v[123:124], v[153:154], -v[145:146]
	v_fma_f64 v[137:138], v[125:126], v[153:154], v[137:138]
	ds_read_b128 v[123:126], v175 offset:1696
	v_add_f64 v[127:128], v[127:128], v[149:150]
	v_add_f64 v[129:130], v[129:130], v[143:144]
	s_waitcnt vmcnt(37) lgkmcnt(1)
	v_mul_f64 v[149:150], v[3:4], v[155:156]
	s_waitcnt vmcnt(36)
	v_fma_f64 v[151:152], v[5:6], v[173:174], -v[151:152]
	v_mul_f64 v[143:144], v[1:2], v[155:156]
	v_fma_f64 v[131:132], v[7:8], v[173:174], v[131:132]
	ds_read_b128 v[5:8], v175 offset:1712
	v_add_f64 v[127:128], v[127:128], v[145:146]
	v_add_f64 v[129:130], v[129:130], v[137:138]
	s_waitcnt vmcnt(35) lgkmcnt(1)
	v_mul_f64 v[145:146], v[125:126], v[194:195]
	v_mul_f64 v[137:138], v[123:124], v[194:195]
	s_waitcnt vmcnt(33)
	v_fma_f64 v[149:150], v[1:2], v[161:162], -v[149:150]
	v_fma_f64 v[143:144], v[3:4], v[161:162], v[143:144]
	ds_read_b128 v[1:4], v175 offset:1728
	v_add_f64 v[127:128], v[127:128], v[151:152]
	v_add_f64 v[129:130], v[129:130], v[131:132]
	s_waitcnt vmcnt(29) lgkmcnt(1)
	v_mul_f64 v[151:152], v[7:8], v[163:164]
	s_waitcnt vmcnt(28)
	v_fma_f64 v[145:146], v[123:124], v[198:199], -v[145:146]
	v_mul_f64 v[131:132], v[5:6], v[163:164]
	v_fma_f64 v[137:138], v[125:126], v[198:199], v[137:138]
	ds_read_b128 v[123:126], v175 offset:1744
	v_add_f64 v[127:128], v[127:128], v[149:150]
	v_add_f64 v[129:130], v[129:130], v[143:144]
	;; [unrolled: 18-line block ×3, first 2 shown]
	s_waitcnt vmcnt(19) lgkmcnt(1)
	v_mul_f64 v[151:152], v[7:8], v[196:197]
	v_mul_f64 v[131:132], v[5:6], v[196:197]
	s_waitcnt vmcnt(17)
	v_fma_f64 v[145:146], v[123:124], v[133:134], -v[145:146]
	v_fma_f64 v[133:134], v[125:126], v[133:134], v[137:138]
	ds_read_b128 v[123:126], v175 offset:1792
	v_add_f64 v[127:128], v[127:128], v[149:150]
	v_add_f64 v[129:130], v[129:130], v[143:144]
	s_waitcnt vmcnt(13) lgkmcnt(1)
	v_mul_f64 v[137:138], v[1:2], v[139:140]
	v_mul_f64 v[139:140], v[3:4], v[139:140]
	s_waitcnt vmcnt(12)
	v_fma_f64 v[143:144], v[5:6], v[200:201], -v[151:152]
	v_fma_f64 v[131:132], v[7:8], v[200:201], v[131:132]
	ds_read_b128 v[5:8], v175 offset:1808
	v_add_f64 v[127:128], v[127:128], v[145:146]
	v_add_f64 v[129:130], v[129:130], v[133:134]
	s_waitcnt vmcnt(11) lgkmcnt(1)
	v_mul_f64 v[145:146], v[125:126], v[188:189]
	v_mul_f64 v[133:134], v[123:124], v[188:189]
	s_waitcnt vmcnt(9)
	v_fma_f64 v[1:2], v[1:2], v[135:136], -v[139:140]
	v_fma_f64 v[3:4], v[3:4], v[135:136], v[137:138]
	v_add_f64 v[127:128], v[127:128], v[143:144]
	v_add_f64 v[129:130], v[129:130], v[131:132]
	s_waitcnt vmcnt(7) lgkmcnt(0)
	v_mul_f64 v[135:136], v[7:8], v[176:177]
	s_waitcnt vmcnt(6)
	v_fma_f64 v[123:124], v[123:124], v[205:206], -v[145:146]
	v_mul_f64 v[131:132], v[5:6], v[176:177]
	v_fma_f64 v[125:126], v[125:126], v[205:206], v[133:134]
	v_add_f64 v[1:2], v[127:128], v[1:2]
	v_add_f64 v[3:4], v[129:130], v[3:4]
	s_waitcnt vmcnt(4)
	v_fma_f64 v[5:6], v[5:6], v[141:142], -v[135:136]
	v_fma_f64 v[7:8], v[7:8], v[141:142], v[131:132]
	v_add_f64 v[1:2], v[1:2], v[123:124]
	v_add_f64 v[3:4], v[3:4], v[125:126]
	v_add_f64 v[1:2], v[1:2], v[5:6]
	v_add_f64 v[3:4], v[3:4], v[7:8]
	s_waitcnt vmcnt(2)
	v_add_f64 v[1:2], v[147:148], -v[1:2]
	s_waitcnt vmcnt(0)
	v_add_f64 v[3:4], v[157:158], -v[3:4]
	buffer_store_dword v2, off, s[0:3], 0 offset:276
	buffer_store_dword v1, off, s[0:3], 0 offset:272
	;; [unrolled: 1-line block ×4, first 2 shown]
	v_cmpx_lt_u32_e32 15, v0
	s_cbranch_execz .LBB120_325
; %bb.324:
	v_mov_b32_e32 v4, s54
	v_mov_b32_e32 v5, 0
	s_clause 0x3
	buffer_load_dword v1, v4, s[0:3], 0 offen
	buffer_load_dword v2, v4, s[0:3], 0 offen offset:4
	buffer_load_dword v3, v4, s[0:3], 0 offen offset:8
	;; [unrolled: 1-line block ×3, first 2 shown]
	buffer_store_dword v5, off, s[0:3], 0 offset:256
	buffer_store_dword v5, off, s[0:3], 0 offset:260
	;; [unrolled: 1-line block ×4, first 2 shown]
	s_waitcnt vmcnt(0)
	ds_write_b128 v183, v[1:4]
.LBB120_325:
	s_or_b32 exec_lo, exec_lo, s4
	s_waitcnt lgkmcnt(0)
	s_waitcnt_vscnt null, 0x0
	s_barrier
	buffer_gl0_inv
	s_clause 0x37
	buffer_load_dword v123, off, s[0:3], 0 offset:280
	buffer_load_dword v124, off, s[0:3], 0 offset:284
	;; [unrolled: 1-line block ×56, first 2 shown]
	v_mov_b32_e32 v175, 0
	s_mov_b32 s4, exec_lo
	ds_read_b128 v[176:179], v175 offset:1168
	s_clause 0x2
	buffer_load_dword v172, off, s[0:3], 0 offset:508
	buffer_load_dword v174, off, s[0:3], 0 offset:484
	;; [unrolled: 1-line block ×3, first 2 shown]
	ds_read_b128 v[184:187], v175 offset:1184
	s_clause 0x4
	buffer_load_dword v193, off, s[0:3], 0 offset:524
	buffer_load_dword v194, off, s[0:3], 0 offset:536
	;; [unrolled: 1-line block ×5, first 2 shown]
	ds_read_b128 v[188:191], v175 offset:1200
	s_clause 0x2
	buffer_load_dword v195, off, s[0:3], 0 offset:540
	buffer_load_dword v200, off, s[0:3], 0 offset:516
	;; [unrolled: 1-line block ×3, first 2 shown]
	s_waitcnt vmcnt(62) lgkmcnt(2)
	v_mul_f64 v[180:181], v[178:179], v[123:124]
	v_mul_f64 v[123:124], v[176:177], v[123:124]
	s_waitcnt lgkmcnt(1)
	v_mul_f64 v[197:198], v[186:187], v[5:6]
	s_waitcnt vmcnt(59) lgkmcnt(0)
	v_mul_f64 v[201:202], v[190:191], v[3:4]
	v_fma_f64 v[176:177], v[176:177], v[7:8], -v[180:181]
	v_mul_f64 v[180:181], v[184:185], v[5:6]
	v_fma_f64 v[123:124], v[178:179], v[7:8], v[123:124]
	s_waitcnt vmcnt(57)
	v_fma_f64 v[184:185], v[184:185], v[1:2], -v[197:198]
	ds_read_b128 v[5:8], v175 offset:1216
	v_mul_f64 v[178:179], v[188:189], v[3:4]
	s_waitcnt vmcnt(51)
	v_fma_f64 v[188:189], v[188:189], v[139:140], -v[201:202]
	v_add_f64 v[176:177], v[176:177], 0
	v_fma_f64 v[180:181], v[186:187], v[1:2], v[180:181]
	v_add_f64 v[123:124], v[123:124], 0
	s_clause 0x4
	buffer_load_dword v187, off, s[0:3], 0 offset:556
	buffer_load_dword v203, off, s[0:3], 0 offset:568
	;; [unrolled: 1-line block ×5, first 2 shown]
	s_waitcnt lgkmcnt(0)
	v_mul_f64 v[206:207], v[5:6], v[127:128]
	v_mul_f64 v[127:128], v[7:8], v[127:128]
	ds_read_b128 v[1:4], v175 offset:1232
	v_fma_f64 v[139:140], v[190:191], v[139:140], v[178:179]
	v_add_f64 v[184:185], v[176:177], v[184:185]
	v_add_f64 v[123:124], v[123:124], v[180:181]
	s_clause 0x2
	buffer_load_dword v204, off, s[0:3], 0 offset:572
	buffer_load_dword v181, off, s[0:3], 0 offset:548
	;; [unrolled: 1-line block ×3, first 2 shown]
	s_waitcnt vmcnt(58) lgkmcnt(0)
	v_mul_f64 v[190:191], v[1:2], v[131:132]
	v_mul_f64 v[131:132], v[3:4], v[131:132]
	s_waitcnt vmcnt(56)
	v_fma_f64 v[127:128], v[5:6], v[133:134], -v[127:128]
	ds_read_b128 v[176:179], v175 offset:1248
	v_fma_f64 v[133:134], v[7:8], v[133:134], v[206:207]
	v_add_f64 v[184:185], v[184:185], v[188:189]
	v_add_f64 v[123:124], v[123:124], v[139:140]
	s_clause 0x4
	buffer_load_dword v140, off, s[0:3], 0 offset:588
	buffer_load_dword v188, off, s[0:3], 0 offset:600
	;; [unrolled: 1-line block ×5, first 2 shown]
	ds_read_b128 v[5:8], v175 offset:1264
	s_waitcnt vmcnt(57) lgkmcnt(1)
	v_mul_f64 v[207:208], v[176:177], v[135:136]
	v_mul_f64 v[135:136], v[178:179], v[135:136]
	s_waitcnt vmcnt(56)
	v_fma_f64 v[131:132], v[1:2], v[125:126], -v[131:132]
	v_fma_f64 v[125:126], v[3:4], v[125:126], v[190:191]
	v_add_f64 v[127:128], v[184:185], v[127:128]
	v_add_f64 v[123:124], v[123:124], v[133:134]
	s_clause 0x2
	buffer_load_dword v189, off, s[0:3], 0 offset:604
	buffer_load_dword v134, off, s[0:3], 0 offset:580
	;; [unrolled: 1-line block ×3, first 2 shown]
	s_waitcnt vmcnt(58) lgkmcnt(0)
	v_mul_f64 v[184:185], v[5:6], v[141:142]
	v_mul_f64 v[141:142], v[7:8], v[141:142]
	s_waitcnt vmcnt(56)
	v_fma_f64 v[135:136], v[176:177], v[143:144], -v[135:136]
	ds_read_b128 v[1:4], v175 offset:1280
	v_add_f64 v[127:128], v[127:128], v[131:132]
	v_fma_f64 v[131:132], v[178:179], v[143:144], v[207:208]
	v_add_f64 v[143:144], v[123:124], v[125:126]
	s_clause 0x4
	buffer_load_dword v177, off, s[0:3], 0 offset:620
	buffer_load_dword v178, off, s[0:3], 0 offset:632
	;; [unrolled: 1-line block ×5, first 2 shown]
	ds_read_b128 v[123:126], v175 offset:1296
	s_waitcnt vmcnt(57) lgkmcnt(1)
	v_mul_f64 v[207:208], v[1:2], v[145:146]
	v_mul_f64 v[145:146], v[3:4], v[145:146]
	s_waitcnt vmcnt(56)
	v_fma_f64 v[141:142], v[5:6], v[129:130], -v[141:142]
	v_fma_f64 v[129:130], v[7:8], v[129:130], v[184:185]
	v_add_f64 v[127:128], v[127:128], v[135:136]
	s_clause 0x2
	buffer_load_dword v179, off, s[0:3], 0 offset:636
	buffer_load_dword v136, off, s[0:3], 0 offset:612
	;; [unrolled: 1-line block ×3, first 2 shown]
	v_add_f64 v[131:132], v[143:144], v[131:132]
	s_waitcnt vmcnt(58) lgkmcnt(0)
	v_mul_f64 v[143:144], v[123:124], v[149:150]
	v_mul_f64 v[149:150], v[125:126], v[149:150]
	ds_read_b128 v[5:8], v175 offset:1312
	s_waitcnt vmcnt(56)
	v_fma_f64 v[145:146], v[1:2], v[151:152], -v[145:146]
	v_add_f64 v[127:128], v[127:128], v[141:142]
	v_fma_f64 v[141:142], v[3:4], v[151:152], v[207:208]
	v_add_f64 v[129:130], v[131:132], v[129:130]
	s_clause 0x4
	buffer_load_dword v132, off, s[0:3], 0 offset:652
	buffer_load_dword v151, off, s[0:3], 0 offset:664
	;; [unrolled: 1-line block ×5, first 2 shown]
	s_waitcnt vmcnt(57) lgkmcnt(0)
	v_mul_f64 v[207:208], v[5:6], v[153:154]
	v_mul_f64 v[153:154], v[7:8], v[153:154]
	s_waitcnt vmcnt(56)
	v_fma_f64 v[149:150], v[123:124], v[137:138], -v[149:150]
	ds_read_b128 v[1:4], v175 offset:1328
	v_fma_f64 v[137:138], v[125:126], v[137:138], v[143:144]
	v_add_f64 v[127:128], v[127:128], v[145:146]
	v_add_f64 v[129:130], v[129:130], v[141:142]
	s_clause 0x2
	buffer_load_dword v152, off, s[0:3], 0 offset:668
	buffer_load_dword v142, off, s[0:3], 0 offset:644
	;; [unrolled: 1-line block ×3, first 2 shown]
	ds_read_b128 v[123:126], v175 offset:1344
	s_waitcnt vmcnt(58) lgkmcnt(1)
	v_mul_f64 v[145:146], v[3:4], v[157:158]
	s_waitcnt vmcnt(56)
	v_fma_f64 v[153:154], v[5:6], v[159:160], -v[153:154]
	v_mul_f64 v[143:144], v[1:2], v[157:158]
	v_add_f64 v[127:128], v[127:128], v[149:150]
	v_fma_f64 v[149:150], v[7:8], v[159:160], v[207:208]
	v_add_f64 v[129:130], v[129:130], v[137:138]
	s_clause 0x4
	buffer_load_dword v138, off, s[0:3], 0 offset:684
	buffer_load_dword v157, off, s[0:3], 0 offset:696
	;; [unrolled: 1-line block ×5, first 2 shown]
	s_waitcnt vmcnt(57) lgkmcnt(0)
	v_mul_f64 v[207:208], v[123:124], v[161:162]
	v_mul_f64 v[160:161], v[125:126], v[161:162]
	s_waitcnt vmcnt(56)
	v_fma_f64 v[145:146], v[1:2], v[147:148], -v[145:146]
	ds_read_b128 v[5:8], v175 offset:1360
	v_fma_f64 v[143:144], v[3:4], v[147:148], v[143:144]
	s_clause 0x2
	buffer_load_dword v158, off, s[0:3], 0 offset:700
	buffer_load_dword v148, off, s[0:3], 0 offset:676
	;; [unrolled: 1-line block ×3, first 2 shown]
	ds_read_b128 v[1:4], v175 offset:1376
	v_add_f64 v[127:128], v[127:128], v[153:154]
	v_add_f64 v[129:130], v[129:130], v[149:150]
	s_waitcnt vmcnt(58) lgkmcnt(1)
	v_mul_f64 v[153:154], v[7:8], v[165:166]
	s_waitcnt vmcnt(56)
	v_fma_f64 v[161:162], v[123:124], v[167:168], -v[160:161]
	v_mul_f64 v[149:150], v[5:6], v[165:166]
	v_add_f64 v[127:128], v[127:128], v[145:146]
	v_fma_f64 v[145:146], v[125:126], v[167:168], v[207:208]
	v_add_f64 v[129:130], v[129:130], v[143:144]
	s_clause 0x4
	buffer_load_dword v144, off, s[0:3], 0 offset:716
	buffer_load_dword v165, off, s[0:3], 0 offset:728
	;; [unrolled: 1-line block ×5, first 2 shown]
	s_waitcnt vmcnt(57) lgkmcnt(0)
	v_mul_f64 v[207:208], v[1:2], v[169:170]
	v_mul_f64 v[168:169], v[3:4], v[169:170]
	s_waitcnt vmcnt(56)
	v_fma_f64 v[153:154], v[5:6], v[155:156], -v[153:154]
	ds_read_b128 v[123:126], v175 offset:1392
	v_fma_f64 v[149:150], v[7:8], v[155:156], v[149:150]
	v_add_f64 v[127:128], v[127:128], v[161:162]
	v_add_f64 v[129:130], v[129:130], v[145:146]
	s_clause 0x2
	buffer_load_dword v166, off, s[0:3], 0 offset:732
	buffer_load_dword v146, off, s[0:3], 0 offset:708
	;; [unrolled: 1-line block ×3, first 2 shown]
	ds_read_b128 v[5:8], v175 offset:1408
	s_waitcnt vmcnt(58) lgkmcnt(1)
	v_mul_f64 v[161:162], v[125:126], v[171:172]
	s_waitcnt vmcnt(56)
	v_fma_f64 v[169:170], v[1:2], v[173:174], -v[168:169]
	v_mul_f64 v[155:156], v[123:124], v[171:172]
	v_add_f64 v[127:128], v[127:128], v[153:154]
	v_fma_f64 v[153:154], v[3:4], v[173:174], v[207:208]
	v_add_f64 v[129:130], v[129:130], v[149:150]
	s_clause 0x4
	buffer_load_dword v150, off, s[0:3], 0 offset:748
	buffer_load_dword v171, off, s[0:3], 0 offset:760
	;; [unrolled: 1-line block ×5, first 2 shown]
	s_waitcnt vmcnt(57) lgkmcnt(0)
	v_mul_f64 v[207:208], v[5:6], v[192:193]
	v_mul_f64 v[192:193], v[7:8], v[192:193]
	s_waitcnt vmcnt(56)
	v_fma_f64 v[161:162], v[123:124], v[163:164], -v[161:162]
	ds_read_b128 v[1:4], v175 offset:1424
	v_fma_f64 v[155:156], v[125:126], v[163:164], v[155:156]
	v_add_f64 v[127:128], v[127:128], v[169:170]
	v_add_f64 v[129:130], v[129:130], v[153:154]
	s_clause 0x2
	buffer_load_dword v172, off, s[0:3], 0 offset:764
	buffer_load_dword v154, off, s[0:3], 0 offset:740
	;; [unrolled: 1-line block ×3, first 2 shown]
	ds_read_b128 v[123:126], v175 offset:1440
	s_waitcnt vmcnt(58) lgkmcnt(1)
	v_mul_f64 v[169:170], v[3:4], v[194:195]
	s_waitcnt vmcnt(56)
	v_fma_f64 v[192:193], v[5:6], v[199:200], -v[192:193]
	v_mul_f64 v[163:164], v[1:2], v[194:195]
	v_add_f64 v[127:128], v[127:128], v[161:162]
	v_fma_f64 v[161:162], v[7:8], v[199:200], v[207:208]
	v_add_f64 v[129:130], v[129:130], v[155:156]
	s_clause 0x4
	buffer_load_dword v156, off, s[0:3], 0 offset:780
	buffer_load_dword v194, off, s[0:3], 0 offset:792
	;; [unrolled: 1-line block ×5, first 2 shown]
	ds_read_b128 v[5:8], v175 offset:1456
	s_waitcnt vmcnt(57) lgkmcnt(1)
	v_mul_f64 v[199:200], v[123:124], v[186:187]
	v_mul_f64 v[186:187], v[125:126], v[186:187]
	s_waitcnt vmcnt(56)
	v_fma_f64 v[169:170], v[1:2], v[196:197], -v[169:170]
	v_fma_f64 v[163:164], v[3:4], v[196:197], v[163:164]
	v_add_f64 v[127:128], v[127:128], v[192:193]
	v_add_f64 v[129:130], v[129:130], v[161:162]
	s_clause 0x2
	buffer_load_dword v195, off, s[0:3], 0 offset:796
	buffer_load_dword v162, off, s[0:3], 0 offset:772
	;; [unrolled: 1-line block ×3, first 2 shown]
	ds_read_b128 v[1:4], v175 offset:1472
	s_waitcnt vmcnt(58) lgkmcnt(1)
	v_mul_f64 v[196:197], v[7:8], v[203:204]
	v_mul_f64 v[192:193], v[5:6], v[203:204]
	s_waitcnt vmcnt(56)
	v_fma_f64 v[186:187], v[123:124], v[180:181], -v[186:187]
	v_add_f64 v[127:128], v[127:128], v[169:170]
	v_fma_f64 v[169:170], v[125:126], v[180:181], v[199:200]
	v_add_f64 v[129:130], v[129:130], v[163:164]
	s_clause 0x4
	buffer_load_dword v164, off, s[0:3], 0 offset:812
	buffer_load_dword v180, off, s[0:3], 0 offset:824
	buffer_load_dword v203, off, s[0:3], 0 offset:816
	buffer_load_dword v163, off, s[0:3], 0 offset:808
	buffer_load_dword v199, off, s[0:3], 0 offset:788
	ds_read_b128 v[123:126], v175 offset:1488
	s_waitcnt vmcnt(57) lgkmcnt(1)
	v_mul_f64 v[207:208], v[1:2], v[139:140]
	v_mul_f64 v[139:140], v[3:4], v[139:140]
	s_waitcnt vmcnt(56)
	v_fma_f64 v[196:197], v[5:6], v[205:206], -v[196:197]
	v_add_f64 v[127:128], v[127:128], v[186:187]
	v_fma_f64 v[186:187], v[7:8], v[205:206], v[192:193]
	v_add_f64 v[129:130], v[129:130], v[169:170]
	s_clause 0x2
	buffer_load_dword v181, off, s[0:3], 0 offset:828
	buffer_load_dword v170, off, s[0:3], 0 offset:804
	buffer_load_dword v169, off, s[0:3], 0 offset:800
	ds_read_b128 v[5:8], v175 offset:1504
	s_waitcnt vmcnt(58) lgkmcnt(1)
	v_mul_f64 v[192:193], v[123:124], v[188:189]
	v_mul_f64 v[188:189], v[125:126], v[188:189]
	s_waitcnt vmcnt(56)
	v_fma_f64 v[139:140], v[1:2], v[133:134], -v[139:140]
	v_fma_f64 v[133:134], v[3:4], v[133:134], v[207:208]
	v_add_f64 v[127:128], v[127:128], v[196:197]
	v_add_f64 v[129:130], v[129:130], v[186:187]
	s_clause 0x4
	buffer_load_dword v187, off, s[0:3], 0 offset:844
	buffer_load_dword v196, off, s[0:3], 0 offset:856
	buffer_load_dword v200, off, s[0:3], 0 offset:848
	buffer_load_dword v186, off, s[0:3], 0 offset:840
	buffer_load_dword v204, off, s[0:3], 0 offset:820
	ds_read_b128 v[1:4], v175 offset:1520
	s_waitcnt vmcnt(57) lgkmcnt(1)
	v_mul_f64 v[205:206], v[5:6], v[176:177]
	v_mul_f64 v[176:177], v[7:8], v[176:177]
	s_waitcnt vmcnt(56)
	v_fma_f64 v[188:189], v[123:124], v[201:202], -v[188:189]
	v_add_f64 v[127:128], v[127:128], v[139:140]
	v_fma_f64 v[139:140], v[125:126], v[201:202], v[192:193]
	v_add_f64 v[129:130], v[129:130], v[133:134]
	s_clause 0x2
	buffer_load_dword v197, off, s[0:3], 0 offset:860
	buffer_load_dword v134, off, s[0:3], 0 offset:836
	buffer_load_dword v133, off, s[0:3], 0 offset:832
	ds_read_b128 v[123:126], v175 offset:1536
	s_waitcnt vmcnt(58) lgkmcnt(1)
	v_mul_f64 v[192:193], v[1:2], v[178:179]
	v_mul_f64 v[178:179], v[3:4], v[178:179]
	s_waitcnt vmcnt(56)
	v_fma_f64 v[176:177], v[5:6], v[135:136], -v[176:177]
	v_fma_f64 v[135:136], v[7:8], v[135:136], v[205:206]
	v_add_f64 v[127:128], v[127:128], v[188:189]
	;; [unrolled: 28-line block ×3, first 2 shown]
	v_add_f64 v[129:130], v[129:130], v[176:177]
	s_clause 0x4
	buffer_load_dword v177, off, s[0:3], 0 offset:908
	buffer_load_dword v178, off, s[0:3], 0 offset:920
	;; [unrolled: 1-line block ×5, first 2 shown]
	ds_read_b128 v[123:126], v175 offset:1584
	s_waitcnt vmcnt(57) lgkmcnt(1)
	v_mul_f64 v[207:208], v[1:2], v[137:138]
	v_mul_f64 v[137:138], v[3:4], v[137:138]
	s_waitcnt vmcnt(56)
	v_fma_f64 v[151:152], v[5:6], v[184:185], -v[151:152]
	v_add_f64 v[127:128], v[127:128], v[131:132]
	v_fma_f64 v[131:132], v[7:8], v[184:185], v[190:191]
	v_add_f64 v[129:130], v[129:130], v[141:142]
	s_clause 0x2
	buffer_load_dword v179, off, s[0:3], 0 offset:924
	buffer_load_dword v142, off, s[0:3], 0 offset:900
	;; [unrolled: 1-line block ×3, first 2 shown]
	s_waitcnt vmcnt(58) lgkmcnt(0)
	v_mul_f64 v[184:185], v[123:124], v[157:158]
	v_mul_f64 v[157:158], v[125:126], v[157:158]
	ds_read_b128 v[5:8], v175 offset:1600
	buffer_load_dword v193, off, s[0:3], 0 offset:916
	s_waitcnt vmcnt(57)
	v_fma_f64 v[137:138], v[1:2], v[147:148], -v[137:138]
	v_fma_f64 v[147:148], v[3:4], v[147:148], v[207:208]
	ds_read_b128 v[1:4], v175 offset:1616
	v_add_f64 v[127:128], v[127:128], v[151:152]
	v_add_f64 v[129:130], v[129:130], v[131:132]
	s_waitcnt vmcnt(53) lgkmcnt(1)
	v_mul_f64 v[131:132], v[5:6], v[143:144]
	v_mul_f64 v[143:144], v[7:8], v[143:144]
	s_waitcnt vmcnt(52)
	v_fma_f64 v[151:152], v[123:124], v[159:160], -v[157:158]
	v_add_f64 v[127:128], v[127:128], v[137:138]
	v_fma_f64 v[137:138], v[125:126], v[159:160], v[184:185]
	v_add_f64 v[129:130], v[129:130], v[147:148]
	ds_read_b128 v[123:126], v175 offset:1632
	s_waitcnt vmcnt(51) lgkmcnt(1)
	v_mul_f64 v[157:158], v[3:4], v[165:166]
	v_mul_f64 v[147:148], v[1:2], v[165:166]
	s_waitcnt vmcnt(49)
	v_fma_f64 v[143:144], v[5:6], v[145:146], -v[143:144]
	v_fma_f64 v[131:132], v[7:8], v[145:146], v[131:132]
	v_add_f64 v[127:128], v[127:128], v[151:152]
	v_add_f64 v[129:130], v[129:130], v[137:138]
	s_clause 0x3
	buffer_load_dword v137, off, s[0:3], 0 offset:256
	buffer_load_dword v138, off, s[0:3], 0 offset:260
	;; [unrolled: 1-line block ×4, first 2 shown]
	ds_read_b128 v[5:8], v175 offset:1648
	s_waitcnt vmcnt(49) lgkmcnt(1)
	v_mul_f64 v[151:152], v[123:124], v[149:150]
	v_mul_f64 v[149:150], v[125:126], v[149:150]
	s_waitcnt vmcnt(48)
	v_fma_f64 v[157:158], v[1:2], v[167:168], -v[157:158]
	v_add_f64 v[127:128], v[127:128], v[143:144]
	v_fma_f64 v[143:144], v[3:4], v[167:168], v[147:148]
	v_add_f64 v[129:130], v[129:130], v[131:132]
	ds_read_b128 v[1:4], v175 offset:1664
	s_waitcnt vmcnt(47) lgkmcnt(1)
	v_mul_f64 v[147:148], v[7:8], v[171:172]
	v_mul_f64 v[131:132], v[5:6], v[171:172]
	s_waitcnt vmcnt(45)
	v_fma_f64 v[149:150], v[123:124], v[153:154], -v[149:150]
	v_fma_f64 v[151:152], v[125:126], v[153:154], v[151:152]
	ds_read_b128 v[123:126], v175 offset:1680
	v_add_f64 v[127:128], v[127:128], v[157:158]
	v_add_f64 v[129:130], v[129:130], v[143:144]
	s_waitcnt vmcnt(41) lgkmcnt(1)
	v_mul_f64 v[153:154], v[3:4], v[155:156]
	s_waitcnt vmcnt(40)
	v_fma_f64 v[147:148], v[5:6], v[173:174], -v[147:148]
	v_mul_f64 v[143:144], v[1:2], v[155:156]
	v_fma_f64 v[131:132], v[7:8], v[173:174], v[131:132]
	ds_read_b128 v[5:8], v175 offset:1696
	v_add_f64 v[127:128], v[127:128], v[149:150]
	v_add_f64 v[129:130], v[129:130], v[151:152]
	s_waitcnt vmcnt(39) lgkmcnt(1)
	v_mul_f64 v[151:152], v[125:126], v[194:195]
	v_mul_f64 v[149:150], v[123:124], v[194:195]
	s_waitcnt vmcnt(37)
	v_fma_f64 v[153:154], v[1:2], v[161:162], -v[153:154]
	v_fma_f64 v[143:144], v[3:4], v[161:162], v[143:144]
	ds_read_b128 v[1:4], v175 offset:1712
	v_add_f64 v[127:128], v[127:128], v[147:148]
	v_add_f64 v[129:130], v[129:130], v[131:132]
	s_waitcnt vmcnt(33) lgkmcnt(1)
	v_mul_f64 v[147:148], v[7:8], v[163:164]
	s_waitcnt vmcnt(32)
	v_fma_f64 v[151:152], v[123:124], v[198:199], -v[151:152]
	v_mul_f64 v[131:132], v[5:6], v[163:164]
	v_fma_f64 v[149:150], v[125:126], v[198:199], v[149:150]
	ds_read_b128 v[123:126], v175 offset:1728
	v_add_f64 v[127:128], v[127:128], v[153:154]
	v_add_f64 v[129:130], v[129:130], v[143:144]
	s_waitcnt vmcnt(31) lgkmcnt(1)
	v_mul_f64 v[153:154], v[3:4], v[180:181]
	v_mul_f64 v[143:144], v[1:2], v[180:181]
	s_waitcnt vmcnt(29)
	v_fma_f64 v[147:148], v[5:6], v[169:170], -v[147:148]
	v_fma_f64 v[131:132], v[7:8], v[169:170], v[131:132]
	ds_read_b128 v[5:8], v175 offset:1744
	v_add_f64 v[127:128], v[127:128], v[151:152]
	v_add_f64 v[129:130], v[129:130], v[149:150]
	s_waitcnt vmcnt(25) lgkmcnt(1)
	v_mul_f64 v[151:152], v[125:126], v[186:187]
	s_waitcnt vmcnt(24)
	v_fma_f64 v[153:154], v[1:2], v[203:204], -v[153:154]
	v_mul_f64 v[149:150], v[123:124], v[186:187]
	v_fma_f64 v[143:144], v[3:4], v[203:204], v[143:144]
	ds_read_b128 v[1:4], v175 offset:1760
	v_add_f64 v[127:128], v[127:128], v[147:148]
	v_add_f64 v[129:130], v[129:130], v[131:132]
	s_waitcnt vmcnt(23) lgkmcnt(1)
	v_mul_f64 v[147:148], v[7:8], v[196:197]
	v_mul_f64 v[131:132], v[5:6], v[196:197]
	s_waitcnt vmcnt(21)
	v_fma_f64 v[151:152], v[123:124], v[133:134], -v[151:152]
	v_fma_f64 v[133:134], v[125:126], v[133:134], v[149:150]
	ds_read_b128 v[123:126], v175 offset:1776
	v_add_f64 v[127:128], v[127:128], v[153:154]
	v_add_f64 v[129:130], v[129:130], v[143:144]
	s_waitcnt vmcnt(17) lgkmcnt(1)
	v_mul_f64 v[143:144], v[1:2], v[139:140]
	v_mul_f64 v[139:140], v[3:4], v[139:140]
	s_waitcnt vmcnt(16)
	v_fma_f64 v[147:148], v[5:6], v[200:201], -v[147:148]
	v_fma_f64 v[131:132], v[7:8], v[200:201], v[131:132]
	ds_read_b128 v[5:8], v175 offset:1792
	v_add_f64 v[127:128], v[127:128], v[151:152]
	v_add_f64 v[129:130], v[129:130], v[133:134]
	;; [unrolled: 9-line block ×3, first 2 shown]
	s_waitcnt vmcnt(9) lgkmcnt(1)
	v_mul_f64 v[143:144], v[7:8], v[176:177]
	s_waitcnt vmcnt(8)
	v_fma_f64 v[123:124], v[123:124], v[205:206], -v[149:150]
	v_mul_f64 v[131:132], v[5:6], v[176:177]
	v_fma_f64 v[125:126], v[125:126], v[205:206], v[133:134]
	v_add_f64 v[127:128], v[127:128], v[139:140]
	v_add_f64 v[129:130], v[129:130], v[135:136]
	s_waitcnt vmcnt(7) lgkmcnt(0)
	v_mul_f64 v[135:136], v[3:4], v[178:179]
	v_mul_f64 v[133:134], v[1:2], v[178:179]
	s_waitcnt vmcnt(5)
	v_fma_f64 v[5:6], v[5:6], v[141:142], -v[143:144]
	v_fma_f64 v[7:8], v[7:8], v[141:142], v[131:132]
	v_add_f64 v[123:124], v[127:128], v[123:124]
	v_add_f64 v[125:126], v[129:130], v[125:126]
	s_waitcnt vmcnt(4)
	v_fma_f64 v[1:2], v[1:2], v[192:193], -v[135:136]
	v_fma_f64 v[3:4], v[3:4], v[192:193], v[133:134]
	v_add_f64 v[5:6], v[123:124], v[5:6]
	v_add_f64 v[7:8], v[125:126], v[7:8]
	;; [unrolled: 1-line block ×4, first 2 shown]
	s_waitcnt vmcnt(2)
	v_add_f64 v[1:2], v[137:138], -v[1:2]
	s_waitcnt vmcnt(0)
	v_add_f64 v[3:4], v[145:146], -v[3:4]
	buffer_store_dword v2, off, s[0:3], 0 offset:260
	buffer_store_dword v1, off, s[0:3], 0 offset:256
	buffer_store_dword v4, off, s[0:3], 0 offset:268
	buffer_store_dword v3, off, s[0:3], 0 offset:264
	v_cmpx_lt_u32_e32 14, v0
	s_cbranch_execz .LBB120_327
; %bb.326:
	v_mov_b32_e32 v4, s55
	s_clause 0x3
	buffer_load_dword v1, v4, s[0:3], 0 offen
	buffer_load_dword v2, v4, s[0:3], 0 offen offset:4
	buffer_load_dword v3, v4, s[0:3], 0 offen offset:8
	;; [unrolled: 1-line block ×3, first 2 shown]
	buffer_store_dword v175, off, s[0:3], 0 offset:240
	buffer_store_dword v175, off, s[0:3], 0 offset:244
	;; [unrolled: 1-line block ×4, first 2 shown]
	s_waitcnt vmcnt(0)
	ds_write_b128 v183, v[1:4]
.LBB120_327:
	s_or_b32 exec_lo, exec_lo, s4
	s_waitcnt lgkmcnt(0)
	s_waitcnt_vscnt null, 0x0
	s_barrier
	buffer_gl0_inv
	s_clause 0x37
	buffer_load_dword v123, off, s[0:3], 0 offset:264
	buffer_load_dword v124, off, s[0:3], 0 offset:268
	;; [unrolled: 1-line block ×56, first 2 shown]
	ds_read_b128 v[176:179], v175 offset:1152
	s_clause 0x2
	buffer_load_dword v172, off, s[0:3], 0 offset:492
	buffer_load_dword v174, off, s[0:3], 0 offset:468
	;; [unrolled: 1-line block ×3, first 2 shown]
	ds_read_b128 v[184:187], v175 offset:1168
	s_clause 0x4
	buffer_load_dword v193, off, s[0:3], 0 offset:508
	buffer_load_dword v194, off, s[0:3], 0 offset:520
	;; [unrolled: 1-line block ×5, first 2 shown]
	ds_read_b128 v[188:191], v175 offset:1184
	s_clause 0x2
	buffer_load_dword v195, off, s[0:3], 0 offset:524
	buffer_load_dword v200, off, s[0:3], 0 offset:500
	buffer_load_dword v199, off, s[0:3], 0 offset:496
	s_mov_b32 s4, exec_lo
	s_waitcnt vmcnt(62) lgkmcnt(2)
	v_mul_f64 v[180:181], v[178:179], v[123:124]
	v_mul_f64 v[123:124], v[176:177], v[123:124]
	s_waitcnt lgkmcnt(1)
	v_mul_f64 v[197:198], v[186:187], v[5:6]
	s_waitcnt vmcnt(59) lgkmcnt(0)
	v_mul_f64 v[201:202], v[190:191], v[3:4]
	v_fma_f64 v[176:177], v[176:177], v[7:8], -v[180:181]
	v_mul_f64 v[180:181], v[184:185], v[5:6]
	v_fma_f64 v[123:124], v[178:179], v[7:8], v[123:124]
	s_waitcnt vmcnt(57)
	v_fma_f64 v[184:185], v[184:185], v[1:2], -v[197:198]
	ds_read_b128 v[5:8], v175 offset:1200
	v_mul_f64 v[178:179], v[188:189], v[3:4]
	s_waitcnt vmcnt(51)
	v_fma_f64 v[188:189], v[188:189], v[139:140], -v[201:202]
	v_add_f64 v[176:177], v[176:177], 0
	v_fma_f64 v[180:181], v[186:187], v[1:2], v[180:181]
	v_add_f64 v[123:124], v[123:124], 0
	s_clause 0x4
	buffer_load_dword v187, off, s[0:3], 0 offset:540
	buffer_load_dword v203, off, s[0:3], 0 offset:552
	;; [unrolled: 1-line block ×5, first 2 shown]
	s_waitcnt lgkmcnt(0)
	v_mul_f64 v[206:207], v[5:6], v[127:128]
	v_mul_f64 v[127:128], v[7:8], v[127:128]
	ds_read_b128 v[1:4], v175 offset:1216
	v_fma_f64 v[139:140], v[190:191], v[139:140], v[178:179]
	v_add_f64 v[184:185], v[176:177], v[184:185]
	v_add_f64 v[123:124], v[123:124], v[180:181]
	s_clause 0x2
	buffer_load_dword v204, off, s[0:3], 0 offset:556
	buffer_load_dword v181, off, s[0:3], 0 offset:532
	;; [unrolled: 1-line block ×3, first 2 shown]
	s_waitcnt vmcnt(58) lgkmcnt(0)
	v_mul_f64 v[190:191], v[1:2], v[131:132]
	v_mul_f64 v[131:132], v[3:4], v[131:132]
	s_waitcnt vmcnt(56)
	v_fma_f64 v[127:128], v[5:6], v[133:134], -v[127:128]
	ds_read_b128 v[176:179], v175 offset:1232
	v_fma_f64 v[133:134], v[7:8], v[133:134], v[206:207]
	v_add_f64 v[184:185], v[184:185], v[188:189]
	v_add_f64 v[123:124], v[123:124], v[139:140]
	s_clause 0x4
	buffer_load_dword v140, off, s[0:3], 0 offset:572
	buffer_load_dword v188, off, s[0:3], 0 offset:584
	;; [unrolled: 1-line block ×5, first 2 shown]
	ds_read_b128 v[5:8], v175 offset:1248
	s_waitcnt vmcnt(57) lgkmcnt(1)
	v_mul_f64 v[207:208], v[176:177], v[135:136]
	v_mul_f64 v[135:136], v[178:179], v[135:136]
	s_waitcnt vmcnt(56)
	v_fma_f64 v[131:132], v[1:2], v[125:126], -v[131:132]
	v_fma_f64 v[125:126], v[3:4], v[125:126], v[190:191]
	v_add_f64 v[127:128], v[184:185], v[127:128]
	v_add_f64 v[123:124], v[123:124], v[133:134]
	s_clause 0x2
	buffer_load_dword v189, off, s[0:3], 0 offset:588
	buffer_load_dword v134, off, s[0:3], 0 offset:564
	;; [unrolled: 1-line block ×3, first 2 shown]
	s_waitcnt vmcnt(58) lgkmcnt(0)
	v_mul_f64 v[184:185], v[5:6], v[141:142]
	v_mul_f64 v[141:142], v[7:8], v[141:142]
	s_waitcnt vmcnt(56)
	v_fma_f64 v[135:136], v[176:177], v[143:144], -v[135:136]
	ds_read_b128 v[1:4], v175 offset:1264
	v_add_f64 v[127:128], v[127:128], v[131:132]
	v_fma_f64 v[131:132], v[178:179], v[143:144], v[207:208]
	v_add_f64 v[143:144], v[123:124], v[125:126]
	s_clause 0x4
	buffer_load_dword v177, off, s[0:3], 0 offset:604
	buffer_load_dword v178, off, s[0:3], 0 offset:616
	;; [unrolled: 1-line block ×5, first 2 shown]
	ds_read_b128 v[123:126], v175 offset:1280
	s_waitcnt vmcnt(57) lgkmcnt(1)
	v_mul_f64 v[207:208], v[1:2], v[145:146]
	v_mul_f64 v[145:146], v[3:4], v[145:146]
	s_waitcnt vmcnt(56)
	v_fma_f64 v[141:142], v[5:6], v[129:130], -v[141:142]
	v_fma_f64 v[129:130], v[7:8], v[129:130], v[184:185]
	v_add_f64 v[127:128], v[127:128], v[135:136]
	s_clause 0x2
	buffer_load_dword v179, off, s[0:3], 0 offset:620
	buffer_load_dword v136, off, s[0:3], 0 offset:596
	;; [unrolled: 1-line block ×3, first 2 shown]
	v_add_f64 v[131:132], v[143:144], v[131:132]
	s_waitcnt vmcnt(58) lgkmcnt(0)
	v_mul_f64 v[143:144], v[123:124], v[149:150]
	v_mul_f64 v[149:150], v[125:126], v[149:150]
	ds_read_b128 v[5:8], v175 offset:1296
	s_waitcnt vmcnt(56)
	v_fma_f64 v[145:146], v[1:2], v[151:152], -v[145:146]
	v_add_f64 v[127:128], v[127:128], v[141:142]
	v_fma_f64 v[141:142], v[3:4], v[151:152], v[207:208]
	v_add_f64 v[129:130], v[131:132], v[129:130]
	s_clause 0x4
	buffer_load_dword v132, off, s[0:3], 0 offset:636
	buffer_load_dword v151, off, s[0:3], 0 offset:648
	;; [unrolled: 1-line block ×5, first 2 shown]
	s_waitcnt vmcnt(57) lgkmcnt(0)
	v_mul_f64 v[207:208], v[5:6], v[153:154]
	v_mul_f64 v[153:154], v[7:8], v[153:154]
	s_waitcnt vmcnt(56)
	v_fma_f64 v[149:150], v[123:124], v[137:138], -v[149:150]
	ds_read_b128 v[1:4], v175 offset:1312
	v_fma_f64 v[137:138], v[125:126], v[137:138], v[143:144]
	v_add_f64 v[127:128], v[127:128], v[145:146]
	v_add_f64 v[129:130], v[129:130], v[141:142]
	s_clause 0x2
	buffer_load_dword v152, off, s[0:3], 0 offset:652
	buffer_load_dword v142, off, s[0:3], 0 offset:628
	;; [unrolled: 1-line block ×3, first 2 shown]
	ds_read_b128 v[123:126], v175 offset:1328
	s_waitcnt vmcnt(58) lgkmcnt(1)
	v_mul_f64 v[145:146], v[3:4], v[157:158]
	s_waitcnt vmcnt(56)
	v_fma_f64 v[153:154], v[5:6], v[159:160], -v[153:154]
	v_mul_f64 v[143:144], v[1:2], v[157:158]
	v_add_f64 v[127:128], v[127:128], v[149:150]
	v_fma_f64 v[149:150], v[7:8], v[159:160], v[207:208]
	v_add_f64 v[129:130], v[129:130], v[137:138]
	s_clause 0x4
	buffer_load_dword v138, off, s[0:3], 0 offset:668
	buffer_load_dword v157, off, s[0:3], 0 offset:680
	;; [unrolled: 1-line block ×5, first 2 shown]
	s_waitcnt vmcnt(57) lgkmcnt(0)
	v_mul_f64 v[207:208], v[123:124], v[161:162]
	v_mul_f64 v[160:161], v[125:126], v[161:162]
	s_waitcnt vmcnt(56)
	v_fma_f64 v[145:146], v[1:2], v[147:148], -v[145:146]
	ds_read_b128 v[5:8], v175 offset:1344
	v_fma_f64 v[143:144], v[3:4], v[147:148], v[143:144]
	s_clause 0x2
	buffer_load_dword v158, off, s[0:3], 0 offset:684
	buffer_load_dword v148, off, s[0:3], 0 offset:660
	;; [unrolled: 1-line block ×3, first 2 shown]
	ds_read_b128 v[1:4], v175 offset:1360
	v_add_f64 v[127:128], v[127:128], v[153:154]
	v_add_f64 v[129:130], v[129:130], v[149:150]
	s_waitcnt vmcnt(58) lgkmcnt(1)
	v_mul_f64 v[153:154], v[7:8], v[165:166]
	s_waitcnt vmcnt(56)
	v_fma_f64 v[161:162], v[123:124], v[167:168], -v[160:161]
	v_mul_f64 v[149:150], v[5:6], v[165:166]
	v_add_f64 v[127:128], v[127:128], v[145:146]
	v_fma_f64 v[145:146], v[125:126], v[167:168], v[207:208]
	v_add_f64 v[129:130], v[129:130], v[143:144]
	s_clause 0x4
	buffer_load_dword v144, off, s[0:3], 0 offset:700
	buffer_load_dword v165, off, s[0:3], 0 offset:712
	;; [unrolled: 1-line block ×5, first 2 shown]
	s_waitcnt vmcnt(57) lgkmcnt(0)
	v_mul_f64 v[207:208], v[1:2], v[169:170]
	v_mul_f64 v[168:169], v[3:4], v[169:170]
	s_waitcnt vmcnt(56)
	v_fma_f64 v[153:154], v[5:6], v[155:156], -v[153:154]
	ds_read_b128 v[123:126], v175 offset:1376
	v_fma_f64 v[149:150], v[7:8], v[155:156], v[149:150]
	v_add_f64 v[127:128], v[127:128], v[161:162]
	v_add_f64 v[129:130], v[129:130], v[145:146]
	s_clause 0x2
	buffer_load_dword v166, off, s[0:3], 0 offset:716
	buffer_load_dword v146, off, s[0:3], 0 offset:692
	;; [unrolled: 1-line block ×3, first 2 shown]
	ds_read_b128 v[5:8], v175 offset:1392
	s_waitcnt vmcnt(58) lgkmcnt(1)
	v_mul_f64 v[161:162], v[125:126], v[171:172]
	s_waitcnt vmcnt(56)
	v_fma_f64 v[169:170], v[1:2], v[173:174], -v[168:169]
	v_mul_f64 v[155:156], v[123:124], v[171:172]
	v_add_f64 v[127:128], v[127:128], v[153:154]
	v_fma_f64 v[153:154], v[3:4], v[173:174], v[207:208]
	v_add_f64 v[129:130], v[129:130], v[149:150]
	s_clause 0x4
	buffer_load_dword v150, off, s[0:3], 0 offset:732
	buffer_load_dword v171, off, s[0:3], 0 offset:744
	;; [unrolled: 1-line block ×5, first 2 shown]
	s_waitcnt vmcnt(57) lgkmcnt(0)
	v_mul_f64 v[207:208], v[5:6], v[192:193]
	v_mul_f64 v[192:193], v[7:8], v[192:193]
	s_waitcnt vmcnt(56)
	v_fma_f64 v[161:162], v[123:124], v[163:164], -v[161:162]
	ds_read_b128 v[1:4], v175 offset:1408
	v_fma_f64 v[155:156], v[125:126], v[163:164], v[155:156]
	v_add_f64 v[127:128], v[127:128], v[169:170]
	v_add_f64 v[129:130], v[129:130], v[153:154]
	s_clause 0x2
	buffer_load_dword v172, off, s[0:3], 0 offset:748
	buffer_load_dword v154, off, s[0:3], 0 offset:724
	;; [unrolled: 1-line block ×3, first 2 shown]
	ds_read_b128 v[123:126], v175 offset:1424
	s_waitcnt vmcnt(58) lgkmcnt(1)
	v_mul_f64 v[169:170], v[3:4], v[194:195]
	s_waitcnt vmcnt(56)
	v_fma_f64 v[192:193], v[5:6], v[199:200], -v[192:193]
	v_mul_f64 v[163:164], v[1:2], v[194:195]
	v_add_f64 v[127:128], v[127:128], v[161:162]
	v_fma_f64 v[161:162], v[7:8], v[199:200], v[207:208]
	v_add_f64 v[129:130], v[129:130], v[155:156]
	s_clause 0x4
	buffer_load_dword v156, off, s[0:3], 0 offset:764
	buffer_load_dword v194, off, s[0:3], 0 offset:776
	;; [unrolled: 1-line block ×5, first 2 shown]
	ds_read_b128 v[5:8], v175 offset:1440
	s_waitcnt vmcnt(57) lgkmcnt(1)
	v_mul_f64 v[199:200], v[123:124], v[186:187]
	v_mul_f64 v[186:187], v[125:126], v[186:187]
	s_waitcnt vmcnt(56)
	v_fma_f64 v[169:170], v[1:2], v[196:197], -v[169:170]
	v_fma_f64 v[163:164], v[3:4], v[196:197], v[163:164]
	v_add_f64 v[127:128], v[127:128], v[192:193]
	v_add_f64 v[129:130], v[129:130], v[161:162]
	s_clause 0x2
	buffer_load_dword v195, off, s[0:3], 0 offset:780
	buffer_load_dword v162, off, s[0:3], 0 offset:756
	;; [unrolled: 1-line block ×3, first 2 shown]
	ds_read_b128 v[1:4], v175 offset:1456
	s_waitcnt vmcnt(58) lgkmcnt(1)
	v_mul_f64 v[196:197], v[7:8], v[203:204]
	v_mul_f64 v[192:193], v[5:6], v[203:204]
	s_waitcnt vmcnt(56)
	v_fma_f64 v[186:187], v[123:124], v[180:181], -v[186:187]
	v_add_f64 v[127:128], v[127:128], v[169:170]
	v_fma_f64 v[169:170], v[125:126], v[180:181], v[199:200]
	v_add_f64 v[129:130], v[129:130], v[163:164]
	s_clause 0x4
	buffer_load_dword v164, off, s[0:3], 0 offset:796
	buffer_load_dword v180, off, s[0:3], 0 offset:808
	buffer_load_dword v203, off, s[0:3], 0 offset:800
	buffer_load_dword v163, off, s[0:3], 0 offset:792
	buffer_load_dword v199, off, s[0:3], 0 offset:772
	ds_read_b128 v[123:126], v175 offset:1472
	s_waitcnt vmcnt(57) lgkmcnt(1)
	v_mul_f64 v[207:208], v[1:2], v[139:140]
	v_mul_f64 v[139:140], v[3:4], v[139:140]
	s_waitcnt vmcnt(56)
	v_fma_f64 v[196:197], v[5:6], v[205:206], -v[196:197]
	v_add_f64 v[127:128], v[127:128], v[186:187]
	v_fma_f64 v[186:187], v[7:8], v[205:206], v[192:193]
	v_add_f64 v[129:130], v[129:130], v[169:170]
	s_clause 0x2
	buffer_load_dword v181, off, s[0:3], 0 offset:812
	buffer_load_dword v170, off, s[0:3], 0 offset:788
	buffer_load_dword v169, off, s[0:3], 0 offset:784
	ds_read_b128 v[5:8], v175 offset:1488
	s_waitcnt vmcnt(58) lgkmcnt(1)
	v_mul_f64 v[192:193], v[123:124], v[188:189]
	v_mul_f64 v[188:189], v[125:126], v[188:189]
	s_waitcnt vmcnt(56)
	v_fma_f64 v[139:140], v[1:2], v[133:134], -v[139:140]
	v_fma_f64 v[133:134], v[3:4], v[133:134], v[207:208]
	v_add_f64 v[127:128], v[127:128], v[196:197]
	v_add_f64 v[129:130], v[129:130], v[186:187]
	s_clause 0x4
	buffer_load_dword v187, off, s[0:3], 0 offset:828
	buffer_load_dword v196, off, s[0:3], 0 offset:840
	buffer_load_dword v200, off, s[0:3], 0 offset:832
	buffer_load_dword v186, off, s[0:3], 0 offset:824
	buffer_load_dword v204, off, s[0:3], 0 offset:804
	ds_read_b128 v[1:4], v175 offset:1504
	s_waitcnt vmcnt(57) lgkmcnt(1)
	v_mul_f64 v[205:206], v[5:6], v[176:177]
	v_mul_f64 v[176:177], v[7:8], v[176:177]
	s_waitcnt vmcnt(56)
	v_fma_f64 v[188:189], v[123:124], v[201:202], -v[188:189]
	v_add_f64 v[127:128], v[127:128], v[139:140]
	v_fma_f64 v[139:140], v[125:126], v[201:202], v[192:193]
	v_add_f64 v[129:130], v[129:130], v[133:134]
	s_clause 0x2
	buffer_load_dword v197, off, s[0:3], 0 offset:844
	buffer_load_dword v134, off, s[0:3], 0 offset:820
	buffer_load_dword v133, off, s[0:3], 0 offset:816
	ds_read_b128 v[123:126], v175 offset:1520
	s_waitcnt vmcnt(58) lgkmcnt(1)
	v_mul_f64 v[192:193], v[1:2], v[178:179]
	v_mul_f64 v[178:179], v[3:4], v[178:179]
	s_waitcnt vmcnt(56)
	v_fma_f64 v[176:177], v[5:6], v[135:136], -v[176:177]
	v_fma_f64 v[135:136], v[7:8], v[135:136], v[205:206]
	v_add_f64 v[127:128], v[127:128], v[188:189]
	;; [unrolled: 28-line block ×3, first 2 shown]
	v_add_f64 v[129:130], v[129:130], v[176:177]
	s_clause 0x4
	buffer_load_dword v177, off, s[0:3], 0 offset:892
	buffer_load_dword v178, off, s[0:3], 0 offset:904
	;; [unrolled: 1-line block ×5, first 2 shown]
	ds_read_b128 v[123:126], v175 offset:1568
	s_waitcnt vmcnt(57) lgkmcnt(1)
	v_mul_f64 v[207:208], v[1:2], v[137:138]
	v_mul_f64 v[137:138], v[3:4], v[137:138]
	s_waitcnt vmcnt(56)
	v_fma_f64 v[151:152], v[5:6], v[184:185], -v[151:152]
	v_add_f64 v[127:128], v[127:128], v[131:132]
	v_fma_f64 v[131:132], v[7:8], v[184:185], v[190:191]
	v_add_f64 v[129:130], v[129:130], v[141:142]
	s_clause 0x2
	buffer_load_dword v179, off, s[0:3], 0 offset:908
	buffer_load_dword v142, off, s[0:3], 0 offset:884
	;; [unrolled: 1-line block ×3, first 2 shown]
	s_waitcnt vmcnt(58) lgkmcnt(0)
	v_mul_f64 v[184:185], v[123:124], v[157:158]
	v_mul_f64 v[157:158], v[125:126], v[157:158]
	ds_read_b128 v[5:8], v175 offset:1584
	s_waitcnt vmcnt(56)
	v_fma_f64 v[137:138], v[1:2], v[147:148], -v[137:138]
	v_fma_f64 v[147:148], v[3:4], v[147:148], v[207:208]
	v_add_f64 v[127:128], v[127:128], v[151:152]
	v_add_f64 v[129:130], v[129:130], v[131:132]
	s_clause 0x2
	buffer_load_dword v132, off, s[0:3], 0 offset:924
	buffer_load_dword v131, off, s[0:3], 0 offset:920
	;; [unrolled: 1-line block ×3, first 2 shown]
	ds_read_b128 v[1:4], v175 offset:1600
	s_waitcnt vmcnt(55) lgkmcnt(1)
	v_mul_f64 v[151:152], v[5:6], v[143:144]
	v_mul_f64 v[143:144], v[7:8], v[143:144]
	s_waitcnt vmcnt(54)
	v_fma_f64 v[157:158], v[123:124], v[159:160], -v[157:158]
	v_add_f64 v[127:128], v[127:128], v[137:138]
	v_fma_f64 v[137:138], v[125:126], v[159:160], v[184:185]
	v_add_f64 v[129:130], v[129:130], v[147:148]
	s_clause 0x1
	buffer_load_dword v148, off, s[0:3], 0 offset:916
	buffer_load_dword v147, off, s[0:3], 0 offset:912
	ds_read_b128 v[123:126], v175 offset:1616
	s_waitcnt vmcnt(55) lgkmcnt(1)
	v_mul_f64 v[159:160], v[1:2], v[165:166]
	v_mul_f64 v[165:166], v[3:4], v[165:166]
	s_waitcnt vmcnt(53)
	v_fma_f64 v[143:144], v[5:6], v[145:146], -v[143:144]
	v_fma_f64 v[145:146], v[7:8], v[145:146], v[151:152]
	ds_read_b128 v[5:8], v175 offset:1632
	v_add_f64 v[127:128], v[127:128], v[157:158]
	v_add_f64 v[129:130], v[129:130], v[137:138]
	s_waitcnt vmcnt(49) lgkmcnt(1)
	v_mul_f64 v[137:138], v[123:124], v[149:150]
	v_mul_f64 v[149:150], v[125:126], v[149:150]
	s_waitcnt vmcnt(48)
	v_fma_f64 v[151:152], v[1:2], v[167:168], -v[165:166]
	v_add_f64 v[127:128], v[127:128], v[143:144]
	v_fma_f64 v[143:144], v[3:4], v[167:168], v[159:160]
	v_add_f64 v[129:130], v[129:130], v[145:146]
	s_clause 0x3
	buffer_load_dword v145, off, s[0:3], 0 offset:240
	buffer_load_dword v146, off, s[0:3], 0 offset:244
	;; [unrolled: 1-line block ×4, first 2 shown]
	ds_read_b128 v[1:4], v175 offset:1648
	s_waitcnt vmcnt(51) lgkmcnt(1)
	v_mul_f64 v[165:166], v[7:8], v[171:172]
	v_mul_f64 v[159:160], v[5:6], v[171:172]
	s_waitcnt vmcnt(49)
	v_fma_f64 v[149:150], v[123:124], v[153:154], -v[149:150]
	v_fma_f64 v[137:138], v[125:126], v[153:154], v[137:138]
	ds_read_b128 v[123:126], v175 offset:1664
	v_add_f64 v[127:128], v[127:128], v[151:152]
	v_add_f64 v[129:130], v[129:130], v[143:144]
	s_waitcnt vmcnt(45) lgkmcnt(1)
	v_mul_f64 v[151:152], v[3:4], v[155:156]
	s_waitcnt vmcnt(44)
	v_fma_f64 v[153:154], v[5:6], v[173:174], -v[165:166]
	v_mul_f64 v[143:144], v[1:2], v[155:156]
	v_add_f64 v[127:128], v[127:128], v[149:150]
	v_fma_f64 v[149:150], v[7:8], v[173:174], v[159:160]
	v_add_f64 v[129:130], v[129:130], v[137:138]
	ds_read_b128 v[5:8], v175 offset:1680
	s_waitcnt vmcnt(43) lgkmcnt(1)
	v_mul_f64 v[155:156], v[125:126], v[194:195]
	v_mul_f64 v[137:138], v[123:124], v[194:195]
	s_waitcnt vmcnt(41)
	v_fma_f64 v[151:152], v[1:2], v[161:162], -v[151:152]
	v_fma_f64 v[143:144], v[3:4], v[161:162], v[143:144]
	ds_read_b128 v[1:4], v175 offset:1696
	v_add_f64 v[127:128], v[127:128], v[153:154]
	v_add_f64 v[129:130], v[129:130], v[149:150]
	s_waitcnt vmcnt(37) lgkmcnt(1)
	v_mul_f64 v[153:154], v[7:8], v[163:164]
	s_waitcnt vmcnt(36)
	v_fma_f64 v[155:156], v[123:124], v[198:199], -v[155:156]
	v_mul_f64 v[149:150], v[5:6], v[163:164]
	v_fma_f64 v[137:138], v[125:126], v[198:199], v[137:138]
	ds_read_b128 v[123:126], v175 offset:1712
	v_add_f64 v[127:128], v[127:128], v[151:152]
	v_add_f64 v[129:130], v[129:130], v[143:144]
	s_waitcnt vmcnt(35) lgkmcnt(1)
	v_mul_f64 v[151:152], v[3:4], v[180:181]
	v_mul_f64 v[143:144], v[1:2], v[180:181]
	s_waitcnt vmcnt(33)
	v_fma_f64 v[153:154], v[5:6], v[169:170], -v[153:154]
	v_fma_f64 v[149:150], v[7:8], v[169:170], v[149:150]
	ds_read_b128 v[5:8], v175 offset:1728
	v_add_f64 v[127:128], v[127:128], v[155:156]
	v_add_f64 v[129:130], v[129:130], v[137:138]
	s_waitcnt vmcnt(29) lgkmcnt(1)
	v_mul_f64 v[155:156], v[125:126], v[186:187]
	s_waitcnt vmcnt(28)
	v_fma_f64 v[151:152], v[1:2], v[203:204], -v[151:152]
	v_mul_f64 v[137:138], v[123:124], v[186:187]
	v_fma_f64 v[143:144], v[3:4], v[203:204], v[143:144]
	ds_read_b128 v[1:4], v175 offset:1744
	v_add_f64 v[127:128], v[127:128], v[153:154]
	v_add_f64 v[129:130], v[129:130], v[149:150]
	s_waitcnt vmcnt(27) lgkmcnt(1)
	v_mul_f64 v[153:154], v[7:8], v[196:197]
	v_mul_f64 v[149:150], v[5:6], v[196:197]
	s_waitcnt vmcnt(25)
	v_fma_f64 v[155:156], v[123:124], v[133:134], -v[155:156]
	v_fma_f64 v[133:134], v[125:126], v[133:134], v[137:138]
	ds_read_b128 v[123:126], v175 offset:1760
	v_add_f64 v[127:128], v[127:128], v[151:152]
	v_add_f64 v[129:130], v[129:130], v[143:144]
	s_waitcnt vmcnt(21) lgkmcnt(1)
	v_mul_f64 v[137:138], v[1:2], v[139:140]
	v_mul_f64 v[139:140], v[3:4], v[139:140]
	s_waitcnt vmcnt(20)
	v_fma_f64 v[143:144], v[5:6], v[200:201], -v[153:154]
	v_fma_f64 v[149:150], v[7:8], v[200:201], v[149:150]
	ds_read_b128 v[5:8], v175 offset:1776
	v_add_f64 v[127:128], v[127:128], v[155:156]
	v_add_f64 v[129:130], v[129:130], v[133:134]
	s_waitcnt vmcnt(19) lgkmcnt(1)
	v_mul_f64 v[151:152], v[125:126], v[188:189]
	v_mul_f64 v[133:134], v[123:124], v[188:189]
	s_waitcnt vmcnt(17)
	v_fma_f64 v[139:140], v[1:2], v[135:136], -v[139:140]
	v_fma_f64 v[135:136], v[3:4], v[135:136], v[137:138]
	ds_read_b128 v[1:4], v175 offset:1792
	v_add_f64 v[127:128], v[127:128], v[143:144]
	v_add_f64 v[129:130], v[129:130], v[149:150]
	s_waitcnt vmcnt(13) lgkmcnt(1)
	v_mul_f64 v[143:144], v[7:8], v[176:177]
	s_waitcnt vmcnt(12)
	v_fma_f64 v[149:150], v[123:124], v[205:206], -v[151:152]
	v_mul_f64 v[137:138], v[5:6], v[176:177]
	v_fma_f64 v[133:134], v[125:126], v[205:206], v[133:134]
	ds_read_b128 v[123:126], v175 offset:1808
	v_add_f64 v[127:128], v[127:128], v[139:140]
	v_add_f64 v[129:130], v[129:130], v[135:136]
	s_waitcnt vmcnt(11) lgkmcnt(1)
	v_mul_f64 v[139:140], v[3:4], v[178:179]
	v_mul_f64 v[135:136], v[1:2], v[178:179]
	s_waitcnt vmcnt(9)
	v_fma_f64 v[5:6], v[5:6], v[141:142], -v[143:144]
	v_fma_f64 v[7:8], v[7:8], v[141:142], v[137:138]
	v_add_f64 v[127:128], v[127:128], v[149:150]
	v_add_f64 v[129:130], v[129:130], v[133:134]
	s_waitcnt vmcnt(7) lgkmcnt(0)
	v_mul_f64 v[133:134], v[123:124], v[131:132]
	v_mul_f64 v[131:132], v[125:126], v[131:132]
	s_waitcnt vmcnt(6)
	v_fma_f64 v[1:2], v[1:2], v[192:193], -v[139:140]
	v_fma_f64 v[3:4], v[3:4], v[192:193], v[135:136]
	v_add_f64 v[5:6], v[127:128], v[5:6]
	v_add_f64 v[7:8], v[129:130], v[7:8]
	s_waitcnt vmcnt(4)
	v_fma_f64 v[123:124], v[123:124], v[147:148], -v[131:132]
	v_add_f64 v[1:2], v[5:6], v[1:2]
	v_fma_f64 v[5:6], v[125:126], v[147:148], v[133:134]
	v_add_f64 v[3:4], v[7:8], v[3:4]
	v_add_f64 v[1:2], v[1:2], v[123:124]
	;; [unrolled: 1-line block ×3, first 2 shown]
	s_waitcnt vmcnt(2)
	v_add_f64 v[1:2], v[145:146], -v[1:2]
	s_waitcnt vmcnt(0)
	v_add_f64 v[3:4], v[157:158], -v[3:4]
	buffer_store_dword v2, off, s[0:3], 0 offset:244
	buffer_store_dword v1, off, s[0:3], 0 offset:240
	;; [unrolled: 1-line block ×4, first 2 shown]
	v_cmpx_lt_u32_e32 13, v0
	s_cbranch_execz .LBB120_329
; %bb.328:
	v_mov_b32_e32 v4, s56
	v_mov_b32_e32 v5, 0
	s_clause 0x3
	buffer_load_dword v1, v4, s[0:3], 0 offen
	buffer_load_dword v2, v4, s[0:3], 0 offen offset:4
	buffer_load_dword v3, v4, s[0:3], 0 offen offset:8
	;; [unrolled: 1-line block ×3, first 2 shown]
	buffer_store_dword v5, off, s[0:3], 0 offset:224
	buffer_store_dword v5, off, s[0:3], 0 offset:228
	;; [unrolled: 1-line block ×4, first 2 shown]
	s_waitcnt vmcnt(0)
	ds_write_b128 v183, v[1:4]
.LBB120_329:
	s_or_b32 exec_lo, exec_lo, s4
	s_waitcnt lgkmcnt(0)
	s_waitcnt_vscnt null, 0x0
	s_barrier
	buffer_gl0_inv
	s_clause 0x37
	buffer_load_dword v123, off, s[0:3], 0 offset:248
	buffer_load_dword v124, off, s[0:3], 0 offset:252
	;; [unrolled: 1-line block ×56, first 2 shown]
	v_mov_b32_e32 v175, 0
	s_mov_b32 s4, exec_lo
	ds_read_b128 v[176:179], v175 offset:1136
	s_clause 0x2
	buffer_load_dword v172, off, s[0:3], 0 offset:476
	buffer_load_dword v174, off, s[0:3], 0 offset:452
	;; [unrolled: 1-line block ×3, first 2 shown]
	ds_read_b128 v[184:187], v175 offset:1152
	s_clause 0x4
	buffer_load_dword v193, off, s[0:3], 0 offset:492
	buffer_load_dword v194, off, s[0:3], 0 offset:504
	;; [unrolled: 1-line block ×5, first 2 shown]
	ds_read_b128 v[188:191], v175 offset:1168
	s_clause 0x2
	buffer_load_dword v195, off, s[0:3], 0 offset:508
	buffer_load_dword v200, off, s[0:3], 0 offset:484
	buffer_load_dword v199, off, s[0:3], 0 offset:480
	s_waitcnt vmcnt(62) lgkmcnt(2)
	v_mul_f64 v[180:181], v[178:179], v[123:124]
	v_mul_f64 v[123:124], v[176:177], v[123:124]
	s_waitcnt lgkmcnt(1)
	v_mul_f64 v[197:198], v[186:187], v[5:6]
	s_waitcnt vmcnt(59) lgkmcnt(0)
	v_mul_f64 v[201:202], v[190:191], v[3:4]
	v_fma_f64 v[176:177], v[176:177], v[7:8], -v[180:181]
	v_mul_f64 v[180:181], v[184:185], v[5:6]
	v_fma_f64 v[123:124], v[178:179], v[7:8], v[123:124]
	s_waitcnt vmcnt(57)
	v_fma_f64 v[184:185], v[184:185], v[1:2], -v[197:198]
	ds_read_b128 v[5:8], v175 offset:1184
	v_mul_f64 v[178:179], v[188:189], v[3:4]
	s_waitcnt vmcnt(51)
	v_fma_f64 v[188:189], v[188:189], v[139:140], -v[201:202]
	v_add_f64 v[176:177], v[176:177], 0
	v_fma_f64 v[180:181], v[186:187], v[1:2], v[180:181]
	v_add_f64 v[123:124], v[123:124], 0
	s_clause 0x4
	buffer_load_dword v187, off, s[0:3], 0 offset:524
	buffer_load_dword v203, off, s[0:3], 0 offset:536
	;; [unrolled: 1-line block ×5, first 2 shown]
	s_waitcnt lgkmcnt(0)
	v_mul_f64 v[206:207], v[5:6], v[127:128]
	v_mul_f64 v[127:128], v[7:8], v[127:128]
	ds_read_b128 v[1:4], v175 offset:1200
	v_fma_f64 v[139:140], v[190:191], v[139:140], v[178:179]
	v_add_f64 v[184:185], v[176:177], v[184:185]
	v_add_f64 v[123:124], v[123:124], v[180:181]
	s_clause 0x2
	buffer_load_dword v204, off, s[0:3], 0 offset:540
	buffer_load_dword v181, off, s[0:3], 0 offset:516
	;; [unrolled: 1-line block ×3, first 2 shown]
	s_waitcnt vmcnt(58) lgkmcnt(0)
	v_mul_f64 v[190:191], v[1:2], v[131:132]
	v_mul_f64 v[131:132], v[3:4], v[131:132]
	s_waitcnt vmcnt(56)
	v_fma_f64 v[127:128], v[5:6], v[133:134], -v[127:128]
	ds_read_b128 v[176:179], v175 offset:1216
	v_fma_f64 v[133:134], v[7:8], v[133:134], v[206:207]
	v_add_f64 v[184:185], v[184:185], v[188:189]
	v_add_f64 v[123:124], v[123:124], v[139:140]
	s_clause 0x4
	buffer_load_dword v140, off, s[0:3], 0 offset:556
	buffer_load_dword v188, off, s[0:3], 0 offset:568
	;; [unrolled: 1-line block ×5, first 2 shown]
	ds_read_b128 v[5:8], v175 offset:1232
	s_waitcnt vmcnt(57) lgkmcnt(1)
	v_mul_f64 v[207:208], v[176:177], v[135:136]
	v_mul_f64 v[135:136], v[178:179], v[135:136]
	s_waitcnt vmcnt(56)
	v_fma_f64 v[131:132], v[1:2], v[125:126], -v[131:132]
	v_fma_f64 v[125:126], v[3:4], v[125:126], v[190:191]
	v_add_f64 v[127:128], v[184:185], v[127:128]
	v_add_f64 v[123:124], v[123:124], v[133:134]
	s_clause 0x2
	buffer_load_dword v189, off, s[0:3], 0 offset:572
	buffer_load_dword v134, off, s[0:3], 0 offset:548
	;; [unrolled: 1-line block ×3, first 2 shown]
	s_waitcnt vmcnt(58) lgkmcnt(0)
	v_mul_f64 v[184:185], v[5:6], v[141:142]
	v_mul_f64 v[141:142], v[7:8], v[141:142]
	s_waitcnt vmcnt(56)
	v_fma_f64 v[135:136], v[176:177], v[143:144], -v[135:136]
	ds_read_b128 v[1:4], v175 offset:1248
	v_add_f64 v[127:128], v[127:128], v[131:132]
	v_fma_f64 v[131:132], v[178:179], v[143:144], v[207:208]
	v_add_f64 v[143:144], v[123:124], v[125:126]
	s_clause 0x4
	buffer_load_dword v177, off, s[0:3], 0 offset:588
	buffer_load_dword v178, off, s[0:3], 0 offset:600
	;; [unrolled: 1-line block ×5, first 2 shown]
	ds_read_b128 v[123:126], v175 offset:1264
	s_waitcnt vmcnt(57) lgkmcnt(1)
	v_mul_f64 v[207:208], v[1:2], v[145:146]
	v_mul_f64 v[145:146], v[3:4], v[145:146]
	s_waitcnt vmcnt(56)
	v_fma_f64 v[141:142], v[5:6], v[129:130], -v[141:142]
	v_fma_f64 v[129:130], v[7:8], v[129:130], v[184:185]
	v_add_f64 v[127:128], v[127:128], v[135:136]
	s_clause 0x2
	buffer_load_dword v179, off, s[0:3], 0 offset:604
	buffer_load_dword v136, off, s[0:3], 0 offset:580
	;; [unrolled: 1-line block ×3, first 2 shown]
	v_add_f64 v[131:132], v[143:144], v[131:132]
	s_waitcnt vmcnt(58) lgkmcnt(0)
	v_mul_f64 v[143:144], v[123:124], v[149:150]
	v_mul_f64 v[149:150], v[125:126], v[149:150]
	ds_read_b128 v[5:8], v175 offset:1280
	s_waitcnt vmcnt(56)
	v_fma_f64 v[145:146], v[1:2], v[151:152], -v[145:146]
	v_add_f64 v[127:128], v[127:128], v[141:142]
	v_fma_f64 v[141:142], v[3:4], v[151:152], v[207:208]
	v_add_f64 v[129:130], v[131:132], v[129:130]
	s_clause 0x4
	buffer_load_dword v132, off, s[0:3], 0 offset:620
	buffer_load_dword v151, off, s[0:3], 0 offset:632
	;; [unrolled: 1-line block ×5, first 2 shown]
	s_waitcnt vmcnt(57) lgkmcnt(0)
	v_mul_f64 v[207:208], v[5:6], v[153:154]
	v_mul_f64 v[153:154], v[7:8], v[153:154]
	s_waitcnt vmcnt(56)
	v_fma_f64 v[149:150], v[123:124], v[137:138], -v[149:150]
	ds_read_b128 v[1:4], v175 offset:1296
	v_fma_f64 v[137:138], v[125:126], v[137:138], v[143:144]
	v_add_f64 v[127:128], v[127:128], v[145:146]
	v_add_f64 v[129:130], v[129:130], v[141:142]
	s_clause 0x2
	buffer_load_dword v152, off, s[0:3], 0 offset:636
	buffer_load_dword v142, off, s[0:3], 0 offset:612
	;; [unrolled: 1-line block ×3, first 2 shown]
	ds_read_b128 v[123:126], v175 offset:1312
	s_waitcnt vmcnt(58) lgkmcnt(1)
	v_mul_f64 v[145:146], v[3:4], v[157:158]
	s_waitcnt vmcnt(56)
	v_fma_f64 v[153:154], v[5:6], v[159:160], -v[153:154]
	v_mul_f64 v[143:144], v[1:2], v[157:158]
	v_add_f64 v[127:128], v[127:128], v[149:150]
	v_fma_f64 v[149:150], v[7:8], v[159:160], v[207:208]
	v_add_f64 v[129:130], v[129:130], v[137:138]
	s_clause 0x4
	buffer_load_dword v138, off, s[0:3], 0 offset:652
	buffer_load_dword v157, off, s[0:3], 0 offset:664
	;; [unrolled: 1-line block ×5, first 2 shown]
	s_waitcnt vmcnt(57) lgkmcnt(0)
	v_mul_f64 v[207:208], v[123:124], v[161:162]
	v_mul_f64 v[160:161], v[125:126], v[161:162]
	s_waitcnt vmcnt(56)
	v_fma_f64 v[145:146], v[1:2], v[147:148], -v[145:146]
	ds_read_b128 v[5:8], v175 offset:1328
	v_fma_f64 v[143:144], v[3:4], v[147:148], v[143:144]
	s_clause 0x2
	buffer_load_dword v158, off, s[0:3], 0 offset:668
	buffer_load_dword v148, off, s[0:3], 0 offset:644
	;; [unrolled: 1-line block ×3, first 2 shown]
	ds_read_b128 v[1:4], v175 offset:1344
	v_add_f64 v[127:128], v[127:128], v[153:154]
	v_add_f64 v[129:130], v[129:130], v[149:150]
	s_waitcnt vmcnt(58) lgkmcnt(1)
	v_mul_f64 v[153:154], v[7:8], v[165:166]
	s_waitcnt vmcnt(56)
	v_fma_f64 v[161:162], v[123:124], v[167:168], -v[160:161]
	v_mul_f64 v[149:150], v[5:6], v[165:166]
	v_add_f64 v[127:128], v[127:128], v[145:146]
	v_fma_f64 v[145:146], v[125:126], v[167:168], v[207:208]
	v_add_f64 v[129:130], v[129:130], v[143:144]
	s_clause 0x4
	buffer_load_dword v144, off, s[0:3], 0 offset:684
	buffer_load_dword v165, off, s[0:3], 0 offset:696
	;; [unrolled: 1-line block ×5, first 2 shown]
	s_waitcnt vmcnt(57) lgkmcnt(0)
	v_mul_f64 v[207:208], v[1:2], v[169:170]
	v_mul_f64 v[168:169], v[3:4], v[169:170]
	s_waitcnt vmcnt(56)
	v_fma_f64 v[153:154], v[5:6], v[155:156], -v[153:154]
	ds_read_b128 v[123:126], v175 offset:1360
	v_fma_f64 v[149:150], v[7:8], v[155:156], v[149:150]
	v_add_f64 v[127:128], v[127:128], v[161:162]
	v_add_f64 v[129:130], v[129:130], v[145:146]
	s_clause 0x2
	buffer_load_dword v166, off, s[0:3], 0 offset:700
	buffer_load_dword v146, off, s[0:3], 0 offset:676
	;; [unrolled: 1-line block ×3, first 2 shown]
	ds_read_b128 v[5:8], v175 offset:1376
	s_waitcnt vmcnt(58) lgkmcnt(1)
	v_mul_f64 v[161:162], v[125:126], v[171:172]
	s_waitcnt vmcnt(56)
	v_fma_f64 v[169:170], v[1:2], v[173:174], -v[168:169]
	v_mul_f64 v[155:156], v[123:124], v[171:172]
	v_add_f64 v[127:128], v[127:128], v[153:154]
	v_fma_f64 v[153:154], v[3:4], v[173:174], v[207:208]
	v_add_f64 v[129:130], v[129:130], v[149:150]
	s_clause 0x4
	buffer_load_dword v150, off, s[0:3], 0 offset:716
	buffer_load_dword v171, off, s[0:3], 0 offset:728
	;; [unrolled: 1-line block ×5, first 2 shown]
	s_waitcnt vmcnt(57) lgkmcnt(0)
	v_mul_f64 v[207:208], v[5:6], v[192:193]
	v_mul_f64 v[192:193], v[7:8], v[192:193]
	s_waitcnt vmcnt(56)
	v_fma_f64 v[161:162], v[123:124], v[163:164], -v[161:162]
	ds_read_b128 v[1:4], v175 offset:1392
	v_fma_f64 v[155:156], v[125:126], v[163:164], v[155:156]
	v_add_f64 v[127:128], v[127:128], v[169:170]
	v_add_f64 v[129:130], v[129:130], v[153:154]
	s_clause 0x2
	buffer_load_dword v172, off, s[0:3], 0 offset:732
	buffer_load_dword v154, off, s[0:3], 0 offset:708
	;; [unrolled: 1-line block ×3, first 2 shown]
	ds_read_b128 v[123:126], v175 offset:1408
	s_waitcnt vmcnt(58) lgkmcnt(1)
	v_mul_f64 v[169:170], v[3:4], v[194:195]
	s_waitcnt vmcnt(56)
	v_fma_f64 v[192:193], v[5:6], v[199:200], -v[192:193]
	v_mul_f64 v[163:164], v[1:2], v[194:195]
	v_add_f64 v[127:128], v[127:128], v[161:162]
	v_fma_f64 v[161:162], v[7:8], v[199:200], v[207:208]
	v_add_f64 v[129:130], v[129:130], v[155:156]
	s_clause 0x4
	buffer_load_dword v156, off, s[0:3], 0 offset:748
	buffer_load_dword v194, off, s[0:3], 0 offset:760
	;; [unrolled: 1-line block ×5, first 2 shown]
	ds_read_b128 v[5:8], v175 offset:1424
	s_waitcnt vmcnt(57) lgkmcnt(1)
	v_mul_f64 v[199:200], v[123:124], v[186:187]
	v_mul_f64 v[186:187], v[125:126], v[186:187]
	s_waitcnt vmcnt(56)
	v_fma_f64 v[169:170], v[1:2], v[196:197], -v[169:170]
	v_fma_f64 v[163:164], v[3:4], v[196:197], v[163:164]
	v_add_f64 v[127:128], v[127:128], v[192:193]
	v_add_f64 v[129:130], v[129:130], v[161:162]
	s_clause 0x2
	buffer_load_dword v195, off, s[0:3], 0 offset:764
	buffer_load_dword v162, off, s[0:3], 0 offset:740
	;; [unrolled: 1-line block ×3, first 2 shown]
	ds_read_b128 v[1:4], v175 offset:1440
	s_waitcnt vmcnt(58) lgkmcnt(1)
	v_mul_f64 v[196:197], v[7:8], v[203:204]
	v_mul_f64 v[192:193], v[5:6], v[203:204]
	s_waitcnt vmcnt(56)
	v_fma_f64 v[186:187], v[123:124], v[180:181], -v[186:187]
	v_add_f64 v[127:128], v[127:128], v[169:170]
	v_fma_f64 v[169:170], v[125:126], v[180:181], v[199:200]
	v_add_f64 v[129:130], v[129:130], v[163:164]
	s_clause 0x4
	buffer_load_dword v164, off, s[0:3], 0 offset:780
	buffer_load_dword v180, off, s[0:3], 0 offset:792
	buffer_load_dword v203, off, s[0:3], 0 offset:784
	buffer_load_dword v163, off, s[0:3], 0 offset:776
	buffer_load_dword v199, off, s[0:3], 0 offset:756
	ds_read_b128 v[123:126], v175 offset:1456
	s_waitcnt vmcnt(57) lgkmcnt(1)
	v_mul_f64 v[207:208], v[1:2], v[139:140]
	v_mul_f64 v[139:140], v[3:4], v[139:140]
	s_waitcnt vmcnt(56)
	v_fma_f64 v[196:197], v[5:6], v[205:206], -v[196:197]
	v_add_f64 v[127:128], v[127:128], v[186:187]
	v_fma_f64 v[186:187], v[7:8], v[205:206], v[192:193]
	v_add_f64 v[129:130], v[129:130], v[169:170]
	s_clause 0x2
	buffer_load_dword v181, off, s[0:3], 0 offset:796
	buffer_load_dword v170, off, s[0:3], 0 offset:772
	buffer_load_dword v169, off, s[0:3], 0 offset:768
	ds_read_b128 v[5:8], v175 offset:1472
	s_waitcnt vmcnt(58) lgkmcnt(1)
	v_mul_f64 v[192:193], v[123:124], v[188:189]
	v_mul_f64 v[188:189], v[125:126], v[188:189]
	s_waitcnt vmcnt(56)
	v_fma_f64 v[139:140], v[1:2], v[133:134], -v[139:140]
	v_fma_f64 v[133:134], v[3:4], v[133:134], v[207:208]
	v_add_f64 v[127:128], v[127:128], v[196:197]
	v_add_f64 v[129:130], v[129:130], v[186:187]
	s_clause 0x4
	buffer_load_dword v187, off, s[0:3], 0 offset:812
	buffer_load_dword v196, off, s[0:3], 0 offset:824
	buffer_load_dword v200, off, s[0:3], 0 offset:816
	buffer_load_dword v186, off, s[0:3], 0 offset:808
	buffer_load_dword v204, off, s[0:3], 0 offset:788
	ds_read_b128 v[1:4], v175 offset:1488
	s_waitcnt vmcnt(57) lgkmcnt(1)
	v_mul_f64 v[205:206], v[5:6], v[176:177]
	v_mul_f64 v[176:177], v[7:8], v[176:177]
	s_waitcnt vmcnt(56)
	v_fma_f64 v[188:189], v[123:124], v[201:202], -v[188:189]
	v_add_f64 v[127:128], v[127:128], v[139:140]
	v_fma_f64 v[139:140], v[125:126], v[201:202], v[192:193]
	v_add_f64 v[129:130], v[129:130], v[133:134]
	s_clause 0x2
	buffer_load_dword v197, off, s[0:3], 0 offset:828
	buffer_load_dword v134, off, s[0:3], 0 offset:804
	buffer_load_dword v133, off, s[0:3], 0 offset:800
	ds_read_b128 v[123:126], v175 offset:1504
	s_waitcnt vmcnt(58) lgkmcnt(1)
	v_mul_f64 v[192:193], v[1:2], v[178:179]
	v_mul_f64 v[178:179], v[3:4], v[178:179]
	s_waitcnt vmcnt(56)
	v_fma_f64 v[176:177], v[5:6], v[135:136], -v[176:177]
	v_fma_f64 v[135:136], v[7:8], v[135:136], v[205:206]
	v_add_f64 v[127:128], v[127:128], v[188:189]
	;; [unrolled: 28-line block ×3, first 2 shown]
	v_add_f64 v[129:130], v[129:130], v[176:177]
	s_clause 0x4
	buffer_load_dword v177, off, s[0:3], 0 offset:876
	buffer_load_dword v178, off, s[0:3], 0 offset:888
	;; [unrolled: 1-line block ×5, first 2 shown]
	ds_read_b128 v[123:126], v175 offset:1552
	s_waitcnt vmcnt(57) lgkmcnt(1)
	v_mul_f64 v[207:208], v[1:2], v[137:138]
	v_mul_f64 v[137:138], v[3:4], v[137:138]
	s_waitcnt vmcnt(56)
	v_fma_f64 v[151:152], v[5:6], v[184:185], -v[151:152]
	v_add_f64 v[127:128], v[127:128], v[131:132]
	v_fma_f64 v[131:132], v[7:8], v[184:185], v[190:191]
	v_add_f64 v[129:130], v[129:130], v[141:142]
	s_clause 0x2
	buffer_load_dword v179, off, s[0:3], 0 offset:892
	buffer_load_dword v142, off, s[0:3], 0 offset:868
	;; [unrolled: 1-line block ×3, first 2 shown]
	s_waitcnt vmcnt(58) lgkmcnt(0)
	v_mul_f64 v[184:185], v[123:124], v[157:158]
	v_mul_f64 v[157:158], v[125:126], v[157:158]
	ds_read_b128 v[5:8], v175 offset:1568
	s_waitcnt vmcnt(56)
	v_fma_f64 v[137:138], v[1:2], v[147:148], -v[137:138]
	v_fma_f64 v[147:148], v[3:4], v[147:148], v[207:208]
	v_add_f64 v[127:128], v[127:128], v[151:152]
	v_add_f64 v[129:130], v[129:130], v[131:132]
	s_clause 0x4
	buffer_load_dword v132, off, s[0:3], 0 offset:908
	buffer_load_dword v151, off, s[0:3], 0 offset:920
	;; [unrolled: 1-line block ×5, first 2 shown]
	ds_read_b128 v[1:4], v175 offset:1584
	s_waitcnt vmcnt(57) lgkmcnt(1)
	v_mul_f64 v[207:208], v[5:6], v[143:144]
	v_mul_f64 v[143:144], v[7:8], v[143:144]
	s_waitcnt vmcnt(56)
	v_fma_f64 v[157:158], v[123:124], v[159:160], -v[157:158]
	v_add_f64 v[127:128], v[127:128], v[137:138]
	v_fma_f64 v[137:138], v[125:126], v[159:160], v[184:185]
	v_add_f64 v[129:130], v[129:130], v[147:148]
	s_clause 0x2
	buffer_load_dword v152, off, s[0:3], 0 offset:924
	buffer_load_dword v148, off, s[0:3], 0 offset:900
	buffer_load_dword v147, off, s[0:3], 0 offset:896
	ds_read_b128 v[123:126], v175 offset:1600
	buffer_load_dword v191, off, s[0:3], 0 offset:916
	s_waitcnt vmcnt(59) lgkmcnt(1)
	v_mul_f64 v[159:160], v[1:2], v[165:166]
	v_mul_f64 v[165:166], v[3:4], v[165:166]
	s_waitcnt vmcnt(57)
	v_fma_f64 v[143:144], v[5:6], v[145:146], -v[143:144]
	v_fma_f64 v[145:146], v[7:8], v[145:146], v[207:208]
	ds_read_b128 v[5:8], v175 offset:1616
	v_add_f64 v[127:128], v[127:128], v[157:158]
	v_add_f64 v[129:130], v[129:130], v[137:138]
	s_waitcnt vmcnt(53) lgkmcnt(1)
	v_mul_f64 v[137:138], v[123:124], v[149:150]
	v_mul_f64 v[149:150], v[125:126], v[149:150]
	s_waitcnt vmcnt(52)
	v_fma_f64 v[157:158], v[1:2], v[167:168], -v[165:166]
	v_add_f64 v[127:128], v[127:128], v[143:144]
	v_fma_f64 v[143:144], v[3:4], v[167:168], v[159:160]
	v_add_f64 v[129:130], v[129:130], v[145:146]
	ds_read_b128 v[1:4], v175 offset:1632
	s_waitcnt vmcnt(51) lgkmcnt(1)
	v_mul_f64 v[159:160], v[7:8], v[171:172]
	v_mul_f64 v[145:146], v[5:6], v[171:172]
	s_waitcnt vmcnt(49)
	v_fma_f64 v[149:150], v[123:124], v[153:154], -v[149:150]
	v_fma_f64 v[137:138], v[125:126], v[153:154], v[137:138]
	v_add_f64 v[127:128], v[127:128], v[157:158]
	v_add_f64 v[129:130], v[129:130], v[143:144]
	s_clause 0x3
	buffer_load_dword v143, off, s[0:3], 0 offset:224
	buffer_load_dword v144, off, s[0:3], 0 offset:228
	;; [unrolled: 1-line block ×4, first 2 shown]
	ds_read_b128 v[123:126], v175 offset:1648
	s_waitcnt vmcnt(49) lgkmcnt(1)
	v_mul_f64 v[157:158], v[1:2], v[155:156]
	v_mul_f64 v[155:156], v[3:4], v[155:156]
	s_waitcnt vmcnt(48)
	v_fma_f64 v[159:160], v[5:6], v[173:174], -v[159:160]
	v_fma_f64 v[145:146], v[7:8], v[173:174], v[145:146]
	ds_read_b128 v[5:8], v175 offset:1664
	v_add_f64 v[127:128], v[127:128], v[149:150]
	v_add_f64 v[129:130], v[129:130], v[137:138]
	s_waitcnt vmcnt(47) lgkmcnt(1)
	v_mul_f64 v[149:150], v[125:126], v[194:195]
	v_mul_f64 v[137:138], v[123:124], v[194:195]
	s_waitcnt vmcnt(45)
	v_fma_f64 v[155:156], v[1:2], v[161:162], -v[155:156]
	v_fma_f64 v[157:158], v[3:4], v[161:162], v[157:158]
	ds_read_b128 v[1:4], v175 offset:1680
	v_add_f64 v[127:128], v[127:128], v[159:160]
	v_add_f64 v[129:130], v[129:130], v[145:146]
	s_waitcnt vmcnt(41) lgkmcnt(1)
	v_mul_f64 v[159:160], v[7:8], v[163:164]
	s_waitcnt vmcnt(40)
	v_fma_f64 v[149:150], v[123:124], v[198:199], -v[149:150]
	v_mul_f64 v[145:146], v[5:6], v[163:164]
	v_fma_f64 v[137:138], v[125:126], v[198:199], v[137:138]
	ds_read_b128 v[123:126], v175 offset:1696
	v_add_f64 v[127:128], v[127:128], v[155:156]
	v_add_f64 v[129:130], v[129:130], v[157:158]
	s_waitcnt vmcnt(39) lgkmcnt(1)
	v_mul_f64 v[157:158], v[3:4], v[180:181]
	v_mul_f64 v[155:156], v[1:2], v[180:181]
	s_waitcnt vmcnt(37)
	v_fma_f64 v[159:160], v[5:6], v[169:170], -v[159:160]
	v_fma_f64 v[145:146], v[7:8], v[169:170], v[145:146]
	ds_read_b128 v[5:8], v175 offset:1712
	v_add_f64 v[127:128], v[127:128], v[149:150]
	v_add_f64 v[129:130], v[129:130], v[137:138]
	s_waitcnt vmcnt(33) lgkmcnt(1)
	v_mul_f64 v[149:150], v[125:126], v[186:187]
	s_waitcnt vmcnt(32)
	v_fma_f64 v[157:158], v[1:2], v[203:204], -v[157:158]
	v_mul_f64 v[137:138], v[123:124], v[186:187]
	v_fma_f64 v[155:156], v[3:4], v[203:204], v[155:156]
	ds_read_b128 v[1:4], v175 offset:1728
	v_add_f64 v[127:128], v[127:128], v[159:160]
	v_add_f64 v[129:130], v[129:130], v[145:146]
	s_waitcnt vmcnt(31) lgkmcnt(1)
	v_mul_f64 v[159:160], v[7:8], v[196:197]
	v_mul_f64 v[145:146], v[5:6], v[196:197]
	s_waitcnt vmcnt(29)
	v_fma_f64 v[149:150], v[123:124], v[133:134], -v[149:150]
	v_fma_f64 v[133:134], v[125:126], v[133:134], v[137:138]
	ds_read_b128 v[123:126], v175 offset:1744
	v_add_f64 v[127:128], v[127:128], v[157:158]
	v_add_f64 v[129:130], v[129:130], v[155:156]
	s_waitcnt vmcnt(25) lgkmcnt(1)
	v_mul_f64 v[137:138], v[1:2], v[139:140]
	v_mul_f64 v[139:140], v[3:4], v[139:140]
	s_waitcnt vmcnt(24)
	v_fma_f64 v[155:156], v[5:6], v[200:201], -v[159:160]
	;; [unrolled: 9-line block ×3, first 2 shown]
	v_fma_f64 v[135:136], v[3:4], v[135:136], v[137:138]
	ds_read_b128 v[1:4], v175 offset:1776
	v_add_f64 v[127:128], v[127:128], v[155:156]
	v_add_f64 v[129:130], v[129:130], v[145:146]
	s_waitcnt vmcnt(17) lgkmcnt(1)
	v_mul_f64 v[145:146], v[7:8], v[176:177]
	s_waitcnt vmcnt(16)
	v_fma_f64 v[149:150], v[123:124], v[205:206], -v[149:150]
	v_mul_f64 v[137:138], v[5:6], v[176:177]
	v_fma_f64 v[133:134], v[125:126], v[205:206], v[133:134]
	ds_read_b128 v[123:126], v175 offset:1792
	v_add_f64 v[127:128], v[127:128], v[139:140]
	v_add_f64 v[129:130], v[129:130], v[135:136]
	s_waitcnt vmcnt(15) lgkmcnt(1)
	v_mul_f64 v[139:140], v[3:4], v[178:179]
	v_mul_f64 v[135:136], v[1:2], v[178:179]
	s_waitcnt vmcnt(13)
	v_fma_f64 v[145:146], v[5:6], v[141:142], -v[145:146]
	v_fma_f64 v[137:138], v[7:8], v[141:142], v[137:138]
	ds_read_b128 v[5:8], v175 offset:1808
	v_add_f64 v[127:128], v[127:128], v[149:150]
	v_add_f64 v[129:130], v[129:130], v[133:134]
	s_waitcnt vmcnt(9) lgkmcnt(1)
	v_mul_f64 v[133:134], v[123:124], v[131:132]
	v_mul_f64 v[131:132], v[125:126], v[131:132]
	s_waitcnt vmcnt(8)
	v_fma_f64 v[1:2], v[1:2], v[192:193], -v[139:140]
	v_fma_f64 v[3:4], v[3:4], v[192:193], v[135:136]
	v_add_f64 v[127:128], v[127:128], v[145:146]
	v_add_f64 v[129:130], v[129:130], v[137:138]
	s_waitcnt vmcnt(7) lgkmcnt(0)
	v_mul_f64 v[137:138], v[7:8], v[151:152]
	v_mul_f64 v[135:136], v[5:6], v[151:152]
	s_waitcnt vmcnt(5)
	v_fma_f64 v[123:124], v[123:124], v[147:148], -v[131:132]
	v_fma_f64 v[125:126], v[125:126], v[147:148], v[133:134]
	v_add_f64 v[1:2], v[127:128], v[1:2]
	v_add_f64 v[3:4], v[129:130], v[3:4]
	s_waitcnt vmcnt(4)
	v_fma_f64 v[5:6], v[5:6], v[190:191], -v[137:138]
	v_fma_f64 v[7:8], v[7:8], v[190:191], v[135:136]
	v_add_f64 v[1:2], v[1:2], v[123:124]
	v_add_f64 v[3:4], v[3:4], v[125:126]
	;; [unrolled: 1-line block ×4, first 2 shown]
	s_waitcnt vmcnt(2)
	v_add_f64 v[1:2], v[143:144], -v[1:2]
	s_waitcnt vmcnt(0)
	v_add_f64 v[3:4], v[153:154], -v[3:4]
	buffer_store_dword v2, off, s[0:3], 0 offset:228
	buffer_store_dword v1, off, s[0:3], 0 offset:224
	;; [unrolled: 1-line block ×4, first 2 shown]
	v_cmpx_lt_u32_e32 12, v0
	s_cbranch_execz .LBB120_331
; %bb.330:
	v_mov_b32_e32 v4, s57
	s_clause 0x3
	buffer_load_dword v1, v4, s[0:3], 0 offen
	buffer_load_dword v2, v4, s[0:3], 0 offen offset:4
	buffer_load_dword v3, v4, s[0:3], 0 offen offset:8
	;; [unrolled: 1-line block ×3, first 2 shown]
	buffer_store_dword v175, off, s[0:3], 0 offset:208
	buffer_store_dword v175, off, s[0:3], 0 offset:212
	;; [unrolled: 1-line block ×4, first 2 shown]
	s_waitcnt vmcnt(0)
	ds_write_b128 v183, v[1:4]
.LBB120_331:
	s_or_b32 exec_lo, exec_lo, s4
	s_waitcnt lgkmcnt(0)
	s_waitcnt_vscnt null, 0x0
	s_barrier
	buffer_gl0_inv
	s_clause 0x37
	buffer_load_dword v123, off, s[0:3], 0 offset:232
	buffer_load_dword v124, off, s[0:3], 0 offset:236
	;; [unrolled: 1-line block ×56, first 2 shown]
	ds_read_b128 v[176:179], v175 offset:1120
	s_clause 0x2
	buffer_load_dword v172, off, s[0:3], 0 offset:460
	buffer_load_dword v174, off, s[0:3], 0 offset:436
	buffer_load_dword v173, off, s[0:3], 0 offset:432
	ds_read_b128 v[184:187], v175 offset:1136
	s_clause 0x4
	buffer_load_dword v193, off, s[0:3], 0 offset:476
	buffer_load_dword v194, off, s[0:3], 0 offset:488
	;; [unrolled: 1-line block ×5, first 2 shown]
	ds_read_b128 v[188:191], v175 offset:1152
	s_clause 0x2
	buffer_load_dword v195, off, s[0:3], 0 offset:492
	buffer_load_dword v200, off, s[0:3], 0 offset:468
	;; [unrolled: 1-line block ×3, first 2 shown]
	s_mov_b32 s4, exec_lo
	s_waitcnt vmcnt(62) lgkmcnt(2)
	v_mul_f64 v[180:181], v[178:179], v[123:124]
	v_mul_f64 v[123:124], v[176:177], v[123:124]
	s_waitcnt lgkmcnt(1)
	v_mul_f64 v[197:198], v[186:187], v[5:6]
	s_waitcnt vmcnt(59) lgkmcnt(0)
	v_mul_f64 v[201:202], v[190:191], v[3:4]
	v_fma_f64 v[176:177], v[176:177], v[7:8], -v[180:181]
	v_mul_f64 v[180:181], v[184:185], v[5:6]
	v_fma_f64 v[123:124], v[178:179], v[7:8], v[123:124]
	s_waitcnt vmcnt(57)
	v_fma_f64 v[184:185], v[184:185], v[1:2], -v[197:198]
	ds_read_b128 v[5:8], v175 offset:1168
	v_mul_f64 v[178:179], v[188:189], v[3:4]
	s_waitcnt vmcnt(51)
	v_fma_f64 v[188:189], v[188:189], v[139:140], -v[201:202]
	v_add_f64 v[176:177], v[176:177], 0
	v_fma_f64 v[180:181], v[186:187], v[1:2], v[180:181]
	v_add_f64 v[123:124], v[123:124], 0
	s_clause 0x4
	buffer_load_dword v187, off, s[0:3], 0 offset:508
	buffer_load_dword v203, off, s[0:3], 0 offset:520
	;; [unrolled: 1-line block ×5, first 2 shown]
	s_waitcnt lgkmcnt(0)
	v_mul_f64 v[206:207], v[5:6], v[127:128]
	v_mul_f64 v[127:128], v[7:8], v[127:128]
	ds_read_b128 v[1:4], v175 offset:1184
	v_fma_f64 v[139:140], v[190:191], v[139:140], v[178:179]
	v_add_f64 v[184:185], v[176:177], v[184:185]
	v_add_f64 v[123:124], v[123:124], v[180:181]
	s_clause 0x2
	buffer_load_dword v204, off, s[0:3], 0 offset:524
	buffer_load_dword v181, off, s[0:3], 0 offset:500
	;; [unrolled: 1-line block ×3, first 2 shown]
	s_waitcnt vmcnt(58) lgkmcnt(0)
	v_mul_f64 v[190:191], v[1:2], v[131:132]
	v_mul_f64 v[131:132], v[3:4], v[131:132]
	s_waitcnt vmcnt(56)
	v_fma_f64 v[127:128], v[5:6], v[133:134], -v[127:128]
	ds_read_b128 v[176:179], v175 offset:1200
	v_fma_f64 v[133:134], v[7:8], v[133:134], v[206:207]
	v_add_f64 v[184:185], v[184:185], v[188:189]
	v_add_f64 v[123:124], v[123:124], v[139:140]
	s_clause 0x4
	buffer_load_dword v140, off, s[0:3], 0 offset:540
	buffer_load_dword v188, off, s[0:3], 0 offset:552
	;; [unrolled: 1-line block ×5, first 2 shown]
	ds_read_b128 v[5:8], v175 offset:1216
	s_waitcnt vmcnt(57) lgkmcnt(1)
	v_mul_f64 v[207:208], v[176:177], v[135:136]
	v_mul_f64 v[135:136], v[178:179], v[135:136]
	s_waitcnt vmcnt(56)
	v_fma_f64 v[131:132], v[1:2], v[125:126], -v[131:132]
	v_fma_f64 v[125:126], v[3:4], v[125:126], v[190:191]
	v_add_f64 v[127:128], v[184:185], v[127:128]
	v_add_f64 v[123:124], v[123:124], v[133:134]
	s_clause 0x2
	buffer_load_dword v189, off, s[0:3], 0 offset:556
	buffer_load_dword v134, off, s[0:3], 0 offset:532
	;; [unrolled: 1-line block ×3, first 2 shown]
	s_waitcnt vmcnt(58) lgkmcnt(0)
	v_mul_f64 v[184:185], v[5:6], v[141:142]
	v_mul_f64 v[141:142], v[7:8], v[141:142]
	s_waitcnt vmcnt(56)
	v_fma_f64 v[135:136], v[176:177], v[143:144], -v[135:136]
	ds_read_b128 v[1:4], v175 offset:1232
	v_add_f64 v[127:128], v[127:128], v[131:132]
	v_fma_f64 v[131:132], v[178:179], v[143:144], v[207:208]
	v_add_f64 v[143:144], v[123:124], v[125:126]
	s_clause 0x4
	buffer_load_dword v177, off, s[0:3], 0 offset:572
	buffer_load_dword v178, off, s[0:3], 0 offset:584
	;; [unrolled: 1-line block ×5, first 2 shown]
	ds_read_b128 v[123:126], v175 offset:1248
	s_waitcnt vmcnt(57) lgkmcnt(1)
	v_mul_f64 v[207:208], v[1:2], v[145:146]
	v_mul_f64 v[145:146], v[3:4], v[145:146]
	s_waitcnt vmcnt(56)
	v_fma_f64 v[141:142], v[5:6], v[129:130], -v[141:142]
	v_fma_f64 v[129:130], v[7:8], v[129:130], v[184:185]
	v_add_f64 v[127:128], v[127:128], v[135:136]
	s_clause 0x2
	buffer_load_dword v179, off, s[0:3], 0 offset:588
	buffer_load_dword v136, off, s[0:3], 0 offset:564
	;; [unrolled: 1-line block ×3, first 2 shown]
	v_add_f64 v[131:132], v[143:144], v[131:132]
	s_waitcnt vmcnt(58) lgkmcnt(0)
	v_mul_f64 v[143:144], v[123:124], v[149:150]
	v_mul_f64 v[149:150], v[125:126], v[149:150]
	ds_read_b128 v[5:8], v175 offset:1264
	s_waitcnt vmcnt(56)
	v_fma_f64 v[145:146], v[1:2], v[151:152], -v[145:146]
	v_add_f64 v[127:128], v[127:128], v[141:142]
	v_fma_f64 v[141:142], v[3:4], v[151:152], v[207:208]
	v_add_f64 v[129:130], v[131:132], v[129:130]
	s_clause 0x4
	buffer_load_dword v132, off, s[0:3], 0 offset:604
	buffer_load_dword v151, off, s[0:3], 0 offset:616
	;; [unrolled: 1-line block ×5, first 2 shown]
	s_waitcnt vmcnt(57) lgkmcnt(0)
	v_mul_f64 v[207:208], v[5:6], v[153:154]
	v_mul_f64 v[153:154], v[7:8], v[153:154]
	s_waitcnt vmcnt(56)
	v_fma_f64 v[149:150], v[123:124], v[137:138], -v[149:150]
	ds_read_b128 v[1:4], v175 offset:1280
	v_fma_f64 v[137:138], v[125:126], v[137:138], v[143:144]
	v_add_f64 v[127:128], v[127:128], v[145:146]
	v_add_f64 v[129:130], v[129:130], v[141:142]
	s_clause 0x2
	buffer_load_dword v152, off, s[0:3], 0 offset:620
	buffer_load_dword v142, off, s[0:3], 0 offset:596
	buffer_load_dword v141, off, s[0:3], 0 offset:592
	ds_read_b128 v[123:126], v175 offset:1296
	s_waitcnt vmcnt(58) lgkmcnt(1)
	v_mul_f64 v[145:146], v[3:4], v[157:158]
	s_waitcnt vmcnt(56)
	v_fma_f64 v[153:154], v[5:6], v[159:160], -v[153:154]
	v_mul_f64 v[143:144], v[1:2], v[157:158]
	v_add_f64 v[127:128], v[127:128], v[149:150]
	v_fma_f64 v[149:150], v[7:8], v[159:160], v[207:208]
	v_add_f64 v[129:130], v[129:130], v[137:138]
	s_clause 0x4
	buffer_load_dword v138, off, s[0:3], 0 offset:636
	buffer_load_dword v157, off, s[0:3], 0 offset:648
	;; [unrolled: 1-line block ×5, first 2 shown]
	s_waitcnt vmcnt(57) lgkmcnt(0)
	v_mul_f64 v[207:208], v[123:124], v[161:162]
	v_mul_f64 v[160:161], v[125:126], v[161:162]
	s_waitcnt vmcnt(56)
	v_fma_f64 v[145:146], v[1:2], v[147:148], -v[145:146]
	ds_read_b128 v[5:8], v175 offset:1312
	v_fma_f64 v[143:144], v[3:4], v[147:148], v[143:144]
	s_clause 0x2
	buffer_load_dword v158, off, s[0:3], 0 offset:652
	buffer_load_dword v148, off, s[0:3], 0 offset:628
	;; [unrolled: 1-line block ×3, first 2 shown]
	ds_read_b128 v[1:4], v175 offset:1328
	v_add_f64 v[127:128], v[127:128], v[153:154]
	v_add_f64 v[129:130], v[129:130], v[149:150]
	s_waitcnt vmcnt(58) lgkmcnt(1)
	v_mul_f64 v[153:154], v[7:8], v[165:166]
	s_waitcnt vmcnt(56)
	v_fma_f64 v[161:162], v[123:124], v[167:168], -v[160:161]
	v_mul_f64 v[149:150], v[5:6], v[165:166]
	v_add_f64 v[127:128], v[127:128], v[145:146]
	v_fma_f64 v[145:146], v[125:126], v[167:168], v[207:208]
	v_add_f64 v[129:130], v[129:130], v[143:144]
	s_clause 0x4
	buffer_load_dword v144, off, s[0:3], 0 offset:668
	buffer_load_dword v165, off, s[0:3], 0 offset:680
	;; [unrolled: 1-line block ×5, first 2 shown]
	s_waitcnt vmcnt(57) lgkmcnt(0)
	v_mul_f64 v[207:208], v[1:2], v[169:170]
	v_mul_f64 v[168:169], v[3:4], v[169:170]
	s_waitcnt vmcnt(56)
	v_fma_f64 v[153:154], v[5:6], v[155:156], -v[153:154]
	ds_read_b128 v[123:126], v175 offset:1344
	v_fma_f64 v[149:150], v[7:8], v[155:156], v[149:150]
	v_add_f64 v[127:128], v[127:128], v[161:162]
	v_add_f64 v[129:130], v[129:130], v[145:146]
	s_clause 0x2
	buffer_load_dword v166, off, s[0:3], 0 offset:684
	buffer_load_dword v146, off, s[0:3], 0 offset:660
	buffer_load_dword v145, off, s[0:3], 0 offset:656
	ds_read_b128 v[5:8], v175 offset:1360
	s_waitcnt vmcnt(58) lgkmcnt(1)
	v_mul_f64 v[161:162], v[125:126], v[171:172]
	s_waitcnt vmcnt(56)
	v_fma_f64 v[169:170], v[1:2], v[173:174], -v[168:169]
	v_mul_f64 v[155:156], v[123:124], v[171:172]
	v_add_f64 v[127:128], v[127:128], v[153:154]
	v_fma_f64 v[153:154], v[3:4], v[173:174], v[207:208]
	v_add_f64 v[129:130], v[129:130], v[149:150]
	s_clause 0x4
	buffer_load_dword v150, off, s[0:3], 0 offset:700
	buffer_load_dword v171, off, s[0:3], 0 offset:712
	;; [unrolled: 1-line block ×5, first 2 shown]
	s_waitcnt vmcnt(57) lgkmcnt(0)
	v_mul_f64 v[207:208], v[5:6], v[192:193]
	v_mul_f64 v[192:193], v[7:8], v[192:193]
	s_waitcnt vmcnt(56)
	v_fma_f64 v[161:162], v[123:124], v[163:164], -v[161:162]
	ds_read_b128 v[1:4], v175 offset:1376
	v_fma_f64 v[155:156], v[125:126], v[163:164], v[155:156]
	v_add_f64 v[127:128], v[127:128], v[169:170]
	v_add_f64 v[129:130], v[129:130], v[153:154]
	s_clause 0x2
	buffer_load_dword v172, off, s[0:3], 0 offset:716
	buffer_load_dword v154, off, s[0:3], 0 offset:692
	;; [unrolled: 1-line block ×3, first 2 shown]
	ds_read_b128 v[123:126], v175 offset:1392
	s_waitcnt vmcnt(58) lgkmcnt(1)
	v_mul_f64 v[169:170], v[3:4], v[194:195]
	s_waitcnt vmcnt(56)
	v_fma_f64 v[192:193], v[5:6], v[199:200], -v[192:193]
	v_mul_f64 v[163:164], v[1:2], v[194:195]
	v_add_f64 v[127:128], v[127:128], v[161:162]
	v_fma_f64 v[161:162], v[7:8], v[199:200], v[207:208]
	v_add_f64 v[129:130], v[129:130], v[155:156]
	s_clause 0x4
	buffer_load_dword v156, off, s[0:3], 0 offset:732
	buffer_load_dword v194, off, s[0:3], 0 offset:744
	;; [unrolled: 1-line block ×5, first 2 shown]
	ds_read_b128 v[5:8], v175 offset:1408
	s_waitcnt vmcnt(57) lgkmcnt(1)
	v_mul_f64 v[199:200], v[123:124], v[186:187]
	v_mul_f64 v[186:187], v[125:126], v[186:187]
	s_waitcnt vmcnt(56)
	v_fma_f64 v[169:170], v[1:2], v[196:197], -v[169:170]
	v_fma_f64 v[163:164], v[3:4], v[196:197], v[163:164]
	v_add_f64 v[127:128], v[127:128], v[192:193]
	v_add_f64 v[129:130], v[129:130], v[161:162]
	s_clause 0x2
	buffer_load_dword v195, off, s[0:3], 0 offset:748
	buffer_load_dword v162, off, s[0:3], 0 offset:724
	;; [unrolled: 1-line block ×3, first 2 shown]
	ds_read_b128 v[1:4], v175 offset:1424
	s_waitcnt vmcnt(58) lgkmcnt(1)
	v_mul_f64 v[196:197], v[7:8], v[203:204]
	v_mul_f64 v[192:193], v[5:6], v[203:204]
	s_waitcnt vmcnt(56)
	v_fma_f64 v[186:187], v[123:124], v[180:181], -v[186:187]
	v_add_f64 v[127:128], v[127:128], v[169:170]
	v_fma_f64 v[169:170], v[125:126], v[180:181], v[199:200]
	v_add_f64 v[129:130], v[129:130], v[163:164]
	s_clause 0x4
	buffer_load_dword v164, off, s[0:3], 0 offset:764
	buffer_load_dword v180, off, s[0:3], 0 offset:776
	buffer_load_dword v203, off, s[0:3], 0 offset:768
	buffer_load_dword v163, off, s[0:3], 0 offset:760
	buffer_load_dword v199, off, s[0:3], 0 offset:740
	ds_read_b128 v[123:126], v175 offset:1440
	s_waitcnt vmcnt(57) lgkmcnt(1)
	v_mul_f64 v[207:208], v[1:2], v[139:140]
	v_mul_f64 v[139:140], v[3:4], v[139:140]
	s_waitcnt vmcnt(56)
	v_fma_f64 v[196:197], v[5:6], v[205:206], -v[196:197]
	v_add_f64 v[127:128], v[127:128], v[186:187]
	v_fma_f64 v[186:187], v[7:8], v[205:206], v[192:193]
	v_add_f64 v[129:130], v[129:130], v[169:170]
	s_clause 0x2
	buffer_load_dword v181, off, s[0:3], 0 offset:780
	buffer_load_dword v170, off, s[0:3], 0 offset:756
	buffer_load_dword v169, off, s[0:3], 0 offset:752
	ds_read_b128 v[5:8], v175 offset:1456
	s_waitcnt vmcnt(58) lgkmcnt(1)
	v_mul_f64 v[192:193], v[123:124], v[188:189]
	v_mul_f64 v[188:189], v[125:126], v[188:189]
	s_waitcnt vmcnt(56)
	v_fma_f64 v[139:140], v[1:2], v[133:134], -v[139:140]
	v_fma_f64 v[133:134], v[3:4], v[133:134], v[207:208]
	v_add_f64 v[127:128], v[127:128], v[196:197]
	v_add_f64 v[129:130], v[129:130], v[186:187]
	s_clause 0x4
	buffer_load_dword v187, off, s[0:3], 0 offset:796
	buffer_load_dword v196, off, s[0:3], 0 offset:808
	buffer_load_dword v200, off, s[0:3], 0 offset:800
	buffer_load_dword v186, off, s[0:3], 0 offset:792
	buffer_load_dword v204, off, s[0:3], 0 offset:772
	ds_read_b128 v[1:4], v175 offset:1472
	s_waitcnt vmcnt(57) lgkmcnt(1)
	v_mul_f64 v[205:206], v[5:6], v[176:177]
	v_mul_f64 v[176:177], v[7:8], v[176:177]
	s_waitcnt vmcnt(56)
	v_fma_f64 v[188:189], v[123:124], v[201:202], -v[188:189]
	v_add_f64 v[127:128], v[127:128], v[139:140]
	v_fma_f64 v[139:140], v[125:126], v[201:202], v[192:193]
	v_add_f64 v[129:130], v[129:130], v[133:134]
	s_clause 0x2
	buffer_load_dword v197, off, s[0:3], 0 offset:812
	buffer_load_dword v134, off, s[0:3], 0 offset:788
	buffer_load_dword v133, off, s[0:3], 0 offset:784
	ds_read_b128 v[123:126], v175 offset:1488
	s_waitcnt vmcnt(58) lgkmcnt(1)
	v_mul_f64 v[192:193], v[1:2], v[178:179]
	v_mul_f64 v[178:179], v[3:4], v[178:179]
	s_waitcnt vmcnt(56)
	v_fma_f64 v[176:177], v[5:6], v[135:136], -v[176:177]
	v_fma_f64 v[135:136], v[7:8], v[135:136], v[205:206]
	v_add_f64 v[127:128], v[127:128], v[188:189]
	;; [unrolled: 28-line block ×3, first 2 shown]
	v_add_f64 v[129:130], v[129:130], v[176:177]
	s_clause 0x4
	buffer_load_dword v177, off, s[0:3], 0 offset:860
	buffer_load_dword v178, off, s[0:3], 0 offset:872
	;; [unrolled: 1-line block ×5, first 2 shown]
	ds_read_b128 v[123:126], v175 offset:1536
	s_waitcnt vmcnt(57) lgkmcnt(1)
	v_mul_f64 v[207:208], v[1:2], v[137:138]
	v_mul_f64 v[137:138], v[3:4], v[137:138]
	s_waitcnt vmcnt(56)
	v_fma_f64 v[151:152], v[5:6], v[184:185], -v[151:152]
	v_add_f64 v[127:128], v[127:128], v[131:132]
	v_fma_f64 v[131:132], v[7:8], v[184:185], v[190:191]
	v_add_f64 v[129:130], v[129:130], v[141:142]
	s_clause 0x2
	buffer_load_dword v179, off, s[0:3], 0 offset:876
	buffer_load_dword v142, off, s[0:3], 0 offset:852
	;; [unrolled: 1-line block ×3, first 2 shown]
	s_waitcnt vmcnt(58) lgkmcnt(0)
	v_mul_f64 v[184:185], v[123:124], v[157:158]
	v_mul_f64 v[157:158], v[125:126], v[157:158]
	ds_read_b128 v[5:8], v175 offset:1552
	s_waitcnt vmcnt(56)
	v_fma_f64 v[137:138], v[1:2], v[147:148], -v[137:138]
	v_fma_f64 v[147:148], v[3:4], v[147:148], v[207:208]
	v_add_f64 v[127:128], v[127:128], v[151:152]
	v_add_f64 v[129:130], v[129:130], v[131:132]
	s_clause 0x4
	buffer_load_dword v132, off, s[0:3], 0 offset:892
	buffer_load_dword v151, off, s[0:3], 0 offset:904
	;; [unrolled: 1-line block ×5, first 2 shown]
	ds_read_b128 v[1:4], v175 offset:1568
	s_waitcnt vmcnt(57) lgkmcnt(1)
	v_mul_f64 v[207:208], v[5:6], v[143:144]
	v_mul_f64 v[143:144], v[7:8], v[143:144]
	s_waitcnt vmcnt(56)
	v_fma_f64 v[157:158], v[123:124], v[159:160], -v[157:158]
	v_add_f64 v[127:128], v[127:128], v[137:138]
	v_fma_f64 v[137:138], v[125:126], v[159:160], v[184:185]
	v_add_f64 v[129:130], v[129:130], v[147:148]
	s_clause 0x2
	buffer_load_dword v152, off, s[0:3], 0 offset:908
	buffer_load_dword v148, off, s[0:3], 0 offset:884
	;; [unrolled: 1-line block ×3, first 2 shown]
	ds_read_b128 v[123:126], v175 offset:1584
	s_waitcnt vmcnt(58) lgkmcnt(1)
	v_mul_f64 v[159:160], v[1:2], v[165:166]
	v_mul_f64 v[165:166], v[3:4], v[165:166]
	s_waitcnt vmcnt(56)
	v_fma_f64 v[143:144], v[5:6], v[145:146], -v[143:144]
	v_fma_f64 v[145:146], v[7:8], v[145:146], v[207:208]
	v_add_f64 v[127:128], v[127:128], v[157:158]
	v_add_f64 v[129:130], v[129:130], v[137:138]
	s_clause 0x2
	buffer_load_dword v138, off, s[0:3], 0 offset:924
	buffer_load_dword v137, off, s[0:3], 0 offset:920
	;; [unrolled: 1-line block ×3, first 2 shown]
	ds_read_b128 v[5:8], v175 offset:1600
	s_waitcnt vmcnt(55) lgkmcnt(1)
	v_mul_f64 v[157:158], v[123:124], v[149:150]
	v_mul_f64 v[149:150], v[125:126], v[149:150]
	s_waitcnt vmcnt(54)
	v_fma_f64 v[165:166], v[1:2], v[167:168], -v[165:166]
	v_add_f64 v[127:128], v[127:128], v[143:144]
	v_fma_f64 v[143:144], v[3:4], v[167:168], v[159:160]
	v_add_f64 v[129:130], v[129:130], v[145:146]
	s_clause 0x1
	buffer_load_dword v146, off, s[0:3], 0 offset:916
	buffer_load_dword v145, off, s[0:3], 0 offset:912
	ds_read_b128 v[1:4], v175 offset:1616
	s_waitcnt vmcnt(55) lgkmcnt(1)
	v_mul_f64 v[167:168], v[7:8], v[171:172]
	v_mul_f64 v[159:160], v[5:6], v[171:172]
	s_waitcnt vmcnt(53)
	v_fma_f64 v[149:150], v[123:124], v[153:154], -v[149:150]
	v_fma_f64 v[153:154], v[125:126], v[153:154], v[157:158]
	ds_read_b128 v[123:126], v175 offset:1632
	v_add_f64 v[127:128], v[127:128], v[165:166]
	v_add_f64 v[129:130], v[129:130], v[143:144]
	s_waitcnt vmcnt(49) lgkmcnt(1)
	v_mul_f64 v[143:144], v[1:2], v[155:156]
	v_mul_f64 v[155:156], v[3:4], v[155:156]
	s_waitcnt vmcnt(48)
	v_fma_f64 v[157:158], v[5:6], v[173:174], -v[167:168]
	v_add_f64 v[127:128], v[127:128], v[149:150]
	v_fma_f64 v[149:150], v[7:8], v[173:174], v[159:160]
	v_add_f64 v[129:130], v[129:130], v[153:154]
	s_clause 0x3
	buffer_load_dword v153, off, s[0:3], 0 offset:208
	buffer_load_dword v154, off, s[0:3], 0 offset:212
	;; [unrolled: 1-line block ×4, first 2 shown]
	ds_read_b128 v[5:8], v175 offset:1648
	s_waitcnt vmcnt(51) lgkmcnt(1)
	v_mul_f64 v[167:168], v[125:126], v[194:195]
	v_mul_f64 v[165:166], v[123:124], v[194:195]
	s_waitcnt vmcnt(49)
	v_fma_f64 v[155:156], v[1:2], v[161:162], -v[155:156]
	v_fma_f64 v[143:144], v[3:4], v[161:162], v[143:144]
	ds_read_b128 v[1:4], v175 offset:1664
	v_add_f64 v[127:128], v[127:128], v[157:158]
	v_add_f64 v[129:130], v[129:130], v[149:150]
	s_waitcnt vmcnt(45) lgkmcnt(1)
	v_mul_f64 v[157:158], v[7:8], v[163:164]
	s_waitcnt vmcnt(44)
	v_fma_f64 v[161:162], v[123:124], v[198:199], -v[167:168]
	v_mul_f64 v[149:150], v[5:6], v[163:164]
	v_add_f64 v[127:128], v[127:128], v[155:156]
	v_fma_f64 v[155:156], v[125:126], v[198:199], v[165:166]
	v_add_f64 v[129:130], v[129:130], v[143:144]
	ds_read_b128 v[123:126], v175 offset:1680
	s_waitcnt vmcnt(43) lgkmcnt(1)
	v_mul_f64 v[163:164], v[3:4], v[180:181]
	v_mul_f64 v[143:144], v[1:2], v[180:181]
	s_waitcnt vmcnt(41)
	v_fma_f64 v[157:158], v[5:6], v[169:170], -v[157:158]
	v_fma_f64 v[149:150], v[7:8], v[169:170], v[149:150]
	ds_read_b128 v[5:8], v175 offset:1696
	v_add_f64 v[127:128], v[127:128], v[161:162]
	v_add_f64 v[129:130], v[129:130], v[155:156]
	s_waitcnt vmcnt(37) lgkmcnt(1)
	v_mul_f64 v[161:162], v[125:126], v[186:187]
	s_waitcnt vmcnt(36)
	v_fma_f64 v[163:164], v[1:2], v[203:204], -v[163:164]
	v_mul_f64 v[155:156], v[123:124], v[186:187]
	v_fma_f64 v[143:144], v[3:4], v[203:204], v[143:144]
	ds_read_b128 v[1:4], v175 offset:1712
	v_add_f64 v[127:128], v[127:128], v[157:158]
	v_add_f64 v[129:130], v[129:130], v[149:150]
	s_waitcnt vmcnt(35) lgkmcnt(1)
	v_mul_f64 v[157:158], v[7:8], v[196:197]
	v_mul_f64 v[149:150], v[5:6], v[196:197]
	s_waitcnt vmcnt(33)
	v_fma_f64 v[161:162], v[123:124], v[133:134], -v[161:162]
	v_fma_f64 v[133:134], v[125:126], v[133:134], v[155:156]
	ds_read_b128 v[123:126], v175 offset:1728
	v_add_f64 v[127:128], v[127:128], v[163:164]
	v_add_f64 v[129:130], v[129:130], v[143:144]
	s_waitcnt vmcnt(29) lgkmcnt(1)
	v_mul_f64 v[143:144], v[1:2], v[139:140]
	v_mul_f64 v[139:140], v[3:4], v[139:140]
	s_waitcnt vmcnt(28)
	v_fma_f64 v[155:156], v[5:6], v[200:201], -v[157:158]
	;; [unrolled: 9-line block ×3, first 2 shown]
	v_fma_f64 v[135:136], v[3:4], v[135:136], v[143:144]
	ds_read_b128 v[1:4], v175 offset:1760
	v_add_f64 v[127:128], v[127:128], v[155:156]
	v_add_f64 v[129:130], v[129:130], v[149:150]
	s_waitcnt vmcnt(21) lgkmcnt(1)
	v_mul_f64 v[149:150], v[7:8], v[176:177]
	s_waitcnt vmcnt(20)
	v_fma_f64 v[155:156], v[123:124], v[205:206], -v[157:158]
	v_mul_f64 v[143:144], v[5:6], v[176:177]
	v_fma_f64 v[133:134], v[125:126], v[205:206], v[133:134]
	ds_read_b128 v[123:126], v175 offset:1776
	v_add_f64 v[127:128], v[127:128], v[139:140]
	v_add_f64 v[129:130], v[129:130], v[135:136]
	s_waitcnt vmcnt(19) lgkmcnt(1)
	v_mul_f64 v[139:140], v[3:4], v[178:179]
	v_mul_f64 v[135:136], v[1:2], v[178:179]
	s_waitcnt vmcnt(17)
	v_fma_f64 v[149:150], v[5:6], v[141:142], -v[149:150]
	v_fma_f64 v[141:142], v[7:8], v[141:142], v[143:144]
	ds_read_b128 v[5:8], v175 offset:1792
	v_add_f64 v[127:128], v[127:128], v[155:156]
	v_add_f64 v[129:130], v[129:130], v[133:134]
	s_waitcnt vmcnt(13) lgkmcnt(1)
	v_mul_f64 v[133:134], v[123:124], v[131:132]
	v_mul_f64 v[131:132], v[125:126], v[131:132]
	s_waitcnt vmcnt(12)
	v_fma_f64 v[139:140], v[1:2], v[192:193], -v[139:140]
	;; [unrolled: 9-line block ×3, first 2 shown]
	v_fma_f64 v[125:126], v[125:126], v[147:148], v[133:134]
	v_add_f64 v[127:128], v[127:128], v[139:140]
	v_add_f64 v[129:130], v[129:130], v[135:136]
	s_waitcnt vmcnt(7) lgkmcnt(0)
	v_mul_f64 v[133:134], v[3:4], v[137:138]
	s_waitcnt vmcnt(6)
	v_fma_f64 v[5:6], v[5:6], v[190:191], -v[143:144]
	v_mul_f64 v[131:132], v[1:2], v[137:138]
	v_fma_f64 v[7:8], v[7:8], v[190:191], v[141:142]
	v_add_f64 v[123:124], v[127:128], v[123:124]
	v_add_f64 v[125:126], v[129:130], v[125:126]
	s_waitcnt vmcnt(4)
	v_fma_f64 v[1:2], v[1:2], v[145:146], -v[133:134]
	v_fma_f64 v[3:4], v[3:4], v[145:146], v[131:132]
	v_add_f64 v[5:6], v[123:124], v[5:6]
	v_add_f64 v[7:8], v[125:126], v[7:8]
	;; [unrolled: 1-line block ×4, first 2 shown]
	s_waitcnt vmcnt(2)
	v_add_f64 v[1:2], v[153:154], -v[1:2]
	s_waitcnt vmcnt(0)
	v_add_f64 v[3:4], v[159:160], -v[3:4]
	buffer_store_dword v2, off, s[0:3], 0 offset:212
	buffer_store_dword v1, off, s[0:3], 0 offset:208
	;; [unrolled: 1-line block ×4, first 2 shown]
	v_cmpx_lt_u32_e32 11, v0
	s_cbranch_execz .LBB120_333
; %bb.332:
	v_mov_b32_e32 v4, s58
	v_mov_b32_e32 v5, 0
	s_clause 0x3
	buffer_load_dword v1, v4, s[0:3], 0 offen
	buffer_load_dword v2, v4, s[0:3], 0 offen offset:4
	buffer_load_dword v3, v4, s[0:3], 0 offen offset:8
	;; [unrolled: 1-line block ×3, first 2 shown]
	buffer_store_dword v5, off, s[0:3], 0 offset:192
	buffer_store_dword v5, off, s[0:3], 0 offset:196
	;; [unrolled: 1-line block ×4, first 2 shown]
	s_waitcnt vmcnt(0)
	ds_write_b128 v183, v[1:4]
.LBB120_333:
	s_or_b32 exec_lo, exec_lo, s4
	s_waitcnt lgkmcnt(0)
	s_waitcnt_vscnt null, 0x0
	s_barrier
	buffer_gl0_inv
	s_clause 0x37
	buffer_load_dword v127, off, s[0:3], 0 offset:216
	buffer_load_dword v128, off, s[0:3], 0 offset:220
	;; [unrolled: 1-line block ×56, first 2 shown]
	v_mov_b32_e32 v184, 0
	s_mov_b32 s4, exec_lo
	ds_read_b128 v[179:182], v184 offset:1104
	s_clause 0x2
	buffer_load_dword v176, off, s[0:3], 0 offset:444
	buffer_load_dword v178, off, s[0:3], 0 offset:420
	;; [unrolled: 1-line block ×3, first 2 shown]
	ds_read_b128 v[1:4], v184 offset:1120
	s_clause 0x4
	buffer_load_dword v192, off, s[0:3], 0 offset:460
	buffer_load_dword v193, off, s[0:3], 0 offset:472
	;; [unrolled: 1-line block ×5, first 2 shown]
	ds_read_b128 v[185:188], v184 offset:1136
	s_waitcnt vmcnt(62) lgkmcnt(2)
	v_mul_f64 v[189:190], v[181:182], v[127:128]
	v_mul_f64 v[127:128], v[179:180], v[127:128]
	s_waitcnt vmcnt(60) lgkmcnt(1)
	v_mul_f64 v[196:197], v[3:4], v[123:124]
	s_waitcnt vmcnt(56) lgkmcnt(0)
	v_mul_f64 v[198:199], v[185:186], v[7:8]
	v_mul_f64 v[7:8], v[187:188], v[7:8]
	v_fma_f64 v[179:180], v[179:180], v[125:126], -v[189:190]
	v_mul_f64 v[189:190], v[1:2], v[123:124]
	v_fma_f64 v[127:128], v[181:182], v[125:126], v[127:128]
	s_clause 0x2
	buffer_load_dword v194, off, s[0:3], 0 offset:476
	buffer_load_dword v182, off, s[0:3], 0 offset:452
	;; [unrolled: 1-line block ×3, first 2 shown]
	s_waitcnt vmcnt(57)
	v_fma_f64 v[200:201], v[1:2], v[5:6], -v[196:197]
	ds_read_b128 v[123:126], v184 offset:1152
	s_waitcnt vmcnt(51)
	v_fma_f64 v[185:186], v[185:186], v[143:144], -v[7:8]
	v_fma_f64 v[143:144], v[187:188], v[143:144], v[198:199]
	v_add_f64 v[179:180], v[179:180], 0
	v_fma_f64 v[5:6], v[3:4], v[5:6], v[189:190]
	v_add_f64 v[127:128], v[127:128], 0
	s_clause 0x4
	buffer_load_dword v190, off, s[0:3], 0 offset:492
	buffer_load_dword v197, off, s[0:3], 0 offset:504
	;; [unrolled: 1-line block ×5, first 2 shown]
	s_waitcnt lgkmcnt(0)
	v_mul_f64 v[203:204], v[123:124], v[131:132]
	v_mul_f64 v[131:132], v[125:126], v[131:132]
	ds_read_b128 v[1:4], v184 offset:1168
	s_clause 0x2
	buffer_load_dword v198, off, s[0:3], 0 offset:508
	buffer_load_dword v188, off, s[0:3], 0 offset:484
	;; [unrolled: 1-line block ×3, first 2 shown]
	v_add_f64 v[179:180], v[179:180], v[200:201]
	v_add_f64 v[127:128], v[127:128], v[5:6]
	ds_read_b128 v[5:8], v184 offset:1184
	s_waitcnt vmcnt(58) lgkmcnt(1)
	v_mul_f64 v[199:200], v[1:2], v[135:136]
	v_mul_f64 v[135:136], v[3:4], v[135:136]
	s_waitcnt vmcnt(56)
	v_fma_f64 v[131:132], v[123:124], v[137:138], -v[131:132]
	v_fma_f64 v[137:138], v[125:126], v[137:138], v[203:204]
	v_add_f64 v[179:180], v[179:180], v[185:186]
	s_waitcnt vmcnt(52) lgkmcnt(0)
	v_mul_f64 v[205:206], v[5:6], v[139:140]
	v_add_f64 v[127:128], v[127:128], v[143:144]
	s_clause 0x4
	buffer_load_dword v144, off, s[0:3], 0 offset:524
	buffer_load_dword v185, off, s[0:3], 0 offset:536
	;; [unrolled: 1-line block ×5, first 2 shown]
	v_mul_f64 v[139:140], v[7:8], v[139:140]
	s_waitcnt vmcnt(56)
	v_fma_f64 v[135:136], v[1:2], v[129:130], -v[135:136]
	ds_read_b128 v[123:126], v184 offset:1200
	v_fma_f64 v[129:130], v[3:4], v[129:130], v[199:200]
	v_add_f64 v[131:132], v[179:180], v[131:132]
	v_add_f64 v[127:128], v[127:128], v[137:138]
	s_clause 0x2
	buffer_load_dword v186, off, s[0:3], 0 offset:540
	buffer_load_dword v138, off, s[0:3], 0 offset:516
	;; [unrolled: 1-line block ×3, first 2 shown]
	s_waitcnt vmcnt(58) lgkmcnt(0)
	v_mul_f64 v[179:180], v[123:124], v[145:146]
	v_mul_f64 v[145:146], v[125:126], v[145:146]
	s_waitcnt vmcnt(56)
	v_fma_f64 v[139:140], v[5:6], v[147:148], -v[139:140]
	ds_read_b128 v[1:4], v184 offset:1216
	v_add_f64 v[131:132], v[131:132], v[135:136]
	v_fma_f64 v[135:136], v[7:8], v[147:148], v[205:206]
	v_add_f64 v[127:128], v[127:128], v[129:130]
	s_clause 0x4
	buffer_load_dword v130, off, s[0:3], 0 offset:556
	buffer_load_dword v147, off, s[0:3], 0 offset:568
	;; [unrolled: 1-line block ×5, first 2 shown]
	ds_read_b128 v[5:8], v184 offset:1232
	s_waitcnt vmcnt(57) lgkmcnt(1)
	v_mul_f64 v[200:201], v[1:2], v[149:150]
	v_mul_f64 v[149:150], v[3:4], v[149:150]
	s_waitcnt vmcnt(56)
	v_fma_f64 v[145:146], v[123:124], v[133:134], -v[145:146]
	v_fma_f64 v[133:134], v[125:126], v[133:134], v[179:180]
	v_add_f64 v[131:132], v[131:132], v[139:140]
	v_add_f64 v[127:128], v[127:128], v[135:136]
	s_clause 0x2
	buffer_load_dword v148, off, s[0:3], 0 offset:572
	buffer_load_dword v136, off, s[0:3], 0 offset:548
	buffer_load_dword v135, off, s[0:3], 0 offset:544
	s_waitcnt vmcnt(58) lgkmcnt(0)
	v_mul_f64 v[139:140], v[5:6], v[153:154]
	v_mul_f64 v[153:154], v[7:8], v[153:154]
	s_waitcnt vmcnt(56)
	v_fma_f64 v[149:150], v[1:2], v[155:156], -v[149:150]
	ds_read_b128 v[123:126], v184 offset:1248
	v_add_f64 v[131:132], v[131:132], v[145:146]
	v_fma_f64 v[145:146], v[3:4], v[155:156], v[200:201]
	v_add_f64 v[127:128], v[127:128], v[133:134]
	s_clause 0x4
	buffer_load_dword v134, off, s[0:3], 0 offset:588
	buffer_load_dword v155, off, s[0:3], 0 offset:600
	;; [unrolled: 1-line block ×5, first 2 shown]
	ds_read_b128 v[1:4], v184 offset:1264
	s_waitcnt vmcnt(57) lgkmcnt(1)
	v_mul_f64 v[206:207], v[123:124], v[157:158]
	v_mul_f64 v[157:158], v[125:126], v[157:158]
	s_waitcnt vmcnt(56)
	v_fma_f64 v[153:154], v[5:6], v[141:142], -v[153:154]
	v_fma_f64 v[139:140], v[7:8], v[141:142], v[139:140]
	s_clause 0x2
	buffer_load_dword v156, off, s[0:3], 0 offset:604
	buffer_load_dword v142, off, s[0:3], 0 offset:580
	;; [unrolled: 1-line block ×3, first 2 shown]
	ds_read_b128 v[5:8], v184 offset:1280
	v_add_f64 v[131:132], v[131:132], v[149:150]
	v_add_f64 v[127:128], v[127:128], v[145:146]
	s_waitcnt vmcnt(58) lgkmcnt(1)
	v_mul_f64 v[149:150], v[3:4], v[161:162]
	v_mul_f64 v[145:146], v[1:2], v[161:162]
	s_waitcnt vmcnt(56)
	v_fma_f64 v[157:158], v[123:124], v[163:164], -v[157:158]
	v_add_f64 v[131:132], v[131:132], v[153:154]
	v_fma_f64 v[153:154], v[125:126], v[163:164], v[206:207]
	v_add_f64 v[127:128], v[127:128], v[139:140]
	s_clause 0x4
	buffer_load_dword v140, off, s[0:3], 0 offset:620
	buffer_load_dword v161, off, s[0:3], 0 offset:632
	;; [unrolled: 1-line block ×5, first 2 shown]
	s_waitcnt vmcnt(57) lgkmcnt(0)
	v_mul_f64 v[206:207], v[5:6], v[165:166]
	v_mul_f64 v[164:165], v[7:8], v[165:166]
	s_waitcnt vmcnt(56)
	v_fma_f64 v[149:150], v[1:2], v[151:152], -v[149:150]
	ds_read_b128 v[123:126], v184 offset:1296
	v_fma_f64 v[145:146], v[3:4], v[151:152], v[145:146]
	s_clause 0x2
	buffer_load_dword v162, off, s[0:3], 0 offset:636
	buffer_load_dword v152, off, s[0:3], 0 offset:612
	;; [unrolled: 1-line block ×3, first 2 shown]
	ds_read_b128 v[1:4], v184 offset:1312
	v_add_f64 v[131:132], v[131:132], v[157:158]
	v_add_f64 v[127:128], v[127:128], v[153:154]
	s_waitcnt vmcnt(58) lgkmcnt(1)
	v_mul_f64 v[157:158], v[125:126], v[169:170]
	s_waitcnt vmcnt(56)
	v_fma_f64 v[165:166], v[5:6], v[171:172], -v[164:165]
	v_mul_f64 v[153:154], v[123:124], v[169:170]
	v_add_f64 v[131:132], v[131:132], v[149:150]
	v_fma_f64 v[149:150], v[7:8], v[171:172], v[206:207]
	v_add_f64 v[127:128], v[127:128], v[145:146]
	s_clause 0x4
	buffer_load_dword v146, off, s[0:3], 0 offset:652
	buffer_load_dword v169, off, s[0:3], 0 offset:664
	;; [unrolled: 1-line block ×5, first 2 shown]
	s_waitcnt vmcnt(57) lgkmcnt(0)
	v_mul_f64 v[206:207], v[1:2], v[173:174]
	v_mul_f64 v[172:173], v[3:4], v[173:174]
	s_waitcnt vmcnt(56)
	v_fma_f64 v[157:158], v[123:124], v[159:160], -v[157:158]
	ds_read_b128 v[5:8], v184 offset:1328
	v_fma_f64 v[153:154], v[125:126], v[159:160], v[153:154]
	v_add_f64 v[131:132], v[131:132], v[165:166]
	v_add_f64 v[127:128], v[127:128], v[149:150]
	s_clause 0x2
	buffer_load_dword v170, off, s[0:3], 0 offset:668
	buffer_load_dword v150, off, s[0:3], 0 offset:644
	;; [unrolled: 1-line block ×3, first 2 shown]
	ds_read_b128 v[123:126], v184 offset:1344
	s_waitcnt vmcnt(58) lgkmcnt(1)
	v_mul_f64 v[165:166], v[7:8], v[175:176]
	s_waitcnt vmcnt(56)
	v_fma_f64 v[173:174], v[1:2], v[177:178], -v[172:173]
	v_mul_f64 v[159:160], v[5:6], v[175:176]
	v_add_f64 v[131:132], v[131:132], v[157:158]
	v_fma_f64 v[157:158], v[3:4], v[177:178], v[206:207]
	v_add_f64 v[127:128], v[127:128], v[153:154]
	s_clause 0x4
	buffer_load_dword v154, off, s[0:3], 0 offset:684
	buffer_load_dword v175, off, s[0:3], 0 offset:696
	;; [unrolled: 1-line block ×5, first 2 shown]
	s_waitcnt vmcnt(57) lgkmcnt(0)
	v_mul_f64 v[206:207], v[123:124], v[191:192]
	v_mul_f64 v[191:192], v[125:126], v[191:192]
	s_waitcnt vmcnt(56)
	v_fma_f64 v[165:166], v[5:6], v[167:168], -v[165:166]
	ds_read_b128 v[1:4], v184 offset:1360
	v_fma_f64 v[159:160], v[7:8], v[167:168], v[159:160]
	v_add_f64 v[131:132], v[131:132], v[173:174]
	v_add_f64 v[127:128], v[127:128], v[157:158]
	s_clause 0x2
	buffer_load_dword v176, off, s[0:3], 0 offset:700
	buffer_load_dword v158, off, s[0:3], 0 offset:676
	;; [unrolled: 1-line block ×3, first 2 shown]
	ds_read_b128 v[5:8], v184 offset:1376
	s_waitcnt vmcnt(58) lgkmcnt(1)
	v_mul_f64 v[173:174], v[3:4], v[193:194]
	v_mul_f64 v[167:168], v[1:2], v[193:194]
	s_waitcnt vmcnt(56)
	v_fma_f64 v[191:192], v[123:124], v[181:182], -v[191:192]
	v_add_f64 v[131:132], v[131:132], v[165:166]
	v_fma_f64 v[165:166], v[125:126], v[181:182], v[206:207]
	v_add_f64 v[127:128], v[127:128], v[159:160]
	s_clause 0x4
	buffer_load_dword v160, off, s[0:3], 0 offset:716
	buffer_load_dword v181, off, s[0:3], 0 offset:728
	;; [unrolled: 1-line block ×5, first 2 shown]
	ds_read_b128 v[123:126], v184 offset:1392
	s_waitcnt vmcnt(57) lgkmcnt(1)
	v_mul_f64 v[206:207], v[5:6], v[189:190]
	v_mul_f64 v[189:190], v[7:8], v[189:190]
	s_waitcnt vmcnt(56)
	v_fma_f64 v[173:174], v[1:2], v[195:196], -v[173:174]
	v_fma_f64 v[167:168], v[3:4], v[195:196], v[167:168]
	v_add_f64 v[131:132], v[131:132], v[191:192]
	v_add_f64 v[127:128], v[127:128], v[165:166]
	s_clause 0x2
	buffer_load_dword v182, off, s[0:3], 0 offset:732
	buffer_load_dword v166, off, s[0:3], 0 offset:708
	;; [unrolled: 1-line block ×3, first 2 shown]
	s_waitcnt vmcnt(58) lgkmcnt(0)
	v_mul_f64 v[195:196], v[125:126], v[197:198]
	ds_read_b128 v[1:4], v184 offset:1408
	v_mul_f64 v[191:192], v[123:124], v[197:198]
	s_waitcnt vmcnt(56)
	v_fma_f64 v[189:190], v[5:6], v[187:188], -v[189:190]
	v_add_f64 v[131:132], v[131:132], v[173:174]
	v_fma_f64 v[173:174], v[7:8], v[187:188], v[206:207]
	v_add_f64 v[127:128], v[127:128], v[167:168]
	s_clause 0x4
	buffer_load_dword v168, off, s[0:3], 0 offset:748
	buffer_load_dword v187, off, s[0:3], 0 offset:760
	;; [unrolled: 1-line block ×5, first 2 shown]
	ds_read_b128 v[5:8], v184 offset:1424
	s_waitcnt vmcnt(57) lgkmcnt(1)
	v_mul_f64 v[206:207], v[1:2], v[143:144]
	v_mul_f64 v[143:144], v[3:4], v[143:144]
	s_waitcnt vmcnt(56)
	v_fma_f64 v[195:196], v[123:124], v[202:203], -v[195:196]
	v_add_f64 v[131:132], v[131:132], v[189:190]
	v_fma_f64 v[189:190], v[125:126], v[202:203], v[191:192]
	v_add_f64 v[127:128], v[127:128], v[173:174]
	s_clause 0x2
	buffer_load_dword v188, off, s[0:3], 0 offset:764
	buffer_load_dword v174, off, s[0:3], 0 offset:740
	;; [unrolled: 1-line block ×3, first 2 shown]
	ds_read_b128 v[123:126], v184 offset:1440
	s_waitcnt vmcnt(58) lgkmcnt(1)
	v_mul_f64 v[191:192], v[5:6], v[185:186]
	v_mul_f64 v[185:186], v[7:8], v[185:186]
	s_waitcnt vmcnt(56)
	v_fma_f64 v[143:144], v[1:2], v[137:138], -v[143:144]
	v_fma_f64 v[137:138], v[3:4], v[137:138], v[206:207]
	v_add_f64 v[131:132], v[131:132], v[195:196]
	v_add_f64 v[127:128], v[127:128], v[189:190]
	s_clause 0x4
	buffer_load_dword v190, off, s[0:3], 0 offset:780
	buffer_load_dword v195, off, s[0:3], 0 offset:792
	;; [unrolled: 1-line block ×5, first 2 shown]
	ds_read_b128 v[1:4], v184 offset:1456
	s_waitcnt vmcnt(57) lgkmcnt(1)
	v_mul_f64 v[202:203], v[123:124], v[129:130]
	v_mul_f64 v[129:130], v[125:126], v[129:130]
	s_waitcnt vmcnt(56)
	v_fma_f64 v[185:186], v[5:6], v[204:205], -v[185:186]
	v_add_f64 v[131:132], v[131:132], v[143:144]
	v_fma_f64 v[143:144], v[7:8], v[204:205], v[191:192]
	v_add_f64 v[127:128], v[127:128], v[137:138]
	s_clause 0x2
	buffer_load_dword v196, off, s[0:3], 0 offset:796
	buffer_load_dword v138, off, s[0:3], 0 offset:772
	;; [unrolled: 1-line block ×3, first 2 shown]
	ds_read_b128 v[5:8], v184 offset:1472
	s_waitcnt vmcnt(58) lgkmcnt(1)
	v_mul_f64 v[191:192], v[1:2], v[147:148]
	v_mul_f64 v[147:148], v[3:4], v[147:148]
	s_waitcnt vmcnt(56)
	v_fma_f64 v[129:130], v[123:124], v[135:136], -v[129:130]
	v_fma_f64 v[135:136], v[125:126], v[135:136], v[202:203]
	v_add_f64 v[131:132], v[131:132], v[185:186]
	v_add_f64 v[127:128], v[127:128], v[143:144]
	s_clause 0x4
	buffer_load_dword v144, off, s[0:3], 0 offset:812
	buffer_load_dword v185, off, s[0:3], 0 offset:824
	;; [unrolled: 1-line block ×5, first 2 shown]
	ds_read_b128 v[123:126], v184 offset:1488
	s_waitcnt vmcnt(57) lgkmcnt(1)
	v_mul_f64 v[204:205], v[5:6], v[133:134]
	v_mul_f64 v[133:134], v[7:8], v[133:134]
	s_waitcnt vmcnt(56)
	v_fma_f64 v[147:148], v[1:2], v[199:200], -v[147:148]
	v_add_f64 v[129:130], v[131:132], v[129:130]
	v_fma_f64 v[131:132], v[3:4], v[199:200], v[191:192]
	v_add_f64 v[127:128], v[127:128], v[135:136]
	s_clause 0x2
	buffer_load_dword v186, off, s[0:3], 0 offset:828
	buffer_load_dword v136, off, s[0:3], 0 offset:804
	buffer_load_dword v135, off, s[0:3], 0 offset:800
	s_waitcnt vmcnt(58) lgkmcnt(0)
	v_mul_f64 v[191:192], v[123:124], v[155:156]
	v_mul_f64 v[155:156], v[125:126], v[155:156]
	ds_read_b128 v[1:4], v184 offset:1504
	s_waitcnt vmcnt(56)
	v_fma_f64 v[133:134], v[5:6], v[141:142], -v[133:134]
	v_fma_f64 v[141:142], v[7:8], v[141:142], v[204:205]
	v_add_f64 v[129:130], v[129:130], v[147:148]
	v_add_f64 v[127:128], v[127:128], v[131:132]
	s_clause 0x4
	buffer_load_dword v132, off, s[0:3], 0 offset:844
	buffer_load_dword v147, off, s[0:3], 0 offset:856
	;; [unrolled: 1-line block ×5, first 2 shown]
	ds_read_b128 v[5:8], v184 offset:1520
	s_waitcnt vmcnt(57) lgkmcnt(1)
	v_mul_f64 v[205:206], v[1:2], v[139:140]
	v_mul_f64 v[139:140], v[3:4], v[139:140]
	s_waitcnt vmcnt(56)
	v_fma_f64 v[155:156], v[123:124], v[179:180], -v[155:156]
	v_add_f64 v[129:130], v[129:130], v[133:134]
	v_fma_f64 v[133:134], v[125:126], v[179:180], v[191:192]
	v_add_f64 v[127:128], v[127:128], v[141:142]
	s_clause 0x2
	buffer_load_dword v148, off, s[0:3], 0 offset:860
	buffer_load_dword v142, off, s[0:3], 0 offset:836
	;; [unrolled: 1-line block ×3, first 2 shown]
	s_waitcnt vmcnt(58) lgkmcnt(0)
	v_mul_f64 v[179:180], v[5:6], v[161:162]
	v_mul_f64 v[161:162], v[7:8], v[161:162]
	ds_read_b128 v[123:126], v184 offset:1536
	s_waitcnt vmcnt(56)
	v_fma_f64 v[139:140], v[1:2], v[151:152], -v[139:140]
	v_fma_f64 v[151:152], v[3:4], v[151:152], v[205:206]
	v_add_f64 v[129:130], v[129:130], v[155:156]
	v_add_f64 v[127:128], v[127:128], v[133:134]
	s_clause 0x4
	buffer_load_dword v134, off, s[0:3], 0 offset:876
	buffer_load_dword v155, off, s[0:3], 0 offset:888
	;; [unrolled: 1-line block ×5, first 2 shown]
	ds_read_b128 v[1:4], v184 offset:1552
	s_waitcnt vmcnt(57) lgkmcnt(1)
	v_mul_f64 v[205:206], v[123:124], v[145:146]
	v_mul_f64 v[145:146], v[125:126], v[145:146]
	s_waitcnt vmcnt(56)
	v_fma_f64 v[161:162], v[5:6], v[163:164], -v[161:162]
	v_add_f64 v[129:130], v[129:130], v[139:140]
	v_fma_f64 v[139:140], v[7:8], v[163:164], v[179:180]
	v_add_f64 v[127:128], v[127:128], v[151:152]
	s_clause 0x2
	buffer_load_dword v156, off, s[0:3], 0 offset:892
	buffer_load_dword v152, off, s[0:3], 0 offset:868
	;; [unrolled: 1-line block ×3, first 2 shown]
	ds_read_b128 v[5:8], v184 offset:1568
	s_waitcnt vmcnt(58) lgkmcnt(1)
	v_mul_f64 v[163:164], v[1:2], v[169:170]
	v_mul_f64 v[169:170], v[3:4], v[169:170]
	s_waitcnt vmcnt(56)
	v_fma_f64 v[145:146], v[123:124], v[149:150], -v[145:146]
	v_fma_f64 v[149:150], v[125:126], v[149:150], v[205:206]
	v_add_f64 v[129:130], v[129:130], v[161:162]
	v_add_f64 v[127:128], v[127:128], v[139:140]
	s_clause 0x4
	buffer_load_dword v140, off, s[0:3], 0 offset:908
	buffer_load_dword v161, off, s[0:3], 0 offset:920
	;; [unrolled: 1-line block ×5, first 2 shown]
	ds_read_b128 v[123:126], v184 offset:1584
	s_waitcnt vmcnt(57) lgkmcnt(1)
	v_mul_f64 v[205:206], v[5:6], v[153:154]
	v_mul_f64 v[153:154], v[7:8], v[153:154]
	s_waitcnt vmcnt(56)
	v_fma_f64 v[169:170], v[1:2], v[171:172], -v[169:170]
	v_add_f64 v[129:130], v[129:130], v[145:146]
	v_fma_f64 v[145:146], v[3:4], v[171:172], v[163:164]
	v_add_f64 v[127:128], v[127:128], v[149:150]
	s_clause 0x2
	buffer_load_dword v162, off, s[0:3], 0 offset:924
	buffer_load_dword v150, off, s[0:3], 0 offset:900
	buffer_load_dword v149, off, s[0:3], 0 offset:896
	ds_read_b128 v[1:4], v184 offset:1600
	buffer_load_dword v180, off, s[0:3], 0 offset:916
	s_waitcnt vmcnt(59) lgkmcnt(1)
	v_mul_f64 v[171:172], v[125:126], v[175:176]
	v_mul_f64 v[163:164], v[123:124], v[175:176]
	s_waitcnt vmcnt(57)
	v_fma_f64 v[153:154], v[5:6], v[157:158], -v[153:154]
	v_fma_f64 v[157:158], v[7:8], v[157:158], v[205:206]
	ds_read_b128 v[5:8], v184 offset:1616
	v_add_f64 v[129:130], v[129:130], v[169:170]
	v_add_f64 v[127:128], v[127:128], v[145:146]
	s_waitcnt vmcnt(53) lgkmcnt(1)
	v_mul_f64 v[145:146], v[1:2], v[159:160]
	v_mul_f64 v[159:160], v[3:4], v[159:160]
	s_waitcnt vmcnt(52)
	v_fma_f64 v[169:170], v[123:124], v[177:178], -v[171:172]
	v_add_f64 v[129:130], v[129:130], v[153:154]
	v_fma_f64 v[153:154], v[125:126], v[177:178], v[163:164]
	v_add_f64 v[127:128], v[127:128], v[157:158]
	ds_read_b128 v[123:126], v184 offset:1632
	s_waitcnt vmcnt(51) lgkmcnt(1)
	v_mul_f64 v[163:164], v[7:8], v[181:182]
	v_mul_f64 v[157:158], v[5:6], v[181:182]
	s_waitcnt vmcnt(49)
	v_fma_f64 v[159:160], v[1:2], v[165:166], -v[159:160]
	v_fma_f64 v[145:146], v[3:4], v[165:166], v[145:146]
	v_add_f64 v[129:130], v[129:130], v[169:170]
	v_add_f64 v[127:128], v[127:128], v[153:154]
	s_clause 0x3
	buffer_load_dword v153, off, s[0:3], 0 offset:192
	buffer_load_dword v154, off, s[0:3], 0 offset:196
	;; [unrolled: 1-line block ×4, first 2 shown]
	ds_read_b128 v[1:4], v184 offset:1648
	s_waitcnt vmcnt(49) lgkmcnt(1)
	v_mul_f64 v[169:170], v[123:124], v[167:168]
	v_mul_f64 v[167:168], v[125:126], v[167:168]
	s_waitcnt vmcnt(48)
	v_fma_f64 v[163:164], v[5:6], v[193:194], -v[163:164]
	v_fma_f64 v[157:158], v[7:8], v[193:194], v[157:158]
	ds_read_b128 v[5:8], v184 offset:1664
	v_add_f64 v[129:130], v[129:130], v[159:160]
	v_add_f64 v[127:128], v[127:128], v[145:146]
	s_waitcnt vmcnt(47) lgkmcnt(1)
	v_mul_f64 v[159:160], v[3:4], v[187:188]
	v_mul_f64 v[145:146], v[1:2], v[187:188]
	s_waitcnt vmcnt(45)
	v_fma_f64 v[167:168], v[123:124], v[173:174], -v[167:168]
	v_add_f64 v[129:130], v[129:130], v[163:164]
	v_fma_f64 v[163:164], v[125:126], v[173:174], v[169:170]
	v_add_f64 v[127:128], v[127:128], v[157:158]
	ds_read_b128 v[123:126], v184 offset:1680
	s_waitcnt vmcnt(41) lgkmcnt(1)
	v_mul_f64 v[169:170], v[7:8], v[189:190]
	s_waitcnt vmcnt(40)
	v_fma_f64 v[159:160], v[1:2], v[197:198], -v[159:160]
	v_mul_f64 v[157:158], v[5:6], v[189:190]
	v_fma_f64 v[145:146], v[3:4], v[197:198], v[145:146]
	ds_read_b128 v[1:4], v184 offset:1696
	v_add_f64 v[129:130], v[129:130], v[167:168]
	v_add_f64 v[127:128], v[127:128], v[163:164]
	s_waitcnt vmcnt(39) lgkmcnt(1)
	v_mul_f64 v[167:168], v[125:126], v[195:196]
	v_mul_f64 v[163:164], v[123:124], v[195:196]
	s_waitcnt vmcnt(37)
	v_fma_f64 v[169:170], v[5:6], v[137:138], -v[169:170]
	v_fma_f64 v[137:138], v[7:8], v[137:138], v[157:158]
	ds_read_b128 v[5:8], v184 offset:1712
	v_add_f64 v[129:130], v[129:130], v[159:160]
	v_add_f64 v[127:128], v[127:128], v[145:146]
	s_waitcnt vmcnt(33) lgkmcnt(1)
	v_mul_f64 v[145:146], v[1:2], v[143:144]
	v_mul_f64 v[143:144], v[3:4], v[143:144]
	s_waitcnt vmcnt(32)
	v_fma_f64 v[157:158], v[123:124], v[201:202], -v[167:168]
	;; [unrolled: 9-line block ×6, first 2 shown]
	v_add_f64 v[129:130], v[129:130], v[131:132]
	v_fma_f64 v[131:132], v[3:4], v[199:200], v[135:136]
	v_add_f64 v[127:128], v[127:128], v[141:142]
	ds_read_b128 v[1:4], v184 offset:1792
	s_waitcnt vmcnt(15) lgkmcnt(1)
	v_mul_f64 v[141:142], v[125:126], v[155:156]
	v_mul_f64 v[135:136], v[123:124], v[155:156]
	s_waitcnt vmcnt(13)
	v_fma_f64 v[133:134], v[5:6], v[151:152], -v[133:134]
	v_fma_f64 v[137:138], v[7:8], v[151:152], v[137:138]
	ds_read_b128 v[5:8], v184 offset:1808
	v_add_f64 v[129:130], v[129:130], v[143:144]
	v_add_f64 v[127:128], v[127:128], v[131:132]
	s_waitcnt vmcnt(9) lgkmcnt(1)
	v_mul_f64 v[131:132], v[1:2], v[139:140]
	v_mul_f64 v[139:140], v[3:4], v[139:140]
	s_waitcnt vmcnt(8)
	v_fma_f64 v[123:124], v[123:124], v[191:192], -v[141:142]
	v_fma_f64 v[125:126], v[125:126], v[191:192], v[135:136]
	v_add_f64 v[129:130], v[129:130], v[133:134]
	v_add_f64 v[127:128], v[127:128], v[137:138]
	s_waitcnt vmcnt(7) lgkmcnt(0)
	v_mul_f64 v[135:136], v[7:8], v[161:162]
	v_mul_f64 v[133:134], v[5:6], v[161:162]
	s_waitcnt vmcnt(5)
	v_fma_f64 v[1:2], v[1:2], v[149:150], -v[139:140]
	v_fma_f64 v[3:4], v[3:4], v[149:150], v[131:132]
	v_add_f64 v[123:124], v[129:130], v[123:124]
	v_add_f64 v[125:126], v[127:128], v[125:126]
	s_waitcnt vmcnt(4)
	v_fma_f64 v[5:6], v[5:6], v[179:180], -v[135:136]
	v_fma_f64 v[7:8], v[7:8], v[179:180], v[133:134]
	v_add_f64 v[1:2], v[123:124], v[1:2]
	v_add_f64 v[3:4], v[125:126], v[3:4]
	;; [unrolled: 1-line block ×4, first 2 shown]
	s_waitcnt vmcnt(2)
	v_add_f64 v[1:2], v[153:154], -v[1:2]
	s_waitcnt vmcnt(0)
	v_add_f64 v[3:4], v[165:166], -v[3:4]
	buffer_store_dword v2, off, s[0:3], 0 offset:196
	buffer_store_dword v1, off, s[0:3], 0 offset:192
	buffer_store_dword v4, off, s[0:3], 0 offset:204
	buffer_store_dword v3, off, s[0:3], 0 offset:200
	v_cmpx_lt_u32_e32 10, v0
	s_cbranch_execz .LBB120_335
; %bb.334:
	v_mov_b32_e32 v4, s59
	s_clause 0x3
	buffer_load_dword v1, v4, s[0:3], 0 offen
	buffer_load_dword v2, v4, s[0:3], 0 offen offset:4
	buffer_load_dword v3, v4, s[0:3], 0 offen offset:8
	;; [unrolled: 1-line block ×3, first 2 shown]
	buffer_store_dword v184, off, s[0:3], 0 offset:176
	buffer_store_dword v184, off, s[0:3], 0 offset:180
	;; [unrolled: 1-line block ×4, first 2 shown]
	s_waitcnt vmcnt(0)
	ds_write_b128 v183, v[1:4]
.LBB120_335:
	s_or_b32 exec_lo, exec_lo, s4
	s_waitcnt lgkmcnt(0)
	s_waitcnt_vscnt null, 0x0
	s_barrier
	buffer_gl0_inv
	s_clause 0x37
	buffer_load_dword v131, off, s[0:3], 0 offset:200
	buffer_load_dword v132, off, s[0:3], 0 offset:204
	buffer_load_dword v127, off, s[0:3], 0 offset:216
	buffer_load_dword v128, off, s[0:3], 0 offset:220
	buffer_load_dword v129, off, s[0:3], 0 offset:192
	buffer_load_dword v130, off, s[0:3], 0 offset:196
	buffer_load_dword v125, off, s[0:3], 0 offset:232
	buffer_load_dword v126, off, s[0:3], 0 offset:236
	buffer_load_dword v123, off, s[0:3], 0 offset:208
	buffer_load_dword v124, off, s[0:3], 0 offset:212
	buffer_load_dword v136, off, s[0:3], 0 offset:252
	buffer_load_dword v139, off, s[0:3], 0 offset:264
	buffer_load_dword v133, off, s[0:3], 0 offset:256
	buffer_load_dword v135, off, s[0:3], 0 offset:248
	buffer_load_dword v147, off, s[0:3], 0 offset:224
	buffer_load_dword v148, off, s[0:3], 0 offset:228
	buffer_load_dword v140, off, s[0:3], 0 offset:268
	buffer_load_dword v142, off, s[0:3], 0 offset:244
	buffer_load_dword v141, off, s[0:3], 0 offset:240
	buffer_load_dword v144, off, s[0:3], 0 offset:284
	buffer_load_dword v149, off, s[0:3], 0 offset:296
	buffer_load_dword v137, off, s[0:3], 0 offset:288
	buffer_load_dword v143, off, s[0:3], 0 offset:280
	buffer_load_dword v134, off, s[0:3], 0 offset:260
	buffer_load_dword v150, off, s[0:3], 0 offset:300
	buffer_load_dword v152, off, s[0:3], 0 offset:276
	buffer_load_dword v151, off, s[0:3], 0 offset:272
	buffer_load_dword v154, off, s[0:3], 0 offset:316
	buffer_load_dword v157, off, s[0:3], 0 offset:328
	buffer_load_dword v145, off, s[0:3], 0 offset:320
	buffer_load_dword v153, off, s[0:3], 0 offset:312
	buffer_load_dword v138, off, s[0:3], 0 offset:292
	buffer_load_dword v158, off, s[0:3], 0 offset:332
	buffer_load_dword v160, off, s[0:3], 0 offset:308
	buffer_load_dword v159, off, s[0:3], 0 offset:304
	buffer_load_dword v162, off, s[0:3], 0 offset:348
	buffer_load_dword v165, off, s[0:3], 0 offset:360
	buffer_load_dword v155, off, s[0:3], 0 offset:352
	buffer_load_dword v161, off, s[0:3], 0 offset:344
	buffer_load_dword v146, off, s[0:3], 0 offset:324
	buffer_load_dword v166, off, s[0:3], 0 offset:364
	buffer_load_dword v168, off, s[0:3], 0 offset:340
	buffer_load_dword v167, off, s[0:3], 0 offset:336
	buffer_load_dword v170, off, s[0:3], 0 offset:380
	buffer_load_dword v173, off, s[0:3], 0 offset:392
	buffer_load_dword v163, off, s[0:3], 0 offset:384
	buffer_load_dword v169, off, s[0:3], 0 offset:376
	buffer_load_dword v156, off, s[0:3], 0 offset:356
	buffer_load_dword v174, off, s[0:3], 0 offset:396
	buffer_load_dword v176, off, s[0:3], 0 offset:372
	buffer_load_dword v175, off, s[0:3], 0 offset:368
	buffer_load_dword v178, off, s[0:3], 0 offset:412
	buffer_load_dword v179, off, s[0:3], 0 offset:424
	buffer_load_dword v171, off, s[0:3], 0 offset:416
	buffer_load_dword v177, off, s[0:3], 0 offset:408
	buffer_load_dword v164, off, s[0:3], 0 offset:388
	ds_read_b128 v[5:8], v184 offset:1088
	s_clause 0x2
	buffer_load_dword v180, off, s[0:3], 0 offset:428
	buffer_load_dword v182, off, s[0:3], 0 offset:404
	;; [unrolled: 1-line block ×3, first 2 shown]
	ds_read_b128 v[1:4], v184 offset:1104
	s_clause 0x4
	buffer_load_dword v192, off, s[0:3], 0 offset:444
	buffer_load_dword v193, off, s[0:3], 0 offset:456
	;; [unrolled: 1-line block ×5, first 2 shown]
	ds_read_b128 v[185:188], v184 offset:1120
	s_mov_b32 s4, exec_lo
	s_waitcnt vmcnt(62) lgkmcnt(2)
	v_mul_f64 v[189:190], v[7:8], v[131:132]
	v_mul_f64 v[131:132], v[5:6], v[131:132]
	s_waitcnt vmcnt(60) lgkmcnt(1)
	v_mul_f64 v[196:197], v[3:4], v[127:128]
	v_mul_f64 v[127:128], v[1:2], v[127:128]
	;; [unrolled: 3-line block ×3, first 2 shown]
	v_fma_f64 v[189:190], v[5:6], v[129:130], -v[189:190]
	v_fma_f64 v[129:130], v[7:8], v[129:130], v[131:132]
	s_clause 0x2
	buffer_load_dword v194, off, s[0:3], 0 offset:460
	buffer_load_dword v132, off, s[0:3], 0 offset:436
	;; [unrolled: 1-line block ×3, first 2 shown]
	s_waitcnt vmcnt(57)
	v_fma_f64 v[200:201], v[1:2], v[123:124], -v[196:197]
	ds_read_b128 v[5:8], v184 offset:1136
	v_fma_f64 v[123:124], v[3:4], v[123:124], v[127:128]
	s_waitcnt vmcnt(51)
	v_fma_f64 v[185:186], v[185:186], v[147:148], -v[125:126]
	v_fma_f64 v[147:148], v[187:188], v[147:148], v[198:199]
	v_add_f64 v[189:190], v[189:190], 0
	v_add_f64 v[127:128], v[129:130], 0
	s_clause 0x4
	buffer_load_dword v130, off, s[0:3], 0 offset:476
	buffer_load_dword v197, off, s[0:3], 0 offset:488
	;; [unrolled: 1-line block ×5, first 2 shown]
	s_waitcnt lgkmcnt(0)
	v_mul_f64 v[203:204], v[5:6], v[135:136]
	v_mul_f64 v[135:136], v[7:8], v[135:136]
	ds_read_b128 v[1:4], v184 offset:1152
	s_clause 0x2
	buffer_load_dword v198, off, s[0:3], 0 offset:492
	buffer_load_dword v188, off, s[0:3], 0 offset:468
	;; [unrolled: 1-line block ×3, first 2 shown]
	v_add_f64 v[189:190], v[189:190], v[200:201]
	v_add_f64 v[127:128], v[127:128], v[123:124]
	ds_read_b128 v[123:126], v184 offset:1168
	s_waitcnt vmcnt(58) lgkmcnt(1)
	v_mul_f64 v[199:200], v[1:2], v[139:140]
	v_mul_f64 v[139:140], v[3:4], v[139:140]
	s_waitcnt vmcnt(56)
	v_fma_f64 v[135:136], v[5:6], v[141:142], -v[135:136]
	v_fma_f64 v[141:142], v[7:8], v[141:142], v[203:204]
	s_waitcnt vmcnt(52) lgkmcnt(0)
	v_mul_f64 v[205:206], v[123:124], v[143:144]
	v_add_f64 v[185:186], v[189:190], v[185:186]
	v_add_f64 v[127:128], v[127:128], v[147:148]
	s_clause 0x4
	buffer_load_dword v148, off, s[0:3], 0 offset:508
	buffer_load_dword v189, off, s[0:3], 0 offset:520
	buffer_load_dword v204, off, s[0:3], 0 offset:512
	buffer_load_dword v147, off, s[0:3], 0 offset:504
	buffer_load_dword v203, off, s[0:3], 0 offset:484
	v_mul_f64 v[143:144], v[125:126], v[143:144]
	s_waitcnt vmcnt(56)
	v_fma_f64 v[139:140], v[1:2], v[133:134], -v[139:140]
	ds_read_b128 v[5:8], v184 offset:1184
	v_fma_f64 v[133:134], v[3:4], v[133:134], v[199:200]
	v_add_f64 v[135:136], v[185:186], v[135:136]
	v_add_f64 v[127:128], v[127:128], v[141:142]
	s_clause 0x2
	buffer_load_dword v190, off, s[0:3], 0 offset:524
	buffer_load_dword v142, off, s[0:3], 0 offset:500
	;; [unrolled: 1-line block ×3, first 2 shown]
	s_waitcnt vmcnt(58) lgkmcnt(0)
	v_mul_f64 v[185:186], v[5:6], v[149:150]
	v_mul_f64 v[149:150], v[7:8], v[149:150]
	s_waitcnt vmcnt(56)
	v_fma_f64 v[143:144], v[123:124], v[151:152], -v[143:144]
	ds_read_b128 v[1:4], v184 offset:1200
	v_add_f64 v[135:136], v[135:136], v[139:140]
	v_fma_f64 v[139:140], v[125:126], v[151:152], v[205:206]
	v_add_f64 v[127:128], v[127:128], v[133:134]
	s_clause 0x4
	buffer_load_dword v134, off, s[0:3], 0 offset:540
	buffer_load_dword v151, off, s[0:3], 0 offset:552
	;; [unrolled: 1-line block ×5, first 2 shown]
	s_waitcnt vmcnt(57) lgkmcnt(0)
	v_mul_f64 v[200:201], v[1:2], v[153:154]
	v_mul_f64 v[153:154], v[3:4], v[153:154]
	s_waitcnt vmcnt(56)
	v_fma_f64 v[149:150], v[5:6], v[137:138], -v[149:150]
	ds_read_b128 v[123:126], v184 offset:1216
	v_fma_f64 v[137:138], v[7:8], v[137:138], v[185:186]
	v_add_f64 v[135:136], v[135:136], v[143:144]
	v_add_f64 v[127:128], v[127:128], v[139:140]
	s_clause 0x2
	buffer_load_dword v152, off, s[0:3], 0 offset:556
	buffer_load_dword v140, off, s[0:3], 0 offset:532
	;; [unrolled: 1-line block ×3, first 2 shown]
	ds_read_b128 v[5:8], v184 offset:1232
	s_waitcnt vmcnt(58) lgkmcnt(1)
	v_mul_f64 v[143:144], v[123:124], v[157:158]
	v_mul_f64 v[157:158], v[125:126], v[157:158]
	s_waitcnt vmcnt(56)
	v_fma_f64 v[153:154], v[1:2], v[159:160], -v[153:154]
	v_add_f64 v[135:136], v[135:136], v[149:150]
	v_fma_f64 v[149:150], v[3:4], v[159:160], v[200:201]
	v_add_f64 v[127:128], v[127:128], v[137:138]
	s_clause 0x4
	buffer_load_dword v138, off, s[0:3], 0 offset:572
	buffer_load_dword v159, off, s[0:3], 0 offset:584
	;; [unrolled: 1-line block ×5, first 2 shown]
	s_waitcnt vmcnt(57) lgkmcnt(0)
	v_mul_f64 v[206:207], v[5:6], v[161:162]
	v_mul_f64 v[161:162], v[7:8], v[161:162]
	s_waitcnt vmcnt(56)
	v_fma_f64 v[157:158], v[123:124], v[145:146], -v[157:158]
	ds_read_b128 v[1:4], v184 offset:1248
	v_fma_f64 v[143:144], v[125:126], v[145:146], v[143:144]
	s_clause 0x2
	buffer_load_dword v160, off, s[0:3], 0 offset:588
	buffer_load_dword v146, off, s[0:3], 0 offset:564
	;; [unrolled: 1-line block ×3, first 2 shown]
	ds_read_b128 v[123:126], v184 offset:1264
	v_add_f64 v[135:136], v[135:136], v[153:154]
	v_add_f64 v[127:128], v[127:128], v[149:150]
	s_waitcnt vmcnt(58) lgkmcnt(1)
	v_mul_f64 v[153:154], v[3:4], v[165:166]
	s_waitcnt vmcnt(56)
	v_fma_f64 v[161:162], v[5:6], v[167:168], -v[161:162]
	v_mul_f64 v[149:150], v[1:2], v[165:166]
	v_add_f64 v[135:136], v[135:136], v[157:158]
	v_fma_f64 v[157:158], v[7:8], v[167:168], v[206:207]
	v_add_f64 v[127:128], v[127:128], v[143:144]
	s_clause 0x4
	buffer_load_dword v144, off, s[0:3], 0 offset:604
	buffer_load_dword v165, off, s[0:3], 0 offset:616
	;; [unrolled: 1-line block ×5, first 2 shown]
	s_waitcnt vmcnt(57) lgkmcnt(0)
	v_mul_f64 v[206:207], v[123:124], v[169:170]
	v_mul_f64 v[168:169], v[125:126], v[169:170]
	s_waitcnt vmcnt(56)
	v_fma_f64 v[153:154], v[1:2], v[155:156], -v[153:154]
	ds_read_b128 v[5:8], v184 offset:1280
	v_fma_f64 v[149:150], v[3:4], v[155:156], v[149:150]
	s_clause 0x2
	buffer_load_dword v166, off, s[0:3], 0 offset:620
	buffer_load_dword v156, off, s[0:3], 0 offset:596
	;; [unrolled: 1-line block ×3, first 2 shown]
	ds_read_b128 v[1:4], v184 offset:1296
	v_add_f64 v[135:136], v[135:136], v[161:162]
	v_add_f64 v[127:128], v[127:128], v[157:158]
	s_waitcnt vmcnt(58) lgkmcnt(1)
	v_mul_f64 v[161:162], v[7:8], v[173:174]
	s_waitcnt vmcnt(56)
	v_fma_f64 v[169:170], v[123:124], v[175:176], -v[168:169]
	v_mul_f64 v[157:158], v[5:6], v[173:174]
	v_add_f64 v[135:136], v[135:136], v[153:154]
	v_fma_f64 v[153:154], v[125:126], v[175:176], v[206:207]
	v_add_f64 v[127:128], v[127:128], v[149:150]
	s_clause 0x4
	buffer_load_dword v150, off, s[0:3], 0 offset:636
	buffer_load_dword v173, off, s[0:3], 0 offset:648
	buffer_load_dword v175, off, s[0:3], 0 offset:640
	buffer_load_dword v149, off, s[0:3], 0 offset:632
	buffer_load_dword v168, off, s[0:3], 0 offset:612
	s_waitcnt vmcnt(57) lgkmcnt(0)
	v_mul_f64 v[206:207], v[1:2], v[177:178]
	v_mul_f64 v[176:177], v[3:4], v[177:178]
	s_waitcnt vmcnt(56)
	v_fma_f64 v[161:162], v[5:6], v[163:164], -v[161:162]
	ds_read_b128 v[123:126], v184 offset:1312
	v_fma_f64 v[157:158], v[7:8], v[163:164], v[157:158]
	v_add_f64 v[135:136], v[135:136], v[169:170]
	v_add_f64 v[127:128], v[127:128], v[153:154]
	s_clause 0x2
	buffer_load_dword v174, off, s[0:3], 0 offset:652
	buffer_load_dword v154, off, s[0:3], 0 offset:628
	;; [unrolled: 1-line block ×3, first 2 shown]
	ds_read_b128 v[5:8], v184 offset:1328
	s_waitcnt vmcnt(58) lgkmcnt(1)
	v_mul_f64 v[169:170], v[125:126], v[179:180]
	s_waitcnt vmcnt(56)
	v_fma_f64 v[177:178], v[1:2], v[181:182], -v[176:177]
	v_mul_f64 v[163:164], v[123:124], v[179:180]
	v_add_f64 v[135:136], v[135:136], v[161:162]
	v_fma_f64 v[161:162], v[3:4], v[181:182], v[206:207]
	v_add_f64 v[127:128], v[127:128], v[157:158]
	s_clause 0x4
	buffer_load_dword v158, off, s[0:3], 0 offset:668
	buffer_load_dword v179, off, s[0:3], 0 offset:680
	;; [unrolled: 1-line block ×5, first 2 shown]
	s_waitcnt vmcnt(57) lgkmcnt(0)
	v_mul_f64 v[206:207], v[5:6], v[191:192]
	v_mul_f64 v[191:192], v[7:8], v[191:192]
	s_waitcnt vmcnt(56)
	v_fma_f64 v[169:170], v[123:124], v[171:172], -v[169:170]
	ds_read_b128 v[1:4], v184 offset:1344
	v_fma_f64 v[163:164], v[125:126], v[171:172], v[163:164]
	v_add_f64 v[135:136], v[135:136], v[177:178]
	v_add_f64 v[127:128], v[127:128], v[161:162]
	s_clause 0x2
	buffer_load_dword v180, off, s[0:3], 0 offset:684
	buffer_load_dword v162, off, s[0:3], 0 offset:660
	;; [unrolled: 1-line block ×3, first 2 shown]
	ds_read_b128 v[123:126], v184 offset:1360
	s_waitcnt vmcnt(58) lgkmcnt(1)
	v_mul_f64 v[177:178], v[3:4], v[193:194]
	v_mul_f64 v[171:172], v[1:2], v[193:194]
	s_waitcnt vmcnt(56)
	v_fma_f64 v[191:192], v[5:6], v[131:132], -v[191:192]
	v_fma_f64 v[131:132], v[7:8], v[131:132], v[206:207]
	v_add_f64 v[135:136], v[135:136], v[169:170]
	v_add_f64 v[127:128], v[127:128], v[163:164]
	s_clause 0x4
	buffer_load_dword v164, off, s[0:3], 0 offset:700
	buffer_load_dword v169, off, s[0:3], 0 offset:712
	;; [unrolled: 1-line block ×5, first 2 shown]
	ds_read_b128 v[5:8], v184 offset:1376
	s_waitcnt vmcnt(57) lgkmcnt(1)
	v_mul_f64 v[206:207], v[123:124], v[129:130]
	v_mul_f64 v[129:130], v[125:126], v[129:130]
	s_waitcnt vmcnt(56)
	v_fma_f64 v[177:178], v[1:2], v[195:196], -v[177:178]
	v_fma_f64 v[171:172], v[3:4], v[195:196], v[171:172]
	v_add_f64 v[135:136], v[135:136], v[191:192]
	v_add_f64 v[127:128], v[127:128], v[131:132]
	s_clause 0x2
	buffer_load_dword v170, off, s[0:3], 0 offset:716
	buffer_load_dword v132, off, s[0:3], 0 offset:692
	;; [unrolled: 1-line block ×3, first 2 shown]
	s_waitcnt vmcnt(58) lgkmcnt(0)
	v_mul_f64 v[195:196], v[7:8], v[197:198]
	ds_read_b128 v[1:4], v184 offset:1392
	v_mul_f64 v[191:192], v[5:6], v[197:198]
	s_waitcnt vmcnt(56)
	v_fma_f64 v[129:130], v[123:124], v[187:188], -v[129:130]
	v_add_f64 v[135:136], v[135:136], v[177:178]
	v_fma_f64 v[177:178], v[125:126], v[187:188], v[206:207]
	v_add_f64 v[127:128], v[127:128], v[171:172]
	s_clause 0x4
	buffer_load_dword v172, off, s[0:3], 0 offset:732
	buffer_load_dword v187, off, s[0:3], 0 offset:744
	;; [unrolled: 1-line block ×5, first 2 shown]
	ds_read_b128 v[123:126], v184 offset:1408
	s_waitcnt vmcnt(57) lgkmcnt(1)
	v_mul_f64 v[206:207], v[1:2], v[147:148]
	v_mul_f64 v[147:148], v[3:4], v[147:148]
	s_waitcnt vmcnt(56)
	v_fma_f64 v[195:196], v[5:6], v[202:203], -v[195:196]
	v_add_f64 v[129:130], v[135:136], v[129:130]
	v_fma_f64 v[135:136], v[7:8], v[202:203], v[191:192]
	v_add_f64 v[127:128], v[127:128], v[177:178]
	s_clause 0x2
	buffer_load_dword v188, off, s[0:3], 0 offset:748
	buffer_load_dword v178, off, s[0:3], 0 offset:724
	buffer_load_dword v177, off, s[0:3], 0 offset:720
	ds_read_b128 v[5:8], v184 offset:1424
	s_waitcnt vmcnt(58) lgkmcnt(1)
	v_mul_f64 v[191:192], v[123:124], v[189:190]
	v_mul_f64 v[189:190], v[125:126], v[189:190]
	s_waitcnt vmcnt(56)
	v_fma_f64 v[147:148], v[1:2], v[141:142], -v[147:148]
	v_fma_f64 v[141:142], v[3:4], v[141:142], v[206:207]
	v_add_f64 v[129:130], v[129:130], v[195:196]
	v_add_f64 v[127:128], v[127:128], v[135:136]
	s_clause 0x4
	buffer_load_dword v136, off, s[0:3], 0 offset:764
	buffer_load_dword v195, off, s[0:3], 0 offset:776
	;; [unrolled: 1-line block ×5, first 2 shown]
	ds_read_b128 v[1:4], v184 offset:1440
	s_waitcnt vmcnt(57) lgkmcnt(1)
	v_mul_f64 v[202:203], v[5:6], v[133:134]
	v_mul_f64 v[133:134], v[7:8], v[133:134]
	s_waitcnt vmcnt(56)
	v_fma_f64 v[189:190], v[123:124], v[204:205], -v[189:190]
	v_add_f64 v[129:130], v[129:130], v[147:148]
	v_fma_f64 v[147:148], v[125:126], v[204:205], v[191:192]
	v_add_f64 v[127:128], v[127:128], v[141:142]
	s_clause 0x2
	buffer_load_dword v196, off, s[0:3], 0 offset:780
	buffer_load_dword v142, off, s[0:3], 0 offset:756
	;; [unrolled: 1-line block ×3, first 2 shown]
	ds_read_b128 v[123:126], v184 offset:1456
	s_waitcnt vmcnt(58) lgkmcnt(1)
	v_mul_f64 v[191:192], v[1:2], v[151:152]
	v_mul_f64 v[151:152], v[3:4], v[151:152]
	s_waitcnt vmcnt(56)
	v_fma_f64 v[133:134], v[5:6], v[139:140], -v[133:134]
	v_fma_f64 v[139:140], v[7:8], v[139:140], v[202:203]
	v_add_f64 v[129:130], v[129:130], v[189:190]
	v_add_f64 v[127:128], v[127:128], v[147:148]
	s_clause 0x4
	buffer_load_dword v148, off, s[0:3], 0 offset:796
	buffer_load_dword v189, off, s[0:3], 0 offset:808
	;; [unrolled: 1-line block ×5, first 2 shown]
	ds_read_b128 v[5:8], v184 offset:1472
	s_waitcnt vmcnt(57) lgkmcnt(1)
	v_mul_f64 v[204:205], v[123:124], v[137:138]
	v_mul_f64 v[137:138], v[125:126], v[137:138]
	s_waitcnt vmcnt(56)
	v_fma_f64 v[151:152], v[1:2], v[199:200], -v[151:152]
	v_add_f64 v[129:130], v[129:130], v[133:134]
	v_fma_f64 v[133:134], v[3:4], v[199:200], v[191:192]
	v_add_f64 v[127:128], v[127:128], v[139:140]
	s_clause 0x2
	buffer_load_dword v190, off, s[0:3], 0 offset:812
	buffer_load_dword v140, off, s[0:3], 0 offset:788
	;; [unrolled: 1-line block ×3, first 2 shown]
	s_waitcnt vmcnt(58) lgkmcnt(0)
	v_mul_f64 v[191:192], v[5:6], v[159:160]
	v_mul_f64 v[159:160], v[7:8], v[159:160]
	ds_read_b128 v[1:4], v184 offset:1488
	s_waitcnt vmcnt(56)
	v_fma_f64 v[137:138], v[123:124], v[145:146], -v[137:138]
	v_fma_f64 v[145:146], v[125:126], v[145:146], v[204:205]
	v_add_f64 v[129:130], v[129:130], v[151:152]
	v_add_f64 v[127:128], v[127:128], v[133:134]
	s_clause 0x4
	buffer_load_dword v134, off, s[0:3], 0 offset:828
	buffer_load_dword v151, off, s[0:3], 0 offset:840
	;; [unrolled: 1-line block ×5, first 2 shown]
	ds_read_b128 v[123:126], v184 offset:1504
	s_waitcnt vmcnt(57) lgkmcnt(1)
	v_mul_f64 v[205:206], v[1:2], v[143:144]
	v_mul_f64 v[143:144], v[3:4], v[143:144]
	s_waitcnt vmcnt(56)
	v_fma_f64 v[159:160], v[5:6], v[185:186], -v[159:160]
	v_add_f64 v[129:130], v[129:130], v[137:138]
	v_fma_f64 v[137:138], v[7:8], v[185:186], v[191:192]
	v_add_f64 v[127:128], v[127:128], v[145:146]
	s_clause 0x2
	buffer_load_dword v152, off, s[0:3], 0 offset:844
	buffer_load_dword v146, off, s[0:3], 0 offset:820
	;; [unrolled: 1-line block ×3, first 2 shown]
	s_waitcnt vmcnt(58) lgkmcnt(0)
	v_mul_f64 v[185:186], v[123:124], v[165:166]
	v_mul_f64 v[165:166], v[125:126], v[165:166]
	ds_read_b128 v[5:8], v184 offset:1520
	s_waitcnt vmcnt(56)
	v_fma_f64 v[143:144], v[1:2], v[155:156], -v[143:144]
	v_fma_f64 v[155:156], v[3:4], v[155:156], v[205:206]
	v_add_f64 v[129:130], v[129:130], v[159:160]
	v_add_f64 v[127:128], v[127:128], v[137:138]
	s_clause 0x4
	buffer_load_dword v138, off, s[0:3], 0 offset:860
	buffer_load_dword v159, off, s[0:3], 0 offset:872
	;; [unrolled: 1-line block ×5, first 2 shown]
	ds_read_b128 v[1:4], v184 offset:1536
	s_waitcnt vmcnt(57) lgkmcnt(1)
	v_mul_f64 v[205:206], v[5:6], v[149:150]
	v_mul_f64 v[149:150], v[7:8], v[149:150]
	s_waitcnt vmcnt(56)
	v_fma_f64 v[165:166], v[123:124], v[167:168], -v[165:166]
	v_add_f64 v[129:130], v[129:130], v[143:144]
	v_fma_f64 v[143:144], v[125:126], v[167:168], v[185:186]
	v_add_f64 v[127:128], v[127:128], v[155:156]
	s_clause 0x2
	buffer_load_dword v160, off, s[0:3], 0 offset:876
	buffer_load_dword v156, off, s[0:3], 0 offset:852
	;; [unrolled: 1-line block ×3, first 2 shown]
	ds_read_b128 v[123:126], v184 offset:1552
	s_waitcnt vmcnt(58) lgkmcnt(1)
	v_mul_f64 v[167:168], v[1:2], v[173:174]
	v_mul_f64 v[173:174], v[3:4], v[173:174]
	s_waitcnt vmcnt(56)
	v_fma_f64 v[149:150], v[5:6], v[153:154], -v[149:150]
	v_fma_f64 v[153:154], v[7:8], v[153:154], v[205:206]
	v_add_f64 v[129:130], v[129:130], v[165:166]
	v_add_f64 v[127:128], v[127:128], v[143:144]
	s_clause 0x4
	buffer_load_dword v144, off, s[0:3], 0 offset:892
	buffer_load_dword v165, off, s[0:3], 0 offset:904
	buffer_load_dword v185, off, s[0:3], 0 offset:896
	buffer_load_dword v143, off, s[0:3], 0 offset:888
	buffer_load_dword v192, off, s[0:3], 0 offset:868
	ds_read_b128 v[5:8], v184 offset:1568
	s_waitcnt vmcnt(57) lgkmcnt(1)
	v_mul_f64 v[205:206], v[123:124], v[157:158]
	v_mul_f64 v[157:158], v[125:126], v[157:158]
	s_waitcnt vmcnt(56)
	v_fma_f64 v[173:174], v[1:2], v[175:176], -v[173:174]
	v_add_f64 v[129:130], v[129:130], v[149:150]
	v_fma_f64 v[149:150], v[3:4], v[175:176], v[167:168]
	v_add_f64 v[127:128], v[127:128], v[153:154]
	s_clause 0x2
	buffer_load_dword v166, off, s[0:3], 0 offset:908
	buffer_load_dword v154, off, s[0:3], 0 offset:884
	;; [unrolled: 1-line block ×3, first 2 shown]
	ds_read_b128 v[1:4], v184 offset:1584
	s_waitcnt vmcnt(58) lgkmcnt(1)
	v_mul_f64 v[175:176], v[7:8], v[179:180]
	v_mul_f64 v[167:168], v[5:6], v[179:180]
	s_waitcnt vmcnt(56)
	v_fma_f64 v[157:158], v[123:124], v[161:162], -v[157:158]
	v_fma_f64 v[161:162], v[125:126], v[161:162], v[205:206]
	v_add_f64 v[129:130], v[129:130], v[173:174]
	v_add_f64 v[127:128], v[127:128], v[149:150]
	s_clause 0x2
	buffer_load_dword v150, off, s[0:3], 0 offset:924
	buffer_load_dword v149, off, s[0:3], 0 offset:920
	;; [unrolled: 1-line block ×3, first 2 shown]
	ds_read_b128 v[123:126], v184 offset:1600
	s_waitcnt vmcnt(55) lgkmcnt(1)
	v_mul_f64 v[173:174], v[1:2], v[163:164]
	v_mul_f64 v[163:164], v[3:4], v[163:164]
	s_waitcnt vmcnt(54)
	v_fma_f64 v[175:176], v[5:6], v[181:182], -v[175:176]
	v_add_f64 v[129:130], v[129:130], v[157:158]
	v_fma_f64 v[157:158], v[7:8], v[181:182], v[167:168]
	v_add_f64 v[127:128], v[127:128], v[161:162]
	s_clause 0x1
	buffer_load_dword v162, off, s[0:3], 0 offset:916
	buffer_load_dword v161, off, s[0:3], 0 offset:912
	ds_read_b128 v[5:8], v184 offset:1616
	s_waitcnt vmcnt(55) lgkmcnt(1)
	v_mul_f64 v[167:168], v[123:124], v[169:170]
	v_mul_f64 v[169:170], v[125:126], v[169:170]
	s_waitcnt vmcnt(53)
	v_fma_f64 v[163:164], v[1:2], v[131:132], -v[163:164]
	v_fma_f64 v[131:132], v[3:4], v[131:132], v[173:174]
	ds_read_b128 v[1:4], v184 offset:1632
	v_add_f64 v[129:130], v[129:130], v[175:176]
	v_add_f64 v[127:128], v[127:128], v[157:158]
	s_waitcnt vmcnt(49) lgkmcnt(1)
	v_mul_f64 v[157:158], v[5:6], v[171:172]
	v_mul_f64 v[171:172], v[7:8], v[171:172]
	s_waitcnt vmcnt(48)
	v_fma_f64 v[169:170], v[123:124], v[193:194], -v[169:170]
	v_add_f64 v[129:130], v[129:130], v[163:164]
	v_fma_f64 v[163:164], v[125:126], v[193:194], v[167:168]
	v_add_f64 v[127:128], v[127:128], v[131:132]
	s_clause 0x3
	buffer_load_dword v131, off, s[0:3], 0 offset:176
	buffer_load_dword v132, off, s[0:3], 0 offset:180
	;; [unrolled: 1-line block ×4, first 2 shown]
	ds_read_b128 v[123:126], v184 offset:1648
	s_waitcnt vmcnt(51) lgkmcnt(1)
	v_mul_f64 v[175:176], v[3:4], v[187:188]
	v_mul_f64 v[173:174], v[1:2], v[187:188]
	s_waitcnt vmcnt(49)
	v_fma_f64 v[171:172], v[5:6], v[177:178], -v[171:172]
	v_fma_f64 v[157:158], v[7:8], v[177:178], v[157:158]
	ds_read_b128 v[5:8], v184 offset:1664
	v_add_f64 v[129:130], v[129:130], v[169:170]
	v_add_f64 v[127:128], v[127:128], v[163:164]
	s_waitcnt vmcnt(45) lgkmcnt(1)
	v_mul_f64 v[163:164], v[123:124], v[135:136]
	v_mul_f64 v[135:136], v[125:126], v[135:136]
	s_waitcnt vmcnt(44)
	v_fma_f64 v[169:170], v[1:2], v[197:198], -v[175:176]
	v_add_f64 v[129:130], v[129:130], v[171:172]
	v_fma_f64 v[171:172], v[3:4], v[197:198], v[173:174]
	v_add_f64 v[127:128], v[127:128], v[157:158]
	ds_read_b128 v[1:4], v184 offset:1680
	s_waitcnt vmcnt(43) lgkmcnt(1)
	v_mul_f64 v[173:174], v[7:8], v[195:196]
	v_mul_f64 v[157:158], v[5:6], v[195:196]
	s_waitcnt vmcnt(41)
	v_fma_f64 v[135:136], v[123:124], v[141:142], -v[135:136]
	v_fma_f64 v[141:142], v[125:126], v[141:142], v[163:164]
	ds_read_b128 v[123:126], v184 offset:1696
	v_add_f64 v[129:130], v[129:130], v[169:170]
	v_add_f64 v[127:128], v[127:128], v[171:172]
	s_waitcnt vmcnt(37) lgkmcnt(1)
	v_mul_f64 v[163:164], v[1:2], v[147:148]
	v_mul_f64 v[147:148], v[3:4], v[147:148]
	s_waitcnt vmcnt(36)
	v_fma_f64 v[169:170], v[5:6], v[201:202], -v[173:174]
	v_add_f64 v[129:130], v[129:130], v[135:136]
	v_fma_f64 v[135:136], v[7:8], v[201:202], v[157:158]
	v_add_f64 v[127:128], v[127:128], v[141:142]
	ds_read_b128 v[5:8], v184 offset:1712
	s_waitcnt vmcnt(35) lgkmcnt(1)
	v_mul_f64 v[157:158], v[125:126], v[189:190]
	v_mul_f64 v[141:142], v[123:124], v[189:190]
	s_waitcnt vmcnt(33)
	v_fma_f64 v[147:148], v[1:2], v[139:140], -v[147:148]
	v_fma_f64 v[139:140], v[3:4], v[139:140], v[163:164]
	ds_read_b128 v[1:4], v184 offset:1728
	v_add_f64 v[129:130], v[129:130], v[169:170]
	v_add_f64 v[127:128], v[127:128], v[135:136]
	s_waitcnt vmcnt(29) lgkmcnt(1)
	v_mul_f64 v[135:136], v[5:6], v[133:134]
	v_mul_f64 v[133:134], v[7:8], v[133:134]
	s_waitcnt vmcnt(28)
	v_fma_f64 v[157:158], v[123:124], v[203:204], -v[157:158]
	v_fma_f64 v[141:142], v[125:126], v[203:204], v[141:142]
	ds_read_b128 v[123:126], v184 offset:1744
	v_add_f64 v[129:130], v[129:130], v[147:148]
	v_add_f64 v[127:128], v[127:128], v[139:140]
	;; [unrolled: 9-line block ×3, first 2 shown]
	s_waitcnt vmcnt(21) lgkmcnt(1)
	v_mul_f64 v[141:142], v[123:124], v[137:138]
	v_mul_f64 v[137:138], v[125:126], v[137:138]
	s_waitcnt vmcnt(20)
	v_fma_f64 v[145:146], v[1:2], v[199:200], -v[147:148]
	v_add_f64 v[129:130], v[129:130], v[133:134]
	v_fma_f64 v[133:134], v[3:4], v[199:200], v[139:140]
	v_add_f64 v[127:128], v[127:128], v[135:136]
	ds_read_b128 v[1:4], v184 offset:1776
	s_waitcnt vmcnt(19) lgkmcnt(1)
	v_mul_f64 v[139:140], v[7:8], v[159:160]
	v_mul_f64 v[135:136], v[5:6], v[159:160]
	s_waitcnt vmcnt(17)
	v_fma_f64 v[137:138], v[123:124], v[155:156], -v[137:138]
	v_fma_f64 v[141:142], v[125:126], v[155:156], v[141:142]
	ds_read_b128 v[123:126], v184 offset:1792
	v_add_f64 v[129:130], v[129:130], v[145:146]
	v_add_f64 v[127:128], v[127:128], v[133:134]
	s_waitcnt vmcnt(13) lgkmcnt(1)
	v_mul_f64 v[133:134], v[1:2], v[143:144]
	v_mul_f64 v[143:144], v[3:4], v[143:144]
	s_waitcnt vmcnt(12)
	v_fma_f64 v[139:140], v[5:6], v[191:192], -v[139:140]
	v_fma_f64 v[135:136], v[7:8], v[191:192], v[135:136]
	ds_read_b128 v[5:8], v184 offset:1808
	v_add_f64 v[129:130], v[129:130], v[137:138]
	v_add_f64 v[127:128], v[127:128], v[141:142]
	s_waitcnt vmcnt(11) lgkmcnt(1)
	v_mul_f64 v[141:142], v[125:126], v[165:166]
	v_mul_f64 v[137:138], v[123:124], v[165:166]
	s_waitcnt vmcnt(9)
	v_fma_f64 v[1:2], v[1:2], v[153:154], -v[143:144]
	v_fma_f64 v[3:4], v[3:4], v[153:154], v[133:134]
	v_add_f64 v[129:130], v[129:130], v[139:140]
	v_add_f64 v[127:128], v[127:128], v[135:136]
	s_waitcnt vmcnt(7) lgkmcnt(0)
	v_mul_f64 v[135:136], v[7:8], v[149:150]
	s_waitcnt vmcnt(6)
	v_fma_f64 v[123:124], v[123:124], v[185:186], -v[141:142]
	v_mul_f64 v[133:134], v[5:6], v[149:150]
	v_fma_f64 v[125:126], v[125:126], v[185:186], v[137:138]
	v_add_f64 v[1:2], v[129:130], v[1:2]
	v_add_f64 v[3:4], v[127:128], v[3:4]
	s_waitcnt vmcnt(4)
	v_fma_f64 v[5:6], v[5:6], v[161:162], -v[135:136]
	v_fma_f64 v[7:8], v[7:8], v[161:162], v[133:134]
	v_add_f64 v[1:2], v[1:2], v[123:124]
	v_add_f64 v[3:4], v[3:4], v[125:126]
	;; [unrolled: 1-line block ×4, first 2 shown]
	s_waitcnt vmcnt(2)
	v_add_f64 v[1:2], v[131:132], -v[1:2]
	s_waitcnt vmcnt(0)
	v_add_f64 v[3:4], v[167:168], -v[3:4]
	buffer_store_dword v2, off, s[0:3], 0 offset:180
	buffer_store_dword v1, off, s[0:3], 0 offset:176
	;; [unrolled: 1-line block ×4, first 2 shown]
	v_cmpx_lt_u32_e32 9, v0
	s_cbranch_execz .LBB120_337
; %bb.336:
	v_mov_b32_e32 v4, s60
	v_mov_b32_e32 v5, 0
	s_clause 0x3
	buffer_load_dword v1, v4, s[0:3], 0 offen
	buffer_load_dword v2, v4, s[0:3], 0 offen offset:4
	buffer_load_dword v3, v4, s[0:3], 0 offen offset:8
	;; [unrolled: 1-line block ×3, first 2 shown]
	buffer_store_dword v5, off, s[0:3], 0 offset:160
	buffer_store_dword v5, off, s[0:3], 0 offset:164
	;; [unrolled: 1-line block ×4, first 2 shown]
	s_waitcnt vmcnt(0)
	ds_write_b128 v183, v[1:4]
.LBB120_337:
	s_or_b32 exec_lo, exec_lo, s4
	s_waitcnt lgkmcnt(0)
	s_waitcnt_vscnt null, 0x0
	s_barrier
	buffer_gl0_inv
	s_clause 0x37
	buffer_load_dword v131, off, s[0:3], 0 offset:184
	buffer_load_dword v132, off, s[0:3], 0 offset:188
	;; [unrolled: 1-line block ×56, first 2 shown]
	v_mov_b32_e32 v184, 0
	s_mov_b32 s4, exec_lo
	ds_read_b128 v[5:8], v184 offset:1072
	s_clause 0x2
	buffer_load_dword v180, off, s[0:3], 0 offset:412
	buffer_load_dword v182, off, s[0:3], 0 offset:388
	;; [unrolled: 1-line block ×3, first 2 shown]
	ds_read_b128 v[1:4], v184 offset:1088
	s_clause 0x4
	buffer_load_dword v192, off, s[0:3], 0 offset:428
	buffer_load_dword v193, off, s[0:3], 0 offset:440
	;; [unrolled: 1-line block ×5, first 2 shown]
	ds_read_b128 v[185:188], v184 offset:1104
	s_waitcnt vmcnt(62) lgkmcnt(2)
	v_mul_f64 v[189:190], v[7:8], v[131:132]
	v_mul_f64 v[131:132], v[5:6], v[131:132]
	s_waitcnt vmcnt(60) lgkmcnt(1)
	v_mul_f64 v[196:197], v[3:4], v[127:128]
	v_mul_f64 v[127:128], v[1:2], v[127:128]
	;; [unrolled: 3-line block ×3, first 2 shown]
	v_fma_f64 v[189:190], v[5:6], v[129:130], -v[189:190]
	v_fma_f64 v[129:130], v[7:8], v[129:130], v[131:132]
	s_clause 0x2
	buffer_load_dword v194, off, s[0:3], 0 offset:444
	buffer_load_dword v132, off, s[0:3], 0 offset:420
	;; [unrolled: 1-line block ×3, first 2 shown]
	s_waitcnt vmcnt(57)
	v_fma_f64 v[200:201], v[1:2], v[123:124], -v[196:197]
	ds_read_b128 v[5:8], v184 offset:1120
	v_fma_f64 v[123:124], v[3:4], v[123:124], v[127:128]
	s_waitcnt vmcnt(51)
	v_fma_f64 v[185:186], v[185:186], v[147:148], -v[125:126]
	v_fma_f64 v[147:148], v[187:188], v[147:148], v[198:199]
	v_add_f64 v[189:190], v[189:190], 0
	v_add_f64 v[127:128], v[129:130], 0
	s_clause 0x4
	buffer_load_dword v130, off, s[0:3], 0 offset:460
	buffer_load_dword v197, off, s[0:3], 0 offset:472
	;; [unrolled: 1-line block ×5, first 2 shown]
	s_waitcnt lgkmcnt(0)
	v_mul_f64 v[203:204], v[5:6], v[135:136]
	v_mul_f64 v[135:136], v[7:8], v[135:136]
	ds_read_b128 v[1:4], v184 offset:1136
	s_clause 0x2
	buffer_load_dword v198, off, s[0:3], 0 offset:476
	buffer_load_dword v188, off, s[0:3], 0 offset:452
	;; [unrolled: 1-line block ×3, first 2 shown]
	v_add_f64 v[189:190], v[189:190], v[200:201]
	v_add_f64 v[127:128], v[127:128], v[123:124]
	ds_read_b128 v[123:126], v184 offset:1152
	s_waitcnt vmcnt(58) lgkmcnt(1)
	v_mul_f64 v[199:200], v[1:2], v[139:140]
	v_mul_f64 v[139:140], v[3:4], v[139:140]
	s_waitcnt vmcnt(56)
	v_fma_f64 v[135:136], v[5:6], v[141:142], -v[135:136]
	v_fma_f64 v[141:142], v[7:8], v[141:142], v[203:204]
	s_waitcnt vmcnt(52) lgkmcnt(0)
	v_mul_f64 v[205:206], v[123:124], v[143:144]
	v_add_f64 v[185:186], v[189:190], v[185:186]
	v_add_f64 v[127:128], v[127:128], v[147:148]
	s_clause 0x4
	buffer_load_dword v148, off, s[0:3], 0 offset:492
	buffer_load_dword v189, off, s[0:3], 0 offset:504
	;; [unrolled: 1-line block ×5, first 2 shown]
	v_mul_f64 v[143:144], v[125:126], v[143:144]
	s_waitcnt vmcnt(56)
	v_fma_f64 v[139:140], v[1:2], v[133:134], -v[139:140]
	ds_read_b128 v[5:8], v184 offset:1168
	v_fma_f64 v[133:134], v[3:4], v[133:134], v[199:200]
	v_add_f64 v[135:136], v[185:186], v[135:136]
	v_add_f64 v[127:128], v[127:128], v[141:142]
	s_clause 0x2
	buffer_load_dword v190, off, s[0:3], 0 offset:508
	buffer_load_dword v142, off, s[0:3], 0 offset:484
	;; [unrolled: 1-line block ×3, first 2 shown]
	s_waitcnt vmcnt(58) lgkmcnt(0)
	v_mul_f64 v[185:186], v[5:6], v[149:150]
	v_mul_f64 v[149:150], v[7:8], v[149:150]
	s_waitcnt vmcnt(56)
	v_fma_f64 v[143:144], v[123:124], v[151:152], -v[143:144]
	ds_read_b128 v[1:4], v184 offset:1184
	v_add_f64 v[135:136], v[135:136], v[139:140]
	v_fma_f64 v[139:140], v[125:126], v[151:152], v[205:206]
	v_add_f64 v[127:128], v[127:128], v[133:134]
	s_clause 0x4
	buffer_load_dword v134, off, s[0:3], 0 offset:524
	buffer_load_dword v151, off, s[0:3], 0 offset:536
	;; [unrolled: 1-line block ×5, first 2 shown]
	s_waitcnt vmcnt(57) lgkmcnt(0)
	v_mul_f64 v[200:201], v[1:2], v[153:154]
	v_mul_f64 v[153:154], v[3:4], v[153:154]
	s_waitcnt vmcnt(56)
	v_fma_f64 v[149:150], v[5:6], v[137:138], -v[149:150]
	ds_read_b128 v[123:126], v184 offset:1200
	v_fma_f64 v[137:138], v[7:8], v[137:138], v[185:186]
	v_add_f64 v[135:136], v[135:136], v[143:144]
	v_add_f64 v[127:128], v[127:128], v[139:140]
	s_clause 0x2
	buffer_load_dword v152, off, s[0:3], 0 offset:540
	buffer_load_dword v140, off, s[0:3], 0 offset:516
	;; [unrolled: 1-line block ×3, first 2 shown]
	ds_read_b128 v[5:8], v184 offset:1216
	s_waitcnt vmcnt(58) lgkmcnt(1)
	v_mul_f64 v[143:144], v[123:124], v[157:158]
	v_mul_f64 v[157:158], v[125:126], v[157:158]
	s_waitcnt vmcnt(56)
	v_fma_f64 v[153:154], v[1:2], v[159:160], -v[153:154]
	v_add_f64 v[135:136], v[135:136], v[149:150]
	v_fma_f64 v[149:150], v[3:4], v[159:160], v[200:201]
	v_add_f64 v[127:128], v[127:128], v[137:138]
	s_clause 0x4
	buffer_load_dword v138, off, s[0:3], 0 offset:556
	buffer_load_dword v159, off, s[0:3], 0 offset:568
	;; [unrolled: 1-line block ×5, first 2 shown]
	s_waitcnt vmcnt(57) lgkmcnt(0)
	v_mul_f64 v[206:207], v[5:6], v[161:162]
	v_mul_f64 v[161:162], v[7:8], v[161:162]
	s_waitcnt vmcnt(56)
	v_fma_f64 v[157:158], v[123:124], v[145:146], -v[157:158]
	ds_read_b128 v[1:4], v184 offset:1232
	v_fma_f64 v[143:144], v[125:126], v[145:146], v[143:144]
	s_clause 0x2
	buffer_load_dword v160, off, s[0:3], 0 offset:572
	buffer_load_dword v146, off, s[0:3], 0 offset:548
	;; [unrolled: 1-line block ×3, first 2 shown]
	ds_read_b128 v[123:126], v184 offset:1248
	v_add_f64 v[135:136], v[135:136], v[153:154]
	v_add_f64 v[127:128], v[127:128], v[149:150]
	s_waitcnt vmcnt(58) lgkmcnt(1)
	v_mul_f64 v[153:154], v[3:4], v[165:166]
	s_waitcnt vmcnt(56)
	v_fma_f64 v[161:162], v[5:6], v[167:168], -v[161:162]
	v_mul_f64 v[149:150], v[1:2], v[165:166]
	v_add_f64 v[135:136], v[135:136], v[157:158]
	v_fma_f64 v[157:158], v[7:8], v[167:168], v[206:207]
	v_add_f64 v[127:128], v[127:128], v[143:144]
	s_clause 0x4
	buffer_load_dword v144, off, s[0:3], 0 offset:588
	buffer_load_dword v165, off, s[0:3], 0 offset:600
	buffer_load_dword v167, off, s[0:3], 0 offset:592
	buffer_load_dword v143, off, s[0:3], 0 offset:584
	buffer_load_dword v186, off, s[0:3], 0 offset:564
	s_waitcnt vmcnt(57) lgkmcnt(0)
	v_mul_f64 v[206:207], v[123:124], v[169:170]
	v_mul_f64 v[168:169], v[125:126], v[169:170]
	s_waitcnt vmcnt(56)
	v_fma_f64 v[153:154], v[1:2], v[155:156], -v[153:154]
	ds_read_b128 v[5:8], v184 offset:1264
	v_fma_f64 v[149:150], v[3:4], v[155:156], v[149:150]
	s_clause 0x2
	buffer_load_dword v166, off, s[0:3], 0 offset:604
	buffer_load_dword v156, off, s[0:3], 0 offset:580
	;; [unrolled: 1-line block ×3, first 2 shown]
	ds_read_b128 v[1:4], v184 offset:1280
	v_add_f64 v[135:136], v[135:136], v[161:162]
	v_add_f64 v[127:128], v[127:128], v[157:158]
	s_waitcnt vmcnt(58) lgkmcnt(1)
	v_mul_f64 v[161:162], v[7:8], v[173:174]
	s_waitcnt vmcnt(56)
	v_fma_f64 v[169:170], v[123:124], v[175:176], -v[168:169]
	v_mul_f64 v[157:158], v[5:6], v[173:174]
	v_add_f64 v[135:136], v[135:136], v[153:154]
	v_fma_f64 v[153:154], v[125:126], v[175:176], v[206:207]
	v_add_f64 v[127:128], v[127:128], v[149:150]
	s_clause 0x4
	buffer_load_dword v150, off, s[0:3], 0 offset:620
	buffer_load_dword v173, off, s[0:3], 0 offset:632
	buffer_load_dword v175, off, s[0:3], 0 offset:624
	buffer_load_dword v149, off, s[0:3], 0 offset:616
	buffer_load_dword v168, off, s[0:3], 0 offset:596
	s_waitcnt vmcnt(57) lgkmcnt(0)
	v_mul_f64 v[206:207], v[1:2], v[177:178]
	v_mul_f64 v[176:177], v[3:4], v[177:178]
	s_waitcnt vmcnt(56)
	v_fma_f64 v[161:162], v[5:6], v[163:164], -v[161:162]
	ds_read_b128 v[123:126], v184 offset:1296
	v_fma_f64 v[157:158], v[7:8], v[163:164], v[157:158]
	v_add_f64 v[135:136], v[135:136], v[169:170]
	v_add_f64 v[127:128], v[127:128], v[153:154]
	s_clause 0x2
	buffer_load_dword v174, off, s[0:3], 0 offset:636
	buffer_load_dword v154, off, s[0:3], 0 offset:612
	;; [unrolled: 1-line block ×3, first 2 shown]
	ds_read_b128 v[5:8], v184 offset:1312
	s_waitcnt vmcnt(58) lgkmcnt(1)
	v_mul_f64 v[169:170], v[125:126], v[179:180]
	s_waitcnt vmcnt(56)
	v_fma_f64 v[177:178], v[1:2], v[181:182], -v[176:177]
	v_mul_f64 v[163:164], v[123:124], v[179:180]
	v_add_f64 v[135:136], v[135:136], v[161:162]
	v_fma_f64 v[161:162], v[3:4], v[181:182], v[206:207]
	v_add_f64 v[127:128], v[127:128], v[157:158]
	s_clause 0x4
	buffer_load_dword v158, off, s[0:3], 0 offset:652
	buffer_load_dword v179, off, s[0:3], 0 offset:664
	;; [unrolled: 1-line block ×5, first 2 shown]
	s_waitcnt vmcnt(57) lgkmcnt(0)
	v_mul_f64 v[206:207], v[5:6], v[191:192]
	v_mul_f64 v[191:192], v[7:8], v[191:192]
	s_waitcnt vmcnt(56)
	v_fma_f64 v[169:170], v[123:124], v[171:172], -v[169:170]
	ds_read_b128 v[1:4], v184 offset:1328
	v_fma_f64 v[163:164], v[125:126], v[171:172], v[163:164]
	v_add_f64 v[135:136], v[135:136], v[177:178]
	v_add_f64 v[127:128], v[127:128], v[161:162]
	s_clause 0x2
	buffer_load_dword v180, off, s[0:3], 0 offset:668
	buffer_load_dword v162, off, s[0:3], 0 offset:644
	;; [unrolled: 1-line block ×3, first 2 shown]
	ds_read_b128 v[123:126], v184 offset:1344
	s_waitcnt vmcnt(58) lgkmcnt(1)
	v_mul_f64 v[177:178], v[3:4], v[193:194]
	v_mul_f64 v[171:172], v[1:2], v[193:194]
	s_waitcnt vmcnt(56)
	v_fma_f64 v[191:192], v[5:6], v[131:132], -v[191:192]
	v_fma_f64 v[131:132], v[7:8], v[131:132], v[206:207]
	v_add_f64 v[135:136], v[135:136], v[169:170]
	v_add_f64 v[127:128], v[127:128], v[163:164]
	s_clause 0x4
	buffer_load_dword v164, off, s[0:3], 0 offset:684
	buffer_load_dword v169, off, s[0:3], 0 offset:696
	;; [unrolled: 1-line block ×5, first 2 shown]
	ds_read_b128 v[5:8], v184 offset:1360
	s_waitcnt vmcnt(57) lgkmcnt(1)
	v_mul_f64 v[206:207], v[123:124], v[129:130]
	v_mul_f64 v[129:130], v[125:126], v[129:130]
	s_waitcnt vmcnt(56)
	v_fma_f64 v[177:178], v[1:2], v[195:196], -v[177:178]
	v_fma_f64 v[171:172], v[3:4], v[195:196], v[171:172]
	v_add_f64 v[135:136], v[135:136], v[191:192]
	v_add_f64 v[127:128], v[127:128], v[131:132]
	s_clause 0x2
	buffer_load_dword v170, off, s[0:3], 0 offset:700
	buffer_load_dword v132, off, s[0:3], 0 offset:676
	;; [unrolled: 1-line block ×3, first 2 shown]
	s_waitcnt vmcnt(58) lgkmcnt(0)
	v_mul_f64 v[195:196], v[7:8], v[197:198]
	ds_read_b128 v[1:4], v184 offset:1376
	v_mul_f64 v[191:192], v[5:6], v[197:198]
	s_waitcnt vmcnt(56)
	v_fma_f64 v[129:130], v[123:124], v[187:188], -v[129:130]
	v_add_f64 v[135:136], v[135:136], v[177:178]
	v_fma_f64 v[177:178], v[125:126], v[187:188], v[206:207]
	v_add_f64 v[127:128], v[127:128], v[171:172]
	s_clause 0x4
	buffer_load_dword v172, off, s[0:3], 0 offset:716
	buffer_load_dword v187, off, s[0:3], 0 offset:728
	;; [unrolled: 1-line block ×5, first 2 shown]
	ds_read_b128 v[123:126], v184 offset:1392
	s_waitcnt vmcnt(57) lgkmcnt(1)
	v_mul_f64 v[206:207], v[1:2], v[147:148]
	v_mul_f64 v[147:148], v[3:4], v[147:148]
	s_waitcnt vmcnt(56)
	v_fma_f64 v[195:196], v[5:6], v[202:203], -v[195:196]
	v_add_f64 v[129:130], v[135:136], v[129:130]
	v_fma_f64 v[135:136], v[7:8], v[202:203], v[191:192]
	v_add_f64 v[127:128], v[127:128], v[177:178]
	s_clause 0x2
	buffer_load_dword v188, off, s[0:3], 0 offset:732
	buffer_load_dword v178, off, s[0:3], 0 offset:708
	;; [unrolled: 1-line block ×3, first 2 shown]
	ds_read_b128 v[5:8], v184 offset:1408
	s_waitcnt vmcnt(58) lgkmcnt(1)
	v_mul_f64 v[191:192], v[123:124], v[189:190]
	v_mul_f64 v[189:190], v[125:126], v[189:190]
	s_waitcnt vmcnt(56)
	v_fma_f64 v[147:148], v[1:2], v[141:142], -v[147:148]
	v_fma_f64 v[141:142], v[3:4], v[141:142], v[206:207]
	v_add_f64 v[129:130], v[129:130], v[195:196]
	v_add_f64 v[127:128], v[127:128], v[135:136]
	s_clause 0x4
	buffer_load_dword v136, off, s[0:3], 0 offset:748
	buffer_load_dword v195, off, s[0:3], 0 offset:760
	;; [unrolled: 1-line block ×5, first 2 shown]
	ds_read_b128 v[1:4], v184 offset:1424
	s_waitcnt vmcnt(57) lgkmcnt(1)
	v_mul_f64 v[202:203], v[5:6], v[133:134]
	v_mul_f64 v[133:134], v[7:8], v[133:134]
	s_waitcnt vmcnt(56)
	v_fma_f64 v[189:190], v[123:124], v[204:205], -v[189:190]
	v_add_f64 v[129:130], v[129:130], v[147:148]
	v_fma_f64 v[147:148], v[125:126], v[204:205], v[191:192]
	v_add_f64 v[127:128], v[127:128], v[141:142]
	s_clause 0x2
	buffer_load_dword v196, off, s[0:3], 0 offset:764
	buffer_load_dword v142, off, s[0:3], 0 offset:740
	;; [unrolled: 1-line block ×3, first 2 shown]
	ds_read_b128 v[123:126], v184 offset:1440
	s_waitcnt vmcnt(58) lgkmcnt(1)
	v_mul_f64 v[191:192], v[1:2], v[151:152]
	v_mul_f64 v[151:152], v[3:4], v[151:152]
	s_waitcnt vmcnt(56)
	v_fma_f64 v[133:134], v[5:6], v[139:140], -v[133:134]
	v_fma_f64 v[139:140], v[7:8], v[139:140], v[202:203]
	v_add_f64 v[129:130], v[129:130], v[189:190]
	v_add_f64 v[127:128], v[127:128], v[147:148]
	s_clause 0x4
	buffer_load_dword v148, off, s[0:3], 0 offset:780
	buffer_load_dword v189, off, s[0:3], 0 offset:792
	;; [unrolled: 1-line block ×5, first 2 shown]
	ds_read_b128 v[5:8], v184 offset:1456
	s_waitcnt vmcnt(57) lgkmcnt(1)
	v_mul_f64 v[204:205], v[123:124], v[137:138]
	v_mul_f64 v[137:138], v[125:126], v[137:138]
	s_waitcnt vmcnt(56)
	v_fma_f64 v[151:152], v[1:2], v[199:200], -v[151:152]
	v_add_f64 v[129:130], v[129:130], v[133:134]
	v_fma_f64 v[133:134], v[3:4], v[199:200], v[191:192]
	v_add_f64 v[127:128], v[127:128], v[139:140]
	s_clause 0x2
	buffer_load_dword v190, off, s[0:3], 0 offset:796
	buffer_load_dword v140, off, s[0:3], 0 offset:772
	;; [unrolled: 1-line block ×3, first 2 shown]
	s_waitcnt vmcnt(58) lgkmcnt(0)
	v_mul_f64 v[191:192], v[5:6], v[159:160]
	v_mul_f64 v[159:160], v[7:8], v[159:160]
	ds_read_b128 v[1:4], v184 offset:1472
	s_waitcnt vmcnt(56)
	v_fma_f64 v[137:138], v[123:124], v[145:146], -v[137:138]
	v_fma_f64 v[145:146], v[125:126], v[145:146], v[204:205]
	v_add_f64 v[129:130], v[129:130], v[151:152]
	v_add_f64 v[127:128], v[127:128], v[133:134]
	s_clause 0x4
	buffer_load_dword v134, off, s[0:3], 0 offset:812
	buffer_load_dword v151, off, s[0:3], 0 offset:824
	;; [unrolled: 1-line block ×5, first 2 shown]
	ds_read_b128 v[123:126], v184 offset:1488
	s_waitcnt vmcnt(57) lgkmcnt(1)
	v_mul_f64 v[205:206], v[1:2], v[143:144]
	v_mul_f64 v[143:144], v[3:4], v[143:144]
	s_waitcnt vmcnt(56)
	v_fma_f64 v[159:160], v[5:6], v[185:186], -v[159:160]
	v_add_f64 v[129:130], v[129:130], v[137:138]
	v_fma_f64 v[137:138], v[7:8], v[185:186], v[191:192]
	v_add_f64 v[127:128], v[127:128], v[145:146]
	s_clause 0x2
	buffer_load_dword v152, off, s[0:3], 0 offset:828
	buffer_load_dword v146, off, s[0:3], 0 offset:804
	;; [unrolled: 1-line block ×3, first 2 shown]
	s_waitcnt vmcnt(58) lgkmcnt(0)
	v_mul_f64 v[185:186], v[123:124], v[165:166]
	v_mul_f64 v[165:166], v[125:126], v[165:166]
	ds_read_b128 v[5:8], v184 offset:1504
	s_waitcnt vmcnt(56)
	v_fma_f64 v[143:144], v[1:2], v[155:156], -v[143:144]
	v_fma_f64 v[155:156], v[3:4], v[155:156], v[205:206]
	v_add_f64 v[129:130], v[129:130], v[159:160]
	v_add_f64 v[127:128], v[127:128], v[137:138]
	s_clause 0x4
	buffer_load_dword v138, off, s[0:3], 0 offset:844
	buffer_load_dword v159, off, s[0:3], 0 offset:856
	;; [unrolled: 1-line block ×5, first 2 shown]
	ds_read_b128 v[1:4], v184 offset:1520
	s_waitcnt vmcnt(57) lgkmcnt(1)
	v_mul_f64 v[205:206], v[5:6], v[149:150]
	v_mul_f64 v[149:150], v[7:8], v[149:150]
	s_waitcnt vmcnt(56)
	v_fma_f64 v[165:166], v[123:124], v[167:168], -v[165:166]
	v_add_f64 v[129:130], v[129:130], v[143:144]
	v_fma_f64 v[143:144], v[125:126], v[167:168], v[185:186]
	v_add_f64 v[127:128], v[127:128], v[155:156]
	s_clause 0x2
	buffer_load_dword v160, off, s[0:3], 0 offset:860
	buffer_load_dword v156, off, s[0:3], 0 offset:836
	;; [unrolled: 1-line block ×3, first 2 shown]
	ds_read_b128 v[123:126], v184 offset:1536
	s_waitcnt vmcnt(58) lgkmcnt(1)
	v_mul_f64 v[167:168], v[1:2], v[173:174]
	v_mul_f64 v[173:174], v[3:4], v[173:174]
	s_waitcnt vmcnt(56)
	v_fma_f64 v[149:150], v[5:6], v[153:154], -v[149:150]
	v_fma_f64 v[153:154], v[7:8], v[153:154], v[205:206]
	v_add_f64 v[129:130], v[129:130], v[165:166]
	v_add_f64 v[127:128], v[127:128], v[143:144]
	s_clause 0x4
	buffer_load_dword v144, off, s[0:3], 0 offset:876
	buffer_load_dword v165, off, s[0:3], 0 offset:888
	;; [unrolled: 1-line block ×5, first 2 shown]
	ds_read_b128 v[5:8], v184 offset:1552
	s_waitcnt vmcnt(57) lgkmcnt(1)
	v_mul_f64 v[205:206], v[123:124], v[157:158]
	v_mul_f64 v[157:158], v[125:126], v[157:158]
	s_waitcnt vmcnt(56)
	v_fma_f64 v[173:174], v[1:2], v[175:176], -v[173:174]
	v_add_f64 v[129:130], v[129:130], v[149:150]
	v_fma_f64 v[149:150], v[3:4], v[175:176], v[167:168]
	v_add_f64 v[127:128], v[127:128], v[153:154]
	s_clause 0x2
	buffer_load_dword v166, off, s[0:3], 0 offset:892
	buffer_load_dword v154, off, s[0:3], 0 offset:868
	buffer_load_dword v153, off, s[0:3], 0 offset:864
	ds_read_b128 v[1:4], v184 offset:1568
	s_waitcnt vmcnt(58) lgkmcnt(1)
	v_mul_f64 v[175:176], v[7:8], v[179:180]
	v_mul_f64 v[167:168], v[5:6], v[179:180]
	s_waitcnt vmcnt(56)
	v_fma_f64 v[157:158], v[123:124], v[161:162], -v[157:158]
	v_fma_f64 v[161:162], v[125:126], v[161:162], v[205:206]
	v_add_f64 v[129:130], v[129:130], v[173:174]
	v_add_f64 v[127:128], v[127:128], v[149:150]
	s_clause 0x4
	buffer_load_dword v150, off, s[0:3], 0 offset:908
	buffer_load_dword v173, off, s[0:3], 0 offset:920
	;; [unrolled: 1-line block ×5, first 2 shown]
	ds_read_b128 v[123:126], v184 offset:1584
	s_waitcnt vmcnt(57) lgkmcnt(1)
	v_mul_f64 v[205:206], v[1:2], v[163:164]
	v_mul_f64 v[163:164], v[3:4], v[163:164]
	s_waitcnt vmcnt(56)
	v_fma_f64 v[175:176], v[5:6], v[181:182], -v[175:176]
	v_add_f64 v[129:130], v[129:130], v[157:158]
	v_fma_f64 v[157:158], v[7:8], v[181:182], v[167:168]
	v_add_f64 v[127:128], v[127:128], v[161:162]
	s_clause 0x2
	buffer_load_dword v174, off, s[0:3], 0 offset:924
	buffer_load_dword v162, off, s[0:3], 0 offset:900
	;; [unrolled: 1-line block ×3, first 2 shown]
	ds_read_b128 v[5:8], v184 offset:1600
	buffer_load_dword v180, off, s[0:3], 0 offset:916
	s_waitcnt vmcnt(59) lgkmcnt(1)
	v_mul_f64 v[167:168], v[123:124], v[169:170]
	v_mul_f64 v[169:170], v[125:126], v[169:170]
	s_waitcnt vmcnt(57)
	v_fma_f64 v[163:164], v[1:2], v[131:132], -v[163:164]
	v_fma_f64 v[131:132], v[3:4], v[131:132], v[205:206]
	ds_read_b128 v[1:4], v184 offset:1616
	v_add_f64 v[129:130], v[129:130], v[175:176]
	v_add_f64 v[127:128], v[127:128], v[157:158]
	s_waitcnt vmcnt(53) lgkmcnt(1)
	v_mul_f64 v[157:158], v[5:6], v[171:172]
	v_mul_f64 v[171:172], v[7:8], v[171:172]
	s_waitcnt vmcnt(52)
	v_fma_f64 v[169:170], v[123:124], v[193:194], -v[169:170]
	v_add_f64 v[129:130], v[129:130], v[163:164]
	v_fma_f64 v[163:164], v[125:126], v[193:194], v[167:168]
	v_add_f64 v[127:128], v[127:128], v[131:132]
	ds_read_b128 v[123:126], v184 offset:1632
	s_waitcnt vmcnt(51) lgkmcnt(1)
	v_mul_f64 v[167:168], v[3:4], v[187:188]
	v_mul_f64 v[131:132], v[1:2], v[187:188]
	s_waitcnt vmcnt(49)
	v_fma_f64 v[171:172], v[5:6], v[177:178], -v[171:172]
	v_fma_f64 v[157:158], v[7:8], v[177:178], v[157:158]
	v_add_f64 v[129:130], v[129:130], v[169:170]
	v_add_f64 v[127:128], v[127:128], v[163:164]
	s_clause 0x3
	buffer_load_dword v163, off, s[0:3], 0 offset:160
	buffer_load_dword v164, off, s[0:3], 0 offset:164
	;; [unrolled: 1-line block ×4, first 2 shown]
	ds_read_b128 v[5:8], v184 offset:1648
	s_waitcnt vmcnt(49) lgkmcnt(1)
	v_mul_f64 v[175:176], v[123:124], v[135:136]
	v_mul_f64 v[135:136], v[125:126], v[135:136]
	s_waitcnt vmcnt(48)
	v_fma_f64 v[167:168], v[1:2], v[197:198], -v[167:168]
	v_fma_f64 v[131:132], v[3:4], v[197:198], v[131:132]
	ds_read_b128 v[1:4], v184 offset:1664
	v_add_f64 v[129:130], v[129:130], v[171:172]
	v_add_f64 v[127:128], v[127:128], v[157:158]
	s_waitcnt vmcnt(47) lgkmcnt(1)
	v_mul_f64 v[171:172], v[7:8], v[195:196]
	v_mul_f64 v[157:158], v[5:6], v[195:196]
	s_waitcnt vmcnt(45)
	v_fma_f64 v[135:136], v[123:124], v[141:142], -v[135:136]
	v_fma_f64 v[141:142], v[125:126], v[141:142], v[175:176]
	ds_read_b128 v[123:126], v184 offset:1680
	v_add_f64 v[129:130], v[129:130], v[167:168]
	v_add_f64 v[127:128], v[127:128], v[131:132]
	s_waitcnt vmcnt(41) lgkmcnt(1)
	v_mul_f64 v[131:132], v[1:2], v[147:148]
	v_mul_f64 v[147:148], v[3:4], v[147:148]
	s_waitcnt vmcnt(40)
	v_fma_f64 v[167:168], v[5:6], v[201:202], -v[171:172]
	v_add_f64 v[129:130], v[129:130], v[135:136]
	v_fma_f64 v[135:136], v[7:8], v[201:202], v[157:158]
	v_add_f64 v[127:128], v[127:128], v[141:142]
	ds_read_b128 v[5:8], v184 offset:1696
	s_waitcnt vmcnt(39) lgkmcnt(1)
	v_mul_f64 v[157:158], v[125:126], v[189:190]
	v_mul_f64 v[141:142], v[123:124], v[189:190]
	s_waitcnt vmcnt(37)
	v_fma_f64 v[147:148], v[1:2], v[139:140], -v[147:148]
	v_fma_f64 v[131:132], v[3:4], v[139:140], v[131:132]
	ds_read_b128 v[1:4], v184 offset:1712
	v_add_f64 v[129:130], v[129:130], v[167:168]
	v_add_f64 v[127:128], v[127:128], v[135:136]
	s_waitcnt vmcnt(33) lgkmcnt(1)
	v_mul_f64 v[135:136], v[5:6], v[133:134]
	v_mul_f64 v[133:134], v[7:8], v[133:134]
	s_waitcnt vmcnt(32)
	v_fma_f64 v[139:140], v[123:124], v[203:204], -v[157:158]
	v_fma_f64 v[141:142], v[125:126], v[203:204], v[141:142]
	ds_read_b128 v[123:126], v184 offset:1728
	v_add_f64 v[129:130], v[129:130], v[147:148]
	v_add_f64 v[127:128], v[127:128], v[131:132]
	;; [unrolled: 9-line block ×5, first 2 shown]
	s_waitcnt vmcnt(17) lgkmcnt(1)
	v_mul_f64 v[141:142], v[3:4], v[143:144]
	s_waitcnt vmcnt(16)
	v_fma_f64 v[135:136], v[5:6], v[191:192], -v[135:136]
	v_mul_f64 v[131:132], v[1:2], v[143:144]
	v_fma_f64 v[133:134], v[7:8], v[191:192], v[133:134]
	ds_read_b128 v[5:8], v184 offset:1792
	v_add_f64 v[129:130], v[129:130], v[137:138]
	v_add_f64 v[127:128], v[127:128], v[139:140]
	s_waitcnt vmcnt(15) lgkmcnt(1)
	v_mul_f64 v[139:140], v[125:126], v[165:166]
	v_mul_f64 v[137:138], v[123:124], v[165:166]
	s_waitcnt vmcnt(13)
	v_fma_f64 v[141:142], v[1:2], v[153:154], -v[141:142]
	v_fma_f64 v[131:132], v[3:4], v[153:154], v[131:132]
	ds_read_b128 v[1:4], v184 offset:1808
	v_add_f64 v[129:130], v[129:130], v[135:136]
	v_add_f64 v[127:128], v[127:128], v[133:134]
	s_waitcnt vmcnt(9) lgkmcnt(1)
	v_mul_f64 v[135:136], v[7:8], v[149:150]
	s_waitcnt vmcnt(8)
	v_fma_f64 v[123:124], v[123:124], v[185:186], -v[139:140]
	v_mul_f64 v[133:134], v[5:6], v[149:150]
	v_fma_f64 v[125:126], v[125:126], v[185:186], v[137:138]
	v_add_f64 v[129:130], v[129:130], v[141:142]
	v_add_f64 v[127:128], v[127:128], v[131:132]
	s_waitcnt vmcnt(7) lgkmcnt(0)
	v_mul_f64 v[137:138], v[3:4], v[173:174]
	v_mul_f64 v[131:132], v[1:2], v[173:174]
	s_waitcnt vmcnt(5)
	v_fma_f64 v[5:6], v[5:6], v[161:162], -v[135:136]
	v_fma_f64 v[7:8], v[7:8], v[161:162], v[133:134]
	v_add_f64 v[123:124], v[129:130], v[123:124]
	v_add_f64 v[125:126], v[127:128], v[125:126]
	s_waitcnt vmcnt(4)
	v_fma_f64 v[1:2], v[1:2], v[179:180], -v[137:138]
	v_fma_f64 v[3:4], v[3:4], v[179:180], v[131:132]
	v_add_f64 v[5:6], v[123:124], v[5:6]
	v_add_f64 v[7:8], v[125:126], v[7:8]
	;; [unrolled: 1-line block ×4, first 2 shown]
	s_waitcnt vmcnt(2)
	v_add_f64 v[1:2], v[163:164], -v[1:2]
	s_waitcnt vmcnt(0)
	v_add_f64 v[3:4], v[169:170], -v[3:4]
	buffer_store_dword v2, off, s[0:3], 0 offset:164
	buffer_store_dword v1, off, s[0:3], 0 offset:160
	;; [unrolled: 1-line block ×4, first 2 shown]
	v_cmpx_lt_u32_e32 8, v0
	s_cbranch_execz .LBB120_339
; %bb.338:
	v_mov_b32_e32 v4, s61
	s_clause 0x3
	buffer_load_dword v1, v4, s[0:3], 0 offen
	buffer_load_dword v2, v4, s[0:3], 0 offen offset:4
	buffer_load_dword v3, v4, s[0:3], 0 offen offset:8
	;; [unrolled: 1-line block ×3, first 2 shown]
	buffer_store_dword v184, off, s[0:3], 0 offset:144
	buffer_store_dword v184, off, s[0:3], 0 offset:148
	;; [unrolled: 1-line block ×4, first 2 shown]
	s_waitcnt vmcnt(0)
	ds_write_b128 v183, v[1:4]
.LBB120_339:
	s_or_b32 exec_lo, exec_lo, s4
	s_waitcnt lgkmcnt(0)
	s_waitcnt_vscnt null, 0x0
	s_barrier
	buffer_gl0_inv
	s_clause 0x37
	buffer_load_dword v131, off, s[0:3], 0 offset:168
	buffer_load_dword v132, off, s[0:3], 0 offset:172
	;; [unrolled: 1-line block ×56, first 2 shown]
	ds_read_b128 v[5:8], v184 offset:1056
	s_clause 0x2
	buffer_load_dword v180, off, s[0:3], 0 offset:396
	buffer_load_dword v182, off, s[0:3], 0 offset:372
	;; [unrolled: 1-line block ×3, first 2 shown]
	ds_read_b128 v[1:4], v184 offset:1072
	s_clause 0x4
	buffer_load_dword v192, off, s[0:3], 0 offset:412
	buffer_load_dword v193, off, s[0:3], 0 offset:424
	;; [unrolled: 1-line block ×5, first 2 shown]
	ds_read_b128 v[185:188], v184 offset:1088
	s_mov_b32 s4, exec_lo
	s_waitcnt vmcnt(62) lgkmcnt(2)
	v_mul_f64 v[189:190], v[7:8], v[131:132]
	v_mul_f64 v[131:132], v[5:6], v[131:132]
	s_waitcnt vmcnt(60) lgkmcnt(1)
	v_mul_f64 v[196:197], v[3:4], v[127:128]
	v_mul_f64 v[127:128], v[1:2], v[127:128]
	;; [unrolled: 3-line block ×3, first 2 shown]
	v_fma_f64 v[189:190], v[5:6], v[129:130], -v[189:190]
	v_fma_f64 v[129:130], v[7:8], v[129:130], v[131:132]
	s_clause 0x2
	buffer_load_dword v194, off, s[0:3], 0 offset:428
	buffer_load_dword v132, off, s[0:3], 0 offset:404
	;; [unrolled: 1-line block ×3, first 2 shown]
	s_waitcnt vmcnt(57)
	v_fma_f64 v[200:201], v[1:2], v[123:124], -v[196:197]
	ds_read_b128 v[5:8], v184 offset:1104
	v_fma_f64 v[123:124], v[3:4], v[123:124], v[127:128]
	s_waitcnt vmcnt(51)
	v_fma_f64 v[185:186], v[185:186], v[147:148], -v[125:126]
	v_fma_f64 v[147:148], v[187:188], v[147:148], v[198:199]
	v_add_f64 v[189:190], v[189:190], 0
	v_add_f64 v[127:128], v[129:130], 0
	s_clause 0x4
	buffer_load_dword v130, off, s[0:3], 0 offset:444
	buffer_load_dword v197, off, s[0:3], 0 offset:456
	;; [unrolled: 1-line block ×5, first 2 shown]
	s_waitcnt lgkmcnt(0)
	v_mul_f64 v[203:204], v[5:6], v[135:136]
	v_mul_f64 v[135:136], v[7:8], v[135:136]
	ds_read_b128 v[1:4], v184 offset:1120
	s_clause 0x2
	buffer_load_dword v198, off, s[0:3], 0 offset:460
	buffer_load_dword v188, off, s[0:3], 0 offset:436
	;; [unrolled: 1-line block ×3, first 2 shown]
	v_add_f64 v[189:190], v[189:190], v[200:201]
	v_add_f64 v[127:128], v[127:128], v[123:124]
	ds_read_b128 v[123:126], v184 offset:1136
	s_waitcnt vmcnt(58) lgkmcnt(1)
	v_mul_f64 v[199:200], v[1:2], v[139:140]
	v_mul_f64 v[139:140], v[3:4], v[139:140]
	s_waitcnt vmcnt(56)
	v_fma_f64 v[135:136], v[5:6], v[141:142], -v[135:136]
	v_fma_f64 v[141:142], v[7:8], v[141:142], v[203:204]
	s_waitcnt vmcnt(52) lgkmcnt(0)
	v_mul_f64 v[205:206], v[123:124], v[143:144]
	v_add_f64 v[185:186], v[189:190], v[185:186]
	v_add_f64 v[127:128], v[127:128], v[147:148]
	s_clause 0x4
	buffer_load_dword v148, off, s[0:3], 0 offset:476
	buffer_load_dword v189, off, s[0:3], 0 offset:488
	;; [unrolled: 1-line block ×5, first 2 shown]
	v_mul_f64 v[143:144], v[125:126], v[143:144]
	s_waitcnt vmcnt(56)
	v_fma_f64 v[139:140], v[1:2], v[133:134], -v[139:140]
	ds_read_b128 v[5:8], v184 offset:1152
	v_fma_f64 v[133:134], v[3:4], v[133:134], v[199:200]
	v_add_f64 v[135:136], v[185:186], v[135:136]
	v_add_f64 v[127:128], v[127:128], v[141:142]
	s_clause 0x2
	buffer_load_dword v190, off, s[0:3], 0 offset:492
	buffer_load_dword v142, off, s[0:3], 0 offset:468
	;; [unrolled: 1-line block ×3, first 2 shown]
	s_waitcnt vmcnt(58) lgkmcnt(0)
	v_mul_f64 v[185:186], v[5:6], v[149:150]
	v_mul_f64 v[149:150], v[7:8], v[149:150]
	s_waitcnt vmcnt(56)
	v_fma_f64 v[143:144], v[123:124], v[151:152], -v[143:144]
	ds_read_b128 v[1:4], v184 offset:1168
	v_add_f64 v[135:136], v[135:136], v[139:140]
	v_fma_f64 v[139:140], v[125:126], v[151:152], v[205:206]
	v_add_f64 v[127:128], v[127:128], v[133:134]
	s_clause 0x4
	buffer_load_dword v134, off, s[0:3], 0 offset:508
	buffer_load_dword v151, off, s[0:3], 0 offset:520
	;; [unrolled: 1-line block ×5, first 2 shown]
	s_waitcnt vmcnt(57) lgkmcnt(0)
	v_mul_f64 v[200:201], v[1:2], v[153:154]
	v_mul_f64 v[153:154], v[3:4], v[153:154]
	s_waitcnt vmcnt(56)
	v_fma_f64 v[149:150], v[5:6], v[137:138], -v[149:150]
	ds_read_b128 v[123:126], v184 offset:1184
	v_fma_f64 v[137:138], v[7:8], v[137:138], v[185:186]
	v_add_f64 v[135:136], v[135:136], v[143:144]
	v_add_f64 v[127:128], v[127:128], v[139:140]
	s_clause 0x2
	buffer_load_dword v152, off, s[0:3], 0 offset:524
	buffer_load_dword v140, off, s[0:3], 0 offset:500
	;; [unrolled: 1-line block ×3, first 2 shown]
	ds_read_b128 v[5:8], v184 offset:1200
	s_waitcnt vmcnt(58) lgkmcnt(1)
	v_mul_f64 v[143:144], v[123:124], v[157:158]
	v_mul_f64 v[157:158], v[125:126], v[157:158]
	s_waitcnt vmcnt(56)
	v_fma_f64 v[153:154], v[1:2], v[159:160], -v[153:154]
	v_add_f64 v[135:136], v[135:136], v[149:150]
	v_fma_f64 v[149:150], v[3:4], v[159:160], v[200:201]
	v_add_f64 v[127:128], v[127:128], v[137:138]
	s_clause 0x4
	buffer_load_dword v138, off, s[0:3], 0 offset:540
	buffer_load_dword v159, off, s[0:3], 0 offset:552
	buffer_load_dword v185, off, s[0:3], 0 offset:544
	buffer_load_dword v137, off, s[0:3], 0 offset:536
	buffer_load_dword v200, off, s[0:3], 0 offset:516
	s_waitcnt vmcnt(57) lgkmcnt(0)
	v_mul_f64 v[206:207], v[5:6], v[161:162]
	v_mul_f64 v[161:162], v[7:8], v[161:162]
	s_waitcnt vmcnt(56)
	v_fma_f64 v[157:158], v[123:124], v[145:146], -v[157:158]
	ds_read_b128 v[1:4], v184 offset:1216
	v_fma_f64 v[143:144], v[125:126], v[145:146], v[143:144]
	s_clause 0x2
	buffer_load_dword v160, off, s[0:3], 0 offset:556
	buffer_load_dword v146, off, s[0:3], 0 offset:532
	;; [unrolled: 1-line block ×3, first 2 shown]
	ds_read_b128 v[123:126], v184 offset:1232
	v_add_f64 v[135:136], v[135:136], v[153:154]
	v_add_f64 v[127:128], v[127:128], v[149:150]
	s_waitcnt vmcnt(58) lgkmcnt(1)
	v_mul_f64 v[153:154], v[3:4], v[165:166]
	s_waitcnt vmcnt(56)
	v_fma_f64 v[161:162], v[5:6], v[167:168], -v[161:162]
	v_mul_f64 v[149:150], v[1:2], v[165:166]
	v_add_f64 v[135:136], v[135:136], v[157:158]
	v_fma_f64 v[157:158], v[7:8], v[167:168], v[206:207]
	v_add_f64 v[127:128], v[127:128], v[143:144]
	s_clause 0x4
	buffer_load_dword v144, off, s[0:3], 0 offset:572
	buffer_load_dword v165, off, s[0:3], 0 offset:584
	buffer_load_dword v167, off, s[0:3], 0 offset:576
	buffer_load_dword v143, off, s[0:3], 0 offset:568
	buffer_load_dword v186, off, s[0:3], 0 offset:548
	s_waitcnt vmcnt(57) lgkmcnt(0)
	v_mul_f64 v[206:207], v[123:124], v[169:170]
	v_mul_f64 v[168:169], v[125:126], v[169:170]
	s_waitcnt vmcnt(56)
	v_fma_f64 v[153:154], v[1:2], v[155:156], -v[153:154]
	ds_read_b128 v[5:8], v184 offset:1248
	v_fma_f64 v[149:150], v[3:4], v[155:156], v[149:150]
	s_clause 0x2
	buffer_load_dword v166, off, s[0:3], 0 offset:588
	buffer_load_dword v156, off, s[0:3], 0 offset:564
	;; [unrolled: 1-line block ×3, first 2 shown]
	ds_read_b128 v[1:4], v184 offset:1264
	v_add_f64 v[135:136], v[135:136], v[161:162]
	v_add_f64 v[127:128], v[127:128], v[157:158]
	s_waitcnt vmcnt(58) lgkmcnt(1)
	v_mul_f64 v[161:162], v[7:8], v[173:174]
	s_waitcnt vmcnt(56)
	v_fma_f64 v[169:170], v[123:124], v[175:176], -v[168:169]
	v_mul_f64 v[157:158], v[5:6], v[173:174]
	v_add_f64 v[135:136], v[135:136], v[153:154]
	v_fma_f64 v[153:154], v[125:126], v[175:176], v[206:207]
	v_add_f64 v[127:128], v[127:128], v[149:150]
	s_clause 0x4
	buffer_load_dword v150, off, s[0:3], 0 offset:604
	buffer_load_dword v173, off, s[0:3], 0 offset:616
	;; [unrolled: 1-line block ×5, first 2 shown]
	s_waitcnt vmcnt(57) lgkmcnt(0)
	v_mul_f64 v[206:207], v[1:2], v[177:178]
	v_mul_f64 v[176:177], v[3:4], v[177:178]
	s_waitcnt vmcnt(56)
	v_fma_f64 v[161:162], v[5:6], v[163:164], -v[161:162]
	ds_read_b128 v[123:126], v184 offset:1280
	v_fma_f64 v[157:158], v[7:8], v[163:164], v[157:158]
	v_add_f64 v[135:136], v[135:136], v[169:170]
	v_add_f64 v[127:128], v[127:128], v[153:154]
	s_clause 0x2
	buffer_load_dword v174, off, s[0:3], 0 offset:620
	buffer_load_dword v154, off, s[0:3], 0 offset:596
	;; [unrolled: 1-line block ×3, first 2 shown]
	ds_read_b128 v[5:8], v184 offset:1296
	s_waitcnt vmcnt(58) lgkmcnt(1)
	v_mul_f64 v[169:170], v[125:126], v[179:180]
	s_waitcnt vmcnt(56)
	v_fma_f64 v[177:178], v[1:2], v[181:182], -v[176:177]
	v_mul_f64 v[163:164], v[123:124], v[179:180]
	v_add_f64 v[135:136], v[135:136], v[161:162]
	v_fma_f64 v[161:162], v[3:4], v[181:182], v[206:207]
	v_add_f64 v[127:128], v[127:128], v[157:158]
	s_clause 0x4
	buffer_load_dword v158, off, s[0:3], 0 offset:636
	buffer_load_dword v179, off, s[0:3], 0 offset:648
	;; [unrolled: 1-line block ×5, first 2 shown]
	s_waitcnt vmcnt(57) lgkmcnt(0)
	v_mul_f64 v[206:207], v[5:6], v[191:192]
	v_mul_f64 v[191:192], v[7:8], v[191:192]
	s_waitcnt vmcnt(56)
	v_fma_f64 v[169:170], v[123:124], v[171:172], -v[169:170]
	ds_read_b128 v[1:4], v184 offset:1312
	v_fma_f64 v[163:164], v[125:126], v[171:172], v[163:164]
	v_add_f64 v[135:136], v[135:136], v[177:178]
	v_add_f64 v[127:128], v[127:128], v[161:162]
	s_clause 0x2
	buffer_load_dword v180, off, s[0:3], 0 offset:652
	buffer_load_dword v162, off, s[0:3], 0 offset:628
	;; [unrolled: 1-line block ×3, first 2 shown]
	ds_read_b128 v[123:126], v184 offset:1328
	s_waitcnt vmcnt(58) lgkmcnt(1)
	v_mul_f64 v[177:178], v[3:4], v[193:194]
	v_mul_f64 v[171:172], v[1:2], v[193:194]
	s_waitcnt vmcnt(56)
	v_fma_f64 v[191:192], v[5:6], v[131:132], -v[191:192]
	v_fma_f64 v[131:132], v[7:8], v[131:132], v[206:207]
	v_add_f64 v[135:136], v[135:136], v[169:170]
	v_add_f64 v[127:128], v[127:128], v[163:164]
	s_clause 0x4
	buffer_load_dword v164, off, s[0:3], 0 offset:668
	buffer_load_dword v169, off, s[0:3], 0 offset:680
	;; [unrolled: 1-line block ×5, first 2 shown]
	ds_read_b128 v[5:8], v184 offset:1344
	s_waitcnt vmcnt(57) lgkmcnt(1)
	v_mul_f64 v[206:207], v[123:124], v[129:130]
	v_mul_f64 v[129:130], v[125:126], v[129:130]
	s_waitcnt vmcnt(56)
	v_fma_f64 v[177:178], v[1:2], v[195:196], -v[177:178]
	v_fma_f64 v[171:172], v[3:4], v[195:196], v[171:172]
	v_add_f64 v[135:136], v[135:136], v[191:192]
	v_add_f64 v[127:128], v[127:128], v[131:132]
	s_clause 0x2
	buffer_load_dword v170, off, s[0:3], 0 offset:684
	buffer_load_dword v132, off, s[0:3], 0 offset:660
	;; [unrolled: 1-line block ×3, first 2 shown]
	s_waitcnt vmcnt(58) lgkmcnt(0)
	v_mul_f64 v[195:196], v[7:8], v[197:198]
	ds_read_b128 v[1:4], v184 offset:1360
	v_mul_f64 v[191:192], v[5:6], v[197:198]
	s_waitcnt vmcnt(56)
	v_fma_f64 v[129:130], v[123:124], v[187:188], -v[129:130]
	v_add_f64 v[135:136], v[135:136], v[177:178]
	v_fma_f64 v[177:178], v[125:126], v[187:188], v[206:207]
	v_add_f64 v[127:128], v[127:128], v[171:172]
	s_clause 0x4
	buffer_load_dword v172, off, s[0:3], 0 offset:700
	buffer_load_dword v187, off, s[0:3], 0 offset:712
	;; [unrolled: 1-line block ×5, first 2 shown]
	ds_read_b128 v[123:126], v184 offset:1376
	s_waitcnt vmcnt(57) lgkmcnt(1)
	v_mul_f64 v[206:207], v[1:2], v[147:148]
	v_mul_f64 v[147:148], v[3:4], v[147:148]
	s_waitcnt vmcnt(56)
	v_fma_f64 v[195:196], v[5:6], v[202:203], -v[195:196]
	v_add_f64 v[129:130], v[135:136], v[129:130]
	v_fma_f64 v[135:136], v[7:8], v[202:203], v[191:192]
	v_add_f64 v[127:128], v[127:128], v[177:178]
	s_clause 0x2
	buffer_load_dword v188, off, s[0:3], 0 offset:716
	buffer_load_dword v178, off, s[0:3], 0 offset:692
	;; [unrolled: 1-line block ×3, first 2 shown]
	ds_read_b128 v[5:8], v184 offset:1392
	s_waitcnt vmcnt(58) lgkmcnt(1)
	v_mul_f64 v[191:192], v[123:124], v[189:190]
	v_mul_f64 v[189:190], v[125:126], v[189:190]
	s_waitcnt vmcnt(56)
	v_fma_f64 v[147:148], v[1:2], v[141:142], -v[147:148]
	v_fma_f64 v[141:142], v[3:4], v[141:142], v[206:207]
	v_add_f64 v[129:130], v[129:130], v[195:196]
	v_add_f64 v[127:128], v[127:128], v[135:136]
	s_clause 0x4
	buffer_load_dword v136, off, s[0:3], 0 offset:732
	buffer_load_dword v195, off, s[0:3], 0 offset:744
	;; [unrolled: 1-line block ×5, first 2 shown]
	ds_read_b128 v[1:4], v184 offset:1408
	s_waitcnt vmcnt(57) lgkmcnt(1)
	v_mul_f64 v[202:203], v[5:6], v[133:134]
	v_mul_f64 v[133:134], v[7:8], v[133:134]
	s_waitcnt vmcnt(56)
	v_fma_f64 v[189:190], v[123:124], v[204:205], -v[189:190]
	v_add_f64 v[129:130], v[129:130], v[147:148]
	v_fma_f64 v[147:148], v[125:126], v[204:205], v[191:192]
	v_add_f64 v[127:128], v[127:128], v[141:142]
	s_clause 0x2
	buffer_load_dword v196, off, s[0:3], 0 offset:748
	buffer_load_dword v142, off, s[0:3], 0 offset:724
	;; [unrolled: 1-line block ×3, first 2 shown]
	ds_read_b128 v[123:126], v184 offset:1424
	s_waitcnt vmcnt(58) lgkmcnt(1)
	v_mul_f64 v[191:192], v[1:2], v[151:152]
	v_mul_f64 v[151:152], v[3:4], v[151:152]
	s_waitcnt vmcnt(56)
	v_fma_f64 v[133:134], v[5:6], v[139:140], -v[133:134]
	v_fma_f64 v[139:140], v[7:8], v[139:140], v[202:203]
	v_add_f64 v[129:130], v[129:130], v[189:190]
	v_add_f64 v[127:128], v[127:128], v[147:148]
	s_clause 0x4
	buffer_load_dword v148, off, s[0:3], 0 offset:764
	buffer_load_dword v189, off, s[0:3], 0 offset:776
	;; [unrolled: 1-line block ×5, first 2 shown]
	ds_read_b128 v[5:8], v184 offset:1440
	s_waitcnt vmcnt(57) lgkmcnt(1)
	v_mul_f64 v[204:205], v[123:124], v[137:138]
	v_mul_f64 v[137:138], v[125:126], v[137:138]
	s_waitcnt vmcnt(56)
	v_fma_f64 v[151:152], v[1:2], v[199:200], -v[151:152]
	v_add_f64 v[129:130], v[129:130], v[133:134]
	v_fma_f64 v[133:134], v[3:4], v[199:200], v[191:192]
	v_add_f64 v[127:128], v[127:128], v[139:140]
	s_clause 0x2
	buffer_load_dword v190, off, s[0:3], 0 offset:780
	buffer_load_dword v140, off, s[0:3], 0 offset:756
	;; [unrolled: 1-line block ×3, first 2 shown]
	s_waitcnt vmcnt(58) lgkmcnt(0)
	v_mul_f64 v[191:192], v[5:6], v[159:160]
	v_mul_f64 v[159:160], v[7:8], v[159:160]
	ds_read_b128 v[1:4], v184 offset:1456
	s_waitcnt vmcnt(56)
	v_fma_f64 v[137:138], v[123:124], v[145:146], -v[137:138]
	v_fma_f64 v[145:146], v[125:126], v[145:146], v[204:205]
	v_add_f64 v[129:130], v[129:130], v[151:152]
	v_add_f64 v[127:128], v[127:128], v[133:134]
	s_clause 0x4
	buffer_load_dword v134, off, s[0:3], 0 offset:796
	buffer_load_dword v151, off, s[0:3], 0 offset:808
	;; [unrolled: 1-line block ×5, first 2 shown]
	ds_read_b128 v[123:126], v184 offset:1472
	s_waitcnt vmcnt(57) lgkmcnt(1)
	v_mul_f64 v[205:206], v[1:2], v[143:144]
	v_mul_f64 v[143:144], v[3:4], v[143:144]
	s_waitcnt vmcnt(56)
	v_fma_f64 v[159:160], v[5:6], v[185:186], -v[159:160]
	v_add_f64 v[129:130], v[129:130], v[137:138]
	v_fma_f64 v[137:138], v[7:8], v[185:186], v[191:192]
	v_add_f64 v[127:128], v[127:128], v[145:146]
	s_clause 0x2
	buffer_load_dword v152, off, s[0:3], 0 offset:812
	buffer_load_dword v146, off, s[0:3], 0 offset:788
	;; [unrolled: 1-line block ×3, first 2 shown]
	s_waitcnt vmcnt(58) lgkmcnt(0)
	v_mul_f64 v[185:186], v[123:124], v[165:166]
	v_mul_f64 v[165:166], v[125:126], v[165:166]
	ds_read_b128 v[5:8], v184 offset:1488
	s_waitcnt vmcnt(56)
	v_fma_f64 v[143:144], v[1:2], v[155:156], -v[143:144]
	v_fma_f64 v[155:156], v[3:4], v[155:156], v[205:206]
	v_add_f64 v[129:130], v[129:130], v[159:160]
	v_add_f64 v[127:128], v[127:128], v[137:138]
	s_clause 0x4
	buffer_load_dword v138, off, s[0:3], 0 offset:828
	buffer_load_dword v159, off, s[0:3], 0 offset:840
	buffer_load_dword v191, off, s[0:3], 0 offset:832
	buffer_load_dword v137, off, s[0:3], 0 offset:824
	buffer_load_dword v200, off, s[0:3], 0 offset:804
	ds_read_b128 v[1:4], v184 offset:1504
	s_waitcnt vmcnt(57) lgkmcnt(1)
	v_mul_f64 v[205:206], v[5:6], v[149:150]
	v_mul_f64 v[149:150], v[7:8], v[149:150]
	s_waitcnt vmcnt(56)
	v_fma_f64 v[165:166], v[123:124], v[167:168], -v[165:166]
	v_add_f64 v[129:130], v[129:130], v[143:144]
	v_fma_f64 v[143:144], v[125:126], v[167:168], v[185:186]
	v_add_f64 v[127:128], v[127:128], v[155:156]
	s_clause 0x2
	buffer_load_dword v160, off, s[0:3], 0 offset:844
	buffer_load_dword v156, off, s[0:3], 0 offset:820
	buffer_load_dword v155, off, s[0:3], 0 offset:816
	ds_read_b128 v[123:126], v184 offset:1520
	s_waitcnt vmcnt(58) lgkmcnt(1)
	v_mul_f64 v[167:168], v[1:2], v[173:174]
	v_mul_f64 v[173:174], v[3:4], v[173:174]
	s_waitcnt vmcnt(56)
	v_fma_f64 v[149:150], v[5:6], v[153:154], -v[149:150]
	v_fma_f64 v[153:154], v[7:8], v[153:154], v[205:206]
	v_add_f64 v[129:130], v[129:130], v[165:166]
	v_add_f64 v[127:128], v[127:128], v[143:144]
	s_clause 0x4
	buffer_load_dword v144, off, s[0:3], 0 offset:860
	buffer_load_dword v165, off, s[0:3], 0 offset:872
	buffer_load_dword v185, off, s[0:3], 0 offset:864
	buffer_load_dword v143, off, s[0:3], 0 offset:856
	buffer_load_dword v192, off, s[0:3], 0 offset:836
	ds_read_b128 v[5:8], v184 offset:1536
	s_waitcnt vmcnt(57) lgkmcnt(1)
	v_mul_f64 v[205:206], v[123:124], v[157:158]
	v_mul_f64 v[157:158], v[125:126], v[157:158]
	s_waitcnt vmcnt(56)
	v_fma_f64 v[173:174], v[1:2], v[175:176], -v[173:174]
	v_add_f64 v[129:130], v[129:130], v[149:150]
	v_fma_f64 v[149:150], v[3:4], v[175:176], v[167:168]
	v_add_f64 v[127:128], v[127:128], v[153:154]
	s_clause 0x2
	buffer_load_dword v166, off, s[0:3], 0 offset:876
	buffer_load_dword v154, off, s[0:3], 0 offset:852
	buffer_load_dword v153, off, s[0:3], 0 offset:848
	ds_read_b128 v[1:4], v184 offset:1552
	s_waitcnt vmcnt(58) lgkmcnt(1)
	v_mul_f64 v[175:176], v[7:8], v[179:180]
	v_mul_f64 v[167:168], v[5:6], v[179:180]
	s_waitcnt vmcnt(56)
	v_fma_f64 v[157:158], v[123:124], v[161:162], -v[157:158]
	v_fma_f64 v[161:162], v[125:126], v[161:162], v[205:206]
	v_add_f64 v[129:130], v[129:130], v[173:174]
	v_add_f64 v[127:128], v[127:128], v[149:150]
	s_clause 0x4
	buffer_load_dword v150, off, s[0:3], 0 offset:892
	buffer_load_dword v173, off, s[0:3], 0 offset:904
	buffer_load_dword v179, off, s[0:3], 0 offset:896
	buffer_load_dword v149, off, s[0:3], 0 offset:888
	buffer_load_dword v186, off, s[0:3], 0 offset:868
	ds_read_b128 v[123:126], v184 offset:1568
	s_waitcnt vmcnt(57) lgkmcnt(1)
	v_mul_f64 v[205:206], v[1:2], v[163:164]
	v_mul_f64 v[163:164], v[3:4], v[163:164]
	s_waitcnt vmcnt(56)
	v_fma_f64 v[175:176], v[5:6], v[181:182], -v[175:176]
	v_add_f64 v[129:130], v[129:130], v[157:158]
	v_fma_f64 v[157:158], v[7:8], v[181:182], v[167:168]
	v_add_f64 v[127:128], v[127:128], v[161:162]
	s_clause 0x2
	buffer_load_dword v174, off, s[0:3], 0 offset:908
	buffer_load_dword v162, off, s[0:3], 0 offset:884
	buffer_load_dword v161, off, s[0:3], 0 offset:880
	ds_read_b128 v[5:8], v184 offset:1584
	s_waitcnt vmcnt(58) lgkmcnt(1)
	v_mul_f64 v[167:168], v[123:124], v[169:170]
	v_mul_f64 v[169:170], v[125:126], v[169:170]
	s_waitcnt vmcnt(56)
	v_fma_f64 v[163:164], v[1:2], v[131:132], -v[163:164]
	v_fma_f64 v[131:132], v[3:4], v[131:132], v[205:206]
	v_add_f64 v[129:130], v[129:130], v[175:176]
	v_add_f64 v[127:128], v[127:128], v[157:158]
	s_clause 0x2
	buffer_load_dword v158, off, s[0:3], 0 offset:924
	buffer_load_dword v157, off, s[0:3], 0 offset:920
	;; [unrolled: 1-line block ×3, first 2 shown]
	ds_read_b128 v[1:4], v184 offset:1600
	s_waitcnt vmcnt(55) lgkmcnt(1)
	v_mul_f64 v[175:176], v[5:6], v[171:172]
	v_mul_f64 v[171:172], v[7:8], v[171:172]
	s_waitcnt vmcnt(54)
	v_fma_f64 v[169:170], v[123:124], v[193:194], -v[169:170]
	v_add_f64 v[129:130], v[129:130], v[163:164]
	v_fma_f64 v[163:164], v[125:126], v[193:194], v[167:168]
	v_add_f64 v[127:128], v[127:128], v[131:132]
	s_clause 0x1
	buffer_load_dword v132, off, s[0:3], 0 offset:916
	buffer_load_dword v131, off, s[0:3], 0 offset:912
	ds_read_b128 v[123:126], v184 offset:1616
	s_waitcnt vmcnt(55) lgkmcnt(1)
	v_mul_f64 v[181:182], v[3:4], v[187:188]
	v_mul_f64 v[167:168], v[1:2], v[187:188]
	s_waitcnt vmcnt(53)
	v_fma_f64 v[171:172], v[5:6], v[177:178], -v[171:172]
	v_add_f64 v[129:130], v[129:130], v[169:170]
	v_fma_f64 v[169:170], v[7:8], v[177:178], v[175:176]
	v_add_f64 v[127:128], v[127:128], v[163:164]
	ds_read_b128 v[5:8], v184 offset:1632
	s_waitcnt vmcnt(49) lgkmcnt(1)
	v_mul_f64 v[163:164], v[123:124], v[135:136]
	v_mul_f64 v[135:136], v[125:126], v[135:136]
	s_waitcnt vmcnt(48)
	v_fma_f64 v[175:176], v[1:2], v[197:198], -v[181:182]
	v_fma_f64 v[167:168], v[3:4], v[197:198], v[167:168]
	v_add_f64 v[129:130], v[129:130], v[171:172]
	v_add_f64 v[127:128], v[127:128], v[169:170]
	s_clause 0x3
	buffer_load_dword v169, off, s[0:3], 0 offset:144
	buffer_load_dword v170, off, s[0:3], 0 offset:148
	;; [unrolled: 1-line block ×4, first 2 shown]
	ds_read_b128 v[1:4], v184 offset:1648
	s_waitcnt vmcnt(51) lgkmcnt(1)
	v_mul_f64 v[181:182], v[7:8], v[195:196]
	v_mul_f64 v[177:178], v[5:6], v[195:196]
	s_waitcnt vmcnt(49)
	v_fma_f64 v[135:136], v[123:124], v[141:142], -v[135:136]
	v_fma_f64 v[141:142], v[125:126], v[141:142], v[163:164]
	ds_read_b128 v[123:126], v184 offset:1664
	v_add_f64 v[129:130], v[129:130], v[175:176]
	v_add_f64 v[127:128], v[127:128], v[167:168]
	s_waitcnt vmcnt(45) lgkmcnt(1)
	v_mul_f64 v[163:164], v[1:2], v[147:148]
	v_mul_f64 v[147:148], v[3:4], v[147:148]
	s_waitcnt vmcnt(44)
	v_fma_f64 v[167:168], v[5:6], v[201:202], -v[181:182]
	v_add_f64 v[129:130], v[129:130], v[135:136]
	v_fma_f64 v[135:136], v[7:8], v[201:202], v[177:178]
	v_add_f64 v[127:128], v[127:128], v[141:142]
	ds_read_b128 v[5:8], v184 offset:1680
	s_waitcnt vmcnt(43) lgkmcnt(1)
	v_mul_f64 v[175:176], v[125:126], v[189:190]
	v_mul_f64 v[141:142], v[123:124], v[189:190]
	s_waitcnt vmcnt(41)
	v_fma_f64 v[147:148], v[1:2], v[139:140], -v[147:148]
	v_fma_f64 v[139:140], v[3:4], v[139:140], v[163:164]
	ds_read_b128 v[1:4], v184 offset:1696
	v_add_f64 v[129:130], v[129:130], v[167:168]
	v_add_f64 v[127:128], v[127:128], v[135:136]
	s_waitcnt vmcnt(37) lgkmcnt(1)
	v_mul_f64 v[135:136], v[5:6], v[133:134]
	v_mul_f64 v[133:134], v[7:8], v[133:134]
	s_waitcnt vmcnt(36)
	v_fma_f64 v[163:164], v[123:124], v[203:204], -v[175:176]
	v_fma_f64 v[141:142], v[125:126], v[203:204], v[141:142]
	ds_read_b128 v[123:126], v184 offset:1712
	v_add_f64 v[129:130], v[129:130], v[147:148]
	v_add_f64 v[127:128], v[127:128], v[139:140]
	;; [unrolled: 9-line block ×3, first 2 shown]
	s_waitcnt vmcnt(29) lgkmcnt(1)
	v_mul_f64 v[141:142], v[123:124], v[137:138]
	v_mul_f64 v[137:138], v[125:126], v[137:138]
	s_waitcnt vmcnt(28)
	v_fma_f64 v[145:146], v[1:2], v[199:200], -v[147:148]
	v_add_f64 v[129:130], v[129:130], v[133:134]
	v_fma_f64 v[133:134], v[3:4], v[199:200], v[139:140]
	v_add_f64 v[127:128], v[127:128], v[135:136]
	ds_read_b128 v[1:4], v184 offset:1744
	s_waitcnt vmcnt(27) lgkmcnt(1)
	v_mul_f64 v[139:140], v[7:8], v[159:160]
	v_mul_f64 v[135:136], v[5:6], v[159:160]
	s_waitcnt vmcnt(25)
	v_fma_f64 v[137:138], v[123:124], v[155:156], -v[137:138]
	v_fma_f64 v[141:142], v[125:126], v[155:156], v[141:142]
	ds_read_b128 v[123:126], v184 offset:1760
	v_add_f64 v[129:130], v[129:130], v[145:146]
	v_add_f64 v[127:128], v[127:128], v[133:134]
	s_waitcnt vmcnt(21) lgkmcnt(1)
	v_mul_f64 v[133:134], v[1:2], v[143:144]
	v_mul_f64 v[143:144], v[3:4], v[143:144]
	s_waitcnt vmcnt(20)
	v_fma_f64 v[139:140], v[5:6], v[191:192], -v[139:140]
	v_fma_f64 v[135:136], v[7:8], v[191:192], v[135:136]
	ds_read_b128 v[5:8], v184 offset:1776
	v_add_f64 v[129:130], v[129:130], v[137:138]
	v_add_f64 v[127:128], v[127:128], v[141:142]
	;; [unrolled: 9-line block ×3, first 2 shown]
	s_waitcnt vmcnt(13) lgkmcnt(1)
	v_mul_f64 v[139:140], v[7:8], v[149:150]
	s_waitcnt vmcnt(12)
	v_fma_f64 v[141:142], v[123:124], v[185:186], -v[141:142]
	v_mul_f64 v[135:136], v[5:6], v[149:150]
	v_fma_f64 v[137:138], v[125:126], v[185:186], v[137:138]
	ds_read_b128 v[123:126], v184 offset:1808
	v_add_f64 v[129:130], v[129:130], v[143:144]
	v_add_f64 v[127:128], v[127:128], v[133:134]
	s_waitcnt vmcnt(11) lgkmcnt(1)
	v_mul_f64 v[143:144], v[3:4], v[173:174]
	v_mul_f64 v[133:134], v[1:2], v[173:174]
	s_waitcnt vmcnt(9)
	v_fma_f64 v[5:6], v[5:6], v[161:162], -v[139:140]
	v_fma_f64 v[7:8], v[7:8], v[161:162], v[135:136]
	v_add_f64 v[129:130], v[129:130], v[141:142]
	v_add_f64 v[127:128], v[127:128], v[137:138]
	s_waitcnt vmcnt(7) lgkmcnt(0)
	v_mul_f64 v[137:138], v[125:126], v[157:158]
	s_waitcnt vmcnt(6)
	v_fma_f64 v[1:2], v[1:2], v[179:180], -v[143:144]
	v_mul_f64 v[135:136], v[123:124], v[157:158]
	v_fma_f64 v[3:4], v[3:4], v[179:180], v[133:134]
	v_add_f64 v[5:6], v[129:130], v[5:6]
	v_add_f64 v[7:8], v[127:128], v[7:8]
	s_waitcnt vmcnt(4)
	v_fma_f64 v[123:124], v[123:124], v[131:132], -v[137:138]
	v_add_f64 v[1:2], v[5:6], v[1:2]
	v_fma_f64 v[5:6], v[125:126], v[131:132], v[135:136]
	v_add_f64 v[3:4], v[7:8], v[3:4]
	v_add_f64 v[1:2], v[1:2], v[123:124]
	;; [unrolled: 1-line block ×3, first 2 shown]
	s_waitcnt vmcnt(2)
	v_add_f64 v[1:2], v[169:170], -v[1:2]
	s_waitcnt vmcnt(0)
	v_add_f64 v[3:4], v[171:172], -v[3:4]
	buffer_store_dword v2, off, s[0:3], 0 offset:148
	buffer_store_dword v1, off, s[0:3], 0 offset:144
	;; [unrolled: 1-line block ×4, first 2 shown]
	v_cmpx_lt_u32_e32 7, v0
	s_cbranch_execz .LBB120_341
; %bb.340:
	v_mov_b32_e32 v4, s62
	v_mov_b32_e32 v5, 0
	s_clause 0x3
	buffer_load_dword v1, v4, s[0:3], 0 offen
	buffer_load_dword v2, v4, s[0:3], 0 offen offset:4
	buffer_load_dword v3, v4, s[0:3], 0 offen offset:8
	;; [unrolled: 1-line block ×3, first 2 shown]
	buffer_store_dword v5, off, s[0:3], 0 offset:128
	buffer_store_dword v5, off, s[0:3], 0 offset:132
	;; [unrolled: 1-line block ×4, first 2 shown]
	s_waitcnt vmcnt(0)
	ds_write_b128 v183, v[1:4]
.LBB120_341:
	s_or_b32 exec_lo, exec_lo, s4
	s_waitcnt lgkmcnt(0)
	s_waitcnt_vscnt null, 0x0
	s_barrier
	buffer_gl0_inv
	s_clause 0x37
	buffer_load_dword v131, off, s[0:3], 0 offset:152
	buffer_load_dword v132, off, s[0:3], 0 offset:156
	;; [unrolled: 1-line block ×56, first 2 shown]
	v_mov_b32_e32 v184, 0
	s_mov_b32 s4, exec_lo
	ds_read_b128 v[5:8], v184 offset:1040
	s_clause 0x2
	buffer_load_dword v180, off, s[0:3], 0 offset:380
	buffer_load_dword v182, off, s[0:3], 0 offset:356
	;; [unrolled: 1-line block ×3, first 2 shown]
	ds_read_b128 v[1:4], v184 offset:1056
	s_clause 0x4
	buffer_load_dword v192, off, s[0:3], 0 offset:396
	buffer_load_dword v193, off, s[0:3], 0 offset:408
	;; [unrolled: 1-line block ×5, first 2 shown]
	ds_read_b128 v[185:188], v184 offset:1072
	s_waitcnt vmcnt(62) lgkmcnt(2)
	v_mul_f64 v[189:190], v[7:8], v[131:132]
	v_mul_f64 v[131:132], v[5:6], v[131:132]
	s_waitcnt vmcnt(60) lgkmcnt(1)
	v_mul_f64 v[196:197], v[3:4], v[127:128]
	v_mul_f64 v[127:128], v[1:2], v[127:128]
	;; [unrolled: 3-line block ×3, first 2 shown]
	v_fma_f64 v[189:190], v[5:6], v[129:130], -v[189:190]
	v_fma_f64 v[129:130], v[7:8], v[129:130], v[131:132]
	s_clause 0x2
	buffer_load_dword v194, off, s[0:3], 0 offset:412
	buffer_load_dword v132, off, s[0:3], 0 offset:388
	buffer_load_dword v131, off, s[0:3], 0 offset:384
	s_waitcnt vmcnt(57)
	v_fma_f64 v[200:201], v[1:2], v[123:124], -v[196:197]
	ds_read_b128 v[5:8], v184 offset:1088
	v_fma_f64 v[123:124], v[3:4], v[123:124], v[127:128]
	s_waitcnt vmcnt(51)
	v_fma_f64 v[185:186], v[185:186], v[147:148], -v[125:126]
	v_fma_f64 v[147:148], v[187:188], v[147:148], v[198:199]
	v_add_f64 v[189:190], v[189:190], 0
	v_add_f64 v[127:128], v[129:130], 0
	s_clause 0x4
	buffer_load_dword v130, off, s[0:3], 0 offset:428
	buffer_load_dword v197, off, s[0:3], 0 offset:440
	;; [unrolled: 1-line block ×5, first 2 shown]
	s_waitcnt lgkmcnt(0)
	v_mul_f64 v[203:204], v[5:6], v[135:136]
	v_mul_f64 v[135:136], v[7:8], v[135:136]
	ds_read_b128 v[1:4], v184 offset:1104
	s_clause 0x2
	buffer_load_dword v198, off, s[0:3], 0 offset:444
	buffer_load_dword v188, off, s[0:3], 0 offset:420
	;; [unrolled: 1-line block ×3, first 2 shown]
	v_add_f64 v[189:190], v[189:190], v[200:201]
	v_add_f64 v[127:128], v[127:128], v[123:124]
	ds_read_b128 v[123:126], v184 offset:1120
	s_waitcnt vmcnt(58) lgkmcnt(1)
	v_mul_f64 v[199:200], v[1:2], v[139:140]
	v_mul_f64 v[139:140], v[3:4], v[139:140]
	s_waitcnt vmcnt(56)
	v_fma_f64 v[135:136], v[5:6], v[141:142], -v[135:136]
	v_fma_f64 v[141:142], v[7:8], v[141:142], v[203:204]
	s_waitcnt vmcnt(52) lgkmcnt(0)
	v_mul_f64 v[205:206], v[123:124], v[143:144]
	v_add_f64 v[185:186], v[189:190], v[185:186]
	v_add_f64 v[127:128], v[127:128], v[147:148]
	s_clause 0x4
	buffer_load_dword v148, off, s[0:3], 0 offset:460
	buffer_load_dword v189, off, s[0:3], 0 offset:472
	;; [unrolled: 1-line block ×5, first 2 shown]
	v_mul_f64 v[143:144], v[125:126], v[143:144]
	s_waitcnt vmcnt(56)
	v_fma_f64 v[139:140], v[1:2], v[133:134], -v[139:140]
	ds_read_b128 v[5:8], v184 offset:1136
	v_fma_f64 v[133:134], v[3:4], v[133:134], v[199:200]
	v_add_f64 v[135:136], v[185:186], v[135:136]
	v_add_f64 v[127:128], v[127:128], v[141:142]
	s_clause 0x2
	buffer_load_dword v190, off, s[0:3], 0 offset:476
	buffer_load_dword v142, off, s[0:3], 0 offset:452
	;; [unrolled: 1-line block ×3, first 2 shown]
	s_waitcnt vmcnt(58) lgkmcnt(0)
	v_mul_f64 v[185:186], v[5:6], v[149:150]
	v_mul_f64 v[149:150], v[7:8], v[149:150]
	s_waitcnt vmcnt(56)
	v_fma_f64 v[143:144], v[123:124], v[151:152], -v[143:144]
	ds_read_b128 v[1:4], v184 offset:1152
	v_add_f64 v[135:136], v[135:136], v[139:140]
	v_fma_f64 v[139:140], v[125:126], v[151:152], v[205:206]
	v_add_f64 v[127:128], v[127:128], v[133:134]
	s_clause 0x4
	buffer_load_dword v134, off, s[0:3], 0 offset:492
	buffer_load_dword v151, off, s[0:3], 0 offset:504
	;; [unrolled: 1-line block ×5, first 2 shown]
	s_waitcnt vmcnt(57) lgkmcnt(0)
	v_mul_f64 v[200:201], v[1:2], v[153:154]
	v_mul_f64 v[153:154], v[3:4], v[153:154]
	s_waitcnt vmcnt(56)
	v_fma_f64 v[149:150], v[5:6], v[137:138], -v[149:150]
	ds_read_b128 v[123:126], v184 offset:1168
	v_fma_f64 v[137:138], v[7:8], v[137:138], v[185:186]
	v_add_f64 v[135:136], v[135:136], v[143:144]
	v_add_f64 v[127:128], v[127:128], v[139:140]
	s_clause 0x2
	buffer_load_dword v152, off, s[0:3], 0 offset:508
	buffer_load_dword v140, off, s[0:3], 0 offset:484
	buffer_load_dword v139, off, s[0:3], 0 offset:480
	ds_read_b128 v[5:8], v184 offset:1184
	s_waitcnt vmcnt(58) lgkmcnt(1)
	v_mul_f64 v[143:144], v[123:124], v[157:158]
	v_mul_f64 v[157:158], v[125:126], v[157:158]
	s_waitcnt vmcnt(56)
	v_fma_f64 v[153:154], v[1:2], v[159:160], -v[153:154]
	v_add_f64 v[135:136], v[135:136], v[149:150]
	v_fma_f64 v[149:150], v[3:4], v[159:160], v[200:201]
	v_add_f64 v[127:128], v[127:128], v[137:138]
	s_clause 0x4
	buffer_load_dword v138, off, s[0:3], 0 offset:524
	buffer_load_dword v159, off, s[0:3], 0 offset:536
	;; [unrolled: 1-line block ×5, first 2 shown]
	s_waitcnt vmcnt(57) lgkmcnt(0)
	v_mul_f64 v[206:207], v[5:6], v[161:162]
	v_mul_f64 v[161:162], v[7:8], v[161:162]
	s_waitcnt vmcnt(56)
	v_fma_f64 v[157:158], v[123:124], v[145:146], -v[157:158]
	ds_read_b128 v[1:4], v184 offset:1200
	v_fma_f64 v[143:144], v[125:126], v[145:146], v[143:144]
	s_clause 0x2
	buffer_load_dword v160, off, s[0:3], 0 offset:540
	buffer_load_dword v146, off, s[0:3], 0 offset:516
	;; [unrolled: 1-line block ×3, first 2 shown]
	ds_read_b128 v[123:126], v184 offset:1216
	v_add_f64 v[135:136], v[135:136], v[153:154]
	v_add_f64 v[127:128], v[127:128], v[149:150]
	s_waitcnt vmcnt(58) lgkmcnt(1)
	v_mul_f64 v[153:154], v[3:4], v[165:166]
	s_waitcnt vmcnt(56)
	v_fma_f64 v[161:162], v[5:6], v[167:168], -v[161:162]
	v_mul_f64 v[149:150], v[1:2], v[165:166]
	v_add_f64 v[135:136], v[135:136], v[157:158]
	v_fma_f64 v[157:158], v[7:8], v[167:168], v[206:207]
	v_add_f64 v[127:128], v[127:128], v[143:144]
	s_clause 0x4
	buffer_load_dword v144, off, s[0:3], 0 offset:556
	buffer_load_dword v165, off, s[0:3], 0 offset:568
	;; [unrolled: 1-line block ×5, first 2 shown]
	s_waitcnt vmcnt(57) lgkmcnt(0)
	v_mul_f64 v[206:207], v[123:124], v[169:170]
	v_mul_f64 v[168:169], v[125:126], v[169:170]
	s_waitcnt vmcnt(56)
	v_fma_f64 v[153:154], v[1:2], v[155:156], -v[153:154]
	ds_read_b128 v[5:8], v184 offset:1232
	v_fma_f64 v[149:150], v[3:4], v[155:156], v[149:150]
	s_clause 0x2
	buffer_load_dword v166, off, s[0:3], 0 offset:572
	buffer_load_dword v156, off, s[0:3], 0 offset:548
	;; [unrolled: 1-line block ×3, first 2 shown]
	ds_read_b128 v[1:4], v184 offset:1248
	v_add_f64 v[135:136], v[135:136], v[161:162]
	v_add_f64 v[127:128], v[127:128], v[157:158]
	s_waitcnt vmcnt(58) lgkmcnt(1)
	v_mul_f64 v[161:162], v[7:8], v[173:174]
	s_waitcnt vmcnt(56)
	v_fma_f64 v[169:170], v[123:124], v[175:176], -v[168:169]
	v_mul_f64 v[157:158], v[5:6], v[173:174]
	v_add_f64 v[135:136], v[135:136], v[153:154]
	v_fma_f64 v[153:154], v[125:126], v[175:176], v[206:207]
	v_add_f64 v[127:128], v[127:128], v[149:150]
	s_clause 0x4
	buffer_load_dword v150, off, s[0:3], 0 offset:588
	buffer_load_dword v173, off, s[0:3], 0 offset:600
	buffer_load_dword v175, off, s[0:3], 0 offset:592
	buffer_load_dword v149, off, s[0:3], 0 offset:584
	buffer_load_dword v168, off, s[0:3], 0 offset:564
	s_waitcnt vmcnt(57) lgkmcnt(0)
	v_mul_f64 v[206:207], v[1:2], v[177:178]
	v_mul_f64 v[176:177], v[3:4], v[177:178]
	s_waitcnt vmcnt(56)
	v_fma_f64 v[161:162], v[5:6], v[163:164], -v[161:162]
	ds_read_b128 v[123:126], v184 offset:1264
	v_fma_f64 v[157:158], v[7:8], v[163:164], v[157:158]
	v_add_f64 v[135:136], v[135:136], v[169:170]
	v_add_f64 v[127:128], v[127:128], v[153:154]
	s_clause 0x2
	buffer_load_dword v174, off, s[0:3], 0 offset:604
	buffer_load_dword v154, off, s[0:3], 0 offset:580
	;; [unrolled: 1-line block ×3, first 2 shown]
	ds_read_b128 v[5:8], v184 offset:1280
	s_waitcnt vmcnt(58) lgkmcnt(1)
	v_mul_f64 v[169:170], v[125:126], v[179:180]
	s_waitcnt vmcnt(56)
	v_fma_f64 v[177:178], v[1:2], v[181:182], -v[176:177]
	v_mul_f64 v[163:164], v[123:124], v[179:180]
	v_add_f64 v[135:136], v[135:136], v[161:162]
	v_fma_f64 v[161:162], v[3:4], v[181:182], v[206:207]
	v_add_f64 v[127:128], v[127:128], v[157:158]
	s_clause 0x4
	buffer_load_dword v158, off, s[0:3], 0 offset:620
	buffer_load_dword v179, off, s[0:3], 0 offset:632
	buffer_load_dword v181, off, s[0:3], 0 offset:624
	buffer_load_dword v157, off, s[0:3], 0 offset:616
	buffer_load_dword v176, off, s[0:3], 0 offset:596
	s_waitcnt vmcnt(57) lgkmcnt(0)
	v_mul_f64 v[206:207], v[5:6], v[191:192]
	v_mul_f64 v[191:192], v[7:8], v[191:192]
	s_waitcnt vmcnt(56)
	v_fma_f64 v[169:170], v[123:124], v[171:172], -v[169:170]
	ds_read_b128 v[1:4], v184 offset:1296
	v_fma_f64 v[163:164], v[125:126], v[171:172], v[163:164]
	v_add_f64 v[135:136], v[135:136], v[177:178]
	v_add_f64 v[127:128], v[127:128], v[161:162]
	s_clause 0x2
	buffer_load_dword v180, off, s[0:3], 0 offset:636
	buffer_load_dword v162, off, s[0:3], 0 offset:612
	;; [unrolled: 1-line block ×3, first 2 shown]
	ds_read_b128 v[123:126], v184 offset:1312
	s_waitcnt vmcnt(58) lgkmcnt(1)
	v_mul_f64 v[177:178], v[3:4], v[193:194]
	v_mul_f64 v[171:172], v[1:2], v[193:194]
	s_waitcnt vmcnt(56)
	v_fma_f64 v[191:192], v[5:6], v[131:132], -v[191:192]
	v_fma_f64 v[131:132], v[7:8], v[131:132], v[206:207]
	v_add_f64 v[135:136], v[135:136], v[169:170]
	v_add_f64 v[127:128], v[127:128], v[163:164]
	s_clause 0x4
	buffer_load_dword v164, off, s[0:3], 0 offset:652
	buffer_load_dword v169, off, s[0:3], 0 offset:664
	;; [unrolled: 1-line block ×5, first 2 shown]
	ds_read_b128 v[5:8], v184 offset:1328
	s_waitcnt vmcnt(57) lgkmcnt(1)
	v_mul_f64 v[206:207], v[123:124], v[129:130]
	v_mul_f64 v[129:130], v[125:126], v[129:130]
	s_waitcnt vmcnt(56)
	v_fma_f64 v[177:178], v[1:2], v[195:196], -v[177:178]
	v_fma_f64 v[171:172], v[3:4], v[195:196], v[171:172]
	v_add_f64 v[135:136], v[135:136], v[191:192]
	v_add_f64 v[127:128], v[127:128], v[131:132]
	s_clause 0x2
	buffer_load_dword v170, off, s[0:3], 0 offset:668
	buffer_load_dword v132, off, s[0:3], 0 offset:644
	;; [unrolled: 1-line block ×3, first 2 shown]
	s_waitcnt vmcnt(58) lgkmcnt(0)
	v_mul_f64 v[195:196], v[7:8], v[197:198]
	ds_read_b128 v[1:4], v184 offset:1344
	v_mul_f64 v[191:192], v[5:6], v[197:198]
	s_waitcnt vmcnt(56)
	v_fma_f64 v[129:130], v[123:124], v[187:188], -v[129:130]
	v_add_f64 v[135:136], v[135:136], v[177:178]
	v_fma_f64 v[177:178], v[125:126], v[187:188], v[206:207]
	v_add_f64 v[127:128], v[127:128], v[171:172]
	s_clause 0x4
	buffer_load_dword v172, off, s[0:3], 0 offset:684
	buffer_load_dword v187, off, s[0:3], 0 offset:696
	;; [unrolled: 1-line block ×5, first 2 shown]
	ds_read_b128 v[123:126], v184 offset:1360
	s_waitcnt vmcnt(57) lgkmcnt(1)
	v_mul_f64 v[206:207], v[1:2], v[147:148]
	v_mul_f64 v[147:148], v[3:4], v[147:148]
	s_waitcnt vmcnt(56)
	v_fma_f64 v[195:196], v[5:6], v[202:203], -v[195:196]
	v_add_f64 v[129:130], v[135:136], v[129:130]
	v_fma_f64 v[135:136], v[7:8], v[202:203], v[191:192]
	v_add_f64 v[127:128], v[127:128], v[177:178]
	s_clause 0x2
	buffer_load_dword v188, off, s[0:3], 0 offset:700
	buffer_load_dword v178, off, s[0:3], 0 offset:676
	;; [unrolled: 1-line block ×3, first 2 shown]
	ds_read_b128 v[5:8], v184 offset:1376
	s_waitcnt vmcnt(58) lgkmcnt(1)
	v_mul_f64 v[191:192], v[123:124], v[189:190]
	v_mul_f64 v[189:190], v[125:126], v[189:190]
	s_waitcnt vmcnt(56)
	v_fma_f64 v[147:148], v[1:2], v[141:142], -v[147:148]
	v_fma_f64 v[141:142], v[3:4], v[141:142], v[206:207]
	v_add_f64 v[129:130], v[129:130], v[195:196]
	v_add_f64 v[127:128], v[127:128], v[135:136]
	s_clause 0x4
	buffer_load_dword v136, off, s[0:3], 0 offset:716
	buffer_load_dword v195, off, s[0:3], 0 offset:728
	;; [unrolled: 1-line block ×5, first 2 shown]
	ds_read_b128 v[1:4], v184 offset:1392
	s_waitcnt vmcnt(57) lgkmcnt(1)
	v_mul_f64 v[202:203], v[5:6], v[133:134]
	v_mul_f64 v[133:134], v[7:8], v[133:134]
	s_waitcnt vmcnt(56)
	v_fma_f64 v[189:190], v[123:124], v[204:205], -v[189:190]
	v_add_f64 v[129:130], v[129:130], v[147:148]
	v_fma_f64 v[147:148], v[125:126], v[204:205], v[191:192]
	v_add_f64 v[127:128], v[127:128], v[141:142]
	s_clause 0x2
	buffer_load_dword v196, off, s[0:3], 0 offset:732
	buffer_load_dword v142, off, s[0:3], 0 offset:708
	;; [unrolled: 1-line block ×3, first 2 shown]
	ds_read_b128 v[123:126], v184 offset:1408
	s_waitcnt vmcnt(58) lgkmcnt(1)
	v_mul_f64 v[191:192], v[1:2], v[151:152]
	v_mul_f64 v[151:152], v[3:4], v[151:152]
	s_waitcnt vmcnt(56)
	v_fma_f64 v[133:134], v[5:6], v[139:140], -v[133:134]
	v_fma_f64 v[139:140], v[7:8], v[139:140], v[202:203]
	v_add_f64 v[129:130], v[129:130], v[189:190]
	v_add_f64 v[127:128], v[127:128], v[147:148]
	s_clause 0x4
	buffer_load_dword v148, off, s[0:3], 0 offset:748
	buffer_load_dword v189, off, s[0:3], 0 offset:760
	;; [unrolled: 1-line block ×5, first 2 shown]
	ds_read_b128 v[5:8], v184 offset:1424
	s_waitcnt vmcnt(57) lgkmcnt(1)
	v_mul_f64 v[204:205], v[123:124], v[137:138]
	v_mul_f64 v[137:138], v[125:126], v[137:138]
	s_waitcnt vmcnt(56)
	v_fma_f64 v[151:152], v[1:2], v[199:200], -v[151:152]
	v_add_f64 v[129:130], v[129:130], v[133:134]
	v_fma_f64 v[133:134], v[3:4], v[199:200], v[191:192]
	v_add_f64 v[127:128], v[127:128], v[139:140]
	s_clause 0x2
	buffer_load_dword v190, off, s[0:3], 0 offset:764
	buffer_load_dword v140, off, s[0:3], 0 offset:740
	buffer_load_dword v139, off, s[0:3], 0 offset:736
	s_waitcnt vmcnt(58) lgkmcnt(0)
	v_mul_f64 v[191:192], v[5:6], v[159:160]
	v_mul_f64 v[159:160], v[7:8], v[159:160]
	ds_read_b128 v[1:4], v184 offset:1440
	s_waitcnt vmcnt(56)
	v_fma_f64 v[137:138], v[123:124], v[145:146], -v[137:138]
	v_fma_f64 v[145:146], v[125:126], v[145:146], v[204:205]
	v_add_f64 v[129:130], v[129:130], v[151:152]
	v_add_f64 v[127:128], v[127:128], v[133:134]
	s_clause 0x4
	buffer_load_dword v134, off, s[0:3], 0 offset:780
	buffer_load_dword v151, off, s[0:3], 0 offset:792
	;; [unrolled: 1-line block ×5, first 2 shown]
	ds_read_b128 v[123:126], v184 offset:1456
	s_waitcnt vmcnt(57) lgkmcnt(1)
	v_mul_f64 v[205:206], v[1:2], v[143:144]
	v_mul_f64 v[143:144], v[3:4], v[143:144]
	s_waitcnt vmcnt(56)
	v_fma_f64 v[159:160], v[5:6], v[185:186], -v[159:160]
	v_add_f64 v[129:130], v[129:130], v[137:138]
	v_fma_f64 v[137:138], v[7:8], v[185:186], v[191:192]
	v_add_f64 v[127:128], v[127:128], v[145:146]
	s_clause 0x2
	buffer_load_dword v152, off, s[0:3], 0 offset:796
	buffer_load_dword v146, off, s[0:3], 0 offset:772
	;; [unrolled: 1-line block ×3, first 2 shown]
	s_waitcnt vmcnt(58) lgkmcnt(0)
	v_mul_f64 v[185:186], v[123:124], v[165:166]
	v_mul_f64 v[165:166], v[125:126], v[165:166]
	ds_read_b128 v[5:8], v184 offset:1472
	s_waitcnt vmcnt(56)
	v_fma_f64 v[143:144], v[1:2], v[155:156], -v[143:144]
	v_fma_f64 v[155:156], v[3:4], v[155:156], v[205:206]
	v_add_f64 v[129:130], v[129:130], v[159:160]
	v_add_f64 v[127:128], v[127:128], v[137:138]
	s_clause 0x4
	buffer_load_dword v138, off, s[0:3], 0 offset:812
	buffer_load_dword v159, off, s[0:3], 0 offset:824
	buffer_load_dword v191, off, s[0:3], 0 offset:816
	buffer_load_dword v137, off, s[0:3], 0 offset:808
	buffer_load_dword v200, off, s[0:3], 0 offset:788
	ds_read_b128 v[1:4], v184 offset:1488
	s_waitcnt vmcnt(57) lgkmcnt(1)
	v_mul_f64 v[205:206], v[5:6], v[149:150]
	v_mul_f64 v[149:150], v[7:8], v[149:150]
	s_waitcnt vmcnt(56)
	v_fma_f64 v[165:166], v[123:124], v[167:168], -v[165:166]
	v_add_f64 v[129:130], v[129:130], v[143:144]
	v_fma_f64 v[143:144], v[125:126], v[167:168], v[185:186]
	v_add_f64 v[127:128], v[127:128], v[155:156]
	s_clause 0x2
	buffer_load_dword v160, off, s[0:3], 0 offset:828
	buffer_load_dword v156, off, s[0:3], 0 offset:804
	buffer_load_dword v155, off, s[0:3], 0 offset:800
	ds_read_b128 v[123:126], v184 offset:1504
	s_waitcnt vmcnt(58) lgkmcnt(1)
	v_mul_f64 v[167:168], v[1:2], v[173:174]
	v_mul_f64 v[173:174], v[3:4], v[173:174]
	s_waitcnt vmcnt(56)
	v_fma_f64 v[149:150], v[5:6], v[153:154], -v[149:150]
	v_fma_f64 v[153:154], v[7:8], v[153:154], v[205:206]
	v_add_f64 v[129:130], v[129:130], v[165:166]
	v_add_f64 v[127:128], v[127:128], v[143:144]
	s_clause 0x4
	buffer_load_dword v144, off, s[0:3], 0 offset:844
	buffer_load_dword v165, off, s[0:3], 0 offset:856
	buffer_load_dword v185, off, s[0:3], 0 offset:848
	buffer_load_dword v143, off, s[0:3], 0 offset:840
	buffer_load_dword v192, off, s[0:3], 0 offset:820
	ds_read_b128 v[5:8], v184 offset:1520
	s_waitcnt vmcnt(57) lgkmcnt(1)
	v_mul_f64 v[205:206], v[123:124], v[157:158]
	v_mul_f64 v[157:158], v[125:126], v[157:158]
	s_waitcnt vmcnt(56)
	v_fma_f64 v[173:174], v[1:2], v[175:176], -v[173:174]
	v_add_f64 v[129:130], v[129:130], v[149:150]
	v_fma_f64 v[149:150], v[3:4], v[175:176], v[167:168]
	v_add_f64 v[127:128], v[127:128], v[153:154]
	s_clause 0x2
	buffer_load_dword v166, off, s[0:3], 0 offset:860
	buffer_load_dword v154, off, s[0:3], 0 offset:836
	buffer_load_dword v153, off, s[0:3], 0 offset:832
	ds_read_b128 v[1:4], v184 offset:1536
	s_waitcnt vmcnt(58) lgkmcnt(1)
	v_mul_f64 v[175:176], v[7:8], v[179:180]
	v_mul_f64 v[167:168], v[5:6], v[179:180]
	s_waitcnt vmcnt(56)
	v_fma_f64 v[157:158], v[123:124], v[161:162], -v[157:158]
	v_fma_f64 v[161:162], v[125:126], v[161:162], v[205:206]
	v_add_f64 v[129:130], v[129:130], v[173:174]
	v_add_f64 v[127:128], v[127:128], v[149:150]
	s_clause 0x4
	buffer_load_dword v150, off, s[0:3], 0 offset:876
	buffer_load_dword v173, off, s[0:3], 0 offset:888
	buffer_load_dword v179, off, s[0:3], 0 offset:880
	buffer_load_dword v149, off, s[0:3], 0 offset:872
	buffer_load_dword v186, off, s[0:3], 0 offset:852
	ds_read_b128 v[123:126], v184 offset:1552
	s_waitcnt vmcnt(57) lgkmcnt(1)
	v_mul_f64 v[205:206], v[1:2], v[163:164]
	v_mul_f64 v[163:164], v[3:4], v[163:164]
	s_waitcnt vmcnt(56)
	v_fma_f64 v[175:176], v[5:6], v[181:182], -v[175:176]
	v_add_f64 v[129:130], v[129:130], v[157:158]
	v_fma_f64 v[157:158], v[7:8], v[181:182], v[167:168]
	v_add_f64 v[127:128], v[127:128], v[161:162]
	s_clause 0x2
	buffer_load_dword v174, off, s[0:3], 0 offset:892
	buffer_load_dword v162, off, s[0:3], 0 offset:868
	buffer_load_dword v161, off, s[0:3], 0 offset:864
	ds_read_b128 v[5:8], v184 offset:1568
	s_waitcnt vmcnt(58) lgkmcnt(1)
	v_mul_f64 v[167:168], v[123:124], v[169:170]
	v_mul_f64 v[169:170], v[125:126], v[169:170]
	s_waitcnt vmcnt(56)
	v_fma_f64 v[163:164], v[1:2], v[131:132], -v[163:164]
	v_fma_f64 v[131:132], v[3:4], v[131:132], v[205:206]
	v_add_f64 v[129:130], v[129:130], v[175:176]
	v_add_f64 v[127:128], v[127:128], v[157:158]
	s_clause 0x4
	buffer_load_dword v158, off, s[0:3], 0 offset:908
	buffer_load_dword v175, off, s[0:3], 0 offset:920
	;; [unrolled: 1-line block ×5, first 2 shown]
	ds_read_b128 v[1:4], v184 offset:1584
	s_waitcnt vmcnt(57) lgkmcnt(1)
	v_mul_f64 v[205:206], v[5:6], v[171:172]
	v_mul_f64 v[171:172], v[7:8], v[171:172]
	s_waitcnt vmcnt(56)
	v_fma_f64 v[169:170], v[123:124], v[193:194], -v[169:170]
	v_add_f64 v[129:130], v[129:130], v[163:164]
	v_fma_f64 v[163:164], v[125:126], v[193:194], v[167:168]
	v_add_f64 v[127:128], v[127:128], v[131:132]
	s_clause 0x2
	buffer_load_dword v176, off, s[0:3], 0 offset:924
	buffer_load_dword v132, off, s[0:3], 0 offset:900
	;; [unrolled: 1-line block ×3, first 2 shown]
	ds_read_b128 v[123:126], v184 offset:1600
	buffer_load_dword v182, off, s[0:3], 0 offset:916
	s_waitcnt vmcnt(59) lgkmcnt(1)
	v_mul_f64 v[167:168], v[1:2], v[187:188]
	v_mul_f64 v[187:188], v[3:4], v[187:188]
	s_waitcnt vmcnt(57)
	v_fma_f64 v[171:172], v[5:6], v[177:178], -v[171:172]
	v_add_f64 v[129:130], v[129:130], v[169:170]
	v_fma_f64 v[169:170], v[7:8], v[177:178], v[205:206]
	v_add_f64 v[127:128], v[127:128], v[163:164]
	ds_read_b128 v[5:8], v184 offset:1616
	s_waitcnt vmcnt(53) lgkmcnt(1)
	v_mul_f64 v[163:164], v[123:124], v[135:136]
	v_mul_f64 v[135:136], v[125:126], v[135:136]
	s_waitcnt vmcnt(52)
	v_fma_f64 v[177:178], v[1:2], v[197:198], -v[187:188]
	v_fma_f64 v[167:168], v[3:4], v[197:198], v[167:168]
	ds_read_b128 v[1:4], v184 offset:1632
	v_add_f64 v[129:130], v[129:130], v[171:172]
	v_add_f64 v[127:128], v[127:128], v[169:170]
	s_waitcnt vmcnt(51) lgkmcnt(1)
	v_mul_f64 v[171:172], v[7:8], v[195:196]
	v_mul_f64 v[169:170], v[5:6], v[195:196]
	s_waitcnt vmcnt(49)
	v_fma_f64 v[135:136], v[123:124], v[141:142], -v[135:136]
	v_fma_f64 v[141:142], v[125:126], v[141:142], v[163:164]
	v_add_f64 v[129:130], v[129:130], v[177:178]
	v_add_f64 v[127:128], v[127:128], v[167:168]
	s_clause 0x3
	buffer_load_dword v163, off, s[0:3], 0 offset:128
	buffer_load_dword v164, off, s[0:3], 0 offset:132
	buffer_load_dword v167, off, s[0:3], 0 offset:136
	buffer_load_dword v168, off, s[0:3], 0 offset:140
	ds_read_b128 v[123:126], v184 offset:1648
	s_waitcnt vmcnt(49) lgkmcnt(1)
	v_mul_f64 v[177:178], v[1:2], v[147:148]
	v_mul_f64 v[147:148], v[3:4], v[147:148]
	s_waitcnt vmcnt(48)
	v_fma_f64 v[171:172], v[5:6], v[201:202], -v[171:172]
	v_add_f64 v[129:130], v[129:130], v[135:136]
	v_fma_f64 v[135:136], v[7:8], v[201:202], v[169:170]
	v_add_f64 v[127:128], v[127:128], v[141:142]
	ds_read_b128 v[5:8], v184 offset:1664
	s_waitcnt vmcnt(47) lgkmcnt(1)
	v_mul_f64 v[169:170], v[125:126], v[189:190]
	v_mul_f64 v[141:142], v[123:124], v[189:190]
	s_waitcnt vmcnt(45)
	v_fma_f64 v[147:148], v[1:2], v[139:140], -v[147:148]
	v_fma_f64 v[139:140], v[3:4], v[139:140], v[177:178]
	ds_read_b128 v[1:4], v184 offset:1680
	v_add_f64 v[129:130], v[129:130], v[171:172]
	v_add_f64 v[127:128], v[127:128], v[135:136]
	s_waitcnt vmcnt(41) lgkmcnt(1)
	v_mul_f64 v[135:136], v[5:6], v[133:134]
	v_mul_f64 v[133:134], v[7:8], v[133:134]
	s_waitcnt vmcnt(40)
	v_fma_f64 v[169:170], v[123:124], v[203:204], -v[169:170]
	v_fma_f64 v[141:142], v[125:126], v[203:204], v[141:142]
	ds_read_b128 v[123:126], v184 offset:1696
	v_add_f64 v[129:130], v[129:130], v[147:148]
	v_add_f64 v[127:128], v[127:128], v[139:140]
	;; [unrolled: 9-line block ×3, first 2 shown]
	s_waitcnt vmcnt(33) lgkmcnt(1)
	v_mul_f64 v[141:142], v[123:124], v[137:138]
	v_mul_f64 v[137:138], v[125:126], v[137:138]
	s_waitcnt vmcnt(32)
	v_fma_f64 v[145:146], v[1:2], v[199:200], -v[147:148]
	v_add_f64 v[129:130], v[129:130], v[133:134]
	v_fma_f64 v[133:134], v[3:4], v[199:200], v[139:140]
	v_add_f64 v[127:128], v[127:128], v[135:136]
	ds_read_b128 v[1:4], v184 offset:1728
	s_waitcnt vmcnt(31) lgkmcnt(1)
	v_mul_f64 v[139:140], v[7:8], v[159:160]
	v_mul_f64 v[135:136], v[5:6], v[159:160]
	s_waitcnt vmcnt(29)
	v_fma_f64 v[137:138], v[123:124], v[155:156], -v[137:138]
	v_fma_f64 v[141:142], v[125:126], v[155:156], v[141:142]
	ds_read_b128 v[123:126], v184 offset:1744
	v_add_f64 v[129:130], v[129:130], v[145:146]
	v_add_f64 v[127:128], v[127:128], v[133:134]
	s_waitcnt vmcnt(25) lgkmcnt(1)
	v_mul_f64 v[133:134], v[1:2], v[143:144]
	v_mul_f64 v[143:144], v[3:4], v[143:144]
	s_waitcnt vmcnt(24)
	v_fma_f64 v[139:140], v[5:6], v[191:192], -v[139:140]
	v_fma_f64 v[135:136], v[7:8], v[191:192], v[135:136]
	ds_read_b128 v[5:8], v184 offset:1760
	v_add_f64 v[129:130], v[129:130], v[137:138]
	v_add_f64 v[127:128], v[127:128], v[141:142]
	;; [unrolled: 9-line block ×3, first 2 shown]
	s_waitcnt vmcnt(17) lgkmcnt(1)
	v_mul_f64 v[139:140], v[7:8], v[149:150]
	s_waitcnt vmcnt(16)
	v_fma_f64 v[141:142], v[123:124], v[185:186], -v[141:142]
	v_mul_f64 v[135:136], v[5:6], v[149:150]
	v_fma_f64 v[137:138], v[125:126], v[185:186], v[137:138]
	ds_read_b128 v[123:126], v184 offset:1792
	v_add_f64 v[129:130], v[129:130], v[143:144]
	v_add_f64 v[127:128], v[127:128], v[133:134]
	s_waitcnt vmcnt(15) lgkmcnt(1)
	v_mul_f64 v[143:144], v[3:4], v[173:174]
	v_mul_f64 v[133:134], v[1:2], v[173:174]
	s_waitcnt vmcnt(13)
	v_fma_f64 v[139:140], v[5:6], v[161:162], -v[139:140]
	v_fma_f64 v[135:136], v[7:8], v[161:162], v[135:136]
	ds_read_b128 v[5:8], v184 offset:1808
	v_add_f64 v[129:130], v[129:130], v[141:142]
	v_add_f64 v[127:128], v[127:128], v[137:138]
	s_waitcnt vmcnt(9) lgkmcnt(1)
	v_mul_f64 v[141:142], v[125:126], v[157:158]
	s_waitcnt vmcnt(8)
	v_fma_f64 v[1:2], v[1:2], v[179:180], -v[143:144]
	v_mul_f64 v[137:138], v[123:124], v[157:158]
	v_fma_f64 v[3:4], v[3:4], v[179:180], v[133:134]
	v_add_f64 v[129:130], v[129:130], v[139:140]
	v_add_f64 v[127:128], v[127:128], v[135:136]
	s_waitcnt vmcnt(7) lgkmcnt(0)
	v_mul_f64 v[135:136], v[7:8], v[175:176]
	v_mul_f64 v[133:134], v[5:6], v[175:176]
	s_waitcnt vmcnt(5)
	v_fma_f64 v[123:124], v[123:124], v[131:132], -v[141:142]
	v_fma_f64 v[125:126], v[125:126], v[131:132], v[137:138]
	v_add_f64 v[1:2], v[129:130], v[1:2]
	v_add_f64 v[3:4], v[127:128], v[3:4]
	s_waitcnt vmcnt(4)
	v_fma_f64 v[5:6], v[5:6], v[181:182], -v[135:136]
	v_fma_f64 v[7:8], v[7:8], v[181:182], v[133:134]
	v_add_f64 v[1:2], v[1:2], v[123:124]
	v_add_f64 v[3:4], v[3:4], v[125:126]
	;; [unrolled: 1-line block ×4, first 2 shown]
	s_waitcnt vmcnt(2)
	v_add_f64 v[1:2], v[163:164], -v[1:2]
	s_waitcnt vmcnt(0)
	v_add_f64 v[3:4], v[167:168], -v[3:4]
	buffer_store_dword v2, off, s[0:3], 0 offset:132
	buffer_store_dword v1, off, s[0:3], 0 offset:128
	;; [unrolled: 1-line block ×4, first 2 shown]
	v_cmpx_lt_u32_e32 6, v0
	s_cbranch_execz .LBB120_343
; %bb.342:
	v_mov_b32_e32 v4, s63
	s_clause 0x3
	buffer_load_dword v1, v4, s[0:3], 0 offen
	buffer_load_dword v2, v4, s[0:3], 0 offen offset:4
	buffer_load_dword v3, v4, s[0:3], 0 offen offset:8
	buffer_load_dword v4, v4, s[0:3], 0 offen offset:12
	buffer_store_dword v184, off, s[0:3], 0 offset:112
	buffer_store_dword v184, off, s[0:3], 0 offset:116
	;; [unrolled: 1-line block ×4, first 2 shown]
	s_waitcnt vmcnt(0)
	ds_write_b128 v183, v[1:4]
.LBB120_343:
	s_or_b32 exec_lo, exec_lo, s4
	s_waitcnt lgkmcnt(0)
	s_waitcnt_vscnt null, 0x0
	s_barrier
	buffer_gl0_inv
	s_clause 0x37
	buffer_load_dword v131, off, s[0:3], 0 offset:136
	buffer_load_dword v132, off, s[0:3], 0 offset:140
	;; [unrolled: 1-line block ×56, first 2 shown]
	ds_read_b128 v[5:8], v184 offset:1024
	s_clause 0x2
	buffer_load_dword v180, off, s[0:3], 0 offset:364
	buffer_load_dword v182, off, s[0:3], 0 offset:340
	;; [unrolled: 1-line block ×3, first 2 shown]
	ds_read_b128 v[1:4], v184 offset:1040
	s_clause 0x4
	buffer_load_dword v192, off, s[0:3], 0 offset:380
	buffer_load_dword v193, off, s[0:3], 0 offset:392
	;; [unrolled: 1-line block ×5, first 2 shown]
	ds_read_b128 v[185:188], v184 offset:1056
	s_mov_b32 s4, exec_lo
	s_waitcnt vmcnt(62) lgkmcnt(2)
	v_mul_f64 v[189:190], v[7:8], v[131:132]
	v_mul_f64 v[131:132], v[5:6], v[131:132]
	s_waitcnt vmcnt(60) lgkmcnt(1)
	v_mul_f64 v[196:197], v[3:4], v[127:128]
	v_mul_f64 v[127:128], v[1:2], v[127:128]
	;; [unrolled: 3-line block ×3, first 2 shown]
	v_fma_f64 v[189:190], v[5:6], v[129:130], -v[189:190]
	v_fma_f64 v[129:130], v[7:8], v[129:130], v[131:132]
	s_clause 0x2
	buffer_load_dword v194, off, s[0:3], 0 offset:396
	buffer_load_dword v132, off, s[0:3], 0 offset:372
	;; [unrolled: 1-line block ×3, first 2 shown]
	s_waitcnt vmcnt(57)
	v_fma_f64 v[200:201], v[1:2], v[123:124], -v[196:197]
	ds_read_b128 v[5:8], v184 offset:1072
	v_fma_f64 v[123:124], v[3:4], v[123:124], v[127:128]
	s_waitcnt vmcnt(51)
	v_fma_f64 v[185:186], v[185:186], v[147:148], -v[125:126]
	v_fma_f64 v[147:148], v[187:188], v[147:148], v[198:199]
	v_add_f64 v[189:190], v[189:190], 0
	v_add_f64 v[127:128], v[129:130], 0
	s_clause 0x4
	buffer_load_dword v130, off, s[0:3], 0 offset:412
	buffer_load_dword v197, off, s[0:3], 0 offset:424
	;; [unrolled: 1-line block ×5, first 2 shown]
	s_waitcnt lgkmcnt(0)
	v_mul_f64 v[203:204], v[5:6], v[135:136]
	v_mul_f64 v[135:136], v[7:8], v[135:136]
	ds_read_b128 v[1:4], v184 offset:1088
	s_clause 0x2
	buffer_load_dword v198, off, s[0:3], 0 offset:428
	buffer_load_dword v188, off, s[0:3], 0 offset:404
	;; [unrolled: 1-line block ×3, first 2 shown]
	v_add_f64 v[189:190], v[189:190], v[200:201]
	v_add_f64 v[127:128], v[127:128], v[123:124]
	ds_read_b128 v[123:126], v184 offset:1104
	s_waitcnt vmcnt(58) lgkmcnt(1)
	v_mul_f64 v[199:200], v[1:2], v[139:140]
	v_mul_f64 v[139:140], v[3:4], v[139:140]
	s_waitcnt vmcnt(56)
	v_fma_f64 v[135:136], v[5:6], v[141:142], -v[135:136]
	v_fma_f64 v[141:142], v[7:8], v[141:142], v[203:204]
	s_waitcnt vmcnt(52) lgkmcnt(0)
	v_mul_f64 v[205:206], v[123:124], v[143:144]
	v_add_f64 v[185:186], v[189:190], v[185:186]
	v_add_f64 v[127:128], v[127:128], v[147:148]
	s_clause 0x4
	buffer_load_dword v148, off, s[0:3], 0 offset:444
	buffer_load_dword v189, off, s[0:3], 0 offset:456
	;; [unrolled: 1-line block ×5, first 2 shown]
	v_mul_f64 v[143:144], v[125:126], v[143:144]
	s_waitcnt vmcnt(56)
	v_fma_f64 v[139:140], v[1:2], v[133:134], -v[139:140]
	ds_read_b128 v[5:8], v184 offset:1120
	v_fma_f64 v[133:134], v[3:4], v[133:134], v[199:200]
	v_add_f64 v[135:136], v[185:186], v[135:136]
	v_add_f64 v[127:128], v[127:128], v[141:142]
	s_clause 0x2
	buffer_load_dword v190, off, s[0:3], 0 offset:460
	buffer_load_dword v142, off, s[0:3], 0 offset:436
	;; [unrolled: 1-line block ×3, first 2 shown]
	s_waitcnt vmcnt(58) lgkmcnt(0)
	v_mul_f64 v[185:186], v[5:6], v[149:150]
	v_mul_f64 v[149:150], v[7:8], v[149:150]
	s_waitcnt vmcnt(56)
	v_fma_f64 v[143:144], v[123:124], v[151:152], -v[143:144]
	ds_read_b128 v[1:4], v184 offset:1136
	v_add_f64 v[135:136], v[135:136], v[139:140]
	v_fma_f64 v[139:140], v[125:126], v[151:152], v[205:206]
	v_add_f64 v[127:128], v[127:128], v[133:134]
	s_clause 0x4
	buffer_load_dword v134, off, s[0:3], 0 offset:476
	buffer_load_dword v151, off, s[0:3], 0 offset:488
	buffer_load_dword v199, off, s[0:3], 0 offset:480
	buffer_load_dword v133, off, s[0:3], 0 offset:472
	buffer_load_dword v205, off, s[0:3], 0 offset:452
	s_waitcnt vmcnt(57) lgkmcnt(0)
	v_mul_f64 v[200:201], v[1:2], v[153:154]
	v_mul_f64 v[153:154], v[3:4], v[153:154]
	s_waitcnt vmcnt(56)
	v_fma_f64 v[149:150], v[5:6], v[137:138], -v[149:150]
	ds_read_b128 v[123:126], v184 offset:1152
	v_fma_f64 v[137:138], v[7:8], v[137:138], v[185:186]
	v_add_f64 v[135:136], v[135:136], v[143:144]
	v_add_f64 v[127:128], v[127:128], v[139:140]
	s_clause 0x2
	buffer_load_dword v152, off, s[0:3], 0 offset:492
	buffer_load_dword v140, off, s[0:3], 0 offset:468
	;; [unrolled: 1-line block ×3, first 2 shown]
	ds_read_b128 v[5:8], v184 offset:1168
	s_waitcnt vmcnt(58) lgkmcnt(1)
	v_mul_f64 v[143:144], v[123:124], v[157:158]
	v_mul_f64 v[157:158], v[125:126], v[157:158]
	s_waitcnt vmcnt(56)
	v_fma_f64 v[153:154], v[1:2], v[159:160], -v[153:154]
	v_add_f64 v[135:136], v[135:136], v[149:150]
	v_fma_f64 v[149:150], v[3:4], v[159:160], v[200:201]
	v_add_f64 v[127:128], v[127:128], v[137:138]
	s_clause 0x4
	buffer_load_dword v138, off, s[0:3], 0 offset:508
	buffer_load_dword v159, off, s[0:3], 0 offset:520
	;; [unrolled: 1-line block ×5, first 2 shown]
	s_waitcnt vmcnt(57) lgkmcnt(0)
	v_mul_f64 v[206:207], v[5:6], v[161:162]
	v_mul_f64 v[161:162], v[7:8], v[161:162]
	s_waitcnt vmcnt(56)
	v_fma_f64 v[157:158], v[123:124], v[145:146], -v[157:158]
	ds_read_b128 v[1:4], v184 offset:1184
	v_fma_f64 v[143:144], v[125:126], v[145:146], v[143:144]
	s_clause 0x2
	buffer_load_dword v160, off, s[0:3], 0 offset:524
	buffer_load_dword v146, off, s[0:3], 0 offset:500
	;; [unrolled: 1-line block ×3, first 2 shown]
	ds_read_b128 v[123:126], v184 offset:1200
	v_add_f64 v[135:136], v[135:136], v[153:154]
	v_add_f64 v[127:128], v[127:128], v[149:150]
	s_waitcnt vmcnt(58) lgkmcnt(1)
	v_mul_f64 v[153:154], v[3:4], v[165:166]
	s_waitcnt vmcnt(56)
	v_fma_f64 v[161:162], v[5:6], v[167:168], -v[161:162]
	v_mul_f64 v[149:150], v[1:2], v[165:166]
	v_add_f64 v[135:136], v[135:136], v[157:158]
	v_fma_f64 v[157:158], v[7:8], v[167:168], v[206:207]
	v_add_f64 v[127:128], v[127:128], v[143:144]
	s_clause 0x4
	buffer_load_dword v144, off, s[0:3], 0 offset:540
	buffer_load_dword v165, off, s[0:3], 0 offset:552
	;; [unrolled: 1-line block ×5, first 2 shown]
	s_waitcnt vmcnt(57) lgkmcnt(0)
	v_mul_f64 v[206:207], v[123:124], v[169:170]
	v_mul_f64 v[168:169], v[125:126], v[169:170]
	s_waitcnt vmcnt(56)
	v_fma_f64 v[153:154], v[1:2], v[155:156], -v[153:154]
	ds_read_b128 v[5:8], v184 offset:1216
	v_fma_f64 v[149:150], v[3:4], v[155:156], v[149:150]
	s_clause 0x2
	buffer_load_dword v166, off, s[0:3], 0 offset:556
	buffer_load_dword v156, off, s[0:3], 0 offset:532
	;; [unrolled: 1-line block ×3, first 2 shown]
	ds_read_b128 v[1:4], v184 offset:1232
	v_add_f64 v[135:136], v[135:136], v[161:162]
	v_add_f64 v[127:128], v[127:128], v[157:158]
	s_waitcnt vmcnt(58) lgkmcnt(1)
	v_mul_f64 v[161:162], v[7:8], v[173:174]
	s_waitcnt vmcnt(56)
	v_fma_f64 v[169:170], v[123:124], v[175:176], -v[168:169]
	v_mul_f64 v[157:158], v[5:6], v[173:174]
	v_add_f64 v[135:136], v[135:136], v[153:154]
	v_fma_f64 v[153:154], v[125:126], v[175:176], v[206:207]
	v_add_f64 v[127:128], v[127:128], v[149:150]
	s_clause 0x4
	buffer_load_dword v150, off, s[0:3], 0 offset:572
	buffer_load_dword v173, off, s[0:3], 0 offset:584
	;; [unrolled: 1-line block ×5, first 2 shown]
	s_waitcnt vmcnt(57) lgkmcnt(0)
	v_mul_f64 v[206:207], v[1:2], v[177:178]
	v_mul_f64 v[176:177], v[3:4], v[177:178]
	s_waitcnt vmcnt(56)
	v_fma_f64 v[161:162], v[5:6], v[163:164], -v[161:162]
	ds_read_b128 v[123:126], v184 offset:1248
	v_fma_f64 v[157:158], v[7:8], v[163:164], v[157:158]
	v_add_f64 v[135:136], v[135:136], v[169:170]
	v_add_f64 v[127:128], v[127:128], v[153:154]
	s_clause 0x2
	buffer_load_dword v174, off, s[0:3], 0 offset:588
	buffer_load_dword v154, off, s[0:3], 0 offset:564
	;; [unrolled: 1-line block ×3, first 2 shown]
	ds_read_b128 v[5:8], v184 offset:1264
	s_waitcnt vmcnt(58) lgkmcnt(1)
	v_mul_f64 v[169:170], v[125:126], v[179:180]
	s_waitcnt vmcnt(56)
	v_fma_f64 v[177:178], v[1:2], v[181:182], -v[176:177]
	v_mul_f64 v[163:164], v[123:124], v[179:180]
	v_add_f64 v[135:136], v[135:136], v[161:162]
	v_fma_f64 v[161:162], v[3:4], v[181:182], v[206:207]
	v_add_f64 v[127:128], v[127:128], v[157:158]
	s_clause 0x4
	buffer_load_dword v158, off, s[0:3], 0 offset:604
	buffer_load_dword v179, off, s[0:3], 0 offset:616
	;; [unrolled: 1-line block ×5, first 2 shown]
	s_waitcnt vmcnt(57) lgkmcnt(0)
	v_mul_f64 v[206:207], v[5:6], v[191:192]
	v_mul_f64 v[191:192], v[7:8], v[191:192]
	s_waitcnt vmcnt(56)
	v_fma_f64 v[169:170], v[123:124], v[171:172], -v[169:170]
	ds_read_b128 v[1:4], v184 offset:1280
	v_fma_f64 v[163:164], v[125:126], v[171:172], v[163:164]
	v_add_f64 v[135:136], v[135:136], v[177:178]
	v_add_f64 v[127:128], v[127:128], v[161:162]
	s_clause 0x2
	buffer_load_dword v180, off, s[0:3], 0 offset:620
	buffer_load_dword v162, off, s[0:3], 0 offset:596
	;; [unrolled: 1-line block ×3, first 2 shown]
	ds_read_b128 v[123:126], v184 offset:1296
	s_waitcnt vmcnt(58) lgkmcnt(1)
	v_mul_f64 v[177:178], v[3:4], v[193:194]
	v_mul_f64 v[171:172], v[1:2], v[193:194]
	s_waitcnt vmcnt(56)
	v_fma_f64 v[191:192], v[5:6], v[131:132], -v[191:192]
	v_fma_f64 v[131:132], v[7:8], v[131:132], v[206:207]
	v_add_f64 v[135:136], v[135:136], v[169:170]
	v_add_f64 v[127:128], v[127:128], v[163:164]
	s_clause 0x4
	buffer_load_dword v164, off, s[0:3], 0 offset:636
	buffer_load_dword v169, off, s[0:3], 0 offset:648
	buffer_load_dword v193, off, s[0:3], 0 offset:640
	buffer_load_dword v163, off, s[0:3], 0 offset:632
	buffer_load_dword v182, off, s[0:3], 0 offset:612
	ds_read_b128 v[5:8], v184 offset:1312
	s_waitcnt vmcnt(57) lgkmcnt(1)
	v_mul_f64 v[206:207], v[123:124], v[129:130]
	v_mul_f64 v[129:130], v[125:126], v[129:130]
	s_waitcnt vmcnt(56)
	v_fma_f64 v[177:178], v[1:2], v[195:196], -v[177:178]
	v_fma_f64 v[171:172], v[3:4], v[195:196], v[171:172]
	v_add_f64 v[135:136], v[135:136], v[191:192]
	v_add_f64 v[127:128], v[127:128], v[131:132]
	s_clause 0x2
	buffer_load_dword v170, off, s[0:3], 0 offset:652
	buffer_load_dword v132, off, s[0:3], 0 offset:628
	;; [unrolled: 1-line block ×3, first 2 shown]
	s_waitcnt vmcnt(58) lgkmcnt(0)
	v_mul_f64 v[195:196], v[7:8], v[197:198]
	ds_read_b128 v[1:4], v184 offset:1328
	v_mul_f64 v[191:192], v[5:6], v[197:198]
	s_waitcnt vmcnt(56)
	v_fma_f64 v[129:130], v[123:124], v[187:188], -v[129:130]
	v_add_f64 v[135:136], v[135:136], v[177:178]
	v_fma_f64 v[177:178], v[125:126], v[187:188], v[206:207]
	v_add_f64 v[127:128], v[127:128], v[171:172]
	s_clause 0x4
	buffer_load_dword v172, off, s[0:3], 0 offset:668
	buffer_load_dword v187, off, s[0:3], 0 offset:680
	;; [unrolled: 1-line block ×5, first 2 shown]
	ds_read_b128 v[123:126], v184 offset:1344
	s_waitcnt vmcnt(57) lgkmcnt(1)
	v_mul_f64 v[206:207], v[1:2], v[147:148]
	v_mul_f64 v[147:148], v[3:4], v[147:148]
	s_waitcnt vmcnt(56)
	v_fma_f64 v[195:196], v[5:6], v[202:203], -v[195:196]
	v_add_f64 v[129:130], v[135:136], v[129:130]
	v_fma_f64 v[135:136], v[7:8], v[202:203], v[191:192]
	v_add_f64 v[127:128], v[127:128], v[177:178]
	s_clause 0x2
	buffer_load_dword v188, off, s[0:3], 0 offset:684
	buffer_load_dword v178, off, s[0:3], 0 offset:660
	;; [unrolled: 1-line block ×3, first 2 shown]
	ds_read_b128 v[5:8], v184 offset:1360
	s_waitcnt vmcnt(58) lgkmcnt(1)
	v_mul_f64 v[191:192], v[123:124], v[189:190]
	v_mul_f64 v[189:190], v[125:126], v[189:190]
	s_waitcnt vmcnt(56)
	v_fma_f64 v[147:148], v[1:2], v[141:142], -v[147:148]
	v_fma_f64 v[141:142], v[3:4], v[141:142], v[206:207]
	v_add_f64 v[129:130], v[129:130], v[195:196]
	v_add_f64 v[127:128], v[127:128], v[135:136]
	s_clause 0x4
	buffer_load_dword v136, off, s[0:3], 0 offset:700
	buffer_load_dword v195, off, s[0:3], 0 offset:712
	;; [unrolled: 1-line block ×5, first 2 shown]
	ds_read_b128 v[1:4], v184 offset:1376
	s_waitcnt vmcnt(57) lgkmcnt(1)
	v_mul_f64 v[202:203], v[5:6], v[133:134]
	v_mul_f64 v[133:134], v[7:8], v[133:134]
	s_waitcnt vmcnt(56)
	v_fma_f64 v[189:190], v[123:124], v[204:205], -v[189:190]
	v_add_f64 v[129:130], v[129:130], v[147:148]
	v_fma_f64 v[147:148], v[125:126], v[204:205], v[191:192]
	v_add_f64 v[127:128], v[127:128], v[141:142]
	s_clause 0x2
	buffer_load_dword v196, off, s[0:3], 0 offset:716
	buffer_load_dword v142, off, s[0:3], 0 offset:692
	;; [unrolled: 1-line block ×3, first 2 shown]
	ds_read_b128 v[123:126], v184 offset:1392
	s_waitcnt vmcnt(58) lgkmcnt(1)
	v_mul_f64 v[191:192], v[1:2], v[151:152]
	v_mul_f64 v[151:152], v[3:4], v[151:152]
	s_waitcnt vmcnt(56)
	v_fma_f64 v[133:134], v[5:6], v[139:140], -v[133:134]
	v_fma_f64 v[139:140], v[7:8], v[139:140], v[202:203]
	v_add_f64 v[129:130], v[129:130], v[189:190]
	v_add_f64 v[127:128], v[127:128], v[147:148]
	s_clause 0x4
	buffer_load_dword v148, off, s[0:3], 0 offset:732
	buffer_load_dword v189, off, s[0:3], 0 offset:744
	buffer_load_dword v203, off, s[0:3], 0 offset:736
	buffer_load_dword v147, off, s[0:3], 0 offset:728
	buffer_load_dword v202, off, s[0:3], 0 offset:708
	ds_read_b128 v[5:8], v184 offset:1408
	s_waitcnt vmcnt(57) lgkmcnt(1)
	v_mul_f64 v[204:205], v[123:124], v[137:138]
	v_mul_f64 v[137:138], v[125:126], v[137:138]
	s_waitcnt vmcnt(56)
	v_fma_f64 v[151:152], v[1:2], v[199:200], -v[151:152]
	v_add_f64 v[129:130], v[129:130], v[133:134]
	v_fma_f64 v[133:134], v[3:4], v[199:200], v[191:192]
	v_add_f64 v[127:128], v[127:128], v[139:140]
	s_clause 0x2
	buffer_load_dword v190, off, s[0:3], 0 offset:748
	buffer_load_dword v140, off, s[0:3], 0 offset:724
	;; [unrolled: 1-line block ×3, first 2 shown]
	s_waitcnt vmcnt(58) lgkmcnt(0)
	v_mul_f64 v[191:192], v[5:6], v[159:160]
	v_mul_f64 v[159:160], v[7:8], v[159:160]
	ds_read_b128 v[1:4], v184 offset:1424
	s_waitcnt vmcnt(56)
	v_fma_f64 v[137:138], v[123:124], v[145:146], -v[137:138]
	v_fma_f64 v[145:146], v[125:126], v[145:146], v[204:205]
	v_add_f64 v[129:130], v[129:130], v[151:152]
	v_add_f64 v[127:128], v[127:128], v[133:134]
	s_clause 0x4
	buffer_load_dword v134, off, s[0:3], 0 offset:764
	buffer_load_dword v151, off, s[0:3], 0 offset:776
	;; [unrolled: 1-line block ×5, first 2 shown]
	ds_read_b128 v[123:126], v184 offset:1440
	s_waitcnt vmcnt(57) lgkmcnt(1)
	v_mul_f64 v[205:206], v[1:2], v[143:144]
	v_mul_f64 v[143:144], v[3:4], v[143:144]
	s_waitcnt vmcnt(56)
	v_fma_f64 v[159:160], v[5:6], v[185:186], -v[159:160]
	v_add_f64 v[129:130], v[129:130], v[137:138]
	v_fma_f64 v[137:138], v[7:8], v[185:186], v[191:192]
	v_add_f64 v[127:128], v[127:128], v[145:146]
	s_clause 0x2
	buffer_load_dword v152, off, s[0:3], 0 offset:780
	buffer_load_dword v146, off, s[0:3], 0 offset:756
	;; [unrolled: 1-line block ×3, first 2 shown]
	s_waitcnt vmcnt(58) lgkmcnt(0)
	v_mul_f64 v[185:186], v[123:124], v[165:166]
	v_mul_f64 v[165:166], v[125:126], v[165:166]
	ds_read_b128 v[5:8], v184 offset:1456
	s_waitcnt vmcnt(56)
	v_fma_f64 v[143:144], v[1:2], v[155:156], -v[143:144]
	v_fma_f64 v[155:156], v[3:4], v[155:156], v[205:206]
	v_add_f64 v[129:130], v[129:130], v[159:160]
	v_add_f64 v[127:128], v[127:128], v[137:138]
	s_clause 0x4
	buffer_load_dword v138, off, s[0:3], 0 offset:796
	buffer_load_dword v159, off, s[0:3], 0 offset:808
	buffer_load_dword v191, off, s[0:3], 0 offset:800
	buffer_load_dword v137, off, s[0:3], 0 offset:792
	buffer_load_dword v200, off, s[0:3], 0 offset:772
	ds_read_b128 v[1:4], v184 offset:1472
	s_waitcnt vmcnt(57) lgkmcnt(1)
	v_mul_f64 v[205:206], v[5:6], v[149:150]
	v_mul_f64 v[149:150], v[7:8], v[149:150]
	s_waitcnt vmcnt(56)
	v_fma_f64 v[165:166], v[123:124], v[167:168], -v[165:166]
	v_add_f64 v[129:130], v[129:130], v[143:144]
	v_fma_f64 v[143:144], v[125:126], v[167:168], v[185:186]
	v_add_f64 v[127:128], v[127:128], v[155:156]
	s_clause 0x2
	buffer_load_dword v160, off, s[0:3], 0 offset:812
	buffer_load_dword v156, off, s[0:3], 0 offset:788
	buffer_load_dword v155, off, s[0:3], 0 offset:784
	ds_read_b128 v[123:126], v184 offset:1488
	s_waitcnt vmcnt(58) lgkmcnt(1)
	v_mul_f64 v[167:168], v[1:2], v[173:174]
	v_mul_f64 v[173:174], v[3:4], v[173:174]
	s_waitcnt vmcnt(56)
	v_fma_f64 v[149:150], v[5:6], v[153:154], -v[149:150]
	v_fma_f64 v[153:154], v[7:8], v[153:154], v[205:206]
	v_add_f64 v[129:130], v[129:130], v[165:166]
	v_add_f64 v[127:128], v[127:128], v[143:144]
	s_clause 0x4
	buffer_load_dword v144, off, s[0:3], 0 offset:828
	buffer_load_dword v165, off, s[0:3], 0 offset:840
	buffer_load_dword v185, off, s[0:3], 0 offset:832
	buffer_load_dword v143, off, s[0:3], 0 offset:824
	buffer_load_dword v192, off, s[0:3], 0 offset:804
	ds_read_b128 v[5:8], v184 offset:1504
	s_waitcnt vmcnt(57) lgkmcnt(1)
	v_mul_f64 v[205:206], v[123:124], v[157:158]
	v_mul_f64 v[157:158], v[125:126], v[157:158]
	s_waitcnt vmcnt(56)
	v_fma_f64 v[173:174], v[1:2], v[175:176], -v[173:174]
	v_add_f64 v[129:130], v[129:130], v[149:150]
	v_fma_f64 v[149:150], v[3:4], v[175:176], v[167:168]
	v_add_f64 v[127:128], v[127:128], v[153:154]
	s_clause 0x2
	buffer_load_dword v166, off, s[0:3], 0 offset:844
	buffer_load_dword v154, off, s[0:3], 0 offset:820
	buffer_load_dword v153, off, s[0:3], 0 offset:816
	ds_read_b128 v[1:4], v184 offset:1520
	s_waitcnt vmcnt(58) lgkmcnt(1)
	v_mul_f64 v[175:176], v[7:8], v[179:180]
	v_mul_f64 v[167:168], v[5:6], v[179:180]
	;; [unrolled: 28-line block ×4, first 2 shown]
	s_waitcnt vmcnt(56)
	v_fma_f64 v[171:172], v[5:6], v[177:178], -v[171:172]
	v_add_f64 v[129:130], v[129:130], v[169:170]
	v_fma_f64 v[169:170], v[7:8], v[177:178], v[205:206]
	v_add_f64 v[127:128], v[127:128], v[163:164]
	s_clause 0x2
	buffer_load_dword v164, off, s[0:3], 0 offset:924
	buffer_load_dword v163, off, s[0:3], 0 offset:920
	;; [unrolled: 1-line block ×3, first 2 shown]
	ds_read_b128 v[5:8], v184 offset:1600
	s_waitcnt vmcnt(55) lgkmcnt(1)
	v_mul_f64 v[177:178], v[123:124], v[135:136]
	v_mul_f64 v[135:136], v[125:126], v[135:136]
	s_waitcnt vmcnt(54)
	v_fma_f64 v[187:188], v[1:2], v[197:198], -v[187:188]
	v_fma_f64 v[167:168], v[3:4], v[197:198], v[167:168]
	v_add_f64 v[129:130], v[129:130], v[171:172]
	v_add_f64 v[127:128], v[127:128], v[169:170]
	s_clause 0x1
	buffer_load_dword v170, off, s[0:3], 0 offset:916
	buffer_load_dword v169, off, s[0:3], 0 offset:912
	ds_read_b128 v[1:4], v184 offset:1616
	s_waitcnt vmcnt(55) lgkmcnt(1)
	v_mul_f64 v[193:194], v[7:8], v[195:196]
	v_mul_f64 v[171:172], v[5:6], v[195:196]
	s_waitcnt vmcnt(53)
	v_fma_f64 v[135:136], v[123:124], v[141:142], -v[135:136]
	v_fma_f64 v[141:142], v[125:126], v[141:142], v[177:178]
	ds_read_b128 v[123:126], v184 offset:1632
	v_add_f64 v[129:130], v[129:130], v[187:188]
	v_add_f64 v[127:128], v[127:128], v[167:168]
	s_waitcnt vmcnt(49) lgkmcnt(1)
	v_mul_f64 v[167:168], v[1:2], v[147:148]
	v_mul_f64 v[147:148], v[3:4], v[147:148]
	s_waitcnt vmcnt(48)
	v_fma_f64 v[177:178], v[5:6], v[201:202], -v[193:194]
	v_add_f64 v[129:130], v[129:130], v[135:136]
	v_fma_f64 v[135:136], v[7:8], v[201:202], v[171:172]
	v_add_f64 v[127:128], v[127:128], v[141:142]
	s_clause 0x3
	buffer_load_dword v141, off, s[0:3], 0 offset:112
	buffer_load_dword v142, off, s[0:3], 0 offset:116
	;; [unrolled: 1-line block ×4, first 2 shown]
	ds_read_b128 v[5:8], v184 offset:1648
	s_waitcnt vmcnt(51) lgkmcnt(1)
	v_mul_f64 v[187:188], v[123:124], v[189:190]
	v_mul_f64 v[189:190], v[125:126], v[189:190]
	s_waitcnt vmcnt(49)
	v_fma_f64 v[147:148], v[1:2], v[139:140], -v[147:148]
	v_fma_f64 v[139:140], v[3:4], v[139:140], v[167:168]
	ds_read_b128 v[1:4], v184 offset:1664
	v_add_f64 v[129:130], v[129:130], v[177:178]
	v_add_f64 v[127:128], v[127:128], v[135:136]
	s_waitcnt vmcnt(45) lgkmcnt(1)
	v_mul_f64 v[135:136], v[5:6], v[133:134]
	v_mul_f64 v[133:134], v[7:8], v[133:134]
	s_waitcnt vmcnt(44)
	v_fma_f64 v[167:168], v[123:124], v[203:204], -v[189:190]
	v_add_f64 v[129:130], v[129:130], v[147:148]
	v_fma_f64 v[147:148], v[125:126], v[203:204], v[187:188]
	v_add_f64 v[127:128], v[127:128], v[139:140]
	ds_read_b128 v[123:126], v184 offset:1680
	s_waitcnt vmcnt(43) lgkmcnt(1)
	v_mul_f64 v[139:140], v[1:2], v[151:152]
	v_mul_f64 v[151:152], v[3:4], v[151:152]
	s_waitcnt vmcnt(41)
	v_fma_f64 v[133:134], v[5:6], v[145:146], -v[133:134]
	v_fma_f64 v[135:136], v[7:8], v[145:146], v[135:136]
	ds_read_b128 v[5:8], v184 offset:1696
	v_add_f64 v[129:130], v[129:130], v[167:168]
	v_add_f64 v[127:128], v[127:128], v[147:148]
	s_waitcnt vmcnt(37) lgkmcnt(1)
	v_mul_f64 v[145:146], v[123:124], v[137:138]
	v_mul_f64 v[137:138], v[125:126], v[137:138]
	s_waitcnt vmcnt(36)
	v_fma_f64 v[147:148], v[1:2], v[199:200], -v[151:152]
	v_add_f64 v[129:130], v[129:130], v[133:134]
	v_fma_f64 v[133:134], v[3:4], v[199:200], v[139:140]
	v_add_f64 v[127:128], v[127:128], v[135:136]
	ds_read_b128 v[1:4], v184 offset:1712
	s_waitcnt vmcnt(35) lgkmcnt(1)
	v_mul_f64 v[139:140], v[7:8], v[159:160]
	v_mul_f64 v[135:136], v[5:6], v[159:160]
	s_waitcnt vmcnt(33)
	v_fma_f64 v[137:138], v[123:124], v[155:156], -v[137:138]
	v_fma_f64 v[145:146], v[125:126], v[155:156], v[145:146]
	ds_read_b128 v[123:126], v184 offset:1728
	v_add_f64 v[129:130], v[129:130], v[147:148]
	v_add_f64 v[127:128], v[127:128], v[133:134]
	s_waitcnt vmcnt(29) lgkmcnt(1)
	v_mul_f64 v[133:134], v[1:2], v[143:144]
	v_mul_f64 v[143:144], v[3:4], v[143:144]
	s_waitcnt vmcnt(28)
	v_fma_f64 v[139:140], v[5:6], v[191:192], -v[139:140]
	v_fma_f64 v[135:136], v[7:8], v[191:192], v[135:136]
	ds_read_b128 v[5:8], v184 offset:1744
	v_add_f64 v[129:130], v[129:130], v[137:138]
	v_add_f64 v[127:128], v[127:128], v[145:146]
	;; [unrolled: 9-line block ×3, first 2 shown]
	s_waitcnt vmcnt(21) lgkmcnt(1)
	v_mul_f64 v[139:140], v[7:8], v[149:150]
	s_waitcnt vmcnt(20)
	v_fma_f64 v[145:146], v[123:124], v[185:186], -v[145:146]
	v_mul_f64 v[135:136], v[5:6], v[149:150]
	v_fma_f64 v[137:138], v[125:126], v[185:186], v[137:138]
	ds_read_b128 v[123:126], v184 offset:1776
	v_add_f64 v[129:130], v[129:130], v[143:144]
	v_add_f64 v[127:128], v[127:128], v[133:134]
	s_waitcnt vmcnt(19) lgkmcnt(1)
	v_mul_f64 v[143:144], v[3:4], v[173:174]
	v_mul_f64 v[133:134], v[1:2], v[173:174]
	s_waitcnt vmcnt(17)
	v_fma_f64 v[139:140], v[5:6], v[161:162], -v[139:140]
	v_fma_f64 v[135:136], v[7:8], v[161:162], v[135:136]
	ds_read_b128 v[5:8], v184 offset:1792
	v_add_f64 v[129:130], v[129:130], v[145:146]
	v_add_f64 v[127:128], v[127:128], v[137:138]
	s_waitcnt vmcnt(13) lgkmcnt(1)
	v_mul_f64 v[145:146], v[125:126], v[157:158]
	s_waitcnt vmcnt(12)
	v_fma_f64 v[143:144], v[1:2], v[179:180], -v[143:144]
	v_mul_f64 v[137:138], v[123:124], v[157:158]
	v_fma_f64 v[133:134], v[3:4], v[179:180], v[133:134]
	ds_read_b128 v[1:4], v184 offset:1808
	v_add_f64 v[129:130], v[129:130], v[139:140]
	v_add_f64 v[127:128], v[127:128], v[135:136]
	s_waitcnt vmcnt(11) lgkmcnt(1)
	v_mul_f64 v[139:140], v[7:8], v[175:176]
	v_mul_f64 v[135:136], v[5:6], v[175:176]
	s_waitcnt vmcnt(9)
	v_fma_f64 v[123:124], v[123:124], v[131:132], -v[145:146]
	v_fma_f64 v[125:126], v[125:126], v[131:132], v[137:138]
	v_add_f64 v[129:130], v[129:130], v[143:144]
	v_add_f64 v[127:128], v[127:128], v[133:134]
	s_waitcnt vmcnt(7) lgkmcnt(0)
	v_mul_f64 v[133:134], v[3:4], v[163:164]
	s_waitcnt vmcnt(6)
	v_fma_f64 v[5:6], v[5:6], v[181:182], -v[139:140]
	v_mul_f64 v[131:132], v[1:2], v[163:164]
	v_fma_f64 v[7:8], v[7:8], v[181:182], v[135:136]
	v_add_f64 v[123:124], v[129:130], v[123:124]
	v_add_f64 v[125:126], v[127:128], v[125:126]
	s_waitcnt vmcnt(4)
	v_fma_f64 v[1:2], v[1:2], v[169:170], -v[133:134]
	v_fma_f64 v[3:4], v[3:4], v[169:170], v[131:132]
	v_add_f64 v[5:6], v[123:124], v[5:6]
	v_add_f64 v[7:8], v[125:126], v[7:8]
	;; [unrolled: 1-line block ×4, first 2 shown]
	s_waitcnt vmcnt(2)
	v_add_f64 v[1:2], v[141:142], -v[1:2]
	s_waitcnt vmcnt(0)
	v_add_f64 v[3:4], v[171:172], -v[3:4]
	buffer_store_dword v2, off, s[0:3], 0 offset:116
	buffer_store_dword v1, off, s[0:3], 0 offset:112
	;; [unrolled: 1-line block ×4, first 2 shown]
	v_cmpx_lt_u32_e32 5, v0
	s_cbranch_execz .LBB120_345
; %bb.344:
	v_mov_b32_e32 v4, s64
	v_mov_b32_e32 v5, 0
	s_clause 0x3
	buffer_load_dword v1, v4, s[0:3], 0 offen
	buffer_load_dword v2, v4, s[0:3], 0 offen offset:4
	buffer_load_dword v3, v4, s[0:3], 0 offen offset:8
	;; [unrolled: 1-line block ×3, first 2 shown]
	buffer_store_dword v5, off, s[0:3], 0 offset:96
	buffer_store_dword v5, off, s[0:3], 0 offset:100
	;; [unrolled: 1-line block ×4, first 2 shown]
	s_waitcnt vmcnt(0)
	ds_write_b128 v183, v[1:4]
.LBB120_345:
	s_or_b32 exec_lo, exec_lo, s4
	s_waitcnt lgkmcnt(0)
	s_waitcnt_vscnt null, 0x0
	s_barrier
	buffer_gl0_inv
	s_clause 0x37
	buffer_load_dword v131, off, s[0:3], 0 offset:120
	buffer_load_dword v132, off, s[0:3], 0 offset:124
	;; [unrolled: 1-line block ×56, first 2 shown]
	v_mov_b32_e32 v184, 0
	s_mov_b32 s4, exec_lo
	ds_read_b128 v[5:8], v184 offset:1008
	s_clause 0x2
	buffer_load_dword v180, off, s[0:3], 0 offset:348
	buffer_load_dword v182, off, s[0:3], 0 offset:324
	;; [unrolled: 1-line block ×3, first 2 shown]
	ds_read_b128 v[1:4], v184 offset:1024
	s_clause 0x4
	buffer_load_dword v192, off, s[0:3], 0 offset:364
	buffer_load_dword v193, off, s[0:3], 0 offset:376
	;; [unrolled: 1-line block ×5, first 2 shown]
	ds_read_b128 v[185:188], v184 offset:1040
	s_waitcnt vmcnt(62) lgkmcnt(2)
	v_mul_f64 v[189:190], v[7:8], v[131:132]
	v_mul_f64 v[131:132], v[5:6], v[131:132]
	s_waitcnt vmcnt(60) lgkmcnt(1)
	v_mul_f64 v[196:197], v[3:4], v[127:128]
	v_mul_f64 v[127:128], v[1:2], v[127:128]
	;; [unrolled: 3-line block ×3, first 2 shown]
	v_fma_f64 v[189:190], v[5:6], v[129:130], -v[189:190]
	v_fma_f64 v[129:130], v[7:8], v[129:130], v[131:132]
	s_clause 0x2
	buffer_load_dword v194, off, s[0:3], 0 offset:380
	buffer_load_dword v132, off, s[0:3], 0 offset:356
	;; [unrolled: 1-line block ×3, first 2 shown]
	s_waitcnt vmcnt(57)
	v_fma_f64 v[200:201], v[1:2], v[123:124], -v[196:197]
	ds_read_b128 v[5:8], v184 offset:1056
	v_fma_f64 v[123:124], v[3:4], v[123:124], v[127:128]
	s_waitcnt vmcnt(51)
	v_fma_f64 v[185:186], v[185:186], v[147:148], -v[125:126]
	v_fma_f64 v[147:148], v[187:188], v[147:148], v[198:199]
	v_add_f64 v[189:190], v[189:190], 0
	v_add_f64 v[127:128], v[129:130], 0
	s_clause 0x4
	buffer_load_dword v130, off, s[0:3], 0 offset:396
	buffer_load_dword v197, off, s[0:3], 0 offset:408
	;; [unrolled: 1-line block ×5, first 2 shown]
	s_waitcnt lgkmcnt(0)
	v_mul_f64 v[203:204], v[5:6], v[135:136]
	v_mul_f64 v[135:136], v[7:8], v[135:136]
	ds_read_b128 v[1:4], v184 offset:1072
	s_clause 0x2
	buffer_load_dword v198, off, s[0:3], 0 offset:412
	buffer_load_dword v188, off, s[0:3], 0 offset:388
	;; [unrolled: 1-line block ×3, first 2 shown]
	v_add_f64 v[189:190], v[189:190], v[200:201]
	v_add_f64 v[127:128], v[127:128], v[123:124]
	ds_read_b128 v[123:126], v184 offset:1088
	s_waitcnt vmcnt(58) lgkmcnt(1)
	v_mul_f64 v[199:200], v[1:2], v[139:140]
	v_mul_f64 v[139:140], v[3:4], v[139:140]
	s_waitcnt vmcnt(56)
	v_fma_f64 v[135:136], v[5:6], v[141:142], -v[135:136]
	v_fma_f64 v[141:142], v[7:8], v[141:142], v[203:204]
	s_waitcnt vmcnt(52) lgkmcnt(0)
	v_mul_f64 v[205:206], v[123:124], v[143:144]
	v_add_f64 v[185:186], v[189:190], v[185:186]
	v_add_f64 v[127:128], v[127:128], v[147:148]
	s_clause 0x4
	buffer_load_dword v148, off, s[0:3], 0 offset:428
	buffer_load_dword v189, off, s[0:3], 0 offset:440
	;; [unrolled: 1-line block ×5, first 2 shown]
	v_mul_f64 v[143:144], v[125:126], v[143:144]
	s_waitcnt vmcnt(56)
	v_fma_f64 v[139:140], v[1:2], v[133:134], -v[139:140]
	ds_read_b128 v[5:8], v184 offset:1104
	v_fma_f64 v[133:134], v[3:4], v[133:134], v[199:200]
	v_add_f64 v[135:136], v[185:186], v[135:136]
	v_add_f64 v[127:128], v[127:128], v[141:142]
	s_clause 0x2
	buffer_load_dword v190, off, s[0:3], 0 offset:444
	buffer_load_dword v142, off, s[0:3], 0 offset:420
	;; [unrolled: 1-line block ×3, first 2 shown]
	s_waitcnt vmcnt(58) lgkmcnt(0)
	v_mul_f64 v[185:186], v[5:6], v[149:150]
	v_mul_f64 v[149:150], v[7:8], v[149:150]
	s_waitcnt vmcnt(56)
	v_fma_f64 v[143:144], v[123:124], v[151:152], -v[143:144]
	ds_read_b128 v[1:4], v184 offset:1120
	v_add_f64 v[135:136], v[135:136], v[139:140]
	v_fma_f64 v[139:140], v[125:126], v[151:152], v[205:206]
	v_add_f64 v[127:128], v[127:128], v[133:134]
	s_clause 0x4
	buffer_load_dword v134, off, s[0:3], 0 offset:460
	buffer_load_dword v151, off, s[0:3], 0 offset:472
	;; [unrolled: 1-line block ×5, first 2 shown]
	s_waitcnt vmcnt(57) lgkmcnt(0)
	v_mul_f64 v[200:201], v[1:2], v[153:154]
	v_mul_f64 v[153:154], v[3:4], v[153:154]
	s_waitcnt vmcnt(56)
	v_fma_f64 v[149:150], v[5:6], v[137:138], -v[149:150]
	ds_read_b128 v[123:126], v184 offset:1136
	v_fma_f64 v[137:138], v[7:8], v[137:138], v[185:186]
	v_add_f64 v[135:136], v[135:136], v[143:144]
	v_add_f64 v[127:128], v[127:128], v[139:140]
	s_clause 0x2
	buffer_load_dword v152, off, s[0:3], 0 offset:476
	buffer_load_dword v140, off, s[0:3], 0 offset:452
	;; [unrolled: 1-line block ×3, first 2 shown]
	ds_read_b128 v[5:8], v184 offset:1152
	s_waitcnt vmcnt(58) lgkmcnt(1)
	v_mul_f64 v[143:144], v[123:124], v[157:158]
	v_mul_f64 v[157:158], v[125:126], v[157:158]
	s_waitcnt vmcnt(56)
	v_fma_f64 v[153:154], v[1:2], v[159:160], -v[153:154]
	v_add_f64 v[135:136], v[135:136], v[149:150]
	v_fma_f64 v[149:150], v[3:4], v[159:160], v[200:201]
	v_add_f64 v[127:128], v[127:128], v[137:138]
	s_clause 0x4
	buffer_load_dword v138, off, s[0:3], 0 offset:492
	buffer_load_dword v159, off, s[0:3], 0 offset:504
	;; [unrolled: 1-line block ×5, first 2 shown]
	s_waitcnt vmcnt(57) lgkmcnt(0)
	v_mul_f64 v[206:207], v[5:6], v[161:162]
	v_mul_f64 v[161:162], v[7:8], v[161:162]
	s_waitcnt vmcnt(56)
	v_fma_f64 v[157:158], v[123:124], v[145:146], -v[157:158]
	ds_read_b128 v[1:4], v184 offset:1168
	v_fma_f64 v[143:144], v[125:126], v[145:146], v[143:144]
	s_clause 0x2
	buffer_load_dword v160, off, s[0:3], 0 offset:508
	buffer_load_dword v146, off, s[0:3], 0 offset:484
	;; [unrolled: 1-line block ×3, first 2 shown]
	ds_read_b128 v[123:126], v184 offset:1184
	v_add_f64 v[135:136], v[135:136], v[153:154]
	v_add_f64 v[127:128], v[127:128], v[149:150]
	s_waitcnt vmcnt(58) lgkmcnt(1)
	v_mul_f64 v[153:154], v[3:4], v[165:166]
	s_waitcnt vmcnt(56)
	v_fma_f64 v[161:162], v[5:6], v[167:168], -v[161:162]
	v_mul_f64 v[149:150], v[1:2], v[165:166]
	v_add_f64 v[135:136], v[135:136], v[157:158]
	v_fma_f64 v[157:158], v[7:8], v[167:168], v[206:207]
	v_add_f64 v[127:128], v[127:128], v[143:144]
	s_clause 0x4
	buffer_load_dword v144, off, s[0:3], 0 offset:524
	buffer_load_dword v165, off, s[0:3], 0 offset:536
	;; [unrolled: 1-line block ×5, first 2 shown]
	s_waitcnt vmcnt(57) lgkmcnt(0)
	v_mul_f64 v[206:207], v[123:124], v[169:170]
	v_mul_f64 v[168:169], v[125:126], v[169:170]
	s_waitcnt vmcnt(56)
	v_fma_f64 v[153:154], v[1:2], v[155:156], -v[153:154]
	ds_read_b128 v[5:8], v184 offset:1200
	v_fma_f64 v[149:150], v[3:4], v[155:156], v[149:150]
	s_clause 0x2
	buffer_load_dword v166, off, s[0:3], 0 offset:540
	buffer_load_dword v156, off, s[0:3], 0 offset:516
	;; [unrolled: 1-line block ×3, first 2 shown]
	ds_read_b128 v[1:4], v184 offset:1216
	v_add_f64 v[135:136], v[135:136], v[161:162]
	v_add_f64 v[127:128], v[127:128], v[157:158]
	s_waitcnt vmcnt(58) lgkmcnt(1)
	v_mul_f64 v[161:162], v[7:8], v[173:174]
	s_waitcnt vmcnt(56)
	v_fma_f64 v[169:170], v[123:124], v[175:176], -v[168:169]
	v_mul_f64 v[157:158], v[5:6], v[173:174]
	v_add_f64 v[135:136], v[135:136], v[153:154]
	v_fma_f64 v[153:154], v[125:126], v[175:176], v[206:207]
	v_add_f64 v[127:128], v[127:128], v[149:150]
	s_clause 0x4
	buffer_load_dword v150, off, s[0:3], 0 offset:556
	buffer_load_dword v173, off, s[0:3], 0 offset:568
	;; [unrolled: 1-line block ×5, first 2 shown]
	s_waitcnt vmcnt(57) lgkmcnt(0)
	v_mul_f64 v[206:207], v[1:2], v[177:178]
	v_mul_f64 v[176:177], v[3:4], v[177:178]
	s_waitcnt vmcnt(56)
	v_fma_f64 v[161:162], v[5:6], v[163:164], -v[161:162]
	ds_read_b128 v[123:126], v184 offset:1232
	v_fma_f64 v[157:158], v[7:8], v[163:164], v[157:158]
	v_add_f64 v[135:136], v[135:136], v[169:170]
	v_add_f64 v[127:128], v[127:128], v[153:154]
	s_clause 0x2
	buffer_load_dword v174, off, s[0:3], 0 offset:572
	buffer_load_dword v154, off, s[0:3], 0 offset:548
	;; [unrolled: 1-line block ×3, first 2 shown]
	ds_read_b128 v[5:8], v184 offset:1248
	s_waitcnt vmcnt(58) lgkmcnt(1)
	v_mul_f64 v[169:170], v[125:126], v[179:180]
	s_waitcnt vmcnt(56)
	v_fma_f64 v[177:178], v[1:2], v[181:182], -v[176:177]
	v_mul_f64 v[163:164], v[123:124], v[179:180]
	v_add_f64 v[135:136], v[135:136], v[161:162]
	v_fma_f64 v[161:162], v[3:4], v[181:182], v[206:207]
	v_add_f64 v[127:128], v[127:128], v[157:158]
	s_clause 0x4
	buffer_load_dword v158, off, s[0:3], 0 offset:588
	buffer_load_dword v179, off, s[0:3], 0 offset:600
	;; [unrolled: 1-line block ×5, first 2 shown]
	s_waitcnt vmcnt(57) lgkmcnt(0)
	v_mul_f64 v[206:207], v[5:6], v[191:192]
	v_mul_f64 v[191:192], v[7:8], v[191:192]
	s_waitcnt vmcnt(56)
	v_fma_f64 v[169:170], v[123:124], v[171:172], -v[169:170]
	ds_read_b128 v[1:4], v184 offset:1264
	v_fma_f64 v[163:164], v[125:126], v[171:172], v[163:164]
	v_add_f64 v[135:136], v[135:136], v[177:178]
	v_add_f64 v[127:128], v[127:128], v[161:162]
	s_clause 0x2
	buffer_load_dword v180, off, s[0:3], 0 offset:604
	buffer_load_dword v162, off, s[0:3], 0 offset:580
	;; [unrolled: 1-line block ×3, first 2 shown]
	ds_read_b128 v[123:126], v184 offset:1280
	s_waitcnt vmcnt(58) lgkmcnt(1)
	v_mul_f64 v[177:178], v[3:4], v[193:194]
	v_mul_f64 v[171:172], v[1:2], v[193:194]
	s_waitcnt vmcnt(56)
	v_fma_f64 v[191:192], v[5:6], v[131:132], -v[191:192]
	v_fma_f64 v[131:132], v[7:8], v[131:132], v[206:207]
	v_add_f64 v[135:136], v[135:136], v[169:170]
	v_add_f64 v[127:128], v[127:128], v[163:164]
	s_clause 0x4
	buffer_load_dword v164, off, s[0:3], 0 offset:620
	buffer_load_dword v169, off, s[0:3], 0 offset:632
	;; [unrolled: 1-line block ×5, first 2 shown]
	ds_read_b128 v[5:8], v184 offset:1296
	s_waitcnt vmcnt(57) lgkmcnt(1)
	v_mul_f64 v[206:207], v[123:124], v[129:130]
	v_mul_f64 v[129:130], v[125:126], v[129:130]
	s_waitcnt vmcnt(56)
	v_fma_f64 v[177:178], v[1:2], v[195:196], -v[177:178]
	v_fma_f64 v[171:172], v[3:4], v[195:196], v[171:172]
	v_add_f64 v[135:136], v[135:136], v[191:192]
	v_add_f64 v[127:128], v[127:128], v[131:132]
	s_clause 0x2
	buffer_load_dword v170, off, s[0:3], 0 offset:636
	buffer_load_dword v132, off, s[0:3], 0 offset:612
	;; [unrolled: 1-line block ×3, first 2 shown]
	s_waitcnt vmcnt(58) lgkmcnt(0)
	v_mul_f64 v[195:196], v[7:8], v[197:198]
	ds_read_b128 v[1:4], v184 offset:1312
	v_mul_f64 v[191:192], v[5:6], v[197:198]
	s_waitcnt vmcnt(56)
	v_fma_f64 v[129:130], v[123:124], v[187:188], -v[129:130]
	v_add_f64 v[135:136], v[135:136], v[177:178]
	v_fma_f64 v[177:178], v[125:126], v[187:188], v[206:207]
	v_add_f64 v[127:128], v[127:128], v[171:172]
	s_clause 0x4
	buffer_load_dword v172, off, s[0:3], 0 offset:652
	buffer_load_dword v187, off, s[0:3], 0 offset:664
	;; [unrolled: 1-line block ×5, first 2 shown]
	ds_read_b128 v[123:126], v184 offset:1328
	s_waitcnt vmcnt(57) lgkmcnt(1)
	v_mul_f64 v[206:207], v[1:2], v[147:148]
	v_mul_f64 v[147:148], v[3:4], v[147:148]
	s_waitcnt vmcnt(56)
	v_fma_f64 v[195:196], v[5:6], v[202:203], -v[195:196]
	v_add_f64 v[129:130], v[135:136], v[129:130]
	v_fma_f64 v[135:136], v[7:8], v[202:203], v[191:192]
	v_add_f64 v[127:128], v[127:128], v[177:178]
	s_clause 0x2
	buffer_load_dword v188, off, s[0:3], 0 offset:668
	buffer_load_dword v178, off, s[0:3], 0 offset:644
	;; [unrolled: 1-line block ×3, first 2 shown]
	ds_read_b128 v[5:8], v184 offset:1344
	s_waitcnt vmcnt(58) lgkmcnt(1)
	v_mul_f64 v[191:192], v[123:124], v[189:190]
	v_mul_f64 v[189:190], v[125:126], v[189:190]
	s_waitcnt vmcnt(56)
	v_fma_f64 v[147:148], v[1:2], v[141:142], -v[147:148]
	v_fma_f64 v[141:142], v[3:4], v[141:142], v[206:207]
	v_add_f64 v[129:130], v[129:130], v[195:196]
	v_add_f64 v[127:128], v[127:128], v[135:136]
	s_clause 0x4
	buffer_load_dword v136, off, s[0:3], 0 offset:684
	buffer_load_dword v195, off, s[0:3], 0 offset:696
	buffer_load_dword v201, off, s[0:3], 0 offset:688
	buffer_load_dword v135, off, s[0:3], 0 offset:680
	buffer_load_dword v198, off, s[0:3], 0 offset:660
	ds_read_b128 v[1:4], v184 offset:1360
	s_waitcnt vmcnt(57) lgkmcnt(1)
	v_mul_f64 v[202:203], v[5:6], v[133:134]
	v_mul_f64 v[133:134], v[7:8], v[133:134]
	s_waitcnt vmcnt(56)
	v_fma_f64 v[189:190], v[123:124], v[204:205], -v[189:190]
	v_add_f64 v[129:130], v[129:130], v[147:148]
	v_fma_f64 v[147:148], v[125:126], v[204:205], v[191:192]
	v_add_f64 v[127:128], v[127:128], v[141:142]
	s_clause 0x2
	buffer_load_dword v196, off, s[0:3], 0 offset:700
	buffer_load_dword v142, off, s[0:3], 0 offset:676
	;; [unrolled: 1-line block ×3, first 2 shown]
	ds_read_b128 v[123:126], v184 offset:1376
	s_waitcnt vmcnt(58) lgkmcnt(1)
	v_mul_f64 v[191:192], v[1:2], v[151:152]
	v_mul_f64 v[151:152], v[3:4], v[151:152]
	s_waitcnt vmcnt(56)
	v_fma_f64 v[133:134], v[5:6], v[139:140], -v[133:134]
	v_fma_f64 v[139:140], v[7:8], v[139:140], v[202:203]
	v_add_f64 v[129:130], v[129:130], v[189:190]
	v_add_f64 v[127:128], v[127:128], v[147:148]
	s_clause 0x4
	buffer_load_dword v148, off, s[0:3], 0 offset:716
	buffer_load_dword v189, off, s[0:3], 0 offset:728
	buffer_load_dword v203, off, s[0:3], 0 offset:720
	buffer_load_dword v147, off, s[0:3], 0 offset:712
	buffer_load_dword v202, off, s[0:3], 0 offset:692
	ds_read_b128 v[5:8], v184 offset:1392
	s_waitcnt vmcnt(57) lgkmcnt(1)
	v_mul_f64 v[204:205], v[123:124], v[137:138]
	v_mul_f64 v[137:138], v[125:126], v[137:138]
	s_waitcnt vmcnt(56)
	v_fma_f64 v[151:152], v[1:2], v[199:200], -v[151:152]
	v_add_f64 v[129:130], v[129:130], v[133:134]
	v_fma_f64 v[133:134], v[3:4], v[199:200], v[191:192]
	v_add_f64 v[127:128], v[127:128], v[139:140]
	s_clause 0x2
	buffer_load_dword v190, off, s[0:3], 0 offset:732
	buffer_load_dword v140, off, s[0:3], 0 offset:708
	;; [unrolled: 1-line block ×3, first 2 shown]
	s_waitcnt vmcnt(58) lgkmcnt(0)
	v_mul_f64 v[191:192], v[5:6], v[159:160]
	v_mul_f64 v[159:160], v[7:8], v[159:160]
	ds_read_b128 v[1:4], v184 offset:1408
	s_waitcnt vmcnt(56)
	v_fma_f64 v[137:138], v[123:124], v[145:146], -v[137:138]
	v_fma_f64 v[145:146], v[125:126], v[145:146], v[204:205]
	v_add_f64 v[129:130], v[129:130], v[151:152]
	v_add_f64 v[127:128], v[127:128], v[133:134]
	s_clause 0x4
	buffer_load_dword v134, off, s[0:3], 0 offset:748
	buffer_load_dword v151, off, s[0:3], 0 offset:760
	buffer_load_dword v199, off, s[0:3], 0 offset:752
	buffer_load_dword v133, off, s[0:3], 0 offset:744
	buffer_load_dword v204, off, s[0:3], 0 offset:724
	ds_read_b128 v[123:126], v184 offset:1424
	s_waitcnt vmcnt(57) lgkmcnt(1)
	v_mul_f64 v[205:206], v[1:2], v[143:144]
	v_mul_f64 v[143:144], v[3:4], v[143:144]
	s_waitcnt vmcnt(56)
	v_fma_f64 v[159:160], v[5:6], v[185:186], -v[159:160]
	v_add_f64 v[129:130], v[129:130], v[137:138]
	v_fma_f64 v[137:138], v[7:8], v[185:186], v[191:192]
	v_add_f64 v[127:128], v[127:128], v[145:146]
	s_clause 0x2
	buffer_load_dword v152, off, s[0:3], 0 offset:764
	buffer_load_dword v146, off, s[0:3], 0 offset:740
	;; [unrolled: 1-line block ×3, first 2 shown]
	s_waitcnt vmcnt(58) lgkmcnt(0)
	v_mul_f64 v[185:186], v[123:124], v[165:166]
	v_mul_f64 v[165:166], v[125:126], v[165:166]
	ds_read_b128 v[5:8], v184 offset:1440
	s_waitcnt vmcnt(56)
	v_fma_f64 v[143:144], v[1:2], v[155:156], -v[143:144]
	v_fma_f64 v[155:156], v[3:4], v[155:156], v[205:206]
	v_add_f64 v[129:130], v[129:130], v[159:160]
	v_add_f64 v[127:128], v[127:128], v[137:138]
	s_clause 0x4
	buffer_load_dword v138, off, s[0:3], 0 offset:780
	buffer_load_dword v159, off, s[0:3], 0 offset:792
	buffer_load_dword v191, off, s[0:3], 0 offset:784
	buffer_load_dword v137, off, s[0:3], 0 offset:776
	buffer_load_dword v200, off, s[0:3], 0 offset:756
	ds_read_b128 v[1:4], v184 offset:1456
	s_waitcnt vmcnt(57) lgkmcnt(1)
	v_mul_f64 v[205:206], v[5:6], v[149:150]
	v_mul_f64 v[149:150], v[7:8], v[149:150]
	s_waitcnt vmcnt(56)
	v_fma_f64 v[165:166], v[123:124], v[167:168], -v[165:166]
	v_add_f64 v[129:130], v[129:130], v[143:144]
	v_fma_f64 v[143:144], v[125:126], v[167:168], v[185:186]
	v_add_f64 v[127:128], v[127:128], v[155:156]
	s_clause 0x2
	buffer_load_dword v160, off, s[0:3], 0 offset:796
	buffer_load_dword v156, off, s[0:3], 0 offset:772
	buffer_load_dword v155, off, s[0:3], 0 offset:768
	ds_read_b128 v[123:126], v184 offset:1472
	s_waitcnt vmcnt(58) lgkmcnt(1)
	v_mul_f64 v[167:168], v[1:2], v[173:174]
	v_mul_f64 v[173:174], v[3:4], v[173:174]
	s_waitcnt vmcnt(56)
	v_fma_f64 v[149:150], v[5:6], v[153:154], -v[149:150]
	v_fma_f64 v[153:154], v[7:8], v[153:154], v[205:206]
	v_add_f64 v[129:130], v[129:130], v[165:166]
	v_add_f64 v[127:128], v[127:128], v[143:144]
	s_clause 0x4
	buffer_load_dword v144, off, s[0:3], 0 offset:812
	buffer_load_dword v165, off, s[0:3], 0 offset:824
	buffer_load_dword v185, off, s[0:3], 0 offset:816
	buffer_load_dword v143, off, s[0:3], 0 offset:808
	buffer_load_dword v192, off, s[0:3], 0 offset:788
	ds_read_b128 v[5:8], v184 offset:1488
	s_waitcnt vmcnt(57) lgkmcnt(1)
	v_mul_f64 v[205:206], v[123:124], v[157:158]
	v_mul_f64 v[157:158], v[125:126], v[157:158]
	s_waitcnt vmcnt(56)
	v_fma_f64 v[173:174], v[1:2], v[175:176], -v[173:174]
	v_add_f64 v[129:130], v[129:130], v[149:150]
	v_fma_f64 v[149:150], v[3:4], v[175:176], v[167:168]
	v_add_f64 v[127:128], v[127:128], v[153:154]
	s_clause 0x2
	buffer_load_dword v166, off, s[0:3], 0 offset:828
	buffer_load_dword v154, off, s[0:3], 0 offset:804
	buffer_load_dword v153, off, s[0:3], 0 offset:800
	ds_read_b128 v[1:4], v184 offset:1504
	s_waitcnt vmcnt(58) lgkmcnt(1)
	v_mul_f64 v[175:176], v[7:8], v[179:180]
	v_mul_f64 v[167:168], v[5:6], v[179:180]
	;; [unrolled: 28-line block ×4, first 2 shown]
	s_waitcnt vmcnt(56)
	v_fma_f64 v[171:172], v[5:6], v[177:178], -v[171:172]
	v_add_f64 v[129:130], v[129:130], v[169:170]
	v_fma_f64 v[169:170], v[7:8], v[177:178], v[205:206]
	v_add_f64 v[127:128], v[127:128], v[163:164]
	s_clause 0x4
	buffer_load_dword v164, off, s[0:3], 0 offset:908
	buffer_load_dword v177, off, s[0:3], 0 offset:920
	;; [unrolled: 1-line block ×5, first 2 shown]
	ds_read_b128 v[5:8], v184 offset:1584
	s_waitcnt vmcnt(57) lgkmcnt(1)
	v_mul_f64 v[205:206], v[123:124], v[135:136]
	v_mul_f64 v[135:136], v[125:126], v[135:136]
	s_waitcnt vmcnt(56)
	v_fma_f64 v[187:188], v[1:2], v[197:198], -v[187:188]
	v_fma_f64 v[167:168], v[3:4], v[197:198], v[167:168]
	v_add_f64 v[129:130], v[129:130], v[171:172]
	v_add_f64 v[127:128], v[127:128], v[169:170]
	s_clause 0x2
	buffer_load_dword v178, off, s[0:3], 0 offset:924
	buffer_load_dword v170, off, s[0:3], 0 offset:900
	;; [unrolled: 1-line block ×3, first 2 shown]
	ds_read_b128 v[1:4], v184 offset:1600
	buffer_load_dword v194, off, s[0:3], 0 offset:916
	s_waitcnt vmcnt(59) lgkmcnt(1)
	v_mul_f64 v[171:172], v[5:6], v[195:196]
	v_mul_f64 v[195:196], v[7:8], v[195:196]
	s_waitcnt vmcnt(57)
	v_fma_f64 v[135:136], v[123:124], v[141:142], -v[135:136]
	v_fma_f64 v[141:142], v[125:126], v[141:142], v[205:206]
	ds_read_b128 v[123:126], v184 offset:1616
	v_add_f64 v[129:130], v[129:130], v[187:188]
	v_add_f64 v[127:128], v[127:128], v[167:168]
	s_waitcnt vmcnt(53) lgkmcnt(1)
	v_mul_f64 v[167:168], v[1:2], v[147:148]
	v_mul_f64 v[147:148], v[3:4], v[147:148]
	s_waitcnt vmcnt(52)
	v_fma_f64 v[187:188], v[5:6], v[201:202], -v[195:196]
	v_add_f64 v[129:130], v[129:130], v[135:136]
	v_fma_f64 v[135:136], v[7:8], v[201:202], v[171:172]
	v_add_f64 v[127:128], v[127:128], v[141:142]
	ds_read_b128 v[5:8], v184 offset:1632
	s_waitcnt vmcnt(51) lgkmcnt(1)
	v_mul_f64 v[171:172], v[125:126], v[189:190]
	v_mul_f64 v[141:142], v[123:124], v[189:190]
	s_waitcnt vmcnt(49)
	v_fma_f64 v[147:148], v[1:2], v[139:140], -v[147:148]
	v_fma_f64 v[139:140], v[3:4], v[139:140], v[167:168]
	v_add_f64 v[129:130], v[129:130], v[187:188]
	v_add_f64 v[127:128], v[127:128], v[135:136]
	s_clause 0x3
	buffer_load_dword v135, off, s[0:3], 0 offset:96
	buffer_load_dword v136, off, s[0:3], 0 offset:100
	;; [unrolled: 1-line block ×4, first 2 shown]
	ds_read_b128 v[1:4], v184 offset:1648
	s_waitcnt vmcnt(49) lgkmcnt(1)
	v_mul_f64 v[187:188], v[5:6], v[133:134]
	v_mul_f64 v[133:134], v[7:8], v[133:134]
	s_waitcnt vmcnt(48)
	v_fma_f64 v[171:172], v[123:124], v[203:204], -v[171:172]
	v_fma_f64 v[141:142], v[125:126], v[203:204], v[141:142]
	ds_read_b128 v[123:126], v184 offset:1664
	v_add_f64 v[129:130], v[129:130], v[147:148]
	v_add_f64 v[127:128], v[127:128], v[139:140]
	s_waitcnt vmcnt(47) lgkmcnt(1)
	v_mul_f64 v[147:148], v[3:4], v[151:152]
	v_mul_f64 v[139:140], v[1:2], v[151:152]
	s_waitcnt vmcnt(45)
	v_fma_f64 v[133:134], v[5:6], v[145:146], -v[133:134]
	v_fma_f64 v[145:146], v[7:8], v[145:146], v[187:188]
	ds_read_b128 v[5:8], v184 offset:1680
	v_add_f64 v[129:130], v[129:130], v[171:172]
	v_add_f64 v[127:128], v[127:128], v[141:142]
	s_waitcnt vmcnt(41) lgkmcnt(1)
	v_mul_f64 v[141:142], v[123:124], v[137:138]
	v_mul_f64 v[137:138], v[125:126], v[137:138]
	s_waitcnt vmcnt(40)
	v_fma_f64 v[147:148], v[1:2], v[199:200], -v[147:148]
	v_add_f64 v[129:130], v[129:130], v[133:134]
	v_fma_f64 v[133:134], v[3:4], v[199:200], v[139:140]
	v_add_f64 v[127:128], v[127:128], v[145:146]
	ds_read_b128 v[1:4], v184 offset:1696
	s_waitcnt vmcnt(39) lgkmcnt(1)
	v_mul_f64 v[145:146], v[7:8], v[159:160]
	v_mul_f64 v[139:140], v[5:6], v[159:160]
	s_waitcnt vmcnt(37)
	v_fma_f64 v[137:138], v[123:124], v[155:156], -v[137:138]
	v_fma_f64 v[141:142], v[125:126], v[155:156], v[141:142]
	ds_read_b128 v[123:126], v184 offset:1712
	v_add_f64 v[129:130], v[129:130], v[147:148]
	v_add_f64 v[127:128], v[127:128], v[133:134]
	s_waitcnt vmcnt(33) lgkmcnt(1)
	v_mul_f64 v[133:134], v[1:2], v[143:144]
	v_mul_f64 v[143:144], v[3:4], v[143:144]
	s_waitcnt vmcnt(32)
	v_fma_f64 v[145:146], v[5:6], v[191:192], -v[145:146]
	v_add_f64 v[129:130], v[129:130], v[137:138]
	v_fma_f64 v[137:138], v[7:8], v[191:192], v[139:140]
	v_add_f64 v[127:128], v[127:128], v[141:142]
	ds_read_b128 v[5:8], v184 offset:1728
	s_waitcnt vmcnt(31) lgkmcnt(1)
	v_mul_f64 v[141:142], v[125:126], v[165:166]
	v_mul_f64 v[139:140], v[123:124], v[165:166]
	s_waitcnt vmcnt(29)
	v_fma_f64 v[143:144], v[1:2], v[153:154], -v[143:144]
	v_fma_f64 v[133:134], v[3:4], v[153:154], v[133:134]
	ds_read_b128 v[1:4], v184 offset:1744
	v_add_f64 v[129:130], v[129:130], v[145:146]
	v_add_f64 v[127:128], v[127:128], v[137:138]
	s_waitcnt vmcnt(25) lgkmcnt(1)
	v_mul_f64 v[145:146], v[7:8], v[149:150]
	s_waitcnt vmcnt(24)
	v_fma_f64 v[141:142], v[123:124], v[185:186], -v[141:142]
	v_mul_f64 v[137:138], v[5:6], v[149:150]
	v_fma_f64 v[139:140], v[125:126], v[185:186], v[139:140]
	ds_read_b128 v[123:126], v184 offset:1760
	v_add_f64 v[129:130], v[129:130], v[143:144]
	v_add_f64 v[127:128], v[127:128], v[133:134]
	s_waitcnt vmcnt(23) lgkmcnt(1)
	v_mul_f64 v[143:144], v[3:4], v[173:174]
	v_mul_f64 v[133:134], v[1:2], v[173:174]
	s_waitcnt vmcnt(21)
	v_fma_f64 v[145:146], v[5:6], v[161:162], -v[145:146]
	v_fma_f64 v[137:138], v[7:8], v[161:162], v[137:138]
	ds_read_b128 v[5:8], v184 offset:1776
	v_add_f64 v[129:130], v[129:130], v[141:142]
	v_add_f64 v[127:128], v[127:128], v[139:140]
	s_waitcnt vmcnt(17) lgkmcnt(1)
	v_mul_f64 v[141:142], v[125:126], v[157:158]
	s_waitcnt vmcnt(16)
	v_fma_f64 v[143:144], v[1:2], v[179:180], -v[143:144]
	v_mul_f64 v[139:140], v[123:124], v[157:158]
	v_fma_f64 v[133:134], v[3:4], v[179:180], v[133:134]
	ds_read_b128 v[1:4], v184 offset:1792
	v_add_f64 v[129:130], v[129:130], v[145:146]
	v_add_f64 v[127:128], v[127:128], v[137:138]
	s_waitcnt vmcnt(15) lgkmcnt(1)
	v_mul_f64 v[145:146], v[7:8], v[175:176]
	v_mul_f64 v[137:138], v[5:6], v[175:176]
	s_waitcnt vmcnt(13)
	v_fma_f64 v[141:142], v[123:124], v[131:132], -v[141:142]
	v_fma_f64 v[131:132], v[125:126], v[131:132], v[139:140]
	ds_read_b128 v[123:126], v184 offset:1808
	v_add_f64 v[129:130], v[129:130], v[143:144]
	v_add_f64 v[127:128], v[127:128], v[133:134]
	s_waitcnt vmcnt(9) lgkmcnt(1)
	v_mul_f64 v[139:140], v[3:4], v[163:164]
	s_waitcnt vmcnt(8)
	v_fma_f64 v[5:6], v[5:6], v[181:182], -v[145:146]
	v_mul_f64 v[133:134], v[1:2], v[163:164]
	v_fma_f64 v[7:8], v[7:8], v[181:182], v[137:138]
	v_add_f64 v[129:130], v[129:130], v[141:142]
	v_add_f64 v[127:128], v[127:128], v[131:132]
	s_waitcnt vmcnt(7) lgkmcnt(0)
	v_mul_f64 v[137:138], v[125:126], v[177:178]
	v_mul_f64 v[131:132], v[123:124], v[177:178]
	s_waitcnt vmcnt(5)
	v_fma_f64 v[1:2], v[1:2], v[169:170], -v[139:140]
	v_fma_f64 v[3:4], v[3:4], v[169:170], v[133:134]
	v_add_f64 v[5:6], v[129:130], v[5:6]
	v_add_f64 v[7:8], v[127:128], v[7:8]
	s_waitcnt vmcnt(4)
	v_fma_f64 v[123:124], v[123:124], v[193:194], -v[137:138]
	v_add_f64 v[1:2], v[5:6], v[1:2]
	v_fma_f64 v[5:6], v[125:126], v[193:194], v[131:132]
	v_add_f64 v[3:4], v[7:8], v[3:4]
	v_add_f64 v[1:2], v[1:2], v[123:124]
	;; [unrolled: 1-line block ×3, first 2 shown]
	s_waitcnt vmcnt(2)
	v_add_f64 v[1:2], v[135:136], -v[1:2]
	s_waitcnt vmcnt(0)
	v_add_f64 v[3:4], v[167:168], -v[3:4]
	buffer_store_dword v2, off, s[0:3], 0 offset:100
	buffer_store_dword v1, off, s[0:3], 0 offset:96
	;; [unrolled: 1-line block ×4, first 2 shown]
	v_cmpx_lt_u32_e32 4, v0
	s_cbranch_execz .LBB120_347
; %bb.346:
	v_mov_b32_e32 v4, s65
	s_clause 0x3
	buffer_load_dword v1, v4, s[0:3], 0 offen
	buffer_load_dword v2, v4, s[0:3], 0 offen offset:4
	buffer_load_dword v3, v4, s[0:3], 0 offen offset:8
	;; [unrolled: 1-line block ×3, first 2 shown]
	buffer_store_dword v184, off, s[0:3], 0 offset:80
	buffer_store_dword v184, off, s[0:3], 0 offset:84
	;; [unrolled: 1-line block ×4, first 2 shown]
	s_waitcnt vmcnt(0)
	ds_write_b128 v183, v[1:4]
.LBB120_347:
	s_or_b32 exec_lo, exec_lo, s4
	s_waitcnt lgkmcnt(0)
	s_waitcnt_vscnt null, 0x0
	s_barrier
	buffer_gl0_inv
	s_clause 0x37
	buffer_load_dword v131, off, s[0:3], 0 offset:104
	buffer_load_dword v132, off, s[0:3], 0 offset:108
	;; [unrolled: 1-line block ×56, first 2 shown]
	ds_read_b128 v[5:8], v184 offset:992
	s_clause 0x2
	buffer_load_dword v180, off, s[0:3], 0 offset:332
	buffer_load_dword v182, off, s[0:3], 0 offset:308
	;; [unrolled: 1-line block ×3, first 2 shown]
	ds_read_b128 v[1:4], v184 offset:1008
	s_clause 0x4
	buffer_load_dword v192, off, s[0:3], 0 offset:348
	buffer_load_dword v193, off, s[0:3], 0 offset:360
	;; [unrolled: 1-line block ×5, first 2 shown]
	ds_read_b128 v[185:188], v184 offset:1024
	s_mov_b32 s4, exec_lo
	s_waitcnt vmcnt(62) lgkmcnt(2)
	v_mul_f64 v[189:190], v[7:8], v[131:132]
	v_mul_f64 v[131:132], v[5:6], v[131:132]
	s_waitcnt vmcnt(60) lgkmcnt(1)
	v_mul_f64 v[196:197], v[3:4], v[127:128]
	v_mul_f64 v[127:128], v[1:2], v[127:128]
	s_waitcnt vmcnt(56) lgkmcnt(0)
	v_mul_f64 v[198:199], v[185:186], v[125:126]
	v_mul_f64 v[125:126], v[187:188], v[125:126]
	v_fma_f64 v[189:190], v[5:6], v[129:130], -v[189:190]
	v_fma_f64 v[129:130], v[7:8], v[129:130], v[131:132]
	s_clause 0x2
	buffer_load_dword v194, off, s[0:3], 0 offset:364
	buffer_load_dword v132, off, s[0:3], 0 offset:340
	;; [unrolled: 1-line block ×3, first 2 shown]
	s_waitcnt vmcnt(57)
	v_fma_f64 v[200:201], v[1:2], v[123:124], -v[196:197]
	ds_read_b128 v[5:8], v184 offset:1040
	v_fma_f64 v[123:124], v[3:4], v[123:124], v[127:128]
	s_waitcnt vmcnt(51)
	v_fma_f64 v[185:186], v[185:186], v[147:148], -v[125:126]
	v_fma_f64 v[147:148], v[187:188], v[147:148], v[198:199]
	v_add_f64 v[189:190], v[189:190], 0
	v_add_f64 v[127:128], v[129:130], 0
	s_clause 0x4
	buffer_load_dword v130, off, s[0:3], 0 offset:380
	buffer_load_dword v197, off, s[0:3], 0 offset:392
	;; [unrolled: 1-line block ×5, first 2 shown]
	s_waitcnt lgkmcnt(0)
	v_mul_f64 v[203:204], v[5:6], v[135:136]
	v_mul_f64 v[135:136], v[7:8], v[135:136]
	ds_read_b128 v[1:4], v184 offset:1056
	s_clause 0x2
	buffer_load_dword v198, off, s[0:3], 0 offset:396
	buffer_load_dword v188, off, s[0:3], 0 offset:372
	;; [unrolled: 1-line block ×3, first 2 shown]
	v_add_f64 v[189:190], v[189:190], v[200:201]
	v_add_f64 v[127:128], v[127:128], v[123:124]
	ds_read_b128 v[123:126], v184 offset:1072
	s_waitcnt vmcnt(58) lgkmcnt(1)
	v_mul_f64 v[199:200], v[1:2], v[139:140]
	v_mul_f64 v[139:140], v[3:4], v[139:140]
	s_waitcnt vmcnt(56)
	v_fma_f64 v[135:136], v[5:6], v[141:142], -v[135:136]
	v_fma_f64 v[141:142], v[7:8], v[141:142], v[203:204]
	s_waitcnt vmcnt(52) lgkmcnt(0)
	v_mul_f64 v[205:206], v[123:124], v[143:144]
	v_add_f64 v[185:186], v[189:190], v[185:186]
	v_add_f64 v[127:128], v[127:128], v[147:148]
	s_clause 0x4
	buffer_load_dword v148, off, s[0:3], 0 offset:412
	buffer_load_dword v189, off, s[0:3], 0 offset:424
	;; [unrolled: 1-line block ×5, first 2 shown]
	v_mul_f64 v[143:144], v[125:126], v[143:144]
	s_waitcnt vmcnt(56)
	v_fma_f64 v[139:140], v[1:2], v[133:134], -v[139:140]
	ds_read_b128 v[5:8], v184 offset:1088
	v_fma_f64 v[133:134], v[3:4], v[133:134], v[199:200]
	v_add_f64 v[135:136], v[185:186], v[135:136]
	v_add_f64 v[127:128], v[127:128], v[141:142]
	s_clause 0x2
	buffer_load_dword v190, off, s[0:3], 0 offset:428
	buffer_load_dword v142, off, s[0:3], 0 offset:404
	;; [unrolled: 1-line block ×3, first 2 shown]
	s_waitcnt vmcnt(58) lgkmcnt(0)
	v_mul_f64 v[185:186], v[5:6], v[149:150]
	v_mul_f64 v[149:150], v[7:8], v[149:150]
	s_waitcnt vmcnt(56)
	v_fma_f64 v[143:144], v[123:124], v[151:152], -v[143:144]
	ds_read_b128 v[1:4], v184 offset:1104
	v_add_f64 v[135:136], v[135:136], v[139:140]
	v_fma_f64 v[139:140], v[125:126], v[151:152], v[205:206]
	v_add_f64 v[127:128], v[127:128], v[133:134]
	s_clause 0x4
	buffer_load_dword v134, off, s[0:3], 0 offset:444
	buffer_load_dword v151, off, s[0:3], 0 offset:456
	;; [unrolled: 1-line block ×5, first 2 shown]
	s_waitcnt vmcnt(57) lgkmcnt(0)
	v_mul_f64 v[200:201], v[1:2], v[153:154]
	v_mul_f64 v[153:154], v[3:4], v[153:154]
	s_waitcnt vmcnt(56)
	v_fma_f64 v[149:150], v[5:6], v[137:138], -v[149:150]
	ds_read_b128 v[123:126], v184 offset:1120
	v_fma_f64 v[137:138], v[7:8], v[137:138], v[185:186]
	v_add_f64 v[135:136], v[135:136], v[143:144]
	v_add_f64 v[127:128], v[127:128], v[139:140]
	s_clause 0x2
	buffer_load_dword v152, off, s[0:3], 0 offset:460
	buffer_load_dword v140, off, s[0:3], 0 offset:436
	;; [unrolled: 1-line block ×3, first 2 shown]
	ds_read_b128 v[5:8], v184 offset:1136
	s_waitcnt vmcnt(58) lgkmcnt(1)
	v_mul_f64 v[143:144], v[123:124], v[157:158]
	v_mul_f64 v[157:158], v[125:126], v[157:158]
	s_waitcnt vmcnt(56)
	v_fma_f64 v[153:154], v[1:2], v[159:160], -v[153:154]
	v_add_f64 v[135:136], v[135:136], v[149:150]
	v_fma_f64 v[149:150], v[3:4], v[159:160], v[200:201]
	v_add_f64 v[127:128], v[127:128], v[137:138]
	s_clause 0x4
	buffer_load_dword v138, off, s[0:3], 0 offset:476
	buffer_load_dword v159, off, s[0:3], 0 offset:488
	;; [unrolled: 1-line block ×5, first 2 shown]
	s_waitcnt vmcnt(57) lgkmcnt(0)
	v_mul_f64 v[206:207], v[5:6], v[161:162]
	v_mul_f64 v[161:162], v[7:8], v[161:162]
	s_waitcnt vmcnt(56)
	v_fma_f64 v[157:158], v[123:124], v[145:146], -v[157:158]
	ds_read_b128 v[1:4], v184 offset:1152
	v_fma_f64 v[143:144], v[125:126], v[145:146], v[143:144]
	s_clause 0x2
	buffer_load_dword v160, off, s[0:3], 0 offset:492
	buffer_load_dword v146, off, s[0:3], 0 offset:468
	;; [unrolled: 1-line block ×3, first 2 shown]
	ds_read_b128 v[123:126], v184 offset:1168
	v_add_f64 v[135:136], v[135:136], v[153:154]
	v_add_f64 v[127:128], v[127:128], v[149:150]
	s_waitcnt vmcnt(58) lgkmcnt(1)
	v_mul_f64 v[153:154], v[3:4], v[165:166]
	s_waitcnt vmcnt(56)
	v_fma_f64 v[161:162], v[5:6], v[167:168], -v[161:162]
	v_mul_f64 v[149:150], v[1:2], v[165:166]
	v_add_f64 v[135:136], v[135:136], v[157:158]
	v_fma_f64 v[157:158], v[7:8], v[167:168], v[206:207]
	v_add_f64 v[127:128], v[127:128], v[143:144]
	s_clause 0x4
	buffer_load_dword v144, off, s[0:3], 0 offset:508
	buffer_load_dword v165, off, s[0:3], 0 offset:520
	;; [unrolled: 1-line block ×5, first 2 shown]
	s_waitcnt vmcnt(57) lgkmcnt(0)
	v_mul_f64 v[206:207], v[123:124], v[169:170]
	v_mul_f64 v[168:169], v[125:126], v[169:170]
	s_waitcnt vmcnt(56)
	v_fma_f64 v[153:154], v[1:2], v[155:156], -v[153:154]
	ds_read_b128 v[5:8], v184 offset:1184
	v_fma_f64 v[149:150], v[3:4], v[155:156], v[149:150]
	s_clause 0x2
	buffer_load_dword v166, off, s[0:3], 0 offset:524
	buffer_load_dword v156, off, s[0:3], 0 offset:500
	;; [unrolled: 1-line block ×3, first 2 shown]
	ds_read_b128 v[1:4], v184 offset:1200
	v_add_f64 v[135:136], v[135:136], v[161:162]
	v_add_f64 v[127:128], v[127:128], v[157:158]
	s_waitcnt vmcnt(58) lgkmcnt(1)
	v_mul_f64 v[161:162], v[7:8], v[173:174]
	s_waitcnt vmcnt(56)
	v_fma_f64 v[169:170], v[123:124], v[175:176], -v[168:169]
	v_mul_f64 v[157:158], v[5:6], v[173:174]
	v_add_f64 v[135:136], v[135:136], v[153:154]
	v_fma_f64 v[153:154], v[125:126], v[175:176], v[206:207]
	v_add_f64 v[127:128], v[127:128], v[149:150]
	s_clause 0x4
	buffer_load_dword v150, off, s[0:3], 0 offset:540
	buffer_load_dword v173, off, s[0:3], 0 offset:552
	;; [unrolled: 1-line block ×5, first 2 shown]
	s_waitcnt vmcnt(57) lgkmcnt(0)
	v_mul_f64 v[206:207], v[1:2], v[177:178]
	v_mul_f64 v[176:177], v[3:4], v[177:178]
	s_waitcnt vmcnt(56)
	v_fma_f64 v[161:162], v[5:6], v[163:164], -v[161:162]
	ds_read_b128 v[123:126], v184 offset:1216
	v_fma_f64 v[157:158], v[7:8], v[163:164], v[157:158]
	v_add_f64 v[135:136], v[135:136], v[169:170]
	v_add_f64 v[127:128], v[127:128], v[153:154]
	s_clause 0x2
	buffer_load_dword v174, off, s[0:3], 0 offset:556
	buffer_load_dword v154, off, s[0:3], 0 offset:532
	;; [unrolled: 1-line block ×3, first 2 shown]
	ds_read_b128 v[5:8], v184 offset:1232
	s_waitcnt vmcnt(58) lgkmcnt(1)
	v_mul_f64 v[169:170], v[125:126], v[179:180]
	s_waitcnt vmcnt(56)
	v_fma_f64 v[177:178], v[1:2], v[181:182], -v[176:177]
	v_mul_f64 v[163:164], v[123:124], v[179:180]
	v_add_f64 v[135:136], v[135:136], v[161:162]
	v_fma_f64 v[161:162], v[3:4], v[181:182], v[206:207]
	v_add_f64 v[127:128], v[127:128], v[157:158]
	s_clause 0x4
	buffer_load_dword v158, off, s[0:3], 0 offset:572
	buffer_load_dword v179, off, s[0:3], 0 offset:584
	;; [unrolled: 1-line block ×5, first 2 shown]
	s_waitcnt vmcnt(57) lgkmcnt(0)
	v_mul_f64 v[206:207], v[5:6], v[191:192]
	v_mul_f64 v[191:192], v[7:8], v[191:192]
	s_waitcnt vmcnt(56)
	v_fma_f64 v[169:170], v[123:124], v[171:172], -v[169:170]
	ds_read_b128 v[1:4], v184 offset:1248
	v_fma_f64 v[163:164], v[125:126], v[171:172], v[163:164]
	v_add_f64 v[135:136], v[135:136], v[177:178]
	v_add_f64 v[127:128], v[127:128], v[161:162]
	s_clause 0x2
	buffer_load_dword v180, off, s[0:3], 0 offset:588
	buffer_load_dword v162, off, s[0:3], 0 offset:564
	;; [unrolled: 1-line block ×3, first 2 shown]
	ds_read_b128 v[123:126], v184 offset:1264
	s_waitcnt vmcnt(58) lgkmcnt(1)
	v_mul_f64 v[177:178], v[3:4], v[193:194]
	v_mul_f64 v[171:172], v[1:2], v[193:194]
	s_waitcnt vmcnt(56)
	v_fma_f64 v[191:192], v[5:6], v[131:132], -v[191:192]
	v_fma_f64 v[131:132], v[7:8], v[131:132], v[206:207]
	v_add_f64 v[135:136], v[135:136], v[169:170]
	v_add_f64 v[127:128], v[127:128], v[163:164]
	s_clause 0x4
	buffer_load_dword v164, off, s[0:3], 0 offset:604
	buffer_load_dword v169, off, s[0:3], 0 offset:616
	;; [unrolled: 1-line block ×5, first 2 shown]
	ds_read_b128 v[5:8], v184 offset:1280
	s_waitcnt vmcnt(57) lgkmcnt(1)
	v_mul_f64 v[206:207], v[123:124], v[129:130]
	v_mul_f64 v[129:130], v[125:126], v[129:130]
	s_waitcnt vmcnt(56)
	v_fma_f64 v[177:178], v[1:2], v[195:196], -v[177:178]
	v_fma_f64 v[171:172], v[3:4], v[195:196], v[171:172]
	v_add_f64 v[135:136], v[135:136], v[191:192]
	v_add_f64 v[127:128], v[127:128], v[131:132]
	s_clause 0x2
	buffer_load_dword v170, off, s[0:3], 0 offset:620
	buffer_load_dword v132, off, s[0:3], 0 offset:596
	;; [unrolled: 1-line block ×3, first 2 shown]
	s_waitcnt vmcnt(58) lgkmcnt(0)
	v_mul_f64 v[195:196], v[7:8], v[197:198]
	ds_read_b128 v[1:4], v184 offset:1296
	v_mul_f64 v[191:192], v[5:6], v[197:198]
	s_waitcnt vmcnt(56)
	v_fma_f64 v[129:130], v[123:124], v[187:188], -v[129:130]
	v_add_f64 v[135:136], v[135:136], v[177:178]
	v_fma_f64 v[177:178], v[125:126], v[187:188], v[206:207]
	v_add_f64 v[127:128], v[127:128], v[171:172]
	s_clause 0x4
	buffer_load_dword v172, off, s[0:3], 0 offset:636
	buffer_load_dword v187, off, s[0:3], 0 offset:648
	;; [unrolled: 1-line block ×5, first 2 shown]
	ds_read_b128 v[123:126], v184 offset:1312
	s_waitcnt vmcnt(57) lgkmcnt(1)
	v_mul_f64 v[206:207], v[1:2], v[147:148]
	v_mul_f64 v[147:148], v[3:4], v[147:148]
	s_waitcnt vmcnt(56)
	v_fma_f64 v[195:196], v[5:6], v[202:203], -v[195:196]
	v_add_f64 v[129:130], v[135:136], v[129:130]
	v_fma_f64 v[135:136], v[7:8], v[202:203], v[191:192]
	v_add_f64 v[127:128], v[127:128], v[177:178]
	s_clause 0x2
	buffer_load_dword v188, off, s[0:3], 0 offset:652
	buffer_load_dword v178, off, s[0:3], 0 offset:628
	;; [unrolled: 1-line block ×3, first 2 shown]
	ds_read_b128 v[5:8], v184 offset:1328
	s_waitcnt vmcnt(58) lgkmcnt(1)
	v_mul_f64 v[191:192], v[123:124], v[189:190]
	v_mul_f64 v[189:190], v[125:126], v[189:190]
	s_waitcnt vmcnt(56)
	v_fma_f64 v[147:148], v[1:2], v[141:142], -v[147:148]
	v_fma_f64 v[141:142], v[3:4], v[141:142], v[206:207]
	v_add_f64 v[129:130], v[129:130], v[195:196]
	v_add_f64 v[127:128], v[127:128], v[135:136]
	s_clause 0x4
	buffer_load_dword v136, off, s[0:3], 0 offset:668
	buffer_load_dword v195, off, s[0:3], 0 offset:680
	buffer_load_dword v201, off, s[0:3], 0 offset:672
	buffer_load_dword v135, off, s[0:3], 0 offset:664
	buffer_load_dword v198, off, s[0:3], 0 offset:644
	ds_read_b128 v[1:4], v184 offset:1344
	s_waitcnt vmcnt(57) lgkmcnt(1)
	v_mul_f64 v[202:203], v[5:6], v[133:134]
	v_mul_f64 v[133:134], v[7:8], v[133:134]
	s_waitcnt vmcnt(56)
	v_fma_f64 v[189:190], v[123:124], v[204:205], -v[189:190]
	v_add_f64 v[129:130], v[129:130], v[147:148]
	v_fma_f64 v[147:148], v[125:126], v[204:205], v[191:192]
	v_add_f64 v[127:128], v[127:128], v[141:142]
	s_clause 0x2
	buffer_load_dword v196, off, s[0:3], 0 offset:684
	buffer_load_dword v142, off, s[0:3], 0 offset:660
	;; [unrolled: 1-line block ×3, first 2 shown]
	ds_read_b128 v[123:126], v184 offset:1360
	s_waitcnt vmcnt(58) lgkmcnt(1)
	v_mul_f64 v[191:192], v[1:2], v[151:152]
	v_mul_f64 v[151:152], v[3:4], v[151:152]
	s_waitcnt vmcnt(56)
	v_fma_f64 v[133:134], v[5:6], v[139:140], -v[133:134]
	v_fma_f64 v[139:140], v[7:8], v[139:140], v[202:203]
	v_add_f64 v[129:130], v[129:130], v[189:190]
	v_add_f64 v[127:128], v[127:128], v[147:148]
	s_clause 0x4
	buffer_load_dword v148, off, s[0:3], 0 offset:700
	buffer_load_dword v189, off, s[0:3], 0 offset:712
	;; [unrolled: 1-line block ×5, first 2 shown]
	ds_read_b128 v[5:8], v184 offset:1376
	s_waitcnt vmcnt(57) lgkmcnt(1)
	v_mul_f64 v[204:205], v[123:124], v[137:138]
	v_mul_f64 v[137:138], v[125:126], v[137:138]
	s_waitcnt vmcnt(56)
	v_fma_f64 v[151:152], v[1:2], v[199:200], -v[151:152]
	v_add_f64 v[129:130], v[129:130], v[133:134]
	v_fma_f64 v[133:134], v[3:4], v[199:200], v[191:192]
	v_add_f64 v[127:128], v[127:128], v[139:140]
	s_clause 0x2
	buffer_load_dword v190, off, s[0:3], 0 offset:716
	buffer_load_dword v140, off, s[0:3], 0 offset:692
	;; [unrolled: 1-line block ×3, first 2 shown]
	s_waitcnt vmcnt(58) lgkmcnt(0)
	v_mul_f64 v[191:192], v[5:6], v[159:160]
	v_mul_f64 v[159:160], v[7:8], v[159:160]
	ds_read_b128 v[1:4], v184 offset:1392
	s_waitcnt vmcnt(56)
	v_fma_f64 v[137:138], v[123:124], v[145:146], -v[137:138]
	v_fma_f64 v[145:146], v[125:126], v[145:146], v[204:205]
	v_add_f64 v[129:130], v[129:130], v[151:152]
	v_add_f64 v[127:128], v[127:128], v[133:134]
	s_clause 0x4
	buffer_load_dword v134, off, s[0:3], 0 offset:732
	buffer_load_dword v151, off, s[0:3], 0 offset:744
	;; [unrolled: 1-line block ×5, first 2 shown]
	ds_read_b128 v[123:126], v184 offset:1408
	s_waitcnt vmcnt(57) lgkmcnt(1)
	v_mul_f64 v[205:206], v[1:2], v[143:144]
	v_mul_f64 v[143:144], v[3:4], v[143:144]
	s_waitcnt vmcnt(56)
	v_fma_f64 v[159:160], v[5:6], v[185:186], -v[159:160]
	v_add_f64 v[129:130], v[129:130], v[137:138]
	v_fma_f64 v[137:138], v[7:8], v[185:186], v[191:192]
	v_add_f64 v[127:128], v[127:128], v[145:146]
	s_clause 0x2
	buffer_load_dword v152, off, s[0:3], 0 offset:748
	buffer_load_dword v146, off, s[0:3], 0 offset:724
	;; [unrolled: 1-line block ×3, first 2 shown]
	s_waitcnt vmcnt(58) lgkmcnt(0)
	v_mul_f64 v[185:186], v[123:124], v[165:166]
	v_mul_f64 v[165:166], v[125:126], v[165:166]
	ds_read_b128 v[5:8], v184 offset:1424
	s_waitcnt vmcnt(56)
	v_fma_f64 v[143:144], v[1:2], v[155:156], -v[143:144]
	v_fma_f64 v[155:156], v[3:4], v[155:156], v[205:206]
	v_add_f64 v[129:130], v[129:130], v[159:160]
	v_add_f64 v[127:128], v[127:128], v[137:138]
	s_clause 0x4
	buffer_load_dword v138, off, s[0:3], 0 offset:764
	buffer_load_dword v159, off, s[0:3], 0 offset:776
	buffer_load_dword v191, off, s[0:3], 0 offset:768
	buffer_load_dword v137, off, s[0:3], 0 offset:760
	buffer_load_dword v200, off, s[0:3], 0 offset:740
	ds_read_b128 v[1:4], v184 offset:1440
	s_waitcnt vmcnt(57) lgkmcnt(1)
	v_mul_f64 v[205:206], v[5:6], v[149:150]
	v_mul_f64 v[149:150], v[7:8], v[149:150]
	s_waitcnt vmcnt(56)
	v_fma_f64 v[165:166], v[123:124], v[167:168], -v[165:166]
	v_add_f64 v[129:130], v[129:130], v[143:144]
	v_fma_f64 v[143:144], v[125:126], v[167:168], v[185:186]
	v_add_f64 v[127:128], v[127:128], v[155:156]
	s_clause 0x2
	buffer_load_dword v160, off, s[0:3], 0 offset:780
	buffer_load_dword v156, off, s[0:3], 0 offset:756
	buffer_load_dword v155, off, s[0:3], 0 offset:752
	ds_read_b128 v[123:126], v184 offset:1456
	s_waitcnt vmcnt(58) lgkmcnt(1)
	v_mul_f64 v[167:168], v[1:2], v[173:174]
	v_mul_f64 v[173:174], v[3:4], v[173:174]
	s_waitcnt vmcnt(56)
	v_fma_f64 v[149:150], v[5:6], v[153:154], -v[149:150]
	v_fma_f64 v[153:154], v[7:8], v[153:154], v[205:206]
	v_add_f64 v[129:130], v[129:130], v[165:166]
	v_add_f64 v[127:128], v[127:128], v[143:144]
	s_clause 0x4
	buffer_load_dword v144, off, s[0:3], 0 offset:796
	buffer_load_dword v165, off, s[0:3], 0 offset:808
	buffer_load_dword v185, off, s[0:3], 0 offset:800
	buffer_load_dword v143, off, s[0:3], 0 offset:792
	buffer_load_dword v192, off, s[0:3], 0 offset:772
	ds_read_b128 v[5:8], v184 offset:1472
	s_waitcnt vmcnt(57) lgkmcnt(1)
	v_mul_f64 v[205:206], v[123:124], v[157:158]
	v_mul_f64 v[157:158], v[125:126], v[157:158]
	s_waitcnt vmcnt(56)
	v_fma_f64 v[173:174], v[1:2], v[175:176], -v[173:174]
	v_add_f64 v[129:130], v[129:130], v[149:150]
	v_fma_f64 v[149:150], v[3:4], v[175:176], v[167:168]
	v_add_f64 v[127:128], v[127:128], v[153:154]
	s_clause 0x2
	buffer_load_dword v166, off, s[0:3], 0 offset:812
	buffer_load_dword v154, off, s[0:3], 0 offset:788
	buffer_load_dword v153, off, s[0:3], 0 offset:784
	ds_read_b128 v[1:4], v184 offset:1488
	s_waitcnt vmcnt(58) lgkmcnt(1)
	v_mul_f64 v[175:176], v[7:8], v[179:180]
	v_mul_f64 v[167:168], v[5:6], v[179:180]
	;; [unrolled: 28-line block ×4, first 2 shown]
	s_waitcnt vmcnt(56)
	v_fma_f64 v[171:172], v[5:6], v[177:178], -v[171:172]
	v_add_f64 v[129:130], v[129:130], v[169:170]
	v_fma_f64 v[169:170], v[7:8], v[177:178], v[205:206]
	v_add_f64 v[127:128], v[127:128], v[163:164]
	s_clause 0x4
	buffer_load_dword v164, off, s[0:3], 0 offset:892
	buffer_load_dword v177, off, s[0:3], 0 offset:904
	;; [unrolled: 1-line block ×5, first 2 shown]
	ds_read_b128 v[5:8], v184 offset:1568
	s_waitcnt vmcnt(57) lgkmcnt(1)
	v_mul_f64 v[205:206], v[123:124], v[135:136]
	v_mul_f64 v[135:136], v[125:126], v[135:136]
	s_waitcnt vmcnt(56)
	v_fma_f64 v[187:188], v[1:2], v[197:198], -v[187:188]
	v_fma_f64 v[167:168], v[3:4], v[197:198], v[167:168]
	v_add_f64 v[129:130], v[129:130], v[171:172]
	v_add_f64 v[127:128], v[127:128], v[169:170]
	s_clause 0x2
	buffer_load_dword v178, off, s[0:3], 0 offset:908
	buffer_load_dword v170, off, s[0:3], 0 offset:884
	;; [unrolled: 1-line block ×3, first 2 shown]
	ds_read_b128 v[1:4], v184 offset:1584
	s_waitcnt vmcnt(58) lgkmcnt(1)
	v_mul_f64 v[171:172], v[5:6], v[195:196]
	v_mul_f64 v[195:196], v[7:8], v[195:196]
	s_waitcnt vmcnt(56)
	v_fma_f64 v[135:136], v[123:124], v[141:142], -v[135:136]
	v_fma_f64 v[141:142], v[125:126], v[141:142], v[205:206]
	v_add_f64 v[129:130], v[129:130], v[187:188]
	v_add_f64 v[127:128], v[127:128], v[167:168]
	s_clause 0x2
	buffer_load_dword v168, off, s[0:3], 0 offset:924
	buffer_load_dword v167, off, s[0:3], 0 offset:920
	;; [unrolled: 1-line block ×3, first 2 shown]
	ds_read_b128 v[123:126], v184 offset:1600
	s_waitcnt vmcnt(55) lgkmcnt(1)
	v_mul_f64 v[187:188], v[1:2], v[147:148]
	v_mul_f64 v[147:148], v[3:4], v[147:148]
	s_waitcnt vmcnt(54)
	v_fma_f64 v[195:196], v[5:6], v[201:202], -v[195:196]
	v_add_f64 v[129:130], v[129:130], v[135:136]
	v_fma_f64 v[135:136], v[7:8], v[201:202], v[171:172]
	v_add_f64 v[127:128], v[127:128], v[141:142]
	s_clause 0x1
	buffer_load_dword v142, off, s[0:3], 0 offset:916
	buffer_load_dword v141, off, s[0:3], 0 offset:912
	ds_read_b128 v[5:8], v184 offset:1616
	s_waitcnt vmcnt(55) lgkmcnt(1)
	v_mul_f64 v[171:172], v[123:124], v[189:190]
	v_mul_f64 v[189:190], v[125:126], v[189:190]
	s_waitcnt vmcnt(53)
	v_fma_f64 v[147:148], v[1:2], v[139:140], -v[147:148]
	v_fma_f64 v[139:140], v[3:4], v[139:140], v[187:188]
	ds_read_b128 v[1:4], v184 offset:1632
	v_add_f64 v[129:130], v[129:130], v[195:196]
	v_add_f64 v[127:128], v[127:128], v[135:136]
	s_waitcnt vmcnt(49) lgkmcnt(1)
	v_mul_f64 v[135:136], v[5:6], v[133:134]
	v_mul_f64 v[133:134], v[7:8], v[133:134]
	s_waitcnt vmcnt(48)
	v_fma_f64 v[187:188], v[123:124], v[203:204], -v[189:190]
	v_add_f64 v[129:130], v[129:130], v[147:148]
	v_fma_f64 v[147:148], v[125:126], v[203:204], v[171:172]
	v_add_f64 v[127:128], v[127:128], v[139:140]
	s_clause 0x3
	buffer_load_dword v139, off, s[0:3], 0 offset:80
	buffer_load_dword v140, off, s[0:3], 0 offset:84
	;; [unrolled: 1-line block ×4, first 2 shown]
	ds_read_b128 v[123:126], v184 offset:1648
	s_waitcnt vmcnt(51) lgkmcnt(1)
	v_mul_f64 v[189:190], v[1:2], v[151:152]
	v_mul_f64 v[151:152], v[3:4], v[151:152]
	s_waitcnt vmcnt(49)
	v_fma_f64 v[133:134], v[5:6], v[145:146], -v[133:134]
	v_fma_f64 v[135:136], v[7:8], v[145:146], v[135:136]
	ds_read_b128 v[5:8], v184 offset:1664
	v_add_f64 v[129:130], v[129:130], v[187:188]
	v_add_f64 v[127:128], v[127:128], v[147:148]
	s_waitcnt vmcnt(45) lgkmcnt(1)
	v_mul_f64 v[145:146], v[123:124], v[137:138]
	v_mul_f64 v[137:138], v[125:126], v[137:138]
	s_waitcnt vmcnt(44)
	v_fma_f64 v[147:148], v[1:2], v[199:200], -v[151:152]
	v_add_f64 v[129:130], v[129:130], v[133:134]
	v_fma_f64 v[133:134], v[3:4], v[199:200], v[189:190]
	v_add_f64 v[127:128], v[127:128], v[135:136]
	ds_read_b128 v[1:4], v184 offset:1680
	s_waitcnt vmcnt(43) lgkmcnt(1)
	v_mul_f64 v[151:152], v[7:8], v[159:160]
	v_mul_f64 v[135:136], v[5:6], v[159:160]
	s_waitcnt vmcnt(41)
	v_fma_f64 v[137:138], v[123:124], v[155:156], -v[137:138]
	v_fma_f64 v[145:146], v[125:126], v[155:156], v[145:146]
	ds_read_b128 v[123:126], v184 offset:1696
	v_add_f64 v[129:130], v[129:130], v[147:148]
	v_add_f64 v[127:128], v[127:128], v[133:134]
	s_waitcnt vmcnt(37) lgkmcnt(1)
	v_mul_f64 v[133:134], v[1:2], v[143:144]
	v_mul_f64 v[143:144], v[3:4], v[143:144]
	s_waitcnt vmcnt(36)
	v_fma_f64 v[147:148], v[5:6], v[191:192], -v[151:152]
	v_fma_f64 v[135:136], v[7:8], v[191:192], v[135:136]
	ds_read_b128 v[5:8], v184 offset:1712
	v_add_f64 v[129:130], v[129:130], v[137:138]
	v_add_f64 v[127:128], v[127:128], v[145:146]
	;; [unrolled: 9-line block ×3, first 2 shown]
	s_waitcnt vmcnt(29) lgkmcnt(1)
	v_mul_f64 v[147:148], v[7:8], v[149:150]
	s_waitcnt vmcnt(28)
	v_fma_f64 v[145:146], v[123:124], v[185:186], -v[145:146]
	v_mul_f64 v[135:136], v[5:6], v[149:150]
	v_fma_f64 v[137:138], v[125:126], v[185:186], v[137:138]
	ds_read_b128 v[123:126], v184 offset:1744
	v_add_f64 v[129:130], v[129:130], v[143:144]
	v_add_f64 v[127:128], v[127:128], v[133:134]
	s_waitcnt vmcnt(27) lgkmcnt(1)
	v_mul_f64 v[143:144], v[3:4], v[173:174]
	v_mul_f64 v[133:134], v[1:2], v[173:174]
	s_waitcnt vmcnt(25)
	v_fma_f64 v[147:148], v[5:6], v[161:162], -v[147:148]
	v_fma_f64 v[135:136], v[7:8], v[161:162], v[135:136]
	ds_read_b128 v[5:8], v184 offset:1760
	v_add_f64 v[129:130], v[129:130], v[145:146]
	v_add_f64 v[127:128], v[127:128], v[137:138]
	s_waitcnt vmcnt(21) lgkmcnt(1)
	v_mul_f64 v[145:146], v[125:126], v[157:158]
	s_waitcnt vmcnt(20)
	v_fma_f64 v[143:144], v[1:2], v[179:180], -v[143:144]
	v_mul_f64 v[137:138], v[123:124], v[157:158]
	v_fma_f64 v[133:134], v[3:4], v[179:180], v[133:134]
	ds_read_b128 v[1:4], v184 offset:1776
	v_add_f64 v[129:130], v[129:130], v[147:148]
	v_add_f64 v[127:128], v[127:128], v[135:136]
	s_waitcnt vmcnt(19) lgkmcnt(1)
	v_mul_f64 v[147:148], v[7:8], v[175:176]
	v_mul_f64 v[135:136], v[5:6], v[175:176]
	s_waitcnt vmcnt(17)
	v_fma_f64 v[145:146], v[123:124], v[131:132], -v[145:146]
	v_fma_f64 v[131:132], v[125:126], v[131:132], v[137:138]
	ds_read_b128 v[123:126], v184 offset:1792
	v_add_f64 v[129:130], v[129:130], v[143:144]
	v_add_f64 v[127:128], v[127:128], v[133:134]
	s_waitcnt vmcnt(13) lgkmcnt(1)
	v_mul_f64 v[137:138], v[3:4], v[163:164]
	s_waitcnt vmcnt(12)
	v_fma_f64 v[143:144], v[5:6], v[181:182], -v[147:148]
	v_mul_f64 v[133:134], v[1:2], v[163:164]
	v_fma_f64 v[135:136], v[7:8], v[181:182], v[135:136]
	ds_read_b128 v[5:8], v184 offset:1808
	v_add_f64 v[129:130], v[129:130], v[145:146]
	v_add_f64 v[127:128], v[127:128], v[131:132]
	s_waitcnt vmcnt(11) lgkmcnt(1)
	v_mul_f64 v[145:146], v[125:126], v[177:178]
	v_mul_f64 v[131:132], v[123:124], v[177:178]
	s_waitcnt vmcnt(9)
	v_fma_f64 v[1:2], v[1:2], v[169:170], -v[137:138]
	v_fma_f64 v[3:4], v[3:4], v[169:170], v[133:134]
	v_add_f64 v[129:130], v[129:130], v[143:144]
	v_add_f64 v[127:128], v[127:128], v[135:136]
	s_waitcnt vmcnt(7) lgkmcnt(0)
	v_mul_f64 v[135:136], v[7:8], v[167:168]
	s_waitcnt vmcnt(6)
	v_fma_f64 v[123:124], v[123:124], v[193:194], -v[145:146]
	v_mul_f64 v[133:134], v[5:6], v[167:168]
	v_fma_f64 v[125:126], v[125:126], v[193:194], v[131:132]
	v_add_f64 v[1:2], v[129:130], v[1:2]
	v_add_f64 v[3:4], v[127:128], v[3:4]
	s_waitcnt vmcnt(4)
	v_fma_f64 v[5:6], v[5:6], v[141:142], -v[135:136]
	v_fma_f64 v[7:8], v[7:8], v[141:142], v[133:134]
	v_add_f64 v[1:2], v[1:2], v[123:124]
	v_add_f64 v[3:4], v[3:4], v[125:126]
	;; [unrolled: 1-line block ×4, first 2 shown]
	s_waitcnt vmcnt(2)
	v_add_f64 v[1:2], v[139:140], -v[1:2]
	s_waitcnt vmcnt(0)
	v_add_f64 v[3:4], v[171:172], -v[3:4]
	buffer_store_dword v2, off, s[0:3], 0 offset:84
	buffer_store_dword v1, off, s[0:3], 0 offset:80
	;; [unrolled: 1-line block ×4, first 2 shown]
	v_cmpx_lt_u32_e32 3, v0
	s_cbranch_execz .LBB120_349
; %bb.348:
	v_mov_b32_e32 v4, s66
	v_mov_b32_e32 v5, 0
	s_clause 0x3
	buffer_load_dword v1, v4, s[0:3], 0 offen
	buffer_load_dword v2, v4, s[0:3], 0 offen offset:4
	buffer_load_dword v3, v4, s[0:3], 0 offen offset:8
	;; [unrolled: 1-line block ×3, first 2 shown]
	buffer_store_dword v5, off, s[0:3], 0 offset:64
	buffer_store_dword v5, off, s[0:3], 0 offset:68
	;; [unrolled: 1-line block ×4, first 2 shown]
	s_waitcnt vmcnt(0)
	ds_write_b128 v183, v[1:4]
.LBB120_349:
	s_or_b32 exec_lo, exec_lo, s4
	s_waitcnt lgkmcnt(0)
	s_waitcnt_vscnt null, 0x0
	s_barrier
	buffer_gl0_inv
	s_clause 0x37
	buffer_load_dword v131, off, s[0:3], 0 offset:88
	buffer_load_dword v132, off, s[0:3], 0 offset:92
	;; [unrolled: 1-line block ×56, first 2 shown]
	v_mov_b32_e32 v184, 0
	s_mov_b32 s4, exec_lo
	ds_read_b128 v[5:8], v184 offset:976
	s_clause 0x2
	buffer_load_dword v180, off, s[0:3], 0 offset:316
	buffer_load_dword v182, off, s[0:3], 0 offset:292
	;; [unrolled: 1-line block ×3, first 2 shown]
	ds_read_b128 v[1:4], v184 offset:992
	s_clause 0x4
	buffer_load_dword v192, off, s[0:3], 0 offset:332
	buffer_load_dword v193, off, s[0:3], 0 offset:344
	;; [unrolled: 1-line block ×5, first 2 shown]
	ds_read_b128 v[185:188], v184 offset:1008
	s_waitcnt vmcnt(62) lgkmcnt(2)
	v_mul_f64 v[189:190], v[7:8], v[131:132]
	v_mul_f64 v[131:132], v[5:6], v[131:132]
	s_waitcnt vmcnt(60) lgkmcnt(1)
	v_mul_f64 v[196:197], v[3:4], v[127:128]
	v_mul_f64 v[127:128], v[1:2], v[127:128]
	;; [unrolled: 3-line block ×3, first 2 shown]
	v_fma_f64 v[189:190], v[5:6], v[129:130], -v[189:190]
	v_fma_f64 v[129:130], v[7:8], v[129:130], v[131:132]
	s_clause 0x2
	buffer_load_dword v194, off, s[0:3], 0 offset:348
	buffer_load_dword v132, off, s[0:3], 0 offset:324
	;; [unrolled: 1-line block ×3, first 2 shown]
	s_waitcnt vmcnt(57)
	v_fma_f64 v[200:201], v[1:2], v[123:124], -v[196:197]
	ds_read_b128 v[5:8], v184 offset:1024
	v_fma_f64 v[123:124], v[3:4], v[123:124], v[127:128]
	s_waitcnt vmcnt(51)
	v_fma_f64 v[185:186], v[185:186], v[147:148], -v[125:126]
	v_fma_f64 v[147:148], v[187:188], v[147:148], v[198:199]
	v_add_f64 v[189:190], v[189:190], 0
	v_add_f64 v[127:128], v[129:130], 0
	s_clause 0x4
	buffer_load_dword v130, off, s[0:3], 0 offset:364
	buffer_load_dword v197, off, s[0:3], 0 offset:376
	buffer_load_dword v202, off, s[0:3], 0 offset:368
	buffer_load_dword v129, off, s[0:3], 0 offset:360
	buffer_load_dword v196, off, s[0:3], 0 offset:340
	s_waitcnt lgkmcnt(0)
	v_mul_f64 v[203:204], v[5:6], v[135:136]
	v_mul_f64 v[135:136], v[7:8], v[135:136]
	ds_read_b128 v[1:4], v184 offset:1040
	s_clause 0x2
	buffer_load_dword v198, off, s[0:3], 0 offset:380
	buffer_load_dword v188, off, s[0:3], 0 offset:356
	;; [unrolled: 1-line block ×3, first 2 shown]
	v_add_f64 v[189:190], v[189:190], v[200:201]
	v_add_f64 v[127:128], v[127:128], v[123:124]
	ds_read_b128 v[123:126], v184 offset:1056
	s_waitcnt vmcnt(58) lgkmcnt(1)
	v_mul_f64 v[199:200], v[1:2], v[139:140]
	v_mul_f64 v[139:140], v[3:4], v[139:140]
	s_waitcnt vmcnt(56)
	v_fma_f64 v[135:136], v[5:6], v[141:142], -v[135:136]
	v_fma_f64 v[141:142], v[7:8], v[141:142], v[203:204]
	s_waitcnt vmcnt(52) lgkmcnt(0)
	v_mul_f64 v[205:206], v[123:124], v[143:144]
	v_add_f64 v[185:186], v[189:190], v[185:186]
	v_add_f64 v[127:128], v[127:128], v[147:148]
	s_clause 0x4
	buffer_load_dword v148, off, s[0:3], 0 offset:396
	buffer_load_dword v189, off, s[0:3], 0 offset:408
	;; [unrolled: 1-line block ×5, first 2 shown]
	v_mul_f64 v[143:144], v[125:126], v[143:144]
	s_waitcnt vmcnt(56)
	v_fma_f64 v[139:140], v[1:2], v[133:134], -v[139:140]
	ds_read_b128 v[5:8], v184 offset:1072
	v_fma_f64 v[133:134], v[3:4], v[133:134], v[199:200]
	v_add_f64 v[135:136], v[185:186], v[135:136]
	v_add_f64 v[127:128], v[127:128], v[141:142]
	s_clause 0x2
	buffer_load_dword v190, off, s[0:3], 0 offset:412
	buffer_load_dword v142, off, s[0:3], 0 offset:388
	;; [unrolled: 1-line block ×3, first 2 shown]
	s_waitcnt vmcnt(58) lgkmcnt(0)
	v_mul_f64 v[185:186], v[5:6], v[149:150]
	v_mul_f64 v[149:150], v[7:8], v[149:150]
	s_waitcnt vmcnt(56)
	v_fma_f64 v[143:144], v[123:124], v[151:152], -v[143:144]
	ds_read_b128 v[1:4], v184 offset:1088
	v_add_f64 v[135:136], v[135:136], v[139:140]
	v_fma_f64 v[139:140], v[125:126], v[151:152], v[205:206]
	v_add_f64 v[127:128], v[127:128], v[133:134]
	s_clause 0x4
	buffer_load_dword v134, off, s[0:3], 0 offset:428
	buffer_load_dword v151, off, s[0:3], 0 offset:440
	;; [unrolled: 1-line block ×5, first 2 shown]
	s_waitcnt vmcnt(57) lgkmcnt(0)
	v_mul_f64 v[200:201], v[1:2], v[153:154]
	v_mul_f64 v[153:154], v[3:4], v[153:154]
	s_waitcnt vmcnt(56)
	v_fma_f64 v[149:150], v[5:6], v[137:138], -v[149:150]
	ds_read_b128 v[123:126], v184 offset:1104
	v_fma_f64 v[137:138], v[7:8], v[137:138], v[185:186]
	v_add_f64 v[135:136], v[135:136], v[143:144]
	v_add_f64 v[127:128], v[127:128], v[139:140]
	s_clause 0x2
	buffer_load_dword v152, off, s[0:3], 0 offset:444
	buffer_load_dword v140, off, s[0:3], 0 offset:420
	;; [unrolled: 1-line block ×3, first 2 shown]
	ds_read_b128 v[5:8], v184 offset:1120
	s_waitcnt vmcnt(58) lgkmcnt(1)
	v_mul_f64 v[143:144], v[123:124], v[157:158]
	v_mul_f64 v[157:158], v[125:126], v[157:158]
	s_waitcnt vmcnt(56)
	v_fma_f64 v[153:154], v[1:2], v[159:160], -v[153:154]
	v_add_f64 v[135:136], v[135:136], v[149:150]
	v_fma_f64 v[149:150], v[3:4], v[159:160], v[200:201]
	v_add_f64 v[127:128], v[127:128], v[137:138]
	s_clause 0x4
	buffer_load_dword v138, off, s[0:3], 0 offset:460
	buffer_load_dword v159, off, s[0:3], 0 offset:472
	buffer_load_dword v185, off, s[0:3], 0 offset:464
	buffer_load_dword v137, off, s[0:3], 0 offset:456
	buffer_load_dword v200, off, s[0:3], 0 offset:436
	s_waitcnt vmcnt(57) lgkmcnt(0)
	v_mul_f64 v[206:207], v[5:6], v[161:162]
	v_mul_f64 v[161:162], v[7:8], v[161:162]
	s_waitcnt vmcnt(56)
	v_fma_f64 v[157:158], v[123:124], v[145:146], -v[157:158]
	ds_read_b128 v[1:4], v184 offset:1136
	v_fma_f64 v[143:144], v[125:126], v[145:146], v[143:144]
	s_clause 0x2
	buffer_load_dword v160, off, s[0:3], 0 offset:476
	buffer_load_dword v146, off, s[0:3], 0 offset:452
	;; [unrolled: 1-line block ×3, first 2 shown]
	ds_read_b128 v[123:126], v184 offset:1152
	v_add_f64 v[135:136], v[135:136], v[153:154]
	v_add_f64 v[127:128], v[127:128], v[149:150]
	s_waitcnt vmcnt(58) lgkmcnt(1)
	v_mul_f64 v[153:154], v[3:4], v[165:166]
	s_waitcnt vmcnt(56)
	v_fma_f64 v[161:162], v[5:6], v[167:168], -v[161:162]
	v_mul_f64 v[149:150], v[1:2], v[165:166]
	v_add_f64 v[135:136], v[135:136], v[157:158]
	v_fma_f64 v[157:158], v[7:8], v[167:168], v[206:207]
	v_add_f64 v[127:128], v[127:128], v[143:144]
	s_clause 0x4
	buffer_load_dword v144, off, s[0:3], 0 offset:492
	buffer_load_dword v165, off, s[0:3], 0 offset:504
	;; [unrolled: 1-line block ×5, first 2 shown]
	s_waitcnt vmcnt(57) lgkmcnt(0)
	v_mul_f64 v[206:207], v[123:124], v[169:170]
	v_mul_f64 v[168:169], v[125:126], v[169:170]
	s_waitcnt vmcnt(56)
	v_fma_f64 v[153:154], v[1:2], v[155:156], -v[153:154]
	ds_read_b128 v[5:8], v184 offset:1168
	v_fma_f64 v[149:150], v[3:4], v[155:156], v[149:150]
	s_clause 0x2
	buffer_load_dword v166, off, s[0:3], 0 offset:508
	buffer_load_dword v156, off, s[0:3], 0 offset:484
	;; [unrolled: 1-line block ×3, first 2 shown]
	ds_read_b128 v[1:4], v184 offset:1184
	v_add_f64 v[135:136], v[135:136], v[161:162]
	v_add_f64 v[127:128], v[127:128], v[157:158]
	s_waitcnt vmcnt(58) lgkmcnt(1)
	v_mul_f64 v[161:162], v[7:8], v[173:174]
	s_waitcnt vmcnt(56)
	v_fma_f64 v[169:170], v[123:124], v[175:176], -v[168:169]
	v_mul_f64 v[157:158], v[5:6], v[173:174]
	v_add_f64 v[135:136], v[135:136], v[153:154]
	v_fma_f64 v[153:154], v[125:126], v[175:176], v[206:207]
	v_add_f64 v[127:128], v[127:128], v[149:150]
	s_clause 0x4
	buffer_load_dword v150, off, s[0:3], 0 offset:524
	buffer_load_dword v173, off, s[0:3], 0 offset:536
	;; [unrolled: 1-line block ×5, first 2 shown]
	s_waitcnt vmcnt(57) lgkmcnt(0)
	v_mul_f64 v[206:207], v[1:2], v[177:178]
	v_mul_f64 v[176:177], v[3:4], v[177:178]
	s_waitcnt vmcnt(56)
	v_fma_f64 v[161:162], v[5:6], v[163:164], -v[161:162]
	ds_read_b128 v[123:126], v184 offset:1200
	v_fma_f64 v[157:158], v[7:8], v[163:164], v[157:158]
	v_add_f64 v[135:136], v[135:136], v[169:170]
	v_add_f64 v[127:128], v[127:128], v[153:154]
	s_clause 0x2
	buffer_load_dword v174, off, s[0:3], 0 offset:540
	buffer_load_dword v154, off, s[0:3], 0 offset:516
	;; [unrolled: 1-line block ×3, first 2 shown]
	ds_read_b128 v[5:8], v184 offset:1216
	s_waitcnt vmcnt(58) lgkmcnt(1)
	v_mul_f64 v[169:170], v[125:126], v[179:180]
	s_waitcnt vmcnt(56)
	v_fma_f64 v[177:178], v[1:2], v[181:182], -v[176:177]
	v_mul_f64 v[163:164], v[123:124], v[179:180]
	v_add_f64 v[135:136], v[135:136], v[161:162]
	v_fma_f64 v[161:162], v[3:4], v[181:182], v[206:207]
	v_add_f64 v[127:128], v[127:128], v[157:158]
	s_clause 0x4
	buffer_load_dword v158, off, s[0:3], 0 offset:556
	buffer_load_dword v179, off, s[0:3], 0 offset:568
	;; [unrolled: 1-line block ×5, first 2 shown]
	s_waitcnt vmcnt(57) lgkmcnt(0)
	v_mul_f64 v[206:207], v[5:6], v[191:192]
	v_mul_f64 v[191:192], v[7:8], v[191:192]
	s_waitcnt vmcnt(56)
	v_fma_f64 v[169:170], v[123:124], v[171:172], -v[169:170]
	ds_read_b128 v[1:4], v184 offset:1232
	v_fma_f64 v[163:164], v[125:126], v[171:172], v[163:164]
	v_add_f64 v[135:136], v[135:136], v[177:178]
	v_add_f64 v[127:128], v[127:128], v[161:162]
	s_clause 0x2
	buffer_load_dword v180, off, s[0:3], 0 offset:572
	buffer_load_dword v162, off, s[0:3], 0 offset:548
	;; [unrolled: 1-line block ×3, first 2 shown]
	ds_read_b128 v[123:126], v184 offset:1248
	s_waitcnt vmcnt(58) lgkmcnt(1)
	v_mul_f64 v[177:178], v[3:4], v[193:194]
	v_mul_f64 v[171:172], v[1:2], v[193:194]
	s_waitcnt vmcnt(56)
	v_fma_f64 v[191:192], v[5:6], v[131:132], -v[191:192]
	v_fma_f64 v[131:132], v[7:8], v[131:132], v[206:207]
	v_add_f64 v[135:136], v[135:136], v[169:170]
	v_add_f64 v[127:128], v[127:128], v[163:164]
	s_clause 0x4
	buffer_load_dword v164, off, s[0:3], 0 offset:588
	buffer_load_dword v169, off, s[0:3], 0 offset:600
	;; [unrolled: 1-line block ×5, first 2 shown]
	ds_read_b128 v[5:8], v184 offset:1264
	s_waitcnt vmcnt(57) lgkmcnt(1)
	v_mul_f64 v[206:207], v[123:124], v[129:130]
	v_mul_f64 v[129:130], v[125:126], v[129:130]
	s_waitcnt vmcnt(56)
	v_fma_f64 v[177:178], v[1:2], v[195:196], -v[177:178]
	v_fma_f64 v[171:172], v[3:4], v[195:196], v[171:172]
	v_add_f64 v[135:136], v[135:136], v[191:192]
	v_add_f64 v[127:128], v[127:128], v[131:132]
	s_clause 0x2
	buffer_load_dword v170, off, s[0:3], 0 offset:604
	buffer_load_dword v132, off, s[0:3], 0 offset:580
	;; [unrolled: 1-line block ×3, first 2 shown]
	s_waitcnt vmcnt(58) lgkmcnt(0)
	v_mul_f64 v[195:196], v[7:8], v[197:198]
	ds_read_b128 v[1:4], v184 offset:1280
	v_mul_f64 v[191:192], v[5:6], v[197:198]
	s_waitcnt vmcnt(56)
	v_fma_f64 v[129:130], v[123:124], v[187:188], -v[129:130]
	v_add_f64 v[135:136], v[135:136], v[177:178]
	v_fma_f64 v[177:178], v[125:126], v[187:188], v[206:207]
	v_add_f64 v[127:128], v[127:128], v[171:172]
	s_clause 0x4
	buffer_load_dword v172, off, s[0:3], 0 offset:620
	buffer_load_dword v187, off, s[0:3], 0 offset:632
	;; [unrolled: 1-line block ×5, first 2 shown]
	ds_read_b128 v[123:126], v184 offset:1296
	s_waitcnt vmcnt(57) lgkmcnt(1)
	v_mul_f64 v[206:207], v[1:2], v[147:148]
	v_mul_f64 v[147:148], v[3:4], v[147:148]
	s_waitcnt vmcnt(56)
	v_fma_f64 v[195:196], v[5:6], v[202:203], -v[195:196]
	v_add_f64 v[129:130], v[135:136], v[129:130]
	v_fma_f64 v[135:136], v[7:8], v[202:203], v[191:192]
	v_add_f64 v[127:128], v[127:128], v[177:178]
	s_clause 0x2
	buffer_load_dword v188, off, s[0:3], 0 offset:636
	buffer_load_dword v178, off, s[0:3], 0 offset:612
	;; [unrolled: 1-line block ×3, first 2 shown]
	ds_read_b128 v[5:8], v184 offset:1312
	s_waitcnt vmcnt(58) lgkmcnt(1)
	v_mul_f64 v[191:192], v[123:124], v[189:190]
	v_mul_f64 v[189:190], v[125:126], v[189:190]
	s_waitcnt vmcnt(56)
	v_fma_f64 v[147:148], v[1:2], v[141:142], -v[147:148]
	v_fma_f64 v[141:142], v[3:4], v[141:142], v[206:207]
	v_add_f64 v[129:130], v[129:130], v[195:196]
	v_add_f64 v[127:128], v[127:128], v[135:136]
	s_clause 0x4
	buffer_load_dword v136, off, s[0:3], 0 offset:652
	buffer_load_dword v195, off, s[0:3], 0 offset:664
	;; [unrolled: 1-line block ×5, first 2 shown]
	ds_read_b128 v[1:4], v184 offset:1328
	s_waitcnt vmcnt(57) lgkmcnt(1)
	v_mul_f64 v[202:203], v[5:6], v[133:134]
	v_mul_f64 v[133:134], v[7:8], v[133:134]
	s_waitcnt vmcnt(56)
	v_fma_f64 v[189:190], v[123:124], v[204:205], -v[189:190]
	v_add_f64 v[129:130], v[129:130], v[147:148]
	v_fma_f64 v[147:148], v[125:126], v[204:205], v[191:192]
	v_add_f64 v[127:128], v[127:128], v[141:142]
	s_clause 0x2
	buffer_load_dword v196, off, s[0:3], 0 offset:668
	buffer_load_dword v142, off, s[0:3], 0 offset:644
	;; [unrolled: 1-line block ×3, first 2 shown]
	ds_read_b128 v[123:126], v184 offset:1344
	s_waitcnt vmcnt(58) lgkmcnt(1)
	v_mul_f64 v[191:192], v[1:2], v[151:152]
	v_mul_f64 v[151:152], v[3:4], v[151:152]
	s_waitcnt vmcnt(56)
	v_fma_f64 v[133:134], v[5:6], v[139:140], -v[133:134]
	v_fma_f64 v[139:140], v[7:8], v[139:140], v[202:203]
	v_add_f64 v[129:130], v[129:130], v[189:190]
	v_add_f64 v[127:128], v[127:128], v[147:148]
	s_clause 0x4
	buffer_load_dword v148, off, s[0:3], 0 offset:684
	buffer_load_dword v189, off, s[0:3], 0 offset:696
	buffer_load_dword v203, off, s[0:3], 0 offset:688
	buffer_load_dword v147, off, s[0:3], 0 offset:680
	buffer_load_dword v202, off, s[0:3], 0 offset:660
	ds_read_b128 v[5:8], v184 offset:1360
	s_waitcnt vmcnt(57) lgkmcnt(1)
	v_mul_f64 v[204:205], v[123:124], v[137:138]
	v_mul_f64 v[137:138], v[125:126], v[137:138]
	s_waitcnt vmcnt(56)
	v_fma_f64 v[151:152], v[1:2], v[199:200], -v[151:152]
	v_add_f64 v[129:130], v[129:130], v[133:134]
	v_fma_f64 v[133:134], v[3:4], v[199:200], v[191:192]
	v_add_f64 v[127:128], v[127:128], v[139:140]
	s_clause 0x2
	buffer_load_dword v190, off, s[0:3], 0 offset:700
	buffer_load_dword v140, off, s[0:3], 0 offset:676
	;; [unrolled: 1-line block ×3, first 2 shown]
	s_waitcnt vmcnt(58) lgkmcnt(0)
	v_mul_f64 v[191:192], v[5:6], v[159:160]
	v_mul_f64 v[159:160], v[7:8], v[159:160]
	ds_read_b128 v[1:4], v184 offset:1376
	s_waitcnt vmcnt(56)
	v_fma_f64 v[137:138], v[123:124], v[145:146], -v[137:138]
	v_fma_f64 v[145:146], v[125:126], v[145:146], v[204:205]
	v_add_f64 v[129:130], v[129:130], v[151:152]
	v_add_f64 v[127:128], v[127:128], v[133:134]
	s_clause 0x4
	buffer_load_dword v134, off, s[0:3], 0 offset:716
	buffer_load_dword v151, off, s[0:3], 0 offset:728
	;; [unrolled: 1-line block ×5, first 2 shown]
	ds_read_b128 v[123:126], v184 offset:1392
	s_waitcnt vmcnt(57) lgkmcnt(1)
	v_mul_f64 v[205:206], v[1:2], v[143:144]
	v_mul_f64 v[143:144], v[3:4], v[143:144]
	s_waitcnt vmcnt(56)
	v_fma_f64 v[159:160], v[5:6], v[185:186], -v[159:160]
	v_add_f64 v[129:130], v[129:130], v[137:138]
	v_fma_f64 v[137:138], v[7:8], v[185:186], v[191:192]
	v_add_f64 v[127:128], v[127:128], v[145:146]
	s_clause 0x2
	buffer_load_dword v152, off, s[0:3], 0 offset:732
	buffer_load_dword v146, off, s[0:3], 0 offset:708
	;; [unrolled: 1-line block ×3, first 2 shown]
	s_waitcnt vmcnt(58) lgkmcnt(0)
	v_mul_f64 v[185:186], v[123:124], v[165:166]
	v_mul_f64 v[165:166], v[125:126], v[165:166]
	ds_read_b128 v[5:8], v184 offset:1408
	s_waitcnt vmcnt(56)
	v_fma_f64 v[143:144], v[1:2], v[155:156], -v[143:144]
	v_fma_f64 v[155:156], v[3:4], v[155:156], v[205:206]
	v_add_f64 v[129:130], v[129:130], v[159:160]
	v_add_f64 v[127:128], v[127:128], v[137:138]
	s_clause 0x4
	buffer_load_dword v138, off, s[0:3], 0 offset:748
	buffer_load_dword v159, off, s[0:3], 0 offset:760
	buffer_load_dword v191, off, s[0:3], 0 offset:752
	buffer_load_dword v137, off, s[0:3], 0 offset:744
	buffer_load_dword v200, off, s[0:3], 0 offset:724
	ds_read_b128 v[1:4], v184 offset:1424
	s_waitcnt vmcnt(57) lgkmcnt(1)
	v_mul_f64 v[205:206], v[5:6], v[149:150]
	v_mul_f64 v[149:150], v[7:8], v[149:150]
	s_waitcnt vmcnt(56)
	v_fma_f64 v[165:166], v[123:124], v[167:168], -v[165:166]
	v_add_f64 v[129:130], v[129:130], v[143:144]
	v_fma_f64 v[143:144], v[125:126], v[167:168], v[185:186]
	v_add_f64 v[127:128], v[127:128], v[155:156]
	s_clause 0x2
	buffer_load_dword v160, off, s[0:3], 0 offset:764
	buffer_load_dword v156, off, s[0:3], 0 offset:740
	buffer_load_dword v155, off, s[0:3], 0 offset:736
	ds_read_b128 v[123:126], v184 offset:1440
	s_waitcnt vmcnt(58) lgkmcnt(1)
	v_mul_f64 v[167:168], v[1:2], v[173:174]
	v_mul_f64 v[173:174], v[3:4], v[173:174]
	s_waitcnt vmcnt(56)
	v_fma_f64 v[149:150], v[5:6], v[153:154], -v[149:150]
	v_fma_f64 v[153:154], v[7:8], v[153:154], v[205:206]
	v_add_f64 v[129:130], v[129:130], v[165:166]
	v_add_f64 v[127:128], v[127:128], v[143:144]
	s_clause 0x4
	buffer_load_dword v144, off, s[0:3], 0 offset:780
	buffer_load_dword v165, off, s[0:3], 0 offset:792
	buffer_load_dword v185, off, s[0:3], 0 offset:784
	buffer_load_dword v143, off, s[0:3], 0 offset:776
	buffer_load_dword v192, off, s[0:3], 0 offset:756
	ds_read_b128 v[5:8], v184 offset:1456
	s_waitcnt vmcnt(57) lgkmcnt(1)
	v_mul_f64 v[205:206], v[123:124], v[157:158]
	v_mul_f64 v[157:158], v[125:126], v[157:158]
	s_waitcnt vmcnt(56)
	v_fma_f64 v[173:174], v[1:2], v[175:176], -v[173:174]
	v_add_f64 v[129:130], v[129:130], v[149:150]
	v_fma_f64 v[149:150], v[3:4], v[175:176], v[167:168]
	v_add_f64 v[127:128], v[127:128], v[153:154]
	s_clause 0x2
	buffer_load_dword v166, off, s[0:3], 0 offset:796
	buffer_load_dword v154, off, s[0:3], 0 offset:772
	buffer_load_dword v153, off, s[0:3], 0 offset:768
	ds_read_b128 v[1:4], v184 offset:1472
	s_waitcnt vmcnt(58) lgkmcnt(1)
	v_mul_f64 v[175:176], v[7:8], v[179:180]
	v_mul_f64 v[167:168], v[5:6], v[179:180]
	;; [unrolled: 28-line block ×4, first 2 shown]
	s_waitcnt vmcnt(56)
	v_fma_f64 v[171:172], v[5:6], v[177:178], -v[171:172]
	v_add_f64 v[129:130], v[129:130], v[169:170]
	v_fma_f64 v[169:170], v[7:8], v[177:178], v[205:206]
	v_add_f64 v[127:128], v[127:128], v[163:164]
	s_clause 0x4
	buffer_load_dword v164, off, s[0:3], 0 offset:876
	buffer_load_dword v177, off, s[0:3], 0 offset:888
	;; [unrolled: 1-line block ×5, first 2 shown]
	ds_read_b128 v[5:8], v184 offset:1552
	s_waitcnt vmcnt(57) lgkmcnt(1)
	v_mul_f64 v[205:206], v[123:124], v[135:136]
	v_mul_f64 v[135:136], v[125:126], v[135:136]
	s_waitcnt vmcnt(56)
	v_fma_f64 v[187:188], v[1:2], v[197:198], -v[187:188]
	v_fma_f64 v[167:168], v[3:4], v[197:198], v[167:168]
	v_add_f64 v[129:130], v[129:130], v[171:172]
	v_add_f64 v[127:128], v[127:128], v[169:170]
	s_clause 0x2
	buffer_load_dword v178, off, s[0:3], 0 offset:892
	buffer_load_dword v170, off, s[0:3], 0 offset:868
	;; [unrolled: 1-line block ×3, first 2 shown]
	ds_read_b128 v[1:4], v184 offset:1568
	s_waitcnt vmcnt(58) lgkmcnt(1)
	v_mul_f64 v[171:172], v[5:6], v[195:196]
	v_mul_f64 v[195:196], v[7:8], v[195:196]
	s_waitcnt vmcnt(56)
	v_fma_f64 v[135:136], v[123:124], v[141:142], -v[135:136]
	v_fma_f64 v[141:142], v[125:126], v[141:142], v[205:206]
	v_add_f64 v[129:130], v[129:130], v[187:188]
	v_add_f64 v[127:128], v[127:128], v[167:168]
	s_clause 0x4
	buffer_load_dword v168, off, s[0:3], 0 offset:908
	buffer_load_dword v187, off, s[0:3], 0 offset:920
	;; [unrolled: 1-line block ×5, first 2 shown]
	ds_read_b128 v[123:126], v184 offset:1584
	s_waitcnt vmcnt(57) lgkmcnt(1)
	v_mul_f64 v[205:206], v[1:2], v[147:148]
	v_mul_f64 v[147:148], v[3:4], v[147:148]
	s_waitcnt vmcnt(56)
	v_fma_f64 v[195:196], v[5:6], v[201:202], -v[195:196]
	v_add_f64 v[129:130], v[129:130], v[135:136]
	v_fma_f64 v[135:136], v[7:8], v[201:202], v[171:172]
	v_add_f64 v[127:128], v[127:128], v[141:142]
	s_clause 0x2
	buffer_load_dword v188, off, s[0:3], 0 offset:924
	buffer_load_dword v142, off, s[0:3], 0 offset:900
	buffer_load_dword v141, off, s[0:3], 0 offset:896
	ds_read_b128 v[5:8], v184 offset:1600
	buffer_load_dword v198, off, s[0:3], 0 offset:916
	s_waitcnt vmcnt(59) lgkmcnt(1)
	v_mul_f64 v[171:172], v[123:124], v[189:190]
	v_mul_f64 v[189:190], v[125:126], v[189:190]
	s_waitcnt vmcnt(57)
	v_fma_f64 v[147:148], v[1:2], v[139:140], -v[147:148]
	v_fma_f64 v[139:140], v[3:4], v[139:140], v[205:206]
	ds_read_b128 v[1:4], v184 offset:1616
	v_add_f64 v[129:130], v[129:130], v[195:196]
	v_add_f64 v[127:128], v[127:128], v[135:136]
	s_waitcnt vmcnt(53) lgkmcnt(1)
	v_mul_f64 v[135:136], v[5:6], v[133:134]
	v_mul_f64 v[133:134], v[7:8], v[133:134]
	s_waitcnt vmcnt(52)
	v_fma_f64 v[189:190], v[123:124], v[203:204], -v[189:190]
	v_add_f64 v[129:130], v[129:130], v[147:148]
	v_fma_f64 v[147:148], v[125:126], v[203:204], v[171:172]
	v_add_f64 v[127:128], v[127:128], v[139:140]
	ds_read_b128 v[123:126], v184 offset:1632
	s_waitcnt vmcnt(51) lgkmcnt(1)
	v_mul_f64 v[139:140], v[1:2], v[151:152]
	v_mul_f64 v[151:152], v[3:4], v[151:152]
	s_waitcnt vmcnt(49)
	v_fma_f64 v[133:134], v[5:6], v[145:146], -v[133:134]
	v_fma_f64 v[135:136], v[7:8], v[145:146], v[135:136]
	v_add_f64 v[129:130], v[129:130], v[189:190]
	v_add_f64 v[127:128], v[127:128], v[147:148]
	s_clause 0x3
	buffer_load_dword v145, off, s[0:3], 0 offset:64
	buffer_load_dword v146, off, s[0:3], 0 offset:68
	;; [unrolled: 1-line block ×4, first 2 shown]
	ds_read_b128 v[5:8], v184 offset:1648
	s_waitcnt vmcnt(49) lgkmcnt(1)
	v_mul_f64 v[171:172], v[123:124], v[137:138]
	v_mul_f64 v[137:138], v[125:126], v[137:138]
	s_waitcnt vmcnt(48)
	v_fma_f64 v[151:152], v[1:2], v[199:200], -v[151:152]
	v_add_f64 v[129:130], v[129:130], v[133:134]
	v_fma_f64 v[133:134], v[3:4], v[199:200], v[139:140]
	v_add_f64 v[127:128], v[127:128], v[135:136]
	ds_read_b128 v[1:4], v184 offset:1664
	s_waitcnt vmcnt(47) lgkmcnt(1)
	v_mul_f64 v[139:140], v[7:8], v[159:160]
	v_mul_f64 v[135:136], v[5:6], v[159:160]
	s_waitcnt vmcnt(45)
	v_fma_f64 v[137:138], v[123:124], v[155:156], -v[137:138]
	v_add_f64 v[129:130], v[129:130], v[151:152]
	v_fma_f64 v[151:152], v[125:126], v[155:156], v[171:172]
	v_add_f64 v[127:128], v[127:128], v[133:134]
	ds_read_b128 v[123:126], v184 offset:1680
	s_waitcnt vmcnt(41) lgkmcnt(1)
	v_mul_f64 v[133:134], v[1:2], v[143:144]
	v_mul_f64 v[143:144], v[3:4], v[143:144]
	s_waitcnt vmcnt(40)
	v_fma_f64 v[139:140], v[5:6], v[191:192], -v[139:140]
	v_fma_f64 v[135:136], v[7:8], v[191:192], v[135:136]
	ds_read_b128 v[5:8], v184 offset:1696
	v_add_f64 v[129:130], v[129:130], v[137:138]
	v_add_f64 v[127:128], v[127:128], v[151:152]
	s_waitcnt vmcnt(39) lgkmcnt(1)
	v_mul_f64 v[151:152], v[125:126], v[165:166]
	v_mul_f64 v[137:138], v[123:124], v[165:166]
	s_waitcnt vmcnt(37)
	v_fma_f64 v[143:144], v[1:2], v[153:154], -v[143:144]
	v_fma_f64 v[133:134], v[3:4], v[153:154], v[133:134]
	ds_read_b128 v[1:4], v184 offset:1712
	v_add_f64 v[129:130], v[129:130], v[139:140]
	v_add_f64 v[127:128], v[127:128], v[135:136]
	;; [unrolled: 9-line block ×4, first 2 shown]
	s_waitcnt vmcnt(25) lgkmcnt(1)
	v_mul_f64 v[149:150], v[125:126], v[157:158]
	s_waitcnt vmcnt(24)
	v_fma_f64 v[143:144], v[1:2], v[179:180], -v[143:144]
	v_mul_f64 v[137:138], v[123:124], v[157:158]
	v_fma_f64 v[133:134], v[3:4], v[179:180], v[133:134]
	ds_read_b128 v[1:4], v184 offset:1760
	v_add_f64 v[129:130], v[129:130], v[139:140]
	v_add_f64 v[127:128], v[127:128], v[135:136]
	s_waitcnt vmcnt(23) lgkmcnt(1)
	v_mul_f64 v[139:140], v[7:8], v[175:176]
	v_mul_f64 v[135:136], v[5:6], v[175:176]
	s_waitcnt vmcnt(21)
	v_fma_f64 v[149:150], v[123:124], v[131:132], -v[149:150]
	v_fma_f64 v[131:132], v[125:126], v[131:132], v[137:138]
	ds_read_b128 v[123:126], v184 offset:1776
	v_add_f64 v[129:130], v[129:130], v[143:144]
	v_add_f64 v[127:128], v[127:128], v[133:134]
	s_waitcnt vmcnt(17) lgkmcnt(1)
	v_mul_f64 v[137:138], v[3:4], v[163:164]
	s_waitcnt vmcnt(16)
	v_fma_f64 v[139:140], v[5:6], v[181:182], -v[139:140]
	v_mul_f64 v[133:134], v[1:2], v[163:164]
	v_fma_f64 v[135:136], v[7:8], v[181:182], v[135:136]
	ds_read_b128 v[5:8], v184 offset:1792
	v_add_f64 v[129:130], v[129:130], v[149:150]
	v_add_f64 v[127:128], v[127:128], v[131:132]
	s_waitcnt vmcnt(15) lgkmcnt(1)
	v_mul_f64 v[143:144], v[125:126], v[177:178]
	v_mul_f64 v[131:132], v[123:124], v[177:178]
	s_waitcnt vmcnt(13)
	v_fma_f64 v[137:138], v[1:2], v[169:170], -v[137:138]
	v_fma_f64 v[133:134], v[3:4], v[169:170], v[133:134]
	ds_read_b128 v[1:4], v184 offset:1808
	v_add_f64 v[129:130], v[129:130], v[139:140]
	v_add_f64 v[127:128], v[127:128], v[135:136]
	s_waitcnt vmcnt(9) lgkmcnt(1)
	v_mul_f64 v[139:140], v[7:8], v[167:168]
	s_waitcnt vmcnt(8)
	v_fma_f64 v[123:124], v[123:124], v[193:194], -v[143:144]
	v_mul_f64 v[135:136], v[5:6], v[167:168]
	v_fma_f64 v[125:126], v[125:126], v[193:194], v[131:132]
	v_add_f64 v[129:130], v[129:130], v[137:138]
	v_add_f64 v[127:128], v[127:128], v[133:134]
	s_waitcnt vmcnt(7) lgkmcnt(0)
	v_mul_f64 v[133:134], v[3:4], v[187:188]
	v_mul_f64 v[131:132], v[1:2], v[187:188]
	s_waitcnt vmcnt(5)
	v_fma_f64 v[5:6], v[5:6], v[141:142], -v[139:140]
	v_fma_f64 v[7:8], v[7:8], v[141:142], v[135:136]
	v_add_f64 v[123:124], v[129:130], v[123:124]
	v_add_f64 v[125:126], v[127:128], v[125:126]
	s_waitcnt vmcnt(4)
	v_fma_f64 v[1:2], v[1:2], v[197:198], -v[133:134]
	v_fma_f64 v[3:4], v[3:4], v[197:198], v[131:132]
	v_add_f64 v[5:6], v[123:124], v[5:6]
	v_add_f64 v[7:8], v[125:126], v[7:8]
	;; [unrolled: 1-line block ×4, first 2 shown]
	s_waitcnt vmcnt(2)
	v_add_f64 v[1:2], v[145:146], -v[1:2]
	s_waitcnt vmcnt(0)
	v_add_f64 v[3:4], v[147:148], -v[3:4]
	buffer_store_dword v2, off, s[0:3], 0 offset:68
	buffer_store_dword v1, off, s[0:3], 0 offset:64
	;; [unrolled: 1-line block ×4, first 2 shown]
	v_cmpx_lt_u32_e32 2, v0
	s_cbranch_execz .LBB120_351
; %bb.350:
	v_mov_b32_e32 v4, s67
	s_clause 0x3
	buffer_load_dword v1, v4, s[0:3], 0 offen
	buffer_load_dword v2, v4, s[0:3], 0 offen offset:4
	buffer_load_dword v3, v4, s[0:3], 0 offen offset:8
	;; [unrolled: 1-line block ×3, first 2 shown]
	buffer_store_dword v184, off, s[0:3], 0 offset:48
	buffer_store_dword v184, off, s[0:3], 0 offset:52
	;; [unrolled: 1-line block ×4, first 2 shown]
	s_waitcnt vmcnt(0)
	ds_write_b128 v183, v[1:4]
.LBB120_351:
	s_or_b32 exec_lo, exec_lo, s4
	s_waitcnt lgkmcnt(0)
	s_waitcnt_vscnt null, 0x0
	s_barrier
	buffer_gl0_inv
	s_clause 0x37
	buffer_load_dword v131, off, s[0:3], 0 offset:72
	buffer_load_dword v132, off, s[0:3], 0 offset:76
	;; [unrolled: 1-line block ×56, first 2 shown]
	ds_read_b128 v[5:8], v184 offset:960
	s_clause 0x2
	buffer_load_dword v180, off, s[0:3], 0 offset:300
	buffer_load_dword v182, off, s[0:3], 0 offset:276
	;; [unrolled: 1-line block ×3, first 2 shown]
	ds_read_b128 v[1:4], v184 offset:976
	s_clause 0x4
	buffer_load_dword v192, off, s[0:3], 0 offset:316
	buffer_load_dword v193, off, s[0:3], 0 offset:328
	;; [unrolled: 1-line block ×5, first 2 shown]
	ds_read_b128 v[185:188], v184 offset:992
	s_mov_b32 s4, exec_lo
	s_waitcnt vmcnt(62) lgkmcnt(2)
	v_mul_f64 v[189:190], v[7:8], v[131:132]
	v_mul_f64 v[131:132], v[5:6], v[131:132]
	s_waitcnt vmcnt(60) lgkmcnt(1)
	v_mul_f64 v[196:197], v[3:4], v[127:128]
	v_mul_f64 v[127:128], v[1:2], v[127:128]
	;; [unrolled: 3-line block ×3, first 2 shown]
	v_fma_f64 v[189:190], v[5:6], v[129:130], -v[189:190]
	v_fma_f64 v[129:130], v[7:8], v[129:130], v[131:132]
	s_clause 0x2
	buffer_load_dword v194, off, s[0:3], 0 offset:332
	buffer_load_dword v132, off, s[0:3], 0 offset:308
	;; [unrolled: 1-line block ×3, first 2 shown]
	s_waitcnt vmcnt(57)
	v_fma_f64 v[200:201], v[1:2], v[123:124], -v[196:197]
	ds_read_b128 v[5:8], v184 offset:1008
	v_fma_f64 v[123:124], v[3:4], v[123:124], v[127:128]
	s_waitcnt vmcnt(51)
	v_fma_f64 v[185:186], v[185:186], v[147:148], -v[125:126]
	v_fma_f64 v[147:148], v[187:188], v[147:148], v[198:199]
	v_add_f64 v[189:190], v[189:190], 0
	v_add_f64 v[127:128], v[129:130], 0
	s_clause 0x4
	buffer_load_dword v130, off, s[0:3], 0 offset:348
	buffer_load_dword v197, off, s[0:3], 0 offset:360
	;; [unrolled: 1-line block ×5, first 2 shown]
	s_waitcnt lgkmcnt(0)
	v_mul_f64 v[203:204], v[5:6], v[135:136]
	v_mul_f64 v[135:136], v[7:8], v[135:136]
	ds_read_b128 v[1:4], v184 offset:1024
	s_clause 0x2
	buffer_load_dword v198, off, s[0:3], 0 offset:364
	buffer_load_dword v188, off, s[0:3], 0 offset:340
	;; [unrolled: 1-line block ×3, first 2 shown]
	v_add_f64 v[189:190], v[189:190], v[200:201]
	v_add_f64 v[127:128], v[127:128], v[123:124]
	ds_read_b128 v[123:126], v184 offset:1040
	s_waitcnt vmcnt(58) lgkmcnt(1)
	v_mul_f64 v[199:200], v[1:2], v[139:140]
	v_mul_f64 v[139:140], v[3:4], v[139:140]
	s_waitcnt vmcnt(56)
	v_fma_f64 v[135:136], v[5:6], v[141:142], -v[135:136]
	v_fma_f64 v[141:142], v[7:8], v[141:142], v[203:204]
	s_waitcnt vmcnt(52) lgkmcnt(0)
	v_mul_f64 v[205:206], v[123:124], v[143:144]
	v_add_f64 v[185:186], v[189:190], v[185:186]
	v_add_f64 v[127:128], v[127:128], v[147:148]
	s_clause 0x4
	buffer_load_dword v148, off, s[0:3], 0 offset:380
	buffer_load_dword v189, off, s[0:3], 0 offset:392
	;; [unrolled: 1-line block ×5, first 2 shown]
	v_mul_f64 v[143:144], v[125:126], v[143:144]
	s_waitcnt vmcnt(56)
	v_fma_f64 v[139:140], v[1:2], v[133:134], -v[139:140]
	ds_read_b128 v[5:8], v184 offset:1056
	v_fma_f64 v[133:134], v[3:4], v[133:134], v[199:200]
	v_add_f64 v[135:136], v[185:186], v[135:136]
	v_add_f64 v[127:128], v[127:128], v[141:142]
	s_clause 0x2
	buffer_load_dword v190, off, s[0:3], 0 offset:396
	buffer_load_dword v142, off, s[0:3], 0 offset:372
	;; [unrolled: 1-line block ×3, first 2 shown]
	s_waitcnt vmcnt(58) lgkmcnt(0)
	v_mul_f64 v[185:186], v[5:6], v[149:150]
	v_mul_f64 v[149:150], v[7:8], v[149:150]
	s_waitcnt vmcnt(56)
	v_fma_f64 v[143:144], v[123:124], v[151:152], -v[143:144]
	ds_read_b128 v[1:4], v184 offset:1072
	v_add_f64 v[135:136], v[135:136], v[139:140]
	v_fma_f64 v[139:140], v[125:126], v[151:152], v[205:206]
	v_add_f64 v[127:128], v[127:128], v[133:134]
	s_clause 0x4
	buffer_load_dword v134, off, s[0:3], 0 offset:412
	buffer_load_dword v151, off, s[0:3], 0 offset:424
	;; [unrolled: 1-line block ×5, first 2 shown]
	s_waitcnt vmcnt(57) lgkmcnt(0)
	v_mul_f64 v[200:201], v[1:2], v[153:154]
	v_mul_f64 v[153:154], v[3:4], v[153:154]
	s_waitcnt vmcnt(56)
	v_fma_f64 v[149:150], v[5:6], v[137:138], -v[149:150]
	ds_read_b128 v[123:126], v184 offset:1088
	v_fma_f64 v[137:138], v[7:8], v[137:138], v[185:186]
	v_add_f64 v[135:136], v[135:136], v[143:144]
	v_add_f64 v[127:128], v[127:128], v[139:140]
	s_clause 0x2
	buffer_load_dword v152, off, s[0:3], 0 offset:428
	buffer_load_dword v140, off, s[0:3], 0 offset:404
	buffer_load_dword v139, off, s[0:3], 0 offset:400
	ds_read_b128 v[5:8], v184 offset:1104
	s_waitcnt vmcnt(58) lgkmcnt(1)
	v_mul_f64 v[143:144], v[123:124], v[157:158]
	v_mul_f64 v[157:158], v[125:126], v[157:158]
	s_waitcnt vmcnt(56)
	v_fma_f64 v[153:154], v[1:2], v[159:160], -v[153:154]
	v_add_f64 v[135:136], v[135:136], v[149:150]
	v_fma_f64 v[149:150], v[3:4], v[159:160], v[200:201]
	v_add_f64 v[127:128], v[127:128], v[137:138]
	s_clause 0x4
	buffer_load_dword v138, off, s[0:3], 0 offset:444
	buffer_load_dword v159, off, s[0:3], 0 offset:456
	;; [unrolled: 1-line block ×5, first 2 shown]
	s_waitcnt vmcnt(57) lgkmcnt(0)
	v_mul_f64 v[206:207], v[5:6], v[161:162]
	v_mul_f64 v[161:162], v[7:8], v[161:162]
	s_waitcnt vmcnt(56)
	v_fma_f64 v[157:158], v[123:124], v[145:146], -v[157:158]
	ds_read_b128 v[1:4], v184 offset:1120
	v_fma_f64 v[143:144], v[125:126], v[145:146], v[143:144]
	s_clause 0x2
	buffer_load_dword v160, off, s[0:3], 0 offset:460
	buffer_load_dword v146, off, s[0:3], 0 offset:436
	;; [unrolled: 1-line block ×3, first 2 shown]
	ds_read_b128 v[123:126], v184 offset:1136
	v_add_f64 v[135:136], v[135:136], v[153:154]
	v_add_f64 v[127:128], v[127:128], v[149:150]
	s_waitcnt vmcnt(58) lgkmcnt(1)
	v_mul_f64 v[153:154], v[3:4], v[165:166]
	s_waitcnt vmcnt(56)
	v_fma_f64 v[161:162], v[5:6], v[167:168], -v[161:162]
	v_mul_f64 v[149:150], v[1:2], v[165:166]
	v_add_f64 v[135:136], v[135:136], v[157:158]
	v_fma_f64 v[157:158], v[7:8], v[167:168], v[206:207]
	v_add_f64 v[127:128], v[127:128], v[143:144]
	s_clause 0x4
	buffer_load_dword v144, off, s[0:3], 0 offset:476
	buffer_load_dword v165, off, s[0:3], 0 offset:488
	;; [unrolled: 1-line block ×5, first 2 shown]
	s_waitcnt vmcnt(57) lgkmcnt(0)
	v_mul_f64 v[206:207], v[123:124], v[169:170]
	v_mul_f64 v[168:169], v[125:126], v[169:170]
	s_waitcnt vmcnt(56)
	v_fma_f64 v[153:154], v[1:2], v[155:156], -v[153:154]
	ds_read_b128 v[5:8], v184 offset:1152
	v_fma_f64 v[149:150], v[3:4], v[155:156], v[149:150]
	s_clause 0x2
	buffer_load_dword v166, off, s[0:3], 0 offset:492
	buffer_load_dword v156, off, s[0:3], 0 offset:468
	;; [unrolled: 1-line block ×3, first 2 shown]
	ds_read_b128 v[1:4], v184 offset:1168
	v_add_f64 v[135:136], v[135:136], v[161:162]
	v_add_f64 v[127:128], v[127:128], v[157:158]
	s_waitcnt vmcnt(58) lgkmcnt(1)
	v_mul_f64 v[161:162], v[7:8], v[173:174]
	s_waitcnt vmcnt(56)
	v_fma_f64 v[169:170], v[123:124], v[175:176], -v[168:169]
	v_mul_f64 v[157:158], v[5:6], v[173:174]
	v_add_f64 v[135:136], v[135:136], v[153:154]
	v_fma_f64 v[153:154], v[125:126], v[175:176], v[206:207]
	v_add_f64 v[127:128], v[127:128], v[149:150]
	s_clause 0x4
	buffer_load_dword v150, off, s[0:3], 0 offset:508
	buffer_load_dword v173, off, s[0:3], 0 offset:520
	;; [unrolled: 1-line block ×5, first 2 shown]
	s_waitcnt vmcnt(57) lgkmcnt(0)
	v_mul_f64 v[206:207], v[1:2], v[177:178]
	v_mul_f64 v[176:177], v[3:4], v[177:178]
	s_waitcnt vmcnt(56)
	v_fma_f64 v[161:162], v[5:6], v[163:164], -v[161:162]
	ds_read_b128 v[123:126], v184 offset:1184
	v_fma_f64 v[157:158], v[7:8], v[163:164], v[157:158]
	v_add_f64 v[135:136], v[135:136], v[169:170]
	v_add_f64 v[127:128], v[127:128], v[153:154]
	s_clause 0x2
	buffer_load_dword v174, off, s[0:3], 0 offset:524
	buffer_load_dword v154, off, s[0:3], 0 offset:500
	;; [unrolled: 1-line block ×3, first 2 shown]
	ds_read_b128 v[5:8], v184 offset:1200
	s_waitcnt vmcnt(58) lgkmcnt(1)
	v_mul_f64 v[169:170], v[125:126], v[179:180]
	s_waitcnt vmcnt(56)
	v_fma_f64 v[177:178], v[1:2], v[181:182], -v[176:177]
	v_mul_f64 v[163:164], v[123:124], v[179:180]
	v_add_f64 v[135:136], v[135:136], v[161:162]
	v_fma_f64 v[161:162], v[3:4], v[181:182], v[206:207]
	v_add_f64 v[127:128], v[127:128], v[157:158]
	s_clause 0x4
	buffer_load_dword v158, off, s[0:3], 0 offset:540
	buffer_load_dword v179, off, s[0:3], 0 offset:552
	;; [unrolled: 1-line block ×5, first 2 shown]
	s_waitcnt vmcnt(57) lgkmcnt(0)
	v_mul_f64 v[206:207], v[5:6], v[191:192]
	v_mul_f64 v[191:192], v[7:8], v[191:192]
	s_waitcnt vmcnt(56)
	v_fma_f64 v[169:170], v[123:124], v[171:172], -v[169:170]
	ds_read_b128 v[1:4], v184 offset:1216
	v_fma_f64 v[163:164], v[125:126], v[171:172], v[163:164]
	v_add_f64 v[135:136], v[135:136], v[177:178]
	v_add_f64 v[127:128], v[127:128], v[161:162]
	s_clause 0x2
	buffer_load_dword v180, off, s[0:3], 0 offset:556
	buffer_load_dword v162, off, s[0:3], 0 offset:532
	;; [unrolled: 1-line block ×3, first 2 shown]
	ds_read_b128 v[123:126], v184 offset:1232
	s_waitcnt vmcnt(58) lgkmcnt(1)
	v_mul_f64 v[177:178], v[3:4], v[193:194]
	v_mul_f64 v[171:172], v[1:2], v[193:194]
	s_waitcnt vmcnt(56)
	v_fma_f64 v[191:192], v[5:6], v[131:132], -v[191:192]
	v_fma_f64 v[131:132], v[7:8], v[131:132], v[206:207]
	v_add_f64 v[135:136], v[135:136], v[169:170]
	v_add_f64 v[127:128], v[127:128], v[163:164]
	s_clause 0x4
	buffer_load_dword v164, off, s[0:3], 0 offset:572
	buffer_load_dword v169, off, s[0:3], 0 offset:584
	;; [unrolled: 1-line block ×5, first 2 shown]
	ds_read_b128 v[5:8], v184 offset:1248
	s_waitcnt vmcnt(57) lgkmcnt(1)
	v_mul_f64 v[206:207], v[123:124], v[129:130]
	v_mul_f64 v[129:130], v[125:126], v[129:130]
	s_waitcnt vmcnt(56)
	v_fma_f64 v[177:178], v[1:2], v[195:196], -v[177:178]
	v_fma_f64 v[171:172], v[3:4], v[195:196], v[171:172]
	v_add_f64 v[135:136], v[135:136], v[191:192]
	v_add_f64 v[127:128], v[127:128], v[131:132]
	s_clause 0x2
	buffer_load_dword v170, off, s[0:3], 0 offset:588
	buffer_load_dword v132, off, s[0:3], 0 offset:564
	buffer_load_dword v131, off, s[0:3], 0 offset:560
	s_waitcnt vmcnt(58) lgkmcnt(0)
	v_mul_f64 v[195:196], v[7:8], v[197:198]
	ds_read_b128 v[1:4], v184 offset:1264
	v_mul_f64 v[191:192], v[5:6], v[197:198]
	s_waitcnt vmcnt(56)
	v_fma_f64 v[129:130], v[123:124], v[187:188], -v[129:130]
	v_add_f64 v[135:136], v[135:136], v[177:178]
	v_fma_f64 v[177:178], v[125:126], v[187:188], v[206:207]
	v_add_f64 v[127:128], v[127:128], v[171:172]
	s_clause 0x4
	buffer_load_dword v172, off, s[0:3], 0 offset:604
	buffer_load_dword v187, off, s[0:3], 0 offset:616
	;; [unrolled: 1-line block ×5, first 2 shown]
	ds_read_b128 v[123:126], v184 offset:1280
	s_waitcnt vmcnt(57) lgkmcnt(1)
	v_mul_f64 v[206:207], v[1:2], v[147:148]
	v_mul_f64 v[147:148], v[3:4], v[147:148]
	s_waitcnt vmcnt(56)
	v_fma_f64 v[195:196], v[5:6], v[202:203], -v[195:196]
	v_add_f64 v[129:130], v[135:136], v[129:130]
	v_fma_f64 v[135:136], v[7:8], v[202:203], v[191:192]
	v_add_f64 v[127:128], v[127:128], v[177:178]
	s_clause 0x2
	buffer_load_dword v188, off, s[0:3], 0 offset:620
	buffer_load_dword v178, off, s[0:3], 0 offset:596
	;; [unrolled: 1-line block ×3, first 2 shown]
	ds_read_b128 v[5:8], v184 offset:1296
	s_waitcnt vmcnt(58) lgkmcnt(1)
	v_mul_f64 v[191:192], v[123:124], v[189:190]
	v_mul_f64 v[189:190], v[125:126], v[189:190]
	s_waitcnt vmcnt(56)
	v_fma_f64 v[147:148], v[1:2], v[141:142], -v[147:148]
	v_fma_f64 v[141:142], v[3:4], v[141:142], v[206:207]
	v_add_f64 v[129:130], v[129:130], v[195:196]
	v_add_f64 v[127:128], v[127:128], v[135:136]
	s_clause 0x4
	buffer_load_dword v136, off, s[0:3], 0 offset:636
	buffer_load_dword v195, off, s[0:3], 0 offset:648
	;; [unrolled: 1-line block ×5, first 2 shown]
	ds_read_b128 v[1:4], v184 offset:1312
	s_waitcnt vmcnt(57) lgkmcnt(1)
	v_mul_f64 v[202:203], v[5:6], v[133:134]
	v_mul_f64 v[133:134], v[7:8], v[133:134]
	s_waitcnt vmcnt(56)
	v_fma_f64 v[189:190], v[123:124], v[204:205], -v[189:190]
	v_add_f64 v[129:130], v[129:130], v[147:148]
	v_fma_f64 v[147:148], v[125:126], v[204:205], v[191:192]
	v_add_f64 v[127:128], v[127:128], v[141:142]
	s_clause 0x2
	buffer_load_dword v196, off, s[0:3], 0 offset:652
	buffer_load_dword v142, off, s[0:3], 0 offset:628
	;; [unrolled: 1-line block ×3, first 2 shown]
	ds_read_b128 v[123:126], v184 offset:1328
	s_waitcnt vmcnt(58) lgkmcnt(1)
	v_mul_f64 v[191:192], v[1:2], v[151:152]
	v_mul_f64 v[151:152], v[3:4], v[151:152]
	s_waitcnt vmcnt(56)
	v_fma_f64 v[133:134], v[5:6], v[139:140], -v[133:134]
	v_fma_f64 v[139:140], v[7:8], v[139:140], v[202:203]
	v_add_f64 v[129:130], v[129:130], v[189:190]
	v_add_f64 v[127:128], v[127:128], v[147:148]
	s_clause 0x4
	buffer_load_dword v148, off, s[0:3], 0 offset:668
	buffer_load_dword v189, off, s[0:3], 0 offset:680
	;; [unrolled: 1-line block ×5, first 2 shown]
	ds_read_b128 v[5:8], v184 offset:1344
	s_waitcnt vmcnt(57) lgkmcnt(1)
	v_mul_f64 v[204:205], v[123:124], v[137:138]
	v_mul_f64 v[137:138], v[125:126], v[137:138]
	s_waitcnt vmcnt(56)
	v_fma_f64 v[151:152], v[1:2], v[199:200], -v[151:152]
	v_add_f64 v[129:130], v[129:130], v[133:134]
	v_fma_f64 v[133:134], v[3:4], v[199:200], v[191:192]
	v_add_f64 v[127:128], v[127:128], v[139:140]
	s_clause 0x2
	buffer_load_dword v190, off, s[0:3], 0 offset:684
	buffer_load_dword v140, off, s[0:3], 0 offset:660
	buffer_load_dword v139, off, s[0:3], 0 offset:656
	s_waitcnt vmcnt(58) lgkmcnt(0)
	v_mul_f64 v[191:192], v[5:6], v[159:160]
	v_mul_f64 v[159:160], v[7:8], v[159:160]
	ds_read_b128 v[1:4], v184 offset:1360
	s_waitcnt vmcnt(56)
	v_fma_f64 v[137:138], v[123:124], v[145:146], -v[137:138]
	v_fma_f64 v[145:146], v[125:126], v[145:146], v[204:205]
	v_add_f64 v[129:130], v[129:130], v[151:152]
	v_add_f64 v[127:128], v[127:128], v[133:134]
	s_clause 0x4
	buffer_load_dword v134, off, s[0:3], 0 offset:700
	buffer_load_dword v151, off, s[0:3], 0 offset:712
	;; [unrolled: 1-line block ×5, first 2 shown]
	ds_read_b128 v[123:126], v184 offset:1376
	s_waitcnt vmcnt(57) lgkmcnt(1)
	v_mul_f64 v[205:206], v[1:2], v[143:144]
	v_mul_f64 v[143:144], v[3:4], v[143:144]
	s_waitcnt vmcnt(56)
	v_fma_f64 v[159:160], v[5:6], v[185:186], -v[159:160]
	v_add_f64 v[129:130], v[129:130], v[137:138]
	v_fma_f64 v[137:138], v[7:8], v[185:186], v[191:192]
	v_add_f64 v[127:128], v[127:128], v[145:146]
	s_clause 0x2
	buffer_load_dword v152, off, s[0:3], 0 offset:716
	buffer_load_dword v146, off, s[0:3], 0 offset:692
	;; [unrolled: 1-line block ×3, first 2 shown]
	s_waitcnt vmcnt(58) lgkmcnt(0)
	v_mul_f64 v[185:186], v[123:124], v[165:166]
	v_mul_f64 v[165:166], v[125:126], v[165:166]
	ds_read_b128 v[5:8], v184 offset:1392
	s_waitcnt vmcnt(56)
	v_fma_f64 v[143:144], v[1:2], v[155:156], -v[143:144]
	v_fma_f64 v[155:156], v[3:4], v[155:156], v[205:206]
	v_add_f64 v[129:130], v[129:130], v[159:160]
	v_add_f64 v[127:128], v[127:128], v[137:138]
	s_clause 0x4
	buffer_load_dword v138, off, s[0:3], 0 offset:732
	buffer_load_dword v159, off, s[0:3], 0 offset:744
	buffer_load_dword v191, off, s[0:3], 0 offset:736
	buffer_load_dword v137, off, s[0:3], 0 offset:728
	buffer_load_dword v200, off, s[0:3], 0 offset:708
	ds_read_b128 v[1:4], v184 offset:1408
	s_waitcnt vmcnt(57) lgkmcnt(1)
	v_mul_f64 v[205:206], v[5:6], v[149:150]
	v_mul_f64 v[149:150], v[7:8], v[149:150]
	s_waitcnt vmcnt(56)
	v_fma_f64 v[165:166], v[123:124], v[167:168], -v[165:166]
	v_add_f64 v[129:130], v[129:130], v[143:144]
	v_fma_f64 v[143:144], v[125:126], v[167:168], v[185:186]
	v_add_f64 v[127:128], v[127:128], v[155:156]
	s_clause 0x2
	buffer_load_dword v160, off, s[0:3], 0 offset:748
	buffer_load_dword v156, off, s[0:3], 0 offset:724
	buffer_load_dword v155, off, s[0:3], 0 offset:720
	ds_read_b128 v[123:126], v184 offset:1424
	s_waitcnt vmcnt(58) lgkmcnt(1)
	v_mul_f64 v[167:168], v[1:2], v[173:174]
	v_mul_f64 v[173:174], v[3:4], v[173:174]
	s_waitcnt vmcnt(56)
	v_fma_f64 v[149:150], v[5:6], v[153:154], -v[149:150]
	v_fma_f64 v[153:154], v[7:8], v[153:154], v[205:206]
	v_add_f64 v[129:130], v[129:130], v[165:166]
	v_add_f64 v[127:128], v[127:128], v[143:144]
	s_clause 0x4
	buffer_load_dword v144, off, s[0:3], 0 offset:764
	buffer_load_dword v165, off, s[0:3], 0 offset:776
	buffer_load_dword v185, off, s[0:3], 0 offset:768
	buffer_load_dword v143, off, s[0:3], 0 offset:760
	buffer_load_dword v192, off, s[0:3], 0 offset:740
	ds_read_b128 v[5:8], v184 offset:1440
	s_waitcnt vmcnt(57) lgkmcnt(1)
	v_mul_f64 v[205:206], v[123:124], v[157:158]
	v_mul_f64 v[157:158], v[125:126], v[157:158]
	s_waitcnt vmcnt(56)
	v_fma_f64 v[173:174], v[1:2], v[175:176], -v[173:174]
	v_add_f64 v[129:130], v[129:130], v[149:150]
	v_fma_f64 v[149:150], v[3:4], v[175:176], v[167:168]
	v_add_f64 v[127:128], v[127:128], v[153:154]
	s_clause 0x2
	buffer_load_dword v166, off, s[0:3], 0 offset:780
	buffer_load_dword v154, off, s[0:3], 0 offset:756
	buffer_load_dword v153, off, s[0:3], 0 offset:752
	ds_read_b128 v[1:4], v184 offset:1456
	s_waitcnt vmcnt(58) lgkmcnt(1)
	v_mul_f64 v[175:176], v[7:8], v[179:180]
	v_mul_f64 v[167:168], v[5:6], v[179:180]
	;; [unrolled: 28-line block ×4, first 2 shown]
	s_waitcnt vmcnt(56)
	v_fma_f64 v[171:172], v[5:6], v[177:178], -v[171:172]
	v_add_f64 v[129:130], v[129:130], v[169:170]
	v_fma_f64 v[169:170], v[7:8], v[177:178], v[205:206]
	v_add_f64 v[127:128], v[127:128], v[163:164]
	s_clause 0x4
	buffer_load_dword v164, off, s[0:3], 0 offset:860
	buffer_load_dword v177, off, s[0:3], 0 offset:872
	;; [unrolled: 1-line block ×5, first 2 shown]
	ds_read_b128 v[5:8], v184 offset:1536
	s_waitcnt vmcnt(57) lgkmcnt(1)
	v_mul_f64 v[205:206], v[123:124], v[135:136]
	v_mul_f64 v[135:136], v[125:126], v[135:136]
	s_waitcnt vmcnt(56)
	v_fma_f64 v[187:188], v[1:2], v[197:198], -v[187:188]
	v_fma_f64 v[167:168], v[3:4], v[197:198], v[167:168]
	v_add_f64 v[129:130], v[129:130], v[171:172]
	v_add_f64 v[127:128], v[127:128], v[169:170]
	s_clause 0x2
	buffer_load_dword v178, off, s[0:3], 0 offset:876
	buffer_load_dword v170, off, s[0:3], 0 offset:852
	;; [unrolled: 1-line block ×3, first 2 shown]
	ds_read_b128 v[1:4], v184 offset:1552
	s_waitcnt vmcnt(58) lgkmcnt(1)
	v_mul_f64 v[171:172], v[5:6], v[195:196]
	v_mul_f64 v[195:196], v[7:8], v[195:196]
	s_waitcnt vmcnt(56)
	v_fma_f64 v[135:136], v[123:124], v[141:142], -v[135:136]
	v_fma_f64 v[141:142], v[125:126], v[141:142], v[205:206]
	v_add_f64 v[129:130], v[129:130], v[187:188]
	v_add_f64 v[127:128], v[127:128], v[167:168]
	s_clause 0x4
	buffer_load_dword v168, off, s[0:3], 0 offset:892
	buffer_load_dword v187, off, s[0:3], 0 offset:904
	;; [unrolled: 1-line block ×5, first 2 shown]
	ds_read_b128 v[123:126], v184 offset:1568
	s_waitcnt vmcnt(57) lgkmcnt(1)
	v_mul_f64 v[205:206], v[1:2], v[147:148]
	v_mul_f64 v[147:148], v[3:4], v[147:148]
	s_waitcnt vmcnt(56)
	v_fma_f64 v[195:196], v[5:6], v[201:202], -v[195:196]
	v_add_f64 v[129:130], v[129:130], v[135:136]
	v_fma_f64 v[135:136], v[7:8], v[201:202], v[171:172]
	v_add_f64 v[127:128], v[127:128], v[141:142]
	s_clause 0x2
	buffer_load_dword v188, off, s[0:3], 0 offset:908
	buffer_load_dword v142, off, s[0:3], 0 offset:884
	;; [unrolled: 1-line block ×3, first 2 shown]
	ds_read_b128 v[5:8], v184 offset:1584
	s_waitcnt vmcnt(58) lgkmcnt(1)
	v_mul_f64 v[171:172], v[123:124], v[189:190]
	v_mul_f64 v[189:190], v[125:126], v[189:190]
	s_waitcnt vmcnt(56)
	v_fma_f64 v[147:148], v[1:2], v[139:140], -v[147:148]
	v_fma_f64 v[139:140], v[3:4], v[139:140], v[205:206]
	v_add_f64 v[129:130], v[129:130], v[195:196]
	v_add_f64 v[127:128], v[127:128], v[135:136]
	s_clause 0x2
	buffer_load_dword v136, off, s[0:3], 0 offset:924
	buffer_load_dword v135, off, s[0:3], 0 offset:920
	buffer_load_dword v198, off, s[0:3], 0 offset:900
	ds_read_b128 v[1:4], v184 offset:1600
	s_waitcnt vmcnt(55) lgkmcnt(1)
	v_mul_f64 v[195:196], v[5:6], v[133:134]
	v_mul_f64 v[133:134], v[7:8], v[133:134]
	s_waitcnt vmcnt(54)
	v_fma_f64 v[189:190], v[123:124], v[203:204], -v[189:190]
	v_add_f64 v[129:130], v[129:130], v[147:148]
	v_fma_f64 v[147:148], v[125:126], v[203:204], v[171:172]
	v_add_f64 v[127:128], v[127:128], v[139:140]
	s_clause 0x1
	buffer_load_dword v140, off, s[0:3], 0 offset:916
	buffer_load_dword v139, off, s[0:3], 0 offset:912
	ds_read_b128 v[123:126], v184 offset:1616
	s_waitcnt vmcnt(55) lgkmcnt(1)
	v_mul_f64 v[171:172], v[1:2], v[151:152]
	v_mul_f64 v[151:152], v[3:4], v[151:152]
	s_waitcnt vmcnt(53)
	v_fma_f64 v[133:134], v[5:6], v[145:146], -v[133:134]
	v_fma_f64 v[145:146], v[7:8], v[145:146], v[195:196]
	ds_read_b128 v[5:8], v184 offset:1632
	v_add_f64 v[129:130], v[129:130], v[189:190]
	v_add_f64 v[127:128], v[127:128], v[147:148]
	s_waitcnt vmcnt(49) lgkmcnt(1)
	v_mul_f64 v[147:148], v[123:124], v[137:138]
	v_mul_f64 v[137:138], v[125:126], v[137:138]
	s_waitcnt vmcnt(48)
	v_fma_f64 v[151:152], v[1:2], v[199:200], -v[151:152]
	v_add_f64 v[129:130], v[129:130], v[133:134]
	v_fma_f64 v[133:134], v[3:4], v[199:200], v[171:172]
	v_add_f64 v[127:128], v[127:128], v[145:146]
	s_clause 0x3
	buffer_load_dword v145, off, s[0:3], 0 offset:48
	buffer_load_dword v146, off, s[0:3], 0 offset:52
	;; [unrolled: 1-line block ×4, first 2 shown]
	ds_read_b128 v[1:4], v184 offset:1648
	s_waitcnt vmcnt(51) lgkmcnt(1)
	v_mul_f64 v[189:190], v[5:6], v[159:160]
	v_mul_f64 v[159:160], v[7:8], v[159:160]
	s_waitcnt vmcnt(49)
	v_fma_f64 v[137:138], v[123:124], v[155:156], -v[137:138]
	v_fma_f64 v[147:148], v[125:126], v[155:156], v[147:148]
	ds_read_b128 v[123:126], v184 offset:1664
	v_add_f64 v[129:130], v[129:130], v[151:152]
	v_add_f64 v[127:128], v[127:128], v[133:134]
	s_waitcnt vmcnt(45) lgkmcnt(1)
	v_mul_f64 v[133:134], v[1:2], v[143:144]
	v_mul_f64 v[143:144], v[3:4], v[143:144]
	s_waitcnt vmcnt(44)
	v_fma_f64 v[151:152], v[5:6], v[191:192], -v[159:160]
	v_add_f64 v[129:130], v[129:130], v[137:138]
	v_fma_f64 v[137:138], v[7:8], v[191:192], v[189:190]
	v_add_f64 v[127:128], v[127:128], v[147:148]
	ds_read_b128 v[5:8], v184 offset:1680
	s_waitcnt vmcnt(43) lgkmcnt(1)
	v_mul_f64 v[155:156], v[125:126], v[165:166]
	v_mul_f64 v[147:148], v[123:124], v[165:166]
	s_waitcnt vmcnt(41)
	v_fma_f64 v[143:144], v[1:2], v[153:154], -v[143:144]
	v_fma_f64 v[133:134], v[3:4], v[153:154], v[133:134]
	ds_read_b128 v[1:4], v184 offset:1696
	v_add_f64 v[129:130], v[129:130], v[151:152]
	v_add_f64 v[127:128], v[127:128], v[137:138]
	s_waitcnt vmcnt(37) lgkmcnt(1)
	v_mul_f64 v[137:138], v[5:6], v[149:150]
	v_mul_f64 v[149:150], v[7:8], v[149:150]
	s_waitcnt vmcnt(36)
	v_fma_f64 v[151:152], v[123:124], v[185:186], -v[155:156]
	v_add_f64 v[129:130], v[129:130], v[143:144]
	v_fma_f64 v[143:144], v[125:126], v[185:186], v[147:148]
	v_add_f64 v[127:128], v[127:128], v[133:134]
	ds_read_b128 v[123:126], v184 offset:1712
	s_waitcnt vmcnt(35) lgkmcnt(1)
	v_mul_f64 v[147:148], v[3:4], v[173:174]
	v_mul_f64 v[133:134], v[1:2], v[173:174]
	s_waitcnt vmcnt(33)
	v_fma_f64 v[149:150], v[5:6], v[161:162], -v[149:150]
	v_fma_f64 v[137:138], v[7:8], v[161:162], v[137:138]
	ds_read_b128 v[5:8], v184 offset:1728
	v_add_f64 v[129:130], v[129:130], v[151:152]
	v_add_f64 v[127:128], v[127:128], v[143:144]
	s_waitcnt vmcnt(29) lgkmcnt(1)
	v_mul_f64 v[151:152], v[125:126], v[157:158]
	s_waitcnt vmcnt(28)
	v_fma_f64 v[147:148], v[1:2], v[179:180], -v[147:148]
	v_mul_f64 v[143:144], v[123:124], v[157:158]
	v_fma_f64 v[133:134], v[3:4], v[179:180], v[133:134]
	ds_read_b128 v[1:4], v184 offset:1744
	v_add_f64 v[129:130], v[129:130], v[149:150]
	v_add_f64 v[127:128], v[127:128], v[137:138]
	s_waitcnt vmcnt(27) lgkmcnt(1)
	v_mul_f64 v[149:150], v[7:8], v[175:176]
	v_mul_f64 v[137:138], v[5:6], v[175:176]
	s_waitcnt vmcnt(25)
	v_fma_f64 v[151:152], v[123:124], v[131:132], -v[151:152]
	v_fma_f64 v[131:132], v[125:126], v[131:132], v[143:144]
	ds_read_b128 v[123:126], v184 offset:1760
	v_add_f64 v[129:130], v[129:130], v[147:148]
	v_add_f64 v[127:128], v[127:128], v[133:134]
	s_waitcnt vmcnt(21) lgkmcnt(1)
	v_mul_f64 v[143:144], v[3:4], v[163:164]
	s_waitcnt vmcnt(20)
	v_fma_f64 v[147:148], v[5:6], v[181:182], -v[149:150]
	v_mul_f64 v[133:134], v[1:2], v[163:164]
	v_fma_f64 v[137:138], v[7:8], v[181:182], v[137:138]
	ds_read_b128 v[5:8], v184 offset:1776
	v_add_f64 v[129:130], v[129:130], v[151:152]
	v_add_f64 v[127:128], v[127:128], v[131:132]
	;; [unrolled: 18-line block ×3, first 2 shown]
	s_waitcnt vmcnt(11) lgkmcnt(1)
	v_mul_f64 v[143:144], v[3:4], v[187:188]
	v_mul_f64 v[133:134], v[1:2], v[187:188]
	s_waitcnt vmcnt(9)
	v_fma_f64 v[5:6], v[5:6], v[141:142], -v[147:148]
	v_fma_f64 v[7:8], v[7:8], v[141:142], v[137:138]
	v_add_f64 v[129:130], v[129:130], v[149:150]
	v_add_f64 v[127:128], v[127:128], v[131:132]
	s_waitcnt vmcnt(7) lgkmcnt(0)
	v_mul_f64 v[131:132], v[123:124], v[135:136]
	v_mul_f64 v[135:136], v[125:126], v[135:136]
	s_waitcnt vmcnt(6)
	v_fma_f64 v[1:2], v[1:2], v[197:198], -v[143:144]
	v_fma_f64 v[3:4], v[3:4], v[197:198], v[133:134]
	v_add_f64 v[5:6], v[129:130], v[5:6]
	v_add_f64 v[7:8], v[127:128], v[7:8]
	s_waitcnt vmcnt(4)
	v_fma_f64 v[123:124], v[123:124], v[139:140], -v[135:136]
	v_add_f64 v[1:2], v[5:6], v[1:2]
	v_fma_f64 v[5:6], v[125:126], v[139:140], v[131:132]
	v_add_f64 v[3:4], v[7:8], v[3:4]
	v_add_f64 v[1:2], v[1:2], v[123:124]
	;; [unrolled: 1-line block ×3, first 2 shown]
	s_waitcnt vmcnt(2)
	v_add_f64 v[1:2], v[145:146], -v[1:2]
	s_waitcnt vmcnt(0)
	v_add_f64 v[3:4], v[171:172], -v[3:4]
	buffer_store_dword v2, off, s[0:3], 0 offset:52
	buffer_store_dword v1, off, s[0:3], 0 offset:48
	;; [unrolled: 1-line block ×4, first 2 shown]
	v_cmpx_lt_u32_e32 1, v0
	s_cbranch_execz .LBB120_353
; %bb.352:
	v_mov_b32_e32 v4, s68
	v_mov_b32_e32 v5, 0
	s_clause 0x3
	buffer_load_dword v1, v4, s[0:3], 0 offen
	buffer_load_dword v2, v4, s[0:3], 0 offen offset:4
	buffer_load_dword v3, v4, s[0:3], 0 offen offset:8
	;; [unrolled: 1-line block ×3, first 2 shown]
	buffer_store_dword v5, off, s[0:3], 0 offset:32
	buffer_store_dword v5, off, s[0:3], 0 offset:36
	;; [unrolled: 1-line block ×4, first 2 shown]
	s_waitcnt vmcnt(0)
	ds_write_b128 v183, v[1:4]
.LBB120_353:
	s_or_b32 exec_lo, exec_lo, s4
	s_waitcnt lgkmcnt(0)
	s_waitcnt_vscnt null, 0x0
	s_barrier
	buffer_gl0_inv
	s_clause 0x37
	buffer_load_dword v131, off, s[0:3], 0 offset:56
	buffer_load_dword v132, off, s[0:3], 0 offset:60
	buffer_load_dword v127, off, s[0:3], 0 offset:72
	buffer_load_dword v128, off, s[0:3], 0 offset:76
	buffer_load_dword v129, off, s[0:3], 0 offset:48
	buffer_load_dword v130, off, s[0:3], 0 offset:52
	buffer_load_dword v125, off, s[0:3], 0 offset:88
	buffer_load_dword v126, off, s[0:3], 0 offset:92
	buffer_load_dword v123, off, s[0:3], 0 offset:64
	buffer_load_dword v124, off, s[0:3], 0 offset:68
	buffer_load_dword v136, off, s[0:3], 0 offset:108
	buffer_load_dword v139, off, s[0:3], 0 offset:120
	buffer_load_dword v133, off, s[0:3], 0 offset:112
	buffer_load_dword v135, off, s[0:3], 0 offset:104
	buffer_load_dword v147, off, s[0:3], 0 offset:80
	buffer_load_dword v148, off, s[0:3], 0 offset:84
	buffer_load_dword v140, off, s[0:3], 0 offset:124
	buffer_load_dword v142, off, s[0:3], 0 offset:100
	buffer_load_dword v141, off, s[0:3], 0 offset:96
	buffer_load_dword v144, off, s[0:3], 0 offset:140
	buffer_load_dword v149, off, s[0:3], 0 offset:152
	buffer_load_dword v137, off, s[0:3], 0 offset:144
	buffer_load_dword v143, off, s[0:3], 0 offset:136
	buffer_load_dword v134, off, s[0:3], 0 offset:116
	buffer_load_dword v150, off, s[0:3], 0 offset:156
	buffer_load_dword v152, off, s[0:3], 0 offset:132
	buffer_load_dword v151, off, s[0:3], 0 offset:128
	buffer_load_dword v154, off, s[0:3], 0 offset:172
	buffer_load_dword v157, off, s[0:3], 0 offset:184
	buffer_load_dword v145, off, s[0:3], 0 offset:176
	buffer_load_dword v153, off, s[0:3], 0 offset:168
	buffer_load_dword v138, off, s[0:3], 0 offset:148
	buffer_load_dword v158, off, s[0:3], 0 offset:188
	buffer_load_dword v160, off, s[0:3], 0 offset:164
	buffer_load_dword v159, off, s[0:3], 0 offset:160
	buffer_load_dword v162, off, s[0:3], 0 offset:204
	buffer_load_dword v165, off, s[0:3], 0 offset:216
	buffer_load_dword v155, off, s[0:3], 0 offset:208
	buffer_load_dword v161, off, s[0:3], 0 offset:200
	buffer_load_dword v146, off, s[0:3], 0 offset:180
	buffer_load_dword v166, off, s[0:3], 0 offset:220
	buffer_load_dword v168, off, s[0:3], 0 offset:196
	buffer_load_dword v167, off, s[0:3], 0 offset:192
	buffer_load_dword v170, off, s[0:3], 0 offset:236
	buffer_load_dword v173, off, s[0:3], 0 offset:248
	buffer_load_dword v163, off, s[0:3], 0 offset:240
	buffer_load_dword v169, off, s[0:3], 0 offset:232
	buffer_load_dword v156, off, s[0:3], 0 offset:212
	buffer_load_dword v174, off, s[0:3], 0 offset:252
	buffer_load_dword v176, off, s[0:3], 0 offset:228
	buffer_load_dword v175, off, s[0:3], 0 offset:224
	buffer_load_dword v178, off, s[0:3], 0 offset:268
	buffer_load_dword v179, off, s[0:3], 0 offset:280
	buffer_load_dword v171, off, s[0:3], 0 offset:272
	buffer_load_dword v177, off, s[0:3], 0 offset:264
	buffer_load_dword v164, off, s[0:3], 0 offset:244
	v_mov_b32_e32 v184, 0
	s_mov_b32 s4, exec_lo
	ds_read_b128 v[5:8], v184 offset:944
	s_clause 0x2
	buffer_load_dword v180, off, s[0:3], 0 offset:284
	buffer_load_dword v182, off, s[0:3], 0 offset:260
	;; [unrolled: 1-line block ×3, first 2 shown]
	ds_read_b128 v[1:4], v184 offset:960
	s_clause 0x4
	buffer_load_dword v192, off, s[0:3], 0 offset:300
	buffer_load_dword v193, off, s[0:3], 0 offset:312
	;; [unrolled: 1-line block ×5, first 2 shown]
	ds_read_b128 v[185:188], v184 offset:976
	s_waitcnt vmcnt(62) lgkmcnt(2)
	v_mul_f64 v[189:190], v[7:8], v[131:132]
	v_mul_f64 v[131:132], v[5:6], v[131:132]
	s_waitcnt vmcnt(60) lgkmcnt(1)
	v_mul_f64 v[196:197], v[3:4], v[127:128]
	v_mul_f64 v[127:128], v[1:2], v[127:128]
	s_waitcnt vmcnt(56) lgkmcnt(0)
	v_mul_f64 v[198:199], v[185:186], v[125:126]
	v_mul_f64 v[125:126], v[187:188], v[125:126]
	v_fma_f64 v[189:190], v[5:6], v[129:130], -v[189:190]
	v_fma_f64 v[129:130], v[7:8], v[129:130], v[131:132]
	s_clause 0x2
	buffer_load_dword v194, off, s[0:3], 0 offset:316
	buffer_load_dword v132, off, s[0:3], 0 offset:292
	buffer_load_dword v131, off, s[0:3], 0 offset:288
	s_waitcnt vmcnt(57)
	v_fma_f64 v[200:201], v[1:2], v[123:124], -v[196:197]
	ds_read_b128 v[5:8], v184 offset:992
	v_fma_f64 v[123:124], v[3:4], v[123:124], v[127:128]
	s_waitcnt vmcnt(51)
	v_fma_f64 v[185:186], v[185:186], v[147:148], -v[125:126]
	v_fma_f64 v[147:148], v[187:188], v[147:148], v[198:199]
	v_add_f64 v[189:190], v[189:190], 0
	v_add_f64 v[127:128], v[129:130], 0
	s_clause 0x4
	buffer_load_dword v130, off, s[0:3], 0 offset:332
	buffer_load_dword v197, off, s[0:3], 0 offset:344
	;; [unrolled: 1-line block ×5, first 2 shown]
	s_waitcnt lgkmcnt(0)
	v_mul_f64 v[203:204], v[5:6], v[135:136]
	v_mul_f64 v[135:136], v[7:8], v[135:136]
	ds_read_b128 v[1:4], v184 offset:1008
	s_clause 0x2
	buffer_load_dword v198, off, s[0:3], 0 offset:348
	buffer_load_dword v188, off, s[0:3], 0 offset:324
	;; [unrolled: 1-line block ×3, first 2 shown]
	v_add_f64 v[189:190], v[189:190], v[200:201]
	v_add_f64 v[127:128], v[127:128], v[123:124]
	ds_read_b128 v[123:126], v184 offset:1024
	s_waitcnt vmcnt(58) lgkmcnt(1)
	v_mul_f64 v[199:200], v[1:2], v[139:140]
	v_mul_f64 v[139:140], v[3:4], v[139:140]
	s_waitcnt vmcnt(56)
	v_fma_f64 v[135:136], v[5:6], v[141:142], -v[135:136]
	v_fma_f64 v[141:142], v[7:8], v[141:142], v[203:204]
	s_waitcnt vmcnt(52) lgkmcnt(0)
	v_mul_f64 v[205:206], v[123:124], v[143:144]
	v_add_f64 v[185:186], v[189:190], v[185:186]
	v_add_f64 v[127:128], v[127:128], v[147:148]
	s_clause 0x4
	buffer_load_dword v148, off, s[0:3], 0 offset:364
	buffer_load_dword v189, off, s[0:3], 0 offset:376
	;; [unrolled: 1-line block ×5, first 2 shown]
	v_mul_f64 v[143:144], v[125:126], v[143:144]
	s_waitcnt vmcnt(56)
	v_fma_f64 v[139:140], v[1:2], v[133:134], -v[139:140]
	ds_read_b128 v[5:8], v184 offset:1040
	v_fma_f64 v[133:134], v[3:4], v[133:134], v[199:200]
	v_add_f64 v[135:136], v[185:186], v[135:136]
	v_add_f64 v[127:128], v[127:128], v[141:142]
	s_clause 0x2
	buffer_load_dword v190, off, s[0:3], 0 offset:380
	buffer_load_dword v142, off, s[0:3], 0 offset:356
	;; [unrolled: 1-line block ×3, first 2 shown]
	s_waitcnt vmcnt(58) lgkmcnt(0)
	v_mul_f64 v[185:186], v[5:6], v[149:150]
	v_mul_f64 v[149:150], v[7:8], v[149:150]
	s_waitcnt vmcnt(56)
	v_fma_f64 v[143:144], v[123:124], v[151:152], -v[143:144]
	ds_read_b128 v[1:4], v184 offset:1056
	v_add_f64 v[135:136], v[135:136], v[139:140]
	v_fma_f64 v[139:140], v[125:126], v[151:152], v[205:206]
	v_add_f64 v[127:128], v[127:128], v[133:134]
	s_clause 0x4
	buffer_load_dword v134, off, s[0:3], 0 offset:396
	buffer_load_dword v151, off, s[0:3], 0 offset:408
	;; [unrolled: 1-line block ×5, first 2 shown]
	s_waitcnt vmcnt(57) lgkmcnt(0)
	v_mul_f64 v[200:201], v[1:2], v[153:154]
	v_mul_f64 v[153:154], v[3:4], v[153:154]
	s_waitcnt vmcnt(56)
	v_fma_f64 v[149:150], v[5:6], v[137:138], -v[149:150]
	ds_read_b128 v[123:126], v184 offset:1072
	v_fma_f64 v[137:138], v[7:8], v[137:138], v[185:186]
	v_add_f64 v[135:136], v[135:136], v[143:144]
	v_add_f64 v[127:128], v[127:128], v[139:140]
	s_clause 0x2
	buffer_load_dword v152, off, s[0:3], 0 offset:412
	buffer_load_dword v140, off, s[0:3], 0 offset:388
	buffer_load_dword v139, off, s[0:3], 0 offset:384
	ds_read_b128 v[5:8], v184 offset:1088
	s_waitcnt vmcnt(58) lgkmcnt(1)
	v_mul_f64 v[143:144], v[123:124], v[157:158]
	v_mul_f64 v[157:158], v[125:126], v[157:158]
	s_waitcnt vmcnt(56)
	v_fma_f64 v[153:154], v[1:2], v[159:160], -v[153:154]
	v_add_f64 v[135:136], v[135:136], v[149:150]
	v_fma_f64 v[149:150], v[3:4], v[159:160], v[200:201]
	v_add_f64 v[127:128], v[127:128], v[137:138]
	s_clause 0x4
	buffer_load_dword v138, off, s[0:3], 0 offset:428
	buffer_load_dword v159, off, s[0:3], 0 offset:440
	;; [unrolled: 1-line block ×5, first 2 shown]
	s_waitcnt vmcnt(57) lgkmcnt(0)
	v_mul_f64 v[206:207], v[5:6], v[161:162]
	v_mul_f64 v[161:162], v[7:8], v[161:162]
	s_waitcnt vmcnt(56)
	v_fma_f64 v[157:158], v[123:124], v[145:146], -v[157:158]
	ds_read_b128 v[1:4], v184 offset:1104
	v_fma_f64 v[143:144], v[125:126], v[145:146], v[143:144]
	s_clause 0x2
	buffer_load_dword v160, off, s[0:3], 0 offset:444
	buffer_load_dword v146, off, s[0:3], 0 offset:420
	;; [unrolled: 1-line block ×3, first 2 shown]
	ds_read_b128 v[123:126], v184 offset:1120
	v_add_f64 v[135:136], v[135:136], v[153:154]
	v_add_f64 v[127:128], v[127:128], v[149:150]
	s_waitcnt vmcnt(58) lgkmcnt(1)
	v_mul_f64 v[153:154], v[3:4], v[165:166]
	s_waitcnt vmcnt(56)
	v_fma_f64 v[161:162], v[5:6], v[167:168], -v[161:162]
	v_mul_f64 v[149:150], v[1:2], v[165:166]
	v_add_f64 v[135:136], v[135:136], v[157:158]
	v_fma_f64 v[157:158], v[7:8], v[167:168], v[206:207]
	v_add_f64 v[127:128], v[127:128], v[143:144]
	s_clause 0x4
	buffer_load_dword v144, off, s[0:3], 0 offset:460
	buffer_load_dword v165, off, s[0:3], 0 offset:472
	;; [unrolled: 1-line block ×5, first 2 shown]
	s_waitcnt vmcnt(57) lgkmcnt(0)
	v_mul_f64 v[206:207], v[123:124], v[169:170]
	v_mul_f64 v[168:169], v[125:126], v[169:170]
	s_waitcnt vmcnt(56)
	v_fma_f64 v[153:154], v[1:2], v[155:156], -v[153:154]
	ds_read_b128 v[5:8], v184 offset:1136
	v_fma_f64 v[149:150], v[3:4], v[155:156], v[149:150]
	s_clause 0x2
	buffer_load_dword v166, off, s[0:3], 0 offset:476
	buffer_load_dword v156, off, s[0:3], 0 offset:452
	buffer_load_dword v155, off, s[0:3], 0 offset:448
	ds_read_b128 v[1:4], v184 offset:1152
	v_add_f64 v[135:136], v[135:136], v[161:162]
	v_add_f64 v[127:128], v[127:128], v[157:158]
	s_waitcnt vmcnt(58) lgkmcnt(1)
	v_mul_f64 v[161:162], v[7:8], v[173:174]
	s_waitcnt vmcnt(56)
	v_fma_f64 v[169:170], v[123:124], v[175:176], -v[168:169]
	v_mul_f64 v[157:158], v[5:6], v[173:174]
	v_add_f64 v[135:136], v[135:136], v[153:154]
	v_fma_f64 v[153:154], v[125:126], v[175:176], v[206:207]
	v_add_f64 v[127:128], v[127:128], v[149:150]
	s_clause 0x4
	buffer_load_dword v150, off, s[0:3], 0 offset:492
	buffer_load_dword v173, off, s[0:3], 0 offset:504
	;; [unrolled: 1-line block ×5, first 2 shown]
	s_waitcnt vmcnt(57) lgkmcnt(0)
	v_mul_f64 v[206:207], v[1:2], v[177:178]
	v_mul_f64 v[176:177], v[3:4], v[177:178]
	s_waitcnt vmcnt(56)
	v_fma_f64 v[161:162], v[5:6], v[163:164], -v[161:162]
	ds_read_b128 v[123:126], v184 offset:1168
	v_fma_f64 v[157:158], v[7:8], v[163:164], v[157:158]
	v_add_f64 v[135:136], v[135:136], v[169:170]
	v_add_f64 v[127:128], v[127:128], v[153:154]
	s_clause 0x2
	buffer_load_dword v174, off, s[0:3], 0 offset:508
	buffer_load_dword v154, off, s[0:3], 0 offset:484
	;; [unrolled: 1-line block ×3, first 2 shown]
	ds_read_b128 v[5:8], v184 offset:1184
	s_waitcnt vmcnt(58) lgkmcnt(1)
	v_mul_f64 v[169:170], v[125:126], v[179:180]
	s_waitcnt vmcnt(56)
	v_fma_f64 v[177:178], v[1:2], v[181:182], -v[176:177]
	v_mul_f64 v[163:164], v[123:124], v[179:180]
	v_add_f64 v[135:136], v[135:136], v[161:162]
	v_fma_f64 v[161:162], v[3:4], v[181:182], v[206:207]
	v_add_f64 v[127:128], v[127:128], v[157:158]
	s_clause 0x4
	buffer_load_dword v158, off, s[0:3], 0 offset:524
	buffer_load_dword v179, off, s[0:3], 0 offset:536
	;; [unrolled: 1-line block ×5, first 2 shown]
	s_waitcnt vmcnt(57) lgkmcnt(0)
	v_mul_f64 v[206:207], v[5:6], v[191:192]
	v_mul_f64 v[191:192], v[7:8], v[191:192]
	s_waitcnt vmcnt(56)
	v_fma_f64 v[169:170], v[123:124], v[171:172], -v[169:170]
	ds_read_b128 v[1:4], v184 offset:1200
	v_fma_f64 v[163:164], v[125:126], v[171:172], v[163:164]
	v_add_f64 v[135:136], v[135:136], v[177:178]
	v_add_f64 v[127:128], v[127:128], v[161:162]
	s_clause 0x2
	buffer_load_dword v180, off, s[0:3], 0 offset:540
	buffer_load_dword v162, off, s[0:3], 0 offset:516
	;; [unrolled: 1-line block ×3, first 2 shown]
	ds_read_b128 v[123:126], v184 offset:1216
	s_waitcnt vmcnt(58) lgkmcnt(1)
	v_mul_f64 v[177:178], v[3:4], v[193:194]
	v_mul_f64 v[171:172], v[1:2], v[193:194]
	s_waitcnt vmcnt(56)
	v_fma_f64 v[191:192], v[5:6], v[131:132], -v[191:192]
	v_fma_f64 v[131:132], v[7:8], v[131:132], v[206:207]
	v_add_f64 v[135:136], v[135:136], v[169:170]
	v_add_f64 v[127:128], v[127:128], v[163:164]
	s_clause 0x4
	buffer_load_dword v164, off, s[0:3], 0 offset:556
	buffer_load_dword v169, off, s[0:3], 0 offset:568
	buffer_load_dword v193, off, s[0:3], 0 offset:560
	buffer_load_dword v163, off, s[0:3], 0 offset:552
	buffer_load_dword v182, off, s[0:3], 0 offset:532
	ds_read_b128 v[5:8], v184 offset:1232
	s_waitcnt vmcnt(57) lgkmcnt(1)
	v_mul_f64 v[206:207], v[123:124], v[129:130]
	v_mul_f64 v[129:130], v[125:126], v[129:130]
	s_waitcnt vmcnt(56)
	v_fma_f64 v[177:178], v[1:2], v[195:196], -v[177:178]
	v_fma_f64 v[171:172], v[3:4], v[195:196], v[171:172]
	v_add_f64 v[135:136], v[135:136], v[191:192]
	v_add_f64 v[127:128], v[127:128], v[131:132]
	s_clause 0x2
	buffer_load_dword v170, off, s[0:3], 0 offset:572
	buffer_load_dword v132, off, s[0:3], 0 offset:548
	;; [unrolled: 1-line block ×3, first 2 shown]
	s_waitcnt vmcnt(58) lgkmcnt(0)
	v_mul_f64 v[195:196], v[7:8], v[197:198]
	ds_read_b128 v[1:4], v184 offset:1248
	v_mul_f64 v[191:192], v[5:6], v[197:198]
	s_waitcnt vmcnt(56)
	v_fma_f64 v[129:130], v[123:124], v[187:188], -v[129:130]
	v_add_f64 v[135:136], v[135:136], v[177:178]
	v_fma_f64 v[177:178], v[125:126], v[187:188], v[206:207]
	v_add_f64 v[127:128], v[127:128], v[171:172]
	s_clause 0x4
	buffer_load_dword v172, off, s[0:3], 0 offset:588
	buffer_load_dword v187, off, s[0:3], 0 offset:600
	;; [unrolled: 1-line block ×5, first 2 shown]
	ds_read_b128 v[123:126], v184 offset:1264
	s_waitcnt vmcnt(57) lgkmcnt(1)
	v_mul_f64 v[206:207], v[1:2], v[147:148]
	v_mul_f64 v[147:148], v[3:4], v[147:148]
	s_waitcnt vmcnt(56)
	v_fma_f64 v[195:196], v[5:6], v[202:203], -v[195:196]
	v_add_f64 v[129:130], v[135:136], v[129:130]
	v_fma_f64 v[135:136], v[7:8], v[202:203], v[191:192]
	v_add_f64 v[127:128], v[127:128], v[177:178]
	s_clause 0x2
	buffer_load_dword v188, off, s[0:3], 0 offset:604
	buffer_load_dword v178, off, s[0:3], 0 offset:580
	;; [unrolled: 1-line block ×3, first 2 shown]
	ds_read_b128 v[5:8], v184 offset:1280
	s_waitcnt vmcnt(58) lgkmcnt(1)
	v_mul_f64 v[191:192], v[123:124], v[189:190]
	v_mul_f64 v[189:190], v[125:126], v[189:190]
	s_waitcnt vmcnt(56)
	v_fma_f64 v[147:148], v[1:2], v[141:142], -v[147:148]
	v_fma_f64 v[141:142], v[3:4], v[141:142], v[206:207]
	v_add_f64 v[129:130], v[129:130], v[195:196]
	v_add_f64 v[127:128], v[127:128], v[135:136]
	s_clause 0x4
	buffer_load_dword v136, off, s[0:3], 0 offset:620
	buffer_load_dword v195, off, s[0:3], 0 offset:632
	;; [unrolled: 1-line block ×5, first 2 shown]
	ds_read_b128 v[1:4], v184 offset:1296
	s_waitcnt vmcnt(57) lgkmcnt(1)
	v_mul_f64 v[202:203], v[5:6], v[133:134]
	v_mul_f64 v[133:134], v[7:8], v[133:134]
	s_waitcnt vmcnt(56)
	v_fma_f64 v[189:190], v[123:124], v[204:205], -v[189:190]
	v_add_f64 v[129:130], v[129:130], v[147:148]
	v_fma_f64 v[147:148], v[125:126], v[204:205], v[191:192]
	v_add_f64 v[127:128], v[127:128], v[141:142]
	s_clause 0x2
	buffer_load_dword v196, off, s[0:3], 0 offset:636
	buffer_load_dword v142, off, s[0:3], 0 offset:612
	;; [unrolled: 1-line block ×3, first 2 shown]
	ds_read_b128 v[123:126], v184 offset:1312
	s_waitcnt vmcnt(58) lgkmcnt(1)
	v_mul_f64 v[191:192], v[1:2], v[151:152]
	v_mul_f64 v[151:152], v[3:4], v[151:152]
	s_waitcnt vmcnt(56)
	v_fma_f64 v[133:134], v[5:6], v[139:140], -v[133:134]
	v_fma_f64 v[139:140], v[7:8], v[139:140], v[202:203]
	v_add_f64 v[129:130], v[129:130], v[189:190]
	v_add_f64 v[127:128], v[127:128], v[147:148]
	s_clause 0x4
	buffer_load_dword v148, off, s[0:3], 0 offset:652
	buffer_load_dword v189, off, s[0:3], 0 offset:664
	;; [unrolled: 1-line block ×5, first 2 shown]
	ds_read_b128 v[5:8], v184 offset:1328
	s_waitcnt vmcnt(57) lgkmcnt(1)
	v_mul_f64 v[204:205], v[123:124], v[137:138]
	v_mul_f64 v[137:138], v[125:126], v[137:138]
	s_waitcnt vmcnt(56)
	v_fma_f64 v[151:152], v[1:2], v[199:200], -v[151:152]
	v_add_f64 v[129:130], v[129:130], v[133:134]
	v_fma_f64 v[133:134], v[3:4], v[199:200], v[191:192]
	v_add_f64 v[127:128], v[127:128], v[139:140]
	s_clause 0x2
	buffer_load_dword v190, off, s[0:3], 0 offset:668
	buffer_load_dword v140, off, s[0:3], 0 offset:644
	;; [unrolled: 1-line block ×3, first 2 shown]
	s_waitcnt vmcnt(58) lgkmcnt(0)
	v_mul_f64 v[191:192], v[5:6], v[159:160]
	v_mul_f64 v[159:160], v[7:8], v[159:160]
	ds_read_b128 v[1:4], v184 offset:1344
	s_waitcnt vmcnt(56)
	v_fma_f64 v[137:138], v[123:124], v[145:146], -v[137:138]
	v_fma_f64 v[145:146], v[125:126], v[145:146], v[204:205]
	v_add_f64 v[129:130], v[129:130], v[151:152]
	v_add_f64 v[127:128], v[127:128], v[133:134]
	s_clause 0x4
	buffer_load_dword v134, off, s[0:3], 0 offset:684
	buffer_load_dword v151, off, s[0:3], 0 offset:696
	;; [unrolled: 1-line block ×5, first 2 shown]
	ds_read_b128 v[123:126], v184 offset:1360
	s_waitcnt vmcnt(57) lgkmcnt(1)
	v_mul_f64 v[205:206], v[1:2], v[143:144]
	v_mul_f64 v[143:144], v[3:4], v[143:144]
	s_waitcnt vmcnt(56)
	v_fma_f64 v[159:160], v[5:6], v[185:186], -v[159:160]
	v_add_f64 v[129:130], v[129:130], v[137:138]
	v_fma_f64 v[137:138], v[7:8], v[185:186], v[191:192]
	v_add_f64 v[127:128], v[127:128], v[145:146]
	s_clause 0x2
	buffer_load_dword v152, off, s[0:3], 0 offset:700
	buffer_load_dword v146, off, s[0:3], 0 offset:676
	;; [unrolled: 1-line block ×3, first 2 shown]
	s_waitcnt vmcnt(58) lgkmcnt(0)
	v_mul_f64 v[185:186], v[123:124], v[165:166]
	v_mul_f64 v[165:166], v[125:126], v[165:166]
	ds_read_b128 v[5:8], v184 offset:1376
	s_waitcnt vmcnt(56)
	v_fma_f64 v[143:144], v[1:2], v[155:156], -v[143:144]
	v_fma_f64 v[155:156], v[3:4], v[155:156], v[205:206]
	v_add_f64 v[129:130], v[129:130], v[159:160]
	v_add_f64 v[127:128], v[127:128], v[137:138]
	s_clause 0x4
	buffer_load_dword v138, off, s[0:3], 0 offset:716
	buffer_load_dword v159, off, s[0:3], 0 offset:728
	buffer_load_dword v191, off, s[0:3], 0 offset:720
	buffer_load_dword v137, off, s[0:3], 0 offset:712
	buffer_load_dword v200, off, s[0:3], 0 offset:692
	ds_read_b128 v[1:4], v184 offset:1392
	s_waitcnt vmcnt(57) lgkmcnt(1)
	v_mul_f64 v[205:206], v[5:6], v[149:150]
	v_mul_f64 v[149:150], v[7:8], v[149:150]
	s_waitcnt vmcnt(56)
	v_fma_f64 v[165:166], v[123:124], v[167:168], -v[165:166]
	v_add_f64 v[129:130], v[129:130], v[143:144]
	v_fma_f64 v[143:144], v[125:126], v[167:168], v[185:186]
	v_add_f64 v[127:128], v[127:128], v[155:156]
	s_clause 0x2
	buffer_load_dword v160, off, s[0:3], 0 offset:732
	buffer_load_dword v156, off, s[0:3], 0 offset:708
	buffer_load_dword v155, off, s[0:3], 0 offset:704
	ds_read_b128 v[123:126], v184 offset:1408
	s_waitcnt vmcnt(58) lgkmcnt(1)
	v_mul_f64 v[167:168], v[1:2], v[173:174]
	v_mul_f64 v[173:174], v[3:4], v[173:174]
	s_waitcnt vmcnt(56)
	v_fma_f64 v[149:150], v[5:6], v[153:154], -v[149:150]
	v_fma_f64 v[153:154], v[7:8], v[153:154], v[205:206]
	v_add_f64 v[129:130], v[129:130], v[165:166]
	v_add_f64 v[127:128], v[127:128], v[143:144]
	s_clause 0x4
	buffer_load_dword v144, off, s[0:3], 0 offset:748
	buffer_load_dword v165, off, s[0:3], 0 offset:760
	buffer_load_dword v185, off, s[0:3], 0 offset:752
	buffer_load_dword v143, off, s[0:3], 0 offset:744
	buffer_load_dword v192, off, s[0:3], 0 offset:724
	ds_read_b128 v[5:8], v184 offset:1424
	s_waitcnt vmcnt(57) lgkmcnt(1)
	v_mul_f64 v[205:206], v[123:124], v[157:158]
	v_mul_f64 v[157:158], v[125:126], v[157:158]
	s_waitcnt vmcnt(56)
	v_fma_f64 v[173:174], v[1:2], v[175:176], -v[173:174]
	v_add_f64 v[129:130], v[129:130], v[149:150]
	v_fma_f64 v[149:150], v[3:4], v[175:176], v[167:168]
	v_add_f64 v[127:128], v[127:128], v[153:154]
	s_clause 0x2
	buffer_load_dword v166, off, s[0:3], 0 offset:764
	buffer_load_dword v154, off, s[0:3], 0 offset:740
	buffer_load_dword v153, off, s[0:3], 0 offset:736
	ds_read_b128 v[1:4], v184 offset:1440
	s_waitcnt vmcnt(58) lgkmcnt(1)
	v_mul_f64 v[175:176], v[7:8], v[179:180]
	v_mul_f64 v[167:168], v[5:6], v[179:180]
	s_waitcnt vmcnt(56)
	v_fma_f64 v[157:158], v[123:124], v[161:162], -v[157:158]
	v_fma_f64 v[161:162], v[125:126], v[161:162], v[205:206]
	v_add_f64 v[129:130], v[129:130], v[173:174]
	v_add_f64 v[127:128], v[127:128], v[149:150]
	s_clause 0x4
	buffer_load_dword v150, off, s[0:3], 0 offset:780
	buffer_load_dword v173, off, s[0:3], 0 offset:792
	buffer_load_dword v179, off, s[0:3], 0 offset:784
	buffer_load_dword v149, off, s[0:3], 0 offset:776
	buffer_load_dword v186, off, s[0:3], 0 offset:756
	ds_read_b128 v[123:126], v184 offset:1456
	s_waitcnt vmcnt(57) lgkmcnt(1)
	v_mul_f64 v[205:206], v[1:2], v[163:164]
	v_mul_f64 v[163:164], v[3:4], v[163:164]
	s_waitcnt vmcnt(56)
	v_fma_f64 v[175:176], v[5:6], v[181:182], -v[175:176]
	v_add_f64 v[129:130], v[129:130], v[157:158]
	v_fma_f64 v[157:158], v[7:8], v[181:182], v[167:168]
	v_add_f64 v[127:128], v[127:128], v[161:162]
	s_clause 0x2
	buffer_load_dword v174, off, s[0:3], 0 offset:796
	buffer_load_dword v162, off, s[0:3], 0 offset:772
	buffer_load_dword v161, off, s[0:3], 0 offset:768
	ds_read_b128 v[5:8], v184 offset:1472
	s_waitcnt vmcnt(58) lgkmcnt(1)
	v_mul_f64 v[167:168], v[123:124], v[169:170]
	v_mul_f64 v[169:170], v[125:126], v[169:170]
	s_waitcnt vmcnt(56)
	v_fma_f64 v[163:164], v[1:2], v[131:132], -v[163:164]
	v_fma_f64 v[131:132], v[3:4], v[131:132], v[205:206]
	v_add_f64 v[129:130], v[129:130], v[175:176]
	v_add_f64 v[127:128], v[127:128], v[157:158]
	s_clause 0x4
	buffer_load_dword v158, off, s[0:3], 0 offset:812
	buffer_load_dword v175, off, s[0:3], 0 offset:824
	buffer_load_dword v181, off, s[0:3], 0 offset:816
	buffer_load_dword v157, off, s[0:3], 0 offset:808
	buffer_load_dword v180, off, s[0:3], 0 offset:788
	ds_read_b128 v[1:4], v184 offset:1488
	s_waitcnt vmcnt(57) lgkmcnt(1)
	v_mul_f64 v[205:206], v[5:6], v[171:172]
	v_mul_f64 v[171:172], v[7:8], v[171:172]
	s_waitcnt vmcnt(56)
	v_fma_f64 v[169:170], v[123:124], v[193:194], -v[169:170]
	v_add_f64 v[129:130], v[129:130], v[163:164]
	v_fma_f64 v[163:164], v[125:126], v[193:194], v[167:168]
	v_add_f64 v[127:128], v[127:128], v[131:132]
	s_clause 0x2
	buffer_load_dword v176, off, s[0:3], 0 offset:828
	buffer_load_dword v132, off, s[0:3], 0 offset:804
	buffer_load_dword v131, off, s[0:3], 0 offset:800
	ds_read_b128 v[123:126], v184 offset:1504
	s_waitcnt vmcnt(58) lgkmcnt(1)
	v_mul_f64 v[167:168], v[1:2], v[187:188]
	v_mul_f64 v[187:188], v[3:4], v[187:188]
	s_waitcnt vmcnt(56)
	v_fma_f64 v[171:172], v[5:6], v[177:178], -v[171:172]
	v_add_f64 v[129:130], v[129:130], v[169:170]
	v_fma_f64 v[169:170], v[7:8], v[177:178], v[205:206]
	v_add_f64 v[127:128], v[127:128], v[163:164]
	s_clause 0x4
	buffer_load_dword v164, off, s[0:3], 0 offset:844
	buffer_load_dword v177, off, s[0:3], 0 offset:856
	;; [unrolled: 1-line block ×5, first 2 shown]
	ds_read_b128 v[5:8], v184 offset:1520
	s_waitcnt vmcnt(57) lgkmcnt(1)
	v_mul_f64 v[205:206], v[123:124], v[135:136]
	v_mul_f64 v[135:136], v[125:126], v[135:136]
	s_waitcnt vmcnt(56)
	v_fma_f64 v[187:188], v[1:2], v[197:198], -v[187:188]
	v_fma_f64 v[167:168], v[3:4], v[197:198], v[167:168]
	v_add_f64 v[129:130], v[129:130], v[171:172]
	v_add_f64 v[127:128], v[127:128], v[169:170]
	s_clause 0x2
	buffer_load_dword v178, off, s[0:3], 0 offset:860
	buffer_load_dword v170, off, s[0:3], 0 offset:836
	buffer_load_dword v169, off, s[0:3], 0 offset:832
	ds_read_b128 v[1:4], v184 offset:1536
	s_waitcnt vmcnt(58) lgkmcnt(1)
	v_mul_f64 v[171:172], v[5:6], v[195:196]
	v_mul_f64 v[195:196], v[7:8], v[195:196]
	s_waitcnt vmcnt(56)
	v_fma_f64 v[135:136], v[123:124], v[141:142], -v[135:136]
	v_fma_f64 v[141:142], v[125:126], v[141:142], v[205:206]
	v_add_f64 v[129:130], v[129:130], v[187:188]
	v_add_f64 v[127:128], v[127:128], v[167:168]
	s_clause 0x4
	buffer_load_dword v168, off, s[0:3], 0 offset:876
	buffer_load_dword v187, off, s[0:3], 0 offset:888
	buffer_load_dword v197, off, s[0:3], 0 offset:880
	buffer_load_dword v167, off, s[0:3], 0 offset:872
	buffer_load_dword v194, off, s[0:3], 0 offset:852
	ds_read_b128 v[123:126], v184 offset:1552
	s_waitcnt vmcnt(57) lgkmcnt(1)
	v_mul_f64 v[205:206], v[1:2], v[147:148]
	v_mul_f64 v[147:148], v[3:4], v[147:148]
	s_waitcnt vmcnt(56)
	v_fma_f64 v[195:196], v[5:6], v[201:202], -v[195:196]
	v_add_f64 v[129:130], v[129:130], v[135:136]
	v_fma_f64 v[135:136], v[7:8], v[201:202], v[171:172]
	v_add_f64 v[127:128], v[127:128], v[141:142]
	s_clause 0x2
	buffer_load_dword v188, off, s[0:3], 0 offset:892
	buffer_load_dword v142, off, s[0:3], 0 offset:868
	;; [unrolled: 1-line block ×3, first 2 shown]
	ds_read_b128 v[5:8], v184 offset:1568
	s_waitcnt vmcnt(58) lgkmcnt(1)
	v_mul_f64 v[171:172], v[123:124], v[189:190]
	v_mul_f64 v[189:190], v[125:126], v[189:190]
	s_waitcnt vmcnt(56)
	v_fma_f64 v[147:148], v[1:2], v[139:140], -v[147:148]
	v_fma_f64 v[139:140], v[3:4], v[139:140], v[205:206]
	v_add_f64 v[129:130], v[129:130], v[195:196]
	v_add_f64 v[127:128], v[127:128], v[135:136]
	s_clause 0x4
	buffer_load_dword v136, off, s[0:3], 0 offset:908
	buffer_load_dword v195, off, s[0:3], 0 offset:920
	;; [unrolled: 1-line block ×5, first 2 shown]
	ds_read_b128 v[1:4], v184 offset:1584
	s_waitcnt vmcnt(57) lgkmcnt(1)
	v_mul_f64 v[205:206], v[5:6], v[133:134]
	v_mul_f64 v[133:134], v[7:8], v[133:134]
	s_waitcnt vmcnt(56)
	v_fma_f64 v[189:190], v[123:124], v[203:204], -v[189:190]
	v_add_f64 v[129:130], v[129:130], v[147:148]
	v_fma_f64 v[147:148], v[125:126], v[203:204], v[171:172]
	v_add_f64 v[127:128], v[127:128], v[139:140]
	s_clause 0x2
	buffer_load_dword v196, off, s[0:3], 0 offset:924
	buffer_load_dword v140, off, s[0:3], 0 offset:900
	;; [unrolled: 1-line block ×3, first 2 shown]
	ds_read_b128 v[123:126], v184 offset:1600
	buffer_load_dword v202, off, s[0:3], 0 offset:916
	s_waitcnt vmcnt(59) lgkmcnt(1)
	v_mul_f64 v[171:172], v[1:2], v[151:152]
	v_mul_f64 v[151:152], v[3:4], v[151:152]
	s_waitcnt vmcnt(57)
	v_fma_f64 v[133:134], v[5:6], v[145:146], -v[133:134]
	v_fma_f64 v[145:146], v[7:8], v[145:146], v[205:206]
	ds_read_b128 v[5:8], v184 offset:1616
	v_add_f64 v[129:130], v[129:130], v[189:190]
	v_add_f64 v[127:128], v[127:128], v[147:148]
	s_waitcnt vmcnt(53) lgkmcnt(1)
	v_mul_f64 v[147:148], v[123:124], v[137:138]
	v_mul_f64 v[137:138], v[125:126], v[137:138]
	s_waitcnt vmcnt(52)
	v_fma_f64 v[151:152], v[1:2], v[199:200], -v[151:152]
	v_add_f64 v[129:130], v[129:130], v[133:134]
	v_fma_f64 v[133:134], v[3:4], v[199:200], v[171:172]
	v_add_f64 v[127:128], v[127:128], v[145:146]
	ds_read_b128 v[1:4], v184 offset:1632
	s_waitcnt vmcnt(51) lgkmcnt(1)
	v_mul_f64 v[145:146], v[5:6], v[159:160]
	v_mul_f64 v[159:160], v[7:8], v[159:160]
	s_waitcnt vmcnt(49)
	v_fma_f64 v[137:138], v[123:124], v[155:156], -v[137:138]
	v_fma_f64 v[147:148], v[125:126], v[155:156], v[147:148]
	v_add_f64 v[129:130], v[129:130], v[151:152]
	v_add_f64 v[127:128], v[127:128], v[133:134]
	s_clause 0x3
	buffer_load_dword v133, off, s[0:3], 0 offset:32
	buffer_load_dword v134, off, s[0:3], 0 offset:36
	;; [unrolled: 1-line block ×4, first 2 shown]
	ds_read_b128 v[123:126], v184 offset:1648
	s_waitcnt vmcnt(49) lgkmcnt(1)
	v_mul_f64 v[155:156], v[1:2], v[143:144]
	v_mul_f64 v[143:144], v[3:4], v[143:144]
	s_waitcnt vmcnt(48)
	v_fma_f64 v[159:160], v[5:6], v[191:192], -v[159:160]
	v_add_f64 v[129:130], v[129:130], v[137:138]
	v_fma_f64 v[137:138], v[7:8], v[191:192], v[145:146]
	v_add_f64 v[127:128], v[127:128], v[147:148]
	ds_read_b128 v[5:8], v184 offset:1664
	s_waitcnt vmcnt(47) lgkmcnt(1)
	v_mul_f64 v[147:148], v[125:126], v[165:166]
	v_mul_f64 v[145:146], v[123:124], v[165:166]
	s_waitcnt vmcnt(45)
	v_fma_f64 v[143:144], v[1:2], v[153:154], -v[143:144]
	v_fma_f64 v[153:154], v[3:4], v[153:154], v[155:156]
	ds_read_b128 v[1:4], v184 offset:1680
	v_add_f64 v[129:130], v[129:130], v[159:160]
	v_add_f64 v[127:128], v[127:128], v[137:138]
	s_waitcnt vmcnt(41) lgkmcnt(1)
	v_mul_f64 v[137:138], v[5:6], v[149:150]
	v_mul_f64 v[149:150], v[7:8], v[149:150]
	s_waitcnt vmcnt(40)
	v_fma_f64 v[147:148], v[123:124], v[185:186], -v[147:148]
	v_add_f64 v[129:130], v[129:130], v[143:144]
	v_fma_f64 v[143:144], v[125:126], v[185:186], v[145:146]
	v_add_f64 v[127:128], v[127:128], v[153:154]
	ds_read_b128 v[123:126], v184 offset:1696
	s_waitcnt vmcnt(39) lgkmcnt(1)
	v_mul_f64 v[153:154], v[3:4], v[173:174]
	v_mul_f64 v[145:146], v[1:2], v[173:174]
	s_waitcnt vmcnt(37)
	v_fma_f64 v[149:150], v[5:6], v[161:162], -v[149:150]
	v_fma_f64 v[137:138], v[7:8], v[161:162], v[137:138]
	ds_read_b128 v[5:8], v184 offset:1712
	v_add_f64 v[129:130], v[129:130], v[147:148]
	v_add_f64 v[127:128], v[127:128], v[143:144]
	s_waitcnt vmcnt(33) lgkmcnt(1)
	v_mul_f64 v[147:148], v[125:126], v[157:158]
	s_waitcnt vmcnt(32)
	v_fma_f64 v[153:154], v[1:2], v[179:180], -v[153:154]
	v_mul_f64 v[143:144], v[123:124], v[157:158]
	v_fma_f64 v[145:146], v[3:4], v[179:180], v[145:146]
	ds_read_b128 v[1:4], v184 offset:1728
	v_add_f64 v[129:130], v[129:130], v[149:150]
	v_add_f64 v[127:128], v[127:128], v[137:138]
	s_waitcnt vmcnt(31) lgkmcnt(1)
	v_mul_f64 v[149:150], v[7:8], v[175:176]
	v_mul_f64 v[137:138], v[5:6], v[175:176]
	s_waitcnt vmcnt(29)
	v_fma_f64 v[147:148], v[123:124], v[131:132], -v[147:148]
	v_fma_f64 v[131:132], v[125:126], v[131:132], v[143:144]
	ds_read_b128 v[123:126], v184 offset:1744
	v_add_f64 v[129:130], v[129:130], v[153:154]
	v_add_f64 v[127:128], v[127:128], v[145:146]
	s_waitcnt vmcnt(25) lgkmcnt(1)
	v_mul_f64 v[145:146], v[3:4], v[163:164]
	s_waitcnt vmcnt(24)
	v_fma_f64 v[149:150], v[5:6], v[181:182], -v[149:150]
	v_mul_f64 v[143:144], v[1:2], v[163:164]
	v_fma_f64 v[137:138], v[7:8], v[181:182], v[137:138]
	ds_read_b128 v[5:8], v184 offset:1760
	v_add_f64 v[129:130], v[129:130], v[147:148]
	v_add_f64 v[127:128], v[127:128], v[131:132]
	;; [unrolled: 18-line block ×3, first 2 shown]
	s_waitcnt vmcnt(15) lgkmcnt(1)
	v_mul_f64 v[145:146], v[3:4], v[187:188]
	v_mul_f64 v[143:144], v[1:2], v[187:188]
	s_waitcnt vmcnt(13)
	v_fma_f64 v[149:150], v[5:6], v[141:142], -v[149:150]
	v_fma_f64 v[137:138], v[7:8], v[141:142], v[137:138]
	ds_read_b128 v[5:8], v184 offset:1808
	v_add_f64 v[129:130], v[129:130], v[147:148]
	v_add_f64 v[127:128], v[127:128], v[131:132]
	s_waitcnt vmcnt(9) lgkmcnt(1)
	v_mul_f64 v[131:132], v[123:124], v[135:136]
	v_mul_f64 v[135:136], v[125:126], v[135:136]
	s_waitcnt vmcnt(8)
	v_fma_f64 v[1:2], v[1:2], v[197:198], -v[145:146]
	v_fma_f64 v[3:4], v[3:4], v[197:198], v[143:144]
	v_add_f64 v[129:130], v[129:130], v[149:150]
	v_add_f64 v[127:128], v[127:128], v[137:138]
	s_waitcnt vmcnt(7) lgkmcnt(0)
	v_mul_f64 v[141:142], v[7:8], v[195:196]
	v_mul_f64 v[137:138], v[5:6], v[195:196]
	s_waitcnt vmcnt(5)
	v_fma_f64 v[123:124], v[123:124], v[139:140], -v[135:136]
	v_fma_f64 v[125:126], v[125:126], v[139:140], v[131:132]
	v_add_f64 v[1:2], v[129:130], v[1:2]
	v_add_f64 v[3:4], v[127:128], v[3:4]
	s_waitcnt vmcnt(4)
	v_fma_f64 v[5:6], v[5:6], v[201:202], -v[141:142]
	v_fma_f64 v[7:8], v[7:8], v[201:202], v[137:138]
	v_add_f64 v[1:2], v[1:2], v[123:124]
	v_add_f64 v[3:4], v[3:4], v[125:126]
	;; [unrolled: 1-line block ×4, first 2 shown]
	s_waitcnt vmcnt(2)
	v_add_f64 v[1:2], v[133:134], -v[1:2]
	s_waitcnt vmcnt(0)
	v_add_f64 v[3:4], v[151:152], -v[3:4]
	buffer_store_dword v2, off, s[0:3], 0 offset:36
	buffer_store_dword v1, off, s[0:3], 0 offset:32
	;; [unrolled: 1-line block ×4, first 2 shown]
	v_cmpx_ne_u32_e32 0, v0
	s_cbranch_execz .LBB120_355
; %bb.354:
	s_clause 0x3
	buffer_load_dword v0, off, s[0:3], 0 offset:16
	buffer_load_dword v1, off, s[0:3], 0 offset:20
	;; [unrolled: 1-line block ×4, first 2 shown]
	buffer_store_dword v184, off, s[0:3], 0 offset:16
	buffer_store_dword v184, off, s[0:3], 0 offset:20
	;; [unrolled: 1-line block ×4, first 2 shown]
	s_waitcnt vmcnt(0)
	ds_write_b128 v183, v[0:3]
.LBB120_355:
	s_or_b32 exec_lo, exec_lo, s4
	s_waitcnt lgkmcnt(0)
	s_waitcnt_vscnt null, 0x0
	s_barrier
	buffer_gl0_inv
	s_clause 0x37
	buffer_load_dword v131, off, s[0:3], 0 offset:40
	buffer_load_dword v132, off, s[0:3], 0 offset:44
	;; [unrolled: 1-line block ×56, first 2 shown]
	ds_read_b128 v[4:7], v184 offset:928
	s_clause 0x2
	buffer_load_dword v180, off, s[0:3], 0 offset:268
	buffer_load_dword v182, off, s[0:3], 0 offset:244
	;; [unrolled: 1-line block ×3, first 2 shown]
	ds_read_b128 v[0:3], v184 offset:944
	s_clause 0x4
	buffer_load_dword v192, off, s[0:3], 0 offset:284
	buffer_load_dword v193, off, s[0:3], 0 offset:296
	;; [unrolled: 1-line block ×5, first 2 shown]
	ds_read_b128 v[185:188], v184 offset:960
	s_and_b32 vcc_lo, exec_lo, s69
	s_waitcnt vmcnt(62) lgkmcnt(2)
	v_mul_f64 v[189:190], v[6:7], v[131:132]
	v_mul_f64 v[131:132], v[4:5], v[131:132]
	s_waitcnt vmcnt(60) lgkmcnt(1)
	v_mul_f64 v[196:197], v[2:3], v[127:128]
	v_mul_f64 v[127:128], v[0:1], v[127:128]
	;; [unrolled: 3-line block ×3, first 2 shown]
	v_fma_f64 v[189:190], v[4:5], v[129:130], -v[189:190]
	v_fma_f64 v[129:130], v[6:7], v[129:130], v[131:132]
	s_clause 0x2
	buffer_load_dword v194, off, s[0:3], 0 offset:300
	buffer_load_dword v132, off, s[0:3], 0 offset:276
	;; [unrolled: 1-line block ×3, first 2 shown]
	s_waitcnt vmcnt(57)
	v_fma_f64 v[200:201], v[0:1], v[123:124], -v[196:197]
	ds_read_b128 v[4:7], v184 offset:976
	v_fma_f64 v[123:124], v[2:3], v[123:124], v[127:128]
	s_waitcnt vmcnt(51)
	v_fma_f64 v[185:186], v[185:186], v[147:148], -v[125:126]
	v_fma_f64 v[147:148], v[187:188], v[147:148], v[198:199]
	v_add_f64 v[189:190], v[189:190], 0
	v_add_f64 v[127:128], v[129:130], 0
	s_clause 0x4
	buffer_load_dword v130, off, s[0:3], 0 offset:316
	buffer_load_dword v197, off, s[0:3], 0 offset:328
	;; [unrolled: 1-line block ×5, first 2 shown]
	s_waitcnt lgkmcnt(0)
	v_mul_f64 v[203:204], v[4:5], v[135:136]
	v_mul_f64 v[135:136], v[6:7], v[135:136]
	ds_read_b128 v[0:3], v184 offset:992
	s_clause 0x2
	buffer_load_dword v198, off, s[0:3], 0 offset:332
	buffer_load_dword v188, off, s[0:3], 0 offset:308
	;; [unrolled: 1-line block ×3, first 2 shown]
	v_add_f64 v[189:190], v[189:190], v[200:201]
	v_add_f64 v[127:128], v[127:128], v[123:124]
	ds_read_b128 v[123:126], v184 offset:1008
	s_waitcnt vmcnt(58) lgkmcnt(1)
	v_mul_f64 v[199:200], v[0:1], v[139:140]
	v_mul_f64 v[139:140], v[2:3], v[139:140]
	s_waitcnt vmcnt(56)
	v_fma_f64 v[135:136], v[4:5], v[141:142], -v[135:136]
	v_fma_f64 v[141:142], v[6:7], v[141:142], v[203:204]
	s_waitcnt vmcnt(52) lgkmcnt(0)
	v_mul_f64 v[205:206], v[123:124], v[143:144]
	v_add_f64 v[185:186], v[189:190], v[185:186]
	v_add_f64 v[127:128], v[127:128], v[147:148]
	s_clause 0x4
	buffer_load_dword v148, off, s[0:3], 0 offset:348
	buffer_load_dword v189, off, s[0:3], 0 offset:360
	;; [unrolled: 1-line block ×5, first 2 shown]
	v_mul_f64 v[143:144], v[125:126], v[143:144]
	s_waitcnt vmcnt(56)
	v_fma_f64 v[139:140], v[0:1], v[133:134], -v[139:140]
	ds_read_b128 v[4:7], v184 offset:1024
	v_fma_f64 v[133:134], v[2:3], v[133:134], v[199:200]
	v_add_f64 v[135:136], v[185:186], v[135:136]
	v_add_f64 v[127:128], v[127:128], v[141:142]
	s_clause 0x2
	buffer_load_dword v190, off, s[0:3], 0 offset:364
	buffer_load_dword v142, off, s[0:3], 0 offset:340
	;; [unrolled: 1-line block ×3, first 2 shown]
	s_waitcnt vmcnt(58) lgkmcnt(0)
	v_mul_f64 v[185:186], v[4:5], v[149:150]
	v_mul_f64 v[149:150], v[6:7], v[149:150]
	s_waitcnt vmcnt(56)
	v_fma_f64 v[143:144], v[123:124], v[151:152], -v[143:144]
	ds_read_b128 v[0:3], v184 offset:1040
	v_add_f64 v[135:136], v[135:136], v[139:140]
	v_fma_f64 v[139:140], v[125:126], v[151:152], v[205:206]
	v_add_f64 v[127:128], v[127:128], v[133:134]
	s_clause 0x4
	buffer_load_dword v134, off, s[0:3], 0 offset:380
	buffer_load_dword v151, off, s[0:3], 0 offset:392
	buffer_load_dword v199, off, s[0:3], 0 offset:384
	buffer_load_dword v133, off, s[0:3], 0 offset:376
	buffer_load_dword v205, off, s[0:3], 0 offset:356
	s_waitcnt vmcnt(57) lgkmcnt(0)
	v_mul_f64 v[200:201], v[0:1], v[153:154]
	v_mul_f64 v[153:154], v[2:3], v[153:154]
	s_waitcnt vmcnt(56)
	v_fma_f64 v[149:150], v[4:5], v[137:138], -v[149:150]
	ds_read_b128 v[123:126], v184 offset:1056
	v_fma_f64 v[137:138], v[6:7], v[137:138], v[185:186]
	v_add_f64 v[135:136], v[135:136], v[143:144]
	v_add_f64 v[127:128], v[127:128], v[139:140]
	s_clause 0x2
	buffer_load_dword v152, off, s[0:3], 0 offset:396
	buffer_load_dword v140, off, s[0:3], 0 offset:372
	;; [unrolled: 1-line block ×3, first 2 shown]
	ds_read_b128 v[4:7], v184 offset:1072
	s_waitcnt vmcnt(58) lgkmcnt(1)
	v_mul_f64 v[143:144], v[123:124], v[157:158]
	v_mul_f64 v[157:158], v[125:126], v[157:158]
	s_waitcnt vmcnt(56)
	v_fma_f64 v[153:154], v[0:1], v[159:160], -v[153:154]
	v_add_f64 v[135:136], v[135:136], v[149:150]
	v_fma_f64 v[149:150], v[2:3], v[159:160], v[200:201]
	v_add_f64 v[127:128], v[127:128], v[137:138]
	s_clause 0x4
	buffer_load_dword v138, off, s[0:3], 0 offset:412
	buffer_load_dword v159, off, s[0:3], 0 offset:424
	;; [unrolled: 1-line block ×5, first 2 shown]
	s_waitcnt vmcnt(57) lgkmcnt(0)
	v_mul_f64 v[206:207], v[4:5], v[161:162]
	v_mul_f64 v[161:162], v[6:7], v[161:162]
	s_waitcnt vmcnt(56)
	v_fma_f64 v[157:158], v[123:124], v[145:146], -v[157:158]
	ds_read_b128 v[0:3], v184 offset:1088
	v_fma_f64 v[143:144], v[125:126], v[145:146], v[143:144]
	s_clause 0x2
	buffer_load_dword v160, off, s[0:3], 0 offset:428
	buffer_load_dword v146, off, s[0:3], 0 offset:404
	;; [unrolled: 1-line block ×3, first 2 shown]
	ds_read_b128 v[123:126], v184 offset:1104
	v_add_f64 v[135:136], v[135:136], v[153:154]
	v_add_f64 v[127:128], v[127:128], v[149:150]
	s_waitcnt vmcnt(58) lgkmcnt(1)
	v_mul_f64 v[153:154], v[2:3], v[165:166]
	s_waitcnt vmcnt(56)
	v_fma_f64 v[161:162], v[4:5], v[167:168], -v[161:162]
	v_mul_f64 v[149:150], v[0:1], v[165:166]
	v_add_f64 v[135:136], v[135:136], v[157:158]
	v_fma_f64 v[157:158], v[6:7], v[167:168], v[206:207]
	v_add_f64 v[127:128], v[127:128], v[143:144]
	s_clause 0x4
	buffer_load_dword v144, off, s[0:3], 0 offset:444
	buffer_load_dword v165, off, s[0:3], 0 offset:456
	;; [unrolled: 1-line block ×5, first 2 shown]
	s_waitcnt vmcnt(57) lgkmcnt(0)
	v_mul_f64 v[206:207], v[123:124], v[169:170]
	v_mul_f64 v[168:169], v[125:126], v[169:170]
	s_waitcnt vmcnt(56)
	v_fma_f64 v[153:154], v[0:1], v[155:156], -v[153:154]
	ds_read_b128 v[4:7], v184 offset:1120
	v_fma_f64 v[149:150], v[2:3], v[155:156], v[149:150]
	s_clause 0x2
	buffer_load_dword v166, off, s[0:3], 0 offset:460
	buffer_load_dword v156, off, s[0:3], 0 offset:436
	;; [unrolled: 1-line block ×3, first 2 shown]
	ds_read_b128 v[0:3], v184 offset:1136
	v_add_f64 v[135:136], v[135:136], v[161:162]
	v_add_f64 v[127:128], v[127:128], v[157:158]
	s_waitcnt vmcnt(58) lgkmcnt(1)
	v_mul_f64 v[161:162], v[6:7], v[173:174]
	s_waitcnt vmcnt(56)
	v_fma_f64 v[169:170], v[123:124], v[175:176], -v[168:169]
	v_mul_f64 v[157:158], v[4:5], v[173:174]
	v_add_f64 v[135:136], v[135:136], v[153:154]
	v_fma_f64 v[153:154], v[125:126], v[175:176], v[206:207]
	v_add_f64 v[127:128], v[127:128], v[149:150]
	s_clause 0x4
	buffer_load_dword v150, off, s[0:3], 0 offset:476
	buffer_load_dword v173, off, s[0:3], 0 offset:488
	;; [unrolled: 1-line block ×5, first 2 shown]
	s_waitcnt vmcnt(57) lgkmcnt(0)
	v_mul_f64 v[206:207], v[0:1], v[177:178]
	v_mul_f64 v[176:177], v[2:3], v[177:178]
	s_waitcnt vmcnt(56)
	v_fma_f64 v[161:162], v[4:5], v[163:164], -v[161:162]
	ds_read_b128 v[123:126], v184 offset:1152
	v_fma_f64 v[157:158], v[6:7], v[163:164], v[157:158]
	v_add_f64 v[135:136], v[135:136], v[169:170]
	v_add_f64 v[127:128], v[127:128], v[153:154]
	s_clause 0x2
	buffer_load_dword v174, off, s[0:3], 0 offset:492
	buffer_load_dword v154, off, s[0:3], 0 offset:468
	;; [unrolled: 1-line block ×3, first 2 shown]
	ds_read_b128 v[4:7], v184 offset:1168
	s_waitcnt vmcnt(58) lgkmcnt(1)
	v_mul_f64 v[169:170], v[125:126], v[179:180]
	s_waitcnt vmcnt(56)
	v_fma_f64 v[177:178], v[0:1], v[181:182], -v[176:177]
	v_mul_f64 v[163:164], v[123:124], v[179:180]
	v_add_f64 v[135:136], v[135:136], v[161:162]
	v_fma_f64 v[161:162], v[2:3], v[181:182], v[206:207]
	v_add_f64 v[127:128], v[127:128], v[157:158]
	s_clause 0x4
	buffer_load_dword v158, off, s[0:3], 0 offset:508
	buffer_load_dword v179, off, s[0:3], 0 offset:520
	;; [unrolled: 1-line block ×5, first 2 shown]
	s_waitcnt vmcnt(57) lgkmcnt(0)
	v_mul_f64 v[182:183], v[4:5], v[191:192]
	v_mul_f64 v[191:192], v[6:7], v[191:192]
	s_waitcnt vmcnt(56)
	v_fma_f64 v[169:170], v[123:124], v[171:172], -v[169:170]
	ds_read_b128 v[0:3], v184 offset:1184
	v_fma_f64 v[163:164], v[125:126], v[171:172], v[163:164]
	v_add_f64 v[135:136], v[135:136], v[177:178]
	v_add_f64 v[127:128], v[127:128], v[161:162]
	s_clause 0x2
	buffer_load_dword v180, off, s[0:3], 0 offset:524
	buffer_load_dword v162, off, s[0:3], 0 offset:500
	;; [unrolled: 1-line block ×3, first 2 shown]
	ds_read_b128 v[123:126], v184 offset:1200
	s_waitcnt vmcnt(58) lgkmcnt(1)
	v_mul_f64 v[177:178], v[2:3], v[193:194]
	v_mul_f64 v[171:172], v[0:1], v[193:194]
	s_waitcnt vmcnt(56)
	v_fma_f64 v[191:192], v[4:5], v[131:132], -v[191:192]
	v_fma_f64 v[131:132], v[6:7], v[131:132], v[182:183]
	v_add_f64 v[135:136], v[135:136], v[169:170]
	v_add_f64 v[127:128], v[127:128], v[163:164]
	s_clause 0x4
	buffer_load_dword v164, off, s[0:3], 0 offset:540
	buffer_load_dword v169, off, s[0:3], 0 offset:552
	;; [unrolled: 1-line block ×5, first 2 shown]
	ds_read_b128 v[4:7], v184 offset:1216
	s_waitcnt vmcnt(57) lgkmcnt(1)
	v_mul_f64 v[206:207], v[123:124], v[129:130]
	v_mul_f64 v[129:130], v[125:126], v[129:130]
	s_waitcnt vmcnt(56)
	v_fma_f64 v[177:178], v[0:1], v[195:196], -v[177:178]
	v_fma_f64 v[171:172], v[2:3], v[195:196], v[171:172]
	v_add_f64 v[135:136], v[135:136], v[191:192]
	v_add_f64 v[127:128], v[127:128], v[131:132]
	s_clause 0x2
	buffer_load_dword v170, off, s[0:3], 0 offset:556
	buffer_load_dword v132, off, s[0:3], 0 offset:532
	;; [unrolled: 1-line block ×3, first 2 shown]
	s_waitcnt vmcnt(58) lgkmcnt(0)
	v_mul_f64 v[195:196], v[6:7], v[197:198]
	ds_read_b128 v[0:3], v184 offset:1232
	v_mul_f64 v[191:192], v[4:5], v[197:198]
	s_waitcnt vmcnt(56)
	v_fma_f64 v[129:130], v[123:124], v[187:188], -v[129:130]
	v_add_f64 v[135:136], v[135:136], v[177:178]
	v_fma_f64 v[177:178], v[125:126], v[187:188], v[206:207]
	v_add_f64 v[127:128], v[127:128], v[171:172]
	s_clause 0x4
	buffer_load_dword v172, off, s[0:3], 0 offset:572
	buffer_load_dword v187, off, s[0:3], 0 offset:584
	;; [unrolled: 1-line block ×5, first 2 shown]
	ds_read_b128 v[123:126], v184 offset:1248
	s_waitcnt vmcnt(57) lgkmcnt(1)
	v_mul_f64 v[206:207], v[0:1], v[147:148]
	v_mul_f64 v[147:148], v[2:3], v[147:148]
	s_waitcnt vmcnt(56)
	v_fma_f64 v[195:196], v[4:5], v[202:203], -v[195:196]
	v_add_f64 v[129:130], v[135:136], v[129:130]
	v_fma_f64 v[135:136], v[6:7], v[202:203], v[191:192]
	v_add_f64 v[127:128], v[127:128], v[177:178]
	s_clause 0x2
	buffer_load_dword v188, off, s[0:3], 0 offset:588
	buffer_load_dword v178, off, s[0:3], 0 offset:564
	;; [unrolled: 1-line block ×3, first 2 shown]
	ds_read_b128 v[4:7], v184 offset:1264
	s_waitcnt vmcnt(58) lgkmcnt(1)
	v_mul_f64 v[191:192], v[123:124], v[189:190]
	v_mul_f64 v[189:190], v[125:126], v[189:190]
	s_waitcnt vmcnt(56)
	v_fma_f64 v[147:148], v[0:1], v[141:142], -v[147:148]
	v_fma_f64 v[141:142], v[2:3], v[141:142], v[206:207]
	v_add_f64 v[129:130], v[129:130], v[195:196]
	v_add_f64 v[127:128], v[127:128], v[135:136]
	s_clause 0x4
	buffer_load_dword v136, off, s[0:3], 0 offset:604
	buffer_load_dword v195, off, s[0:3], 0 offset:616
	buffer_load_dword v201, off, s[0:3], 0 offset:608
	buffer_load_dword v135, off, s[0:3], 0 offset:600
	buffer_load_dword v198, off, s[0:3], 0 offset:580
	ds_read_b128 v[0:3], v184 offset:1280
	s_waitcnt vmcnt(57) lgkmcnt(1)
	v_mul_f64 v[202:203], v[4:5], v[133:134]
	v_mul_f64 v[133:134], v[6:7], v[133:134]
	s_waitcnt vmcnt(56)
	v_fma_f64 v[189:190], v[123:124], v[204:205], -v[189:190]
	v_add_f64 v[129:130], v[129:130], v[147:148]
	v_fma_f64 v[147:148], v[125:126], v[204:205], v[191:192]
	v_add_f64 v[127:128], v[127:128], v[141:142]
	s_clause 0x2
	buffer_load_dword v196, off, s[0:3], 0 offset:620
	buffer_load_dword v142, off, s[0:3], 0 offset:596
	buffer_load_dword v141, off, s[0:3], 0 offset:592
	ds_read_b128 v[123:126], v184 offset:1296
	s_waitcnt vmcnt(58) lgkmcnt(1)
	v_mul_f64 v[191:192], v[0:1], v[151:152]
	v_mul_f64 v[151:152], v[2:3], v[151:152]
	s_waitcnt vmcnt(56)
	v_fma_f64 v[133:134], v[4:5], v[139:140], -v[133:134]
	v_fma_f64 v[139:140], v[6:7], v[139:140], v[202:203]
	v_add_f64 v[129:130], v[129:130], v[189:190]
	v_add_f64 v[127:128], v[127:128], v[147:148]
	s_clause 0x4
	buffer_load_dword v148, off, s[0:3], 0 offset:636
	buffer_load_dword v189, off, s[0:3], 0 offset:648
	;; [unrolled: 1-line block ×5, first 2 shown]
	ds_read_b128 v[4:7], v184 offset:1312
	s_waitcnt vmcnt(57) lgkmcnt(1)
	v_mul_f64 v[204:205], v[123:124], v[137:138]
	v_mul_f64 v[137:138], v[125:126], v[137:138]
	s_waitcnt vmcnt(56)
	v_fma_f64 v[151:152], v[0:1], v[199:200], -v[151:152]
	v_add_f64 v[129:130], v[129:130], v[133:134]
	v_fma_f64 v[133:134], v[2:3], v[199:200], v[191:192]
	v_add_f64 v[127:128], v[127:128], v[139:140]
	s_clause 0x2
	buffer_load_dword v190, off, s[0:3], 0 offset:652
	buffer_load_dword v140, off, s[0:3], 0 offset:628
	;; [unrolled: 1-line block ×3, first 2 shown]
	s_waitcnt vmcnt(58) lgkmcnt(0)
	v_mul_f64 v[191:192], v[4:5], v[159:160]
	v_mul_f64 v[159:160], v[6:7], v[159:160]
	ds_read_b128 v[0:3], v184 offset:1328
	s_waitcnt vmcnt(56)
	v_fma_f64 v[137:138], v[123:124], v[145:146], -v[137:138]
	v_fma_f64 v[145:146], v[125:126], v[145:146], v[204:205]
	v_add_f64 v[129:130], v[129:130], v[151:152]
	v_add_f64 v[127:128], v[127:128], v[133:134]
	s_clause 0x4
	buffer_load_dword v134, off, s[0:3], 0 offset:668
	buffer_load_dword v151, off, s[0:3], 0 offset:680
	;; [unrolled: 1-line block ×5, first 2 shown]
	ds_read_b128 v[123:126], v184 offset:1344
	s_waitcnt vmcnt(57) lgkmcnt(1)
	v_mul_f64 v[205:206], v[0:1], v[143:144]
	v_mul_f64 v[143:144], v[2:3], v[143:144]
	s_waitcnt vmcnt(56)
	v_fma_f64 v[159:160], v[4:5], v[185:186], -v[159:160]
	v_add_f64 v[129:130], v[129:130], v[137:138]
	v_fma_f64 v[137:138], v[6:7], v[185:186], v[191:192]
	v_add_f64 v[127:128], v[127:128], v[145:146]
	s_clause 0x2
	buffer_load_dword v152, off, s[0:3], 0 offset:684
	buffer_load_dword v146, off, s[0:3], 0 offset:660
	;; [unrolled: 1-line block ×3, first 2 shown]
	s_waitcnt vmcnt(58) lgkmcnt(0)
	v_mul_f64 v[185:186], v[123:124], v[165:166]
	v_mul_f64 v[165:166], v[125:126], v[165:166]
	ds_read_b128 v[4:7], v184 offset:1360
	s_waitcnt vmcnt(56)
	v_fma_f64 v[143:144], v[0:1], v[155:156], -v[143:144]
	v_fma_f64 v[155:156], v[2:3], v[155:156], v[205:206]
	v_add_f64 v[129:130], v[129:130], v[159:160]
	v_add_f64 v[127:128], v[127:128], v[137:138]
	s_clause 0x4
	buffer_load_dword v138, off, s[0:3], 0 offset:700
	buffer_load_dword v159, off, s[0:3], 0 offset:712
	buffer_load_dword v191, off, s[0:3], 0 offset:704
	buffer_load_dword v137, off, s[0:3], 0 offset:696
	buffer_load_dword v200, off, s[0:3], 0 offset:676
	ds_read_b128 v[0:3], v184 offset:1376
	s_waitcnt vmcnt(57) lgkmcnt(1)
	v_mul_f64 v[205:206], v[4:5], v[149:150]
	v_mul_f64 v[149:150], v[6:7], v[149:150]
	s_waitcnt vmcnt(56)
	v_fma_f64 v[165:166], v[123:124], v[167:168], -v[165:166]
	v_add_f64 v[129:130], v[129:130], v[143:144]
	v_fma_f64 v[143:144], v[125:126], v[167:168], v[185:186]
	v_add_f64 v[127:128], v[127:128], v[155:156]
	s_clause 0x2
	buffer_load_dword v160, off, s[0:3], 0 offset:716
	buffer_load_dword v156, off, s[0:3], 0 offset:692
	buffer_load_dword v155, off, s[0:3], 0 offset:688
	ds_read_b128 v[123:126], v184 offset:1392
	s_waitcnt vmcnt(58) lgkmcnt(1)
	v_mul_f64 v[167:168], v[0:1], v[173:174]
	v_mul_f64 v[173:174], v[2:3], v[173:174]
	s_waitcnt vmcnt(56)
	v_fma_f64 v[149:150], v[4:5], v[153:154], -v[149:150]
	v_fma_f64 v[153:154], v[6:7], v[153:154], v[205:206]
	v_add_f64 v[129:130], v[129:130], v[165:166]
	v_add_f64 v[127:128], v[127:128], v[143:144]
	s_clause 0x4
	buffer_load_dword v144, off, s[0:3], 0 offset:732
	buffer_load_dword v165, off, s[0:3], 0 offset:744
	buffer_load_dword v185, off, s[0:3], 0 offset:736
	buffer_load_dword v143, off, s[0:3], 0 offset:728
	buffer_load_dword v192, off, s[0:3], 0 offset:708
	ds_read_b128 v[4:7], v184 offset:1408
	s_waitcnt vmcnt(57) lgkmcnt(1)
	v_mul_f64 v[205:206], v[123:124], v[157:158]
	v_mul_f64 v[157:158], v[125:126], v[157:158]
	s_waitcnt vmcnt(56)
	v_fma_f64 v[173:174], v[0:1], v[175:176], -v[173:174]
	v_add_f64 v[129:130], v[129:130], v[149:150]
	v_fma_f64 v[149:150], v[2:3], v[175:176], v[167:168]
	v_add_f64 v[127:128], v[127:128], v[153:154]
	s_clause 0x2
	buffer_load_dword v166, off, s[0:3], 0 offset:748
	buffer_load_dword v154, off, s[0:3], 0 offset:724
	buffer_load_dword v153, off, s[0:3], 0 offset:720
	ds_read_b128 v[0:3], v184 offset:1424
	s_waitcnt vmcnt(58) lgkmcnt(1)
	v_mul_f64 v[175:176], v[6:7], v[179:180]
	v_mul_f64 v[167:168], v[4:5], v[179:180]
	;; [unrolled: 28-line block ×4, first 2 shown]
	s_waitcnt vmcnt(56)
	v_fma_f64 v[171:172], v[4:5], v[177:178], -v[171:172]
	v_add_f64 v[129:130], v[129:130], v[169:170]
	v_fma_f64 v[169:170], v[6:7], v[177:178], v[182:183]
	v_add_f64 v[127:128], v[127:128], v[163:164]
	s_clause 0x4
	buffer_load_dword v164, off, s[0:3], 0 offset:828
	buffer_load_dword v177, off, s[0:3], 0 offset:840
	;; [unrolled: 1-line block ×5, first 2 shown]
	ds_read_b128 v[4:7], v184 offset:1504
	s_waitcnt vmcnt(57) lgkmcnt(1)
	v_mul_f64 v[205:206], v[123:124], v[135:136]
	v_mul_f64 v[135:136], v[125:126], v[135:136]
	s_waitcnt vmcnt(56)
	v_fma_f64 v[187:188], v[0:1], v[197:198], -v[187:188]
	v_fma_f64 v[167:168], v[2:3], v[197:198], v[167:168]
	v_add_f64 v[129:130], v[129:130], v[171:172]
	v_add_f64 v[127:128], v[127:128], v[169:170]
	s_clause 0x2
	buffer_load_dword v178, off, s[0:3], 0 offset:844
	buffer_load_dword v170, off, s[0:3], 0 offset:820
	;; [unrolled: 1-line block ×3, first 2 shown]
	ds_read_b128 v[0:3], v184 offset:1520
	s_waitcnt vmcnt(58) lgkmcnt(1)
	v_mul_f64 v[171:172], v[4:5], v[195:196]
	v_mul_f64 v[195:196], v[6:7], v[195:196]
	s_waitcnt vmcnt(56)
	v_fma_f64 v[135:136], v[123:124], v[141:142], -v[135:136]
	v_fma_f64 v[141:142], v[125:126], v[141:142], v[205:206]
	v_add_f64 v[129:130], v[129:130], v[187:188]
	v_add_f64 v[127:128], v[127:128], v[167:168]
	s_clause 0x4
	buffer_load_dword v168, off, s[0:3], 0 offset:860
	buffer_load_dword v187, off, s[0:3], 0 offset:872
	;; [unrolled: 1-line block ×5, first 2 shown]
	ds_read_b128 v[123:126], v184 offset:1536
	s_waitcnt vmcnt(57) lgkmcnt(1)
	v_mul_f64 v[205:206], v[0:1], v[147:148]
	v_mul_f64 v[147:148], v[2:3], v[147:148]
	s_waitcnt vmcnt(56)
	v_fma_f64 v[195:196], v[4:5], v[201:202], -v[195:196]
	v_add_f64 v[129:130], v[129:130], v[135:136]
	v_fma_f64 v[135:136], v[6:7], v[201:202], v[171:172]
	v_add_f64 v[127:128], v[127:128], v[141:142]
	s_clause 0x2
	buffer_load_dword v188, off, s[0:3], 0 offset:876
	buffer_load_dword v142, off, s[0:3], 0 offset:852
	;; [unrolled: 1-line block ×3, first 2 shown]
	ds_read_b128 v[4:7], v184 offset:1552
	s_waitcnt vmcnt(58) lgkmcnt(1)
	v_mul_f64 v[171:172], v[123:124], v[189:190]
	v_mul_f64 v[189:190], v[125:126], v[189:190]
	s_waitcnt vmcnt(56)
	v_fma_f64 v[147:148], v[0:1], v[139:140], -v[147:148]
	v_fma_f64 v[139:140], v[2:3], v[139:140], v[205:206]
	v_add_f64 v[129:130], v[129:130], v[195:196]
	v_add_f64 v[127:128], v[127:128], v[135:136]
	s_clause 0x4
	buffer_load_dword v136, off, s[0:3], 0 offset:892
	buffer_load_dword v195, off, s[0:3], 0 offset:904
	;; [unrolled: 1-line block ×5, first 2 shown]
	ds_read_b128 v[0:3], v184 offset:1568
	s_waitcnt vmcnt(57) lgkmcnt(1)
	v_mul_f64 v[205:206], v[4:5], v[133:134]
	v_mul_f64 v[133:134], v[6:7], v[133:134]
	s_waitcnt vmcnt(56)
	v_fma_f64 v[189:190], v[123:124], v[203:204], -v[189:190]
	v_add_f64 v[129:130], v[129:130], v[147:148]
	v_fma_f64 v[147:148], v[125:126], v[203:204], v[171:172]
	v_add_f64 v[127:128], v[127:128], v[139:140]
	s_clause 0x2
	buffer_load_dword v196, off, s[0:3], 0 offset:908
	buffer_load_dword v140, off, s[0:3], 0 offset:884
	buffer_load_dword v139, off, s[0:3], 0 offset:880
	ds_read_b128 v[123:126], v184 offset:1584
	s_waitcnt vmcnt(58) lgkmcnt(1)
	v_mul_f64 v[171:172], v[0:1], v[151:152]
	v_mul_f64 v[151:152], v[2:3], v[151:152]
	s_waitcnt vmcnt(56)
	v_fma_f64 v[133:134], v[4:5], v[145:146], -v[133:134]
	v_fma_f64 v[145:146], v[6:7], v[145:146], v[205:206]
	v_add_f64 v[129:130], v[129:130], v[189:190]
	v_add_f64 v[127:128], v[127:128], v[147:148]
	s_clause 0x2
	buffer_load_dword v148, off, s[0:3], 0 offset:924
	buffer_load_dword v147, off, s[0:3], 0 offset:920
	;; [unrolled: 1-line block ×3, first 2 shown]
	ds_read_b128 v[4:7], v184 offset:1600
	s_waitcnt vmcnt(55) lgkmcnt(1)
	v_mul_f64 v[189:190], v[123:124], v[137:138]
	v_mul_f64 v[137:138], v[125:126], v[137:138]
	s_waitcnt vmcnt(54)
	v_fma_f64 v[151:152], v[0:1], v[199:200], -v[151:152]
	v_add_f64 v[129:130], v[129:130], v[133:134]
	v_fma_f64 v[133:134], v[2:3], v[199:200], v[171:172]
	v_add_f64 v[127:128], v[127:128], v[145:146]
	s_clause 0x1
	buffer_load_dword v146, off, s[0:3], 0 offset:916
	buffer_load_dword v145, off, s[0:3], 0 offset:912
	ds_read_b128 v[0:3], v184 offset:1616
	s_waitcnt vmcnt(55) lgkmcnt(1)
	v_mul_f64 v[171:172], v[4:5], v[159:160]
	v_mul_f64 v[159:160], v[6:7], v[159:160]
	s_waitcnt vmcnt(53)
	v_fma_f64 v[137:138], v[123:124], v[155:156], -v[137:138]
	v_add_f64 v[129:130], v[129:130], v[151:152]
	v_fma_f64 v[151:152], v[125:126], v[155:156], v[189:190]
	v_add_f64 v[127:128], v[127:128], v[133:134]
	ds_read_b128 v[123:126], v184 offset:1632
	s_waitcnt vmcnt(49) lgkmcnt(1)
	v_mul_f64 v[133:134], v[0:1], v[143:144]
	v_mul_f64 v[143:144], v[2:3], v[143:144]
	s_waitcnt vmcnt(48)
	v_fma_f64 v[155:156], v[4:5], v[191:192], -v[159:160]
	v_add_f64 v[129:130], v[129:130], v[137:138]
	v_fma_f64 v[137:138], v[6:7], v[191:192], v[171:172]
	v_add_f64 v[127:128], v[127:128], v[151:152]
	s_clause 0x3
	buffer_load_dword v151, off, s[0:3], 0 offset:16
	buffer_load_dword v152, off, s[0:3], 0 offset:20
	;; [unrolled: 1-line block ×4, first 2 shown]
	ds_read_b128 v[4:7], v184 offset:1648
	s_waitcnt vmcnt(51) lgkmcnt(1)
	v_mul_f64 v[171:172], v[123:124], v[165:166]
	v_mul_f64 v[165:166], v[125:126], v[165:166]
	s_waitcnt vmcnt(49)
	v_fma_f64 v[143:144], v[0:1], v[153:154], -v[143:144]
	v_fma_f64 v[133:134], v[2:3], v[153:154], v[133:134]
	ds_read_b128 v[0:3], v184 offset:1664
	v_add_f64 v[129:130], v[129:130], v[155:156]
	v_add_f64 v[127:128], v[127:128], v[137:138]
	s_waitcnt vmcnt(45) lgkmcnt(1)
	v_mul_f64 v[137:138], v[4:5], v[149:150]
	v_mul_f64 v[149:150], v[6:7], v[149:150]
	s_waitcnt vmcnt(44)
	v_fma_f64 v[153:154], v[123:124], v[185:186], -v[165:166]
	v_add_f64 v[129:130], v[129:130], v[143:144]
	v_fma_f64 v[143:144], v[125:126], v[185:186], v[171:172]
	v_add_f64 v[127:128], v[127:128], v[133:134]
	ds_read_b128 v[123:126], v184 offset:1680
	s_waitcnt vmcnt(43) lgkmcnt(1)
	v_mul_f64 v[155:156], v[2:3], v[173:174]
	v_mul_f64 v[133:134], v[0:1], v[173:174]
	s_waitcnt vmcnt(41)
	v_fma_f64 v[149:150], v[4:5], v[161:162], -v[149:150]
	v_fma_f64 v[137:138], v[6:7], v[161:162], v[137:138]
	ds_read_b128 v[4:7], v184 offset:1696
	v_add_f64 v[129:130], v[129:130], v[153:154]
	v_add_f64 v[127:128], v[127:128], v[143:144]
	s_waitcnt vmcnt(37) lgkmcnt(1)
	v_mul_f64 v[153:154], v[125:126], v[157:158]
	s_waitcnt vmcnt(36)
	v_fma_f64 v[155:156], v[0:1], v[179:180], -v[155:156]
	v_mul_f64 v[143:144], v[123:124], v[157:158]
	v_fma_f64 v[133:134], v[2:3], v[179:180], v[133:134]
	ds_read_b128 v[0:3], v184 offset:1712
	v_add_f64 v[129:130], v[129:130], v[149:150]
	v_add_f64 v[127:128], v[127:128], v[137:138]
	s_waitcnt vmcnt(35) lgkmcnt(1)
	v_mul_f64 v[149:150], v[6:7], v[175:176]
	v_mul_f64 v[137:138], v[4:5], v[175:176]
	s_waitcnt vmcnt(33)
	v_fma_f64 v[153:154], v[123:124], v[131:132], -v[153:154]
	v_fma_f64 v[131:132], v[125:126], v[131:132], v[143:144]
	ds_read_b128 v[123:126], v184 offset:1728
	v_add_f64 v[129:130], v[129:130], v[155:156]
	v_add_f64 v[127:128], v[127:128], v[133:134]
	s_waitcnt vmcnt(29) lgkmcnt(1)
	v_mul_f64 v[143:144], v[2:3], v[163:164]
	s_waitcnt vmcnt(28)
	v_fma_f64 v[149:150], v[4:5], v[181:182], -v[149:150]
	v_mul_f64 v[133:134], v[0:1], v[163:164]
	v_fma_f64 v[137:138], v[6:7], v[181:182], v[137:138]
	ds_read_b128 v[4:7], v184 offset:1744
	v_add_f64 v[129:130], v[129:130], v[153:154]
	v_add_f64 v[127:128], v[127:128], v[131:132]
	s_waitcnt vmcnt(27) lgkmcnt(1)
	v_mul_f64 v[153:154], v[125:126], v[177:178]
	v_mul_f64 v[131:132], v[123:124], v[177:178]
	s_waitcnt vmcnt(25)
	v_fma_f64 v[143:144], v[0:1], v[169:170], -v[143:144]
	v_fma_f64 v[133:134], v[2:3], v[169:170], v[133:134]
	ds_read_b128 v[0:3], v184 offset:1760
	v_add_f64 v[129:130], v[129:130], v[149:150]
	v_add_f64 v[127:128], v[127:128], v[137:138]
	s_waitcnt vmcnt(21) lgkmcnt(1)
	v_mul_f64 v[149:150], v[6:7], v[167:168]
	s_waitcnt vmcnt(20)
	v_fma_f64 v[153:154], v[123:124], v[193:194], -v[153:154]
	v_mul_f64 v[137:138], v[4:5], v[167:168]
	v_fma_f64 v[131:132], v[125:126], v[193:194], v[131:132]
	ds_read_b128 v[123:126], v184 offset:1776
	v_add_f64 v[129:130], v[129:130], v[143:144]
	v_add_f64 v[127:128], v[127:128], v[133:134]
	s_waitcnt vmcnt(19) lgkmcnt(1)
	v_mul_f64 v[143:144], v[2:3], v[187:188]
	v_mul_f64 v[133:134], v[0:1], v[187:188]
	s_waitcnt vmcnt(17)
	v_fma_f64 v[149:150], v[4:5], v[141:142], -v[149:150]
	v_fma_f64 v[137:138], v[6:7], v[141:142], v[137:138]
	ds_read_b128 v[4:7], v184 offset:1792
	v_add_f64 v[129:130], v[129:130], v[153:154]
	v_add_f64 v[127:128], v[127:128], v[131:132]
	s_waitcnt vmcnt(13) lgkmcnt(1)
	v_mul_f64 v[131:132], v[123:124], v[135:136]
	v_mul_f64 v[135:136], v[125:126], v[135:136]
	s_waitcnt vmcnt(12)
	v_fma_f64 v[141:142], v[0:1], v[197:198], -v[143:144]
	v_fma_f64 v[133:134], v[2:3], v[197:198], v[133:134]
	ds_read_b128 v[0:3], v184 offset:1808
	v_add_f64 v[129:130], v[129:130], v[149:150]
	v_add_f64 v[127:128], v[127:128], v[137:138]
	s_waitcnt vmcnt(11) lgkmcnt(1)
	v_mul_f64 v[143:144], v[6:7], v[195:196]
	v_mul_f64 v[137:138], v[4:5], v[195:196]
	s_waitcnt vmcnt(9)
	v_fma_f64 v[123:124], v[123:124], v[139:140], -v[135:136]
	v_fma_f64 v[125:126], v[125:126], v[139:140], v[131:132]
	v_add_f64 v[129:130], v[129:130], v[141:142]
	v_add_f64 v[127:128], v[127:128], v[133:134]
	s_waitcnt vmcnt(7) lgkmcnt(0)
	v_mul_f64 v[133:134], v[2:3], v[147:148]
	s_waitcnt vmcnt(6)
	v_fma_f64 v[4:5], v[4:5], v[201:202], -v[143:144]
	v_mul_f64 v[131:132], v[0:1], v[147:148]
	v_fma_f64 v[6:7], v[6:7], v[201:202], v[137:138]
	v_add_f64 v[123:124], v[129:130], v[123:124]
	v_add_f64 v[125:126], v[127:128], v[125:126]
	s_waitcnt vmcnt(4)
	v_fma_f64 v[0:1], v[0:1], v[145:146], -v[133:134]
	v_fma_f64 v[2:3], v[2:3], v[145:146], v[131:132]
	v_add_f64 v[4:5], v[123:124], v[4:5]
	v_add_f64 v[6:7], v[125:126], v[6:7]
	;; [unrolled: 1-line block ×4, first 2 shown]
	s_waitcnt vmcnt(2)
	v_add_f64 v[0:1], v[151:152], -v[0:1]
	s_waitcnt vmcnt(0)
	v_add_f64 v[2:3], v[159:160], -v[2:3]
	buffer_store_dword v1, off, s[0:3], 0 offset:20
	buffer_store_dword v0, off, s[0:3], 0 offset:16
	buffer_store_dword v3, off, s[0:3], 0 offset:28
	buffer_store_dword v2, off, s[0:3], 0 offset:24
	s_cbranch_vccz .LBB120_468
; %bb.356:
	v_mov_b32_e32 v0, 0
	global_load_dword v1, v0, s[12:13] offset:220
	s_waitcnt vmcnt(0)
	v_add_nc_u32_e32 v1, -1, v1
	v_cmp_ne_u32_e32 vcc_lo, 55, v1
	s_cbranch_vccz .LBB120_358
; %bb.357:
	v_lshlrev_b32_e32 v1, 4, v1
	v_mov_b32_e32 v2, s9
	v_add_nc_u32_e32 v1, 16, v1
	s_clause 0x7
	buffer_load_dword v3, v1, s[0:3], 0 offen
	buffer_load_dword v4, v1, s[0:3], 0 offen offset:4
	buffer_load_dword v5, v1, s[0:3], 0 offen offset:8
	;; [unrolled: 1-line block ×6, first 2 shown]
	buffer_load_dword v124, v2, s[0:3], 0 offen
	s_waitcnt vmcnt(7)
	buffer_store_dword v3, v2, s[0:3], 0 offen
	s_waitcnt vmcnt(6)
	buffer_store_dword v4, v2, s[0:3], 0 offen offset:4
	s_waitcnt vmcnt(5)
	buffer_store_dword v5, v2, s[0:3], 0 offen offset:8
	;; [unrolled: 2-line block ×6, first 2 shown]
	s_waitcnt vmcnt(0)
	buffer_store_dword v124, v1, s[0:3], 0 offen
.LBB120_358:
	global_load_dword v0, v0, s[12:13] offset:216
	s_waitcnt vmcnt(0)
	v_add_nc_u32_e32 v0, -1, v0
	v_cmp_eq_u32_e32 vcc_lo, 54, v0
	s_cbranch_vccnz .LBB120_360
; %bb.359:
	v_lshlrev_b32_e32 v0, 4, v0
	v_mov_b32_e32 v1, s14
	v_add_nc_u32_e32 v0, 16, v0
	s_clause 0x7
	buffer_load_dword v2, v0, s[0:3], 0 offen
	buffer_load_dword v3, v0, s[0:3], 0 offen offset:4
	buffer_load_dword v4, v0, s[0:3], 0 offen offset:8
	buffer_load_dword v5, v0, s[0:3], 0 offen offset:12
	buffer_load_dword v6, v1, s[0:3], 0 offen offset:12
	buffer_load_dword v7, v1, s[0:3], 0 offen offset:8
	buffer_load_dword v8, v1, s[0:3], 0 offen offset:4
	buffer_load_dword v123, v1, s[0:3], 0 offen
	s_waitcnt vmcnt(7)
	buffer_store_dword v2, v1, s[0:3], 0 offen
	s_waitcnt vmcnt(6)
	buffer_store_dword v3, v1, s[0:3], 0 offen offset:4
	s_waitcnt vmcnt(5)
	buffer_store_dword v4, v1, s[0:3], 0 offen offset:8
	s_waitcnt vmcnt(4)
	buffer_store_dword v5, v1, s[0:3], 0 offen offset:12
	s_waitcnt vmcnt(3)
	buffer_store_dword v6, v0, s[0:3], 0 offen offset:12
	s_waitcnt vmcnt(2)
	buffer_store_dword v7, v0, s[0:3], 0 offen offset:8
	s_waitcnt vmcnt(1)
	buffer_store_dword v8, v0, s[0:3], 0 offen offset:4
	s_waitcnt vmcnt(0)
	buffer_store_dword v123, v0, s[0:3], 0 offen
.LBB120_360:
	v_mov_b32_e32 v0, 0
	global_load_dword v1, v0, s[12:13] offset:212
	s_waitcnt vmcnt(0)
	v_add_nc_u32_e32 v1, -1, v1
	v_cmp_eq_u32_e32 vcc_lo, 53, v1
	s_cbranch_vccnz .LBB120_362
; %bb.361:
	v_lshlrev_b32_e32 v1, 4, v1
	v_mov_b32_e32 v2, s15
	v_add_nc_u32_e32 v1, 16, v1
	s_clause 0x7
	buffer_load_dword v3, v1, s[0:3], 0 offen
	buffer_load_dword v4, v1, s[0:3], 0 offen offset:4
	buffer_load_dword v5, v1, s[0:3], 0 offen offset:8
	buffer_load_dword v6, v1, s[0:3], 0 offen offset:12
	buffer_load_dword v7, v2, s[0:3], 0 offen offset:12
	buffer_load_dword v8, v2, s[0:3], 0 offen offset:8
	buffer_load_dword v123, v2, s[0:3], 0 offen offset:4
	buffer_load_dword v124, v2, s[0:3], 0 offen
	s_waitcnt vmcnt(7)
	buffer_store_dword v3, v2, s[0:3], 0 offen
	s_waitcnt vmcnt(6)
	buffer_store_dword v4, v2, s[0:3], 0 offen offset:4
	s_waitcnt vmcnt(5)
	buffer_store_dword v5, v2, s[0:3], 0 offen offset:8
	;; [unrolled: 2-line block ×6, first 2 shown]
	s_waitcnt vmcnt(0)
	buffer_store_dword v124, v1, s[0:3], 0 offen
.LBB120_362:
	global_load_dword v0, v0, s[12:13] offset:208
	s_waitcnt vmcnt(0)
	v_add_nc_u32_e32 v0, -1, v0
	v_cmp_eq_u32_e32 vcc_lo, 52, v0
	s_cbranch_vccnz .LBB120_364
; %bb.363:
	v_lshlrev_b32_e32 v0, 4, v0
	v_mov_b32_e32 v1, s16
	v_add_nc_u32_e32 v0, 16, v0
	s_clause 0x7
	buffer_load_dword v2, v0, s[0:3], 0 offen
	buffer_load_dword v3, v0, s[0:3], 0 offen offset:4
	buffer_load_dword v4, v0, s[0:3], 0 offen offset:8
	;; [unrolled: 1-line block ×6, first 2 shown]
	buffer_load_dword v123, v1, s[0:3], 0 offen
	s_waitcnt vmcnt(7)
	buffer_store_dword v2, v1, s[0:3], 0 offen
	s_waitcnt vmcnt(6)
	buffer_store_dword v3, v1, s[0:3], 0 offen offset:4
	s_waitcnt vmcnt(5)
	buffer_store_dword v4, v1, s[0:3], 0 offen offset:8
	;; [unrolled: 2-line block ×6, first 2 shown]
	s_waitcnt vmcnt(0)
	buffer_store_dword v123, v0, s[0:3], 0 offen
.LBB120_364:
	v_mov_b32_e32 v0, 0
	global_load_dword v1, v0, s[12:13] offset:204
	s_waitcnt vmcnt(0)
	v_add_nc_u32_e32 v1, -1, v1
	v_cmp_eq_u32_e32 vcc_lo, 51, v1
	s_cbranch_vccnz .LBB120_366
; %bb.365:
	v_lshlrev_b32_e32 v1, 4, v1
	v_mov_b32_e32 v2, s17
	v_add_nc_u32_e32 v1, 16, v1
	s_clause 0x7
	buffer_load_dword v3, v1, s[0:3], 0 offen
	buffer_load_dword v4, v1, s[0:3], 0 offen offset:4
	buffer_load_dword v5, v1, s[0:3], 0 offen offset:8
	;; [unrolled: 1-line block ×6, first 2 shown]
	buffer_load_dword v124, v2, s[0:3], 0 offen
	s_waitcnt vmcnt(7)
	buffer_store_dword v3, v2, s[0:3], 0 offen
	s_waitcnt vmcnt(6)
	buffer_store_dword v4, v2, s[0:3], 0 offen offset:4
	s_waitcnt vmcnt(5)
	buffer_store_dword v5, v2, s[0:3], 0 offen offset:8
	;; [unrolled: 2-line block ×6, first 2 shown]
	s_waitcnt vmcnt(0)
	buffer_store_dword v124, v1, s[0:3], 0 offen
.LBB120_366:
	global_load_dword v0, v0, s[12:13] offset:200
	s_waitcnt vmcnt(0)
	v_add_nc_u32_e32 v0, -1, v0
	v_cmp_eq_u32_e32 vcc_lo, 50, v0
	s_cbranch_vccnz .LBB120_368
; %bb.367:
	v_lshlrev_b32_e32 v0, 4, v0
	v_mov_b32_e32 v1, s18
	v_add_nc_u32_e32 v0, 16, v0
	s_clause 0x7
	buffer_load_dword v2, v0, s[0:3], 0 offen
	buffer_load_dword v3, v0, s[0:3], 0 offen offset:4
	buffer_load_dword v4, v0, s[0:3], 0 offen offset:8
	;; [unrolled: 1-line block ×6, first 2 shown]
	buffer_load_dword v123, v1, s[0:3], 0 offen
	s_waitcnt vmcnt(7)
	buffer_store_dword v2, v1, s[0:3], 0 offen
	s_waitcnt vmcnt(6)
	buffer_store_dword v3, v1, s[0:3], 0 offen offset:4
	s_waitcnt vmcnt(5)
	buffer_store_dword v4, v1, s[0:3], 0 offen offset:8
	;; [unrolled: 2-line block ×6, first 2 shown]
	s_waitcnt vmcnt(0)
	buffer_store_dword v123, v0, s[0:3], 0 offen
.LBB120_368:
	v_mov_b32_e32 v0, 0
	global_load_dword v1, v0, s[12:13] offset:196
	s_waitcnt vmcnt(0)
	v_add_nc_u32_e32 v1, -1, v1
	v_cmp_eq_u32_e32 vcc_lo, 49, v1
	s_cbranch_vccnz .LBB120_370
; %bb.369:
	v_lshlrev_b32_e32 v1, 4, v1
	v_mov_b32_e32 v2, s19
	v_add_nc_u32_e32 v1, 16, v1
	s_clause 0x7
	buffer_load_dword v3, v1, s[0:3], 0 offen
	buffer_load_dword v4, v1, s[0:3], 0 offen offset:4
	buffer_load_dword v5, v1, s[0:3], 0 offen offset:8
	;; [unrolled: 1-line block ×6, first 2 shown]
	buffer_load_dword v124, v2, s[0:3], 0 offen
	s_waitcnt vmcnt(7)
	buffer_store_dword v3, v2, s[0:3], 0 offen
	s_waitcnt vmcnt(6)
	buffer_store_dword v4, v2, s[0:3], 0 offen offset:4
	s_waitcnt vmcnt(5)
	buffer_store_dword v5, v2, s[0:3], 0 offen offset:8
	;; [unrolled: 2-line block ×6, first 2 shown]
	s_waitcnt vmcnt(0)
	buffer_store_dword v124, v1, s[0:3], 0 offen
.LBB120_370:
	global_load_dword v0, v0, s[12:13] offset:192
	s_waitcnt vmcnt(0)
	v_add_nc_u32_e32 v0, -1, v0
	v_cmp_eq_u32_e32 vcc_lo, 48, v0
	s_cbranch_vccnz .LBB120_372
; %bb.371:
	v_lshlrev_b32_e32 v0, 4, v0
	v_mov_b32_e32 v1, s20
	v_add_nc_u32_e32 v0, 16, v0
	s_clause 0x7
	buffer_load_dword v2, v0, s[0:3], 0 offen
	buffer_load_dword v3, v0, s[0:3], 0 offen offset:4
	buffer_load_dword v4, v0, s[0:3], 0 offen offset:8
	buffer_load_dword v5, v0, s[0:3], 0 offen offset:12
	buffer_load_dword v6, v1, s[0:3], 0 offen offset:12
	buffer_load_dword v7, v1, s[0:3], 0 offen offset:8
	buffer_load_dword v8, v1, s[0:3], 0 offen offset:4
	buffer_load_dword v123, v1, s[0:3], 0 offen
	s_waitcnt vmcnt(7)
	buffer_store_dword v2, v1, s[0:3], 0 offen
	s_waitcnt vmcnt(6)
	buffer_store_dword v3, v1, s[0:3], 0 offen offset:4
	s_waitcnt vmcnt(5)
	buffer_store_dword v4, v1, s[0:3], 0 offen offset:8
	;; [unrolled: 2-line block ×6, first 2 shown]
	s_waitcnt vmcnt(0)
	buffer_store_dword v123, v0, s[0:3], 0 offen
.LBB120_372:
	v_mov_b32_e32 v0, 0
	global_load_dword v1, v0, s[12:13] offset:188
	s_waitcnt vmcnt(0)
	v_add_nc_u32_e32 v1, -1, v1
	v_cmp_eq_u32_e32 vcc_lo, 47, v1
	s_cbranch_vccnz .LBB120_374
; %bb.373:
	v_lshlrev_b32_e32 v1, 4, v1
	v_mov_b32_e32 v2, s21
	v_add_nc_u32_e32 v1, 16, v1
	s_clause 0x7
	buffer_load_dword v3, v1, s[0:3], 0 offen
	buffer_load_dword v4, v1, s[0:3], 0 offen offset:4
	buffer_load_dword v5, v1, s[0:3], 0 offen offset:8
	;; [unrolled: 1-line block ×6, first 2 shown]
	buffer_load_dword v124, v2, s[0:3], 0 offen
	s_waitcnt vmcnt(7)
	buffer_store_dword v3, v2, s[0:3], 0 offen
	s_waitcnt vmcnt(6)
	buffer_store_dword v4, v2, s[0:3], 0 offen offset:4
	s_waitcnt vmcnt(5)
	buffer_store_dword v5, v2, s[0:3], 0 offen offset:8
	;; [unrolled: 2-line block ×6, first 2 shown]
	s_waitcnt vmcnt(0)
	buffer_store_dword v124, v1, s[0:3], 0 offen
.LBB120_374:
	global_load_dword v0, v0, s[12:13] offset:184
	s_waitcnt vmcnt(0)
	v_add_nc_u32_e32 v0, -1, v0
	v_cmp_eq_u32_e32 vcc_lo, 46, v0
	s_cbranch_vccnz .LBB120_376
; %bb.375:
	v_lshlrev_b32_e32 v0, 4, v0
	v_mov_b32_e32 v1, s22
	v_add_nc_u32_e32 v0, 16, v0
	s_clause 0x7
	buffer_load_dword v2, v0, s[0:3], 0 offen
	buffer_load_dword v3, v0, s[0:3], 0 offen offset:4
	buffer_load_dword v4, v0, s[0:3], 0 offen offset:8
	;; [unrolled: 1-line block ×6, first 2 shown]
	buffer_load_dword v123, v1, s[0:3], 0 offen
	s_waitcnt vmcnt(7)
	buffer_store_dword v2, v1, s[0:3], 0 offen
	s_waitcnt vmcnt(6)
	buffer_store_dword v3, v1, s[0:3], 0 offen offset:4
	s_waitcnt vmcnt(5)
	buffer_store_dword v4, v1, s[0:3], 0 offen offset:8
	;; [unrolled: 2-line block ×6, first 2 shown]
	s_waitcnt vmcnt(0)
	buffer_store_dword v123, v0, s[0:3], 0 offen
.LBB120_376:
	v_mov_b32_e32 v0, 0
	global_load_dword v1, v0, s[12:13] offset:180
	s_waitcnt vmcnt(0)
	v_add_nc_u32_e32 v1, -1, v1
	v_cmp_eq_u32_e32 vcc_lo, 45, v1
	s_cbranch_vccnz .LBB120_378
; %bb.377:
	v_lshlrev_b32_e32 v1, 4, v1
	v_mov_b32_e32 v2, s23
	v_add_nc_u32_e32 v1, 16, v1
	s_clause 0x7
	buffer_load_dword v3, v1, s[0:3], 0 offen
	buffer_load_dword v4, v1, s[0:3], 0 offen offset:4
	buffer_load_dword v5, v1, s[0:3], 0 offen offset:8
	;; [unrolled: 1-line block ×6, first 2 shown]
	buffer_load_dword v124, v2, s[0:3], 0 offen
	s_waitcnt vmcnt(7)
	buffer_store_dword v3, v2, s[0:3], 0 offen
	s_waitcnt vmcnt(6)
	buffer_store_dword v4, v2, s[0:3], 0 offen offset:4
	s_waitcnt vmcnt(5)
	buffer_store_dword v5, v2, s[0:3], 0 offen offset:8
	;; [unrolled: 2-line block ×6, first 2 shown]
	s_waitcnt vmcnt(0)
	buffer_store_dword v124, v1, s[0:3], 0 offen
.LBB120_378:
	global_load_dword v0, v0, s[12:13] offset:176
	s_waitcnt vmcnt(0)
	v_add_nc_u32_e32 v0, -1, v0
	v_cmp_eq_u32_e32 vcc_lo, 44, v0
	s_cbranch_vccnz .LBB120_380
; %bb.379:
	v_lshlrev_b32_e32 v0, 4, v0
	v_mov_b32_e32 v1, s24
	v_add_nc_u32_e32 v0, 16, v0
	s_clause 0x7
	buffer_load_dword v2, v0, s[0:3], 0 offen
	buffer_load_dword v3, v0, s[0:3], 0 offen offset:4
	buffer_load_dword v4, v0, s[0:3], 0 offen offset:8
	buffer_load_dword v5, v0, s[0:3], 0 offen offset:12
	buffer_load_dword v6, v1, s[0:3], 0 offen offset:12
	buffer_load_dword v7, v1, s[0:3], 0 offen offset:8
	buffer_load_dword v8, v1, s[0:3], 0 offen offset:4
	buffer_load_dword v123, v1, s[0:3], 0 offen
	s_waitcnt vmcnt(7)
	buffer_store_dword v2, v1, s[0:3], 0 offen
	s_waitcnt vmcnt(6)
	buffer_store_dword v3, v1, s[0:3], 0 offen offset:4
	s_waitcnt vmcnt(5)
	buffer_store_dword v4, v1, s[0:3], 0 offen offset:8
	;; [unrolled: 2-line block ×6, first 2 shown]
	s_waitcnt vmcnt(0)
	buffer_store_dword v123, v0, s[0:3], 0 offen
.LBB120_380:
	v_mov_b32_e32 v0, 0
	global_load_dword v1, v0, s[12:13] offset:172
	s_waitcnt vmcnt(0)
	v_add_nc_u32_e32 v1, -1, v1
	v_cmp_eq_u32_e32 vcc_lo, 43, v1
	s_cbranch_vccnz .LBB120_382
; %bb.381:
	v_lshlrev_b32_e32 v1, 4, v1
	v_mov_b32_e32 v2, s25
	v_add_nc_u32_e32 v1, 16, v1
	s_clause 0x7
	buffer_load_dword v3, v1, s[0:3], 0 offen
	buffer_load_dword v4, v1, s[0:3], 0 offen offset:4
	buffer_load_dword v5, v1, s[0:3], 0 offen offset:8
	;; [unrolled: 1-line block ×6, first 2 shown]
	buffer_load_dword v124, v2, s[0:3], 0 offen
	s_waitcnt vmcnt(7)
	buffer_store_dword v3, v2, s[0:3], 0 offen
	s_waitcnt vmcnt(6)
	buffer_store_dword v4, v2, s[0:3], 0 offen offset:4
	s_waitcnt vmcnt(5)
	buffer_store_dword v5, v2, s[0:3], 0 offen offset:8
	;; [unrolled: 2-line block ×6, first 2 shown]
	s_waitcnt vmcnt(0)
	buffer_store_dword v124, v1, s[0:3], 0 offen
.LBB120_382:
	global_load_dword v0, v0, s[12:13] offset:168
	s_waitcnt vmcnt(0)
	v_add_nc_u32_e32 v0, -1, v0
	v_cmp_eq_u32_e32 vcc_lo, 42, v0
	s_cbranch_vccnz .LBB120_384
; %bb.383:
	v_lshlrev_b32_e32 v0, 4, v0
	v_mov_b32_e32 v1, s26
	v_add_nc_u32_e32 v0, 16, v0
	s_clause 0x7
	buffer_load_dword v2, v0, s[0:3], 0 offen
	buffer_load_dword v3, v0, s[0:3], 0 offen offset:4
	buffer_load_dword v4, v0, s[0:3], 0 offen offset:8
	;; [unrolled: 1-line block ×6, first 2 shown]
	buffer_load_dword v123, v1, s[0:3], 0 offen
	s_waitcnt vmcnt(7)
	buffer_store_dword v2, v1, s[0:3], 0 offen
	s_waitcnt vmcnt(6)
	buffer_store_dword v3, v1, s[0:3], 0 offen offset:4
	s_waitcnt vmcnt(5)
	buffer_store_dword v4, v1, s[0:3], 0 offen offset:8
	;; [unrolled: 2-line block ×6, first 2 shown]
	s_waitcnt vmcnt(0)
	buffer_store_dword v123, v0, s[0:3], 0 offen
.LBB120_384:
	v_mov_b32_e32 v0, 0
	global_load_dword v1, v0, s[12:13] offset:164
	s_waitcnt vmcnt(0)
	v_add_nc_u32_e32 v1, -1, v1
	v_cmp_eq_u32_e32 vcc_lo, 41, v1
	s_cbranch_vccnz .LBB120_386
; %bb.385:
	v_lshlrev_b32_e32 v1, 4, v1
	v_mov_b32_e32 v2, s27
	v_add_nc_u32_e32 v1, 16, v1
	s_clause 0x7
	buffer_load_dword v3, v1, s[0:3], 0 offen
	buffer_load_dword v4, v1, s[0:3], 0 offen offset:4
	buffer_load_dword v5, v1, s[0:3], 0 offen offset:8
	;; [unrolled: 1-line block ×6, first 2 shown]
	buffer_load_dword v124, v2, s[0:3], 0 offen
	s_waitcnt vmcnt(7)
	buffer_store_dword v3, v2, s[0:3], 0 offen
	s_waitcnt vmcnt(6)
	buffer_store_dword v4, v2, s[0:3], 0 offen offset:4
	s_waitcnt vmcnt(5)
	buffer_store_dword v5, v2, s[0:3], 0 offen offset:8
	;; [unrolled: 2-line block ×6, first 2 shown]
	s_waitcnt vmcnt(0)
	buffer_store_dword v124, v1, s[0:3], 0 offen
.LBB120_386:
	global_load_dword v0, v0, s[12:13] offset:160
	s_waitcnt vmcnt(0)
	v_add_nc_u32_e32 v0, -1, v0
	v_cmp_eq_u32_e32 vcc_lo, 40, v0
	s_cbranch_vccnz .LBB120_388
; %bb.387:
	v_lshlrev_b32_e32 v0, 4, v0
	v_mov_b32_e32 v1, s28
	v_add_nc_u32_e32 v0, 16, v0
	s_clause 0x7
	buffer_load_dword v2, v0, s[0:3], 0 offen
	buffer_load_dword v3, v0, s[0:3], 0 offen offset:4
	buffer_load_dword v4, v0, s[0:3], 0 offen offset:8
	;; [unrolled: 1-line block ×6, first 2 shown]
	buffer_load_dword v123, v1, s[0:3], 0 offen
	s_waitcnt vmcnt(7)
	buffer_store_dword v2, v1, s[0:3], 0 offen
	s_waitcnt vmcnt(6)
	buffer_store_dword v3, v1, s[0:3], 0 offen offset:4
	s_waitcnt vmcnt(5)
	buffer_store_dword v4, v1, s[0:3], 0 offen offset:8
	;; [unrolled: 2-line block ×6, first 2 shown]
	s_waitcnt vmcnt(0)
	buffer_store_dword v123, v0, s[0:3], 0 offen
.LBB120_388:
	v_mov_b32_e32 v0, 0
	global_load_dword v1, v0, s[12:13] offset:156
	s_waitcnt vmcnt(0)
	v_add_nc_u32_e32 v1, -1, v1
	v_cmp_eq_u32_e32 vcc_lo, 39, v1
	s_cbranch_vccnz .LBB120_390
; %bb.389:
	v_lshlrev_b32_e32 v1, 4, v1
	v_mov_b32_e32 v2, s29
	v_add_nc_u32_e32 v1, 16, v1
	s_clause 0x7
	buffer_load_dword v3, v1, s[0:3], 0 offen
	buffer_load_dword v4, v1, s[0:3], 0 offen offset:4
	buffer_load_dword v5, v1, s[0:3], 0 offen offset:8
	;; [unrolled: 1-line block ×6, first 2 shown]
	buffer_load_dword v124, v2, s[0:3], 0 offen
	s_waitcnt vmcnt(7)
	buffer_store_dword v3, v2, s[0:3], 0 offen
	s_waitcnt vmcnt(6)
	buffer_store_dword v4, v2, s[0:3], 0 offen offset:4
	s_waitcnt vmcnt(5)
	buffer_store_dword v5, v2, s[0:3], 0 offen offset:8
	;; [unrolled: 2-line block ×6, first 2 shown]
	s_waitcnt vmcnt(0)
	buffer_store_dword v124, v1, s[0:3], 0 offen
.LBB120_390:
	global_load_dword v0, v0, s[12:13] offset:152
	s_waitcnt vmcnt(0)
	v_add_nc_u32_e32 v0, -1, v0
	v_cmp_eq_u32_e32 vcc_lo, 38, v0
	s_cbranch_vccnz .LBB120_392
; %bb.391:
	v_lshlrev_b32_e32 v0, 4, v0
	v_mov_b32_e32 v1, s30
	v_add_nc_u32_e32 v0, 16, v0
	s_clause 0x7
	buffer_load_dword v2, v0, s[0:3], 0 offen
	buffer_load_dword v3, v0, s[0:3], 0 offen offset:4
	buffer_load_dword v4, v0, s[0:3], 0 offen offset:8
	;; [unrolled: 1-line block ×6, first 2 shown]
	buffer_load_dword v123, v1, s[0:3], 0 offen
	s_waitcnt vmcnt(7)
	buffer_store_dword v2, v1, s[0:3], 0 offen
	s_waitcnt vmcnt(6)
	buffer_store_dword v3, v1, s[0:3], 0 offen offset:4
	s_waitcnt vmcnt(5)
	buffer_store_dword v4, v1, s[0:3], 0 offen offset:8
	;; [unrolled: 2-line block ×6, first 2 shown]
	s_waitcnt vmcnt(0)
	buffer_store_dword v123, v0, s[0:3], 0 offen
.LBB120_392:
	v_mov_b32_e32 v0, 0
	global_load_dword v1, v0, s[12:13] offset:148
	s_waitcnt vmcnt(0)
	v_add_nc_u32_e32 v1, -1, v1
	v_cmp_eq_u32_e32 vcc_lo, 37, v1
	s_cbranch_vccnz .LBB120_394
; %bb.393:
	v_lshlrev_b32_e32 v1, 4, v1
	v_mov_b32_e32 v2, s31
	v_add_nc_u32_e32 v1, 16, v1
	s_clause 0x7
	buffer_load_dword v3, v1, s[0:3], 0 offen
	buffer_load_dword v4, v1, s[0:3], 0 offen offset:4
	buffer_load_dword v5, v1, s[0:3], 0 offen offset:8
	;; [unrolled: 1-line block ×6, first 2 shown]
	buffer_load_dword v124, v2, s[0:3], 0 offen
	s_waitcnt vmcnt(7)
	buffer_store_dword v3, v2, s[0:3], 0 offen
	s_waitcnt vmcnt(6)
	buffer_store_dword v4, v2, s[0:3], 0 offen offset:4
	s_waitcnt vmcnt(5)
	buffer_store_dword v5, v2, s[0:3], 0 offen offset:8
	;; [unrolled: 2-line block ×6, first 2 shown]
	s_waitcnt vmcnt(0)
	buffer_store_dword v124, v1, s[0:3], 0 offen
.LBB120_394:
	global_load_dword v0, v0, s[12:13] offset:144
	s_waitcnt vmcnt(0)
	v_add_nc_u32_e32 v0, -1, v0
	v_cmp_eq_u32_e32 vcc_lo, 36, v0
	s_cbranch_vccnz .LBB120_396
; %bb.395:
	v_lshlrev_b32_e32 v0, 4, v0
	v_mov_b32_e32 v1, s33
	v_add_nc_u32_e32 v0, 16, v0
	s_clause 0x7
	buffer_load_dword v2, v0, s[0:3], 0 offen
	buffer_load_dword v3, v0, s[0:3], 0 offen offset:4
	buffer_load_dword v4, v0, s[0:3], 0 offen offset:8
	;; [unrolled: 1-line block ×6, first 2 shown]
	buffer_load_dword v123, v1, s[0:3], 0 offen
	s_waitcnt vmcnt(7)
	buffer_store_dword v2, v1, s[0:3], 0 offen
	s_waitcnt vmcnt(6)
	buffer_store_dword v3, v1, s[0:3], 0 offen offset:4
	s_waitcnt vmcnt(5)
	buffer_store_dword v4, v1, s[0:3], 0 offen offset:8
	;; [unrolled: 2-line block ×6, first 2 shown]
	s_waitcnt vmcnt(0)
	buffer_store_dword v123, v0, s[0:3], 0 offen
.LBB120_396:
	v_mov_b32_e32 v0, 0
	global_load_dword v1, v0, s[12:13] offset:140
	s_waitcnt vmcnt(0)
	v_add_nc_u32_e32 v1, -1, v1
	v_cmp_eq_u32_e32 vcc_lo, 35, v1
	s_cbranch_vccnz .LBB120_398
; %bb.397:
	v_lshlrev_b32_e32 v1, 4, v1
	v_mov_b32_e32 v2, s34
	v_add_nc_u32_e32 v1, 16, v1
	s_clause 0x7
	buffer_load_dword v3, v1, s[0:3], 0 offen
	buffer_load_dword v4, v1, s[0:3], 0 offen offset:4
	buffer_load_dword v5, v1, s[0:3], 0 offen offset:8
	;; [unrolled: 1-line block ×6, first 2 shown]
	buffer_load_dword v124, v2, s[0:3], 0 offen
	s_waitcnt vmcnt(7)
	buffer_store_dword v3, v2, s[0:3], 0 offen
	s_waitcnt vmcnt(6)
	buffer_store_dword v4, v2, s[0:3], 0 offen offset:4
	s_waitcnt vmcnt(5)
	buffer_store_dword v5, v2, s[0:3], 0 offen offset:8
	;; [unrolled: 2-line block ×6, first 2 shown]
	s_waitcnt vmcnt(0)
	buffer_store_dword v124, v1, s[0:3], 0 offen
.LBB120_398:
	global_load_dword v0, v0, s[12:13] offset:136
	s_waitcnt vmcnt(0)
	v_add_nc_u32_e32 v0, -1, v0
	v_cmp_eq_u32_e32 vcc_lo, 34, v0
	s_cbranch_vccnz .LBB120_400
; %bb.399:
	v_lshlrev_b32_e32 v0, 4, v0
	v_mov_b32_e32 v1, s35
	v_add_nc_u32_e32 v0, 16, v0
	s_clause 0x7
	buffer_load_dword v2, v0, s[0:3], 0 offen
	buffer_load_dword v3, v0, s[0:3], 0 offen offset:4
	buffer_load_dword v4, v0, s[0:3], 0 offen offset:8
	;; [unrolled: 1-line block ×6, first 2 shown]
	buffer_load_dword v123, v1, s[0:3], 0 offen
	s_waitcnt vmcnt(7)
	buffer_store_dword v2, v1, s[0:3], 0 offen
	s_waitcnt vmcnt(6)
	buffer_store_dword v3, v1, s[0:3], 0 offen offset:4
	s_waitcnt vmcnt(5)
	buffer_store_dword v4, v1, s[0:3], 0 offen offset:8
	s_waitcnt vmcnt(4)
	buffer_store_dword v5, v1, s[0:3], 0 offen offset:12
	s_waitcnt vmcnt(3)
	buffer_store_dword v6, v0, s[0:3], 0 offen offset:12
	s_waitcnt vmcnt(2)
	buffer_store_dword v7, v0, s[0:3], 0 offen offset:8
	s_waitcnt vmcnt(1)
	buffer_store_dword v8, v0, s[0:3], 0 offen offset:4
	s_waitcnt vmcnt(0)
	buffer_store_dword v123, v0, s[0:3], 0 offen
.LBB120_400:
	v_mov_b32_e32 v0, 0
	global_load_dword v1, v0, s[12:13] offset:132
	s_waitcnt vmcnt(0)
	v_add_nc_u32_e32 v1, -1, v1
	v_cmp_eq_u32_e32 vcc_lo, 33, v1
	s_cbranch_vccnz .LBB120_402
; %bb.401:
	v_lshlrev_b32_e32 v1, 4, v1
	v_mov_b32_e32 v2, s36
	v_add_nc_u32_e32 v1, 16, v1
	s_clause 0x7
	buffer_load_dword v3, v1, s[0:3], 0 offen
	buffer_load_dword v4, v1, s[0:3], 0 offen offset:4
	buffer_load_dword v5, v1, s[0:3], 0 offen offset:8
	;; [unrolled: 1-line block ×6, first 2 shown]
	buffer_load_dword v124, v2, s[0:3], 0 offen
	s_waitcnt vmcnt(7)
	buffer_store_dword v3, v2, s[0:3], 0 offen
	s_waitcnt vmcnt(6)
	buffer_store_dword v4, v2, s[0:3], 0 offen offset:4
	s_waitcnt vmcnt(5)
	buffer_store_dword v5, v2, s[0:3], 0 offen offset:8
	;; [unrolled: 2-line block ×6, first 2 shown]
	s_waitcnt vmcnt(0)
	buffer_store_dword v124, v1, s[0:3], 0 offen
.LBB120_402:
	global_load_dword v0, v0, s[12:13] offset:128
	s_waitcnt vmcnt(0)
	v_add_nc_u32_e32 v0, -1, v0
	v_cmp_eq_u32_e32 vcc_lo, 32, v0
	s_cbranch_vccnz .LBB120_404
; %bb.403:
	v_lshlrev_b32_e32 v0, 4, v0
	v_mov_b32_e32 v1, s37
	v_add_nc_u32_e32 v0, 16, v0
	s_clause 0x7
	buffer_load_dword v2, v0, s[0:3], 0 offen
	buffer_load_dword v3, v0, s[0:3], 0 offen offset:4
	buffer_load_dword v4, v0, s[0:3], 0 offen offset:8
	;; [unrolled: 1-line block ×6, first 2 shown]
	buffer_load_dword v123, v1, s[0:3], 0 offen
	s_waitcnt vmcnt(7)
	buffer_store_dword v2, v1, s[0:3], 0 offen
	s_waitcnt vmcnt(6)
	buffer_store_dword v3, v1, s[0:3], 0 offen offset:4
	s_waitcnt vmcnt(5)
	buffer_store_dword v4, v1, s[0:3], 0 offen offset:8
	;; [unrolled: 2-line block ×6, first 2 shown]
	s_waitcnt vmcnt(0)
	buffer_store_dword v123, v0, s[0:3], 0 offen
.LBB120_404:
	v_mov_b32_e32 v0, 0
	global_load_dword v1, v0, s[12:13] offset:124
	s_waitcnt vmcnt(0)
	v_add_nc_u32_e32 v1, -1, v1
	v_cmp_eq_u32_e32 vcc_lo, 31, v1
	s_cbranch_vccnz .LBB120_406
; %bb.405:
	v_lshlrev_b32_e32 v1, 4, v1
	v_mov_b32_e32 v2, s38
	v_add_nc_u32_e32 v1, 16, v1
	s_clause 0x7
	buffer_load_dword v3, v1, s[0:3], 0 offen
	buffer_load_dword v4, v1, s[0:3], 0 offen offset:4
	buffer_load_dword v5, v1, s[0:3], 0 offen offset:8
	;; [unrolled: 1-line block ×6, first 2 shown]
	buffer_load_dword v124, v2, s[0:3], 0 offen
	s_waitcnt vmcnt(7)
	buffer_store_dword v3, v2, s[0:3], 0 offen
	s_waitcnt vmcnt(6)
	buffer_store_dword v4, v2, s[0:3], 0 offen offset:4
	s_waitcnt vmcnt(5)
	buffer_store_dword v5, v2, s[0:3], 0 offen offset:8
	;; [unrolled: 2-line block ×6, first 2 shown]
	s_waitcnt vmcnt(0)
	buffer_store_dword v124, v1, s[0:3], 0 offen
.LBB120_406:
	global_load_dword v0, v0, s[12:13] offset:120
	s_waitcnt vmcnt(0)
	v_add_nc_u32_e32 v0, -1, v0
	v_cmp_eq_u32_e32 vcc_lo, 30, v0
	s_cbranch_vccnz .LBB120_408
; %bb.407:
	v_lshlrev_b32_e32 v0, 4, v0
	v_mov_b32_e32 v1, s39
	v_add_nc_u32_e32 v0, 16, v0
	s_clause 0x7
	buffer_load_dword v2, v0, s[0:3], 0 offen
	buffer_load_dword v3, v0, s[0:3], 0 offen offset:4
	buffer_load_dword v4, v0, s[0:3], 0 offen offset:8
	;; [unrolled: 1-line block ×6, first 2 shown]
	buffer_load_dword v123, v1, s[0:3], 0 offen
	s_waitcnt vmcnt(7)
	buffer_store_dword v2, v1, s[0:3], 0 offen
	s_waitcnt vmcnt(6)
	buffer_store_dword v3, v1, s[0:3], 0 offen offset:4
	s_waitcnt vmcnt(5)
	buffer_store_dword v4, v1, s[0:3], 0 offen offset:8
	;; [unrolled: 2-line block ×6, first 2 shown]
	s_waitcnt vmcnt(0)
	buffer_store_dword v123, v0, s[0:3], 0 offen
.LBB120_408:
	v_mov_b32_e32 v0, 0
	global_load_dword v1, v0, s[12:13] offset:116
	s_waitcnt vmcnt(0)
	v_add_nc_u32_e32 v1, -1, v1
	v_cmp_eq_u32_e32 vcc_lo, 29, v1
	s_cbranch_vccnz .LBB120_410
; %bb.409:
	v_lshlrev_b32_e32 v1, 4, v1
	v_mov_b32_e32 v2, s40
	v_add_nc_u32_e32 v1, 16, v1
	s_clause 0x7
	buffer_load_dword v3, v1, s[0:3], 0 offen
	buffer_load_dword v4, v1, s[0:3], 0 offen offset:4
	buffer_load_dword v5, v1, s[0:3], 0 offen offset:8
	;; [unrolled: 1-line block ×6, first 2 shown]
	buffer_load_dword v124, v2, s[0:3], 0 offen
	s_waitcnt vmcnt(7)
	buffer_store_dword v3, v2, s[0:3], 0 offen
	s_waitcnt vmcnt(6)
	buffer_store_dword v4, v2, s[0:3], 0 offen offset:4
	s_waitcnt vmcnt(5)
	buffer_store_dword v5, v2, s[0:3], 0 offen offset:8
	;; [unrolled: 2-line block ×6, first 2 shown]
	s_waitcnt vmcnt(0)
	buffer_store_dword v124, v1, s[0:3], 0 offen
.LBB120_410:
	global_load_dword v0, v0, s[12:13] offset:112
	s_waitcnt vmcnt(0)
	v_add_nc_u32_e32 v0, -1, v0
	v_cmp_eq_u32_e32 vcc_lo, 28, v0
	s_cbranch_vccnz .LBB120_412
; %bb.411:
	v_lshlrev_b32_e32 v0, 4, v0
	v_mov_b32_e32 v1, s41
	v_add_nc_u32_e32 v0, 16, v0
	s_clause 0x7
	buffer_load_dword v2, v0, s[0:3], 0 offen
	buffer_load_dword v3, v0, s[0:3], 0 offen offset:4
	buffer_load_dword v4, v0, s[0:3], 0 offen offset:8
	;; [unrolled: 1-line block ×6, first 2 shown]
	buffer_load_dword v123, v1, s[0:3], 0 offen
	s_waitcnt vmcnt(7)
	buffer_store_dword v2, v1, s[0:3], 0 offen
	s_waitcnt vmcnt(6)
	buffer_store_dword v3, v1, s[0:3], 0 offen offset:4
	s_waitcnt vmcnt(5)
	buffer_store_dword v4, v1, s[0:3], 0 offen offset:8
	;; [unrolled: 2-line block ×6, first 2 shown]
	s_waitcnt vmcnt(0)
	buffer_store_dword v123, v0, s[0:3], 0 offen
.LBB120_412:
	v_mov_b32_e32 v0, 0
	global_load_dword v1, v0, s[12:13] offset:108
	s_waitcnt vmcnt(0)
	v_add_nc_u32_e32 v1, -1, v1
	v_cmp_eq_u32_e32 vcc_lo, 27, v1
	s_cbranch_vccnz .LBB120_414
; %bb.413:
	v_lshlrev_b32_e32 v1, 4, v1
	v_mov_b32_e32 v2, s42
	v_add_nc_u32_e32 v1, 16, v1
	s_clause 0x7
	buffer_load_dword v3, v1, s[0:3], 0 offen
	buffer_load_dword v4, v1, s[0:3], 0 offen offset:4
	buffer_load_dword v5, v1, s[0:3], 0 offen offset:8
	buffer_load_dword v6, v1, s[0:3], 0 offen offset:12
	buffer_load_dword v7, v2, s[0:3], 0 offen offset:12
	buffer_load_dword v8, v2, s[0:3], 0 offen offset:8
	buffer_load_dword v123, v2, s[0:3], 0 offen offset:4
	buffer_load_dword v124, v2, s[0:3], 0 offen
	s_waitcnt vmcnt(7)
	buffer_store_dword v3, v2, s[0:3], 0 offen
	s_waitcnt vmcnt(6)
	buffer_store_dword v4, v2, s[0:3], 0 offen offset:4
	s_waitcnt vmcnt(5)
	buffer_store_dword v5, v2, s[0:3], 0 offen offset:8
	;; [unrolled: 2-line block ×6, first 2 shown]
	s_waitcnt vmcnt(0)
	buffer_store_dword v124, v1, s[0:3], 0 offen
.LBB120_414:
	global_load_dword v0, v0, s[12:13] offset:104
	s_waitcnt vmcnt(0)
	v_add_nc_u32_e32 v0, -1, v0
	v_cmp_eq_u32_e32 vcc_lo, 26, v0
	s_cbranch_vccnz .LBB120_416
; %bb.415:
	v_lshlrev_b32_e32 v0, 4, v0
	v_mov_b32_e32 v1, s43
	v_add_nc_u32_e32 v0, 16, v0
	s_clause 0x7
	buffer_load_dword v2, v0, s[0:3], 0 offen
	buffer_load_dword v3, v0, s[0:3], 0 offen offset:4
	buffer_load_dword v4, v0, s[0:3], 0 offen offset:8
	;; [unrolled: 1-line block ×6, first 2 shown]
	buffer_load_dword v123, v1, s[0:3], 0 offen
	s_waitcnt vmcnt(7)
	buffer_store_dword v2, v1, s[0:3], 0 offen
	s_waitcnt vmcnt(6)
	buffer_store_dword v3, v1, s[0:3], 0 offen offset:4
	s_waitcnt vmcnt(5)
	buffer_store_dword v4, v1, s[0:3], 0 offen offset:8
	;; [unrolled: 2-line block ×6, first 2 shown]
	s_waitcnt vmcnt(0)
	buffer_store_dword v123, v0, s[0:3], 0 offen
.LBB120_416:
	v_mov_b32_e32 v0, 0
	global_load_dword v1, v0, s[12:13] offset:100
	s_waitcnt vmcnt(0)
	v_add_nc_u32_e32 v1, -1, v1
	v_cmp_eq_u32_e32 vcc_lo, 25, v1
	s_cbranch_vccnz .LBB120_418
; %bb.417:
	v_lshlrev_b32_e32 v1, 4, v1
	v_mov_b32_e32 v2, s44
	v_add_nc_u32_e32 v1, 16, v1
	s_clause 0x7
	buffer_load_dword v3, v1, s[0:3], 0 offen
	buffer_load_dword v4, v1, s[0:3], 0 offen offset:4
	buffer_load_dword v5, v1, s[0:3], 0 offen offset:8
	;; [unrolled: 1-line block ×6, first 2 shown]
	buffer_load_dword v124, v2, s[0:3], 0 offen
	s_waitcnt vmcnt(7)
	buffer_store_dword v3, v2, s[0:3], 0 offen
	s_waitcnt vmcnt(6)
	buffer_store_dword v4, v2, s[0:3], 0 offen offset:4
	s_waitcnt vmcnt(5)
	buffer_store_dword v5, v2, s[0:3], 0 offen offset:8
	;; [unrolled: 2-line block ×6, first 2 shown]
	s_waitcnt vmcnt(0)
	buffer_store_dword v124, v1, s[0:3], 0 offen
.LBB120_418:
	global_load_dword v0, v0, s[12:13] offset:96
	s_waitcnt vmcnt(0)
	v_add_nc_u32_e32 v0, -1, v0
	v_cmp_eq_u32_e32 vcc_lo, 24, v0
	s_cbranch_vccnz .LBB120_420
; %bb.419:
	v_lshlrev_b32_e32 v0, 4, v0
	v_mov_b32_e32 v1, s45
	v_add_nc_u32_e32 v0, 16, v0
	s_clause 0x7
	buffer_load_dword v2, v0, s[0:3], 0 offen
	buffer_load_dword v3, v0, s[0:3], 0 offen offset:4
	buffer_load_dword v4, v0, s[0:3], 0 offen offset:8
	;; [unrolled: 1-line block ×6, first 2 shown]
	buffer_load_dword v123, v1, s[0:3], 0 offen
	s_waitcnt vmcnt(7)
	buffer_store_dword v2, v1, s[0:3], 0 offen
	s_waitcnt vmcnt(6)
	buffer_store_dword v3, v1, s[0:3], 0 offen offset:4
	s_waitcnt vmcnt(5)
	buffer_store_dword v4, v1, s[0:3], 0 offen offset:8
	;; [unrolled: 2-line block ×6, first 2 shown]
	s_waitcnt vmcnt(0)
	buffer_store_dword v123, v0, s[0:3], 0 offen
.LBB120_420:
	v_mov_b32_e32 v0, 0
	global_load_dword v1, v0, s[12:13] offset:92
	s_waitcnt vmcnt(0)
	v_add_nc_u32_e32 v1, -1, v1
	v_cmp_eq_u32_e32 vcc_lo, 23, v1
	s_cbranch_vccnz .LBB120_422
; %bb.421:
	v_lshlrev_b32_e32 v1, 4, v1
	v_mov_b32_e32 v2, s46
	v_add_nc_u32_e32 v1, 16, v1
	s_clause 0x7
	buffer_load_dword v3, v1, s[0:3], 0 offen
	buffer_load_dword v4, v1, s[0:3], 0 offen offset:4
	buffer_load_dword v5, v1, s[0:3], 0 offen offset:8
	;; [unrolled: 1-line block ×6, first 2 shown]
	buffer_load_dword v124, v2, s[0:3], 0 offen
	s_waitcnt vmcnt(7)
	buffer_store_dword v3, v2, s[0:3], 0 offen
	s_waitcnt vmcnt(6)
	buffer_store_dword v4, v2, s[0:3], 0 offen offset:4
	s_waitcnt vmcnt(5)
	buffer_store_dword v5, v2, s[0:3], 0 offen offset:8
	;; [unrolled: 2-line block ×6, first 2 shown]
	s_waitcnt vmcnt(0)
	buffer_store_dword v124, v1, s[0:3], 0 offen
.LBB120_422:
	global_load_dword v0, v0, s[12:13] offset:88
	s_waitcnt vmcnt(0)
	v_add_nc_u32_e32 v0, -1, v0
	v_cmp_eq_u32_e32 vcc_lo, 22, v0
	s_cbranch_vccnz .LBB120_424
; %bb.423:
	v_lshlrev_b32_e32 v0, 4, v0
	v_mov_b32_e32 v1, s47
	v_add_nc_u32_e32 v0, 16, v0
	s_clause 0x7
	buffer_load_dword v2, v0, s[0:3], 0 offen
	buffer_load_dword v3, v0, s[0:3], 0 offen offset:4
	buffer_load_dword v4, v0, s[0:3], 0 offen offset:8
	;; [unrolled: 1-line block ×6, first 2 shown]
	buffer_load_dword v123, v1, s[0:3], 0 offen
	s_waitcnt vmcnt(7)
	buffer_store_dword v2, v1, s[0:3], 0 offen
	s_waitcnt vmcnt(6)
	buffer_store_dword v3, v1, s[0:3], 0 offen offset:4
	s_waitcnt vmcnt(5)
	buffer_store_dword v4, v1, s[0:3], 0 offen offset:8
	;; [unrolled: 2-line block ×6, first 2 shown]
	s_waitcnt vmcnt(0)
	buffer_store_dword v123, v0, s[0:3], 0 offen
.LBB120_424:
	v_mov_b32_e32 v0, 0
	global_load_dword v1, v0, s[12:13] offset:84
	s_waitcnt vmcnt(0)
	v_add_nc_u32_e32 v1, -1, v1
	v_cmp_eq_u32_e32 vcc_lo, 21, v1
	s_cbranch_vccnz .LBB120_426
; %bb.425:
	v_lshlrev_b32_e32 v1, 4, v1
	v_mov_b32_e32 v2, s48
	v_add_nc_u32_e32 v1, 16, v1
	s_clause 0x7
	buffer_load_dword v3, v1, s[0:3], 0 offen
	buffer_load_dword v4, v1, s[0:3], 0 offen offset:4
	buffer_load_dword v5, v1, s[0:3], 0 offen offset:8
	;; [unrolled: 1-line block ×6, first 2 shown]
	buffer_load_dword v124, v2, s[0:3], 0 offen
	s_waitcnt vmcnt(7)
	buffer_store_dword v3, v2, s[0:3], 0 offen
	s_waitcnt vmcnt(6)
	buffer_store_dword v4, v2, s[0:3], 0 offen offset:4
	s_waitcnt vmcnt(5)
	buffer_store_dword v5, v2, s[0:3], 0 offen offset:8
	;; [unrolled: 2-line block ×6, first 2 shown]
	s_waitcnt vmcnt(0)
	buffer_store_dword v124, v1, s[0:3], 0 offen
.LBB120_426:
	global_load_dword v0, v0, s[12:13] offset:80
	s_waitcnt vmcnt(0)
	v_add_nc_u32_e32 v0, -1, v0
	v_cmp_eq_u32_e32 vcc_lo, 20, v0
	s_cbranch_vccnz .LBB120_428
; %bb.427:
	v_lshlrev_b32_e32 v0, 4, v0
	v_mov_b32_e32 v1, s49
	v_add_nc_u32_e32 v0, 16, v0
	s_clause 0x7
	buffer_load_dword v2, v0, s[0:3], 0 offen
	buffer_load_dword v3, v0, s[0:3], 0 offen offset:4
	buffer_load_dword v4, v0, s[0:3], 0 offen offset:8
	;; [unrolled: 1-line block ×6, first 2 shown]
	buffer_load_dword v123, v1, s[0:3], 0 offen
	s_waitcnt vmcnt(7)
	buffer_store_dword v2, v1, s[0:3], 0 offen
	s_waitcnt vmcnt(6)
	buffer_store_dword v3, v1, s[0:3], 0 offen offset:4
	s_waitcnt vmcnt(5)
	buffer_store_dword v4, v1, s[0:3], 0 offen offset:8
	;; [unrolled: 2-line block ×6, first 2 shown]
	s_waitcnt vmcnt(0)
	buffer_store_dword v123, v0, s[0:3], 0 offen
.LBB120_428:
	v_mov_b32_e32 v0, 0
	global_load_dword v1, v0, s[12:13] offset:76
	s_waitcnt vmcnt(0)
	v_add_nc_u32_e32 v1, -1, v1
	v_cmp_eq_u32_e32 vcc_lo, 19, v1
	s_cbranch_vccnz .LBB120_430
; %bb.429:
	v_lshlrev_b32_e32 v1, 4, v1
	v_mov_b32_e32 v2, s50
	v_add_nc_u32_e32 v1, 16, v1
	s_clause 0x7
	buffer_load_dword v3, v1, s[0:3], 0 offen
	buffer_load_dword v4, v1, s[0:3], 0 offen offset:4
	buffer_load_dword v5, v1, s[0:3], 0 offen offset:8
	;; [unrolled: 1-line block ×6, first 2 shown]
	buffer_load_dword v124, v2, s[0:3], 0 offen
	s_waitcnt vmcnt(7)
	buffer_store_dword v3, v2, s[0:3], 0 offen
	s_waitcnt vmcnt(6)
	buffer_store_dword v4, v2, s[0:3], 0 offen offset:4
	s_waitcnt vmcnt(5)
	buffer_store_dword v5, v2, s[0:3], 0 offen offset:8
	;; [unrolled: 2-line block ×6, first 2 shown]
	s_waitcnt vmcnt(0)
	buffer_store_dword v124, v1, s[0:3], 0 offen
.LBB120_430:
	global_load_dword v0, v0, s[12:13] offset:72
	s_waitcnt vmcnt(0)
	v_add_nc_u32_e32 v0, -1, v0
	v_cmp_eq_u32_e32 vcc_lo, 18, v0
	s_cbranch_vccnz .LBB120_432
; %bb.431:
	v_lshlrev_b32_e32 v0, 4, v0
	v_mov_b32_e32 v1, s51
	v_add_nc_u32_e32 v0, 16, v0
	s_clause 0x7
	buffer_load_dword v2, v0, s[0:3], 0 offen
	buffer_load_dword v3, v0, s[0:3], 0 offen offset:4
	buffer_load_dword v4, v0, s[0:3], 0 offen offset:8
	;; [unrolled: 1-line block ×6, first 2 shown]
	buffer_load_dword v123, v1, s[0:3], 0 offen
	s_waitcnt vmcnt(7)
	buffer_store_dword v2, v1, s[0:3], 0 offen
	s_waitcnt vmcnt(6)
	buffer_store_dword v3, v1, s[0:3], 0 offen offset:4
	s_waitcnt vmcnt(5)
	buffer_store_dword v4, v1, s[0:3], 0 offen offset:8
	;; [unrolled: 2-line block ×6, first 2 shown]
	s_waitcnt vmcnt(0)
	buffer_store_dword v123, v0, s[0:3], 0 offen
.LBB120_432:
	v_mov_b32_e32 v0, 0
	global_load_dword v1, v0, s[12:13] offset:68
	s_waitcnt vmcnt(0)
	v_add_nc_u32_e32 v1, -1, v1
	v_cmp_eq_u32_e32 vcc_lo, 17, v1
	s_cbranch_vccnz .LBB120_434
; %bb.433:
	v_lshlrev_b32_e32 v1, 4, v1
	v_mov_b32_e32 v2, s52
	v_add_nc_u32_e32 v1, 16, v1
	s_clause 0x7
	buffer_load_dword v3, v1, s[0:3], 0 offen
	buffer_load_dword v4, v1, s[0:3], 0 offen offset:4
	buffer_load_dword v5, v1, s[0:3], 0 offen offset:8
	buffer_load_dword v6, v1, s[0:3], 0 offen offset:12
	buffer_load_dword v7, v2, s[0:3], 0 offen offset:12
	buffer_load_dword v8, v2, s[0:3], 0 offen offset:8
	buffer_load_dword v123, v2, s[0:3], 0 offen offset:4
	buffer_load_dword v124, v2, s[0:3], 0 offen
	s_waitcnt vmcnt(7)
	buffer_store_dword v3, v2, s[0:3], 0 offen
	s_waitcnt vmcnt(6)
	buffer_store_dword v4, v2, s[0:3], 0 offen offset:4
	s_waitcnt vmcnt(5)
	buffer_store_dword v5, v2, s[0:3], 0 offen offset:8
	;; [unrolled: 2-line block ×6, first 2 shown]
	s_waitcnt vmcnt(0)
	buffer_store_dword v124, v1, s[0:3], 0 offen
.LBB120_434:
	global_load_dword v0, v0, s[12:13] offset:64
	s_waitcnt vmcnt(0)
	v_add_nc_u32_e32 v0, -1, v0
	v_cmp_eq_u32_e32 vcc_lo, 16, v0
	s_cbranch_vccnz .LBB120_436
; %bb.435:
	v_lshlrev_b32_e32 v0, 4, v0
	v_mov_b32_e32 v1, s53
	v_add_nc_u32_e32 v0, 16, v0
	s_clause 0x7
	buffer_load_dword v2, v0, s[0:3], 0 offen
	buffer_load_dword v3, v0, s[0:3], 0 offen offset:4
	buffer_load_dword v4, v0, s[0:3], 0 offen offset:8
	;; [unrolled: 1-line block ×6, first 2 shown]
	buffer_load_dword v123, v1, s[0:3], 0 offen
	s_waitcnt vmcnt(7)
	buffer_store_dword v2, v1, s[0:3], 0 offen
	s_waitcnt vmcnt(6)
	buffer_store_dword v3, v1, s[0:3], 0 offen offset:4
	s_waitcnt vmcnt(5)
	buffer_store_dword v4, v1, s[0:3], 0 offen offset:8
	;; [unrolled: 2-line block ×6, first 2 shown]
	s_waitcnt vmcnt(0)
	buffer_store_dword v123, v0, s[0:3], 0 offen
.LBB120_436:
	v_mov_b32_e32 v0, 0
	global_load_dword v1, v0, s[12:13] offset:60
	s_waitcnt vmcnt(0)
	v_add_nc_u32_e32 v1, -1, v1
	v_cmp_eq_u32_e32 vcc_lo, 15, v1
	s_cbranch_vccnz .LBB120_438
; %bb.437:
	v_lshlrev_b32_e32 v1, 4, v1
	v_mov_b32_e32 v2, s54
	v_add_nc_u32_e32 v1, 16, v1
	s_clause 0x7
	buffer_load_dword v3, v1, s[0:3], 0 offen
	buffer_load_dword v4, v1, s[0:3], 0 offen offset:4
	buffer_load_dword v5, v1, s[0:3], 0 offen offset:8
	buffer_load_dword v6, v1, s[0:3], 0 offen offset:12
	buffer_load_dword v7, v2, s[0:3], 0 offen offset:12
	buffer_load_dword v8, v2, s[0:3], 0 offen offset:8
	buffer_load_dword v123, v2, s[0:3], 0 offen offset:4
	buffer_load_dword v124, v2, s[0:3], 0 offen
	s_waitcnt vmcnt(7)
	buffer_store_dword v3, v2, s[0:3], 0 offen
	s_waitcnt vmcnt(6)
	buffer_store_dword v4, v2, s[0:3], 0 offen offset:4
	s_waitcnt vmcnt(5)
	buffer_store_dword v5, v2, s[0:3], 0 offen offset:8
	;; [unrolled: 2-line block ×6, first 2 shown]
	s_waitcnt vmcnt(0)
	buffer_store_dword v124, v1, s[0:3], 0 offen
.LBB120_438:
	global_load_dword v0, v0, s[12:13] offset:56
	s_waitcnt vmcnt(0)
	v_add_nc_u32_e32 v0, -1, v0
	v_cmp_eq_u32_e32 vcc_lo, 14, v0
	s_cbranch_vccnz .LBB120_440
; %bb.439:
	v_lshlrev_b32_e32 v0, 4, v0
	v_mov_b32_e32 v1, s55
	v_add_nc_u32_e32 v0, 16, v0
	s_clause 0x7
	buffer_load_dword v2, v0, s[0:3], 0 offen
	buffer_load_dword v3, v0, s[0:3], 0 offen offset:4
	buffer_load_dword v4, v0, s[0:3], 0 offen offset:8
	;; [unrolled: 1-line block ×6, first 2 shown]
	buffer_load_dword v123, v1, s[0:3], 0 offen
	s_waitcnt vmcnt(7)
	buffer_store_dword v2, v1, s[0:3], 0 offen
	s_waitcnt vmcnt(6)
	buffer_store_dword v3, v1, s[0:3], 0 offen offset:4
	s_waitcnt vmcnt(5)
	buffer_store_dword v4, v1, s[0:3], 0 offen offset:8
	;; [unrolled: 2-line block ×6, first 2 shown]
	s_waitcnt vmcnt(0)
	buffer_store_dword v123, v0, s[0:3], 0 offen
.LBB120_440:
	v_mov_b32_e32 v0, 0
	global_load_dword v1, v0, s[12:13] offset:52
	s_waitcnt vmcnt(0)
	v_add_nc_u32_e32 v1, -1, v1
	v_cmp_eq_u32_e32 vcc_lo, 13, v1
	s_cbranch_vccnz .LBB120_442
; %bb.441:
	v_lshlrev_b32_e32 v1, 4, v1
	v_mov_b32_e32 v2, s56
	v_add_nc_u32_e32 v1, 16, v1
	s_clause 0x7
	buffer_load_dword v3, v1, s[0:3], 0 offen
	buffer_load_dword v4, v1, s[0:3], 0 offen offset:4
	buffer_load_dword v5, v1, s[0:3], 0 offen offset:8
	;; [unrolled: 1-line block ×6, first 2 shown]
	buffer_load_dword v124, v2, s[0:3], 0 offen
	s_waitcnt vmcnt(7)
	buffer_store_dword v3, v2, s[0:3], 0 offen
	s_waitcnt vmcnt(6)
	buffer_store_dword v4, v2, s[0:3], 0 offen offset:4
	s_waitcnt vmcnt(5)
	buffer_store_dword v5, v2, s[0:3], 0 offen offset:8
	s_waitcnt vmcnt(4)
	buffer_store_dword v6, v2, s[0:3], 0 offen offset:12
	s_waitcnt vmcnt(3)
	buffer_store_dword v7, v1, s[0:3], 0 offen offset:12
	s_waitcnt vmcnt(2)
	buffer_store_dword v8, v1, s[0:3], 0 offen offset:8
	s_waitcnt vmcnt(1)
	buffer_store_dword v123, v1, s[0:3], 0 offen offset:4
	s_waitcnt vmcnt(0)
	buffer_store_dword v124, v1, s[0:3], 0 offen
.LBB120_442:
	global_load_dword v0, v0, s[12:13] offset:48
	s_waitcnt vmcnt(0)
	v_add_nc_u32_e32 v0, -1, v0
	v_cmp_eq_u32_e32 vcc_lo, 12, v0
	s_cbranch_vccnz .LBB120_444
; %bb.443:
	v_lshlrev_b32_e32 v0, 4, v0
	v_mov_b32_e32 v1, s57
	v_add_nc_u32_e32 v0, 16, v0
	s_clause 0x7
	buffer_load_dword v2, v0, s[0:3], 0 offen
	buffer_load_dword v3, v0, s[0:3], 0 offen offset:4
	buffer_load_dword v4, v0, s[0:3], 0 offen offset:8
	;; [unrolled: 1-line block ×6, first 2 shown]
	buffer_load_dword v123, v1, s[0:3], 0 offen
	s_waitcnt vmcnt(7)
	buffer_store_dword v2, v1, s[0:3], 0 offen
	s_waitcnt vmcnt(6)
	buffer_store_dword v3, v1, s[0:3], 0 offen offset:4
	s_waitcnt vmcnt(5)
	buffer_store_dword v4, v1, s[0:3], 0 offen offset:8
	;; [unrolled: 2-line block ×6, first 2 shown]
	s_waitcnt vmcnt(0)
	buffer_store_dword v123, v0, s[0:3], 0 offen
.LBB120_444:
	v_mov_b32_e32 v0, 0
	global_load_dword v1, v0, s[12:13] offset:44
	s_waitcnt vmcnt(0)
	v_add_nc_u32_e32 v1, -1, v1
	v_cmp_eq_u32_e32 vcc_lo, 11, v1
	s_cbranch_vccnz .LBB120_446
; %bb.445:
	v_lshlrev_b32_e32 v1, 4, v1
	v_mov_b32_e32 v2, s58
	v_add_nc_u32_e32 v1, 16, v1
	s_clause 0x7
	buffer_load_dword v3, v1, s[0:3], 0 offen
	buffer_load_dword v4, v1, s[0:3], 0 offen offset:4
	buffer_load_dword v5, v1, s[0:3], 0 offen offset:8
	;; [unrolled: 1-line block ×6, first 2 shown]
	buffer_load_dword v124, v2, s[0:3], 0 offen
	s_waitcnt vmcnt(7)
	buffer_store_dword v3, v2, s[0:3], 0 offen
	s_waitcnt vmcnt(6)
	buffer_store_dword v4, v2, s[0:3], 0 offen offset:4
	s_waitcnt vmcnt(5)
	buffer_store_dword v5, v2, s[0:3], 0 offen offset:8
	s_waitcnt vmcnt(4)
	buffer_store_dword v6, v2, s[0:3], 0 offen offset:12
	s_waitcnt vmcnt(3)
	buffer_store_dword v7, v1, s[0:3], 0 offen offset:12
	s_waitcnt vmcnt(2)
	buffer_store_dword v8, v1, s[0:3], 0 offen offset:8
	s_waitcnt vmcnt(1)
	buffer_store_dword v123, v1, s[0:3], 0 offen offset:4
	s_waitcnt vmcnt(0)
	buffer_store_dword v124, v1, s[0:3], 0 offen
.LBB120_446:
	global_load_dword v0, v0, s[12:13] offset:40
	s_waitcnt vmcnt(0)
	v_add_nc_u32_e32 v0, -1, v0
	v_cmp_eq_u32_e32 vcc_lo, 10, v0
	s_cbranch_vccnz .LBB120_448
; %bb.447:
	v_lshlrev_b32_e32 v0, 4, v0
	v_mov_b32_e32 v1, s59
	v_add_nc_u32_e32 v0, 16, v0
	s_clause 0x7
	buffer_load_dword v2, v0, s[0:3], 0 offen
	buffer_load_dword v3, v0, s[0:3], 0 offen offset:4
	buffer_load_dword v4, v0, s[0:3], 0 offen offset:8
	;; [unrolled: 1-line block ×6, first 2 shown]
	buffer_load_dword v123, v1, s[0:3], 0 offen
	s_waitcnt vmcnt(7)
	buffer_store_dword v2, v1, s[0:3], 0 offen
	s_waitcnt vmcnt(6)
	buffer_store_dword v3, v1, s[0:3], 0 offen offset:4
	s_waitcnt vmcnt(5)
	buffer_store_dword v4, v1, s[0:3], 0 offen offset:8
	s_waitcnt vmcnt(4)
	buffer_store_dword v5, v1, s[0:3], 0 offen offset:12
	s_waitcnt vmcnt(3)
	buffer_store_dword v6, v0, s[0:3], 0 offen offset:12
	s_waitcnt vmcnt(2)
	buffer_store_dword v7, v0, s[0:3], 0 offen offset:8
	s_waitcnt vmcnt(1)
	buffer_store_dword v8, v0, s[0:3], 0 offen offset:4
	s_waitcnt vmcnt(0)
	buffer_store_dword v123, v0, s[0:3], 0 offen
.LBB120_448:
	v_mov_b32_e32 v0, 0
	global_load_dword v1, v0, s[12:13] offset:36
	s_waitcnt vmcnt(0)
	v_add_nc_u32_e32 v1, -1, v1
	v_cmp_eq_u32_e32 vcc_lo, 9, v1
	s_cbranch_vccnz .LBB120_450
; %bb.449:
	v_lshlrev_b32_e32 v1, 4, v1
	v_mov_b32_e32 v2, s60
	v_add_nc_u32_e32 v1, 16, v1
	s_clause 0x7
	buffer_load_dword v3, v1, s[0:3], 0 offen
	buffer_load_dword v4, v1, s[0:3], 0 offen offset:4
	buffer_load_dword v5, v1, s[0:3], 0 offen offset:8
	;; [unrolled: 1-line block ×6, first 2 shown]
	buffer_load_dword v124, v2, s[0:3], 0 offen
	s_waitcnt vmcnt(7)
	buffer_store_dword v3, v2, s[0:3], 0 offen
	s_waitcnt vmcnt(6)
	buffer_store_dword v4, v2, s[0:3], 0 offen offset:4
	s_waitcnt vmcnt(5)
	buffer_store_dword v5, v2, s[0:3], 0 offen offset:8
	;; [unrolled: 2-line block ×6, first 2 shown]
	s_waitcnt vmcnt(0)
	buffer_store_dword v124, v1, s[0:3], 0 offen
.LBB120_450:
	global_load_dword v0, v0, s[12:13] offset:32
	s_waitcnt vmcnt(0)
	v_add_nc_u32_e32 v0, -1, v0
	v_cmp_eq_u32_e32 vcc_lo, 8, v0
	s_cbranch_vccnz .LBB120_452
; %bb.451:
	v_lshlrev_b32_e32 v0, 4, v0
	v_mov_b32_e32 v1, s61
	v_add_nc_u32_e32 v0, 16, v0
	s_clause 0x7
	buffer_load_dword v2, v0, s[0:3], 0 offen
	buffer_load_dword v3, v0, s[0:3], 0 offen offset:4
	buffer_load_dword v4, v0, s[0:3], 0 offen offset:8
	;; [unrolled: 1-line block ×6, first 2 shown]
	buffer_load_dword v123, v1, s[0:3], 0 offen
	s_waitcnt vmcnt(7)
	buffer_store_dword v2, v1, s[0:3], 0 offen
	s_waitcnt vmcnt(6)
	buffer_store_dword v3, v1, s[0:3], 0 offen offset:4
	s_waitcnt vmcnt(5)
	buffer_store_dword v4, v1, s[0:3], 0 offen offset:8
	;; [unrolled: 2-line block ×6, first 2 shown]
	s_waitcnt vmcnt(0)
	buffer_store_dword v123, v0, s[0:3], 0 offen
.LBB120_452:
	v_mov_b32_e32 v0, 0
	global_load_dword v1, v0, s[12:13] offset:28
	s_waitcnt vmcnt(0)
	v_add_nc_u32_e32 v1, -1, v1
	v_cmp_eq_u32_e32 vcc_lo, 7, v1
	s_cbranch_vccnz .LBB120_454
; %bb.453:
	v_lshlrev_b32_e32 v1, 4, v1
	v_mov_b32_e32 v2, s62
	v_add_nc_u32_e32 v1, 16, v1
	s_clause 0x7
	buffer_load_dword v3, v1, s[0:3], 0 offen
	buffer_load_dword v4, v1, s[0:3], 0 offen offset:4
	buffer_load_dword v5, v1, s[0:3], 0 offen offset:8
	;; [unrolled: 1-line block ×6, first 2 shown]
	buffer_load_dword v124, v2, s[0:3], 0 offen
	s_waitcnt vmcnt(7)
	buffer_store_dword v3, v2, s[0:3], 0 offen
	s_waitcnt vmcnt(6)
	buffer_store_dword v4, v2, s[0:3], 0 offen offset:4
	s_waitcnt vmcnt(5)
	buffer_store_dword v5, v2, s[0:3], 0 offen offset:8
	;; [unrolled: 2-line block ×6, first 2 shown]
	s_waitcnt vmcnt(0)
	buffer_store_dword v124, v1, s[0:3], 0 offen
.LBB120_454:
	global_load_dword v0, v0, s[12:13] offset:24
	s_waitcnt vmcnt(0)
	v_add_nc_u32_e32 v0, -1, v0
	v_cmp_eq_u32_e32 vcc_lo, 6, v0
	s_cbranch_vccnz .LBB120_456
; %bb.455:
	v_lshlrev_b32_e32 v0, 4, v0
	v_mov_b32_e32 v1, s63
	v_add_nc_u32_e32 v0, 16, v0
	s_clause 0x7
	buffer_load_dword v2, v0, s[0:3], 0 offen
	buffer_load_dword v3, v0, s[0:3], 0 offen offset:4
	buffer_load_dword v4, v0, s[0:3], 0 offen offset:8
	;; [unrolled: 1-line block ×6, first 2 shown]
	buffer_load_dword v123, v1, s[0:3], 0 offen
	s_waitcnt vmcnt(7)
	buffer_store_dword v2, v1, s[0:3], 0 offen
	s_waitcnt vmcnt(6)
	buffer_store_dword v3, v1, s[0:3], 0 offen offset:4
	s_waitcnt vmcnt(5)
	buffer_store_dword v4, v1, s[0:3], 0 offen offset:8
	;; [unrolled: 2-line block ×6, first 2 shown]
	s_waitcnt vmcnt(0)
	buffer_store_dword v123, v0, s[0:3], 0 offen
.LBB120_456:
	v_mov_b32_e32 v0, 0
	global_load_dword v1, v0, s[12:13] offset:20
	s_waitcnt vmcnt(0)
	v_add_nc_u32_e32 v1, -1, v1
	v_cmp_eq_u32_e32 vcc_lo, 5, v1
	s_cbranch_vccnz .LBB120_458
; %bb.457:
	v_lshlrev_b32_e32 v1, 4, v1
	v_mov_b32_e32 v2, s64
	v_add_nc_u32_e32 v1, 16, v1
	s_clause 0x7
	buffer_load_dword v3, v1, s[0:3], 0 offen
	buffer_load_dword v4, v1, s[0:3], 0 offen offset:4
	buffer_load_dword v5, v1, s[0:3], 0 offen offset:8
	;; [unrolled: 1-line block ×6, first 2 shown]
	buffer_load_dword v124, v2, s[0:3], 0 offen
	s_waitcnt vmcnt(7)
	buffer_store_dword v3, v2, s[0:3], 0 offen
	s_waitcnt vmcnt(6)
	buffer_store_dword v4, v2, s[0:3], 0 offen offset:4
	s_waitcnt vmcnt(5)
	buffer_store_dword v5, v2, s[0:3], 0 offen offset:8
	;; [unrolled: 2-line block ×6, first 2 shown]
	s_waitcnt vmcnt(0)
	buffer_store_dword v124, v1, s[0:3], 0 offen
.LBB120_458:
	global_load_dword v0, v0, s[12:13] offset:16
	s_waitcnt vmcnt(0)
	v_add_nc_u32_e32 v0, -1, v0
	v_cmp_eq_u32_e32 vcc_lo, 4, v0
	s_cbranch_vccnz .LBB120_460
; %bb.459:
	v_lshlrev_b32_e32 v0, 4, v0
	v_mov_b32_e32 v1, s65
	v_add_nc_u32_e32 v0, 16, v0
	s_clause 0x7
	buffer_load_dword v2, v0, s[0:3], 0 offen
	buffer_load_dword v3, v0, s[0:3], 0 offen offset:4
	buffer_load_dword v4, v0, s[0:3], 0 offen offset:8
	;; [unrolled: 1-line block ×6, first 2 shown]
	buffer_load_dword v123, v1, s[0:3], 0 offen
	s_waitcnt vmcnt(7)
	buffer_store_dword v2, v1, s[0:3], 0 offen
	s_waitcnt vmcnt(6)
	buffer_store_dword v3, v1, s[0:3], 0 offen offset:4
	s_waitcnt vmcnt(5)
	buffer_store_dword v4, v1, s[0:3], 0 offen offset:8
	;; [unrolled: 2-line block ×6, first 2 shown]
	s_waitcnt vmcnt(0)
	buffer_store_dword v123, v0, s[0:3], 0 offen
.LBB120_460:
	v_mov_b32_e32 v0, 0
	global_load_dword v1, v0, s[12:13] offset:12
	s_waitcnt vmcnt(0)
	v_add_nc_u32_e32 v1, -1, v1
	v_cmp_eq_u32_e32 vcc_lo, 3, v1
	s_cbranch_vccnz .LBB120_462
; %bb.461:
	v_lshlrev_b32_e32 v1, 4, v1
	v_mov_b32_e32 v2, s66
	v_add_nc_u32_e32 v1, 16, v1
	s_clause 0x7
	buffer_load_dword v3, v1, s[0:3], 0 offen
	buffer_load_dword v4, v1, s[0:3], 0 offen offset:4
	buffer_load_dword v5, v1, s[0:3], 0 offen offset:8
	;; [unrolled: 1-line block ×6, first 2 shown]
	buffer_load_dword v124, v2, s[0:3], 0 offen
	s_waitcnt vmcnt(7)
	buffer_store_dword v3, v2, s[0:3], 0 offen
	s_waitcnt vmcnt(6)
	buffer_store_dword v4, v2, s[0:3], 0 offen offset:4
	s_waitcnt vmcnt(5)
	buffer_store_dword v5, v2, s[0:3], 0 offen offset:8
	s_waitcnt vmcnt(4)
	buffer_store_dword v6, v2, s[0:3], 0 offen offset:12
	s_waitcnt vmcnt(3)
	buffer_store_dword v7, v1, s[0:3], 0 offen offset:12
	s_waitcnt vmcnt(2)
	buffer_store_dword v8, v1, s[0:3], 0 offen offset:8
	s_waitcnt vmcnt(1)
	buffer_store_dword v123, v1, s[0:3], 0 offen offset:4
	s_waitcnt vmcnt(0)
	buffer_store_dword v124, v1, s[0:3], 0 offen
.LBB120_462:
	global_load_dword v0, v0, s[12:13] offset:8
	s_waitcnt vmcnt(0)
	v_add_nc_u32_e32 v0, -1, v0
	v_cmp_eq_u32_e32 vcc_lo, 2, v0
	s_cbranch_vccnz .LBB120_464
; %bb.463:
	v_lshlrev_b32_e32 v0, 4, v0
	v_mov_b32_e32 v1, s67
	v_add_nc_u32_e32 v0, 16, v0
	s_clause 0x7
	buffer_load_dword v2, v0, s[0:3], 0 offen
	buffer_load_dword v3, v0, s[0:3], 0 offen offset:4
	buffer_load_dword v4, v0, s[0:3], 0 offen offset:8
	;; [unrolled: 1-line block ×6, first 2 shown]
	buffer_load_dword v123, v1, s[0:3], 0 offen
	s_waitcnt vmcnt(7)
	buffer_store_dword v2, v1, s[0:3], 0 offen
	s_waitcnt vmcnt(6)
	buffer_store_dword v3, v1, s[0:3], 0 offen offset:4
	s_waitcnt vmcnt(5)
	buffer_store_dword v4, v1, s[0:3], 0 offen offset:8
	;; [unrolled: 2-line block ×6, first 2 shown]
	s_waitcnt vmcnt(0)
	buffer_store_dword v123, v0, s[0:3], 0 offen
.LBB120_464:
	v_mov_b32_e32 v0, 0
	global_load_dword v1, v0, s[12:13] offset:4
	s_waitcnt vmcnt(0)
	v_add_nc_u32_e32 v1, -1, v1
	v_cmp_eq_u32_e32 vcc_lo, 1, v1
	s_cbranch_vccnz .LBB120_466
; %bb.465:
	v_lshlrev_b32_e32 v1, 4, v1
	v_mov_b32_e32 v2, s68
	v_add_nc_u32_e32 v1, 16, v1
	s_clause 0x7
	buffer_load_dword v3, v1, s[0:3], 0 offen
	buffer_load_dword v4, v1, s[0:3], 0 offen offset:4
	buffer_load_dword v5, v1, s[0:3], 0 offen offset:8
	;; [unrolled: 1-line block ×6, first 2 shown]
	buffer_load_dword v124, v2, s[0:3], 0 offen
	s_waitcnt vmcnt(7)
	buffer_store_dword v3, v2, s[0:3], 0 offen
	s_waitcnt vmcnt(6)
	buffer_store_dword v4, v2, s[0:3], 0 offen offset:4
	s_waitcnt vmcnt(5)
	buffer_store_dword v5, v2, s[0:3], 0 offen offset:8
	;; [unrolled: 2-line block ×6, first 2 shown]
	s_waitcnt vmcnt(0)
	buffer_store_dword v124, v1, s[0:3], 0 offen
.LBB120_466:
	global_load_dword v0, v0, s[12:13]
	s_waitcnt vmcnt(0)
	v_add_nc_u32_e32 v0, -1, v0
	v_cmp_eq_u32_e32 vcc_lo, 0, v0
	s_cbranch_vccnz .LBB120_468
; %bb.467:
	v_lshlrev_b32_e32 v0, 4, v0
	v_add_nc_u32_e32 v0, 16, v0
	s_clause 0x7
	buffer_load_dword v1, v0, s[0:3], 0 offen
	buffer_load_dword v2, v0, s[0:3], 0 offen offset:4
	buffer_load_dword v3, v0, s[0:3], 0 offen offset:8
	;; [unrolled: 1-line block ×3, first 2 shown]
	buffer_load_dword v5, off, s[0:3], 0 offset:28
	buffer_load_dword v6, off, s[0:3], 0 offset:24
	;; [unrolled: 1-line block ×4, first 2 shown]
	s_waitcnt vmcnt(7)
	buffer_store_dword v1, off, s[0:3], 0 offset:16
	s_waitcnt vmcnt(6)
	buffer_store_dword v2, off, s[0:3], 0 offset:20
	;; [unrolled: 2-line block ×4, first 2 shown]
	s_waitcnt vmcnt(3)
	buffer_store_dword v5, v0, s[0:3], 0 offen offset:12
	s_waitcnt vmcnt(2)
	buffer_store_dword v6, v0, s[0:3], 0 offen offset:8
	;; [unrolled: 2-line block ×3, first 2 shown]
	s_waitcnt vmcnt(0)
	buffer_store_dword v8, v0, s[0:3], 0 offen
.LBB120_468:
	s_clause 0x3
	buffer_load_dword v0, off, s[0:3], 0 offset:16
	buffer_load_dword v1, off, s[0:3], 0 offset:20
	;; [unrolled: 1-line block ×4, first 2 shown]
	v_mov_b32_e32 v4, s68
	s_waitcnt vmcnt(0)
	flat_store_dwordx4 v[9:10], v[0:3]
	s_clause 0x3
	buffer_load_dword v0, v4, s[0:3], 0 offen
	buffer_load_dword v1, v4, s[0:3], 0 offen offset:4
	buffer_load_dword v2, v4, s[0:3], 0 offen offset:8
	buffer_load_dword v3, v4, s[0:3], 0 offen offset:12
	v_mov_b32_e32 v4, s67
	s_waitcnt vmcnt(0)
	flat_store_dwordx4 v[63:64], v[0:3]
	s_clause 0x3
	buffer_load_dword v0, v4, s[0:3], 0 offen
	buffer_load_dword v1, v4, s[0:3], 0 offen offset:4
	buffer_load_dword v2, v4, s[0:3], 0 offen offset:8
	buffer_load_dword v3, v4, s[0:3], 0 offen offset:12
	;; [unrolled: 8-line block ×56, first 2 shown]
	s_waitcnt vmcnt(0)
	flat_store_dwordx4 v[121:122], v[0:3]
	s_endpgm
	.section	.rodata,"a",@progbits
	.p2align	6, 0x0
	.amdhsa_kernel _ZN9rocsolver6v33100L18getri_kernel_smallILi57E19rocblas_complex_numIdEPKPS3_EEvT1_iilPiilS8_bb
		.amdhsa_group_segment_fixed_size 1832
		.amdhsa_private_segment_fixed_size 944
		.amdhsa_kernarg_size 60
		.amdhsa_user_sgpr_count 6
		.amdhsa_user_sgpr_private_segment_buffer 1
		.amdhsa_user_sgpr_dispatch_ptr 0
		.amdhsa_user_sgpr_queue_ptr 0
		.amdhsa_user_sgpr_kernarg_segment_ptr 1
		.amdhsa_user_sgpr_dispatch_id 0
		.amdhsa_user_sgpr_flat_scratch_init 0
		.amdhsa_user_sgpr_private_segment_size 0
		.amdhsa_wavefront_size32 1
		.amdhsa_uses_dynamic_stack 0
		.amdhsa_system_sgpr_private_segment_wavefront_offset 1
		.amdhsa_system_sgpr_workgroup_id_x 1
		.amdhsa_system_sgpr_workgroup_id_y 0
		.amdhsa_system_sgpr_workgroup_id_z 0
		.amdhsa_system_sgpr_workgroup_info 0
		.amdhsa_system_vgpr_workitem_id 0
		.amdhsa_next_free_vgpr 209
		.amdhsa_next_free_sgpr 96
		.amdhsa_reserve_vcc 1
		.amdhsa_reserve_flat_scratch 0
		.amdhsa_float_round_mode_32 0
		.amdhsa_float_round_mode_16_64 0
		.amdhsa_float_denorm_mode_32 3
		.amdhsa_float_denorm_mode_16_64 3
		.amdhsa_dx10_clamp 1
		.amdhsa_ieee_mode 1
		.amdhsa_fp16_overflow 0
		.amdhsa_workgroup_processor_mode 1
		.amdhsa_memory_ordered 1
		.amdhsa_forward_progress 1
		.amdhsa_shared_vgpr_count 0
		.amdhsa_exception_fp_ieee_invalid_op 0
		.amdhsa_exception_fp_denorm_src 0
		.amdhsa_exception_fp_ieee_div_zero 0
		.amdhsa_exception_fp_ieee_overflow 0
		.amdhsa_exception_fp_ieee_underflow 0
		.amdhsa_exception_fp_ieee_inexact 0
		.amdhsa_exception_int_div_zero 0
	.end_amdhsa_kernel
	.section	.text._ZN9rocsolver6v33100L18getri_kernel_smallILi57E19rocblas_complex_numIdEPKPS3_EEvT1_iilPiilS8_bb,"axG",@progbits,_ZN9rocsolver6v33100L18getri_kernel_smallILi57E19rocblas_complex_numIdEPKPS3_EEvT1_iilPiilS8_bb,comdat
.Lfunc_end120:
	.size	_ZN9rocsolver6v33100L18getri_kernel_smallILi57E19rocblas_complex_numIdEPKPS3_EEvT1_iilPiilS8_bb, .Lfunc_end120-_ZN9rocsolver6v33100L18getri_kernel_smallILi57E19rocblas_complex_numIdEPKPS3_EEvT1_iilPiilS8_bb
                                        ; -- End function
	.set _ZN9rocsolver6v33100L18getri_kernel_smallILi57E19rocblas_complex_numIdEPKPS3_EEvT1_iilPiilS8_bb.num_vgpr, 209
	.set _ZN9rocsolver6v33100L18getri_kernel_smallILi57E19rocblas_complex_numIdEPKPS3_EEvT1_iilPiilS8_bb.num_agpr, 0
	.set _ZN9rocsolver6v33100L18getri_kernel_smallILi57E19rocblas_complex_numIdEPKPS3_EEvT1_iilPiilS8_bb.numbered_sgpr, 96
	.set _ZN9rocsolver6v33100L18getri_kernel_smallILi57E19rocblas_complex_numIdEPKPS3_EEvT1_iilPiilS8_bb.num_named_barrier, 0
	.set _ZN9rocsolver6v33100L18getri_kernel_smallILi57E19rocblas_complex_numIdEPKPS3_EEvT1_iilPiilS8_bb.private_seg_size, 944
	.set _ZN9rocsolver6v33100L18getri_kernel_smallILi57E19rocblas_complex_numIdEPKPS3_EEvT1_iilPiilS8_bb.uses_vcc, 1
	.set _ZN9rocsolver6v33100L18getri_kernel_smallILi57E19rocblas_complex_numIdEPKPS3_EEvT1_iilPiilS8_bb.uses_flat_scratch, 0
	.set _ZN9rocsolver6v33100L18getri_kernel_smallILi57E19rocblas_complex_numIdEPKPS3_EEvT1_iilPiilS8_bb.has_dyn_sized_stack, 0
	.set _ZN9rocsolver6v33100L18getri_kernel_smallILi57E19rocblas_complex_numIdEPKPS3_EEvT1_iilPiilS8_bb.has_recursion, 0
	.set _ZN9rocsolver6v33100L18getri_kernel_smallILi57E19rocblas_complex_numIdEPKPS3_EEvT1_iilPiilS8_bb.has_indirect_call, 0
	.section	.AMDGPU.csdata,"",@progbits
; Kernel info:
; codeLenInByte = 210604
; TotalNumSgprs: 98
; NumVgprs: 209
; ScratchSize: 944
; MemoryBound: 0
; FloatMode: 240
; IeeeMode: 1
; LDSByteSize: 1832 bytes/workgroup (compile time only)
; SGPRBlocks: 0
; VGPRBlocks: 26
; NumSGPRsForWavesPerEU: 98
; NumVGPRsForWavesPerEU: 209
; Occupancy: 4
; WaveLimiterHint : 1
; COMPUTE_PGM_RSRC2:SCRATCH_EN: 1
; COMPUTE_PGM_RSRC2:USER_SGPR: 6
; COMPUTE_PGM_RSRC2:TRAP_HANDLER: 0
; COMPUTE_PGM_RSRC2:TGID_X_EN: 1
; COMPUTE_PGM_RSRC2:TGID_Y_EN: 0
; COMPUTE_PGM_RSRC2:TGID_Z_EN: 0
; COMPUTE_PGM_RSRC2:TIDIG_COMP_CNT: 0
	.section	.text._ZN9rocsolver6v33100L18getri_kernel_smallILi58E19rocblas_complex_numIdEPKPS3_EEvT1_iilPiilS8_bb,"axG",@progbits,_ZN9rocsolver6v33100L18getri_kernel_smallILi58E19rocblas_complex_numIdEPKPS3_EEvT1_iilPiilS8_bb,comdat
	.globl	_ZN9rocsolver6v33100L18getri_kernel_smallILi58E19rocblas_complex_numIdEPKPS3_EEvT1_iilPiilS8_bb ; -- Begin function _ZN9rocsolver6v33100L18getri_kernel_smallILi58E19rocblas_complex_numIdEPKPS3_EEvT1_iilPiilS8_bb
	.p2align	8
	.type	_ZN9rocsolver6v33100L18getri_kernel_smallILi58E19rocblas_complex_numIdEPKPS3_EEvT1_iilPiilS8_bb,@function
_ZN9rocsolver6v33100L18getri_kernel_smallILi58E19rocblas_complex_numIdEPKPS3_EEvT1_iilPiilS8_bb: ; @_ZN9rocsolver6v33100L18getri_kernel_smallILi58E19rocblas_complex_numIdEPKPS3_EEvT1_iilPiilS8_bb
; %bb.0:
	s_add_u32 s0, s0, s7
	s_addc_u32 s1, s1, 0
	s_mov_b32 s7, exec_lo
	v_cmpx_gt_u32_e32 58, v0
	s_cbranch_execz .LBB121_246
; %bb.1:
	s_clause 0x2
	s_load_dword s16, s[4:5], 0x38
	s_load_dwordx2 s[12:13], s[4:5], 0x0
	s_load_dwordx4 s[8:11], s[4:5], 0x28
	s_waitcnt lgkmcnt(0)
	s_bitcmp1_b32 s16, 8
	s_cselect_b32 s70, -1, 0
	s_ashr_i32 s7, s6, 31
	s_lshl_b64 s[14:15], s[6:7], 3
	s_add_u32 s12, s12, s14
	s_addc_u32 s13, s13, s15
	s_load_dwordx2 s[14:15], s[12:13], 0x0
	s_bfe_u32 s12, s16, 0x10008
	s_cmp_eq_u32 s12, 0
                                        ; implicit-def: $sgpr12_sgpr13
	s_cbranch_scc1 .LBB121_3
; %bb.2:
	s_clause 0x1
	s_load_dword s12, s[4:5], 0x20
	s_load_dwordx2 s[16:17], s[4:5], 0x18
	s_mul_i32 s13, s8, s7
	s_mul_hi_u32 s18, s8, s6
	s_mul_i32 s9, s9, s6
	s_add_i32 s13, s18, s13
	s_mul_i32 s8, s8, s6
	s_add_i32 s9, s13, s9
	s_lshl_b64 s[8:9], s[8:9], 2
	s_waitcnt lgkmcnt(0)
	s_ashr_i32 s13, s12, 31
	s_add_u32 s16, s16, s8
	s_addc_u32 s17, s17, s9
	s_lshl_b64 s[8:9], s[12:13], 2
	s_add_u32 s12, s16, s8
	s_addc_u32 s13, s17, s9
.LBB121_3:
	s_clause 0x1
	s_load_dwordx2 s[8:9], s[4:5], 0x8
	s_load_dword s71, s[4:5], 0x38
	v_lshlrev_b32_e32 v127, 4, v0
	s_movk_i32 s16, 0xa0
	s_movk_i32 s17, 0xb0
	;; [unrolled: 1-line block ×17, first 2 shown]
	s_waitcnt lgkmcnt(0)
	s_ashr_i32 s5, s8, 31
	s_mov_b32 s4, s8
	v_add3_u32 v5, s9, s9, v0
	s_lshl_b64 s[4:5], s[4:5], 4
	s_movk_i32 s34, 0x1b0
	s_add_u32 s8, s14, s4
	s_addc_u32 s14, s15, s5
	v_add_co_u32 v9, s4, s8, v127
	v_add_co_ci_u32_e64 v10, null, s14, 0, s4
	s_mov_b32 s4, s9
	s_ashr_i32 s5, s9, 31
	v_ashrrev_i32_e32 v6, 31, v5
	flat_load_dwordx4 v[1:4], v[9:10]
	s_lshl_b64 s[4:5], s[4:5], 4
	s_movk_i32 s15, 0x90
	v_add_co_u32 v63, vcc_lo, v9, s4
	v_add_co_ci_u32_e64 v64, null, s5, v10, vcc_lo
	v_lshlrev_b64 v[6:7], 4, v[5:6]
	v_add_nc_u32_e32 v5, s9, v5
	s_movk_i32 s4, 0x50
	s_movk_i32 s35, 0x1c0
	s_movk_i32 s36, 0x1d0
	s_movk_i32 s37, 0x1e0
	v_add_co_u32 v61, vcc_lo, s8, v6
	v_add_co_ci_u32_e64 v62, null, s14, v7, vcc_lo
	v_ashrrev_i32_e32 v6, 31, v5
	s_movk_i32 s38, 0x1f0
	s_movk_i32 s72, 0x200
	s_movk_i32 s73, 0x210
	s_movk_i32 s74, 0x220
	v_lshlrev_b64 v[6:7], 4, v[5:6]
	v_add_nc_u32_e32 v5, s9, v5
	s_movk_i32 s75, 0x230
	s_movk_i32 s76, 0x240
	s_movk_i32 s77, 0x250
	s_movk_i32 s78, 0x260
	v_add_co_u32 v57, vcc_lo, s8, v6
	v_add_co_ci_u32_e64 v58, null, s14, v7, vcc_lo
	v_ashrrev_i32_e32 v6, 31, v5
	s_movk_i32 s79, 0x270
	s_movk_i32 s80, 0x280
	s_movk_i32 s81, 0x290
	s_movk_i32 s82, 0x2a0
	;; [unrolled: 13-line block ×3, first 2 shown]
	v_lshlrev_b64 v[6:7], 4, v[5:6]
	v_add_nc_u32_e32 v5, s9, v5
	s_movk_i32 s91, 0x330
	s_movk_i32 s92, 0x340
	s_movk_i32 s93, 0x350
	s_movk_i32 s94, 0x360
	v_add_co_u32 v53, vcc_lo, s8, v6
	v_add_co_ci_u32_e64 v54, null, s14, v7, vcc_lo
	v_ashrrev_i32_e32 v6, 31, v5
	s_movk_i32 s95, 0x370
	s_movk_i32 s96, 0x380
	;; [unrolled: 1-line block ×3, first 2 shown]
	s_add_i32 s65, s4, 16
	v_lshlrev_b64 v[6:7], 4, v[5:6]
	v_add_nc_u32_e32 v5, s9, v5
	s_add_i32 s61, s15, 16
	s_add_i32 s60, s16, 16
	s_add_i32 s59, s17, 16
	s_add_i32 s58, s18, 16
	v_add_co_u32 v51, vcc_lo, s8, v6
	v_add_co_ci_u32_e64 v52, null, s14, v7, vcc_lo
	v_ashrrev_i32_e32 v6, 31, v5
	s_add_i32 s57, s19, 16
	s_add_i32 s56, s20, 16
	s_add_i32 s55, s21, 16
	s_add_i32 s54, s22, 16
	v_lshlrev_b64 v[6:7], 4, v[5:6]
	v_add_nc_u32_e32 v5, s9, v5
	s_add_i32 s53, s23, 16
	s_add_i32 s52, s24, 16
	s_add_i32 s51, s25, 16
	s_add_i32 s50, s26, 16
	v_add_co_u32 v49, vcc_lo, s8, v6
	v_add_co_ci_u32_e64 v50, null, s14, v7, vcc_lo
	v_ashrrev_i32_e32 v6, 31, v5
	s_add_i32 s49, s27, 16
	s_add_i32 s48, s28, 16
	s_add_i32 s47, s29, 16
	;; [unrolled: 13-line block ×5, first 2 shown]
	s_add_i32 s21, s88, 16
	v_lshlrev_b64 v[6:7], 4, v[5:6]
	v_add_nc_u32_e32 v5, s9, v5
	s_add_i32 s20, s89, 16
	s_add_i32 s19, s90, 16
	;; [unrolled: 1-line block ×4, first 2 shown]
	v_add_co_u32 v41, vcc_lo, s8, v6
	v_add_co_ci_u32_e64 v42, null, s14, v7, vcc_lo
	v_ashrrev_i32_e32 v6, 31, v5
	s_add_i32 s16, s93, 16
	s_add_i32 s15, s94, 16
	s_mov_b32 s5, -1
	s_mov_b32 s69, 32
	v_lshlrev_b64 v[6:7], 4, v[5:6]
	v_add_nc_u32_e32 v5, s9, v5
	s_mov_b32 s68, 48
	s_mov_b32 s67, 64
	s_movk_i32 s66, 0x50
	s_waitcnt vmcnt(0) lgkmcnt(0)
	buffer_store_dword v4, off, s[0:3], 0 offset:28
	buffer_store_dword v3, off, s[0:3], 0 offset:24
	buffer_store_dword v2, off, s[0:3], 0 offset:20
	buffer_store_dword v1, off, s[0:3], 0 offset:16
	flat_load_dwordx4 v[1:4], v[63:64]
	v_add_co_u32 v37, vcc_lo, s8, v6
	v_add_co_ci_u32_e64 v38, null, s14, v7, vcc_lo
	v_ashrrev_i32_e32 v6, 31, v5
	s_waitcnt vmcnt(0) lgkmcnt(0)
	buffer_store_dword v4, off, s[0:3], 0 offset:44
	buffer_store_dword v3, off, s[0:3], 0 offset:40
	buffer_store_dword v2, off, s[0:3], 0 offset:36
	buffer_store_dword v1, off, s[0:3], 0 offset:32
	flat_load_dwordx4 v[1:4], v[61:62]
	v_lshlrev_b64 v[6:7], 4, v[5:6]
	v_add_nc_u32_e32 v5, s9, v5
	s_waitcnt vmcnt(0) lgkmcnt(0)
	buffer_store_dword v4, off, s[0:3], 0 offset:60
	buffer_store_dword v3, off, s[0:3], 0 offset:56
	buffer_store_dword v2, off, s[0:3], 0 offset:52
	buffer_store_dword v1, off, s[0:3], 0 offset:48
	flat_load_dwordx4 v[1:4], v[57:58]
	v_add_co_u32 v35, vcc_lo, s8, v6
	v_add_co_ci_u32_e64 v36, null, s14, v7, vcc_lo
	v_ashrrev_i32_e32 v6, 31, v5
	s_waitcnt vmcnt(0) lgkmcnt(0)
	buffer_store_dword v4, off, s[0:3], 0 offset:76
	buffer_store_dword v3, off, s[0:3], 0 offset:72
	buffer_store_dword v2, off, s[0:3], 0 offset:68
	buffer_store_dword v1, off, s[0:3], 0 offset:64
	flat_load_dwordx4 v[1:4], v[55:56]
	v_lshlrev_b64 v[6:7], 4, v[5:6]
	v_add_nc_u32_e32 v5, s9, v5
	;; [unrolled: 17-line block ×11, first 2 shown]
	s_waitcnt vmcnt(0) lgkmcnt(0)
	buffer_store_dword v4, off, s[0:3], 0 offset:380
	buffer_store_dword v3, off, s[0:3], 0 offset:376
	;; [unrolled: 1-line block ×4, first 2 shown]
	v_add_co_u32 v15, vcc_lo, s8, v6
	v_add_co_ci_u32_e64 v16, null, s14, v7, vcc_lo
	v_ashrrev_i32_e32 v6, 31, v5
	flat_load_dwordx4 v[1:4], v[15:16]
	s_waitcnt vmcnt(0) lgkmcnt(0)
	buffer_store_dword v4, off, s[0:3], 0 offset:396
	buffer_store_dword v3, off, s[0:3], 0 offset:392
	buffer_store_dword v2, off, s[0:3], 0 offset:388
	buffer_store_dword v1, off, s[0:3], 0 offset:384
	v_lshlrev_b64 v[6:7], 4, v[5:6]
	v_add_nc_u32_e32 v5, s9, v5
	v_add_co_u32 v13, vcc_lo, s8, v6
	v_add_co_ci_u32_e64 v14, null, s14, v7, vcc_lo
	v_ashrrev_i32_e32 v6, 31, v5
	flat_load_dwordx4 v[1:4], v[13:14]
	s_waitcnt vmcnt(0) lgkmcnt(0)
	buffer_store_dword v4, off, s[0:3], 0 offset:412
	buffer_store_dword v3, off, s[0:3], 0 offset:408
	buffer_store_dword v2, off, s[0:3], 0 offset:404
	buffer_store_dword v1, off, s[0:3], 0 offset:400
	v_lshlrev_b64 v[6:7], 4, v[5:6]
	v_add_nc_u32_e32 v5, s9, v5
	;; [unrolled: 11-line block ×33, first 2 shown]
	s_movk_i32 s9, 0x70
	s_add_i32 s63, s9, 16
	s_add_i32 s9, s96, 16
	v_add_co_u32 v121, vcc_lo, s8, v6
	v_add_co_ci_u32_e64 v122, null, s14, v7, vcc_lo
	v_ashrrev_i32_e32 v6, 31, v5
	flat_load_dwordx4 v[1:4], v[121:122]
	s_waitcnt vmcnt(0) lgkmcnt(0)
	buffer_store_dword v4, off, s[0:3], 0 offset:924
	buffer_store_dword v3, off, s[0:3], 0 offset:920
	;; [unrolled: 1-line block ×4, first 2 shown]
	v_lshlrev_b64 v[5:6], 4, v[5:6]
	v_add_co_u32 v123, vcc_lo, s8, v5
	v_add_co_ci_u32_e64 v124, null, s14, v6, vcc_lo
	s_movk_i32 s8, 0x60
	s_movk_i32 s14, 0x80
	s_add_i32 s64, s8, 16
	flat_load_dwordx4 v[1:4], v[123:124]
	s_add_i32 s62, s14, 16
	s_add_i32 s14, s95, 16
	;; [unrolled: 1-line block ×3, first 2 shown]
	s_bitcmp0_b32 s71, 0
	s_waitcnt vmcnt(0) lgkmcnt(0)
	buffer_store_dword v4, off, s[0:3], 0 offset:940
	buffer_store_dword v3, off, s[0:3], 0 offset:936
	;; [unrolled: 1-line block ×4, first 2 shown]
	s_cbranch_scc1 .LBB121_244
; %bb.4:
	v_cmp_eq_u32_e64 s4, 0, v0
	s_and_saveexec_b32 s5, s4
; %bb.5:
	v_mov_b32_e32 v1, 0
	ds_write_b32 v1, v1 offset:1856
; %bb.6:
	s_or_b32 exec_lo, exec_lo, s5
	v_lshl_add_u32 v128, v0, 4, 16
	s_waitcnt lgkmcnt(0)
	s_waitcnt_vscnt null, 0x0
	s_barrier
	buffer_gl0_inv
	s_clause 0x3
	buffer_load_dword v1, v128, s[0:3], 0 offen
	buffer_load_dword v2, v128, s[0:3], 0 offen offset:4
	buffer_load_dword v3, v128, s[0:3], 0 offen offset:8
	buffer_load_dword v4, v128, s[0:3], 0 offen offset:12
	s_waitcnt vmcnt(2)
	v_cmp_eq_f64_e32 vcc_lo, 0, v[1:2]
	s_waitcnt vmcnt(0)
	v_cmp_eq_f64_e64 s5, 0, v[3:4]
	s_and_b32 s5, vcc_lo, s5
	s_and_saveexec_b32 s71, s5
	s_cbranch_execz .LBB121_10
; %bb.7:
	v_mov_b32_e32 v1, 0
	s_mov_b32 s72, 0
	ds_read_b32 v2, v1 offset:1856
	s_waitcnt lgkmcnt(0)
	v_readfirstlane_b32 s5, v2
	v_add_nc_u32_e32 v2, 1, v0
	s_cmp_eq_u32 s5, 0
	v_cmp_gt_i32_e32 vcc_lo, s5, v2
	s_cselect_b32 s73, -1, 0
	s_or_b32 s73, s73, vcc_lo
	s_and_b32 exec_lo, exec_lo, s73
	s_cbranch_execz .LBB121_10
; %bb.8:
	v_mov_b32_e32 v3, s5
.LBB121_9:                              ; =>This Inner Loop Header: Depth=1
	ds_cmpst_rtn_b32 v3, v1, v3, v2 offset:1856
	s_waitcnt lgkmcnt(0)
	v_cmp_ne_u32_e32 vcc_lo, 0, v3
	v_cmp_le_i32_e64 s5, v3, v2
	s_and_b32 s5, vcc_lo, s5
	s_and_b32 s5, exec_lo, s5
	s_or_b32 s72, s5, s72
	s_andn2_b32 exec_lo, exec_lo, s72
	s_cbranch_execnz .LBB121_9
.LBB121_10:
	s_or_b32 exec_lo, exec_lo, s71
	v_mov_b32_e32 v1, 0
	s_barrier
	buffer_gl0_inv
	ds_read_b32 v2, v1 offset:1856
	s_and_saveexec_b32 s5, s4
	s_cbranch_execz .LBB121_12
; %bb.11:
	s_lshl_b64 s[72:73], s[6:7], 2
	s_add_u32 s72, s10, s72
	s_addc_u32 s73, s11, s73
	s_waitcnt lgkmcnt(0)
	global_store_dword v1, v2, s[72:73]
.LBB121_12:
	s_or_b32 exec_lo, exec_lo, s5
	s_waitcnt lgkmcnt(0)
	v_cmp_ne_u32_e32 vcc_lo, 0, v2
	s_mov_b32 s5, 0
	s_cbranch_vccnz .LBB121_244
; %bb.13:
	s_clause 0x3
	buffer_load_dword v7, v128, s[0:3], 0 offen
	buffer_load_dword v8, v128, s[0:3], 0 offen offset:4
	buffer_load_dword v125, v128, s[0:3], 0 offen offset:8
	;; [unrolled: 1-line block ×3, first 2 shown]
                                        ; implicit-def: $vgpr5_vgpr6
                                        ; implicit-def: $vgpr3_vgpr4
	s_waitcnt vmcnt(0)
	v_cmp_ngt_f64_e64 s5, |v[7:8]|, |v[125:126]|
	s_and_saveexec_b32 s71, s5
	s_xor_b32 s5, exec_lo, s71
	s_cbranch_execz .LBB121_15
; %bb.14:
	v_div_scale_f64 v[1:2], null, v[125:126], v[125:126], v[7:8]
	v_div_scale_f64 v[129:130], vcc_lo, v[7:8], v[125:126], v[7:8]
	v_rcp_f64_e32 v[3:4], v[1:2]
	v_fma_f64 v[5:6], -v[1:2], v[3:4], 1.0
	v_fma_f64 v[3:4], v[3:4], v[5:6], v[3:4]
	v_fma_f64 v[5:6], -v[1:2], v[3:4], 1.0
	v_fma_f64 v[3:4], v[3:4], v[5:6], v[3:4]
	v_mul_f64 v[5:6], v[129:130], v[3:4]
	v_fma_f64 v[1:2], -v[1:2], v[5:6], v[129:130]
	v_div_fmas_f64 v[1:2], v[1:2], v[3:4], v[5:6]
	v_div_fixup_f64 v[1:2], v[1:2], v[125:126], v[7:8]
	v_fma_f64 v[3:4], v[7:8], v[1:2], v[125:126]
	v_div_scale_f64 v[5:6], null, v[3:4], v[3:4], 1.0
	v_div_scale_f64 v[129:130], vcc_lo, 1.0, v[3:4], 1.0
	v_rcp_f64_e32 v[7:8], v[5:6]
	v_fma_f64 v[125:126], -v[5:6], v[7:8], 1.0
	v_fma_f64 v[7:8], v[7:8], v[125:126], v[7:8]
	v_fma_f64 v[125:126], -v[5:6], v[7:8], 1.0
	v_fma_f64 v[7:8], v[7:8], v[125:126], v[7:8]
	v_mul_f64 v[125:126], v[129:130], v[7:8]
	v_fma_f64 v[5:6], -v[5:6], v[125:126], v[129:130]
	v_div_fmas_f64 v[5:6], v[5:6], v[7:8], v[125:126]
                                        ; implicit-def: $vgpr7_vgpr8
                                        ; implicit-def: $vgpr125_vgpr126
	v_div_fixup_f64 v[3:4], v[5:6], v[3:4], 1.0
	v_mul_f64 v[5:6], v[1:2], v[3:4]
	v_xor_b32_e32 v4, 0x80000000, v4
	v_xor_b32_e32 v2, 0x80000000, v6
	v_mov_b32_e32 v1, v5
.LBB121_15:
	s_andn2_saveexec_b32 s5, s5
	s_cbranch_execz .LBB121_17
; %bb.16:
	v_div_scale_f64 v[1:2], null, v[7:8], v[7:8], v[125:126]
	v_div_scale_f64 v[129:130], vcc_lo, v[125:126], v[7:8], v[125:126]
	v_rcp_f64_e32 v[3:4], v[1:2]
	v_fma_f64 v[5:6], -v[1:2], v[3:4], 1.0
	v_fma_f64 v[3:4], v[3:4], v[5:6], v[3:4]
	v_fma_f64 v[5:6], -v[1:2], v[3:4], 1.0
	v_fma_f64 v[3:4], v[3:4], v[5:6], v[3:4]
	v_mul_f64 v[5:6], v[129:130], v[3:4]
	v_fma_f64 v[1:2], -v[1:2], v[5:6], v[129:130]
	v_div_fmas_f64 v[1:2], v[1:2], v[3:4], v[5:6]
	v_div_fixup_f64 v[1:2], v[1:2], v[7:8], v[125:126]
	v_fma_f64 v[3:4], v[125:126], v[1:2], v[7:8]
	v_div_scale_f64 v[5:6], null, v[3:4], v[3:4], 1.0
	v_rcp_f64_e32 v[7:8], v[5:6]
	v_fma_f64 v[125:126], -v[5:6], v[7:8], 1.0
	v_fma_f64 v[7:8], v[7:8], v[125:126], v[7:8]
	v_fma_f64 v[125:126], -v[5:6], v[7:8], 1.0
	v_fma_f64 v[7:8], v[7:8], v[125:126], v[7:8]
	v_div_scale_f64 v[125:126], vcc_lo, 1.0, v[3:4], 1.0
	v_mul_f64 v[129:130], v[125:126], v[7:8]
	v_fma_f64 v[5:6], -v[5:6], v[129:130], v[125:126]
	v_div_fmas_f64 v[5:6], v[5:6], v[7:8], v[129:130]
	v_div_fixup_f64 v[5:6], v[5:6], v[3:4], 1.0
	v_mul_f64 v[3:4], v[1:2], -v[5:6]
	v_xor_b32_e32 v2, 0x80000000, v6
	v_mov_b32_e32 v1, v5
.LBB121_17:
	s_or_b32 exec_lo, exec_lo, s5
	v_mov_b32_e32 v7, s69
	buffer_store_dword v6, v128, s[0:3], 0 offen offset:4
	buffer_store_dword v5, v128, s[0:3], 0 offen
	buffer_store_dword v4, v128, s[0:3], 0 offen offset:12
	buffer_store_dword v3, v128, s[0:3], 0 offen offset:8
	v_xor_b32_e32 v4, 0x80000000, v4
	v_add_nc_u32_e32 v5, 0x3a0, v127
	s_clause 0x3
	buffer_load_dword v132, v7, s[0:3], 0 offen offset:12
	buffer_load_dword v131, v7, s[0:3], 0 offen offset:8
	;; [unrolled: 1-line block ×3, first 2 shown]
	buffer_load_dword v129, v7, s[0:3], 0 offen
	ds_write_b128 v127, v[1:4]
	s_waitcnt vmcnt(0)
	ds_write_b128 v127, v[129:132] offset:928
	s_waitcnt lgkmcnt(0)
	s_waitcnt_vscnt null, 0x0
	s_barrier
	buffer_gl0_inv
	s_and_saveexec_b32 s5, s4
	s_cbranch_execz .LBB121_19
; %bb.18:
	s_clause 0x3
	buffer_load_dword v6, v128, s[0:3], 0 offen offset:8
	buffer_load_dword v7, v128, s[0:3], 0 offen offset:12
	buffer_load_dword v125, v128, s[0:3], 0 offen
	buffer_load_dword v126, v128, s[0:3], 0 offen offset:4
	ds_read_b128 v[1:4], v5
	v_mov_b32_e32 v8, 0
	ds_read_b128 v[129:132], v8 offset:16
	s_waitcnt vmcnt(2) lgkmcnt(1)
	v_mul_f64 v[133:134], v[1:2], v[6:7]
	v_mul_f64 v[6:7], v[3:4], v[6:7]
	s_waitcnt vmcnt(0)
	v_fma_f64 v[3:4], v[3:4], v[125:126], v[133:134]
	v_fma_f64 v[1:2], v[1:2], v[125:126], -v[6:7]
	v_add_f64 v[3:4], v[3:4], 0
	v_add_f64 v[1:2], v[1:2], 0
	s_waitcnt lgkmcnt(0)
	v_mul_f64 v[6:7], v[3:4], v[131:132]
	v_mul_f64 v[125:126], v[1:2], v[131:132]
	v_fma_f64 v[1:2], v[1:2], v[129:130], -v[6:7]
	v_fma_f64 v[3:4], v[3:4], v[129:130], v[125:126]
	buffer_store_dword v1, off, s[0:3], 0 offset:32
	buffer_store_dword v2, off, s[0:3], 0 offset:36
	;; [unrolled: 1-line block ×4, first 2 shown]
.LBB121_19:
	s_or_b32 exec_lo, exec_lo, s5
	v_mov_b32_e32 v4, s68
	s_waitcnt_vscnt null, 0x0
	s_barrier
	buffer_gl0_inv
	s_mov_b32 s5, exec_lo
	s_clause 0x3
	buffer_load_dword v1, v4, s[0:3], 0 offen
	buffer_load_dword v2, v4, s[0:3], 0 offen offset:4
	buffer_load_dword v3, v4, s[0:3], 0 offen offset:8
	;; [unrolled: 1-line block ×3, first 2 shown]
	s_waitcnt vmcnt(0)
	ds_write_b128 v5, v[1:4]
	s_waitcnt lgkmcnt(0)
	s_barrier
	buffer_gl0_inv
	v_cmpx_gt_u32_e32 2, v0
	s_cbranch_execz .LBB121_23
; %bb.20:
	s_clause 0x3
	buffer_load_dword v6, v128, s[0:3], 0 offen offset:8
	buffer_load_dword v7, v128, s[0:3], 0 offen offset:12
	buffer_load_dword v125, v128, s[0:3], 0 offen
	buffer_load_dword v126, v128, s[0:3], 0 offen offset:4
	ds_read_b128 v[1:4], v5
	s_waitcnt vmcnt(2) lgkmcnt(0)
	v_mul_f64 v[128:129], v[3:4], v[6:7]
	v_mul_f64 v[6:7], v[1:2], v[6:7]
	s_waitcnt vmcnt(0)
	v_fma_f64 v[1:2], v[1:2], v[125:126], -v[128:129]
	v_fma_f64 v[3:4], v[3:4], v[125:126], v[6:7]
	v_add_f64 v[1:2], v[1:2], 0
	v_add_f64 v[3:4], v[3:4], 0
	s_and_saveexec_b32 s71, s4
	s_cbranch_execz .LBB121_22
; %bb.21:
	s_clause 0x3
	buffer_load_dword v6, off, s[0:3], 0 offset:40
	buffer_load_dword v7, off, s[0:3], 0 offset:44
	;; [unrolled: 1-line block ×4, first 2 shown]
	v_mov_b32_e32 v8, 0
	ds_read_b128 v[128:131], v8 offset:944
	s_waitcnt vmcnt(2) lgkmcnt(0)
	v_mul_f64 v[132:133], v[128:129], v[6:7]
	v_mul_f64 v[6:7], v[130:131], v[6:7]
	s_waitcnt vmcnt(0)
	v_fma_f64 v[130:131], v[130:131], v[125:126], v[132:133]
	v_fma_f64 v[6:7], v[128:129], v[125:126], -v[6:7]
	v_add_f64 v[3:4], v[3:4], v[130:131]
	v_add_f64 v[1:2], v[1:2], v[6:7]
.LBB121_22:
	s_or_b32 exec_lo, exec_lo, s71
	v_mov_b32_e32 v6, 0
	ds_read_b128 v[128:131], v6 offset:32
	s_waitcnt lgkmcnt(0)
	v_mul_f64 v[6:7], v[3:4], v[130:131]
	v_mul_f64 v[125:126], v[1:2], v[130:131]
	v_fma_f64 v[1:2], v[1:2], v[128:129], -v[6:7]
	v_fma_f64 v[3:4], v[3:4], v[128:129], v[125:126]
	buffer_store_dword v2, off, s[0:3], 0 offset:52
	buffer_store_dword v1, off, s[0:3], 0 offset:48
	;; [unrolled: 1-line block ×4, first 2 shown]
.LBB121_23:
	s_or_b32 exec_lo, exec_lo, s5
	v_mov_b32_e32 v4, s67
	s_waitcnt_vscnt null, 0x0
	s_barrier
	buffer_gl0_inv
	v_add_nc_u32_e32 v6, -1, v0
	s_clause 0x3
	buffer_load_dword v1, v4, s[0:3], 0 offen
	buffer_load_dword v2, v4, s[0:3], 0 offen offset:4
	buffer_load_dword v3, v4, s[0:3], 0 offen offset:8
	;; [unrolled: 1-line block ×3, first 2 shown]
	s_mov_b32 s4, exec_lo
	s_waitcnt vmcnt(0)
	ds_write_b128 v5, v[1:4]
	s_waitcnt lgkmcnt(0)
	s_barrier
	buffer_gl0_inv
	v_cmpx_gt_u32_e32 3, v0
	s_cbranch_execz .LBB121_27
; %bb.24:
	v_mov_b32_e32 v1, 0
	v_mov_b32_e32 v3, 0
	v_add_nc_u32_e32 v7, -1, v0
	v_add_nc_u32_e32 v8, 0x3a0, v127
	v_mov_b32_e32 v2, 0
	v_mov_b32_e32 v4, 0
	v_add_nc_u32_e32 v125, 16, v127
	s_mov_b32 s5, 0
	.p2align	6
.LBB121_25:                             ; =>This Inner Loop Header: Depth=1
	s_clause 0x3
	buffer_load_dword v132, v125, s[0:3], 0 offen offset:8
	buffer_load_dword v133, v125, s[0:3], 0 offen offset:12
	buffer_load_dword v134, v125, s[0:3], 0 offen
	buffer_load_dword v135, v125, s[0:3], 0 offen offset:4
	ds_read_b128 v[128:131], v8
	v_add_nc_u32_e32 v7, 1, v7
	v_add_nc_u32_e32 v8, 16, v8
	;; [unrolled: 1-line block ×3, first 2 shown]
	v_cmp_lt_u32_e32 vcc_lo, 1, v7
	s_or_b32 s5, vcc_lo, s5
	s_waitcnt vmcnt(2) lgkmcnt(0)
	v_mul_f64 v[136:137], v[130:131], v[132:133]
	v_mul_f64 v[132:133], v[128:129], v[132:133]
	s_waitcnt vmcnt(0)
	v_fma_f64 v[128:129], v[128:129], v[134:135], -v[136:137]
	v_fma_f64 v[130:131], v[130:131], v[134:135], v[132:133]
	v_add_f64 v[3:4], v[3:4], v[128:129]
	v_add_f64 v[1:2], v[1:2], v[130:131]
	s_andn2_b32 exec_lo, exec_lo, s5
	s_cbranch_execnz .LBB121_25
; %bb.26:
	s_or_b32 exec_lo, exec_lo, s5
	v_mov_b32_e32 v7, 0
	ds_read_b128 v[128:131], v7 offset:48
	s_waitcnt lgkmcnt(0)
	v_mul_f64 v[7:8], v[1:2], v[130:131]
	v_mul_f64 v[125:126], v[3:4], v[130:131]
	v_fma_f64 v[3:4], v[3:4], v[128:129], -v[7:8]
	v_fma_f64 v[1:2], v[1:2], v[128:129], v[125:126]
	buffer_store_dword v4, off, s[0:3], 0 offset:68
	buffer_store_dword v3, off, s[0:3], 0 offset:64
	;; [unrolled: 1-line block ×4, first 2 shown]
.LBB121_27:
	s_or_b32 exec_lo, exec_lo, s4
	v_mov_b32_e32 v4, s66
	s_waitcnt_vscnt null, 0x0
	s_barrier
	buffer_gl0_inv
	s_mov_b32 s4, exec_lo
	s_clause 0x3
	buffer_load_dword v1, v4, s[0:3], 0 offen
	buffer_load_dword v2, v4, s[0:3], 0 offen offset:4
	buffer_load_dword v3, v4, s[0:3], 0 offen offset:8
	;; [unrolled: 1-line block ×3, first 2 shown]
	s_waitcnt vmcnt(0)
	ds_write_b128 v5, v[1:4]
	s_waitcnt lgkmcnt(0)
	s_barrier
	buffer_gl0_inv
	v_cmpx_gt_u32_e32 4, v0
	s_cbranch_execz .LBB121_31
; %bb.28:
	v_mov_b32_e32 v1, 0
	v_mov_b32_e32 v3, 0
	v_add_nc_u32_e32 v7, -1, v0
	v_add_nc_u32_e32 v8, 0x3a0, v127
	v_mov_b32_e32 v2, 0
	v_mov_b32_e32 v4, 0
	v_add_nc_u32_e32 v125, 16, v127
	s_mov_b32 s5, 0
	.p2align	6
.LBB121_29:                             ; =>This Inner Loop Header: Depth=1
	s_clause 0x3
	buffer_load_dword v132, v125, s[0:3], 0 offen offset:8
	buffer_load_dword v133, v125, s[0:3], 0 offen offset:12
	buffer_load_dword v134, v125, s[0:3], 0 offen
	buffer_load_dword v135, v125, s[0:3], 0 offen offset:4
	ds_read_b128 v[128:131], v8
	v_add_nc_u32_e32 v7, 1, v7
	v_add_nc_u32_e32 v8, 16, v8
	;; [unrolled: 1-line block ×3, first 2 shown]
	v_cmp_lt_u32_e32 vcc_lo, 2, v7
	s_or_b32 s5, vcc_lo, s5
	s_waitcnt vmcnt(2) lgkmcnt(0)
	v_mul_f64 v[136:137], v[130:131], v[132:133]
	v_mul_f64 v[132:133], v[128:129], v[132:133]
	s_waitcnt vmcnt(0)
	v_fma_f64 v[128:129], v[128:129], v[134:135], -v[136:137]
	v_fma_f64 v[130:131], v[130:131], v[134:135], v[132:133]
	v_add_f64 v[3:4], v[3:4], v[128:129]
	v_add_f64 v[1:2], v[1:2], v[130:131]
	s_andn2_b32 exec_lo, exec_lo, s5
	s_cbranch_execnz .LBB121_29
; %bb.30:
	s_or_b32 exec_lo, exec_lo, s5
	v_mov_b32_e32 v7, 0
	ds_read_b128 v[128:131], v7 offset:64
	s_waitcnt lgkmcnt(0)
	v_mul_f64 v[7:8], v[1:2], v[130:131]
	v_mul_f64 v[125:126], v[3:4], v[130:131]
	v_fma_f64 v[3:4], v[3:4], v[128:129], -v[7:8]
	v_fma_f64 v[1:2], v[1:2], v[128:129], v[125:126]
	buffer_store_dword v4, off, s[0:3], 0 offset:84
	buffer_store_dword v3, off, s[0:3], 0 offset:80
	;; [unrolled: 1-line block ×4, first 2 shown]
.LBB121_31:
	s_or_b32 exec_lo, exec_lo, s4
	v_mov_b32_e32 v4, s65
	s_waitcnt_vscnt null, 0x0
	s_barrier
	buffer_gl0_inv
	s_mov_b32 s4, exec_lo
	s_clause 0x3
	buffer_load_dword v1, v4, s[0:3], 0 offen
	buffer_load_dword v2, v4, s[0:3], 0 offen offset:4
	buffer_load_dword v3, v4, s[0:3], 0 offen offset:8
	;; [unrolled: 1-line block ×3, first 2 shown]
	s_waitcnt vmcnt(0)
	ds_write_b128 v5, v[1:4]
	s_waitcnt lgkmcnt(0)
	s_barrier
	buffer_gl0_inv
	v_cmpx_gt_u32_e32 5, v0
	s_cbranch_execz .LBB121_35
; %bb.32:
	v_mov_b32_e32 v1, 0
	v_mov_b32_e32 v3, 0
	v_add_nc_u32_e32 v7, -1, v0
	v_add_nc_u32_e32 v8, 0x3a0, v127
	v_mov_b32_e32 v2, 0
	v_mov_b32_e32 v4, 0
	v_add_nc_u32_e32 v125, 16, v127
	s_mov_b32 s5, 0
	.p2align	6
.LBB121_33:                             ; =>This Inner Loop Header: Depth=1
	s_clause 0x3
	buffer_load_dword v132, v125, s[0:3], 0 offen offset:8
	buffer_load_dword v133, v125, s[0:3], 0 offen offset:12
	buffer_load_dword v134, v125, s[0:3], 0 offen
	buffer_load_dword v135, v125, s[0:3], 0 offen offset:4
	ds_read_b128 v[128:131], v8
	v_add_nc_u32_e32 v7, 1, v7
	v_add_nc_u32_e32 v8, 16, v8
	;; [unrolled: 1-line block ×3, first 2 shown]
	v_cmp_lt_u32_e32 vcc_lo, 3, v7
	s_or_b32 s5, vcc_lo, s5
	s_waitcnt vmcnt(2) lgkmcnt(0)
	v_mul_f64 v[136:137], v[130:131], v[132:133]
	v_mul_f64 v[132:133], v[128:129], v[132:133]
	s_waitcnt vmcnt(0)
	v_fma_f64 v[128:129], v[128:129], v[134:135], -v[136:137]
	v_fma_f64 v[130:131], v[130:131], v[134:135], v[132:133]
	v_add_f64 v[3:4], v[3:4], v[128:129]
	v_add_f64 v[1:2], v[1:2], v[130:131]
	s_andn2_b32 exec_lo, exec_lo, s5
	s_cbranch_execnz .LBB121_33
; %bb.34:
	s_or_b32 exec_lo, exec_lo, s5
	v_mov_b32_e32 v7, 0
	ds_read_b128 v[128:131], v7 offset:80
	s_waitcnt lgkmcnt(0)
	v_mul_f64 v[7:8], v[1:2], v[130:131]
	v_mul_f64 v[125:126], v[3:4], v[130:131]
	v_fma_f64 v[3:4], v[3:4], v[128:129], -v[7:8]
	v_fma_f64 v[1:2], v[1:2], v[128:129], v[125:126]
	buffer_store_dword v4, off, s[0:3], 0 offset:100
	buffer_store_dword v3, off, s[0:3], 0 offset:96
	;; [unrolled: 1-line block ×4, first 2 shown]
.LBB121_35:
	s_or_b32 exec_lo, exec_lo, s4
	v_mov_b32_e32 v4, s64
	s_waitcnt_vscnt null, 0x0
	s_barrier
	buffer_gl0_inv
	s_mov_b32 s4, exec_lo
	s_clause 0x3
	buffer_load_dword v1, v4, s[0:3], 0 offen
	buffer_load_dword v2, v4, s[0:3], 0 offen offset:4
	buffer_load_dword v3, v4, s[0:3], 0 offen offset:8
	;; [unrolled: 1-line block ×3, first 2 shown]
	s_waitcnt vmcnt(0)
	ds_write_b128 v5, v[1:4]
	s_waitcnt lgkmcnt(0)
	s_barrier
	buffer_gl0_inv
	v_cmpx_gt_u32_e32 6, v0
	s_cbranch_execz .LBB121_39
; %bb.36:
	v_mov_b32_e32 v1, 0
	v_mov_b32_e32 v3, 0
	v_add_nc_u32_e32 v7, -1, v0
	v_add_nc_u32_e32 v8, 0x3a0, v127
	v_mov_b32_e32 v2, 0
	v_mov_b32_e32 v4, 0
	v_add_nc_u32_e32 v125, 16, v127
	s_mov_b32 s5, 0
	.p2align	6
.LBB121_37:                             ; =>This Inner Loop Header: Depth=1
	s_clause 0x3
	buffer_load_dword v132, v125, s[0:3], 0 offen offset:8
	buffer_load_dword v133, v125, s[0:3], 0 offen offset:12
	buffer_load_dword v134, v125, s[0:3], 0 offen
	buffer_load_dword v135, v125, s[0:3], 0 offen offset:4
	ds_read_b128 v[128:131], v8
	v_add_nc_u32_e32 v7, 1, v7
	v_add_nc_u32_e32 v8, 16, v8
	;; [unrolled: 1-line block ×3, first 2 shown]
	v_cmp_lt_u32_e32 vcc_lo, 4, v7
	s_or_b32 s5, vcc_lo, s5
	s_waitcnt vmcnt(2) lgkmcnt(0)
	v_mul_f64 v[136:137], v[130:131], v[132:133]
	v_mul_f64 v[132:133], v[128:129], v[132:133]
	s_waitcnt vmcnt(0)
	v_fma_f64 v[128:129], v[128:129], v[134:135], -v[136:137]
	v_fma_f64 v[130:131], v[130:131], v[134:135], v[132:133]
	v_add_f64 v[3:4], v[3:4], v[128:129]
	v_add_f64 v[1:2], v[1:2], v[130:131]
	s_andn2_b32 exec_lo, exec_lo, s5
	s_cbranch_execnz .LBB121_37
; %bb.38:
	s_or_b32 exec_lo, exec_lo, s5
	v_mov_b32_e32 v7, 0
	ds_read_b128 v[128:131], v7 offset:96
	s_waitcnt lgkmcnt(0)
	v_mul_f64 v[7:8], v[1:2], v[130:131]
	v_mul_f64 v[125:126], v[3:4], v[130:131]
	v_fma_f64 v[3:4], v[3:4], v[128:129], -v[7:8]
	v_fma_f64 v[1:2], v[1:2], v[128:129], v[125:126]
	buffer_store_dword v4, off, s[0:3], 0 offset:116
	buffer_store_dword v3, off, s[0:3], 0 offset:112
	buffer_store_dword v2, off, s[0:3], 0 offset:124
	buffer_store_dword v1, off, s[0:3], 0 offset:120
.LBB121_39:
	s_or_b32 exec_lo, exec_lo, s4
	v_mov_b32_e32 v4, s63
	s_waitcnt_vscnt null, 0x0
	s_barrier
	buffer_gl0_inv
	s_mov_b32 s4, exec_lo
	s_clause 0x3
	buffer_load_dword v1, v4, s[0:3], 0 offen
	buffer_load_dword v2, v4, s[0:3], 0 offen offset:4
	buffer_load_dword v3, v4, s[0:3], 0 offen offset:8
	;; [unrolled: 1-line block ×3, first 2 shown]
	s_waitcnt vmcnt(0)
	ds_write_b128 v5, v[1:4]
	s_waitcnt lgkmcnt(0)
	s_barrier
	buffer_gl0_inv
	v_cmpx_gt_u32_e32 7, v0
	s_cbranch_execz .LBB121_43
; %bb.40:
	v_mov_b32_e32 v1, 0
	v_mov_b32_e32 v3, 0
	v_add_nc_u32_e32 v7, -1, v0
	v_add_nc_u32_e32 v8, 0x3a0, v127
	v_mov_b32_e32 v2, 0
	v_mov_b32_e32 v4, 0
	v_add_nc_u32_e32 v125, 16, v127
	s_mov_b32 s5, 0
	.p2align	6
.LBB121_41:                             ; =>This Inner Loop Header: Depth=1
	s_clause 0x3
	buffer_load_dword v132, v125, s[0:3], 0 offen offset:8
	buffer_load_dword v133, v125, s[0:3], 0 offen offset:12
	buffer_load_dword v134, v125, s[0:3], 0 offen
	buffer_load_dword v135, v125, s[0:3], 0 offen offset:4
	ds_read_b128 v[128:131], v8
	v_add_nc_u32_e32 v7, 1, v7
	v_add_nc_u32_e32 v8, 16, v8
	;; [unrolled: 1-line block ×3, first 2 shown]
	v_cmp_lt_u32_e32 vcc_lo, 5, v7
	s_or_b32 s5, vcc_lo, s5
	s_waitcnt vmcnt(2) lgkmcnt(0)
	v_mul_f64 v[136:137], v[130:131], v[132:133]
	v_mul_f64 v[132:133], v[128:129], v[132:133]
	s_waitcnt vmcnt(0)
	v_fma_f64 v[128:129], v[128:129], v[134:135], -v[136:137]
	v_fma_f64 v[130:131], v[130:131], v[134:135], v[132:133]
	v_add_f64 v[3:4], v[3:4], v[128:129]
	v_add_f64 v[1:2], v[1:2], v[130:131]
	s_andn2_b32 exec_lo, exec_lo, s5
	s_cbranch_execnz .LBB121_41
; %bb.42:
	s_or_b32 exec_lo, exec_lo, s5
	v_mov_b32_e32 v7, 0
	ds_read_b128 v[128:131], v7 offset:112
	s_waitcnt lgkmcnt(0)
	v_mul_f64 v[7:8], v[1:2], v[130:131]
	v_mul_f64 v[125:126], v[3:4], v[130:131]
	v_fma_f64 v[3:4], v[3:4], v[128:129], -v[7:8]
	v_fma_f64 v[1:2], v[1:2], v[128:129], v[125:126]
	buffer_store_dword v4, off, s[0:3], 0 offset:132
	buffer_store_dword v3, off, s[0:3], 0 offset:128
	;; [unrolled: 1-line block ×4, first 2 shown]
.LBB121_43:
	s_or_b32 exec_lo, exec_lo, s4
	v_mov_b32_e32 v4, s62
	s_waitcnt_vscnt null, 0x0
	s_barrier
	buffer_gl0_inv
	s_mov_b32 s4, exec_lo
	s_clause 0x3
	buffer_load_dword v1, v4, s[0:3], 0 offen
	buffer_load_dword v2, v4, s[0:3], 0 offen offset:4
	buffer_load_dword v3, v4, s[0:3], 0 offen offset:8
	;; [unrolled: 1-line block ×3, first 2 shown]
	s_waitcnt vmcnt(0)
	ds_write_b128 v5, v[1:4]
	s_waitcnt lgkmcnt(0)
	s_barrier
	buffer_gl0_inv
	v_cmpx_gt_u32_e32 8, v0
	s_cbranch_execz .LBB121_47
; %bb.44:
	v_mov_b32_e32 v1, 0
	v_mov_b32_e32 v3, 0
	v_add_nc_u32_e32 v7, -1, v0
	v_add_nc_u32_e32 v8, 0x3a0, v127
	v_mov_b32_e32 v2, 0
	v_mov_b32_e32 v4, 0
	v_add_nc_u32_e32 v125, 16, v127
	s_mov_b32 s5, 0
	.p2align	6
.LBB121_45:                             ; =>This Inner Loop Header: Depth=1
	s_clause 0x3
	buffer_load_dword v132, v125, s[0:3], 0 offen offset:8
	buffer_load_dword v133, v125, s[0:3], 0 offen offset:12
	buffer_load_dword v134, v125, s[0:3], 0 offen
	buffer_load_dword v135, v125, s[0:3], 0 offen offset:4
	ds_read_b128 v[128:131], v8
	v_add_nc_u32_e32 v7, 1, v7
	v_add_nc_u32_e32 v8, 16, v8
	;; [unrolled: 1-line block ×3, first 2 shown]
	v_cmp_lt_u32_e32 vcc_lo, 6, v7
	s_or_b32 s5, vcc_lo, s5
	s_waitcnt vmcnt(2) lgkmcnt(0)
	v_mul_f64 v[136:137], v[130:131], v[132:133]
	v_mul_f64 v[132:133], v[128:129], v[132:133]
	s_waitcnt vmcnt(0)
	v_fma_f64 v[128:129], v[128:129], v[134:135], -v[136:137]
	v_fma_f64 v[130:131], v[130:131], v[134:135], v[132:133]
	v_add_f64 v[3:4], v[3:4], v[128:129]
	v_add_f64 v[1:2], v[1:2], v[130:131]
	s_andn2_b32 exec_lo, exec_lo, s5
	s_cbranch_execnz .LBB121_45
; %bb.46:
	s_or_b32 exec_lo, exec_lo, s5
	v_mov_b32_e32 v7, 0
	ds_read_b128 v[128:131], v7 offset:128
	s_waitcnt lgkmcnt(0)
	v_mul_f64 v[7:8], v[1:2], v[130:131]
	v_mul_f64 v[125:126], v[3:4], v[130:131]
	v_fma_f64 v[3:4], v[3:4], v[128:129], -v[7:8]
	v_fma_f64 v[1:2], v[1:2], v[128:129], v[125:126]
	buffer_store_dword v4, off, s[0:3], 0 offset:148
	buffer_store_dword v3, off, s[0:3], 0 offset:144
	;; [unrolled: 1-line block ×4, first 2 shown]
.LBB121_47:
	s_or_b32 exec_lo, exec_lo, s4
	v_mov_b32_e32 v4, s61
	s_waitcnt_vscnt null, 0x0
	s_barrier
	buffer_gl0_inv
	s_mov_b32 s4, exec_lo
	s_clause 0x3
	buffer_load_dword v1, v4, s[0:3], 0 offen
	buffer_load_dword v2, v4, s[0:3], 0 offen offset:4
	buffer_load_dword v3, v4, s[0:3], 0 offen offset:8
	;; [unrolled: 1-line block ×3, first 2 shown]
	s_waitcnt vmcnt(0)
	ds_write_b128 v5, v[1:4]
	s_waitcnt lgkmcnt(0)
	s_barrier
	buffer_gl0_inv
	v_cmpx_gt_u32_e32 9, v0
	s_cbranch_execz .LBB121_51
; %bb.48:
	v_mov_b32_e32 v1, 0
	v_mov_b32_e32 v3, 0
	v_add_nc_u32_e32 v7, -1, v0
	v_add_nc_u32_e32 v8, 0x3a0, v127
	v_mov_b32_e32 v2, 0
	v_mov_b32_e32 v4, 0
	v_add_nc_u32_e32 v125, 16, v127
	s_mov_b32 s5, 0
	.p2align	6
.LBB121_49:                             ; =>This Inner Loop Header: Depth=1
	s_clause 0x3
	buffer_load_dword v132, v125, s[0:3], 0 offen offset:8
	buffer_load_dword v133, v125, s[0:3], 0 offen offset:12
	buffer_load_dword v134, v125, s[0:3], 0 offen
	buffer_load_dword v135, v125, s[0:3], 0 offen offset:4
	ds_read_b128 v[128:131], v8
	v_add_nc_u32_e32 v7, 1, v7
	v_add_nc_u32_e32 v8, 16, v8
	;; [unrolled: 1-line block ×3, first 2 shown]
	v_cmp_lt_u32_e32 vcc_lo, 7, v7
	s_or_b32 s5, vcc_lo, s5
	s_waitcnt vmcnt(2) lgkmcnt(0)
	v_mul_f64 v[136:137], v[130:131], v[132:133]
	v_mul_f64 v[132:133], v[128:129], v[132:133]
	s_waitcnt vmcnt(0)
	v_fma_f64 v[128:129], v[128:129], v[134:135], -v[136:137]
	v_fma_f64 v[130:131], v[130:131], v[134:135], v[132:133]
	v_add_f64 v[3:4], v[3:4], v[128:129]
	v_add_f64 v[1:2], v[1:2], v[130:131]
	s_andn2_b32 exec_lo, exec_lo, s5
	s_cbranch_execnz .LBB121_49
; %bb.50:
	s_or_b32 exec_lo, exec_lo, s5
	v_mov_b32_e32 v7, 0
	ds_read_b128 v[128:131], v7 offset:144
	s_waitcnt lgkmcnt(0)
	v_mul_f64 v[7:8], v[1:2], v[130:131]
	v_mul_f64 v[125:126], v[3:4], v[130:131]
	v_fma_f64 v[3:4], v[3:4], v[128:129], -v[7:8]
	v_fma_f64 v[1:2], v[1:2], v[128:129], v[125:126]
	buffer_store_dword v4, off, s[0:3], 0 offset:164
	buffer_store_dword v3, off, s[0:3], 0 offset:160
	;; [unrolled: 1-line block ×4, first 2 shown]
.LBB121_51:
	s_or_b32 exec_lo, exec_lo, s4
	v_mov_b32_e32 v4, s60
	s_waitcnt_vscnt null, 0x0
	s_barrier
	buffer_gl0_inv
	s_mov_b32 s4, exec_lo
	s_clause 0x3
	buffer_load_dword v1, v4, s[0:3], 0 offen
	buffer_load_dword v2, v4, s[0:3], 0 offen offset:4
	buffer_load_dword v3, v4, s[0:3], 0 offen offset:8
	;; [unrolled: 1-line block ×3, first 2 shown]
	s_waitcnt vmcnt(0)
	ds_write_b128 v5, v[1:4]
	s_waitcnt lgkmcnt(0)
	s_barrier
	buffer_gl0_inv
	v_cmpx_gt_u32_e32 10, v0
	s_cbranch_execz .LBB121_55
; %bb.52:
	v_mov_b32_e32 v1, 0
	v_mov_b32_e32 v3, 0
	v_add_nc_u32_e32 v7, -1, v0
	v_add_nc_u32_e32 v8, 0x3a0, v127
	v_mov_b32_e32 v2, 0
	v_mov_b32_e32 v4, 0
	v_add_nc_u32_e32 v125, 16, v127
	s_mov_b32 s5, 0
	.p2align	6
.LBB121_53:                             ; =>This Inner Loop Header: Depth=1
	s_clause 0x3
	buffer_load_dword v132, v125, s[0:3], 0 offen offset:8
	buffer_load_dword v133, v125, s[0:3], 0 offen offset:12
	buffer_load_dword v134, v125, s[0:3], 0 offen
	buffer_load_dword v135, v125, s[0:3], 0 offen offset:4
	ds_read_b128 v[128:131], v8
	v_add_nc_u32_e32 v7, 1, v7
	v_add_nc_u32_e32 v8, 16, v8
	;; [unrolled: 1-line block ×3, first 2 shown]
	v_cmp_lt_u32_e32 vcc_lo, 8, v7
	s_or_b32 s5, vcc_lo, s5
	s_waitcnt vmcnt(2) lgkmcnt(0)
	v_mul_f64 v[136:137], v[130:131], v[132:133]
	v_mul_f64 v[132:133], v[128:129], v[132:133]
	s_waitcnt vmcnt(0)
	v_fma_f64 v[128:129], v[128:129], v[134:135], -v[136:137]
	v_fma_f64 v[130:131], v[130:131], v[134:135], v[132:133]
	v_add_f64 v[3:4], v[3:4], v[128:129]
	v_add_f64 v[1:2], v[1:2], v[130:131]
	s_andn2_b32 exec_lo, exec_lo, s5
	s_cbranch_execnz .LBB121_53
; %bb.54:
	s_or_b32 exec_lo, exec_lo, s5
	v_mov_b32_e32 v7, 0
	ds_read_b128 v[128:131], v7 offset:160
	s_waitcnt lgkmcnt(0)
	v_mul_f64 v[7:8], v[1:2], v[130:131]
	v_mul_f64 v[125:126], v[3:4], v[130:131]
	v_fma_f64 v[3:4], v[3:4], v[128:129], -v[7:8]
	v_fma_f64 v[1:2], v[1:2], v[128:129], v[125:126]
	buffer_store_dword v4, off, s[0:3], 0 offset:180
	buffer_store_dword v3, off, s[0:3], 0 offset:176
	;; [unrolled: 1-line block ×4, first 2 shown]
.LBB121_55:
	s_or_b32 exec_lo, exec_lo, s4
	v_mov_b32_e32 v4, s59
	s_waitcnt_vscnt null, 0x0
	s_barrier
	buffer_gl0_inv
	s_mov_b32 s4, exec_lo
	s_clause 0x3
	buffer_load_dword v1, v4, s[0:3], 0 offen
	buffer_load_dword v2, v4, s[0:3], 0 offen offset:4
	buffer_load_dword v3, v4, s[0:3], 0 offen offset:8
	;; [unrolled: 1-line block ×3, first 2 shown]
	s_waitcnt vmcnt(0)
	ds_write_b128 v5, v[1:4]
	s_waitcnt lgkmcnt(0)
	s_barrier
	buffer_gl0_inv
	v_cmpx_gt_u32_e32 11, v0
	s_cbranch_execz .LBB121_59
; %bb.56:
	v_mov_b32_e32 v1, 0
	v_mov_b32_e32 v3, 0
	v_add_nc_u32_e32 v7, -1, v0
	v_add_nc_u32_e32 v8, 0x3a0, v127
	v_mov_b32_e32 v2, 0
	v_mov_b32_e32 v4, 0
	v_add_nc_u32_e32 v125, 16, v127
	s_mov_b32 s5, 0
	.p2align	6
.LBB121_57:                             ; =>This Inner Loop Header: Depth=1
	s_clause 0x3
	buffer_load_dword v132, v125, s[0:3], 0 offen offset:8
	buffer_load_dword v133, v125, s[0:3], 0 offen offset:12
	buffer_load_dword v134, v125, s[0:3], 0 offen
	buffer_load_dword v135, v125, s[0:3], 0 offen offset:4
	ds_read_b128 v[128:131], v8
	v_add_nc_u32_e32 v7, 1, v7
	v_add_nc_u32_e32 v8, 16, v8
	;; [unrolled: 1-line block ×3, first 2 shown]
	v_cmp_lt_u32_e32 vcc_lo, 9, v7
	s_or_b32 s5, vcc_lo, s5
	s_waitcnt vmcnt(2) lgkmcnt(0)
	v_mul_f64 v[136:137], v[130:131], v[132:133]
	v_mul_f64 v[132:133], v[128:129], v[132:133]
	s_waitcnt vmcnt(0)
	v_fma_f64 v[128:129], v[128:129], v[134:135], -v[136:137]
	v_fma_f64 v[130:131], v[130:131], v[134:135], v[132:133]
	v_add_f64 v[3:4], v[3:4], v[128:129]
	v_add_f64 v[1:2], v[1:2], v[130:131]
	s_andn2_b32 exec_lo, exec_lo, s5
	s_cbranch_execnz .LBB121_57
; %bb.58:
	s_or_b32 exec_lo, exec_lo, s5
	v_mov_b32_e32 v7, 0
	ds_read_b128 v[128:131], v7 offset:176
	s_waitcnt lgkmcnt(0)
	v_mul_f64 v[7:8], v[1:2], v[130:131]
	v_mul_f64 v[125:126], v[3:4], v[130:131]
	v_fma_f64 v[3:4], v[3:4], v[128:129], -v[7:8]
	v_fma_f64 v[1:2], v[1:2], v[128:129], v[125:126]
	buffer_store_dword v4, off, s[0:3], 0 offset:196
	buffer_store_dword v3, off, s[0:3], 0 offset:192
	;; [unrolled: 1-line block ×4, first 2 shown]
.LBB121_59:
	s_or_b32 exec_lo, exec_lo, s4
	v_mov_b32_e32 v4, s58
	s_waitcnt_vscnt null, 0x0
	s_barrier
	buffer_gl0_inv
	s_mov_b32 s4, exec_lo
	s_clause 0x3
	buffer_load_dword v1, v4, s[0:3], 0 offen
	buffer_load_dword v2, v4, s[0:3], 0 offen offset:4
	buffer_load_dword v3, v4, s[0:3], 0 offen offset:8
	;; [unrolled: 1-line block ×3, first 2 shown]
	s_waitcnt vmcnt(0)
	ds_write_b128 v5, v[1:4]
	s_waitcnt lgkmcnt(0)
	s_barrier
	buffer_gl0_inv
	v_cmpx_gt_u32_e32 12, v0
	s_cbranch_execz .LBB121_63
; %bb.60:
	v_mov_b32_e32 v1, 0
	v_mov_b32_e32 v3, 0
	v_add_nc_u32_e32 v7, -1, v0
	v_add_nc_u32_e32 v8, 0x3a0, v127
	v_mov_b32_e32 v2, 0
	v_mov_b32_e32 v4, 0
	v_add_nc_u32_e32 v125, 16, v127
	s_mov_b32 s5, 0
	.p2align	6
.LBB121_61:                             ; =>This Inner Loop Header: Depth=1
	s_clause 0x3
	buffer_load_dword v132, v125, s[0:3], 0 offen offset:8
	buffer_load_dword v133, v125, s[0:3], 0 offen offset:12
	buffer_load_dword v134, v125, s[0:3], 0 offen
	buffer_load_dword v135, v125, s[0:3], 0 offen offset:4
	ds_read_b128 v[128:131], v8
	v_add_nc_u32_e32 v7, 1, v7
	v_add_nc_u32_e32 v8, 16, v8
	;; [unrolled: 1-line block ×3, first 2 shown]
	v_cmp_lt_u32_e32 vcc_lo, 10, v7
	s_or_b32 s5, vcc_lo, s5
	s_waitcnt vmcnt(2) lgkmcnt(0)
	v_mul_f64 v[136:137], v[130:131], v[132:133]
	v_mul_f64 v[132:133], v[128:129], v[132:133]
	s_waitcnt vmcnt(0)
	v_fma_f64 v[128:129], v[128:129], v[134:135], -v[136:137]
	v_fma_f64 v[130:131], v[130:131], v[134:135], v[132:133]
	v_add_f64 v[3:4], v[3:4], v[128:129]
	v_add_f64 v[1:2], v[1:2], v[130:131]
	s_andn2_b32 exec_lo, exec_lo, s5
	s_cbranch_execnz .LBB121_61
; %bb.62:
	s_or_b32 exec_lo, exec_lo, s5
	v_mov_b32_e32 v7, 0
	ds_read_b128 v[128:131], v7 offset:192
	s_waitcnt lgkmcnt(0)
	v_mul_f64 v[7:8], v[1:2], v[130:131]
	v_mul_f64 v[125:126], v[3:4], v[130:131]
	v_fma_f64 v[3:4], v[3:4], v[128:129], -v[7:8]
	v_fma_f64 v[1:2], v[1:2], v[128:129], v[125:126]
	buffer_store_dword v4, off, s[0:3], 0 offset:212
	buffer_store_dword v3, off, s[0:3], 0 offset:208
	;; [unrolled: 1-line block ×4, first 2 shown]
.LBB121_63:
	s_or_b32 exec_lo, exec_lo, s4
	v_mov_b32_e32 v4, s57
	s_waitcnt_vscnt null, 0x0
	s_barrier
	buffer_gl0_inv
	s_mov_b32 s4, exec_lo
	s_clause 0x3
	buffer_load_dword v1, v4, s[0:3], 0 offen
	buffer_load_dword v2, v4, s[0:3], 0 offen offset:4
	buffer_load_dword v3, v4, s[0:3], 0 offen offset:8
	;; [unrolled: 1-line block ×3, first 2 shown]
	s_waitcnt vmcnt(0)
	ds_write_b128 v5, v[1:4]
	s_waitcnt lgkmcnt(0)
	s_barrier
	buffer_gl0_inv
	v_cmpx_gt_u32_e32 13, v0
	s_cbranch_execz .LBB121_67
; %bb.64:
	v_mov_b32_e32 v1, 0
	v_mov_b32_e32 v3, 0
	v_add_nc_u32_e32 v7, -1, v0
	v_add_nc_u32_e32 v8, 0x3a0, v127
	v_mov_b32_e32 v2, 0
	v_mov_b32_e32 v4, 0
	v_add_nc_u32_e32 v125, 16, v127
	s_mov_b32 s5, 0
	.p2align	6
.LBB121_65:                             ; =>This Inner Loop Header: Depth=1
	s_clause 0x3
	buffer_load_dword v132, v125, s[0:3], 0 offen offset:8
	buffer_load_dword v133, v125, s[0:3], 0 offen offset:12
	buffer_load_dword v134, v125, s[0:3], 0 offen
	buffer_load_dword v135, v125, s[0:3], 0 offen offset:4
	ds_read_b128 v[128:131], v8
	v_add_nc_u32_e32 v7, 1, v7
	v_add_nc_u32_e32 v8, 16, v8
	;; [unrolled: 1-line block ×3, first 2 shown]
	v_cmp_lt_u32_e32 vcc_lo, 11, v7
	s_or_b32 s5, vcc_lo, s5
	s_waitcnt vmcnt(2) lgkmcnt(0)
	v_mul_f64 v[136:137], v[130:131], v[132:133]
	v_mul_f64 v[132:133], v[128:129], v[132:133]
	s_waitcnt vmcnt(0)
	v_fma_f64 v[128:129], v[128:129], v[134:135], -v[136:137]
	v_fma_f64 v[130:131], v[130:131], v[134:135], v[132:133]
	v_add_f64 v[3:4], v[3:4], v[128:129]
	v_add_f64 v[1:2], v[1:2], v[130:131]
	s_andn2_b32 exec_lo, exec_lo, s5
	s_cbranch_execnz .LBB121_65
; %bb.66:
	s_or_b32 exec_lo, exec_lo, s5
	v_mov_b32_e32 v7, 0
	ds_read_b128 v[128:131], v7 offset:208
	s_waitcnt lgkmcnt(0)
	v_mul_f64 v[7:8], v[1:2], v[130:131]
	v_mul_f64 v[125:126], v[3:4], v[130:131]
	v_fma_f64 v[3:4], v[3:4], v[128:129], -v[7:8]
	v_fma_f64 v[1:2], v[1:2], v[128:129], v[125:126]
	buffer_store_dword v4, off, s[0:3], 0 offset:228
	buffer_store_dword v3, off, s[0:3], 0 offset:224
	;; [unrolled: 1-line block ×4, first 2 shown]
.LBB121_67:
	s_or_b32 exec_lo, exec_lo, s4
	v_mov_b32_e32 v4, s56
	s_waitcnt_vscnt null, 0x0
	s_barrier
	buffer_gl0_inv
	s_mov_b32 s4, exec_lo
	s_clause 0x3
	buffer_load_dword v1, v4, s[0:3], 0 offen
	buffer_load_dword v2, v4, s[0:3], 0 offen offset:4
	buffer_load_dword v3, v4, s[0:3], 0 offen offset:8
	;; [unrolled: 1-line block ×3, first 2 shown]
	s_waitcnt vmcnt(0)
	ds_write_b128 v5, v[1:4]
	s_waitcnt lgkmcnt(0)
	s_barrier
	buffer_gl0_inv
	v_cmpx_gt_u32_e32 14, v0
	s_cbranch_execz .LBB121_71
; %bb.68:
	v_mov_b32_e32 v1, 0
	v_mov_b32_e32 v3, 0
	v_add_nc_u32_e32 v7, -1, v0
	v_add_nc_u32_e32 v8, 0x3a0, v127
	v_mov_b32_e32 v2, 0
	v_mov_b32_e32 v4, 0
	v_add_nc_u32_e32 v125, 16, v127
	s_mov_b32 s5, 0
	.p2align	6
.LBB121_69:                             ; =>This Inner Loop Header: Depth=1
	s_clause 0x3
	buffer_load_dword v132, v125, s[0:3], 0 offen offset:8
	buffer_load_dword v133, v125, s[0:3], 0 offen offset:12
	buffer_load_dword v134, v125, s[0:3], 0 offen
	buffer_load_dword v135, v125, s[0:3], 0 offen offset:4
	ds_read_b128 v[128:131], v8
	v_add_nc_u32_e32 v7, 1, v7
	v_add_nc_u32_e32 v8, 16, v8
	;; [unrolled: 1-line block ×3, first 2 shown]
	v_cmp_lt_u32_e32 vcc_lo, 12, v7
	s_or_b32 s5, vcc_lo, s5
	s_waitcnt vmcnt(2) lgkmcnt(0)
	v_mul_f64 v[136:137], v[130:131], v[132:133]
	v_mul_f64 v[132:133], v[128:129], v[132:133]
	s_waitcnt vmcnt(0)
	v_fma_f64 v[128:129], v[128:129], v[134:135], -v[136:137]
	v_fma_f64 v[130:131], v[130:131], v[134:135], v[132:133]
	v_add_f64 v[3:4], v[3:4], v[128:129]
	v_add_f64 v[1:2], v[1:2], v[130:131]
	s_andn2_b32 exec_lo, exec_lo, s5
	s_cbranch_execnz .LBB121_69
; %bb.70:
	s_or_b32 exec_lo, exec_lo, s5
	v_mov_b32_e32 v7, 0
	ds_read_b128 v[128:131], v7 offset:224
	s_waitcnt lgkmcnt(0)
	v_mul_f64 v[7:8], v[1:2], v[130:131]
	v_mul_f64 v[125:126], v[3:4], v[130:131]
	v_fma_f64 v[3:4], v[3:4], v[128:129], -v[7:8]
	v_fma_f64 v[1:2], v[1:2], v[128:129], v[125:126]
	buffer_store_dword v4, off, s[0:3], 0 offset:244
	buffer_store_dword v3, off, s[0:3], 0 offset:240
	;; [unrolled: 1-line block ×4, first 2 shown]
.LBB121_71:
	s_or_b32 exec_lo, exec_lo, s4
	v_mov_b32_e32 v4, s55
	s_waitcnt_vscnt null, 0x0
	s_barrier
	buffer_gl0_inv
	s_mov_b32 s4, exec_lo
	s_clause 0x3
	buffer_load_dword v1, v4, s[0:3], 0 offen
	buffer_load_dword v2, v4, s[0:3], 0 offen offset:4
	buffer_load_dword v3, v4, s[0:3], 0 offen offset:8
	;; [unrolled: 1-line block ×3, first 2 shown]
	s_waitcnt vmcnt(0)
	ds_write_b128 v5, v[1:4]
	s_waitcnt lgkmcnt(0)
	s_barrier
	buffer_gl0_inv
	v_cmpx_gt_u32_e32 15, v0
	s_cbranch_execz .LBB121_75
; %bb.72:
	v_mov_b32_e32 v1, 0
	v_mov_b32_e32 v3, 0
	v_add_nc_u32_e32 v7, -1, v0
	v_add_nc_u32_e32 v8, 0x3a0, v127
	v_mov_b32_e32 v2, 0
	v_mov_b32_e32 v4, 0
	v_add_nc_u32_e32 v125, 16, v127
	s_mov_b32 s5, 0
	.p2align	6
.LBB121_73:                             ; =>This Inner Loop Header: Depth=1
	s_clause 0x3
	buffer_load_dword v132, v125, s[0:3], 0 offen offset:8
	buffer_load_dword v133, v125, s[0:3], 0 offen offset:12
	buffer_load_dword v134, v125, s[0:3], 0 offen
	buffer_load_dword v135, v125, s[0:3], 0 offen offset:4
	ds_read_b128 v[128:131], v8
	v_add_nc_u32_e32 v7, 1, v7
	v_add_nc_u32_e32 v8, 16, v8
	;; [unrolled: 1-line block ×3, first 2 shown]
	v_cmp_lt_u32_e32 vcc_lo, 13, v7
	s_or_b32 s5, vcc_lo, s5
	s_waitcnt vmcnt(2) lgkmcnt(0)
	v_mul_f64 v[136:137], v[130:131], v[132:133]
	v_mul_f64 v[132:133], v[128:129], v[132:133]
	s_waitcnt vmcnt(0)
	v_fma_f64 v[128:129], v[128:129], v[134:135], -v[136:137]
	v_fma_f64 v[130:131], v[130:131], v[134:135], v[132:133]
	v_add_f64 v[3:4], v[3:4], v[128:129]
	v_add_f64 v[1:2], v[1:2], v[130:131]
	s_andn2_b32 exec_lo, exec_lo, s5
	s_cbranch_execnz .LBB121_73
; %bb.74:
	s_or_b32 exec_lo, exec_lo, s5
	v_mov_b32_e32 v7, 0
	ds_read_b128 v[128:131], v7 offset:240
	s_waitcnt lgkmcnt(0)
	v_mul_f64 v[7:8], v[1:2], v[130:131]
	v_mul_f64 v[125:126], v[3:4], v[130:131]
	v_fma_f64 v[3:4], v[3:4], v[128:129], -v[7:8]
	v_fma_f64 v[1:2], v[1:2], v[128:129], v[125:126]
	buffer_store_dword v4, off, s[0:3], 0 offset:260
	buffer_store_dword v3, off, s[0:3], 0 offset:256
	;; [unrolled: 1-line block ×4, first 2 shown]
.LBB121_75:
	s_or_b32 exec_lo, exec_lo, s4
	v_mov_b32_e32 v4, s54
	s_waitcnt_vscnt null, 0x0
	s_barrier
	buffer_gl0_inv
	s_mov_b32 s4, exec_lo
	s_clause 0x3
	buffer_load_dword v1, v4, s[0:3], 0 offen
	buffer_load_dword v2, v4, s[0:3], 0 offen offset:4
	buffer_load_dword v3, v4, s[0:3], 0 offen offset:8
	;; [unrolled: 1-line block ×3, first 2 shown]
	s_waitcnt vmcnt(0)
	ds_write_b128 v5, v[1:4]
	s_waitcnt lgkmcnt(0)
	s_barrier
	buffer_gl0_inv
	v_cmpx_gt_u32_e32 16, v0
	s_cbranch_execz .LBB121_79
; %bb.76:
	v_mov_b32_e32 v1, 0
	v_mov_b32_e32 v3, 0
	v_add_nc_u32_e32 v7, -1, v0
	v_add_nc_u32_e32 v8, 0x3a0, v127
	v_mov_b32_e32 v2, 0
	v_mov_b32_e32 v4, 0
	v_add_nc_u32_e32 v125, 16, v127
	s_mov_b32 s5, 0
	.p2align	6
.LBB121_77:                             ; =>This Inner Loop Header: Depth=1
	s_clause 0x3
	buffer_load_dword v132, v125, s[0:3], 0 offen offset:8
	buffer_load_dword v133, v125, s[0:3], 0 offen offset:12
	buffer_load_dword v134, v125, s[0:3], 0 offen
	buffer_load_dword v135, v125, s[0:3], 0 offen offset:4
	ds_read_b128 v[128:131], v8
	v_add_nc_u32_e32 v7, 1, v7
	v_add_nc_u32_e32 v8, 16, v8
	;; [unrolled: 1-line block ×3, first 2 shown]
	v_cmp_lt_u32_e32 vcc_lo, 14, v7
	s_or_b32 s5, vcc_lo, s5
	s_waitcnt vmcnt(2) lgkmcnt(0)
	v_mul_f64 v[136:137], v[130:131], v[132:133]
	v_mul_f64 v[132:133], v[128:129], v[132:133]
	s_waitcnt vmcnt(0)
	v_fma_f64 v[128:129], v[128:129], v[134:135], -v[136:137]
	v_fma_f64 v[130:131], v[130:131], v[134:135], v[132:133]
	v_add_f64 v[3:4], v[3:4], v[128:129]
	v_add_f64 v[1:2], v[1:2], v[130:131]
	s_andn2_b32 exec_lo, exec_lo, s5
	s_cbranch_execnz .LBB121_77
; %bb.78:
	s_or_b32 exec_lo, exec_lo, s5
	v_mov_b32_e32 v7, 0
	ds_read_b128 v[128:131], v7 offset:256
	s_waitcnt lgkmcnt(0)
	v_mul_f64 v[7:8], v[1:2], v[130:131]
	v_mul_f64 v[125:126], v[3:4], v[130:131]
	v_fma_f64 v[3:4], v[3:4], v[128:129], -v[7:8]
	v_fma_f64 v[1:2], v[1:2], v[128:129], v[125:126]
	buffer_store_dword v4, off, s[0:3], 0 offset:276
	buffer_store_dword v3, off, s[0:3], 0 offset:272
	;; [unrolled: 1-line block ×4, first 2 shown]
.LBB121_79:
	s_or_b32 exec_lo, exec_lo, s4
	v_mov_b32_e32 v4, s53
	s_waitcnt_vscnt null, 0x0
	s_barrier
	buffer_gl0_inv
	s_mov_b32 s4, exec_lo
	s_clause 0x3
	buffer_load_dword v1, v4, s[0:3], 0 offen
	buffer_load_dword v2, v4, s[0:3], 0 offen offset:4
	buffer_load_dword v3, v4, s[0:3], 0 offen offset:8
	;; [unrolled: 1-line block ×3, first 2 shown]
	s_waitcnt vmcnt(0)
	ds_write_b128 v5, v[1:4]
	s_waitcnt lgkmcnt(0)
	s_barrier
	buffer_gl0_inv
	v_cmpx_gt_u32_e32 17, v0
	s_cbranch_execz .LBB121_83
; %bb.80:
	v_mov_b32_e32 v1, 0
	v_mov_b32_e32 v3, 0
	v_add_nc_u32_e32 v7, -1, v0
	v_add_nc_u32_e32 v8, 0x3a0, v127
	v_mov_b32_e32 v2, 0
	v_mov_b32_e32 v4, 0
	v_add_nc_u32_e32 v125, 16, v127
	s_mov_b32 s5, 0
	.p2align	6
.LBB121_81:                             ; =>This Inner Loop Header: Depth=1
	s_clause 0x3
	buffer_load_dword v132, v125, s[0:3], 0 offen offset:8
	buffer_load_dword v133, v125, s[0:3], 0 offen offset:12
	buffer_load_dword v134, v125, s[0:3], 0 offen
	buffer_load_dword v135, v125, s[0:3], 0 offen offset:4
	ds_read_b128 v[128:131], v8
	v_add_nc_u32_e32 v7, 1, v7
	v_add_nc_u32_e32 v8, 16, v8
	;; [unrolled: 1-line block ×3, first 2 shown]
	v_cmp_lt_u32_e32 vcc_lo, 15, v7
	s_or_b32 s5, vcc_lo, s5
	s_waitcnt vmcnt(2) lgkmcnt(0)
	v_mul_f64 v[136:137], v[130:131], v[132:133]
	v_mul_f64 v[132:133], v[128:129], v[132:133]
	s_waitcnt vmcnt(0)
	v_fma_f64 v[128:129], v[128:129], v[134:135], -v[136:137]
	v_fma_f64 v[130:131], v[130:131], v[134:135], v[132:133]
	v_add_f64 v[3:4], v[3:4], v[128:129]
	v_add_f64 v[1:2], v[1:2], v[130:131]
	s_andn2_b32 exec_lo, exec_lo, s5
	s_cbranch_execnz .LBB121_81
; %bb.82:
	s_or_b32 exec_lo, exec_lo, s5
	v_mov_b32_e32 v7, 0
	ds_read_b128 v[128:131], v7 offset:272
	s_waitcnt lgkmcnt(0)
	v_mul_f64 v[7:8], v[1:2], v[130:131]
	v_mul_f64 v[125:126], v[3:4], v[130:131]
	v_fma_f64 v[3:4], v[3:4], v[128:129], -v[7:8]
	v_fma_f64 v[1:2], v[1:2], v[128:129], v[125:126]
	buffer_store_dword v4, off, s[0:3], 0 offset:292
	buffer_store_dword v3, off, s[0:3], 0 offset:288
	;; [unrolled: 1-line block ×4, first 2 shown]
.LBB121_83:
	s_or_b32 exec_lo, exec_lo, s4
	v_mov_b32_e32 v4, s52
	s_waitcnt_vscnt null, 0x0
	s_barrier
	buffer_gl0_inv
	s_mov_b32 s4, exec_lo
	s_clause 0x3
	buffer_load_dword v1, v4, s[0:3], 0 offen
	buffer_load_dword v2, v4, s[0:3], 0 offen offset:4
	buffer_load_dword v3, v4, s[0:3], 0 offen offset:8
	;; [unrolled: 1-line block ×3, first 2 shown]
	s_waitcnt vmcnt(0)
	ds_write_b128 v5, v[1:4]
	s_waitcnt lgkmcnt(0)
	s_barrier
	buffer_gl0_inv
	v_cmpx_gt_u32_e32 18, v0
	s_cbranch_execz .LBB121_87
; %bb.84:
	v_mov_b32_e32 v1, 0
	v_mov_b32_e32 v3, 0
	v_add_nc_u32_e32 v7, -1, v0
	v_add_nc_u32_e32 v8, 0x3a0, v127
	v_mov_b32_e32 v2, 0
	v_mov_b32_e32 v4, 0
	v_add_nc_u32_e32 v125, 16, v127
	s_mov_b32 s5, 0
	.p2align	6
.LBB121_85:                             ; =>This Inner Loop Header: Depth=1
	s_clause 0x3
	buffer_load_dword v132, v125, s[0:3], 0 offen offset:8
	buffer_load_dword v133, v125, s[0:3], 0 offen offset:12
	buffer_load_dword v134, v125, s[0:3], 0 offen
	buffer_load_dword v135, v125, s[0:3], 0 offen offset:4
	ds_read_b128 v[128:131], v8
	v_add_nc_u32_e32 v7, 1, v7
	v_add_nc_u32_e32 v8, 16, v8
	;; [unrolled: 1-line block ×3, first 2 shown]
	v_cmp_lt_u32_e32 vcc_lo, 16, v7
	s_or_b32 s5, vcc_lo, s5
	s_waitcnt vmcnt(2) lgkmcnt(0)
	v_mul_f64 v[136:137], v[130:131], v[132:133]
	v_mul_f64 v[132:133], v[128:129], v[132:133]
	s_waitcnt vmcnt(0)
	v_fma_f64 v[128:129], v[128:129], v[134:135], -v[136:137]
	v_fma_f64 v[130:131], v[130:131], v[134:135], v[132:133]
	v_add_f64 v[3:4], v[3:4], v[128:129]
	v_add_f64 v[1:2], v[1:2], v[130:131]
	s_andn2_b32 exec_lo, exec_lo, s5
	s_cbranch_execnz .LBB121_85
; %bb.86:
	s_or_b32 exec_lo, exec_lo, s5
	v_mov_b32_e32 v7, 0
	ds_read_b128 v[128:131], v7 offset:288
	s_waitcnt lgkmcnt(0)
	v_mul_f64 v[7:8], v[1:2], v[130:131]
	v_mul_f64 v[125:126], v[3:4], v[130:131]
	v_fma_f64 v[3:4], v[3:4], v[128:129], -v[7:8]
	v_fma_f64 v[1:2], v[1:2], v[128:129], v[125:126]
	buffer_store_dword v4, off, s[0:3], 0 offset:308
	buffer_store_dword v3, off, s[0:3], 0 offset:304
	;; [unrolled: 1-line block ×4, first 2 shown]
.LBB121_87:
	s_or_b32 exec_lo, exec_lo, s4
	v_mov_b32_e32 v4, s51
	s_waitcnt_vscnt null, 0x0
	s_barrier
	buffer_gl0_inv
	s_mov_b32 s4, exec_lo
	s_clause 0x3
	buffer_load_dword v1, v4, s[0:3], 0 offen
	buffer_load_dword v2, v4, s[0:3], 0 offen offset:4
	buffer_load_dword v3, v4, s[0:3], 0 offen offset:8
	;; [unrolled: 1-line block ×3, first 2 shown]
	s_waitcnt vmcnt(0)
	ds_write_b128 v5, v[1:4]
	s_waitcnt lgkmcnt(0)
	s_barrier
	buffer_gl0_inv
	v_cmpx_gt_u32_e32 19, v0
	s_cbranch_execz .LBB121_91
; %bb.88:
	v_mov_b32_e32 v1, 0
	v_mov_b32_e32 v3, 0
	v_add_nc_u32_e32 v7, -1, v0
	v_add_nc_u32_e32 v8, 0x3a0, v127
	v_mov_b32_e32 v2, 0
	v_mov_b32_e32 v4, 0
	v_add_nc_u32_e32 v125, 16, v127
	s_mov_b32 s5, 0
	.p2align	6
.LBB121_89:                             ; =>This Inner Loop Header: Depth=1
	s_clause 0x3
	buffer_load_dword v132, v125, s[0:3], 0 offen offset:8
	buffer_load_dword v133, v125, s[0:3], 0 offen offset:12
	buffer_load_dword v134, v125, s[0:3], 0 offen
	buffer_load_dword v135, v125, s[0:3], 0 offen offset:4
	ds_read_b128 v[128:131], v8
	v_add_nc_u32_e32 v7, 1, v7
	v_add_nc_u32_e32 v8, 16, v8
	;; [unrolled: 1-line block ×3, first 2 shown]
	v_cmp_lt_u32_e32 vcc_lo, 17, v7
	s_or_b32 s5, vcc_lo, s5
	s_waitcnt vmcnt(2) lgkmcnt(0)
	v_mul_f64 v[136:137], v[130:131], v[132:133]
	v_mul_f64 v[132:133], v[128:129], v[132:133]
	s_waitcnt vmcnt(0)
	v_fma_f64 v[128:129], v[128:129], v[134:135], -v[136:137]
	v_fma_f64 v[130:131], v[130:131], v[134:135], v[132:133]
	v_add_f64 v[3:4], v[3:4], v[128:129]
	v_add_f64 v[1:2], v[1:2], v[130:131]
	s_andn2_b32 exec_lo, exec_lo, s5
	s_cbranch_execnz .LBB121_89
; %bb.90:
	s_or_b32 exec_lo, exec_lo, s5
	v_mov_b32_e32 v7, 0
	ds_read_b128 v[128:131], v7 offset:304
	s_waitcnt lgkmcnt(0)
	v_mul_f64 v[7:8], v[1:2], v[130:131]
	v_mul_f64 v[125:126], v[3:4], v[130:131]
	v_fma_f64 v[3:4], v[3:4], v[128:129], -v[7:8]
	v_fma_f64 v[1:2], v[1:2], v[128:129], v[125:126]
	buffer_store_dword v4, off, s[0:3], 0 offset:324
	buffer_store_dword v3, off, s[0:3], 0 offset:320
	;; [unrolled: 1-line block ×4, first 2 shown]
.LBB121_91:
	s_or_b32 exec_lo, exec_lo, s4
	v_mov_b32_e32 v4, s50
	s_waitcnt_vscnt null, 0x0
	s_barrier
	buffer_gl0_inv
	s_mov_b32 s4, exec_lo
	s_clause 0x3
	buffer_load_dword v1, v4, s[0:3], 0 offen
	buffer_load_dword v2, v4, s[0:3], 0 offen offset:4
	buffer_load_dword v3, v4, s[0:3], 0 offen offset:8
	;; [unrolled: 1-line block ×3, first 2 shown]
	s_waitcnt vmcnt(0)
	ds_write_b128 v5, v[1:4]
	s_waitcnt lgkmcnt(0)
	s_barrier
	buffer_gl0_inv
	v_cmpx_gt_u32_e32 20, v0
	s_cbranch_execz .LBB121_95
; %bb.92:
	v_mov_b32_e32 v1, 0
	v_mov_b32_e32 v3, 0
	v_add_nc_u32_e32 v7, -1, v0
	v_add_nc_u32_e32 v8, 0x3a0, v127
	v_mov_b32_e32 v2, 0
	v_mov_b32_e32 v4, 0
	v_add_nc_u32_e32 v125, 16, v127
	s_mov_b32 s5, 0
	.p2align	6
.LBB121_93:                             ; =>This Inner Loop Header: Depth=1
	s_clause 0x3
	buffer_load_dword v132, v125, s[0:3], 0 offen offset:8
	buffer_load_dword v133, v125, s[0:3], 0 offen offset:12
	buffer_load_dword v134, v125, s[0:3], 0 offen
	buffer_load_dword v135, v125, s[0:3], 0 offen offset:4
	ds_read_b128 v[128:131], v8
	v_add_nc_u32_e32 v7, 1, v7
	v_add_nc_u32_e32 v8, 16, v8
	;; [unrolled: 1-line block ×3, first 2 shown]
	v_cmp_lt_u32_e32 vcc_lo, 18, v7
	s_or_b32 s5, vcc_lo, s5
	s_waitcnt vmcnt(2) lgkmcnt(0)
	v_mul_f64 v[136:137], v[130:131], v[132:133]
	v_mul_f64 v[132:133], v[128:129], v[132:133]
	s_waitcnt vmcnt(0)
	v_fma_f64 v[128:129], v[128:129], v[134:135], -v[136:137]
	v_fma_f64 v[130:131], v[130:131], v[134:135], v[132:133]
	v_add_f64 v[3:4], v[3:4], v[128:129]
	v_add_f64 v[1:2], v[1:2], v[130:131]
	s_andn2_b32 exec_lo, exec_lo, s5
	s_cbranch_execnz .LBB121_93
; %bb.94:
	s_or_b32 exec_lo, exec_lo, s5
	v_mov_b32_e32 v7, 0
	ds_read_b128 v[128:131], v7 offset:320
	s_waitcnt lgkmcnt(0)
	v_mul_f64 v[7:8], v[1:2], v[130:131]
	v_mul_f64 v[125:126], v[3:4], v[130:131]
	v_fma_f64 v[3:4], v[3:4], v[128:129], -v[7:8]
	v_fma_f64 v[1:2], v[1:2], v[128:129], v[125:126]
	buffer_store_dword v4, off, s[0:3], 0 offset:340
	buffer_store_dword v3, off, s[0:3], 0 offset:336
	;; [unrolled: 1-line block ×4, first 2 shown]
.LBB121_95:
	s_or_b32 exec_lo, exec_lo, s4
	v_mov_b32_e32 v4, s49
	s_waitcnt_vscnt null, 0x0
	s_barrier
	buffer_gl0_inv
	s_mov_b32 s4, exec_lo
	s_clause 0x3
	buffer_load_dword v1, v4, s[0:3], 0 offen
	buffer_load_dword v2, v4, s[0:3], 0 offen offset:4
	buffer_load_dword v3, v4, s[0:3], 0 offen offset:8
	;; [unrolled: 1-line block ×3, first 2 shown]
	s_waitcnt vmcnt(0)
	ds_write_b128 v5, v[1:4]
	s_waitcnt lgkmcnt(0)
	s_barrier
	buffer_gl0_inv
	v_cmpx_gt_u32_e32 21, v0
	s_cbranch_execz .LBB121_99
; %bb.96:
	v_mov_b32_e32 v1, 0
	v_mov_b32_e32 v3, 0
	v_add_nc_u32_e32 v7, -1, v0
	v_add_nc_u32_e32 v8, 0x3a0, v127
	v_mov_b32_e32 v2, 0
	v_mov_b32_e32 v4, 0
	v_add_nc_u32_e32 v125, 16, v127
	s_mov_b32 s5, 0
	.p2align	6
.LBB121_97:                             ; =>This Inner Loop Header: Depth=1
	s_clause 0x3
	buffer_load_dword v132, v125, s[0:3], 0 offen offset:8
	buffer_load_dword v133, v125, s[0:3], 0 offen offset:12
	buffer_load_dword v134, v125, s[0:3], 0 offen
	buffer_load_dword v135, v125, s[0:3], 0 offen offset:4
	ds_read_b128 v[128:131], v8
	v_add_nc_u32_e32 v7, 1, v7
	v_add_nc_u32_e32 v8, 16, v8
	;; [unrolled: 1-line block ×3, first 2 shown]
	v_cmp_lt_u32_e32 vcc_lo, 19, v7
	s_or_b32 s5, vcc_lo, s5
	s_waitcnt vmcnt(2) lgkmcnt(0)
	v_mul_f64 v[136:137], v[130:131], v[132:133]
	v_mul_f64 v[132:133], v[128:129], v[132:133]
	s_waitcnt vmcnt(0)
	v_fma_f64 v[128:129], v[128:129], v[134:135], -v[136:137]
	v_fma_f64 v[130:131], v[130:131], v[134:135], v[132:133]
	v_add_f64 v[3:4], v[3:4], v[128:129]
	v_add_f64 v[1:2], v[1:2], v[130:131]
	s_andn2_b32 exec_lo, exec_lo, s5
	s_cbranch_execnz .LBB121_97
; %bb.98:
	s_or_b32 exec_lo, exec_lo, s5
	v_mov_b32_e32 v7, 0
	ds_read_b128 v[128:131], v7 offset:336
	s_waitcnt lgkmcnt(0)
	v_mul_f64 v[7:8], v[1:2], v[130:131]
	v_mul_f64 v[125:126], v[3:4], v[130:131]
	v_fma_f64 v[3:4], v[3:4], v[128:129], -v[7:8]
	v_fma_f64 v[1:2], v[1:2], v[128:129], v[125:126]
	buffer_store_dword v4, off, s[0:3], 0 offset:356
	buffer_store_dword v3, off, s[0:3], 0 offset:352
	;; [unrolled: 1-line block ×4, first 2 shown]
.LBB121_99:
	s_or_b32 exec_lo, exec_lo, s4
	v_mov_b32_e32 v4, s48
	s_waitcnt_vscnt null, 0x0
	s_barrier
	buffer_gl0_inv
	s_mov_b32 s4, exec_lo
	s_clause 0x3
	buffer_load_dword v1, v4, s[0:3], 0 offen
	buffer_load_dword v2, v4, s[0:3], 0 offen offset:4
	buffer_load_dword v3, v4, s[0:3], 0 offen offset:8
	;; [unrolled: 1-line block ×3, first 2 shown]
	s_waitcnt vmcnt(0)
	ds_write_b128 v5, v[1:4]
	s_waitcnt lgkmcnt(0)
	s_barrier
	buffer_gl0_inv
	v_cmpx_gt_u32_e32 22, v0
	s_cbranch_execz .LBB121_103
; %bb.100:
	v_mov_b32_e32 v1, 0
	v_mov_b32_e32 v3, 0
	v_add_nc_u32_e32 v7, -1, v0
	v_add_nc_u32_e32 v8, 0x3a0, v127
	v_mov_b32_e32 v2, 0
	v_mov_b32_e32 v4, 0
	v_add_nc_u32_e32 v125, 16, v127
	s_mov_b32 s5, 0
	.p2align	6
.LBB121_101:                            ; =>This Inner Loop Header: Depth=1
	s_clause 0x3
	buffer_load_dword v132, v125, s[0:3], 0 offen offset:8
	buffer_load_dword v133, v125, s[0:3], 0 offen offset:12
	buffer_load_dword v134, v125, s[0:3], 0 offen
	buffer_load_dword v135, v125, s[0:3], 0 offen offset:4
	ds_read_b128 v[128:131], v8
	v_add_nc_u32_e32 v7, 1, v7
	v_add_nc_u32_e32 v8, 16, v8
	v_add_nc_u32_e32 v125, 16, v125
	v_cmp_lt_u32_e32 vcc_lo, 20, v7
	s_or_b32 s5, vcc_lo, s5
	s_waitcnt vmcnt(2) lgkmcnt(0)
	v_mul_f64 v[136:137], v[130:131], v[132:133]
	v_mul_f64 v[132:133], v[128:129], v[132:133]
	s_waitcnt vmcnt(0)
	v_fma_f64 v[128:129], v[128:129], v[134:135], -v[136:137]
	v_fma_f64 v[130:131], v[130:131], v[134:135], v[132:133]
	v_add_f64 v[3:4], v[3:4], v[128:129]
	v_add_f64 v[1:2], v[1:2], v[130:131]
	s_andn2_b32 exec_lo, exec_lo, s5
	s_cbranch_execnz .LBB121_101
; %bb.102:
	s_or_b32 exec_lo, exec_lo, s5
	v_mov_b32_e32 v7, 0
	ds_read_b128 v[128:131], v7 offset:352
	s_waitcnt lgkmcnt(0)
	v_mul_f64 v[7:8], v[1:2], v[130:131]
	v_mul_f64 v[125:126], v[3:4], v[130:131]
	v_fma_f64 v[3:4], v[3:4], v[128:129], -v[7:8]
	v_fma_f64 v[1:2], v[1:2], v[128:129], v[125:126]
	buffer_store_dword v4, off, s[0:3], 0 offset:372
	buffer_store_dword v3, off, s[0:3], 0 offset:368
	;; [unrolled: 1-line block ×4, first 2 shown]
.LBB121_103:
	s_or_b32 exec_lo, exec_lo, s4
	v_mov_b32_e32 v4, s47
	s_waitcnt_vscnt null, 0x0
	s_barrier
	buffer_gl0_inv
	s_mov_b32 s4, exec_lo
	s_clause 0x3
	buffer_load_dword v1, v4, s[0:3], 0 offen
	buffer_load_dword v2, v4, s[0:3], 0 offen offset:4
	buffer_load_dword v3, v4, s[0:3], 0 offen offset:8
	;; [unrolled: 1-line block ×3, first 2 shown]
	s_waitcnt vmcnt(0)
	ds_write_b128 v5, v[1:4]
	s_waitcnt lgkmcnt(0)
	s_barrier
	buffer_gl0_inv
	v_cmpx_gt_u32_e32 23, v0
	s_cbranch_execz .LBB121_107
; %bb.104:
	v_mov_b32_e32 v1, 0
	v_mov_b32_e32 v3, 0
	v_add_nc_u32_e32 v7, -1, v0
	v_add_nc_u32_e32 v8, 0x3a0, v127
	v_mov_b32_e32 v2, 0
	v_mov_b32_e32 v4, 0
	v_add_nc_u32_e32 v125, 16, v127
	s_mov_b32 s5, 0
	.p2align	6
.LBB121_105:                            ; =>This Inner Loop Header: Depth=1
	s_clause 0x3
	buffer_load_dword v132, v125, s[0:3], 0 offen offset:8
	buffer_load_dword v133, v125, s[0:3], 0 offen offset:12
	buffer_load_dword v134, v125, s[0:3], 0 offen
	buffer_load_dword v135, v125, s[0:3], 0 offen offset:4
	ds_read_b128 v[128:131], v8
	v_add_nc_u32_e32 v7, 1, v7
	v_add_nc_u32_e32 v8, 16, v8
	;; [unrolled: 1-line block ×3, first 2 shown]
	v_cmp_lt_u32_e32 vcc_lo, 21, v7
	s_or_b32 s5, vcc_lo, s5
	s_waitcnt vmcnt(2) lgkmcnt(0)
	v_mul_f64 v[136:137], v[130:131], v[132:133]
	v_mul_f64 v[132:133], v[128:129], v[132:133]
	s_waitcnt vmcnt(0)
	v_fma_f64 v[128:129], v[128:129], v[134:135], -v[136:137]
	v_fma_f64 v[130:131], v[130:131], v[134:135], v[132:133]
	v_add_f64 v[3:4], v[3:4], v[128:129]
	v_add_f64 v[1:2], v[1:2], v[130:131]
	s_andn2_b32 exec_lo, exec_lo, s5
	s_cbranch_execnz .LBB121_105
; %bb.106:
	s_or_b32 exec_lo, exec_lo, s5
	v_mov_b32_e32 v7, 0
	ds_read_b128 v[128:131], v7 offset:368
	s_waitcnt lgkmcnt(0)
	v_mul_f64 v[7:8], v[1:2], v[130:131]
	v_mul_f64 v[125:126], v[3:4], v[130:131]
	v_fma_f64 v[3:4], v[3:4], v[128:129], -v[7:8]
	v_fma_f64 v[1:2], v[1:2], v[128:129], v[125:126]
	buffer_store_dword v4, off, s[0:3], 0 offset:388
	buffer_store_dword v3, off, s[0:3], 0 offset:384
	;; [unrolled: 1-line block ×4, first 2 shown]
.LBB121_107:
	s_or_b32 exec_lo, exec_lo, s4
	v_mov_b32_e32 v4, s46
	s_waitcnt_vscnt null, 0x0
	s_barrier
	buffer_gl0_inv
	s_mov_b32 s4, exec_lo
	s_clause 0x3
	buffer_load_dword v1, v4, s[0:3], 0 offen
	buffer_load_dword v2, v4, s[0:3], 0 offen offset:4
	buffer_load_dword v3, v4, s[0:3], 0 offen offset:8
	;; [unrolled: 1-line block ×3, first 2 shown]
	s_waitcnt vmcnt(0)
	ds_write_b128 v5, v[1:4]
	s_waitcnt lgkmcnt(0)
	s_barrier
	buffer_gl0_inv
	v_cmpx_gt_u32_e32 24, v0
	s_cbranch_execz .LBB121_111
; %bb.108:
	v_mov_b32_e32 v1, 0
	v_mov_b32_e32 v3, 0
	v_add_nc_u32_e32 v7, -1, v0
	v_add_nc_u32_e32 v8, 0x3a0, v127
	v_mov_b32_e32 v2, 0
	v_mov_b32_e32 v4, 0
	v_add_nc_u32_e32 v125, 16, v127
	s_mov_b32 s5, 0
	.p2align	6
.LBB121_109:                            ; =>This Inner Loop Header: Depth=1
	s_clause 0x3
	buffer_load_dword v132, v125, s[0:3], 0 offen offset:8
	buffer_load_dword v133, v125, s[0:3], 0 offen offset:12
	buffer_load_dword v134, v125, s[0:3], 0 offen
	buffer_load_dword v135, v125, s[0:3], 0 offen offset:4
	ds_read_b128 v[128:131], v8
	v_add_nc_u32_e32 v7, 1, v7
	v_add_nc_u32_e32 v8, 16, v8
	;; [unrolled: 1-line block ×3, first 2 shown]
	v_cmp_lt_u32_e32 vcc_lo, 22, v7
	s_or_b32 s5, vcc_lo, s5
	s_waitcnt vmcnt(2) lgkmcnt(0)
	v_mul_f64 v[136:137], v[130:131], v[132:133]
	v_mul_f64 v[132:133], v[128:129], v[132:133]
	s_waitcnt vmcnt(0)
	v_fma_f64 v[128:129], v[128:129], v[134:135], -v[136:137]
	v_fma_f64 v[130:131], v[130:131], v[134:135], v[132:133]
	v_add_f64 v[3:4], v[3:4], v[128:129]
	v_add_f64 v[1:2], v[1:2], v[130:131]
	s_andn2_b32 exec_lo, exec_lo, s5
	s_cbranch_execnz .LBB121_109
; %bb.110:
	s_or_b32 exec_lo, exec_lo, s5
	v_mov_b32_e32 v7, 0
	ds_read_b128 v[128:131], v7 offset:384
	s_waitcnt lgkmcnt(0)
	v_mul_f64 v[7:8], v[1:2], v[130:131]
	v_mul_f64 v[125:126], v[3:4], v[130:131]
	v_fma_f64 v[3:4], v[3:4], v[128:129], -v[7:8]
	v_fma_f64 v[1:2], v[1:2], v[128:129], v[125:126]
	buffer_store_dword v4, off, s[0:3], 0 offset:404
	buffer_store_dword v3, off, s[0:3], 0 offset:400
	;; [unrolled: 1-line block ×4, first 2 shown]
.LBB121_111:
	s_or_b32 exec_lo, exec_lo, s4
	v_mov_b32_e32 v4, s45
	s_waitcnt_vscnt null, 0x0
	s_barrier
	buffer_gl0_inv
	s_mov_b32 s4, exec_lo
	s_clause 0x3
	buffer_load_dword v1, v4, s[0:3], 0 offen
	buffer_load_dword v2, v4, s[0:3], 0 offen offset:4
	buffer_load_dword v3, v4, s[0:3], 0 offen offset:8
	;; [unrolled: 1-line block ×3, first 2 shown]
	s_waitcnt vmcnt(0)
	ds_write_b128 v5, v[1:4]
	s_waitcnt lgkmcnt(0)
	s_barrier
	buffer_gl0_inv
	v_cmpx_gt_u32_e32 25, v0
	s_cbranch_execz .LBB121_115
; %bb.112:
	v_mov_b32_e32 v1, 0
	v_mov_b32_e32 v3, 0
	v_add_nc_u32_e32 v7, -1, v0
	v_add_nc_u32_e32 v8, 0x3a0, v127
	v_mov_b32_e32 v2, 0
	v_mov_b32_e32 v4, 0
	v_add_nc_u32_e32 v125, 16, v127
	s_mov_b32 s5, 0
	.p2align	6
.LBB121_113:                            ; =>This Inner Loop Header: Depth=1
	s_clause 0x3
	buffer_load_dword v132, v125, s[0:3], 0 offen offset:8
	buffer_load_dword v133, v125, s[0:3], 0 offen offset:12
	buffer_load_dword v134, v125, s[0:3], 0 offen
	buffer_load_dword v135, v125, s[0:3], 0 offen offset:4
	ds_read_b128 v[128:131], v8
	v_add_nc_u32_e32 v7, 1, v7
	v_add_nc_u32_e32 v8, 16, v8
	v_add_nc_u32_e32 v125, 16, v125
	v_cmp_lt_u32_e32 vcc_lo, 23, v7
	s_or_b32 s5, vcc_lo, s5
	s_waitcnt vmcnt(2) lgkmcnt(0)
	v_mul_f64 v[136:137], v[130:131], v[132:133]
	v_mul_f64 v[132:133], v[128:129], v[132:133]
	s_waitcnt vmcnt(0)
	v_fma_f64 v[128:129], v[128:129], v[134:135], -v[136:137]
	v_fma_f64 v[130:131], v[130:131], v[134:135], v[132:133]
	v_add_f64 v[3:4], v[3:4], v[128:129]
	v_add_f64 v[1:2], v[1:2], v[130:131]
	s_andn2_b32 exec_lo, exec_lo, s5
	s_cbranch_execnz .LBB121_113
; %bb.114:
	s_or_b32 exec_lo, exec_lo, s5
	v_mov_b32_e32 v7, 0
	ds_read_b128 v[128:131], v7 offset:400
	s_waitcnt lgkmcnt(0)
	v_mul_f64 v[7:8], v[1:2], v[130:131]
	v_mul_f64 v[125:126], v[3:4], v[130:131]
	v_fma_f64 v[3:4], v[3:4], v[128:129], -v[7:8]
	v_fma_f64 v[1:2], v[1:2], v[128:129], v[125:126]
	buffer_store_dword v4, off, s[0:3], 0 offset:420
	buffer_store_dword v3, off, s[0:3], 0 offset:416
	buffer_store_dword v2, off, s[0:3], 0 offset:428
	buffer_store_dword v1, off, s[0:3], 0 offset:424
.LBB121_115:
	s_or_b32 exec_lo, exec_lo, s4
	v_mov_b32_e32 v4, s44
	s_waitcnt_vscnt null, 0x0
	s_barrier
	buffer_gl0_inv
	s_mov_b32 s4, exec_lo
	s_clause 0x3
	buffer_load_dword v1, v4, s[0:3], 0 offen
	buffer_load_dword v2, v4, s[0:3], 0 offen offset:4
	buffer_load_dword v3, v4, s[0:3], 0 offen offset:8
	;; [unrolled: 1-line block ×3, first 2 shown]
	s_waitcnt vmcnt(0)
	ds_write_b128 v5, v[1:4]
	s_waitcnt lgkmcnt(0)
	s_barrier
	buffer_gl0_inv
	v_cmpx_gt_u32_e32 26, v0
	s_cbranch_execz .LBB121_119
; %bb.116:
	v_mov_b32_e32 v1, 0
	v_mov_b32_e32 v3, 0
	v_add_nc_u32_e32 v7, -1, v0
	v_add_nc_u32_e32 v8, 0x3a0, v127
	v_mov_b32_e32 v2, 0
	v_mov_b32_e32 v4, 0
	v_add_nc_u32_e32 v125, 16, v127
	s_mov_b32 s5, 0
	.p2align	6
.LBB121_117:                            ; =>This Inner Loop Header: Depth=1
	s_clause 0x3
	buffer_load_dword v132, v125, s[0:3], 0 offen offset:8
	buffer_load_dword v133, v125, s[0:3], 0 offen offset:12
	buffer_load_dword v134, v125, s[0:3], 0 offen
	buffer_load_dword v135, v125, s[0:3], 0 offen offset:4
	ds_read_b128 v[128:131], v8
	v_add_nc_u32_e32 v7, 1, v7
	v_add_nc_u32_e32 v8, 16, v8
	;; [unrolled: 1-line block ×3, first 2 shown]
	v_cmp_lt_u32_e32 vcc_lo, 24, v7
	s_or_b32 s5, vcc_lo, s5
	s_waitcnt vmcnt(2) lgkmcnt(0)
	v_mul_f64 v[136:137], v[130:131], v[132:133]
	v_mul_f64 v[132:133], v[128:129], v[132:133]
	s_waitcnt vmcnt(0)
	v_fma_f64 v[128:129], v[128:129], v[134:135], -v[136:137]
	v_fma_f64 v[130:131], v[130:131], v[134:135], v[132:133]
	v_add_f64 v[3:4], v[3:4], v[128:129]
	v_add_f64 v[1:2], v[1:2], v[130:131]
	s_andn2_b32 exec_lo, exec_lo, s5
	s_cbranch_execnz .LBB121_117
; %bb.118:
	s_or_b32 exec_lo, exec_lo, s5
	v_mov_b32_e32 v7, 0
	ds_read_b128 v[128:131], v7 offset:416
	s_waitcnt lgkmcnt(0)
	v_mul_f64 v[7:8], v[1:2], v[130:131]
	v_mul_f64 v[125:126], v[3:4], v[130:131]
	v_fma_f64 v[3:4], v[3:4], v[128:129], -v[7:8]
	v_fma_f64 v[1:2], v[1:2], v[128:129], v[125:126]
	buffer_store_dword v4, off, s[0:3], 0 offset:436
	buffer_store_dword v3, off, s[0:3], 0 offset:432
	;; [unrolled: 1-line block ×4, first 2 shown]
.LBB121_119:
	s_or_b32 exec_lo, exec_lo, s4
	v_mov_b32_e32 v4, s43
	s_waitcnt_vscnt null, 0x0
	s_barrier
	buffer_gl0_inv
	s_mov_b32 s4, exec_lo
	s_clause 0x3
	buffer_load_dword v1, v4, s[0:3], 0 offen
	buffer_load_dword v2, v4, s[0:3], 0 offen offset:4
	buffer_load_dword v3, v4, s[0:3], 0 offen offset:8
	;; [unrolled: 1-line block ×3, first 2 shown]
	s_waitcnt vmcnt(0)
	ds_write_b128 v5, v[1:4]
	s_waitcnt lgkmcnt(0)
	s_barrier
	buffer_gl0_inv
	v_cmpx_gt_u32_e32 27, v0
	s_cbranch_execz .LBB121_123
; %bb.120:
	v_mov_b32_e32 v1, 0
	v_mov_b32_e32 v3, 0
	v_add_nc_u32_e32 v7, -1, v0
	v_add_nc_u32_e32 v8, 0x3a0, v127
	v_mov_b32_e32 v2, 0
	v_mov_b32_e32 v4, 0
	v_add_nc_u32_e32 v125, 16, v127
	s_mov_b32 s5, 0
	.p2align	6
.LBB121_121:                            ; =>This Inner Loop Header: Depth=1
	s_clause 0x3
	buffer_load_dword v132, v125, s[0:3], 0 offen offset:8
	buffer_load_dword v133, v125, s[0:3], 0 offen offset:12
	buffer_load_dword v134, v125, s[0:3], 0 offen
	buffer_load_dword v135, v125, s[0:3], 0 offen offset:4
	ds_read_b128 v[128:131], v8
	v_add_nc_u32_e32 v7, 1, v7
	v_add_nc_u32_e32 v8, 16, v8
	;; [unrolled: 1-line block ×3, first 2 shown]
	v_cmp_lt_u32_e32 vcc_lo, 25, v7
	s_or_b32 s5, vcc_lo, s5
	s_waitcnt vmcnt(2) lgkmcnt(0)
	v_mul_f64 v[136:137], v[130:131], v[132:133]
	v_mul_f64 v[132:133], v[128:129], v[132:133]
	s_waitcnt vmcnt(0)
	v_fma_f64 v[128:129], v[128:129], v[134:135], -v[136:137]
	v_fma_f64 v[130:131], v[130:131], v[134:135], v[132:133]
	v_add_f64 v[3:4], v[3:4], v[128:129]
	v_add_f64 v[1:2], v[1:2], v[130:131]
	s_andn2_b32 exec_lo, exec_lo, s5
	s_cbranch_execnz .LBB121_121
; %bb.122:
	s_or_b32 exec_lo, exec_lo, s5
	v_mov_b32_e32 v7, 0
	ds_read_b128 v[128:131], v7 offset:432
	s_waitcnt lgkmcnt(0)
	v_mul_f64 v[7:8], v[1:2], v[130:131]
	v_mul_f64 v[125:126], v[3:4], v[130:131]
	v_fma_f64 v[3:4], v[3:4], v[128:129], -v[7:8]
	v_fma_f64 v[1:2], v[1:2], v[128:129], v[125:126]
	buffer_store_dword v4, off, s[0:3], 0 offset:452
	buffer_store_dword v3, off, s[0:3], 0 offset:448
	buffer_store_dword v2, off, s[0:3], 0 offset:460
	buffer_store_dword v1, off, s[0:3], 0 offset:456
.LBB121_123:
	s_or_b32 exec_lo, exec_lo, s4
	v_mov_b32_e32 v4, s42
	s_waitcnt_vscnt null, 0x0
	s_barrier
	buffer_gl0_inv
	s_mov_b32 s4, exec_lo
	s_clause 0x3
	buffer_load_dword v1, v4, s[0:3], 0 offen
	buffer_load_dword v2, v4, s[0:3], 0 offen offset:4
	buffer_load_dword v3, v4, s[0:3], 0 offen offset:8
	;; [unrolled: 1-line block ×3, first 2 shown]
	s_waitcnt vmcnt(0)
	ds_write_b128 v5, v[1:4]
	s_waitcnt lgkmcnt(0)
	s_barrier
	buffer_gl0_inv
	v_cmpx_gt_u32_e32 28, v0
	s_cbranch_execz .LBB121_127
; %bb.124:
	v_mov_b32_e32 v1, 0
	v_mov_b32_e32 v3, 0
	v_add_nc_u32_e32 v7, -1, v0
	v_add_nc_u32_e32 v8, 0x3a0, v127
	v_mov_b32_e32 v2, 0
	v_mov_b32_e32 v4, 0
	v_add_nc_u32_e32 v125, 16, v127
	s_mov_b32 s5, 0
	.p2align	6
.LBB121_125:                            ; =>This Inner Loop Header: Depth=1
	s_clause 0x3
	buffer_load_dword v132, v125, s[0:3], 0 offen offset:8
	buffer_load_dword v133, v125, s[0:3], 0 offen offset:12
	buffer_load_dword v134, v125, s[0:3], 0 offen
	buffer_load_dword v135, v125, s[0:3], 0 offen offset:4
	ds_read_b128 v[128:131], v8
	v_add_nc_u32_e32 v7, 1, v7
	v_add_nc_u32_e32 v8, 16, v8
	;; [unrolled: 1-line block ×3, first 2 shown]
	v_cmp_lt_u32_e32 vcc_lo, 26, v7
	s_or_b32 s5, vcc_lo, s5
	s_waitcnt vmcnt(2) lgkmcnt(0)
	v_mul_f64 v[136:137], v[130:131], v[132:133]
	v_mul_f64 v[132:133], v[128:129], v[132:133]
	s_waitcnt vmcnt(0)
	v_fma_f64 v[128:129], v[128:129], v[134:135], -v[136:137]
	v_fma_f64 v[130:131], v[130:131], v[134:135], v[132:133]
	v_add_f64 v[3:4], v[3:4], v[128:129]
	v_add_f64 v[1:2], v[1:2], v[130:131]
	s_andn2_b32 exec_lo, exec_lo, s5
	s_cbranch_execnz .LBB121_125
; %bb.126:
	s_or_b32 exec_lo, exec_lo, s5
	v_mov_b32_e32 v7, 0
	ds_read_b128 v[128:131], v7 offset:448
	s_waitcnt lgkmcnt(0)
	v_mul_f64 v[7:8], v[1:2], v[130:131]
	v_mul_f64 v[125:126], v[3:4], v[130:131]
	v_fma_f64 v[3:4], v[3:4], v[128:129], -v[7:8]
	v_fma_f64 v[1:2], v[1:2], v[128:129], v[125:126]
	buffer_store_dword v4, off, s[0:3], 0 offset:468
	buffer_store_dword v3, off, s[0:3], 0 offset:464
	;; [unrolled: 1-line block ×4, first 2 shown]
.LBB121_127:
	s_or_b32 exec_lo, exec_lo, s4
	v_mov_b32_e32 v4, s41
	s_waitcnt_vscnt null, 0x0
	s_barrier
	buffer_gl0_inv
	s_mov_b32 s4, exec_lo
	s_clause 0x3
	buffer_load_dword v1, v4, s[0:3], 0 offen
	buffer_load_dword v2, v4, s[0:3], 0 offen offset:4
	buffer_load_dword v3, v4, s[0:3], 0 offen offset:8
	;; [unrolled: 1-line block ×3, first 2 shown]
	s_waitcnt vmcnt(0)
	ds_write_b128 v5, v[1:4]
	s_waitcnt lgkmcnt(0)
	s_barrier
	buffer_gl0_inv
	v_cmpx_gt_u32_e32 29, v0
	s_cbranch_execz .LBB121_131
; %bb.128:
	v_mov_b32_e32 v1, 0
	v_mov_b32_e32 v3, 0
	v_add_nc_u32_e32 v7, -1, v0
	v_add_nc_u32_e32 v8, 0x3a0, v127
	v_mov_b32_e32 v2, 0
	v_mov_b32_e32 v4, 0
	v_add_nc_u32_e32 v125, 16, v127
	s_mov_b32 s5, 0
	.p2align	6
.LBB121_129:                            ; =>This Inner Loop Header: Depth=1
	s_clause 0x3
	buffer_load_dword v132, v125, s[0:3], 0 offen offset:8
	buffer_load_dword v133, v125, s[0:3], 0 offen offset:12
	buffer_load_dword v134, v125, s[0:3], 0 offen
	buffer_load_dword v135, v125, s[0:3], 0 offen offset:4
	ds_read_b128 v[128:131], v8
	v_add_nc_u32_e32 v7, 1, v7
	v_add_nc_u32_e32 v8, 16, v8
	;; [unrolled: 1-line block ×3, first 2 shown]
	v_cmp_lt_u32_e32 vcc_lo, 27, v7
	s_or_b32 s5, vcc_lo, s5
	s_waitcnt vmcnt(2) lgkmcnt(0)
	v_mul_f64 v[136:137], v[130:131], v[132:133]
	v_mul_f64 v[132:133], v[128:129], v[132:133]
	s_waitcnt vmcnt(0)
	v_fma_f64 v[128:129], v[128:129], v[134:135], -v[136:137]
	v_fma_f64 v[130:131], v[130:131], v[134:135], v[132:133]
	v_add_f64 v[3:4], v[3:4], v[128:129]
	v_add_f64 v[1:2], v[1:2], v[130:131]
	s_andn2_b32 exec_lo, exec_lo, s5
	s_cbranch_execnz .LBB121_129
; %bb.130:
	s_or_b32 exec_lo, exec_lo, s5
	v_mov_b32_e32 v7, 0
	ds_read_b128 v[128:131], v7 offset:464
	s_waitcnt lgkmcnt(0)
	v_mul_f64 v[7:8], v[1:2], v[130:131]
	v_mul_f64 v[125:126], v[3:4], v[130:131]
	v_fma_f64 v[3:4], v[3:4], v[128:129], -v[7:8]
	v_fma_f64 v[1:2], v[1:2], v[128:129], v[125:126]
	buffer_store_dword v4, off, s[0:3], 0 offset:484
	buffer_store_dword v3, off, s[0:3], 0 offset:480
	;; [unrolled: 1-line block ×4, first 2 shown]
.LBB121_131:
	s_or_b32 exec_lo, exec_lo, s4
	v_mov_b32_e32 v4, s40
	s_waitcnt_vscnt null, 0x0
	s_barrier
	buffer_gl0_inv
	s_mov_b32 s4, exec_lo
	s_clause 0x3
	buffer_load_dword v1, v4, s[0:3], 0 offen
	buffer_load_dword v2, v4, s[0:3], 0 offen offset:4
	buffer_load_dword v3, v4, s[0:3], 0 offen offset:8
	;; [unrolled: 1-line block ×3, first 2 shown]
	s_waitcnt vmcnt(0)
	ds_write_b128 v5, v[1:4]
	s_waitcnt lgkmcnt(0)
	s_barrier
	buffer_gl0_inv
	v_cmpx_gt_u32_e32 30, v0
	s_cbranch_execz .LBB121_135
; %bb.132:
	v_mov_b32_e32 v1, 0
	v_mov_b32_e32 v3, 0
	v_add_nc_u32_e32 v7, -1, v0
	v_add_nc_u32_e32 v8, 0x3a0, v127
	v_mov_b32_e32 v2, 0
	v_mov_b32_e32 v4, 0
	v_add_nc_u32_e32 v125, 16, v127
	s_mov_b32 s5, 0
	.p2align	6
.LBB121_133:                            ; =>This Inner Loop Header: Depth=1
	s_clause 0x3
	buffer_load_dword v132, v125, s[0:3], 0 offen offset:8
	buffer_load_dword v133, v125, s[0:3], 0 offen offset:12
	buffer_load_dword v134, v125, s[0:3], 0 offen
	buffer_load_dword v135, v125, s[0:3], 0 offen offset:4
	ds_read_b128 v[128:131], v8
	v_add_nc_u32_e32 v7, 1, v7
	v_add_nc_u32_e32 v8, 16, v8
	;; [unrolled: 1-line block ×3, first 2 shown]
	v_cmp_lt_u32_e32 vcc_lo, 28, v7
	s_or_b32 s5, vcc_lo, s5
	s_waitcnt vmcnt(2) lgkmcnt(0)
	v_mul_f64 v[136:137], v[130:131], v[132:133]
	v_mul_f64 v[132:133], v[128:129], v[132:133]
	s_waitcnt vmcnt(0)
	v_fma_f64 v[128:129], v[128:129], v[134:135], -v[136:137]
	v_fma_f64 v[130:131], v[130:131], v[134:135], v[132:133]
	v_add_f64 v[3:4], v[3:4], v[128:129]
	v_add_f64 v[1:2], v[1:2], v[130:131]
	s_andn2_b32 exec_lo, exec_lo, s5
	s_cbranch_execnz .LBB121_133
; %bb.134:
	s_or_b32 exec_lo, exec_lo, s5
	v_mov_b32_e32 v7, 0
	ds_read_b128 v[128:131], v7 offset:480
	s_waitcnt lgkmcnt(0)
	v_mul_f64 v[7:8], v[1:2], v[130:131]
	v_mul_f64 v[125:126], v[3:4], v[130:131]
	v_fma_f64 v[3:4], v[3:4], v[128:129], -v[7:8]
	v_fma_f64 v[1:2], v[1:2], v[128:129], v[125:126]
	buffer_store_dword v4, off, s[0:3], 0 offset:500
	buffer_store_dword v3, off, s[0:3], 0 offset:496
	;; [unrolled: 1-line block ×4, first 2 shown]
.LBB121_135:
	s_or_b32 exec_lo, exec_lo, s4
	v_mov_b32_e32 v4, s39
	s_waitcnt_vscnt null, 0x0
	s_barrier
	buffer_gl0_inv
	s_mov_b32 s4, exec_lo
	s_clause 0x3
	buffer_load_dword v1, v4, s[0:3], 0 offen
	buffer_load_dword v2, v4, s[0:3], 0 offen offset:4
	buffer_load_dword v3, v4, s[0:3], 0 offen offset:8
	;; [unrolled: 1-line block ×3, first 2 shown]
	s_waitcnt vmcnt(0)
	ds_write_b128 v5, v[1:4]
	s_waitcnt lgkmcnt(0)
	s_barrier
	buffer_gl0_inv
	v_cmpx_gt_u32_e32 31, v0
	s_cbranch_execz .LBB121_139
; %bb.136:
	v_mov_b32_e32 v1, 0
	v_mov_b32_e32 v3, 0
	v_add_nc_u32_e32 v7, -1, v0
	v_add_nc_u32_e32 v8, 0x3a0, v127
	v_mov_b32_e32 v2, 0
	v_mov_b32_e32 v4, 0
	v_add_nc_u32_e32 v125, 16, v127
	s_mov_b32 s5, 0
	.p2align	6
.LBB121_137:                            ; =>This Inner Loop Header: Depth=1
	s_clause 0x3
	buffer_load_dword v132, v125, s[0:3], 0 offen offset:8
	buffer_load_dword v133, v125, s[0:3], 0 offen offset:12
	buffer_load_dword v134, v125, s[0:3], 0 offen
	buffer_load_dword v135, v125, s[0:3], 0 offen offset:4
	ds_read_b128 v[128:131], v8
	v_add_nc_u32_e32 v7, 1, v7
	v_add_nc_u32_e32 v8, 16, v8
	;; [unrolled: 1-line block ×3, first 2 shown]
	v_cmp_lt_u32_e32 vcc_lo, 29, v7
	s_or_b32 s5, vcc_lo, s5
	s_waitcnt vmcnt(2) lgkmcnt(0)
	v_mul_f64 v[136:137], v[130:131], v[132:133]
	v_mul_f64 v[132:133], v[128:129], v[132:133]
	s_waitcnt vmcnt(0)
	v_fma_f64 v[128:129], v[128:129], v[134:135], -v[136:137]
	v_fma_f64 v[130:131], v[130:131], v[134:135], v[132:133]
	v_add_f64 v[3:4], v[3:4], v[128:129]
	v_add_f64 v[1:2], v[1:2], v[130:131]
	s_andn2_b32 exec_lo, exec_lo, s5
	s_cbranch_execnz .LBB121_137
; %bb.138:
	s_or_b32 exec_lo, exec_lo, s5
	v_mov_b32_e32 v7, 0
	ds_read_b128 v[128:131], v7 offset:496
	s_waitcnt lgkmcnt(0)
	v_mul_f64 v[7:8], v[1:2], v[130:131]
	v_mul_f64 v[125:126], v[3:4], v[130:131]
	v_fma_f64 v[3:4], v[3:4], v[128:129], -v[7:8]
	v_fma_f64 v[1:2], v[1:2], v[128:129], v[125:126]
	buffer_store_dword v4, off, s[0:3], 0 offset:516
	buffer_store_dword v3, off, s[0:3], 0 offset:512
	;; [unrolled: 1-line block ×4, first 2 shown]
.LBB121_139:
	s_or_b32 exec_lo, exec_lo, s4
	v_mov_b32_e32 v4, s38
	s_waitcnt_vscnt null, 0x0
	s_barrier
	buffer_gl0_inv
	s_mov_b32 s4, exec_lo
	s_clause 0x3
	buffer_load_dword v1, v4, s[0:3], 0 offen
	buffer_load_dword v2, v4, s[0:3], 0 offen offset:4
	buffer_load_dword v3, v4, s[0:3], 0 offen offset:8
	;; [unrolled: 1-line block ×3, first 2 shown]
	s_waitcnt vmcnt(0)
	ds_write_b128 v5, v[1:4]
	s_waitcnt lgkmcnt(0)
	s_barrier
	buffer_gl0_inv
	v_cmpx_gt_u32_e32 32, v0
	s_cbranch_execz .LBB121_143
; %bb.140:
	v_mov_b32_e32 v1, 0
	v_mov_b32_e32 v3, 0
	v_add_nc_u32_e32 v7, -1, v0
	v_add_nc_u32_e32 v8, 0x3a0, v127
	v_mov_b32_e32 v2, 0
	v_mov_b32_e32 v4, 0
	v_add_nc_u32_e32 v125, 16, v127
	s_mov_b32 s5, 0
	.p2align	6
.LBB121_141:                            ; =>This Inner Loop Header: Depth=1
	s_clause 0x3
	buffer_load_dword v132, v125, s[0:3], 0 offen offset:8
	buffer_load_dword v133, v125, s[0:3], 0 offen offset:12
	buffer_load_dword v134, v125, s[0:3], 0 offen
	buffer_load_dword v135, v125, s[0:3], 0 offen offset:4
	ds_read_b128 v[128:131], v8
	v_add_nc_u32_e32 v7, 1, v7
	v_add_nc_u32_e32 v8, 16, v8
	;; [unrolled: 1-line block ×3, first 2 shown]
	v_cmp_lt_u32_e32 vcc_lo, 30, v7
	s_or_b32 s5, vcc_lo, s5
	s_waitcnt vmcnt(2) lgkmcnt(0)
	v_mul_f64 v[136:137], v[130:131], v[132:133]
	v_mul_f64 v[132:133], v[128:129], v[132:133]
	s_waitcnt vmcnt(0)
	v_fma_f64 v[128:129], v[128:129], v[134:135], -v[136:137]
	v_fma_f64 v[130:131], v[130:131], v[134:135], v[132:133]
	v_add_f64 v[3:4], v[3:4], v[128:129]
	v_add_f64 v[1:2], v[1:2], v[130:131]
	s_andn2_b32 exec_lo, exec_lo, s5
	s_cbranch_execnz .LBB121_141
; %bb.142:
	s_or_b32 exec_lo, exec_lo, s5
	v_mov_b32_e32 v7, 0
	ds_read_b128 v[128:131], v7 offset:512
	s_waitcnt lgkmcnt(0)
	v_mul_f64 v[7:8], v[1:2], v[130:131]
	v_mul_f64 v[125:126], v[3:4], v[130:131]
	v_fma_f64 v[3:4], v[3:4], v[128:129], -v[7:8]
	v_fma_f64 v[1:2], v[1:2], v[128:129], v[125:126]
	buffer_store_dword v4, off, s[0:3], 0 offset:532
	buffer_store_dword v3, off, s[0:3], 0 offset:528
	;; [unrolled: 1-line block ×4, first 2 shown]
.LBB121_143:
	s_or_b32 exec_lo, exec_lo, s4
	v_mov_b32_e32 v4, s37
	s_waitcnt_vscnt null, 0x0
	s_barrier
	buffer_gl0_inv
	s_mov_b32 s4, exec_lo
	s_clause 0x3
	buffer_load_dword v1, v4, s[0:3], 0 offen
	buffer_load_dword v2, v4, s[0:3], 0 offen offset:4
	buffer_load_dword v3, v4, s[0:3], 0 offen offset:8
	;; [unrolled: 1-line block ×3, first 2 shown]
	s_waitcnt vmcnt(0)
	ds_write_b128 v5, v[1:4]
	s_waitcnt lgkmcnt(0)
	s_barrier
	buffer_gl0_inv
	v_cmpx_gt_u32_e32 33, v0
	s_cbranch_execz .LBB121_147
; %bb.144:
	v_mov_b32_e32 v1, 0
	v_mov_b32_e32 v3, 0
	v_add_nc_u32_e32 v7, -1, v0
	v_add_nc_u32_e32 v8, 0x3a0, v127
	v_mov_b32_e32 v2, 0
	v_mov_b32_e32 v4, 0
	v_add_nc_u32_e32 v125, 16, v127
	s_mov_b32 s5, 0
	.p2align	6
.LBB121_145:                            ; =>This Inner Loop Header: Depth=1
	s_clause 0x3
	buffer_load_dword v132, v125, s[0:3], 0 offen offset:8
	buffer_load_dword v133, v125, s[0:3], 0 offen offset:12
	buffer_load_dword v134, v125, s[0:3], 0 offen
	buffer_load_dword v135, v125, s[0:3], 0 offen offset:4
	ds_read_b128 v[128:131], v8
	v_add_nc_u32_e32 v7, 1, v7
	v_add_nc_u32_e32 v8, 16, v8
	;; [unrolled: 1-line block ×3, first 2 shown]
	v_cmp_lt_u32_e32 vcc_lo, 31, v7
	s_or_b32 s5, vcc_lo, s5
	s_waitcnt vmcnt(2) lgkmcnt(0)
	v_mul_f64 v[136:137], v[130:131], v[132:133]
	v_mul_f64 v[132:133], v[128:129], v[132:133]
	s_waitcnt vmcnt(0)
	v_fma_f64 v[128:129], v[128:129], v[134:135], -v[136:137]
	v_fma_f64 v[130:131], v[130:131], v[134:135], v[132:133]
	v_add_f64 v[3:4], v[3:4], v[128:129]
	v_add_f64 v[1:2], v[1:2], v[130:131]
	s_andn2_b32 exec_lo, exec_lo, s5
	s_cbranch_execnz .LBB121_145
; %bb.146:
	s_or_b32 exec_lo, exec_lo, s5
	v_mov_b32_e32 v7, 0
	ds_read_b128 v[128:131], v7 offset:528
	s_waitcnt lgkmcnt(0)
	v_mul_f64 v[7:8], v[1:2], v[130:131]
	v_mul_f64 v[125:126], v[3:4], v[130:131]
	v_fma_f64 v[3:4], v[3:4], v[128:129], -v[7:8]
	v_fma_f64 v[1:2], v[1:2], v[128:129], v[125:126]
	buffer_store_dword v4, off, s[0:3], 0 offset:548
	buffer_store_dword v3, off, s[0:3], 0 offset:544
	;; [unrolled: 1-line block ×4, first 2 shown]
.LBB121_147:
	s_or_b32 exec_lo, exec_lo, s4
	v_mov_b32_e32 v4, s36
	s_waitcnt_vscnt null, 0x0
	s_barrier
	buffer_gl0_inv
	s_mov_b32 s4, exec_lo
	s_clause 0x3
	buffer_load_dword v1, v4, s[0:3], 0 offen
	buffer_load_dword v2, v4, s[0:3], 0 offen offset:4
	buffer_load_dword v3, v4, s[0:3], 0 offen offset:8
	;; [unrolled: 1-line block ×3, first 2 shown]
	s_waitcnt vmcnt(0)
	ds_write_b128 v5, v[1:4]
	s_waitcnt lgkmcnt(0)
	s_barrier
	buffer_gl0_inv
	v_cmpx_gt_u32_e32 34, v0
	s_cbranch_execz .LBB121_151
; %bb.148:
	v_mov_b32_e32 v1, 0
	v_mov_b32_e32 v3, 0
	v_add_nc_u32_e32 v7, -1, v0
	v_add_nc_u32_e32 v8, 0x3a0, v127
	v_mov_b32_e32 v2, 0
	v_mov_b32_e32 v4, 0
	v_add_nc_u32_e32 v125, 16, v127
	s_mov_b32 s5, 0
	.p2align	6
.LBB121_149:                            ; =>This Inner Loop Header: Depth=1
	s_clause 0x3
	buffer_load_dword v132, v125, s[0:3], 0 offen offset:8
	buffer_load_dword v133, v125, s[0:3], 0 offen offset:12
	buffer_load_dword v134, v125, s[0:3], 0 offen
	buffer_load_dword v135, v125, s[0:3], 0 offen offset:4
	ds_read_b128 v[128:131], v8
	v_add_nc_u32_e32 v7, 1, v7
	v_add_nc_u32_e32 v8, 16, v8
	;; [unrolled: 1-line block ×3, first 2 shown]
	v_cmp_lt_u32_e32 vcc_lo, 32, v7
	s_or_b32 s5, vcc_lo, s5
	s_waitcnt vmcnt(2) lgkmcnt(0)
	v_mul_f64 v[136:137], v[130:131], v[132:133]
	v_mul_f64 v[132:133], v[128:129], v[132:133]
	s_waitcnt vmcnt(0)
	v_fma_f64 v[128:129], v[128:129], v[134:135], -v[136:137]
	v_fma_f64 v[130:131], v[130:131], v[134:135], v[132:133]
	v_add_f64 v[3:4], v[3:4], v[128:129]
	v_add_f64 v[1:2], v[1:2], v[130:131]
	s_andn2_b32 exec_lo, exec_lo, s5
	s_cbranch_execnz .LBB121_149
; %bb.150:
	s_or_b32 exec_lo, exec_lo, s5
	v_mov_b32_e32 v7, 0
	ds_read_b128 v[128:131], v7 offset:544
	s_waitcnt lgkmcnt(0)
	v_mul_f64 v[7:8], v[1:2], v[130:131]
	v_mul_f64 v[125:126], v[3:4], v[130:131]
	v_fma_f64 v[3:4], v[3:4], v[128:129], -v[7:8]
	v_fma_f64 v[1:2], v[1:2], v[128:129], v[125:126]
	buffer_store_dword v4, off, s[0:3], 0 offset:564
	buffer_store_dword v3, off, s[0:3], 0 offset:560
	;; [unrolled: 1-line block ×4, first 2 shown]
.LBB121_151:
	s_or_b32 exec_lo, exec_lo, s4
	v_mov_b32_e32 v4, s35
	s_waitcnt_vscnt null, 0x0
	s_barrier
	buffer_gl0_inv
	s_mov_b32 s4, exec_lo
	s_clause 0x3
	buffer_load_dword v1, v4, s[0:3], 0 offen
	buffer_load_dword v2, v4, s[0:3], 0 offen offset:4
	buffer_load_dword v3, v4, s[0:3], 0 offen offset:8
	;; [unrolled: 1-line block ×3, first 2 shown]
	s_waitcnt vmcnt(0)
	ds_write_b128 v5, v[1:4]
	s_waitcnt lgkmcnt(0)
	s_barrier
	buffer_gl0_inv
	v_cmpx_gt_u32_e32 35, v0
	s_cbranch_execz .LBB121_155
; %bb.152:
	v_mov_b32_e32 v1, 0
	v_mov_b32_e32 v3, 0
	v_add_nc_u32_e32 v7, -1, v0
	v_add_nc_u32_e32 v8, 0x3a0, v127
	v_mov_b32_e32 v2, 0
	v_mov_b32_e32 v4, 0
	v_add_nc_u32_e32 v125, 16, v127
	s_mov_b32 s5, 0
	.p2align	6
.LBB121_153:                            ; =>This Inner Loop Header: Depth=1
	s_clause 0x3
	buffer_load_dword v132, v125, s[0:3], 0 offen offset:8
	buffer_load_dword v133, v125, s[0:3], 0 offen offset:12
	buffer_load_dword v134, v125, s[0:3], 0 offen
	buffer_load_dword v135, v125, s[0:3], 0 offen offset:4
	ds_read_b128 v[128:131], v8
	v_add_nc_u32_e32 v7, 1, v7
	v_add_nc_u32_e32 v8, 16, v8
	;; [unrolled: 1-line block ×3, first 2 shown]
	v_cmp_lt_u32_e32 vcc_lo, 33, v7
	s_or_b32 s5, vcc_lo, s5
	s_waitcnt vmcnt(2) lgkmcnt(0)
	v_mul_f64 v[136:137], v[130:131], v[132:133]
	v_mul_f64 v[132:133], v[128:129], v[132:133]
	s_waitcnt vmcnt(0)
	v_fma_f64 v[128:129], v[128:129], v[134:135], -v[136:137]
	v_fma_f64 v[130:131], v[130:131], v[134:135], v[132:133]
	v_add_f64 v[3:4], v[3:4], v[128:129]
	v_add_f64 v[1:2], v[1:2], v[130:131]
	s_andn2_b32 exec_lo, exec_lo, s5
	s_cbranch_execnz .LBB121_153
; %bb.154:
	s_or_b32 exec_lo, exec_lo, s5
	v_mov_b32_e32 v7, 0
	ds_read_b128 v[128:131], v7 offset:560
	s_waitcnt lgkmcnt(0)
	v_mul_f64 v[7:8], v[1:2], v[130:131]
	v_mul_f64 v[125:126], v[3:4], v[130:131]
	v_fma_f64 v[3:4], v[3:4], v[128:129], -v[7:8]
	v_fma_f64 v[1:2], v[1:2], v[128:129], v[125:126]
	buffer_store_dword v4, off, s[0:3], 0 offset:580
	buffer_store_dword v3, off, s[0:3], 0 offset:576
	;; [unrolled: 1-line block ×4, first 2 shown]
.LBB121_155:
	s_or_b32 exec_lo, exec_lo, s4
	v_mov_b32_e32 v4, s34
	s_waitcnt_vscnt null, 0x0
	s_barrier
	buffer_gl0_inv
	s_mov_b32 s4, exec_lo
	s_clause 0x3
	buffer_load_dword v1, v4, s[0:3], 0 offen
	buffer_load_dword v2, v4, s[0:3], 0 offen offset:4
	buffer_load_dword v3, v4, s[0:3], 0 offen offset:8
	;; [unrolled: 1-line block ×3, first 2 shown]
	s_waitcnt vmcnt(0)
	ds_write_b128 v5, v[1:4]
	s_waitcnt lgkmcnt(0)
	s_barrier
	buffer_gl0_inv
	v_cmpx_gt_u32_e32 36, v0
	s_cbranch_execz .LBB121_159
; %bb.156:
	v_mov_b32_e32 v1, 0
	v_mov_b32_e32 v3, 0
	v_add_nc_u32_e32 v7, -1, v0
	v_add_nc_u32_e32 v8, 0x3a0, v127
	v_mov_b32_e32 v2, 0
	v_mov_b32_e32 v4, 0
	v_add_nc_u32_e32 v125, 16, v127
	s_mov_b32 s5, 0
	.p2align	6
.LBB121_157:                            ; =>This Inner Loop Header: Depth=1
	s_clause 0x3
	buffer_load_dword v132, v125, s[0:3], 0 offen offset:8
	buffer_load_dword v133, v125, s[0:3], 0 offen offset:12
	buffer_load_dword v134, v125, s[0:3], 0 offen
	buffer_load_dword v135, v125, s[0:3], 0 offen offset:4
	ds_read_b128 v[128:131], v8
	v_add_nc_u32_e32 v7, 1, v7
	v_add_nc_u32_e32 v8, 16, v8
	;; [unrolled: 1-line block ×3, first 2 shown]
	v_cmp_lt_u32_e32 vcc_lo, 34, v7
	s_or_b32 s5, vcc_lo, s5
	s_waitcnt vmcnt(2) lgkmcnt(0)
	v_mul_f64 v[136:137], v[130:131], v[132:133]
	v_mul_f64 v[132:133], v[128:129], v[132:133]
	s_waitcnt vmcnt(0)
	v_fma_f64 v[128:129], v[128:129], v[134:135], -v[136:137]
	v_fma_f64 v[130:131], v[130:131], v[134:135], v[132:133]
	v_add_f64 v[3:4], v[3:4], v[128:129]
	v_add_f64 v[1:2], v[1:2], v[130:131]
	s_andn2_b32 exec_lo, exec_lo, s5
	s_cbranch_execnz .LBB121_157
; %bb.158:
	s_or_b32 exec_lo, exec_lo, s5
	v_mov_b32_e32 v7, 0
	ds_read_b128 v[128:131], v7 offset:576
	s_waitcnt lgkmcnt(0)
	v_mul_f64 v[7:8], v[1:2], v[130:131]
	v_mul_f64 v[125:126], v[3:4], v[130:131]
	v_fma_f64 v[3:4], v[3:4], v[128:129], -v[7:8]
	v_fma_f64 v[1:2], v[1:2], v[128:129], v[125:126]
	buffer_store_dword v4, off, s[0:3], 0 offset:596
	buffer_store_dword v3, off, s[0:3], 0 offset:592
	;; [unrolled: 1-line block ×4, first 2 shown]
.LBB121_159:
	s_or_b32 exec_lo, exec_lo, s4
	v_mov_b32_e32 v4, s33
	s_waitcnt_vscnt null, 0x0
	s_barrier
	buffer_gl0_inv
	s_mov_b32 s4, exec_lo
	s_clause 0x3
	buffer_load_dword v1, v4, s[0:3], 0 offen
	buffer_load_dword v2, v4, s[0:3], 0 offen offset:4
	buffer_load_dword v3, v4, s[0:3], 0 offen offset:8
	;; [unrolled: 1-line block ×3, first 2 shown]
	s_waitcnt vmcnt(0)
	ds_write_b128 v5, v[1:4]
	s_waitcnt lgkmcnt(0)
	s_barrier
	buffer_gl0_inv
	v_cmpx_gt_u32_e32 37, v0
	s_cbranch_execz .LBB121_163
; %bb.160:
	v_mov_b32_e32 v1, 0
	v_mov_b32_e32 v3, 0
	v_add_nc_u32_e32 v7, -1, v0
	v_add_nc_u32_e32 v8, 0x3a0, v127
	v_mov_b32_e32 v2, 0
	v_mov_b32_e32 v4, 0
	v_add_nc_u32_e32 v125, 16, v127
	s_mov_b32 s5, 0
	.p2align	6
.LBB121_161:                            ; =>This Inner Loop Header: Depth=1
	s_clause 0x3
	buffer_load_dword v132, v125, s[0:3], 0 offen offset:8
	buffer_load_dword v133, v125, s[0:3], 0 offen offset:12
	buffer_load_dword v134, v125, s[0:3], 0 offen
	buffer_load_dword v135, v125, s[0:3], 0 offen offset:4
	ds_read_b128 v[128:131], v8
	v_add_nc_u32_e32 v7, 1, v7
	v_add_nc_u32_e32 v8, 16, v8
	;; [unrolled: 1-line block ×3, first 2 shown]
	v_cmp_lt_u32_e32 vcc_lo, 35, v7
	s_or_b32 s5, vcc_lo, s5
	s_waitcnt vmcnt(2) lgkmcnt(0)
	v_mul_f64 v[136:137], v[130:131], v[132:133]
	v_mul_f64 v[132:133], v[128:129], v[132:133]
	s_waitcnt vmcnt(0)
	v_fma_f64 v[128:129], v[128:129], v[134:135], -v[136:137]
	v_fma_f64 v[130:131], v[130:131], v[134:135], v[132:133]
	v_add_f64 v[3:4], v[3:4], v[128:129]
	v_add_f64 v[1:2], v[1:2], v[130:131]
	s_andn2_b32 exec_lo, exec_lo, s5
	s_cbranch_execnz .LBB121_161
; %bb.162:
	s_or_b32 exec_lo, exec_lo, s5
	v_mov_b32_e32 v7, 0
	ds_read_b128 v[128:131], v7 offset:592
	s_waitcnt lgkmcnt(0)
	v_mul_f64 v[7:8], v[1:2], v[130:131]
	v_mul_f64 v[125:126], v[3:4], v[130:131]
	v_fma_f64 v[3:4], v[3:4], v[128:129], -v[7:8]
	v_fma_f64 v[1:2], v[1:2], v[128:129], v[125:126]
	buffer_store_dword v4, off, s[0:3], 0 offset:612
	buffer_store_dword v3, off, s[0:3], 0 offset:608
	buffer_store_dword v2, off, s[0:3], 0 offset:620
	buffer_store_dword v1, off, s[0:3], 0 offset:616
.LBB121_163:
	s_or_b32 exec_lo, exec_lo, s4
	v_mov_b32_e32 v4, s31
	s_waitcnt_vscnt null, 0x0
	s_barrier
	buffer_gl0_inv
	s_mov_b32 s4, exec_lo
	s_clause 0x3
	buffer_load_dword v1, v4, s[0:3], 0 offen
	buffer_load_dword v2, v4, s[0:3], 0 offen offset:4
	buffer_load_dword v3, v4, s[0:3], 0 offen offset:8
	;; [unrolled: 1-line block ×3, first 2 shown]
	s_waitcnt vmcnt(0)
	ds_write_b128 v5, v[1:4]
	s_waitcnt lgkmcnt(0)
	s_barrier
	buffer_gl0_inv
	v_cmpx_gt_u32_e32 38, v0
	s_cbranch_execz .LBB121_167
; %bb.164:
	v_mov_b32_e32 v1, 0
	v_mov_b32_e32 v3, 0
	v_add_nc_u32_e32 v7, -1, v0
	v_add_nc_u32_e32 v8, 0x3a0, v127
	v_mov_b32_e32 v2, 0
	v_mov_b32_e32 v4, 0
	v_add_nc_u32_e32 v125, 16, v127
	s_mov_b32 s5, 0
	.p2align	6
.LBB121_165:                            ; =>This Inner Loop Header: Depth=1
	s_clause 0x3
	buffer_load_dword v132, v125, s[0:3], 0 offen offset:8
	buffer_load_dword v133, v125, s[0:3], 0 offen offset:12
	buffer_load_dword v134, v125, s[0:3], 0 offen
	buffer_load_dword v135, v125, s[0:3], 0 offen offset:4
	ds_read_b128 v[128:131], v8
	v_add_nc_u32_e32 v7, 1, v7
	v_add_nc_u32_e32 v8, 16, v8
	;; [unrolled: 1-line block ×3, first 2 shown]
	v_cmp_lt_u32_e32 vcc_lo, 36, v7
	s_or_b32 s5, vcc_lo, s5
	s_waitcnt vmcnt(2) lgkmcnt(0)
	v_mul_f64 v[136:137], v[130:131], v[132:133]
	v_mul_f64 v[132:133], v[128:129], v[132:133]
	s_waitcnt vmcnt(0)
	v_fma_f64 v[128:129], v[128:129], v[134:135], -v[136:137]
	v_fma_f64 v[130:131], v[130:131], v[134:135], v[132:133]
	v_add_f64 v[3:4], v[3:4], v[128:129]
	v_add_f64 v[1:2], v[1:2], v[130:131]
	s_andn2_b32 exec_lo, exec_lo, s5
	s_cbranch_execnz .LBB121_165
; %bb.166:
	s_or_b32 exec_lo, exec_lo, s5
	v_mov_b32_e32 v7, 0
	ds_read_b128 v[128:131], v7 offset:608
	s_waitcnt lgkmcnt(0)
	v_mul_f64 v[7:8], v[1:2], v[130:131]
	v_mul_f64 v[125:126], v[3:4], v[130:131]
	v_fma_f64 v[3:4], v[3:4], v[128:129], -v[7:8]
	v_fma_f64 v[1:2], v[1:2], v[128:129], v[125:126]
	buffer_store_dword v4, off, s[0:3], 0 offset:628
	buffer_store_dword v3, off, s[0:3], 0 offset:624
	;; [unrolled: 1-line block ×4, first 2 shown]
.LBB121_167:
	s_or_b32 exec_lo, exec_lo, s4
	v_mov_b32_e32 v4, s30
	s_waitcnt_vscnt null, 0x0
	s_barrier
	buffer_gl0_inv
	s_mov_b32 s4, exec_lo
	s_clause 0x3
	buffer_load_dword v1, v4, s[0:3], 0 offen
	buffer_load_dword v2, v4, s[0:3], 0 offen offset:4
	buffer_load_dword v3, v4, s[0:3], 0 offen offset:8
	;; [unrolled: 1-line block ×3, first 2 shown]
	s_waitcnt vmcnt(0)
	ds_write_b128 v5, v[1:4]
	s_waitcnt lgkmcnt(0)
	s_barrier
	buffer_gl0_inv
	v_cmpx_gt_u32_e32 39, v0
	s_cbranch_execz .LBB121_171
; %bb.168:
	v_mov_b32_e32 v1, 0
	v_mov_b32_e32 v3, 0
	v_add_nc_u32_e32 v7, -1, v0
	v_add_nc_u32_e32 v8, 0x3a0, v127
	v_mov_b32_e32 v2, 0
	v_mov_b32_e32 v4, 0
	v_add_nc_u32_e32 v125, 16, v127
	s_mov_b32 s5, 0
	.p2align	6
.LBB121_169:                            ; =>This Inner Loop Header: Depth=1
	s_clause 0x3
	buffer_load_dword v132, v125, s[0:3], 0 offen offset:8
	buffer_load_dword v133, v125, s[0:3], 0 offen offset:12
	buffer_load_dword v134, v125, s[0:3], 0 offen
	buffer_load_dword v135, v125, s[0:3], 0 offen offset:4
	ds_read_b128 v[128:131], v8
	v_add_nc_u32_e32 v7, 1, v7
	v_add_nc_u32_e32 v8, 16, v8
	;; [unrolled: 1-line block ×3, first 2 shown]
	v_cmp_lt_u32_e32 vcc_lo, 37, v7
	s_or_b32 s5, vcc_lo, s5
	s_waitcnt vmcnt(2) lgkmcnt(0)
	v_mul_f64 v[136:137], v[130:131], v[132:133]
	v_mul_f64 v[132:133], v[128:129], v[132:133]
	s_waitcnt vmcnt(0)
	v_fma_f64 v[128:129], v[128:129], v[134:135], -v[136:137]
	v_fma_f64 v[130:131], v[130:131], v[134:135], v[132:133]
	v_add_f64 v[3:4], v[3:4], v[128:129]
	v_add_f64 v[1:2], v[1:2], v[130:131]
	s_andn2_b32 exec_lo, exec_lo, s5
	s_cbranch_execnz .LBB121_169
; %bb.170:
	s_or_b32 exec_lo, exec_lo, s5
	v_mov_b32_e32 v7, 0
	ds_read_b128 v[128:131], v7 offset:624
	s_waitcnt lgkmcnt(0)
	v_mul_f64 v[7:8], v[1:2], v[130:131]
	v_mul_f64 v[125:126], v[3:4], v[130:131]
	v_fma_f64 v[3:4], v[3:4], v[128:129], -v[7:8]
	v_fma_f64 v[1:2], v[1:2], v[128:129], v[125:126]
	buffer_store_dword v4, off, s[0:3], 0 offset:644
	buffer_store_dword v3, off, s[0:3], 0 offset:640
	;; [unrolled: 1-line block ×4, first 2 shown]
.LBB121_171:
	s_or_b32 exec_lo, exec_lo, s4
	v_mov_b32_e32 v4, s29
	s_waitcnt_vscnt null, 0x0
	s_barrier
	buffer_gl0_inv
	s_mov_b32 s4, exec_lo
	s_clause 0x3
	buffer_load_dword v1, v4, s[0:3], 0 offen
	buffer_load_dword v2, v4, s[0:3], 0 offen offset:4
	buffer_load_dword v3, v4, s[0:3], 0 offen offset:8
	buffer_load_dword v4, v4, s[0:3], 0 offen offset:12
	s_waitcnt vmcnt(0)
	ds_write_b128 v5, v[1:4]
	s_waitcnt lgkmcnt(0)
	s_barrier
	buffer_gl0_inv
	v_cmpx_gt_u32_e32 40, v0
	s_cbranch_execz .LBB121_175
; %bb.172:
	v_mov_b32_e32 v1, 0
	v_mov_b32_e32 v3, 0
	v_add_nc_u32_e32 v7, -1, v0
	v_add_nc_u32_e32 v8, 0x3a0, v127
	v_mov_b32_e32 v2, 0
	v_mov_b32_e32 v4, 0
	v_add_nc_u32_e32 v125, 16, v127
	s_mov_b32 s5, 0
	.p2align	6
.LBB121_173:                            ; =>This Inner Loop Header: Depth=1
	s_clause 0x3
	buffer_load_dword v132, v125, s[0:3], 0 offen offset:8
	buffer_load_dword v133, v125, s[0:3], 0 offen offset:12
	buffer_load_dword v134, v125, s[0:3], 0 offen
	buffer_load_dword v135, v125, s[0:3], 0 offen offset:4
	ds_read_b128 v[128:131], v8
	v_add_nc_u32_e32 v7, 1, v7
	v_add_nc_u32_e32 v8, 16, v8
	;; [unrolled: 1-line block ×3, first 2 shown]
	v_cmp_lt_u32_e32 vcc_lo, 38, v7
	s_or_b32 s5, vcc_lo, s5
	s_waitcnt vmcnt(2) lgkmcnt(0)
	v_mul_f64 v[136:137], v[130:131], v[132:133]
	v_mul_f64 v[132:133], v[128:129], v[132:133]
	s_waitcnt vmcnt(0)
	v_fma_f64 v[128:129], v[128:129], v[134:135], -v[136:137]
	v_fma_f64 v[130:131], v[130:131], v[134:135], v[132:133]
	v_add_f64 v[3:4], v[3:4], v[128:129]
	v_add_f64 v[1:2], v[1:2], v[130:131]
	s_andn2_b32 exec_lo, exec_lo, s5
	s_cbranch_execnz .LBB121_173
; %bb.174:
	s_or_b32 exec_lo, exec_lo, s5
	v_mov_b32_e32 v7, 0
	ds_read_b128 v[128:131], v7 offset:640
	s_waitcnt lgkmcnt(0)
	v_mul_f64 v[7:8], v[1:2], v[130:131]
	v_mul_f64 v[125:126], v[3:4], v[130:131]
	v_fma_f64 v[3:4], v[3:4], v[128:129], -v[7:8]
	v_fma_f64 v[1:2], v[1:2], v[128:129], v[125:126]
	buffer_store_dword v4, off, s[0:3], 0 offset:660
	buffer_store_dword v3, off, s[0:3], 0 offset:656
	;; [unrolled: 1-line block ×4, first 2 shown]
.LBB121_175:
	s_or_b32 exec_lo, exec_lo, s4
	v_mov_b32_e32 v4, s28
	s_waitcnt_vscnt null, 0x0
	s_barrier
	buffer_gl0_inv
	s_mov_b32 s4, exec_lo
	s_clause 0x3
	buffer_load_dword v1, v4, s[0:3], 0 offen
	buffer_load_dword v2, v4, s[0:3], 0 offen offset:4
	buffer_load_dword v3, v4, s[0:3], 0 offen offset:8
	;; [unrolled: 1-line block ×3, first 2 shown]
	s_waitcnt vmcnt(0)
	ds_write_b128 v5, v[1:4]
	s_waitcnt lgkmcnt(0)
	s_barrier
	buffer_gl0_inv
	v_cmpx_gt_u32_e32 41, v0
	s_cbranch_execz .LBB121_179
; %bb.176:
	v_mov_b32_e32 v1, 0
	v_mov_b32_e32 v3, 0
	v_add_nc_u32_e32 v7, -1, v0
	v_add_nc_u32_e32 v8, 0x3a0, v127
	v_mov_b32_e32 v2, 0
	v_mov_b32_e32 v4, 0
	v_add_nc_u32_e32 v125, 16, v127
	s_mov_b32 s5, 0
	.p2align	6
.LBB121_177:                            ; =>This Inner Loop Header: Depth=1
	s_clause 0x3
	buffer_load_dword v132, v125, s[0:3], 0 offen offset:8
	buffer_load_dword v133, v125, s[0:3], 0 offen offset:12
	buffer_load_dword v134, v125, s[0:3], 0 offen
	buffer_load_dword v135, v125, s[0:3], 0 offen offset:4
	ds_read_b128 v[128:131], v8
	v_add_nc_u32_e32 v7, 1, v7
	v_add_nc_u32_e32 v8, 16, v8
	;; [unrolled: 1-line block ×3, first 2 shown]
	v_cmp_lt_u32_e32 vcc_lo, 39, v7
	s_or_b32 s5, vcc_lo, s5
	s_waitcnt vmcnt(2) lgkmcnt(0)
	v_mul_f64 v[136:137], v[130:131], v[132:133]
	v_mul_f64 v[132:133], v[128:129], v[132:133]
	s_waitcnt vmcnt(0)
	v_fma_f64 v[128:129], v[128:129], v[134:135], -v[136:137]
	v_fma_f64 v[130:131], v[130:131], v[134:135], v[132:133]
	v_add_f64 v[3:4], v[3:4], v[128:129]
	v_add_f64 v[1:2], v[1:2], v[130:131]
	s_andn2_b32 exec_lo, exec_lo, s5
	s_cbranch_execnz .LBB121_177
; %bb.178:
	s_or_b32 exec_lo, exec_lo, s5
	v_mov_b32_e32 v7, 0
	ds_read_b128 v[128:131], v7 offset:656
	s_waitcnt lgkmcnt(0)
	v_mul_f64 v[7:8], v[1:2], v[130:131]
	v_mul_f64 v[125:126], v[3:4], v[130:131]
	v_fma_f64 v[3:4], v[3:4], v[128:129], -v[7:8]
	v_fma_f64 v[1:2], v[1:2], v[128:129], v[125:126]
	buffer_store_dword v4, off, s[0:3], 0 offset:676
	buffer_store_dword v3, off, s[0:3], 0 offset:672
	;; [unrolled: 1-line block ×4, first 2 shown]
.LBB121_179:
	s_or_b32 exec_lo, exec_lo, s4
	v_mov_b32_e32 v4, s27
	s_waitcnt_vscnt null, 0x0
	s_barrier
	buffer_gl0_inv
	s_mov_b32 s4, exec_lo
	s_clause 0x3
	buffer_load_dword v1, v4, s[0:3], 0 offen
	buffer_load_dword v2, v4, s[0:3], 0 offen offset:4
	buffer_load_dword v3, v4, s[0:3], 0 offen offset:8
	;; [unrolled: 1-line block ×3, first 2 shown]
	s_waitcnt vmcnt(0)
	ds_write_b128 v5, v[1:4]
	s_waitcnt lgkmcnt(0)
	s_barrier
	buffer_gl0_inv
	v_cmpx_gt_u32_e32 42, v0
	s_cbranch_execz .LBB121_183
; %bb.180:
	v_mov_b32_e32 v1, 0
	v_mov_b32_e32 v3, 0
	v_add_nc_u32_e32 v7, -1, v0
	v_add_nc_u32_e32 v8, 0x3a0, v127
	v_mov_b32_e32 v2, 0
	v_mov_b32_e32 v4, 0
	v_add_nc_u32_e32 v125, 16, v127
	s_mov_b32 s5, 0
	.p2align	6
.LBB121_181:                            ; =>This Inner Loop Header: Depth=1
	s_clause 0x3
	buffer_load_dword v132, v125, s[0:3], 0 offen offset:8
	buffer_load_dword v133, v125, s[0:3], 0 offen offset:12
	buffer_load_dword v134, v125, s[0:3], 0 offen
	buffer_load_dword v135, v125, s[0:3], 0 offen offset:4
	ds_read_b128 v[128:131], v8
	v_add_nc_u32_e32 v7, 1, v7
	v_add_nc_u32_e32 v8, 16, v8
	;; [unrolled: 1-line block ×3, first 2 shown]
	v_cmp_lt_u32_e32 vcc_lo, 40, v7
	s_or_b32 s5, vcc_lo, s5
	s_waitcnt vmcnt(2) lgkmcnt(0)
	v_mul_f64 v[136:137], v[130:131], v[132:133]
	v_mul_f64 v[132:133], v[128:129], v[132:133]
	s_waitcnt vmcnt(0)
	v_fma_f64 v[128:129], v[128:129], v[134:135], -v[136:137]
	v_fma_f64 v[130:131], v[130:131], v[134:135], v[132:133]
	v_add_f64 v[3:4], v[3:4], v[128:129]
	v_add_f64 v[1:2], v[1:2], v[130:131]
	s_andn2_b32 exec_lo, exec_lo, s5
	s_cbranch_execnz .LBB121_181
; %bb.182:
	s_or_b32 exec_lo, exec_lo, s5
	v_mov_b32_e32 v7, 0
	ds_read_b128 v[128:131], v7 offset:672
	s_waitcnt lgkmcnt(0)
	v_mul_f64 v[7:8], v[1:2], v[130:131]
	v_mul_f64 v[125:126], v[3:4], v[130:131]
	v_fma_f64 v[3:4], v[3:4], v[128:129], -v[7:8]
	v_fma_f64 v[1:2], v[1:2], v[128:129], v[125:126]
	buffer_store_dword v4, off, s[0:3], 0 offset:692
	buffer_store_dword v3, off, s[0:3], 0 offset:688
	;; [unrolled: 1-line block ×4, first 2 shown]
.LBB121_183:
	s_or_b32 exec_lo, exec_lo, s4
	v_mov_b32_e32 v4, s26
	s_waitcnt_vscnt null, 0x0
	s_barrier
	buffer_gl0_inv
	s_mov_b32 s4, exec_lo
	s_clause 0x3
	buffer_load_dword v1, v4, s[0:3], 0 offen
	buffer_load_dword v2, v4, s[0:3], 0 offen offset:4
	buffer_load_dword v3, v4, s[0:3], 0 offen offset:8
	;; [unrolled: 1-line block ×3, first 2 shown]
	s_waitcnt vmcnt(0)
	ds_write_b128 v5, v[1:4]
	s_waitcnt lgkmcnt(0)
	s_barrier
	buffer_gl0_inv
	v_cmpx_gt_u32_e32 43, v0
	s_cbranch_execz .LBB121_187
; %bb.184:
	v_mov_b32_e32 v1, 0
	v_mov_b32_e32 v3, 0
	v_add_nc_u32_e32 v7, -1, v0
	v_add_nc_u32_e32 v8, 0x3a0, v127
	v_mov_b32_e32 v2, 0
	v_mov_b32_e32 v4, 0
	v_add_nc_u32_e32 v125, 16, v127
	s_mov_b32 s5, 0
	.p2align	6
.LBB121_185:                            ; =>This Inner Loop Header: Depth=1
	s_clause 0x3
	buffer_load_dword v132, v125, s[0:3], 0 offen offset:8
	buffer_load_dword v133, v125, s[0:3], 0 offen offset:12
	buffer_load_dword v134, v125, s[0:3], 0 offen
	buffer_load_dword v135, v125, s[0:3], 0 offen offset:4
	ds_read_b128 v[128:131], v8
	v_add_nc_u32_e32 v7, 1, v7
	v_add_nc_u32_e32 v8, 16, v8
	;; [unrolled: 1-line block ×3, first 2 shown]
	v_cmp_lt_u32_e32 vcc_lo, 41, v7
	s_or_b32 s5, vcc_lo, s5
	s_waitcnt vmcnt(2) lgkmcnt(0)
	v_mul_f64 v[136:137], v[130:131], v[132:133]
	v_mul_f64 v[132:133], v[128:129], v[132:133]
	s_waitcnt vmcnt(0)
	v_fma_f64 v[128:129], v[128:129], v[134:135], -v[136:137]
	v_fma_f64 v[130:131], v[130:131], v[134:135], v[132:133]
	v_add_f64 v[3:4], v[3:4], v[128:129]
	v_add_f64 v[1:2], v[1:2], v[130:131]
	s_andn2_b32 exec_lo, exec_lo, s5
	s_cbranch_execnz .LBB121_185
; %bb.186:
	s_or_b32 exec_lo, exec_lo, s5
	v_mov_b32_e32 v7, 0
	ds_read_b128 v[128:131], v7 offset:688
	s_waitcnt lgkmcnt(0)
	v_mul_f64 v[7:8], v[1:2], v[130:131]
	v_mul_f64 v[125:126], v[3:4], v[130:131]
	v_fma_f64 v[3:4], v[3:4], v[128:129], -v[7:8]
	v_fma_f64 v[1:2], v[1:2], v[128:129], v[125:126]
	buffer_store_dword v4, off, s[0:3], 0 offset:708
	buffer_store_dword v3, off, s[0:3], 0 offset:704
	;; [unrolled: 1-line block ×4, first 2 shown]
.LBB121_187:
	s_or_b32 exec_lo, exec_lo, s4
	v_mov_b32_e32 v4, s25
	s_waitcnt_vscnt null, 0x0
	s_barrier
	buffer_gl0_inv
	s_mov_b32 s4, exec_lo
	s_clause 0x3
	buffer_load_dword v1, v4, s[0:3], 0 offen
	buffer_load_dword v2, v4, s[0:3], 0 offen offset:4
	buffer_load_dword v3, v4, s[0:3], 0 offen offset:8
	;; [unrolled: 1-line block ×3, first 2 shown]
	s_waitcnt vmcnt(0)
	ds_write_b128 v5, v[1:4]
	s_waitcnt lgkmcnt(0)
	s_barrier
	buffer_gl0_inv
	v_cmpx_gt_u32_e32 44, v0
	s_cbranch_execz .LBB121_191
; %bb.188:
	v_mov_b32_e32 v1, 0
	v_mov_b32_e32 v3, 0
	v_add_nc_u32_e32 v7, -1, v0
	v_add_nc_u32_e32 v8, 0x3a0, v127
	v_mov_b32_e32 v2, 0
	v_mov_b32_e32 v4, 0
	v_add_nc_u32_e32 v125, 16, v127
	s_mov_b32 s5, 0
	.p2align	6
.LBB121_189:                            ; =>This Inner Loop Header: Depth=1
	s_clause 0x3
	buffer_load_dword v132, v125, s[0:3], 0 offen offset:8
	buffer_load_dword v133, v125, s[0:3], 0 offen offset:12
	buffer_load_dword v134, v125, s[0:3], 0 offen
	buffer_load_dword v135, v125, s[0:3], 0 offen offset:4
	ds_read_b128 v[128:131], v8
	v_add_nc_u32_e32 v7, 1, v7
	v_add_nc_u32_e32 v8, 16, v8
	;; [unrolled: 1-line block ×3, first 2 shown]
	v_cmp_lt_u32_e32 vcc_lo, 42, v7
	s_or_b32 s5, vcc_lo, s5
	s_waitcnt vmcnt(2) lgkmcnt(0)
	v_mul_f64 v[136:137], v[130:131], v[132:133]
	v_mul_f64 v[132:133], v[128:129], v[132:133]
	s_waitcnt vmcnt(0)
	v_fma_f64 v[128:129], v[128:129], v[134:135], -v[136:137]
	v_fma_f64 v[130:131], v[130:131], v[134:135], v[132:133]
	v_add_f64 v[3:4], v[3:4], v[128:129]
	v_add_f64 v[1:2], v[1:2], v[130:131]
	s_andn2_b32 exec_lo, exec_lo, s5
	s_cbranch_execnz .LBB121_189
; %bb.190:
	s_or_b32 exec_lo, exec_lo, s5
	v_mov_b32_e32 v7, 0
	ds_read_b128 v[128:131], v7 offset:704
	s_waitcnt lgkmcnt(0)
	v_mul_f64 v[7:8], v[1:2], v[130:131]
	v_mul_f64 v[125:126], v[3:4], v[130:131]
	v_fma_f64 v[3:4], v[3:4], v[128:129], -v[7:8]
	v_fma_f64 v[1:2], v[1:2], v[128:129], v[125:126]
	buffer_store_dword v4, off, s[0:3], 0 offset:724
	buffer_store_dword v3, off, s[0:3], 0 offset:720
	;; [unrolled: 1-line block ×4, first 2 shown]
.LBB121_191:
	s_or_b32 exec_lo, exec_lo, s4
	v_mov_b32_e32 v4, s24
	s_waitcnt_vscnt null, 0x0
	s_barrier
	buffer_gl0_inv
	s_mov_b32 s4, exec_lo
	s_clause 0x3
	buffer_load_dword v1, v4, s[0:3], 0 offen
	buffer_load_dword v2, v4, s[0:3], 0 offen offset:4
	buffer_load_dword v3, v4, s[0:3], 0 offen offset:8
	;; [unrolled: 1-line block ×3, first 2 shown]
	s_waitcnt vmcnt(0)
	ds_write_b128 v5, v[1:4]
	s_waitcnt lgkmcnt(0)
	s_barrier
	buffer_gl0_inv
	v_cmpx_gt_u32_e32 45, v0
	s_cbranch_execz .LBB121_195
; %bb.192:
	v_mov_b32_e32 v1, 0
	v_mov_b32_e32 v3, 0
	v_add_nc_u32_e32 v7, -1, v0
	v_add_nc_u32_e32 v8, 0x3a0, v127
	v_mov_b32_e32 v2, 0
	v_mov_b32_e32 v4, 0
	v_add_nc_u32_e32 v125, 16, v127
	s_mov_b32 s5, 0
	.p2align	6
.LBB121_193:                            ; =>This Inner Loop Header: Depth=1
	s_clause 0x3
	buffer_load_dword v132, v125, s[0:3], 0 offen offset:8
	buffer_load_dword v133, v125, s[0:3], 0 offen offset:12
	buffer_load_dword v134, v125, s[0:3], 0 offen
	buffer_load_dword v135, v125, s[0:3], 0 offen offset:4
	ds_read_b128 v[128:131], v8
	v_add_nc_u32_e32 v7, 1, v7
	v_add_nc_u32_e32 v8, 16, v8
	;; [unrolled: 1-line block ×3, first 2 shown]
	v_cmp_lt_u32_e32 vcc_lo, 43, v7
	s_or_b32 s5, vcc_lo, s5
	s_waitcnt vmcnt(2) lgkmcnt(0)
	v_mul_f64 v[136:137], v[130:131], v[132:133]
	v_mul_f64 v[132:133], v[128:129], v[132:133]
	s_waitcnt vmcnt(0)
	v_fma_f64 v[128:129], v[128:129], v[134:135], -v[136:137]
	v_fma_f64 v[130:131], v[130:131], v[134:135], v[132:133]
	v_add_f64 v[3:4], v[3:4], v[128:129]
	v_add_f64 v[1:2], v[1:2], v[130:131]
	s_andn2_b32 exec_lo, exec_lo, s5
	s_cbranch_execnz .LBB121_193
; %bb.194:
	s_or_b32 exec_lo, exec_lo, s5
	v_mov_b32_e32 v7, 0
	ds_read_b128 v[128:131], v7 offset:720
	s_waitcnt lgkmcnt(0)
	v_mul_f64 v[7:8], v[1:2], v[130:131]
	v_mul_f64 v[125:126], v[3:4], v[130:131]
	v_fma_f64 v[3:4], v[3:4], v[128:129], -v[7:8]
	v_fma_f64 v[1:2], v[1:2], v[128:129], v[125:126]
	buffer_store_dword v4, off, s[0:3], 0 offset:740
	buffer_store_dword v3, off, s[0:3], 0 offset:736
	;; [unrolled: 1-line block ×4, first 2 shown]
.LBB121_195:
	s_or_b32 exec_lo, exec_lo, s4
	v_mov_b32_e32 v4, s23
	s_waitcnt_vscnt null, 0x0
	s_barrier
	buffer_gl0_inv
	s_mov_b32 s4, exec_lo
	s_clause 0x3
	buffer_load_dword v1, v4, s[0:3], 0 offen
	buffer_load_dword v2, v4, s[0:3], 0 offen offset:4
	buffer_load_dword v3, v4, s[0:3], 0 offen offset:8
	;; [unrolled: 1-line block ×3, first 2 shown]
	s_waitcnt vmcnt(0)
	ds_write_b128 v5, v[1:4]
	s_waitcnt lgkmcnt(0)
	s_barrier
	buffer_gl0_inv
	v_cmpx_gt_u32_e32 46, v0
	s_cbranch_execz .LBB121_199
; %bb.196:
	v_mov_b32_e32 v1, 0
	v_mov_b32_e32 v3, 0
	v_add_nc_u32_e32 v7, -1, v0
	v_add_nc_u32_e32 v8, 0x3a0, v127
	v_mov_b32_e32 v2, 0
	v_mov_b32_e32 v4, 0
	v_add_nc_u32_e32 v125, 16, v127
	s_mov_b32 s5, 0
	.p2align	6
.LBB121_197:                            ; =>This Inner Loop Header: Depth=1
	s_clause 0x3
	buffer_load_dword v132, v125, s[0:3], 0 offen offset:8
	buffer_load_dword v133, v125, s[0:3], 0 offen offset:12
	buffer_load_dword v134, v125, s[0:3], 0 offen
	buffer_load_dword v135, v125, s[0:3], 0 offen offset:4
	ds_read_b128 v[128:131], v8
	v_add_nc_u32_e32 v7, 1, v7
	v_add_nc_u32_e32 v8, 16, v8
	;; [unrolled: 1-line block ×3, first 2 shown]
	v_cmp_lt_u32_e32 vcc_lo, 44, v7
	s_or_b32 s5, vcc_lo, s5
	s_waitcnt vmcnt(2) lgkmcnt(0)
	v_mul_f64 v[136:137], v[130:131], v[132:133]
	v_mul_f64 v[132:133], v[128:129], v[132:133]
	s_waitcnt vmcnt(0)
	v_fma_f64 v[128:129], v[128:129], v[134:135], -v[136:137]
	v_fma_f64 v[130:131], v[130:131], v[134:135], v[132:133]
	v_add_f64 v[3:4], v[3:4], v[128:129]
	v_add_f64 v[1:2], v[1:2], v[130:131]
	s_andn2_b32 exec_lo, exec_lo, s5
	s_cbranch_execnz .LBB121_197
; %bb.198:
	s_or_b32 exec_lo, exec_lo, s5
	v_mov_b32_e32 v7, 0
	ds_read_b128 v[128:131], v7 offset:736
	s_waitcnt lgkmcnt(0)
	v_mul_f64 v[7:8], v[1:2], v[130:131]
	v_mul_f64 v[125:126], v[3:4], v[130:131]
	v_fma_f64 v[3:4], v[3:4], v[128:129], -v[7:8]
	v_fma_f64 v[1:2], v[1:2], v[128:129], v[125:126]
	buffer_store_dword v4, off, s[0:3], 0 offset:756
	buffer_store_dword v3, off, s[0:3], 0 offset:752
	;; [unrolled: 1-line block ×4, first 2 shown]
.LBB121_199:
	s_or_b32 exec_lo, exec_lo, s4
	v_mov_b32_e32 v4, s22
	s_waitcnt_vscnt null, 0x0
	s_barrier
	buffer_gl0_inv
	s_mov_b32 s4, exec_lo
	s_clause 0x3
	buffer_load_dword v1, v4, s[0:3], 0 offen
	buffer_load_dword v2, v4, s[0:3], 0 offen offset:4
	buffer_load_dword v3, v4, s[0:3], 0 offen offset:8
	;; [unrolled: 1-line block ×3, first 2 shown]
	s_waitcnt vmcnt(0)
	ds_write_b128 v5, v[1:4]
	s_waitcnt lgkmcnt(0)
	s_barrier
	buffer_gl0_inv
	v_cmpx_gt_u32_e32 47, v0
	s_cbranch_execz .LBB121_203
; %bb.200:
	v_mov_b32_e32 v1, 0
	v_mov_b32_e32 v3, 0
	v_add_nc_u32_e32 v7, -1, v0
	v_add_nc_u32_e32 v8, 0x3a0, v127
	v_mov_b32_e32 v2, 0
	v_mov_b32_e32 v4, 0
	v_add_nc_u32_e32 v125, 16, v127
	s_mov_b32 s5, 0
	.p2align	6
.LBB121_201:                            ; =>This Inner Loop Header: Depth=1
	s_clause 0x3
	buffer_load_dword v132, v125, s[0:3], 0 offen offset:8
	buffer_load_dword v133, v125, s[0:3], 0 offen offset:12
	buffer_load_dword v134, v125, s[0:3], 0 offen
	buffer_load_dword v135, v125, s[0:3], 0 offen offset:4
	ds_read_b128 v[128:131], v8
	v_add_nc_u32_e32 v7, 1, v7
	v_add_nc_u32_e32 v8, 16, v8
	;; [unrolled: 1-line block ×3, first 2 shown]
	v_cmp_lt_u32_e32 vcc_lo, 45, v7
	s_or_b32 s5, vcc_lo, s5
	s_waitcnt vmcnt(2) lgkmcnt(0)
	v_mul_f64 v[136:137], v[130:131], v[132:133]
	v_mul_f64 v[132:133], v[128:129], v[132:133]
	s_waitcnt vmcnt(0)
	v_fma_f64 v[128:129], v[128:129], v[134:135], -v[136:137]
	v_fma_f64 v[130:131], v[130:131], v[134:135], v[132:133]
	v_add_f64 v[3:4], v[3:4], v[128:129]
	v_add_f64 v[1:2], v[1:2], v[130:131]
	s_andn2_b32 exec_lo, exec_lo, s5
	s_cbranch_execnz .LBB121_201
; %bb.202:
	s_or_b32 exec_lo, exec_lo, s5
	v_mov_b32_e32 v7, 0
	ds_read_b128 v[128:131], v7 offset:752
	s_waitcnt lgkmcnt(0)
	v_mul_f64 v[7:8], v[1:2], v[130:131]
	v_mul_f64 v[125:126], v[3:4], v[130:131]
	v_fma_f64 v[3:4], v[3:4], v[128:129], -v[7:8]
	v_fma_f64 v[1:2], v[1:2], v[128:129], v[125:126]
	buffer_store_dword v4, off, s[0:3], 0 offset:772
	buffer_store_dword v3, off, s[0:3], 0 offset:768
	;; [unrolled: 1-line block ×4, first 2 shown]
.LBB121_203:
	s_or_b32 exec_lo, exec_lo, s4
	v_mov_b32_e32 v4, s21
	s_waitcnt_vscnt null, 0x0
	s_barrier
	buffer_gl0_inv
	s_mov_b32 s4, exec_lo
	s_clause 0x3
	buffer_load_dword v1, v4, s[0:3], 0 offen
	buffer_load_dword v2, v4, s[0:3], 0 offen offset:4
	buffer_load_dword v3, v4, s[0:3], 0 offen offset:8
	buffer_load_dword v4, v4, s[0:3], 0 offen offset:12
	s_waitcnt vmcnt(0)
	ds_write_b128 v5, v[1:4]
	s_waitcnt lgkmcnt(0)
	s_barrier
	buffer_gl0_inv
	v_cmpx_gt_u32_e32 48, v0
	s_cbranch_execz .LBB121_207
; %bb.204:
	v_mov_b32_e32 v1, 0
	v_mov_b32_e32 v3, 0
	v_add_nc_u32_e32 v7, -1, v0
	v_add_nc_u32_e32 v8, 0x3a0, v127
	v_mov_b32_e32 v2, 0
	v_mov_b32_e32 v4, 0
	v_add_nc_u32_e32 v125, 16, v127
	s_mov_b32 s5, 0
	.p2align	6
.LBB121_205:                            ; =>This Inner Loop Header: Depth=1
	s_clause 0x3
	buffer_load_dword v132, v125, s[0:3], 0 offen offset:8
	buffer_load_dword v133, v125, s[0:3], 0 offen offset:12
	buffer_load_dword v134, v125, s[0:3], 0 offen
	buffer_load_dword v135, v125, s[0:3], 0 offen offset:4
	ds_read_b128 v[128:131], v8
	v_add_nc_u32_e32 v7, 1, v7
	v_add_nc_u32_e32 v8, 16, v8
	;; [unrolled: 1-line block ×3, first 2 shown]
	v_cmp_lt_u32_e32 vcc_lo, 46, v7
	s_or_b32 s5, vcc_lo, s5
	s_waitcnt vmcnt(2) lgkmcnt(0)
	v_mul_f64 v[136:137], v[130:131], v[132:133]
	v_mul_f64 v[132:133], v[128:129], v[132:133]
	s_waitcnt vmcnt(0)
	v_fma_f64 v[128:129], v[128:129], v[134:135], -v[136:137]
	v_fma_f64 v[130:131], v[130:131], v[134:135], v[132:133]
	v_add_f64 v[3:4], v[3:4], v[128:129]
	v_add_f64 v[1:2], v[1:2], v[130:131]
	s_andn2_b32 exec_lo, exec_lo, s5
	s_cbranch_execnz .LBB121_205
; %bb.206:
	s_or_b32 exec_lo, exec_lo, s5
	v_mov_b32_e32 v7, 0
	ds_read_b128 v[128:131], v7 offset:768
	s_waitcnt lgkmcnt(0)
	v_mul_f64 v[7:8], v[1:2], v[130:131]
	v_mul_f64 v[125:126], v[3:4], v[130:131]
	v_fma_f64 v[3:4], v[3:4], v[128:129], -v[7:8]
	v_fma_f64 v[1:2], v[1:2], v[128:129], v[125:126]
	buffer_store_dword v4, off, s[0:3], 0 offset:788
	buffer_store_dword v3, off, s[0:3], 0 offset:784
	;; [unrolled: 1-line block ×4, first 2 shown]
.LBB121_207:
	s_or_b32 exec_lo, exec_lo, s4
	v_mov_b32_e32 v4, s20
	s_waitcnt_vscnt null, 0x0
	s_barrier
	buffer_gl0_inv
	s_mov_b32 s4, exec_lo
	s_clause 0x3
	buffer_load_dword v1, v4, s[0:3], 0 offen
	buffer_load_dword v2, v4, s[0:3], 0 offen offset:4
	buffer_load_dword v3, v4, s[0:3], 0 offen offset:8
	;; [unrolled: 1-line block ×3, first 2 shown]
	s_waitcnt vmcnt(0)
	ds_write_b128 v5, v[1:4]
	s_waitcnt lgkmcnt(0)
	s_barrier
	buffer_gl0_inv
	v_cmpx_gt_u32_e32 49, v0
	s_cbranch_execz .LBB121_211
; %bb.208:
	v_mov_b32_e32 v1, 0
	v_mov_b32_e32 v3, 0
	v_add_nc_u32_e32 v7, -1, v0
	v_add_nc_u32_e32 v8, 0x3a0, v127
	v_mov_b32_e32 v2, 0
	v_mov_b32_e32 v4, 0
	v_add_nc_u32_e32 v125, 16, v127
	s_mov_b32 s5, 0
	.p2align	6
.LBB121_209:                            ; =>This Inner Loop Header: Depth=1
	s_clause 0x3
	buffer_load_dword v132, v125, s[0:3], 0 offen offset:8
	buffer_load_dword v133, v125, s[0:3], 0 offen offset:12
	buffer_load_dword v134, v125, s[0:3], 0 offen
	buffer_load_dword v135, v125, s[0:3], 0 offen offset:4
	ds_read_b128 v[128:131], v8
	v_add_nc_u32_e32 v7, 1, v7
	v_add_nc_u32_e32 v8, 16, v8
	;; [unrolled: 1-line block ×3, first 2 shown]
	v_cmp_lt_u32_e32 vcc_lo, 47, v7
	s_or_b32 s5, vcc_lo, s5
	s_waitcnt vmcnt(2) lgkmcnt(0)
	v_mul_f64 v[136:137], v[130:131], v[132:133]
	v_mul_f64 v[132:133], v[128:129], v[132:133]
	s_waitcnt vmcnt(0)
	v_fma_f64 v[128:129], v[128:129], v[134:135], -v[136:137]
	v_fma_f64 v[130:131], v[130:131], v[134:135], v[132:133]
	v_add_f64 v[3:4], v[3:4], v[128:129]
	v_add_f64 v[1:2], v[1:2], v[130:131]
	s_andn2_b32 exec_lo, exec_lo, s5
	s_cbranch_execnz .LBB121_209
; %bb.210:
	s_or_b32 exec_lo, exec_lo, s5
	v_mov_b32_e32 v7, 0
	ds_read_b128 v[128:131], v7 offset:784
	s_waitcnt lgkmcnt(0)
	v_mul_f64 v[7:8], v[1:2], v[130:131]
	v_mul_f64 v[125:126], v[3:4], v[130:131]
	v_fma_f64 v[3:4], v[3:4], v[128:129], -v[7:8]
	v_fma_f64 v[1:2], v[1:2], v[128:129], v[125:126]
	buffer_store_dword v4, off, s[0:3], 0 offset:804
	buffer_store_dword v3, off, s[0:3], 0 offset:800
	;; [unrolled: 1-line block ×4, first 2 shown]
.LBB121_211:
	s_or_b32 exec_lo, exec_lo, s4
	v_mov_b32_e32 v4, s19
	s_waitcnt_vscnt null, 0x0
	s_barrier
	buffer_gl0_inv
	s_mov_b32 s4, exec_lo
	s_clause 0x3
	buffer_load_dword v1, v4, s[0:3], 0 offen
	buffer_load_dword v2, v4, s[0:3], 0 offen offset:4
	buffer_load_dword v3, v4, s[0:3], 0 offen offset:8
	;; [unrolled: 1-line block ×3, first 2 shown]
	s_waitcnt vmcnt(0)
	ds_write_b128 v5, v[1:4]
	s_waitcnt lgkmcnt(0)
	s_barrier
	buffer_gl0_inv
	v_cmpx_gt_u32_e32 50, v0
	s_cbranch_execz .LBB121_215
; %bb.212:
	v_mov_b32_e32 v1, 0
	v_mov_b32_e32 v3, 0
	v_add_nc_u32_e32 v7, -1, v0
	v_add_nc_u32_e32 v8, 0x3a0, v127
	v_mov_b32_e32 v2, 0
	v_mov_b32_e32 v4, 0
	v_add_nc_u32_e32 v125, 16, v127
	s_mov_b32 s5, 0
	.p2align	6
.LBB121_213:                            ; =>This Inner Loop Header: Depth=1
	s_clause 0x3
	buffer_load_dword v132, v125, s[0:3], 0 offen offset:8
	buffer_load_dword v133, v125, s[0:3], 0 offen offset:12
	buffer_load_dword v134, v125, s[0:3], 0 offen
	buffer_load_dword v135, v125, s[0:3], 0 offen offset:4
	ds_read_b128 v[128:131], v8
	v_add_nc_u32_e32 v7, 1, v7
	v_add_nc_u32_e32 v8, 16, v8
	;; [unrolled: 1-line block ×3, first 2 shown]
	v_cmp_lt_u32_e32 vcc_lo, 48, v7
	s_or_b32 s5, vcc_lo, s5
	s_waitcnt vmcnt(2) lgkmcnt(0)
	v_mul_f64 v[136:137], v[130:131], v[132:133]
	v_mul_f64 v[132:133], v[128:129], v[132:133]
	s_waitcnt vmcnt(0)
	v_fma_f64 v[128:129], v[128:129], v[134:135], -v[136:137]
	v_fma_f64 v[130:131], v[130:131], v[134:135], v[132:133]
	v_add_f64 v[3:4], v[3:4], v[128:129]
	v_add_f64 v[1:2], v[1:2], v[130:131]
	s_andn2_b32 exec_lo, exec_lo, s5
	s_cbranch_execnz .LBB121_213
; %bb.214:
	s_or_b32 exec_lo, exec_lo, s5
	v_mov_b32_e32 v7, 0
	ds_read_b128 v[128:131], v7 offset:800
	s_waitcnt lgkmcnt(0)
	v_mul_f64 v[7:8], v[1:2], v[130:131]
	v_mul_f64 v[125:126], v[3:4], v[130:131]
	v_fma_f64 v[3:4], v[3:4], v[128:129], -v[7:8]
	v_fma_f64 v[1:2], v[1:2], v[128:129], v[125:126]
	buffer_store_dword v4, off, s[0:3], 0 offset:820
	buffer_store_dword v3, off, s[0:3], 0 offset:816
	;; [unrolled: 1-line block ×4, first 2 shown]
.LBB121_215:
	s_or_b32 exec_lo, exec_lo, s4
	v_mov_b32_e32 v4, s18
	s_waitcnt_vscnt null, 0x0
	s_barrier
	buffer_gl0_inv
	s_mov_b32 s4, exec_lo
	s_clause 0x3
	buffer_load_dword v1, v4, s[0:3], 0 offen
	buffer_load_dword v2, v4, s[0:3], 0 offen offset:4
	buffer_load_dword v3, v4, s[0:3], 0 offen offset:8
	;; [unrolled: 1-line block ×3, first 2 shown]
	s_waitcnt vmcnt(0)
	ds_write_b128 v5, v[1:4]
	s_waitcnt lgkmcnt(0)
	s_barrier
	buffer_gl0_inv
	v_cmpx_gt_u32_e32 51, v0
	s_cbranch_execz .LBB121_219
; %bb.216:
	v_mov_b32_e32 v1, 0
	v_mov_b32_e32 v3, 0
	v_add_nc_u32_e32 v7, -1, v0
	v_add_nc_u32_e32 v8, 0x3a0, v127
	v_mov_b32_e32 v2, 0
	v_mov_b32_e32 v4, 0
	v_add_nc_u32_e32 v125, 16, v127
	s_mov_b32 s5, 0
	.p2align	6
.LBB121_217:                            ; =>This Inner Loop Header: Depth=1
	s_clause 0x3
	buffer_load_dword v132, v125, s[0:3], 0 offen offset:8
	buffer_load_dword v133, v125, s[0:3], 0 offen offset:12
	buffer_load_dword v134, v125, s[0:3], 0 offen
	buffer_load_dword v135, v125, s[0:3], 0 offen offset:4
	ds_read_b128 v[128:131], v8
	v_add_nc_u32_e32 v7, 1, v7
	v_add_nc_u32_e32 v8, 16, v8
	;; [unrolled: 1-line block ×3, first 2 shown]
	v_cmp_lt_u32_e32 vcc_lo, 49, v7
	s_or_b32 s5, vcc_lo, s5
	s_waitcnt vmcnt(2) lgkmcnt(0)
	v_mul_f64 v[136:137], v[130:131], v[132:133]
	v_mul_f64 v[132:133], v[128:129], v[132:133]
	s_waitcnt vmcnt(0)
	v_fma_f64 v[128:129], v[128:129], v[134:135], -v[136:137]
	v_fma_f64 v[130:131], v[130:131], v[134:135], v[132:133]
	v_add_f64 v[3:4], v[3:4], v[128:129]
	v_add_f64 v[1:2], v[1:2], v[130:131]
	s_andn2_b32 exec_lo, exec_lo, s5
	s_cbranch_execnz .LBB121_217
; %bb.218:
	s_or_b32 exec_lo, exec_lo, s5
	v_mov_b32_e32 v7, 0
	ds_read_b128 v[128:131], v7 offset:816
	s_waitcnt lgkmcnt(0)
	v_mul_f64 v[7:8], v[1:2], v[130:131]
	v_mul_f64 v[125:126], v[3:4], v[130:131]
	v_fma_f64 v[3:4], v[3:4], v[128:129], -v[7:8]
	v_fma_f64 v[1:2], v[1:2], v[128:129], v[125:126]
	buffer_store_dword v4, off, s[0:3], 0 offset:836
	buffer_store_dword v3, off, s[0:3], 0 offset:832
	buffer_store_dword v2, off, s[0:3], 0 offset:844
	buffer_store_dword v1, off, s[0:3], 0 offset:840
.LBB121_219:
	s_or_b32 exec_lo, exec_lo, s4
	v_mov_b32_e32 v4, s17
	s_waitcnt_vscnt null, 0x0
	s_barrier
	buffer_gl0_inv
	s_mov_b32 s4, exec_lo
	s_clause 0x3
	buffer_load_dword v1, v4, s[0:3], 0 offen
	buffer_load_dword v2, v4, s[0:3], 0 offen offset:4
	buffer_load_dword v3, v4, s[0:3], 0 offen offset:8
	;; [unrolled: 1-line block ×3, first 2 shown]
	s_waitcnt vmcnt(0)
	ds_write_b128 v5, v[1:4]
	s_waitcnt lgkmcnt(0)
	s_barrier
	buffer_gl0_inv
	v_cmpx_gt_u32_e32 52, v0
	s_cbranch_execz .LBB121_223
; %bb.220:
	v_mov_b32_e32 v1, 0
	v_mov_b32_e32 v3, 0
	v_add_nc_u32_e32 v7, -1, v0
	v_add_nc_u32_e32 v8, 0x3a0, v127
	v_mov_b32_e32 v2, 0
	v_mov_b32_e32 v4, 0
	v_add_nc_u32_e32 v125, 16, v127
	s_mov_b32 s5, 0
	.p2align	6
.LBB121_221:                            ; =>This Inner Loop Header: Depth=1
	s_clause 0x3
	buffer_load_dword v132, v125, s[0:3], 0 offen offset:8
	buffer_load_dword v133, v125, s[0:3], 0 offen offset:12
	buffer_load_dword v134, v125, s[0:3], 0 offen
	buffer_load_dword v135, v125, s[0:3], 0 offen offset:4
	ds_read_b128 v[128:131], v8
	v_add_nc_u32_e32 v7, 1, v7
	v_add_nc_u32_e32 v8, 16, v8
	;; [unrolled: 1-line block ×3, first 2 shown]
	v_cmp_lt_u32_e32 vcc_lo, 50, v7
	s_or_b32 s5, vcc_lo, s5
	s_waitcnt vmcnt(2) lgkmcnt(0)
	v_mul_f64 v[136:137], v[130:131], v[132:133]
	v_mul_f64 v[132:133], v[128:129], v[132:133]
	s_waitcnt vmcnt(0)
	v_fma_f64 v[128:129], v[128:129], v[134:135], -v[136:137]
	v_fma_f64 v[130:131], v[130:131], v[134:135], v[132:133]
	v_add_f64 v[3:4], v[3:4], v[128:129]
	v_add_f64 v[1:2], v[1:2], v[130:131]
	s_andn2_b32 exec_lo, exec_lo, s5
	s_cbranch_execnz .LBB121_221
; %bb.222:
	s_or_b32 exec_lo, exec_lo, s5
	v_mov_b32_e32 v7, 0
	ds_read_b128 v[128:131], v7 offset:832
	s_waitcnt lgkmcnt(0)
	v_mul_f64 v[7:8], v[1:2], v[130:131]
	v_mul_f64 v[125:126], v[3:4], v[130:131]
	v_fma_f64 v[3:4], v[3:4], v[128:129], -v[7:8]
	v_fma_f64 v[1:2], v[1:2], v[128:129], v[125:126]
	buffer_store_dword v4, off, s[0:3], 0 offset:852
	buffer_store_dword v3, off, s[0:3], 0 offset:848
	;; [unrolled: 1-line block ×4, first 2 shown]
.LBB121_223:
	s_or_b32 exec_lo, exec_lo, s4
	v_mov_b32_e32 v4, s16
	s_waitcnt_vscnt null, 0x0
	s_barrier
	buffer_gl0_inv
	s_mov_b32 s4, exec_lo
	s_clause 0x3
	buffer_load_dword v1, v4, s[0:3], 0 offen
	buffer_load_dword v2, v4, s[0:3], 0 offen offset:4
	buffer_load_dword v3, v4, s[0:3], 0 offen offset:8
	;; [unrolled: 1-line block ×3, first 2 shown]
	s_waitcnt vmcnt(0)
	ds_write_b128 v5, v[1:4]
	s_waitcnt lgkmcnt(0)
	s_barrier
	buffer_gl0_inv
	v_cmpx_gt_u32_e32 53, v0
	s_cbranch_execz .LBB121_227
; %bb.224:
	v_mov_b32_e32 v1, 0
	v_mov_b32_e32 v3, 0
	v_add_nc_u32_e32 v7, -1, v0
	v_add_nc_u32_e32 v8, 0x3a0, v127
	v_mov_b32_e32 v2, 0
	v_mov_b32_e32 v4, 0
	v_add_nc_u32_e32 v125, 16, v127
	s_mov_b32 s5, 0
	.p2align	6
.LBB121_225:                            ; =>This Inner Loop Header: Depth=1
	s_clause 0x3
	buffer_load_dword v132, v125, s[0:3], 0 offen offset:8
	buffer_load_dword v133, v125, s[0:3], 0 offen offset:12
	buffer_load_dword v134, v125, s[0:3], 0 offen
	buffer_load_dword v135, v125, s[0:3], 0 offen offset:4
	ds_read_b128 v[128:131], v8
	v_add_nc_u32_e32 v7, 1, v7
	v_add_nc_u32_e32 v8, 16, v8
	;; [unrolled: 1-line block ×3, first 2 shown]
	v_cmp_lt_u32_e32 vcc_lo, 51, v7
	s_or_b32 s5, vcc_lo, s5
	s_waitcnt vmcnt(2) lgkmcnt(0)
	v_mul_f64 v[136:137], v[130:131], v[132:133]
	v_mul_f64 v[132:133], v[128:129], v[132:133]
	s_waitcnt vmcnt(0)
	v_fma_f64 v[128:129], v[128:129], v[134:135], -v[136:137]
	v_fma_f64 v[130:131], v[130:131], v[134:135], v[132:133]
	v_add_f64 v[3:4], v[3:4], v[128:129]
	v_add_f64 v[1:2], v[1:2], v[130:131]
	s_andn2_b32 exec_lo, exec_lo, s5
	s_cbranch_execnz .LBB121_225
; %bb.226:
	s_or_b32 exec_lo, exec_lo, s5
	v_mov_b32_e32 v7, 0
	ds_read_b128 v[128:131], v7 offset:848
	s_waitcnt lgkmcnt(0)
	v_mul_f64 v[7:8], v[1:2], v[130:131]
	v_mul_f64 v[125:126], v[3:4], v[130:131]
	v_fma_f64 v[3:4], v[3:4], v[128:129], -v[7:8]
	v_fma_f64 v[1:2], v[1:2], v[128:129], v[125:126]
	buffer_store_dword v4, off, s[0:3], 0 offset:868
	buffer_store_dword v3, off, s[0:3], 0 offset:864
	buffer_store_dword v2, off, s[0:3], 0 offset:876
	buffer_store_dword v1, off, s[0:3], 0 offset:872
.LBB121_227:
	s_or_b32 exec_lo, exec_lo, s4
	v_mov_b32_e32 v4, s15
	s_waitcnt_vscnt null, 0x0
	s_barrier
	buffer_gl0_inv
	s_mov_b32 s4, exec_lo
	s_clause 0x3
	buffer_load_dword v1, v4, s[0:3], 0 offen
	buffer_load_dword v2, v4, s[0:3], 0 offen offset:4
	buffer_load_dword v3, v4, s[0:3], 0 offen offset:8
	;; [unrolled: 1-line block ×3, first 2 shown]
	s_waitcnt vmcnt(0)
	ds_write_b128 v5, v[1:4]
	s_waitcnt lgkmcnt(0)
	s_barrier
	buffer_gl0_inv
	v_cmpx_gt_u32_e32 54, v0
	s_cbranch_execz .LBB121_231
; %bb.228:
	v_mov_b32_e32 v1, 0
	v_mov_b32_e32 v3, 0
	v_add_nc_u32_e32 v7, -1, v0
	v_add_nc_u32_e32 v8, 0x3a0, v127
	v_mov_b32_e32 v2, 0
	v_mov_b32_e32 v4, 0
	v_add_nc_u32_e32 v125, 16, v127
	s_mov_b32 s5, 0
	.p2align	6
.LBB121_229:                            ; =>This Inner Loop Header: Depth=1
	s_clause 0x3
	buffer_load_dword v132, v125, s[0:3], 0 offen offset:8
	buffer_load_dword v133, v125, s[0:3], 0 offen offset:12
	buffer_load_dword v134, v125, s[0:3], 0 offen
	buffer_load_dword v135, v125, s[0:3], 0 offen offset:4
	ds_read_b128 v[128:131], v8
	v_add_nc_u32_e32 v7, 1, v7
	v_add_nc_u32_e32 v8, 16, v8
	;; [unrolled: 1-line block ×3, first 2 shown]
	v_cmp_lt_u32_e32 vcc_lo, 52, v7
	s_or_b32 s5, vcc_lo, s5
	s_waitcnt vmcnt(2) lgkmcnt(0)
	v_mul_f64 v[136:137], v[130:131], v[132:133]
	v_mul_f64 v[132:133], v[128:129], v[132:133]
	s_waitcnt vmcnt(0)
	v_fma_f64 v[128:129], v[128:129], v[134:135], -v[136:137]
	v_fma_f64 v[130:131], v[130:131], v[134:135], v[132:133]
	v_add_f64 v[3:4], v[3:4], v[128:129]
	v_add_f64 v[1:2], v[1:2], v[130:131]
	s_andn2_b32 exec_lo, exec_lo, s5
	s_cbranch_execnz .LBB121_229
; %bb.230:
	s_or_b32 exec_lo, exec_lo, s5
	v_mov_b32_e32 v7, 0
	ds_read_b128 v[128:131], v7 offset:864
	s_waitcnt lgkmcnt(0)
	v_mul_f64 v[7:8], v[1:2], v[130:131]
	v_mul_f64 v[125:126], v[3:4], v[130:131]
	v_fma_f64 v[3:4], v[3:4], v[128:129], -v[7:8]
	v_fma_f64 v[1:2], v[1:2], v[128:129], v[125:126]
	buffer_store_dword v4, off, s[0:3], 0 offset:884
	buffer_store_dword v3, off, s[0:3], 0 offset:880
	;; [unrolled: 1-line block ×4, first 2 shown]
.LBB121_231:
	s_or_b32 exec_lo, exec_lo, s4
	v_mov_b32_e32 v4, s14
	s_waitcnt_vscnt null, 0x0
	s_barrier
	buffer_gl0_inv
	s_mov_b32 s4, exec_lo
	s_clause 0x3
	buffer_load_dword v1, v4, s[0:3], 0 offen
	buffer_load_dword v2, v4, s[0:3], 0 offen offset:4
	buffer_load_dword v3, v4, s[0:3], 0 offen offset:8
	;; [unrolled: 1-line block ×3, first 2 shown]
	s_waitcnt vmcnt(0)
	ds_write_b128 v5, v[1:4]
	s_waitcnt lgkmcnt(0)
	s_barrier
	buffer_gl0_inv
	v_cmpx_gt_u32_e32 55, v0
	s_cbranch_execz .LBB121_235
; %bb.232:
	v_mov_b32_e32 v1, 0
	v_mov_b32_e32 v3, 0
	v_add_nc_u32_e32 v7, -1, v0
	v_add_nc_u32_e32 v8, 0x3a0, v127
	v_mov_b32_e32 v2, 0
	v_mov_b32_e32 v4, 0
	v_add_nc_u32_e32 v125, 16, v127
	s_mov_b32 s5, 0
	.p2align	6
.LBB121_233:                            ; =>This Inner Loop Header: Depth=1
	s_clause 0x3
	buffer_load_dword v132, v125, s[0:3], 0 offen offset:8
	buffer_load_dword v133, v125, s[0:3], 0 offen offset:12
	buffer_load_dword v134, v125, s[0:3], 0 offen
	buffer_load_dword v135, v125, s[0:3], 0 offen offset:4
	ds_read_b128 v[128:131], v8
	v_add_nc_u32_e32 v7, 1, v7
	v_add_nc_u32_e32 v8, 16, v8
	;; [unrolled: 1-line block ×3, first 2 shown]
	v_cmp_lt_u32_e32 vcc_lo, 53, v7
	s_or_b32 s5, vcc_lo, s5
	s_waitcnt vmcnt(2) lgkmcnt(0)
	v_mul_f64 v[136:137], v[130:131], v[132:133]
	v_mul_f64 v[132:133], v[128:129], v[132:133]
	s_waitcnt vmcnt(0)
	v_fma_f64 v[128:129], v[128:129], v[134:135], -v[136:137]
	v_fma_f64 v[130:131], v[130:131], v[134:135], v[132:133]
	v_add_f64 v[3:4], v[3:4], v[128:129]
	v_add_f64 v[1:2], v[1:2], v[130:131]
	s_andn2_b32 exec_lo, exec_lo, s5
	s_cbranch_execnz .LBB121_233
; %bb.234:
	s_or_b32 exec_lo, exec_lo, s5
	v_mov_b32_e32 v7, 0
	ds_read_b128 v[128:131], v7 offset:880
	s_waitcnt lgkmcnt(0)
	v_mul_f64 v[7:8], v[1:2], v[130:131]
	v_mul_f64 v[125:126], v[3:4], v[130:131]
	v_fma_f64 v[3:4], v[3:4], v[128:129], -v[7:8]
	v_fma_f64 v[1:2], v[1:2], v[128:129], v[125:126]
	buffer_store_dword v4, off, s[0:3], 0 offset:900
	buffer_store_dword v3, off, s[0:3], 0 offset:896
	;; [unrolled: 1-line block ×4, first 2 shown]
.LBB121_235:
	s_or_b32 exec_lo, exec_lo, s4
	v_mov_b32_e32 v4, s9
	s_waitcnt_vscnt null, 0x0
	s_barrier
	buffer_gl0_inv
	s_mov_b32 s4, exec_lo
	s_clause 0x3
	buffer_load_dword v1, v4, s[0:3], 0 offen
	buffer_load_dword v2, v4, s[0:3], 0 offen offset:4
	buffer_load_dword v3, v4, s[0:3], 0 offen offset:8
	;; [unrolled: 1-line block ×3, first 2 shown]
	s_waitcnt vmcnt(0)
	ds_write_b128 v5, v[1:4]
	s_waitcnt lgkmcnt(0)
	s_barrier
	buffer_gl0_inv
	v_cmpx_gt_u32_e32 56, v0
	s_cbranch_execz .LBB121_239
; %bb.236:
	v_mov_b32_e32 v1, 0
	v_mov_b32_e32 v3, 0
	v_add_nc_u32_e32 v7, -1, v0
	v_add_nc_u32_e32 v8, 0x3a0, v127
	v_mov_b32_e32 v2, 0
	v_mov_b32_e32 v4, 0
	v_add_nc_u32_e32 v125, 16, v127
	s_mov_b32 s5, 0
	.p2align	6
.LBB121_237:                            ; =>This Inner Loop Header: Depth=1
	s_clause 0x3
	buffer_load_dword v132, v125, s[0:3], 0 offen offset:8
	buffer_load_dword v133, v125, s[0:3], 0 offen offset:12
	buffer_load_dword v134, v125, s[0:3], 0 offen
	buffer_load_dword v135, v125, s[0:3], 0 offen offset:4
	ds_read_b128 v[128:131], v8
	v_add_nc_u32_e32 v7, 1, v7
	v_add_nc_u32_e32 v8, 16, v8
	;; [unrolled: 1-line block ×3, first 2 shown]
	v_cmp_lt_u32_e32 vcc_lo, 54, v7
	s_or_b32 s5, vcc_lo, s5
	s_waitcnt vmcnt(2) lgkmcnt(0)
	v_mul_f64 v[136:137], v[130:131], v[132:133]
	v_mul_f64 v[132:133], v[128:129], v[132:133]
	s_waitcnt vmcnt(0)
	v_fma_f64 v[128:129], v[128:129], v[134:135], -v[136:137]
	v_fma_f64 v[130:131], v[130:131], v[134:135], v[132:133]
	v_add_f64 v[3:4], v[3:4], v[128:129]
	v_add_f64 v[1:2], v[1:2], v[130:131]
	s_andn2_b32 exec_lo, exec_lo, s5
	s_cbranch_execnz .LBB121_237
; %bb.238:
	s_or_b32 exec_lo, exec_lo, s5
	v_mov_b32_e32 v7, 0
	ds_read_b128 v[128:131], v7 offset:896
	s_waitcnt lgkmcnt(0)
	v_mul_f64 v[7:8], v[1:2], v[130:131]
	v_mul_f64 v[125:126], v[3:4], v[130:131]
	v_fma_f64 v[3:4], v[3:4], v[128:129], -v[7:8]
	v_fma_f64 v[1:2], v[1:2], v[128:129], v[125:126]
	buffer_store_dword v4, off, s[0:3], 0 offset:916
	buffer_store_dword v3, off, s[0:3], 0 offset:912
	;; [unrolled: 1-line block ×4, first 2 shown]
.LBB121_239:
	s_or_b32 exec_lo, exec_lo, s4
	v_mov_b32_e32 v4, s8
	s_waitcnt_vscnt null, 0x0
	s_barrier
	buffer_gl0_inv
	s_mov_b32 s4, exec_lo
	s_clause 0x3
	buffer_load_dword v1, v4, s[0:3], 0 offen
	buffer_load_dword v2, v4, s[0:3], 0 offen offset:4
	buffer_load_dword v3, v4, s[0:3], 0 offen offset:8
	;; [unrolled: 1-line block ×3, first 2 shown]
	s_waitcnt vmcnt(0)
	ds_write_b128 v5, v[1:4]
	s_waitcnt lgkmcnt(0)
	s_barrier
	buffer_gl0_inv
	v_cmpx_ne_u32_e32 57, v0
	s_cbranch_execz .LBB121_243
; %bb.240:
	v_mov_b32_e32 v1, 0
	v_mov_b32_e32 v3, 0
	;; [unrolled: 1-line block ×4, first 2 shown]
	v_add_nc_u32_e32 v7, 16, v127
	s_mov_b32 s5, 0
	.p2align	6
.LBB121_241:                            ; =>This Inner Loop Header: Depth=1
	s_clause 0x3
	buffer_load_dword v129, v7, s[0:3], 0 offen offset:8
	buffer_load_dword v130, v7, s[0:3], 0 offen offset:12
	buffer_load_dword v131, v7, s[0:3], 0 offen
	buffer_load_dword v132, v7, s[0:3], 0 offen offset:4
	ds_read_b128 v[125:128], v5
	v_add_nc_u32_e32 v6, 1, v6
	v_add_nc_u32_e32 v5, 16, v5
	;; [unrolled: 1-line block ×3, first 2 shown]
	v_cmp_lt_u32_e32 vcc_lo, 55, v6
	s_or_b32 s5, vcc_lo, s5
	s_waitcnt vmcnt(2) lgkmcnt(0)
	v_mul_f64 v[133:134], v[127:128], v[129:130]
	v_mul_f64 v[129:130], v[125:126], v[129:130]
	s_waitcnt vmcnt(0)
	v_fma_f64 v[125:126], v[125:126], v[131:132], -v[133:134]
	v_fma_f64 v[127:128], v[127:128], v[131:132], v[129:130]
	v_add_f64 v[3:4], v[3:4], v[125:126]
	v_add_f64 v[1:2], v[1:2], v[127:128]
	s_andn2_b32 exec_lo, exec_lo, s5
	s_cbranch_execnz .LBB121_241
; %bb.242:
	s_or_b32 exec_lo, exec_lo, s5
	v_mov_b32_e32 v5, 0
	ds_read_b128 v[5:8], v5 offset:912
	s_waitcnt lgkmcnt(0)
	v_mul_f64 v[125:126], v[1:2], v[7:8]
	v_mul_f64 v[7:8], v[3:4], v[7:8]
	v_fma_f64 v[3:4], v[3:4], v[5:6], -v[125:126]
	v_fma_f64 v[1:2], v[1:2], v[5:6], v[7:8]
	buffer_store_dword v4, off, s[0:3], 0 offset:932
	buffer_store_dword v3, off, s[0:3], 0 offset:928
	;; [unrolled: 1-line block ×4, first 2 shown]
.LBB121_243:
	s_or_b32 exec_lo, exec_lo, s4
	s_mov_b32 s5, -1
	s_waitcnt_vscnt null, 0x0
	s_barrier
	buffer_gl0_inv
.LBB121_244:
	s_and_b32 vcc_lo, exec_lo, s5
	s_cbranch_vccz .LBB121_246
; %bb.245:
	s_lshl_b64 s[4:5], s[6:7], 2
	v_mov_b32_e32 v1, 0
	s_add_u32 s4, s10, s4
	s_addc_u32 s5, s11, s5
	global_load_dword v1, v1, s[4:5]
	s_waitcnt vmcnt(0)
	v_cmp_ne_u32_e32 vcc_lo, 0, v1
	s_cbranch_vccz .LBB121_247
.LBB121_246:
	s_endpgm
.LBB121_247:
	v_lshl_add_u32 v185, v0, 4, 0x3a0
	s_mov_b32 s4, exec_lo
	v_cmpx_eq_u32_e32 57, v0
	s_cbranch_execz .LBB121_249
; %bb.248:
	v_mov_b32_e32 v4, s9
	v_mov_b32_e32 v5, 0
	s_clause 0x3
	buffer_load_dword v1, v4, s[0:3], 0 offen
	buffer_load_dword v2, v4, s[0:3], 0 offen offset:4
	buffer_load_dword v3, v4, s[0:3], 0 offen offset:8
	buffer_load_dword v4, v4, s[0:3], 0 offen offset:12
	buffer_store_dword v5, off, s[0:3], 0 offset:912
	buffer_store_dword v5, off, s[0:3], 0 offset:916
	;; [unrolled: 1-line block ×4, first 2 shown]
	s_waitcnt vmcnt(0)
	ds_write_b128 v185, v[1:4]
.LBB121_249:
	s_or_b32 exec_lo, exec_lo, s4
	s_waitcnt lgkmcnt(0)
	s_waitcnt_vscnt null, 0x0
	s_barrier
	buffer_gl0_inv
	s_clause 0x7
	buffer_load_dword v6, off, s[0:3], 0 offset:936
	buffer_load_dword v7, off, s[0:3], 0 offset:940
	;; [unrolled: 1-line block ×8, first 2 shown]
	v_mov_b32_e32 v1, 0
	s_mov_b32 s4, exec_lo
	ds_read_b128 v[2:5], v1 offset:1840
	s_waitcnt vmcnt(6) lgkmcnt(0)
	v_mul_f64 v[131:132], v[4:5], v[6:7]
	v_mul_f64 v[6:7], v[2:3], v[6:7]
	s_waitcnt vmcnt(4)
	v_fma_f64 v[2:3], v[2:3], v[125:126], -v[131:132]
	v_fma_f64 v[4:5], v[4:5], v[125:126], v[6:7]
	v_add_f64 v[2:3], v[2:3], 0
	v_add_f64 v[4:5], v[4:5], 0
	s_waitcnt vmcnt(2)
	v_add_f64 v[2:3], v[127:128], -v[2:3]
	s_waitcnt vmcnt(0)
	v_add_f64 v[4:5], v[129:130], -v[4:5]
	buffer_store_dword v2, off, s[0:3], 0 offset:912
	buffer_store_dword v3, off, s[0:3], 0 offset:916
	buffer_store_dword v4, off, s[0:3], 0 offset:920
	buffer_store_dword v5, off, s[0:3], 0 offset:924
	v_cmpx_lt_u32_e32 55, v0
	s_cbranch_execz .LBB121_251
; %bb.250:
	v_mov_b32_e32 v5, s14
	s_clause 0x3
	buffer_load_dword v2, v5, s[0:3], 0 offen
	buffer_load_dword v3, v5, s[0:3], 0 offen offset:4
	buffer_load_dword v4, v5, s[0:3], 0 offen offset:8
	;; [unrolled: 1-line block ×3, first 2 shown]
	buffer_store_dword v1, off, s[0:3], 0 offset:896
	buffer_store_dword v1, off, s[0:3], 0 offset:900
	;; [unrolled: 1-line block ×4, first 2 shown]
	s_waitcnt vmcnt(0)
	ds_write_b128 v185, v[2:5]
.LBB121_251:
	s_or_b32 exec_lo, exec_lo, s4
	s_waitcnt lgkmcnt(0)
	s_waitcnt_vscnt null, 0x0
	s_barrier
	buffer_gl0_inv
	s_clause 0xb
	buffer_load_dword v6, off, s[0:3], 0 offset:920
	buffer_load_dword v7, off, s[0:3], 0 offset:924
	;; [unrolled: 1-line block ×12, first 2 shown]
	ds_read_b128 v[2:5], v1 offset:1824
	ds_read_b128 v[125:128], v1 offset:1840
	s_mov_b32 s4, exec_lo
	s_waitcnt vmcnt(10) lgkmcnt(1)
	v_mul_f64 v[139:140], v[4:5], v[6:7]
	v_mul_f64 v[6:7], v[2:3], v[6:7]
	s_waitcnt vmcnt(8) lgkmcnt(0)
	v_mul_f64 v[141:142], v[127:128], v[129:130]
	v_mul_f64 v[129:130], v[125:126], v[129:130]
	s_waitcnt vmcnt(6)
	v_fma_f64 v[1:2], v[2:3], v[131:132], -v[139:140]
	v_fma_f64 v[3:4], v[4:5], v[131:132], v[6:7]
	s_waitcnt vmcnt(4)
	v_fma_f64 v[5:6], v[125:126], v[133:134], -v[141:142]
	v_fma_f64 v[7:8], v[127:128], v[133:134], v[129:130]
	v_add_f64 v[1:2], v[1:2], 0
	v_add_f64 v[3:4], v[3:4], 0
	;; [unrolled: 1-line block ×4, first 2 shown]
	s_waitcnt vmcnt(2)
	v_add_f64 v[1:2], v[135:136], -v[1:2]
	s_waitcnt vmcnt(0)
	v_add_f64 v[3:4], v[137:138], -v[3:4]
	buffer_store_dword v1, off, s[0:3], 0 offset:896
	buffer_store_dword v2, off, s[0:3], 0 offset:900
	;; [unrolled: 1-line block ×4, first 2 shown]
	v_cmpx_lt_u32_e32 54, v0
	s_cbranch_execz .LBB121_253
; %bb.252:
	v_mov_b32_e32 v4, s15
	v_mov_b32_e32 v5, 0
	s_clause 0x3
	buffer_load_dword v1, v4, s[0:3], 0 offen
	buffer_load_dword v2, v4, s[0:3], 0 offen offset:4
	buffer_load_dword v3, v4, s[0:3], 0 offen offset:8
	;; [unrolled: 1-line block ×3, first 2 shown]
	buffer_store_dword v5, off, s[0:3], 0 offset:880
	buffer_store_dword v5, off, s[0:3], 0 offset:884
	buffer_store_dword v5, off, s[0:3], 0 offset:888
	buffer_store_dword v5, off, s[0:3], 0 offset:892
	s_waitcnt vmcnt(0)
	ds_write_b128 v185, v[1:4]
.LBB121_253:
	s_or_b32 exec_lo, exec_lo, s4
	s_waitcnt lgkmcnt(0)
	s_waitcnt_vscnt null, 0x0
	s_barrier
	buffer_gl0_inv
	s_clause 0xf
	buffer_load_dword v6, off, s[0:3], 0 offset:904
	buffer_load_dword v7, off, s[0:3], 0 offset:908
	;; [unrolled: 1-line block ×16, first 2 shown]
	v_mov_b32_e32 v1, 0
	ds_read_b128 v[2:5], v1 offset:1808
	ds_read_b128 v[125:128], v1 offset:1824
	;; [unrolled: 1-line block ×3, first 2 shown]
	s_mov_b32 s4, exec_lo
	s_waitcnt vmcnt(14) lgkmcnt(2)
	v_mul_f64 v[147:148], v[4:5], v[6:7]
	v_mul_f64 v[6:7], v[2:3], v[6:7]
	s_waitcnt vmcnt(12) lgkmcnt(1)
	v_mul_f64 v[149:150], v[127:128], v[133:134]
	v_mul_f64 v[133:134], v[125:126], v[133:134]
	s_waitcnt vmcnt(10)
	v_fma_f64 v[2:3], v[2:3], v[135:136], -v[147:148]
	v_fma_f64 v[4:5], v[4:5], v[135:136], v[6:7]
	s_waitcnt vmcnt(8) lgkmcnt(0)
	v_mul_f64 v[135:136], v[131:132], v[137:138]
	s_waitcnt vmcnt(6)
	v_fma_f64 v[125:126], v[125:126], v[139:140], -v[149:150]
	v_mul_f64 v[6:7], v[129:130], v[137:138]
	v_fma_f64 v[127:128], v[127:128], v[139:140], v[133:134]
	v_add_f64 v[2:3], v[2:3], 0
	v_add_f64 v[4:5], v[4:5], 0
	s_waitcnt vmcnt(4)
	v_fma_f64 v[129:130], v[129:130], v[141:142], -v[135:136]
	v_fma_f64 v[6:7], v[131:132], v[141:142], v[6:7]
	v_add_f64 v[2:3], v[2:3], v[125:126]
	v_add_f64 v[4:5], v[4:5], v[127:128]
	;; [unrolled: 1-line block ×4, first 2 shown]
	s_waitcnt vmcnt(2)
	v_add_f64 v[2:3], v[143:144], -v[2:3]
	s_waitcnt vmcnt(0)
	v_add_f64 v[4:5], v[145:146], -v[4:5]
	buffer_store_dword v2, off, s[0:3], 0 offset:880
	buffer_store_dword v3, off, s[0:3], 0 offset:884
	;; [unrolled: 1-line block ×4, first 2 shown]
	v_cmpx_lt_u32_e32 53, v0
	s_cbranch_execz .LBB121_255
; %bb.254:
	v_mov_b32_e32 v5, s16
	s_clause 0x3
	buffer_load_dword v2, v5, s[0:3], 0 offen
	buffer_load_dword v3, v5, s[0:3], 0 offen offset:4
	buffer_load_dword v4, v5, s[0:3], 0 offen offset:8
	;; [unrolled: 1-line block ×3, first 2 shown]
	buffer_store_dword v1, off, s[0:3], 0 offset:864
	buffer_store_dword v1, off, s[0:3], 0 offset:868
	;; [unrolled: 1-line block ×4, first 2 shown]
	s_waitcnt vmcnt(0)
	ds_write_b128 v185, v[2:5]
.LBB121_255:
	s_or_b32 exec_lo, exec_lo, s4
	s_waitcnt lgkmcnt(0)
	s_waitcnt_vscnt null, 0x0
	s_barrier
	buffer_gl0_inv
	s_clause 0x13
	buffer_load_dword v6, off, s[0:3], 0 offset:888
	buffer_load_dword v7, off, s[0:3], 0 offset:892
	;; [unrolled: 1-line block ×20, first 2 shown]
	ds_read_b128 v[2:5], v1 offset:1792
	ds_read_b128 v[125:128], v1 offset:1808
	;; [unrolled: 1-line block ×3, first 2 shown]
	s_mov_b32 s4, exec_lo
	s_waitcnt vmcnt(18) lgkmcnt(2)
	v_mul_f64 v[151:152], v[4:5], v[6:7]
	v_mul_f64 v[6:7], v[2:3], v[6:7]
	s_waitcnt vmcnt(16) lgkmcnt(1)
	v_mul_f64 v[153:154], v[127:128], v[133:134]
	v_mul_f64 v[133:134], v[125:126], v[133:134]
	s_waitcnt vmcnt(14)
	v_fma_f64 v[151:152], v[2:3], v[135:136], -v[151:152]
	v_fma_f64 v[5:6], v[4:5], v[135:136], v[6:7]
	s_waitcnt vmcnt(12) lgkmcnt(0)
	v_mul_f64 v[7:8], v[129:130], v[137:138]
	v_mul_f64 v[135:136], v[131:132], v[137:138]
	s_waitcnt vmcnt(10)
	v_fma_f64 v[125:126], v[125:126], v[139:140], -v[153:154]
	ds_read_b128 v[1:4], v1 offset:1840
	v_fma_f64 v[127:128], v[127:128], v[139:140], v[133:134]
	v_add_f64 v[137:138], v[151:152], 0
	v_add_f64 v[5:6], v[5:6], 0
	s_waitcnt vmcnt(6)
	v_fma_f64 v[7:8], v[131:132], v[143:144], v[7:8]
	s_waitcnt lgkmcnt(0)
	v_mul_f64 v[139:140], v[3:4], v[141:142]
	v_fma_f64 v[129:130], v[129:130], v[143:144], -v[135:136]
	v_mul_f64 v[133:134], v[1:2], v[141:142]
	v_add_f64 v[125:126], v[137:138], v[125:126]
	v_add_f64 v[5:6], v[5:6], v[127:128]
	s_waitcnt vmcnt(4)
	v_fma_f64 v[1:2], v[1:2], v[145:146], -v[139:140]
	v_fma_f64 v[3:4], v[3:4], v[145:146], v[133:134]
	v_add_f64 v[125:126], v[125:126], v[129:130]
	v_add_f64 v[5:6], v[5:6], v[7:8]
	;; [unrolled: 1-line block ×4, first 2 shown]
	s_waitcnt vmcnt(2)
	v_add_f64 v[1:2], v[147:148], -v[1:2]
	s_waitcnt vmcnt(0)
	v_add_f64 v[3:4], v[149:150], -v[3:4]
	buffer_store_dword v1, off, s[0:3], 0 offset:864
	buffer_store_dword v2, off, s[0:3], 0 offset:868
	;; [unrolled: 1-line block ×4, first 2 shown]
	v_cmpx_lt_u32_e32 52, v0
	s_cbranch_execz .LBB121_257
; %bb.256:
	v_mov_b32_e32 v4, s17
	v_mov_b32_e32 v5, 0
	s_clause 0x3
	buffer_load_dword v1, v4, s[0:3], 0 offen
	buffer_load_dword v2, v4, s[0:3], 0 offen offset:4
	buffer_load_dword v3, v4, s[0:3], 0 offen offset:8
	;; [unrolled: 1-line block ×3, first 2 shown]
	buffer_store_dword v5, off, s[0:3], 0 offset:848
	buffer_store_dword v5, off, s[0:3], 0 offset:852
	;; [unrolled: 1-line block ×4, first 2 shown]
	s_waitcnt vmcnt(0)
	ds_write_b128 v185, v[1:4]
.LBB121_257:
	s_or_b32 exec_lo, exec_lo, s4
	s_waitcnt lgkmcnt(0)
	s_waitcnt_vscnt null, 0x0
	s_barrier
	buffer_gl0_inv
	s_clause 0x17
	buffer_load_dword v6, off, s[0:3], 0 offset:872
	buffer_load_dword v7, off, s[0:3], 0 offset:876
	;; [unrolled: 1-line block ×24, first 2 shown]
	v_mov_b32_e32 v1, 0
	ds_read_b128 v[2:5], v1 offset:1776
	ds_read_b128 v[125:128], v1 offset:1792
	;; [unrolled: 1-line block ×3, first 2 shown]
	s_mov_b32 s4, exec_lo
	s_waitcnt vmcnt(22) lgkmcnt(2)
	v_mul_f64 v[155:156], v[4:5], v[6:7]
	v_mul_f64 v[6:7], v[2:3], v[6:7]
	s_waitcnt vmcnt(20) lgkmcnt(1)
	v_mul_f64 v[157:158], v[127:128], v[133:134]
	v_mul_f64 v[133:134], v[125:126], v[133:134]
	s_waitcnt vmcnt(18)
	v_fma_f64 v[155:156], v[2:3], v[135:136], -v[155:156]
	v_fma_f64 v[6:7], v[4:5], v[135:136], v[6:7]
	ds_read_b128 v[2:5], v1 offset:1824
	s_waitcnt vmcnt(16) lgkmcnt(1)
	v_mul_f64 v[135:136], v[129:130], v[137:138]
	v_mul_f64 v[137:138], v[131:132], v[137:138]
	s_waitcnt vmcnt(14)
	v_fma_f64 v[157:158], v[125:126], v[139:140], -v[157:158]
	v_fma_f64 v[133:134], v[127:128], v[139:140], v[133:134]
	ds_read_b128 v[125:128], v1 offset:1840
	s_waitcnt vmcnt(10) lgkmcnt(1)
	v_mul_f64 v[139:140], v[2:3], v[141:142]
	v_add_f64 v[155:156], v[155:156], 0
	v_add_f64 v[6:7], v[6:7], 0
	v_mul_f64 v[141:142], v[4:5], v[141:142]
	s_waitcnt vmcnt(8)
	v_fma_f64 v[129:130], v[129:130], v[147:148], -v[137:138]
	v_fma_f64 v[131:132], v[131:132], v[147:148], v[135:136]
	s_waitcnt vmcnt(7) lgkmcnt(0)
	v_mul_f64 v[135:136], v[127:128], v[143:144]
	s_waitcnt vmcnt(5)
	v_fma_f64 v[4:5], v[4:5], v[149:150], v[139:140]
	v_add_f64 v[137:138], v[155:156], v[157:158]
	v_add_f64 v[6:7], v[6:7], v[133:134]
	v_fma_f64 v[2:3], v[2:3], v[149:150], -v[141:142]
	v_mul_f64 v[133:134], v[125:126], v[143:144]
	s_waitcnt vmcnt(4)
	v_fma_f64 v[125:126], v[125:126], v[145:146], -v[135:136]
	v_add_f64 v[129:130], v[137:138], v[129:130]
	v_add_f64 v[6:7], v[6:7], v[131:132]
	v_fma_f64 v[127:128], v[127:128], v[145:146], v[133:134]
	v_add_f64 v[2:3], v[129:130], v[2:3]
	v_add_f64 v[4:5], v[6:7], v[4:5]
	;; [unrolled: 1-line block ×4, first 2 shown]
	s_waitcnt vmcnt(2)
	v_add_f64 v[2:3], v[151:152], -v[2:3]
	s_waitcnt vmcnt(0)
	v_add_f64 v[4:5], v[153:154], -v[4:5]
	buffer_store_dword v3, off, s[0:3], 0 offset:852
	buffer_store_dword v2, off, s[0:3], 0 offset:848
	;; [unrolled: 1-line block ×4, first 2 shown]
	v_cmpx_lt_u32_e32 51, v0
	s_cbranch_execz .LBB121_259
; %bb.258:
	v_mov_b32_e32 v5, s18
	s_clause 0x3
	buffer_load_dword v2, v5, s[0:3], 0 offen
	buffer_load_dword v3, v5, s[0:3], 0 offen offset:4
	buffer_load_dword v4, v5, s[0:3], 0 offen offset:8
	;; [unrolled: 1-line block ×3, first 2 shown]
	buffer_store_dword v1, off, s[0:3], 0 offset:832
	buffer_store_dword v1, off, s[0:3], 0 offset:836
	buffer_store_dword v1, off, s[0:3], 0 offset:840
	buffer_store_dword v1, off, s[0:3], 0 offset:844
	s_waitcnt vmcnt(0)
	ds_write_b128 v185, v[2:5]
.LBB121_259:
	s_or_b32 exec_lo, exec_lo, s4
	s_waitcnt lgkmcnt(0)
	s_waitcnt_vscnt null, 0x0
	s_barrier
	buffer_gl0_inv
	s_clause 0x1b
	buffer_load_dword v6, off, s[0:3], 0 offset:856
	buffer_load_dword v7, off, s[0:3], 0 offset:860
	;; [unrolled: 1-line block ×28, first 2 shown]
	ds_read_b128 v[2:5], v1 offset:1760
	ds_read_b128 v[125:128], v1 offset:1776
	;; [unrolled: 1-line block ×3, first 2 shown]
	s_mov_b32 s4, exec_lo
	s_waitcnt vmcnt(26) lgkmcnt(2)
	v_mul_f64 v[159:160], v[4:5], v[6:7]
	v_mul_f64 v[6:7], v[2:3], v[6:7]
	s_waitcnt vmcnt(24) lgkmcnt(1)
	v_mul_f64 v[161:162], v[127:128], v[133:134]
	v_mul_f64 v[133:134], v[125:126], v[133:134]
	s_waitcnt vmcnt(22)
	v_fma_f64 v[159:160], v[2:3], v[135:136], -v[159:160]
	v_fma_f64 v[6:7], v[4:5], v[135:136], v[6:7]
	ds_read_b128 v[2:5], v1 offset:1808
	s_waitcnt vmcnt(20) lgkmcnt(1)
	v_mul_f64 v[135:136], v[129:130], v[137:138]
	v_mul_f64 v[137:138], v[131:132], v[137:138]
	s_waitcnt vmcnt(18)
	v_fma_f64 v[161:162], v[125:126], v[139:140], -v[161:162]
	v_fma_f64 v[133:134], v[127:128], v[139:140], v[133:134]
	ds_read_b128 v[125:128], v1 offset:1824
	s_waitcnt vmcnt(14) lgkmcnt(1)
	v_mul_f64 v[139:140], v[2:3], v[141:142]
	v_add_f64 v[159:160], v[159:160], 0
	v_add_f64 v[6:7], v[6:7], 0
	v_mul_f64 v[141:142], v[4:5], v[141:142]
	s_waitcnt vmcnt(12)
	v_fma_f64 v[137:138], v[129:130], v[147:148], -v[137:138]
	v_fma_f64 v[135:136], v[131:132], v[147:148], v[135:136]
	ds_read_b128 v[129:132], v1 offset:1840
	v_add_f64 v[159:160], v[159:160], v[161:162]
	v_add_f64 v[6:7], v[6:7], v[133:134]
	s_waitcnt vmcnt(11) lgkmcnt(1)
	v_mul_f64 v[133:134], v[125:126], v[143:144]
	v_mul_f64 v[143:144], v[127:128], v[143:144]
	s_waitcnt vmcnt(9)
	v_fma_f64 v[1:2], v[2:3], v[149:150], -v[141:142]
	v_fma_f64 v[3:4], v[4:5], v[149:150], v[139:140]
	v_add_f64 v[137:138], v[159:160], v[137:138]
	v_add_f64 v[5:6], v[6:7], v[135:136]
	s_waitcnt vmcnt(7) lgkmcnt(0)
	v_mul_f64 v[135:136], v[131:132], v[151:152]
	s_waitcnt vmcnt(6)
	v_fma_f64 v[125:126], v[125:126], v[145:146], -v[143:144]
	v_mul_f64 v[7:8], v[129:130], v[151:152]
	v_fma_f64 v[127:128], v[127:128], v[145:146], v[133:134]
	v_add_f64 v[1:2], v[137:138], v[1:2]
	v_add_f64 v[3:4], v[5:6], v[3:4]
	s_waitcnt vmcnt(4)
	v_fma_f64 v[5:6], v[129:130], v[153:154], -v[135:136]
	v_fma_f64 v[7:8], v[131:132], v[153:154], v[7:8]
	v_add_f64 v[1:2], v[1:2], v[125:126]
	v_add_f64 v[3:4], v[3:4], v[127:128]
	;; [unrolled: 1-line block ×4, first 2 shown]
	s_waitcnt vmcnt(2)
	v_add_f64 v[1:2], v[155:156], -v[1:2]
	s_waitcnt vmcnt(0)
	v_add_f64 v[3:4], v[157:158], -v[3:4]
	buffer_store_dword v2, off, s[0:3], 0 offset:836
	buffer_store_dword v1, off, s[0:3], 0 offset:832
	;; [unrolled: 1-line block ×4, first 2 shown]
	v_cmpx_lt_u32_e32 50, v0
	s_cbranch_execz .LBB121_261
; %bb.260:
	v_mov_b32_e32 v4, s19
	v_mov_b32_e32 v5, 0
	s_clause 0x3
	buffer_load_dword v1, v4, s[0:3], 0 offen
	buffer_load_dword v2, v4, s[0:3], 0 offen offset:4
	buffer_load_dword v3, v4, s[0:3], 0 offen offset:8
	;; [unrolled: 1-line block ×3, first 2 shown]
	buffer_store_dword v5, off, s[0:3], 0 offset:816
	buffer_store_dword v5, off, s[0:3], 0 offset:820
	;; [unrolled: 1-line block ×4, first 2 shown]
	s_waitcnt vmcnt(0)
	ds_write_b128 v185, v[1:4]
.LBB121_261:
	s_or_b32 exec_lo, exec_lo, s4
	s_waitcnt lgkmcnt(0)
	s_waitcnt_vscnt null, 0x0
	s_barrier
	buffer_gl0_inv
	s_clause 0x1f
	buffer_load_dword v6, off, s[0:3], 0 offset:840
	buffer_load_dword v7, off, s[0:3], 0 offset:844
	;; [unrolled: 1-line block ×32, first 2 shown]
	v_mov_b32_e32 v1, 0
	ds_read_b128 v[2:5], v1 offset:1744
	ds_read_b128 v[125:128], v1 offset:1760
	;; [unrolled: 1-line block ×3, first 2 shown]
	s_mov_b32 s4, exec_lo
	s_waitcnt vmcnt(30) lgkmcnt(2)
	v_mul_f64 v[163:164], v[4:5], v[6:7]
	v_mul_f64 v[6:7], v[2:3], v[6:7]
	s_waitcnt vmcnt(28) lgkmcnt(1)
	v_mul_f64 v[165:166], v[127:128], v[133:134]
	v_mul_f64 v[133:134], v[125:126], v[133:134]
	s_waitcnt vmcnt(26)
	v_fma_f64 v[163:164], v[2:3], v[135:136], -v[163:164]
	v_fma_f64 v[6:7], v[4:5], v[135:136], v[6:7]
	ds_read_b128 v[2:5], v1 offset:1792
	s_waitcnt vmcnt(24) lgkmcnt(1)
	v_mul_f64 v[135:136], v[129:130], v[137:138]
	v_mul_f64 v[137:138], v[131:132], v[137:138]
	s_waitcnt vmcnt(22)
	v_fma_f64 v[165:166], v[125:126], v[139:140], -v[165:166]
	v_fma_f64 v[133:134], v[127:128], v[139:140], v[133:134]
	ds_read_b128 v[125:128], v1 offset:1808
	s_waitcnt vmcnt(18) lgkmcnt(1)
	v_mul_f64 v[139:140], v[2:3], v[141:142]
	v_add_f64 v[163:164], v[163:164], 0
	v_add_f64 v[6:7], v[6:7], 0
	v_mul_f64 v[141:142], v[4:5], v[141:142]
	s_waitcnt vmcnt(16)
	v_fma_f64 v[137:138], v[129:130], v[147:148], -v[137:138]
	v_fma_f64 v[135:136], v[131:132], v[147:148], v[135:136]
	ds_read_b128 v[129:132], v1 offset:1824
	s_waitcnt vmcnt(13)
	v_fma_f64 v[139:140], v[4:5], v[149:150], v[139:140]
	v_add_f64 v[163:164], v[163:164], v[165:166]
	v_add_f64 v[6:7], v[6:7], v[133:134]
	s_waitcnt lgkmcnt(1)
	v_mul_f64 v[133:134], v[125:126], v[143:144]
	v_mul_f64 v[143:144], v[127:128], v[143:144]
	v_fma_f64 v[141:142], v[2:3], v[149:150], -v[141:142]
	s_waitcnt vmcnt(9) lgkmcnt(0)
	v_mul_f64 v[147:148], v[131:132], v[151:152]
	ds_read_b128 v[2:5], v1 offset:1840
	v_add_f64 v[137:138], v[163:164], v[137:138]
	v_add_f64 v[6:7], v[6:7], v[135:136]
	v_mul_f64 v[135:136], v[129:130], v[151:152]
	s_waitcnt vmcnt(8)
	v_fma_f64 v[125:126], v[125:126], v[145:146], -v[143:144]
	v_fma_f64 v[127:128], v[127:128], v[145:146], v[133:134]
	s_waitcnt vmcnt(5)
	v_fma_f64 v[129:130], v[129:130], v[157:158], -v[147:148]
	s_waitcnt lgkmcnt(0)
	v_mul_f64 v[133:134], v[2:3], v[153:154]
	v_add_f64 v[137:138], v[137:138], v[141:142]
	v_add_f64 v[6:7], v[6:7], v[139:140]
	v_mul_f64 v[139:140], v[4:5], v[153:154]
	v_fma_f64 v[131:132], v[131:132], v[157:158], v[135:136]
	s_waitcnt vmcnt(4)
	v_fma_f64 v[4:5], v[4:5], v[155:156], v[133:134]
	v_add_f64 v[125:126], v[137:138], v[125:126]
	v_add_f64 v[6:7], v[6:7], v[127:128]
	v_fma_f64 v[2:3], v[2:3], v[155:156], -v[139:140]
	v_add_f64 v[125:126], v[125:126], v[129:130]
	v_add_f64 v[6:7], v[6:7], v[131:132]
	;; [unrolled: 1-line block ×4, first 2 shown]
	s_waitcnt vmcnt(2)
	v_add_f64 v[2:3], v[159:160], -v[2:3]
	s_waitcnt vmcnt(0)
	v_add_f64 v[4:5], v[161:162], -v[4:5]
	buffer_store_dword v3, off, s[0:3], 0 offset:820
	buffer_store_dword v2, off, s[0:3], 0 offset:816
	;; [unrolled: 1-line block ×4, first 2 shown]
	v_cmpx_lt_u32_e32 49, v0
	s_cbranch_execz .LBB121_263
; %bb.262:
	v_mov_b32_e32 v5, s20
	s_clause 0x3
	buffer_load_dword v2, v5, s[0:3], 0 offen
	buffer_load_dword v3, v5, s[0:3], 0 offen offset:4
	buffer_load_dword v4, v5, s[0:3], 0 offen offset:8
	;; [unrolled: 1-line block ×3, first 2 shown]
	buffer_store_dword v1, off, s[0:3], 0 offset:800
	buffer_store_dword v1, off, s[0:3], 0 offset:804
	;; [unrolled: 1-line block ×4, first 2 shown]
	s_waitcnt vmcnt(0)
	ds_write_b128 v185, v[2:5]
.LBB121_263:
	s_or_b32 exec_lo, exec_lo, s4
	s_waitcnt lgkmcnt(0)
	s_waitcnt_vscnt null, 0x0
	s_barrier
	buffer_gl0_inv
	s_clause 0x23
	buffer_load_dword v6, off, s[0:3], 0 offset:824
	buffer_load_dword v7, off, s[0:3], 0 offset:828
	;; [unrolled: 1-line block ×36, first 2 shown]
	ds_read_b128 v[2:5], v1 offset:1728
	ds_read_b128 v[125:128], v1 offset:1744
	;; [unrolled: 1-line block ×3, first 2 shown]
	s_mov_b32 s4, exec_lo
	s_waitcnt vmcnt(34) lgkmcnt(2)
	v_mul_f64 v[167:168], v[4:5], v[6:7]
	v_mul_f64 v[6:7], v[2:3], v[6:7]
	s_waitcnt vmcnt(32) lgkmcnt(1)
	v_mul_f64 v[169:170], v[127:128], v[133:134]
	v_mul_f64 v[133:134], v[125:126], v[133:134]
	s_waitcnt vmcnt(30)
	v_fma_f64 v[167:168], v[2:3], v[135:136], -v[167:168]
	v_fma_f64 v[6:7], v[4:5], v[135:136], v[6:7]
	ds_read_b128 v[2:5], v1 offset:1776
	s_waitcnt vmcnt(28) lgkmcnt(1)
	v_mul_f64 v[135:136], v[129:130], v[137:138]
	v_mul_f64 v[137:138], v[131:132], v[137:138]
	s_waitcnt vmcnt(26)
	v_fma_f64 v[169:170], v[125:126], v[139:140], -v[169:170]
	v_fma_f64 v[133:134], v[127:128], v[139:140], v[133:134]
	ds_read_b128 v[125:128], v1 offset:1792
	s_waitcnt vmcnt(22) lgkmcnt(1)
	v_mul_f64 v[139:140], v[2:3], v[141:142]
	v_add_f64 v[167:168], v[167:168], 0
	v_add_f64 v[6:7], v[6:7], 0
	v_mul_f64 v[141:142], v[4:5], v[141:142]
	s_waitcnt vmcnt(20)
	v_fma_f64 v[137:138], v[129:130], v[147:148], -v[137:138]
	v_fma_f64 v[135:136], v[131:132], v[147:148], v[135:136]
	ds_read_b128 v[129:132], v1 offset:1808
	s_waitcnt vmcnt(17)
	v_fma_f64 v[139:140], v[4:5], v[149:150], v[139:140]
	v_add_f64 v[167:168], v[167:168], v[169:170]
	v_add_f64 v[6:7], v[6:7], v[133:134]
	s_waitcnt lgkmcnt(1)
	v_mul_f64 v[133:134], v[125:126], v[143:144]
	v_mul_f64 v[143:144], v[127:128], v[143:144]
	v_fma_f64 v[141:142], v[2:3], v[149:150], -v[141:142]
	s_waitcnt vmcnt(13) lgkmcnt(0)
	v_mul_f64 v[147:148], v[131:132], v[151:152]
	ds_read_b128 v[2:5], v1 offset:1824
	v_add_f64 v[137:138], v[167:168], v[137:138]
	v_add_f64 v[6:7], v[6:7], v[135:136]
	v_mul_f64 v[135:136], v[129:130], v[151:152]
	s_waitcnt vmcnt(12)
	v_fma_f64 v[143:144], v[125:126], v[145:146], -v[143:144]
	v_fma_f64 v[133:134], v[127:128], v[145:146], v[133:134]
	ds_read_b128 v[125:128], v1 offset:1840
	s_waitcnt vmcnt(9)
	v_fma_f64 v[129:130], v[129:130], v[157:158], -v[147:148]
	v_add_f64 v[137:138], v[137:138], v[141:142]
	v_add_f64 v[6:7], v[6:7], v[139:140]
	s_waitcnt lgkmcnt(1)
	v_mul_f64 v[141:142], v[4:5], v[153:154]
	v_mul_f64 v[139:140], v[2:3], v[153:154]
	v_fma_f64 v[131:132], v[131:132], v[157:158], v[135:136]
	s_waitcnt vmcnt(7) lgkmcnt(0)
	v_mul_f64 v[135:136], v[127:128], v[159:160]
	v_add_f64 v[137:138], v[137:138], v[143:144]
	v_add_f64 v[6:7], v[6:7], v[133:134]
	s_waitcnt vmcnt(6)
	v_fma_f64 v[1:2], v[2:3], v[155:156], -v[141:142]
	v_mul_f64 v[133:134], v[125:126], v[159:160]
	v_fma_f64 v[3:4], v[4:5], v[155:156], v[139:140]
	v_add_f64 v[129:130], v[137:138], v[129:130]
	v_add_f64 v[5:6], v[6:7], v[131:132]
	s_waitcnt vmcnt(4)
	v_fma_f64 v[7:8], v[125:126], v[161:162], -v[135:136]
	v_fma_f64 v[125:126], v[127:128], v[161:162], v[133:134]
	v_add_f64 v[1:2], v[129:130], v[1:2]
	v_add_f64 v[3:4], v[5:6], v[3:4]
	;; [unrolled: 1-line block ×4, first 2 shown]
	s_waitcnt vmcnt(2)
	v_add_f64 v[1:2], v[163:164], -v[1:2]
	s_waitcnt vmcnt(0)
	v_add_f64 v[3:4], v[165:166], -v[3:4]
	buffer_store_dword v2, off, s[0:3], 0 offset:804
	buffer_store_dword v1, off, s[0:3], 0 offset:800
	;; [unrolled: 1-line block ×4, first 2 shown]
	v_cmpx_lt_u32_e32 48, v0
	s_cbranch_execz .LBB121_265
; %bb.264:
	v_mov_b32_e32 v4, s21
	v_mov_b32_e32 v5, 0
	s_clause 0x3
	buffer_load_dword v1, v4, s[0:3], 0 offen
	buffer_load_dword v2, v4, s[0:3], 0 offen offset:4
	buffer_load_dword v3, v4, s[0:3], 0 offen offset:8
	;; [unrolled: 1-line block ×3, first 2 shown]
	buffer_store_dword v5, off, s[0:3], 0 offset:784
	buffer_store_dword v5, off, s[0:3], 0 offset:788
	;; [unrolled: 1-line block ×4, first 2 shown]
	s_waitcnt vmcnt(0)
	ds_write_b128 v185, v[1:4]
.LBB121_265:
	s_or_b32 exec_lo, exec_lo, s4
	s_waitcnt lgkmcnt(0)
	s_waitcnt_vscnt null, 0x0
	s_barrier
	buffer_gl0_inv
	s_clause 0x27
	buffer_load_dword v6, off, s[0:3], 0 offset:808
	buffer_load_dword v7, off, s[0:3], 0 offset:812
	;; [unrolled: 1-line block ×40, first 2 shown]
	v_mov_b32_e32 v1, 0
	ds_read_b128 v[2:5], v1 offset:1712
	ds_read_b128 v[125:128], v1 offset:1728
	;; [unrolled: 1-line block ×3, first 2 shown]
	s_mov_b32 s4, exec_lo
	s_waitcnt vmcnt(38) lgkmcnt(2)
	v_mul_f64 v[171:172], v[4:5], v[6:7]
	v_mul_f64 v[6:7], v[2:3], v[6:7]
	s_waitcnt vmcnt(36) lgkmcnt(1)
	v_mul_f64 v[173:174], v[127:128], v[133:134]
	v_mul_f64 v[133:134], v[125:126], v[133:134]
	s_waitcnt vmcnt(34)
	v_fma_f64 v[171:172], v[2:3], v[135:136], -v[171:172]
	v_fma_f64 v[6:7], v[4:5], v[135:136], v[6:7]
	ds_read_b128 v[2:5], v1 offset:1760
	s_waitcnt vmcnt(32) lgkmcnt(1)
	v_mul_f64 v[135:136], v[129:130], v[137:138]
	v_mul_f64 v[137:138], v[131:132], v[137:138]
	s_waitcnt vmcnt(30)
	v_fma_f64 v[173:174], v[125:126], v[139:140], -v[173:174]
	v_fma_f64 v[133:134], v[127:128], v[139:140], v[133:134]
	ds_read_b128 v[125:128], v1 offset:1776
	s_waitcnt vmcnt(26) lgkmcnt(1)
	v_mul_f64 v[139:140], v[2:3], v[141:142]
	v_add_f64 v[171:172], v[171:172], 0
	v_add_f64 v[6:7], v[6:7], 0
	v_mul_f64 v[141:142], v[4:5], v[141:142]
	s_waitcnt vmcnt(24)
	v_fma_f64 v[137:138], v[129:130], v[147:148], -v[137:138]
	v_fma_f64 v[135:136], v[131:132], v[147:148], v[135:136]
	ds_read_b128 v[129:132], v1 offset:1792
	s_waitcnt vmcnt(21)
	v_fma_f64 v[139:140], v[4:5], v[149:150], v[139:140]
	v_add_f64 v[171:172], v[171:172], v[173:174]
	v_add_f64 v[6:7], v[6:7], v[133:134]
	s_waitcnt lgkmcnt(1)
	v_mul_f64 v[133:134], v[125:126], v[143:144]
	v_mul_f64 v[143:144], v[127:128], v[143:144]
	v_fma_f64 v[141:142], v[2:3], v[149:150], -v[141:142]
	s_waitcnt vmcnt(17) lgkmcnt(0)
	v_mul_f64 v[147:148], v[131:132], v[151:152]
	ds_read_b128 v[2:5], v1 offset:1808
	v_add_f64 v[137:138], v[171:172], v[137:138]
	v_add_f64 v[6:7], v[6:7], v[135:136]
	v_mul_f64 v[135:136], v[129:130], v[151:152]
	s_waitcnt vmcnt(16)
	v_fma_f64 v[143:144], v[125:126], v[145:146], -v[143:144]
	v_fma_f64 v[133:134], v[127:128], v[145:146], v[133:134]
	ds_read_b128 v[125:128], v1 offset:1824
	s_waitcnt vmcnt(13)
	v_fma_f64 v[145:146], v[129:130], v[157:158], -v[147:148]
	v_add_f64 v[137:138], v[137:138], v[141:142]
	v_add_f64 v[6:7], v[6:7], v[139:140]
	s_waitcnt lgkmcnt(1)
	v_mul_f64 v[141:142], v[4:5], v[153:154]
	v_mul_f64 v[139:140], v[2:3], v[153:154]
	v_fma_f64 v[135:136], v[131:132], v[157:158], v[135:136]
	ds_read_b128 v[129:132], v1 offset:1840
	v_add_f64 v[137:138], v[137:138], v[143:144]
	v_add_f64 v[6:7], v[6:7], v[133:134]
	s_waitcnt vmcnt(9) lgkmcnt(1)
	v_mul_f64 v[143:144], v[127:128], v[159:160]
	s_waitcnt vmcnt(8)
	v_fma_f64 v[2:3], v[2:3], v[155:156], -v[141:142]
	v_mul_f64 v[133:134], v[125:126], v[159:160]
	v_fma_f64 v[4:5], v[4:5], v[155:156], v[139:140]
	s_waitcnt vmcnt(7) lgkmcnt(0)
	v_mul_f64 v[139:140], v[131:132], v[161:162]
	v_add_f64 v[137:138], v[137:138], v[145:146]
	v_add_f64 v[6:7], v[6:7], v[135:136]
	s_waitcnt vmcnt(5)
	v_fma_f64 v[125:126], v[125:126], v[165:166], -v[143:144]
	v_mul_f64 v[135:136], v[129:130], v[161:162]
	v_fma_f64 v[127:128], v[127:128], v[165:166], v[133:134]
	v_add_f64 v[2:3], v[137:138], v[2:3]
	v_add_f64 v[4:5], v[6:7], v[4:5]
	s_waitcnt vmcnt(4)
	v_fma_f64 v[6:7], v[129:130], v[163:164], -v[139:140]
	v_add_f64 v[2:3], v[2:3], v[125:126]
	v_fma_f64 v[125:126], v[131:132], v[163:164], v[135:136]
	v_add_f64 v[4:5], v[4:5], v[127:128]
	v_add_f64 v[2:3], v[2:3], v[6:7]
	;; [unrolled: 1-line block ×3, first 2 shown]
	s_waitcnt vmcnt(2)
	v_add_f64 v[2:3], v[167:168], -v[2:3]
	s_waitcnt vmcnt(0)
	v_add_f64 v[4:5], v[169:170], -v[4:5]
	buffer_store_dword v3, off, s[0:3], 0 offset:788
	buffer_store_dword v2, off, s[0:3], 0 offset:784
	;; [unrolled: 1-line block ×4, first 2 shown]
	v_cmpx_lt_u32_e32 47, v0
	s_cbranch_execz .LBB121_267
; %bb.266:
	v_mov_b32_e32 v5, s22
	s_clause 0x3
	buffer_load_dword v2, v5, s[0:3], 0 offen
	buffer_load_dword v3, v5, s[0:3], 0 offen offset:4
	buffer_load_dword v4, v5, s[0:3], 0 offen offset:8
	;; [unrolled: 1-line block ×3, first 2 shown]
	buffer_store_dword v1, off, s[0:3], 0 offset:768
	buffer_store_dword v1, off, s[0:3], 0 offset:772
	;; [unrolled: 1-line block ×4, first 2 shown]
	s_waitcnt vmcnt(0)
	ds_write_b128 v185, v[2:5]
.LBB121_267:
	s_or_b32 exec_lo, exec_lo, s4
	s_waitcnt lgkmcnt(0)
	s_waitcnt_vscnt null, 0x0
	s_barrier
	buffer_gl0_inv
	s_clause 0x2b
	buffer_load_dword v6, off, s[0:3], 0 offset:792
	buffer_load_dword v7, off, s[0:3], 0 offset:796
	;; [unrolled: 1-line block ×44, first 2 shown]
	ds_read_b128 v[2:5], v1 offset:1696
	ds_read_b128 v[125:128], v1 offset:1712
	;; [unrolled: 1-line block ×3, first 2 shown]
	s_mov_b32 s4, exec_lo
	s_waitcnt vmcnt(42) lgkmcnt(2)
	v_mul_f64 v[175:176], v[4:5], v[6:7]
	v_mul_f64 v[6:7], v[2:3], v[6:7]
	s_waitcnt vmcnt(40) lgkmcnt(1)
	v_mul_f64 v[177:178], v[127:128], v[133:134]
	v_mul_f64 v[133:134], v[125:126], v[133:134]
	s_waitcnt vmcnt(38)
	v_fma_f64 v[175:176], v[2:3], v[135:136], -v[175:176]
	v_fma_f64 v[6:7], v[4:5], v[135:136], v[6:7]
	ds_read_b128 v[2:5], v1 offset:1744
	s_waitcnt vmcnt(36) lgkmcnt(1)
	v_mul_f64 v[135:136], v[129:130], v[137:138]
	v_mul_f64 v[137:138], v[131:132], v[137:138]
	s_waitcnt vmcnt(34)
	v_fma_f64 v[177:178], v[125:126], v[139:140], -v[177:178]
	v_fma_f64 v[133:134], v[127:128], v[139:140], v[133:134]
	ds_read_b128 v[125:128], v1 offset:1760
	s_waitcnt vmcnt(30) lgkmcnt(1)
	v_mul_f64 v[139:140], v[2:3], v[141:142]
	v_add_f64 v[175:176], v[175:176], 0
	v_add_f64 v[6:7], v[6:7], 0
	v_mul_f64 v[141:142], v[4:5], v[141:142]
	s_waitcnt vmcnt(28)
	v_fma_f64 v[137:138], v[129:130], v[147:148], -v[137:138]
	v_fma_f64 v[135:136], v[131:132], v[147:148], v[135:136]
	ds_read_b128 v[129:132], v1 offset:1776
	s_waitcnt vmcnt(25)
	v_fma_f64 v[139:140], v[4:5], v[149:150], v[139:140]
	v_add_f64 v[175:176], v[175:176], v[177:178]
	v_add_f64 v[6:7], v[6:7], v[133:134]
	s_waitcnt lgkmcnt(1)
	v_mul_f64 v[133:134], v[125:126], v[143:144]
	v_mul_f64 v[143:144], v[127:128], v[143:144]
	v_fma_f64 v[141:142], v[2:3], v[149:150], -v[141:142]
	s_waitcnt vmcnt(21) lgkmcnt(0)
	v_mul_f64 v[147:148], v[131:132], v[151:152]
	ds_read_b128 v[2:5], v1 offset:1792
	v_add_f64 v[137:138], v[175:176], v[137:138]
	v_add_f64 v[6:7], v[6:7], v[135:136]
	v_mul_f64 v[135:136], v[129:130], v[151:152]
	s_waitcnt vmcnt(20)
	v_fma_f64 v[143:144], v[125:126], v[145:146], -v[143:144]
	v_fma_f64 v[133:134], v[127:128], v[145:146], v[133:134]
	ds_read_b128 v[125:128], v1 offset:1808
	s_waitcnt vmcnt(17)
	v_fma_f64 v[145:146], v[129:130], v[157:158], -v[147:148]
	v_add_f64 v[137:138], v[137:138], v[141:142]
	v_add_f64 v[6:7], v[6:7], v[139:140]
	s_waitcnt lgkmcnt(1)
	v_mul_f64 v[141:142], v[4:5], v[153:154]
	v_mul_f64 v[139:140], v[2:3], v[153:154]
	v_fma_f64 v[135:136], v[131:132], v[157:158], v[135:136]
	ds_read_b128 v[129:132], v1 offset:1824
	v_add_f64 v[137:138], v[137:138], v[143:144]
	v_add_f64 v[6:7], v[6:7], v[133:134]
	s_waitcnt vmcnt(13) lgkmcnt(1)
	v_mul_f64 v[143:144], v[127:128], v[159:160]
	s_waitcnt vmcnt(12)
	v_fma_f64 v[141:142], v[2:3], v[155:156], -v[141:142]
	v_mul_f64 v[133:134], v[125:126], v[159:160]
	v_fma_f64 v[139:140], v[4:5], v[155:156], v[139:140]
	ds_read_b128 v[1:4], v1 offset:1840
	v_add_f64 v[137:138], v[137:138], v[145:146]
	v_add_f64 v[5:6], v[6:7], v[135:136]
	s_waitcnt vmcnt(11) lgkmcnt(1)
	v_mul_f64 v[135:136], v[131:132], v[161:162]
	s_waitcnt vmcnt(9)
	v_fma_f64 v[125:126], v[125:126], v[165:166], -v[143:144]
	v_mul_f64 v[7:8], v[129:130], v[161:162]
	v_fma_f64 v[127:128], v[127:128], v[165:166], v[133:134]
	s_waitcnt vmcnt(7) lgkmcnt(0)
	v_mul_f64 v[133:134], v[1:2], v[167:168]
	v_add_f64 v[137:138], v[137:138], v[141:142]
	v_add_f64 v[5:6], v[5:6], v[139:140]
	v_mul_f64 v[139:140], v[3:4], v[167:168]
	s_waitcnt vmcnt(6)
	v_fma_f64 v[129:130], v[129:130], v[163:164], -v[135:136]
	v_fma_f64 v[7:8], v[131:132], v[163:164], v[7:8]
	s_waitcnt vmcnt(4)
	v_fma_f64 v[3:4], v[3:4], v[169:170], v[133:134]
	v_add_f64 v[125:126], v[137:138], v[125:126]
	v_add_f64 v[5:6], v[5:6], v[127:128]
	v_fma_f64 v[1:2], v[1:2], v[169:170], -v[139:140]
	v_add_f64 v[125:126], v[125:126], v[129:130]
	v_add_f64 v[5:6], v[5:6], v[7:8]
	;; [unrolled: 1-line block ×4, first 2 shown]
	s_waitcnt vmcnt(2)
	v_add_f64 v[1:2], v[171:172], -v[1:2]
	s_waitcnt vmcnt(0)
	v_add_f64 v[3:4], v[173:174], -v[3:4]
	buffer_store_dword v2, off, s[0:3], 0 offset:772
	buffer_store_dword v1, off, s[0:3], 0 offset:768
	;; [unrolled: 1-line block ×4, first 2 shown]
	v_cmpx_lt_u32_e32 46, v0
	s_cbranch_execz .LBB121_269
; %bb.268:
	v_mov_b32_e32 v4, s23
	v_mov_b32_e32 v5, 0
	s_clause 0x3
	buffer_load_dword v1, v4, s[0:3], 0 offen
	buffer_load_dword v2, v4, s[0:3], 0 offen offset:4
	buffer_load_dword v3, v4, s[0:3], 0 offen offset:8
	;; [unrolled: 1-line block ×3, first 2 shown]
	buffer_store_dword v5, off, s[0:3], 0 offset:752
	buffer_store_dword v5, off, s[0:3], 0 offset:756
	;; [unrolled: 1-line block ×4, first 2 shown]
	s_waitcnt vmcnt(0)
	ds_write_b128 v185, v[1:4]
.LBB121_269:
	s_or_b32 exec_lo, exec_lo, s4
	s_waitcnt lgkmcnt(0)
	s_waitcnt_vscnt null, 0x0
	s_barrier
	buffer_gl0_inv
	s_clause 0x2f
	buffer_load_dword v6, off, s[0:3], 0 offset:776
	buffer_load_dword v7, off, s[0:3], 0 offset:780
	;; [unrolled: 1-line block ×48, first 2 shown]
	v_mov_b32_e32 v1, 0
	ds_read_b128 v[2:5], v1 offset:1680
	ds_read_b128 v[125:128], v1 offset:1696
	;; [unrolled: 1-line block ×3, first 2 shown]
	s_mov_b32 s4, exec_lo
	s_waitcnt vmcnt(46) lgkmcnt(2)
	v_mul_f64 v[179:180], v[4:5], v[6:7]
	v_mul_f64 v[6:7], v[2:3], v[6:7]
	s_waitcnt vmcnt(44) lgkmcnt(1)
	v_mul_f64 v[181:182], v[127:128], v[133:134]
	v_mul_f64 v[133:134], v[125:126], v[133:134]
	s_waitcnt vmcnt(42)
	v_fma_f64 v[179:180], v[2:3], v[135:136], -v[179:180]
	v_fma_f64 v[6:7], v[4:5], v[135:136], v[6:7]
	ds_read_b128 v[2:5], v1 offset:1728
	s_waitcnt vmcnt(40) lgkmcnt(1)
	v_mul_f64 v[135:136], v[129:130], v[137:138]
	v_mul_f64 v[137:138], v[131:132], v[137:138]
	s_waitcnt vmcnt(38)
	v_fma_f64 v[181:182], v[125:126], v[139:140], -v[181:182]
	v_fma_f64 v[133:134], v[127:128], v[139:140], v[133:134]
	ds_read_b128 v[125:128], v1 offset:1744
	s_waitcnt vmcnt(34) lgkmcnt(1)
	v_mul_f64 v[139:140], v[2:3], v[141:142]
	v_add_f64 v[179:180], v[179:180], 0
	v_add_f64 v[6:7], v[6:7], 0
	v_mul_f64 v[141:142], v[4:5], v[141:142]
	s_waitcnt vmcnt(32)
	v_fma_f64 v[137:138], v[129:130], v[147:148], -v[137:138]
	v_fma_f64 v[135:136], v[131:132], v[147:148], v[135:136]
	ds_read_b128 v[129:132], v1 offset:1760
	s_waitcnt vmcnt(29)
	v_fma_f64 v[139:140], v[4:5], v[149:150], v[139:140]
	v_add_f64 v[179:180], v[179:180], v[181:182]
	v_add_f64 v[6:7], v[6:7], v[133:134]
	s_waitcnt lgkmcnt(1)
	v_mul_f64 v[133:134], v[125:126], v[143:144]
	v_mul_f64 v[143:144], v[127:128], v[143:144]
	v_fma_f64 v[141:142], v[2:3], v[149:150], -v[141:142]
	s_waitcnt vmcnt(25) lgkmcnt(0)
	v_mul_f64 v[147:148], v[131:132], v[151:152]
	ds_read_b128 v[2:5], v1 offset:1776
	v_add_f64 v[137:138], v[179:180], v[137:138]
	v_add_f64 v[6:7], v[6:7], v[135:136]
	v_mul_f64 v[135:136], v[129:130], v[151:152]
	s_waitcnt vmcnt(24)
	v_fma_f64 v[143:144], v[125:126], v[145:146], -v[143:144]
	v_fma_f64 v[133:134], v[127:128], v[145:146], v[133:134]
	ds_read_b128 v[125:128], v1 offset:1792
	s_waitcnt vmcnt(21)
	v_fma_f64 v[145:146], v[129:130], v[157:158], -v[147:148]
	v_add_f64 v[137:138], v[137:138], v[141:142]
	v_add_f64 v[6:7], v[6:7], v[139:140]
	s_waitcnt lgkmcnt(1)
	v_mul_f64 v[141:142], v[4:5], v[153:154]
	v_mul_f64 v[139:140], v[2:3], v[153:154]
	v_fma_f64 v[135:136], v[131:132], v[157:158], v[135:136]
	ds_read_b128 v[129:132], v1 offset:1808
	v_add_f64 v[137:138], v[137:138], v[143:144]
	v_add_f64 v[6:7], v[6:7], v[133:134]
	s_waitcnt vmcnt(17) lgkmcnt(1)
	v_mul_f64 v[143:144], v[127:128], v[159:160]
	s_waitcnt vmcnt(16)
	v_fma_f64 v[141:142], v[2:3], v[155:156], -v[141:142]
	v_mul_f64 v[133:134], v[125:126], v[159:160]
	v_fma_f64 v[139:140], v[4:5], v[155:156], v[139:140]
	ds_read_b128 v[2:5], v1 offset:1824
	v_add_f64 v[137:138], v[137:138], v[145:146]
	v_add_f64 v[6:7], v[6:7], v[135:136]
	s_waitcnt vmcnt(15) lgkmcnt(1)
	v_mul_f64 v[145:146], v[131:132], v[161:162]
	s_waitcnt vmcnt(13)
	v_fma_f64 v[143:144], v[125:126], v[165:166], -v[143:144]
	;; [unrolled: 9-line block ×3, first 2 shown]
	v_mul_f64 v[139:140], v[2:3], v[167:168]
	v_fma_f64 v[131:132], v[131:132], v[163:164], v[135:136]
	s_waitcnt vmcnt(7) lgkmcnt(0)
	v_mul_f64 v[135:136], v[127:128], v[169:170]
	v_add_f64 v[137:138], v[137:138], v[143:144]
	v_add_f64 v[6:7], v[6:7], v[133:134]
	s_waitcnt vmcnt(5)
	v_fma_f64 v[2:3], v[2:3], v[173:174], -v[141:142]
	v_mul_f64 v[133:134], v[125:126], v[169:170]
	v_fma_f64 v[4:5], v[4:5], v[173:174], v[139:140]
	s_waitcnt vmcnt(4)
	v_fma_f64 v[125:126], v[125:126], v[171:172], -v[135:136]
	v_add_f64 v[129:130], v[137:138], v[129:130]
	v_add_f64 v[6:7], v[6:7], v[131:132]
	v_fma_f64 v[127:128], v[127:128], v[171:172], v[133:134]
	v_add_f64 v[2:3], v[129:130], v[2:3]
	v_add_f64 v[4:5], v[6:7], v[4:5]
	;; [unrolled: 1-line block ×4, first 2 shown]
	s_waitcnt vmcnt(2)
	v_add_f64 v[2:3], v[175:176], -v[2:3]
	s_waitcnt vmcnt(0)
	v_add_f64 v[4:5], v[177:178], -v[4:5]
	buffer_store_dword v3, off, s[0:3], 0 offset:756
	buffer_store_dword v2, off, s[0:3], 0 offset:752
	;; [unrolled: 1-line block ×4, first 2 shown]
	v_cmpx_lt_u32_e32 45, v0
	s_cbranch_execz .LBB121_271
; %bb.270:
	v_mov_b32_e32 v5, s24
	s_clause 0x3
	buffer_load_dword v2, v5, s[0:3], 0 offen
	buffer_load_dword v3, v5, s[0:3], 0 offen offset:4
	buffer_load_dword v4, v5, s[0:3], 0 offen offset:8
	;; [unrolled: 1-line block ×3, first 2 shown]
	buffer_store_dword v1, off, s[0:3], 0 offset:736
	buffer_store_dword v1, off, s[0:3], 0 offset:740
	;; [unrolled: 1-line block ×4, first 2 shown]
	s_waitcnt vmcnt(0)
	ds_write_b128 v185, v[2:5]
.LBB121_271:
	s_or_b32 exec_lo, exec_lo, s4
	s_waitcnt lgkmcnt(0)
	s_waitcnt_vscnt null, 0x0
	s_barrier
	buffer_gl0_inv
	s_clause 0x2f
	buffer_load_dword v6, off, s[0:3], 0 offset:760
	buffer_load_dword v7, off, s[0:3], 0 offset:764
	;; [unrolled: 1-line block ×48, first 2 shown]
	ds_read_b128 v[2:5], v1 offset:1664
	s_clause 0x3
	buffer_load_dword v179, off, s[0:3], 0 offset:736
	buffer_load_dword v180, off, s[0:3], 0 offset:740
	;; [unrolled: 1-line block ×4, first 2 shown]
	ds_read_b128 v[125:128], v1 offset:1680
	ds_read_b128 v[129:132], v1 offset:1696
	s_mov_b32 s4, exec_lo
	s_waitcnt vmcnt(50) lgkmcnt(2)
	v_mul_f64 v[183:184], v[4:5], v[6:7]
	v_mul_f64 v[6:7], v[2:3], v[6:7]
	s_waitcnt vmcnt(48) lgkmcnt(1)
	v_mul_f64 v[186:187], v[127:128], v[133:134]
	v_mul_f64 v[133:134], v[125:126], v[133:134]
	s_waitcnt vmcnt(46)
	v_fma_f64 v[183:184], v[2:3], v[135:136], -v[183:184]
	v_fma_f64 v[6:7], v[4:5], v[135:136], v[6:7]
	s_waitcnt vmcnt(44) lgkmcnt(0)
	v_mul_f64 v[135:136], v[129:130], v[137:138]
	v_mul_f64 v[137:138], v[131:132], v[137:138]
	s_waitcnt vmcnt(42)
	v_fma_f64 v[186:187], v[125:126], v[139:140], -v[186:187]
	ds_read_b128 v[2:5], v1 offset:1712
	v_fma_f64 v[133:134], v[127:128], v[139:140], v[133:134]
	ds_read_b128 v[125:128], v1 offset:1728
	v_add_f64 v[183:184], v[183:184], 0
	v_add_f64 v[6:7], v[6:7], 0
	s_waitcnt vmcnt(36)
	v_fma_f64 v[135:136], v[131:132], v[147:148], v[135:136]
	s_waitcnt lgkmcnt(1)
	v_mul_f64 v[139:140], v[2:3], v[141:142]
	v_mul_f64 v[141:142], v[4:5], v[141:142]
	v_fma_f64 v[137:138], v[129:130], v[147:148], -v[137:138]
	ds_read_b128 v[129:132], v1 offset:1744
	v_add_f64 v[183:184], v[183:184], v[186:187]
	v_add_f64 v[6:7], v[6:7], v[133:134]
	s_waitcnt vmcnt(35) lgkmcnt(1)
	v_mul_f64 v[133:134], v[125:126], v[143:144]
	v_mul_f64 v[143:144], v[127:128], v[143:144]
	s_waitcnt vmcnt(33)
	v_fma_f64 v[141:142], v[2:3], v[149:150], -v[141:142]
	v_fma_f64 v[139:140], v[4:5], v[149:150], v[139:140]
	ds_read_b128 v[2:5], v1 offset:1760
	s_waitcnt vmcnt(29) lgkmcnt(1)
	v_mul_f64 v[147:148], v[131:132], v[151:152]
	v_add_f64 v[137:138], v[183:184], v[137:138]
	v_add_f64 v[6:7], v[6:7], v[135:136]
	v_mul_f64 v[135:136], v[129:130], v[151:152]
	s_waitcnt vmcnt(28)
	v_fma_f64 v[143:144], v[125:126], v[145:146], -v[143:144]
	v_fma_f64 v[133:134], v[127:128], v[145:146], v[133:134]
	ds_read_b128 v[125:128], v1 offset:1776
	s_waitcnt vmcnt(25)
	v_fma_f64 v[145:146], v[129:130], v[157:158], -v[147:148]
	v_add_f64 v[137:138], v[137:138], v[141:142]
	v_add_f64 v[6:7], v[6:7], v[139:140]
	s_waitcnt lgkmcnt(1)
	v_mul_f64 v[141:142], v[4:5], v[153:154]
	v_mul_f64 v[139:140], v[2:3], v[153:154]
	v_fma_f64 v[135:136], v[131:132], v[157:158], v[135:136]
	ds_read_b128 v[129:132], v1 offset:1792
	v_add_f64 v[137:138], v[137:138], v[143:144]
	v_add_f64 v[6:7], v[6:7], v[133:134]
	s_waitcnt vmcnt(21) lgkmcnt(1)
	v_mul_f64 v[143:144], v[127:128], v[159:160]
	s_waitcnt vmcnt(20)
	v_fma_f64 v[141:142], v[2:3], v[155:156], -v[141:142]
	v_mul_f64 v[133:134], v[125:126], v[159:160]
	v_fma_f64 v[139:140], v[4:5], v[155:156], v[139:140]
	ds_read_b128 v[2:5], v1 offset:1808
	v_add_f64 v[137:138], v[137:138], v[145:146]
	v_add_f64 v[6:7], v[6:7], v[135:136]
	s_waitcnt vmcnt(19) lgkmcnt(1)
	v_mul_f64 v[145:146], v[131:132], v[161:162]
	s_waitcnt vmcnt(17)
	v_fma_f64 v[143:144], v[125:126], v[165:166], -v[143:144]
	;; [unrolled: 9-line block ×4, first 2 shown]
	v_mul_f64 v[133:134], v[125:126], v[169:170]
	v_fma_f64 v[3:4], v[4:5], v[173:174], v[139:140]
	v_add_f64 v[137:138], v[137:138], v[145:146]
	v_add_f64 v[5:6], v[6:7], v[135:136]
	s_waitcnt vmcnt(7) lgkmcnt(0)
	v_mul_f64 v[135:136], v[131:132], v[175:176]
	s_waitcnt vmcnt(6)
	v_fma_f64 v[125:126], v[125:126], v[171:172], -v[143:144]
	v_mul_f64 v[7:8], v[129:130], v[175:176]
	v_fma_f64 v[127:128], v[127:128], v[171:172], v[133:134]
	v_add_f64 v[1:2], v[137:138], v[1:2]
	v_add_f64 v[3:4], v[5:6], v[3:4]
	s_waitcnt vmcnt(4)
	v_fma_f64 v[5:6], v[129:130], v[177:178], -v[135:136]
	v_fma_f64 v[7:8], v[131:132], v[177:178], v[7:8]
	v_add_f64 v[1:2], v[1:2], v[125:126]
	v_add_f64 v[3:4], v[3:4], v[127:128]
	;; [unrolled: 1-line block ×4, first 2 shown]
	s_waitcnt vmcnt(2)
	v_add_f64 v[1:2], v[179:180], -v[1:2]
	s_waitcnt vmcnt(0)
	v_add_f64 v[3:4], v[181:182], -v[3:4]
	buffer_store_dword v2, off, s[0:3], 0 offset:740
	buffer_store_dword v1, off, s[0:3], 0 offset:736
	buffer_store_dword v4, off, s[0:3], 0 offset:748
	buffer_store_dword v3, off, s[0:3], 0 offset:744
	v_cmpx_lt_u32_e32 44, v0
	s_cbranch_execz .LBB121_273
; %bb.272:
	v_mov_b32_e32 v4, s25
	v_mov_b32_e32 v5, 0
	s_clause 0x3
	buffer_load_dword v1, v4, s[0:3], 0 offen
	buffer_load_dword v2, v4, s[0:3], 0 offen offset:4
	buffer_load_dword v3, v4, s[0:3], 0 offen offset:8
	;; [unrolled: 1-line block ×3, first 2 shown]
	buffer_store_dword v5, off, s[0:3], 0 offset:720
	buffer_store_dword v5, off, s[0:3], 0 offset:724
	;; [unrolled: 1-line block ×4, first 2 shown]
	s_waitcnt vmcnt(0)
	ds_write_b128 v185, v[1:4]
.LBB121_273:
	s_or_b32 exec_lo, exec_lo, s4
	s_waitcnt lgkmcnt(0)
	s_waitcnt_vscnt null, 0x0
	s_barrier
	buffer_gl0_inv
	s_clause 0x33
	buffer_load_dword v6, off, s[0:3], 0 offset:744
	buffer_load_dword v7, off, s[0:3], 0 offset:748
	;; [unrolled: 1-line block ×52, first 2 shown]
	v_mov_b32_e32 v1, 0
	s_mov_b32 s4, exec_lo
	ds_read_b128 v[2:5], v1 offset:1648
	ds_read_b128 v[125:128], v1 offset:1664
	s_clause 0x3
	buffer_load_dword v186, off, s[0:3], 0 offset:720
	buffer_load_dword v187, off, s[0:3], 0 offset:724
	;; [unrolled: 1-line block ×4, first 2 shown]
	ds_read_b128 v[129:132], v1 offset:1680
	s_waitcnt vmcnt(54) lgkmcnt(2)
	v_mul_f64 v[183:184], v[4:5], v[6:7]
	v_mul_f64 v[6:7], v[2:3], v[6:7]
	s_waitcnt vmcnt(52) lgkmcnt(1)
	v_mul_f64 v[190:191], v[127:128], v[133:134]
	v_mul_f64 v[133:134], v[125:126], v[133:134]
	s_waitcnt vmcnt(50)
	v_fma_f64 v[183:184], v[2:3], v[135:136], -v[183:184]
	v_fma_f64 v[6:7], v[4:5], v[135:136], v[6:7]
	ds_read_b128 v[2:5], v1 offset:1696
	s_waitcnt vmcnt(48) lgkmcnt(1)
	v_mul_f64 v[135:136], v[129:130], v[137:138]
	v_mul_f64 v[137:138], v[131:132], v[137:138]
	s_waitcnt vmcnt(46)
	v_fma_f64 v[190:191], v[125:126], v[139:140], -v[190:191]
	v_fma_f64 v[133:134], v[127:128], v[139:140], v[133:134]
	ds_read_b128 v[125:128], v1 offset:1712
	s_waitcnt vmcnt(44) lgkmcnt(1)
	v_mul_f64 v[139:140], v[2:3], v[141:142]
	v_add_f64 v[183:184], v[183:184], 0
	v_add_f64 v[6:7], v[6:7], 0
	v_mul_f64 v[141:142], v[4:5], v[141:142]
	s_waitcnt vmcnt(42)
	v_fma_f64 v[137:138], v[129:130], v[143:144], -v[137:138]
	v_fma_f64 v[135:136], v[131:132], v[143:144], v[135:136]
	ds_read_b128 v[129:132], v1 offset:1728
	s_waitcnt vmcnt(40) lgkmcnt(1)
	v_mul_f64 v[143:144], v[127:128], v[145:146]
	s_waitcnt vmcnt(38)
	v_fma_f64 v[139:140], v[4:5], v[147:148], v[139:140]
	v_add_f64 v[183:184], v[183:184], v[190:191]
	v_add_f64 v[6:7], v[6:7], v[133:134]
	v_fma_f64 v[141:142], v[2:3], v[147:148], -v[141:142]
	v_mul_f64 v[133:134], v[125:126], v[145:146]
	s_waitcnt vmcnt(36) lgkmcnt(0)
	v_mul_f64 v[145:146], v[131:132], v[149:150]
	ds_read_b128 v[2:5], v1 offset:1744
	s_waitcnt vmcnt(34)
	v_fma_f64 v[143:144], v[125:126], v[151:152], -v[143:144]
	v_add_f64 v[137:138], v[183:184], v[137:138]
	v_add_f64 v[6:7], v[6:7], v[135:136]
	v_mul_f64 v[135:136], v[129:130], v[149:150]
	v_fma_f64 v[133:134], v[127:128], v[151:152], v[133:134]
	ds_read_b128 v[125:128], v1 offset:1760
	s_waitcnt vmcnt(30)
	v_fma_f64 v[145:146], v[129:130], v[155:156], -v[145:146]
	v_add_f64 v[137:138], v[137:138], v[141:142]
	v_add_f64 v[6:7], v[6:7], v[139:140]
	s_waitcnt lgkmcnt(1)
	v_mul_f64 v[141:142], v[4:5], v[153:154]
	v_mul_f64 v[139:140], v[2:3], v[153:154]
	v_fma_f64 v[135:136], v[131:132], v[155:156], v[135:136]
	ds_read_b128 v[129:132], v1 offset:1776
	v_add_f64 v[137:138], v[137:138], v[143:144]
	v_add_f64 v[6:7], v[6:7], v[133:134]
	s_waitcnt vmcnt(28) lgkmcnt(1)
	v_mul_f64 v[143:144], v[127:128], v[157:158]
	s_waitcnt vmcnt(26)
	v_fma_f64 v[141:142], v[2:3], v[159:160], -v[141:142]
	v_mul_f64 v[133:134], v[125:126], v[157:158]
	v_fma_f64 v[139:140], v[4:5], v[159:160], v[139:140]
	ds_read_b128 v[2:5], v1 offset:1792
	v_add_f64 v[137:138], v[137:138], v[145:146]
	v_add_f64 v[6:7], v[6:7], v[135:136]
	s_waitcnt vmcnt(24) lgkmcnt(1)
	v_mul_f64 v[145:146], v[131:132], v[161:162]
	s_waitcnt vmcnt(22)
	v_fma_f64 v[143:144], v[125:126], v[163:164], -v[143:144]
	;; [unrolled: 9-line block ×5, first 2 shown]
	v_mul_f64 v[135:136], v[129:130], v[173:174]
	v_fma_f64 v[127:128], v[127:128], v[175:176], v[133:134]
	s_waitcnt vmcnt(8) lgkmcnt(0)
	v_mul_f64 v[133:134], v[2:3], v[177:178]
	v_add_f64 v[137:138], v[137:138], v[141:142]
	v_add_f64 v[6:7], v[6:7], v[139:140]
	v_mul_f64 v[139:140], v[4:5], v[177:178]
	s_waitcnt vmcnt(6)
	v_fma_f64 v[129:130], v[129:130], v[179:180], -v[145:146]
	v_fma_f64 v[131:132], v[131:132], v[179:180], v[135:136]
	s_waitcnt vmcnt(4)
	v_fma_f64 v[4:5], v[4:5], v[181:182], v[133:134]
	v_add_f64 v[125:126], v[137:138], v[125:126]
	v_add_f64 v[6:7], v[6:7], v[127:128]
	v_fma_f64 v[2:3], v[2:3], v[181:182], -v[139:140]
	v_add_f64 v[125:126], v[125:126], v[129:130]
	v_add_f64 v[6:7], v[6:7], v[131:132]
	;; [unrolled: 1-line block ×4, first 2 shown]
	s_waitcnt vmcnt(2)
	v_add_f64 v[2:3], v[186:187], -v[2:3]
	s_waitcnt vmcnt(0)
	v_add_f64 v[4:5], v[188:189], -v[4:5]
	buffer_store_dword v3, off, s[0:3], 0 offset:724
	buffer_store_dword v2, off, s[0:3], 0 offset:720
	;; [unrolled: 1-line block ×4, first 2 shown]
	v_cmpx_lt_u32_e32 43, v0
	s_cbranch_execz .LBB121_275
; %bb.274:
	v_mov_b32_e32 v5, s26
	s_clause 0x3
	buffer_load_dword v2, v5, s[0:3], 0 offen
	buffer_load_dword v3, v5, s[0:3], 0 offen offset:4
	buffer_load_dword v4, v5, s[0:3], 0 offen offset:8
	;; [unrolled: 1-line block ×3, first 2 shown]
	buffer_store_dword v1, off, s[0:3], 0 offset:704
	buffer_store_dword v1, off, s[0:3], 0 offset:708
	buffer_store_dword v1, off, s[0:3], 0 offset:712
	buffer_store_dword v1, off, s[0:3], 0 offset:716
	s_waitcnt vmcnt(0)
	ds_write_b128 v185, v[2:5]
.LBB121_275:
	s_or_b32 exec_lo, exec_lo, s4
	s_waitcnt lgkmcnt(0)
	s_waitcnt_vscnt null, 0x0
	s_barrier
	buffer_gl0_inv
	s_clause 0x35
	buffer_load_dword v6, off, s[0:3], 0 offset:728
	buffer_load_dword v7, off, s[0:3], 0 offset:732
	;; [unrolled: 1-line block ×54, first 2 shown]
	ds_read_b128 v[2:5], v1 offset:1632
	s_clause 0x1
	buffer_load_dword v187, off, s[0:3], 0 offset:932
	buffer_load_dword v186, off, s[0:3], 0 offset:928
	ds_read_b128 v[125:128], v1 offset:1648
	ds_read_b128 v[129:132], v1 offset:1664
	s_mov_b32 s4, exec_lo
	s_waitcnt vmcnt(54) lgkmcnt(2)
	v_mul_f64 v[188:189], v[4:5], v[6:7]
	v_mul_f64 v[6:7], v[2:3], v[6:7]
	s_waitcnt vmcnt(52) lgkmcnt(1)
	v_mul_f64 v[190:191], v[127:128], v[133:134]
	v_mul_f64 v[133:134], v[125:126], v[133:134]
	s_waitcnt vmcnt(48) lgkmcnt(0)
	v_mul_f64 v[194:195], v[129:130], v[137:138]
	v_mul_f64 v[137:138], v[131:132], v[137:138]
	v_fma_f64 v[188:189], v[2:3], v[135:136], -v[188:189]
	v_fma_f64 v[6:7], v[4:5], v[135:136], v[6:7]
	s_clause 0x3
	buffer_load_dword v135, off, s[0:3], 0 offset:704
	buffer_load_dword v136, off, s[0:3], 0 offset:708
	;; [unrolled: 1-line block ×4, first 2 shown]
	s_waitcnt vmcnt(50)
	v_fma_f64 v[190:191], v[125:126], v[139:140], -v[190:191]
	ds_read_b128 v[2:5], v1 offset:1680
	v_fma_f64 v[133:134], v[127:128], v[139:140], v[133:134]
	ds_read_b128 v[125:128], v1 offset:1696
	s_waitcnt vmcnt(44)
	v_fma_f64 v[137:138], v[129:130], v[147:148], -v[137:138]
	v_fma_f64 v[147:148], v[131:132], v[147:148], v[194:195]
	ds_read_b128 v[129:132], v1 offset:1712
	v_add_f64 v[188:189], v[188:189], 0
	v_add_f64 v[6:7], v[6:7], 0
	s_waitcnt lgkmcnt(2)
	v_mul_f64 v[139:140], v[2:3], v[141:142]
	v_mul_f64 v[141:142], v[4:5], v[141:142]
	v_add_f64 v[188:189], v[188:189], v[190:191]
	v_add_f64 v[6:7], v[6:7], v[133:134]
	s_waitcnt vmcnt(43) lgkmcnt(1)
	v_mul_f64 v[133:134], v[125:126], v[143:144]
	v_mul_f64 v[143:144], v[127:128], v[143:144]
	s_waitcnt vmcnt(41)
	v_fma_f64 v[141:142], v[2:3], v[149:150], -v[141:142]
	v_fma_f64 v[139:140], v[4:5], v[149:150], v[139:140]
	ds_read_b128 v[2:5], v1 offset:1728
	s_waitcnt vmcnt(37) lgkmcnt(1)
	v_mul_f64 v[149:150], v[131:132], v[151:152]
	v_add_f64 v[137:138], v[188:189], v[137:138]
	v_add_f64 v[6:7], v[6:7], v[147:148]
	v_mul_f64 v[147:148], v[129:130], v[151:152]
	s_waitcnt vmcnt(36)
	v_fma_f64 v[143:144], v[125:126], v[145:146], -v[143:144]
	v_fma_f64 v[133:134], v[127:128], v[145:146], v[133:134]
	ds_read_b128 v[125:128], v1 offset:1744
	s_waitcnt vmcnt(33)
	v_fma_f64 v[145:146], v[129:130], v[157:158], -v[149:150]
	v_add_f64 v[137:138], v[137:138], v[141:142]
	v_add_f64 v[6:7], v[6:7], v[139:140]
	s_waitcnt lgkmcnt(1)
	v_mul_f64 v[141:142], v[4:5], v[153:154]
	v_mul_f64 v[139:140], v[2:3], v[153:154]
	v_add_f64 v[137:138], v[137:138], v[143:144]
	v_fma_f64 v[143:144], v[131:132], v[157:158], v[147:148]
	v_add_f64 v[6:7], v[6:7], v[133:134]
	ds_read_b128 v[129:132], v1 offset:1760
	s_waitcnt vmcnt(29) lgkmcnt(1)
	v_mul_f64 v[147:148], v[127:128], v[159:160]
	s_waitcnt vmcnt(28)
	v_fma_f64 v[141:142], v[2:3], v[155:156], -v[141:142]
	v_mul_f64 v[133:134], v[125:126], v[159:160]
	v_fma_f64 v[139:140], v[4:5], v[155:156], v[139:140]
	ds_read_b128 v[2:5], v1 offset:1776
	v_add_f64 v[137:138], v[137:138], v[145:146]
	s_waitcnt vmcnt(27) lgkmcnt(1)
	v_mul_f64 v[145:146], v[131:132], v[161:162]
	v_add_f64 v[6:7], v[6:7], v[143:144]
	v_mul_f64 v[143:144], v[129:130], v[161:162]
	s_waitcnt vmcnt(25)
	v_fma_f64 v[147:148], v[125:126], v[165:166], -v[147:148]
	v_fma_f64 v[133:134], v[127:128], v[165:166], v[133:134]
	ds_read_b128 v[125:128], v1 offset:1792
	v_add_f64 v[137:138], v[137:138], v[141:142]
	s_waitcnt vmcnt(21) lgkmcnt(1)
	v_mul_f64 v[141:142], v[4:5], v[167:168]
	v_add_f64 v[6:7], v[6:7], v[139:140]
	s_waitcnt vmcnt(20)
	v_fma_f64 v[145:146], v[129:130], v[163:164], -v[145:146]
	v_mul_f64 v[139:140], v[2:3], v[167:168]
	v_fma_f64 v[143:144], v[131:132], v[163:164], v[143:144]
	ds_read_b128 v[129:132], v1 offset:1808
	v_add_f64 v[137:138], v[137:138], v[147:148]
	s_waitcnt vmcnt(19) lgkmcnt(1)
	v_mul_f64 v[147:148], v[127:128], v[169:170]
	v_add_f64 v[6:7], v[6:7], v[133:134]
	s_waitcnt vmcnt(17)
	v_fma_f64 v[141:142], v[2:3], v[173:174], -v[141:142]
	v_mul_f64 v[133:134], v[125:126], v[169:170]
	;; [unrolled: 9-line block ×4, first 2 shown]
	v_fma_f64 v[131:132], v[131:132], v[181:182], v[143:144]
	s_waitcnt vmcnt(7) lgkmcnt(0)
	v_mul_f64 v[143:144], v[127:128], v[183:184]
	v_add_f64 v[137:138], v[137:138], v[147:148]
	s_waitcnt vmcnt(6)
	v_fma_f64 v[1:2], v[2:3], v[179:180], -v[141:142]
	v_add_f64 v[6:7], v[6:7], v[133:134]
	v_mul_f64 v[133:134], v[125:126], v[183:184]
	v_fma_f64 v[3:4], v[4:5], v[179:180], v[139:140]
	v_add_f64 v[129:130], v[137:138], v[129:130]
	v_add_f64 v[5:6], v[6:7], v[131:132]
	s_waitcnt vmcnt(4)
	v_fma_f64 v[7:8], v[125:126], v[186:187], -v[143:144]
	v_fma_f64 v[125:126], v[127:128], v[186:187], v[133:134]
	v_add_f64 v[1:2], v[129:130], v[1:2]
	v_add_f64 v[3:4], v[5:6], v[3:4]
	;; [unrolled: 1-line block ×4, first 2 shown]
	s_waitcnt vmcnt(2)
	v_add_f64 v[1:2], v[135:136], -v[1:2]
	s_waitcnt vmcnt(0)
	v_add_f64 v[3:4], v[192:193], -v[3:4]
	buffer_store_dword v2, off, s[0:3], 0 offset:708
	buffer_store_dword v1, off, s[0:3], 0 offset:704
	;; [unrolled: 1-line block ×4, first 2 shown]
	v_cmpx_lt_u32_e32 42, v0
	s_cbranch_execz .LBB121_277
; %bb.276:
	v_mov_b32_e32 v4, s27
	v_mov_b32_e32 v5, 0
	s_clause 0x3
	buffer_load_dword v1, v4, s[0:3], 0 offen
	buffer_load_dword v2, v4, s[0:3], 0 offen offset:4
	buffer_load_dword v3, v4, s[0:3], 0 offen offset:8
	;; [unrolled: 1-line block ×3, first 2 shown]
	buffer_store_dword v5, off, s[0:3], 0 offset:688
	buffer_store_dword v5, off, s[0:3], 0 offset:692
	;; [unrolled: 1-line block ×4, first 2 shown]
	s_waitcnt vmcnt(0)
	ds_write_b128 v185, v[1:4]
.LBB121_277:
	s_or_b32 exec_lo, exec_lo, s4
	s_waitcnt lgkmcnt(0)
	s_waitcnt_vscnt null, 0x0
	s_barrier
	buffer_gl0_inv
	s_clause 0x37
	buffer_load_dword v6, off, s[0:3], 0 offset:712
	buffer_load_dword v7, off, s[0:3], 0 offset:716
	;; [unrolled: 1-line block ×56, first 2 shown]
	v_mov_b32_e32 v1, 0
	s_mov_b32 s4, exec_lo
	ds_read_b128 v[2:5], v1 offset:1616
	s_clause 0x2
	buffer_load_dword v187, off, s[0:3], 0 offset:940
	buffer_load_dword v191, off, s[0:3], 0 offset:916
	;; [unrolled: 1-line block ×3, first 2 shown]
	ds_read_b128 v[125:128], v1 offset:1632
	ds_read_b128 v[129:132], v1 offset:1648
	buffer_load_dword v189, off, s[0:3], 0 offset:932
	s_waitcnt vmcnt(58) lgkmcnt(2)
	v_mul_f64 v[192:193], v[4:5], v[6:7]
	v_mul_f64 v[6:7], v[2:3], v[6:7]
	s_waitcnt vmcnt(56) lgkmcnt(1)
	v_mul_f64 v[194:195], v[127:128], v[133:134]
	v_mul_f64 v[133:134], v[125:126], v[133:134]
	s_waitcnt vmcnt(54)
	v_fma_f64 v[192:193], v[2:3], v[135:136], -v[192:193]
	v_fma_f64 v[6:7], v[4:5], v[135:136], v[6:7]
	s_waitcnt vmcnt(52) lgkmcnt(0)
	v_mul_f64 v[135:136], v[129:130], v[137:138]
	v_mul_f64 v[137:138], v[131:132], v[137:138]
	s_waitcnt vmcnt(50)
	v_fma_f64 v[194:195], v[125:126], v[139:140], -v[194:195]
	ds_read_b128 v[2:5], v1 offset:1664
	v_fma_f64 v[133:134], v[127:128], v[139:140], v[133:134]
	s_clause 0x3
	buffer_load_dword v139, off, s[0:3], 0 offset:688
	buffer_load_dword v140, off, s[0:3], 0 offset:692
	;; [unrolled: 1-line block ×4, first 2 shown]
	ds_read_b128 v[125:128], v1 offset:1680
	v_add_f64 v[192:193], v[192:193], 0
	v_add_f64 v[6:7], v[6:7], 0
	s_waitcnt vmcnt(48)
	v_fma_f64 v[135:136], v[131:132], v[147:148], v[135:136]
	s_waitcnt lgkmcnt(1)
	v_mul_f64 v[198:199], v[2:3], v[141:142]
	v_mul_f64 v[141:142], v[4:5], v[141:142]
	v_fma_f64 v[137:138], v[129:130], v[147:148], -v[137:138]
	ds_read_b128 v[129:132], v1 offset:1696
	v_add_f64 v[192:193], v[192:193], v[194:195]
	v_add_f64 v[6:7], v[6:7], v[133:134]
	s_waitcnt vmcnt(47) lgkmcnt(1)
	v_mul_f64 v[133:134], v[125:126], v[143:144]
	v_mul_f64 v[143:144], v[127:128], v[143:144]
	s_waitcnt vmcnt(45)
	v_fma_f64 v[141:142], v[2:3], v[149:150], -v[141:142]
	v_fma_f64 v[147:148], v[4:5], v[149:150], v[198:199]
	s_waitcnt vmcnt(41) lgkmcnt(0)
	v_mul_f64 v[149:150], v[131:132], v[151:152]
	ds_read_b128 v[2:5], v1 offset:1712
	v_add_f64 v[137:138], v[192:193], v[137:138]
	v_add_f64 v[6:7], v[6:7], v[135:136]
	v_mul_f64 v[135:136], v[129:130], v[151:152]
	s_waitcnt vmcnt(40)
	v_fma_f64 v[143:144], v[125:126], v[145:146], -v[143:144]
	v_fma_f64 v[133:134], v[127:128], v[145:146], v[133:134]
	ds_read_b128 v[125:128], v1 offset:1728
	s_waitcnt vmcnt(39) lgkmcnt(1)
	v_mul_f64 v[145:146], v[4:5], v[153:154]
	v_add_f64 v[137:138], v[137:138], v[141:142]
	v_add_f64 v[6:7], v[6:7], v[147:148]
	s_waitcnt vmcnt(37)
	v_fma_f64 v[147:148], v[129:130], v[157:158], -v[149:150]
	v_mul_f64 v[141:142], v[2:3], v[153:154]
	v_fma_f64 v[135:136], v[131:132], v[157:158], v[135:136]
	ds_read_b128 v[129:132], v1 offset:1744
	s_waitcnt vmcnt(32)
	v_fma_f64 v[145:146], v[2:3], v[155:156], -v[145:146]
	v_add_f64 v[137:138], v[137:138], v[143:144]
	v_add_f64 v[6:7], v[6:7], v[133:134]
	s_waitcnt lgkmcnt(1)
	v_mul_f64 v[143:144], v[127:128], v[159:160]
	v_mul_f64 v[133:134], v[125:126], v[159:160]
	v_fma_f64 v[141:142], v[4:5], v[155:156], v[141:142]
	ds_read_b128 v[2:5], v1 offset:1760
	v_add_f64 v[137:138], v[137:138], v[147:148]
	v_add_f64 v[6:7], v[6:7], v[135:136]
	s_waitcnt vmcnt(31) lgkmcnt(1)
	v_mul_f64 v[147:148], v[131:132], v[161:162]
	s_waitcnt vmcnt(29)
	v_fma_f64 v[143:144], v[125:126], v[165:166], -v[143:144]
	v_mul_f64 v[135:136], v[129:130], v[161:162]
	v_fma_f64 v[133:134], v[127:128], v[165:166], v[133:134]
	ds_read_b128 v[125:128], v1 offset:1776
	v_add_f64 v[137:138], v[137:138], v[145:146]
	v_add_f64 v[6:7], v[6:7], v[141:142]
	s_waitcnt vmcnt(25) lgkmcnt(1)
	v_mul_f64 v[145:146], v[4:5], v[167:168]
	s_waitcnt vmcnt(24)
	v_fma_f64 v[147:148], v[129:130], v[163:164], -v[147:148]
	v_mul_f64 v[141:142], v[2:3], v[167:168]
	v_fma_f64 v[135:136], v[131:132], v[163:164], v[135:136]
	ds_read_b128 v[129:132], v1 offset:1792
	v_add_f64 v[137:138], v[137:138], v[143:144]
	v_add_f64 v[6:7], v[6:7], v[133:134]
	s_waitcnt vmcnt(23) lgkmcnt(1)
	v_mul_f64 v[143:144], v[127:128], v[169:170]
	s_waitcnt vmcnt(21)
	v_fma_f64 v[145:146], v[2:3], v[173:174], -v[145:146]
	v_mul_f64 v[133:134], v[125:126], v[169:170]
	v_fma_f64 v[141:142], v[4:5], v[173:174], v[141:142]
	ds_read_b128 v[2:5], v1 offset:1808
	v_add_f64 v[137:138], v[137:138], v[147:148]
	v_add_f64 v[6:7], v[6:7], v[135:136]
	s_waitcnt vmcnt(17) lgkmcnt(1)
	v_mul_f64 v[147:148], v[131:132], v[175:176]
	s_waitcnt vmcnt(16)
	v_fma_f64 v[143:144], v[125:126], v[171:172], -v[143:144]
	v_mul_f64 v[135:136], v[129:130], v[175:176]
	v_fma_f64 v[133:134], v[127:128], v[171:172], v[133:134]
	ds_read_b128 v[125:128], v1 offset:1824
	v_add_f64 v[137:138], v[137:138], v[145:146]
	v_add_f64 v[6:7], v[6:7], v[141:142]
	s_waitcnt vmcnt(15) lgkmcnt(1)
	v_mul_f64 v[145:146], v[4:5], v[177:178]
	s_waitcnt vmcnt(13)
	v_fma_f64 v[147:148], v[129:130], v[181:182], -v[147:148]
	v_mul_f64 v[141:142], v[2:3], v[177:178]
	v_fma_f64 v[135:136], v[131:132], v[181:182], v[135:136]
	ds_read_b128 v[129:132], v1 offset:1840
	v_add_f64 v[137:138], v[137:138], v[143:144]
	v_add_f64 v[6:7], v[6:7], v[133:134]
	s_waitcnt vmcnt(9) lgkmcnt(1)
	v_mul_f64 v[143:144], v[127:128], v[183:184]
	s_waitcnt vmcnt(8)
	v_fma_f64 v[2:3], v[2:3], v[179:180], -v[145:146]
	v_mul_f64 v[133:134], v[125:126], v[183:184]
	v_fma_f64 v[4:5], v[4:5], v[179:180], v[141:142]
	s_waitcnt vmcnt(7) lgkmcnt(0)
	v_mul_f64 v[141:142], v[131:132], v[186:187]
	v_add_f64 v[137:138], v[137:138], v[147:148]
	v_add_f64 v[6:7], v[6:7], v[135:136]
	s_waitcnt vmcnt(5)
	v_fma_f64 v[125:126], v[125:126], v[190:191], -v[143:144]
	v_mul_f64 v[135:136], v[129:130], v[186:187]
	v_fma_f64 v[127:128], v[127:128], v[190:191], v[133:134]
	v_add_f64 v[2:3], v[137:138], v[2:3]
	v_add_f64 v[4:5], v[6:7], v[4:5]
	s_waitcnt vmcnt(4)
	v_fma_f64 v[6:7], v[129:130], v[188:189], -v[141:142]
	v_add_f64 v[2:3], v[2:3], v[125:126]
	v_fma_f64 v[125:126], v[131:132], v[188:189], v[135:136]
	v_add_f64 v[4:5], v[4:5], v[127:128]
	v_add_f64 v[2:3], v[2:3], v[6:7]
	;; [unrolled: 1-line block ×3, first 2 shown]
	s_waitcnt vmcnt(2)
	v_add_f64 v[2:3], v[139:140], -v[2:3]
	s_waitcnt vmcnt(0)
	v_add_f64 v[4:5], v[196:197], -v[4:5]
	buffer_store_dword v3, off, s[0:3], 0 offset:692
	buffer_store_dword v2, off, s[0:3], 0 offset:688
	;; [unrolled: 1-line block ×4, first 2 shown]
	v_cmpx_lt_u32_e32 41, v0
	s_cbranch_execz .LBB121_279
; %bb.278:
	v_mov_b32_e32 v5, s28
	s_clause 0x3
	buffer_load_dword v2, v5, s[0:3], 0 offen
	buffer_load_dword v3, v5, s[0:3], 0 offen offset:4
	buffer_load_dword v4, v5, s[0:3], 0 offen offset:8
	;; [unrolled: 1-line block ×3, first 2 shown]
	buffer_store_dword v1, off, s[0:3], 0 offset:672
	buffer_store_dword v1, off, s[0:3], 0 offset:676
	buffer_store_dword v1, off, s[0:3], 0 offset:680
	buffer_store_dword v1, off, s[0:3], 0 offset:684
	s_waitcnt vmcnt(0)
	ds_write_b128 v185, v[2:5]
.LBB121_279:
	s_or_b32 exec_lo, exec_lo, s4
	s_waitcnt lgkmcnt(0)
	s_waitcnt_vscnt null, 0x0
	s_barrier
	buffer_gl0_inv
	s_clause 0x37
	buffer_load_dword v6, off, s[0:3], 0 offset:696
	buffer_load_dword v7, off, s[0:3], 0 offset:700
	;; [unrolled: 1-line block ×56, first 2 shown]
	ds_read_b128 v[2:5], v1 offset:1600
	s_clause 0x2
	buffer_load_dword v187, off, s[0:3], 0 offset:924
	buffer_load_dword v191, off, s[0:3], 0 offset:900
	;; [unrolled: 1-line block ×3, first 2 shown]
	ds_read_b128 v[125:128], v1 offset:1616
	s_clause 0x2
	buffer_load_dword v195, off, s[0:3], 0 offset:940
	buffer_load_dword v194, off, s[0:3], 0 offset:936
	;; [unrolled: 1-line block ×3, first 2 shown]
	ds_read_b128 v[129:132], v1 offset:1632
	s_mov_b32 s4, exec_lo
	s_waitcnt vmcnt(60) lgkmcnt(2)
	v_mul_f64 v[192:193], v[4:5], v[6:7]
	v_mul_f64 v[6:7], v[2:3], v[6:7]
	s_waitcnt vmcnt(58) lgkmcnt(1)
	v_mul_f64 v[196:197], v[127:128], v[133:134]
	v_mul_f64 v[133:134], v[125:126], v[133:134]
	;; [unrolled: 3-line block ×3, first 2 shown]
	v_fma_f64 v[192:193], v[2:3], v[135:136], -v[192:193]
	v_fma_f64 v[6:7], v[4:5], v[135:136], v[6:7]
	s_clause 0x1
	buffer_load_dword v136, off, s[0:3], 0 offset:932
	buffer_load_dword v135, off, s[0:3], 0 offset:928
	s_waitcnt vmcnt(54)
	v_fma_f64 v[196:197], v[125:126], v[139:140], -v[196:197]
	ds_read_b128 v[2:5], v1 offset:1648
	v_fma_f64 v[133:134], v[127:128], v[139:140], v[133:134]
	ds_read_b128 v[125:128], v1 offset:1664
	s_waitcnt vmcnt(48)
	v_fma_f64 v[137:138], v[129:130], v[147:148], -v[137:138]
	v_fma_f64 v[147:148], v[131:132], v[147:148], v[198:199]
	v_add_f64 v[192:193], v[192:193], 0
	v_add_f64 v[6:7], v[6:7], 0
	s_waitcnt lgkmcnt(1)
	v_mul_f64 v[139:140], v[2:3], v[141:142]
	v_mul_f64 v[141:142], v[4:5], v[141:142]
	s_waitcnt vmcnt(47) lgkmcnt(0)
	v_mul_f64 v[198:199], v[125:126], v[143:144]
	v_mul_f64 v[143:144], v[127:128], v[143:144]
	v_add_f64 v[192:193], v[192:193], v[196:197]
	v_add_f64 v[6:7], v[6:7], v[133:134]
	s_clause 0x3
	buffer_load_dword v133, off, s[0:3], 0 offset:672
	buffer_load_dword v134, off, s[0:3], 0 offset:676
	;; [unrolled: 1-line block ×4, first 2 shown]
	s_waitcnt vmcnt(49)
	v_fma_f64 v[141:142], v[2:3], v[149:150], -v[141:142]
	ds_read_b128 v[129:132], v1 offset:1680
	v_fma_f64 v[139:140], v[4:5], v[149:150], v[139:140]
	ds_read_b128 v[2:5], v1 offset:1696
	s_waitcnt vmcnt(44)
	v_fma_f64 v[143:144], v[125:126], v[145:146], -v[143:144]
	v_add_f64 v[137:138], v[192:193], v[137:138]
	v_add_f64 v[6:7], v[6:7], v[147:148]
	s_waitcnt lgkmcnt(1)
	v_mul_f64 v[149:150], v[131:132], v[151:152]
	v_mul_f64 v[147:148], v[129:130], v[151:152]
	v_add_f64 v[137:138], v[137:138], v[141:142]
	v_fma_f64 v[141:142], v[127:128], v[145:146], v[198:199]
	v_add_f64 v[6:7], v[6:7], v[139:140]
	s_waitcnt vmcnt(43) lgkmcnt(0)
	v_mul_f64 v[145:146], v[4:5], v[153:154]
	s_waitcnt vmcnt(41)
	v_fma_f64 v[149:150], v[129:130], v[157:158], -v[149:150]
	ds_read_b128 v[125:128], v1 offset:1712
	v_mul_f64 v[139:140], v[2:3], v[153:154]
	v_add_f64 v[137:138], v[137:138], v[143:144]
	v_fma_f64 v[143:144], v[131:132], v[157:158], v[147:148]
	v_add_f64 v[6:7], v[6:7], v[141:142]
	ds_read_b128 v[129:132], v1 offset:1728
	s_waitcnt vmcnt(37) lgkmcnt(1)
	v_mul_f64 v[147:148], v[127:128], v[159:160]
	s_waitcnt vmcnt(36)
	v_fma_f64 v[145:146], v[2:3], v[155:156], -v[145:146]
	v_mul_f64 v[141:142], v[125:126], v[159:160]
	v_fma_f64 v[139:140], v[4:5], v[155:156], v[139:140]
	ds_read_b128 v[2:5], v1 offset:1744
	v_add_f64 v[137:138], v[137:138], v[149:150]
	s_waitcnt vmcnt(35) lgkmcnt(1)
	v_mul_f64 v[149:150], v[131:132], v[161:162]
	v_add_f64 v[6:7], v[6:7], v[143:144]
	v_mul_f64 v[143:144], v[129:130], v[161:162]
	s_waitcnt vmcnt(33)
	v_fma_f64 v[147:148], v[125:126], v[165:166], -v[147:148]
	v_fma_f64 v[141:142], v[127:128], v[165:166], v[141:142]
	ds_read_b128 v[125:128], v1 offset:1760
	v_add_f64 v[137:138], v[137:138], v[145:146]
	s_waitcnt vmcnt(29) lgkmcnt(1)
	v_mul_f64 v[145:146], v[4:5], v[167:168]
	v_add_f64 v[6:7], v[6:7], v[139:140]
	s_waitcnt vmcnt(28)
	v_fma_f64 v[149:150], v[129:130], v[163:164], -v[149:150]
	v_mul_f64 v[139:140], v[2:3], v[167:168]
	v_fma_f64 v[143:144], v[131:132], v[163:164], v[143:144]
	ds_read_b128 v[129:132], v1 offset:1776
	v_add_f64 v[137:138], v[137:138], v[147:148]
	s_waitcnt vmcnt(27) lgkmcnt(1)
	v_mul_f64 v[147:148], v[127:128], v[169:170]
	v_add_f64 v[6:7], v[6:7], v[141:142]
	s_waitcnt vmcnt(25)
	v_fma_f64 v[145:146], v[2:3], v[173:174], -v[145:146]
	v_mul_f64 v[141:142], v[125:126], v[169:170]
	;; [unrolled: 9-line block ×5, first 2 shown]
	v_fma_f64 v[139:140], v[4:5], v[179:180], v[139:140]
	ds_read_b128 v[1:4], v1 offset:1840
	v_add_f64 v[137:138], v[137:138], v[149:150]
	s_waitcnt vmcnt(9)
	v_fma_f64 v[125:126], v[125:126], v[190:191], -v[147:148]
	v_add_f64 v[5:6], v[6:7], v[143:144]
	s_waitcnt lgkmcnt(1)
	v_mul_f64 v[143:144], v[131:132], v[186:187]
	v_mul_f64 v[7:8], v[129:130], v[186:187]
	v_fma_f64 v[127:128], v[127:128], v[190:191], v[141:142]
	s_waitcnt vmcnt(7) lgkmcnt(0)
	v_mul_f64 v[141:142], v[3:4], v[194:195]
	v_add_f64 v[137:138], v[137:138], v[145:146]
	v_add_f64 v[5:6], v[5:6], v[139:140]
	s_waitcnt vmcnt(6)
	v_fma_f64 v[129:130], v[129:130], v[188:189], -v[143:144]
	v_mul_f64 v[139:140], v[1:2], v[194:195]
	v_fma_f64 v[7:8], v[131:132], v[188:189], v[7:8]
	v_add_f64 v[125:126], v[137:138], v[125:126]
	v_add_f64 v[5:6], v[5:6], v[127:128]
	s_waitcnt vmcnt(4)
	v_fma_f64 v[1:2], v[1:2], v[135:136], -v[141:142]
	v_fma_f64 v[3:4], v[3:4], v[135:136], v[139:140]
	v_add_f64 v[125:126], v[125:126], v[129:130]
	v_add_f64 v[5:6], v[5:6], v[7:8]
	;; [unrolled: 1-line block ×4, first 2 shown]
	s_waitcnt vmcnt(2)
	v_add_f64 v[1:2], v[133:134], -v[1:2]
	s_waitcnt vmcnt(0)
	v_add_f64 v[3:4], v[196:197], -v[3:4]
	buffer_store_dword v2, off, s[0:3], 0 offset:676
	buffer_store_dword v1, off, s[0:3], 0 offset:672
	;; [unrolled: 1-line block ×4, first 2 shown]
	v_cmpx_lt_u32_e32 40, v0
	s_cbranch_execz .LBB121_281
; %bb.280:
	v_mov_b32_e32 v4, s29
	v_mov_b32_e32 v5, 0
	s_clause 0x3
	buffer_load_dword v1, v4, s[0:3], 0 offen
	buffer_load_dword v2, v4, s[0:3], 0 offen offset:4
	buffer_load_dword v3, v4, s[0:3], 0 offen offset:8
	;; [unrolled: 1-line block ×3, first 2 shown]
	buffer_store_dword v5, off, s[0:3], 0 offset:656
	buffer_store_dword v5, off, s[0:3], 0 offset:660
	;; [unrolled: 1-line block ×4, first 2 shown]
	s_waitcnt vmcnt(0)
	ds_write_b128 v185, v[1:4]
.LBB121_281:
	s_or_b32 exec_lo, exec_lo, s4
	s_waitcnt lgkmcnt(0)
	s_waitcnt_vscnt null, 0x0
	s_barrier
	buffer_gl0_inv
	s_clause 0x37
	buffer_load_dword v6, off, s[0:3], 0 offset:680
	buffer_load_dword v7, off, s[0:3], 0 offset:684
	;; [unrolled: 1-line block ×56, first 2 shown]
	v_mov_b32_e32 v1, 0
	s_mov_b32 s4, exec_lo
	ds_read_b128 v[2:5], v1 offset:1584
	s_clause 0x2
	buffer_load_dword v187, off, s[0:3], 0 offset:908
	buffer_load_dword v191, off, s[0:3], 0 offset:884
	;; [unrolled: 1-line block ×3, first 2 shown]
	ds_read_b128 v[125:128], v1 offset:1600
	s_clause 0x4
	buffer_load_dword v195, off, s[0:3], 0 offset:924
	buffer_load_dword v196, off, s[0:3], 0 offset:936
	;; [unrolled: 1-line block ×5, first 2 shown]
	ds_read_b128 v[129:132], v1 offset:1616
	s_waitcnt vmcnt(62) lgkmcnt(2)
	v_mul_f64 v[192:193], v[4:5], v[6:7]
	v_mul_f64 v[6:7], v[2:3], v[6:7]
	s_waitcnt vmcnt(60) lgkmcnt(1)
	v_mul_f64 v[199:200], v[127:128], v[133:134]
	v_mul_f64 v[133:134], v[125:126], v[133:134]
	;; [unrolled: 3-line block ×3, first 2 shown]
	v_fma_f64 v[192:193], v[2:3], v[135:136], -v[192:193]
	v_fma_f64 v[6:7], v[4:5], v[135:136], v[6:7]
	s_clause 0x2
	buffer_load_dword v197, off, s[0:3], 0 offset:940
	buffer_load_dword v136, off, s[0:3], 0 offset:916
	;; [unrolled: 1-line block ×3, first 2 shown]
	s_waitcnt vmcnt(57)
	v_fma_f64 v[203:204], v[125:126], v[139:140], -v[199:200]
	ds_read_b128 v[2:5], v1 offset:1632
	v_fma_f64 v[133:134], v[127:128], v[139:140], v[133:134]
	buffer_load_dword v199, off, s[0:3], 0 offset:932
	ds_read_b128 v[125:128], v1 offset:1648
	s_waitcnt vmcnt(52)
	v_fma_f64 v[137:138], v[129:130], v[147:148], -v[137:138]
	v_fma_f64 v[147:148], v[131:132], v[147:148], v[201:202]
	ds_read_b128 v[129:132], v1 offset:1664
	v_add_f64 v[192:193], v[192:193], 0
	v_add_f64 v[6:7], v[6:7], 0
	s_waitcnt lgkmcnt(2)
	v_mul_f64 v[139:140], v[2:3], v[141:142]
	v_mul_f64 v[141:142], v[4:5], v[141:142]
	v_add_f64 v[192:193], v[192:193], v[203:204]
	v_add_f64 v[6:7], v[6:7], v[133:134]
	s_waitcnt vmcnt(51) lgkmcnt(1)
	v_mul_f64 v[133:134], v[125:126], v[143:144]
	v_mul_f64 v[143:144], v[127:128], v[143:144]
	s_waitcnt vmcnt(49)
	v_fma_f64 v[141:142], v[2:3], v[149:150], -v[141:142]
	v_fma_f64 v[139:140], v[4:5], v[149:150], v[139:140]
	v_add_f64 v[137:138], v[192:193], v[137:138]
	v_add_f64 v[6:7], v[6:7], v[147:148]
	s_clause 0x3
	buffer_load_dword v147, off, s[0:3], 0 offset:656
	buffer_load_dword v148, off, s[0:3], 0 offset:660
	;; [unrolled: 1-line block ×4, first 2 shown]
	s_waitcnt vmcnt(49) lgkmcnt(0)
	v_mul_f64 v[192:193], v[129:130], v[151:152]
	v_mul_f64 v[151:152], v[131:132], v[151:152]
	s_waitcnt vmcnt(48)
	v_fma_f64 v[143:144], v[125:126], v[145:146], -v[143:144]
	ds_read_b128 v[2:5], v1 offset:1680
	v_fma_f64 v[133:134], v[127:128], v[145:146], v[133:134]
	ds_read_b128 v[125:128], v1 offset:1696
	v_add_f64 v[137:138], v[137:138], v[141:142]
	v_add_f64 v[6:7], v[6:7], v[139:140]
	s_waitcnt vmcnt(47) lgkmcnt(1)
	v_mul_f64 v[141:142], v[4:5], v[153:154]
	s_waitcnt vmcnt(45)
	v_fma_f64 v[145:146], v[129:130], v[157:158], -v[151:152]
	v_mul_f64 v[139:140], v[2:3], v[153:154]
	s_waitcnt vmcnt(41) lgkmcnt(0)
	v_mul_f64 v[151:152], v[127:128], v[159:160]
	v_add_f64 v[137:138], v[137:138], v[143:144]
	v_fma_f64 v[143:144], v[131:132], v[157:158], v[192:193]
	v_add_f64 v[6:7], v[6:7], v[133:134]
	ds_read_b128 v[129:132], v1 offset:1712
	s_waitcnt vmcnt(40)
	v_fma_f64 v[141:142], v[2:3], v[155:156], -v[141:142]
	v_mul_f64 v[133:134], v[125:126], v[159:160]
	v_fma_f64 v[139:140], v[4:5], v[155:156], v[139:140]
	ds_read_b128 v[2:5], v1 offset:1728
	s_waitcnt vmcnt(37)
	v_fma_f64 v[151:152], v[125:126], v[165:166], -v[151:152]
	v_add_f64 v[137:138], v[137:138], v[145:146]
	s_waitcnt lgkmcnt(1)
	v_mul_f64 v[145:146], v[131:132], v[161:162]
	v_add_f64 v[6:7], v[6:7], v[143:144]
	v_mul_f64 v[143:144], v[129:130], v[161:162]
	v_fma_f64 v[133:134], v[127:128], v[165:166], v[133:134]
	ds_read_b128 v[125:128], v1 offset:1744
	v_add_f64 v[137:138], v[137:138], v[141:142]
	s_waitcnt vmcnt(33) lgkmcnt(1)
	v_mul_f64 v[141:142], v[4:5], v[167:168]
	v_add_f64 v[6:7], v[6:7], v[139:140]
	s_waitcnt vmcnt(32)
	v_fma_f64 v[145:146], v[129:130], v[163:164], -v[145:146]
	v_mul_f64 v[139:140], v[2:3], v[167:168]
	v_fma_f64 v[143:144], v[131:132], v[163:164], v[143:144]
	ds_read_b128 v[129:132], v1 offset:1760
	v_add_f64 v[137:138], v[137:138], v[151:152]
	s_waitcnt vmcnt(31) lgkmcnt(1)
	v_mul_f64 v[151:152], v[127:128], v[169:170]
	v_add_f64 v[6:7], v[6:7], v[133:134]
	s_waitcnt vmcnt(29)
	v_fma_f64 v[141:142], v[2:3], v[173:174], -v[141:142]
	;; [unrolled: 9-line block ×7, first 2 shown]
	v_mul_f64 v[139:140], v[2:3], v[194:195]
	v_fma_f64 v[131:132], v[131:132], v[188:189], v[143:144]
	v_add_f64 v[137:138], v[137:138], v[151:152]
	v_add_f64 v[6:7], v[6:7], v[133:134]
	s_waitcnt vmcnt(7) lgkmcnt(0)
	v_mul_f64 v[143:144], v[127:128], v[196:197]
	v_mul_f64 v[133:134], v[125:126], v[196:197]
	s_waitcnt vmcnt(5)
	v_fma_f64 v[2:3], v[2:3], v[135:136], -v[141:142]
	v_fma_f64 v[4:5], v[4:5], v[135:136], v[139:140]
	v_add_f64 v[129:130], v[137:138], v[129:130]
	v_add_f64 v[6:7], v[6:7], v[131:132]
	s_waitcnt vmcnt(4)
	v_fma_f64 v[125:126], v[125:126], v[198:199], -v[143:144]
	v_fma_f64 v[127:128], v[127:128], v[198:199], v[133:134]
	v_add_f64 v[2:3], v[129:130], v[2:3]
	v_add_f64 v[4:5], v[6:7], v[4:5]
	;; [unrolled: 1-line block ×4, first 2 shown]
	s_waitcnt vmcnt(2)
	v_add_f64 v[2:3], v[147:148], -v[2:3]
	s_waitcnt vmcnt(0)
	v_add_f64 v[4:5], v[149:150], -v[4:5]
	buffer_store_dword v3, off, s[0:3], 0 offset:660
	buffer_store_dword v2, off, s[0:3], 0 offset:656
	;; [unrolled: 1-line block ×4, first 2 shown]
	v_cmpx_lt_u32_e32 39, v0
	s_cbranch_execz .LBB121_283
; %bb.282:
	v_mov_b32_e32 v5, s30
	s_clause 0x3
	buffer_load_dword v2, v5, s[0:3], 0 offen
	buffer_load_dword v3, v5, s[0:3], 0 offen offset:4
	buffer_load_dword v4, v5, s[0:3], 0 offen offset:8
	;; [unrolled: 1-line block ×3, first 2 shown]
	buffer_store_dword v1, off, s[0:3], 0 offset:640
	buffer_store_dword v1, off, s[0:3], 0 offset:644
	;; [unrolled: 1-line block ×4, first 2 shown]
	s_waitcnt vmcnt(0)
	ds_write_b128 v185, v[2:5]
.LBB121_283:
	s_or_b32 exec_lo, exec_lo, s4
	s_waitcnt lgkmcnt(0)
	s_waitcnt_vscnt null, 0x0
	s_barrier
	buffer_gl0_inv
	s_clause 0x37
	buffer_load_dword v6, off, s[0:3], 0 offset:664
	buffer_load_dword v7, off, s[0:3], 0 offset:668
	;; [unrolled: 1-line block ×56, first 2 shown]
	ds_read_b128 v[2:5], v1 offset:1568
	s_clause 0x2
	buffer_load_dword v187, off, s[0:3], 0 offset:892
	buffer_load_dword v191, off, s[0:3], 0 offset:868
	;; [unrolled: 1-line block ×3, first 2 shown]
	ds_read_b128 v[125:128], v1 offset:1584
	s_clause 0x4
	buffer_load_dword v195, off, s[0:3], 0 offset:908
	buffer_load_dword v196, off, s[0:3], 0 offset:920
	;; [unrolled: 1-line block ×5, first 2 shown]
	ds_read_b128 v[129:132], v1 offset:1600
	s_mov_b32 s4, exec_lo
	s_waitcnt vmcnt(62) lgkmcnt(2)
	v_mul_f64 v[192:193], v[4:5], v[6:7]
	v_mul_f64 v[6:7], v[2:3], v[6:7]
	s_waitcnt vmcnt(60) lgkmcnt(1)
	v_mul_f64 v[199:200], v[127:128], v[133:134]
	v_mul_f64 v[133:134], v[125:126], v[133:134]
	;; [unrolled: 3-line block ×3, first 2 shown]
	v_fma_f64 v[192:193], v[2:3], v[135:136], -v[192:193]
	v_fma_f64 v[6:7], v[4:5], v[135:136], v[6:7]
	s_clause 0x2
	buffer_load_dword v197, off, s[0:3], 0 offset:924
	buffer_load_dword v136, off, s[0:3], 0 offset:900
	;; [unrolled: 1-line block ×3, first 2 shown]
	s_waitcnt vmcnt(57)
	v_fma_f64 v[203:204], v[125:126], v[139:140], -v[199:200]
	ds_read_b128 v[2:5], v1 offset:1616
	v_fma_f64 v[133:134], v[127:128], v[139:140], v[133:134]
	s_clause 0x2
	buffer_load_dword v140, off, s[0:3], 0 offset:940
	buffer_load_dword v139, off, s[0:3], 0 offset:936
	;; [unrolled: 1-line block ×3, first 2 shown]
	s_waitcnt vmcnt(54)
	v_fma_f64 v[137:138], v[129:130], v[147:148], -v[137:138]
	ds_read_b128 v[125:128], v1 offset:1632
	v_fma_f64 v[147:148], v[131:132], v[147:148], v[201:202]
	v_add_f64 v[192:193], v[192:193], 0
	v_add_f64 v[6:7], v[6:7], 0
	s_waitcnt lgkmcnt(1)
	v_mul_f64 v[205:206], v[2:3], v[141:142]
	v_mul_f64 v[141:142], v[4:5], v[141:142]
	s_waitcnt vmcnt(53) lgkmcnt(0)
	v_mul_f64 v[200:201], v[125:126], v[143:144]
	v_mul_f64 v[143:144], v[127:128], v[143:144]
	v_add_f64 v[192:193], v[192:193], v[203:204]
	v_add_f64 v[6:7], v[6:7], v[133:134]
	s_clause 0x1
	buffer_load_dword v134, off, s[0:3], 0 offset:932
	buffer_load_dword v133, off, s[0:3], 0 offset:928
	s_waitcnt vmcnt(53)
	v_fma_f64 v[141:142], v[2:3], v[149:150], -v[141:142]
	ds_read_b128 v[129:132], v1 offset:1648
	v_fma_f64 v[149:150], v[4:5], v[149:150], v[205:206]
	ds_read_b128 v[2:5], v1 offset:1664
	s_waitcnt vmcnt(48)
	v_fma_f64 v[143:144], v[125:126], v[145:146], -v[143:144]
	v_add_f64 v[137:138], v[192:193], v[137:138]
	v_add_f64 v[6:7], v[6:7], v[147:148]
	s_waitcnt lgkmcnt(1)
	v_mul_f64 v[147:148], v[129:130], v[151:152]
	v_mul_f64 v[151:152], v[131:132], v[151:152]
	s_waitcnt vmcnt(47) lgkmcnt(0)
	v_mul_f64 v[192:193], v[2:3], v[153:154]
	v_mul_f64 v[153:154], v[4:5], v[153:154]
	v_add_f64 v[137:138], v[137:138], v[141:142]
	v_fma_f64 v[141:142], v[127:128], v[145:146], v[200:201]
	v_add_f64 v[6:7], v[6:7], v[149:150]
	s_clause 0x3
	buffer_load_dword v145, off, s[0:3], 0 offset:640
	buffer_load_dword v146, off, s[0:3], 0 offset:644
	;; [unrolled: 1-line block ×4, first 2 shown]
	s_waitcnt vmcnt(49)
	v_fma_f64 v[151:152], v[129:130], v[157:158], -v[151:152]
	ds_read_b128 v[125:128], v1 offset:1680
	s_waitcnt vmcnt(44)
	v_fma_f64 v[153:154], v[2:3], v[155:156], -v[153:154]
	v_add_f64 v[137:138], v[137:138], v[143:144]
	v_fma_f64 v[143:144], v[131:132], v[157:158], v[147:148]
	v_add_f64 v[6:7], v[6:7], v[141:142]
	ds_read_b128 v[129:132], v1 offset:1696
	s_waitcnt lgkmcnt(1)
	v_mul_f64 v[147:148], v[127:128], v[159:160]
	v_mul_f64 v[141:142], v[125:126], v[159:160]
	v_add_f64 v[137:138], v[137:138], v[151:152]
	v_fma_f64 v[151:152], v[4:5], v[155:156], v[192:193]
	v_add_f64 v[6:7], v[6:7], v[143:144]
	s_waitcnt vmcnt(43) lgkmcnt(0)
	v_mul_f64 v[155:156], v[131:132], v[161:162]
	s_waitcnt vmcnt(41)
	v_fma_f64 v[147:148], v[125:126], v[165:166], -v[147:148]
	ds_read_b128 v[2:5], v1 offset:1712
	v_mul_f64 v[143:144], v[129:130], v[161:162]
	v_fma_f64 v[141:142], v[127:128], v[165:166], v[141:142]
	ds_read_b128 v[125:128], v1 offset:1728
	v_add_f64 v[137:138], v[137:138], v[153:154]
	v_add_f64 v[6:7], v[6:7], v[151:152]
	s_waitcnt vmcnt(37) lgkmcnt(1)
	v_mul_f64 v[153:154], v[4:5], v[167:168]
	s_waitcnt vmcnt(36)
	v_fma_f64 v[155:156], v[129:130], v[163:164], -v[155:156]
	v_mul_f64 v[151:152], v[2:3], v[167:168]
	v_fma_f64 v[143:144], v[131:132], v[163:164], v[143:144]
	ds_read_b128 v[129:132], v1 offset:1744
	v_add_f64 v[137:138], v[137:138], v[147:148]
	s_waitcnt vmcnt(35) lgkmcnt(1)
	v_mul_f64 v[147:148], v[127:128], v[169:170]
	v_add_f64 v[6:7], v[6:7], v[141:142]
	s_waitcnt vmcnt(33)
	v_fma_f64 v[153:154], v[2:3], v[173:174], -v[153:154]
	v_mul_f64 v[141:142], v[125:126], v[169:170]
	v_fma_f64 v[151:152], v[4:5], v[173:174], v[151:152]
	ds_read_b128 v[2:5], v1 offset:1760
	v_add_f64 v[137:138], v[137:138], v[155:156]
	s_waitcnt vmcnt(29) lgkmcnt(1)
	v_mul_f64 v[155:156], v[131:132], v[175:176]
	v_add_f64 v[6:7], v[6:7], v[143:144]
	s_waitcnt vmcnt(28)
	v_fma_f64 v[147:148], v[125:126], v[171:172], -v[147:148]
	v_mul_f64 v[143:144], v[129:130], v[175:176]
	v_fma_f64 v[141:142], v[127:128], v[171:172], v[141:142]
	ds_read_b128 v[125:128], v1 offset:1776
	v_add_f64 v[137:138], v[137:138], v[153:154]
	s_waitcnt vmcnt(27) lgkmcnt(1)
	v_mul_f64 v[153:154], v[4:5], v[177:178]
	v_add_f64 v[6:7], v[6:7], v[151:152]
	s_waitcnt vmcnt(25)
	v_fma_f64 v[155:156], v[129:130], v[181:182], -v[155:156]
	v_mul_f64 v[151:152], v[2:3], v[177:178]
	v_fma_f64 v[143:144], v[131:132], v[181:182], v[143:144]
	ds_read_b128 v[129:132], v1 offset:1792
	v_add_f64 v[137:138], v[137:138], v[147:148]
	s_waitcnt vmcnt(21) lgkmcnt(1)
	v_mul_f64 v[147:148], v[127:128], v[183:184]
	v_add_f64 v[6:7], v[6:7], v[141:142]
	s_waitcnt vmcnt(20)
	v_fma_f64 v[153:154], v[2:3], v[179:180], -v[153:154]
	v_mul_f64 v[141:142], v[125:126], v[183:184]
	v_fma_f64 v[151:152], v[4:5], v[179:180], v[151:152]
	ds_read_b128 v[2:5], v1 offset:1808
	v_add_f64 v[137:138], v[137:138], v[155:156]
	s_waitcnt vmcnt(19) lgkmcnt(1)
	v_mul_f64 v[155:156], v[131:132], v[186:187]
	v_add_f64 v[6:7], v[6:7], v[143:144]
	s_waitcnt vmcnt(17)
	v_fma_f64 v[147:148], v[125:126], v[190:191], -v[147:148]
	v_mul_f64 v[143:144], v[129:130], v[186:187]
	v_fma_f64 v[141:142], v[127:128], v[190:191], v[141:142]
	ds_read_b128 v[125:128], v1 offset:1824
	v_add_f64 v[137:138], v[137:138], v[153:154]
	s_waitcnt vmcnt(13) lgkmcnt(1)
	v_mul_f64 v[153:154], v[4:5], v[194:195]
	v_add_f64 v[6:7], v[6:7], v[151:152]
	s_waitcnt vmcnt(12)
	v_fma_f64 v[155:156], v[129:130], v[188:189], -v[155:156]
	v_mul_f64 v[151:152], v[2:3], v[194:195]
	v_fma_f64 v[143:144], v[131:132], v[188:189], v[143:144]
	ds_read_b128 v[129:132], v1 offset:1840
	v_add_f64 v[137:138], v[137:138], v[147:148]
	v_add_f64 v[6:7], v[6:7], v[141:142]
	s_waitcnt vmcnt(11) lgkmcnt(1)
	v_mul_f64 v[147:148], v[127:128], v[196:197]
	v_mul_f64 v[141:142], v[125:126], v[196:197]
	s_waitcnt vmcnt(9)
	v_fma_f64 v[1:2], v[2:3], v[135:136], -v[153:154]
	v_fma_f64 v[3:4], v[4:5], v[135:136], v[151:152]
	s_waitcnt vmcnt(7) lgkmcnt(0)
	v_mul_f64 v[135:136], v[131:132], v[139:140]
	v_add_f64 v[137:138], v[137:138], v[155:156]
	v_add_f64 v[5:6], v[6:7], v[143:144]
	v_mul_f64 v[7:8], v[129:130], v[139:140]
	s_waitcnt vmcnt(6)
	v_fma_f64 v[125:126], v[125:126], v[198:199], -v[147:148]
	v_fma_f64 v[127:128], v[127:128], v[198:199], v[141:142]
	v_add_f64 v[1:2], v[137:138], v[1:2]
	v_add_f64 v[3:4], v[5:6], v[3:4]
	s_waitcnt vmcnt(4)
	v_fma_f64 v[5:6], v[129:130], v[133:134], -v[135:136]
	v_fma_f64 v[7:8], v[131:132], v[133:134], v[7:8]
	v_add_f64 v[1:2], v[1:2], v[125:126]
	v_add_f64 v[3:4], v[3:4], v[127:128]
	;; [unrolled: 1-line block ×4, first 2 shown]
	s_waitcnt vmcnt(2)
	v_add_f64 v[1:2], v[145:146], -v[1:2]
	s_waitcnt vmcnt(0)
	v_add_f64 v[3:4], v[149:150], -v[3:4]
	buffer_store_dword v2, off, s[0:3], 0 offset:644
	buffer_store_dword v1, off, s[0:3], 0 offset:640
	;; [unrolled: 1-line block ×4, first 2 shown]
	v_cmpx_lt_u32_e32 38, v0
	s_cbranch_execz .LBB121_285
; %bb.284:
	v_mov_b32_e32 v4, s31
	v_mov_b32_e32 v5, 0
	s_clause 0x3
	buffer_load_dword v1, v4, s[0:3], 0 offen
	buffer_load_dword v2, v4, s[0:3], 0 offen offset:4
	buffer_load_dword v3, v4, s[0:3], 0 offen offset:8
	;; [unrolled: 1-line block ×3, first 2 shown]
	buffer_store_dword v5, off, s[0:3], 0 offset:624
	buffer_store_dword v5, off, s[0:3], 0 offset:628
	;; [unrolled: 1-line block ×4, first 2 shown]
	s_waitcnt vmcnt(0)
	ds_write_b128 v185, v[1:4]
.LBB121_285:
	s_or_b32 exec_lo, exec_lo, s4
	s_waitcnt lgkmcnt(0)
	s_waitcnt_vscnt null, 0x0
	s_barrier
	buffer_gl0_inv
	s_clause 0x37
	buffer_load_dword v6, off, s[0:3], 0 offset:648
	buffer_load_dword v7, off, s[0:3], 0 offset:652
	;; [unrolled: 1-line block ×56, first 2 shown]
	v_mov_b32_e32 v1, 0
	s_mov_b32 s4, exec_lo
	ds_read_b128 v[2:5], v1 offset:1552
	s_clause 0x2
	buffer_load_dword v187, off, s[0:3], 0 offset:876
	buffer_load_dword v191, off, s[0:3], 0 offset:852
	;; [unrolled: 1-line block ×3, first 2 shown]
	ds_read_b128 v[125:128], v1 offset:1568
	s_clause 0x4
	buffer_load_dword v195, off, s[0:3], 0 offset:892
	buffer_load_dword v196, off, s[0:3], 0 offset:904
	;; [unrolled: 1-line block ×5, first 2 shown]
	ds_read_b128 v[129:132], v1 offset:1584
	s_waitcnt vmcnt(62) lgkmcnt(2)
	v_mul_f64 v[192:193], v[4:5], v[6:7]
	v_mul_f64 v[6:7], v[2:3], v[6:7]
	s_waitcnt vmcnt(60) lgkmcnt(1)
	v_mul_f64 v[199:200], v[127:128], v[133:134]
	v_mul_f64 v[133:134], v[125:126], v[133:134]
	;; [unrolled: 3-line block ×3, first 2 shown]
	v_fma_f64 v[192:193], v[2:3], v[135:136], -v[192:193]
	v_fma_f64 v[6:7], v[4:5], v[135:136], v[6:7]
	s_clause 0x2
	buffer_load_dword v197, off, s[0:3], 0 offset:908
	buffer_load_dword v136, off, s[0:3], 0 offset:884
	;; [unrolled: 1-line block ×3, first 2 shown]
	s_waitcnt vmcnt(57)
	v_fma_f64 v[203:204], v[125:126], v[139:140], -v[199:200]
	ds_read_b128 v[2:5], v1 offset:1600
	v_fma_f64 v[133:134], v[127:128], v[139:140], v[133:134]
	s_clause 0x4
	buffer_load_dword v140, off, s[0:3], 0 offset:924
	buffer_load_dword v200, off, s[0:3], 0 offset:936
	;; [unrolled: 1-line block ×5, first 2 shown]
	s_waitcnt vmcnt(56)
	v_fma_f64 v[137:138], v[129:130], v[147:148], -v[137:138]
	ds_read_b128 v[125:128], v1 offset:1616
	v_fma_f64 v[147:148], v[131:132], v[147:148], v[201:202]
	v_add_f64 v[192:193], v[192:193], 0
	v_add_f64 v[6:7], v[6:7], 0
	s_waitcnt lgkmcnt(1)
	v_mul_f64 v[206:207], v[2:3], v[141:142]
	v_mul_f64 v[141:142], v[4:5], v[141:142]
	v_add_f64 v[192:193], v[192:193], v[203:204]
	v_add_f64 v[6:7], v[6:7], v[133:134]
	s_clause 0x2
	buffer_load_dword v201, off, s[0:3], 0 offset:940
	buffer_load_dword v134, off, s[0:3], 0 offset:916
	;; [unrolled: 1-line block ×3, first 2 shown]
	s_waitcnt vmcnt(58) lgkmcnt(0)
	v_mul_f64 v[202:203], v[125:126], v[143:144]
	v_mul_f64 v[143:144], v[127:128], v[143:144]
	s_waitcnt vmcnt(56)
	v_fma_f64 v[141:142], v[2:3], v[149:150], -v[141:142]
	ds_read_b128 v[129:132], v1 offset:1632
	v_fma_f64 v[149:150], v[4:5], v[149:150], v[206:207]
	buffer_load_dword v206, off, s[0:3], 0 offset:932
	ds_read_b128 v[2:5], v1 offset:1648
	v_add_f64 v[137:138], v[192:193], v[137:138]
	v_add_f64 v[6:7], v[6:7], v[147:148]
	s_waitcnt vmcnt(53) lgkmcnt(1)
	v_mul_f64 v[147:148], v[129:130], v[151:152]
	v_mul_f64 v[151:152], v[131:132], v[151:152]
	s_waitcnt vmcnt(52)
	v_fma_f64 v[143:144], v[125:126], v[145:146], -v[143:144]
	v_add_f64 v[137:138], v[137:138], v[141:142]
	v_fma_f64 v[141:142], v[127:128], v[145:146], v[202:203]
	v_add_f64 v[6:7], v[6:7], v[149:150]
	s_waitcnt vmcnt(51) lgkmcnt(0)
	v_mul_f64 v[149:150], v[4:5], v[153:154]
	ds_read_b128 v[125:128], v1 offset:1664
	s_waitcnt vmcnt(49)
	v_fma_f64 v[151:152], v[129:130], v[157:158], -v[151:152]
	v_mul_f64 v[145:146], v[2:3], v[153:154]
	v_add_f64 v[137:138], v[137:138], v[143:144]
	v_fma_f64 v[143:144], v[131:132], v[157:158], v[147:148]
	v_add_f64 v[6:7], v[6:7], v[141:142]
	s_clause 0x3
	buffer_load_dword v141, off, s[0:3], 0 offset:624
	buffer_load_dword v142, off, s[0:3], 0 offset:628
	;; [unrolled: 1-line block ×4, first 2 shown]
	s_waitcnt vmcnt(49) lgkmcnt(0)
	v_mul_f64 v[157:158], v[127:128], v[159:160]
	s_waitcnt vmcnt(48)
	v_fma_f64 v[149:150], v[2:3], v[155:156], -v[149:150]
	ds_read_b128 v[129:132], v1 offset:1680
	v_mul_f64 v[153:154], v[125:126], v[159:160]
	v_fma_f64 v[145:146], v[4:5], v[155:156], v[145:146]
	ds_read_b128 v[2:5], v1 offset:1696
	v_add_f64 v[137:138], v[137:138], v[151:152]
	v_add_f64 v[6:7], v[6:7], v[143:144]
	s_waitcnt vmcnt(47) lgkmcnt(1)
	v_mul_f64 v[151:152], v[131:132], v[161:162]
	s_waitcnt vmcnt(45)
	v_fma_f64 v[155:156], v[125:126], v[165:166], -v[157:158]
	v_mul_f64 v[143:144], v[129:130], v[161:162]
	v_add_f64 v[137:138], v[137:138], v[149:150]
	v_fma_f64 v[149:150], v[127:128], v[165:166], v[153:154]
	v_add_f64 v[6:7], v[6:7], v[145:146]
	s_waitcnt vmcnt(41) lgkmcnt(0)
	v_mul_f64 v[153:154], v[4:5], v[167:168]
	s_waitcnt vmcnt(40)
	v_fma_f64 v[151:152], v[129:130], v[163:164], -v[151:152]
	ds_read_b128 v[125:128], v1 offset:1712
	v_mul_f64 v[145:146], v[2:3], v[167:168]
	v_fma_f64 v[143:144], v[131:132], v[163:164], v[143:144]
	ds_read_b128 v[129:132], v1 offset:1728
	v_add_f64 v[137:138], v[137:138], v[155:156]
	v_add_f64 v[6:7], v[6:7], v[149:150]
	s_waitcnt vmcnt(39) lgkmcnt(1)
	v_mul_f64 v[155:156], v[127:128], v[169:170]
	s_waitcnt vmcnt(37)
	v_fma_f64 v[153:154], v[2:3], v[173:174], -v[153:154]
	v_mul_f64 v[149:150], v[125:126], v[169:170]
	v_fma_f64 v[145:146], v[4:5], v[173:174], v[145:146]
	ds_read_b128 v[2:5], v1 offset:1744
	v_add_f64 v[137:138], v[137:138], v[151:152]
	s_waitcnt vmcnt(33) lgkmcnt(1)
	v_mul_f64 v[151:152], v[131:132], v[175:176]
	v_add_f64 v[6:7], v[6:7], v[143:144]
	s_waitcnt vmcnt(32)
	v_fma_f64 v[155:156], v[125:126], v[171:172], -v[155:156]
	v_mul_f64 v[143:144], v[129:130], v[175:176]
	v_fma_f64 v[149:150], v[127:128], v[171:172], v[149:150]
	ds_read_b128 v[125:128], v1 offset:1760
	v_add_f64 v[137:138], v[137:138], v[153:154]
	s_waitcnt vmcnt(31) lgkmcnt(1)
	v_mul_f64 v[153:154], v[4:5], v[177:178]
	v_add_f64 v[6:7], v[6:7], v[145:146]
	;; [unrolled: 9-line block ×5, first 2 shown]
	s_waitcnt vmcnt(16)
	v_fma_f64 v[151:152], v[129:130], v[188:189], -v[151:152]
	v_mul_f64 v[145:146], v[2:3], v[194:195]
	v_fma_f64 v[143:144], v[131:132], v[188:189], v[143:144]
	ds_read_b128 v[129:132], v1 offset:1824
	v_add_f64 v[137:138], v[137:138], v[155:156]
	v_add_f64 v[6:7], v[6:7], v[149:150]
	s_waitcnt vmcnt(15) lgkmcnt(1)
	v_mul_f64 v[155:156], v[127:128], v[196:197]
	v_mul_f64 v[149:150], v[125:126], v[196:197]
	s_waitcnt vmcnt(13)
	v_fma_f64 v[153:154], v[2:3], v[135:136], -v[153:154]
	v_fma_f64 v[135:136], v[4:5], v[135:136], v[145:146]
	ds_read_b128 v[2:5], v1 offset:1840
	v_add_f64 v[137:138], v[137:138], v[151:152]
	v_add_f64 v[6:7], v[6:7], v[143:144]
	s_waitcnt vmcnt(9) lgkmcnt(1)
	v_mul_f64 v[143:144], v[129:130], v[139:140]
	v_mul_f64 v[139:140], v[131:132], v[139:140]
	s_waitcnt vmcnt(8)
	v_fma_f64 v[125:126], v[125:126], v[198:199], -v[155:156]
	v_fma_f64 v[127:128], v[127:128], v[198:199], v[149:150]
	v_add_f64 v[137:138], v[137:138], v[153:154]
	v_add_f64 v[6:7], v[6:7], v[135:136]
	s_waitcnt vmcnt(7) lgkmcnt(0)
	v_mul_f64 v[145:146], v[4:5], v[200:201]
	v_mul_f64 v[135:136], v[2:3], v[200:201]
	s_waitcnt vmcnt(5)
	v_fma_f64 v[129:130], v[129:130], v[133:134], -v[139:140]
	v_fma_f64 v[131:132], v[131:132], v[133:134], v[143:144]
	v_add_f64 v[125:126], v[137:138], v[125:126]
	v_add_f64 v[6:7], v[6:7], v[127:128]
	s_waitcnt vmcnt(4)
	v_fma_f64 v[2:3], v[2:3], v[205:206], -v[145:146]
	v_fma_f64 v[4:5], v[4:5], v[205:206], v[135:136]
	v_add_f64 v[125:126], v[125:126], v[129:130]
	v_add_f64 v[6:7], v[6:7], v[131:132]
	;; [unrolled: 1-line block ×4, first 2 shown]
	s_waitcnt vmcnt(2)
	v_add_f64 v[2:3], v[141:142], -v[2:3]
	s_waitcnt vmcnt(0)
	v_add_f64 v[4:5], v[147:148], -v[4:5]
	buffer_store_dword v3, off, s[0:3], 0 offset:628
	buffer_store_dword v2, off, s[0:3], 0 offset:624
	buffer_store_dword v5, off, s[0:3], 0 offset:636
	buffer_store_dword v4, off, s[0:3], 0 offset:632
	v_cmpx_lt_u32_e32 37, v0
	s_cbranch_execz .LBB121_287
; %bb.286:
	v_mov_b32_e32 v5, s33
	s_clause 0x3
	buffer_load_dword v2, v5, s[0:3], 0 offen
	buffer_load_dword v3, v5, s[0:3], 0 offen offset:4
	buffer_load_dword v4, v5, s[0:3], 0 offen offset:8
	;; [unrolled: 1-line block ×3, first 2 shown]
	buffer_store_dword v1, off, s[0:3], 0 offset:608
	buffer_store_dword v1, off, s[0:3], 0 offset:612
	;; [unrolled: 1-line block ×4, first 2 shown]
	s_waitcnt vmcnt(0)
	ds_write_b128 v185, v[2:5]
.LBB121_287:
	s_or_b32 exec_lo, exec_lo, s4
	s_waitcnt lgkmcnt(0)
	s_waitcnt_vscnt null, 0x0
	s_barrier
	buffer_gl0_inv
	s_clause 0x37
	buffer_load_dword v6, off, s[0:3], 0 offset:632
	buffer_load_dword v7, off, s[0:3], 0 offset:636
	;; [unrolled: 1-line block ×56, first 2 shown]
	ds_read_b128 v[2:5], v1 offset:1536
	s_clause 0x2
	buffer_load_dword v187, off, s[0:3], 0 offset:860
	buffer_load_dword v191, off, s[0:3], 0 offset:836
	;; [unrolled: 1-line block ×3, first 2 shown]
	ds_read_b128 v[125:128], v1 offset:1552
	s_clause 0x4
	buffer_load_dword v195, off, s[0:3], 0 offset:876
	buffer_load_dword v196, off, s[0:3], 0 offset:888
	;; [unrolled: 1-line block ×5, first 2 shown]
	ds_read_b128 v[129:132], v1 offset:1568
	s_mov_b32 s4, exec_lo
	s_waitcnt vmcnt(62) lgkmcnt(2)
	v_mul_f64 v[192:193], v[4:5], v[6:7]
	v_mul_f64 v[6:7], v[2:3], v[6:7]
	s_waitcnt vmcnt(60) lgkmcnt(1)
	v_mul_f64 v[199:200], v[127:128], v[133:134]
	v_mul_f64 v[133:134], v[125:126], v[133:134]
	;; [unrolled: 3-line block ×3, first 2 shown]
	v_fma_f64 v[192:193], v[2:3], v[135:136], -v[192:193]
	v_fma_f64 v[6:7], v[4:5], v[135:136], v[6:7]
	s_clause 0x2
	buffer_load_dword v197, off, s[0:3], 0 offset:892
	buffer_load_dword v136, off, s[0:3], 0 offset:868
	;; [unrolled: 1-line block ×3, first 2 shown]
	s_waitcnt vmcnt(57)
	v_fma_f64 v[203:204], v[125:126], v[139:140], -v[199:200]
	ds_read_b128 v[2:5], v1 offset:1584
	v_fma_f64 v[133:134], v[127:128], v[139:140], v[133:134]
	s_clause 0x4
	buffer_load_dword v140, off, s[0:3], 0 offset:908
	buffer_load_dword v200, off, s[0:3], 0 offset:920
	;; [unrolled: 1-line block ×5, first 2 shown]
	s_waitcnt vmcnt(56)
	v_fma_f64 v[137:138], v[129:130], v[147:148], -v[137:138]
	ds_read_b128 v[125:128], v1 offset:1600
	v_fma_f64 v[147:148], v[131:132], v[147:148], v[201:202]
	v_add_f64 v[192:193], v[192:193], 0
	v_add_f64 v[6:7], v[6:7], 0
	s_waitcnt lgkmcnt(1)
	v_mul_f64 v[206:207], v[2:3], v[141:142]
	v_mul_f64 v[141:142], v[4:5], v[141:142]
	v_add_f64 v[192:193], v[192:193], v[203:204]
	v_add_f64 v[6:7], v[6:7], v[133:134]
	s_clause 0x2
	buffer_load_dword v201, off, s[0:3], 0 offset:924
	buffer_load_dword v134, off, s[0:3], 0 offset:900
	;; [unrolled: 1-line block ×3, first 2 shown]
	s_waitcnt vmcnt(58) lgkmcnt(0)
	v_mul_f64 v[202:203], v[125:126], v[143:144]
	v_mul_f64 v[143:144], v[127:128], v[143:144]
	s_waitcnt vmcnt(56)
	v_fma_f64 v[141:142], v[2:3], v[149:150], -v[141:142]
	ds_read_b128 v[129:132], v1 offset:1616
	v_fma_f64 v[149:150], v[4:5], v[149:150], v[206:207]
	v_add_f64 v[137:138], v[192:193], v[137:138]
	v_add_f64 v[6:7], v[6:7], v[147:148]
	s_clause 0x2
	buffer_load_dword v148, off, s[0:3], 0 offset:940
	buffer_load_dword v147, off, s[0:3], 0 offset:936
	;; [unrolled: 1-line block ×3, first 2 shown]
	ds_read_b128 v[2:5], v1 offset:1632
	s_waitcnt vmcnt(55) lgkmcnt(1)
	v_mul_f64 v[192:193], v[129:130], v[151:152]
	v_mul_f64 v[151:152], v[131:132], v[151:152]
	s_waitcnt vmcnt(54)
	v_fma_f64 v[143:144], v[125:126], v[145:146], -v[143:144]
	v_add_f64 v[137:138], v[137:138], v[141:142]
	v_fma_f64 v[141:142], v[127:128], v[145:146], v[202:203]
	v_add_f64 v[6:7], v[6:7], v[149:150]
	s_clause 0x1
	buffer_load_dword v146, off, s[0:3], 0 offset:932
	buffer_load_dword v145, off, s[0:3], 0 offset:928
	s_waitcnt vmcnt(55) lgkmcnt(0)
	v_mul_f64 v[149:150], v[2:3], v[153:154]
	v_mul_f64 v[153:154], v[4:5], v[153:154]
	s_waitcnt vmcnt(53)
	v_fma_f64 v[151:152], v[129:130], v[157:158], -v[151:152]
	ds_read_b128 v[125:128], v1 offset:1648
	v_add_f64 v[137:138], v[137:138], v[143:144]
	v_fma_f64 v[143:144], v[131:132], v[157:158], v[192:193]
	v_add_f64 v[6:7], v[6:7], v[141:142]
	ds_read_b128 v[129:132], v1 offset:1664
	s_waitcnt vmcnt(48)
	v_fma_f64 v[149:150], v[4:5], v[155:156], v[149:150]
	s_waitcnt lgkmcnt(1)
	v_mul_f64 v[157:158], v[127:128], v[159:160]
	v_fma_f64 v[153:154], v[2:3], v[155:156], -v[153:154]
	v_mul_f64 v[141:142], v[125:126], v[159:160]
	v_add_f64 v[137:138], v[137:138], v[151:152]
	s_waitcnt vmcnt(47) lgkmcnt(0)
	v_mul_f64 v[159:160], v[131:132], v[161:162]
	v_add_f64 v[6:7], v[6:7], v[143:144]
	s_clause 0x3
	buffer_load_dword v143, off, s[0:3], 0 offset:608
	buffer_load_dword v144, off, s[0:3], 0 offset:612
	;; [unrolled: 1-line block ×4, first 2 shown]
	ds_read_b128 v[2:5], v1 offset:1680
	s_waitcnt vmcnt(49)
	v_fma_f64 v[157:158], v[125:126], v[165:166], -v[157:158]
	v_mul_f64 v[155:156], v[129:130], v[161:162]
	v_fma_f64 v[141:142], v[127:128], v[165:166], v[141:142]
	ds_read_b128 v[125:128], v1 offset:1696
	v_add_f64 v[137:138], v[137:138], v[153:154]
	s_waitcnt vmcnt(44)
	v_fma_f64 v[159:160], v[129:130], v[163:164], -v[159:160]
	v_add_f64 v[6:7], v[6:7], v[149:150]
	s_waitcnt lgkmcnt(1)
	v_mul_f64 v[153:154], v[4:5], v[167:168]
	v_mul_f64 v[149:150], v[2:3], v[167:168]
	v_fma_f64 v[155:156], v[131:132], v[163:164], v[155:156]
	ds_read_b128 v[129:132], v1 offset:1712
	v_add_f64 v[137:138], v[137:138], v[157:158]
	s_waitcnt vmcnt(43) lgkmcnt(1)
	v_mul_f64 v[157:158], v[127:128], v[169:170]
	v_add_f64 v[6:7], v[6:7], v[141:142]
	s_waitcnt vmcnt(41)
	v_fma_f64 v[153:154], v[2:3], v[173:174], -v[153:154]
	v_mul_f64 v[141:142], v[125:126], v[169:170]
	v_fma_f64 v[149:150], v[4:5], v[173:174], v[149:150]
	ds_read_b128 v[2:5], v1 offset:1728
	v_add_f64 v[137:138], v[137:138], v[159:160]
	s_waitcnt vmcnt(37) lgkmcnt(1)
	v_mul_f64 v[159:160], v[131:132], v[175:176]
	v_add_f64 v[6:7], v[6:7], v[155:156]
	s_waitcnt vmcnt(36)
	v_fma_f64 v[157:158], v[125:126], v[171:172], -v[157:158]
	;; [unrolled: 9-line block ×6, first 2 shown]
	v_mul_f64 v[149:150], v[2:3], v[194:195]
	v_fma_f64 v[155:156], v[131:132], v[188:189], v[155:156]
	ds_read_b128 v[129:132], v1 offset:1808
	v_add_f64 v[137:138], v[137:138], v[157:158]
	v_add_f64 v[6:7], v[6:7], v[141:142]
	s_waitcnt vmcnt(19) lgkmcnt(1)
	v_mul_f64 v[157:158], v[127:128], v[196:197]
	v_mul_f64 v[141:142], v[125:126], v[196:197]
	s_waitcnt vmcnt(17)
	v_fma_f64 v[153:154], v[2:3], v[135:136], -v[153:154]
	v_fma_f64 v[135:136], v[4:5], v[135:136], v[149:150]
	ds_read_b128 v[2:5], v1 offset:1824
	s_waitcnt vmcnt(13) lgkmcnt(1)
	v_mul_f64 v[149:150], v[129:130], v[139:140]
	v_mul_f64 v[139:140], v[131:132], v[139:140]
	v_add_f64 v[137:138], v[137:138], v[159:160]
	v_add_f64 v[6:7], v[6:7], v[155:156]
	s_waitcnt vmcnt(12)
	v_fma_f64 v[155:156], v[125:126], v[198:199], -v[157:158]
	v_fma_f64 v[141:142], v[127:128], v[198:199], v[141:142]
	ds_read_b128 v[125:128], v1 offset:1840
	v_add_f64 v[137:138], v[137:138], v[153:154]
	v_add_f64 v[6:7], v[6:7], v[135:136]
	s_waitcnt vmcnt(11) lgkmcnt(1)
	v_mul_f64 v[153:154], v[4:5], v[200:201]
	v_mul_f64 v[135:136], v[2:3], v[200:201]
	s_waitcnt vmcnt(9)
	v_fma_f64 v[129:130], v[129:130], v[133:134], -v[139:140]
	v_fma_f64 v[131:132], v[131:132], v[133:134], v[149:150]
	v_add_f64 v[137:138], v[137:138], v[155:156]
	v_add_f64 v[6:7], v[6:7], v[141:142]
	s_waitcnt vmcnt(7) lgkmcnt(0)
	v_mul_f64 v[139:140], v[127:128], v[147:148]
	s_waitcnt vmcnt(6)
	v_fma_f64 v[1:2], v[2:3], v[205:206], -v[153:154]
	v_mul_f64 v[133:134], v[125:126], v[147:148]
	v_fma_f64 v[3:4], v[4:5], v[205:206], v[135:136]
	v_add_f64 v[129:130], v[137:138], v[129:130]
	v_add_f64 v[5:6], v[6:7], v[131:132]
	s_waitcnt vmcnt(4)
	v_fma_f64 v[7:8], v[125:126], v[145:146], -v[139:140]
	v_fma_f64 v[125:126], v[127:128], v[145:146], v[133:134]
	v_add_f64 v[1:2], v[129:130], v[1:2]
	v_add_f64 v[3:4], v[5:6], v[3:4]
	;; [unrolled: 1-line block ×4, first 2 shown]
	s_waitcnt vmcnt(2)
	v_add_f64 v[1:2], v[143:144], -v[1:2]
	s_waitcnt vmcnt(0)
	v_add_f64 v[3:4], v[151:152], -v[3:4]
	buffer_store_dword v2, off, s[0:3], 0 offset:612
	buffer_store_dword v1, off, s[0:3], 0 offset:608
	;; [unrolled: 1-line block ×4, first 2 shown]
	v_cmpx_lt_u32_e32 36, v0
	s_cbranch_execz .LBB121_289
; %bb.288:
	v_mov_b32_e32 v4, s34
	v_mov_b32_e32 v5, 0
	s_clause 0x3
	buffer_load_dword v1, v4, s[0:3], 0 offen
	buffer_load_dword v2, v4, s[0:3], 0 offen offset:4
	buffer_load_dword v3, v4, s[0:3], 0 offen offset:8
	;; [unrolled: 1-line block ×3, first 2 shown]
	buffer_store_dword v5, off, s[0:3], 0 offset:592
	buffer_store_dword v5, off, s[0:3], 0 offset:596
	;; [unrolled: 1-line block ×4, first 2 shown]
	s_waitcnt vmcnt(0)
	ds_write_b128 v185, v[1:4]
.LBB121_289:
	s_or_b32 exec_lo, exec_lo, s4
	s_waitcnt lgkmcnt(0)
	s_waitcnt_vscnt null, 0x0
	s_barrier
	buffer_gl0_inv
	s_clause 0x37
	buffer_load_dword v6, off, s[0:3], 0 offset:616
	buffer_load_dword v7, off, s[0:3], 0 offset:620
	;; [unrolled: 1-line block ×56, first 2 shown]
	v_mov_b32_e32 v1, 0
	s_mov_b32 s4, exec_lo
	ds_read_b128 v[2:5], v1 offset:1520
	s_clause 0x2
	buffer_load_dword v187, off, s[0:3], 0 offset:844
	buffer_load_dword v191, off, s[0:3], 0 offset:820
	;; [unrolled: 1-line block ×3, first 2 shown]
	ds_read_b128 v[125:128], v1 offset:1536
	s_clause 0x4
	buffer_load_dword v195, off, s[0:3], 0 offset:860
	buffer_load_dword v196, off, s[0:3], 0 offset:872
	;; [unrolled: 1-line block ×5, first 2 shown]
	ds_read_b128 v[129:132], v1 offset:1552
	s_waitcnt vmcnt(62) lgkmcnt(2)
	v_mul_f64 v[192:193], v[4:5], v[6:7]
	v_mul_f64 v[6:7], v[2:3], v[6:7]
	s_waitcnt vmcnt(60) lgkmcnt(1)
	v_mul_f64 v[199:200], v[127:128], v[133:134]
	v_mul_f64 v[133:134], v[125:126], v[133:134]
	;; [unrolled: 3-line block ×3, first 2 shown]
	v_fma_f64 v[192:193], v[2:3], v[135:136], -v[192:193]
	v_fma_f64 v[6:7], v[4:5], v[135:136], v[6:7]
	s_clause 0x2
	buffer_load_dword v197, off, s[0:3], 0 offset:876
	buffer_load_dword v136, off, s[0:3], 0 offset:852
	;; [unrolled: 1-line block ×3, first 2 shown]
	s_waitcnt vmcnt(57)
	v_fma_f64 v[203:204], v[125:126], v[139:140], -v[199:200]
	ds_read_b128 v[2:5], v1 offset:1568
	v_fma_f64 v[133:134], v[127:128], v[139:140], v[133:134]
	s_clause 0x4
	buffer_load_dword v140, off, s[0:3], 0 offset:892
	buffer_load_dword v200, off, s[0:3], 0 offset:904
	;; [unrolled: 1-line block ×5, first 2 shown]
	s_waitcnt vmcnt(56)
	v_fma_f64 v[137:138], v[129:130], v[147:148], -v[137:138]
	ds_read_b128 v[125:128], v1 offset:1584
	v_fma_f64 v[147:148], v[131:132], v[147:148], v[201:202]
	v_add_f64 v[192:193], v[192:193], 0
	v_add_f64 v[6:7], v[6:7], 0
	s_waitcnt lgkmcnt(1)
	v_mul_f64 v[206:207], v[2:3], v[141:142]
	v_mul_f64 v[141:142], v[4:5], v[141:142]
	v_add_f64 v[192:193], v[192:193], v[203:204]
	v_add_f64 v[6:7], v[6:7], v[133:134]
	s_clause 0x2
	buffer_load_dword v201, off, s[0:3], 0 offset:908
	buffer_load_dword v134, off, s[0:3], 0 offset:884
	;; [unrolled: 1-line block ×3, first 2 shown]
	s_waitcnt vmcnt(58) lgkmcnt(0)
	v_mul_f64 v[202:203], v[125:126], v[143:144]
	v_mul_f64 v[143:144], v[127:128], v[143:144]
	s_waitcnt vmcnt(56)
	v_fma_f64 v[141:142], v[2:3], v[149:150], -v[141:142]
	ds_read_b128 v[129:132], v1 offset:1600
	v_fma_f64 v[149:150], v[4:5], v[149:150], v[206:207]
	v_add_f64 v[137:138], v[192:193], v[137:138]
	v_add_f64 v[6:7], v[6:7], v[147:148]
	s_clause 0x4
	buffer_load_dword v148, off, s[0:3], 0 offset:924
	buffer_load_dword v192, off, s[0:3], 0 offset:936
	;; [unrolled: 1-line block ×5, first 2 shown]
	ds_read_b128 v[2:5], v1 offset:1616
	s_waitcnt vmcnt(57) lgkmcnt(1)
	v_mul_f64 v[208:209], v[129:130], v[151:152]
	v_mul_f64 v[151:152], v[131:132], v[151:152]
	s_waitcnt vmcnt(56)
	v_fma_f64 v[143:144], v[125:126], v[145:146], -v[143:144]
	v_add_f64 v[137:138], v[137:138], v[141:142]
	v_fma_f64 v[141:142], v[127:128], v[145:146], v[202:203]
	v_add_f64 v[6:7], v[6:7], v[149:150]
	s_clause 0x2
	buffer_load_dword v193, off, s[0:3], 0 offset:940
	buffer_load_dword v146, off, s[0:3], 0 offset:916
	buffer_load_dword v145, off, s[0:3], 0 offset:912
	s_waitcnt vmcnt(58) lgkmcnt(0)
	v_mul_f64 v[149:150], v[2:3], v[153:154]
	v_mul_f64 v[153:154], v[4:5], v[153:154]
	s_waitcnt vmcnt(56)
	v_fma_f64 v[151:152], v[129:130], v[157:158], -v[151:152]
	ds_read_b128 v[125:128], v1 offset:1632
	v_add_f64 v[137:138], v[137:138], v[143:144]
	v_fma_f64 v[143:144], v[131:132], v[157:158], v[208:209]
	v_add_f64 v[6:7], v[6:7], v[141:142]
	buffer_load_dword v208, off, s[0:3], 0 offset:932
	ds_read_b128 v[129:132], v1 offset:1648
	s_waitcnt vmcnt(53) lgkmcnt(1)
	v_mul_f64 v[157:158], v[127:128], v[159:160]
	s_waitcnt vmcnt(52)
	v_fma_f64 v[153:154], v[2:3], v[155:156], -v[153:154]
	v_mul_f64 v[141:142], v[125:126], v[159:160]
	v_fma_f64 v[149:150], v[4:5], v[155:156], v[149:150]
	ds_read_b128 v[2:5], v1 offset:1664
	v_add_f64 v[137:138], v[137:138], v[151:152]
	v_add_f64 v[6:7], v[6:7], v[143:144]
	s_waitcnt vmcnt(51) lgkmcnt(1)
	v_mul_f64 v[151:152], v[131:132], v[161:162]
	v_mul_f64 v[143:144], v[129:130], v[161:162]
	s_waitcnt vmcnt(49)
	v_fma_f64 v[155:156], v[125:126], v[165:166], -v[157:158]
	v_fma_f64 v[141:142], v[127:128], v[165:166], v[141:142]
	s_waitcnt vmcnt(45) lgkmcnt(0)
	v_mul_f64 v[159:160], v[4:5], v[167:168]
	v_mul_f64 v[157:158], v[2:3], v[167:168]
	v_add_f64 v[137:138], v[137:138], v[153:154]
	v_add_f64 v[6:7], v[6:7], v[149:150]
	s_clause 0x3
	buffer_load_dword v149, off, s[0:3], 0 offset:592
	buffer_load_dword v150, off, s[0:3], 0 offset:596
	;; [unrolled: 1-line block ×4, first 2 shown]
	s_waitcnt vmcnt(48)
	v_fma_f64 v[151:152], v[129:130], v[163:164], -v[151:152]
	ds_read_b128 v[125:128], v1 offset:1680
	v_fma_f64 v[143:144], v[131:132], v[163:164], v[143:144]
	ds_read_b128 v[129:132], v1 offset:1696
	s_waitcnt vmcnt(45)
	v_fma_f64 v[159:160], v[2:3], v[173:174], -v[159:160]
	v_add_f64 v[137:138], v[137:138], v[155:156]
	v_add_f64 v[6:7], v[6:7], v[141:142]
	s_waitcnt lgkmcnt(1)
	v_mul_f64 v[155:156], v[127:128], v[169:170]
	v_mul_f64 v[141:142], v[125:126], v[169:170]
	v_add_f64 v[137:138], v[137:138], v[151:152]
	v_fma_f64 v[151:152], v[4:5], v[173:174], v[157:158]
	v_add_f64 v[6:7], v[6:7], v[143:144]
	s_waitcnt vmcnt(41) lgkmcnt(0)
	v_mul_f64 v[157:158], v[131:132], v[175:176]
	s_waitcnt vmcnt(40)
	v_fma_f64 v[155:156], v[125:126], v[171:172], -v[155:156]
	ds_read_b128 v[2:5], v1 offset:1712
	v_mul_f64 v[143:144], v[129:130], v[175:176]
	v_fma_f64 v[141:142], v[127:128], v[171:172], v[141:142]
	ds_read_b128 v[125:128], v1 offset:1728
	v_add_f64 v[137:138], v[137:138], v[159:160]
	v_add_f64 v[6:7], v[6:7], v[151:152]
	s_waitcnt vmcnt(39) lgkmcnt(1)
	v_mul_f64 v[159:160], v[4:5], v[177:178]
	s_waitcnt vmcnt(37)
	v_fma_f64 v[157:158], v[129:130], v[181:182], -v[157:158]
	v_mul_f64 v[151:152], v[2:3], v[177:178]
	v_fma_f64 v[143:144], v[131:132], v[181:182], v[143:144]
	ds_read_b128 v[129:132], v1 offset:1744
	v_add_f64 v[137:138], v[137:138], v[155:156]
	s_waitcnt vmcnt(33) lgkmcnt(1)
	v_mul_f64 v[155:156], v[127:128], v[183:184]
	v_add_f64 v[6:7], v[6:7], v[141:142]
	s_waitcnt vmcnt(32)
	v_fma_f64 v[159:160], v[2:3], v[179:180], -v[159:160]
	v_mul_f64 v[141:142], v[125:126], v[183:184]
	v_fma_f64 v[151:152], v[4:5], v[179:180], v[151:152]
	ds_read_b128 v[2:5], v1 offset:1760
	v_add_f64 v[137:138], v[137:138], v[157:158]
	s_waitcnt vmcnt(31) lgkmcnt(1)
	v_mul_f64 v[157:158], v[131:132], v[186:187]
	v_add_f64 v[6:7], v[6:7], v[143:144]
	;; [unrolled: 9-line block ×3, first 2 shown]
	s_waitcnt vmcnt(24)
	v_fma_f64 v[157:158], v[129:130], v[188:189], -v[157:158]
	v_mul_f64 v[151:152], v[2:3], v[194:195]
	v_fma_f64 v[143:144], v[131:132], v[188:189], v[143:144]
	ds_read_b128 v[129:132], v1 offset:1792
	v_add_f64 v[137:138], v[137:138], v[155:156]
	v_add_f64 v[6:7], v[6:7], v[141:142]
	s_waitcnt vmcnt(23) lgkmcnt(1)
	v_mul_f64 v[155:156], v[127:128], v[196:197]
	v_mul_f64 v[141:142], v[125:126], v[196:197]
	s_waitcnt vmcnt(21)
	v_fma_f64 v[159:160], v[2:3], v[135:136], -v[159:160]
	v_fma_f64 v[135:136], v[4:5], v[135:136], v[151:152]
	ds_read_b128 v[2:5], v1 offset:1808
	v_add_f64 v[137:138], v[137:138], v[157:158]
	v_add_f64 v[6:7], v[6:7], v[143:144]
	s_waitcnt vmcnt(17) lgkmcnt(1)
	v_mul_f64 v[143:144], v[129:130], v[139:140]
	v_mul_f64 v[139:140], v[131:132], v[139:140]
	s_waitcnt vmcnt(16)
	v_fma_f64 v[151:152], v[125:126], v[198:199], -v[155:156]
	;; [unrolled: 9-line block ×3, first 2 shown]
	v_fma_f64 v[133:134], v[131:132], v[133:134], v[143:144]
	ds_read_b128 v[129:132], v1 offset:1840
	v_add_f64 v[137:138], v[137:138], v[151:152]
	v_add_f64 v[6:7], v[6:7], v[141:142]
	s_waitcnt vmcnt(9) lgkmcnt(1)
	v_mul_f64 v[143:144], v[127:128], v[147:148]
	s_waitcnt vmcnt(8)
	v_fma_f64 v[2:3], v[2:3], v[205:206], -v[155:156]
	v_mul_f64 v[141:142], v[125:126], v[147:148]
	v_fma_f64 v[4:5], v[4:5], v[205:206], v[135:136]
	v_add_f64 v[137:138], v[137:138], v[139:140]
	v_add_f64 v[6:7], v[6:7], v[133:134]
	s_waitcnt vmcnt(7) lgkmcnt(0)
	v_mul_f64 v[135:136], v[131:132], v[192:193]
	v_mul_f64 v[133:134], v[129:130], v[192:193]
	s_waitcnt vmcnt(5)
	v_fma_f64 v[125:126], v[125:126], v[145:146], -v[143:144]
	v_fma_f64 v[127:128], v[127:128], v[145:146], v[141:142]
	v_add_f64 v[2:3], v[137:138], v[2:3]
	v_add_f64 v[4:5], v[6:7], v[4:5]
	s_waitcnt vmcnt(4)
	v_fma_f64 v[6:7], v[129:130], v[207:208], -v[135:136]
	v_add_f64 v[2:3], v[2:3], v[125:126]
	v_fma_f64 v[125:126], v[131:132], v[207:208], v[133:134]
	v_add_f64 v[4:5], v[4:5], v[127:128]
	v_add_f64 v[2:3], v[2:3], v[6:7]
	;; [unrolled: 1-line block ×3, first 2 shown]
	s_waitcnt vmcnt(2)
	v_add_f64 v[2:3], v[149:150], -v[2:3]
	s_waitcnt vmcnt(0)
	v_add_f64 v[4:5], v[153:154], -v[4:5]
	buffer_store_dword v3, off, s[0:3], 0 offset:596
	buffer_store_dword v2, off, s[0:3], 0 offset:592
	;; [unrolled: 1-line block ×4, first 2 shown]
	v_cmpx_lt_u32_e32 35, v0
	s_cbranch_execz .LBB121_291
; %bb.290:
	v_mov_b32_e32 v5, s35
	s_clause 0x3
	buffer_load_dword v2, v5, s[0:3], 0 offen
	buffer_load_dword v3, v5, s[0:3], 0 offen offset:4
	buffer_load_dword v4, v5, s[0:3], 0 offen offset:8
	;; [unrolled: 1-line block ×3, first 2 shown]
	buffer_store_dword v1, off, s[0:3], 0 offset:576
	buffer_store_dword v1, off, s[0:3], 0 offset:580
	;; [unrolled: 1-line block ×4, first 2 shown]
	s_waitcnt vmcnt(0)
	ds_write_b128 v185, v[2:5]
.LBB121_291:
	s_or_b32 exec_lo, exec_lo, s4
	s_waitcnt lgkmcnt(0)
	s_waitcnt_vscnt null, 0x0
	s_barrier
	buffer_gl0_inv
	s_clause 0x37
	buffer_load_dword v6, off, s[0:3], 0 offset:600
	buffer_load_dword v7, off, s[0:3], 0 offset:604
	;; [unrolled: 1-line block ×56, first 2 shown]
	ds_read_b128 v[2:5], v1 offset:1504
	s_clause 0x2
	buffer_load_dword v187, off, s[0:3], 0 offset:828
	buffer_load_dword v191, off, s[0:3], 0 offset:804
	;; [unrolled: 1-line block ×3, first 2 shown]
	ds_read_b128 v[125:128], v1 offset:1520
	s_clause 0x4
	buffer_load_dword v195, off, s[0:3], 0 offset:844
	buffer_load_dword v196, off, s[0:3], 0 offset:856
	;; [unrolled: 1-line block ×5, first 2 shown]
	ds_read_b128 v[129:132], v1 offset:1536
	s_mov_b32 s4, exec_lo
	s_waitcnt vmcnt(62) lgkmcnt(2)
	v_mul_f64 v[192:193], v[4:5], v[6:7]
	v_mul_f64 v[6:7], v[2:3], v[6:7]
	s_waitcnt vmcnt(60) lgkmcnt(1)
	v_mul_f64 v[199:200], v[127:128], v[133:134]
	v_mul_f64 v[133:134], v[125:126], v[133:134]
	;; [unrolled: 3-line block ×3, first 2 shown]
	v_fma_f64 v[192:193], v[2:3], v[135:136], -v[192:193]
	v_fma_f64 v[6:7], v[4:5], v[135:136], v[6:7]
	s_clause 0x2
	buffer_load_dword v197, off, s[0:3], 0 offset:860
	buffer_load_dword v136, off, s[0:3], 0 offset:836
	;; [unrolled: 1-line block ×3, first 2 shown]
	s_waitcnt vmcnt(57)
	v_fma_f64 v[203:204], v[125:126], v[139:140], -v[199:200]
	ds_read_b128 v[2:5], v1 offset:1552
	v_fma_f64 v[133:134], v[127:128], v[139:140], v[133:134]
	s_clause 0x4
	buffer_load_dword v140, off, s[0:3], 0 offset:876
	buffer_load_dword v200, off, s[0:3], 0 offset:888
	;; [unrolled: 1-line block ×5, first 2 shown]
	s_waitcnt vmcnt(56)
	v_fma_f64 v[137:138], v[129:130], v[147:148], -v[137:138]
	ds_read_b128 v[125:128], v1 offset:1568
	v_fma_f64 v[147:148], v[131:132], v[147:148], v[201:202]
	v_add_f64 v[192:193], v[192:193], 0
	v_add_f64 v[6:7], v[6:7], 0
	s_waitcnt lgkmcnt(1)
	v_mul_f64 v[206:207], v[2:3], v[141:142]
	v_mul_f64 v[141:142], v[4:5], v[141:142]
	v_add_f64 v[192:193], v[192:193], v[203:204]
	v_add_f64 v[6:7], v[6:7], v[133:134]
	s_clause 0x2
	buffer_load_dword v201, off, s[0:3], 0 offset:892
	buffer_load_dword v134, off, s[0:3], 0 offset:868
	;; [unrolled: 1-line block ×3, first 2 shown]
	s_waitcnt vmcnt(58) lgkmcnt(0)
	v_mul_f64 v[202:203], v[125:126], v[143:144]
	v_mul_f64 v[143:144], v[127:128], v[143:144]
	s_waitcnt vmcnt(56)
	v_fma_f64 v[141:142], v[2:3], v[149:150], -v[141:142]
	ds_read_b128 v[129:132], v1 offset:1584
	v_fma_f64 v[149:150], v[4:5], v[149:150], v[206:207]
	v_add_f64 v[137:138], v[192:193], v[137:138]
	v_add_f64 v[6:7], v[6:7], v[147:148]
	s_clause 0x4
	buffer_load_dword v148, off, s[0:3], 0 offset:908
	buffer_load_dword v192, off, s[0:3], 0 offset:920
	;; [unrolled: 1-line block ×5, first 2 shown]
	ds_read_b128 v[2:5], v1 offset:1600
	s_waitcnt vmcnt(57) lgkmcnt(1)
	v_mul_f64 v[208:209], v[129:130], v[151:152]
	v_mul_f64 v[151:152], v[131:132], v[151:152]
	s_waitcnt vmcnt(56)
	v_fma_f64 v[143:144], v[125:126], v[145:146], -v[143:144]
	v_add_f64 v[137:138], v[137:138], v[141:142]
	v_fma_f64 v[141:142], v[127:128], v[145:146], v[202:203]
	v_add_f64 v[6:7], v[6:7], v[149:150]
	s_clause 0x2
	buffer_load_dword v193, off, s[0:3], 0 offset:924
	buffer_load_dword v146, off, s[0:3], 0 offset:900
	;; [unrolled: 1-line block ×3, first 2 shown]
	s_waitcnt vmcnt(58) lgkmcnt(0)
	v_mul_f64 v[149:150], v[2:3], v[153:154]
	v_mul_f64 v[153:154], v[4:5], v[153:154]
	s_waitcnt vmcnt(56)
	v_fma_f64 v[151:152], v[129:130], v[157:158], -v[151:152]
	ds_read_b128 v[125:128], v1 offset:1616
	v_add_f64 v[137:138], v[137:138], v[143:144]
	v_fma_f64 v[143:144], v[131:132], v[157:158], v[208:209]
	v_add_f64 v[6:7], v[6:7], v[141:142]
	s_clause 0x2
	buffer_load_dword v142, off, s[0:3], 0 offset:940
	buffer_load_dword v141, off, s[0:3], 0 offset:936
	buffer_load_dword v208, off, s[0:3], 0 offset:916
	ds_read_b128 v[129:132], v1 offset:1632
	s_waitcnt vmcnt(55) lgkmcnt(1)
	v_mul_f64 v[157:158], v[125:126], v[159:160]
	v_mul_f64 v[159:160], v[127:128], v[159:160]
	s_waitcnt vmcnt(54)
	v_fma_f64 v[153:154], v[2:3], v[155:156], -v[153:154]
	v_fma_f64 v[149:150], v[4:5], v[155:156], v[149:150]
	v_add_f64 v[137:138], v[137:138], v[151:152]
	v_add_f64 v[6:7], v[6:7], v[143:144]
	s_clause 0x1
	buffer_load_dword v144, off, s[0:3], 0 offset:932
	buffer_load_dword v143, off, s[0:3], 0 offset:928
	s_waitcnt vmcnt(55) lgkmcnt(0)
	v_mul_f64 v[155:156], v[131:132], v[161:162]
	ds_read_b128 v[2:5], v1 offset:1648
	s_waitcnt vmcnt(53)
	v_fma_f64 v[159:160], v[125:126], v[165:166], -v[159:160]
	v_mul_f64 v[151:152], v[129:130], v[161:162]
	v_add_f64 v[137:138], v[137:138], v[153:154]
	v_fma_f64 v[153:154], v[127:128], v[165:166], v[157:158]
	v_add_f64 v[6:7], v[6:7], v[149:150]
	ds_read_b128 v[125:128], v1 offset:1664
	s_waitcnt vmcnt(49) lgkmcnt(1)
	v_mul_f64 v[157:158], v[4:5], v[167:168]
	s_waitcnt vmcnt(48)
	v_fma_f64 v[155:156], v[129:130], v[163:164], -v[155:156]
	v_mul_f64 v[149:150], v[2:3], v[167:168]
	v_fma_f64 v[151:152], v[131:132], v[163:164], v[151:152]
	v_add_f64 v[137:138], v[137:138], v[159:160]
	s_waitcnt vmcnt(47) lgkmcnt(0)
	v_mul_f64 v[163:164], v[127:128], v[169:170]
	v_add_f64 v[6:7], v[6:7], v[153:154]
	s_clause 0x3
	buffer_load_dword v153, off, s[0:3], 0 offset:576
	buffer_load_dword v154, off, s[0:3], 0 offset:580
	;; [unrolled: 1-line block ×4, first 2 shown]
	s_waitcnt vmcnt(49)
	v_fma_f64 v[157:158], v[2:3], v[173:174], -v[157:158]
	ds_read_b128 v[129:132], v1 offset:1680
	v_mul_f64 v[161:162], v[125:126], v[169:170]
	v_fma_f64 v[149:150], v[4:5], v[173:174], v[149:150]
	ds_read_b128 v[2:5], v1 offset:1696
	v_add_f64 v[137:138], v[137:138], v[155:156]
	s_waitcnt vmcnt(44)
	v_fma_f64 v[163:164], v[125:126], v[171:172], -v[163:164]
	v_add_f64 v[6:7], v[6:7], v[151:152]
	s_waitcnt lgkmcnt(1)
	v_mul_f64 v[155:156], v[131:132], v[175:176]
	v_mul_f64 v[151:152], v[129:130], v[175:176]
	v_add_f64 v[137:138], v[137:138], v[157:158]
	v_fma_f64 v[157:158], v[127:128], v[171:172], v[161:162]
	v_add_f64 v[6:7], v[6:7], v[149:150]
	s_waitcnt vmcnt(43) lgkmcnt(0)
	v_mul_f64 v[161:162], v[4:5], v[177:178]
	s_waitcnt vmcnt(41)
	v_fma_f64 v[155:156], v[129:130], v[181:182], -v[155:156]
	ds_read_b128 v[125:128], v1 offset:1712
	v_mul_f64 v[149:150], v[2:3], v[177:178]
	v_fma_f64 v[151:152], v[131:132], v[181:182], v[151:152]
	ds_read_b128 v[129:132], v1 offset:1728
	v_add_f64 v[137:138], v[137:138], v[163:164]
	v_add_f64 v[6:7], v[6:7], v[157:158]
	s_waitcnt vmcnt(37) lgkmcnt(1)
	v_mul_f64 v[163:164], v[127:128], v[183:184]
	s_waitcnt vmcnt(36)
	v_fma_f64 v[161:162], v[2:3], v[179:180], -v[161:162]
	v_mul_f64 v[157:158], v[125:126], v[183:184]
	v_fma_f64 v[149:150], v[4:5], v[179:180], v[149:150]
	ds_read_b128 v[2:5], v1 offset:1744
	v_add_f64 v[137:138], v[137:138], v[155:156]
	s_waitcnt vmcnt(35) lgkmcnt(1)
	v_mul_f64 v[155:156], v[131:132], v[186:187]
	v_add_f64 v[6:7], v[6:7], v[151:152]
	s_waitcnt vmcnt(33)
	v_fma_f64 v[163:164], v[125:126], v[190:191], -v[163:164]
	v_mul_f64 v[151:152], v[129:130], v[186:187]
	v_fma_f64 v[157:158], v[127:128], v[190:191], v[157:158]
	ds_read_b128 v[125:128], v1 offset:1760
	v_add_f64 v[137:138], v[137:138], v[161:162]
	s_waitcnt vmcnt(29) lgkmcnt(1)
	v_mul_f64 v[161:162], v[4:5], v[194:195]
	v_add_f64 v[6:7], v[6:7], v[149:150]
	s_waitcnt vmcnt(28)
	v_fma_f64 v[155:156], v[129:130], v[188:189], -v[155:156]
	v_mul_f64 v[149:150], v[2:3], v[194:195]
	v_fma_f64 v[151:152], v[131:132], v[188:189], v[151:152]
	ds_read_b128 v[129:132], v1 offset:1776
	v_add_f64 v[137:138], v[137:138], v[163:164]
	v_add_f64 v[6:7], v[6:7], v[157:158]
	s_waitcnt vmcnt(27) lgkmcnt(1)
	v_mul_f64 v[163:164], v[127:128], v[196:197]
	v_mul_f64 v[157:158], v[125:126], v[196:197]
	s_waitcnt vmcnt(25)
	v_fma_f64 v[161:162], v[2:3], v[135:136], -v[161:162]
	v_fma_f64 v[135:136], v[4:5], v[135:136], v[149:150]
	ds_read_b128 v[2:5], v1 offset:1792
	s_waitcnt vmcnt(21) lgkmcnt(1)
	v_mul_f64 v[149:150], v[129:130], v[139:140]
	v_mul_f64 v[139:140], v[131:132], v[139:140]
	v_add_f64 v[137:138], v[137:138], v[155:156]
	v_add_f64 v[6:7], v[6:7], v[151:152]
	s_waitcnt vmcnt(20)
	v_fma_f64 v[151:152], v[125:126], v[198:199], -v[163:164]
	v_fma_f64 v[155:156], v[127:128], v[198:199], v[157:158]
	ds_read_b128 v[125:128], v1 offset:1808
	v_add_f64 v[137:138], v[137:138], v[161:162]
	v_add_f64 v[6:7], v[6:7], v[135:136]
	s_waitcnt vmcnt(19) lgkmcnt(1)
	v_mul_f64 v[157:158], v[4:5], v[200:201]
	v_mul_f64 v[135:136], v[2:3], v[200:201]
	s_waitcnt vmcnt(17)
	v_fma_f64 v[139:140], v[129:130], v[133:134], -v[139:140]
	v_fma_f64 v[133:134], v[131:132], v[133:134], v[149:150]
	ds_read_b128 v[129:132], v1 offset:1824
	v_add_f64 v[137:138], v[137:138], v[151:152]
	v_add_f64 v[6:7], v[6:7], v[155:156]
	s_waitcnt vmcnt(13) lgkmcnt(1)
	v_mul_f64 v[149:150], v[125:126], v[147:148]
	v_mul_f64 v[147:148], v[127:128], v[147:148]
	;; [unrolled: 9-line block ×3, first 2 shown]
	s_waitcnt vmcnt(9)
	v_fma_f64 v[125:126], v[125:126], v[145:146], -v[147:148]
	v_fma_f64 v[127:128], v[127:128], v[145:146], v[149:150]
	v_add_f64 v[137:138], v[137:138], v[151:152]
	v_add_f64 v[5:6], v[5:6], v[135:136]
	s_waitcnt vmcnt(7) lgkmcnt(0)
	v_mul_f64 v[139:140], v[3:4], v[141:142]
	s_waitcnt vmcnt(6)
	v_fma_f64 v[129:130], v[129:130], v[207:208], -v[133:134]
	v_mul_f64 v[135:136], v[1:2], v[141:142]
	v_fma_f64 v[7:8], v[131:132], v[207:208], v[7:8]
	v_add_f64 v[125:126], v[137:138], v[125:126]
	v_add_f64 v[5:6], v[5:6], v[127:128]
	s_waitcnt vmcnt(4)
	v_fma_f64 v[1:2], v[1:2], v[143:144], -v[139:140]
	v_fma_f64 v[3:4], v[3:4], v[143:144], v[135:136]
	v_add_f64 v[125:126], v[125:126], v[129:130]
	v_add_f64 v[5:6], v[5:6], v[7:8]
	;; [unrolled: 1-line block ×4, first 2 shown]
	s_waitcnt vmcnt(2)
	v_add_f64 v[1:2], v[153:154], -v[1:2]
	s_waitcnt vmcnt(0)
	v_add_f64 v[3:4], v[159:160], -v[3:4]
	buffer_store_dword v2, off, s[0:3], 0 offset:580
	buffer_store_dword v1, off, s[0:3], 0 offset:576
	;; [unrolled: 1-line block ×4, first 2 shown]
	v_cmpx_lt_u32_e32 34, v0
	s_cbranch_execz .LBB121_293
; %bb.292:
	v_mov_b32_e32 v4, s36
	v_mov_b32_e32 v5, 0
	s_clause 0x3
	buffer_load_dword v1, v4, s[0:3], 0 offen
	buffer_load_dword v2, v4, s[0:3], 0 offen offset:4
	buffer_load_dword v3, v4, s[0:3], 0 offen offset:8
	;; [unrolled: 1-line block ×3, first 2 shown]
	buffer_store_dword v5, off, s[0:3], 0 offset:560
	buffer_store_dword v5, off, s[0:3], 0 offset:564
	;; [unrolled: 1-line block ×4, first 2 shown]
	s_waitcnt vmcnt(0)
	ds_write_b128 v185, v[1:4]
.LBB121_293:
	s_or_b32 exec_lo, exec_lo, s4
	s_waitcnt lgkmcnt(0)
	s_waitcnt_vscnt null, 0x0
	s_barrier
	buffer_gl0_inv
	s_clause 0x37
	buffer_load_dword v6, off, s[0:3], 0 offset:584
	buffer_load_dword v7, off, s[0:3], 0 offset:588
	;; [unrolled: 1-line block ×56, first 2 shown]
	v_mov_b32_e32 v1, 0
	s_mov_b32 s4, exec_lo
	ds_read_b128 v[2:5], v1 offset:1488
	s_clause 0x2
	buffer_load_dword v187, off, s[0:3], 0 offset:812
	buffer_load_dword v191, off, s[0:3], 0 offset:788
	;; [unrolled: 1-line block ×3, first 2 shown]
	ds_read_b128 v[125:128], v1 offset:1504
	s_clause 0x4
	buffer_load_dword v195, off, s[0:3], 0 offset:828
	buffer_load_dword v196, off, s[0:3], 0 offset:840
	;; [unrolled: 1-line block ×5, first 2 shown]
	ds_read_b128 v[129:132], v1 offset:1520
	s_waitcnt vmcnt(62) lgkmcnt(2)
	v_mul_f64 v[192:193], v[4:5], v[6:7]
	v_mul_f64 v[6:7], v[2:3], v[6:7]
	s_waitcnt vmcnt(60) lgkmcnt(1)
	v_mul_f64 v[199:200], v[127:128], v[133:134]
	v_mul_f64 v[133:134], v[125:126], v[133:134]
	;; [unrolled: 3-line block ×3, first 2 shown]
	v_fma_f64 v[192:193], v[2:3], v[135:136], -v[192:193]
	v_fma_f64 v[6:7], v[4:5], v[135:136], v[6:7]
	s_clause 0x2
	buffer_load_dword v197, off, s[0:3], 0 offset:844
	buffer_load_dword v136, off, s[0:3], 0 offset:820
	;; [unrolled: 1-line block ×3, first 2 shown]
	s_waitcnt vmcnt(57)
	v_fma_f64 v[203:204], v[125:126], v[139:140], -v[199:200]
	ds_read_b128 v[2:5], v1 offset:1536
	v_fma_f64 v[133:134], v[127:128], v[139:140], v[133:134]
	s_clause 0x4
	buffer_load_dword v140, off, s[0:3], 0 offset:860
	buffer_load_dword v200, off, s[0:3], 0 offset:872
	;; [unrolled: 1-line block ×5, first 2 shown]
	s_waitcnt vmcnt(56)
	v_fma_f64 v[137:138], v[129:130], v[147:148], -v[137:138]
	ds_read_b128 v[125:128], v1 offset:1552
	v_fma_f64 v[147:148], v[131:132], v[147:148], v[201:202]
	v_add_f64 v[192:193], v[192:193], 0
	v_add_f64 v[6:7], v[6:7], 0
	s_waitcnt lgkmcnt(1)
	v_mul_f64 v[206:207], v[2:3], v[141:142]
	v_mul_f64 v[141:142], v[4:5], v[141:142]
	v_add_f64 v[192:193], v[192:193], v[203:204]
	v_add_f64 v[6:7], v[6:7], v[133:134]
	s_clause 0x2
	buffer_load_dword v201, off, s[0:3], 0 offset:876
	buffer_load_dword v134, off, s[0:3], 0 offset:852
	;; [unrolled: 1-line block ×3, first 2 shown]
	s_waitcnt vmcnt(58) lgkmcnt(0)
	v_mul_f64 v[202:203], v[125:126], v[143:144]
	v_mul_f64 v[143:144], v[127:128], v[143:144]
	s_waitcnt vmcnt(56)
	v_fma_f64 v[141:142], v[2:3], v[149:150], -v[141:142]
	ds_read_b128 v[129:132], v1 offset:1568
	v_fma_f64 v[149:150], v[4:5], v[149:150], v[206:207]
	v_add_f64 v[137:138], v[192:193], v[137:138]
	v_add_f64 v[6:7], v[6:7], v[147:148]
	s_clause 0x4
	buffer_load_dword v148, off, s[0:3], 0 offset:892
	buffer_load_dword v192, off, s[0:3], 0 offset:904
	buffer_load_dword v207, off, s[0:3], 0 offset:896
	buffer_load_dword v147, off, s[0:3], 0 offset:888
	buffer_load_dword v206, off, s[0:3], 0 offset:868
	ds_read_b128 v[2:5], v1 offset:1584
	s_waitcnt vmcnt(57) lgkmcnt(1)
	v_mul_f64 v[208:209], v[129:130], v[151:152]
	v_mul_f64 v[151:152], v[131:132], v[151:152]
	s_waitcnt vmcnt(56)
	v_fma_f64 v[143:144], v[125:126], v[145:146], -v[143:144]
	v_add_f64 v[137:138], v[137:138], v[141:142]
	v_fma_f64 v[141:142], v[127:128], v[145:146], v[202:203]
	v_add_f64 v[6:7], v[6:7], v[149:150]
	s_clause 0x2
	buffer_load_dword v193, off, s[0:3], 0 offset:908
	buffer_load_dword v146, off, s[0:3], 0 offset:884
	;; [unrolled: 1-line block ×3, first 2 shown]
	s_waitcnt vmcnt(58) lgkmcnt(0)
	v_mul_f64 v[149:150], v[2:3], v[153:154]
	v_mul_f64 v[153:154], v[4:5], v[153:154]
	s_waitcnt vmcnt(56)
	v_fma_f64 v[151:152], v[129:130], v[157:158], -v[151:152]
	ds_read_b128 v[125:128], v1 offset:1600
	v_add_f64 v[137:138], v[137:138], v[143:144]
	v_fma_f64 v[143:144], v[131:132], v[157:158], v[208:209]
	v_add_f64 v[6:7], v[6:7], v[141:142]
	s_clause 0x4
	buffer_load_dword v142, off, s[0:3], 0 offset:924
	buffer_load_dword v157, off, s[0:3], 0 offset:936
	;; [unrolled: 1-line block ×5, first 2 shown]
	ds_read_b128 v[129:132], v1 offset:1616
	s_waitcnt vmcnt(57) lgkmcnt(1)
	v_mul_f64 v[203:204], v[125:126], v[159:160]
	v_mul_f64 v[159:160], v[127:128], v[159:160]
	s_waitcnt vmcnt(56)
	v_fma_f64 v[153:154], v[2:3], v[155:156], -v[153:154]
	v_fma_f64 v[149:150], v[4:5], v[155:156], v[149:150]
	v_add_f64 v[137:138], v[137:138], v[151:152]
	v_add_f64 v[6:7], v[6:7], v[143:144]
	s_clause 0x2
	buffer_load_dword v158, off, s[0:3], 0 offset:940
	buffer_load_dword v144, off, s[0:3], 0 offset:916
	buffer_load_dword v143, off, s[0:3], 0 offset:912
	s_waitcnt vmcnt(58) lgkmcnt(0)
	v_mul_f64 v[155:156], v[131:132], v[161:162]
	ds_read_b128 v[2:5], v1 offset:1632
	s_waitcnt vmcnt(56)
	v_fma_f64 v[159:160], v[125:126], v[165:166], -v[159:160]
	v_mul_f64 v[151:152], v[129:130], v[161:162]
	v_add_f64 v[137:138], v[137:138], v[153:154]
	v_fma_f64 v[153:154], v[127:128], v[165:166], v[203:204]
	v_add_f64 v[6:7], v[6:7], v[149:150]
	buffer_load_dword v203, off, s[0:3], 0 offset:932
	ds_read_b128 v[125:128], v1 offset:1648
	s_waitcnt vmcnt(53) lgkmcnt(1)
	v_mul_f64 v[161:162], v[4:5], v[167:168]
	s_waitcnt vmcnt(52)
	v_fma_f64 v[155:156], v[129:130], v[163:164], -v[155:156]
	v_mul_f64 v[149:150], v[2:3], v[167:168]
	v_fma_f64 v[151:152], v[131:132], v[163:164], v[151:152]
	ds_read_b128 v[129:132], v1 offset:1664
	v_add_f64 v[137:138], v[137:138], v[159:160]
	v_add_f64 v[6:7], v[6:7], v[153:154]
	s_waitcnt vmcnt(51) lgkmcnt(1)
	v_mul_f64 v[159:160], v[127:128], v[169:170]
	v_mul_f64 v[153:154], v[125:126], v[169:170]
	s_waitcnt vmcnt(49)
	v_fma_f64 v[161:162], v[2:3], v[173:174], -v[161:162]
	v_fma_f64 v[149:150], v[4:5], v[173:174], v[149:150]
	s_waitcnt vmcnt(45) lgkmcnt(0)
	v_mul_f64 v[165:166], v[131:132], v[175:176]
	v_mul_f64 v[163:164], v[129:130], v[175:176]
	v_add_f64 v[137:138], v[137:138], v[155:156]
	v_add_f64 v[6:7], v[6:7], v[151:152]
	s_clause 0x3
	buffer_load_dword v151, off, s[0:3], 0 offset:560
	buffer_load_dword v152, off, s[0:3], 0 offset:564
	buffer_load_dword v155, off, s[0:3], 0 offset:568
	buffer_load_dword v156, off, s[0:3], 0 offset:572
	s_waitcnt vmcnt(48)
	v_fma_f64 v[159:160], v[125:126], v[171:172], -v[159:160]
	ds_read_b128 v[2:5], v1 offset:1680
	v_fma_f64 v[153:154], v[127:128], v[171:172], v[153:154]
	ds_read_b128 v[125:128], v1 offset:1696
	s_waitcnt vmcnt(45)
	v_fma_f64 v[165:166], v[129:130], v[181:182], -v[165:166]
	v_add_f64 v[137:138], v[137:138], v[161:162]
	v_add_f64 v[6:7], v[6:7], v[149:150]
	s_waitcnt lgkmcnt(1)
	v_mul_f64 v[161:162], v[4:5], v[177:178]
	v_mul_f64 v[149:150], v[2:3], v[177:178]
	v_add_f64 v[137:138], v[137:138], v[159:160]
	v_fma_f64 v[159:160], v[131:132], v[181:182], v[163:164]
	v_add_f64 v[6:7], v[6:7], v[153:154]
	s_waitcnt vmcnt(41) lgkmcnt(0)
	v_mul_f64 v[163:164], v[127:128], v[183:184]
	s_waitcnt vmcnt(40)
	v_fma_f64 v[161:162], v[2:3], v[179:180], -v[161:162]
	ds_read_b128 v[129:132], v1 offset:1712
	v_mul_f64 v[153:154], v[125:126], v[183:184]
	v_fma_f64 v[149:150], v[4:5], v[179:180], v[149:150]
	ds_read_b128 v[2:5], v1 offset:1728
	v_add_f64 v[137:138], v[137:138], v[165:166]
	v_add_f64 v[6:7], v[6:7], v[159:160]
	s_waitcnt vmcnt(39) lgkmcnt(1)
	v_mul_f64 v[165:166], v[131:132], v[186:187]
	s_waitcnt vmcnt(37)
	v_fma_f64 v[163:164], v[125:126], v[190:191], -v[163:164]
	v_mul_f64 v[159:160], v[129:130], v[186:187]
	v_fma_f64 v[153:154], v[127:128], v[190:191], v[153:154]
	ds_read_b128 v[125:128], v1 offset:1744
	v_add_f64 v[137:138], v[137:138], v[161:162]
	s_waitcnt vmcnt(33) lgkmcnt(1)
	v_mul_f64 v[161:162], v[4:5], v[194:195]
	v_add_f64 v[6:7], v[6:7], v[149:150]
	s_waitcnt vmcnt(32)
	v_fma_f64 v[165:166], v[129:130], v[188:189], -v[165:166]
	v_mul_f64 v[149:150], v[2:3], v[194:195]
	v_fma_f64 v[159:160], v[131:132], v[188:189], v[159:160]
	ds_read_b128 v[129:132], v1 offset:1760
	v_add_f64 v[137:138], v[137:138], v[163:164]
	v_add_f64 v[6:7], v[6:7], v[153:154]
	s_waitcnt vmcnt(31) lgkmcnt(1)
	v_mul_f64 v[163:164], v[127:128], v[196:197]
	v_mul_f64 v[153:154], v[125:126], v[196:197]
	s_waitcnt vmcnt(29)
	v_fma_f64 v[161:162], v[2:3], v[135:136], -v[161:162]
	v_fma_f64 v[135:136], v[4:5], v[135:136], v[149:150]
	ds_read_b128 v[2:5], v1 offset:1776
	s_waitcnt vmcnt(25) lgkmcnt(1)
	v_mul_f64 v[149:150], v[129:130], v[139:140]
	v_mul_f64 v[139:140], v[131:132], v[139:140]
	v_add_f64 v[137:138], v[137:138], v[165:166]
	v_add_f64 v[6:7], v[6:7], v[159:160]
	s_waitcnt vmcnt(24)
	v_fma_f64 v[159:160], v[125:126], v[198:199], -v[163:164]
	v_fma_f64 v[153:154], v[127:128], v[198:199], v[153:154]
	ds_read_b128 v[125:128], v1 offset:1792
	v_add_f64 v[137:138], v[137:138], v[161:162]
	v_add_f64 v[6:7], v[6:7], v[135:136]
	s_waitcnt vmcnt(23) lgkmcnt(1)
	v_mul_f64 v[161:162], v[4:5], v[200:201]
	v_mul_f64 v[135:136], v[2:3], v[200:201]
	s_waitcnt vmcnt(21)
	v_fma_f64 v[139:140], v[129:130], v[133:134], -v[139:140]
	v_fma_f64 v[133:134], v[131:132], v[133:134], v[149:150]
	ds_read_b128 v[129:132], v1 offset:1808
	v_add_f64 v[137:138], v[137:138], v[159:160]
	v_add_f64 v[6:7], v[6:7], v[153:154]
	s_waitcnt vmcnt(17) lgkmcnt(1)
	v_mul_f64 v[149:150], v[125:126], v[147:148]
	v_mul_f64 v[147:148], v[127:128], v[147:148]
	;; [unrolled: 9-line block ×4, first 2 shown]
	s_waitcnt vmcnt(8)
	v_fma_f64 v[129:130], v[129:130], v[207:208], -v[139:140]
	v_fma_f64 v[131:132], v[131:132], v[207:208], v[133:134]
	v_add_f64 v[137:138], v[137:138], v[147:148]
	v_add_f64 v[6:7], v[6:7], v[145:146]
	s_waitcnt vmcnt(7) lgkmcnt(0)
	v_mul_f64 v[139:140], v[127:128], v[157:158]
	v_mul_f64 v[133:134], v[125:126], v[157:158]
	s_waitcnt vmcnt(5)
	v_fma_f64 v[2:3], v[2:3], v[143:144], -v[141:142]
	v_fma_f64 v[4:5], v[4:5], v[143:144], v[135:136]
	v_add_f64 v[129:130], v[137:138], v[129:130]
	v_add_f64 v[6:7], v[6:7], v[131:132]
	s_waitcnt vmcnt(4)
	v_fma_f64 v[125:126], v[125:126], v[202:203], -v[139:140]
	v_fma_f64 v[127:128], v[127:128], v[202:203], v[133:134]
	v_add_f64 v[2:3], v[129:130], v[2:3]
	v_add_f64 v[4:5], v[6:7], v[4:5]
	;; [unrolled: 1-line block ×4, first 2 shown]
	s_waitcnt vmcnt(2)
	v_add_f64 v[2:3], v[151:152], -v[2:3]
	s_waitcnt vmcnt(0)
	v_add_f64 v[4:5], v[155:156], -v[4:5]
	buffer_store_dword v3, off, s[0:3], 0 offset:564
	buffer_store_dword v2, off, s[0:3], 0 offset:560
	;; [unrolled: 1-line block ×4, first 2 shown]
	v_cmpx_lt_u32_e32 33, v0
	s_cbranch_execz .LBB121_295
; %bb.294:
	v_mov_b32_e32 v5, s37
	s_clause 0x3
	buffer_load_dword v2, v5, s[0:3], 0 offen
	buffer_load_dword v3, v5, s[0:3], 0 offen offset:4
	buffer_load_dword v4, v5, s[0:3], 0 offen offset:8
	;; [unrolled: 1-line block ×3, first 2 shown]
	buffer_store_dword v1, off, s[0:3], 0 offset:544
	buffer_store_dword v1, off, s[0:3], 0 offset:548
	;; [unrolled: 1-line block ×4, first 2 shown]
	s_waitcnt vmcnt(0)
	ds_write_b128 v185, v[2:5]
.LBB121_295:
	s_or_b32 exec_lo, exec_lo, s4
	s_waitcnt lgkmcnt(0)
	s_waitcnt_vscnt null, 0x0
	s_barrier
	buffer_gl0_inv
	s_clause 0x37
	buffer_load_dword v6, off, s[0:3], 0 offset:568
	buffer_load_dword v7, off, s[0:3], 0 offset:572
	buffer_load_dword v133, off, s[0:3], 0 offset:584
	buffer_load_dword v134, off, s[0:3], 0 offset:588
	buffer_load_dword v135, off, s[0:3], 0 offset:560
	buffer_load_dword v136, off, s[0:3], 0 offset:564
	buffer_load_dword v137, off, s[0:3], 0 offset:600
	buffer_load_dword v138, off, s[0:3], 0 offset:604
	buffer_load_dword v139, off, s[0:3], 0 offset:576
	buffer_load_dword v140, off, s[0:3], 0 offset:580
	buffer_load_dword v142, off, s[0:3], 0 offset:620
	buffer_load_dword v143, off, s[0:3], 0 offset:632
	buffer_load_dword v145, off, s[0:3], 0 offset:624
	buffer_load_dword v141, off, s[0:3], 0 offset:616
	buffer_load_dword v147, off, s[0:3], 0 offset:592
	buffer_load_dword v148, off, s[0:3], 0 offset:596
	buffer_load_dword v144, off, s[0:3], 0 offset:636
	buffer_load_dword v150, off, s[0:3], 0 offset:612
	buffer_load_dword v149, off, s[0:3], 0 offset:608
	buffer_load_dword v152, off, s[0:3], 0 offset:652
	buffer_load_dword v153, off, s[0:3], 0 offset:664
	buffer_load_dword v155, off, s[0:3], 0 offset:656
	buffer_load_dword v151, off, s[0:3], 0 offset:648
	buffer_load_dword v146, off, s[0:3], 0 offset:628
	buffer_load_dword v154, off, s[0:3], 0 offset:668
	buffer_load_dword v158, off, s[0:3], 0 offset:644
	buffer_load_dword v157, off, s[0:3], 0 offset:640
	buffer_load_dword v160, off, s[0:3], 0 offset:684
	buffer_load_dword v161, off, s[0:3], 0 offset:696
	buffer_load_dword v163, off, s[0:3], 0 offset:688
	buffer_load_dword v159, off, s[0:3], 0 offset:680
	buffer_load_dword v156, off, s[0:3], 0 offset:660
	buffer_load_dword v162, off, s[0:3], 0 offset:700
	buffer_load_dword v166, off, s[0:3], 0 offset:676
	buffer_load_dword v165, off, s[0:3], 0 offset:672
	buffer_load_dword v168, off, s[0:3], 0 offset:716
	buffer_load_dword v169, off, s[0:3], 0 offset:728
	buffer_load_dword v171, off, s[0:3], 0 offset:720
	buffer_load_dword v167, off, s[0:3], 0 offset:712
	buffer_load_dword v164, off, s[0:3], 0 offset:692
	buffer_load_dword v170, off, s[0:3], 0 offset:732
	buffer_load_dword v174, off, s[0:3], 0 offset:708
	buffer_load_dword v173, off, s[0:3], 0 offset:704
	buffer_load_dword v176, off, s[0:3], 0 offset:748
	buffer_load_dword v177, off, s[0:3], 0 offset:760
	buffer_load_dword v179, off, s[0:3], 0 offset:752
	buffer_load_dword v175, off, s[0:3], 0 offset:744
	buffer_load_dword v172, off, s[0:3], 0 offset:724
	buffer_load_dword v178, off, s[0:3], 0 offset:764
	buffer_load_dword v182, off, s[0:3], 0 offset:740
	buffer_load_dword v181, off, s[0:3], 0 offset:736
	buffer_load_dword v184, off, s[0:3], 0 offset:780
	buffer_load_dword v186, off, s[0:3], 0 offset:792
	buffer_load_dword v188, off, s[0:3], 0 offset:784
	buffer_load_dword v183, off, s[0:3], 0 offset:776
	buffer_load_dword v180, off, s[0:3], 0 offset:756
	ds_read_b128 v[2:5], v1 offset:1472
	s_clause 0x2
	buffer_load_dword v187, off, s[0:3], 0 offset:796
	buffer_load_dword v191, off, s[0:3], 0 offset:772
	;; [unrolled: 1-line block ×3, first 2 shown]
	ds_read_b128 v[125:128], v1 offset:1488
	s_clause 0x4
	buffer_load_dword v195, off, s[0:3], 0 offset:812
	buffer_load_dword v196, off, s[0:3], 0 offset:824
	;; [unrolled: 1-line block ×5, first 2 shown]
	ds_read_b128 v[129:132], v1 offset:1504
	s_mov_b32 s4, exec_lo
	s_waitcnt vmcnt(62) lgkmcnt(2)
	v_mul_f64 v[192:193], v[4:5], v[6:7]
	v_mul_f64 v[6:7], v[2:3], v[6:7]
	s_waitcnt vmcnt(60) lgkmcnt(1)
	v_mul_f64 v[199:200], v[127:128], v[133:134]
	v_mul_f64 v[133:134], v[125:126], v[133:134]
	;; [unrolled: 3-line block ×3, first 2 shown]
	v_fma_f64 v[192:193], v[2:3], v[135:136], -v[192:193]
	v_fma_f64 v[6:7], v[4:5], v[135:136], v[6:7]
	s_clause 0x2
	buffer_load_dword v197, off, s[0:3], 0 offset:828
	buffer_load_dword v136, off, s[0:3], 0 offset:804
	;; [unrolled: 1-line block ×3, first 2 shown]
	s_waitcnt vmcnt(57)
	v_fma_f64 v[203:204], v[125:126], v[139:140], -v[199:200]
	ds_read_b128 v[2:5], v1 offset:1520
	v_fma_f64 v[133:134], v[127:128], v[139:140], v[133:134]
	s_clause 0x4
	buffer_load_dword v140, off, s[0:3], 0 offset:844
	buffer_load_dword v200, off, s[0:3], 0 offset:856
	;; [unrolled: 1-line block ×5, first 2 shown]
	s_waitcnt vmcnt(56)
	v_fma_f64 v[137:138], v[129:130], v[147:148], -v[137:138]
	ds_read_b128 v[125:128], v1 offset:1536
	v_fma_f64 v[147:148], v[131:132], v[147:148], v[201:202]
	v_add_f64 v[192:193], v[192:193], 0
	v_add_f64 v[6:7], v[6:7], 0
	s_waitcnt lgkmcnt(1)
	v_mul_f64 v[206:207], v[2:3], v[141:142]
	v_mul_f64 v[141:142], v[4:5], v[141:142]
	v_add_f64 v[192:193], v[192:193], v[203:204]
	v_add_f64 v[6:7], v[6:7], v[133:134]
	s_clause 0x2
	buffer_load_dword v201, off, s[0:3], 0 offset:860
	buffer_load_dword v134, off, s[0:3], 0 offset:836
	;; [unrolled: 1-line block ×3, first 2 shown]
	s_waitcnt vmcnt(58) lgkmcnt(0)
	v_mul_f64 v[202:203], v[125:126], v[143:144]
	v_mul_f64 v[143:144], v[127:128], v[143:144]
	s_waitcnt vmcnt(56)
	v_fma_f64 v[141:142], v[2:3], v[149:150], -v[141:142]
	ds_read_b128 v[129:132], v1 offset:1552
	v_fma_f64 v[149:150], v[4:5], v[149:150], v[206:207]
	v_add_f64 v[137:138], v[192:193], v[137:138]
	v_add_f64 v[6:7], v[6:7], v[147:148]
	s_clause 0x4
	buffer_load_dword v148, off, s[0:3], 0 offset:876
	buffer_load_dword v192, off, s[0:3], 0 offset:888
	;; [unrolled: 1-line block ×5, first 2 shown]
	ds_read_b128 v[2:5], v1 offset:1568
	s_waitcnt vmcnt(57) lgkmcnt(1)
	v_mul_f64 v[208:209], v[129:130], v[151:152]
	v_mul_f64 v[151:152], v[131:132], v[151:152]
	s_waitcnt vmcnt(56)
	v_fma_f64 v[143:144], v[125:126], v[145:146], -v[143:144]
	v_add_f64 v[137:138], v[137:138], v[141:142]
	v_fma_f64 v[141:142], v[127:128], v[145:146], v[202:203]
	v_add_f64 v[6:7], v[6:7], v[149:150]
	s_clause 0x2
	buffer_load_dword v193, off, s[0:3], 0 offset:892
	buffer_load_dword v146, off, s[0:3], 0 offset:868
	;; [unrolled: 1-line block ×3, first 2 shown]
	s_waitcnt vmcnt(58) lgkmcnt(0)
	v_mul_f64 v[149:150], v[2:3], v[153:154]
	v_mul_f64 v[153:154], v[4:5], v[153:154]
	s_waitcnt vmcnt(56)
	v_fma_f64 v[151:152], v[129:130], v[157:158], -v[151:152]
	ds_read_b128 v[125:128], v1 offset:1584
	v_add_f64 v[137:138], v[137:138], v[143:144]
	v_fma_f64 v[143:144], v[131:132], v[157:158], v[208:209]
	v_add_f64 v[6:7], v[6:7], v[141:142]
	s_clause 0x4
	buffer_load_dword v142, off, s[0:3], 0 offset:908
	buffer_load_dword v157, off, s[0:3], 0 offset:920
	;; [unrolled: 1-line block ×5, first 2 shown]
	ds_read_b128 v[129:132], v1 offset:1600
	s_waitcnt vmcnt(57) lgkmcnt(1)
	v_mul_f64 v[203:204], v[125:126], v[159:160]
	v_mul_f64 v[159:160], v[127:128], v[159:160]
	s_waitcnt vmcnt(56)
	v_fma_f64 v[153:154], v[2:3], v[155:156], -v[153:154]
	v_fma_f64 v[149:150], v[4:5], v[155:156], v[149:150]
	v_add_f64 v[137:138], v[137:138], v[151:152]
	v_add_f64 v[6:7], v[6:7], v[143:144]
	s_clause 0x2
	buffer_load_dword v158, off, s[0:3], 0 offset:924
	buffer_load_dword v144, off, s[0:3], 0 offset:900
	;; [unrolled: 1-line block ×3, first 2 shown]
	s_waitcnt vmcnt(58) lgkmcnt(0)
	v_mul_f64 v[155:156], v[131:132], v[161:162]
	ds_read_b128 v[2:5], v1 offset:1616
	s_waitcnt vmcnt(56)
	v_fma_f64 v[159:160], v[125:126], v[165:166], -v[159:160]
	v_mul_f64 v[151:152], v[129:130], v[161:162]
	v_add_f64 v[137:138], v[137:138], v[153:154]
	v_fma_f64 v[153:154], v[127:128], v[165:166], v[203:204]
	v_add_f64 v[6:7], v[6:7], v[149:150]
	s_clause 0x2
	buffer_load_dword v150, off, s[0:3], 0 offset:940
	buffer_load_dword v149, off, s[0:3], 0 offset:936
	;; [unrolled: 1-line block ×3, first 2 shown]
	s_waitcnt vmcnt(55) lgkmcnt(0)
	v_mul_f64 v[165:166], v[4:5], v[167:168]
	s_waitcnt vmcnt(54)
	v_fma_f64 v[155:156], v[129:130], v[163:164], -v[155:156]
	ds_read_b128 v[125:128], v1 offset:1632
	v_mul_f64 v[161:162], v[2:3], v[167:168]
	v_fma_f64 v[151:152], v[131:132], v[163:164], v[151:152]
	v_add_f64 v[137:138], v[137:138], v[159:160]
	v_add_f64 v[6:7], v[6:7], v[153:154]
	s_clause 0x1
	buffer_load_dword v154, off, s[0:3], 0 offset:932
	buffer_load_dword v153, off, s[0:3], 0 offset:928
	s_waitcnt vmcnt(55) lgkmcnt(0)
	v_mul_f64 v[163:164], v[127:128], v[169:170]
	s_waitcnt vmcnt(53)
	v_fma_f64 v[165:166], v[2:3], v[173:174], -v[165:166]
	ds_read_b128 v[129:132], v1 offset:1648
	v_mul_f64 v[159:160], v[125:126], v[169:170]
	v_add_f64 v[137:138], v[137:138], v[155:156]
	v_fma_f64 v[155:156], v[4:5], v[173:174], v[161:162]
	v_add_f64 v[6:7], v[6:7], v[151:152]
	ds_read_b128 v[2:5], v1 offset:1664
	s_waitcnt vmcnt(49) lgkmcnt(1)
	v_mul_f64 v[161:162], v[131:132], v[175:176]
	s_waitcnt vmcnt(48)
	v_fma_f64 v[163:164], v[125:126], v[171:172], -v[163:164]
	v_mul_f64 v[151:152], v[129:130], v[175:176]
	v_fma_f64 v[159:160], v[127:128], v[171:172], v[159:160]
	v_add_f64 v[137:138], v[137:138], v[165:166]
	s_waitcnt vmcnt(47) lgkmcnt(0)
	v_mul_f64 v[169:170], v[4:5], v[177:178]
	v_add_f64 v[6:7], v[6:7], v[155:156]
	s_clause 0x3
	buffer_load_dword v155, off, s[0:3], 0 offset:544
	buffer_load_dword v156, off, s[0:3], 0 offset:548
	;; [unrolled: 1-line block ×4, first 2 shown]
	s_waitcnt vmcnt(49)
	v_fma_f64 v[161:162], v[129:130], v[181:182], -v[161:162]
	ds_read_b128 v[125:128], v1 offset:1680
	v_mul_f64 v[167:168], v[2:3], v[177:178]
	v_fma_f64 v[151:152], v[131:132], v[181:182], v[151:152]
	ds_read_b128 v[129:132], v1 offset:1696
	v_add_f64 v[137:138], v[137:138], v[163:164]
	s_waitcnt vmcnt(44)
	v_fma_f64 v[169:170], v[2:3], v[179:180], -v[169:170]
	v_add_f64 v[6:7], v[6:7], v[159:160]
	s_waitcnt lgkmcnt(1)
	v_mul_f64 v[163:164], v[127:128], v[183:184]
	v_mul_f64 v[159:160], v[125:126], v[183:184]
	v_add_f64 v[137:138], v[137:138], v[161:162]
	v_fma_f64 v[161:162], v[4:5], v[179:180], v[167:168]
	v_add_f64 v[6:7], v[6:7], v[151:152]
	s_waitcnt vmcnt(43) lgkmcnt(0)
	v_mul_f64 v[167:168], v[131:132], v[186:187]
	s_waitcnt vmcnt(41)
	v_fma_f64 v[163:164], v[125:126], v[190:191], -v[163:164]
	ds_read_b128 v[2:5], v1 offset:1712
	v_mul_f64 v[151:152], v[129:130], v[186:187]
	v_fma_f64 v[159:160], v[127:128], v[190:191], v[159:160]
	ds_read_b128 v[125:128], v1 offset:1728
	v_add_f64 v[137:138], v[137:138], v[169:170]
	v_add_f64 v[6:7], v[6:7], v[161:162]
	s_waitcnt vmcnt(37) lgkmcnt(1)
	v_mul_f64 v[169:170], v[4:5], v[194:195]
	s_waitcnt vmcnt(36)
	v_fma_f64 v[167:168], v[129:130], v[188:189], -v[167:168]
	v_mul_f64 v[161:162], v[2:3], v[194:195]
	v_fma_f64 v[151:152], v[131:132], v[188:189], v[151:152]
	ds_read_b128 v[129:132], v1 offset:1744
	v_add_f64 v[137:138], v[137:138], v[163:164]
	v_add_f64 v[6:7], v[6:7], v[159:160]
	s_waitcnt vmcnt(35) lgkmcnt(1)
	v_mul_f64 v[163:164], v[127:128], v[196:197]
	v_mul_f64 v[159:160], v[125:126], v[196:197]
	s_waitcnt vmcnt(33)
	v_fma_f64 v[169:170], v[2:3], v[135:136], -v[169:170]
	v_fma_f64 v[135:136], v[4:5], v[135:136], v[161:162]
	ds_read_b128 v[2:5], v1 offset:1760
	v_add_f64 v[137:138], v[137:138], v[167:168]
	v_add_f64 v[6:7], v[6:7], v[151:152]
	s_waitcnt vmcnt(29) lgkmcnt(1)
	v_mul_f64 v[151:152], v[129:130], v[139:140]
	v_mul_f64 v[139:140], v[131:132], v[139:140]
	s_waitcnt vmcnt(28)
	v_fma_f64 v[161:162], v[125:126], v[198:199], -v[163:164]
	;; [unrolled: 9-line block ×7, first 2 shown]
	v_fma_f64 v[3:4], v[4:5], v[143:144], v[135:136]
	v_add_f64 v[137:138], v[137:138], v[139:140]
	v_add_f64 v[5:6], v[6:7], v[133:134]
	s_waitcnt vmcnt(7) lgkmcnt(0)
	v_mul_f64 v[133:134], v[131:132], v[149:150]
	s_waitcnt vmcnt(6)
	v_fma_f64 v[125:126], v[125:126], v[202:203], -v[147:148]
	v_mul_f64 v[7:8], v[129:130], v[149:150]
	v_fma_f64 v[127:128], v[127:128], v[202:203], v[145:146]
	v_add_f64 v[1:2], v[137:138], v[1:2]
	v_add_f64 v[3:4], v[5:6], v[3:4]
	s_waitcnt vmcnt(4)
	v_fma_f64 v[5:6], v[129:130], v[153:154], -v[133:134]
	v_fma_f64 v[7:8], v[131:132], v[153:154], v[7:8]
	v_add_f64 v[1:2], v[1:2], v[125:126]
	v_add_f64 v[3:4], v[3:4], v[127:128]
	v_add_f64 v[1:2], v[1:2], v[5:6]
	v_add_f64 v[3:4], v[3:4], v[7:8]
	s_waitcnt vmcnt(2)
	v_add_f64 v[1:2], v[155:156], -v[1:2]
	s_waitcnt vmcnt(0)
	v_add_f64 v[3:4], v[165:166], -v[3:4]
	buffer_store_dword v2, off, s[0:3], 0 offset:548
	buffer_store_dword v1, off, s[0:3], 0 offset:544
	;; [unrolled: 1-line block ×4, first 2 shown]
	v_cmpx_lt_u32_e32 32, v0
	s_cbranch_execz .LBB121_297
; %bb.296:
	v_mov_b32_e32 v4, s38
	v_mov_b32_e32 v5, 0
	s_clause 0x3
	buffer_load_dword v1, v4, s[0:3], 0 offen
	buffer_load_dword v2, v4, s[0:3], 0 offen offset:4
	buffer_load_dword v3, v4, s[0:3], 0 offen offset:8
	;; [unrolled: 1-line block ×3, first 2 shown]
	buffer_store_dword v5, off, s[0:3], 0 offset:528
	buffer_store_dword v5, off, s[0:3], 0 offset:532
	;; [unrolled: 1-line block ×4, first 2 shown]
	s_waitcnt vmcnt(0)
	ds_write_b128 v185, v[1:4]
.LBB121_297:
	s_or_b32 exec_lo, exec_lo, s4
	s_waitcnt lgkmcnt(0)
	s_waitcnt_vscnt null, 0x0
	s_barrier
	buffer_gl0_inv
	s_clause 0x37
	buffer_load_dword v6, off, s[0:3], 0 offset:552
	buffer_load_dword v7, off, s[0:3], 0 offset:556
	;; [unrolled: 1-line block ×56, first 2 shown]
	v_mov_b32_e32 v1, 0
	s_mov_b32 s4, exec_lo
	ds_read_b128 v[2:5], v1 offset:1456
	s_clause 0x2
	buffer_load_dword v187, off, s[0:3], 0 offset:780
	buffer_load_dword v191, off, s[0:3], 0 offset:756
	;; [unrolled: 1-line block ×3, first 2 shown]
	ds_read_b128 v[125:128], v1 offset:1472
	s_clause 0x4
	buffer_load_dword v195, off, s[0:3], 0 offset:796
	buffer_load_dword v196, off, s[0:3], 0 offset:808
	;; [unrolled: 1-line block ×5, first 2 shown]
	ds_read_b128 v[129:132], v1 offset:1488
	s_waitcnt vmcnt(62) lgkmcnt(2)
	v_mul_f64 v[192:193], v[4:5], v[6:7]
	v_mul_f64 v[6:7], v[2:3], v[6:7]
	s_waitcnt vmcnt(60) lgkmcnt(1)
	v_mul_f64 v[199:200], v[127:128], v[133:134]
	v_mul_f64 v[133:134], v[125:126], v[133:134]
	;; [unrolled: 3-line block ×3, first 2 shown]
	v_fma_f64 v[192:193], v[2:3], v[135:136], -v[192:193]
	v_fma_f64 v[6:7], v[4:5], v[135:136], v[6:7]
	s_clause 0x2
	buffer_load_dword v197, off, s[0:3], 0 offset:812
	buffer_load_dword v136, off, s[0:3], 0 offset:788
	;; [unrolled: 1-line block ×3, first 2 shown]
	s_waitcnt vmcnt(57)
	v_fma_f64 v[203:204], v[125:126], v[139:140], -v[199:200]
	ds_read_b128 v[2:5], v1 offset:1504
	v_fma_f64 v[133:134], v[127:128], v[139:140], v[133:134]
	s_clause 0x4
	buffer_load_dword v140, off, s[0:3], 0 offset:828
	buffer_load_dword v200, off, s[0:3], 0 offset:840
	;; [unrolled: 1-line block ×5, first 2 shown]
	s_waitcnt vmcnt(56)
	v_fma_f64 v[137:138], v[129:130], v[147:148], -v[137:138]
	ds_read_b128 v[125:128], v1 offset:1520
	v_fma_f64 v[147:148], v[131:132], v[147:148], v[201:202]
	v_add_f64 v[192:193], v[192:193], 0
	v_add_f64 v[6:7], v[6:7], 0
	s_waitcnt lgkmcnt(1)
	v_mul_f64 v[206:207], v[2:3], v[141:142]
	v_mul_f64 v[141:142], v[4:5], v[141:142]
	v_add_f64 v[192:193], v[192:193], v[203:204]
	v_add_f64 v[6:7], v[6:7], v[133:134]
	s_clause 0x2
	buffer_load_dword v201, off, s[0:3], 0 offset:844
	buffer_load_dword v134, off, s[0:3], 0 offset:820
	;; [unrolled: 1-line block ×3, first 2 shown]
	s_waitcnt vmcnt(58) lgkmcnt(0)
	v_mul_f64 v[202:203], v[125:126], v[143:144]
	v_mul_f64 v[143:144], v[127:128], v[143:144]
	s_waitcnt vmcnt(56)
	v_fma_f64 v[141:142], v[2:3], v[149:150], -v[141:142]
	ds_read_b128 v[129:132], v1 offset:1536
	v_fma_f64 v[149:150], v[4:5], v[149:150], v[206:207]
	v_add_f64 v[137:138], v[192:193], v[137:138]
	v_add_f64 v[6:7], v[6:7], v[147:148]
	s_clause 0x4
	buffer_load_dword v148, off, s[0:3], 0 offset:860
	buffer_load_dword v192, off, s[0:3], 0 offset:872
	;; [unrolled: 1-line block ×5, first 2 shown]
	ds_read_b128 v[2:5], v1 offset:1552
	s_waitcnt vmcnt(57) lgkmcnt(1)
	v_mul_f64 v[208:209], v[129:130], v[151:152]
	v_mul_f64 v[151:152], v[131:132], v[151:152]
	s_waitcnt vmcnt(56)
	v_fma_f64 v[143:144], v[125:126], v[145:146], -v[143:144]
	v_add_f64 v[137:138], v[137:138], v[141:142]
	v_fma_f64 v[141:142], v[127:128], v[145:146], v[202:203]
	v_add_f64 v[6:7], v[6:7], v[149:150]
	s_clause 0x2
	buffer_load_dword v193, off, s[0:3], 0 offset:876
	buffer_load_dword v146, off, s[0:3], 0 offset:852
	;; [unrolled: 1-line block ×3, first 2 shown]
	s_waitcnt vmcnt(58) lgkmcnt(0)
	v_mul_f64 v[149:150], v[2:3], v[153:154]
	v_mul_f64 v[153:154], v[4:5], v[153:154]
	s_waitcnt vmcnt(56)
	v_fma_f64 v[151:152], v[129:130], v[157:158], -v[151:152]
	ds_read_b128 v[125:128], v1 offset:1568
	v_add_f64 v[137:138], v[137:138], v[143:144]
	v_fma_f64 v[143:144], v[131:132], v[157:158], v[208:209]
	v_add_f64 v[6:7], v[6:7], v[141:142]
	s_clause 0x4
	buffer_load_dword v142, off, s[0:3], 0 offset:892
	buffer_load_dword v157, off, s[0:3], 0 offset:904
	;; [unrolled: 1-line block ×5, first 2 shown]
	ds_read_b128 v[129:132], v1 offset:1584
	s_waitcnt vmcnt(57) lgkmcnt(1)
	v_mul_f64 v[203:204], v[125:126], v[159:160]
	v_mul_f64 v[159:160], v[127:128], v[159:160]
	s_waitcnt vmcnt(56)
	v_fma_f64 v[153:154], v[2:3], v[155:156], -v[153:154]
	v_fma_f64 v[149:150], v[4:5], v[155:156], v[149:150]
	v_add_f64 v[137:138], v[137:138], v[151:152]
	v_add_f64 v[6:7], v[6:7], v[143:144]
	s_clause 0x2
	buffer_load_dword v158, off, s[0:3], 0 offset:908
	buffer_load_dword v144, off, s[0:3], 0 offset:884
	;; [unrolled: 1-line block ×3, first 2 shown]
	s_waitcnt vmcnt(58) lgkmcnt(0)
	v_mul_f64 v[155:156], v[131:132], v[161:162]
	ds_read_b128 v[2:5], v1 offset:1600
	s_waitcnt vmcnt(56)
	v_fma_f64 v[159:160], v[125:126], v[165:166], -v[159:160]
	v_mul_f64 v[151:152], v[129:130], v[161:162]
	v_add_f64 v[137:138], v[137:138], v[153:154]
	v_fma_f64 v[153:154], v[127:128], v[165:166], v[203:204]
	v_add_f64 v[6:7], v[6:7], v[149:150]
	s_clause 0x4
	buffer_load_dword v150, off, s[0:3], 0 offset:924
	buffer_load_dword v161, off, s[0:3], 0 offset:936
	;; [unrolled: 1-line block ×5, first 2 shown]
	s_waitcnt vmcnt(57) lgkmcnt(0)
	v_mul_f64 v[209:210], v[2:3], v[167:168]
	v_mul_f64 v[166:167], v[4:5], v[167:168]
	s_waitcnt vmcnt(56)
	v_fma_f64 v[155:156], v[129:130], v[163:164], -v[155:156]
	ds_read_b128 v[125:128], v1 offset:1616
	v_fma_f64 v[151:152], v[131:132], v[163:164], v[151:152]
	v_add_f64 v[137:138], v[137:138], v[159:160]
	v_add_f64 v[6:7], v[6:7], v[153:154]
	s_clause 0x2
	buffer_load_dword v162, off, s[0:3], 0 offset:940
	buffer_load_dword v154, off, s[0:3], 0 offset:916
	;; [unrolled: 1-line block ×3, first 2 shown]
	ds_read_b128 v[129:132], v1 offset:1632
	s_waitcnt vmcnt(58) lgkmcnt(1)
	v_mul_f64 v[163:164], v[127:128], v[169:170]
	s_waitcnt vmcnt(56)
	v_fma_f64 v[167:168], v[2:3], v[173:174], -v[166:167]
	v_mul_f64 v[159:160], v[125:126], v[169:170]
	buffer_load_dword v166, off, s[0:3], 0 offset:932
	v_add_f64 v[137:138], v[137:138], v[155:156]
	v_fma_f64 v[155:156], v[4:5], v[173:174], v[209:210]
	v_add_f64 v[6:7], v[6:7], v[151:152]
	ds_read_b128 v[2:5], v1 offset:1648
	s_waitcnt vmcnt(53) lgkmcnt(1)
	v_mul_f64 v[169:170], v[131:132], v[175:176]
	s_waitcnt vmcnt(52)
	v_fma_f64 v[163:164], v[125:126], v[171:172], -v[163:164]
	v_mul_f64 v[151:152], v[129:130], v[175:176]
	v_fma_f64 v[159:160], v[127:128], v[171:172], v[159:160]
	ds_read_b128 v[125:128], v1 offset:1664
	v_add_f64 v[137:138], v[137:138], v[167:168]
	s_waitcnt vmcnt(51) lgkmcnt(1)
	v_mul_f64 v[167:168], v[4:5], v[177:178]
	v_add_f64 v[6:7], v[6:7], v[155:156]
	v_mul_f64 v[155:156], v[2:3], v[177:178]
	s_waitcnt vmcnt(49)
	v_fma_f64 v[169:170], v[129:130], v[181:182], -v[169:170]
	v_fma_f64 v[151:152], v[131:132], v[181:182], v[151:152]
	s_waitcnt vmcnt(45) lgkmcnt(0)
	v_mul_f64 v[173:174], v[127:128], v[183:184]
	v_mul_f64 v[171:172], v[125:126], v[183:184]
	v_add_f64 v[137:138], v[137:138], v[163:164]
	s_waitcnt vmcnt(44)
	v_fma_f64 v[167:168], v[2:3], v[179:180], -v[167:168]
	v_add_f64 v[6:7], v[6:7], v[159:160]
	s_clause 0x3
	buffer_load_dword v159, off, s[0:3], 0 offset:528
	buffer_load_dword v160, off, s[0:3], 0 offset:532
	;; [unrolled: 1-line block ×4, first 2 shown]
	ds_read_b128 v[129:132], v1 offset:1680
	v_fma_f64 v[155:156], v[4:5], v[179:180], v[155:156]
	ds_read_b128 v[2:5], v1 offset:1696
	s_waitcnt vmcnt(45)
	v_fma_f64 v[173:174], v[125:126], v[190:191], -v[173:174]
	v_add_f64 v[137:138], v[137:138], v[169:170]
	v_add_f64 v[6:7], v[6:7], v[151:152]
	s_waitcnt lgkmcnt(1)
	v_mul_f64 v[169:170], v[131:132], v[186:187]
	v_mul_f64 v[151:152], v[129:130], v[186:187]
	v_add_f64 v[137:138], v[137:138], v[167:168]
	v_fma_f64 v[167:168], v[127:128], v[190:191], v[171:172]
	v_add_f64 v[6:7], v[6:7], v[155:156]
	s_waitcnt vmcnt(41) lgkmcnt(0)
	v_mul_f64 v[171:172], v[4:5], v[194:195]
	s_waitcnt vmcnt(40)
	v_fma_f64 v[169:170], v[129:130], v[188:189], -v[169:170]
	ds_read_b128 v[125:128], v1 offset:1712
	v_mul_f64 v[155:156], v[2:3], v[194:195]
	v_fma_f64 v[151:152], v[131:132], v[188:189], v[151:152]
	ds_read_b128 v[129:132], v1 offset:1728
	v_add_f64 v[137:138], v[137:138], v[173:174]
	v_add_f64 v[6:7], v[6:7], v[167:168]
	s_waitcnt vmcnt(39) lgkmcnt(1)
	v_mul_f64 v[173:174], v[127:128], v[196:197]
	v_mul_f64 v[167:168], v[125:126], v[196:197]
	s_waitcnt vmcnt(37)
	v_fma_f64 v[171:172], v[2:3], v[135:136], -v[171:172]
	v_fma_f64 v[135:136], v[4:5], v[135:136], v[155:156]
	ds_read_b128 v[2:5], v1 offset:1744
	v_add_f64 v[137:138], v[137:138], v[169:170]
	v_add_f64 v[6:7], v[6:7], v[151:152]
	s_waitcnt vmcnt(33) lgkmcnt(1)
	v_mul_f64 v[151:152], v[129:130], v[139:140]
	v_mul_f64 v[139:140], v[131:132], v[139:140]
	s_waitcnt vmcnt(32)
	v_fma_f64 v[155:156], v[125:126], v[198:199], -v[173:174]
	;; [unrolled: 9-line block ×7, first 2 shown]
	v_fma_f64 v[135:136], v[4:5], v[143:144], v[135:136]
	ds_read_b128 v[2:5], v1 offset:1840
	v_add_f64 v[137:138], v[137:138], v[139:140]
	v_add_f64 v[6:7], v[6:7], v[133:134]
	s_waitcnt vmcnt(9) lgkmcnt(1)
	v_mul_f64 v[139:140], v[131:132], v[149:150]
	s_waitcnt vmcnt(8)
	v_fma_f64 v[125:126], v[125:126], v[202:203], -v[147:148]
	v_mul_f64 v[133:134], v[129:130], v[149:150]
	v_fma_f64 v[127:128], v[127:128], v[202:203], v[145:146]
	v_add_f64 v[137:138], v[137:138], v[141:142]
	v_add_f64 v[6:7], v[6:7], v[135:136]
	s_waitcnt vmcnt(7) lgkmcnt(0)
	v_mul_f64 v[141:142], v[4:5], v[161:162]
	v_mul_f64 v[135:136], v[2:3], v[161:162]
	s_waitcnt vmcnt(5)
	v_fma_f64 v[129:130], v[129:130], v[153:154], -v[139:140]
	v_fma_f64 v[131:132], v[131:132], v[153:154], v[133:134]
	v_add_f64 v[125:126], v[137:138], v[125:126]
	v_add_f64 v[6:7], v[6:7], v[127:128]
	s_waitcnt vmcnt(4)
	v_fma_f64 v[2:3], v[2:3], v[165:166], -v[141:142]
	v_fma_f64 v[4:5], v[4:5], v[165:166], v[135:136]
	v_add_f64 v[125:126], v[125:126], v[129:130]
	v_add_f64 v[6:7], v[6:7], v[131:132]
	;; [unrolled: 1-line block ×4, first 2 shown]
	s_waitcnt vmcnt(2)
	v_add_f64 v[2:3], v[159:160], -v[2:3]
	s_waitcnt vmcnt(0)
	v_add_f64 v[4:5], v[163:164], -v[4:5]
	buffer_store_dword v3, off, s[0:3], 0 offset:532
	buffer_store_dword v2, off, s[0:3], 0 offset:528
	;; [unrolled: 1-line block ×4, first 2 shown]
	v_cmpx_lt_u32_e32 31, v0
	s_cbranch_execz .LBB121_299
; %bb.298:
	v_mov_b32_e32 v5, s39
	s_clause 0x3
	buffer_load_dword v2, v5, s[0:3], 0 offen
	buffer_load_dword v3, v5, s[0:3], 0 offen offset:4
	buffer_load_dword v4, v5, s[0:3], 0 offen offset:8
	;; [unrolled: 1-line block ×3, first 2 shown]
	buffer_store_dword v1, off, s[0:3], 0 offset:512
	buffer_store_dword v1, off, s[0:3], 0 offset:516
	;; [unrolled: 1-line block ×4, first 2 shown]
	s_waitcnt vmcnt(0)
	ds_write_b128 v185, v[2:5]
.LBB121_299:
	s_or_b32 exec_lo, exec_lo, s4
	s_waitcnt lgkmcnt(0)
	s_waitcnt_vscnt null, 0x0
	s_barrier
	buffer_gl0_inv
	s_clause 0x37
	buffer_load_dword v6, off, s[0:3], 0 offset:536
	buffer_load_dword v7, off, s[0:3], 0 offset:540
	;; [unrolled: 1-line block ×56, first 2 shown]
	ds_read_b128 v[2:5], v1 offset:1440
	s_clause 0x2
	buffer_load_dword v187, off, s[0:3], 0 offset:764
	buffer_load_dword v191, off, s[0:3], 0 offset:740
	;; [unrolled: 1-line block ×3, first 2 shown]
	ds_read_b128 v[125:128], v1 offset:1456
	s_clause 0x4
	buffer_load_dword v195, off, s[0:3], 0 offset:780
	buffer_load_dword v196, off, s[0:3], 0 offset:792
	;; [unrolled: 1-line block ×5, first 2 shown]
	ds_read_b128 v[129:132], v1 offset:1472
	s_mov_b32 s4, exec_lo
	s_waitcnt vmcnt(62) lgkmcnt(2)
	v_mul_f64 v[192:193], v[4:5], v[6:7]
	v_mul_f64 v[6:7], v[2:3], v[6:7]
	s_waitcnt vmcnt(60) lgkmcnt(1)
	v_mul_f64 v[199:200], v[127:128], v[133:134]
	v_mul_f64 v[133:134], v[125:126], v[133:134]
	;; [unrolled: 3-line block ×3, first 2 shown]
	v_fma_f64 v[192:193], v[2:3], v[135:136], -v[192:193]
	v_fma_f64 v[6:7], v[4:5], v[135:136], v[6:7]
	s_clause 0x2
	buffer_load_dword v197, off, s[0:3], 0 offset:796
	buffer_load_dword v136, off, s[0:3], 0 offset:772
	;; [unrolled: 1-line block ×3, first 2 shown]
	s_waitcnt vmcnt(57)
	v_fma_f64 v[203:204], v[125:126], v[139:140], -v[199:200]
	ds_read_b128 v[2:5], v1 offset:1488
	v_fma_f64 v[133:134], v[127:128], v[139:140], v[133:134]
	s_clause 0x4
	buffer_load_dword v140, off, s[0:3], 0 offset:812
	buffer_load_dword v200, off, s[0:3], 0 offset:824
	;; [unrolled: 1-line block ×5, first 2 shown]
	s_waitcnt vmcnt(56)
	v_fma_f64 v[137:138], v[129:130], v[147:148], -v[137:138]
	ds_read_b128 v[125:128], v1 offset:1504
	v_fma_f64 v[147:148], v[131:132], v[147:148], v[201:202]
	v_add_f64 v[192:193], v[192:193], 0
	v_add_f64 v[6:7], v[6:7], 0
	s_waitcnt lgkmcnt(1)
	v_mul_f64 v[206:207], v[2:3], v[141:142]
	v_mul_f64 v[141:142], v[4:5], v[141:142]
	v_add_f64 v[192:193], v[192:193], v[203:204]
	v_add_f64 v[6:7], v[6:7], v[133:134]
	s_clause 0x2
	buffer_load_dword v201, off, s[0:3], 0 offset:828
	buffer_load_dword v134, off, s[0:3], 0 offset:804
	;; [unrolled: 1-line block ×3, first 2 shown]
	s_waitcnt vmcnt(58) lgkmcnt(0)
	v_mul_f64 v[202:203], v[125:126], v[143:144]
	v_mul_f64 v[143:144], v[127:128], v[143:144]
	s_waitcnt vmcnt(56)
	v_fma_f64 v[141:142], v[2:3], v[149:150], -v[141:142]
	ds_read_b128 v[129:132], v1 offset:1520
	v_fma_f64 v[149:150], v[4:5], v[149:150], v[206:207]
	v_add_f64 v[137:138], v[192:193], v[137:138]
	v_add_f64 v[6:7], v[6:7], v[147:148]
	s_clause 0x4
	buffer_load_dword v148, off, s[0:3], 0 offset:844
	buffer_load_dword v192, off, s[0:3], 0 offset:856
	;; [unrolled: 1-line block ×5, first 2 shown]
	ds_read_b128 v[2:5], v1 offset:1536
	s_waitcnt vmcnt(57) lgkmcnt(1)
	v_mul_f64 v[208:209], v[129:130], v[151:152]
	v_mul_f64 v[151:152], v[131:132], v[151:152]
	s_waitcnt vmcnt(56)
	v_fma_f64 v[143:144], v[125:126], v[145:146], -v[143:144]
	v_add_f64 v[137:138], v[137:138], v[141:142]
	v_fma_f64 v[141:142], v[127:128], v[145:146], v[202:203]
	v_add_f64 v[6:7], v[6:7], v[149:150]
	s_clause 0x2
	buffer_load_dword v193, off, s[0:3], 0 offset:860
	buffer_load_dword v146, off, s[0:3], 0 offset:836
	buffer_load_dword v145, off, s[0:3], 0 offset:832
	s_waitcnt vmcnt(58) lgkmcnt(0)
	v_mul_f64 v[149:150], v[2:3], v[153:154]
	v_mul_f64 v[153:154], v[4:5], v[153:154]
	s_waitcnt vmcnt(56)
	v_fma_f64 v[151:152], v[129:130], v[157:158], -v[151:152]
	ds_read_b128 v[125:128], v1 offset:1552
	v_add_f64 v[137:138], v[137:138], v[143:144]
	v_fma_f64 v[143:144], v[131:132], v[157:158], v[208:209]
	v_add_f64 v[6:7], v[6:7], v[141:142]
	s_clause 0x4
	buffer_load_dword v142, off, s[0:3], 0 offset:876
	buffer_load_dword v157, off, s[0:3], 0 offset:888
	;; [unrolled: 1-line block ×5, first 2 shown]
	ds_read_b128 v[129:132], v1 offset:1568
	s_waitcnt vmcnt(57) lgkmcnt(1)
	v_mul_f64 v[203:204], v[125:126], v[159:160]
	v_mul_f64 v[159:160], v[127:128], v[159:160]
	s_waitcnt vmcnt(56)
	v_fma_f64 v[153:154], v[2:3], v[155:156], -v[153:154]
	v_fma_f64 v[149:150], v[4:5], v[155:156], v[149:150]
	v_add_f64 v[137:138], v[137:138], v[151:152]
	v_add_f64 v[6:7], v[6:7], v[143:144]
	s_clause 0x2
	buffer_load_dword v158, off, s[0:3], 0 offset:892
	buffer_load_dword v144, off, s[0:3], 0 offset:868
	;; [unrolled: 1-line block ×3, first 2 shown]
	s_waitcnt vmcnt(58) lgkmcnt(0)
	v_mul_f64 v[155:156], v[131:132], v[161:162]
	ds_read_b128 v[2:5], v1 offset:1584
	s_waitcnt vmcnt(56)
	v_fma_f64 v[159:160], v[125:126], v[165:166], -v[159:160]
	v_mul_f64 v[151:152], v[129:130], v[161:162]
	v_add_f64 v[137:138], v[137:138], v[153:154]
	v_fma_f64 v[153:154], v[127:128], v[165:166], v[203:204]
	v_add_f64 v[6:7], v[6:7], v[149:150]
	s_clause 0x4
	buffer_load_dword v150, off, s[0:3], 0 offset:908
	buffer_load_dword v161, off, s[0:3], 0 offset:920
	;; [unrolled: 1-line block ×5, first 2 shown]
	s_waitcnt vmcnt(57) lgkmcnt(0)
	v_mul_f64 v[209:210], v[2:3], v[167:168]
	v_mul_f64 v[166:167], v[4:5], v[167:168]
	s_waitcnt vmcnt(56)
	v_fma_f64 v[155:156], v[129:130], v[163:164], -v[155:156]
	ds_read_b128 v[125:128], v1 offset:1600
	v_fma_f64 v[151:152], v[131:132], v[163:164], v[151:152]
	v_add_f64 v[137:138], v[137:138], v[159:160]
	v_add_f64 v[6:7], v[6:7], v[153:154]
	s_clause 0x2
	buffer_load_dword v162, off, s[0:3], 0 offset:924
	buffer_load_dword v154, off, s[0:3], 0 offset:900
	;; [unrolled: 1-line block ×3, first 2 shown]
	ds_read_b128 v[129:132], v1 offset:1616
	s_waitcnt vmcnt(58) lgkmcnt(1)
	v_mul_f64 v[163:164], v[127:128], v[169:170]
	s_waitcnt vmcnt(56)
	v_fma_f64 v[167:168], v[2:3], v[173:174], -v[166:167]
	v_mul_f64 v[159:160], v[125:126], v[169:170]
	v_add_f64 v[137:138], v[137:138], v[155:156]
	v_fma_f64 v[155:156], v[4:5], v[173:174], v[209:210]
	v_add_f64 v[6:7], v[6:7], v[151:152]
	s_clause 0x2
	buffer_load_dword v152, off, s[0:3], 0 offset:940
	buffer_load_dword v151, off, s[0:3], 0 offset:936
	;; [unrolled: 1-line block ×3, first 2 shown]
	s_waitcnt vmcnt(55) lgkmcnt(0)
	v_mul_f64 v[173:174], v[131:132], v[175:176]
	s_waitcnt vmcnt(54)
	v_fma_f64 v[163:164], v[125:126], v[171:172], -v[163:164]
	ds_read_b128 v[2:5], v1 offset:1632
	v_mul_f64 v[169:170], v[129:130], v[175:176]
	v_fma_f64 v[159:160], v[127:128], v[171:172], v[159:160]
	v_add_f64 v[137:138], v[137:138], v[167:168]
	v_add_f64 v[6:7], v[6:7], v[155:156]
	s_clause 0x1
	buffer_load_dword v156, off, s[0:3], 0 offset:932
	buffer_load_dword v155, off, s[0:3], 0 offset:928
	s_waitcnt vmcnt(55) lgkmcnt(0)
	v_mul_f64 v[171:172], v[4:5], v[177:178]
	s_waitcnt vmcnt(53)
	v_fma_f64 v[173:174], v[129:130], v[181:182], -v[173:174]
	ds_read_b128 v[125:128], v1 offset:1648
	v_mul_f64 v[167:168], v[2:3], v[177:178]
	v_add_f64 v[137:138], v[137:138], v[163:164]
	v_fma_f64 v[163:164], v[131:132], v[181:182], v[169:170]
	v_add_f64 v[6:7], v[6:7], v[159:160]
	ds_read_b128 v[129:132], v1 offset:1664
	s_waitcnt vmcnt(49) lgkmcnt(1)
	v_mul_f64 v[169:170], v[127:128], v[183:184]
	s_waitcnt vmcnt(48)
	v_fma_f64 v[171:172], v[2:3], v[179:180], -v[171:172]
	v_mul_f64 v[159:160], v[125:126], v[183:184]
	v_fma_f64 v[167:168], v[4:5], v[179:180], v[167:168]
	v_add_f64 v[137:138], v[137:138], v[173:174]
	s_waitcnt vmcnt(47) lgkmcnt(0)
	v_mul_f64 v[177:178], v[131:132], v[186:187]
	v_add_f64 v[6:7], v[6:7], v[163:164]
	s_clause 0x3
	buffer_load_dword v163, off, s[0:3], 0 offset:512
	buffer_load_dword v164, off, s[0:3], 0 offset:516
	;; [unrolled: 1-line block ×4, first 2 shown]
	s_waitcnt vmcnt(49)
	v_fma_f64 v[169:170], v[125:126], v[190:191], -v[169:170]
	ds_read_b128 v[2:5], v1 offset:1680
	v_mul_f64 v[175:176], v[129:130], v[186:187]
	v_fma_f64 v[159:160], v[127:128], v[190:191], v[159:160]
	ds_read_b128 v[125:128], v1 offset:1696
	v_add_f64 v[137:138], v[137:138], v[171:172]
	s_waitcnt vmcnt(44)
	v_fma_f64 v[177:178], v[129:130], v[188:189], -v[177:178]
	v_add_f64 v[6:7], v[6:7], v[167:168]
	s_waitcnt lgkmcnt(1)
	v_mul_f64 v[171:172], v[4:5], v[194:195]
	v_mul_f64 v[167:168], v[2:3], v[194:195]
	v_add_f64 v[137:138], v[137:138], v[169:170]
	v_fma_f64 v[169:170], v[131:132], v[188:189], v[175:176]
	v_add_f64 v[6:7], v[6:7], v[159:160]
	ds_read_b128 v[129:132], v1 offset:1712
	s_waitcnt vmcnt(43) lgkmcnt(1)
	v_mul_f64 v[175:176], v[127:128], v[196:197]
	v_mul_f64 v[159:160], v[125:126], v[196:197]
	s_waitcnt vmcnt(41)
	v_fma_f64 v[171:172], v[2:3], v[135:136], -v[171:172]
	v_fma_f64 v[135:136], v[4:5], v[135:136], v[167:168]
	ds_read_b128 v[2:5], v1 offset:1728
	v_add_f64 v[137:138], v[137:138], v[177:178]
	s_waitcnt vmcnt(37) lgkmcnt(1)
	v_mul_f64 v[167:168], v[129:130], v[139:140]
	v_add_f64 v[6:7], v[6:7], v[169:170]
	v_mul_f64 v[139:140], v[131:132], v[139:140]
	s_waitcnt vmcnt(36)
	v_fma_f64 v[169:170], v[125:126], v[198:199], -v[175:176]
	v_fma_f64 v[159:160], v[127:128], v[198:199], v[159:160]
	ds_read_b128 v[125:128], v1 offset:1744
	v_add_f64 v[137:138], v[137:138], v[171:172]
	v_add_f64 v[6:7], v[6:7], v[135:136]
	s_waitcnt vmcnt(35) lgkmcnt(1)
	v_mul_f64 v[171:172], v[4:5], v[200:201]
	v_mul_f64 v[135:136], v[2:3], v[200:201]
	s_waitcnt vmcnt(33)
	v_fma_f64 v[139:140], v[129:130], v[133:134], -v[139:140]
	v_fma_f64 v[133:134], v[131:132], v[133:134], v[167:168]
	ds_read_b128 v[129:132], v1 offset:1760
	v_add_f64 v[137:138], v[137:138], v[169:170]
	v_add_f64 v[6:7], v[6:7], v[159:160]
	s_waitcnt vmcnt(29) lgkmcnt(1)
	v_mul_f64 v[159:160], v[125:126], v[147:148]
	;; [unrolled: 9-line block ×6, first 2 shown]
	s_waitcnt vmcnt(12)
	v_fma_f64 v[143:144], v[125:126], v[202:203], -v[147:148]
	v_mul_f64 v[133:134], v[129:130], v[149:150]
	v_add_f64 v[137:138], v[137:138], v[141:142]
	v_fma_f64 v[141:142], v[127:128], v[202:203], v[145:146]
	v_add_f64 v[6:7], v[6:7], v[135:136]
	ds_read_b128 v[125:128], v1 offset:1840
	s_waitcnt vmcnt(11) lgkmcnt(1)
	v_mul_f64 v[145:146], v[4:5], v[161:162]
	v_mul_f64 v[135:136], v[2:3], v[161:162]
	s_waitcnt vmcnt(9)
	v_fma_f64 v[129:130], v[129:130], v[153:154], -v[139:140]
	v_fma_f64 v[131:132], v[131:132], v[153:154], v[133:134]
	v_add_f64 v[137:138], v[137:138], v[143:144]
	v_add_f64 v[6:7], v[6:7], v[141:142]
	s_waitcnt vmcnt(7) lgkmcnt(0)
	v_mul_f64 v[139:140], v[127:128], v[151:152]
	s_waitcnt vmcnt(6)
	v_fma_f64 v[1:2], v[2:3], v[165:166], -v[145:146]
	v_mul_f64 v[133:134], v[125:126], v[151:152]
	v_fma_f64 v[3:4], v[4:5], v[165:166], v[135:136]
	v_add_f64 v[129:130], v[137:138], v[129:130]
	v_add_f64 v[5:6], v[6:7], v[131:132]
	s_waitcnt vmcnt(4)
	v_fma_f64 v[7:8], v[125:126], v[155:156], -v[139:140]
	v_fma_f64 v[125:126], v[127:128], v[155:156], v[133:134]
	v_add_f64 v[1:2], v[129:130], v[1:2]
	v_add_f64 v[3:4], v[5:6], v[3:4]
	;; [unrolled: 1-line block ×4, first 2 shown]
	s_waitcnt vmcnt(2)
	v_add_f64 v[1:2], v[163:164], -v[1:2]
	s_waitcnt vmcnt(0)
	v_add_f64 v[3:4], v[173:174], -v[3:4]
	buffer_store_dword v2, off, s[0:3], 0 offset:516
	buffer_store_dword v1, off, s[0:3], 0 offset:512
	;; [unrolled: 1-line block ×4, first 2 shown]
	v_cmpx_lt_u32_e32 30, v0
	s_cbranch_execz .LBB121_301
; %bb.300:
	v_mov_b32_e32 v4, s40
	v_mov_b32_e32 v5, 0
	s_clause 0x3
	buffer_load_dword v1, v4, s[0:3], 0 offen
	buffer_load_dword v2, v4, s[0:3], 0 offen offset:4
	buffer_load_dword v3, v4, s[0:3], 0 offen offset:8
	;; [unrolled: 1-line block ×3, first 2 shown]
	buffer_store_dword v5, off, s[0:3], 0 offset:496
	buffer_store_dword v5, off, s[0:3], 0 offset:500
	;; [unrolled: 1-line block ×4, first 2 shown]
	s_waitcnt vmcnt(0)
	ds_write_b128 v185, v[1:4]
.LBB121_301:
	s_or_b32 exec_lo, exec_lo, s4
	s_waitcnt lgkmcnt(0)
	s_waitcnt_vscnt null, 0x0
	s_barrier
	buffer_gl0_inv
	s_clause 0x37
	buffer_load_dword v6, off, s[0:3], 0 offset:520
	buffer_load_dword v7, off, s[0:3], 0 offset:524
	;; [unrolled: 1-line block ×56, first 2 shown]
	v_mov_b32_e32 v1, 0
	s_mov_b32 s4, exec_lo
	ds_read_b128 v[2:5], v1 offset:1424
	s_clause 0x2
	buffer_load_dword v187, off, s[0:3], 0 offset:748
	buffer_load_dword v191, off, s[0:3], 0 offset:724
	buffer_load_dword v190, off, s[0:3], 0 offset:720
	ds_read_b128 v[125:128], v1 offset:1440
	s_clause 0x4
	buffer_load_dword v195, off, s[0:3], 0 offset:764
	buffer_load_dword v196, off, s[0:3], 0 offset:776
	;; [unrolled: 1-line block ×5, first 2 shown]
	ds_read_b128 v[129:132], v1 offset:1456
	s_waitcnt vmcnt(62) lgkmcnt(2)
	v_mul_f64 v[192:193], v[4:5], v[6:7]
	v_mul_f64 v[6:7], v[2:3], v[6:7]
	s_waitcnt vmcnt(60) lgkmcnt(1)
	v_mul_f64 v[199:200], v[127:128], v[133:134]
	v_mul_f64 v[133:134], v[125:126], v[133:134]
	;; [unrolled: 3-line block ×3, first 2 shown]
	v_fma_f64 v[192:193], v[2:3], v[135:136], -v[192:193]
	v_fma_f64 v[6:7], v[4:5], v[135:136], v[6:7]
	s_clause 0x2
	buffer_load_dword v197, off, s[0:3], 0 offset:780
	buffer_load_dword v136, off, s[0:3], 0 offset:756
	;; [unrolled: 1-line block ×3, first 2 shown]
	s_waitcnt vmcnt(57)
	v_fma_f64 v[203:204], v[125:126], v[139:140], -v[199:200]
	ds_read_b128 v[2:5], v1 offset:1472
	v_fma_f64 v[133:134], v[127:128], v[139:140], v[133:134]
	s_clause 0x4
	buffer_load_dword v140, off, s[0:3], 0 offset:796
	buffer_load_dword v200, off, s[0:3], 0 offset:808
	;; [unrolled: 1-line block ×5, first 2 shown]
	s_waitcnt vmcnt(56)
	v_fma_f64 v[137:138], v[129:130], v[147:148], -v[137:138]
	ds_read_b128 v[125:128], v1 offset:1488
	v_fma_f64 v[147:148], v[131:132], v[147:148], v[201:202]
	v_add_f64 v[192:193], v[192:193], 0
	v_add_f64 v[6:7], v[6:7], 0
	s_waitcnt lgkmcnt(1)
	v_mul_f64 v[206:207], v[2:3], v[141:142]
	v_mul_f64 v[141:142], v[4:5], v[141:142]
	v_add_f64 v[192:193], v[192:193], v[203:204]
	v_add_f64 v[6:7], v[6:7], v[133:134]
	s_clause 0x2
	buffer_load_dword v201, off, s[0:3], 0 offset:812
	buffer_load_dword v134, off, s[0:3], 0 offset:788
	buffer_load_dword v133, off, s[0:3], 0 offset:784
	s_waitcnt vmcnt(58) lgkmcnt(0)
	v_mul_f64 v[202:203], v[125:126], v[143:144]
	v_mul_f64 v[143:144], v[127:128], v[143:144]
	s_waitcnt vmcnt(56)
	v_fma_f64 v[141:142], v[2:3], v[149:150], -v[141:142]
	ds_read_b128 v[129:132], v1 offset:1504
	v_fma_f64 v[149:150], v[4:5], v[149:150], v[206:207]
	v_add_f64 v[137:138], v[192:193], v[137:138]
	v_add_f64 v[6:7], v[6:7], v[147:148]
	s_clause 0x4
	buffer_load_dword v148, off, s[0:3], 0 offset:828
	buffer_load_dword v192, off, s[0:3], 0 offset:840
	;; [unrolled: 1-line block ×5, first 2 shown]
	ds_read_b128 v[2:5], v1 offset:1520
	s_waitcnt vmcnt(57) lgkmcnt(1)
	v_mul_f64 v[208:209], v[129:130], v[151:152]
	v_mul_f64 v[151:152], v[131:132], v[151:152]
	s_waitcnt vmcnt(56)
	v_fma_f64 v[143:144], v[125:126], v[145:146], -v[143:144]
	v_add_f64 v[137:138], v[137:138], v[141:142]
	v_fma_f64 v[141:142], v[127:128], v[145:146], v[202:203]
	v_add_f64 v[6:7], v[6:7], v[149:150]
	s_clause 0x2
	buffer_load_dword v193, off, s[0:3], 0 offset:844
	buffer_load_dword v146, off, s[0:3], 0 offset:820
	;; [unrolled: 1-line block ×3, first 2 shown]
	s_waitcnt vmcnt(58) lgkmcnt(0)
	v_mul_f64 v[149:150], v[2:3], v[153:154]
	v_mul_f64 v[153:154], v[4:5], v[153:154]
	s_waitcnt vmcnt(56)
	v_fma_f64 v[151:152], v[129:130], v[157:158], -v[151:152]
	ds_read_b128 v[125:128], v1 offset:1536
	v_add_f64 v[137:138], v[137:138], v[143:144]
	v_fma_f64 v[143:144], v[131:132], v[157:158], v[208:209]
	v_add_f64 v[6:7], v[6:7], v[141:142]
	s_clause 0x4
	buffer_load_dword v142, off, s[0:3], 0 offset:860
	buffer_load_dword v157, off, s[0:3], 0 offset:872
	;; [unrolled: 1-line block ×5, first 2 shown]
	ds_read_b128 v[129:132], v1 offset:1552
	s_waitcnt vmcnt(57) lgkmcnt(1)
	v_mul_f64 v[203:204], v[125:126], v[159:160]
	v_mul_f64 v[159:160], v[127:128], v[159:160]
	s_waitcnt vmcnt(56)
	v_fma_f64 v[153:154], v[2:3], v[155:156], -v[153:154]
	v_fma_f64 v[149:150], v[4:5], v[155:156], v[149:150]
	v_add_f64 v[137:138], v[137:138], v[151:152]
	v_add_f64 v[6:7], v[6:7], v[143:144]
	s_clause 0x2
	buffer_load_dword v158, off, s[0:3], 0 offset:876
	buffer_load_dword v144, off, s[0:3], 0 offset:852
	;; [unrolled: 1-line block ×3, first 2 shown]
	s_waitcnt vmcnt(58) lgkmcnt(0)
	v_mul_f64 v[155:156], v[131:132], v[161:162]
	ds_read_b128 v[2:5], v1 offset:1568
	s_waitcnt vmcnt(56)
	v_fma_f64 v[159:160], v[125:126], v[165:166], -v[159:160]
	v_mul_f64 v[151:152], v[129:130], v[161:162]
	v_add_f64 v[137:138], v[137:138], v[153:154]
	v_fma_f64 v[153:154], v[127:128], v[165:166], v[203:204]
	v_add_f64 v[6:7], v[6:7], v[149:150]
	s_clause 0x4
	buffer_load_dword v150, off, s[0:3], 0 offset:892
	buffer_load_dword v161, off, s[0:3], 0 offset:904
	buffer_load_dword v165, off, s[0:3], 0 offset:896
	buffer_load_dword v149, off, s[0:3], 0 offset:888
	buffer_load_dword v203, off, s[0:3], 0 offset:868
	s_waitcnt vmcnt(57) lgkmcnt(0)
	v_mul_f64 v[209:210], v[2:3], v[167:168]
	v_mul_f64 v[166:167], v[4:5], v[167:168]
	s_waitcnt vmcnt(56)
	v_fma_f64 v[155:156], v[129:130], v[163:164], -v[155:156]
	ds_read_b128 v[125:128], v1 offset:1584
	v_fma_f64 v[151:152], v[131:132], v[163:164], v[151:152]
	v_add_f64 v[137:138], v[137:138], v[159:160]
	v_add_f64 v[6:7], v[6:7], v[153:154]
	s_clause 0x2
	buffer_load_dword v162, off, s[0:3], 0 offset:908
	buffer_load_dword v154, off, s[0:3], 0 offset:884
	;; [unrolled: 1-line block ×3, first 2 shown]
	ds_read_b128 v[129:132], v1 offset:1600
	s_waitcnt vmcnt(58) lgkmcnt(1)
	v_mul_f64 v[163:164], v[127:128], v[169:170]
	s_waitcnt vmcnt(56)
	v_fma_f64 v[167:168], v[2:3], v[173:174], -v[166:167]
	v_mul_f64 v[159:160], v[125:126], v[169:170]
	v_add_f64 v[137:138], v[137:138], v[155:156]
	v_fma_f64 v[155:156], v[4:5], v[173:174], v[209:210]
	v_add_f64 v[6:7], v[6:7], v[151:152]
	s_clause 0x4
	buffer_load_dword v152, off, s[0:3], 0 offset:924
	buffer_load_dword v169, off, s[0:3], 0 offset:936
	;; [unrolled: 1-line block ×5, first 2 shown]
	s_waitcnt vmcnt(57) lgkmcnt(0)
	v_mul_f64 v[209:210], v[129:130], v[175:176]
	v_mul_f64 v[174:175], v[131:132], v[175:176]
	s_waitcnt vmcnt(56)
	v_fma_f64 v[163:164], v[125:126], v[171:172], -v[163:164]
	ds_read_b128 v[2:5], v1 offset:1616
	v_fma_f64 v[159:160], v[127:128], v[171:172], v[159:160]
	v_add_f64 v[137:138], v[137:138], v[167:168]
	v_add_f64 v[6:7], v[6:7], v[155:156]
	s_clause 0x2
	buffer_load_dword v170, off, s[0:3], 0 offset:940
	buffer_load_dword v156, off, s[0:3], 0 offset:916
	;; [unrolled: 1-line block ×3, first 2 shown]
	ds_read_b128 v[125:128], v1 offset:1632
	s_waitcnt vmcnt(58) lgkmcnt(1)
	v_mul_f64 v[171:172], v[4:5], v[177:178]
	s_waitcnt vmcnt(56)
	v_fma_f64 v[175:176], v[129:130], v[181:182], -v[174:175]
	v_mul_f64 v[167:168], v[2:3], v[177:178]
	buffer_load_dword v174, off, s[0:3], 0 offset:932
	v_add_f64 v[137:138], v[137:138], v[163:164]
	v_fma_f64 v[163:164], v[131:132], v[181:182], v[209:210]
	v_add_f64 v[6:7], v[6:7], v[159:160]
	ds_read_b128 v[129:132], v1 offset:1648
	s_waitcnt vmcnt(53) lgkmcnt(1)
	v_mul_f64 v[177:178], v[127:128], v[183:184]
	s_waitcnt vmcnt(52)
	v_fma_f64 v[171:172], v[2:3], v[179:180], -v[171:172]
	v_mul_f64 v[159:160], v[125:126], v[183:184]
	v_fma_f64 v[167:168], v[4:5], v[179:180], v[167:168]
	ds_read_b128 v[2:5], v1 offset:1664
	v_add_f64 v[137:138], v[137:138], v[175:176]
	s_waitcnt vmcnt(51) lgkmcnt(1)
	v_mul_f64 v[175:176], v[131:132], v[186:187]
	v_add_f64 v[6:7], v[6:7], v[163:164]
	v_mul_f64 v[163:164], v[129:130], v[186:187]
	s_waitcnt vmcnt(49)
	v_fma_f64 v[177:178], v[125:126], v[190:191], -v[177:178]
	v_fma_f64 v[159:160], v[127:128], v[190:191], v[159:160]
	s_waitcnt vmcnt(45) lgkmcnt(0)
	v_mul_f64 v[181:182], v[4:5], v[194:195]
	v_mul_f64 v[179:180], v[2:3], v[194:195]
	v_add_f64 v[137:138], v[137:138], v[171:172]
	s_waitcnt vmcnt(44)
	v_fma_f64 v[175:176], v[129:130], v[188:189], -v[175:176]
	v_add_f64 v[6:7], v[6:7], v[167:168]
	s_clause 0x3
	buffer_load_dword v167, off, s[0:3], 0 offset:496
	buffer_load_dword v168, off, s[0:3], 0 offset:500
	;; [unrolled: 1-line block ×4, first 2 shown]
	ds_read_b128 v[125:128], v1 offset:1680
	v_fma_f64 v[163:164], v[131:132], v[188:189], v[163:164]
	ds_read_b128 v[129:132], v1 offset:1696
	v_add_f64 v[137:138], v[137:138], v[177:178]
	v_add_f64 v[6:7], v[6:7], v[159:160]
	s_waitcnt vmcnt(47) lgkmcnt(1)
	v_mul_f64 v[177:178], v[127:128], v[196:197]
	v_mul_f64 v[159:160], v[125:126], v[196:197]
	s_waitcnt vmcnt(45)
	v_fma_f64 v[181:182], v[2:3], v[135:136], -v[181:182]
	v_fma_f64 v[135:136], v[4:5], v[135:136], v[179:180]
	ds_read_b128 v[2:5], v1 offset:1712
	v_add_f64 v[137:138], v[137:138], v[175:176]
	v_add_f64 v[6:7], v[6:7], v[163:164]
	s_waitcnt vmcnt(41) lgkmcnt(1)
	v_mul_f64 v[163:164], v[129:130], v[139:140]
	v_mul_f64 v[139:140], v[131:132], v[139:140]
	s_waitcnt vmcnt(40)
	v_fma_f64 v[175:176], v[125:126], v[198:199], -v[177:178]
	;; [unrolled: 9-line block ×7, first 2 shown]
	v_fma_f64 v[135:136], v[4:5], v[143:144], v[135:136]
	ds_read_b128 v[2:5], v1 offset:1808
	v_add_f64 v[137:138], v[137:138], v[139:140]
	v_add_f64 v[6:7], v[6:7], v[133:134]
	s_waitcnt vmcnt(17) lgkmcnt(1)
	v_mul_f64 v[139:140], v[131:132], v[149:150]
	s_waitcnt vmcnt(16)
	v_fma_f64 v[143:144], v[125:126], v[202:203], -v[147:148]
	v_mul_f64 v[133:134], v[129:130], v[149:150]
	v_add_f64 v[137:138], v[137:138], v[141:142]
	v_fma_f64 v[141:142], v[127:128], v[202:203], v[145:146]
	v_add_f64 v[6:7], v[6:7], v[135:136]
	ds_read_b128 v[125:128], v1 offset:1824
	s_waitcnt vmcnt(15) lgkmcnt(1)
	v_mul_f64 v[145:146], v[4:5], v[161:162]
	v_mul_f64 v[135:136], v[2:3], v[161:162]
	s_waitcnt vmcnt(13)
	v_fma_f64 v[139:140], v[129:130], v[153:154], -v[139:140]
	v_fma_f64 v[133:134], v[131:132], v[153:154], v[133:134]
	ds_read_b128 v[129:132], v1 offset:1840
	v_add_f64 v[137:138], v[137:138], v[143:144]
	v_add_f64 v[6:7], v[6:7], v[141:142]
	s_waitcnt vmcnt(9) lgkmcnt(1)
	v_mul_f64 v[143:144], v[127:128], v[151:152]
	s_waitcnt vmcnt(8)
	v_fma_f64 v[2:3], v[2:3], v[165:166], -v[145:146]
	v_mul_f64 v[141:142], v[125:126], v[151:152]
	v_fma_f64 v[4:5], v[4:5], v[165:166], v[135:136]
	v_add_f64 v[137:138], v[137:138], v[139:140]
	v_add_f64 v[6:7], v[6:7], v[133:134]
	s_waitcnt vmcnt(7) lgkmcnt(0)
	v_mul_f64 v[135:136], v[131:132], v[169:170]
	v_mul_f64 v[133:134], v[129:130], v[169:170]
	s_waitcnt vmcnt(5)
	v_fma_f64 v[125:126], v[125:126], v[155:156], -v[143:144]
	v_fma_f64 v[127:128], v[127:128], v[155:156], v[141:142]
	v_add_f64 v[2:3], v[137:138], v[2:3]
	v_add_f64 v[4:5], v[6:7], v[4:5]
	s_waitcnt vmcnt(4)
	v_fma_f64 v[6:7], v[129:130], v[173:174], -v[135:136]
	v_add_f64 v[2:3], v[2:3], v[125:126]
	v_fma_f64 v[125:126], v[131:132], v[173:174], v[133:134]
	v_add_f64 v[4:5], v[4:5], v[127:128]
	v_add_f64 v[2:3], v[2:3], v[6:7]
	v_add_f64 v[4:5], v[4:5], v[125:126]
	s_waitcnt vmcnt(2)
	v_add_f64 v[2:3], v[167:168], -v[2:3]
	s_waitcnt vmcnt(0)
	v_add_f64 v[4:5], v[171:172], -v[4:5]
	buffer_store_dword v3, off, s[0:3], 0 offset:500
	buffer_store_dword v2, off, s[0:3], 0 offset:496
	;; [unrolled: 1-line block ×4, first 2 shown]
	v_cmpx_lt_u32_e32 29, v0
	s_cbranch_execz .LBB121_303
; %bb.302:
	v_mov_b32_e32 v5, s41
	s_clause 0x3
	buffer_load_dword v2, v5, s[0:3], 0 offen
	buffer_load_dword v3, v5, s[0:3], 0 offen offset:4
	buffer_load_dword v4, v5, s[0:3], 0 offen offset:8
	buffer_load_dword v5, v5, s[0:3], 0 offen offset:12
	buffer_store_dword v1, off, s[0:3], 0 offset:480
	buffer_store_dword v1, off, s[0:3], 0 offset:484
	buffer_store_dword v1, off, s[0:3], 0 offset:488
	buffer_store_dword v1, off, s[0:3], 0 offset:492
	s_waitcnt vmcnt(0)
	ds_write_b128 v185, v[2:5]
.LBB121_303:
	s_or_b32 exec_lo, exec_lo, s4
	s_waitcnt lgkmcnt(0)
	s_waitcnt_vscnt null, 0x0
	s_barrier
	buffer_gl0_inv
	s_clause 0x37
	buffer_load_dword v6, off, s[0:3], 0 offset:504
	buffer_load_dword v7, off, s[0:3], 0 offset:508
	;; [unrolled: 1-line block ×56, first 2 shown]
	ds_read_b128 v[2:5], v1 offset:1408
	s_clause 0x2
	buffer_load_dword v187, off, s[0:3], 0 offset:732
	buffer_load_dword v191, off, s[0:3], 0 offset:708
	;; [unrolled: 1-line block ×3, first 2 shown]
	ds_read_b128 v[125:128], v1 offset:1424
	s_clause 0x4
	buffer_load_dword v195, off, s[0:3], 0 offset:748
	buffer_load_dword v196, off, s[0:3], 0 offset:760
	;; [unrolled: 1-line block ×5, first 2 shown]
	ds_read_b128 v[129:132], v1 offset:1440
	s_mov_b32 s4, exec_lo
	s_waitcnt vmcnt(62) lgkmcnt(2)
	v_mul_f64 v[192:193], v[4:5], v[6:7]
	v_mul_f64 v[6:7], v[2:3], v[6:7]
	s_waitcnt vmcnt(60) lgkmcnt(1)
	v_mul_f64 v[199:200], v[127:128], v[133:134]
	v_mul_f64 v[133:134], v[125:126], v[133:134]
	;; [unrolled: 3-line block ×3, first 2 shown]
	v_fma_f64 v[192:193], v[2:3], v[135:136], -v[192:193]
	v_fma_f64 v[6:7], v[4:5], v[135:136], v[6:7]
	s_clause 0x2
	buffer_load_dword v197, off, s[0:3], 0 offset:764
	buffer_load_dword v136, off, s[0:3], 0 offset:740
	;; [unrolled: 1-line block ×3, first 2 shown]
	s_waitcnt vmcnt(57)
	v_fma_f64 v[203:204], v[125:126], v[139:140], -v[199:200]
	ds_read_b128 v[2:5], v1 offset:1456
	v_fma_f64 v[133:134], v[127:128], v[139:140], v[133:134]
	s_clause 0x4
	buffer_load_dword v140, off, s[0:3], 0 offset:780
	buffer_load_dword v200, off, s[0:3], 0 offset:792
	;; [unrolled: 1-line block ×5, first 2 shown]
	s_waitcnt vmcnt(56)
	v_fma_f64 v[137:138], v[129:130], v[147:148], -v[137:138]
	ds_read_b128 v[125:128], v1 offset:1472
	v_fma_f64 v[147:148], v[131:132], v[147:148], v[201:202]
	v_add_f64 v[192:193], v[192:193], 0
	v_add_f64 v[6:7], v[6:7], 0
	s_waitcnt lgkmcnt(1)
	v_mul_f64 v[206:207], v[2:3], v[141:142]
	v_mul_f64 v[141:142], v[4:5], v[141:142]
	v_add_f64 v[192:193], v[192:193], v[203:204]
	v_add_f64 v[6:7], v[6:7], v[133:134]
	s_clause 0x2
	buffer_load_dword v201, off, s[0:3], 0 offset:796
	buffer_load_dword v134, off, s[0:3], 0 offset:772
	buffer_load_dword v133, off, s[0:3], 0 offset:768
	s_waitcnt vmcnt(58) lgkmcnt(0)
	v_mul_f64 v[202:203], v[125:126], v[143:144]
	v_mul_f64 v[143:144], v[127:128], v[143:144]
	s_waitcnt vmcnt(56)
	v_fma_f64 v[141:142], v[2:3], v[149:150], -v[141:142]
	ds_read_b128 v[129:132], v1 offset:1488
	v_fma_f64 v[149:150], v[4:5], v[149:150], v[206:207]
	v_add_f64 v[137:138], v[192:193], v[137:138]
	v_add_f64 v[6:7], v[6:7], v[147:148]
	s_clause 0x4
	buffer_load_dword v148, off, s[0:3], 0 offset:812
	buffer_load_dword v192, off, s[0:3], 0 offset:824
	;; [unrolled: 1-line block ×5, first 2 shown]
	ds_read_b128 v[2:5], v1 offset:1504
	s_waitcnt vmcnt(57) lgkmcnt(1)
	v_mul_f64 v[208:209], v[129:130], v[151:152]
	v_mul_f64 v[151:152], v[131:132], v[151:152]
	s_waitcnt vmcnt(56)
	v_fma_f64 v[143:144], v[125:126], v[145:146], -v[143:144]
	v_add_f64 v[137:138], v[137:138], v[141:142]
	v_fma_f64 v[141:142], v[127:128], v[145:146], v[202:203]
	v_add_f64 v[6:7], v[6:7], v[149:150]
	s_clause 0x2
	buffer_load_dword v193, off, s[0:3], 0 offset:828
	buffer_load_dword v146, off, s[0:3], 0 offset:804
	;; [unrolled: 1-line block ×3, first 2 shown]
	s_waitcnt vmcnt(58) lgkmcnt(0)
	v_mul_f64 v[149:150], v[2:3], v[153:154]
	v_mul_f64 v[153:154], v[4:5], v[153:154]
	s_waitcnt vmcnt(56)
	v_fma_f64 v[151:152], v[129:130], v[157:158], -v[151:152]
	ds_read_b128 v[125:128], v1 offset:1520
	v_add_f64 v[137:138], v[137:138], v[143:144]
	v_fma_f64 v[143:144], v[131:132], v[157:158], v[208:209]
	v_add_f64 v[6:7], v[6:7], v[141:142]
	s_clause 0x4
	buffer_load_dword v142, off, s[0:3], 0 offset:844
	buffer_load_dword v157, off, s[0:3], 0 offset:856
	;; [unrolled: 1-line block ×5, first 2 shown]
	ds_read_b128 v[129:132], v1 offset:1536
	s_waitcnt vmcnt(57) lgkmcnt(1)
	v_mul_f64 v[203:204], v[125:126], v[159:160]
	v_mul_f64 v[159:160], v[127:128], v[159:160]
	s_waitcnt vmcnt(56)
	v_fma_f64 v[153:154], v[2:3], v[155:156], -v[153:154]
	v_fma_f64 v[149:150], v[4:5], v[155:156], v[149:150]
	v_add_f64 v[137:138], v[137:138], v[151:152]
	v_add_f64 v[6:7], v[6:7], v[143:144]
	s_clause 0x2
	buffer_load_dword v158, off, s[0:3], 0 offset:860
	buffer_load_dword v144, off, s[0:3], 0 offset:836
	;; [unrolled: 1-line block ×3, first 2 shown]
	s_waitcnt vmcnt(58) lgkmcnt(0)
	v_mul_f64 v[155:156], v[131:132], v[161:162]
	ds_read_b128 v[2:5], v1 offset:1552
	s_waitcnt vmcnt(56)
	v_fma_f64 v[159:160], v[125:126], v[165:166], -v[159:160]
	v_mul_f64 v[151:152], v[129:130], v[161:162]
	v_add_f64 v[137:138], v[137:138], v[153:154]
	v_fma_f64 v[153:154], v[127:128], v[165:166], v[203:204]
	v_add_f64 v[6:7], v[6:7], v[149:150]
	s_clause 0x4
	buffer_load_dword v150, off, s[0:3], 0 offset:876
	buffer_load_dword v161, off, s[0:3], 0 offset:888
	;; [unrolled: 1-line block ×5, first 2 shown]
	s_waitcnt vmcnt(57) lgkmcnt(0)
	v_mul_f64 v[209:210], v[2:3], v[167:168]
	v_mul_f64 v[166:167], v[4:5], v[167:168]
	s_waitcnt vmcnt(56)
	v_fma_f64 v[155:156], v[129:130], v[163:164], -v[155:156]
	ds_read_b128 v[125:128], v1 offset:1568
	v_fma_f64 v[151:152], v[131:132], v[163:164], v[151:152]
	v_add_f64 v[137:138], v[137:138], v[159:160]
	v_add_f64 v[6:7], v[6:7], v[153:154]
	s_clause 0x2
	buffer_load_dword v162, off, s[0:3], 0 offset:892
	buffer_load_dword v154, off, s[0:3], 0 offset:868
	;; [unrolled: 1-line block ×3, first 2 shown]
	ds_read_b128 v[129:132], v1 offset:1584
	s_waitcnt vmcnt(58) lgkmcnt(1)
	v_mul_f64 v[163:164], v[127:128], v[169:170]
	s_waitcnt vmcnt(56)
	v_fma_f64 v[167:168], v[2:3], v[173:174], -v[166:167]
	v_mul_f64 v[159:160], v[125:126], v[169:170]
	v_add_f64 v[137:138], v[137:138], v[155:156]
	v_fma_f64 v[155:156], v[4:5], v[173:174], v[209:210]
	v_add_f64 v[6:7], v[6:7], v[151:152]
	s_clause 0x4
	buffer_load_dword v152, off, s[0:3], 0 offset:908
	buffer_load_dword v169, off, s[0:3], 0 offset:920
	;; [unrolled: 1-line block ×5, first 2 shown]
	s_waitcnt vmcnt(57) lgkmcnt(0)
	v_mul_f64 v[209:210], v[129:130], v[175:176]
	v_mul_f64 v[174:175], v[131:132], v[175:176]
	s_waitcnt vmcnt(56)
	v_fma_f64 v[163:164], v[125:126], v[171:172], -v[163:164]
	ds_read_b128 v[2:5], v1 offset:1600
	v_fma_f64 v[159:160], v[127:128], v[171:172], v[159:160]
	v_add_f64 v[137:138], v[137:138], v[167:168]
	v_add_f64 v[6:7], v[6:7], v[155:156]
	s_clause 0x2
	buffer_load_dword v170, off, s[0:3], 0 offset:924
	buffer_load_dword v156, off, s[0:3], 0 offset:900
	;; [unrolled: 1-line block ×3, first 2 shown]
	ds_read_b128 v[125:128], v1 offset:1616
	s_waitcnt vmcnt(58) lgkmcnt(1)
	v_mul_f64 v[171:172], v[4:5], v[177:178]
	s_waitcnt vmcnt(56)
	v_fma_f64 v[175:176], v[129:130], v[181:182], -v[174:175]
	v_mul_f64 v[167:168], v[2:3], v[177:178]
	v_add_f64 v[137:138], v[137:138], v[163:164]
	v_fma_f64 v[163:164], v[131:132], v[181:182], v[209:210]
	v_add_f64 v[6:7], v[6:7], v[159:160]
	s_clause 0x2
	buffer_load_dword v160, off, s[0:3], 0 offset:940
	buffer_load_dword v159, off, s[0:3], 0 offset:936
	;; [unrolled: 1-line block ×3, first 2 shown]
	s_waitcnt vmcnt(55) lgkmcnt(0)
	v_mul_f64 v[181:182], v[127:128], v[183:184]
	s_waitcnt vmcnt(54)
	v_fma_f64 v[171:172], v[2:3], v[179:180], -v[171:172]
	ds_read_b128 v[129:132], v1 offset:1632
	v_mul_f64 v[177:178], v[125:126], v[183:184]
	v_fma_f64 v[167:168], v[4:5], v[179:180], v[167:168]
	v_add_f64 v[137:138], v[137:138], v[175:176]
	v_add_f64 v[6:7], v[6:7], v[163:164]
	s_clause 0x1
	buffer_load_dword v164, off, s[0:3], 0 offset:932
	buffer_load_dword v163, off, s[0:3], 0 offset:928
	s_waitcnt vmcnt(55) lgkmcnt(0)
	v_mul_f64 v[179:180], v[131:132], v[186:187]
	s_waitcnt vmcnt(53)
	v_fma_f64 v[181:182], v[125:126], v[190:191], -v[181:182]
	ds_read_b128 v[2:5], v1 offset:1648
	v_mul_f64 v[175:176], v[129:130], v[186:187]
	v_add_f64 v[137:138], v[137:138], v[171:172]
	v_fma_f64 v[171:172], v[127:128], v[190:191], v[177:178]
	v_add_f64 v[6:7], v[6:7], v[167:168]
	ds_read_b128 v[125:128], v1 offset:1664
	s_waitcnt vmcnt(49) lgkmcnt(1)
	v_mul_f64 v[177:178], v[4:5], v[194:195]
	s_waitcnt vmcnt(48)
	v_fma_f64 v[179:180], v[129:130], v[188:189], -v[179:180]
	v_mul_f64 v[167:168], v[2:3], v[194:195]
	v_fma_f64 v[175:176], v[131:132], v[188:189], v[175:176]
	v_add_f64 v[137:138], v[137:138], v[181:182]
	v_add_f64 v[6:7], v[6:7], v[171:172]
	s_clause 0x3
	buffer_load_dword v171, off, s[0:3], 0 offset:480
	buffer_load_dword v172, off, s[0:3], 0 offset:484
	;; [unrolled: 1-line block ×4, first 2 shown]
	ds_read_b128 v[129:132], v1 offset:1680
	s_waitcnt vmcnt(51) lgkmcnt(1)
	v_mul_f64 v[186:187], v[127:128], v[196:197]
	v_mul_f64 v[183:184], v[125:126], v[196:197]
	s_waitcnt vmcnt(49)
	v_fma_f64 v[177:178], v[2:3], v[135:136], -v[177:178]
	v_fma_f64 v[135:136], v[4:5], v[135:136], v[167:168]
	ds_read_b128 v[2:5], v1 offset:1696
	v_add_f64 v[137:138], v[137:138], v[179:180]
	v_add_f64 v[6:7], v[6:7], v[175:176]
	s_waitcnt vmcnt(45) lgkmcnt(1)
	v_mul_f64 v[167:168], v[129:130], v[139:140]
	v_mul_f64 v[139:140], v[131:132], v[139:140]
	s_waitcnt vmcnt(44)
	v_fma_f64 v[175:176], v[125:126], v[198:199], -v[186:187]
	v_add_f64 v[137:138], v[137:138], v[177:178]
	v_fma_f64 v[177:178], v[127:128], v[198:199], v[183:184]
	v_add_f64 v[6:7], v[6:7], v[135:136]
	ds_read_b128 v[125:128], v1 offset:1712
	s_waitcnt vmcnt(43) lgkmcnt(1)
	v_mul_f64 v[179:180], v[4:5], v[200:201]
	v_mul_f64 v[135:136], v[2:3], v[200:201]
	s_waitcnt vmcnt(41)
	v_fma_f64 v[139:140], v[129:130], v[133:134], -v[139:140]
	v_fma_f64 v[133:134], v[131:132], v[133:134], v[167:168]
	ds_read_b128 v[129:132], v1 offset:1728
	v_add_f64 v[137:138], v[137:138], v[175:176]
	v_add_f64 v[6:7], v[6:7], v[177:178]
	s_waitcnt vmcnt(37) lgkmcnt(1)
	v_mul_f64 v[167:168], v[125:126], v[147:148]
	v_mul_f64 v[147:148], v[127:128], v[147:148]
	s_waitcnt vmcnt(36)
	v_fma_f64 v[175:176], v[2:3], v[205:206], -v[179:180]
	v_fma_f64 v[135:136], v[4:5], v[205:206], v[135:136]
	ds_read_b128 v[2:5], v1 offset:1744
	v_add_f64 v[137:138], v[137:138], v[139:140]
	v_add_f64 v[6:7], v[6:7], v[133:134]
	;; [unrolled: 9-line block ×5, first 2 shown]
	s_waitcnt vmcnt(21) lgkmcnt(1)
	v_mul_f64 v[139:140], v[131:132], v[149:150]
	s_waitcnt vmcnt(20)
	v_fma_f64 v[143:144], v[125:126], v[202:203], -v[147:148]
	v_mul_f64 v[133:134], v[129:130], v[149:150]
	v_add_f64 v[137:138], v[137:138], v[141:142]
	v_fma_f64 v[141:142], v[127:128], v[202:203], v[145:146]
	v_add_f64 v[6:7], v[6:7], v[135:136]
	ds_read_b128 v[125:128], v1 offset:1808
	s_waitcnt vmcnt(19) lgkmcnt(1)
	v_mul_f64 v[145:146], v[4:5], v[161:162]
	v_mul_f64 v[135:136], v[2:3], v[161:162]
	s_waitcnt vmcnt(17)
	v_fma_f64 v[139:140], v[129:130], v[153:154], -v[139:140]
	v_fma_f64 v[133:134], v[131:132], v[153:154], v[133:134]
	ds_read_b128 v[129:132], v1 offset:1824
	v_add_f64 v[137:138], v[137:138], v[143:144]
	v_add_f64 v[6:7], v[6:7], v[141:142]
	s_waitcnt vmcnt(13) lgkmcnt(1)
	v_mul_f64 v[143:144], v[127:128], v[151:152]
	s_waitcnt vmcnt(12)
	v_fma_f64 v[145:146], v[2:3], v[165:166], -v[145:146]
	v_mul_f64 v[141:142], v[125:126], v[151:152]
	v_fma_f64 v[135:136], v[4:5], v[165:166], v[135:136]
	ds_read_b128 v[1:4], v1 offset:1840
	v_add_f64 v[137:138], v[137:138], v[139:140]
	v_add_f64 v[5:6], v[6:7], v[133:134]
	s_waitcnt vmcnt(11) lgkmcnt(1)
	v_mul_f64 v[133:134], v[131:132], v[169:170]
	v_mul_f64 v[7:8], v[129:130], v[169:170]
	s_waitcnt vmcnt(9)
	v_fma_f64 v[125:126], v[125:126], v[155:156], -v[143:144]
	v_fma_f64 v[127:128], v[127:128], v[155:156], v[141:142]
	v_add_f64 v[137:138], v[137:138], v[145:146]
	v_add_f64 v[5:6], v[5:6], v[135:136]
	s_waitcnt vmcnt(7) lgkmcnt(0)
	v_mul_f64 v[139:140], v[3:4], v[159:160]
	s_waitcnt vmcnt(6)
	v_fma_f64 v[129:130], v[129:130], v[173:174], -v[133:134]
	v_mul_f64 v[135:136], v[1:2], v[159:160]
	v_fma_f64 v[7:8], v[131:132], v[173:174], v[7:8]
	v_add_f64 v[125:126], v[137:138], v[125:126]
	v_add_f64 v[5:6], v[5:6], v[127:128]
	s_waitcnt vmcnt(4)
	v_fma_f64 v[1:2], v[1:2], v[163:164], -v[139:140]
	v_fma_f64 v[3:4], v[3:4], v[163:164], v[135:136]
	v_add_f64 v[125:126], v[125:126], v[129:130]
	v_add_f64 v[5:6], v[5:6], v[7:8]
	;; [unrolled: 1-line block ×4, first 2 shown]
	s_waitcnt vmcnt(2)
	v_add_f64 v[1:2], v[171:172], -v[1:2]
	s_waitcnt vmcnt(0)
	v_add_f64 v[3:4], v[181:182], -v[3:4]
	buffer_store_dword v2, off, s[0:3], 0 offset:484
	buffer_store_dword v1, off, s[0:3], 0 offset:480
	;; [unrolled: 1-line block ×4, first 2 shown]
	v_cmpx_lt_u32_e32 28, v0
	s_cbranch_execz .LBB121_305
; %bb.304:
	v_mov_b32_e32 v4, s42
	v_mov_b32_e32 v5, 0
	s_clause 0x3
	buffer_load_dword v1, v4, s[0:3], 0 offen
	buffer_load_dword v2, v4, s[0:3], 0 offen offset:4
	buffer_load_dword v3, v4, s[0:3], 0 offen offset:8
	;; [unrolled: 1-line block ×3, first 2 shown]
	buffer_store_dword v5, off, s[0:3], 0 offset:464
	buffer_store_dword v5, off, s[0:3], 0 offset:468
	;; [unrolled: 1-line block ×4, first 2 shown]
	s_waitcnt vmcnt(0)
	ds_write_b128 v185, v[1:4]
.LBB121_305:
	s_or_b32 exec_lo, exec_lo, s4
	s_waitcnt lgkmcnt(0)
	s_waitcnt_vscnt null, 0x0
	s_barrier
	buffer_gl0_inv
	s_clause 0x37
	buffer_load_dword v125, off, s[0:3], 0 offset:488
	buffer_load_dword v126, off, s[0:3], 0 offset:492
	;; [unrolled: 1-line block ×56, first 2 shown]
	v_mov_b32_e32 v127, 0
	s_mov_b32 s4, exec_lo
	ds_read_b128 v[5:8], v127 offset:1392
	s_clause 0x2
	buffer_load_dword v187, off, s[0:3], 0 offset:716
	buffer_load_dword v191, off, s[0:3], 0 offset:692
	;; [unrolled: 1-line block ×3, first 2 shown]
	ds_read_b128 v[128:131], v127 offset:1408
	s_clause 0x4
	buffer_load_dword v195, off, s[0:3], 0 offset:732
	buffer_load_dword v196, off, s[0:3], 0 offset:744
	;; [unrolled: 1-line block ×5, first 2 shown]
	ds_read_b128 v[132:135], v127 offset:1424
	s_waitcnt vmcnt(62) lgkmcnt(2)
	v_mul_f64 v[192:193], v[7:8], v[125:126]
	v_mul_f64 v[125:126], v[5:6], v[125:126]
	s_waitcnt vmcnt(60) lgkmcnt(1)
	v_mul_f64 v[199:200], v[130:131], v[136:137]
	v_mul_f64 v[136:137], v[128:129], v[136:137]
	;; [unrolled: 3-line block ×3, first 2 shown]
	v_fma_f64 v[192:193], v[5:6], v[138:139], -v[192:193]
	v_fma_f64 v[125:126], v[7:8], v[138:139], v[125:126]
	s_clause 0x2
	buffer_load_dword v197, off, s[0:3], 0 offset:748
	buffer_load_dword v139, off, s[0:3], 0 offset:724
	;; [unrolled: 1-line block ×3, first 2 shown]
	s_waitcnt vmcnt(57)
	v_fma_f64 v[128:129], v[128:129], v[1:2], -v[199:200]
	ds_read_b128 v[5:8], v127 offset:1440
	v_fma_f64 v[130:131], v[130:131], v[1:2], v[136:137]
	s_clause 0x4
	buffer_load_dword v137, off, s[0:3], 0 offset:764
	buffer_load_dword v200, off, s[0:3], 0 offset:776
	;; [unrolled: 1-line block ×5, first 2 shown]
	s_waitcnt vmcnt(56)
	v_fma_f64 v[132:133], v[132:133], v[146:147], -v[203:204]
	ds_read_b128 v[1:4], v127 offset:1456
	v_fma_f64 v[134:135], v[134:135], v[146:147], v[201:202]
	s_clause 0x2
	buffer_load_dword v201, off, s[0:3], 0 offset:780
	buffer_load_dword v147, off, s[0:3], 0 offset:756
	;; [unrolled: 1-line block ×3, first 2 shown]
	v_add_f64 v[192:193], v[192:193], 0
	v_add_f64 v[125:126], v[125:126], 0
	s_waitcnt lgkmcnt(1)
	v_mul_f64 v[206:207], v[5:6], v[140:141]
	v_mul_f64 v[140:141], v[7:8], v[140:141]
	s_waitcnt vmcnt(58) lgkmcnt(0)
	v_mul_f64 v[202:203], v[1:2], v[142:143]
	v_mul_f64 v[142:143], v[3:4], v[142:143]
	v_add_f64 v[192:193], v[192:193], v[128:129]
	v_add_f64 v[125:126], v[125:126], v[130:131]
	ds_read_b128 v[128:131], v127 offset:1472
	s_waitcnt vmcnt(56)
	v_fma_f64 v[140:141], v[5:6], v[148:149], -v[140:141]
	v_fma_f64 v[148:149], v[7:8], v[148:149], v[206:207]
	s_waitcnt vmcnt(51)
	v_fma_f64 v[142:143], v[1:2], v[144:145], -v[142:143]
	s_waitcnt lgkmcnt(0)
	v_mul_f64 v[208:209], v[128:129], v[150:151]
	v_add_f64 v[132:133], v[192:193], v[132:133]
	v_add_f64 v[125:126], v[125:126], v[134:135]
	s_clause 0x4
	buffer_load_dword v135, off, s[0:3], 0 offset:796
	buffer_load_dword v192, off, s[0:3], 0 offset:808
	buffer_load_dword v207, off, s[0:3], 0 offset:800
	buffer_load_dword v134, off, s[0:3], 0 offset:792
	buffer_load_dword v206, off, s[0:3], 0 offset:772
	v_mul_f64 v[150:151], v[130:131], v[150:151]
	ds_read_b128 v[5:8], v127 offset:1488
	v_add_f64 v[132:133], v[132:133], v[140:141]
	v_fma_f64 v[140:141], v[3:4], v[144:145], v[202:203]
	v_add_f64 v[125:126], v[125:126], v[148:149]
	s_clause 0x2
	buffer_load_dword v193, off, s[0:3], 0 offset:812
	buffer_load_dword v145, off, s[0:3], 0 offset:788
	;; [unrolled: 1-line block ×3, first 2 shown]
	s_waitcnt vmcnt(58) lgkmcnt(0)
	v_mul_f64 v[148:149], v[5:6], v[152:153]
	v_mul_f64 v[152:153], v[7:8], v[152:153]
	s_waitcnt vmcnt(56)
	v_fma_f64 v[150:151], v[128:129], v[156:157], -v[150:151]
	ds_read_b128 v[1:4], v127 offset:1504
	v_add_f64 v[132:133], v[132:133], v[142:143]
	v_fma_f64 v[142:143], v[130:131], v[156:157], v[208:209]
	v_add_f64 v[125:126], v[125:126], v[140:141]
	s_clause 0x4
	buffer_load_dword v141, off, s[0:3], 0 offset:828
	buffer_load_dword v156, off, s[0:3], 0 offset:840
	;; [unrolled: 1-line block ×5, first 2 shown]
	ds_read_b128 v[128:131], v127 offset:1520
	s_waitcnt vmcnt(57) lgkmcnt(1)
	v_mul_f64 v[203:204], v[1:2], v[158:159]
	v_mul_f64 v[158:159], v[3:4], v[158:159]
	s_waitcnt vmcnt(56)
	v_fma_f64 v[152:153], v[5:6], v[154:155], -v[152:153]
	v_fma_f64 v[148:149], v[7:8], v[154:155], v[148:149]
	v_add_f64 v[132:133], v[132:133], v[150:151]
	v_add_f64 v[125:126], v[125:126], v[142:143]
	s_clause 0x2
	buffer_load_dword v157, off, s[0:3], 0 offset:844
	buffer_load_dword v143, off, s[0:3], 0 offset:820
	;; [unrolled: 1-line block ×3, first 2 shown]
	s_waitcnt vmcnt(58) lgkmcnt(0)
	v_mul_f64 v[154:155], v[130:131], v[160:161]
	ds_read_b128 v[5:8], v127 offset:1536
	s_waitcnt vmcnt(56)
	v_fma_f64 v[158:159], v[1:2], v[164:165], -v[158:159]
	v_mul_f64 v[150:151], v[128:129], v[160:161]
	v_add_f64 v[132:133], v[132:133], v[152:153]
	v_fma_f64 v[152:153], v[3:4], v[164:165], v[203:204]
	v_add_f64 v[125:126], v[125:126], v[148:149]
	s_clause 0x4
	buffer_load_dword v149, off, s[0:3], 0 offset:860
	buffer_load_dword v160, off, s[0:3], 0 offset:872
	buffer_load_dword v164, off, s[0:3], 0 offset:864
	buffer_load_dword v148, off, s[0:3], 0 offset:856
	buffer_load_dword v203, off, s[0:3], 0 offset:836
	s_waitcnt vmcnt(57) lgkmcnt(0)
	v_mul_f64 v[209:210], v[5:6], v[166:167]
	v_mul_f64 v[165:166], v[7:8], v[166:167]
	s_waitcnt vmcnt(56)
	v_fma_f64 v[154:155], v[128:129], v[162:163], -v[154:155]
	ds_read_b128 v[1:4], v127 offset:1552
	v_fma_f64 v[150:151], v[130:131], v[162:163], v[150:151]
	v_add_f64 v[132:133], v[132:133], v[158:159]
	v_add_f64 v[125:126], v[125:126], v[152:153]
	s_clause 0x2
	buffer_load_dword v161, off, s[0:3], 0 offset:876
	buffer_load_dword v153, off, s[0:3], 0 offset:852
	buffer_load_dword v152, off, s[0:3], 0 offset:848
	ds_read_b128 v[128:131], v127 offset:1568
	s_waitcnt vmcnt(58) lgkmcnt(1)
	v_mul_f64 v[162:163], v[3:4], v[168:169]
	s_waitcnt vmcnt(56)
	v_fma_f64 v[166:167], v[5:6], v[172:173], -v[165:166]
	v_mul_f64 v[158:159], v[1:2], v[168:169]
	v_add_f64 v[132:133], v[132:133], v[154:155]
	v_fma_f64 v[154:155], v[7:8], v[172:173], v[209:210]
	v_add_f64 v[125:126], v[125:126], v[150:151]
	s_clause 0x4
	buffer_load_dword v151, off, s[0:3], 0 offset:892
	buffer_load_dword v168, off, s[0:3], 0 offset:904
	buffer_load_dword v172, off, s[0:3], 0 offset:896
	buffer_load_dword v150, off, s[0:3], 0 offset:888
	buffer_load_dword v165, off, s[0:3], 0 offset:868
	s_waitcnt vmcnt(57) lgkmcnt(0)
	v_mul_f64 v[209:210], v[128:129], v[174:175]
	v_mul_f64 v[173:174], v[130:131], v[174:175]
	s_waitcnt vmcnt(56)
	v_fma_f64 v[162:163], v[1:2], v[170:171], -v[162:163]
	ds_read_b128 v[5:8], v127 offset:1584
	v_fma_f64 v[158:159], v[3:4], v[170:171], v[158:159]
	v_add_f64 v[132:133], v[132:133], v[166:167]
	v_add_f64 v[125:126], v[125:126], v[154:155]
	s_clause 0x2
	buffer_load_dword v169, off, s[0:3], 0 offset:908
	buffer_load_dword v155, off, s[0:3], 0 offset:884
	buffer_load_dword v154, off, s[0:3], 0 offset:880
	ds_read_b128 v[1:4], v127 offset:1600
	s_waitcnt vmcnt(58) lgkmcnt(1)
	v_mul_f64 v[170:171], v[7:8], v[176:177]
	;; [unrolled: 28-line block ×3, first 2 shown]
	s_waitcnt vmcnt(56)
	v_fma_f64 v[182:183], v[1:2], v[190:191], -v[181:182]
	v_mul_f64 v[174:175], v[128:129], v[186:187]
	buffer_load_dword v181, off, s[0:3], 0 offset:932
	v_add_f64 v[132:133], v[132:133], v[170:171]
	v_fma_f64 v[170:171], v[3:4], v[190:191], v[209:210]
	v_add_f64 v[125:126], v[125:126], v[166:167]
	ds_read_b128 v[1:4], v127 offset:1648
	s_waitcnt vmcnt(53) lgkmcnt(1)
	v_mul_f64 v[186:187], v[7:8], v[194:195]
	s_waitcnt vmcnt(52)
	v_fma_f64 v[178:179], v[128:129], v[188:189], -v[178:179]
	v_mul_f64 v[166:167], v[5:6], v[194:195]
	v_fma_f64 v[174:175], v[130:131], v[188:189], v[174:175]
	ds_read_b128 v[128:131], v127 offset:1664
	v_add_f64 v[132:133], v[132:133], v[182:183]
	v_add_f64 v[125:126], v[125:126], v[170:171]
	s_waitcnt vmcnt(51) lgkmcnt(1)
	v_mul_f64 v[182:183], v[3:4], v[196:197]
	v_mul_f64 v[170:171], v[1:2], v[196:197]
	s_waitcnt vmcnt(49)
	v_fma_f64 v[186:187], v[5:6], v[138:139], -v[186:187]
	v_fma_f64 v[138:139], v[7:8], v[138:139], v[166:167]
	v_add_f64 v[132:133], v[132:133], v[178:179]
	s_waitcnt vmcnt(45) lgkmcnt(0)
	v_mul_f64 v[178:179], v[128:129], v[136:137]
	v_add_f64 v[125:126], v[125:126], v[174:175]
	s_clause 0x3
	buffer_load_dword v166, off, s[0:3], 0 offset:464
	buffer_load_dword v167, off, s[0:3], 0 offset:468
	;; [unrolled: 1-line block ×4, first 2 shown]
	v_mul_f64 v[136:137], v[130:131], v[136:137]
	ds_read_b128 v[5:8], v127 offset:1680
	s_waitcnt vmcnt(48)
	v_fma_f64 v[182:183], v[1:2], v[198:199], -v[182:183]
	v_fma_f64 v[170:171], v[3:4], v[198:199], v[170:171]
	ds_read_b128 v[1:4], v127 offset:1696
	v_add_f64 v[132:133], v[132:133], v[186:187]
	v_add_f64 v[125:126], v[125:126], v[138:139]
	s_waitcnt vmcnt(47) lgkmcnt(1)
	v_mul_f64 v[186:187], v[7:8], v[200:201]
	s_waitcnt vmcnt(45)
	v_fma_f64 v[136:137], v[128:129], v[146:147], -v[136:137]
	v_mul_f64 v[138:139], v[5:6], v[200:201]
	v_fma_f64 v[146:147], v[130:131], v[146:147], v[178:179]
	ds_read_b128 v[128:131], v127 offset:1712
	v_add_f64 v[132:133], v[132:133], v[182:183]
	v_add_f64 v[125:126], v[125:126], v[170:171]
	s_waitcnt vmcnt(41) lgkmcnt(1)
	v_mul_f64 v[170:171], v[1:2], v[134:135]
	v_mul_f64 v[134:135], v[3:4], v[134:135]
	s_waitcnt vmcnt(40)
	v_fma_f64 v[178:179], v[5:6], v[205:206], -v[186:187]
	v_add_f64 v[132:133], v[132:133], v[136:137]
	v_fma_f64 v[136:137], v[7:8], v[205:206], v[138:139]
	v_add_f64 v[125:126], v[125:126], v[146:147]
	ds_read_b128 v[5:8], v127 offset:1728
	s_waitcnt vmcnt(39) lgkmcnt(1)
	v_mul_f64 v[146:147], v[130:131], v[192:193]
	v_mul_f64 v[138:139], v[128:129], v[192:193]
	s_waitcnt vmcnt(37)
	v_fma_f64 v[134:135], v[1:2], v[144:145], -v[134:135]
	v_fma_f64 v[144:145], v[3:4], v[144:145], v[170:171]
	ds_read_b128 v[1:4], v127 offset:1744
	v_add_f64 v[132:133], v[132:133], v[178:179]
	v_add_f64 v[125:126], v[125:126], v[136:137]
	s_waitcnt vmcnt(33) lgkmcnt(1)
	v_mul_f64 v[136:137], v[5:6], v[140:141]
	v_mul_f64 v[140:141], v[7:8], v[140:141]
	s_waitcnt vmcnt(32)
	v_fma_f64 v[146:147], v[128:129], v[207:208], -v[146:147]
	v_add_f64 v[132:133], v[132:133], v[134:135]
	v_fma_f64 v[134:135], v[130:131], v[207:208], v[138:139]
	v_add_f64 v[125:126], v[125:126], v[144:145]
	ds_read_b128 v[128:131], v127 offset:1760
	s_waitcnt vmcnt(31) lgkmcnt(1)
	v_mul_f64 v[144:145], v[3:4], v[156:157]
	v_mul_f64 v[138:139], v[1:2], v[156:157]
	s_waitcnt vmcnt(29)
	v_fma_f64 v[140:141], v[5:6], v[142:143], -v[140:141]
	v_fma_f64 v[136:137], v[7:8], v[142:143], v[136:137]
	ds_read_b128 v[5:8], v127 offset:1776
	v_add_f64 v[132:133], v[132:133], v[146:147]
	v_add_f64 v[125:126], v[125:126], v[134:135]
	s_waitcnt vmcnt(25) lgkmcnt(1)
	v_mul_f64 v[142:143], v[130:131], v[148:149]
	s_waitcnt vmcnt(24)
	v_fma_f64 v[144:145], v[1:2], v[202:203], -v[144:145]
	v_mul_f64 v[134:135], v[128:129], v[148:149]
	v_fma_f64 v[138:139], v[3:4], v[202:203], v[138:139]
	ds_read_b128 v[1:4], v127 offset:1792
	v_add_f64 v[132:133], v[132:133], v[140:141]
	v_add_f64 v[125:126], v[125:126], v[136:137]
	s_waitcnt vmcnt(23) lgkmcnt(1)
	v_mul_f64 v[140:141], v[7:8], v[160:161]
	v_mul_f64 v[136:137], v[5:6], v[160:161]
	s_waitcnt vmcnt(21)
	v_fma_f64 v[142:143], v[128:129], v[152:153], -v[142:143]
	v_fma_f64 v[134:135], v[130:131], v[152:153], v[134:135]
	ds_read_b128 v[128:131], v127 offset:1808
	v_add_f64 v[132:133], v[132:133], v[144:145]
	v_add_f64 v[125:126], v[125:126], v[138:139]
	s_waitcnt vmcnt(17) lgkmcnt(1)
	v_mul_f64 v[144:145], v[3:4], v[150:151]
	s_waitcnt vmcnt(16)
	v_fma_f64 v[140:141], v[5:6], v[164:165], -v[140:141]
	v_mul_f64 v[138:139], v[1:2], v[150:151]
	v_fma_f64 v[136:137], v[7:8], v[164:165], v[136:137]
	ds_read_b128 v[5:8], v127 offset:1824
	v_add_f64 v[132:133], v[132:133], v[142:143]
	v_add_f64 v[125:126], v[125:126], v[134:135]
	s_waitcnt vmcnt(15) lgkmcnt(1)
	v_mul_f64 v[142:143], v[130:131], v[168:169]
	v_mul_f64 v[134:135], v[128:129], v[168:169]
	s_waitcnt vmcnt(13)
	v_fma_f64 v[144:145], v[1:2], v[154:155], -v[144:145]
	v_fma_f64 v[138:139], v[3:4], v[154:155], v[138:139]
	ds_read_b128 v[1:4], v127 offset:1840
	v_add_f64 v[132:133], v[132:133], v[140:141]
	v_add_f64 v[125:126], v[125:126], v[136:137]
	s_waitcnt vmcnt(9) lgkmcnt(1)
	v_mul_f64 v[140:141], v[7:8], v[158:159]
	s_waitcnt vmcnt(8)
	v_fma_f64 v[128:129], v[128:129], v[172:173], -v[142:143]
	v_mul_f64 v[136:137], v[5:6], v[158:159]
	v_fma_f64 v[130:131], v[130:131], v[172:173], v[134:135]
	v_add_f64 v[132:133], v[132:133], v[144:145]
	v_add_f64 v[125:126], v[125:126], v[138:139]
	s_waitcnt vmcnt(7) lgkmcnt(0)
	v_mul_f64 v[138:139], v[3:4], v[176:177]
	v_mul_f64 v[134:135], v[1:2], v[176:177]
	s_waitcnt vmcnt(5)
	v_fma_f64 v[5:6], v[5:6], v[162:163], -v[140:141]
	v_fma_f64 v[7:8], v[7:8], v[162:163], v[136:137]
	v_add_f64 v[128:129], v[132:133], v[128:129]
	v_add_f64 v[125:126], v[125:126], v[130:131]
	s_waitcnt vmcnt(4)
	v_fma_f64 v[1:2], v[1:2], v[180:181], -v[138:139]
	v_fma_f64 v[3:4], v[3:4], v[180:181], v[134:135]
	v_add_f64 v[5:6], v[128:129], v[5:6]
	v_add_f64 v[7:8], v[125:126], v[7:8]
	v_add_f64 v[1:2], v[5:6], v[1:2]
	v_add_f64 v[3:4], v[7:8], v[3:4]
	s_waitcnt vmcnt(2)
	v_add_f64 v[1:2], v[166:167], -v[1:2]
	s_waitcnt vmcnt(0)
	v_add_f64 v[3:4], v[174:175], -v[3:4]
	buffer_store_dword v2, off, s[0:3], 0 offset:468
	buffer_store_dword v1, off, s[0:3], 0 offset:464
	;; [unrolled: 1-line block ×4, first 2 shown]
	v_cmpx_lt_u32_e32 27, v0
	s_cbranch_execz .LBB121_307
; %bb.306:
	v_mov_b32_e32 v4, s43
	s_clause 0x3
	buffer_load_dword v1, v4, s[0:3], 0 offen
	buffer_load_dword v2, v4, s[0:3], 0 offen offset:4
	buffer_load_dword v3, v4, s[0:3], 0 offen offset:8
	;; [unrolled: 1-line block ×3, first 2 shown]
	buffer_store_dword v127, off, s[0:3], 0 offset:448
	buffer_store_dword v127, off, s[0:3], 0 offset:452
	;; [unrolled: 1-line block ×4, first 2 shown]
	s_waitcnt vmcnt(0)
	ds_write_b128 v185, v[1:4]
.LBB121_307:
	s_or_b32 exec_lo, exec_lo, s4
	s_waitcnt lgkmcnt(0)
	s_waitcnt_vscnt null, 0x0
	s_barrier
	buffer_gl0_inv
	s_clause 0x37
	buffer_load_dword v125, off, s[0:3], 0 offset:472
	buffer_load_dword v126, off, s[0:3], 0 offset:476
	;; [unrolled: 1-line block ×56, first 2 shown]
	ds_read_b128 v[128:131], v127 offset:1376
	s_clause 0x2
	buffer_load_dword v187, off, s[0:3], 0 offset:700
	buffer_load_dword v191, off, s[0:3], 0 offset:676
	buffer_load_dword v190, off, s[0:3], 0 offset:672
	ds_read_b128 v[132:135], v127 offset:1392
	s_clause 0x4
	buffer_load_dword v195, off, s[0:3], 0 offset:716
	buffer_load_dword v196, off, s[0:3], 0 offset:728
	;; [unrolled: 1-line block ×5, first 2 shown]
	ds_read_b128 v[136:139], v127 offset:1408
	s_clause 0x2
	buffer_load_dword v197, off, s[0:3], 0 offset:732
	buffer_load_dword v202, off, s[0:3], 0 offset:708
	;; [unrolled: 1-line block ×3, first 2 shown]
	s_mov_b32 s4, exec_lo
	s_waitcnt vmcnt(62) lgkmcnt(2)
	v_mul_f64 v[192:193], v[130:131], v[125:126]
	v_mul_f64 v[125:126], v[128:129], v[125:126]
	s_waitcnt lgkmcnt(1)
	v_mul_f64 v[199:200], v[134:135], v[5:6]
	s_waitcnt vmcnt(59) lgkmcnt(0)
	v_mul_f64 v[203:204], v[138:139], v[3:4]
	v_fma_f64 v[128:129], v[128:129], v[7:8], -v[192:193]
	v_mul_f64 v[192:193], v[132:133], v[5:6]
	v_fma_f64 v[125:126], v[130:131], v[7:8], v[125:126]
	s_waitcnt vmcnt(57)
	v_fma_f64 v[132:133], v[132:133], v[1:2], -v[199:200]
	ds_read_b128 v[5:8], v127 offset:1424
	v_mul_f64 v[130:131], v[136:137], v[3:4]
	s_waitcnt vmcnt(51)
	v_fma_f64 v[136:137], v[136:137], v[146:147], -v[203:204]
	v_add_f64 v[128:129], v[128:129], 0
	v_fma_f64 v[134:135], v[134:135], v[1:2], v[192:193]
	v_add_f64 v[125:126], v[125:126], 0
	s_clause 0x4
	buffer_load_dword v193, off, s[0:3], 0 offset:748
	buffer_load_dword v205, off, s[0:3], 0 offset:760
	;; [unrolled: 1-line block ×5, first 2 shown]
	s_waitcnt lgkmcnt(0)
	v_mul_f64 v[208:209], v[5:6], v[140:141]
	v_mul_f64 v[140:141], v[7:8], v[140:141]
	ds_read_b128 v[1:4], v127 offset:1440
	v_fma_f64 v[138:139], v[138:139], v[146:147], v[130:131]
	v_add_f64 v[132:133], v[128:129], v[132:133]
	v_add_f64 v[125:126], v[125:126], v[134:135]
	s_clause 0x2
	buffer_load_dword v206, off, s[0:3], 0 offset:764
	buffer_load_dword v135, off, s[0:3], 0 offset:740
	;; [unrolled: 1-line block ×3, first 2 shown]
	s_waitcnt vmcnt(58) lgkmcnt(0)
	v_mul_f64 v[146:147], v[1:2], v[142:143]
	v_mul_f64 v[142:143], v[3:4], v[142:143]
	s_waitcnt vmcnt(56)
	v_fma_f64 v[140:141], v[5:6], v[148:149], -v[140:141]
	ds_read_b128 v[128:131], v127 offset:1456
	v_add_f64 v[132:133], v[132:133], v[136:137]
	v_fma_f64 v[136:137], v[7:8], v[148:149], v[208:209]
	v_add_f64 v[125:126], v[125:126], v[138:139]
	s_clause 0x4
	buffer_load_dword v139, off, s[0:3], 0 offset:780
	buffer_load_dword v148, off, s[0:3], 0 offset:792
	;; [unrolled: 1-line block ×5, first 2 shown]
	ds_read_b128 v[5:8], v127 offset:1472
	s_waitcnt vmcnt(57) lgkmcnt(1)
	v_mul_f64 v[209:210], v[128:129], v[150:151]
	v_mul_f64 v[150:151], v[130:131], v[150:151]
	s_waitcnt vmcnt(56)
	v_fma_f64 v[142:143], v[1:2], v[144:145], -v[142:143]
	v_add_f64 v[132:133], v[132:133], v[140:141]
	v_fma_f64 v[140:141], v[3:4], v[144:145], v[146:147]
	v_add_f64 v[125:126], v[125:126], v[136:137]
	s_clause 0x2
	buffer_load_dword v149, off, s[0:3], 0 offset:796
	buffer_load_dword v137, off, s[0:3], 0 offset:772
	;; [unrolled: 1-line block ×3, first 2 shown]
	s_waitcnt vmcnt(58) lgkmcnt(0)
	v_mul_f64 v[146:147], v[7:8], v[152:153]
	ds_read_b128 v[1:4], v127 offset:1488
	s_waitcnt vmcnt(56)
	v_fma_f64 v[150:151], v[128:129], v[156:157], -v[150:151]
	v_mul_f64 v[144:145], v[5:6], v[152:153]
	v_add_f64 v[132:133], v[132:133], v[142:143]
	v_fma_f64 v[142:143], v[130:131], v[156:157], v[209:210]
	v_add_f64 v[125:126], v[125:126], v[140:141]
	s_clause 0x4
	buffer_load_dword v141, off, s[0:3], 0 offset:812
	buffer_load_dword v152, off, s[0:3], 0 offset:824
	buffer_load_dword v156, off, s[0:3], 0 offset:816
	buffer_load_dword v140, off, s[0:3], 0 offset:808
	buffer_load_dword v204, off, s[0:3], 0 offset:788
	s_waitcnt vmcnt(57) lgkmcnt(0)
	v_mul_f64 v[209:210], v[1:2], v[158:159]
	v_mul_f64 v[157:158], v[3:4], v[158:159]
	s_waitcnt vmcnt(56)
	v_fma_f64 v[146:147], v[5:6], v[154:155], -v[146:147]
	ds_read_b128 v[128:131], v127 offset:1504
	v_fma_f64 v[144:145], v[7:8], v[154:155], v[144:145]
	v_add_f64 v[132:133], v[132:133], v[150:151]
	v_add_f64 v[125:126], v[125:126], v[142:143]
	s_clause 0x2
	buffer_load_dword v153, off, s[0:3], 0 offset:828
	buffer_load_dword v143, off, s[0:3], 0 offset:804
	buffer_load_dword v142, off, s[0:3], 0 offset:800
	ds_read_b128 v[5:8], v127 offset:1520
	s_waitcnt vmcnt(58) lgkmcnt(1)
	v_mul_f64 v[154:155], v[130:131], v[160:161]
	s_waitcnt vmcnt(56)
	v_fma_f64 v[158:159], v[1:2], v[164:165], -v[157:158]
	v_mul_f64 v[150:151], v[128:129], v[160:161]
	v_add_f64 v[132:133], v[132:133], v[146:147]
	v_fma_f64 v[146:147], v[3:4], v[164:165], v[209:210]
	v_add_f64 v[125:126], v[125:126], v[144:145]
	s_clause 0x4
	buffer_load_dword v145, off, s[0:3], 0 offset:844
	buffer_load_dword v160, off, s[0:3], 0 offset:856
	buffer_load_dword v164, off, s[0:3], 0 offset:848
	buffer_load_dword v144, off, s[0:3], 0 offset:840
	buffer_load_dword v157, off, s[0:3], 0 offset:820
	s_waitcnt vmcnt(57) lgkmcnt(0)
	v_mul_f64 v[209:210], v[5:6], v[166:167]
	v_mul_f64 v[165:166], v[7:8], v[166:167]
	s_waitcnt vmcnt(56)
	v_fma_f64 v[154:155], v[128:129], v[162:163], -v[154:155]
	ds_read_b128 v[1:4], v127 offset:1536
	v_fma_f64 v[150:151], v[130:131], v[162:163], v[150:151]
	v_add_f64 v[132:133], v[132:133], v[158:159]
	v_add_f64 v[125:126], v[125:126], v[146:147]
	s_clause 0x2
	buffer_load_dword v161, off, s[0:3], 0 offset:860
	buffer_load_dword v147, off, s[0:3], 0 offset:836
	buffer_load_dword v146, off, s[0:3], 0 offset:832
	ds_read_b128 v[128:131], v127 offset:1552
	s_waitcnt vmcnt(58) lgkmcnt(1)
	v_mul_f64 v[162:163], v[3:4], v[168:169]
	;; [unrolled: 28-line block ×4, first 2 shown]
	s_waitcnt vmcnt(56)
	v_fma_f64 v[182:183], v[1:2], v[190:191], -v[181:182]
	v_mul_f64 v[174:175], v[128:129], v[186:187]
	v_add_f64 v[132:133], v[132:133], v[170:171]
	v_fma_f64 v[170:171], v[3:4], v[190:191], v[209:210]
	v_add_f64 v[125:126], v[125:126], v[166:167]
	s_clause 0x2
	buffer_load_dword v167, off, s[0:3], 0 offset:940
	buffer_load_dword v166, off, s[0:3], 0 offset:936
	;; [unrolled: 1-line block ×3, first 2 shown]
	s_waitcnt vmcnt(55) lgkmcnt(0)
	v_mul_f64 v[190:191], v[7:8], v[194:195]
	s_waitcnt vmcnt(54)
	v_fma_f64 v[178:179], v[128:129], v[188:189], -v[178:179]
	ds_read_b128 v[1:4], v127 offset:1632
	v_mul_f64 v[186:187], v[5:6], v[194:195]
	v_fma_f64 v[174:175], v[130:131], v[188:189], v[174:175]
	v_add_f64 v[132:133], v[132:133], v[182:183]
	v_add_f64 v[125:126], v[125:126], v[170:171]
	s_clause 0x1
	buffer_load_dword v171, off, s[0:3], 0 offset:932
	buffer_load_dword v170, off, s[0:3], 0 offset:928
	s_waitcnt vmcnt(55) lgkmcnt(0)
	v_mul_f64 v[188:189], v[3:4], v[196:197]
	s_waitcnt vmcnt(53)
	v_fma_f64 v[190:191], v[5:6], v[201:202], -v[190:191]
	ds_read_b128 v[128:131], v127 offset:1648
	v_mul_f64 v[182:183], v[1:2], v[196:197]
	v_add_f64 v[132:133], v[132:133], v[178:179]
	v_fma_f64 v[178:179], v[7:8], v[201:202], v[186:187]
	v_add_f64 v[125:126], v[125:126], v[174:175]
	ds_read_b128 v[5:8], v127 offset:1664
	s_waitcnt vmcnt(49) lgkmcnt(1)
	v_mul_f64 v[186:187], v[130:131], v[192:193]
	s_waitcnt vmcnt(48)
	v_fma_f64 v[188:189], v[1:2], v[198:199], -v[188:189]
	v_mul_f64 v[174:175], v[128:129], v[192:193]
	v_fma_f64 v[182:183], v[3:4], v[198:199], v[182:183]
	v_add_f64 v[132:133], v[132:133], v[190:191]
	v_add_f64 v[125:126], v[125:126], v[178:179]
	s_clause 0x3
	buffer_load_dword v178, off, s[0:3], 0 offset:448
	buffer_load_dword v179, off, s[0:3], 0 offset:452
	;; [unrolled: 1-line block ×4, first 2 shown]
	ds_read_b128 v[1:4], v127 offset:1680
	s_waitcnt vmcnt(51) lgkmcnt(1)
	v_mul_f64 v[194:195], v[7:8], v[205:206]
	v_mul_f64 v[192:193], v[5:6], v[205:206]
	s_waitcnt vmcnt(49)
	v_fma_f64 v[186:187], v[128:129], v[134:135], -v[186:187]
	v_fma_f64 v[134:135], v[130:131], v[134:135], v[174:175]
	ds_read_b128 v[128:131], v127 offset:1696
	v_add_f64 v[132:133], v[132:133], v[188:189]
	v_add_f64 v[125:126], v[125:126], v[182:183]
	s_waitcnt vmcnt(45) lgkmcnt(1)
	v_mul_f64 v[174:175], v[1:2], v[138:139]
	v_mul_f64 v[138:139], v[3:4], v[138:139]
	s_waitcnt vmcnt(44)
	v_fma_f64 v[182:183], v[5:6], v[207:208], -v[194:195]
	v_add_f64 v[132:133], v[132:133], v[186:187]
	v_fma_f64 v[186:187], v[7:8], v[207:208], v[192:193]
	v_add_f64 v[125:126], v[125:126], v[134:135]
	ds_read_b128 v[5:8], v127 offset:1712
	s_waitcnt vmcnt(43) lgkmcnt(1)
	v_mul_f64 v[134:135], v[128:129], v[148:149]
	v_mul_f64 v[148:149], v[130:131], v[148:149]
	s_waitcnt vmcnt(41)
	v_fma_f64 v[138:139], v[1:2], v[136:137], -v[138:139]
	v_fma_f64 v[136:137], v[3:4], v[136:137], v[174:175]
	ds_read_b128 v[1:4], v127 offset:1728
	v_add_f64 v[132:133], v[132:133], v[182:183]
	v_add_f64 v[125:126], v[125:126], v[186:187]
	s_waitcnt vmcnt(37) lgkmcnt(1)
	v_mul_f64 v[174:175], v[5:6], v[140:141]
	v_mul_f64 v[140:141], v[7:8], v[140:141]
	s_waitcnt vmcnt(36)
	v_fma_f64 v[148:149], v[128:129], v[203:204], -v[148:149]
	v_fma_f64 v[134:135], v[130:131], v[203:204], v[134:135]
	ds_read_b128 v[128:131], v127 offset:1744
	v_add_f64 v[132:133], v[132:133], v[138:139]
	v_add_f64 v[125:126], v[125:126], v[136:137]
	;; [unrolled: 9-line block ×5, first 2 shown]
	s_waitcnt vmcnt(21) lgkmcnt(1)
	v_mul_f64 v[138:139], v[3:4], v[150:151]
	s_waitcnt vmcnt(20)
	v_fma_f64 v[142:143], v[5:6], v[164:165], -v[142:143]
	v_mul_f64 v[136:137], v[1:2], v[150:151]
	v_fma_f64 v[140:141], v[7:8], v[164:165], v[140:141]
	ds_read_b128 v[5:8], v127 offset:1808
	v_add_f64 v[132:133], v[132:133], v[144:145]
	v_add_f64 v[125:126], v[125:126], v[134:135]
	s_waitcnt vmcnt(19) lgkmcnt(1)
	v_mul_f64 v[144:145], v[130:131], v[168:169]
	v_mul_f64 v[134:135], v[128:129], v[168:169]
	s_waitcnt vmcnt(17)
	v_fma_f64 v[138:139], v[1:2], v[154:155], -v[138:139]
	v_fma_f64 v[136:137], v[3:4], v[154:155], v[136:137]
	ds_read_b128 v[1:4], v127 offset:1824
	v_add_f64 v[132:133], v[132:133], v[142:143]
	v_add_f64 v[125:126], v[125:126], v[140:141]
	s_waitcnt vmcnt(13) lgkmcnt(1)
	v_mul_f64 v[142:143], v[7:8], v[158:159]
	s_waitcnt vmcnt(12)
	v_fma_f64 v[144:145], v[128:129], v[172:173], -v[144:145]
	v_mul_f64 v[140:141], v[5:6], v[158:159]
	v_fma_f64 v[129:130], v[130:131], v[172:173], v[134:135]
	v_add_f64 v[132:133], v[132:133], v[138:139]
	v_add_f64 v[134:135], v[125:126], v[136:137]
	ds_read_b128 v[125:128], v127 offset:1840
	s_waitcnt vmcnt(11) lgkmcnt(1)
	v_mul_f64 v[138:139], v[3:4], v[176:177]
	v_mul_f64 v[136:137], v[1:2], v[176:177]
	s_waitcnt vmcnt(9)
	v_fma_f64 v[5:6], v[5:6], v[162:163], -v[142:143]
	v_fma_f64 v[7:8], v[7:8], v[162:163], v[140:141]
	v_add_f64 v[131:132], v[132:133], v[144:145]
	v_add_f64 v[129:130], v[134:135], v[129:130]
	s_waitcnt vmcnt(7) lgkmcnt(0)
	v_mul_f64 v[140:141], v[127:128], v[166:167]
	s_waitcnt vmcnt(6)
	v_fma_f64 v[1:2], v[1:2], v[180:181], -v[138:139]
	v_mul_f64 v[133:134], v[125:126], v[166:167]
	v_fma_f64 v[3:4], v[3:4], v[180:181], v[136:137]
	v_add_f64 v[5:6], v[131:132], v[5:6]
	v_add_f64 v[7:8], v[129:130], v[7:8]
	s_waitcnt vmcnt(4)
	v_fma_f64 v[125:126], v[125:126], v[170:171], -v[140:141]
	v_add_f64 v[1:2], v[5:6], v[1:2]
	v_fma_f64 v[5:6], v[127:128], v[170:171], v[133:134]
	v_add_f64 v[3:4], v[7:8], v[3:4]
	v_add_f64 v[1:2], v[1:2], v[125:126]
	;; [unrolled: 1-line block ×3, first 2 shown]
	s_waitcnt vmcnt(2)
	v_add_f64 v[1:2], v[178:179], -v[1:2]
	s_waitcnt vmcnt(0)
	v_add_f64 v[3:4], v[190:191], -v[3:4]
	buffer_store_dword v2, off, s[0:3], 0 offset:452
	buffer_store_dword v1, off, s[0:3], 0 offset:448
	;; [unrolled: 1-line block ×4, first 2 shown]
	v_cmpx_lt_u32_e32 26, v0
	s_cbranch_execz .LBB121_309
; %bb.308:
	v_mov_b32_e32 v4, s44
	v_mov_b32_e32 v5, 0
	s_clause 0x3
	buffer_load_dword v1, v4, s[0:3], 0 offen
	buffer_load_dword v2, v4, s[0:3], 0 offen offset:4
	buffer_load_dword v3, v4, s[0:3], 0 offen offset:8
	;; [unrolled: 1-line block ×3, first 2 shown]
	buffer_store_dword v5, off, s[0:3], 0 offset:432
	buffer_store_dword v5, off, s[0:3], 0 offset:436
	;; [unrolled: 1-line block ×4, first 2 shown]
	s_waitcnt vmcnt(0)
	ds_write_b128 v185, v[1:4]
.LBB121_309:
	s_or_b32 exec_lo, exec_lo, s4
	s_waitcnt lgkmcnt(0)
	s_waitcnt_vscnt null, 0x0
	s_barrier
	buffer_gl0_inv
	s_clause 0x37
	buffer_load_dword v125, off, s[0:3], 0 offset:456
	buffer_load_dword v126, off, s[0:3], 0 offset:460
	;; [unrolled: 1-line block ×56, first 2 shown]
	v_mov_b32_e32 v145, 0
	s_mov_b32 s4, exec_lo
	ds_read_b128 v[133:136], v145 offset:1360
	s_clause 0x2
	buffer_load_dword v187, off, s[0:3], 0 offset:684
	buffer_load_dword v191, off, s[0:3], 0 offset:660
	;; [unrolled: 1-line block ×3, first 2 shown]
	ds_read_b128 v[137:140], v145 offset:1376
	s_clause 0x4
	buffer_load_dword v195, off, s[0:3], 0 offset:700
	buffer_load_dword v196, off, s[0:3], 0 offset:712
	;; [unrolled: 1-line block ×5, first 2 shown]
	ds_read_b128 v[141:144], v145 offset:1392
	s_clause 0x2
	buffer_load_dword v197, off, s[0:3], 0 offset:716
	buffer_load_dword v202, off, s[0:3], 0 offset:692
	;; [unrolled: 1-line block ×3, first 2 shown]
	s_waitcnt vmcnt(62) lgkmcnt(2)
	v_mul_f64 v[192:193], v[135:136], v[125:126]
	v_mul_f64 v[125:126], v[133:134], v[125:126]
	s_waitcnt lgkmcnt(1)
	v_mul_f64 v[199:200], v[139:140], v[5:6]
	s_waitcnt vmcnt(59) lgkmcnt(0)
	v_mul_f64 v[203:204], v[143:144], v[3:4]
	v_fma_f64 v[133:134], v[133:134], v[7:8], -v[192:193]
	v_mul_f64 v[192:193], v[137:138], v[5:6]
	v_fma_f64 v[125:126], v[135:136], v[7:8], v[125:126]
	s_waitcnt vmcnt(57)
	v_fma_f64 v[137:138], v[137:138], v[1:2], -v[199:200]
	ds_read_b128 v[5:8], v145 offset:1408
	v_mul_f64 v[135:136], v[141:142], v[3:4]
	s_waitcnt vmcnt(51)
	v_fma_f64 v[141:142], v[141:142], v[148:149], -v[203:204]
	v_add_f64 v[133:134], v[133:134], 0
	v_fma_f64 v[139:140], v[139:140], v[1:2], v[192:193]
	v_add_f64 v[125:126], v[125:126], 0
	s_clause 0x4
	buffer_load_dword v193, off, s[0:3], 0 offset:732
	buffer_load_dword v205, off, s[0:3], 0 offset:744
	;; [unrolled: 1-line block ×5, first 2 shown]
	s_waitcnt lgkmcnt(0)
	v_mul_f64 v[208:209], v[5:6], v[129:130]
	v_mul_f64 v[129:130], v[7:8], v[129:130]
	ds_read_b128 v[1:4], v145 offset:1424
	v_fma_f64 v[143:144], v[143:144], v[148:149], v[135:136]
	v_add_f64 v[137:138], v[133:134], v[137:138]
	v_add_f64 v[125:126], v[125:126], v[139:140]
	s_clause 0x2
	buffer_load_dword v206, off, s[0:3], 0 offset:748
	buffer_load_dword v140, off, s[0:3], 0 offset:724
	;; [unrolled: 1-line block ×3, first 2 shown]
	s_waitcnt vmcnt(58) lgkmcnt(0)
	v_mul_f64 v[148:149], v[1:2], v[146:147]
	v_mul_f64 v[146:147], v[3:4], v[146:147]
	s_waitcnt vmcnt(56)
	v_fma_f64 v[129:130], v[5:6], v[150:151], -v[129:130]
	ds_read_b128 v[133:136], v145 offset:1440
	v_add_f64 v[137:138], v[137:138], v[141:142]
	v_fma_f64 v[141:142], v[7:8], v[150:151], v[208:209]
	v_add_f64 v[125:126], v[125:126], v[143:144]
	s_clause 0x4
	buffer_load_dword v144, off, s[0:3], 0 offset:764
	buffer_load_dword v150, off, s[0:3], 0 offset:776
	;; [unrolled: 1-line block ×5, first 2 shown]
	ds_read_b128 v[5:8], v145 offset:1456
	s_waitcnt vmcnt(57) lgkmcnt(1)
	v_mul_f64 v[209:210], v[133:134], v[152:153]
	v_mul_f64 v[152:153], v[135:136], v[152:153]
	s_waitcnt vmcnt(56)
	v_fma_f64 v[146:147], v[1:2], v[127:128], -v[146:147]
	v_fma_f64 v[127:128], v[3:4], v[127:128], v[148:149]
	v_add_f64 v[129:130], v[137:138], v[129:130]
	s_clause 0x2
	buffer_load_dword v151, off, s[0:3], 0 offset:780
	buffer_load_dword v138, off, s[0:3], 0 offset:756
	;; [unrolled: 1-line block ×3, first 2 shown]
	v_add_f64 v[125:126], v[125:126], v[141:142]
	s_waitcnt vmcnt(58) lgkmcnt(0)
	v_mul_f64 v[148:149], v[7:8], v[154:155]
	ds_read_b128 v[1:4], v145 offset:1472
	v_mul_f64 v[141:142], v[5:6], v[154:155]
	s_waitcnt vmcnt(56)
	v_fma_f64 v[133:134], v[133:134], v[156:157], -v[152:153]
	v_fma_f64 v[135:136], v[135:136], v[156:157], v[209:210]
	s_clause 0x4
	buffer_load_dword v153, off, s[0:3], 0 offset:796
	buffer_load_dword v154, off, s[0:3], 0 offset:808
	;; [unrolled: 1-line block ×5, first 2 shown]
	v_add_f64 v[129:130], v[129:130], v[146:147]
	v_add_f64 v[146:147], v[125:126], v[127:128]
	s_waitcnt vmcnt(57) lgkmcnt(0)
	v_mul_f64 v[209:210], v[1:2], v[158:159]
	v_mul_f64 v[157:158], v[3:4], v[158:159]
	s_waitcnt vmcnt(56)
	v_fma_f64 v[148:149], v[5:6], v[131:132], -v[148:149]
	ds_read_b128 v[125:128], v145 offset:1488
	v_fma_f64 v[131:132], v[7:8], v[131:132], v[141:142]
	v_add_f64 v[129:130], v[129:130], v[133:134]
	v_add_f64 v[133:134], v[146:147], v[135:136]
	s_clause 0x2
	buffer_load_dword v155, off, s[0:3], 0 offset:812
	buffer_load_dword v136, off, s[0:3], 0 offset:788
	;; [unrolled: 1-line block ×3, first 2 shown]
	s_waitcnt vmcnt(58) lgkmcnt(0)
	v_mul_f64 v[146:147], v[127:128], v[160:161]
	s_waitcnt vmcnt(56)
	v_fma_f64 v[158:159], v[1:2], v[164:165], -v[157:158]
	ds_read_b128 v[5:8], v145 offset:1504
	v_mul_f64 v[141:142], v[125:126], v[160:161]
	v_add_f64 v[129:130], v[129:130], v[148:149]
	v_fma_f64 v[148:149], v[3:4], v[164:165], v[209:210]
	v_add_f64 v[131:132], v[133:134], v[131:132]
	s_clause 0x4
	buffer_load_dword v134, off, s[0:3], 0 offset:828
	buffer_load_dword v160, off, s[0:3], 0 offset:840
	buffer_load_dword v164, off, s[0:3], 0 offset:832
	buffer_load_dword v133, off, s[0:3], 0 offset:824
	buffer_load_dword v157, off, s[0:3], 0 offset:804
	s_waitcnt vmcnt(57) lgkmcnt(0)
	v_mul_f64 v[209:210], v[5:6], v[166:167]
	v_mul_f64 v[165:166], v[7:8], v[166:167]
	s_waitcnt vmcnt(56)
	v_fma_f64 v[146:147], v[125:126], v[162:163], -v[146:147]
	ds_read_b128 v[1:4], v145 offset:1520
	v_fma_f64 v[141:142], v[127:128], v[162:163], v[141:142]
	v_add_f64 v[129:130], v[129:130], v[158:159]
	v_add_f64 v[131:132], v[131:132], v[148:149]
	s_clause 0x2
	buffer_load_dword v161, off, s[0:3], 0 offset:844
	buffer_load_dword v149, off, s[0:3], 0 offset:820
	buffer_load_dword v148, off, s[0:3], 0 offset:816
	ds_read_b128 v[125:128], v145 offset:1536
	s_waitcnt vmcnt(58) lgkmcnt(1)
	v_mul_f64 v[162:163], v[3:4], v[168:169]
	s_waitcnt vmcnt(56)
	v_fma_f64 v[166:167], v[5:6], v[172:173], -v[165:166]
	v_mul_f64 v[158:159], v[1:2], v[168:169]
	v_add_f64 v[129:130], v[129:130], v[146:147]
	v_fma_f64 v[146:147], v[7:8], v[172:173], v[209:210]
	v_add_f64 v[131:132], v[131:132], v[141:142]
	s_clause 0x4
	buffer_load_dword v142, off, s[0:3], 0 offset:860
	buffer_load_dword v168, off, s[0:3], 0 offset:872
	buffer_load_dword v172, off, s[0:3], 0 offset:864
	buffer_load_dword v141, off, s[0:3], 0 offset:856
	buffer_load_dword v165, off, s[0:3], 0 offset:836
	s_waitcnt vmcnt(57) lgkmcnt(0)
	v_mul_f64 v[209:210], v[125:126], v[174:175]
	v_mul_f64 v[173:174], v[127:128], v[174:175]
	s_waitcnt vmcnt(56)
	v_fma_f64 v[162:163], v[1:2], v[170:171], -v[162:163]
	ds_read_b128 v[5:8], v145 offset:1552
	v_fma_f64 v[158:159], v[3:4], v[170:171], v[158:159]
	v_add_f64 v[129:130], v[129:130], v[166:167]
	v_add_f64 v[131:132], v[131:132], v[146:147]
	s_clause 0x2
	buffer_load_dword v169, off, s[0:3], 0 offset:876
	buffer_load_dword v147, off, s[0:3], 0 offset:852
	buffer_load_dword v146, off, s[0:3], 0 offset:848
	ds_read_b128 v[1:4], v145 offset:1568
	s_waitcnt vmcnt(58) lgkmcnt(1)
	v_mul_f64 v[170:171], v[7:8], v[176:177]
	s_waitcnt vmcnt(56)
	v_fma_f64 v[174:175], v[125:126], v[180:181], -v[173:174]
	;; [unrolled: 28-line block ×4, first 2 shown]
	v_mul_f64 v[182:183], v[1:2], v[196:197]
	buffer_load_dword v191, off, s[0:3], 0 offset:932
	v_add_f64 v[129:130], v[129:130], v[178:179]
	v_fma_f64 v[178:179], v[7:8], v[201:202], v[209:210]
	v_add_f64 v[131:132], v[131:132], v[174:175]
	ds_read_b128 v[5:8], v145 offset:1648
	s_waitcnt vmcnt(53) lgkmcnt(1)
	v_mul_f64 v[174:175], v[125:126], v[192:193]
	v_mul_f64 v[192:193], v[127:128], v[192:193]
	s_waitcnt vmcnt(52)
	v_fma_f64 v[188:189], v[1:2], v[198:199], -v[188:189]
	v_fma_f64 v[182:183], v[3:4], v[198:199], v[182:183]
	ds_read_b128 v[1:4], v145 offset:1664
	v_add_f64 v[129:130], v[129:130], v[194:195]
	v_add_f64 v[131:132], v[131:132], v[178:179]
	s_waitcnt vmcnt(51) lgkmcnt(1)
	v_mul_f64 v[194:195], v[7:8], v[205:206]
	v_mul_f64 v[178:179], v[5:6], v[205:206]
	s_waitcnt vmcnt(49)
	v_fma_f64 v[192:193], v[125:126], v[139:140], -v[192:193]
	v_fma_f64 v[139:140], v[127:128], v[139:140], v[174:175]
	v_add_f64 v[129:130], v[129:130], v[188:189]
	v_add_f64 v[131:132], v[131:132], v[182:183]
	s_clause 0x3
	buffer_load_dword v174, off, s[0:3], 0 offset:432
	buffer_load_dword v175, off, s[0:3], 0 offset:436
	buffer_load_dword v182, off, s[0:3], 0 offset:440
	buffer_load_dword v183, off, s[0:3], 0 offset:444
	ds_read_b128 v[125:128], v145 offset:1680
	s_waitcnt vmcnt(49) lgkmcnt(1)
	v_mul_f64 v[188:189], v[1:2], v[143:144]
	v_mul_f64 v[143:144], v[3:4], v[143:144]
	s_waitcnt vmcnt(48)
	v_fma_f64 v[194:195], v[5:6], v[207:208], -v[194:195]
	v_fma_f64 v[178:179], v[7:8], v[207:208], v[178:179]
	ds_read_b128 v[5:8], v145 offset:1696
	v_add_f64 v[129:130], v[129:130], v[192:193]
	v_add_f64 v[131:132], v[131:132], v[139:140]
	s_waitcnt vmcnt(47) lgkmcnt(1)
	v_mul_f64 v[139:140], v[125:126], v[150:151]
	v_mul_f64 v[150:151], v[127:128], v[150:151]
	s_waitcnt vmcnt(45)
	v_fma_f64 v[143:144], v[1:2], v[137:138], -v[143:144]
	v_fma_f64 v[137:138], v[3:4], v[137:138], v[188:189]
	ds_read_b128 v[1:4], v145 offset:1712
	v_add_f64 v[129:130], v[129:130], v[194:195]
	v_add_f64 v[131:132], v[131:132], v[178:179]
	s_waitcnt vmcnt(41) lgkmcnt(1)
	v_mul_f64 v[178:179], v[5:6], v[152:153]
	v_mul_f64 v[152:153], v[7:8], v[152:153]
	s_waitcnt vmcnt(40)
	v_fma_f64 v[139:140], v[127:128], v[203:204], v[139:140]
	v_fma_f64 v[150:151], v[125:126], v[203:204], -v[150:151]
	ds_read_b128 v[125:128], v145 offset:1728
	v_add_f64 v[129:130], v[129:130], v[143:144]
	v_add_f64 v[131:132], v[131:132], v[137:138]
	s_waitcnt vmcnt(39) lgkmcnt(1)
	v_mul_f64 v[143:144], v[3:4], v[154:155]
	v_mul_f64 v[137:138], v[1:2], v[154:155]
	s_waitcnt vmcnt(37)
	v_fma_f64 v[152:153], v[5:6], v[135:136], -v[152:153]
	v_fma_f64 v[135:136], v[7:8], v[135:136], v[178:179]
	ds_read_b128 v[5:8], v145 offset:1744
	v_add_f64 v[129:130], v[129:130], v[150:151]
	v_add_f64 v[131:132], v[131:132], v[139:140]
	s_waitcnt vmcnt(33) lgkmcnt(1)
	v_mul_f64 v[139:140], v[125:126], v[133:134]
	v_mul_f64 v[133:134], v[127:128], v[133:134]
	s_waitcnt vmcnt(32)
	v_fma_f64 v[143:144], v[1:2], v[156:157], -v[143:144]
	v_fma_f64 v[137:138], v[3:4], v[156:157], v[137:138]
	;; [unrolled: 9-line block ×3, first 2 shown]
	ds_read_b128 v[125:128], v145 offset:1776
	v_add_f64 v[129:130], v[129:130], v[143:144]
	v_add_f64 v[131:132], v[131:132], v[137:138]
	s_waitcnt vmcnt(25) lgkmcnt(1)
	v_mul_f64 v[137:138], v[1:2], v[141:142]
	v_mul_f64 v[141:142], v[3:4], v[141:142]
	s_waitcnt vmcnt(24)
	v_fma_f64 v[143:144], v[5:6], v[164:165], -v[150:151]
	v_add_f64 v[129:130], v[129:130], v[133:134]
	v_fma_f64 v[133:134], v[7:8], v[164:165], v[135:136]
	v_add_f64 v[131:132], v[131:132], v[139:140]
	ds_read_b128 v[5:8], v145 offset:1792
	s_waitcnt vmcnt(23) lgkmcnt(1)
	v_mul_f64 v[139:140], v[127:128], v[168:169]
	v_mul_f64 v[135:136], v[125:126], v[168:169]
	s_waitcnt vmcnt(21)
	v_fma_f64 v[141:142], v[1:2], v[146:147], -v[141:142]
	v_fma_f64 v[137:138], v[3:4], v[146:147], v[137:138]
	ds_read_b128 v[1:4], v145 offset:1808
	v_add_f64 v[129:130], v[129:130], v[143:144]
	v_add_f64 v[131:132], v[131:132], v[133:134]
	s_waitcnt vmcnt(17) lgkmcnt(1)
	v_mul_f64 v[143:144], v[7:8], v[158:159]
	s_waitcnt vmcnt(16)
	v_fma_f64 v[139:140], v[125:126], v[172:173], -v[139:140]
	v_mul_f64 v[133:134], v[5:6], v[158:159]
	v_fma_f64 v[135:136], v[127:128], v[172:173], v[135:136]
	ds_read_b128 v[125:128], v145 offset:1824
	v_add_f64 v[129:130], v[129:130], v[141:142]
	v_add_f64 v[131:132], v[131:132], v[137:138]
	s_waitcnt vmcnt(15) lgkmcnt(1)
	v_mul_f64 v[141:142], v[3:4], v[176:177]
	v_mul_f64 v[137:138], v[1:2], v[176:177]
	s_waitcnt vmcnt(13)
	v_fma_f64 v[143:144], v[5:6], v[162:163], -v[143:144]
	v_fma_f64 v[133:134], v[7:8], v[162:163], v[133:134]
	ds_read_b128 v[5:8], v145 offset:1840
	v_add_f64 v[129:130], v[129:130], v[139:140]
	v_add_f64 v[131:132], v[131:132], v[135:136]
	s_waitcnt vmcnt(9) lgkmcnt(1)
	v_mul_f64 v[139:140], v[127:128], v[166:167]
	s_waitcnt vmcnt(8)
	v_fma_f64 v[1:2], v[1:2], v[180:181], -v[141:142]
	v_mul_f64 v[135:136], v[125:126], v[166:167]
	v_fma_f64 v[3:4], v[3:4], v[180:181], v[137:138]
	v_add_f64 v[129:130], v[129:130], v[143:144]
	v_add_f64 v[131:132], v[131:132], v[133:134]
	s_waitcnt vmcnt(7) lgkmcnt(0)
	v_mul_f64 v[137:138], v[7:8], v[186:187]
	v_mul_f64 v[133:134], v[5:6], v[186:187]
	s_waitcnt vmcnt(5)
	v_fma_f64 v[125:126], v[125:126], v[170:171], -v[139:140]
	v_fma_f64 v[127:128], v[127:128], v[170:171], v[135:136]
	v_add_f64 v[1:2], v[129:130], v[1:2]
	v_add_f64 v[3:4], v[131:132], v[3:4]
	s_waitcnt vmcnt(4)
	v_fma_f64 v[5:6], v[5:6], v[190:191], -v[137:138]
	v_fma_f64 v[7:8], v[7:8], v[190:191], v[133:134]
	v_add_f64 v[1:2], v[1:2], v[125:126]
	v_add_f64 v[3:4], v[3:4], v[127:128]
	;; [unrolled: 1-line block ×4, first 2 shown]
	s_waitcnt vmcnt(2)
	v_add_f64 v[1:2], v[174:175], -v[1:2]
	s_waitcnt vmcnt(0)
	v_add_f64 v[3:4], v[182:183], -v[3:4]
	buffer_store_dword v2, off, s[0:3], 0 offset:436
	buffer_store_dword v1, off, s[0:3], 0 offset:432
	;; [unrolled: 1-line block ×4, first 2 shown]
	v_cmpx_lt_u32_e32 25, v0
	s_cbranch_execz .LBB121_311
; %bb.310:
	v_mov_b32_e32 v4, s45
	s_clause 0x3
	buffer_load_dword v1, v4, s[0:3], 0 offen
	buffer_load_dword v2, v4, s[0:3], 0 offen offset:4
	buffer_load_dword v3, v4, s[0:3], 0 offen offset:8
	;; [unrolled: 1-line block ×3, first 2 shown]
	buffer_store_dword v145, off, s[0:3], 0 offset:416
	buffer_store_dword v145, off, s[0:3], 0 offset:420
	buffer_store_dword v145, off, s[0:3], 0 offset:424
	buffer_store_dword v145, off, s[0:3], 0 offset:428
	s_waitcnt vmcnt(0)
	ds_write_b128 v185, v[1:4]
.LBB121_311:
	s_or_b32 exec_lo, exec_lo, s4
	s_waitcnt lgkmcnt(0)
	s_waitcnt_vscnt null, 0x0
	s_barrier
	buffer_gl0_inv
	s_clause 0x37
	buffer_load_dword v125, off, s[0:3], 0 offset:440
	buffer_load_dword v126, off, s[0:3], 0 offset:444
	;; [unrolled: 1-line block ×56, first 2 shown]
	ds_read_b128 v[146:149], v145 offset:1344
	s_clause 0x2
	buffer_load_dword v187, off, s[0:3], 0 offset:668
	buffer_load_dword v191, off, s[0:3], 0 offset:644
	buffer_load_dword v190, off, s[0:3], 0 offset:640
	ds_read_b128 v[150:153], v145 offset:1360
	s_clause 0x4
	buffer_load_dword v195, off, s[0:3], 0 offset:684
	buffer_load_dword v196, off, s[0:3], 0 offset:696
	;; [unrolled: 1-line block ×5, first 2 shown]
	ds_read_b128 v[154:157], v145 offset:1376
	s_clause 0x2
	buffer_load_dword v197, off, s[0:3], 0 offset:700
	buffer_load_dword v202, off, s[0:3], 0 offset:676
	;; [unrolled: 1-line block ×3, first 2 shown]
	s_mov_b32 s4, exec_lo
	s_waitcnt vmcnt(62) lgkmcnt(2)
	v_mul_f64 v[192:193], v[148:149], v[125:126]
	v_mul_f64 v[125:126], v[146:147], v[125:126]
	s_waitcnt lgkmcnt(1)
	v_mul_f64 v[199:200], v[152:153], v[5:6]
	s_waitcnt vmcnt(59) lgkmcnt(0)
	v_mul_f64 v[203:204], v[156:157], v[3:4]
	v_fma_f64 v[146:147], v[146:147], v[7:8], -v[192:193]
	v_mul_f64 v[192:193], v[150:151], v[5:6]
	v_fma_f64 v[125:126], v[148:149], v[7:8], v[125:126]
	s_waitcnt vmcnt(57)
	v_fma_f64 v[150:151], v[150:151], v[1:2], -v[199:200]
	ds_read_b128 v[5:8], v145 offset:1392
	v_mul_f64 v[148:149], v[154:155], v[3:4]
	s_waitcnt vmcnt(51)
	v_fma_f64 v[154:155], v[154:155], v[141:142], -v[203:204]
	v_add_f64 v[146:147], v[146:147], 0
	v_fma_f64 v[152:153], v[152:153], v[1:2], v[192:193]
	v_add_f64 v[125:126], v[125:126], 0
	s_clause 0x4
	buffer_load_dword v193, off, s[0:3], 0 offset:716
	buffer_load_dword v205, off, s[0:3], 0 offset:728
	;; [unrolled: 1-line block ×5, first 2 shown]
	s_waitcnt lgkmcnt(0)
	v_mul_f64 v[208:209], v[5:6], v[129:130]
	v_mul_f64 v[129:130], v[7:8], v[129:130]
	ds_read_b128 v[1:4], v145 offset:1408
	v_fma_f64 v[141:142], v[156:157], v[141:142], v[148:149]
	v_add_f64 v[150:151], v[146:147], v[150:151]
	v_add_f64 v[125:126], v[125:126], v[152:153]
	s_clause 0x2
	buffer_load_dword v206, off, s[0:3], 0 offset:732
	buffer_load_dword v153, off, s[0:3], 0 offset:708
	;; [unrolled: 1-line block ×3, first 2 shown]
	s_waitcnt vmcnt(58) lgkmcnt(0)
	v_mul_f64 v[156:157], v[1:2], v[133:134]
	v_mul_f64 v[133:134], v[3:4], v[133:134]
	s_waitcnt vmcnt(56)
	v_fma_f64 v[129:130], v[5:6], v[135:136], -v[129:130]
	ds_read_b128 v[146:149], v145 offset:1424
	v_fma_f64 v[135:136], v[7:8], v[135:136], v[208:209]
	v_add_f64 v[150:151], v[150:151], v[154:155]
	v_add_f64 v[125:126], v[125:126], v[141:142]
	s_clause 0x4
	buffer_load_dword v142, off, s[0:3], 0 offset:748
	buffer_load_dword v154, off, s[0:3], 0 offset:760
	;; [unrolled: 1-line block ×5, first 2 shown]
	ds_read_b128 v[5:8], v145 offset:1440
	s_waitcnt vmcnt(57) lgkmcnt(1)
	v_mul_f64 v[209:210], v[146:147], v[137:138]
	v_mul_f64 v[137:138], v[148:149], v[137:138]
	s_waitcnt vmcnt(56)
	v_fma_f64 v[133:134], v[1:2], v[127:128], -v[133:134]
	v_fma_f64 v[127:128], v[3:4], v[127:128], v[156:157]
	v_add_f64 v[129:130], v[150:151], v[129:130]
	v_add_f64 v[125:126], v[125:126], v[135:136]
	s_clause 0x2
	buffer_load_dword v155, off, s[0:3], 0 offset:764
	buffer_load_dword v136, off, s[0:3], 0 offset:740
	;; [unrolled: 1-line block ×3, first 2 shown]
	s_waitcnt vmcnt(58) lgkmcnt(0)
	v_mul_f64 v[150:151], v[5:6], v[143:144]
	v_mul_f64 v[143:144], v[7:8], v[143:144]
	s_waitcnt vmcnt(56)
	v_fma_f64 v[137:138], v[146:147], v[158:159], -v[137:138]
	ds_read_b128 v[1:4], v145 offset:1456
	v_add_f64 v[129:130], v[129:130], v[133:134]
	v_fma_f64 v[133:134], v[148:149], v[158:159], v[209:210]
	v_add_f64 v[146:147], v[125:126], v[127:128]
	s_clause 0x4
	buffer_load_dword v149, off, s[0:3], 0 offset:780
	buffer_load_dword v156, off, s[0:3], 0 offset:792
	;; [unrolled: 1-line block ×5, first 2 shown]
	ds_read_b128 v[125:128], v145 offset:1472
	s_waitcnt vmcnt(57) lgkmcnt(1)
	v_mul_f64 v[209:210], v[1:2], v[160:161]
	v_mul_f64 v[159:160], v[3:4], v[160:161]
	s_waitcnt vmcnt(56)
	v_fma_f64 v[143:144], v[5:6], v[131:132], -v[143:144]
	v_fma_f64 v[131:132], v[7:8], v[131:132], v[150:151]
	v_add_f64 v[129:130], v[129:130], v[137:138]
	s_clause 0x2
	buffer_load_dword v157, off, s[0:3], 0 offset:796
	buffer_load_dword v138, off, s[0:3], 0 offset:772
	;; [unrolled: 1-line block ×3, first 2 shown]
	v_add_f64 v[133:134], v[146:147], v[133:134]
	s_waitcnt vmcnt(58) lgkmcnt(0)
	v_mul_f64 v[150:151], v[127:128], v[162:163]
	ds_read_b128 v[5:8], v145 offset:1488
	v_mul_f64 v[146:147], v[125:126], v[162:163]
	s_waitcnt vmcnt(56)
	v_fma_f64 v[160:161], v[1:2], v[164:165], -v[159:160]
	v_add_f64 v[129:130], v[129:130], v[143:144]
	v_fma_f64 v[143:144], v[3:4], v[164:165], v[209:210]
	v_add_f64 v[131:132], v[133:134], v[131:132]
	s_clause 0x4
	buffer_load_dword v134, off, s[0:3], 0 offset:812
	buffer_load_dword v162, off, s[0:3], 0 offset:824
	buffer_load_dword v164, off, s[0:3], 0 offset:816
	buffer_load_dword v133, off, s[0:3], 0 offset:808
	buffer_load_dword v159, off, s[0:3], 0 offset:788
	s_waitcnt vmcnt(57) lgkmcnt(0)
	v_mul_f64 v[209:210], v[5:6], v[166:167]
	v_mul_f64 v[165:166], v[7:8], v[166:167]
	s_waitcnt vmcnt(56)
	v_fma_f64 v[150:151], v[125:126], v[139:140], -v[150:151]
	ds_read_b128 v[1:4], v145 offset:1504
	v_fma_f64 v[139:140], v[127:128], v[139:140], v[146:147]
	v_add_f64 v[129:130], v[129:130], v[160:161]
	v_add_f64 v[131:132], v[131:132], v[143:144]
	s_clause 0x2
	buffer_load_dword v163, off, s[0:3], 0 offset:828
	buffer_load_dword v144, off, s[0:3], 0 offset:804
	buffer_load_dword v143, off, s[0:3], 0 offset:800
	ds_read_b128 v[125:128], v145 offset:1520
	s_waitcnt vmcnt(58) lgkmcnt(1)
	v_mul_f64 v[160:161], v[3:4], v[168:169]
	s_waitcnt vmcnt(56)
	v_fma_f64 v[166:167], v[5:6], v[172:173], -v[165:166]
	v_mul_f64 v[146:147], v[1:2], v[168:169]
	v_add_f64 v[129:130], v[129:130], v[150:151]
	v_fma_f64 v[150:151], v[7:8], v[172:173], v[209:210]
	v_add_f64 v[131:132], v[131:132], v[139:140]
	s_clause 0x4
	buffer_load_dword v140, off, s[0:3], 0 offset:844
	buffer_load_dword v168, off, s[0:3], 0 offset:856
	buffer_load_dword v172, off, s[0:3], 0 offset:848
	buffer_load_dword v139, off, s[0:3], 0 offset:840
	buffer_load_dword v165, off, s[0:3], 0 offset:820
	s_waitcnt vmcnt(57) lgkmcnt(0)
	v_mul_f64 v[209:210], v[125:126], v[174:175]
	v_mul_f64 v[173:174], v[127:128], v[174:175]
	s_waitcnt vmcnt(56)
	v_fma_f64 v[160:161], v[1:2], v[170:171], -v[160:161]
	ds_read_b128 v[5:8], v145 offset:1536
	v_fma_f64 v[146:147], v[3:4], v[170:171], v[146:147]
	v_add_f64 v[129:130], v[129:130], v[166:167]
	v_add_f64 v[131:132], v[131:132], v[150:151]
	s_clause 0x2
	buffer_load_dword v169, off, s[0:3], 0 offset:860
	buffer_load_dword v151, off, s[0:3], 0 offset:836
	buffer_load_dword v150, off, s[0:3], 0 offset:832
	ds_read_b128 v[1:4], v145 offset:1552
	s_waitcnt vmcnt(58) lgkmcnt(1)
	v_mul_f64 v[170:171], v[7:8], v[176:177]
	s_waitcnt vmcnt(56)
	v_fma_f64 v[174:175], v[125:126], v[180:181], -v[173:174]
	v_mul_f64 v[166:167], v[5:6], v[176:177]
	;; [unrolled: 28-line block ×4, first 2 shown]
	v_add_f64 v[129:130], v[129:130], v[178:179]
	v_fma_f64 v[178:179], v[7:8], v[201:202], v[209:210]
	v_add_f64 v[131:132], v[131:132], v[174:175]
	s_clause 0x2
	buffer_load_dword v175, off, s[0:3], 0 offset:940
	buffer_load_dword v174, off, s[0:3], 0 offset:936
	;; [unrolled: 1-line block ×3, first 2 shown]
	ds_read_b128 v[5:8], v145 offset:1632
	s_waitcnt vmcnt(55) lgkmcnt(1)
	v_mul_f64 v[196:197], v[125:126], v[192:193]
	v_mul_f64 v[192:193], v[127:128], v[192:193]
	s_waitcnt vmcnt(54)
	v_fma_f64 v[188:189], v[1:2], v[198:199], -v[188:189]
	v_fma_f64 v[182:183], v[3:4], v[198:199], v[182:183]
	v_add_f64 v[129:130], v[129:130], v[194:195]
	v_add_f64 v[131:132], v[131:132], v[178:179]
	s_clause 0x1
	buffer_load_dword v179, off, s[0:3], 0 offset:932
	buffer_load_dword v178, off, s[0:3], 0 offset:928
	ds_read_b128 v[1:4], v145 offset:1648
	s_waitcnt vmcnt(55) lgkmcnt(1)
	v_mul_f64 v[198:199], v[7:8], v[205:206]
	v_mul_f64 v[194:195], v[5:6], v[205:206]
	s_waitcnt vmcnt(53)
	v_fma_f64 v[192:193], v[125:126], v[152:153], -v[192:193]
	v_fma_f64 v[152:153], v[127:128], v[152:153], v[196:197]
	ds_read_b128 v[125:128], v145 offset:1664
	v_add_f64 v[129:130], v[129:130], v[188:189]
	v_add_f64 v[131:132], v[131:132], v[182:183]
	s_waitcnt vmcnt(49) lgkmcnt(1)
	v_mul_f64 v[182:183], v[1:2], v[141:142]
	v_mul_f64 v[141:142], v[3:4], v[141:142]
	s_waitcnt vmcnt(48)
	v_fma_f64 v[188:189], v[5:6], v[207:208], -v[198:199]
	v_add_f64 v[129:130], v[129:130], v[192:193]
	v_fma_f64 v[192:193], v[7:8], v[207:208], v[194:195]
	v_add_f64 v[131:132], v[131:132], v[152:153]
	s_clause 0x3
	buffer_load_dword v152, off, s[0:3], 0 offset:416
	buffer_load_dword v153, off, s[0:3], 0 offset:420
	buffer_load_dword v194, off, s[0:3], 0 offset:424
	buffer_load_dword v195, off, s[0:3], 0 offset:428
	ds_read_b128 v[5:8], v145 offset:1680
	s_waitcnt vmcnt(51) lgkmcnt(1)
	v_mul_f64 v[196:197], v[125:126], v[154:155]
	v_mul_f64 v[154:155], v[127:128], v[154:155]
	s_waitcnt vmcnt(49)
	v_fma_f64 v[141:142], v[1:2], v[135:136], -v[141:142]
	v_fma_f64 v[135:136], v[3:4], v[135:136], v[182:183]
	ds_read_b128 v[1:4], v145 offset:1696
	v_add_f64 v[129:130], v[129:130], v[188:189]
	v_add_f64 v[131:132], v[131:132], v[192:193]
	s_waitcnt vmcnt(45) lgkmcnt(1)
	v_mul_f64 v[182:183], v[5:6], v[148:149]
	v_mul_f64 v[148:149], v[7:8], v[148:149]
	s_waitcnt vmcnt(44)
	v_fma_f64 v[154:155], v[125:126], v[203:204], -v[154:155]
	v_add_f64 v[129:130], v[129:130], v[141:142]
	v_fma_f64 v[141:142], v[127:128], v[203:204], v[196:197]
	v_add_f64 v[131:132], v[131:132], v[135:136]
	ds_read_b128 v[125:128], v145 offset:1712
	s_waitcnt vmcnt(43) lgkmcnt(1)
	v_mul_f64 v[135:136], v[1:2], v[156:157]
	v_mul_f64 v[156:157], v[3:4], v[156:157]
	s_waitcnt vmcnt(41)
	v_fma_f64 v[148:149], v[5:6], v[137:138], -v[148:149]
	v_fma_f64 v[137:138], v[7:8], v[137:138], v[182:183]
	ds_read_b128 v[5:8], v145 offset:1728
	v_add_f64 v[129:130], v[129:130], v[154:155]
	v_add_f64 v[131:132], v[131:132], v[141:142]
	s_waitcnt vmcnt(37) lgkmcnt(1)
	v_mul_f64 v[141:142], v[125:126], v[133:134]
	v_mul_f64 v[133:134], v[127:128], v[133:134]
	s_waitcnt vmcnt(36)
	v_fma_f64 v[154:155], v[1:2], v[158:159], -v[156:157]
	v_fma_f64 v[135:136], v[3:4], v[158:159], v[135:136]
	ds_read_b128 v[1:4], v145 offset:1744
	v_add_f64 v[129:130], v[129:130], v[148:149]
	v_add_f64 v[131:132], v[131:132], v[137:138]
	;; [unrolled: 9-line block ×3, first 2 shown]
	s_waitcnt vmcnt(29) lgkmcnt(1)
	v_mul_f64 v[135:136], v[1:2], v[139:140]
	v_mul_f64 v[139:140], v[3:4], v[139:140]
	s_waitcnt vmcnt(28)
	v_fma_f64 v[143:144], v[5:6], v[164:165], -v[148:149]
	v_add_f64 v[129:130], v[129:130], v[133:134]
	v_fma_f64 v[133:134], v[7:8], v[164:165], v[137:138]
	v_add_f64 v[131:132], v[131:132], v[141:142]
	ds_read_b128 v[5:8], v145 offset:1776
	s_waitcnt vmcnt(27) lgkmcnt(1)
	v_mul_f64 v[141:142], v[127:128], v[168:169]
	v_mul_f64 v[137:138], v[125:126], v[168:169]
	s_waitcnt vmcnt(25)
	v_fma_f64 v[139:140], v[1:2], v[150:151], -v[139:140]
	v_fma_f64 v[135:136], v[3:4], v[150:151], v[135:136]
	ds_read_b128 v[1:4], v145 offset:1792
	v_add_f64 v[129:130], v[129:130], v[143:144]
	v_add_f64 v[131:132], v[131:132], v[133:134]
	s_waitcnt vmcnt(21) lgkmcnt(1)
	v_mul_f64 v[143:144], v[7:8], v[146:147]
	s_waitcnt vmcnt(20)
	v_fma_f64 v[141:142], v[125:126], v[172:173], -v[141:142]
	v_mul_f64 v[133:134], v[5:6], v[146:147]
	v_fma_f64 v[137:138], v[127:128], v[172:173], v[137:138]
	ds_read_b128 v[125:128], v145 offset:1808
	v_add_f64 v[129:130], v[129:130], v[139:140]
	v_add_f64 v[131:132], v[131:132], v[135:136]
	s_waitcnt vmcnt(19) lgkmcnt(1)
	v_mul_f64 v[139:140], v[3:4], v[176:177]
	v_mul_f64 v[135:136], v[1:2], v[176:177]
	s_waitcnt vmcnt(17)
	v_fma_f64 v[143:144], v[5:6], v[160:161], -v[143:144]
	v_fma_f64 v[133:134], v[7:8], v[160:161], v[133:134]
	ds_read_b128 v[5:8], v145 offset:1824
	v_add_f64 v[129:130], v[129:130], v[141:142]
	v_add_f64 v[131:132], v[131:132], v[137:138]
	s_waitcnt vmcnt(13) lgkmcnt(1)
	v_mul_f64 v[141:142], v[127:128], v[166:167]
	s_waitcnt vmcnt(12)
	v_fma_f64 v[139:140], v[1:2], v[180:181], -v[139:140]
	v_mul_f64 v[137:138], v[125:126], v[166:167]
	v_fma_f64 v[135:136], v[3:4], v[180:181], v[135:136]
	ds_read_b128 v[1:4], v145 offset:1840
	v_add_f64 v[129:130], v[129:130], v[143:144]
	v_add_f64 v[131:132], v[131:132], v[133:134]
	s_waitcnt vmcnt(11) lgkmcnt(1)
	v_mul_f64 v[143:144], v[7:8], v[186:187]
	v_mul_f64 v[133:134], v[5:6], v[186:187]
	s_waitcnt vmcnt(9)
	v_fma_f64 v[125:126], v[125:126], v[170:171], -v[141:142]
	v_fma_f64 v[127:128], v[127:128], v[170:171], v[137:138]
	v_add_f64 v[129:130], v[129:130], v[139:140]
	v_add_f64 v[131:132], v[131:132], v[135:136]
	s_waitcnt vmcnt(7) lgkmcnt(0)
	v_mul_f64 v[137:138], v[3:4], v[174:175]
	s_waitcnt vmcnt(6)
	v_fma_f64 v[5:6], v[5:6], v[190:191], -v[143:144]
	v_mul_f64 v[135:136], v[1:2], v[174:175]
	v_fma_f64 v[7:8], v[7:8], v[190:191], v[133:134]
	v_add_f64 v[125:126], v[129:130], v[125:126]
	v_add_f64 v[127:128], v[131:132], v[127:128]
	s_waitcnt vmcnt(4)
	v_fma_f64 v[1:2], v[1:2], v[178:179], -v[137:138]
	v_fma_f64 v[3:4], v[3:4], v[178:179], v[135:136]
	v_add_f64 v[5:6], v[125:126], v[5:6]
	v_add_f64 v[7:8], v[127:128], v[7:8]
	;; [unrolled: 1-line block ×4, first 2 shown]
	s_waitcnt vmcnt(2)
	v_add_f64 v[1:2], v[152:153], -v[1:2]
	s_waitcnt vmcnt(0)
	v_add_f64 v[3:4], v[194:195], -v[3:4]
	buffer_store_dword v2, off, s[0:3], 0 offset:420
	buffer_store_dword v1, off, s[0:3], 0 offset:416
	;; [unrolled: 1-line block ×4, first 2 shown]
	v_cmpx_lt_u32_e32 24, v0
	s_cbranch_execz .LBB121_313
; %bb.312:
	v_mov_b32_e32 v4, s46
	v_mov_b32_e32 v5, 0
	s_clause 0x3
	buffer_load_dword v1, v4, s[0:3], 0 offen
	buffer_load_dword v2, v4, s[0:3], 0 offen offset:4
	buffer_load_dword v3, v4, s[0:3], 0 offen offset:8
	;; [unrolled: 1-line block ×3, first 2 shown]
	buffer_store_dword v5, off, s[0:3], 0 offset:400
	buffer_store_dword v5, off, s[0:3], 0 offset:404
	;; [unrolled: 1-line block ×4, first 2 shown]
	s_waitcnt vmcnt(0)
	ds_write_b128 v185, v[1:4]
.LBB121_313:
	s_or_b32 exec_lo, exec_lo, s4
	s_waitcnt lgkmcnt(0)
	s_waitcnt_vscnt null, 0x0
	s_barrier
	buffer_gl0_inv
	s_clause 0x37
	buffer_load_dword v125, off, s[0:3], 0 offset:424
	buffer_load_dword v126, off, s[0:3], 0 offset:428
	;; [unrolled: 1-line block ×56, first 2 shown]
	v_mov_b32_e32 v167, 0
	s_mov_b32 s4, exec_lo
	ds_read_b128 v[155:158], v167 offset:1328
	s_clause 0x2
	buffer_load_dword v187, off, s[0:3], 0 offset:652
	buffer_load_dword v191, off, s[0:3], 0 offset:628
	;; [unrolled: 1-line block ×3, first 2 shown]
	ds_read_b128 v[159:162], v167 offset:1344
	s_clause 0x4
	buffer_load_dword v195, off, s[0:3], 0 offset:668
	buffer_load_dword v196, off, s[0:3], 0 offset:680
	;; [unrolled: 1-line block ×5, first 2 shown]
	ds_read_b128 v[163:166], v167 offset:1360
	s_clause 0x2
	buffer_load_dword v197, off, s[0:3], 0 offset:684
	buffer_load_dword v202, off, s[0:3], 0 offset:660
	;; [unrolled: 1-line block ×3, first 2 shown]
	s_waitcnt vmcnt(62) lgkmcnt(2)
	v_mul_f64 v[192:193], v[157:158], v[125:126]
	v_mul_f64 v[125:126], v[155:156], v[125:126]
	s_waitcnt lgkmcnt(1)
	v_mul_f64 v[199:200], v[161:162], v[5:6]
	s_waitcnt vmcnt(59) lgkmcnt(0)
	v_mul_f64 v[203:204], v[165:166], v[3:4]
	v_fma_f64 v[155:156], v[155:156], v[7:8], -v[192:193]
	v_mul_f64 v[192:193], v[159:160], v[5:6]
	v_fma_f64 v[125:126], v[157:158], v[7:8], v[125:126]
	s_waitcnt vmcnt(57)
	v_fma_f64 v[159:160], v[159:160], v[1:2], -v[199:200]
	ds_read_b128 v[5:8], v167 offset:1376
	v_mul_f64 v[157:158], v[163:164], v[3:4]
	s_waitcnt vmcnt(51)
	v_fma_f64 v[163:164], v[163:164], v[141:142], -v[203:204]
	v_add_f64 v[155:156], v[155:156], 0
	v_fma_f64 v[161:162], v[161:162], v[1:2], v[192:193]
	v_add_f64 v[125:126], v[125:126], 0
	s_clause 0x4
	buffer_load_dword v193, off, s[0:3], 0 offset:700
	buffer_load_dword v205, off, s[0:3], 0 offset:712
	;; [unrolled: 1-line block ×5, first 2 shown]
	s_waitcnt lgkmcnt(0)
	v_mul_f64 v[208:209], v[5:6], v[129:130]
	v_mul_f64 v[129:130], v[7:8], v[129:130]
	ds_read_b128 v[1:4], v167 offset:1392
	v_fma_f64 v[141:142], v[165:166], v[141:142], v[157:158]
	v_add_f64 v[159:160], v[155:156], v[159:160]
	v_add_f64 v[125:126], v[125:126], v[161:162]
	s_clause 0x2
	buffer_load_dword v206, off, s[0:3], 0 offset:716
	buffer_load_dword v162, off, s[0:3], 0 offset:692
	;; [unrolled: 1-line block ×3, first 2 shown]
	s_waitcnt vmcnt(58) lgkmcnt(0)
	v_mul_f64 v[165:166], v[1:2], v[133:134]
	v_mul_f64 v[133:134], v[3:4], v[133:134]
	s_waitcnt vmcnt(56)
	v_fma_f64 v[129:130], v[5:6], v[135:136], -v[129:130]
	ds_read_b128 v[155:158], v167 offset:1408
	v_fma_f64 v[135:136], v[7:8], v[135:136], v[208:209]
	v_add_f64 v[159:160], v[159:160], v[163:164]
	v_add_f64 v[125:126], v[125:126], v[141:142]
	s_clause 0x4
	buffer_load_dword v142, off, s[0:3], 0 offset:732
	buffer_load_dword v163, off, s[0:3], 0 offset:744
	;; [unrolled: 1-line block ×5, first 2 shown]
	ds_read_b128 v[5:8], v167 offset:1424
	s_waitcnt vmcnt(57) lgkmcnt(1)
	v_mul_f64 v[209:210], v[155:156], v[137:138]
	v_mul_f64 v[137:138], v[157:158], v[137:138]
	s_waitcnt vmcnt(56)
	v_fma_f64 v[133:134], v[1:2], v[127:128], -v[133:134]
	v_fma_f64 v[127:128], v[3:4], v[127:128], v[165:166]
	v_add_f64 v[129:130], v[159:160], v[129:130]
	v_add_f64 v[125:126], v[125:126], v[135:136]
	s_clause 0x2
	buffer_load_dword v164, off, s[0:3], 0 offset:748
	buffer_load_dword v136, off, s[0:3], 0 offset:724
	;; [unrolled: 1-line block ×3, first 2 shown]
	s_waitcnt vmcnt(58) lgkmcnt(0)
	v_mul_f64 v[159:160], v[5:6], v[143:144]
	v_mul_f64 v[143:144], v[7:8], v[143:144]
	s_waitcnt vmcnt(56)
	v_fma_f64 v[137:138], v[155:156], v[145:146], -v[137:138]
	ds_read_b128 v[1:4], v167 offset:1440
	v_add_f64 v[129:130], v[129:130], v[133:134]
	v_fma_f64 v[133:134], v[157:158], v[145:146], v[209:210]
	v_add_f64 v[145:146], v[125:126], v[127:128]
	s_clause 0x4
	buffer_load_dword v156, off, s[0:3], 0 offset:764
	buffer_load_dword v157, off, s[0:3], 0 offset:776
	buffer_load_dword v165, off, s[0:3], 0 offset:768
	buffer_load_dword v155, off, s[0:3], 0 offset:760
	buffer_load_dword v204, off, s[0:3], 0 offset:740
	ds_read_b128 v[125:128], v167 offset:1456
	s_waitcnt vmcnt(57) lgkmcnt(1)
	v_mul_f64 v[209:210], v[1:2], v[147:148]
	v_mul_f64 v[147:148], v[3:4], v[147:148]
	s_waitcnt vmcnt(56)
	v_fma_f64 v[143:144], v[5:6], v[131:132], -v[143:144]
	v_fma_f64 v[131:132], v[7:8], v[131:132], v[159:160]
	v_add_f64 v[129:130], v[129:130], v[137:138]
	s_clause 0x2
	buffer_load_dword v158, off, s[0:3], 0 offset:780
	buffer_load_dword v138, off, s[0:3], 0 offset:756
	buffer_load_dword v137, off, s[0:3], 0 offset:752
	v_add_f64 v[133:134], v[145:146], v[133:134]
	s_waitcnt vmcnt(58) lgkmcnt(0)
	v_mul_f64 v[145:146], v[125:126], v[151:152]
	v_mul_f64 v[151:152], v[127:128], v[151:152]
	ds_read_b128 v[5:8], v167 offset:1472
	s_waitcnt vmcnt(56)
	v_fma_f64 v[147:148], v[1:2], v[153:154], -v[147:148]
	v_add_f64 v[129:130], v[129:130], v[143:144]
	v_fma_f64 v[143:144], v[3:4], v[153:154], v[209:210]
	v_add_f64 v[131:132], v[133:134], v[131:132]
	s_clause 0x4
	buffer_load_dword v134, off, s[0:3], 0 offset:796
	buffer_load_dword v153, off, s[0:3], 0 offset:808
	;; [unrolled: 1-line block ×5, first 2 shown]
	s_waitcnt vmcnt(57) lgkmcnt(0)
	v_mul_f64 v[209:210], v[5:6], v[168:169]
	v_mul_f64 v[168:169], v[7:8], v[168:169]
	s_waitcnt vmcnt(56)
	v_fma_f64 v[151:152], v[125:126], v[139:140], -v[151:152]
	ds_read_b128 v[1:4], v167 offset:1488
	v_fma_f64 v[139:140], v[127:128], v[139:140], v[145:146]
	v_add_f64 v[129:130], v[129:130], v[147:148]
	v_add_f64 v[131:132], v[131:132], v[143:144]
	s_clause 0x2
	buffer_load_dword v154, off, s[0:3], 0 offset:812
	buffer_load_dword v144, off, s[0:3], 0 offset:788
	;; [unrolled: 1-line block ×3, first 2 shown]
	ds_read_b128 v[125:128], v167 offset:1504
	s_waitcnt vmcnt(58) lgkmcnt(1)
	v_mul_f64 v[147:148], v[3:4], v[170:171]
	s_waitcnt vmcnt(56)
	v_fma_f64 v[168:169], v[5:6], v[172:173], -v[168:169]
	v_mul_f64 v[145:146], v[1:2], v[170:171]
	v_add_f64 v[129:130], v[129:130], v[151:152]
	v_fma_f64 v[151:152], v[7:8], v[172:173], v[209:210]
	v_add_f64 v[131:132], v[131:132], v[139:140]
	s_clause 0x4
	buffer_load_dword v140, off, s[0:3], 0 offset:828
	buffer_load_dword v170, off, s[0:3], 0 offset:840
	;; [unrolled: 1-line block ×5, first 2 shown]
	s_waitcnt vmcnt(57) lgkmcnt(0)
	v_mul_f64 v[209:210], v[125:126], v[174:175]
	v_mul_f64 v[173:174], v[127:128], v[174:175]
	s_waitcnt vmcnt(56)
	v_fma_f64 v[147:148], v[1:2], v[149:150], -v[147:148]
	ds_read_b128 v[5:8], v167 offset:1520
	v_fma_f64 v[145:146], v[3:4], v[149:150], v[145:146]
	s_clause 0x2
	buffer_load_dword v171, off, s[0:3], 0 offset:844
	buffer_load_dword v150, off, s[0:3], 0 offset:820
	;; [unrolled: 1-line block ×3, first 2 shown]
	ds_read_b128 v[1:4], v167 offset:1536
	v_add_f64 v[129:130], v[129:130], v[168:169]
	v_add_f64 v[131:132], v[131:132], v[151:152]
	s_waitcnt vmcnt(58) lgkmcnt(1)
	v_mul_f64 v[168:169], v[7:8], v[176:177]
	s_waitcnt vmcnt(56)
	v_fma_f64 v[174:175], v[125:126], v[180:181], -v[173:174]
	v_mul_f64 v[151:152], v[5:6], v[176:177]
	v_add_f64 v[129:130], v[129:130], v[147:148]
	v_fma_f64 v[147:148], v[127:128], v[180:181], v[209:210]
	v_add_f64 v[131:132], v[131:132], v[145:146]
	s_clause 0x4
	buffer_load_dword v146, off, s[0:3], 0 offset:860
	buffer_load_dword v176, off, s[0:3], 0 offset:872
	;; [unrolled: 1-line block ×5, first 2 shown]
	s_waitcnt vmcnt(57) lgkmcnt(0)
	v_mul_f64 v[209:210], v[1:2], v[182:183]
	v_mul_f64 v[181:182], v[3:4], v[182:183]
	s_waitcnt vmcnt(56)
	v_fma_f64 v[168:169], v[5:6], v[178:179], -v[168:169]
	ds_read_b128 v[125:128], v167 offset:1552
	v_fma_f64 v[151:152], v[7:8], v[178:179], v[151:152]
	v_add_f64 v[129:130], v[129:130], v[174:175]
	v_add_f64 v[131:132], v[131:132], v[147:148]
	s_clause 0x2
	buffer_load_dword v177, off, s[0:3], 0 offset:876
	buffer_load_dword v148, off, s[0:3], 0 offset:852
	;; [unrolled: 1-line block ×3, first 2 shown]
	ds_read_b128 v[5:8], v167 offset:1568
	s_waitcnt vmcnt(58) lgkmcnt(1)
	v_mul_f64 v[178:179], v[127:128], v[186:187]
	s_waitcnt vmcnt(56)
	v_fma_f64 v[182:183], v[1:2], v[190:191], -v[181:182]
	v_mul_f64 v[174:175], v[125:126], v[186:187]
	v_add_f64 v[129:130], v[129:130], v[168:169]
	v_fma_f64 v[168:169], v[3:4], v[190:191], v[209:210]
	v_add_f64 v[131:132], v[131:132], v[151:152]
	s_clause 0x4
	buffer_load_dword v152, off, s[0:3], 0 offset:892
	buffer_load_dword v186, off, s[0:3], 0 offset:904
	;; [unrolled: 1-line block ×5, first 2 shown]
	s_waitcnt vmcnt(57) lgkmcnt(0)
	v_mul_f64 v[209:210], v[5:6], v[194:195]
	v_mul_f64 v[194:195], v[7:8], v[194:195]
	s_waitcnt vmcnt(56)
	v_fma_f64 v[178:179], v[125:126], v[188:189], -v[178:179]
	ds_read_b128 v[1:4], v167 offset:1584
	v_fma_f64 v[174:175], v[127:128], v[188:189], v[174:175]
	v_add_f64 v[129:130], v[129:130], v[182:183]
	v_add_f64 v[131:132], v[131:132], v[168:169]
	s_clause 0x2
	buffer_load_dword v187, off, s[0:3], 0 offset:908
	buffer_load_dword v169, off, s[0:3], 0 offset:884
	;; [unrolled: 1-line block ×3, first 2 shown]
	ds_read_b128 v[125:128], v167 offset:1600
	s_waitcnt vmcnt(58) lgkmcnt(1)
	v_mul_f64 v[188:189], v[3:4], v[196:197]
	s_waitcnt vmcnt(56)
	v_fma_f64 v[194:195], v[5:6], v[201:202], -v[194:195]
	v_mul_f64 v[182:183], v[1:2], v[196:197]
	v_add_f64 v[129:130], v[129:130], v[178:179]
	v_fma_f64 v[178:179], v[7:8], v[201:202], v[209:210]
	v_add_f64 v[131:132], v[131:132], v[174:175]
	s_clause 0x4
	buffer_load_dword v175, off, s[0:3], 0 offset:924
	buffer_load_dword v196, off, s[0:3], 0 offset:936
	;; [unrolled: 1-line block ×5, first 2 shown]
	ds_read_b128 v[5:8], v167 offset:1616
	s_waitcnt vmcnt(57) lgkmcnt(1)
	v_mul_f64 v[201:202], v[125:126], v[192:193]
	v_mul_f64 v[192:193], v[127:128], v[192:193]
	s_waitcnt vmcnt(56)
	v_fma_f64 v[188:189], v[1:2], v[198:199], -v[188:189]
	v_fma_f64 v[182:183], v[3:4], v[198:199], v[182:183]
	v_add_f64 v[129:130], v[129:130], v[194:195]
	v_add_f64 v[131:132], v[131:132], v[178:179]
	s_clause 0x2
	buffer_load_dword v197, off, s[0:3], 0 offset:940
	buffer_load_dword v179, off, s[0:3], 0 offset:916
	;; [unrolled: 1-line block ×3, first 2 shown]
	ds_read_b128 v[1:4], v167 offset:1632
	s_waitcnt vmcnt(58) lgkmcnt(1)
	v_mul_f64 v[198:199], v[7:8], v[205:206]
	v_mul_f64 v[194:195], v[5:6], v[205:206]
	s_waitcnt vmcnt(56)
	v_fma_f64 v[192:193], v[125:126], v[161:162], -v[192:193]
	v_fma_f64 v[161:162], v[127:128], v[161:162], v[201:202]
	buffer_load_dword v201, off, s[0:3], 0 offset:932
	ds_read_b128 v[125:128], v167 offset:1648
	v_add_f64 v[129:130], v[129:130], v[188:189]
	v_add_f64 v[131:132], v[131:132], v[182:183]
	s_waitcnt vmcnt(53) lgkmcnt(1)
	v_mul_f64 v[182:183], v[1:2], v[141:142]
	v_mul_f64 v[141:142], v[3:4], v[141:142]
	s_waitcnt vmcnt(52)
	v_fma_f64 v[188:189], v[5:6], v[207:208], -v[198:199]
	v_add_f64 v[129:130], v[129:130], v[192:193]
	v_fma_f64 v[192:193], v[7:8], v[207:208], v[194:195]
	v_add_f64 v[131:132], v[131:132], v[161:162]
	ds_read_b128 v[5:8], v167 offset:1664
	s_waitcnt vmcnt(51) lgkmcnt(1)
	v_mul_f64 v[161:162], v[125:126], v[163:164]
	v_mul_f64 v[163:164], v[127:128], v[163:164]
	s_waitcnt vmcnt(49)
	v_fma_f64 v[141:142], v[1:2], v[135:136], -v[141:142]
	v_fma_f64 v[135:136], v[3:4], v[135:136], v[182:183]
	v_add_f64 v[129:130], v[129:130], v[188:189]
	s_clause 0x3
	buffer_load_dword v182, off, s[0:3], 0 offset:400
	buffer_load_dword v183, off, s[0:3], 0 offset:404
	;; [unrolled: 1-line block ×4, first 2 shown]
	v_add_f64 v[131:132], v[131:132], v[192:193]
	ds_read_b128 v[1:4], v167 offset:1680
	s_waitcnt vmcnt(49) lgkmcnt(1)
	v_mul_f64 v[192:193], v[5:6], v[155:156]
	v_mul_f64 v[155:156], v[7:8], v[155:156]
	s_waitcnt vmcnt(48)
	v_fma_f64 v[163:164], v[125:126], v[203:204], -v[163:164]
	v_add_f64 v[129:130], v[129:130], v[141:142]
	v_fma_f64 v[141:142], v[127:128], v[203:204], v[161:162]
	v_add_f64 v[131:132], v[131:132], v[135:136]
	ds_read_b128 v[125:128], v167 offset:1696
	s_waitcnt vmcnt(47) lgkmcnt(1)
	v_mul_f64 v[135:136], v[1:2], v[157:158]
	v_mul_f64 v[157:158], v[3:4], v[157:158]
	s_waitcnt vmcnt(45)
	v_fma_f64 v[155:156], v[5:6], v[137:138], -v[155:156]
	v_fma_f64 v[137:138], v[7:8], v[137:138], v[192:193]
	ds_read_b128 v[5:8], v167 offset:1712
	v_add_f64 v[129:130], v[129:130], v[163:164]
	v_add_f64 v[131:132], v[131:132], v[141:142]
	s_waitcnt vmcnt(41) lgkmcnt(1)
	v_mul_f64 v[141:142], v[125:126], v[133:134]
	v_mul_f64 v[133:134], v[127:128], v[133:134]
	s_waitcnt vmcnt(40)
	v_fma_f64 v[157:158], v[1:2], v[165:166], -v[157:158]
	v_fma_f64 v[135:136], v[3:4], v[165:166], v[135:136]
	ds_read_b128 v[1:4], v167 offset:1728
	v_add_f64 v[129:130], v[129:130], v[155:156]
	v_add_f64 v[131:132], v[131:132], v[137:138]
	;; [unrolled: 9-line block ×3, first 2 shown]
	s_waitcnt vmcnt(33) lgkmcnt(1)
	v_mul_f64 v[135:136], v[1:2], v[139:140]
	v_mul_f64 v[139:140], v[3:4], v[139:140]
	s_waitcnt vmcnt(32)
	v_fma_f64 v[143:144], v[5:6], v[159:160], -v[153:154]
	v_add_f64 v[129:130], v[129:130], v[133:134]
	v_fma_f64 v[133:134], v[7:8], v[159:160], v[137:138]
	v_add_f64 v[131:132], v[131:132], v[141:142]
	ds_read_b128 v[5:8], v167 offset:1760
	s_waitcnt vmcnt(31) lgkmcnt(1)
	v_mul_f64 v[141:142], v[127:128], v[170:171]
	v_mul_f64 v[137:138], v[125:126], v[170:171]
	s_waitcnt vmcnt(29)
	v_fma_f64 v[135:136], v[3:4], v[149:150], v[135:136]
	v_fma_f64 v[139:140], v[1:2], v[149:150], -v[139:140]
	ds_read_b128 v[1:4], v167 offset:1776
	v_add_f64 v[129:130], v[129:130], v[143:144]
	v_add_f64 v[131:132], v[131:132], v[133:134]
	s_waitcnt vmcnt(25) lgkmcnt(1)
	v_mul_f64 v[143:144], v[7:8], v[145:146]
	s_waitcnt vmcnt(24)
	v_fma_f64 v[141:142], v[125:126], v[172:173], -v[141:142]
	v_mul_f64 v[133:134], v[5:6], v[145:146]
	v_fma_f64 v[137:138], v[127:128], v[172:173], v[137:138]
	ds_read_b128 v[125:128], v167 offset:1792
	v_add_f64 v[129:130], v[129:130], v[139:140]
	v_add_f64 v[131:132], v[131:132], v[135:136]
	s_waitcnt vmcnt(23) lgkmcnt(1)
	v_mul_f64 v[139:140], v[3:4], v[176:177]
	v_mul_f64 v[135:136], v[1:2], v[176:177]
	s_waitcnt vmcnt(21)
	v_fma_f64 v[143:144], v[5:6], v[147:148], -v[143:144]
	v_fma_f64 v[133:134], v[7:8], v[147:148], v[133:134]
	ds_read_b128 v[5:8], v167 offset:1808
	v_add_f64 v[129:130], v[129:130], v[141:142]
	v_add_f64 v[131:132], v[131:132], v[137:138]
	s_waitcnt vmcnt(17) lgkmcnt(1)
	v_mul_f64 v[141:142], v[127:128], v[151:152]
	s_waitcnt vmcnt(16)
	v_fma_f64 v[139:140], v[1:2], v[180:181], -v[139:140]
	v_mul_f64 v[137:138], v[125:126], v[151:152]
	v_fma_f64 v[135:136], v[3:4], v[180:181], v[135:136]
	ds_read_b128 v[1:4], v167 offset:1824
	v_add_f64 v[129:130], v[129:130], v[143:144]
	v_add_f64 v[131:132], v[131:132], v[133:134]
	s_waitcnt vmcnt(15) lgkmcnt(1)
	v_mul_f64 v[143:144], v[7:8], v[186:187]
	v_mul_f64 v[133:134], v[5:6], v[186:187]
	s_waitcnt vmcnt(13)
	v_fma_f64 v[141:142], v[125:126], v[168:169], -v[141:142]
	v_fma_f64 v[137:138], v[127:128], v[168:169], v[137:138]
	ds_read_b128 v[125:128], v167 offset:1840
	v_add_f64 v[129:130], v[129:130], v[139:140]
	v_add_f64 v[131:132], v[131:132], v[135:136]
	s_waitcnt vmcnt(9) lgkmcnt(1)
	v_mul_f64 v[139:140], v[3:4], v[174:175]
	s_waitcnt vmcnt(8)
	v_fma_f64 v[5:6], v[5:6], v[190:191], -v[143:144]
	v_mul_f64 v[135:136], v[1:2], v[174:175]
	v_fma_f64 v[7:8], v[7:8], v[190:191], v[133:134]
	v_add_f64 v[129:130], v[129:130], v[141:142]
	v_add_f64 v[131:132], v[131:132], v[137:138]
	s_waitcnt vmcnt(7) lgkmcnt(0)
	v_mul_f64 v[137:138], v[127:128], v[196:197]
	v_mul_f64 v[133:134], v[125:126], v[196:197]
	s_waitcnt vmcnt(5)
	v_fma_f64 v[1:2], v[1:2], v[178:179], -v[139:140]
	v_fma_f64 v[3:4], v[3:4], v[178:179], v[135:136]
	v_add_f64 v[5:6], v[129:130], v[5:6]
	v_add_f64 v[7:8], v[131:132], v[7:8]
	s_waitcnt vmcnt(4)
	v_fma_f64 v[125:126], v[125:126], v[200:201], -v[137:138]
	v_add_f64 v[1:2], v[5:6], v[1:2]
	v_fma_f64 v[5:6], v[127:128], v[200:201], v[133:134]
	v_add_f64 v[3:4], v[7:8], v[3:4]
	v_add_f64 v[1:2], v[1:2], v[125:126]
	v_add_f64 v[3:4], v[3:4], v[5:6]
	s_waitcnt vmcnt(2)
	v_add_f64 v[1:2], v[182:183], -v[1:2]
	s_waitcnt vmcnt(0)
	v_add_f64 v[3:4], v[188:189], -v[3:4]
	buffer_store_dword v2, off, s[0:3], 0 offset:404
	buffer_store_dword v1, off, s[0:3], 0 offset:400
	;; [unrolled: 1-line block ×4, first 2 shown]
	v_cmpx_lt_u32_e32 23, v0
	s_cbranch_execz .LBB121_315
; %bb.314:
	v_mov_b32_e32 v4, s47
	s_clause 0x3
	buffer_load_dword v1, v4, s[0:3], 0 offen
	buffer_load_dword v2, v4, s[0:3], 0 offen offset:4
	buffer_load_dword v3, v4, s[0:3], 0 offen offset:8
	;; [unrolled: 1-line block ×3, first 2 shown]
	buffer_store_dword v167, off, s[0:3], 0 offset:384
	buffer_store_dword v167, off, s[0:3], 0 offset:388
	;; [unrolled: 1-line block ×4, first 2 shown]
	s_waitcnt vmcnt(0)
	ds_write_b128 v185, v[1:4]
.LBB121_315:
	s_or_b32 exec_lo, exec_lo, s4
	s_waitcnt lgkmcnt(0)
	s_waitcnt_vscnt null, 0x0
	s_barrier
	buffer_gl0_inv
	s_clause 0x37
	buffer_load_dword v125, off, s[0:3], 0 offset:408
	buffer_load_dword v126, off, s[0:3], 0 offset:412
	;; [unrolled: 1-line block ×56, first 2 shown]
	ds_read_b128 v[168:171], v167 offset:1312
	s_clause 0x2
	buffer_load_dword v189, off, s[0:3], 0 offset:636
	buffer_load_dword v191, off, s[0:3], 0 offset:612
	buffer_load_dword v190, off, s[0:3], 0 offset:608
	ds_read_b128 v[172:175], v167 offset:1328
	s_clause 0x4
	buffer_load_dword v195, off, s[0:3], 0 offset:652
	buffer_load_dword v196, off, s[0:3], 0 offset:664
	;; [unrolled: 1-line block ×5, first 2 shown]
	ds_read_b128 v[176:179], v167 offset:1344
	s_clause 0x2
	buffer_load_dword v197, off, s[0:3], 0 offset:668
	buffer_load_dword v202, off, s[0:3], 0 offset:644
	;; [unrolled: 1-line block ×3, first 2 shown]
	s_mov_b32 s4, exec_lo
	s_waitcnt vmcnt(62) lgkmcnt(2)
	v_mul_f64 v[192:193], v[170:171], v[125:126]
	v_mul_f64 v[125:126], v[168:169], v[125:126]
	s_waitcnt lgkmcnt(1)
	v_mul_f64 v[199:200], v[174:175], v[5:6]
	s_waitcnt vmcnt(59) lgkmcnt(0)
	v_mul_f64 v[203:204], v[178:179], v[3:4]
	v_fma_f64 v[168:169], v[168:169], v[7:8], -v[192:193]
	v_mul_f64 v[192:193], v[172:173], v[5:6]
	v_fma_f64 v[125:126], v[170:171], v[7:8], v[125:126]
	s_waitcnt vmcnt(57)
	v_fma_f64 v[172:173], v[172:173], v[1:2], -v[199:200]
	ds_read_b128 v[5:8], v167 offset:1360
	v_mul_f64 v[170:171], v[176:177], v[3:4]
	s_waitcnt vmcnt(51)
	v_fma_f64 v[176:177], v[176:177], v[141:142], -v[203:204]
	v_add_f64 v[168:169], v[168:169], 0
	v_fma_f64 v[174:175], v[174:175], v[1:2], v[192:193]
	v_add_f64 v[125:126], v[125:126], 0
	s_clause 0x4
	buffer_load_dword v193, off, s[0:3], 0 offset:684
	buffer_load_dword v205, off, s[0:3], 0 offset:696
	;; [unrolled: 1-line block ×5, first 2 shown]
	s_waitcnt lgkmcnt(0)
	v_mul_f64 v[208:209], v[5:6], v[129:130]
	v_mul_f64 v[129:130], v[7:8], v[129:130]
	ds_read_b128 v[1:4], v167 offset:1376
	v_fma_f64 v[141:142], v[178:179], v[141:142], v[170:171]
	v_add_f64 v[172:173], v[168:169], v[172:173]
	v_add_f64 v[125:126], v[125:126], v[174:175]
	s_clause 0x2
	buffer_load_dword v206, off, s[0:3], 0 offset:700
	buffer_load_dword v175, off, s[0:3], 0 offset:676
	;; [unrolled: 1-line block ×3, first 2 shown]
	s_waitcnt vmcnt(58) lgkmcnt(0)
	v_mul_f64 v[178:179], v[1:2], v[133:134]
	v_mul_f64 v[133:134], v[3:4], v[133:134]
	s_waitcnt vmcnt(56)
	v_fma_f64 v[129:130], v[5:6], v[135:136], -v[129:130]
	ds_read_b128 v[168:171], v167 offset:1392
	v_fma_f64 v[135:136], v[7:8], v[135:136], v[208:209]
	v_add_f64 v[172:173], v[172:173], v[176:177]
	v_add_f64 v[125:126], v[125:126], v[141:142]
	s_clause 0x4
	buffer_load_dword v142, off, s[0:3], 0 offset:716
	buffer_load_dword v176, off, s[0:3], 0 offset:728
	;; [unrolled: 1-line block ×5, first 2 shown]
	ds_read_b128 v[5:8], v167 offset:1408
	s_waitcnt vmcnt(57) lgkmcnt(1)
	v_mul_f64 v[209:210], v[168:169], v[137:138]
	v_mul_f64 v[137:138], v[170:171], v[137:138]
	s_waitcnt vmcnt(56)
	v_fma_f64 v[133:134], v[1:2], v[127:128], -v[133:134]
	v_fma_f64 v[127:128], v[3:4], v[127:128], v[178:179]
	v_add_f64 v[129:130], v[172:173], v[129:130]
	v_add_f64 v[125:126], v[125:126], v[135:136]
	s_clause 0x2
	buffer_load_dword v177, off, s[0:3], 0 offset:732
	buffer_load_dword v136, off, s[0:3], 0 offset:708
	;; [unrolled: 1-line block ×3, first 2 shown]
	s_waitcnt vmcnt(58) lgkmcnt(0)
	v_mul_f64 v[172:173], v[5:6], v[143:144]
	v_mul_f64 v[143:144], v[7:8], v[143:144]
	s_waitcnt vmcnt(56)
	v_fma_f64 v[137:138], v[168:169], v[145:146], -v[137:138]
	ds_read_b128 v[1:4], v167 offset:1424
	v_add_f64 v[129:130], v[129:130], v[133:134]
	v_fma_f64 v[133:134], v[170:171], v[145:146], v[209:210]
	v_add_f64 v[145:146], v[125:126], v[127:128]
	s_clause 0x4
	buffer_load_dword v169, off, s[0:3], 0 offset:748
	buffer_load_dword v170, off, s[0:3], 0 offset:760
	;; [unrolled: 1-line block ×5, first 2 shown]
	ds_read_b128 v[125:128], v167 offset:1440
	s_waitcnt vmcnt(57) lgkmcnt(1)
	v_mul_f64 v[209:210], v[1:2], v[147:148]
	v_mul_f64 v[147:148], v[3:4], v[147:148]
	s_waitcnt vmcnt(56)
	v_fma_f64 v[143:144], v[5:6], v[131:132], -v[143:144]
	v_fma_f64 v[131:132], v[7:8], v[131:132], v[172:173]
	v_add_f64 v[129:130], v[129:130], v[137:138]
	s_clause 0x2
	buffer_load_dword v171, off, s[0:3], 0 offset:764
	buffer_load_dword v138, off, s[0:3], 0 offset:740
	;; [unrolled: 1-line block ×3, first 2 shown]
	v_add_f64 v[133:134], v[145:146], v[133:134]
	s_waitcnt vmcnt(58) lgkmcnt(0)
	v_mul_f64 v[145:146], v[125:126], v[151:152]
	v_mul_f64 v[151:152], v[127:128], v[151:152]
	ds_read_b128 v[5:8], v167 offset:1456
	s_waitcnt vmcnt(56)
	v_fma_f64 v[147:148], v[1:2], v[153:154], -v[147:148]
	v_add_f64 v[129:130], v[129:130], v[143:144]
	v_fma_f64 v[143:144], v[3:4], v[153:154], v[209:210]
	v_add_f64 v[131:132], v[133:134], v[131:132]
	s_clause 0x4
	buffer_load_dword v134, off, s[0:3], 0 offset:780
	buffer_load_dword v153, off, s[0:3], 0 offset:792
	;; [unrolled: 1-line block ×5, first 2 shown]
	s_waitcnt vmcnt(57) lgkmcnt(0)
	v_mul_f64 v[209:210], v[5:6], v[155:156]
	v_mul_f64 v[155:156], v[7:8], v[155:156]
	s_waitcnt vmcnt(56)
	v_fma_f64 v[151:152], v[125:126], v[139:140], -v[151:152]
	ds_read_b128 v[1:4], v167 offset:1472
	v_fma_f64 v[139:140], v[127:128], v[139:140], v[145:146]
	v_add_f64 v[129:130], v[129:130], v[147:148]
	v_add_f64 v[131:132], v[131:132], v[143:144]
	s_clause 0x2
	buffer_load_dword v154, off, s[0:3], 0 offset:796
	buffer_load_dword v144, off, s[0:3], 0 offset:772
	;; [unrolled: 1-line block ×3, first 2 shown]
	ds_read_b128 v[125:128], v167 offset:1488
	s_waitcnt vmcnt(58) lgkmcnt(1)
	v_mul_f64 v[147:148], v[3:4], v[159:160]
	s_waitcnt vmcnt(56)
	v_fma_f64 v[155:156], v[5:6], v[161:162], -v[155:156]
	v_mul_f64 v[145:146], v[1:2], v[159:160]
	v_add_f64 v[129:130], v[129:130], v[151:152]
	v_fma_f64 v[151:152], v[7:8], v[161:162], v[209:210]
	v_add_f64 v[131:132], v[131:132], v[139:140]
	s_clause 0x4
	buffer_load_dword v140, off, s[0:3], 0 offset:812
	buffer_load_dword v159, off, s[0:3], 0 offset:824
	;; [unrolled: 1-line block ×5, first 2 shown]
	s_waitcnt vmcnt(57) lgkmcnt(0)
	v_mul_f64 v[209:210], v[125:126], v[163:164]
	v_mul_f64 v[162:163], v[127:128], v[163:164]
	s_waitcnt vmcnt(56)
	v_fma_f64 v[147:148], v[1:2], v[149:150], -v[147:148]
	ds_read_b128 v[5:8], v167 offset:1504
	v_fma_f64 v[145:146], v[3:4], v[149:150], v[145:146]
	s_clause 0x2
	buffer_load_dword v160, off, s[0:3], 0 offset:828
	buffer_load_dword v150, off, s[0:3], 0 offset:804
	;; [unrolled: 1-line block ×3, first 2 shown]
	ds_read_b128 v[1:4], v167 offset:1520
	v_add_f64 v[129:130], v[129:130], v[155:156]
	v_add_f64 v[131:132], v[131:132], v[151:152]
	s_waitcnt vmcnt(58) lgkmcnt(1)
	v_mul_f64 v[155:156], v[7:8], v[180:181]
	s_waitcnt vmcnt(56)
	v_fma_f64 v[163:164], v[125:126], v[182:183], -v[162:163]
	v_mul_f64 v[151:152], v[5:6], v[180:181]
	v_add_f64 v[129:130], v[129:130], v[147:148]
	v_fma_f64 v[147:148], v[127:128], v[182:183], v[209:210]
	v_add_f64 v[131:132], v[131:132], v[145:146]
	s_clause 0x4
	buffer_load_dword v146, off, s[0:3], 0 offset:844
	buffer_load_dword v180, off, s[0:3], 0 offset:856
	;; [unrolled: 1-line block ×5, first 2 shown]
	s_waitcnt vmcnt(57) lgkmcnt(0)
	v_mul_f64 v[183:184], v[1:2], v[186:187]
	v_mul_f64 v[186:187], v[3:4], v[186:187]
	s_waitcnt vmcnt(56)
	v_fma_f64 v[155:156], v[5:6], v[157:158], -v[155:156]
	ds_read_b128 v[125:128], v167 offset:1536
	v_fma_f64 v[151:152], v[7:8], v[157:158], v[151:152]
	v_add_f64 v[129:130], v[129:130], v[163:164]
	v_add_f64 v[131:132], v[131:132], v[147:148]
	s_clause 0x2
	buffer_load_dword v181, off, s[0:3], 0 offset:860
	buffer_load_dword v148, off, s[0:3], 0 offset:836
	buffer_load_dword v147, off, s[0:3], 0 offset:832
	ds_read_b128 v[5:8], v167 offset:1552
	s_waitcnt vmcnt(58) lgkmcnt(1)
	v_mul_f64 v[163:164], v[127:128], v[188:189]
	s_waitcnt vmcnt(56)
	v_fma_f64 v[186:187], v[1:2], v[190:191], -v[186:187]
	v_mul_f64 v[157:158], v[125:126], v[188:189]
	v_add_f64 v[129:130], v[129:130], v[155:156]
	v_fma_f64 v[155:156], v[3:4], v[190:191], v[183:184]
	v_add_f64 v[131:132], v[131:132], v[151:152]
	s_clause 0x4
	buffer_load_dword v152, off, s[0:3], 0 offset:876
	buffer_load_dword v188, off, s[0:3], 0 offset:888
	buffer_load_dword v190, off, s[0:3], 0 offset:880
	buffer_load_dword v151, off, s[0:3], 0 offset:872
	buffer_load_dword v183, off, s[0:3], 0 offset:852
	s_waitcnt vmcnt(57) lgkmcnt(0)
	v_mul_f64 v[209:210], v[5:6], v[194:195]
	v_mul_f64 v[194:195], v[7:8], v[194:195]
	s_waitcnt vmcnt(56)
	v_fma_f64 v[163:164], v[125:126], v[165:166], -v[163:164]
	ds_read_b128 v[1:4], v167 offset:1568
	v_fma_f64 v[157:158], v[127:128], v[165:166], v[157:158]
	v_add_f64 v[129:130], v[129:130], v[186:187]
	v_add_f64 v[131:132], v[131:132], v[155:156]
	s_clause 0x2
	buffer_load_dword v189, off, s[0:3], 0 offset:892
	buffer_load_dword v156, off, s[0:3], 0 offset:868
	;; [unrolled: 1-line block ×3, first 2 shown]
	ds_read_b128 v[125:128], v167 offset:1584
	s_waitcnt vmcnt(58) lgkmcnt(1)
	v_mul_f64 v[186:187], v[3:4], v[196:197]
	s_waitcnt vmcnt(56)
	v_fma_f64 v[194:195], v[5:6], v[201:202], -v[194:195]
	v_mul_f64 v[165:166], v[1:2], v[196:197]
	v_add_f64 v[129:130], v[129:130], v[163:164]
	v_fma_f64 v[163:164], v[7:8], v[201:202], v[209:210]
	v_add_f64 v[131:132], v[131:132], v[157:158]
	s_clause 0x4
	buffer_load_dword v158, off, s[0:3], 0 offset:908
	buffer_load_dword v196, off, s[0:3], 0 offset:920
	;; [unrolled: 1-line block ×5, first 2 shown]
	ds_read_b128 v[5:8], v167 offset:1600
	s_waitcnt vmcnt(57) lgkmcnt(1)
	v_mul_f64 v[201:202], v[125:126], v[192:193]
	v_mul_f64 v[192:193], v[127:128], v[192:193]
	s_waitcnt vmcnt(56)
	v_fma_f64 v[186:187], v[1:2], v[198:199], -v[186:187]
	v_fma_f64 v[165:166], v[3:4], v[198:199], v[165:166]
	v_add_f64 v[129:130], v[129:130], v[194:195]
	v_add_f64 v[131:132], v[131:132], v[163:164]
	s_clause 0x2
	buffer_load_dword v197, off, s[0:3], 0 offset:924
	buffer_load_dword v164, off, s[0:3], 0 offset:900
	buffer_load_dword v163, off, s[0:3], 0 offset:896
	ds_read_b128 v[1:4], v167 offset:1616
	s_waitcnt vmcnt(58) lgkmcnt(1)
	v_mul_f64 v[198:199], v[7:8], v[205:206]
	v_mul_f64 v[194:195], v[5:6], v[205:206]
	s_waitcnt vmcnt(56)
	v_fma_f64 v[192:193], v[125:126], v[174:175], -v[192:193]
	v_fma_f64 v[174:175], v[127:128], v[174:175], v[201:202]
	v_add_f64 v[129:130], v[129:130], v[186:187]
	v_add_f64 v[131:132], v[131:132], v[165:166]
	s_clause 0x2
	buffer_load_dword v166, off, s[0:3], 0 offset:940
	buffer_load_dword v165, off, s[0:3], 0 offset:936
	;; [unrolled: 1-line block ×3, first 2 shown]
	ds_read_b128 v[125:128], v167 offset:1632
	s_waitcnt vmcnt(55) lgkmcnt(1)
	v_mul_f64 v[186:187], v[1:2], v[141:142]
	v_mul_f64 v[141:142], v[3:4], v[141:142]
	s_waitcnt vmcnt(54)
	v_fma_f64 v[198:199], v[5:6], v[207:208], -v[198:199]
	v_add_f64 v[129:130], v[129:130], v[192:193]
	v_fma_f64 v[192:193], v[7:8], v[207:208], v[194:195]
	v_add_f64 v[131:132], v[131:132], v[174:175]
	s_clause 0x1
	buffer_load_dword v175, off, s[0:3], 0 offset:932
	buffer_load_dword v174, off, s[0:3], 0 offset:928
	ds_read_b128 v[5:8], v167 offset:1648
	s_waitcnt vmcnt(55) lgkmcnt(1)
	v_mul_f64 v[194:195], v[125:126], v[176:177]
	v_mul_f64 v[176:177], v[127:128], v[176:177]
	s_waitcnt vmcnt(53)
	v_fma_f64 v[141:142], v[1:2], v[135:136], -v[141:142]
	v_fma_f64 v[135:136], v[3:4], v[135:136], v[186:187]
	ds_read_b128 v[1:4], v167 offset:1664
	v_add_f64 v[129:130], v[129:130], v[198:199]
	v_add_f64 v[131:132], v[131:132], v[192:193]
	s_waitcnt vmcnt(49) lgkmcnt(1)
	v_mul_f64 v[186:187], v[5:6], v[168:169]
	v_mul_f64 v[168:169], v[7:8], v[168:169]
	s_waitcnt vmcnt(48)
	v_fma_f64 v[176:177], v[125:126], v[203:204], -v[176:177]
	v_add_f64 v[129:130], v[129:130], v[141:142]
	v_fma_f64 v[141:142], v[127:128], v[203:204], v[194:195]
	v_add_f64 v[131:132], v[131:132], v[135:136]
	s_clause 0x3
	buffer_load_dword v135, off, s[0:3], 0 offset:384
	buffer_load_dword v136, off, s[0:3], 0 offset:388
	;; [unrolled: 1-line block ×4, first 2 shown]
	ds_read_b128 v[125:128], v167 offset:1680
	s_waitcnt vmcnt(51) lgkmcnt(1)
	v_mul_f64 v[194:195], v[1:2], v[170:171]
	v_mul_f64 v[170:171], v[3:4], v[170:171]
	s_waitcnt vmcnt(49)
	v_fma_f64 v[168:169], v[5:6], v[137:138], -v[168:169]
	v_fma_f64 v[137:138], v[7:8], v[137:138], v[186:187]
	ds_read_b128 v[5:8], v167 offset:1696
	v_add_f64 v[129:130], v[129:130], v[176:177]
	v_add_f64 v[131:132], v[131:132], v[141:142]
	s_waitcnt vmcnt(45) lgkmcnt(1)
	v_mul_f64 v[141:142], v[125:126], v[133:134]
	v_mul_f64 v[133:134], v[127:128], v[133:134]
	s_waitcnt vmcnt(44)
	v_fma_f64 v[170:171], v[1:2], v[178:179], -v[170:171]
	v_add_f64 v[129:130], v[129:130], v[168:169]
	v_fma_f64 v[168:169], v[3:4], v[178:179], v[194:195]
	v_add_f64 v[131:132], v[131:132], v[137:138]
	ds_read_b128 v[1:4], v167 offset:1712
	s_waitcnt vmcnt(43) lgkmcnt(1)
	v_mul_f64 v[137:138], v[5:6], v[153:154]
	v_mul_f64 v[153:154], v[7:8], v[153:154]
	s_waitcnt vmcnt(41)
	v_fma_f64 v[133:134], v[125:126], v[143:144], -v[133:134]
	v_fma_f64 v[141:142], v[127:128], v[143:144], v[141:142]
	ds_read_b128 v[125:128], v167 offset:1728
	v_add_f64 v[129:130], v[129:130], v[170:171]
	v_add_f64 v[131:132], v[131:132], v[168:169]
	s_waitcnt vmcnt(37) lgkmcnt(1)
	v_mul_f64 v[143:144], v[1:2], v[139:140]
	v_mul_f64 v[139:140], v[3:4], v[139:140]
	s_waitcnt vmcnt(36)
	v_fma_f64 v[153:154], v[5:6], v[172:173], -v[153:154]
	v_add_f64 v[129:130], v[129:130], v[133:134]
	v_fma_f64 v[133:134], v[7:8], v[172:173], v[137:138]
	v_add_f64 v[131:132], v[131:132], v[141:142]
	s_waitcnt vmcnt(35) lgkmcnt(0)
	v_mul_f64 v[141:142], v[127:128], v[159:160]
	ds_read_b128 v[5:8], v167 offset:1744
	v_mul_f64 v[137:138], v[125:126], v[159:160]
	s_waitcnt vmcnt(33)
	v_fma_f64 v[143:144], v[3:4], v[149:150], v[143:144]
	v_fma_f64 v[139:140], v[1:2], v[149:150], -v[139:140]
	ds_read_b128 v[1:4], v167 offset:1760
	v_add_f64 v[129:130], v[129:130], v[153:154]
	v_add_f64 v[131:132], v[131:132], v[133:134]
	s_waitcnt vmcnt(29) lgkmcnt(1)
	v_mul_f64 v[133:134], v[5:6], v[145:146]
	v_mul_f64 v[145:146], v[7:8], v[145:146]
	s_waitcnt vmcnt(28)
	v_fma_f64 v[141:142], v[125:126], v[161:162], -v[141:142]
	v_fma_f64 v[137:138], v[127:128], v[161:162], v[137:138]
	ds_read_b128 v[125:128], v167 offset:1776
	v_add_f64 v[129:130], v[129:130], v[139:140]
	v_add_f64 v[131:132], v[131:132], v[143:144]
	s_waitcnt vmcnt(27) lgkmcnt(1)
	v_mul_f64 v[143:144], v[3:4], v[180:181]
	v_mul_f64 v[139:140], v[1:2], v[180:181]
	s_waitcnt vmcnt(25)
	v_fma_f64 v[145:146], v[5:6], v[147:148], -v[145:146]
	v_fma_f64 v[133:134], v[7:8], v[147:148], v[133:134]
	ds_read_b128 v[5:8], v167 offset:1792
	v_add_f64 v[129:130], v[129:130], v[141:142]
	v_add_f64 v[131:132], v[131:132], v[137:138]
	s_waitcnt vmcnt(21) lgkmcnt(1)
	v_mul_f64 v[141:142], v[127:128], v[151:152]
	s_waitcnt vmcnt(20)
	v_fma_f64 v[143:144], v[1:2], v[182:183], -v[143:144]
	v_mul_f64 v[137:138], v[125:126], v[151:152]
	v_fma_f64 v[139:140], v[3:4], v[182:183], v[139:140]
	ds_read_b128 v[1:4], v167 offset:1808
	v_add_f64 v[129:130], v[129:130], v[145:146]
	v_add_f64 v[131:132], v[131:132], v[133:134]
	s_waitcnt vmcnt(19) lgkmcnt(1)
	v_mul_f64 v[145:146], v[7:8], v[188:189]
	v_mul_f64 v[133:134], v[5:6], v[188:189]
	s_waitcnt vmcnt(17)
	v_fma_f64 v[141:142], v[125:126], v[155:156], -v[141:142]
	v_fma_f64 v[137:138], v[127:128], v[155:156], v[137:138]
	ds_read_b128 v[125:128], v167 offset:1824
	v_add_f64 v[129:130], v[129:130], v[143:144]
	v_add_f64 v[131:132], v[131:132], v[139:140]
	s_waitcnt vmcnt(13) lgkmcnt(1)
	v_mul_f64 v[143:144], v[3:4], v[157:158]
	s_waitcnt vmcnt(12)
	v_fma_f64 v[145:146], v[5:6], v[190:191], -v[145:146]
	v_mul_f64 v[139:140], v[1:2], v[157:158]
	v_fma_f64 v[133:134], v[7:8], v[190:191], v[133:134]
	ds_read_b128 v[5:8], v167 offset:1840
	v_add_f64 v[129:130], v[129:130], v[141:142]
	v_add_f64 v[131:132], v[131:132], v[137:138]
	s_waitcnt vmcnt(11) lgkmcnt(1)
	v_mul_f64 v[141:142], v[127:128], v[196:197]
	v_mul_f64 v[137:138], v[125:126], v[196:197]
	s_waitcnt vmcnt(9)
	v_fma_f64 v[1:2], v[1:2], v[163:164], -v[143:144]
	v_fma_f64 v[3:4], v[3:4], v[163:164], v[139:140]
	v_add_f64 v[129:130], v[129:130], v[145:146]
	v_add_f64 v[131:132], v[131:132], v[133:134]
	s_waitcnt vmcnt(7) lgkmcnt(0)
	v_mul_f64 v[139:140], v[7:8], v[165:166]
	s_waitcnt vmcnt(6)
	v_fma_f64 v[125:126], v[125:126], v[200:201], -v[141:142]
	v_mul_f64 v[133:134], v[5:6], v[165:166]
	v_fma_f64 v[127:128], v[127:128], v[200:201], v[137:138]
	v_add_f64 v[1:2], v[129:130], v[1:2]
	v_add_f64 v[3:4], v[131:132], v[3:4]
	s_waitcnt vmcnt(4)
	v_fma_f64 v[5:6], v[5:6], v[174:175], -v[139:140]
	v_fma_f64 v[7:8], v[7:8], v[174:175], v[133:134]
	v_add_f64 v[1:2], v[1:2], v[125:126]
	v_add_f64 v[3:4], v[3:4], v[127:128]
	;; [unrolled: 1-line block ×4, first 2 shown]
	s_waitcnt vmcnt(2)
	v_add_f64 v[1:2], v[135:136], -v[1:2]
	s_waitcnt vmcnt(0)
	v_add_f64 v[3:4], v[192:193], -v[3:4]
	buffer_store_dword v2, off, s[0:3], 0 offset:388
	buffer_store_dword v1, off, s[0:3], 0 offset:384
	buffer_store_dword v4, off, s[0:3], 0 offset:396
	buffer_store_dword v3, off, s[0:3], 0 offset:392
	v_cmpx_lt_u32_e32 22, v0
	s_cbranch_execz .LBB121_317
; %bb.316:
	v_mov_b32_e32 v4, s48
	v_mov_b32_e32 v5, 0
	s_clause 0x3
	buffer_load_dword v1, v4, s[0:3], 0 offen
	buffer_load_dword v2, v4, s[0:3], 0 offen offset:4
	buffer_load_dword v3, v4, s[0:3], 0 offen offset:8
	;; [unrolled: 1-line block ×3, first 2 shown]
	buffer_store_dword v5, off, s[0:3], 0 offset:368
	buffer_store_dword v5, off, s[0:3], 0 offset:372
	buffer_store_dword v5, off, s[0:3], 0 offset:376
	buffer_store_dword v5, off, s[0:3], 0 offset:380
	s_waitcnt vmcnt(0)
	ds_write_b128 v185, v[1:4]
.LBB121_317:
	s_or_b32 exec_lo, exec_lo, s4
	s_waitcnt lgkmcnt(0)
	s_waitcnt_vscnt null, 0x0
	s_barrier
	buffer_gl0_inv
	s_clause 0x37
	buffer_load_dword v125, off, s[0:3], 0 offset:392
	buffer_load_dword v126, off, s[0:3], 0 offset:396
	;; [unrolled: 1-line block ×56, first 2 shown]
	v_mov_b32_e32 v177, 0
	s_mov_b32 s4, exec_lo
	ds_read_b128 v[178:181], v177 offset:1296
	s_clause 0x2
	buffer_load_dword v174, off, s[0:3], 0 offset:620
	buffer_load_dword v176, off, s[0:3], 0 offset:596
	;; [unrolled: 1-line block ×3, first 2 shown]
	ds_read_b128 v[186:189], v177 offset:1312
	s_clause 0x4
	buffer_load_dword v195, off, s[0:3], 0 offset:636
	buffer_load_dword v196, off, s[0:3], 0 offset:648
	;; [unrolled: 1-line block ×5, first 2 shown]
	ds_read_b128 v[190:193], v177 offset:1328
	s_clause 0x2
	buffer_load_dword v197, off, s[0:3], 0 offset:652
	buffer_load_dword v202, off, s[0:3], 0 offset:628
	;; [unrolled: 1-line block ×3, first 2 shown]
	s_waitcnt vmcnt(62) lgkmcnt(2)
	v_mul_f64 v[182:183], v[180:181], v[125:126]
	v_mul_f64 v[125:126], v[178:179], v[125:126]
	s_waitcnt lgkmcnt(1)
	v_mul_f64 v[199:200], v[188:189], v[5:6]
	s_waitcnt vmcnt(59) lgkmcnt(0)
	v_mul_f64 v[203:204], v[192:193], v[3:4]
	v_fma_f64 v[178:179], v[178:179], v[7:8], -v[182:183]
	v_mul_f64 v[182:183], v[186:187], v[5:6]
	v_fma_f64 v[125:126], v[180:181], v[7:8], v[125:126]
	s_waitcnt vmcnt(57)
	v_fma_f64 v[186:187], v[186:187], v[1:2], -v[199:200]
	ds_read_b128 v[5:8], v177 offset:1344
	v_mul_f64 v[180:181], v[190:191], v[3:4]
	s_waitcnt vmcnt(51)
	v_fma_f64 v[190:191], v[190:191], v[141:142], -v[203:204]
	v_add_f64 v[178:179], v[178:179], 0
	v_fma_f64 v[182:183], v[188:189], v[1:2], v[182:183]
	v_add_f64 v[125:126], v[125:126], 0
	s_clause 0x4
	buffer_load_dword v189, off, s[0:3], 0 offset:668
	buffer_load_dword v205, off, s[0:3], 0 offset:680
	;; [unrolled: 1-line block ×5, first 2 shown]
	s_waitcnt lgkmcnt(0)
	v_mul_f64 v[208:209], v[5:6], v[129:130]
	v_mul_f64 v[129:130], v[7:8], v[129:130]
	ds_read_b128 v[1:4], v177 offset:1360
	v_fma_f64 v[141:142], v[192:193], v[141:142], v[180:181]
	v_add_f64 v[186:187], v[178:179], v[186:187]
	v_add_f64 v[125:126], v[125:126], v[182:183]
	s_clause 0x2
	buffer_load_dword v206, off, s[0:3], 0 offset:684
	buffer_load_dword v183, off, s[0:3], 0 offset:660
	;; [unrolled: 1-line block ×3, first 2 shown]
	s_waitcnt vmcnt(58) lgkmcnt(0)
	v_mul_f64 v[192:193], v[1:2], v[133:134]
	v_mul_f64 v[133:134], v[3:4], v[133:134]
	s_waitcnt vmcnt(56)
	v_fma_f64 v[129:130], v[5:6], v[135:136], -v[129:130]
	ds_read_b128 v[178:181], v177 offset:1376
	v_fma_f64 v[135:136], v[7:8], v[135:136], v[208:209]
	v_add_f64 v[186:187], v[186:187], v[190:191]
	v_add_f64 v[125:126], v[125:126], v[141:142]
	s_clause 0x4
	buffer_load_dword v142, off, s[0:3], 0 offset:700
	buffer_load_dword v190, off, s[0:3], 0 offset:712
	;; [unrolled: 1-line block ×5, first 2 shown]
	ds_read_b128 v[5:8], v177 offset:1392
	s_waitcnt vmcnt(57) lgkmcnt(1)
	v_mul_f64 v[209:210], v[178:179], v[137:138]
	v_mul_f64 v[137:138], v[180:181], v[137:138]
	s_waitcnt vmcnt(56)
	v_fma_f64 v[133:134], v[1:2], v[127:128], -v[133:134]
	v_fma_f64 v[127:128], v[3:4], v[127:128], v[192:193]
	v_add_f64 v[129:130], v[186:187], v[129:130]
	v_add_f64 v[125:126], v[125:126], v[135:136]
	s_clause 0x2
	buffer_load_dword v191, off, s[0:3], 0 offset:716
	buffer_load_dword v136, off, s[0:3], 0 offset:692
	;; [unrolled: 1-line block ×3, first 2 shown]
	s_waitcnt vmcnt(58) lgkmcnt(0)
	v_mul_f64 v[186:187], v[5:6], v[143:144]
	v_mul_f64 v[143:144], v[7:8], v[143:144]
	s_waitcnt vmcnt(56)
	v_fma_f64 v[137:138], v[178:179], v[145:146], -v[137:138]
	ds_read_b128 v[1:4], v177 offset:1408
	v_add_f64 v[129:130], v[129:130], v[133:134]
	v_fma_f64 v[133:134], v[180:181], v[145:146], v[209:210]
	v_add_f64 v[145:146], v[125:126], v[127:128]
	s_clause 0x4
	buffer_load_dword v179, off, s[0:3], 0 offset:732
	buffer_load_dword v180, off, s[0:3], 0 offset:744
	;; [unrolled: 1-line block ×5, first 2 shown]
	ds_read_b128 v[125:128], v177 offset:1424
	s_waitcnt vmcnt(57) lgkmcnt(1)
	v_mul_f64 v[209:210], v[1:2], v[147:148]
	v_mul_f64 v[147:148], v[3:4], v[147:148]
	s_waitcnt vmcnt(56)
	v_fma_f64 v[143:144], v[5:6], v[131:132], -v[143:144]
	v_fma_f64 v[131:132], v[7:8], v[131:132], v[186:187]
	v_add_f64 v[129:130], v[129:130], v[137:138]
	s_clause 0x2
	buffer_load_dword v181, off, s[0:3], 0 offset:748
	buffer_load_dword v138, off, s[0:3], 0 offset:724
	;; [unrolled: 1-line block ×3, first 2 shown]
	v_add_f64 v[133:134], v[145:146], v[133:134]
	s_waitcnt vmcnt(58) lgkmcnt(0)
	v_mul_f64 v[145:146], v[125:126], v[151:152]
	v_mul_f64 v[151:152], v[127:128], v[151:152]
	ds_read_b128 v[5:8], v177 offset:1440
	s_waitcnt vmcnt(56)
	v_fma_f64 v[147:148], v[1:2], v[153:154], -v[147:148]
	v_add_f64 v[129:130], v[129:130], v[143:144]
	v_fma_f64 v[143:144], v[3:4], v[153:154], v[209:210]
	v_add_f64 v[131:132], v[133:134], v[131:132]
	s_clause 0x4
	buffer_load_dword v134, off, s[0:3], 0 offset:764
	buffer_load_dword v153, off, s[0:3], 0 offset:776
	;; [unrolled: 1-line block ×5, first 2 shown]
	s_waitcnt vmcnt(57) lgkmcnt(0)
	v_mul_f64 v[209:210], v[5:6], v[155:156]
	v_mul_f64 v[155:156], v[7:8], v[155:156]
	s_waitcnt vmcnt(56)
	v_fma_f64 v[151:152], v[125:126], v[139:140], -v[151:152]
	ds_read_b128 v[1:4], v177 offset:1456
	v_fma_f64 v[139:140], v[127:128], v[139:140], v[145:146]
	v_add_f64 v[129:130], v[129:130], v[147:148]
	v_add_f64 v[131:132], v[131:132], v[143:144]
	s_clause 0x2
	buffer_load_dword v154, off, s[0:3], 0 offset:780
	buffer_load_dword v144, off, s[0:3], 0 offset:756
	buffer_load_dword v143, off, s[0:3], 0 offset:752
	ds_read_b128 v[125:128], v177 offset:1472
	s_waitcnt vmcnt(58) lgkmcnt(1)
	v_mul_f64 v[147:148], v[3:4], v[159:160]
	s_waitcnt vmcnt(56)
	v_fma_f64 v[155:156], v[5:6], v[161:162], -v[155:156]
	v_mul_f64 v[145:146], v[1:2], v[159:160]
	v_add_f64 v[129:130], v[129:130], v[151:152]
	v_fma_f64 v[151:152], v[7:8], v[161:162], v[209:210]
	v_add_f64 v[131:132], v[131:132], v[139:140]
	s_clause 0x4
	buffer_load_dword v140, off, s[0:3], 0 offset:796
	buffer_load_dword v159, off, s[0:3], 0 offset:808
	;; [unrolled: 1-line block ×5, first 2 shown]
	s_waitcnt vmcnt(57) lgkmcnt(0)
	v_mul_f64 v[209:210], v[125:126], v[163:164]
	v_mul_f64 v[162:163], v[127:128], v[163:164]
	s_waitcnt vmcnt(56)
	v_fma_f64 v[147:148], v[1:2], v[149:150], -v[147:148]
	ds_read_b128 v[5:8], v177 offset:1488
	v_fma_f64 v[145:146], v[3:4], v[149:150], v[145:146]
	s_clause 0x2
	buffer_load_dword v160, off, s[0:3], 0 offset:812
	buffer_load_dword v150, off, s[0:3], 0 offset:788
	;; [unrolled: 1-line block ×3, first 2 shown]
	ds_read_b128 v[1:4], v177 offset:1504
	v_add_f64 v[129:130], v[129:130], v[155:156]
	v_add_f64 v[131:132], v[131:132], v[151:152]
	s_waitcnt vmcnt(58) lgkmcnt(1)
	v_mul_f64 v[155:156], v[7:8], v[167:168]
	s_waitcnt vmcnt(56)
	v_fma_f64 v[163:164], v[125:126], v[169:170], -v[162:163]
	v_mul_f64 v[151:152], v[5:6], v[167:168]
	v_add_f64 v[129:130], v[129:130], v[147:148]
	v_fma_f64 v[147:148], v[127:128], v[169:170], v[209:210]
	v_add_f64 v[131:132], v[131:132], v[145:146]
	s_clause 0x4
	buffer_load_dword v146, off, s[0:3], 0 offset:828
	buffer_load_dword v167, off, s[0:3], 0 offset:840
	;; [unrolled: 1-line block ×5, first 2 shown]
	s_waitcnt vmcnt(57) lgkmcnt(0)
	v_mul_f64 v[209:210], v[1:2], v[171:172]
	v_mul_f64 v[170:171], v[3:4], v[171:172]
	s_waitcnt vmcnt(56)
	v_fma_f64 v[155:156], v[5:6], v[157:158], -v[155:156]
	ds_read_b128 v[125:128], v177 offset:1520
	v_fma_f64 v[151:152], v[7:8], v[157:158], v[151:152]
	v_add_f64 v[129:130], v[129:130], v[163:164]
	v_add_f64 v[131:132], v[131:132], v[147:148]
	s_clause 0x2
	buffer_load_dword v168, off, s[0:3], 0 offset:844
	buffer_load_dword v148, off, s[0:3], 0 offset:820
	;; [unrolled: 1-line block ×3, first 2 shown]
	ds_read_b128 v[5:8], v177 offset:1536
	s_waitcnt vmcnt(58) lgkmcnt(1)
	v_mul_f64 v[163:164], v[127:128], v[173:174]
	s_waitcnt vmcnt(56)
	v_fma_f64 v[171:172], v[1:2], v[175:176], -v[170:171]
	v_mul_f64 v[157:158], v[125:126], v[173:174]
	v_add_f64 v[129:130], v[129:130], v[155:156]
	v_fma_f64 v[155:156], v[3:4], v[175:176], v[209:210]
	v_add_f64 v[131:132], v[131:132], v[151:152]
	s_clause 0x4
	buffer_load_dword v152, off, s[0:3], 0 offset:860
	buffer_load_dword v173, off, s[0:3], 0 offset:872
	;; [unrolled: 1-line block ×5, first 2 shown]
	s_waitcnt vmcnt(57) lgkmcnt(0)
	v_mul_f64 v[209:210], v[5:6], v[194:195]
	v_mul_f64 v[194:195], v[7:8], v[194:195]
	s_waitcnt vmcnt(56)
	v_fma_f64 v[163:164], v[125:126], v[165:166], -v[163:164]
	ds_read_b128 v[1:4], v177 offset:1552
	v_fma_f64 v[157:158], v[127:128], v[165:166], v[157:158]
	v_add_f64 v[129:130], v[129:130], v[171:172]
	v_add_f64 v[131:132], v[131:132], v[155:156]
	s_clause 0x2
	buffer_load_dword v174, off, s[0:3], 0 offset:876
	buffer_load_dword v156, off, s[0:3], 0 offset:852
	;; [unrolled: 1-line block ×3, first 2 shown]
	ds_read_b128 v[125:128], v177 offset:1568
	s_waitcnt vmcnt(58) lgkmcnt(1)
	v_mul_f64 v[171:172], v[3:4], v[196:197]
	s_waitcnt vmcnt(56)
	v_fma_f64 v[194:195], v[5:6], v[201:202], -v[194:195]
	v_mul_f64 v[165:166], v[1:2], v[196:197]
	v_add_f64 v[129:130], v[129:130], v[163:164]
	v_fma_f64 v[163:164], v[7:8], v[201:202], v[209:210]
	v_add_f64 v[131:132], v[131:132], v[157:158]
	s_clause 0x4
	buffer_load_dword v158, off, s[0:3], 0 offset:892
	buffer_load_dword v196, off, s[0:3], 0 offset:904
	buffer_load_dword v200, off, s[0:3], 0 offset:896
	buffer_load_dword v157, off, s[0:3], 0 offset:888
	buffer_load_dword v176, off, s[0:3], 0 offset:868
	ds_read_b128 v[5:8], v177 offset:1584
	s_waitcnt vmcnt(57) lgkmcnt(1)
	v_mul_f64 v[201:202], v[125:126], v[188:189]
	v_mul_f64 v[188:189], v[127:128], v[188:189]
	s_waitcnt vmcnt(56)
	v_fma_f64 v[171:172], v[1:2], v[198:199], -v[171:172]
	v_fma_f64 v[165:166], v[3:4], v[198:199], v[165:166]
	v_add_f64 v[129:130], v[129:130], v[194:195]
	v_add_f64 v[131:132], v[131:132], v[163:164]
	s_clause 0x2
	buffer_load_dword v197, off, s[0:3], 0 offset:908
	buffer_load_dword v164, off, s[0:3], 0 offset:884
	;; [unrolled: 1-line block ×3, first 2 shown]
	ds_read_b128 v[1:4], v177 offset:1600
	s_waitcnt vmcnt(58) lgkmcnt(1)
	v_mul_f64 v[198:199], v[7:8], v[205:206]
	v_mul_f64 v[194:195], v[5:6], v[205:206]
	s_waitcnt vmcnt(56)
	v_fma_f64 v[188:189], v[125:126], v[182:183], -v[188:189]
	v_add_f64 v[129:130], v[129:130], v[171:172]
	v_fma_f64 v[171:172], v[127:128], v[182:183], v[201:202]
	v_add_f64 v[131:132], v[131:132], v[165:166]
	s_clause 0x4
	buffer_load_dword v166, off, s[0:3], 0 offset:924
	buffer_load_dword v182, off, s[0:3], 0 offset:936
	;; [unrolled: 1-line block ×5, first 2 shown]
	ds_read_b128 v[125:128], v177 offset:1616
	s_waitcnt vmcnt(57) lgkmcnt(1)
	v_mul_f64 v[209:210], v[1:2], v[141:142]
	v_mul_f64 v[141:142], v[3:4], v[141:142]
	s_waitcnt vmcnt(56)
	v_fma_f64 v[198:199], v[5:6], v[207:208], -v[198:199]
	v_add_f64 v[129:130], v[129:130], v[188:189]
	v_fma_f64 v[188:189], v[7:8], v[207:208], v[194:195]
	v_add_f64 v[131:132], v[131:132], v[171:172]
	s_clause 0x2
	buffer_load_dword v183, off, s[0:3], 0 offset:940
	buffer_load_dword v172, off, s[0:3], 0 offset:916
	;; [unrolled: 1-line block ×3, first 2 shown]
	ds_read_b128 v[5:8], v177 offset:1632
	buffer_load_dword v206, off, s[0:3], 0 offset:932
	s_waitcnt vmcnt(59) lgkmcnt(1)
	v_mul_f64 v[194:195], v[125:126], v[190:191]
	v_mul_f64 v[190:191], v[127:128], v[190:191]
	s_waitcnt vmcnt(57)
	v_fma_f64 v[141:142], v[1:2], v[135:136], -v[141:142]
	v_fma_f64 v[135:136], v[3:4], v[135:136], v[209:210]
	ds_read_b128 v[1:4], v177 offset:1648
	v_add_f64 v[129:130], v[129:130], v[198:199]
	v_add_f64 v[131:132], v[131:132], v[188:189]
	s_waitcnt vmcnt(53) lgkmcnt(1)
	v_mul_f64 v[188:189], v[5:6], v[178:179]
	v_mul_f64 v[178:179], v[7:8], v[178:179]
	s_waitcnt vmcnt(52)
	v_fma_f64 v[190:191], v[125:126], v[203:204], -v[190:191]
	v_add_f64 v[129:130], v[129:130], v[141:142]
	v_fma_f64 v[141:142], v[127:128], v[203:204], v[194:195]
	v_add_f64 v[131:132], v[131:132], v[135:136]
	ds_read_b128 v[125:128], v177 offset:1664
	s_waitcnt vmcnt(51) lgkmcnt(1)
	v_mul_f64 v[135:136], v[1:2], v[180:181]
	v_mul_f64 v[180:181], v[3:4], v[180:181]
	s_waitcnt vmcnt(49)
	v_fma_f64 v[178:179], v[5:6], v[137:138], -v[178:179]
	v_fma_f64 v[137:138], v[7:8], v[137:138], v[188:189]
	v_add_f64 v[129:130], v[129:130], v[190:191]
	v_add_f64 v[131:132], v[131:132], v[141:142]
	s_clause 0x3
	buffer_load_dword v141, off, s[0:3], 0 offset:368
	buffer_load_dword v142, off, s[0:3], 0 offset:372
	;; [unrolled: 1-line block ×4, first 2 shown]
	ds_read_b128 v[5:8], v177 offset:1680
	s_waitcnt vmcnt(49) lgkmcnt(1)
	v_mul_f64 v[190:191], v[125:126], v[133:134]
	v_mul_f64 v[133:134], v[127:128], v[133:134]
	s_waitcnt vmcnt(48)
	v_fma_f64 v[180:181], v[1:2], v[192:193], -v[180:181]
	v_fma_f64 v[135:136], v[3:4], v[192:193], v[135:136]
	ds_read_b128 v[1:4], v177 offset:1696
	v_add_f64 v[129:130], v[129:130], v[178:179]
	v_add_f64 v[131:132], v[131:132], v[137:138]
	s_waitcnt vmcnt(47) lgkmcnt(1)
	v_mul_f64 v[137:138], v[5:6], v[153:154]
	v_mul_f64 v[153:154], v[7:8], v[153:154]
	s_waitcnt vmcnt(45)
	v_fma_f64 v[133:134], v[125:126], v[143:144], -v[133:134]
	v_fma_f64 v[143:144], v[127:128], v[143:144], v[190:191]
	ds_read_b128 v[125:128], v177 offset:1712
	v_add_f64 v[129:130], v[129:130], v[180:181]
	v_add_f64 v[131:132], v[131:132], v[135:136]
	s_waitcnt vmcnt(41) lgkmcnt(1)
	v_mul_f64 v[135:136], v[1:2], v[139:140]
	v_mul_f64 v[139:140], v[3:4], v[139:140]
	s_waitcnt vmcnt(40)
	v_fma_f64 v[153:154], v[5:6], v[186:187], -v[153:154]
	v_add_f64 v[129:130], v[129:130], v[133:134]
	v_fma_f64 v[133:134], v[7:8], v[186:187], v[137:138]
	v_add_f64 v[131:132], v[131:132], v[143:144]
	ds_read_b128 v[5:8], v177 offset:1728
	s_waitcnt vmcnt(39) lgkmcnt(1)
	v_mul_f64 v[143:144], v[127:128], v[159:160]
	v_mul_f64 v[137:138], v[125:126], v[159:160]
	s_waitcnt vmcnt(37)
	v_fma_f64 v[135:136], v[3:4], v[149:150], v[135:136]
	v_fma_f64 v[139:140], v[1:2], v[149:150], -v[139:140]
	ds_read_b128 v[1:4], v177 offset:1744
	v_add_f64 v[129:130], v[129:130], v[153:154]
	v_add_f64 v[131:132], v[131:132], v[133:134]
	s_waitcnt vmcnt(33) lgkmcnt(1)
	v_mul_f64 v[133:134], v[5:6], v[145:146]
	v_mul_f64 v[145:146], v[7:8], v[145:146]
	s_waitcnt vmcnt(32)
	v_fma_f64 v[143:144], v[125:126], v[161:162], -v[143:144]
	v_fma_f64 v[137:138], v[127:128], v[161:162], v[137:138]
	ds_read_b128 v[125:128], v177 offset:1760
	v_add_f64 v[129:130], v[129:130], v[139:140]
	v_add_f64 v[131:132], v[131:132], v[135:136]
	s_waitcnt vmcnt(31) lgkmcnt(1)
	v_mul_f64 v[139:140], v[3:4], v[167:168]
	v_mul_f64 v[135:136], v[1:2], v[167:168]
	s_waitcnt vmcnt(29)
	v_fma_f64 v[145:146], v[5:6], v[147:148], -v[145:146]
	v_fma_f64 v[133:134], v[7:8], v[147:148], v[133:134]
	ds_read_b128 v[5:8], v177 offset:1776
	v_add_f64 v[129:130], v[129:130], v[143:144]
	v_add_f64 v[131:132], v[131:132], v[137:138]
	s_waitcnt vmcnt(25) lgkmcnt(1)
	v_mul_f64 v[143:144], v[127:128], v[151:152]
	s_waitcnt vmcnt(24)
	v_fma_f64 v[139:140], v[1:2], v[169:170], -v[139:140]
	v_mul_f64 v[137:138], v[125:126], v[151:152]
	v_fma_f64 v[135:136], v[3:4], v[169:170], v[135:136]
	ds_read_b128 v[1:4], v177 offset:1792
	v_add_f64 v[129:130], v[129:130], v[145:146]
	v_add_f64 v[131:132], v[131:132], v[133:134]
	s_waitcnt vmcnt(23) lgkmcnt(1)
	v_mul_f64 v[145:146], v[7:8], v[173:174]
	v_mul_f64 v[133:134], v[5:6], v[173:174]
	s_waitcnt vmcnt(21)
	v_fma_f64 v[143:144], v[125:126], v[155:156], -v[143:144]
	v_fma_f64 v[137:138], v[127:128], v[155:156], v[137:138]
	ds_read_b128 v[125:128], v177 offset:1808
	v_add_f64 v[129:130], v[129:130], v[139:140]
	v_add_f64 v[131:132], v[131:132], v[135:136]
	s_waitcnt vmcnt(17) lgkmcnt(1)
	v_mul_f64 v[139:140], v[3:4], v[157:158]
	s_waitcnt vmcnt(16)
	v_fma_f64 v[145:146], v[5:6], v[175:176], -v[145:146]
	v_mul_f64 v[135:136], v[1:2], v[157:158]
	;; [unrolled: 18-line block ×3, first 2 shown]
	v_fma_f64 v[127:128], v[127:128], v[200:201], v[137:138]
	v_add_f64 v[129:130], v[129:130], v[139:140]
	v_add_f64 v[131:132], v[131:132], v[135:136]
	s_waitcnt vmcnt(7) lgkmcnt(0)
	v_mul_f64 v[137:138], v[3:4], v[182:183]
	v_mul_f64 v[135:136], v[1:2], v[182:183]
	s_waitcnt vmcnt(5)
	v_fma_f64 v[5:6], v[5:6], v[171:172], -v[145:146]
	v_fma_f64 v[7:8], v[7:8], v[171:172], v[133:134]
	v_add_f64 v[125:126], v[129:130], v[125:126]
	v_add_f64 v[127:128], v[131:132], v[127:128]
	s_waitcnt vmcnt(4)
	v_fma_f64 v[1:2], v[1:2], v[205:206], -v[137:138]
	v_fma_f64 v[3:4], v[3:4], v[205:206], v[135:136]
	v_add_f64 v[5:6], v[125:126], v[5:6]
	v_add_f64 v[7:8], v[127:128], v[7:8]
	v_add_f64 v[1:2], v[5:6], v[1:2]
	v_add_f64 v[3:4], v[7:8], v[3:4]
	s_waitcnt vmcnt(2)
	v_add_f64 v[1:2], v[141:142], -v[1:2]
	s_waitcnt vmcnt(0)
	v_add_f64 v[3:4], v[188:189], -v[3:4]
	buffer_store_dword v2, off, s[0:3], 0 offset:372
	buffer_store_dword v1, off, s[0:3], 0 offset:368
	;; [unrolled: 1-line block ×4, first 2 shown]
	v_cmpx_lt_u32_e32 21, v0
	s_cbranch_execz .LBB121_319
; %bb.318:
	v_mov_b32_e32 v4, s49
	s_clause 0x3
	buffer_load_dword v1, v4, s[0:3], 0 offen
	buffer_load_dword v2, v4, s[0:3], 0 offen offset:4
	buffer_load_dword v3, v4, s[0:3], 0 offen offset:8
	;; [unrolled: 1-line block ×3, first 2 shown]
	buffer_store_dword v177, off, s[0:3], 0 offset:352
	buffer_store_dword v177, off, s[0:3], 0 offset:356
	;; [unrolled: 1-line block ×4, first 2 shown]
	s_waitcnt vmcnt(0)
	ds_write_b128 v185, v[1:4]
.LBB121_319:
	s_or_b32 exec_lo, exec_lo, s4
	s_waitcnt lgkmcnt(0)
	s_waitcnt_vscnt null, 0x0
	s_barrier
	buffer_gl0_inv
	s_clause 0x37
	buffer_load_dword v125, off, s[0:3], 0 offset:376
	buffer_load_dword v126, off, s[0:3], 0 offset:380
	;; [unrolled: 1-line block ×56, first 2 shown]
	ds_read_b128 v[178:181], v177 offset:1280
	s_clause 0x2
	buffer_load_dword v174, off, s[0:3], 0 offset:604
	buffer_load_dword v176, off, s[0:3], 0 offset:580
	;; [unrolled: 1-line block ×3, first 2 shown]
	ds_read_b128 v[186:189], v177 offset:1296
	s_clause 0x4
	buffer_load_dword v195, off, s[0:3], 0 offset:620
	buffer_load_dword v196, off, s[0:3], 0 offset:632
	;; [unrolled: 1-line block ×5, first 2 shown]
	ds_read_b128 v[190:193], v177 offset:1312
	s_clause 0x2
	buffer_load_dword v197, off, s[0:3], 0 offset:636
	buffer_load_dword v202, off, s[0:3], 0 offset:612
	;; [unrolled: 1-line block ×3, first 2 shown]
	s_mov_b32 s4, exec_lo
	s_waitcnt vmcnt(62) lgkmcnt(2)
	v_mul_f64 v[182:183], v[180:181], v[125:126]
	v_mul_f64 v[125:126], v[178:179], v[125:126]
	s_waitcnt lgkmcnt(1)
	v_mul_f64 v[199:200], v[188:189], v[5:6]
	s_waitcnt vmcnt(59) lgkmcnt(0)
	v_mul_f64 v[203:204], v[192:193], v[3:4]
	v_fma_f64 v[178:179], v[178:179], v[7:8], -v[182:183]
	v_mul_f64 v[182:183], v[186:187], v[5:6]
	v_fma_f64 v[125:126], v[180:181], v[7:8], v[125:126]
	s_waitcnt vmcnt(57)
	v_fma_f64 v[186:187], v[186:187], v[1:2], -v[199:200]
	ds_read_b128 v[5:8], v177 offset:1328
	v_mul_f64 v[180:181], v[190:191], v[3:4]
	s_waitcnt vmcnt(51)
	v_fma_f64 v[190:191], v[190:191], v[141:142], -v[203:204]
	v_add_f64 v[178:179], v[178:179], 0
	v_fma_f64 v[182:183], v[188:189], v[1:2], v[182:183]
	v_add_f64 v[125:126], v[125:126], 0
	s_clause 0x4
	buffer_load_dword v189, off, s[0:3], 0 offset:652
	buffer_load_dword v205, off, s[0:3], 0 offset:664
	;; [unrolled: 1-line block ×5, first 2 shown]
	s_waitcnt lgkmcnt(0)
	v_mul_f64 v[208:209], v[5:6], v[129:130]
	v_mul_f64 v[129:130], v[7:8], v[129:130]
	ds_read_b128 v[1:4], v177 offset:1344
	v_fma_f64 v[141:142], v[192:193], v[141:142], v[180:181]
	v_add_f64 v[186:187], v[178:179], v[186:187]
	v_add_f64 v[125:126], v[125:126], v[182:183]
	s_clause 0x2
	buffer_load_dword v206, off, s[0:3], 0 offset:668
	buffer_load_dword v183, off, s[0:3], 0 offset:644
	;; [unrolled: 1-line block ×3, first 2 shown]
	s_waitcnt vmcnt(58) lgkmcnt(0)
	v_mul_f64 v[192:193], v[1:2], v[133:134]
	v_mul_f64 v[133:134], v[3:4], v[133:134]
	s_waitcnt vmcnt(56)
	v_fma_f64 v[129:130], v[5:6], v[135:136], -v[129:130]
	ds_read_b128 v[178:181], v177 offset:1360
	v_fma_f64 v[135:136], v[7:8], v[135:136], v[208:209]
	v_add_f64 v[186:187], v[186:187], v[190:191]
	v_add_f64 v[125:126], v[125:126], v[141:142]
	s_clause 0x4
	buffer_load_dword v142, off, s[0:3], 0 offset:684
	buffer_load_dword v190, off, s[0:3], 0 offset:696
	;; [unrolled: 1-line block ×5, first 2 shown]
	ds_read_b128 v[5:8], v177 offset:1376
	s_waitcnt vmcnt(57) lgkmcnt(1)
	v_mul_f64 v[209:210], v[178:179], v[137:138]
	v_mul_f64 v[137:138], v[180:181], v[137:138]
	s_waitcnt vmcnt(56)
	v_fma_f64 v[133:134], v[1:2], v[127:128], -v[133:134]
	v_fma_f64 v[127:128], v[3:4], v[127:128], v[192:193]
	v_add_f64 v[129:130], v[186:187], v[129:130]
	v_add_f64 v[125:126], v[125:126], v[135:136]
	s_clause 0x2
	buffer_load_dword v191, off, s[0:3], 0 offset:700
	buffer_load_dword v136, off, s[0:3], 0 offset:676
	buffer_load_dword v135, off, s[0:3], 0 offset:672
	s_waitcnt vmcnt(58) lgkmcnt(0)
	v_mul_f64 v[186:187], v[5:6], v[143:144]
	v_mul_f64 v[143:144], v[7:8], v[143:144]
	s_waitcnt vmcnt(56)
	v_fma_f64 v[137:138], v[178:179], v[145:146], -v[137:138]
	ds_read_b128 v[1:4], v177 offset:1392
	v_add_f64 v[129:130], v[129:130], v[133:134]
	v_fma_f64 v[133:134], v[180:181], v[145:146], v[209:210]
	v_add_f64 v[145:146], v[125:126], v[127:128]
	s_clause 0x4
	buffer_load_dword v179, off, s[0:3], 0 offset:716
	buffer_load_dword v180, off, s[0:3], 0 offset:728
	;; [unrolled: 1-line block ×5, first 2 shown]
	ds_read_b128 v[125:128], v177 offset:1408
	s_waitcnt vmcnt(57) lgkmcnt(1)
	v_mul_f64 v[209:210], v[1:2], v[147:148]
	v_mul_f64 v[147:148], v[3:4], v[147:148]
	s_waitcnt vmcnt(56)
	v_fma_f64 v[143:144], v[5:6], v[131:132], -v[143:144]
	v_fma_f64 v[131:132], v[7:8], v[131:132], v[186:187]
	v_add_f64 v[129:130], v[129:130], v[137:138]
	s_clause 0x2
	buffer_load_dword v181, off, s[0:3], 0 offset:732
	buffer_load_dword v138, off, s[0:3], 0 offset:708
	;; [unrolled: 1-line block ×3, first 2 shown]
	v_add_f64 v[133:134], v[145:146], v[133:134]
	s_waitcnt vmcnt(58) lgkmcnt(0)
	v_mul_f64 v[145:146], v[125:126], v[151:152]
	v_mul_f64 v[151:152], v[127:128], v[151:152]
	ds_read_b128 v[5:8], v177 offset:1424
	s_waitcnt vmcnt(56)
	v_fma_f64 v[147:148], v[1:2], v[153:154], -v[147:148]
	v_add_f64 v[129:130], v[129:130], v[143:144]
	v_fma_f64 v[143:144], v[3:4], v[153:154], v[209:210]
	v_add_f64 v[131:132], v[133:134], v[131:132]
	s_clause 0x4
	buffer_load_dword v134, off, s[0:3], 0 offset:748
	buffer_load_dword v153, off, s[0:3], 0 offset:760
	;; [unrolled: 1-line block ×5, first 2 shown]
	s_waitcnt vmcnt(57) lgkmcnt(0)
	v_mul_f64 v[209:210], v[5:6], v[155:156]
	v_mul_f64 v[155:156], v[7:8], v[155:156]
	s_waitcnt vmcnt(56)
	v_fma_f64 v[151:152], v[125:126], v[139:140], -v[151:152]
	ds_read_b128 v[1:4], v177 offset:1440
	v_fma_f64 v[139:140], v[127:128], v[139:140], v[145:146]
	v_add_f64 v[129:130], v[129:130], v[147:148]
	v_add_f64 v[131:132], v[131:132], v[143:144]
	s_clause 0x2
	buffer_load_dword v154, off, s[0:3], 0 offset:764
	buffer_load_dword v144, off, s[0:3], 0 offset:740
	;; [unrolled: 1-line block ×3, first 2 shown]
	ds_read_b128 v[125:128], v177 offset:1456
	s_waitcnt vmcnt(58) lgkmcnt(1)
	v_mul_f64 v[147:148], v[3:4], v[159:160]
	s_waitcnt vmcnt(56)
	v_fma_f64 v[155:156], v[5:6], v[161:162], -v[155:156]
	v_mul_f64 v[145:146], v[1:2], v[159:160]
	v_add_f64 v[129:130], v[129:130], v[151:152]
	v_fma_f64 v[151:152], v[7:8], v[161:162], v[209:210]
	v_add_f64 v[131:132], v[131:132], v[139:140]
	s_clause 0x4
	buffer_load_dword v140, off, s[0:3], 0 offset:780
	buffer_load_dword v159, off, s[0:3], 0 offset:792
	;; [unrolled: 1-line block ×5, first 2 shown]
	s_waitcnt vmcnt(57) lgkmcnt(0)
	v_mul_f64 v[209:210], v[125:126], v[163:164]
	v_mul_f64 v[162:163], v[127:128], v[163:164]
	s_waitcnt vmcnt(56)
	v_fma_f64 v[147:148], v[1:2], v[149:150], -v[147:148]
	ds_read_b128 v[5:8], v177 offset:1472
	v_fma_f64 v[145:146], v[3:4], v[149:150], v[145:146]
	s_clause 0x2
	buffer_load_dword v160, off, s[0:3], 0 offset:796
	buffer_load_dword v150, off, s[0:3], 0 offset:772
	;; [unrolled: 1-line block ×3, first 2 shown]
	ds_read_b128 v[1:4], v177 offset:1488
	v_add_f64 v[129:130], v[129:130], v[155:156]
	v_add_f64 v[131:132], v[131:132], v[151:152]
	s_waitcnt vmcnt(58) lgkmcnt(1)
	v_mul_f64 v[155:156], v[7:8], v[167:168]
	s_waitcnt vmcnt(56)
	v_fma_f64 v[163:164], v[125:126], v[169:170], -v[162:163]
	v_mul_f64 v[151:152], v[5:6], v[167:168]
	v_add_f64 v[129:130], v[129:130], v[147:148]
	v_fma_f64 v[147:148], v[127:128], v[169:170], v[209:210]
	v_add_f64 v[131:132], v[131:132], v[145:146]
	s_clause 0x4
	buffer_load_dword v146, off, s[0:3], 0 offset:812
	buffer_load_dword v167, off, s[0:3], 0 offset:824
	buffer_load_dword v169, off, s[0:3], 0 offset:816
	buffer_load_dword v145, off, s[0:3], 0 offset:808
	buffer_load_dword v162, off, s[0:3], 0 offset:788
	s_waitcnt vmcnt(57) lgkmcnt(0)
	v_mul_f64 v[209:210], v[1:2], v[171:172]
	v_mul_f64 v[170:171], v[3:4], v[171:172]
	s_waitcnt vmcnt(56)
	v_fma_f64 v[155:156], v[5:6], v[157:158], -v[155:156]
	ds_read_b128 v[125:128], v177 offset:1504
	v_fma_f64 v[151:152], v[7:8], v[157:158], v[151:152]
	v_add_f64 v[129:130], v[129:130], v[163:164]
	v_add_f64 v[131:132], v[131:132], v[147:148]
	s_clause 0x2
	buffer_load_dword v168, off, s[0:3], 0 offset:828
	buffer_load_dword v148, off, s[0:3], 0 offset:804
	;; [unrolled: 1-line block ×3, first 2 shown]
	ds_read_b128 v[5:8], v177 offset:1520
	s_waitcnt vmcnt(58) lgkmcnt(1)
	v_mul_f64 v[163:164], v[127:128], v[173:174]
	s_waitcnt vmcnt(56)
	v_fma_f64 v[171:172], v[1:2], v[175:176], -v[170:171]
	v_mul_f64 v[157:158], v[125:126], v[173:174]
	v_add_f64 v[129:130], v[129:130], v[155:156]
	v_fma_f64 v[155:156], v[3:4], v[175:176], v[209:210]
	v_add_f64 v[131:132], v[131:132], v[151:152]
	s_clause 0x4
	buffer_load_dword v152, off, s[0:3], 0 offset:844
	buffer_load_dword v173, off, s[0:3], 0 offset:856
	;; [unrolled: 1-line block ×5, first 2 shown]
	s_waitcnt vmcnt(57) lgkmcnt(0)
	v_mul_f64 v[209:210], v[5:6], v[194:195]
	v_mul_f64 v[194:195], v[7:8], v[194:195]
	s_waitcnt vmcnt(56)
	v_fma_f64 v[163:164], v[125:126], v[165:166], -v[163:164]
	ds_read_b128 v[1:4], v177 offset:1536
	v_fma_f64 v[157:158], v[127:128], v[165:166], v[157:158]
	v_add_f64 v[129:130], v[129:130], v[171:172]
	v_add_f64 v[131:132], v[131:132], v[155:156]
	s_clause 0x2
	buffer_load_dword v174, off, s[0:3], 0 offset:860
	buffer_load_dword v156, off, s[0:3], 0 offset:836
	;; [unrolled: 1-line block ×3, first 2 shown]
	ds_read_b128 v[125:128], v177 offset:1552
	s_waitcnt vmcnt(58) lgkmcnt(1)
	v_mul_f64 v[171:172], v[3:4], v[196:197]
	s_waitcnt vmcnt(56)
	v_fma_f64 v[194:195], v[5:6], v[201:202], -v[194:195]
	v_mul_f64 v[165:166], v[1:2], v[196:197]
	v_add_f64 v[129:130], v[129:130], v[163:164]
	v_fma_f64 v[163:164], v[7:8], v[201:202], v[209:210]
	v_add_f64 v[131:132], v[131:132], v[157:158]
	s_clause 0x4
	buffer_load_dword v158, off, s[0:3], 0 offset:876
	buffer_load_dword v196, off, s[0:3], 0 offset:888
	;; [unrolled: 1-line block ×5, first 2 shown]
	ds_read_b128 v[5:8], v177 offset:1568
	s_waitcnt vmcnt(57) lgkmcnt(1)
	v_mul_f64 v[201:202], v[125:126], v[188:189]
	v_mul_f64 v[188:189], v[127:128], v[188:189]
	s_waitcnt vmcnt(56)
	v_fma_f64 v[171:172], v[1:2], v[198:199], -v[171:172]
	v_fma_f64 v[165:166], v[3:4], v[198:199], v[165:166]
	v_add_f64 v[129:130], v[129:130], v[194:195]
	v_add_f64 v[131:132], v[131:132], v[163:164]
	s_clause 0x2
	buffer_load_dword v197, off, s[0:3], 0 offset:892
	buffer_load_dword v164, off, s[0:3], 0 offset:868
	;; [unrolled: 1-line block ×3, first 2 shown]
	ds_read_b128 v[1:4], v177 offset:1584
	s_waitcnt vmcnt(58) lgkmcnt(1)
	v_mul_f64 v[198:199], v[7:8], v[205:206]
	v_mul_f64 v[194:195], v[5:6], v[205:206]
	s_waitcnt vmcnt(56)
	v_fma_f64 v[188:189], v[125:126], v[182:183], -v[188:189]
	v_add_f64 v[129:130], v[129:130], v[171:172]
	v_fma_f64 v[171:172], v[127:128], v[182:183], v[201:202]
	v_add_f64 v[131:132], v[131:132], v[165:166]
	s_clause 0x4
	buffer_load_dword v166, off, s[0:3], 0 offset:908
	buffer_load_dword v182, off, s[0:3], 0 offset:920
	;; [unrolled: 1-line block ×5, first 2 shown]
	ds_read_b128 v[125:128], v177 offset:1600
	s_waitcnt vmcnt(57) lgkmcnt(1)
	v_mul_f64 v[209:210], v[1:2], v[141:142]
	v_mul_f64 v[141:142], v[3:4], v[141:142]
	s_waitcnt vmcnt(56)
	v_fma_f64 v[198:199], v[5:6], v[207:208], -v[198:199]
	v_add_f64 v[129:130], v[129:130], v[188:189]
	v_fma_f64 v[188:189], v[7:8], v[207:208], v[194:195]
	v_add_f64 v[131:132], v[131:132], v[171:172]
	s_clause 0x2
	buffer_load_dword v183, off, s[0:3], 0 offset:924
	buffer_load_dword v172, off, s[0:3], 0 offset:900
	;; [unrolled: 1-line block ×3, first 2 shown]
	ds_read_b128 v[5:8], v177 offset:1616
	s_waitcnt vmcnt(58) lgkmcnt(1)
	v_mul_f64 v[194:195], v[125:126], v[190:191]
	v_mul_f64 v[190:191], v[127:128], v[190:191]
	s_waitcnt vmcnt(56)
	v_fma_f64 v[141:142], v[1:2], v[135:136], -v[141:142]
	v_fma_f64 v[135:136], v[3:4], v[135:136], v[209:210]
	v_add_f64 v[129:130], v[129:130], v[198:199]
	v_add_f64 v[131:132], v[131:132], v[188:189]
	s_clause 0x2
	buffer_load_dword v189, off, s[0:3], 0 offset:940
	buffer_load_dword v188, off, s[0:3], 0 offset:936
	;; [unrolled: 1-line block ×3, first 2 shown]
	ds_read_b128 v[1:4], v177 offset:1632
	s_waitcnt vmcnt(55) lgkmcnt(1)
	v_mul_f64 v[198:199], v[5:6], v[178:179]
	v_mul_f64 v[178:179], v[7:8], v[178:179]
	s_waitcnt vmcnt(54)
	v_fma_f64 v[190:191], v[125:126], v[203:204], -v[190:191]
	v_add_f64 v[129:130], v[129:130], v[141:142]
	v_fma_f64 v[141:142], v[127:128], v[203:204], v[194:195]
	v_add_f64 v[131:132], v[131:132], v[135:136]
	s_clause 0x1
	buffer_load_dword v136, off, s[0:3], 0 offset:932
	buffer_load_dword v135, off, s[0:3], 0 offset:928
	ds_read_b128 v[125:128], v177 offset:1648
	s_waitcnt vmcnt(55) lgkmcnt(1)
	v_mul_f64 v[194:195], v[1:2], v[180:181]
	v_mul_f64 v[180:181], v[3:4], v[180:181]
	s_waitcnt vmcnt(53)
	v_fma_f64 v[178:179], v[5:6], v[137:138], -v[178:179]
	v_fma_f64 v[137:138], v[7:8], v[137:138], v[198:199]
	ds_read_b128 v[5:8], v177 offset:1664
	v_add_f64 v[129:130], v[129:130], v[190:191]
	v_add_f64 v[131:132], v[131:132], v[141:142]
	s_waitcnt vmcnt(49) lgkmcnt(1)
	v_mul_f64 v[141:142], v[125:126], v[133:134]
	v_mul_f64 v[133:134], v[127:128], v[133:134]
	s_waitcnt vmcnt(48)
	v_fma_f64 v[180:181], v[1:2], v[192:193], -v[180:181]
	v_add_f64 v[129:130], v[129:130], v[178:179]
	v_fma_f64 v[178:179], v[3:4], v[192:193], v[194:195]
	v_add_f64 v[131:132], v[131:132], v[137:138]
	s_clause 0x3
	buffer_load_dword v137, off, s[0:3], 0 offset:352
	buffer_load_dword v138, off, s[0:3], 0 offset:356
	;; [unrolled: 1-line block ×4, first 2 shown]
	ds_read_b128 v[1:4], v177 offset:1680
	s_waitcnt vmcnt(51) lgkmcnt(1)
	v_mul_f64 v[192:193], v[5:6], v[153:154]
	v_mul_f64 v[153:154], v[7:8], v[153:154]
	s_waitcnt vmcnt(49)
	v_fma_f64 v[133:134], v[125:126], v[143:144], -v[133:134]
	v_fma_f64 v[141:142], v[127:128], v[143:144], v[141:142]
	ds_read_b128 v[125:128], v177 offset:1696
	v_add_f64 v[129:130], v[129:130], v[180:181]
	v_add_f64 v[131:132], v[131:132], v[178:179]
	s_waitcnt vmcnt(45) lgkmcnt(1)
	v_mul_f64 v[143:144], v[1:2], v[139:140]
	v_mul_f64 v[139:140], v[3:4], v[139:140]
	s_waitcnt vmcnt(44)
	v_fma_f64 v[153:154], v[5:6], v[186:187], -v[153:154]
	v_add_f64 v[129:130], v[129:130], v[133:134]
	v_fma_f64 v[133:134], v[7:8], v[186:187], v[192:193]
	v_add_f64 v[131:132], v[131:132], v[141:142]
	s_waitcnt vmcnt(43) lgkmcnt(0)
	v_mul_f64 v[141:142], v[125:126], v[159:160]
	v_mul_f64 v[159:160], v[127:128], v[159:160]
	ds_read_b128 v[5:8], v177 offset:1712
	s_waitcnt vmcnt(41)
	v_fma_f64 v[143:144], v[3:4], v[149:150], v[143:144]
	v_fma_f64 v[139:140], v[1:2], v[149:150], -v[139:140]
	ds_read_b128 v[1:4], v177 offset:1728
	v_add_f64 v[129:130], v[129:130], v[153:154]
	v_add_f64 v[131:132], v[131:132], v[133:134]
	s_waitcnt vmcnt(37) lgkmcnt(1)
	v_mul_f64 v[133:134], v[5:6], v[145:146]
	v_mul_f64 v[145:146], v[7:8], v[145:146]
	s_waitcnt vmcnt(36)
	v_fma_f64 v[149:150], v[125:126], v[161:162], -v[159:160]
	v_add_f64 v[129:130], v[129:130], v[139:140]
	v_fma_f64 v[139:140], v[127:128], v[161:162], v[141:142]
	v_add_f64 v[131:132], v[131:132], v[143:144]
	ds_read_b128 v[125:128], v177 offset:1744
	s_waitcnt vmcnt(35) lgkmcnt(1)
	v_mul_f64 v[143:144], v[3:4], v[167:168]
	v_mul_f64 v[141:142], v[1:2], v[167:168]
	s_waitcnt vmcnt(33)
	v_fma_f64 v[145:146], v[5:6], v[147:148], -v[145:146]
	v_fma_f64 v[133:134], v[7:8], v[147:148], v[133:134]
	ds_read_b128 v[5:8], v177 offset:1760
	v_add_f64 v[129:130], v[129:130], v[149:150]
	v_add_f64 v[131:132], v[131:132], v[139:140]
	s_waitcnt vmcnt(29) lgkmcnt(1)
	v_mul_f64 v[147:148], v[127:128], v[151:152]
	s_waitcnt vmcnt(28)
	v_fma_f64 v[143:144], v[1:2], v[169:170], -v[143:144]
	v_mul_f64 v[139:140], v[125:126], v[151:152]
	v_fma_f64 v[141:142], v[3:4], v[169:170], v[141:142]
	ds_read_b128 v[1:4], v177 offset:1776
	v_add_f64 v[129:130], v[129:130], v[145:146]
	v_add_f64 v[131:132], v[131:132], v[133:134]
	s_waitcnt vmcnt(27) lgkmcnt(1)
	v_mul_f64 v[145:146], v[7:8], v[173:174]
	v_mul_f64 v[133:134], v[5:6], v[173:174]
	s_waitcnt vmcnt(25)
	v_fma_f64 v[147:148], v[125:126], v[155:156], -v[147:148]
	v_fma_f64 v[139:140], v[127:128], v[155:156], v[139:140]
	ds_read_b128 v[125:128], v177 offset:1792
	v_add_f64 v[129:130], v[129:130], v[143:144]
	v_add_f64 v[131:132], v[131:132], v[141:142]
	s_waitcnt vmcnt(21) lgkmcnt(1)
	v_mul_f64 v[143:144], v[3:4], v[157:158]
	s_waitcnt vmcnt(20)
	v_fma_f64 v[145:146], v[5:6], v[175:176], -v[145:146]
	v_mul_f64 v[141:142], v[1:2], v[157:158]
	v_fma_f64 v[133:134], v[7:8], v[175:176], v[133:134]
	ds_read_b128 v[5:8], v177 offset:1808
	v_add_f64 v[129:130], v[129:130], v[147:148]
	v_add_f64 v[131:132], v[131:132], v[139:140]
	;; [unrolled: 18-line block ×3, first 2 shown]
	s_waitcnt vmcnt(11) lgkmcnt(1)
	v_mul_f64 v[143:144], v[3:4], v[182:183]
	v_mul_f64 v[141:142], v[1:2], v[182:183]
	s_waitcnt vmcnt(9)
	v_fma_f64 v[5:6], v[5:6], v[171:172], -v[145:146]
	v_fma_f64 v[7:8], v[7:8], v[171:172], v[133:134]
	v_add_f64 v[129:130], v[129:130], v[147:148]
	v_add_f64 v[131:132], v[131:132], v[139:140]
	s_waitcnt vmcnt(7) lgkmcnt(0)
	v_mul_f64 v[139:140], v[127:128], v[188:189]
	s_waitcnt vmcnt(6)
	v_fma_f64 v[1:2], v[1:2], v[205:206], -v[143:144]
	v_mul_f64 v[133:134], v[125:126], v[188:189]
	v_fma_f64 v[3:4], v[3:4], v[205:206], v[141:142]
	v_add_f64 v[5:6], v[129:130], v[5:6]
	v_add_f64 v[7:8], v[131:132], v[7:8]
	s_waitcnt vmcnt(4)
	v_fma_f64 v[125:126], v[125:126], v[135:136], -v[139:140]
	v_add_f64 v[1:2], v[5:6], v[1:2]
	v_fma_f64 v[5:6], v[127:128], v[135:136], v[133:134]
	v_add_f64 v[3:4], v[7:8], v[3:4]
	v_add_f64 v[1:2], v[1:2], v[125:126]
	;; [unrolled: 1-line block ×3, first 2 shown]
	s_waitcnt vmcnt(2)
	v_add_f64 v[1:2], v[137:138], -v[1:2]
	s_waitcnt vmcnt(0)
	v_add_f64 v[3:4], v[190:191], -v[3:4]
	buffer_store_dword v2, off, s[0:3], 0 offset:356
	buffer_store_dword v1, off, s[0:3], 0 offset:352
	;; [unrolled: 1-line block ×4, first 2 shown]
	v_cmpx_lt_u32_e32 20, v0
	s_cbranch_execz .LBB121_321
; %bb.320:
	v_mov_b32_e32 v4, s50
	v_mov_b32_e32 v5, 0
	s_clause 0x3
	buffer_load_dword v1, v4, s[0:3], 0 offen
	buffer_load_dword v2, v4, s[0:3], 0 offen offset:4
	buffer_load_dword v3, v4, s[0:3], 0 offen offset:8
	;; [unrolled: 1-line block ×3, first 2 shown]
	buffer_store_dword v5, off, s[0:3], 0 offset:336
	buffer_store_dword v5, off, s[0:3], 0 offset:340
	;; [unrolled: 1-line block ×4, first 2 shown]
	s_waitcnt vmcnt(0)
	ds_write_b128 v185, v[1:4]
.LBB121_321:
	s_or_b32 exec_lo, exec_lo, s4
	s_waitcnt lgkmcnt(0)
	s_waitcnt_vscnt null, 0x0
	s_barrier
	buffer_gl0_inv
	s_clause 0x37
	buffer_load_dword v125, off, s[0:3], 0 offset:360
	buffer_load_dword v126, off, s[0:3], 0 offset:364
	;; [unrolled: 1-line block ×56, first 2 shown]
	v_mov_b32_e32 v177, 0
	s_mov_b32 s4, exec_lo
	ds_read_b128 v[178:181], v177 offset:1264
	s_clause 0x2
	buffer_load_dword v174, off, s[0:3], 0 offset:588
	buffer_load_dword v176, off, s[0:3], 0 offset:564
	;; [unrolled: 1-line block ×3, first 2 shown]
	ds_read_b128 v[186:189], v177 offset:1280
	s_clause 0x4
	buffer_load_dword v195, off, s[0:3], 0 offset:604
	buffer_load_dword v196, off, s[0:3], 0 offset:616
	;; [unrolled: 1-line block ×5, first 2 shown]
	ds_read_b128 v[190:193], v177 offset:1296
	s_clause 0x2
	buffer_load_dword v197, off, s[0:3], 0 offset:620
	buffer_load_dword v202, off, s[0:3], 0 offset:596
	;; [unrolled: 1-line block ×3, first 2 shown]
	s_waitcnt vmcnt(62) lgkmcnt(2)
	v_mul_f64 v[182:183], v[180:181], v[125:126]
	v_mul_f64 v[125:126], v[178:179], v[125:126]
	s_waitcnt lgkmcnt(1)
	v_mul_f64 v[199:200], v[188:189], v[5:6]
	s_waitcnt vmcnt(59) lgkmcnt(0)
	v_mul_f64 v[203:204], v[192:193], v[3:4]
	v_fma_f64 v[178:179], v[178:179], v[7:8], -v[182:183]
	v_mul_f64 v[182:183], v[186:187], v[5:6]
	v_fma_f64 v[125:126], v[180:181], v[7:8], v[125:126]
	s_waitcnt vmcnt(57)
	v_fma_f64 v[186:187], v[186:187], v[1:2], -v[199:200]
	ds_read_b128 v[5:8], v177 offset:1312
	v_mul_f64 v[180:181], v[190:191], v[3:4]
	s_waitcnt vmcnt(51)
	v_fma_f64 v[190:191], v[190:191], v[141:142], -v[203:204]
	v_add_f64 v[178:179], v[178:179], 0
	v_fma_f64 v[182:183], v[188:189], v[1:2], v[182:183]
	v_add_f64 v[125:126], v[125:126], 0
	s_clause 0x4
	buffer_load_dword v189, off, s[0:3], 0 offset:636
	buffer_load_dword v205, off, s[0:3], 0 offset:648
	buffer_load_dword v207, off, s[0:3], 0 offset:640
	buffer_load_dword v188, off, s[0:3], 0 offset:632
	buffer_load_dword v199, off, s[0:3], 0 offset:612
	s_waitcnt lgkmcnt(0)
	v_mul_f64 v[208:209], v[5:6], v[129:130]
	v_mul_f64 v[129:130], v[7:8], v[129:130]
	ds_read_b128 v[1:4], v177 offset:1328
	v_fma_f64 v[141:142], v[192:193], v[141:142], v[180:181]
	v_add_f64 v[186:187], v[178:179], v[186:187]
	v_add_f64 v[125:126], v[125:126], v[182:183]
	s_clause 0x2
	buffer_load_dword v206, off, s[0:3], 0 offset:652
	buffer_load_dword v183, off, s[0:3], 0 offset:628
	buffer_load_dword v182, off, s[0:3], 0 offset:624
	s_waitcnt vmcnt(58) lgkmcnt(0)
	v_mul_f64 v[192:193], v[1:2], v[133:134]
	v_mul_f64 v[133:134], v[3:4], v[133:134]
	s_waitcnt vmcnt(56)
	v_fma_f64 v[129:130], v[5:6], v[135:136], -v[129:130]
	ds_read_b128 v[178:181], v177 offset:1344
	v_fma_f64 v[135:136], v[7:8], v[135:136], v[208:209]
	v_add_f64 v[186:187], v[186:187], v[190:191]
	v_add_f64 v[125:126], v[125:126], v[141:142]
	s_clause 0x4
	buffer_load_dword v142, off, s[0:3], 0 offset:668
	buffer_load_dword v190, off, s[0:3], 0 offset:680
	;; [unrolled: 1-line block ×5, first 2 shown]
	ds_read_b128 v[5:8], v177 offset:1360
	s_waitcnt vmcnt(57) lgkmcnt(1)
	v_mul_f64 v[209:210], v[178:179], v[137:138]
	v_mul_f64 v[137:138], v[180:181], v[137:138]
	s_waitcnt vmcnt(56)
	v_fma_f64 v[133:134], v[1:2], v[127:128], -v[133:134]
	v_fma_f64 v[127:128], v[3:4], v[127:128], v[192:193]
	v_add_f64 v[129:130], v[186:187], v[129:130]
	v_add_f64 v[125:126], v[125:126], v[135:136]
	s_clause 0x2
	buffer_load_dword v191, off, s[0:3], 0 offset:684
	buffer_load_dword v136, off, s[0:3], 0 offset:660
	;; [unrolled: 1-line block ×3, first 2 shown]
	s_waitcnt vmcnt(58) lgkmcnt(0)
	v_mul_f64 v[186:187], v[5:6], v[143:144]
	v_mul_f64 v[143:144], v[7:8], v[143:144]
	s_waitcnt vmcnt(56)
	v_fma_f64 v[137:138], v[178:179], v[145:146], -v[137:138]
	ds_read_b128 v[1:4], v177 offset:1376
	v_add_f64 v[129:130], v[129:130], v[133:134]
	v_fma_f64 v[133:134], v[180:181], v[145:146], v[209:210]
	v_add_f64 v[145:146], v[125:126], v[127:128]
	s_clause 0x4
	buffer_load_dword v179, off, s[0:3], 0 offset:700
	buffer_load_dword v180, off, s[0:3], 0 offset:712
	;; [unrolled: 1-line block ×5, first 2 shown]
	ds_read_b128 v[125:128], v177 offset:1392
	s_waitcnt vmcnt(57) lgkmcnt(1)
	v_mul_f64 v[209:210], v[1:2], v[147:148]
	v_mul_f64 v[147:148], v[3:4], v[147:148]
	s_waitcnt vmcnt(56)
	v_fma_f64 v[143:144], v[5:6], v[131:132], -v[143:144]
	v_fma_f64 v[131:132], v[7:8], v[131:132], v[186:187]
	v_add_f64 v[129:130], v[129:130], v[137:138]
	s_clause 0x2
	buffer_load_dword v181, off, s[0:3], 0 offset:716
	buffer_load_dword v138, off, s[0:3], 0 offset:692
	;; [unrolled: 1-line block ×3, first 2 shown]
	v_add_f64 v[133:134], v[145:146], v[133:134]
	s_waitcnt vmcnt(58) lgkmcnt(0)
	v_mul_f64 v[145:146], v[125:126], v[151:152]
	v_mul_f64 v[151:152], v[127:128], v[151:152]
	ds_read_b128 v[5:8], v177 offset:1408
	s_waitcnt vmcnt(56)
	v_fma_f64 v[147:148], v[1:2], v[153:154], -v[147:148]
	v_add_f64 v[129:130], v[129:130], v[143:144]
	v_fma_f64 v[143:144], v[3:4], v[153:154], v[209:210]
	v_add_f64 v[131:132], v[133:134], v[131:132]
	s_clause 0x4
	buffer_load_dword v134, off, s[0:3], 0 offset:732
	buffer_load_dword v153, off, s[0:3], 0 offset:744
	;; [unrolled: 1-line block ×5, first 2 shown]
	s_waitcnt vmcnt(57) lgkmcnt(0)
	v_mul_f64 v[209:210], v[5:6], v[155:156]
	v_mul_f64 v[155:156], v[7:8], v[155:156]
	s_waitcnt vmcnt(56)
	v_fma_f64 v[151:152], v[125:126], v[139:140], -v[151:152]
	ds_read_b128 v[1:4], v177 offset:1424
	v_fma_f64 v[139:140], v[127:128], v[139:140], v[145:146]
	v_add_f64 v[129:130], v[129:130], v[147:148]
	v_add_f64 v[131:132], v[131:132], v[143:144]
	s_clause 0x2
	buffer_load_dword v154, off, s[0:3], 0 offset:748
	buffer_load_dword v144, off, s[0:3], 0 offset:724
	;; [unrolled: 1-line block ×3, first 2 shown]
	ds_read_b128 v[125:128], v177 offset:1440
	s_waitcnt vmcnt(58) lgkmcnt(1)
	v_mul_f64 v[147:148], v[3:4], v[159:160]
	s_waitcnt vmcnt(56)
	v_fma_f64 v[155:156], v[5:6], v[161:162], -v[155:156]
	v_mul_f64 v[145:146], v[1:2], v[159:160]
	v_add_f64 v[129:130], v[129:130], v[151:152]
	v_fma_f64 v[151:152], v[7:8], v[161:162], v[209:210]
	v_add_f64 v[131:132], v[131:132], v[139:140]
	s_clause 0x4
	buffer_load_dword v140, off, s[0:3], 0 offset:764
	buffer_load_dword v159, off, s[0:3], 0 offset:776
	;; [unrolled: 1-line block ×5, first 2 shown]
	s_waitcnt vmcnt(57) lgkmcnt(0)
	v_mul_f64 v[209:210], v[125:126], v[163:164]
	v_mul_f64 v[162:163], v[127:128], v[163:164]
	s_waitcnt vmcnt(56)
	v_fma_f64 v[147:148], v[1:2], v[149:150], -v[147:148]
	ds_read_b128 v[5:8], v177 offset:1456
	v_fma_f64 v[145:146], v[3:4], v[149:150], v[145:146]
	s_clause 0x2
	buffer_load_dword v160, off, s[0:3], 0 offset:780
	buffer_load_dword v150, off, s[0:3], 0 offset:756
	;; [unrolled: 1-line block ×3, first 2 shown]
	ds_read_b128 v[1:4], v177 offset:1472
	v_add_f64 v[129:130], v[129:130], v[155:156]
	v_add_f64 v[131:132], v[131:132], v[151:152]
	s_waitcnt vmcnt(58) lgkmcnt(1)
	v_mul_f64 v[155:156], v[7:8], v[167:168]
	s_waitcnt vmcnt(56)
	v_fma_f64 v[163:164], v[125:126], v[169:170], -v[162:163]
	v_mul_f64 v[151:152], v[5:6], v[167:168]
	v_add_f64 v[129:130], v[129:130], v[147:148]
	v_fma_f64 v[147:148], v[127:128], v[169:170], v[209:210]
	v_add_f64 v[131:132], v[131:132], v[145:146]
	s_clause 0x4
	buffer_load_dword v146, off, s[0:3], 0 offset:796
	buffer_load_dword v167, off, s[0:3], 0 offset:808
	buffer_load_dword v169, off, s[0:3], 0 offset:800
	buffer_load_dword v145, off, s[0:3], 0 offset:792
	buffer_load_dword v162, off, s[0:3], 0 offset:772
	s_waitcnt vmcnt(57) lgkmcnt(0)
	v_mul_f64 v[209:210], v[1:2], v[171:172]
	v_mul_f64 v[170:171], v[3:4], v[171:172]
	s_waitcnt vmcnt(56)
	v_fma_f64 v[155:156], v[5:6], v[157:158], -v[155:156]
	ds_read_b128 v[125:128], v177 offset:1488
	v_fma_f64 v[151:152], v[7:8], v[157:158], v[151:152]
	v_add_f64 v[129:130], v[129:130], v[163:164]
	v_add_f64 v[131:132], v[131:132], v[147:148]
	s_clause 0x2
	buffer_load_dword v168, off, s[0:3], 0 offset:812
	buffer_load_dword v148, off, s[0:3], 0 offset:788
	;; [unrolled: 1-line block ×3, first 2 shown]
	ds_read_b128 v[5:8], v177 offset:1504
	s_waitcnt vmcnt(58) lgkmcnt(1)
	v_mul_f64 v[163:164], v[127:128], v[173:174]
	s_waitcnt vmcnt(56)
	v_fma_f64 v[171:172], v[1:2], v[175:176], -v[170:171]
	v_mul_f64 v[157:158], v[125:126], v[173:174]
	v_add_f64 v[129:130], v[129:130], v[155:156]
	v_fma_f64 v[155:156], v[3:4], v[175:176], v[209:210]
	v_add_f64 v[131:132], v[131:132], v[151:152]
	s_clause 0x4
	buffer_load_dword v152, off, s[0:3], 0 offset:828
	buffer_load_dword v173, off, s[0:3], 0 offset:840
	;; [unrolled: 1-line block ×5, first 2 shown]
	s_waitcnt vmcnt(57) lgkmcnt(0)
	v_mul_f64 v[209:210], v[5:6], v[194:195]
	v_mul_f64 v[194:195], v[7:8], v[194:195]
	s_waitcnt vmcnt(56)
	v_fma_f64 v[163:164], v[125:126], v[165:166], -v[163:164]
	ds_read_b128 v[1:4], v177 offset:1520
	v_fma_f64 v[157:158], v[127:128], v[165:166], v[157:158]
	v_add_f64 v[129:130], v[129:130], v[171:172]
	v_add_f64 v[131:132], v[131:132], v[155:156]
	s_clause 0x2
	buffer_load_dword v174, off, s[0:3], 0 offset:844
	buffer_load_dword v156, off, s[0:3], 0 offset:820
	;; [unrolled: 1-line block ×3, first 2 shown]
	ds_read_b128 v[125:128], v177 offset:1536
	s_waitcnt vmcnt(58) lgkmcnt(1)
	v_mul_f64 v[171:172], v[3:4], v[196:197]
	s_waitcnt vmcnt(56)
	v_fma_f64 v[194:195], v[5:6], v[201:202], -v[194:195]
	v_mul_f64 v[165:166], v[1:2], v[196:197]
	v_add_f64 v[129:130], v[129:130], v[163:164]
	v_fma_f64 v[163:164], v[7:8], v[201:202], v[209:210]
	v_add_f64 v[131:132], v[131:132], v[157:158]
	s_clause 0x4
	buffer_load_dword v158, off, s[0:3], 0 offset:860
	buffer_load_dword v196, off, s[0:3], 0 offset:872
	;; [unrolled: 1-line block ×5, first 2 shown]
	ds_read_b128 v[5:8], v177 offset:1552
	s_waitcnt vmcnt(57) lgkmcnt(1)
	v_mul_f64 v[201:202], v[125:126], v[188:189]
	v_mul_f64 v[188:189], v[127:128], v[188:189]
	s_waitcnt vmcnt(56)
	v_fma_f64 v[171:172], v[1:2], v[198:199], -v[171:172]
	v_fma_f64 v[165:166], v[3:4], v[198:199], v[165:166]
	v_add_f64 v[129:130], v[129:130], v[194:195]
	v_add_f64 v[131:132], v[131:132], v[163:164]
	s_clause 0x2
	buffer_load_dword v197, off, s[0:3], 0 offset:876
	buffer_load_dword v164, off, s[0:3], 0 offset:852
	;; [unrolled: 1-line block ×3, first 2 shown]
	ds_read_b128 v[1:4], v177 offset:1568
	s_waitcnt vmcnt(58) lgkmcnt(1)
	v_mul_f64 v[198:199], v[7:8], v[205:206]
	v_mul_f64 v[194:195], v[5:6], v[205:206]
	s_waitcnt vmcnt(56)
	v_fma_f64 v[188:189], v[125:126], v[182:183], -v[188:189]
	v_add_f64 v[129:130], v[129:130], v[171:172]
	v_fma_f64 v[171:172], v[127:128], v[182:183], v[201:202]
	v_add_f64 v[131:132], v[131:132], v[165:166]
	s_clause 0x4
	buffer_load_dword v166, off, s[0:3], 0 offset:892
	buffer_load_dword v182, off, s[0:3], 0 offset:904
	;; [unrolled: 1-line block ×5, first 2 shown]
	ds_read_b128 v[125:128], v177 offset:1584
	s_waitcnt vmcnt(57) lgkmcnt(1)
	v_mul_f64 v[209:210], v[1:2], v[141:142]
	v_mul_f64 v[141:142], v[3:4], v[141:142]
	s_waitcnt vmcnt(56)
	v_fma_f64 v[198:199], v[5:6], v[207:208], -v[198:199]
	v_add_f64 v[129:130], v[129:130], v[188:189]
	v_fma_f64 v[188:189], v[7:8], v[207:208], v[194:195]
	v_add_f64 v[131:132], v[131:132], v[171:172]
	s_clause 0x2
	buffer_load_dword v183, off, s[0:3], 0 offset:908
	buffer_load_dword v172, off, s[0:3], 0 offset:884
	;; [unrolled: 1-line block ×3, first 2 shown]
	ds_read_b128 v[5:8], v177 offset:1600
	s_waitcnt vmcnt(58) lgkmcnt(1)
	v_mul_f64 v[194:195], v[125:126], v[190:191]
	v_mul_f64 v[190:191], v[127:128], v[190:191]
	s_waitcnt vmcnt(56)
	v_fma_f64 v[141:142], v[1:2], v[135:136], -v[141:142]
	v_fma_f64 v[135:136], v[3:4], v[135:136], v[209:210]
	v_add_f64 v[129:130], v[129:130], v[198:199]
	v_add_f64 v[131:132], v[131:132], v[188:189]
	s_clause 0x4
	buffer_load_dword v189, off, s[0:3], 0 offset:924
	buffer_load_dword v198, off, s[0:3], 0 offset:936
	;; [unrolled: 1-line block ×5, first 2 shown]
	ds_read_b128 v[1:4], v177 offset:1616
	s_waitcnt vmcnt(57) lgkmcnt(1)
	v_mul_f64 v[207:208], v[5:6], v[178:179]
	v_mul_f64 v[178:179], v[7:8], v[178:179]
	s_waitcnt vmcnt(56)
	v_fma_f64 v[190:191], v[125:126], v[203:204], -v[190:191]
	v_add_f64 v[129:130], v[129:130], v[141:142]
	v_fma_f64 v[141:142], v[127:128], v[203:204], v[194:195]
	v_add_f64 v[131:132], v[131:132], v[135:136]
	s_clause 0x2
	buffer_load_dword v199, off, s[0:3], 0 offset:940
	buffer_load_dword v136, off, s[0:3], 0 offset:916
	;; [unrolled: 1-line block ×3, first 2 shown]
	ds_read_b128 v[125:128], v177 offset:1632
	buffer_load_dword v203, off, s[0:3], 0 offset:932
	s_waitcnt vmcnt(59) lgkmcnt(1)
	v_mul_f64 v[194:195], v[1:2], v[180:181]
	v_mul_f64 v[180:181], v[3:4], v[180:181]
	s_waitcnt vmcnt(57)
	v_fma_f64 v[178:179], v[5:6], v[137:138], -v[178:179]
	v_fma_f64 v[137:138], v[7:8], v[137:138], v[207:208]
	ds_read_b128 v[5:8], v177 offset:1648
	v_add_f64 v[129:130], v[129:130], v[190:191]
	v_add_f64 v[131:132], v[131:132], v[141:142]
	s_waitcnt vmcnt(53) lgkmcnt(1)
	v_mul_f64 v[141:142], v[125:126], v[133:134]
	v_mul_f64 v[133:134], v[127:128], v[133:134]
	s_waitcnt vmcnt(52)
	v_fma_f64 v[180:181], v[1:2], v[192:193], -v[180:181]
	v_add_f64 v[129:130], v[129:130], v[178:179]
	v_fma_f64 v[178:179], v[3:4], v[192:193], v[194:195]
	v_add_f64 v[131:132], v[131:132], v[137:138]
	ds_read_b128 v[1:4], v177 offset:1664
	s_waitcnt vmcnt(51) lgkmcnt(1)
	v_mul_f64 v[137:138], v[5:6], v[153:154]
	v_mul_f64 v[153:154], v[7:8], v[153:154]
	s_waitcnt vmcnt(49)
	v_fma_f64 v[133:134], v[125:126], v[143:144], -v[133:134]
	v_fma_f64 v[141:142], v[127:128], v[143:144], v[141:142]
	v_add_f64 v[129:130], v[129:130], v[180:181]
	v_add_f64 v[131:132], v[131:132], v[178:179]
	s_clause 0x3
	buffer_load_dword v143, off, s[0:3], 0 offset:336
	buffer_load_dword v144, off, s[0:3], 0 offset:340
	;; [unrolled: 1-line block ×4, first 2 shown]
	ds_read_b128 v[125:128], v177 offset:1680
	s_waitcnt vmcnt(49) lgkmcnt(1)
	v_mul_f64 v[180:181], v[1:2], v[139:140]
	v_mul_f64 v[139:140], v[3:4], v[139:140]
	s_waitcnt vmcnt(48)
	v_fma_f64 v[153:154], v[5:6], v[186:187], -v[153:154]
	v_add_f64 v[129:130], v[129:130], v[133:134]
	v_fma_f64 v[133:134], v[7:8], v[186:187], v[137:138]
	v_add_f64 v[131:132], v[131:132], v[141:142]
	ds_read_b128 v[5:8], v177 offset:1696
	s_waitcnt vmcnt(47) lgkmcnt(1)
	v_mul_f64 v[141:142], v[127:128], v[159:160]
	v_mul_f64 v[137:138], v[125:126], v[159:160]
	s_waitcnt vmcnt(45)
	v_fma_f64 v[139:140], v[1:2], v[149:150], -v[139:140]
	v_fma_f64 v[149:150], v[3:4], v[149:150], v[180:181]
	ds_read_b128 v[1:4], v177 offset:1712
	v_add_f64 v[129:130], v[129:130], v[153:154]
	v_add_f64 v[131:132], v[131:132], v[133:134]
	s_waitcnt vmcnt(41) lgkmcnt(1)
	v_mul_f64 v[133:134], v[5:6], v[145:146]
	v_mul_f64 v[145:146], v[7:8], v[145:146]
	s_waitcnt vmcnt(40)
	v_fma_f64 v[141:142], v[125:126], v[161:162], -v[141:142]
	v_fma_f64 v[137:138], v[127:128], v[161:162], v[137:138]
	ds_read_b128 v[125:128], v177 offset:1728
	v_add_f64 v[129:130], v[129:130], v[139:140]
	v_add_f64 v[131:132], v[131:132], v[149:150]
	;; [unrolled: 9-line block ×3, first 2 shown]
	s_waitcnt vmcnt(33) lgkmcnt(1)
	v_mul_f64 v[141:142], v[127:128], v[151:152]
	s_waitcnt vmcnt(32)
	v_fma_f64 v[147:148], v[1:2], v[169:170], -v[149:150]
	v_mul_f64 v[137:138], v[125:126], v[151:152]
	v_fma_f64 v[139:140], v[3:4], v[169:170], v[139:140]
	ds_read_b128 v[1:4], v177 offset:1760
	v_add_f64 v[129:130], v[129:130], v[145:146]
	v_add_f64 v[131:132], v[131:132], v[133:134]
	s_waitcnt vmcnt(31) lgkmcnt(1)
	v_mul_f64 v[145:146], v[7:8], v[173:174]
	v_mul_f64 v[133:134], v[5:6], v[173:174]
	s_waitcnt vmcnt(29)
	v_fma_f64 v[141:142], v[125:126], v[155:156], -v[141:142]
	v_fma_f64 v[137:138], v[127:128], v[155:156], v[137:138]
	ds_read_b128 v[125:128], v177 offset:1776
	v_add_f64 v[129:130], v[129:130], v[147:148]
	v_add_f64 v[131:132], v[131:132], v[139:140]
	s_waitcnt vmcnt(25) lgkmcnt(1)
	v_mul_f64 v[147:148], v[3:4], v[157:158]
	s_waitcnt vmcnt(24)
	v_fma_f64 v[145:146], v[5:6], v[175:176], -v[145:146]
	v_mul_f64 v[139:140], v[1:2], v[157:158]
	v_fma_f64 v[133:134], v[7:8], v[175:176], v[133:134]
	ds_read_b128 v[5:8], v177 offset:1792
	v_add_f64 v[129:130], v[129:130], v[141:142]
	v_add_f64 v[131:132], v[131:132], v[137:138]
	s_waitcnt vmcnt(23) lgkmcnt(1)
	v_mul_f64 v[141:142], v[127:128], v[196:197]
	v_mul_f64 v[137:138], v[125:126], v[196:197]
	s_waitcnt vmcnt(21)
	v_fma_f64 v[147:148], v[1:2], v[163:164], -v[147:148]
	v_fma_f64 v[139:140], v[3:4], v[163:164], v[139:140]
	ds_read_b128 v[1:4], v177 offset:1808
	v_add_f64 v[129:130], v[129:130], v[145:146]
	v_add_f64 v[131:132], v[131:132], v[133:134]
	;; [unrolled: 18-line block ×3, first 2 shown]
	s_waitcnt vmcnt(9) lgkmcnt(1)
	v_mul_f64 v[141:142], v[127:128], v[188:189]
	s_waitcnt vmcnt(8)
	v_fma_f64 v[1:2], v[1:2], v[205:206], -v[147:148]
	v_mul_f64 v[137:138], v[125:126], v[188:189]
	v_fma_f64 v[3:4], v[3:4], v[205:206], v[139:140]
	v_add_f64 v[129:130], v[129:130], v[145:146]
	v_add_f64 v[131:132], v[131:132], v[133:134]
	s_waitcnt vmcnt(7) lgkmcnt(0)
	v_mul_f64 v[139:140], v[7:8], v[198:199]
	v_mul_f64 v[133:134], v[5:6], v[198:199]
	s_waitcnt vmcnt(5)
	v_fma_f64 v[125:126], v[125:126], v[135:136], -v[141:142]
	v_fma_f64 v[127:128], v[127:128], v[135:136], v[137:138]
	v_add_f64 v[1:2], v[129:130], v[1:2]
	v_add_f64 v[3:4], v[131:132], v[3:4]
	s_waitcnt vmcnt(4)
	v_fma_f64 v[5:6], v[5:6], v[202:203], -v[139:140]
	v_fma_f64 v[7:8], v[7:8], v[202:203], v[133:134]
	v_add_f64 v[1:2], v[1:2], v[125:126]
	v_add_f64 v[3:4], v[3:4], v[127:128]
	;; [unrolled: 1-line block ×4, first 2 shown]
	s_waitcnt vmcnt(2)
	v_add_f64 v[1:2], v[143:144], -v[1:2]
	s_waitcnt vmcnt(0)
	v_add_f64 v[3:4], v[178:179], -v[3:4]
	buffer_store_dword v2, off, s[0:3], 0 offset:340
	buffer_store_dword v1, off, s[0:3], 0 offset:336
	;; [unrolled: 1-line block ×4, first 2 shown]
	v_cmpx_lt_u32_e32 19, v0
	s_cbranch_execz .LBB121_323
; %bb.322:
	v_mov_b32_e32 v4, s51
	s_clause 0x3
	buffer_load_dword v1, v4, s[0:3], 0 offen
	buffer_load_dword v2, v4, s[0:3], 0 offen offset:4
	buffer_load_dword v3, v4, s[0:3], 0 offen offset:8
	;; [unrolled: 1-line block ×3, first 2 shown]
	buffer_store_dword v177, off, s[0:3], 0 offset:320
	buffer_store_dword v177, off, s[0:3], 0 offset:324
	;; [unrolled: 1-line block ×4, first 2 shown]
	s_waitcnt vmcnt(0)
	ds_write_b128 v185, v[1:4]
.LBB121_323:
	s_or_b32 exec_lo, exec_lo, s4
	s_waitcnt lgkmcnt(0)
	s_waitcnt_vscnt null, 0x0
	s_barrier
	buffer_gl0_inv
	s_clause 0x37
	buffer_load_dword v125, off, s[0:3], 0 offset:344
	buffer_load_dword v126, off, s[0:3], 0 offset:348
	;; [unrolled: 1-line block ×56, first 2 shown]
	ds_read_b128 v[178:181], v177 offset:1248
	s_clause 0x2
	buffer_load_dword v174, off, s[0:3], 0 offset:572
	buffer_load_dword v176, off, s[0:3], 0 offset:548
	;; [unrolled: 1-line block ×3, first 2 shown]
	ds_read_b128 v[186:189], v177 offset:1264
	s_clause 0x4
	buffer_load_dword v195, off, s[0:3], 0 offset:588
	buffer_load_dword v196, off, s[0:3], 0 offset:600
	;; [unrolled: 1-line block ×5, first 2 shown]
	ds_read_b128 v[190:193], v177 offset:1280
	s_clause 0x2
	buffer_load_dword v197, off, s[0:3], 0 offset:604
	buffer_load_dword v202, off, s[0:3], 0 offset:580
	buffer_load_dword v201, off, s[0:3], 0 offset:576
	s_mov_b32 s4, exec_lo
	s_waitcnt vmcnt(62) lgkmcnt(2)
	v_mul_f64 v[182:183], v[180:181], v[125:126]
	v_mul_f64 v[125:126], v[178:179], v[125:126]
	s_waitcnt lgkmcnt(1)
	v_mul_f64 v[199:200], v[188:189], v[5:6]
	s_waitcnt vmcnt(59) lgkmcnt(0)
	v_mul_f64 v[203:204], v[192:193], v[3:4]
	v_fma_f64 v[178:179], v[178:179], v[7:8], -v[182:183]
	v_mul_f64 v[182:183], v[186:187], v[5:6]
	v_fma_f64 v[125:126], v[180:181], v[7:8], v[125:126]
	s_waitcnt vmcnt(57)
	v_fma_f64 v[186:187], v[186:187], v[1:2], -v[199:200]
	ds_read_b128 v[5:8], v177 offset:1296
	v_mul_f64 v[180:181], v[190:191], v[3:4]
	s_waitcnt vmcnt(51)
	v_fma_f64 v[190:191], v[190:191], v[141:142], -v[203:204]
	v_add_f64 v[178:179], v[178:179], 0
	v_fma_f64 v[182:183], v[188:189], v[1:2], v[182:183]
	v_add_f64 v[125:126], v[125:126], 0
	s_clause 0x4
	buffer_load_dword v189, off, s[0:3], 0 offset:620
	buffer_load_dword v205, off, s[0:3], 0 offset:632
	;; [unrolled: 1-line block ×5, first 2 shown]
	s_waitcnt lgkmcnt(0)
	v_mul_f64 v[208:209], v[5:6], v[129:130]
	v_mul_f64 v[129:130], v[7:8], v[129:130]
	ds_read_b128 v[1:4], v177 offset:1312
	v_fma_f64 v[141:142], v[192:193], v[141:142], v[180:181]
	v_add_f64 v[186:187], v[178:179], v[186:187]
	v_add_f64 v[125:126], v[125:126], v[182:183]
	s_clause 0x2
	buffer_load_dword v206, off, s[0:3], 0 offset:636
	buffer_load_dword v183, off, s[0:3], 0 offset:612
	;; [unrolled: 1-line block ×3, first 2 shown]
	s_waitcnt vmcnt(58) lgkmcnt(0)
	v_mul_f64 v[192:193], v[1:2], v[133:134]
	v_mul_f64 v[133:134], v[3:4], v[133:134]
	s_waitcnt vmcnt(56)
	v_fma_f64 v[129:130], v[5:6], v[135:136], -v[129:130]
	ds_read_b128 v[178:181], v177 offset:1328
	v_fma_f64 v[135:136], v[7:8], v[135:136], v[208:209]
	v_add_f64 v[186:187], v[186:187], v[190:191]
	v_add_f64 v[125:126], v[125:126], v[141:142]
	s_clause 0x4
	buffer_load_dword v142, off, s[0:3], 0 offset:652
	buffer_load_dword v190, off, s[0:3], 0 offset:664
	buffer_load_dword v203, off, s[0:3], 0 offset:656
	buffer_load_dword v141, off, s[0:3], 0 offset:648
	buffer_load_dword v208, off, s[0:3], 0 offset:628
	ds_read_b128 v[5:8], v177 offset:1344
	s_waitcnt vmcnt(57) lgkmcnt(1)
	v_mul_f64 v[209:210], v[178:179], v[137:138]
	v_mul_f64 v[137:138], v[180:181], v[137:138]
	s_waitcnt vmcnt(56)
	v_fma_f64 v[133:134], v[1:2], v[127:128], -v[133:134]
	v_fma_f64 v[127:128], v[3:4], v[127:128], v[192:193]
	v_add_f64 v[129:130], v[186:187], v[129:130]
	v_add_f64 v[125:126], v[125:126], v[135:136]
	s_clause 0x2
	buffer_load_dword v191, off, s[0:3], 0 offset:668
	buffer_load_dword v136, off, s[0:3], 0 offset:644
	;; [unrolled: 1-line block ×3, first 2 shown]
	s_waitcnt vmcnt(58) lgkmcnt(0)
	v_mul_f64 v[186:187], v[5:6], v[143:144]
	v_mul_f64 v[143:144], v[7:8], v[143:144]
	s_waitcnt vmcnt(56)
	v_fma_f64 v[137:138], v[178:179], v[145:146], -v[137:138]
	ds_read_b128 v[1:4], v177 offset:1360
	v_add_f64 v[129:130], v[129:130], v[133:134]
	v_fma_f64 v[133:134], v[180:181], v[145:146], v[209:210]
	v_add_f64 v[145:146], v[125:126], v[127:128]
	s_clause 0x4
	buffer_load_dword v179, off, s[0:3], 0 offset:684
	buffer_load_dword v180, off, s[0:3], 0 offset:696
	;; [unrolled: 1-line block ×5, first 2 shown]
	ds_read_b128 v[125:128], v177 offset:1376
	s_waitcnt vmcnt(57) lgkmcnt(1)
	v_mul_f64 v[209:210], v[1:2], v[147:148]
	v_mul_f64 v[147:148], v[3:4], v[147:148]
	s_waitcnt vmcnt(56)
	v_fma_f64 v[143:144], v[5:6], v[131:132], -v[143:144]
	v_fma_f64 v[131:132], v[7:8], v[131:132], v[186:187]
	v_add_f64 v[129:130], v[129:130], v[137:138]
	s_clause 0x2
	buffer_load_dword v181, off, s[0:3], 0 offset:700
	buffer_load_dword v138, off, s[0:3], 0 offset:676
	;; [unrolled: 1-line block ×3, first 2 shown]
	v_add_f64 v[133:134], v[145:146], v[133:134]
	s_waitcnt vmcnt(58) lgkmcnt(0)
	v_mul_f64 v[145:146], v[125:126], v[151:152]
	v_mul_f64 v[151:152], v[127:128], v[151:152]
	ds_read_b128 v[5:8], v177 offset:1392
	s_waitcnt vmcnt(56)
	v_fma_f64 v[147:148], v[1:2], v[153:154], -v[147:148]
	v_add_f64 v[129:130], v[129:130], v[143:144]
	v_fma_f64 v[143:144], v[3:4], v[153:154], v[209:210]
	v_add_f64 v[131:132], v[133:134], v[131:132]
	s_clause 0x4
	buffer_load_dword v134, off, s[0:3], 0 offset:716
	buffer_load_dword v153, off, s[0:3], 0 offset:728
	;; [unrolled: 1-line block ×5, first 2 shown]
	s_waitcnt vmcnt(57) lgkmcnt(0)
	v_mul_f64 v[209:210], v[5:6], v[155:156]
	v_mul_f64 v[155:156], v[7:8], v[155:156]
	s_waitcnt vmcnt(56)
	v_fma_f64 v[151:152], v[125:126], v[139:140], -v[151:152]
	ds_read_b128 v[1:4], v177 offset:1408
	v_fma_f64 v[139:140], v[127:128], v[139:140], v[145:146]
	v_add_f64 v[129:130], v[129:130], v[147:148]
	v_add_f64 v[131:132], v[131:132], v[143:144]
	s_clause 0x2
	buffer_load_dword v154, off, s[0:3], 0 offset:732
	buffer_load_dword v144, off, s[0:3], 0 offset:708
	;; [unrolled: 1-line block ×3, first 2 shown]
	ds_read_b128 v[125:128], v177 offset:1424
	s_waitcnt vmcnt(58) lgkmcnt(1)
	v_mul_f64 v[147:148], v[3:4], v[159:160]
	s_waitcnt vmcnt(56)
	v_fma_f64 v[155:156], v[5:6], v[161:162], -v[155:156]
	v_mul_f64 v[145:146], v[1:2], v[159:160]
	v_add_f64 v[129:130], v[129:130], v[151:152]
	v_fma_f64 v[151:152], v[7:8], v[161:162], v[209:210]
	v_add_f64 v[131:132], v[131:132], v[139:140]
	s_clause 0x4
	buffer_load_dword v140, off, s[0:3], 0 offset:748
	buffer_load_dword v159, off, s[0:3], 0 offset:760
	;; [unrolled: 1-line block ×5, first 2 shown]
	s_waitcnt vmcnt(57) lgkmcnt(0)
	v_mul_f64 v[209:210], v[125:126], v[163:164]
	v_mul_f64 v[162:163], v[127:128], v[163:164]
	s_waitcnt vmcnt(56)
	v_fma_f64 v[147:148], v[1:2], v[149:150], -v[147:148]
	ds_read_b128 v[5:8], v177 offset:1440
	v_fma_f64 v[145:146], v[3:4], v[149:150], v[145:146]
	s_clause 0x2
	buffer_load_dword v160, off, s[0:3], 0 offset:764
	buffer_load_dword v150, off, s[0:3], 0 offset:740
	;; [unrolled: 1-line block ×3, first 2 shown]
	ds_read_b128 v[1:4], v177 offset:1456
	v_add_f64 v[129:130], v[129:130], v[155:156]
	v_add_f64 v[131:132], v[131:132], v[151:152]
	s_waitcnt vmcnt(58) lgkmcnt(1)
	v_mul_f64 v[155:156], v[7:8], v[167:168]
	s_waitcnt vmcnt(56)
	v_fma_f64 v[163:164], v[125:126], v[169:170], -v[162:163]
	v_mul_f64 v[151:152], v[5:6], v[167:168]
	v_add_f64 v[129:130], v[129:130], v[147:148]
	v_fma_f64 v[147:148], v[127:128], v[169:170], v[209:210]
	v_add_f64 v[131:132], v[131:132], v[145:146]
	s_clause 0x4
	buffer_load_dword v146, off, s[0:3], 0 offset:780
	buffer_load_dword v167, off, s[0:3], 0 offset:792
	;; [unrolled: 1-line block ×5, first 2 shown]
	s_waitcnt vmcnt(57) lgkmcnt(0)
	v_mul_f64 v[209:210], v[1:2], v[171:172]
	v_mul_f64 v[170:171], v[3:4], v[171:172]
	s_waitcnt vmcnt(56)
	v_fma_f64 v[155:156], v[5:6], v[157:158], -v[155:156]
	ds_read_b128 v[125:128], v177 offset:1472
	v_fma_f64 v[151:152], v[7:8], v[157:158], v[151:152]
	v_add_f64 v[129:130], v[129:130], v[163:164]
	v_add_f64 v[131:132], v[131:132], v[147:148]
	s_clause 0x2
	buffer_load_dword v168, off, s[0:3], 0 offset:796
	buffer_load_dword v148, off, s[0:3], 0 offset:772
	;; [unrolled: 1-line block ×3, first 2 shown]
	ds_read_b128 v[5:8], v177 offset:1488
	s_waitcnt vmcnt(58) lgkmcnt(1)
	v_mul_f64 v[163:164], v[127:128], v[173:174]
	s_waitcnt vmcnt(56)
	v_fma_f64 v[171:172], v[1:2], v[175:176], -v[170:171]
	v_mul_f64 v[157:158], v[125:126], v[173:174]
	v_add_f64 v[129:130], v[129:130], v[155:156]
	v_fma_f64 v[155:156], v[3:4], v[175:176], v[209:210]
	v_add_f64 v[131:132], v[131:132], v[151:152]
	s_clause 0x4
	buffer_load_dword v152, off, s[0:3], 0 offset:812
	buffer_load_dword v173, off, s[0:3], 0 offset:824
	;; [unrolled: 1-line block ×5, first 2 shown]
	s_waitcnt vmcnt(57) lgkmcnt(0)
	v_mul_f64 v[209:210], v[5:6], v[194:195]
	v_mul_f64 v[194:195], v[7:8], v[194:195]
	s_waitcnt vmcnt(56)
	v_fma_f64 v[163:164], v[125:126], v[165:166], -v[163:164]
	ds_read_b128 v[1:4], v177 offset:1504
	v_fma_f64 v[157:158], v[127:128], v[165:166], v[157:158]
	v_add_f64 v[129:130], v[129:130], v[171:172]
	v_add_f64 v[131:132], v[131:132], v[155:156]
	s_clause 0x2
	buffer_load_dword v174, off, s[0:3], 0 offset:828
	buffer_load_dword v156, off, s[0:3], 0 offset:804
	;; [unrolled: 1-line block ×3, first 2 shown]
	ds_read_b128 v[125:128], v177 offset:1520
	s_waitcnt vmcnt(58) lgkmcnt(1)
	v_mul_f64 v[171:172], v[3:4], v[196:197]
	s_waitcnt vmcnt(56)
	v_fma_f64 v[194:195], v[5:6], v[201:202], -v[194:195]
	v_mul_f64 v[165:166], v[1:2], v[196:197]
	v_add_f64 v[129:130], v[129:130], v[163:164]
	v_fma_f64 v[163:164], v[7:8], v[201:202], v[209:210]
	v_add_f64 v[131:132], v[131:132], v[157:158]
	s_clause 0x4
	buffer_load_dword v158, off, s[0:3], 0 offset:844
	buffer_load_dword v196, off, s[0:3], 0 offset:856
	buffer_load_dword v200, off, s[0:3], 0 offset:848
	buffer_load_dword v157, off, s[0:3], 0 offset:840
	buffer_load_dword v176, off, s[0:3], 0 offset:820
	ds_read_b128 v[5:8], v177 offset:1536
	s_waitcnt vmcnt(57) lgkmcnt(1)
	v_mul_f64 v[201:202], v[125:126], v[188:189]
	v_mul_f64 v[188:189], v[127:128], v[188:189]
	s_waitcnt vmcnt(56)
	v_fma_f64 v[171:172], v[1:2], v[198:199], -v[171:172]
	v_fma_f64 v[165:166], v[3:4], v[198:199], v[165:166]
	v_add_f64 v[129:130], v[129:130], v[194:195]
	v_add_f64 v[131:132], v[131:132], v[163:164]
	s_clause 0x2
	buffer_load_dword v197, off, s[0:3], 0 offset:860
	buffer_load_dword v164, off, s[0:3], 0 offset:836
	;; [unrolled: 1-line block ×3, first 2 shown]
	ds_read_b128 v[1:4], v177 offset:1552
	s_waitcnt vmcnt(58) lgkmcnt(1)
	v_mul_f64 v[198:199], v[7:8], v[205:206]
	v_mul_f64 v[194:195], v[5:6], v[205:206]
	s_waitcnt vmcnt(56)
	v_fma_f64 v[188:189], v[125:126], v[182:183], -v[188:189]
	v_add_f64 v[129:130], v[129:130], v[171:172]
	v_fma_f64 v[171:172], v[127:128], v[182:183], v[201:202]
	v_add_f64 v[131:132], v[131:132], v[165:166]
	s_clause 0x4
	buffer_load_dword v166, off, s[0:3], 0 offset:876
	buffer_load_dword v182, off, s[0:3], 0 offset:888
	;; [unrolled: 1-line block ×5, first 2 shown]
	ds_read_b128 v[125:128], v177 offset:1568
	s_waitcnt vmcnt(57) lgkmcnt(1)
	v_mul_f64 v[209:210], v[1:2], v[141:142]
	v_mul_f64 v[141:142], v[3:4], v[141:142]
	s_waitcnt vmcnt(56)
	v_fma_f64 v[198:199], v[5:6], v[207:208], -v[198:199]
	v_add_f64 v[129:130], v[129:130], v[188:189]
	v_fma_f64 v[188:189], v[7:8], v[207:208], v[194:195]
	v_add_f64 v[131:132], v[131:132], v[171:172]
	s_clause 0x2
	buffer_load_dword v183, off, s[0:3], 0 offset:892
	buffer_load_dword v172, off, s[0:3], 0 offset:868
	;; [unrolled: 1-line block ×3, first 2 shown]
	ds_read_b128 v[5:8], v177 offset:1584
	s_waitcnt vmcnt(58) lgkmcnt(1)
	v_mul_f64 v[194:195], v[125:126], v[190:191]
	v_mul_f64 v[190:191], v[127:128], v[190:191]
	s_waitcnt vmcnt(56)
	v_fma_f64 v[141:142], v[1:2], v[135:136], -v[141:142]
	v_fma_f64 v[135:136], v[3:4], v[135:136], v[209:210]
	v_add_f64 v[129:130], v[129:130], v[198:199]
	v_add_f64 v[131:132], v[131:132], v[188:189]
	s_clause 0x4
	buffer_load_dword v189, off, s[0:3], 0 offset:908
	buffer_load_dword v198, off, s[0:3], 0 offset:920
	;; [unrolled: 1-line block ×5, first 2 shown]
	ds_read_b128 v[1:4], v177 offset:1600
	s_waitcnt vmcnt(57) lgkmcnt(1)
	v_mul_f64 v[207:208], v[5:6], v[178:179]
	v_mul_f64 v[178:179], v[7:8], v[178:179]
	s_waitcnt vmcnt(56)
	v_fma_f64 v[190:191], v[125:126], v[203:204], -v[190:191]
	v_add_f64 v[129:130], v[129:130], v[141:142]
	v_fma_f64 v[141:142], v[127:128], v[203:204], v[194:195]
	v_add_f64 v[131:132], v[131:132], v[135:136]
	s_clause 0x2
	buffer_load_dword v199, off, s[0:3], 0 offset:924
	buffer_load_dword v136, off, s[0:3], 0 offset:900
	;; [unrolled: 1-line block ×3, first 2 shown]
	ds_read_b128 v[125:128], v177 offset:1616
	s_waitcnt vmcnt(58) lgkmcnt(1)
	v_mul_f64 v[194:195], v[1:2], v[180:181]
	v_mul_f64 v[180:181], v[3:4], v[180:181]
	s_waitcnt vmcnt(56)
	v_fma_f64 v[178:179], v[5:6], v[137:138], -v[178:179]
	v_fma_f64 v[137:138], v[7:8], v[137:138], v[207:208]
	v_add_f64 v[129:130], v[129:130], v[190:191]
	v_add_f64 v[131:132], v[131:132], v[141:142]
	s_clause 0x2
	buffer_load_dword v142, off, s[0:3], 0 offset:940
	buffer_load_dword v141, off, s[0:3], 0 offset:936
	;; [unrolled: 1-line block ×3, first 2 shown]
	ds_read_b128 v[5:8], v177 offset:1632
	s_waitcnt vmcnt(55) lgkmcnt(1)
	v_mul_f64 v[190:191], v[125:126], v[133:134]
	v_mul_f64 v[133:134], v[127:128], v[133:134]
	s_waitcnt vmcnt(54)
	v_fma_f64 v[180:181], v[1:2], v[192:193], -v[180:181]
	v_add_f64 v[129:130], v[129:130], v[178:179]
	v_fma_f64 v[178:179], v[3:4], v[192:193], v[194:195]
	v_add_f64 v[131:132], v[131:132], v[137:138]
	s_clause 0x1
	buffer_load_dword v138, off, s[0:3], 0 offset:932
	buffer_load_dword v137, off, s[0:3], 0 offset:928
	ds_read_b128 v[1:4], v177 offset:1648
	s_waitcnt vmcnt(55) lgkmcnt(1)
	v_mul_f64 v[192:193], v[5:6], v[153:154]
	v_mul_f64 v[153:154], v[7:8], v[153:154]
	s_waitcnt vmcnt(53)
	v_fma_f64 v[133:134], v[125:126], v[143:144], -v[133:134]
	v_fma_f64 v[143:144], v[127:128], v[143:144], v[190:191]
	ds_read_b128 v[125:128], v177 offset:1664
	v_add_f64 v[129:130], v[129:130], v[180:181]
	v_add_f64 v[131:132], v[131:132], v[178:179]
	s_waitcnt vmcnt(49) lgkmcnt(1)
	v_mul_f64 v[178:179], v[1:2], v[139:140]
	v_mul_f64 v[139:140], v[3:4], v[139:140]
	s_waitcnt vmcnt(48)
	v_fma_f64 v[153:154], v[5:6], v[186:187], -v[153:154]
	v_add_f64 v[129:130], v[129:130], v[133:134]
	v_fma_f64 v[133:134], v[7:8], v[186:187], v[192:193]
	v_add_f64 v[131:132], v[131:132], v[143:144]
	s_clause 0x3
	buffer_load_dword v143, off, s[0:3], 0 offset:320
	buffer_load_dword v144, off, s[0:3], 0 offset:324
	;; [unrolled: 1-line block ×4, first 2 shown]
	s_waitcnt vmcnt(51) lgkmcnt(0)
	v_mul_f64 v[186:187], v[125:126], v[159:160]
	v_mul_f64 v[159:160], v[127:128], v[159:160]
	ds_read_b128 v[5:8], v177 offset:1680
	s_waitcnt vmcnt(49)
	v_fma_f64 v[139:140], v[1:2], v[149:150], -v[139:140]
	v_fma_f64 v[149:150], v[3:4], v[149:150], v[178:179]
	ds_read_b128 v[1:4], v177 offset:1696
	v_add_f64 v[129:130], v[129:130], v[153:154]
	v_add_f64 v[131:132], v[131:132], v[133:134]
	s_waitcnt vmcnt(45) lgkmcnt(1)
	v_mul_f64 v[133:134], v[5:6], v[145:146]
	v_mul_f64 v[145:146], v[7:8], v[145:146]
	s_waitcnt vmcnt(44)
	v_fma_f64 v[153:154], v[125:126], v[161:162], -v[159:160]
	v_add_f64 v[129:130], v[129:130], v[139:140]
	v_fma_f64 v[139:140], v[127:128], v[161:162], v[186:187]
	v_add_f64 v[131:132], v[131:132], v[149:150]
	ds_read_b128 v[125:128], v177 offset:1712
	s_waitcnt vmcnt(43) lgkmcnt(1)
	v_mul_f64 v[159:160], v[3:4], v[167:168]
	v_mul_f64 v[149:150], v[1:2], v[167:168]
	s_waitcnt vmcnt(41)
	v_fma_f64 v[145:146], v[5:6], v[147:148], -v[145:146]
	v_fma_f64 v[133:134], v[7:8], v[147:148], v[133:134]
	ds_read_b128 v[5:8], v177 offset:1728
	v_add_f64 v[129:130], v[129:130], v[153:154]
	v_add_f64 v[131:132], v[131:132], v[139:140]
	s_waitcnt vmcnt(37) lgkmcnt(1)
	v_mul_f64 v[139:140], v[125:126], v[151:152]
	v_mul_f64 v[147:148], v[127:128], v[151:152]
	s_waitcnt vmcnt(36)
	v_fma_f64 v[151:152], v[1:2], v[169:170], -v[159:160]
	v_add_f64 v[129:130], v[129:130], v[145:146]
	v_fma_f64 v[145:146], v[3:4], v[169:170], v[149:150]
	v_add_f64 v[131:132], v[131:132], v[133:134]
	ds_read_b128 v[1:4], v177 offset:1744
	s_waitcnt vmcnt(35) lgkmcnt(1)
	v_mul_f64 v[149:150], v[7:8], v[173:174]
	v_mul_f64 v[133:134], v[5:6], v[173:174]
	s_waitcnt vmcnt(33)
	v_fma_f64 v[147:148], v[125:126], v[155:156], -v[147:148]
	v_fma_f64 v[139:140], v[127:128], v[155:156], v[139:140]
	ds_read_b128 v[125:128], v177 offset:1760
	v_add_f64 v[129:130], v[129:130], v[151:152]
	v_add_f64 v[131:132], v[131:132], v[145:146]
	s_waitcnt vmcnt(29) lgkmcnt(1)
	v_mul_f64 v[151:152], v[3:4], v[157:158]
	s_waitcnt vmcnt(28)
	v_fma_f64 v[149:150], v[5:6], v[175:176], -v[149:150]
	v_mul_f64 v[145:146], v[1:2], v[157:158]
	v_fma_f64 v[133:134], v[7:8], v[175:176], v[133:134]
	ds_read_b128 v[5:8], v177 offset:1776
	v_add_f64 v[129:130], v[129:130], v[147:148]
	v_add_f64 v[131:132], v[131:132], v[139:140]
	s_waitcnt vmcnt(27) lgkmcnt(1)
	v_mul_f64 v[147:148], v[127:128], v[196:197]
	v_mul_f64 v[139:140], v[125:126], v[196:197]
	s_waitcnt vmcnt(25)
	v_fma_f64 v[151:152], v[1:2], v[163:164], -v[151:152]
	v_fma_f64 v[145:146], v[3:4], v[163:164], v[145:146]
	ds_read_b128 v[1:4], v177 offset:1792
	v_add_f64 v[129:130], v[129:130], v[149:150]
	v_add_f64 v[131:132], v[131:132], v[133:134]
	s_waitcnt vmcnt(21) lgkmcnt(1)
	v_mul_f64 v[149:150], v[7:8], v[165:166]
	s_waitcnt vmcnt(20)
	v_fma_f64 v[147:148], v[125:126], v[200:201], -v[147:148]
	v_mul_f64 v[133:134], v[5:6], v[165:166]
	v_fma_f64 v[139:140], v[127:128], v[200:201], v[139:140]
	ds_read_b128 v[125:128], v177 offset:1808
	v_add_f64 v[129:130], v[129:130], v[151:152]
	v_add_f64 v[131:132], v[131:132], v[145:146]
	;; [unrolled: 18-line block ×3, first 2 shown]
	s_waitcnt vmcnt(11) lgkmcnt(1)
	v_mul_f64 v[149:150], v[7:8], v[198:199]
	v_mul_f64 v[133:134], v[5:6], v[198:199]
	s_waitcnt vmcnt(9)
	v_fma_f64 v[125:126], v[125:126], v[135:136], -v[147:148]
	v_fma_f64 v[127:128], v[127:128], v[135:136], v[139:140]
	v_add_f64 v[129:130], v[129:130], v[151:152]
	v_add_f64 v[131:132], v[131:132], v[145:146]
	s_waitcnt vmcnt(7) lgkmcnt(0)
	v_mul_f64 v[139:140], v[3:4], v[141:142]
	s_waitcnt vmcnt(6)
	v_fma_f64 v[5:6], v[5:6], v[202:203], -v[149:150]
	v_mul_f64 v[135:136], v[1:2], v[141:142]
	v_fma_f64 v[7:8], v[7:8], v[202:203], v[133:134]
	v_add_f64 v[125:126], v[129:130], v[125:126]
	v_add_f64 v[127:128], v[131:132], v[127:128]
	s_waitcnt vmcnt(4)
	v_fma_f64 v[1:2], v[1:2], v[137:138], -v[139:140]
	v_fma_f64 v[3:4], v[3:4], v[137:138], v[135:136]
	v_add_f64 v[5:6], v[125:126], v[5:6]
	v_add_f64 v[7:8], v[127:128], v[7:8]
	;; [unrolled: 1-line block ×4, first 2 shown]
	s_waitcnt vmcnt(2)
	v_add_f64 v[1:2], v[143:144], -v[1:2]
	s_waitcnt vmcnt(0)
	v_add_f64 v[3:4], v[180:181], -v[3:4]
	buffer_store_dword v2, off, s[0:3], 0 offset:324
	buffer_store_dword v1, off, s[0:3], 0 offset:320
	;; [unrolled: 1-line block ×4, first 2 shown]
	v_cmpx_lt_u32_e32 18, v0
	s_cbranch_execz .LBB121_325
; %bb.324:
	v_mov_b32_e32 v4, s52
	v_mov_b32_e32 v5, 0
	s_clause 0x3
	buffer_load_dword v1, v4, s[0:3], 0 offen
	buffer_load_dword v2, v4, s[0:3], 0 offen offset:4
	buffer_load_dword v3, v4, s[0:3], 0 offen offset:8
	buffer_load_dword v4, v4, s[0:3], 0 offen offset:12
	buffer_store_dword v5, off, s[0:3], 0 offset:304
	buffer_store_dword v5, off, s[0:3], 0 offset:308
	;; [unrolled: 1-line block ×4, first 2 shown]
	s_waitcnt vmcnt(0)
	ds_write_b128 v185, v[1:4]
.LBB121_325:
	s_or_b32 exec_lo, exec_lo, s4
	s_waitcnt lgkmcnt(0)
	s_waitcnt_vscnt null, 0x0
	s_barrier
	buffer_gl0_inv
	s_clause 0x37
	buffer_load_dword v125, off, s[0:3], 0 offset:328
	buffer_load_dword v126, off, s[0:3], 0 offset:332
	;; [unrolled: 1-line block ×56, first 2 shown]
	v_mov_b32_e32 v177, 0
	s_mov_b32 s4, exec_lo
	ds_read_b128 v[178:181], v177 offset:1232
	s_clause 0x2
	buffer_load_dword v174, off, s[0:3], 0 offset:556
	buffer_load_dword v176, off, s[0:3], 0 offset:532
	;; [unrolled: 1-line block ×3, first 2 shown]
	ds_read_b128 v[186:189], v177 offset:1248
	s_clause 0x4
	buffer_load_dword v195, off, s[0:3], 0 offset:572
	buffer_load_dword v196, off, s[0:3], 0 offset:584
	buffer_load_dword v198, off, s[0:3], 0 offset:576
	buffer_load_dword v194, off, s[0:3], 0 offset:568
	buffer_load_dword v166, off, s[0:3], 0 offset:548
	ds_read_b128 v[190:193], v177 offset:1264
	s_clause 0x2
	buffer_load_dword v197, off, s[0:3], 0 offset:588
	buffer_load_dword v202, off, s[0:3], 0 offset:564
	;; [unrolled: 1-line block ×3, first 2 shown]
	s_waitcnt vmcnt(62) lgkmcnt(2)
	v_mul_f64 v[182:183], v[180:181], v[125:126]
	v_mul_f64 v[125:126], v[178:179], v[125:126]
	s_waitcnt lgkmcnt(1)
	v_mul_f64 v[199:200], v[188:189], v[5:6]
	s_waitcnt vmcnt(59) lgkmcnt(0)
	v_mul_f64 v[203:204], v[192:193], v[3:4]
	v_fma_f64 v[178:179], v[178:179], v[7:8], -v[182:183]
	v_mul_f64 v[182:183], v[186:187], v[5:6]
	v_fma_f64 v[125:126], v[180:181], v[7:8], v[125:126]
	s_waitcnt vmcnt(57)
	v_fma_f64 v[186:187], v[186:187], v[1:2], -v[199:200]
	ds_read_b128 v[5:8], v177 offset:1280
	v_mul_f64 v[180:181], v[190:191], v[3:4]
	s_waitcnt vmcnt(51)
	v_fma_f64 v[190:191], v[190:191], v[141:142], -v[203:204]
	v_add_f64 v[178:179], v[178:179], 0
	v_fma_f64 v[182:183], v[188:189], v[1:2], v[182:183]
	v_add_f64 v[125:126], v[125:126], 0
	s_clause 0x4
	buffer_load_dword v189, off, s[0:3], 0 offset:604
	buffer_load_dword v205, off, s[0:3], 0 offset:616
	;; [unrolled: 1-line block ×5, first 2 shown]
	s_waitcnt lgkmcnt(0)
	v_mul_f64 v[208:209], v[5:6], v[129:130]
	v_mul_f64 v[129:130], v[7:8], v[129:130]
	ds_read_b128 v[1:4], v177 offset:1296
	v_fma_f64 v[141:142], v[192:193], v[141:142], v[180:181]
	v_add_f64 v[186:187], v[178:179], v[186:187]
	v_add_f64 v[125:126], v[125:126], v[182:183]
	s_clause 0x2
	buffer_load_dword v206, off, s[0:3], 0 offset:620
	buffer_load_dword v183, off, s[0:3], 0 offset:596
	;; [unrolled: 1-line block ×3, first 2 shown]
	s_waitcnt vmcnt(58) lgkmcnt(0)
	v_mul_f64 v[192:193], v[1:2], v[133:134]
	v_mul_f64 v[133:134], v[3:4], v[133:134]
	s_waitcnt vmcnt(56)
	v_fma_f64 v[129:130], v[5:6], v[135:136], -v[129:130]
	ds_read_b128 v[178:181], v177 offset:1312
	v_fma_f64 v[135:136], v[7:8], v[135:136], v[208:209]
	v_add_f64 v[186:187], v[186:187], v[190:191]
	v_add_f64 v[125:126], v[125:126], v[141:142]
	s_clause 0x4
	buffer_load_dword v142, off, s[0:3], 0 offset:636
	buffer_load_dword v190, off, s[0:3], 0 offset:648
	;; [unrolled: 1-line block ×5, first 2 shown]
	ds_read_b128 v[5:8], v177 offset:1328
	s_waitcnt vmcnt(57) lgkmcnt(1)
	v_mul_f64 v[209:210], v[178:179], v[137:138]
	v_mul_f64 v[137:138], v[180:181], v[137:138]
	s_waitcnt vmcnt(56)
	v_fma_f64 v[133:134], v[1:2], v[127:128], -v[133:134]
	v_fma_f64 v[127:128], v[3:4], v[127:128], v[192:193]
	v_add_f64 v[129:130], v[186:187], v[129:130]
	v_add_f64 v[125:126], v[125:126], v[135:136]
	s_clause 0x2
	buffer_load_dword v191, off, s[0:3], 0 offset:652
	buffer_load_dword v136, off, s[0:3], 0 offset:628
	;; [unrolled: 1-line block ×3, first 2 shown]
	s_waitcnt vmcnt(58) lgkmcnt(0)
	v_mul_f64 v[186:187], v[5:6], v[143:144]
	v_mul_f64 v[143:144], v[7:8], v[143:144]
	s_waitcnt vmcnt(56)
	v_fma_f64 v[137:138], v[178:179], v[145:146], -v[137:138]
	ds_read_b128 v[1:4], v177 offset:1344
	v_add_f64 v[129:130], v[129:130], v[133:134]
	v_fma_f64 v[133:134], v[180:181], v[145:146], v[209:210]
	v_add_f64 v[145:146], v[125:126], v[127:128]
	s_clause 0x4
	buffer_load_dword v179, off, s[0:3], 0 offset:668
	buffer_load_dword v180, off, s[0:3], 0 offset:680
	;; [unrolled: 1-line block ×5, first 2 shown]
	ds_read_b128 v[125:128], v177 offset:1360
	s_waitcnt vmcnt(57) lgkmcnt(1)
	v_mul_f64 v[209:210], v[1:2], v[147:148]
	v_mul_f64 v[147:148], v[3:4], v[147:148]
	s_waitcnt vmcnt(56)
	v_fma_f64 v[143:144], v[5:6], v[131:132], -v[143:144]
	v_fma_f64 v[131:132], v[7:8], v[131:132], v[186:187]
	v_add_f64 v[129:130], v[129:130], v[137:138]
	s_clause 0x2
	buffer_load_dword v181, off, s[0:3], 0 offset:684
	buffer_load_dword v138, off, s[0:3], 0 offset:660
	;; [unrolled: 1-line block ×3, first 2 shown]
	v_add_f64 v[133:134], v[145:146], v[133:134]
	s_waitcnt vmcnt(58) lgkmcnt(0)
	v_mul_f64 v[145:146], v[125:126], v[151:152]
	v_mul_f64 v[151:152], v[127:128], v[151:152]
	ds_read_b128 v[5:8], v177 offset:1376
	s_waitcnt vmcnt(56)
	v_fma_f64 v[147:148], v[1:2], v[153:154], -v[147:148]
	v_add_f64 v[129:130], v[129:130], v[143:144]
	v_fma_f64 v[143:144], v[3:4], v[153:154], v[209:210]
	v_add_f64 v[131:132], v[133:134], v[131:132]
	s_clause 0x4
	buffer_load_dword v134, off, s[0:3], 0 offset:700
	buffer_load_dword v153, off, s[0:3], 0 offset:712
	;; [unrolled: 1-line block ×5, first 2 shown]
	s_waitcnt vmcnt(57) lgkmcnt(0)
	v_mul_f64 v[209:210], v[5:6], v[155:156]
	v_mul_f64 v[155:156], v[7:8], v[155:156]
	s_waitcnt vmcnt(56)
	v_fma_f64 v[151:152], v[125:126], v[139:140], -v[151:152]
	ds_read_b128 v[1:4], v177 offset:1392
	v_fma_f64 v[139:140], v[127:128], v[139:140], v[145:146]
	v_add_f64 v[129:130], v[129:130], v[147:148]
	v_add_f64 v[131:132], v[131:132], v[143:144]
	s_clause 0x2
	buffer_load_dword v154, off, s[0:3], 0 offset:716
	buffer_load_dword v144, off, s[0:3], 0 offset:692
	;; [unrolled: 1-line block ×3, first 2 shown]
	ds_read_b128 v[125:128], v177 offset:1408
	s_waitcnt vmcnt(58) lgkmcnt(1)
	v_mul_f64 v[147:148], v[3:4], v[159:160]
	s_waitcnt vmcnt(56)
	v_fma_f64 v[155:156], v[5:6], v[161:162], -v[155:156]
	v_mul_f64 v[145:146], v[1:2], v[159:160]
	v_add_f64 v[129:130], v[129:130], v[151:152]
	v_fma_f64 v[151:152], v[7:8], v[161:162], v[209:210]
	v_add_f64 v[131:132], v[131:132], v[139:140]
	s_clause 0x4
	buffer_load_dword v140, off, s[0:3], 0 offset:732
	buffer_load_dword v159, off, s[0:3], 0 offset:744
	;; [unrolled: 1-line block ×5, first 2 shown]
	s_waitcnt vmcnt(57) lgkmcnt(0)
	v_mul_f64 v[209:210], v[125:126], v[163:164]
	v_mul_f64 v[162:163], v[127:128], v[163:164]
	s_waitcnt vmcnt(56)
	v_fma_f64 v[147:148], v[1:2], v[149:150], -v[147:148]
	ds_read_b128 v[5:8], v177 offset:1424
	v_fma_f64 v[145:146], v[3:4], v[149:150], v[145:146]
	s_clause 0x2
	buffer_load_dword v160, off, s[0:3], 0 offset:748
	buffer_load_dword v150, off, s[0:3], 0 offset:724
	;; [unrolled: 1-line block ×3, first 2 shown]
	ds_read_b128 v[1:4], v177 offset:1440
	v_add_f64 v[129:130], v[129:130], v[155:156]
	v_add_f64 v[131:132], v[131:132], v[151:152]
	s_waitcnt vmcnt(58) lgkmcnt(1)
	v_mul_f64 v[155:156], v[7:8], v[167:168]
	s_waitcnt vmcnt(56)
	v_fma_f64 v[163:164], v[125:126], v[169:170], -v[162:163]
	v_mul_f64 v[151:152], v[5:6], v[167:168]
	v_add_f64 v[129:130], v[129:130], v[147:148]
	v_fma_f64 v[147:148], v[127:128], v[169:170], v[209:210]
	v_add_f64 v[131:132], v[131:132], v[145:146]
	s_clause 0x4
	buffer_load_dword v146, off, s[0:3], 0 offset:764
	buffer_load_dword v167, off, s[0:3], 0 offset:776
	;; [unrolled: 1-line block ×5, first 2 shown]
	s_waitcnt vmcnt(57) lgkmcnt(0)
	v_mul_f64 v[209:210], v[1:2], v[171:172]
	v_mul_f64 v[170:171], v[3:4], v[171:172]
	s_waitcnt vmcnt(56)
	v_fma_f64 v[155:156], v[5:6], v[157:158], -v[155:156]
	ds_read_b128 v[125:128], v177 offset:1456
	v_fma_f64 v[151:152], v[7:8], v[157:158], v[151:152]
	v_add_f64 v[129:130], v[129:130], v[163:164]
	v_add_f64 v[131:132], v[131:132], v[147:148]
	s_clause 0x2
	buffer_load_dword v168, off, s[0:3], 0 offset:780
	buffer_load_dword v148, off, s[0:3], 0 offset:756
	;; [unrolled: 1-line block ×3, first 2 shown]
	ds_read_b128 v[5:8], v177 offset:1472
	s_waitcnt vmcnt(58) lgkmcnt(1)
	v_mul_f64 v[163:164], v[127:128], v[173:174]
	s_waitcnt vmcnt(56)
	v_fma_f64 v[171:172], v[1:2], v[175:176], -v[170:171]
	v_mul_f64 v[157:158], v[125:126], v[173:174]
	v_add_f64 v[129:130], v[129:130], v[155:156]
	v_fma_f64 v[155:156], v[3:4], v[175:176], v[209:210]
	v_add_f64 v[131:132], v[131:132], v[151:152]
	s_clause 0x4
	buffer_load_dword v152, off, s[0:3], 0 offset:796
	buffer_load_dword v173, off, s[0:3], 0 offset:808
	;; [unrolled: 1-line block ×5, first 2 shown]
	s_waitcnt vmcnt(57) lgkmcnt(0)
	v_mul_f64 v[209:210], v[5:6], v[194:195]
	v_mul_f64 v[194:195], v[7:8], v[194:195]
	s_waitcnt vmcnt(56)
	v_fma_f64 v[163:164], v[125:126], v[165:166], -v[163:164]
	ds_read_b128 v[1:4], v177 offset:1488
	v_fma_f64 v[157:158], v[127:128], v[165:166], v[157:158]
	v_add_f64 v[129:130], v[129:130], v[171:172]
	v_add_f64 v[131:132], v[131:132], v[155:156]
	s_clause 0x2
	buffer_load_dword v174, off, s[0:3], 0 offset:812
	buffer_load_dword v156, off, s[0:3], 0 offset:788
	;; [unrolled: 1-line block ×3, first 2 shown]
	ds_read_b128 v[125:128], v177 offset:1504
	s_waitcnt vmcnt(58) lgkmcnt(1)
	v_mul_f64 v[171:172], v[3:4], v[196:197]
	s_waitcnt vmcnt(56)
	v_fma_f64 v[194:195], v[5:6], v[201:202], -v[194:195]
	v_mul_f64 v[165:166], v[1:2], v[196:197]
	v_add_f64 v[129:130], v[129:130], v[163:164]
	v_fma_f64 v[163:164], v[7:8], v[201:202], v[209:210]
	v_add_f64 v[131:132], v[131:132], v[157:158]
	s_clause 0x4
	buffer_load_dword v158, off, s[0:3], 0 offset:828
	buffer_load_dword v196, off, s[0:3], 0 offset:840
	;; [unrolled: 1-line block ×5, first 2 shown]
	ds_read_b128 v[5:8], v177 offset:1520
	s_waitcnt vmcnt(57) lgkmcnt(1)
	v_mul_f64 v[201:202], v[125:126], v[188:189]
	v_mul_f64 v[188:189], v[127:128], v[188:189]
	s_waitcnt vmcnt(56)
	v_fma_f64 v[171:172], v[1:2], v[198:199], -v[171:172]
	v_fma_f64 v[165:166], v[3:4], v[198:199], v[165:166]
	v_add_f64 v[129:130], v[129:130], v[194:195]
	v_add_f64 v[131:132], v[131:132], v[163:164]
	s_clause 0x2
	buffer_load_dword v197, off, s[0:3], 0 offset:844
	buffer_load_dword v164, off, s[0:3], 0 offset:820
	buffer_load_dword v163, off, s[0:3], 0 offset:816
	ds_read_b128 v[1:4], v177 offset:1536
	s_waitcnt vmcnt(58) lgkmcnt(1)
	v_mul_f64 v[198:199], v[7:8], v[205:206]
	v_mul_f64 v[194:195], v[5:6], v[205:206]
	s_waitcnt vmcnt(56)
	v_fma_f64 v[188:189], v[125:126], v[182:183], -v[188:189]
	v_add_f64 v[129:130], v[129:130], v[171:172]
	v_fma_f64 v[171:172], v[127:128], v[182:183], v[201:202]
	v_add_f64 v[131:132], v[131:132], v[165:166]
	s_clause 0x4
	buffer_load_dword v166, off, s[0:3], 0 offset:860
	buffer_load_dword v182, off, s[0:3], 0 offset:872
	;; [unrolled: 1-line block ×5, first 2 shown]
	ds_read_b128 v[125:128], v177 offset:1552
	s_waitcnt vmcnt(57) lgkmcnt(1)
	v_mul_f64 v[209:210], v[1:2], v[141:142]
	v_mul_f64 v[141:142], v[3:4], v[141:142]
	s_waitcnt vmcnt(56)
	v_fma_f64 v[198:199], v[5:6], v[207:208], -v[198:199]
	v_add_f64 v[129:130], v[129:130], v[188:189]
	v_fma_f64 v[188:189], v[7:8], v[207:208], v[194:195]
	v_add_f64 v[131:132], v[131:132], v[171:172]
	s_clause 0x2
	buffer_load_dword v183, off, s[0:3], 0 offset:876
	buffer_load_dword v172, off, s[0:3], 0 offset:852
	;; [unrolled: 1-line block ×3, first 2 shown]
	ds_read_b128 v[5:8], v177 offset:1568
	s_waitcnt vmcnt(58) lgkmcnt(1)
	v_mul_f64 v[194:195], v[125:126], v[190:191]
	v_mul_f64 v[190:191], v[127:128], v[190:191]
	s_waitcnt vmcnt(56)
	v_fma_f64 v[141:142], v[1:2], v[135:136], -v[141:142]
	v_fma_f64 v[135:136], v[3:4], v[135:136], v[209:210]
	v_add_f64 v[129:130], v[129:130], v[198:199]
	v_add_f64 v[131:132], v[131:132], v[188:189]
	s_clause 0x4
	buffer_load_dword v189, off, s[0:3], 0 offset:892
	buffer_load_dword v198, off, s[0:3], 0 offset:904
	;; [unrolled: 1-line block ×5, first 2 shown]
	ds_read_b128 v[1:4], v177 offset:1584
	s_waitcnt vmcnt(57) lgkmcnt(1)
	v_mul_f64 v[207:208], v[5:6], v[178:179]
	v_mul_f64 v[178:179], v[7:8], v[178:179]
	s_waitcnt vmcnt(56)
	v_fma_f64 v[190:191], v[125:126], v[203:204], -v[190:191]
	v_add_f64 v[129:130], v[129:130], v[141:142]
	v_fma_f64 v[141:142], v[127:128], v[203:204], v[194:195]
	v_add_f64 v[131:132], v[131:132], v[135:136]
	s_clause 0x2
	buffer_load_dword v199, off, s[0:3], 0 offset:908
	buffer_load_dword v136, off, s[0:3], 0 offset:884
	buffer_load_dword v135, off, s[0:3], 0 offset:880
	ds_read_b128 v[125:128], v177 offset:1600
	s_waitcnt vmcnt(58) lgkmcnt(1)
	v_mul_f64 v[194:195], v[1:2], v[180:181]
	v_mul_f64 v[180:181], v[3:4], v[180:181]
	s_waitcnt vmcnt(56)
	v_fma_f64 v[178:179], v[5:6], v[137:138], -v[178:179]
	v_fma_f64 v[137:138], v[7:8], v[137:138], v[207:208]
	v_add_f64 v[129:130], v[129:130], v[190:191]
	v_add_f64 v[131:132], v[131:132], v[141:142]
	s_clause 0x4
	buffer_load_dword v142, off, s[0:3], 0 offset:924
	buffer_load_dword v190, off, s[0:3], 0 offset:936
	;; [unrolled: 1-line block ×5, first 2 shown]
	ds_read_b128 v[5:8], v177 offset:1616
	s_waitcnt vmcnt(57) lgkmcnt(1)
	v_mul_f64 v[208:209], v[125:126], v[133:134]
	v_mul_f64 v[133:134], v[127:128], v[133:134]
	s_waitcnt vmcnt(56)
	v_fma_f64 v[180:181], v[1:2], v[192:193], -v[180:181]
	v_add_f64 v[129:130], v[129:130], v[178:179]
	v_fma_f64 v[178:179], v[3:4], v[192:193], v[194:195]
	v_add_f64 v[131:132], v[131:132], v[137:138]
	s_clause 0x2
	buffer_load_dword v191, off, s[0:3], 0 offset:940
	buffer_load_dword v138, off, s[0:3], 0 offset:916
	;; [unrolled: 1-line block ×3, first 2 shown]
	ds_read_b128 v[1:4], v177 offset:1632
	s_waitcnt vmcnt(58) lgkmcnt(1)
	v_mul_f64 v[192:193], v[5:6], v[153:154]
	v_mul_f64 v[153:154], v[7:8], v[153:154]
	s_waitcnt vmcnt(56)
	v_fma_f64 v[133:134], v[125:126], v[143:144], -v[133:134]
	v_fma_f64 v[143:144], v[127:128], v[143:144], v[208:209]
	buffer_load_dword v208, off, s[0:3], 0 offset:932
	ds_read_b128 v[125:128], v177 offset:1648
	v_add_f64 v[129:130], v[129:130], v[180:181]
	v_add_f64 v[131:132], v[131:132], v[178:179]
	s_waitcnt vmcnt(53) lgkmcnt(1)
	v_mul_f64 v[178:179], v[1:2], v[139:140]
	v_mul_f64 v[139:140], v[3:4], v[139:140]
	s_waitcnt vmcnt(52)
	v_fma_f64 v[153:154], v[5:6], v[186:187], -v[153:154]
	v_add_f64 v[129:130], v[129:130], v[133:134]
	v_fma_f64 v[133:134], v[7:8], v[186:187], v[192:193]
	v_add_f64 v[131:132], v[131:132], v[143:144]
	s_waitcnt vmcnt(51) lgkmcnt(0)
	v_mul_f64 v[143:144], v[125:126], v[159:160]
	v_mul_f64 v[159:160], v[127:128], v[159:160]
	ds_read_b128 v[5:8], v177 offset:1664
	s_waitcnt vmcnt(49)
	v_fma_f64 v[139:140], v[1:2], v[149:150], -v[139:140]
	v_fma_f64 v[149:150], v[3:4], v[149:150], v[178:179]
	v_add_f64 v[129:130], v[129:130], v[153:154]
	v_add_f64 v[131:132], v[131:132], v[133:134]
	s_clause 0x3
	buffer_load_dword v133, off, s[0:3], 0 offset:304
	buffer_load_dword v134, off, s[0:3], 0 offset:308
	;; [unrolled: 1-line block ×4, first 2 shown]
	ds_read_b128 v[1:4], v177 offset:1680
	s_waitcnt vmcnt(49) lgkmcnt(1)
	v_mul_f64 v[178:179], v[5:6], v[145:146]
	v_mul_f64 v[145:146], v[7:8], v[145:146]
	s_waitcnt vmcnt(48)
	v_fma_f64 v[159:160], v[125:126], v[161:162], -v[159:160]
	v_add_f64 v[129:130], v[129:130], v[139:140]
	v_fma_f64 v[139:140], v[127:128], v[161:162], v[143:144]
	v_add_f64 v[131:132], v[131:132], v[149:150]
	ds_read_b128 v[125:128], v177 offset:1696
	s_waitcnt vmcnt(47) lgkmcnt(1)
	v_mul_f64 v[149:150], v[3:4], v[167:168]
	v_mul_f64 v[143:144], v[1:2], v[167:168]
	s_waitcnt vmcnt(45)
	v_fma_f64 v[145:146], v[5:6], v[147:148], -v[145:146]
	v_fma_f64 v[147:148], v[7:8], v[147:148], v[178:179]
	ds_read_b128 v[5:8], v177 offset:1712
	v_add_f64 v[129:130], v[129:130], v[159:160]
	v_add_f64 v[131:132], v[131:132], v[139:140]
	s_waitcnt vmcnt(41) lgkmcnt(1)
	v_mul_f64 v[139:140], v[125:126], v[151:152]
	v_mul_f64 v[151:152], v[127:128], v[151:152]
	s_waitcnt vmcnt(40)
	v_fma_f64 v[149:150], v[1:2], v[169:170], -v[149:150]
	v_fma_f64 v[143:144], v[3:4], v[169:170], v[143:144]
	ds_read_b128 v[1:4], v177 offset:1728
	v_add_f64 v[129:130], v[129:130], v[145:146]
	v_add_f64 v[131:132], v[131:132], v[147:148]
	;; [unrolled: 9-line block ×3, first 2 shown]
	s_waitcnt vmcnt(33) lgkmcnt(1)
	v_mul_f64 v[149:150], v[3:4], v[157:158]
	s_waitcnt vmcnt(32)
	v_fma_f64 v[147:148], v[5:6], v[175:176], -v[147:148]
	v_mul_f64 v[143:144], v[1:2], v[157:158]
	v_fma_f64 v[145:146], v[7:8], v[175:176], v[145:146]
	ds_read_b128 v[5:8], v177 offset:1760
	v_add_f64 v[129:130], v[129:130], v[151:152]
	v_add_f64 v[131:132], v[131:132], v[139:140]
	s_waitcnt vmcnt(31) lgkmcnt(1)
	v_mul_f64 v[151:152], v[127:128], v[196:197]
	v_mul_f64 v[139:140], v[125:126], v[196:197]
	s_waitcnt vmcnt(29)
	v_fma_f64 v[149:150], v[1:2], v[163:164], -v[149:150]
	v_fma_f64 v[143:144], v[3:4], v[163:164], v[143:144]
	ds_read_b128 v[1:4], v177 offset:1776
	v_add_f64 v[129:130], v[129:130], v[147:148]
	v_add_f64 v[131:132], v[131:132], v[145:146]
	s_waitcnt vmcnt(25) lgkmcnt(1)
	v_mul_f64 v[147:148], v[7:8], v[165:166]
	s_waitcnt vmcnt(24)
	v_fma_f64 v[151:152], v[125:126], v[200:201], -v[151:152]
	v_mul_f64 v[145:146], v[5:6], v[165:166]
	v_fma_f64 v[139:140], v[127:128], v[200:201], v[139:140]
	ds_read_b128 v[125:128], v177 offset:1792
	v_add_f64 v[129:130], v[129:130], v[149:150]
	v_add_f64 v[131:132], v[131:132], v[143:144]
	s_waitcnt vmcnt(23) lgkmcnt(1)
	v_mul_f64 v[149:150], v[3:4], v[182:183]
	v_mul_f64 v[143:144], v[1:2], v[182:183]
	s_waitcnt vmcnt(21)
	v_fma_f64 v[147:148], v[5:6], v[171:172], -v[147:148]
	v_fma_f64 v[145:146], v[7:8], v[171:172], v[145:146]
	ds_read_b128 v[5:8], v177 offset:1808
	v_add_f64 v[129:130], v[129:130], v[151:152]
	v_add_f64 v[131:132], v[131:132], v[139:140]
	s_waitcnt vmcnt(17) lgkmcnt(1)
	v_mul_f64 v[151:152], v[127:128], v[188:189]
	s_waitcnt vmcnt(16)
	v_fma_f64 v[149:150], v[1:2], v[205:206], -v[149:150]
	v_mul_f64 v[139:140], v[125:126], v[188:189]
	v_fma_f64 v[143:144], v[3:4], v[205:206], v[143:144]
	ds_read_b128 v[1:4], v177 offset:1824
	v_add_f64 v[129:130], v[129:130], v[147:148]
	v_add_f64 v[131:132], v[131:132], v[145:146]
	s_waitcnt vmcnt(15) lgkmcnt(1)
	v_mul_f64 v[147:148], v[7:8], v[198:199]
	v_mul_f64 v[145:146], v[5:6], v[198:199]
	s_waitcnt vmcnt(13)
	v_fma_f64 v[151:152], v[125:126], v[135:136], -v[151:152]
	v_fma_f64 v[135:136], v[127:128], v[135:136], v[139:140]
	ds_read_b128 v[125:128], v177 offset:1840
	v_add_f64 v[129:130], v[129:130], v[149:150]
	v_add_f64 v[131:132], v[131:132], v[143:144]
	s_waitcnt vmcnt(9) lgkmcnt(1)
	v_mul_f64 v[139:140], v[1:2], v[141:142]
	v_mul_f64 v[141:142], v[3:4], v[141:142]
	s_waitcnt vmcnt(8)
	v_fma_f64 v[5:6], v[5:6], v[202:203], -v[147:148]
	v_fma_f64 v[7:8], v[7:8], v[202:203], v[145:146]
	v_add_f64 v[129:130], v[129:130], v[151:152]
	v_add_f64 v[131:132], v[131:132], v[135:136]
	s_waitcnt vmcnt(7) lgkmcnt(0)
	v_mul_f64 v[143:144], v[127:128], v[190:191]
	v_mul_f64 v[135:136], v[125:126], v[190:191]
	s_waitcnt vmcnt(5)
	v_fma_f64 v[1:2], v[1:2], v[137:138], -v[141:142]
	v_fma_f64 v[3:4], v[3:4], v[137:138], v[139:140]
	v_add_f64 v[5:6], v[129:130], v[5:6]
	v_add_f64 v[7:8], v[131:132], v[7:8]
	s_waitcnt vmcnt(4)
	v_fma_f64 v[125:126], v[125:126], v[207:208], -v[143:144]
	v_add_f64 v[1:2], v[5:6], v[1:2]
	v_fma_f64 v[5:6], v[127:128], v[207:208], v[135:136]
	v_add_f64 v[3:4], v[7:8], v[3:4]
	v_add_f64 v[1:2], v[1:2], v[125:126]
	;; [unrolled: 1-line block ×3, first 2 shown]
	s_waitcnt vmcnt(2)
	v_add_f64 v[1:2], v[133:134], -v[1:2]
	s_waitcnt vmcnt(0)
	v_add_f64 v[3:4], v[153:154], -v[3:4]
	buffer_store_dword v2, off, s[0:3], 0 offset:308
	buffer_store_dword v1, off, s[0:3], 0 offset:304
	;; [unrolled: 1-line block ×4, first 2 shown]
	v_cmpx_lt_u32_e32 17, v0
	s_cbranch_execz .LBB121_327
; %bb.326:
	v_mov_b32_e32 v4, s53
	s_clause 0x3
	buffer_load_dword v1, v4, s[0:3], 0 offen
	buffer_load_dword v2, v4, s[0:3], 0 offen offset:4
	buffer_load_dword v3, v4, s[0:3], 0 offen offset:8
	;; [unrolled: 1-line block ×3, first 2 shown]
	buffer_store_dword v177, off, s[0:3], 0 offset:288
	buffer_store_dword v177, off, s[0:3], 0 offset:292
	buffer_store_dword v177, off, s[0:3], 0 offset:296
	buffer_store_dword v177, off, s[0:3], 0 offset:300
	s_waitcnt vmcnt(0)
	ds_write_b128 v185, v[1:4]
.LBB121_327:
	s_or_b32 exec_lo, exec_lo, s4
	s_waitcnt lgkmcnt(0)
	s_waitcnt_vscnt null, 0x0
	s_barrier
	buffer_gl0_inv
	s_clause 0x37
	buffer_load_dword v125, off, s[0:3], 0 offset:312
	buffer_load_dword v126, off, s[0:3], 0 offset:316
	;; [unrolled: 1-line block ×56, first 2 shown]
	ds_read_b128 v[178:181], v177 offset:1216
	s_clause 0x2
	buffer_load_dword v174, off, s[0:3], 0 offset:540
	buffer_load_dword v176, off, s[0:3], 0 offset:516
	;; [unrolled: 1-line block ×3, first 2 shown]
	ds_read_b128 v[186:189], v177 offset:1232
	s_clause 0x4
	buffer_load_dword v195, off, s[0:3], 0 offset:556
	buffer_load_dword v196, off, s[0:3], 0 offset:568
	;; [unrolled: 1-line block ×5, first 2 shown]
	ds_read_b128 v[190:193], v177 offset:1248
	s_clause 0x2
	buffer_load_dword v197, off, s[0:3], 0 offset:572
	buffer_load_dword v202, off, s[0:3], 0 offset:548
	;; [unrolled: 1-line block ×3, first 2 shown]
	s_mov_b32 s4, exec_lo
	s_waitcnt vmcnt(62) lgkmcnt(2)
	v_mul_f64 v[182:183], v[180:181], v[125:126]
	v_mul_f64 v[125:126], v[178:179], v[125:126]
	s_waitcnt lgkmcnt(1)
	v_mul_f64 v[199:200], v[188:189], v[5:6]
	s_waitcnt vmcnt(59) lgkmcnt(0)
	v_mul_f64 v[203:204], v[192:193], v[3:4]
	v_fma_f64 v[178:179], v[178:179], v[7:8], -v[182:183]
	v_mul_f64 v[182:183], v[186:187], v[5:6]
	v_fma_f64 v[125:126], v[180:181], v[7:8], v[125:126]
	s_waitcnt vmcnt(57)
	v_fma_f64 v[186:187], v[186:187], v[1:2], -v[199:200]
	ds_read_b128 v[5:8], v177 offset:1264
	v_mul_f64 v[180:181], v[190:191], v[3:4]
	s_waitcnt vmcnt(51)
	v_fma_f64 v[190:191], v[190:191], v[141:142], -v[203:204]
	v_add_f64 v[178:179], v[178:179], 0
	v_fma_f64 v[182:183], v[188:189], v[1:2], v[182:183]
	v_add_f64 v[125:126], v[125:126], 0
	s_clause 0x4
	buffer_load_dword v189, off, s[0:3], 0 offset:588
	buffer_load_dword v205, off, s[0:3], 0 offset:600
	;; [unrolled: 1-line block ×5, first 2 shown]
	s_waitcnt lgkmcnt(0)
	v_mul_f64 v[208:209], v[5:6], v[129:130]
	v_mul_f64 v[129:130], v[7:8], v[129:130]
	ds_read_b128 v[1:4], v177 offset:1280
	v_fma_f64 v[141:142], v[192:193], v[141:142], v[180:181]
	v_add_f64 v[186:187], v[178:179], v[186:187]
	v_add_f64 v[125:126], v[125:126], v[182:183]
	s_clause 0x2
	buffer_load_dword v206, off, s[0:3], 0 offset:604
	buffer_load_dword v183, off, s[0:3], 0 offset:580
	;; [unrolled: 1-line block ×3, first 2 shown]
	s_waitcnt vmcnt(58) lgkmcnt(0)
	v_mul_f64 v[192:193], v[1:2], v[133:134]
	v_mul_f64 v[133:134], v[3:4], v[133:134]
	s_waitcnt vmcnt(56)
	v_fma_f64 v[129:130], v[5:6], v[135:136], -v[129:130]
	ds_read_b128 v[178:181], v177 offset:1296
	v_fma_f64 v[135:136], v[7:8], v[135:136], v[208:209]
	v_add_f64 v[186:187], v[186:187], v[190:191]
	v_add_f64 v[125:126], v[125:126], v[141:142]
	s_clause 0x4
	buffer_load_dword v142, off, s[0:3], 0 offset:620
	buffer_load_dword v190, off, s[0:3], 0 offset:632
	;; [unrolled: 1-line block ×5, first 2 shown]
	ds_read_b128 v[5:8], v177 offset:1312
	s_waitcnt vmcnt(57) lgkmcnt(1)
	v_mul_f64 v[209:210], v[178:179], v[137:138]
	v_mul_f64 v[137:138], v[180:181], v[137:138]
	s_waitcnt vmcnt(56)
	v_fma_f64 v[133:134], v[1:2], v[127:128], -v[133:134]
	v_fma_f64 v[127:128], v[3:4], v[127:128], v[192:193]
	v_add_f64 v[129:130], v[186:187], v[129:130]
	v_add_f64 v[125:126], v[125:126], v[135:136]
	s_clause 0x2
	buffer_load_dword v191, off, s[0:3], 0 offset:636
	buffer_load_dword v136, off, s[0:3], 0 offset:612
	;; [unrolled: 1-line block ×3, first 2 shown]
	s_waitcnt vmcnt(58) lgkmcnt(0)
	v_mul_f64 v[186:187], v[5:6], v[143:144]
	v_mul_f64 v[143:144], v[7:8], v[143:144]
	s_waitcnt vmcnt(56)
	v_fma_f64 v[137:138], v[178:179], v[145:146], -v[137:138]
	ds_read_b128 v[1:4], v177 offset:1328
	v_add_f64 v[129:130], v[129:130], v[133:134]
	v_fma_f64 v[133:134], v[180:181], v[145:146], v[209:210]
	v_add_f64 v[145:146], v[125:126], v[127:128]
	s_clause 0x4
	buffer_load_dword v179, off, s[0:3], 0 offset:652
	buffer_load_dword v180, off, s[0:3], 0 offset:664
	;; [unrolled: 1-line block ×5, first 2 shown]
	ds_read_b128 v[125:128], v177 offset:1344
	s_waitcnt vmcnt(57) lgkmcnt(1)
	v_mul_f64 v[209:210], v[1:2], v[147:148]
	v_mul_f64 v[147:148], v[3:4], v[147:148]
	s_waitcnt vmcnt(56)
	v_fma_f64 v[143:144], v[5:6], v[131:132], -v[143:144]
	v_fma_f64 v[131:132], v[7:8], v[131:132], v[186:187]
	v_add_f64 v[129:130], v[129:130], v[137:138]
	s_clause 0x2
	buffer_load_dword v181, off, s[0:3], 0 offset:668
	buffer_load_dword v138, off, s[0:3], 0 offset:644
	buffer_load_dword v137, off, s[0:3], 0 offset:640
	v_add_f64 v[133:134], v[145:146], v[133:134]
	s_waitcnt vmcnt(58) lgkmcnt(0)
	v_mul_f64 v[145:146], v[125:126], v[151:152]
	v_mul_f64 v[151:152], v[127:128], v[151:152]
	ds_read_b128 v[5:8], v177 offset:1360
	s_waitcnt vmcnt(56)
	v_fma_f64 v[147:148], v[1:2], v[153:154], -v[147:148]
	v_add_f64 v[129:130], v[129:130], v[143:144]
	v_fma_f64 v[143:144], v[3:4], v[153:154], v[209:210]
	v_add_f64 v[131:132], v[133:134], v[131:132]
	s_clause 0x4
	buffer_load_dword v134, off, s[0:3], 0 offset:684
	buffer_load_dword v153, off, s[0:3], 0 offset:696
	buffer_load_dword v186, off, s[0:3], 0 offset:688
	buffer_load_dword v133, off, s[0:3], 0 offset:680
	buffer_load_dword v193, off, s[0:3], 0 offset:660
	s_waitcnt vmcnt(57) lgkmcnt(0)
	v_mul_f64 v[209:210], v[5:6], v[155:156]
	v_mul_f64 v[155:156], v[7:8], v[155:156]
	s_waitcnt vmcnt(56)
	v_fma_f64 v[151:152], v[125:126], v[139:140], -v[151:152]
	ds_read_b128 v[1:4], v177 offset:1376
	v_fma_f64 v[139:140], v[127:128], v[139:140], v[145:146]
	v_add_f64 v[129:130], v[129:130], v[147:148]
	v_add_f64 v[131:132], v[131:132], v[143:144]
	s_clause 0x2
	buffer_load_dword v154, off, s[0:3], 0 offset:700
	buffer_load_dword v144, off, s[0:3], 0 offset:676
	;; [unrolled: 1-line block ×3, first 2 shown]
	ds_read_b128 v[125:128], v177 offset:1392
	s_waitcnt vmcnt(58) lgkmcnt(1)
	v_mul_f64 v[147:148], v[3:4], v[159:160]
	s_waitcnt vmcnt(56)
	v_fma_f64 v[155:156], v[5:6], v[161:162], -v[155:156]
	v_mul_f64 v[145:146], v[1:2], v[159:160]
	v_add_f64 v[129:130], v[129:130], v[151:152]
	v_fma_f64 v[151:152], v[7:8], v[161:162], v[209:210]
	v_add_f64 v[131:132], v[131:132], v[139:140]
	s_clause 0x4
	buffer_load_dword v140, off, s[0:3], 0 offset:716
	buffer_load_dword v159, off, s[0:3], 0 offset:728
	;; [unrolled: 1-line block ×5, first 2 shown]
	s_waitcnt vmcnt(57) lgkmcnt(0)
	v_mul_f64 v[209:210], v[125:126], v[163:164]
	v_mul_f64 v[162:163], v[127:128], v[163:164]
	s_waitcnt vmcnt(56)
	v_fma_f64 v[147:148], v[1:2], v[149:150], -v[147:148]
	ds_read_b128 v[5:8], v177 offset:1408
	v_fma_f64 v[145:146], v[3:4], v[149:150], v[145:146]
	s_clause 0x2
	buffer_load_dword v160, off, s[0:3], 0 offset:732
	buffer_load_dword v150, off, s[0:3], 0 offset:708
	;; [unrolled: 1-line block ×3, first 2 shown]
	ds_read_b128 v[1:4], v177 offset:1424
	v_add_f64 v[129:130], v[129:130], v[155:156]
	v_add_f64 v[131:132], v[131:132], v[151:152]
	s_waitcnt vmcnt(58) lgkmcnt(1)
	v_mul_f64 v[155:156], v[7:8], v[167:168]
	s_waitcnt vmcnt(56)
	v_fma_f64 v[163:164], v[125:126], v[169:170], -v[162:163]
	v_mul_f64 v[151:152], v[5:6], v[167:168]
	v_add_f64 v[129:130], v[129:130], v[147:148]
	v_fma_f64 v[147:148], v[127:128], v[169:170], v[209:210]
	v_add_f64 v[131:132], v[131:132], v[145:146]
	s_clause 0x4
	buffer_load_dword v146, off, s[0:3], 0 offset:748
	buffer_load_dword v167, off, s[0:3], 0 offset:760
	;; [unrolled: 1-line block ×5, first 2 shown]
	s_waitcnt vmcnt(57) lgkmcnt(0)
	v_mul_f64 v[209:210], v[1:2], v[171:172]
	v_mul_f64 v[170:171], v[3:4], v[171:172]
	s_waitcnt vmcnt(56)
	v_fma_f64 v[155:156], v[5:6], v[157:158], -v[155:156]
	ds_read_b128 v[125:128], v177 offset:1440
	v_fma_f64 v[151:152], v[7:8], v[157:158], v[151:152]
	v_add_f64 v[129:130], v[129:130], v[163:164]
	v_add_f64 v[131:132], v[131:132], v[147:148]
	s_clause 0x2
	buffer_load_dword v168, off, s[0:3], 0 offset:764
	buffer_load_dword v148, off, s[0:3], 0 offset:740
	;; [unrolled: 1-line block ×3, first 2 shown]
	ds_read_b128 v[5:8], v177 offset:1456
	s_waitcnt vmcnt(58) lgkmcnt(1)
	v_mul_f64 v[163:164], v[127:128], v[173:174]
	s_waitcnt vmcnt(56)
	v_fma_f64 v[171:172], v[1:2], v[175:176], -v[170:171]
	v_mul_f64 v[157:158], v[125:126], v[173:174]
	v_add_f64 v[129:130], v[129:130], v[155:156]
	v_fma_f64 v[155:156], v[3:4], v[175:176], v[209:210]
	v_add_f64 v[131:132], v[131:132], v[151:152]
	s_clause 0x4
	buffer_load_dword v152, off, s[0:3], 0 offset:780
	buffer_load_dword v173, off, s[0:3], 0 offset:792
	;; [unrolled: 1-line block ×5, first 2 shown]
	s_waitcnt vmcnt(57) lgkmcnt(0)
	v_mul_f64 v[209:210], v[5:6], v[194:195]
	v_mul_f64 v[194:195], v[7:8], v[194:195]
	s_waitcnt vmcnt(56)
	v_fma_f64 v[163:164], v[125:126], v[165:166], -v[163:164]
	ds_read_b128 v[1:4], v177 offset:1472
	v_fma_f64 v[157:158], v[127:128], v[165:166], v[157:158]
	v_add_f64 v[129:130], v[129:130], v[171:172]
	v_add_f64 v[131:132], v[131:132], v[155:156]
	s_clause 0x2
	buffer_load_dword v174, off, s[0:3], 0 offset:796
	buffer_load_dword v156, off, s[0:3], 0 offset:772
	;; [unrolled: 1-line block ×3, first 2 shown]
	ds_read_b128 v[125:128], v177 offset:1488
	s_waitcnt vmcnt(58) lgkmcnt(1)
	v_mul_f64 v[171:172], v[3:4], v[196:197]
	s_waitcnt vmcnt(56)
	v_fma_f64 v[194:195], v[5:6], v[201:202], -v[194:195]
	v_mul_f64 v[165:166], v[1:2], v[196:197]
	v_add_f64 v[129:130], v[129:130], v[163:164]
	v_fma_f64 v[163:164], v[7:8], v[201:202], v[209:210]
	v_add_f64 v[131:132], v[131:132], v[157:158]
	s_clause 0x4
	buffer_load_dword v158, off, s[0:3], 0 offset:812
	buffer_load_dword v196, off, s[0:3], 0 offset:824
	;; [unrolled: 1-line block ×5, first 2 shown]
	ds_read_b128 v[5:8], v177 offset:1504
	s_waitcnt vmcnt(57) lgkmcnt(1)
	v_mul_f64 v[201:202], v[125:126], v[188:189]
	v_mul_f64 v[188:189], v[127:128], v[188:189]
	s_waitcnt vmcnt(56)
	v_fma_f64 v[171:172], v[1:2], v[198:199], -v[171:172]
	v_fma_f64 v[165:166], v[3:4], v[198:199], v[165:166]
	v_add_f64 v[129:130], v[129:130], v[194:195]
	v_add_f64 v[131:132], v[131:132], v[163:164]
	s_clause 0x2
	buffer_load_dword v197, off, s[0:3], 0 offset:828
	buffer_load_dword v164, off, s[0:3], 0 offset:804
	;; [unrolled: 1-line block ×3, first 2 shown]
	ds_read_b128 v[1:4], v177 offset:1520
	s_waitcnt vmcnt(58) lgkmcnt(1)
	v_mul_f64 v[198:199], v[7:8], v[205:206]
	v_mul_f64 v[194:195], v[5:6], v[205:206]
	s_waitcnt vmcnt(56)
	v_fma_f64 v[188:189], v[125:126], v[182:183], -v[188:189]
	v_add_f64 v[129:130], v[129:130], v[171:172]
	v_fma_f64 v[171:172], v[127:128], v[182:183], v[201:202]
	v_add_f64 v[131:132], v[131:132], v[165:166]
	s_clause 0x4
	buffer_load_dword v166, off, s[0:3], 0 offset:844
	buffer_load_dword v182, off, s[0:3], 0 offset:856
	buffer_load_dword v205, off, s[0:3], 0 offset:848
	buffer_load_dword v165, off, s[0:3], 0 offset:840
	buffer_load_dword v201, off, s[0:3], 0 offset:820
	ds_read_b128 v[125:128], v177 offset:1536
	s_waitcnt vmcnt(57) lgkmcnt(1)
	v_mul_f64 v[209:210], v[1:2], v[141:142]
	v_mul_f64 v[141:142], v[3:4], v[141:142]
	s_waitcnt vmcnt(56)
	v_fma_f64 v[198:199], v[5:6], v[207:208], -v[198:199]
	v_add_f64 v[129:130], v[129:130], v[188:189]
	v_fma_f64 v[188:189], v[7:8], v[207:208], v[194:195]
	v_add_f64 v[131:132], v[131:132], v[171:172]
	s_clause 0x2
	buffer_load_dword v183, off, s[0:3], 0 offset:860
	buffer_load_dword v172, off, s[0:3], 0 offset:836
	buffer_load_dword v171, off, s[0:3], 0 offset:832
	ds_read_b128 v[5:8], v177 offset:1552
	s_waitcnt vmcnt(58) lgkmcnt(1)
	v_mul_f64 v[194:195], v[125:126], v[190:191]
	v_mul_f64 v[190:191], v[127:128], v[190:191]
	s_waitcnt vmcnt(56)
	v_fma_f64 v[141:142], v[1:2], v[135:136], -v[141:142]
	v_fma_f64 v[135:136], v[3:4], v[135:136], v[209:210]
	v_add_f64 v[129:130], v[129:130], v[198:199]
	v_add_f64 v[131:132], v[131:132], v[188:189]
	s_clause 0x4
	buffer_load_dword v189, off, s[0:3], 0 offset:876
	buffer_load_dword v198, off, s[0:3], 0 offset:888
	buffer_load_dword v202, off, s[0:3], 0 offset:880
	buffer_load_dword v188, off, s[0:3], 0 offset:872
	buffer_load_dword v206, off, s[0:3], 0 offset:852
	ds_read_b128 v[1:4], v177 offset:1568
	s_waitcnt vmcnt(57) lgkmcnt(1)
	v_mul_f64 v[207:208], v[5:6], v[178:179]
	v_mul_f64 v[178:179], v[7:8], v[178:179]
	s_waitcnt vmcnt(56)
	v_fma_f64 v[190:191], v[125:126], v[203:204], -v[190:191]
	v_add_f64 v[129:130], v[129:130], v[141:142]
	v_fma_f64 v[141:142], v[127:128], v[203:204], v[194:195]
	v_add_f64 v[131:132], v[131:132], v[135:136]
	s_clause 0x2
	buffer_load_dword v199, off, s[0:3], 0 offset:892
	buffer_load_dword v136, off, s[0:3], 0 offset:868
	buffer_load_dword v135, off, s[0:3], 0 offset:864
	ds_read_b128 v[125:128], v177 offset:1584
	s_waitcnt vmcnt(58) lgkmcnt(1)
	v_mul_f64 v[194:195], v[1:2], v[180:181]
	v_mul_f64 v[180:181], v[3:4], v[180:181]
	s_waitcnt vmcnt(56)
	v_fma_f64 v[178:179], v[5:6], v[137:138], -v[178:179]
	v_fma_f64 v[137:138], v[7:8], v[137:138], v[207:208]
	v_add_f64 v[129:130], v[129:130], v[190:191]
	;; [unrolled: 28-line block ×3, first 2 shown]
	v_add_f64 v[131:132], v[131:132], v[178:179]
	s_clause 0x2
	buffer_load_dword v179, off, s[0:3], 0 offset:940
	buffer_load_dword v178, off, s[0:3], 0 offset:936
	;; [unrolled: 1-line block ×3, first 2 shown]
	ds_read_b128 v[125:128], v177 offset:1632
	s_waitcnt vmcnt(55) lgkmcnt(1)
	v_mul_f64 v[180:181], v[1:2], v[139:140]
	v_mul_f64 v[139:140], v[3:4], v[139:140]
	s_waitcnt vmcnt(54)
	v_fma_f64 v[153:154], v[5:6], v[186:187], -v[153:154]
	v_add_f64 v[129:130], v[129:130], v[133:134]
	v_fma_f64 v[133:134], v[7:8], v[186:187], v[192:193]
	v_add_f64 v[131:132], v[131:132], v[143:144]
	s_clause 0x1
	buffer_load_dword v144, off, s[0:3], 0 offset:932
	buffer_load_dword v143, off, s[0:3], 0 offset:928
	s_waitcnt vmcnt(55) lgkmcnt(0)
	v_mul_f64 v[186:187], v[125:126], v[159:160]
	v_mul_f64 v[159:160], v[127:128], v[159:160]
	ds_read_b128 v[5:8], v177 offset:1648
	s_waitcnt vmcnt(53)
	v_fma_f64 v[139:140], v[1:2], v[149:150], -v[139:140]
	v_fma_f64 v[149:150], v[3:4], v[149:150], v[180:181]
	ds_read_b128 v[1:4], v177 offset:1664
	v_add_f64 v[129:130], v[129:130], v[153:154]
	v_add_f64 v[131:132], v[131:132], v[133:134]
	s_waitcnt vmcnt(49) lgkmcnt(1)
	v_mul_f64 v[133:134], v[5:6], v[145:146]
	v_mul_f64 v[145:146], v[7:8], v[145:146]
	s_waitcnt vmcnt(48)
	v_fma_f64 v[153:154], v[125:126], v[161:162], -v[159:160]
	v_add_f64 v[129:130], v[129:130], v[139:140]
	v_fma_f64 v[139:140], v[127:128], v[161:162], v[186:187]
	v_add_f64 v[131:132], v[131:132], v[149:150]
	s_clause 0x3
	buffer_load_dword v149, off, s[0:3], 0 offset:288
	buffer_load_dword v150, off, s[0:3], 0 offset:292
	;; [unrolled: 1-line block ×4, first 2 shown]
	ds_read_b128 v[125:128], v177 offset:1680
	s_waitcnt vmcnt(51) lgkmcnt(1)
	v_mul_f64 v[161:162], v[1:2], v[167:168]
	v_mul_f64 v[167:168], v[3:4], v[167:168]
	s_waitcnt vmcnt(49)
	v_fma_f64 v[145:146], v[5:6], v[147:148], -v[145:146]
	v_fma_f64 v[133:134], v[7:8], v[147:148], v[133:134]
	ds_read_b128 v[5:8], v177 offset:1696
	v_add_f64 v[129:130], v[129:130], v[153:154]
	v_add_f64 v[131:132], v[131:132], v[139:140]
	s_waitcnt vmcnt(45) lgkmcnt(1)
	v_mul_f64 v[139:140], v[125:126], v[151:152]
	v_mul_f64 v[147:148], v[127:128], v[151:152]
	s_waitcnt vmcnt(44)
	v_fma_f64 v[151:152], v[1:2], v[169:170], -v[167:168]
	v_add_f64 v[129:130], v[129:130], v[145:146]
	v_fma_f64 v[145:146], v[3:4], v[169:170], v[161:162]
	v_add_f64 v[131:132], v[131:132], v[133:134]
	ds_read_b128 v[1:4], v177 offset:1712
	s_waitcnt vmcnt(43) lgkmcnt(1)
	v_mul_f64 v[153:154], v[7:8], v[173:174]
	v_mul_f64 v[133:134], v[5:6], v[173:174]
	s_waitcnt vmcnt(41)
	v_fma_f64 v[147:148], v[125:126], v[155:156], -v[147:148]
	v_fma_f64 v[139:140], v[127:128], v[155:156], v[139:140]
	ds_read_b128 v[125:128], v177 offset:1728
	v_add_f64 v[129:130], v[129:130], v[151:152]
	v_add_f64 v[131:132], v[131:132], v[145:146]
	s_waitcnt vmcnt(37) lgkmcnt(1)
	v_mul_f64 v[151:152], v[3:4], v[157:158]
	s_waitcnt vmcnt(36)
	v_fma_f64 v[153:154], v[5:6], v[175:176], -v[153:154]
	v_mul_f64 v[145:146], v[1:2], v[157:158]
	v_fma_f64 v[133:134], v[7:8], v[175:176], v[133:134]
	ds_read_b128 v[5:8], v177 offset:1744
	v_add_f64 v[129:130], v[129:130], v[147:148]
	v_add_f64 v[131:132], v[131:132], v[139:140]
	s_waitcnt vmcnt(35) lgkmcnt(1)
	v_mul_f64 v[147:148], v[127:128], v[196:197]
	v_mul_f64 v[139:140], v[125:126], v[196:197]
	s_waitcnt vmcnt(33)
	v_fma_f64 v[151:152], v[1:2], v[163:164], -v[151:152]
	v_fma_f64 v[145:146], v[3:4], v[163:164], v[145:146]
	ds_read_b128 v[1:4], v177 offset:1760
	v_add_f64 v[129:130], v[129:130], v[153:154]
	v_add_f64 v[131:132], v[131:132], v[133:134]
	s_waitcnt vmcnt(29) lgkmcnt(1)
	v_mul_f64 v[153:154], v[7:8], v[165:166]
	s_waitcnt vmcnt(28)
	v_fma_f64 v[147:148], v[125:126], v[200:201], -v[147:148]
	v_mul_f64 v[133:134], v[5:6], v[165:166]
	v_fma_f64 v[139:140], v[127:128], v[200:201], v[139:140]
	ds_read_b128 v[125:128], v177 offset:1776
	v_add_f64 v[129:130], v[129:130], v[151:152]
	v_add_f64 v[131:132], v[131:132], v[145:146]
	;; [unrolled: 18-line block ×3, first 2 shown]
	s_waitcnt vmcnt(19) lgkmcnt(1)
	v_mul_f64 v[153:154], v[7:8], v[198:199]
	v_mul_f64 v[133:134], v[5:6], v[198:199]
	s_waitcnt vmcnt(17)
	v_fma_f64 v[147:148], v[125:126], v[135:136], -v[147:148]
	v_fma_f64 v[135:136], v[127:128], v[135:136], v[139:140]
	ds_read_b128 v[125:128], v177 offset:1824
	v_add_f64 v[129:130], v[129:130], v[151:152]
	v_add_f64 v[131:132], v[131:132], v[145:146]
	s_waitcnt vmcnt(13) lgkmcnt(1)
	v_mul_f64 v[139:140], v[1:2], v[141:142]
	v_mul_f64 v[141:142], v[3:4], v[141:142]
	s_waitcnt vmcnt(12)
	v_fma_f64 v[145:146], v[5:6], v[202:203], -v[153:154]
	v_fma_f64 v[133:134], v[7:8], v[202:203], v[133:134]
	ds_read_b128 v[5:8], v177 offset:1840
	v_add_f64 v[129:130], v[129:130], v[147:148]
	v_add_f64 v[131:132], v[131:132], v[135:136]
	s_waitcnt vmcnt(11) lgkmcnt(1)
	v_mul_f64 v[147:148], v[127:128], v[190:191]
	v_mul_f64 v[135:136], v[125:126], v[190:191]
	s_waitcnt vmcnt(9)
	v_fma_f64 v[1:2], v[1:2], v[137:138], -v[141:142]
	v_fma_f64 v[3:4], v[3:4], v[137:138], v[139:140]
	v_add_f64 v[129:130], v[129:130], v[145:146]
	v_add_f64 v[131:132], v[131:132], v[133:134]
	s_waitcnt vmcnt(7) lgkmcnt(0)
	v_mul_f64 v[137:138], v[7:8], v[178:179]
	s_waitcnt vmcnt(6)
	v_fma_f64 v[125:126], v[125:126], v[207:208], -v[147:148]
	v_mul_f64 v[133:134], v[5:6], v[178:179]
	v_fma_f64 v[127:128], v[127:128], v[207:208], v[135:136]
	v_add_f64 v[1:2], v[129:130], v[1:2]
	v_add_f64 v[3:4], v[131:132], v[3:4]
	s_waitcnt vmcnt(4)
	v_fma_f64 v[5:6], v[5:6], v[143:144], -v[137:138]
	v_fma_f64 v[7:8], v[7:8], v[143:144], v[133:134]
	v_add_f64 v[1:2], v[1:2], v[125:126]
	v_add_f64 v[3:4], v[3:4], v[127:128]
	;; [unrolled: 1-line block ×4, first 2 shown]
	s_waitcnt vmcnt(2)
	v_add_f64 v[1:2], v[149:150], -v[1:2]
	s_waitcnt vmcnt(0)
	v_add_f64 v[3:4], v[159:160], -v[3:4]
	buffer_store_dword v2, off, s[0:3], 0 offset:292
	buffer_store_dword v1, off, s[0:3], 0 offset:288
	;; [unrolled: 1-line block ×4, first 2 shown]
	v_cmpx_lt_u32_e32 16, v0
	s_cbranch_execz .LBB121_329
; %bb.328:
	v_mov_b32_e32 v4, s54
	v_mov_b32_e32 v5, 0
	s_clause 0x3
	buffer_load_dword v1, v4, s[0:3], 0 offen
	buffer_load_dword v2, v4, s[0:3], 0 offen offset:4
	buffer_load_dword v3, v4, s[0:3], 0 offen offset:8
	;; [unrolled: 1-line block ×3, first 2 shown]
	buffer_store_dword v5, off, s[0:3], 0 offset:272
	buffer_store_dword v5, off, s[0:3], 0 offset:276
	;; [unrolled: 1-line block ×4, first 2 shown]
	s_waitcnt vmcnt(0)
	ds_write_b128 v185, v[1:4]
.LBB121_329:
	s_or_b32 exec_lo, exec_lo, s4
	s_waitcnt lgkmcnt(0)
	s_waitcnt_vscnt null, 0x0
	s_barrier
	buffer_gl0_inv
	s_clause 0x37
	buffer_load_dword v125, off, s[0:3], 0 offset:296
	buffer_load_dword v126, off, s[0:3], 0 offset:300
	;; [unrolled: 1-line block ×56, first 2 shown]
	v_mov_b32_e32 v177, 0
	s_mov_b32 s4, exec_lo
	ds_read_b128 v[178:181], v177 offset:1200
	s_clause 0x2
	buffer_load_dword v174, off, s[0:3], 0 offset:524
	buffer_load_dword v176, off, s[0:3], 0 offset:500
	;; [unrolled: 1-line block ×3, first 2 shown]
	ds_read_b128 v[186:189], v177 offset:1216
	s_clause 0x4
	buffer_load_dword v195, off, s[0:3], 0 offset:540
	buffer_load_dword v196, off, s[0:3], 0 offset:552
	;; [unrolled: 1-line block ×5, first 2 shown]
	ds_read_b128 v[190:193], v177 offset:1232
	s_clause 0x2
	buffer_load_dword v197, off, s[0:3], 0 offset:556
	buffer_load_dword v202, off, s[0:3], 0 offset:532
	;; [unrolled: 1-line block ×3, first 2 shown]
	s_waitcnt vmcnt(62) lgkmcnt(2)
	v_mul_f64 v[182:183], v[180:181], v[125:126]
	v_mul_f64 v[125:126], v[178:179], v[125:126]
	s_waitcnt lgkmcnt(1)
	v_mul_f64 v[199:200], v[188:189], v[5:6]
	s_waitcnt vmcnt(59) lgkmcnt(0)
	v_mul_f64 v[203:204], v[192:193], v[3:4]
	v_fma_f64 v[178:179], v[178:179], v[7:8], -v[182:183]
	v_mul_f64 v[182:183], v[186:187], v[5:6]
	v_fma_f64 v[125:126], v[180:181], v[7:8], v[125:126]
	s_waitcnt vmcnt(57)
	v_fma_f64 v[186:187], v[186:187], v[1:2], -v[199:200]
	ds_read_b128 v[5:8], v177 offset:1248
	v_mul_f64 v[180:181], v[190:191], v[3:4]
	s_waitcnt vmcnt(51)
	v_fma_f64 v[190:191], v[190:191], v[141:142], -v[203:204]
	v_add_f64 v[178:179], v[178:179], 0
	v_fma_f64 v[182:183], v[188:189], v[1:2], v[182:183]
	v_add_f64 v[125:126], v[125:126], 0
	s_clause 0x4
	buffer_load_dword v189, off, s[0:3], 0 offset:572
	buffer_load_dword v205, off, s[0:3], 0 offset:584
	buffer_load_dword v207, off, s[0:3], 0 offset:576
	buffer_load_dword v188, off, s[0:3], 0 offset:568
	buffer_load_dword v199, off, s[0:3], 0 offset:548
	s_waitcnt lgkmcnt(0)
	v_mul_f64 v[208:209], v[5:6], v[129:130]
	v_mul_f64 v[129:130], v[7:8], v[129:130]
	ds_read_b128 v[1:4], v177 offset:1264
	v_fma_f64 v[141:142], v[192:193], v[141:142], v[180:181]
	v_add_f64 v[186:187], v[178:179], v[186:187]
	v_add_f64 v[125:126], v[125:126], v[182:183]
	s_clause 0x2
	buffer_load_dword v206, off, s[0:3], 0 offset:588
	buffer_load_dword v183, off, s[0:3], 0 offset:564
	;; [unrolled: 1-line block ×3, first 2 shown]
	s_waitcnt vmcnt(58) lgkmcnt(0)
	v_mul_f64 v[192:193], v[1:2], v[133:134]
	v_mul_f64 v[133:134], v[3:4], v[133:134]
	s_waitcnt vmcnt(56)
	v_fma_f64 v[129:130], v[5:6], v[135:136], -v[129:130]
	ds_read_b128 v[178:181], v177 offset:1280
	v_fma_f64 v[135:136], v[7:8], v[135:136], v[208:209]
	v_add_f64 v[186:187], v[186:187], v[190:191]
	v_add_f64 v[125:126], v[125:126], v[141:142]
	s_clause 0x4
	buffer_load_dword v142, off, s[0:3], 0 offset:604
	buffer_load_dword v190, off, s[0:3], 0 offset:616
	;; [unrolled: 1-line block ×5, first 2 shown]
	ds_read_b128 v[5:8], v177 offset:1296
	s_waitcnt vmcnt(57) lgkmcnt(1)
	v_mul_f64 v[209:210], v[178:179], v[137:138]
	v_mul_f64 v[137:138], v[180:181], v[137:138]
	s_waitcnt vmcnt(56)
	v_fma_f64 v[133:134], v[1:2], v[127:128], -v[133:134]
	v_fma_f64 v[127:128], v[3:4], v[127:128], v[192:193]
	v_add_f64 v[129:130], v[186:187], v[129:130]
	v_add_f64 v[125:126], v[125:126], v[135:136]
	s_clause 0x2
	buffer_load_dword v191, off, s[0:3], 0 offset:620
	buffer_load_dword v136, off, s[0:3], 0 offset:596
	;; [unrolled: 1-line block ×3, first 2 shown]
	s_waitcnt vmcnt(58) lgkmcnt(0)
	v_mul_f64 v[186:187], v[5:6], v[143:144]
	v_mul_f64 v[143:144], v[7:8], v[143:144]
	s_waitcnt vmcnt(56)
	v_fma_f64 v[137:138], v[178:179], v[145:146], -v[137:138]
	ds_read_b128 v[1:4], v177 offset:1312
	v_add_f64 v[129:130], v[129:130], v[133:134]
	v_fma_f64 v[133:134], v[180:181], v[145:146], v[209:210]
	v_add_f64 v[145:146], v[125:126], v[127:128]
	s_clause 0x4
	buffer_load_dword v179, off, s[0:3], 0 offset:636
	buffer_load_dword v180, off, s[0:3], 0 offset:648
	buffer_load_dword v192, off, s[0:3], 0 offset:640
	buffer_load_dword v178, off, s[0:3], 0 offset:632
	buffer_load_dword v204, off, s[0:3], 0 offset:612
	ds_read_b128 v[125:128], v177 offset:1328
	s_waitcnt vmcnt(57) lgkmcnt(1)
	v_mul_f64 v[209:210], v[1:2], v[147:148]
	v_mul_f64 v[147:148], v[3:4], v[147:148]
	s_waitcnt vmcnt(56)
	v_fma_f64 v[143:144], v[5:6], v[131:132], -v[143:144]
	v_fma_f64 v[131:132], v[7:8], v[131:132], v[186:187]
	v_add_f64 v[129:130], v[129:130], v[137:138]
	s_clause 0x2
	buffer_load_dword v181, off, s[0:3], 0 offset:652
	buffer_load_dword v138, off, s[0:3], 0 offset:628
	;; [unrolled: 1-line block ×3, first 2 shown]
	v_add_f64 v[133:134], v[145:146], v[133:134]
	s_waitcnt vmcnt(58) lgkmcnt(0)
	v_mul_f64 v[145:146], v[125:126], v[151:152]
	v_mul_f64 v[151:152], v[127:128], v[151:152]
	ds_read_b128 v[5:8], v177 offset:1344
	s_waitcnt vmcnt(56)
	v_fma_f64 v[147:148], v[1:2], v[153:154], -v[147:148]
	v_add_f64 v[129:130], v[129:130], v[143:144]
	v_fma_f64 v[143:144], v[3:4], v[153:154], v[209:210]
	v_add_f64 v[131:132], v[133:134], v[131:132]
	s_clause 0x4
	buffer_load_dword v134, off, s[0:3], 0 offset:668
	buffer_load_dword v153, off, s[0:3], 0 offset:680
	;; [unrolled: 1-line block ×5, first 2 shown]
	s_waitcnt vmcnt(57) lgkmcnt(0)
	v_mul_f64 v[209:210], v[5:6], v[155:156]
	v_mul_f64 v[155:156], v[7:8], v[155:156]
	s_waitcnt vmcnt(56)
	v_fma_f64 v[151:152], v[125:126], v[139:140], -v[151:152]
	ds_read_b128 v[1:4], v177 offset:1360
	v_fma_f64 v[139:140], v[127:128], v[139:140], v[145:146]
	v_add_f64 v[129:130], v[129:130], v[147:148]
	v_add_f64 v[131:132], v[131:132], v[143:144]
	s_clause 0x2
	buffer_load_dword v154, off, s[0:3], 0 offset:684
	buffer_load_dword v144, off, s[0:3], 0 offset:660
	;; [unrolled: 1-line block ×3, first 2 shown]
	ds_read_b128 v[125:128], v177 offset:1376
	s_waitcnt vmcnt(58) lgkmcnt(1)
	v_mul_f64 v[147:148], v[3:4], v[159:160]
	s_waitcnt vmcnt(56)
	v_fma_f64 v[155:156], v[5:6], v[161:162], -v[155:156]
	v_mul_f64 v[145:146], v[1:2], v[159:160]
	v_add_f64 v[129:130], v[129:130], v[151:152]
	v_fma_f64 v[151:152], v[7:8], v[161:162], v[209:210]
	v_add_f64 v[131:132], v[131:132], v[139:140]
	s_clause 0x4
	buffer_load_dword v140, off, s[0:3], 0 offset:700
	buffer_load_dword v159, off, s[0:3], 0 offset:712
	;; [unrolled: 1-line block ×5, first 2 shown]
	s_waitcnt vmcnt(57) lgkmcnt(0)
	v_mul_f64 v[209:210], v[125:126], v[163:164]
	v_mul_f64 v[162:163], v[127:128], v[163:164]
	s_waitcnt vmcnt(56)
	v_fma_f64 v[147:148], v[1:2], v[149:150], -v[147:148]
	ds_read_b128 v[5:8], v177 offset:1392
	v_fma_f64 v[145:146], v[3:4], v[149:150], v[145:146]
	s_clause 0x2
	buffer_load_dword v160, off, s[0:3], 0 offset:716
	buffer_load_dword v150, off, s[0:3], 0 offset:692
	;; [unrolled: 1-line block ×3, first 2 shown]
	ds_read_b128 v[1:4], v177 offset:1408
	v_add_f64 v[129:130], v[129:130], v[155:156]
	v_add_f64 v[131:132], v[131:132], v[151:152]
	s_waitcnt vmcnt(58) lgkmcnt(1)
	v_mul_f64 v[155:156], v[7:8], v[167:168]
	s_waitcnt vmcnt(56)
	v_fma_f64 v[163:164], v[125:126], v[169:170], -v[162:163]
	v_mul_f64 v[151:152], v[5:6], v[167:168]
	v_add_f64 v[129:130], v[129:130], v[147:148]
	v_fma_f64 v[147:148], v[127:128], v[169:170], v[209:210]
	v_add_f64 v[131:132], v[131:132], v[145:146]
	s_clause 0x4
	buffer_load_dword v146, off, s[0:3], 0 offset:732
	buffer_load_dword v167, off, s[0:3], 0 offset:744
	;; [unrolled: 1-line block ×5, first 2 shown]
	s_waitcnt vmcnt(57) lgkmcnt(0)
	v_mul_f64 v[209:210], v[1:2], v[171:172]
	v_mul_f64 v[170:171], v[3:4], v[171:172]
	s_waitcnt vmcnt(56)
	v_fma_f64 v[155:156], v[5:6], v[157:158], -v[155:156]
	ds_read_b128 v[125:128], v177 offset:1424
	v_fma_f64 v[151:152], v[7:8], v[157:158], v[151:152]
	v_add_f64 v[129:130], v[129:130], v[163:164]
	v_add_f64 v[131:132], v[131:132], v[147:148]
	s_clause 0x2
	buffer_load_dword v168, off, s[0:3], 0 offset:748
	buffer_load_dword v148, off, s[0:3], 0 offset:724
	;; [unrolled: 1-line block ×3, first 2 shown]
	ds_read_b128 v[5:8], v177 offset:1440
	s_waitcnt vmcnt(58) lgkmcnt(1)
	v_mul_f64 v[163:164], v[127:128], v[173:174]
	s_waitcnt vmcnt(56)
	v_fma_f64 v[171:172], v[1:2], v[175:176], -v[170:171]
	v_mul_f64 v[157:158], v[125:126], v[173:174]
	v_add_f64 v[129:130], v[129:130], v[155:156]
	v_fma_f64 v[155:156], v[3:4], v[175:176], v[209:210]
	v_add_f64 v[131:132], v[131:132], v[151:152]
	s_clause 0x4
	buffer_load_dword v152, off, s[0:3], 0 offset:764
	buffer_load_dword v173, off, s[0:3], 0 offset:776
	;; [unrolled: 1-line block ×5, first 2 shown]
	s_waitcnt vmcnt(57) lgkmcnt(0)
	v_mul_f64 v[209:210], v[5:6], v[194:195]
	v_mul_f64 v[194:195], v[7:8], v[194:195]
	s_waitcnt vmcnt(56)
	v_fma_f64 v[163:164], v[125:126], v[165:166], -v[163:164]
	ds_read_b128 v[1:4], v177 offset:1456
	v_fma_f64 v[157:158], v[127:128], v[165:166], v[157:158]
	v_add_f64 v[129:130], v[129:130], v[171:172]
	v_add_f64 v[131:132], v[131:132], v[155:156]
	s_clause 0x2
	buffer_load_dword v174, off, s[0:3], 0 offset:780
	buffer_load_dword v156, off, s[0:3], 0 offset:756
	;; [unrolled: 1-line block ×3, first 2 shown]
	ds_read_b128 v[125:128], v177 offset:1472
	s_waitcnt vmcnt(58) lgkmcnt(1)
	v_mul_f64 v[171:172], v[3:4], v[196:197]
	s_waitcnt vmcnt(56)
	v_fma_f64 v[194:195], v[5:6], v[201:202], -v[194:195]
	v_mul_f64 v[165:166], v[1:2], v[196:197]
	v_add_f64 v[129:130], v[129:130], v[163:164]
	v_fma_f64 v[163:164], v[7:8], v[201:202], v[209:210]
	v_add_f64 v[131:132], v[131:132], v[157:158]
	s_clause 0x4
	buffer_load_dword v158, off, s[0:3], 0 offset:796
	buffer_load_dword v196, off, s[0:3], 0 offset:808
	;; [unrolled: 1-line block ×5, first 2 shown]
	ds_read_b128 v[5:8], v177 offset:1488
	s_waitcnt vmcnt(57) lgkmcnt(1)
	v_mul_f64 v[201:202], v[125:126], v[188:189]
	v_mul_f64 v[188:189], v[127:128], v[188:189]
	s_waitcnt vmcnt(56)
	v_fma_f64 v[171:172], v[1:2], v[198:199], -v[171:172]
	v_fma_f64 v[165:166], v[3:4], v[198:199], v[165:166]
	v_add_f64 v[129:130], v[129:130], v[194:195]
	v_add_f64 v[131:132], v[131:132], v[163:164]
	s_clause 0x2
	buffer_load_dword v197, off, s[0:3], 0 offset:812
	buffer_load_dword v164, off, s[0:3], 0 offset:788
	;; [unrolled: 1-line block ×3, first 2 shown]
	ds_read_b128 v[1:4], v177 offset:1504
	s_waitcnt vmcnt(58) lgkmcnt(1)
	v_mul_f64 v[198:199], v[7:8], v[205:206]
	v_mul_f64 v[194:195], v[5:6], v[205:206]
	s_waitcnt vmcnt(56)
	v_fma_f64 v[188:189], v[125:126], v[182:183], -v[188:189]
	v_add_f64 v[129:130], v[129:130], v[171:172]
	v_fma_f64 v[171:172], v[127:128], v[182:183], v[201:202]
	v_add_f64 v[131:132], v[131:132], v[165:166]
	s_clause 0x4
	buffer_load_dword v166, off, s[0:3], 0 offset:828
	buffer_load_dword v182, off, s[0:3], 0 offset:840
	buffer_load_dword v205, off, s[0:3], 0 offset:832
	buffer_load_dword v165, off, s[0:3], 0 offset:824
	buffer_load_dword v201, off, s[0:3], 0 offset:804
	ds_read_b128 v[125:128], v177 offset:1520
	s_waitcnt vmcnt(57) lgkmcnt(1)
	v_mul_f64 v[209:210], v[1:2], v[141:142]
	v_mul_f64 v[141:142], v[3:4], v[141:142]
	s_waitcnt vmcnt(56)
	v_fma_f64 v[198:199], v[5:6], v[207:208], -v[198:199]
	v_add_f64 v[129:130], v[129:130], v[188:189]
	v_fma_f64 v[188:189], v[7:8], v[207:208], v[194:195]
	v_add_f64 v[131:132], v[131:132], v[171:172]
	s_clause 0x2
	buffer_load_dword v183, off, s[0:3], 0 offset:844
	buffer_load_dword v172, off, s[0:3], 0 offset:820
	buffer_load_dword v171, off, s[0:3], 0 offset:816
	ds_read_b128 v[5:8], v177 offset:1536
	s_waitcnt vmcnt(58) lgkmcnt(1)
	v_mul_f64 v[194:195], v[125:126], v[190:191]
	v_mul_f64 v[190:191], v[127:128], v[190:191]
	s_waitcnt vmcnt(56)
	v_fma_f64 v[141:142], v[1:2], v[135:136], -v[141:142]
	v_fma_f64 v[135:136], v[3:4], v[135:136], v[209:210]
	v_add_f64 v[129:130], v[129:130], v[198:199]
	v_add_f64 v[131:132], v[131:132], v[188:189]
	s_clause 0x4
	buffer_load_dword v189, off, s[0:3], 0 offset:860
	buffer_load_dword v198, off, s[0:3], 0 offset:872
	buffer_load_dword v202, off, s[0:3], 0 offset:864
	buffer_load_dword v188, off, s[0:3], 0 offset:856
	buffer_load_dword v206, off, s[0:3], 0 offset:836
	ds_read_b128 v[1:4], v177 offset:1552
	s_waitcnt vmcnt(57) lgkmcnt(1)
	v_mul_f64 v[207:208], v[5:6], v[178:179]
	v_mul_f64 v[178:179], v[7:8], v[178:179]
	s_waitcnt vmcnt(56)
	v_fma_f64 v[190:191], v[125:126], v[203:204], -v[190:191]
	v_add_f64 v[129:130], v[129:130], v[141:142]
	v_fma_f64 v[141:142], v[127:128], v[203:204], v[194:195]
	v_add_f64 v[131:132], v[131:132], v[135:136]
	s_clause 0x2
	buffer_load_dword v199, off, s[0:3], 0 offset:876
	buffer_load_dword v136, off, s[0:3], 0 offset:852
	buffer_load_dword v135, off, s[0:3], 0 offset:848
	ds_read_b128 v[125:128], v177 offset:1568
	s_waitcnt vmcnt(58) lgkmcnt(1)
	v_mul_f64 v[194:195], v[1:2], v[180:181]
	v_mul_f64 v[180:181], v[3:4], v[180:181]
	s_waitcnt vmcnt(56)
	v_fma_f64 v[178:179], v[5:6], v[137:138], -v[178:179]
	v_fma_f64 v[137:138], v[7:8], v[137:138], v[207:208]
	v_add_f64 v[129:130], v[129:130], v[190:191]
	;; [unrolled: 28-line block ×3, first 2 shown]
	v_add_f64 v[131:132], v[131:132], v[178:179]
	s_clause 0x4
	buffer_load_dword v179, off, s[0:3], 0 offset:924
	buffer_load_dword v180, off, s[0:3], 0 offset:936
	;; [unrolled: 1-line block ×5, first 2 shown]
	ds_read_b128 v[125:128], v177 offset:1616
	s_waitcnt vmcnt(57) lgkmcnt(1)
	v_mul_f64 v[209:210], v[1:2], v[139:140]
	v_mul_f64 v[139:140], v[3:4], v[139:140]
	s_waitcnt vmcnt(56)
	v_fma_f64 v[153:154], v[5:6], v[186:187], -v[153:154]
	v_add_f64 v[129:130], v[129:130], v[133:134]
	v_fma_f64 v[133:134], v[7:8], v[186:187], v[192:193]
	v_add_f64 v[131:132], v[131:132], v[143:144]
	s_clause 0x2
	buffer_load_dword v181, off, s[0:3], 0 offset:940
	buffer_load_dword v144, off, s[0:3], 0 offset:916
	;; [unrolled: 1-line block ×3, first 2 shown]
	s_waitcnt vmcnt(58) lgkmcnt(0)
	v_mul_f64 v[186:187], v[125:126], v[159:160]
	v_mul_f64 v[159:160], v[127:128], v[159:160]
	ds_read_b128 v[5:8], v177 offset:1632
	buffer_load_dword v195, off, s[0:3], 0 offset:932
	s_waitcnt vmcnt(57)
	v_fma_f64 v[139:140], v[1:2], v[149:150], -v[139:140]
	v_fma_f64 v[149:150], v[3:4], v[149:150], v[209:210]
	ds_read_b128 v[1:4], v177 offset:1648
	v_add_f64 v[129:130], v[129:130], v[153:154]
	v_add_f64 v[131:132], v[131:132], v[133:134]
	s_waitcnt vmcnt(53) lgkmcnt(1)
	v_mul_f64 v[133:134], v[5:6], v[145:146]
	v_mul_f64 v[145:146], v[7:8], v[145:146]
	s_waitcnt vmcnt(52)
	v_fma_f64 v[153:154], v[125:126], v[161:162], -v[159:160]
	v_add_f64 v[129:130], v[129:130], v[139:140]
	v_fma_f64 v[139:140], v[127:128], v[161:162], v[186:187]
	v_add_f64 v[131:132], v[131:132], v[149:150]
	ds_read_b128 v[125:128], v177 offset:1664
	s_waitcnt vmcnt(51) lgkmcnt(1)
	v_mul_f64 v[159:160], v[3:4], v[167:168]
	v_mul_f64 v[149:150], v[1:2], v[167:168]
	s_waitcnt vmcnt(49)
	v_fma_f64 v[145:146], v[5:6], v[147:148], -v[145:146]
	v_fma_f64 v[133:134], v[7:8], v[147:148], v[133:134]
	v_add_f64 v[129:130], v[129:130], v[153:154]
	v_add_f64 v[131:132], v[131:132], v[139:140]
	s_clause 0x3
	buffer_load_dword v139, off, s[0:3], 0 offset:272
	buffer_load_dword v140, off, s[0:3], 0 offset:276
	;; [unrolled: 1-line block ×4, first 2 shown]
	ds_read_b128 v[5:8], v177 offset:1680
	s_waitcnt vmcnt(49) lgkmcnt(1)
	v_mul_f64 v[153:154], v[125:126], v[151:152]
	v_mul_f64 v[151:152], v[127:128], v[151:152]
	s_waitcnt vmcnt(48)
	v_fma_f64 v[159:160], v[1:2], v[169:170], -v[159:160]
	v_add_f64 v[129:130], v[129:130], v[145:146]
	v_fma_f64 v[145:146], v[3:4], v[169:170], v[149:150]
	v_add_f64 v[131:132], v[131:132], v[133:134]
	ds_read_b128 v[1:4], v177 offset:1696
	s_waitcnt vmcnt(47) lgkmcnt(1)
	v_mul_f64 v[149:150], v[7:8], v[173:174]
	v_mul_f64 v[133:134], v[5:6], v[173:174]
	s_waitcnt vmcnt(45)
	v_fma_f64 v[151:152], v[125:126], v[155:156], -v[151:152]
	v_fma_f64 v[153:154], v[127:128], v[155:156], v[153:154]
	ds_read_b128 v[125:128], v177 offset:1712
	v_add_f64 v[129:130], v[129:130], v[159:160]
	v_add_f64 v[131:132], v[131:132], v[145:146]
	s_waitcnt vmcnt(41) lgkmcnt(1)
	v_mul_f64 v[155:156], v[3:4], v[157:158]
	s_waitcnt vmcnt(40)
	v_fma_f64 v[149:150], v[5:6], v[175:176], -v[149:150]
	v_mul_f64 v[145:146], v[1:2], v[157:158]
	v_fma_f64 v[133:134], v[7:8], v[175:176], v[133:134]
	ds_read_b128 v[5:8], v177 offset:1728
	v_add_f64 v[129:130], v[129:130], v[151:152]
	v_add_f64 v[131:132], v[131:132], v[153:154]
	s_waitcnt vmcnt(39) lgkmcnt(1)
	v_mul_f64 v[153:154], v[127:128], v[196:197]
	v_mul_f64 v[151:152], v[125:126], v[196:197]
	s_waitcnt vmcnt(37)
	v_fma_f64 v[155:156], v[1:2], v[163:164], -v[155:156]
	v_fma_f64 v[145:146], v[3:4], v[163:164], v[145:146]
	ds_read_b128 v[1:4], v177 offset:1744
	v_add_f64 v[129:130], v[129:130], v[149:150]
	v_add_f64 v[131:132], v[131:132], v[133:134]
	s_waitcnt vmcnt(33) lgkmcnt(1)
	v_mul_f64 v[149:150], v[7:8], v[165:166]
	s_waitcnt vmcnt(32)
	v_fma_f64 v[153:154], v[125:126], v[200:201], -v[153:154]
	v_mul_f64 v[133:134], v[5:6], v[165:166]
	v_fma_f64 v[151:152], v[127:128], v[200:201], v[151:152]
	ds_read_b128 v[125:128], v177 offset:1760
	v_add_f64 v[129:130], v[129:130], v[155:156]
	v_add_f64 v[131:132], v[131:132], v[145:146]
	;; [unrolled: 18-line block ×3, first 2 shown]
	s_waitcnt vmcnt(23) lgkmcnt(1)
	v_mul_f64 v[149:150], v[7:8], v[198:199]
	v_mul_f64 v[133:134], v[5:6], v[198:199]
	s_waitcnt vmcnt(21)
	v_fma_f64 v[153:154], v[125:126], v[135:136], -v[153:154]
	v_fma_f64 v[135:136], v[127:128], v[135:136], v[151:152]
	ds_read_b128 v[125:128], v177 offset:1808
	v_add_f64 v[129:130], v[129:130], v[155:156]
	v_add_f64 v[131:132], v[131:132], v[145:146]
	s_waitcnt vmcnt(17) lgkmcnt(1)
	v_mul_f64 v[145:146], v[1:2], v[141:142]
	v_mul_f64 v[141:142], v[3:4], v[141:142]
	s_waitcnt vmcnt(16)
	v_fma_f64 v[149:150], v[5:6], v[202:203], -v[149:150]
	v_fma_f64 v[133:134], v[7:8], v[202:203], v[133:134]
	ds_read_b128 v[5:8], v177 offset:1824
	v_add_f64 v[129:130], v[129:130], v[153:154]
	v_add_f64 v[131:132], v[131:132], v[135:136]
	s_waitcnt vmcnt(15) lgkmcnt(1)
	v_mul_f64 v[151:152], v[127:128], v[190:191]
	v_mul_f64 v[135:136], v[125:126], v[190:191]
	s_waitcnt vmcnt(13)
	v_fma_f64 v[141:142], v[1:2], v[137:138], -v[141:142]
	v_fma_f64 v[137:138], v[3:4], v[137:138], v[145:146]
	ds_read_b128 v[1:4], v177 offset:1840
	v_add_f64 v[129:130], v[129:130], v[149:150]
	v_add_f64 v[131:132], v[131:132], v[133:134]
	s_waitcnt vmcnt(9) lgkmcnt(1)
	v_mul_f64 v[145:146], v[7:8], v[178:179]
	s_waitcnt vmcnt(8)
	v_fma_f64 v[125:126], v[125:126], v[207:208], -v[151:152]
	v_mul_f64 v[133:134], v[5:6], v[178:179]
	v_fma_f64 v[127:128], v[127:128], v[207:208], v[135:136]
	v_add_f64 v[129:130], v[129:130], v[141:142]
	v_add_f64 v[131:132], v[131:132], v[137:138]
	s_waitcnt vmcnt(7) lgkmcnt(0)
	v_mul_f64 v[137:138], v[3:4], v[180:181]
	v_mul_f64 v[135:136], v[1:2], v[180:181]
	s_waitcnt vmcnt(5)
	v_fma_f64 v[5:6], v[5:6], v[143:144], -v[145:146]
	v_fma_f64 v[7:8], v[7:8], v[143:144], v[133:134]
	v_add_f64 v[125:126], v[129:130], v[125:126]
	v_add_f64 v[127:128], v[131:132], v[127:128]
	s_waitcnt vmcnt(4)
	v_fma_f64 v[1:2], v[1:2], v[194:195], -v[137:138]
	v_fma_f64 v[3:4], v[3:4], v[194:195], v[135:136]
	v_add_f64 v[5:6], v[125:126], v[5:6]
	v_add_f64 v[7:8], v[127:128], v[7:8]
	;; [unrolled: 1-line block ×4, first 2 shown]
	s_waitcnt vmcnt(2)
	v_add_f64 v[1:2], v[139:140], -v[1:2]
	s_waitcnt vmcnt(0)
	v_add_f64 v[3:4], v[147:148], -v[3:4]
	buffer_store_dword v2, off, s[0:3], 0 offset:276
	buffer_store_dword v1, off, s[0:3], 0 offset:272
	;; [unrolled: 1-line block ×4, first 2 shown]
	v_cmpx_lt_u32_e32 15, v0
	s_cbranch_execz .LBB121_331
; %bb.330:
	v_mov_b32_e32 v4, s55
	s_clause 0x3
	buffer_load_dword v1, v4, s[0:3], 0 offen
	buffer_load_dword v2, v4, s[0:3], 0 offen offset:4
	buffer_load_dword v3, v4, s[0:3], 0 offen offset:8
	;; [unrolled: 1-line block ×3, first 2 shown]
	buffer_store_dword v177, off, s[0:3], 0 offset:256
	buffer_store_dword v177, off, s[0:3], 0 offset:260
	;; [unrolled: 1-line block ×4, first 2 shown]
	s_waitcnt vmcnt(0)
	ds_write_b128 v185, v[1:4]
.LBB121_331:
	s_or_b32 exec_lo, exec_lo, s4
	s_waitcnt lgkmcnt(0)
	s_waitcnt_vscnt null, 0x0
	s_barrier
	buffer_gl0_inv
	s_clause 0x37
	buffer_load_dword v125, off, s[0:3], 0 offset:280
	buffer_load_dword v126, off, s[0:3], 0 offset:284
	;; [unrolled: 1-line block ×56, first 2 shown]
	ds_read_b128 v[178:181], v177 offset:1184
	s_clause 0x2
	buffer_load_dword v174, off, s[0:3], 0 offset:508
	buffer_load_dword v176, off, s[0:3], 0 offset:484
	;; [unrolled: 1-line block ×3, first 2 shown]
	ds_read_b128 v[186:189], v177 offset:1200
	s_clause 0x4
	buffer_load_dword v195, off, s[0:3], 0 offset:524
	buffer_load_dword v196, off, s[0:3], 0 offset:536
	;; [unrolled: 1-line block ×5, first 2 shown]
	ds_read_b128 v[190:193], v177 offset:1216
	s_clause 0x2
	buffer_load_dword v197, off, s[0:3], 0 offset:540
	buffer_load_dword v202, off, s[0:3], 0 offset:516
	;; [unrolled: 1-line block ×3, first 2 shown]
	s_mov_b32 s4, exec_lo
	s_waitcnt vmcnt(62) lgkmcnt(2)
	v_mul_f64 v[182:183], v[180:181], v[125:126]
	v_mul_f64 v[125:126], v[178:179], v[125:126]
	s_waitcnt lgkmcnt(1)
	v_mul_f64 v[199:200], v[188:189], v[5:6]
	s_waitcnt vmcnt(59) lgkmcnt(0)
	v_mul_f64 v[203:204], v[192:193], v[3:4]
	v_fma_f64 v[178:179], v[178:179], v[7:8], -v[182:183]
	v_mul_f64 v[182:183], v[186:187], v[5:6]
	v_fma_f64 v[125:126], v[180:181], v[7:8], v[125:126]
	s_waitcnt vmcnt(57)
	v_fma_f64 v[186:187], v[186:187], v[1:2], -v[199:200]
	ds_read_b128 v[5:8], v177 offset:1232
	v_mul_f64 v[180:181], v[190:191], v[3:4]
	s_waitcnt vmcnt(51)
	v_fma_f64 v[190:191], v[190:191], v[141:142], -v[203:204]
	v_add_f64 v[178:179], v[178:179], 0
	v_fma_f64 v[182:183], v[188:189], v[1:2], v[182:183]
	v_add_f64 v[125:126], v[125:126], 0
	s_clause 0x4
	buffer_load_dword v189, off, s[0:3], 0 offset:556
	buffer_load_dword v205, off, s[0:3], 0 offset:568
	;; [unrolled: 1-line block ×5, first 2 shown]
	s_waitcnt lgkmcnt(0)
	v_mul_f64 v[208:209], v[5:6], v[129:130]
	v_mul_f64 v[129:130], v[7:8], v[129:130]
	ds_read_b128 v[1:4], v177 offset:1248
	v_fma_f64 v[141:142], v[192:193], v[141:142], v[180:181]
	v_add_f64 v[186:187], v[178:179], v[186:187]
	v_add_f64 v[125:126], v[125:126], v[182:183]
	s_clause 0x2
	buffer_load_dword v206, off, s[0:3], 0 offset:572
	buffer_load_dword v183, off, s[0:3], 0 offset:548
	;; [unrolled: 1-line block ×3, first 2 shown]
	s_waitcnt vmcnt(58) lgkmcnt(0)
	v_mul_f64 v[192:193], v[1:2], v[133:134]
	v_mul_f64 v[133:134], v[3:4], v[133:134]
	s_waitcnt vmcnt(56)
	v_fma_f64 v[129:130], v[5:6], v[135:136], -v[129:130]
	ds_read_b128 v[178:181], v177 offset:1264
	v_fma_f64 v[135:136], v[7:8], v[135:136], v[208:209]
	v_add_f64 v[186:187], v[186:187], v[190:191]
	v_add_f64 v[125:126], v[125:126], v[141:142]
	s_clause 0x4
	buffer_load_dword v142, off, s[0:3], 0 offset:588
	buffer_load_dword v190, off, s[0:3], 0 offset:600
	;; [unrolled: 1-line block ×5, first 2 shown]
	ds_read_b128 v[5:8], v177 offset:1280
	s_waitcnt vmcnt(57) lgkmcnt(1)
	v_mul_f64 v[209:210], v[178:179], v[137:138]
	v_mul_f64 v[137:138], v[180:181], v[137:138]
	s_waitcnt vmcnt(56)
	v_fma_f64 v[133:134], v[1:2], v[127:128], -v[133:134]
	v_fma_f64 v[127:128], v[3:4], v[127:128], v[192:193]
	v_add_f64 v[129:130], v[186:187], v[129:130]
	v_add_f64 v[125:126], v[125:126], v[135:136]
	s_clause 0x2
	buffer_load_dword v191, off, s[0:3], 0 offset:604
	buffer_load_dword v136, off, s[0:3], 0 offset:580
	;; [unrolled: 1-line block ×3, first 2 shown]
	s_waitcnt vmcnt(58) lgkmcnt(0)
	v_mul_f64 v[186:187], v[5:6], v[143:144]
	v_mul_f64 v[143:144], v[7:8], v[143:144]
	s_waitcnt vmcnt(56)
	v_fma_f64 v[137:138], v[178:179], v[145:146], -v[137:138]
	ds_read_b128 v[1:4], v177 offset:1296
	v_add_f64 v[129:130], v[129:130], v[133:134]
	v_fma_f64 v[133:134], v[180:181], v[145:146], v[209:210]
	v_add_f64 v[145:146], v[125:126], v[127:128]
	s_clause 0x4
	buffer_load_dword v179, off, s[0:3], 0 offset:620
	buffer_load_dword v180, off, s[0:3], 0 offset:632
	;; [unrolled: 1-line block ×5, first 2 shown]
	ds_read_b128 v[125:128], v177 offset:1312
	s_waitcnt vmcnt(57) lgkmcnt(1)
	v_mul_f64 v[209:210], v[1:2], v[147:148]
	v_mul_f64 v[147:148], v[3:4], v[147:148]
	s_waitcnt vmcnt(56)
	v_fma_f64 v[143:144], v[5:6], v[131:132], -v[143:144]
	v_fma_f64 v[131:132], v[7:8], v[131:132], v[186:187]
	v_add_f64 v[129:130], v[129:130], v[137:138]
	s_clause 0x2
	buffer_load_dword v181, off, s[0:3], 0 offset:636
	buffer_load_dword v138, off, s[0:3], 0 offset:612
	;; [unrolled: 1-line block ×3, first 2 shown]
	v_add_f64 v[133:134], v[145:146], v[133:134]
	s_waitcnt vmcnt(58) lgkmcnt(0)
	v_mul_f64 v[145:146], v[125:126], v[151:152]
	v_mul_f64 v[151:152], v[127:128], v[151:152]
	ds_read_b128 v[5:8], v177 offset:1328
	s_waitcnt vmcnt(56)
	v_fma_f64 v[147:148], v[1:2], v[153:154], -v[147:148]
	v_add_f64 v[129:130], v[129:130], v[143:144]
	v_fma_f64 v[143:144], v[3:4], v[153:154], v[209:210]
	v_add_f64 v[131:132], v[133:134], v[131:132]
	s_clause 0x4
	buffer_load_dword v134, off, s[0:3], 0 offset:652
	buffer_load_dword v153, off, s[0:3], 0 offset:664
	buffer_load_dword v186, off, s[0:3], 0 offset:656
	buffer_load_dword v133, off, s[0:3], 0 offset:648
	buffer_load_dword v193, off, s[0:3], 0 offset:628
	s_waitcnt vmcnt(57) lgkmcnt(0)
	v_mul_f64 v[209:210], v[5:6], v[155:156]
	v_mul_f64 v[155:156], v[7:8], v[155:156]
	s_waitcnt vmcnt(56)
	v_fma_f64 v[151:152], v[125:126], v[139:140], -v[151:152]
	ds_read_b128 v[1:4], v177 offset:1344
	v_fma_f64 v[139:140], v[127:128], v[139:140], v[145:146]
	v_add_f64 v[129:130], v[129:130], v[147:148]
	v_add_f64 v[131:132], v[131:132], v[143:144]
	s_clause 0x2
	buffer_load_dword v154, off, s[0:3], 0 offset:668
	buffer_load_dword v144, off, s[0:3], 0 offset:644
	;; [unrolled: 1-line block ×3, first 2 shown]
	ds_read_b128 v[125:128], v177 offset:1360
	s_waitcnt vmcnt(58) lgkmcnt(1)
	v_mul_f64 v[147:148], v[3:4], v[159:160]
	s_waitcnt vmcnt(56)
	v_fma_f64 v[155:156], v[5:6], v[161:162], -v[155:156]
	v_mul_f64 v[145:146], v[1:2], v[159:160]
	v_add_f64 v[129:130], v[129:130], v[151:152]
	v_fma_f64 v[151:152], v[7:8], v[161:162], v[209:210]
	v_add_f64 v[131:132], v[131:132], v[139:140]
	s_clause 0x4
	buffer_load_dword v140, off, s[0:3], 0 offset:684
	buffer_load_dword v159, off, s[0:3], 0 offset:696
	;; [unrolled: 1-line block ×5, first 2 shown]
	s_waitcnt vmcnt(57) lgkmcnt(0)
	v_mul_f64 v[209:210], v[125:126], v[163:164]
	v_mul_f64 v[162:163], v[127:128], v[163:164]
	s_waitcnt vmcnt(56)
	v_fma_f64 v[147:148], v[1:2], v[149:150], -v[147:148]
	ds_read_b128 v[5:8], v177 offset:1376
	v_fma_f64 v[145:146], v[3:4], v[149:150], v[145:146]
	s_clause 0x2
	buffer_load_dword v160, off, s[0:3], 0 offset:700
	buffer_load_dword v150, off, s[0:3], 0 offset:676
	;; [unrolled: 1-line block ×3, first 2 shown]
	ds_read_b128 v[1:4], v177 offset:1392
	v_add_f64 v[129:130], v[129:130], v[155:156]
	v_add_f64 v[131:132], v[131:132], v[151:152]
	s_waitcnt vmcnt(58) lgkmcnt(1)
	v_mul_f64 v[155:156], v[7:8], v[167:168]
	s_waitcnt vmcnt(56)
	v_fma_f64 v[163:164], v[125:126], v[169:170], -v[162:163]
	v_mul_f64 v[151:152], v[5:6], v[167:168]
	v_add_f64 v[129:130], v[129:130], v[147:148]
	v_fma_f64 v[147:148], v[127:128], v[169:170], v[209:210]
	v_add_f64 v[131:132], v[131:132], v[145:146]
	s_clause 0x4
	buffer_load_dword v146, off, s[0:3], 0 offset:716
	buffer_load_dword v167, off, s[0:3], 0 offset:728
	;; [unrolled: 1-line block ×5, first 2 shown]
	s_waitcnt vmcnt(57) lgkmcnt(0)
	v_mul_f64 v[209:210], v[1:2], v[171:172]
	v_mul_f64 v[170:171], v[3:4], v[171:172]
	s_waitcnt vmcnt(56)
	v_fma_f64 v[155:156], v[5:6], v[157:158], -v[155:156]
	ds_read_b128 v[125:128], v177 offset:1408
	v_fma_f64 v[151:152], v[7:8], v[157:158], v[151:152]
	v_add_f64 v[129:130], v[129:130], v[163:164]
	v_add_f64 v[131:132], v[131:132], v[147:148]
	s_clause 0x2
	buffer_load_dword v168, off, s[0:3], 0 offset:732
	buffer_load_dword v148, off, s[0:3], 0 offset:708
	;; [unrolled: 1-line block ×3, first 2 shown]
	ds_read_b128 v[5:8], v177 offset:1424
	s_waitcnt vmcnt(58) lgkmcnt(1)
	v_mul_f64 v[163:164], v[127:128], v[173:174]
	s_waitcnt vmcnt(56)
	v_fma_f64 v[171:172], v[1:2], v[175:176], -v[170:171]
	v_mul_f64 v[157:158], v[125:126], v[173:174]
	v_add_f64 v[129:130], v[129:130], v[155:156]
	v_fma_f64 v[155:156], v[3:4], v[175:176], v[209:210]
	v_add_f64 v[131:132], v[131:132], v[151:152]
	s_clause 0x4
	buffer_load_dword v152, off, s[0:3], 0 offset:748
	buffer_load_dword v173, off, s[0:3], 0 offset:760
	;; [unrolled: 1-line block ×5, first 2 shown]
	s_waitcnt vmcnt(57) lgkmcnt(0)
	v_mul_f64 v[209:210], v[5:6], v[194:195]
	v_mul_f64 v[194:195], v[7:8], v[194:195]
	s_waitcnt vmcnt(56)
	v_fma_f64 v[163:164], v[125:126], v[165:166], -v[163:164]
	ds_read_b128 v[1:4], v177 offset:1440
	v_fma_f64 v[157:158], v[127:128], v[165:166], v[157:158]
	v_add_f64 v[129:130], v[129:130], v[171:172]
	v_add_f64 v[131:132], v[131:132], v[155:156]
	s_clause 0x2
	buffer_load_dword v174, off, s[0:3], 0 offset:764
	buffer_load_dword v156, off, s[0:3], 0 offset:740
	;; [unrolled: 1-line block ×3, first 2 shown]
	ds_read_b128 v[125:128], v177 offset:1456
	s_waitcnt vmcnt(58) lgkmcnt(1)
	v_mul_f64 v[171:172], v[3:4], v[196:197]
	s_waitcnt vmcnt(56)
	v_fma_f64 v[194:195], v[5:6], v[201:202], -v[194:195]
	v_mul_f64 v[165:166], v[1:2], v[196:197]
	v_add_f64 v[129:130], v[129:130], v[163:164]
	v_fma_f64 v[163:164], v[7:8], v[201:202], v[209:210]
	v_add_f64 v[131:132], v[131:132], v[157:158]
	s_clause 0x4
	buffer_load_dword v158, off, s[0:3], 0 offset:780
	buffer_load_dword v196, off, s[0:3], 0 offset:792
	;; [unrolled: 1-line block ×5, first 2 shown]
	ds_read_b128 v[5:8], v177 offset:1472
	s_waitcnt vmcnt(57) lgkmcnt(1)
	v_mul_f64 v[201:202], v[125:126], v[188:189]
	v_mul_f64 v[188:189], v[127:128], v[188:189]
	s_waitcnt vmcnt(56)
	v_fma_f64 v[171:172], v[1:2], v[198:199], -v[171:172]
	v_fma_f64 v[165:166], v[3:4], v[198:199], v[165:166]
	v_add_f64 v[129:130], v[129:130], v[194:195]
	v_add_f64 v[131:132], v[131:132], v[163:164]
	s_clause 0x2
	buffer_load_dword v197, off, s[0:3], 0 offset:796
	buffer_load_dword v164, off, s[0:3], 0 offset:772
	;; [unrolled: 1-line block ×3, first 2 shown]
	ds_read_b128 v[1:4], v177 offset:1488
	s_waitcnt vmcnt(58) lgkmcnt(1)
	v_mul_f64 v[198:199], v[7:8], v[205:206]
	v_mul_f64 v[194:195], v[5:6], v[205:206]
	s_waitcnt vmcnt(56)
	v_fma_f64 v[188:189], v[125:126], v[182:183], -v[188:189]
	v_add_f64 v[129:130], v[129:130], v[171:172]
	v_fma_f64 v[171:172], v[127:128], v[182:183], v[201:202]
	v_add_f64 v[131:132], v[131:132], v[165:166]
	s_clause 0x4
	buffer_load_dword v166, off, s[0:3], 0 offset:812
	buffer_load_dword v182, off, s[0:3], 0 offset:824
	buffer_load_dword v205, off, s[0:3], 0 offset:816
	buffer_load_dword v165, off, s[0:3], 0 offset:808
	buffer_load_dword v201, off, s[0:3], 0 offset:788
	ds_read_b128 v[125:128], v177 offset:1504
	s_waitcnt vmcnt(57) lgkmcnt(1)
	v_mul_f64 v[209:210], v[1:2], v[141:142]
	v_mul_f64 v[141:142], v[3:4], v[141:142]
	s_waitcnt vmcnt(56)
	v_fma_f64 v[198:199], v[5:6], v[207:208], -v[198:199]
	v_add_f64 v[129:130], v[129:130], v[188:189]
	v_fma_f64 v[188:189], v[7:8], v[207:208], v[194:195]
	v_add_f64 v[131:132], v[131:132], v[171:172]
	s_clause 0x2
	buffer_load_dword v183, off, s[0:3], 0 offset:828
	buffer_load_dword v172, off, s[0:3], 0 offset:804
	buffer_load_dword v171, off, s[0:3], 0 offset:800
	ds_read_b128 v[5:8], v177 offset:1520
	s_waitcnt vmcnt(58) lgkmcnt(1)
	v_mul_f64 v[194:195], v[125:126], v[190:191]
	v_mul_f64 v[190:191], v[127:128], v[190:191]
	s_waitcnt vmcnt(56)
	v_fma_f64 v[141:142], v[1:2], v[135:136], -v[141:142]
	v_fma_f64 v[135:136], v[3:4], v[135:136], v[209:210]
	v_add_f64 v[129:130], v[129:130], v[198:199]
	v_add_f64 v[131:132], v[131:132], v[188:189]
	s_clause 0x4
	buffer_load_dword v189, off, s[0:3], 0 offset:844
	buffer_load_dword v198, off, s[0:3], 0 offset:856
	buffer_load_dword v202, off, s[0:3], 0 offset:848
	buffer_load_dword v188, off, s[0:3], 0 offset:840
	buffer_load_dword v206, off, s[0:3], 0 offset:820
	ds_read_b128 v[1:4], v177 offset:1536
	s_waitcnt vmcnt(57) lgkmcnt(1)
	v_mul_f64 v[207:208], v[5:6], v[178:179]
	v_mul_f64 v[178:179], v[7:8], v[178:179]
	s_waitcnt vmcnt(56)
	v_fma_f64 v[190:191], v[125:126], v[203:204], -v[190:191]
	v_add_f64 v[129:130], v[129:130], v[141:142]
	v_fma_f64 v[141:142], v[127:128], v[203:204], v[194:195]
	v_add_f64 v[131:132], v[131:132], v[135:136]
	s_clause 0x2
	buffer_load_dword v199, off, s[0:3], 0 offset:860
	buffer_load_dword v136, off, s[0:3], 0 offset:836
	buffer_load_dword v135, off, s[0:3], 0 offset:832
	ds_read_b128 v[125:128], v177 offset:1552
	s_waitcnt vmcnt(58) lgkmcnt(1)
	v_mul_f64 v[194:195], v[1:2], v[180:181]
	v_mul_f64 v[180:181], v[3:4], v[180:181]
	s_waitcnt vmcnt(56)
	v_fma_f64 v[178:179], v[5:6], v[137:138], -v[178:179]
	v_fma_f64 v[137:138], v[7:8], v[137:138], v[207:208]
	v_add_f64 v[129:130], v[129:130], v[190:191]
	;; [unrolled: 28-line block ×3, first 2 shown]
	v_add_f64 v[131:132], v[131:132], v[178:179]
	s_clause 0x4
	buffer_load_dword v179, off, s[0:3], 0 offset:908
	buffer_load_dword v180, off, s[0:3], 0 offset:920
	;; [unrolled: 1-line block ×5, first 2 shown]
	ds_read_b128 v[125:128], v177 offset:1600
	s_waitcnt vmcnt(57) lgkmcnt(1)
	v_mul_f64 v[209:210], v[1:2], v[139:140]
	v_mul_f64 v[139:140], v[3:4], v[139:140]
	s_waitcnt vmcnt(56)
	v_fma_f64 v[153:154], v[5:6], v[186:187], -v[153:154]
	v_add_f64 v[129:130], v[129:130], v[133:134]
	v_fma_f64 v[133:134], v[7:8], v[186:187], v[192:193]
	v_add_f64 v[131:132], v[131:132], v[143:144]
	s_clause 0x2
	buffer_load_dword v181, off, s[0:3], 0 offset:924
	buffer_load_dword v144, off, s[0:3], 0 offset:900
	;; [unrolled: 1-line block ×3, first 2 shown]
	s_waitcnt vmcnt(58) lgkmcnt(0)
	v_mul_f64 v[186:187], v[125:126], v[159:160]
	v_mul_f64 v[159:160], v[127:128], v[159:160]
	ds_read_b128 v[5:8], v177 offset:1616
	s_waitcnt vmcnt(56)
	v_fma_f64 v[139:140], v[1:2], v[149:150], -v[139:140]
	v_fma_f64 v[149:150], v[3:4], v[149:150], v[209:210]
	v_add_f64 v[129:130], v[129:130], v[153:154]
	v_add_f64 v[131:132], v[131:132], v[133:134]
	s_clause 0x2
	buffer_load_dword v134, off, s[0:3], 0 offset:940
	buffer_load_dword v133, off, s[0:3], 0 offset:936
	;; [unrolled: 1-line block ×3, first 2 shown]
	ds_read_b128 v[1:4], v177 offset:1632
	s_waitcnt vmcnt(55) lgkmcnt(1)
	v_mul_f64 v[153:154], v[5:6], v[145:146]
	v_mul_f64 v[145:146], v[7:8], v[145:146]
	s_waitcnt vmcnt(54)
	v_fma_f64 v[159:160], v[125:126], v[161:162], -v[159:160]
	v_add_f64 v[129:130], v[129:130], v[139:140]
	v_fma_f64 v[139:140], v[127:128], v[161:162], v[186:187]
	v_add_f64 v[131:132], v[131:132], v[149:150]
	s_clause 0x1
	buffer_load_dword v150, off, s[0:3], 0 offset:932
	buffer_load_dword v149, off, s[0:3], 0 offset:928
	ds_read_b128 v[125:128], v177 offset:1648
	s_waitcnt vmcnt(55) lgkmcnt(1)
	v_mul_f64 v[161:162], v[1:2], v[167:168]
	v_mul_f64 v[167:168], v[3:4], v[167:168]
	s_waitcnt vmcnt(53)
	v_fma_f64 v[145:146], v[5:6], v[147:148], -v[145:146]
	v_fma_f64 v[147:148], v[7:8], v[147:148], v[153:154]
	ds_read_b128 v[5:8], v177 offset:1664
	v_add_f64 v[129:130], v[129:130], v[159:160]
	v_add_f64 v[131:132], v[131:132], v[139:140]
	s_waitcnt vmcnt(49) lgkmcnt(1)
	v_mul_f64 v[139:140], v[125:126], v[151:152]
	v_mul_f64 v[151:152], v[127:128], v[151:152]
	s_waitcnt vmcnt(48)
	v_fma_f64 v[153:154], v[1:2], v[169:170], -v[167:168]
	v_add_f64 v[129:130], v[129:130], v[145:146]
	v_fma_f64 v[145:146], v[3:4], v[169:170], v[161:162]
	v_add_f64 v[131:132], v[131:132], v[147:148]
	s_clause 0x3
	buffer_load_dword v147, off, s[0:3], 0 offset:256
	buffer_load_dword v148, off, s[0:3], 0 offset:260
	;; [unrolled: 1-line block ×4, first 2 shown]
	ds_read_b128 v[1:4], v177 offset:1680
	s_waitcnt vmcnt(51) lgkmcnt(1)
	v_mul_f64 v[167:168], v[7:8], v[173:174]
	v_mul_f64 v[161:162], v[5:6], v[173:174]
	s_waitcnt vmcnt(49)
	v_fma_f64 v[151:152], v[125:126], v[155:156], -v[151:152]
	v_fma_f64 v[139:140], v[127:128], v[155:156], v[139:140]
	ds_read_b128 v[125:128], v177 offset:1696
	v_add_f64 v[129:130], v[129:130], v[153:154]
	v_add_f64 v[131:132], v[131:132], v[145:146]
	s_waitcnt vmcnt(45) lgkmcnt(1)
	v_mul_f64 v[153:154], v[3:4], v[157:158]
	s_waitcnt vmcnt(44)
	v_fma_f64 v[155:156], v[5:6], v[175:176], -v[167:168]
	v_mul_f64 v[145:146], v[1:2], v[157:158]
	v_add_f64 v[129:130], v[129:130], v[151:152]
	v_fma_f64 v[151:152], v[7:8], v[175:176], v[161:162]
	v_add_f64 v[131:132], v[131:132], v[139:140]
	ds_read_b128 v[5:8], v177 offset:1712
	s_waitcnt vmcnt(43) lgkmcnt(1)
	v_mul_f64 v[157:158], v[127:128], v[196:197]
	v_mul_f64 v[139:140], v[125:126], v[196:197]
	s_waitcnt vmcnt(41)
	v_fma_f64 v[153:154], v[1:2], v[163:164], -v[153:154]
	v_fma_f64 v[145:146], v[3:4], v[163:164], v[145:146]
	ds_read_b128 v[1:4], v177 offset:1728
	v_add_f64 v[129:130], v[129:130], v[155:156]
	v_add_f64 v[131:132], v[131:132], v[151:152]
	s_waitcnt vmcnt(37) lgkmcnt(1)
	v_mul_f64 v[155:156], v[7:8], v[165:166]
	s_waitcnt vmcnt(36)
	v_fma_f64 v[157:158], v[125:126], v[200:201], -v[157:158]
	v_mul_f64 v[151:152], v[5:6], v[165:166]
	v_fma_f64 v[139:140], v[127:128], v[200:201], v[139:140]
	ds_read_b128 v[125:128], v177 offset:1744
	v_add_f64 v[129:130], v[129:130], v[153:154]
	v_add_f64 v[131:132], v[131:132], v[145:146]
	s_waitcnt vmcnt(35) lgkmcnt(1)
	v_mul_f64 v[153:154], v[3:4], v[182:183]
	v_mul_f64 v[145:146], v[1:2], v[182:183]
	s_waitcnt vmcnt(33)
	v_fma_f64 v[155:156], v[5:6], v[171:172], -v[155:156]
	v_fma_f64 v[151:152], v[7:8], v[171:172], v[151:152]
	ds_read_b128 v[5:8], v177 offset:1760
	v_add_f64 v[129:130], v[129:130], v[157:158]
	v_add_f64 v[131:132], v[131:132], v[139:140]
	s_waitcnt vmcnt(29) lgkmcnt(1)
	v_mul_f64 v[157:158], v[127:128], v[188:189]
	s_waitcnt vmcnt(28)
	v_fma_f64 v[153:154], v[1:2], v[205:206], -v[153:154]
	v_mul_f64 v[139:140], v[125:126], v[188:189]
	v_fma_f64 v[145:146], v[3:4], v[205:206], v[145:146]
	ds_read_b128 v[1:4], v177 offset:1776
	v_add_f64 v[129:130], v[129:130], v[155:156]
	v_add_f64 v[131:132], v[131:132], v[151:152]
	s_waitcnt vmcnt(27) lgkmcnt(1)
	v_mul_f64 v[155:156], v[7:8], v[198:199]
	v_mul_f64 v[151:152], v[5:6], v[198:199]
	s_waitcnt vmcnt(25)
	v_fma_f64 v[157:158], v[125:126], v[135:136], -v[157:158]
	v_fma_f64 v[135:136], v[127:128], v[135:136], v[139:140]
	ds_read_b128 v[125:128], v177 offset:1792
	v_add_f64 v[129:130], v[129:130], v[153:154]
	v_add_f64 v[131:132], v[131:132], v[145:146]
	s_waitcnt vmcnt(21) lgkmcnt(1)
	v_mul_f64 v[139:140], v[1:2], v[141:142]
	v_mul_f64 v[141:142], v[3:4], v[141:142]
	s_waitcnt vmcnt(20)
	v_fma_f64 v[145:146], v[5:6], v[202:203], -v[155:156]
	;; [unrolled: 9-line block ×3, first 2 shown]
	v_fma_f64 v[137:138], v[3:4], v[137:138], v[139:140]
	ds_read_b128 v[1:4], v177 offset:1824
	v_add_f64 v[129:130], v[129:130], v[145:146]
	v_add_f64 v[131:132], v[131:132], v[151:152]
	s_waitcnt vmcnt(13) lgkmcnt(1)
	v_mul_f64 v[145:146], v[7:8], v[178:179]
	s_waitcnt vmcnt(12)
	v_fma_f64 v[151:152], v[125:126], v[207:208], -v[153:154]
	v_mul_f64 v[139:140], v[5:6], v[178:179]
	v_fma_f64 v[135:136], v[127:128], v[207:208], v[135:136]
	ds_read_b128 v[125:128], v177 offset:1840
	v_add_f64 v[129:130], v[129:130], v[141:142]
	v_add_f64 v[131:132], v[131:132], v[137:138]
	s_waitcnt vmcnt(11) lgkmcnt(1)
	v_mul_f64 v[141:142], v[3:4], v[180:181]
	v_mul_f64 v[137:138], v[1:2], v[180:181]
	s_waitcnt vmcnt(9)
	v_fma_f64 v[5:6], v[5:6], v[143:144], -v[145:146]
	v_fma_f64 v[7:8], v[7:8], v[143:144], v[139:140]
	v_add_f64 v[129:130], v[129:130], v[151:152]
	v_add_f64 v[131:132], v[131:132], v[135:136]
	s_waitcnt vmcnt(7) lgkmcnt(0)
	v_mul_f64 v[135:136], v[125:126], v[133:134]
	v_mul_f64 v[133:134], v[127:128], v[133:134]
	s_waitcnt vmcnt(6)
	v_fma_f64 v[1:2], v[1:2], v[194:195], -v[141:142]
	v_fma_f64 v[3:4], v[3:4], v[194:195], v[137:138]
	v_add_f64 v[5:6], v[129:130], v[5:6]
	v_add_f64 v[7:8], v[131:132], v[7:8]
	s_waitcnt vmcnt(4)
	v_fma_f64 v[125:126], v[125:126], v[149:150], -v[133:134]
	v_add_f64 v[1:2], v[5:6], v[1:2]
	v_fma_f64 v[5:6], v[127:128], v[149:150], v[135:136]
	v_add_f64 v[3:4], v[7:8], v[3:4]
	v_add_f64 v[1:2], v[1:2], v[125:126]
	;; [unrolled: 1-line block ×3, first 2 shown]
	s_waitcnt vmcnt(2)
	v_add_f64 v[1:2], v[147:148], -v[1:2]
	s_waitcnt vmcnt(0)
	v_add_f64 v[3:4], v[159:160], -v[3:4]
	buffer_store_dword v2, off, s[0:3], 0 offset:260
	buffer_store_dword v1, off, s[0:3], 0 offset:256
	buffer_store_dword v4, off, s[0:3], 0 offset:268
	buffer_store_dword v3, off, s[0:3], 0 offset:264
	v_cmpx_lt_u32_e32 14, v0
	s_cbranch_execz .LBB121_333
; %bb.332:
	v_mov_b32_e32 v4, s56
	v_mov_b32_e32 v5, 0
	s_clause 0x3
	buffer_load_dword v1, v4, s[0:3], 0 offen
	buffer_load_dword v2, v4, s[0:3], 0 offen offset:4
	buffer_load_dword v3, v4, s[0:3], 0 offen offset:8
	;; [unrolled: 1-line block ×3, first 2 shown]
	buffer_store_dword v5, off, s[0:3], 0 offset:240
	buffer_store_dword v5, off, s[0:3], 0 offset:244
	;; [unrolled: 1-line block ×4, first 2 shown]
	s_waitcnt vmcnt(0)
	ds_write_b128 v185, v[1:4]
.LBB121_333:
	s_or_b32 exec_lo, exec_lo, s4
	s_waitcnt lgkmcnt(0)
	s_waitcnt_vscnt null, 0x0
	s_barrier
	buffer_gl0_inv
	s_clause 0x37
	buffer_load_dword v125, off, s[0:3], 0 offset:264
	buffer_load_dword v126, off, s[0:3], 0 offset:268
	;; [unrolled: 1-line block ×56, first 2 shown]
	v_mov_b32_e32 v177, 0
	s_mov_b32 s4, exec_lo
	ds_read_b128 v[178:181], v177 offset:1168
	s_clause 0x2
	buffer_load_dword v174, off, s[0:3], 0 offset:492
	buffer_load_dword v176, off, s[0:3], 0 offset:468
	;; [unrolled: 1-line block ×3, first 2 shown]
	ds_read_b128 v[186:189], v177 offset:1184
	s_clause 0x4
	buffer_load_dword v195, off, s[0:3], 0 offset:508
	buffer_load_dword v196, off, s[0:3], 0 offset:520
	;; [unrolled: 1-line block ×5, first 2 shown]
	ds_read_b128 v[190:193], v177 offset:1200
	s_clause 0x2
	buffer_load_dword v197, off, s[0:3], 0 offset:524
	buffer_load_dword v202, off, s[0:3], 0 offset:500
	;; [unrolled: 1-line block ×3, first 2 shown]
	s_waitcnt vmcnt(62) lgkmcnt(2)
	v_mul_f64 v[182:183], v[180:181], v[125:126]
	v_mul_f64 v[125:126], v[178:179], v[125:126]
	s_waitcnt lgkmcnt(1)
	v_mul_f64 v[199:200], v[188:189], v[5:6]
	s_waitcnt vmcnt(59) lgkmcnt(0)
	v_mul_f64 v[203:204], v[192:193], v[3:4]
	v_fma_f64 v[178:179], v[178:179], v[7:8], -v[182:183]
	v_mul_f64 v[182:183], v[186:187], v[5:6]
	v_fma_f64 v[125:126], v[180:181], v[7:8], v[125:126]
	s_waitcnt vmcnt(57)
	v_fma_f64 v[186:187], v[186:187], v[1:2], -v[199:200]
	ds_read_b128 v[5:8], v177 offset:1216
	v_mul_f64 v[180:181], v[190:191], v[3:4]
	s_waitcnt vmcnt(51)
	v_fma_f64 v[190:191], v[190:191], v[141:142], -v[203:204]
	v_add_f64 v[178:179], v[178:179], 0
	v_fma_f64 v[182:183], v[188:189], v[1:2], v[182:183]
	v_add_f64 v[125:126], v[125:126], 0
	s_clause 0x4
	buffer_load_dword v189, off, s[0:3], 0 offset:540
	buffer_load_dword v205, off, s[0:3], 0 offset:552
	;; [unrolled: 1-line block ×5, first 2 shown]
	s_waitcnt lgkmcnt(0)
	v_mul_f64 v[208:209], v[5:6], v[129:130]
	v_mul_f64 v[129:130], v[7:8], v[129:130]
	ds_read_b128 v[1:4], v177 offset:1232
	v_fma_f64 v[141:142], v[192:193], v[141:142], v[180:181]
	v_add_f64 v[186:187], v[178:179], v[186:187]
	v_add_f64 v[125:126], v[125:126], v[182:183]
	s_clause 0x2
	buffer_load_dword v206, off, s[0:3], 0 offset:556
	buffer_load_dword v183, off, s[0:3], 0 offset:532
	buffer_load_dword v182, off, s[0:3], 0 offset:528
	s_waitcnt vmcnt(58) lgkmcnt(0)
	v_mul_f64 v[192:193], v[1:2], v[133:134]
	v_mul_f64 v[133:134], v[3:4], v[133:134]
	s_waitcnt vmcnt(56)
	v_fma_f64 v[129:130], v[5:6], v[135:136], -v[129:130]
	ds_read_b128 v[178:181], v177 offset:1248
	v_fma_f64 v[135:136], v[7:8], v[135:136], v[208:209]
	v_add_f64 v[186:187], v[186:187], v[190:191]
	v_add_f64 v[125:126], v[125:126], v[141:142]
	s_clause 0x4
	buffer_load_dword v142, off, s[0:3], 0 offset:572
	buffer_load_dword v190, off, s[0:3], 0 offset:584
	;; [unrolled: 1-line block ×5, first 2 shown]
	ds_read_b128 v[5:8], v177 offset:1264
	s_waitcnt vmcnt(57) lgkmcnt(1)
	v_mul_f64 v[209:210], v[178:179], v[137:138]
	v_mul_f64 v[137:138], v[180:181], v[137:138]
	s_waitcnt vmcnt(56)
	v_fma_f64 v[133:134], v[1:2], v[127:128], -v[133:134]
	v_fma_f64 v[127:128], v[3:4], v[127:128], v[192:193]
	v_add_f64 v[129:130], v[186:187], v[129:130]
	v_add_f64 v[125:126], v[125:126], v[135:136]
	s_clause 0x2
	buffer_load_dword v191, off, s[0:3], 0 offset:588
	buffer_load_dword v136, off, s[0:3], 0 offset:564
	;; [unrolled: 1-line block ×3, first 2 shown]
	s_waitcnt vmcnt(58) lgkmcnt(0)
	v_mul_f64 v[186:187], v[5:6], v[143:144]
	v_mul_f64 v[143:144], v[7:8], v[143:144]
	s_waitcnt vmcnt(56)
	v_fma_f64 v[137:138], v[178:179], v[145:146], -v[137:138]
	ds_read_b128 v[1:4], v177 offset:1280
	v_add_f64 v[129:130], v[129:130], v[133:134]
	v_fma_f64 v[133:134], v[180:181], v[145:146], v[209:210]
	v_add_f64 v[145:146], v[125:126], v[127:128]
	s_clause 0x4
	buffer_load_dword v179, off, s[0:3], 0 offset:604
	buffer_load_dword v180, off, s[0:3], 0 offset:616
	;; [unrolled: 1-line block ×5, first 2 shown]
	ds_read_b128 v[125:128], v177 offset:1296
	s_waitcnt vmcnt(57) lgkmcnt(1)
	v_mul_f64 v[209:210], v[1:2], v[147:148]
	v_mul_f64 v[147:148], v[3:4], v[147:148]
	s_waitcnt vmcnt(56)
	v_fma_f64 v[143:144], v[5:6], v[131:132], -v[143:144]
	v_fma_f64 v[131:132], v[7:8], v[131:132], v[186:187]
	v_add_f64 v[129:130], v[129:130], v[137:138]
	s_clause 0x2
	buffer_load_dword v181, off, s[0:3], 0 offset:620
	buffer_load_dword v138, off, s[0:3], 0 offset:596
	;; [unrolled: 1-line block ×3, first 2 shown]
	v_add_f64 v[133:134], v[145:146], v[133:134]
	s_waitcnt vmcnt(58) lgkmcnt(0)
	v_mul_f64 v[145:146], v[125:126], v[151:152]
	v_mul_f64 v[151:152], v[127:128], v[151:152]
	ds_read_b128 v[5:8], v177 offset:1312
	s_waitcnt vmcnt(56)
	v_fma_f64 v[147:148], v[1:2], v[153:154], -v[147:148]
	v_add_f64 v[129:130], v[129:130], v[143:144]
	v_fma_f64 v[143:144], v[3:4], v[153:154], v[209:210]
	v_add_f64 v[131:132], v[133:134], v[131:132]
	s_clause 0x4
	buffer_load_dword v134, off, s[0:3], 0 offset:636
	buffer_load_dword v153, off, s[0:3], 0 offset:648
	buffer_load_dword v186, off, s[0:3], 0 offset:640
	buffer_load_dword v133, off, s[0:3], 0 offset:632
	buffer_load_dword v193, off, s[0:3], 0 offset:612
	s_waitcnt vmcnt(57) lgkmcnt(0)
	v_mul_f64 v[209:210], v[5:6], v[155:156]
	v_mul_f64 v[155:156], v[7:8], v[155:156]
	s_waitcnt vmcnt(56)
	v_fma_f64 v[151:152], v[125:126], v[139:140], -v[151:152]
	ds_read_b128 v[1:4], v177 offset:1328
	v_fma_f64 v[139:140], v[127:128], v[139:140], v[145:146]
	v_add_f64 v[129:130], v[129:130], v[147:148]
	v_add_f64 v[131:132], v[131:132], v[143:144]
	s_clause 0x2
	buffer_load_dword v154, off, s[0:3], 0 offset:652
	buffer_load_dword v144, off, s[0:3], 0 offset:628
	buffer_load_dword v143, off, s[0:3], 0 offset:624
	ds_read_b128 v[125:128], v177 offset:1344
	s_waitcnt vmcnt(58) lgkmcnt(1)
	v_mul_f64 v[147:148], v[3:4], v[159:160]
	s_waitcnt vmcnt(56)
	v_fma_f64 v[155:156], v[5:6], v[161:162], -v[155:156]
	v_mul_f64 v[145:146], v[1:2], v[159:160]
	v_add_f64 v[129:130], v[129:130], v[151:152]
	v_fma_f64 v[151:152], v[7:8], v[161:162], v[209:210]
	v_add_f64 v[131:132], v[131:132], v[139:140]
	s_clause 0x4
	buffer_load_dword v140, off, s[0:3], 0 offset:668
	buffer_load_dword v159, off, s[0:3], 0 offset:680
	;; [unrolled: 1-line block ×5, first 2 shown]
	s_waitcnt vmcnt(57) lgkmcnt(0)
	v_mul_f64 v[209:210], v[125:126], v[163:164]
	v_mul_f64 v[162:163], v[127:128], v[163:164]
	s_waitcnt vmcnt(56)
	v_fma_f64 v[147:148], v[1:2], v[149:150], -v[147:148]
	ds_read_b128 v[5:8], v177 offset:1360
	v_fma_f64 v[145:146], v[3:4], v[149:150], v[145:146]
	s_clause 0x2
	buffer_load_dword v160, off, s[0:3], 0 offset:684
	buffer_load_dword v150, off, s[0:3], 0 offset:660
	;; [unrolled: 1-line block ×3, first 2 shown]
	ds_read_b128 v[1:4], v177 offset:1376
	v_add_f64 v[129:130], v[129:130], v[155:156]
	v_add_f64 v[131:132], v[131:132], v[151:152]
	s_waitcnt vmcnt(58) lgkmcnt(1)
	v_mul_f64 v[155:156], v[7:8], v[167:168]
	s_waitcnt vmcnt(56)
	v_fma_f64 v[163:164], v[125:126], v[169:170], -v[162:163]
	v_mul_f64 v[151:152], v[5:6], v[167:168]
	v_add_f64 v[129:130], v[129:130], v[147:148]
	v_fma_f64 v[147:148], v[127:128], v[169:170], v[209:210]
	v_add_f64 v[131:132], v[131:132], v[145:146]
	s_clause 0x4
	buffer_load_dword v146, off, s[0:3], 0 offset:700
	buffer_load_dword v167, off, s[0:3], 0 offset:712
	;; [unrolled: 1-line block ×5, first 2 shown]
	s_waitcnt vmcnt(57) lgkmcnt(0)
	v_mul_f64 v[209:210], v[1:2], v[171:172]
	v_mul_f64 v[170:171], v[3:4], v[171:172]
	s_waitcnt vmcnt(56)
	v_fma_f64 v[155:156], v[5:6], v[157:158], -v[155:156]
	ds_read_b128 v[125:128], v177 offset:1392
	v_fma_f64 v[151:152], v[7:8], v[157:158], v[151:152]
	v_add_f64 v[129:130], v[129:130], v[163:164]
	v_add_f64 v[131:132], v[131:132], v[147:148]
	s_clause 0x2
	buffer_load_dword v168, off, s[0:3], 0 offset:716
	buffer_load_dword v148, off, s[0:3], 0 offset:692
	buffer_load_dword v147, off, s[0:3], 0 offset:688
	ds_read_b128 v[5:8], v177 offset:1408
	s_waitcnt vmcnt(58) lgkmcnt(1)
	v_mul_f64 v[163:164], v[127:128], v[173:174]
	s_waitcnt vmcnt(56)
	v_fma_f64 v[171:172], v[1:2], v[175:176], -v[170:171]
	v_mul_f64 v[157:158], v[125:126], v[173:174]
	v_add_f64 v[129:130], v[129:130], v[155:156]
	v_fma_f64 v[155:156], v[3:4], v[175:176], v[209:210]
	v_add_f64 v[131:132], v[131:132], v[151:152]
	s_clause 0x4
	buffer_load_dword v152, off, s[0:3], 0 offset:732
	buffer_load_dword v173, off, s[0:3], 0 offset:744
	;; [unrolled: 1-line block ×5, first 2 shown]
	s_waitcnt vmcnt(57) lgkmcnt(0)
	v_mul_f64 v[209:210], v[5:6], v[194:195]
	v_mul_f64 v[194:195], v[7:8], v[194:195]
	s_waitcnt vmcnt(56)
	v_fma_f64 v[163:164], v[125:126], v[165:166], -v[163:164]
	ds_read_b128 v[1:4], v177 offset:1424
	v_fma_f64 v[157:158], v[127:128], v[165:166], v[157:158]
	v_add_f64 v[129:130], v[129:130], v[171:172]
	v_add_f64 v[131:132], v[131:132], v[155:156]
	s_clause 0x2
	buffer_load_dword v174, off, s[0:3], 0 offset:748
	buffer_load_dword v156, off, s[0:3], 0 offset:724
	buffer_load_dword v155, off, s[0:3], 0 offset:720
	ds_read_b128 v[125:128], v177 offset:1440
	s_waitcnt vmcnt(58) lgkmcnt(1)
	v_mul_f64 v[171:172], v[3:4], v[196:197]
	s_waitcnt vmcnt(56)
	v_fma_f64 v[194:195], v[5:6], v[201:202], -v[194:195]
	v_mul_f64 v[165:166], v[1:2], v[196:197]
	v_add_f64 v[129:130], v[129:130], v[163:164]
	v_fma_f64 v[163:164], v[7:8], v[201:202], v[209:210]
	v_add_f64 v[131:132], v[131:132], v[157:158]
	s_clause 0x4
	buffer_load_dword v158, off, s[0:3], 0 offset:764
	buffer_load_dword v196, off, s[0:3], 0 offset:776
	;; [unrolled: 1-line block ×5, first 2 shown]
	ds_read_b128 v[5:8], v177 offset:1456
	s_waitcnt vmcnt(57) lgkmcnt(1)
	v_mul_f64 v[201:202], v[125:126], v[188:189]
	v_mul_f64 v[188:189], v[127:128], v[188:189]
	s_waitcnt vmcnt(56)
	v_fma_f64 v[171:172], v[1:2], v[198:199], -v[171:172]
	v_fma_f64 v[165:166], v[3:4], v[198:199], v[165:166]
	v_add_f64 v[129:130], v[129:130], v[194:195]
	v_add_f64 v[131:132], v[131:132], v[163:164]
	s_clause 0x2
	buffer_load_dword v197, off, s[0:3], 0 offset:780
	buffer_load_dword v164, off, s[0:3], 0 offset:756
	;; [unrolled: 1-line block ×3, first 2 shown]
	ds_read_b128 v[1:4], v177 offset:1472
	s_waitcnt vmcnt(58) lgkmcnt(1)
	v_mul_f64 v[198:199], v[7:8], v[205:206]
	v_mul_f64 v[194:195], v[5:6], v[205:206]
	s_waitcnt vmcnt(56)
	v_fma_f64 v[188:189], v[125:126], v[182:183], -v[188:189]
	v_add_f64 v[129:130], v[129:130], v[171:172]
	v_fma_f64 v[171:172], v[127:128], v[182:183], v[201:202]
	v_add_f64 v[131:132], v[131:132], v[165:166]
	s_clause 0x4
	buffer_load_dword v166, off, s[0:3], 0 offset:796
	buffer_load_dword v182, off, s[0:3], 0 offset:808
	buffer_load_dword v205, off, s[0:3], 0 offset:800
	buffer_load_dword v165, off, s[0:3], 0 offset:792
	buffer_load_dword v201, off, s[0:3], 0 offset:772
	ds_read_b128 v[125:128], v177 offset:1488
	s_waitcnt vmcnt(57) lgkmcnt(1)
	v_mul_f64 v[209:210], v[1:2], v[141:142]
	v_mul_f64 v[141:142], v[3:4], v[141:142]
	s_waitcnt vmcnt(56)
	v_fma_f64 v[198:199], v[5:6], v[207:208], -v[198:199]
	v_add_f64 v[129:130], v[129:130], v[188:189]
	v_fma_f64 v[188:189], v[7:8], v[207:208], v[194:195]
	v_add_f64 v[131:132], v[131:132], v[171:172]
	s_clause 0x2
	buffer_load_dword v183, off, s[0:3], 0 offset:812
	buffer_load_dword v172, off, s[0:3], 0 offset:788
	buffer_load_dword v171, off, s[0:3], 0 offset:784
	ds_read_b128 v[5:8], v177 offset:1504
	s_waitcnt vmcnt(58) lgkmcnt(1)
	v_mul_f64 v[194:195], v[125:126], v[190:191]
	v_mul_f64 v[190:191], v[127:128], v[190:191]
	s_waitcnt vmcnt(56)
	v_fma_f64 v[141:142], v[1:2], v[135:136], -v[141:142]
	v_fma_f64 v[135:136], v[3:4], v[135:136], v[209:210]
	v_add_f64 v[129:130], v[129:130], v[198:199]
	v_add_f64 v[131:132], v[131:132], v[188:189]
	s_clause 0x4
	buffer_load_dword v189, off, s[0:3], 0 offset:828
	buffer_load_dword v198, off, s[0:3], 0 offset:840
	buffer_load_dword v202, off, s[0:3], 0 offset:832
	buffer_load_dword v188, off, s[0:3], 0 offset:824
	buffer_load_dword v206, off, s[0:3], 0 offset:804
	ds_read_b128 v[1:4], v177 offset:1520
	s_waitcnt vmcnt(57) lgkmcnt(1)
	v_mul_f64 v[207:208], v[5:6], v[178:179]
	v_mul_f64 v[178:179], v[7:8], v[178:179]
	s_waitcnt vmcnt(56)
	v_fma_f64 v[190:191], v[125:126], v[203:204], -v[190:191]
	v_add_f64 v[129:130], v[129:130], v[141:142]
	v_fma_f64 v[141:142], v[127:128], v[203:204], v[194:195]
	v_add_f64 v[131:132], v[131:132], v[135:136]
	s_clause 0x2
	buffer_load_dword v199, off, s[0:3], 0 offset:844
	buffer_load_dword v136, off, s[0:3], 0 offset:820
	buffer_load_dword v135, off, s[0:3], 0 offset:816
	ds_read_b128 v[125:128], v177 offset:1536
	s_waitcnt vmcnt(58) lgkmcnt(1)
	v_mul_f64 v[194:195], v[1:2], v[180:181]
	v_mul_f64 v[180:181], v[3:4], v[180:181]
	s_waitcnt vmcnt(56)
	v_fma_f64 v[178:179], v[5:6], v[137:138], -v[178:179]
	v_fma_f64 v[137:138], v[7:8], v[137:138], v[207:208]
	v_add_f64 v[129:130], v[129:130], v[190:191]
	;; [unrolled: 28-line block ×3, first 2 shown]
	v_add_f64 v[131:132], v[131:132], v[178:179]
	s_clause 0x4
	buffer_load_dword v179, off, s[0:3], 0 offset:892
	buffer_load_dword v180, off, s[0:3], 0 offset:904
	;; [unrolled: 1-line block ×5, first 2 shown]
	ds_read_b128 v[125:128], v177 offset:1584
	s_waitcnt vmcnt(57) lgkmcnt(1)
	v_mul_f64 v[209:210], v[1:2], v[139:140]
	v_mul_f64 v[139:140], v[3:4], v[139:140]
	s_waitcnt vmcnt(56)
	v_fma_f64 v[153:154], v[5:6], v[186:187], -v[153:154]
	v_add_f64 v[129:130], v[129:130], v[133:134]
	v_fma_f64 v[133:134], v[7:8], v[186:187], v[192:193]
	v_add_f64 v[131:132], v[131:132], v[143:144]
	s_clause 0x2
	buffer_load_dword v181, off, s[0:3], 0 offset:908
	buffer_load_dword v144, off, s[0:3], 0 offset:884
	;; [unrolled: 1-line block ×3, first 2 shown]
	s_waitcnt vmcnt(58) lgkmcnt(0)
	v_mul_f64 v[186:187], v[125:126], v[159:160]
	v_mul_f64 v[159:160], v[127:128], v[159:160]
	ds_read_b128 v[5:8], v177 offset:1600
	s_waitcnt vmcnt(56)
	v_fma_f64 v[139:140], v[1:2], v[149:150], -v[139:140]
	v_fma_f64 v[149:150], v[3:4], v[149:150], v[209:210]
	v_add_f64 v[129:130], v[129:130], v[153:154]
	v_add_f64 v[131:132], v[131:132], v[133:134]
	s_clause 0x4
	buffer_load_dword v134, off, s[0:3], 0 offset:924
	buffer_load_dword v153, off, s[0:3], 0 offset:936
	;; [unrolled: 1-line block ×5, first 2 shown]
	ds_read_b128 v[1:4], v177 offset:1616
	s_waitcnt vmcnt(57) lgkmcnt(1)
	v_mul_f64 v[209:210], v[5:6], v[145:146]
	v_mul_f64 v[145:146], v[7:8], v[145:146]
	s_waitcnt vmcnt(56)
	v_fma_f64 v[159:160], v[125:126], v[161:162], -v[159:160]
	v_add_f64 v[129:130], v[129:130], v[139:140]
	v_fma_f64 v[139:140], v[127:128], v[161:162], v[186:187]
	v_add_f64 v[131:132], v[131:132], v[149:150]
	s_clause 0x2
	buffer_load_dword v154, off, s[0:3], 0 offset:940
	buffer_load_dword v150, off, s[0:3], 0 offset:916
	;; [unrolled: 1-line block ×3, first 2 shown]
	ds_read_b128 v[125:128], v177 offset:1632
	buffer_load_dword v193, off, s[0:3], 0 offset:932
	s_waitcnt vmcnt(59) lgkmcnt(1)
	v_mul_f64 v[161:162], v[1:2], v[167:168]
	v_mul_f64 v[167:168], v[3:4], v[167:168]
	s_waitcnt vmcnt(57)
	v_fma_f64 v[145:146], v[5:6], v[147:148], -v[145:146]
	v_fma_f64 v[147:148], v[7:8], v[147:148], v[209:210]
	ds_read_b128 v[5:8], v177 offset:1648
	v_add_f64 v[129:130], v[129:130], v[159:160]
	v_add_f64 v[131:132], v[131:132], v[139:140]
	s_waitcnt vmcnt(53) lgkmcnt(1)
	v_mul_f64 v[139:140], v[125:126], v[151:152]
	v_mul_f64 v[151:152], v[127:128], v[151:152]
	s_waitcnt vmcnt(52)
	v_fma_f64 v[159:160], v[1:2], v[169:170], -v[167:168]
	v_add_f64 v[129:130], v[129:130], v[145:146]
	v_fma_f64 v[145:146], v[3:4], v[169:170], v[161:162]
	v_add_f64 v[131:132], v[131:132], v[147:148]
	ds_read_b128 v[1:4], v177 offset:1664
	s_waitcnt vmcnt(51) lgkmcnt(1)
	v_mul_f64 v[161:162], v[7:8], v[173:174]
	v_mul_f64 v[147:148], v[5:6], v[173:174]
	s_waitcnt vmcnt(49)
	v_fma_f64 v[151:152], v[125:126], v[155:156], -v[151:152]
	v_fma_f64 v[139:140], v[127:128], v[155:156], v[139:140]
	v_add_f64 v[129:130], v[129:130], v[159:160]
	v_add_f64 v[131:132], v[131:132], v[145:146]
	s_clause 0x3
	buffer_load_dword v145, off, s[0:3], 0 offset:240
	buffer_load_dword v146, off, s[0:3], 0 offset:244
	;; [unrolled: 1-line block ×4, first 2 shown]
	ds_read_b128 v[125:128], v177 offset:1680
	s_waitcnt vmcnt(49) lgkmcnt(1)
	v_mul_f64 v[159:160], v[1:2], v[157:158]
	v_mul_f64 v[157:158], v[3:4], v[157:158]
	s_waitcnt vmcnt(48)
	v_fma_f64 v[161:162], v[5:6], v[175:176], -v[161:162]
	v_fma_f64 v[147:148], v[7:8], v[175:176], v[147:148]
	ds_read_b128 v[5:8], v177 offset:1696
	v_add_f64 v[129:130], v[129:130], v[151:152]
	v_add_f64 v[131:132], v[131:132], v[139:140]
	s_waitcnt vmcnt(47) lgkmcnt(1)
	v_mul_f64 v[151:152], v[127:128], v[196:197]
	v_mul_f64 v[139:140], v[125:126], v[196:197]
	s_waitcnt vmcnt(45)
	v_fma_f64 v[157:158], v[1:2], v[163:164], -v[157:158]
	v_fma_f64 v[159:160], v[3:4], v[163:164], v[159:160]
	ds_read_b128 v[1:4], v177 offset:1712
	v_add_f64 v[129:130], v[129:130], v[161:162]
	v_add_f64 v[131:132], v[131:132], v[147:148]
	s_waitcnt vmcnt(41) lgkmcnt(1)
	v_mul_f64 v[161:162], v[7:8], v[165:166]
	s_waitcnt vmcnt(40)
	v_fma_f64 v[151:152], v[125:126], v[200:201], -v[151:152]
	v_mul_f64 v[147:148], v[5:6], v[165:166]
	v_fma_f64 v[139:140], v[127:128], v[200:201], v[139:140]
	ds_read_b128 v[125:128], v177 offset:1728
	v_add_f64 v[129:130], v[129:130], v[157:158]
	v_add_f64 v[131:132], v[131:132], v[159:160]
	s_waitcnt vmcnt(39) lgkmcnt(1)
	v_mul_f64 v[159:160], v[3:4], v[182:183]
	v_mul_f64 v[157:158], v[1:2], v[182:183]
	s_waitcnt vmcnt(37)
	v_fma_f64 v[161:162], v[5:6], v[171:172], -v[161:162]
	v_fma_f64 v[147:148], v[7:8], v[171:172], v[147:148]
	ds_read_b128 v[5:8], v177 offset:1744
	v_add_f64 v[129:130], v[129:130], v[151:152]
	v_add_f64 v[131:132], v[131:132], v[139:140]
	s_waitcnt vmcnt(33) lgkmcnt(1)
	v_mul_f64 v[151:152], v[127:128], v[188:189]
	s_waitcnt vmcnt(32)
	v_fma_f64 v[159:160], v[1:2], v[205:206], -v[159:160]
	v_mul_f64 v[139:140], v[125:126], v[188:189]
	v_fma_f64 v[157:158], v[3:4], v[205:206], v[157:158]
	ds_read_b128 v[1:4], v177 offset:1760
	v_add_f64 v[129:130], v[129:130], v[161:162]
	v_add_f64 v[131:132], v[131:132], v[147:148]
	s_waitcnt vmcnt(31) lgkmcnt(1)
	v_mul_f64 v[161:162], v[7:8], v[198:199]
	v_mul_f64 v[147:148], v[5:6], v[198:199]
	s_waitcnt vmcnt(29)
	v_fma_f64 v[151:152], v[125:126], v[135:136], -v[151:152]
	v_fma_f64 v[135:136], v[127:128], v[135:136], v[139:140]
	ds_read_b128 v[125:128], v177 offset:1776
	v_add_f64 v[129:130], v[129:130], v[159:160]
	v_add_f64 v[131:132], v[131:132], v[157:158]
	s_waitcnt vmcnt(25) lgkmcnt(1)
	v_mul_f64 v[139:140], v[1:2], v[141:142]
	v_mul_f64 v[141:142], v[3:4], v[141:142]
	s_waitcnt vmcnt(24)
	v_fma_f64 v[157:158], v[5:6], v[202:203], -v[161:162]
	v_fma_f64 v[147:148], v[7:8], v[202:203], v[147:148]
	ds_read_b128 v[5:8], v177 offset:1792
	v_add_f64 v[129:130], v[129:130], v[151:152]
	v_add_f64 v[131:132], v[131:132], v[135:136]
	s_waitcnt vmcnt(23) lgkmcnt(1)
	v_mul_f64 v[151:152], v[127:128], v[190:191]
	v_mul_f64 v[135:136], v[125:126], v[190:191]
	s_waitcnt vmcnt(21)
	v_fma_f64 v[141:142], v[1:2], v[137:138], -v[141:142]
	v_fma_f64 v[137:138], v[3:4], v[137:138], v[139:140]
	ds_read_b128 v[1:4], v177 offset:1808
	v_add_f64 v[129:130], v[129:130], v[157:158]
	v_add_f64 v[131:132], v[131:132], v[147:148]
	s_waitcnt vmcnt(17) lgkmcnt(1)
	v_mul_f64 v[147:148], v[7:8], v[178:179]
	s_waitcnt vmcnt(16)
	v_fma_f64 v[151:152], v[125:126], v[207:208], -v[151:152]
	v_mul_f64 v[139:140], v[5:6], v[178:179]
	v_fma_f64 v[135:136], v[127:128], v[207:208], v[135:136]
	ds_read_b128 v[125:128], v177 offset:1824
	v_add_f64 v[129:130], v[129:130], v[141:142]
	v_add_f64 v[131:132], v[131:132], v[137:138]
	s_waitcnt vmcnt(15) lgkmcnt(1)
	v_mul_f64 v[141:142], v[3:4], v[180:181]
	v_mul_f64 v[137:138], v[1:2], v[180:181]
	s_waitcnt vmcnt(13)
	v_fma_f64 v[147:148], v[5:6], v[143:144], -v[147:148]
	v_fma_f64 v[139:140], v[7:8], v[143:144], v[139:140]
	ds_read_b128 v[5:8], v177 offset:1840
	v_add_f64 v[129:130], v[129:130], v[151:152]
	v_add_f64 v[131:132], v[131:132], v[135:136]
	s_waitcnt vmcnt(9) lgkmcnt(1)
	v_mul_f64 v[135:136], v[125:126], v[133:134]
	v_mul_f64 v[133:134], v[127:128], v[133:134]
	s_waitcnt vmcnt(8)
	v_fma_f64 v[1:2], v[1:2], v[194:195], -v[141:142]
	v_fma_f64 v[3:4], v[3:4], v[194:195], v[137:138]
	v_add_f64 v[129:130], v[129:130], v[147:148]
	v_add_f64 v[131:132], v[131:132], v[139:140]
	s_waitcnt vmcnt(7) lgkmcnt(0)
	v_mul_f64 v[139:140], v[7:8], v[153:154]
	v_mul_f64 v[137:138], v[5:6], v[153:154]
	s_waitcnt vmcnt(5)
	v_fma_f64 v[125:126], v[125:126], v[149:150], -v[133:134]
	v_fma_f64 v[127:128], v[127:128], v[149:150], v[135:136]
	v_add_f64 v[1:2], v[129:130], v[1:2]
	v_add_f64 v[3:4], v[131:132], v[3:4]
	s_waitcnt vmcnt(4)
	v_fma_f64 v[5:6], v[5:6], v[192:193], -v[139:140]
	v_fma_f64 v[7:8], v[7:8], v[192:193], v[137:138]
	v_add_f64 v[1:2], v[1:2], v[125:126]
	v_add_f64 v[3:4], v[3:4], v[127:128]
	;; [unrolled: 1-line block ×4, first 2 shown]
	s_waitcnt vmcnt(2)
	v_add_f64 v[1:2], v[145:146], -v[1:2]
	s_waitcnt vmcnt(0)
	v_add_f64 v[3:4], v[155:156], -v[3:4]
	buffer_store_dword v2, off, s[0:3], 0 offset:244
	buffer_store_dword v1, off, s[0:3], 0 offset:240
	;; [unrolled: 1-line block ×4, first 2 shown]
	v_cmpx_lt_u32_e32 13, v0
	s_cbranch_execz .LBB121_335
; %bb.334:
	v_mov_b32_e32 v4, s57
	s_clause 0x3
	buffer_load_dword v1, v4, s[0:3], 0 offen
	buffer_load_dword v2, v4, s[0:3], 0 offen offset:4
	buffer_load_dword v3, v4, s[0:3], 0 offen offset:8
	;; [unrolled: 1-line block ×3, first 2 shown]
	buffer_store_dword v177, off, s[0:3], 0 offset:224
	buffer_store_dword v177, off, s[0:3], 0 offset:228
	;; [unrolled: 1-line block ×4, first 2 shown]
	s_waitcnt vmcnt(0)
	ds_write_b128 v185, v[1:4]
.LBB121_335:
	s_or_b32 exec_lo, exec_lo, s4
	s_waitcnt lgkmcnt(0)
	s_waitcnt_vscnt null, 0x0
	s_barrier
	buffer_gl0_inv
	s_clause 0x37
	buffer_load_dword v125, off, s[0:3], 0 offset:248
	buffer_load_dword v126, off, s[0:3], 0 offset:252
	buffer_load_dword v5, off, s[0:3], 0 offset:264
	buffer_load_dword v6, off, s[0:3], 0 offset:268
	buffer_load_dword v7, off, s[0:3], 0 offset:240
	buffer_load_dword v8, off, s[0:3], 0 offset:244
	buffer_load_dword v3, off, s[0:3], 0 offset:280
	buffer_load_dword v4, off, s[0:3], 0 offset:284
	buffer_load_dword v1, off, s[0:3], 0 offset:256
	buffer_load_dword v2, off, s[0:3], 0 offset:260
	buffer_load_dword v130, off, s[0:3], 0 offset:300
	buffer_load_dword v133, off, s[0:3], 0 offset:312
	buffer_load_dword v127, off, s[0:3], 0 offset:304
	buffer_load_dword v129, off, s[0:3], 0 offset:296
	buffer_load_dword v141, off, s[0:3], 0 offset:272
	buffer_load_dword v142, off, s[0:3], 0 offset:276
	buffer_load_dword v134, off, s[0:3], 0 offset:316
	buffer_load_dword v136, off, s[0:3], 0 offset:292
	buffer_load_dword v135, off, s[0:3], 0 offset:288
	buffer_load_dword v138, off, s[0:3], 0 offset:332
	buffer_load_dword v143, off, s[0:3], 0 offset:344
	buffer_load_dword v131, off, s[0:3], 0 offset:336
	buffer_load_dword v137, off, s[0:3], 0 offset:328
	buffer_load_dword v128, off, s[0:3], 0 offset:308
	buffer_load_dword v144, off, s[0:3], 0 offset:348
	buffer_load_dword v146, off, s[0:3], 0 offset:324
	buffer_load_dword v145, off, s[0:3], 0 offset:320
	buffer_load_dword v148, off, s[0:3], 0 offset:364
	buffer_load_dword v151, off, s[0:3], 0 offset:376
	buffer_load_dword v139, off, s[0:3], 0 offset:368
	buffer_load_dword v147, off, s[0:3], 0 offset:360
	buffer_load_dword v132, off, s[0:3], 0 offset:340
	buffer_load_dword v152, off, s[0:3], 0 offset:380
	buffer_load_dword v154, off, s[0:3], 0 offset:356
	buffer_load_dword v153, off, s[0:3], 0 offset:352
	buffer_load_dword v156, off, s[0:3], 0 offset:396
	buffer_load_dword v159, off, s[0:3], 0 offset:408
	buffer_load_dword v149, off, s[0:3], 0 offset:400
	buffer_load_dword v155, off, s[0:3], 0 offset:392
	buffer_load_dword v140, off, s[0:3], 0 offset:372
	buffer_load_dword v160, off, s[0:3], 0 offset:412
	buffer_load_dword v162, off, s[0:3], 0 offset:388
	buffer_load_dword v161, off, s[0:3], 0 offset:384
	buffer_load_dword v164, off, s[0:3], 0 offset:428
	buffer_load_dword v167, off, s[0:3], 0 offset:440
	buffer_load_dword v157, off, s[0:3], 0 offset:432
	buffer_load_dword v163, off, s[0:3], 0 offset:424
	buffer_load_dword v150, off, s[0:3], 0 offset:404
	buffer_load_dword v168, off, s[0:3], 0 offset:444
	buffer_load_dword v170, off, s[0:3], 0 offset:420
	buffer_load_dword v169, off, s[0:3], 0 offset:416
	buffer_load_dword v172, off, s[0:3], 0 offset:460
	buffer_load_dword v173, off, s[0:3], 0 offset:472
	buffer_load_dword v165, off, s[0:3], 0 offset:464
	buffer_load_dword v171, off, s[0:3], 0 offset:456
	buffer_load_dword v158, off, s[0:3], 0 offset:436
	ds_read_b128 v[178:181], v177 offset:1152
	s_clause 0x2
	buffer_load_dword v174, off, s[0:3], 0 offset:476
	buffer_load_dword v176, off, s[0:3], 0 offset:452
	;; [unrolled: 1-line block ×3, first 2 shown]
	ds_read_b128 v[186:189], v177 offset:1168
	s_clause 0x4
	buffer_load_dword v195, off, s[0:3], 0 offset:492
	buffer_load_dword v196, off, s[0:3], 0 offset:504
	;; [unrolled: 1-line block ×5, first 2 shown]
	ds_read_b128 v[190:193], v177 offset:1184
	s_clause 0x2
	buffer_load_dword v197, off, s[0:3], 0 offset:508
	buffer_load_dword v202, off, s[0:3], 0 offset:484
	;; [unrolled: 1-line block ×3, first 2 shown]
	s_mov_b32 s4, exec_lo
	s_waitcnt vmcnt(62) lgkmcnt(2)
	v_mul_f64 v[182:183], v[180:181], v[125:126]
	v_mul_f64 v[125:126], v[178:179], v[125:126]
	s_waitcnt lgkmcnt(1)
	v_mul_f64 v[199:200], v[188:189], v[5:6]
	s_waitcnt vmcnt(59) lgkmcnt(0)
	v_mul_f64 v[203:204], v[192:193], v[3:4]
	v_fma_f64 v[178:179], v[178:179], v[7:8], -v[182:183]
	v_mul_f64 v[182:183], v[186:187], v[5:6]
	v_fma_f64 v[125:126], v[180:181], v[7:8], v[125:126]
	s_waitcnt vmcnt(57)
	v_fma_f64 v[186:187], v[186:187], v[1:2], -v[199:200]
	ds_read_b128 v[5:8], v177 offset:1200
	v_mul_f64 v[180:181], v[190:191], v[3:4]
	s_waitcnt vmcnt(51)
	v_fma_f64 v[190:191], v[190:191], v[141:142], -v[203:204]
	v_add_f64 v[178:179], v[178:179], 0
	v_fma_f64 v[182:183], v[188:189], v[1:2], v[182:183]
	v_add_f64 v[125:126], v[125:126], 0
	s_clause 0x4
	buffer_load_dword v189, off, s[0:3], 0 offset:524
	buffer_load_dword v205, off, s[0:3], 0 offset:536
	;; [unrolled: 1-line block ×5, first 2 shown]
	s_waitcnt lgkmcnt(0)
	v_mul_f64 v[208:209], v[5:6], v[129:130]
	v_mul_f64 v[129:130], v[7:8], v[129:130]
	ds_read_b128 v[1:4], v177 offset:1216
	v_fma_f64 v[141:142], v[192:193], v[141:142], v[180:181]
	v_add_f64 v[186:187], v[178:179], v[186:187]
	v_add_f64 v[125:126], v[125:126], v[182:183]
	s_clause 0x2
	buffer_load_dword v206, off, s[0:3], 0 offset:540
	buffer_load_dword v183, off, s[0:3], 0 offset:516
	;; [unrolled: 1-line block ×3, first 2 shown]
	s_waitcnt vmcnt(58) lgkmcnt(0)
	v_mul_f64 v[192:193], v[1:2], v[133:134]
	v_mul_f64 v[133:134], v[3:4], v[133:134]
	s_waitcnt vmcnt(56)
	v_fma_f64 v[129:130], v[5:6], v[135:136], -v[129:130]
	ds_read_b128 v[178:181], v177 offset:1232
	v_fma_f64 v[135:136], v[7:8], v[135:136], v[208:209]
	v_add_f64 v[186:187], v[186:187], v[190:191]
	v_add_f64 v[125:126], v[125:126], v[141:142]
	s_clause 0x4
	buffer_load_dword v142, off, s[0:3], 0 offset:556
	buffer_load_dword v190, off, s[0:3], 0 offset:568
	;; [unrolled: 1-line block ×5, first 2 shown]
	ds_read_b128 v[5:8], v177 offset:1248
	s_waitcnt vmcnt(57) lgkmcnt(1)
	v_mul_f64 v[209:210], v[178:179], v[137:138]
	v_mul_f64 v[137:138], v[180:181], v[137:138]
	s_waitcnt vmcnt(56)
	v_fma_f64 v[133:134], v[1:2], v[127:128], -v[133:134]
	v_fma_f64 v[127:128], v[3:4], v[127:128], v[192:193]
	v_add_f64 v[129:130], v[186:187], v[129:130]
	v_add_f64 v[125:126], v[125:126], v[135:136]
	s_clause 0x2
	buffer_load_dword v191, off, s[0:3], 0 offset:572
	buffer_load_dword v136, off, s[0:3], 0 offset:548
	buffer_load_dword v135, off, s[0:3], 0 offset:544
	s_waitcnt vmcnt(58) lgkmcnt(0)
	v_mul_f64 v[186:187], v[5:6], v[143:144]
	v_mul_f64 v[143:144], v[7:8], v[143:144]
	s_waitcnt vmcnt(56)
	v_fma_f64 v[137:138], v[178:179], v[145:146], -v[137:138]
	ds_read_b128 v[1:4], v177 offset:1264
	v_add_f64 v[129:130], v[129:130], v[133:134]
	v_fma_f64 v[133:134], v[180:181], v[145:146], v[209:210]
	v_add_f64 v[145:146], v[125:126], v[127:128]
	s_clause 0x4
	buffer_load_dword v179, off, s[0:3], 0 offset:588
	buffer_load_dword v180, off, s[0:3], 0 offset:600
	;; [unrolled: 1-line block ×5, first 2 shown]
	ds_read_b128 v[125:128], v177 offset:1280
	s_waitcnt vmcnt(57) lgkmcnt(1)
	v_mul_f64 v[209:210], v[1:2], v[147:148]
	v_mul_f64 v[147:148], v[3:4], v[147:148]
	s_waitcnt vmcnt(56)
	v_fma_f64 v[143:144], v[5:6], v[131:132], -v[143:144]
	v_fma_f64 v[131:132], v[7:8], v[131:132], v[186:187]
	v_add_f64 v[129:130], v[129:130], v[137:138]
	s_clause 0x2
	buffer_load_dword v181, off, s[0:3], 0 offset:604
	buffer_load_dword v138, off, s[0:3], 0 offset:580
	;; [unrolled: 1-line block ×3, first 2 shown]
	v_add_f64 v[133:134], v[145:146], v[133:134]
	s_waitcnt vmcnt(58) lgkmcnt(0)
	v_mul_f64 v[145:146], v[125:126], v[151:152]
	v_mul_f64 v[151:152], v[127:128], v[151:152]
	ds_read_b128 v[5:8], v177 offset:1296
	s_waitcnt vmcnt(56)
	v_fma_f64 v[147:148], v[1:2], v[153:154], -v[147:148]
	v_add_f64 v[129:130], v[129:130], v[143:144]
	v_fma_f64 v[143:144], v[3:4], v[153:154], v[209:210]
	v_add_f64 v[131:132], v[133:134], v[131:132]
	s_clause 0x4
	buffer_load_dword v134, off, s[0:3], 0 offset:620
	buffer_load_dword v153, off, s[0:3], 0 offset:632
	;; [unrolled: 1-line block ×5, first 2 shown]
	s_waitcnt vmcnt(57) lgkmcnt(0)
	v_mul_f64 v[209:210], v[5:6], v[155:156]
	v_mul_f64 v[155:156], v[7:8], v[155:156]
	s_waitcnt vmcnt(56)
	v_fma_f64 v[151:152], v[125:126], v[139:140], -v[151:152]
	ds_read_b128 v[1:4], v177 offset:1312
	v_fma_f64 v[139:140], v[127:128], v[139:140], v[145:146]
	v_add_f64 v[129:130], v[129:130], v[147:148]
	v_add_f64 v[131:132], v[131:132], v[143:144]
	s_clause 0x2
	buffer_load_dword v154, off, s[0:3], 0 offset:636
	buffer_load_dword v144, off, s[0:3], 0 offset:612
	;; [unrolled: 1-line block ×3, first 2 shown]
	ds_read_b128 v[125:128], v177 offset:1328
	s_waitcnt vmcnt(58) lgkmcnt(1)
	v_mul_f64 v[147:148], v[3:4], v[159:160]
	s_waitcnt vmcnt(56)
	v_fma_f64 v[155:156], v[5:6], v[161:162], -v[155:156]
	v_mul_f64 v[145:146], v[1:2], v[159:160]
	v_add_f64 v[129:130], v[129:130], v[151:152]
	v_fma_f64 v[151:152], v[7:8], v[161:162], v[209:210]
	v_add_f64 v[131:132], v[131:132], v[139:140]
	s_clause 0x4
	buffer_load_dword v140, off, s[0:3], 0 offset:652
	buffer_load_dword v159, off, s[0:3], 0 offset:664
	;; [unrolled: 1-line block ×5, first 2 shown]
	s_waitcnt vmcnt(57) lgkmcnt(0)
	v_mul_f64 v[209:210], v[125:126], v[163:164]
	v_mul_f64 v[162:163], v[127:128], v[163:164]
	s_waitcnt vmcnt(56)
	v_fma_f64 v[147:148], v[1:2], v[149:150], -v[147:148]
	ds_read_b128 v[5:8], v177 offset:1344
	v_fma_f64 v[145:146], v[3:4], v[149:150], v[145:146]
	s_clause 0x2
	buffer_load_dword v160, off, s[0:3], 0 offset:668
	buffer_load_dword v150, off, s[0:3], 0 offset:644
	;; [unrolled: 1-line block ×3, first 2 shown]
	ds_read_b128 v[1:4], v177 offset:1360
	v_add_f64 v[129:130], v[129:130], v[155:156]
	v_add_f64 v[131:132], v[131:132], v[151:152]
	s_waitcnt vmcnt(58) lgkmcnt(1)
	v_mul_f64 v[155:156], v[7:8], v[167:168]
	s_waitcnt vmcnt(56)
	v_fma_f64 v[163:164], v[125:126], v[169:170], -v[162:163]
	v_mul_f64 v[151:152], v[5:6], v[167:168]
	v_add_f64 v[129:130], v[129:130], v[147:148]
	v_fma_f64 v[147:148], v[127:128], v[169:170], v[209:210]
	v_add_f64 v[131:132], v[131:132], v[145:146]
	s_clause 0x4
	buffer_load_dword v146, off, s[0:3], 0 offset:684
	buffer_load_dword v167, off, s[0:3], 0 offset:696
	;; [unrolled: 1-line block ×5, first 2 shown]
	s_waitcnt vmcnt(57) lgkmcnt(0)
	v_mul_f64 v[209:210], v[1:2], v[171:172]
	v_mul_f64 v[170:171], v[3:4], v[171:172]
	s_waitcnt vmcnt(56)
	v_fma_f64 v[155:156], v[5:6], v[157:158], -v[155:156]
	ds_read_b128 v[125:128], v177 offset:1376
	v_fma_f64 v[151:152], v[7:8], v[157:158], v[151:152]
	v_add_f64 v[129:130], v[129:130], v[163:164]
	v_add_f64 v[131:132], v[131:132], v[147:148]
	s_clause 0x2
	buffer_load_dword v168, off, s[0:3], 0 offset:700
	buffer_load_dword v148, off, s[0:3], 0 offset:676
	;; [unrolled: 1-line block ×3, first 2 shown]
	ds_read_b128 v[5:8], v177 offset:1392
	s_waitcnt vmcnt(58) lgkmcnt(1)
	v_mul_f64 v[163:164], v[127:128], v[173:174]
	s_waitcnt vmcnt(56)
	v_fma_f64 v[171:172], v[1:2], v[175:176], -v[170:171]
	v_mul_f64 v[157:158], v[125:126], v[173:174]
	v_add_f64 v[129:130], v[129:130], v[155:156]
	v_fma_f64 v[155:156], v[3:4], v[175:176], v[209:210]
	v_add_f64 v[131:132], v[131:132], v[151:152]
	s_clause 0x4
	buffer_load_dword v152, off, s[0:3], 0 offset:716
	buffer_load_dword v173, off, s[0:3], 0 offset:728
	;; [unrolled: 1-line block ×5, first 2 shown]
	s_waitcnt vmcnt(57) lgkmcnt(0)
	v_mul_f64 v[209:210], v[5:6], v[194:195]
	v_mul_f64 v[194:195], v[7:8], v[194:195]
	s_waitcnt vmcnt(56)
	v_fma_f64 v[163:164], v[125:126], v[165:166], -v[163:164]
	ds_read_b128 v[1:4], v177 offset:1408
	v_fma_f64 v[157:158], v[127:128], v[165:166], v[157:158]
	v_add_f64 v[129:130], v[129:130], v[171:172]
	v_add_f64 v[131:132], v[131:132], v[155:156]
	s_clause 0x2
	buffer_load_dword v174, off, s[0:3], 0 offset:732
	buffer_load_dword v156, off, s[0:3], 0 offset:708
	;; [unrolled: 1-line block ×3, first 2 shown]
	ds_read_b128 v[125:128], v177 offset:1424
	s_waitcnt vmcnt(58) lgkmcnt(1)
	v_mul_f64 v[171:172], v[3:4], v[196:197]
	s_waitcnt vmcnt(56)
	v_fma_f64 v[194:195], v[5:6], v[201:202], -v[194:195]
	v_mul_f64 v[165:166], v[1:2], v[196:197]
	v_add_f64 v[129:130], v[129:130], v[163:164]
	v_fma_f64 v[163:164], v[7:8], v[201:202], v[209:210]
	v_add_f64 v[131:132], v[131:132], v[157:158]
	s_clause 0x4
	buffer_load_dword v158, off, s[0:3], 0 offset:748
	buffer_load_dword v196, off, s[0:3], 0 offset:760
	;; [unrolled: 1-line block ×5, first 2 shown]
	ds_read_b128 v[5:8], v177 offset:1440
	s_waitcnt vmcnt(57) lgkmcnt(1)
	v_mul_f64 v[201:202], v[125:126], v[188:189]
	v_mul_f64 v[188:189], v[127:128], v[188:189]
	s_waitcnt vmcnt(56)
	v_fma_f64 v[171:172], v[1:2], v[198:199], -v[171:172]
	v_fma_f64 v[165:166], v[3:4], v[198:199], v[165:166]
	v_add_f64 v[129:130], v[129:130], v[194:195]
	v_add_f64 v[131:132], v[131:132], v[163:164]
	s_clause 0x2
	buffer_load_dword v197, off, s[0:3], 0 offset:764
	buffer_load_dword v164, off, s[0:3], 0 offset:740
	;; [unrolled: 1-line block ×3, first 2 shown]
	ds_read_b128 v[1:4], v177 offset:1456
	s_waitcnt vmcnt(58) lgkmcnt(1)
	v_mul_f64 v[198:199], v[7:8], v[205:206]
	v_mul_f64 v[194:195], v[5:6], v[205:206]
	s_waitcnt vmcnt(56)
	v_fma_f64 v[188:189], v[125:126], v[182:183], -v[188:189]
	v_add_f64 v[129:130], v[129:130], v[171:172]
	v_fma_f64 v[171:172], v[127:128], v[182:183], v[201:202]
	v_add_f64 v[131:132], v[131:132], v[165:166]
	s_clause 0x4
	buffer_load_dword v166, off, s[0:3], 0 offset:780
	buffer_load_dword v182, off, s[0:3], 0 offset:792
	buffer_load_dword v205, off, s[0:3], 0 offset:784
	buffer_load_dword v165, off, s[0:3], 0 offset:776
	buffer_load_dword v201, off, s[0:3], 0 offset:756
	ds_read_b128 v[125:128], v177 offset:1472
	s_waitcnt vmcnt(57) lgkmcnt(1)
	v_mul_f64 v[209:210], v[1:2], v[141:142]
	v_mul_f64 v[141:142], v[3:4], v[141:142]
	s_waitcnt vmcnt(56)
	v_fma_f64 v[198:199], v[5:6], v[207:208], -v[198:199]
	v_add_f64 v[129:130], v[129:130], v[188:189]
	v_fma_f64 v[188:189], v[7:8], v[207:208], v[194:195]
	v_add_f64 v[131:132], v[131:132], v[171:172]
	s_clause 0x2
	buffer_load_dword v183, off, s[0:3], 0 offset:796
	buffer_load_dword v172, off, s[0:3], 0 offset:772
	buffer_load_dword v171, off, s[0:3], 0 offset:768
	ds_read_b128 v[5:8], v177 offset:1488
	s_waitcnt vmcnt(58) lgkmcnt(1)
	v_mul_f64 v[194:195], v[125:126], v[190:191]
	v_mul_f64 v[190:191], v[127:128], v[190:191]
	s_waitcnt vmcnt(56)
	v_fma_f64 v[141:142], v[1:2], v[135:136], -v[141:142]
	v_fma_f64 v[135:136], v[3:4], v[135:136], v[209:210]
	v_add_f64 v[129:130], v[129:130], v[198:199]
	v_add_f64 v[131:132], v[131:132], v[188:189]
	s_clause 0x4
	buffer_load_dword v189, off, s[0:3], 0 offset:812
	buffer_load_dword v198, off, s[0:3], 0 offset:824
	buffer_load_dword v202, off, s[0:3], 0 offset:816
	buffer_load_dword v188, off, s[0:3], 0 offset:808
	buffer_load_dword v206, off, s[0:3], 0 offset:788
	ds_read_b128 v[1:4], v177 offset:1504
	s_waitcnt vmcnt(57) lgkmcnt(1)
	v_mul_f64 v[207:208], v[5:6], v[178:179]
	v_mul_f64 v[178:179], v[7:8], v[178:179]
	s_waitcnt vmcnt(56)
	v_fma_f64 v[190:191], v[125:126], v[203:204], -v[190:191]
	v_add_f64 v[129:130], v[129:130], v[141:142]
	v_fma_f64 v[141:142], v[127:128], v[203:204], v[194:195]
	v_add_f64 v[131:132], v[131:132], v[135:136]
	s_clause 0x2
	buffer_load_dword v199, off, s[0:3], 0 offset:828
	buffer_load_dword v136, off, s[0:3], 0 offset:804
	buffer_load_dword v135, off, s[0:3], 0 offset:800
	ds_read_b128 v[125:128], v177 offset:1520
	s_waitcnt vmcnt(58) lgkmcnt(1)
	v_mul_f64 v[194:195], v[1:2], v[180:181]
	v_mul_f64 v[180:181], v[3:4], v[180:181]
	s_waitcnt vmcnt(56)
	v_fma_f64 v[178:179], v[5:6], v[137:138], -v[178:179]
	v_fma_f64 v[137:138], v[7:8], v[137:138], v[207:208]
	v_add_f64 v[129:130], v[129:130], v[190:191]
	v_add_f64 v[131:132], v[131:132], v[141:142]
	s_clause 0x4
	buffer_load_dword v142, off, s[0:3], 0 offset:844
	buffer_load_dword v190, off, s[0:3], 0 offset:856
	buffer_load_dword v207, off, s[0:3], 0 offset:848
	buffer_load_dword v141, off, s[0:3], 0 offset:840
	buffer_load_dword v203, off, s[0:3], 0 offset:820
	ds_read_b128 v[5:8], v177 offset:1536
	s_waitcnt vmcnt(57) lgkmcnt(1)
	v_mul_f64 v[208:209], v[125:126], v[133:134]
	v_mul_f64 v[133:134], v[127:128], v[133:134]
	s_waitcnt vmcnt(56)
	v_fma_f64 v[180:181], v[1:2], v[192:193], -v[180:181]
	v_add_f64 v[129:130], v[129:130], v[178:179]
	v_fma_f64 v[178:179], v[3:4], v[192:193], v[194:195]
	v_add_f64 v[131:132], v[131:132], v[137:138]
	s_clause 0x2
	buffer_load_dword v191, off, s[0:3], 0 offset:860
	buffer_load_dword v138, off, s[0:3], 0 offset:836
	buffer_load_dword v137, off, s[0:3], 0 offset:832
	ds_read_b128 v[1:4], v177 offset:1552
	s_waitcnt vmcnt(58) lgkmcnt(1)
	v_mul_f64 v[192:193], v[5:6], v[153:154]
	v_mul_f64 v[153:154], v[7:8], v[153:154]
	s_waitcnt vmcnt(56)
	v_fma_f64 v[133:134], v[125:126], v[143:144], -v[133:134]
	v_fma_f64 v[143:144], v[127:128], v[143:144], v[208:209]
	v_add_f64 v[129:130], v[129:130], v[180:181]
	v_add_f64 v[131:132], v[131:132], v[178:179]
	s_clause 0x4
	buffer_load_dword v179, off, s[0:3], 0 offset:876
	buffer_load_dword v180, off, s[0:3], 0 offset:888
	;; [unrolled: 1-line block ×5, first 2 shown]
	ds_read_b128 v[125:128], v177 offset:1568
	s_waitcnt vmcnt(57) lgkmcnt(1)
	v_mul_f64 v[209:210], v[1:2], v[139:140]
	v_mul_f64 v[139:140], v[3:4], v[139:140]
	s_waitcnt vmcnt(56)
	v_fma_f64 v[153:154], v[5:6], v[186:187], -v[153:154]
	v_add_f64 v[129:130], v[129:130], v[133:134]
	v_fma_f64 v[133:134], v[7:8], v[186:187], v[192:193]
	v_add_f64 v[131:132], v[131:132], v[143:144]
	s_clause 0x2
	buffer_load_dword v181, off, s[0:3], 0 offset:892
	buffer_load_dword v144, off, s[0:3], 0 offset:868
	;; [unrolled: 1-line block ×3, first 2 shown]
	s_waitcnt vmcnt(58) lgkmcnt(0)
	v_mul_f64 v[186:187], v[125:126], v[159:160]
	v_mul_f64 v[159:160], v[127:128], v[159:160]
	ds_read_b128 v[5:8], v177 offset:1584
	s_waitcnt vmcnt(56)
	v_fma_f64 v[139:140], v[1:2], v[149:150], -v[139:140]
	v_fma_f64 v[149:150], v[3:4], v[149:150], v[209:210]
	v_add_f64 v[129:130], v[129:130], v[153:154]
	v_add_f64 v[131:132], v[131:132], v[133:134]
	s_clause 0x4
	buffer_load_dword v134, off, s[0:3], 0 offset:908
	buffer_load_dword v153, off, s[0:3], 0 offset:920
	buffer_load_dword v192, off, s[0:3], 0 offset:912
	buffer_load_dword v133, off, s[0:3], 0 offset:904
	buffer_load_dword v195, off, s[0:3], 0 offset:884
	ds_read_b128 v[1:4], v177 offset:1600
	s_waitcnt vmcnt(57) lgkmcnt(1)
	v_mul_f64 v[209:210], v[5:6], v[145:146]
	v_mul_f64 v[145:146], v[7:8], v[145:146]
	s_waitcnt vmcnt(56)
	v_fma_f64 v[159:160], v[125:126], v[161:162], -v[159:160]
	v_add_f64 v[129:130], v[129:130], v[139:140]
	v_fma_f64 v[139:140], v[127:128], v[161:162], v[186:187]
	v_add_f64 v[131:132], v[131:132], v[149:150]
	s_clause 0x2
	buffer_load_dword v154, off, s[0:3], 0 offset:924
	buffer_load_dword v150, off, s[0:3], 0 offset:900
	buffer_load_dword v149, off, s[0:3], 0 offset:896
	ds_read_b128 v[125:128], v177 offset:1616
	s_waitcnt vmcnt(58) lgkmcnt(1)
	v_mul_f64 v[161:162], v[1:2], v[167:168]
	v_mul_f64 v[167:168], v[3:4], v[167:168]
	s_waitcnt vmcnt(56)
	v_fma_f64 v[145:146], v[5:6], v[147:148], -v[145:146]
	v_fma_f64 v[147:148], v[7:8], v[147:148], v[209:210]
	v_add_f64 v[129:130], v[129:130], v[159:160]
	v_add_f64 v[131:132], v[131:132], v[139:140]
	s_clause 0x2
	buffer_load_dword v140, off, s[0:3], 0 offset:940
	buffer_load_dword v139, off, s[0:3], 0 offset:936
	;; [unrolled: 1-line block ×3, first 2 shown]
	ds_read_b128 v[5:8], v177 offset:1632
	s_waitcnt vmcnt(55) lgkmcnt(1)
	v_mul_f64 v[159:160], v[125:126], v[151:152]
	v_mul_f64 v[151:152], v[127:128], v[151:152]
	s_waitcnt vmcnt(54)
	v_fma_f64 v[167:168], v[1:2], v[169:170], -v[167:168]
	v_add_f64 v[129:130], v[129:130], v[145:146]
	v_fma_f64 v[145:146], v[3:4], v[169:170], v[161:162]
	v_add_f64 v[131:132], v[131:132], v[147:148]
	s_clause 0x1
	buffer_load_dword v148, off, s[0:3], 0 offset:932
	buffer_load_dword v147, off, s[0:3], 0 offset:928
	ds_read_b128 v[1:4], v177 offset:1648
	s_waitcnt vmcnt(55) lgkmcnt(1)
	v_mul_f64 v[169:170], v[7:8], v[173:174]
	v_mul_f64 v[161:162], v[5:6], v[173:174]
	s_waitcnt vmcnt(53)
	v_fma_f64 v[151:152], v[125:126], v[155:156], -v[151:152]
	v_fma_f64 v[155:156], v[127:128], v[155:156], v[159:160]
	ds_read_b128 v[125:128], v177 offset:1664
	v_add_f64 v[129:130], v[129:130], v[167:168]
	v_add_f64 v[131:132], v[131:132], v[145:146]
	s_waitcnt vmcnt(49) lgkmcnt(1)
	v_mul_f64 v[145:146], v[1:2], v[157:158]
	v_mul_f64 v[157:158], v[3:4], v[157:158]
	s_waitcnt vmcnt(48)
	v_fma_f64 v[159:160], v[5:6], v[175:176], -v[169:170]
	v_add_f64 v[129:130], v[129:130], v[151:152]
	v_fma_f64 v[151:152], v[7:8], v[175:176], v[161:162]
	v_add_f64 v[131:132], v[131:132], v[155:156]
	s_clause 0x3
	buffer_load_dword v155, off, s[0:3], 0 offset:224
	buffer_load_dword v156, off, s[0:3], 0 offset:228
	;; [unrolled: 1-line block ×4, first 2 shown]
	ds_read_b128 v[5:8], v177 offset:1680
	s_waitcnt vmcnt(51) lgkmcnt(1)
	v_mul_f64 v[169:170], v[127:128], v[196:197]
	v_mul_f64 v[167:168], v[125:126], v[196:197]
	s_waitcnt vmcnt(49)
	v_fma_f64 v[157:158], v[1:2], v[163:164], -v[157:158]
	v_fma_f64 v[145:146], v[3:4], v[163:164], v[145:146]
	ds_read_b128 v[1:4], v177 offset:1696
	v_add_f64 v[129:130], v[129:130], v[159:160]
	v_add_f64 v[131:132], v[131:132], v[151:152]
	s_waitcnt vmcnt(45) lgkmcnt(1)
	v_mul_f64 v[159:160], v[7:8], v[165:166]
	s_waitcnt vmcnt(44)
	v_fma_f64 v[163:164], v[125:126], v[200:201], -v[169:170]
	v_mul_f64 v[151:152], v[5:6], v[165:166]
	v_add_f64 v[129:130], v[129:130], v[157:158]
	v_fma_f64 v[157:158], v[127:128], v[200:201], v[167:168]
	v_add_f64 v[131:132], v[131:132], v[145:146]
	ds_read_b128 v[125:128], v177 offset:1712
	s_waitcnt vmcnt(43) lgkmcnt(1)
	v_mul_f64 v[165:166], v[3:4], v[182:183]
	v_mul_f64 v[145:146], v[1:2], v[182:183]
	s_waitcnt vmcnt(41)
	v_fma_f64 v[159:160], v[5:6], v[171:172], -v[159:160]
	v_fma_f64 v[151:152], v[7:8], v[171:172], v[151:152]
	ds_read_b128 v[5:8], v177 offset:1728
	v_add_f64 v[129:130], v[129:130], v[163:164]
	v_add_f64 v[131:132], v[131:132], v[157:158]
	s_waitcnt vmcnt(37) lgkmcnt(1)
	v_mul_f64 v[163:164], v[127:128], v[188:189]
	s_waitcnt vmcnt(36)
	v_fma_f64 v[165:166], v[1:2], v[205:206], -v[165:166]
	v_mul_f64 v[157:158], v[125:126], v[188:189]
	v_fma_f64 v[145:146], v[3:4], v[205:206], v[145:146]
	ds_read_b128 v[1:4], v177 offset:1744
	v_add_f64 v[129:130], v[129:130], v[159:160]
	v_add_f64 v[131:132], v[131:132], v[151:152]
	s_waitcnt vmcnt(35) lgkmcnt(1)
	v_mul_f64 v[159:160], v[7:8], v[198:199]
	v_mul_f64 v[151:152], v[5:6], v[198:199]
	s_waitcnt vmcnt(33)
	v_fma_f64 v[163:164], v[125:126], v[135:136], -v[163:164]
	v_fma_f64 v[135:136], v[127:128], v[135:136], v[157:158]
	ds_read_b128 v[125:128], v177 offset:1760
	v_add_f64 v[129:130], v[129:130], v[165:166]
	v_add_f64 v[131:132], v[131:132], v[145:146]
	s_waitcnt vmcnt(29) lgkmcnt(1)
	v_mul_f64 v[145:146], v[1:2], v[141:142]
	v_mul_f64 v[141:142], v[3:4], v[141:142]
	s_waitcnt vmcnt(28)
	v_fma_f64 v[157:158], v[5:6], v[202:203], -v[159:160]
	;; [unrolled: 9-line block ×3, first 2 shown]
	v_fma_f64 v[137:138], v[3:4], v[137:138], v[145:146]
	ds_read_b128 v[1:4], v177 offset:1792
	v_add_f64 v[129:130], v[129:130], v[157:158]
	v_add_f64 v[131:132], v[131:132], v[151:152]
	s_waitcnt vmcnt(21) lgkmcnt(1)
	v_mul_f64 v[151:152], v[7:8], v[178:179]
	s_waitcnt vmcnt(20)
	v_fma_f64 v[157:158], v[125:126], v[207:208], -v[159:160]
	v_mul_f64 v[145:146], v[5:6], v[178:179]
	v_fma_f64 v[135:136], v[127:128], v[207:208], v[135:136]
	ds_read_b128 v[125:128], v177 offset:1808
	v_add_f64 v[129:130], v[129:130], v[141:142]
	v_add_f64 v[131:132], v[131:132], v[137:138]
	s_waitcnt vmcnt(19) lgkmcnt(1)
	v_mul_f64 v[141:142], v[3:4], v[180:181]
	v_mul_f64 v[137:138], v[1:2], v[180:181]
	s_waitcnt vmcnt(17)
	v_fma_f64 v[151:152], v[5:6], v[143:144], -v[151:152]
	v_fma_f64 v[143:144], v[7:8], v[143:144], v[145:146]
	ds_read_b128 v[5:8], v177 offset:1824
	v_add_f64 v[129:130], v[129:130], v[157:158]
	v_add_f64 v[131:132], v[131:132], v[135:136]
	s_waitcnt vmcnt(13) lgkmcnt(1)
	v_mul_f64 v[135:136], v[125:126], v[133:134]
	v_mul_f64 v[133:134], v[127:128], v[133:134]
	s_waitcnt vmcnt(12)
	v_fma_f64 v[141:142], v[1:2], v[194:195], -v[141:142]
	v_fma_f64 v[137:138], v[3:4], v[194:195], v[137:138]
	ds_read_b128 v[1:4], v177 offset:1840
	v_add_f64 v[129:130], v[129:130], v[151:152]
	v_add_f64 v[131:132], v[131:132], v[143:144]
	s_waitcnt vmcnt(11) lgkmcnt(1)
	v_mul_f64 v[145:146], v[7:8], v[153:154]
	v_mul_f64 v[143:144], v[5:6], v[153:154]
	s_waitcnt vmcnt(9)
	v_fma_f64 v[125:126], v[125:126], v[149:150], -v[133:134]
	v_fma_f64 v[127:128], v[127:128], v[149:150], v[135:136]
	v_add_f64 v[129:130], v[129:130], v[141:142]
	v_add_f64 v[131:132], v[131:132], v[137:138]
	s_waitcnt vmcnt(7) lgkmcnt(0)
	v_mul_f64 v[135:136], v[3:4], v[139:140]
	s_waitcnt vmcnt(6)
	v_fma_f64 v[5:6], v[5:6], v[192:193], -v[145:146]
	v_mul_f64 v[133:134], v[1:2], v[139:140]
	v_fma_f64 v[7:8], v[7:8], v[192:193], v[143:144]
	v_add_f64 v[125:126], v[129:130], v[125:126]
	v_add_f64 v[127:128], v[131:132], v[127:128]
	s_waitcnt vmcnt(4)
	v_fma_f64 v[1:2], v[1:2], v[147:148], -v[135:136]
	v_fma_f64 v[3:4], v[3:4], v[147:148], v[133:134]
	v_add_f64 v[5:6], v[125:126], v[5:6]
	v_add_f64 v[7:8], v[127:128], v[7:8]
	;; [unrolled: 1-line block ×4, first 2 shown]
	s_waitcnt vmcnt(2)
	v_add_f64 v[1:2], v[155:156], -v[1:2]
	s_waitcnt vmcnt(0)
	v_add_f64 v[3:4], v[161:162], -v[3:4]
	buffer_store_dword v2, off, s[0:3], 0 offset:228
	buffer_store_dword v1, off, s[0:3], 0 offset:224
	;; [unrolled: 1-line block ×4, first 2 shown]
	v_cmpx_lt_u32_e32 12, v0
	s_cbranch_execz .LBB121_337
; %bb.336:
	v_mov_b32_e32 v4, s58
	v_mov_b32_e32 v5, 0
	s_clause 0x3
	buffer_load_dword v1, v4, s[0:3], 0 offen
	buffer_load_dword v2, v4, s[0:3], 0 offen offset:4
	buffer_load_dword v3, v4, s[0:3], 0 offen offset:8
	buffer_load_dword v4, v4, s[0:3], 0 offen offset:12
	buffer_store_dword v5, off, s[0:3], 0 offset:208
	buffer_store_dword v5, off, s[0:3], 0 offset:212
	;; [unrolled: 1-line block ×4, first 2 shown]
	s_waitcnt vmcnt(0)
	ds_write_b128 v185, v[1:4]
.LBB121_337:
	s_or_b32 exec_lo, exec_lo, s4
	s_waitcnt lgkmcnt(0)
	s_waitcnt_vscnt null, 0x0
	s_barrier
	buffer_gl0_inv
	s_clause 0x37
	buffer_load_dword v129, off, s[0:3], 0 offset:232
	buffer_load_dword v130, off, s[0:3], 0 offset:236
	;; [unrolled: 1-line block ×56, first 2 shown]
	v_mov_b32_e32 v186, 0
	s_mov_b32 s4, exec_lo
	ds_read_b128 v[181:184], v186 offset:1136
	s_clause 0x2
	buffer_load_dword v178, off, s[0:3], 0 offset:460
	buffer_load_dword v180, off, s[0:3], 0 offset:436
	;; [unrolled: 1-line block ×3, first 2 shown]
	ds_read_b128 v[1:4], v186 offset:1152
	s_clause 0x4
	buffer_load_dword v194, off, s[0:3], 0 offset:476
	buffer_load_dword v195, off, s[0:3], 0 offset:488
	;; [unrolled: 1-line block ×5, first 2 shown]
	ds_read_b128 v[187:190], v186 offset:1168
	s_waitcnt vmcnt(62) lgkmcnt(2)
	v_mul_f64 v[191:192], v[183:184], v[129:130]
	v_mul_f64 v[129:130], v[181:182], v[129:130]
	s_waitcnt vmcnt(60) lgkmcnt(1)
	v_mul_f64 v[198:199], v[3:4], v[125:126]
	s_waitcnt vmcnt(56) lgkmcnt(0)
	v_mul_f64 v[200:201], v[187:188], v[7:8]
	v_mul_f64 v[7:8], v[189:190], v[7:8]
	v_fma_f64 v[181:182], v[181:182], v[127:128], -v[191:192]
	v_mul_f64 v[191:192], v[1:2], v[125:126]
	v_fma_f64 v[129:130], v[183:184], v[127:128], v[129:130]
	s_clause 0x2
	buffer_load_dword v196, off, s[0:3], 0 offset:492
	buffer_load_dword v184, off, s[0:3], 0 offset:468
	buffer_load_dword v183, off, s[0:3], 0 offset:464
	s_waitcnt vmcnt(57)
	v_fma_f64 v[202:203], v[1:2], v[5:6], -v[198:199]
	ds_read_b128 v[125:128], v186 offset:1184
	s_waitcnt vmcnt(51)
	v_fma_f64 v[187:188], v[187:188], v[145:146], -v[7:8]
	v_fma_f64 v[145:146], v[189:190], v[145:146], v[200:201]
	v_add_f64 v[181:182], v[181:182], 0
	v_fma_f64 v[5:6], v[3:4], v[5:6], v[191:192]
	v_add_f64 v[129:130], v[129:130], 0
	s_clause 0x4
	buffer_load_dword v192, off, s[0:3], 0 offset:508
	buffer_load_dword v199, off, s[0:3], 0 offset:520
	;; [unrolled: 1-line block ×5, first 2 shown]
	s_waitcnt lgkmcnt(0)
	v_mul_f64 v[205:206], v[125:126], v[133:134]
	v_mul_f64 v[133:134], v[127:128], v[133:134]
	ds_read_b128 v[1:4], v186 offset:1200
	s_clause 0x2
	buffer_load_dword v200, off, s[0:3], 0 offset:524
	buffer_load_dword v190, off, s[0:3], 0 offset:500
	;; [unrolled: 1-line block ×3, first 2 shown]
	v_add_f64 v[181:182], v[181:182], v[202:203]
	v_add_f64 v[129:130], v[129:130], v[5:6]
	ds_read_b128 v[5:8], v186 offset:1216
	s_waitcnt vmcnt(58) lgkmcnt(1)
	v_mul_f64 v[201:202], v[1:2], v[137:138]
	v_mul_f64 v[137:138], v[3:4], v[137:138]
	s_waitcnt vmcnt(56)
	v_fma_f64 v[133:134], v[125:126], v[139:140], -v[133:134]
	v_fma_f64 v[139:140], v[127:128], v[139:140], v[205:206]
	v_add_f64 v[181:182], v[181:182], v[187:188]
	s_waitcnt vmcnt(52) lgkmcnt(0)
	v_mul_f64 v[207:208], v[5:6], v[141:142]
	v_add_f64 v[129:130], v[129:130], v[145:146]
	s_clause 0x4
	buffer_load_dword v146, off, s[0:3], 0 offset:540
	buffer_load_dword v187, off, s[0:3], 0 offset:552
	;; [unrolled: 1-line block ×5, first 2 shown]
	v_mul_f64 v[141:142], v[7:8], v[141:142]
	s_waitcnt vmcnt(56)
	v_fma_f64 v[137:138], v[1:2], v[131:132], -v[137:138]
	ds_read_b128 v[125:128], v186 offset:1232
	v_fma_f64 v[131:132], v[3:4], v[131:132], v[201:202]
	v_add_f64 v[133:134], v[181:182], v[133:134]
	v_add_f64 v[129:130], v[129:130], v[139:140]
	s_clause 0x2
	buffer_load_dword v188, off, s[0:3], 0 offset:556
	buffer_load_dword v140, off, s[0:3], 0 offset:532
	;; [unrolled: 1-line block ×3, first 2 shown]
	s_waitcnt vmcnt(58) lgkmcnt(0)
	v_mul_f64 v[181:182], v[125:126], v[147:148]
	v_mul_f64 v[147:148], v[127:128], v[147:148]
	s_waitcnt vmcnt(56)
	v_fma_f64 v[141:142], v[5:6], v[149:150], -v[141:142]
	ds_read_b128 v[1:4], v186 offset:1248
	v_add_f64 v[133:134], v[133:134], v[137:138]
	v_fma_f64 v[137:138], v[7:8], v[149:150], v[207:208]
	v_add_f64 v[129:130], v[129:130], v[131:132]
	s_clause 0x4
	buffer_load_dword v132, off, s[0:3], 0 offset:572
	buffer_load_dword v149, off, s[0:3], 0 offset:584
	;; [unrolled: 1-line block ×5, first 2 shown]
	ds_read_b128 v[5:8], v186 offset:1264
	s_waitcnt vmcnt(57) lgkmcnt(1)
	v_mul_f64 v[202:203], v[1:2], v[151:152]
	v_mul_f64 v[151:152], v[3:4], v[151:152]
	s_waitcnt vmcnt(56)
	v_fma_f64 v[147:148], v[125:126], v[135:136], -v[147:148]
	v_fma_f64 v[135:136], v[127:128], v[135:136], v[181:182]
	v_add_f64 v[133:134], v[133:134], v[141:142]
	v_add_f64 v[129:130], v[129:130], v[137:138]
	s_clause 0x2
	buffer_load_dword v150, off, s[0:3], 0 offset:588
	buffer_load_dword v138, off, s[0:3], 0 offset:564
	;; [unrolled: 1-line block ×3, first 2 shown]
	s_waitcnt vmcnt(58) lgkmcnt(0)
	v_mul_f64 v[141:142], v[5:6], v[155:156]
	v_mul_f64 v[155:156], v[7:8], v[155:156]
	s_waitcnt vmcnt(56)
	v_fma_f64 v[151:152], v[1:2], v[157:158], -v[151:152]
	ds_read_b128 v[125:128], v186 offset:1280
	v_add_f64 v[133:134], v[133:134], v[147:148]
	v_fma_f64 v[147:148], v[3:4], v[157:158], v[202:203]
	v_add_f64 v[129:130], v[129:130], v[135:136]
	s_clause 0x4
	buffer_load_dword v136, off, s[0:3], 0 offset:604
	buffer_load_dword v157, off, s[0:3], 0 offset:616
	;; [unrolled: 1-line block ×5, first 2 shown]
	ds_read_b128 v[1:4], v186 offset:1296
	s_waitcnt vmcnt(57) lgkmcnt(1)
	v_mul_f64 v[208:209], v[125:126], v[159:160]
	v_mul_f64 v[159:160], v[127:128], v[159:160]
	s_waitcnt vmcnt(56)
	v_fma_f64 v[155:156], v[5:6], v[143:144], -v[155:156]
	v_fma_f64 v[141:142], v[7:8], v[143:144], v[141:142]
	s_clause 0x2
	buffer_load_dword v158, off, s[0:3], 0 offset:620
	buffer_load_dword v144, off, s[0:3], 0 offset:596
	;; [unrolled: 1-line block ×3, first 2 shown]
	ds_read_b128 v[5:8], v186 offset:1312
	v_add_f64 v[133:134], v[133:134], v[151:152]
	v_add_f64 v[129:130], v[129:130], v[147:148]
	s_waitcnt vmcnt(58) lgkmcnt(1)
	v_mul_f64 v[151:152], v[3:4], v[163:164]
	v_mul_f64 v[147:148], v[1:2], v[163:164]
	s_waitcnt vmcnt(56)
	v_fma_f64 v[159:160], v[125:126], v[165:166], -v[159:160]
	v_add_f64 v[133:134], v[133:134], v[155:156]
	v_fma_f64 v[155:156], v[127:128], v[165:166], v[208:209]
	v_add_f64 v[129:130], v[129:130], v[141:142]
	s_clause 0x4
	buffer_load_dword v142, off, s[0:3], 0 offset:636
	buffer_load_dword v163, off, s[0:3], 0 offset:648
	;; [unrolled: 1-line block ×5, first 2 shown]
	s_waitcnt vmcnt(57) lgkmcnt(0)
	v_mul_f64 v[208:209], v[5:6], v[167:168]
	v_mul_f64 v[166:167], v[7:8], v[167:168]
	s_waitcnt vmcnt(56)
	v_fma_f64 v[151:152], v[1:2], v[153:154], -v[151:152]
	ds_read_b128 v[125:128], v186 offset:1328
	v_fma_f64 v[147:148], v[3:4], v[153:154], v[147:148]
	s_clause 0x2
	buffer_load_dword v164, off, s[0:3], 0 offset:652
	buffer_load_dword v154, off, s[0:3], 0 offset:628
	;; [unrolled: 1-line block ×3, first 2 shown]
	ds_read_b128 v[1:4], v186 offset:1344
	v_add_f64 v[133:134], v[133:134], v[159:160]
	v_add_f64 v[129:130], v[129:130], v[155:156]
	s_waitcnt vmcnt(58) lgkmcnt(1)
	v_mul_f64 v[159:160], v[127:128], v[171:172]
	s_waitcnt vmcnt(56)
	v_fma_f64 v[167:168], v[5:6], v[173:174], -v[166:167]
	v_mul_f64 v[155:156], v[125:126], v[171:172]
	v_add_f64 v[133:134], v[133:134], v[151:152]
	v_fma_f64 v[151:152], v[7:8], v[173:174], v[208:209]
	v_add_f64 v[129:130], v[129:130], v[147:148]
	s_clause 0x4
	buffer_load_dword v148, off, s[0:3], 0 offset:668
	buffer_load_dword v171, off, s[0:3], 0 offset:680
	;; [unrolled: 1-line block ×5, first 2 shown]
	s_waitcnt vmcnt(57) lgkmcnt(0)
	v_mul_f64 v[208:209], v[1:2], v[175:176]
	v_mul_f64 v[174:175], v[3:4], v[175:176]
	s_waitcnt vmcnt(56)
	v_fma_f64 v[159:160], v[125:126], v[161:162], -v[159:160]
	ds_read_b128 v[5:8], v186 offset:1360
	v_fma_f64 v[155:156], v[127:128], v[161:162], v[155:156]
	v_add_f64 v[133:134], v[133:134], v[167:168]
	v_add_f64 v[129:130], v[129:130], v[151:152]
	s_clause 0x2
	buffer_load_dword v172, off, s[0:3], 0 offset:684
	buffer_load_dword v152, off, s[0:3], 0 offset:660
	;; [unrolled: 1-line block ×3, first 2 shown]
	ds_read_b128 v[125:128], v186 offset:1376
	s_waitcnt vmcnt(58) lgkmcnt(1)
	v_mul_f64 v[167:168], v[7:8], v[177:178]
	s_waitcnt vmcnt(56)
	v_fma_f64 v[175:176], v[1:2], v[179:180], -v[174:175]
	v_mul_f64 v[161:162], v[5:6], v[177:178]
	v_add_f64 v[133:134], v[133:134], v[159:160]
	v_fma_f64 v[159:160], v[3:4], v[179:180], v[208:209]
	v_add_f64 v[129:130], v[129:130], v[155:156]
	s_clause 0x4
	buffer_load_dword v156, off, s[0:3], 0 offset:700
	buffer_load_dword v177, off, s[0:3], 0 offset:712
	;; [unrolled: 1-line block ×5, first 2 shown]
	s_waitcnt vmcnt(57) lgkmcnt(0)
	v_mul_f64 v[208:209], v[125:126], v[193:194]
	v_mul_f64 v[193:194], v[127:128], v[193:194]
	s_waitcnt vmcnt(56)
	v_fma_f64 v[167:168], v[5:6], v[169:170], -v[167:168]
	ds_read_b128 v[1:4], v186 offset:1392
	v_fma_f64 v[161:162], v[7:8], v[169:170], v[161:162]
	v_add_f64 v[133:134], v[133:134], v[175:176]
	v_add_f64 v[129:130], v[129:130], v[159:160]
	s_clause 0x2
	buffer_load_dword v178, off, s[0:3], 0 offset:716
	buffer_load_dword v160, off, s[0:3], 0 offset:692
	;; [unrolled: 1-line block ×3, first 2 shown]
	ds_read_b128 v[5:8], v186 offset:1408
	s_waitcnt vmcnt(58) lgkmcnt(1)
	v_mul_f64 v[175:176], v[3:4], v[195:196]
	v_mul_f64 v[169:170], v[1:2], v[195:196]
	s_waitcnt vmcnt(56)
	v_fma_f64 v[193:194], v[125:126], v[183:184], -v[193:194]
	v_add_f64 v[133:134], v[133:134], v[167:168]
	v_fma_f64 v[167:168], v[127:128], v[183:184], v[208:209]
	v_add_f64 v[129:130], v[129:130], v[161:162]
	s_clause 0x4
	buffer_load_dword v162, off, s[0:3], 0 offset:732
	buffer_load_dword v183, off, s[0:3], 0 offset:744
	;; [unrolled: 1-line block ×5, first 2 shown]
	ds_read_b128 v[125:128], v186 offset:1424
	s_waitcnt vmcnt(57) lgkmcnt(1)
	v_mul_f64 v[208:209], v[5:6], v[191:192]
	v_mul_f64 v[191:192], v[7:8], v[191:192]
	s_waitcnt vmcnt(56)
	v_fma_f64 v[175:176], v[1:2], v[197:198], -v[175:176]
	v_fma_f64 v[169:170], v[3:4], v[197:198], v[169:170]
	v_add_f64 v[133:134], v[133:134], v[193:194]
	v_add_f64 v[129:130], v[129:130], v[167:168]
	s_clause 0x2
	buffer_load_dword v184, off, s[0:3], 0 offset:748
	buffer_load_dword v168, off, s[0:3], 0 offset:724
	;; [unrolled: 1-line block ×3, first 2 shown]
	s_waitcnt vmcnt(58) lgkmcnt(0)
	v_mul_f64 v[197:198], v[127:128], v[199:200]
	ds_read_b128 v[1:4], v186 offset:1440
	v_mul_f64 v[193:194], v[125:126], v[199:200]
	s_waitcnt vmcnt(56)
	v_fma_f64 v[191:192], v[5:6], v[189:190], -v[191:192]
	v_add_f64 v[133:134], v[133:134], v[175:176]
	v_fma_f64 v[175:176], v[7:8], v[189:190], v[208:209]
	v_add_f64 v[129:130], v[129:130], v[169:170]
	s_clause 0x4
	buffer_load_dword v170, off, s[0:3], 0 offset:764
	buffer_load_dword v189, off, s[0:3], 0 offset:776
	;; [unrolled: 1-line block ×5, first 2 shown]
	ds_read_b128 v[5:8], v186 offset:1456
	s_waitcnt vmcnt(57) lgkmcnt(1)
	v_mul_f64 v[208:209], v[1:2], v[145:146]
	v_mul_f64 v[145:146], v[3:4], v[145:146]
	s_waitcnt vmcnt(56)
	v_fma_f64 v[197:198], v[125:126], v[204:205], -v[197:198]
	v_add_f64 v[133:134], v[133:134], v[191:192]
	v_fma_f64 v[191:192], v[127:128], v[204:205], v[193:194]
	v_add_f64 v[129:130], v[129:130], v[175:176]
	s_clause 0x2
	buffer_load_dword v190, off, s[0:3], 0 offset:780
	buffer_load_dword v176, off, s[0:3], 0 offset:756
	;; [unrolled: 1-line block ×3, first 2 shown]
	ds_read_b128 v[125:128], v186 offset:1472
	s_waitcnt vmcnt(58) lgkmcnt(1)
	v_mul_f64 v[193:194], v[5:6], v[187:188]
	v_mul_f64 v[187:188], v[7:8], v[187:188]
	s_waitcnt vmcnt(56)
	v_fma_f64 v[145:146], v[1:2], v[139:140], -v[145:146]
	v_fma_f64 v[139:140], v[3:4], v[139:140], v[208:209]
	v_add_f64 v[133:134], v[133:134], v[197:198]
	v_add_f64 v[129:130], v[129:130], v[191:192]
	s_clause 0x4
	buffer_load_dword v192, off, s[0:3], 0 offset:796
	buffer_load_dword v197, off, s[0:3], 0 offset:808
	;; [unrolled: 1-line block ×5, first 2 shown]
	ds_read_b128 v[1:4], v186 offset:1488
	s_waitcnt vmcnt(57) lgkmcnt(1)
	v_mul_f64 v[204:205], v[125:126], v[131:132]
	v_mul_f64 v[131:132], v[127:128], v[131:132]
	s_waitcnt vmcnt(56)
	v_fma_f64 v[187:188], v[5:6], v[206:207], -v[187:188]
	v_add_f64 v[133:134], v[133:134], v[145:146]
	v_fma_f64 v[145:146], v[7:8], v[206:207], v[193:194]
	v_add_f64 v[129:130], v[129:130], v[139:140]
	s_clause 0x2
	buffer_load_dword v198, off, s[0:3], 0 offset:812
	buffer_load_dword v140, off, s[0:3], 0 offset:788
	;; [unrolled: 1-line block ×3, first 2 shown]
	ds_read_b128 v[5:8], v186 offset:1504
	s_waitcnt vmcnt(58) lgkmcnt(1)
	v_mul_f64 v[193:194], v[1:2], v[149:150]
	v_mul_f64 v[149:150], v[3:4], v[149:150]
	s_waitcnt vmcnt(56)
	v_fma_f64 v[131:132], v[125:126], v[137:138], -v[131:132]
	v_fma_f64 v[137:138], v[127:128], v[137:138], v[204:205]
	v_add_f64 v[133:134], v[133:134], v[187:188]
	v_add_f64 v[129:130], v[129:130], v[145:146]
	s_clause 0x4
	buffer_load_dword v146, off, s[0:3], 0 offset:828
	buffer_load_dword v187, off, s[0:3], 0 offset:840
	;; [unrolled: 1-line block ×5, first 2 shown]
	ds_read_b128 v[125:128], v186 offset:1520
	s_waitcnt vmcnt(57) lgkmcnt(1)
	v_mul_f64 v[206:207], v[5:6], v[135:136]
	v_mul_f64 v[135:136], v[7:8], v[135:136]
	s_waitcnt vmcnt(56)
	v_fma_f64 v[149:150], v[1:2], v[201:202], -v[149:150]
	v_add_f64 v[131:132], v[133:134], v[131:132]
	v_fma_f64 v[133:134], v[3:4], v[201:202], v[193:194]
	v_add_f64 v[129:130], v[129:130], v[137:138]
	s_clause 0x2
	buffer_load_dword v188, off, s[0:3], 0 offset:844
	buffer_load_dword v138, off, s[0:3], 0 offset:820
	;; [unrolled: 1-line block ×3, first 2 shown]
	s_waitcnt vmcnt(58) lgkmcnt(0)
	v_mul_f64 v[193:194], v[125:126], v[157:158]
	v_mul_f64 v[157:158], v[127:128], v[157:158]
	ds_read_b128 v[1:4], v186 offset:1536
	s_waitcnt vmcnt(56)
	v_fma_f64 v[135:136], v[5:6], v[143:144], -v[135:136]
	v_fma_f64 v[143:144], v[7:8], v[143:144], v[206:207]
	v_add_f64 v[131:132], v[131:132], v[149:150]
	v_add_f64 v[129:130], v[129:130], v[133:134]
	s_clause 0x4
	buffer_load_dword v134, off, s[0:3], 0 offset:860
	buffer_load_dword v149, off, s[0:3], 0 offset:872
	;; [unrolled: 1-line block ×5, first 2 shown]
	ds_read_b128 v[5:8], v186 offset:1552
	s_waitcnt vmcnt(57) lgkmcnt(1)
	v_mul_f64 v[207:208], v[1:2], v[141:142]
	v_mul_f64 v[141:142], v[3:4], v[141:142]
	s_waitcnt vmcnt(56)
	v_fma_f64 v[157:158], v[125:126], v[181:182], -v[157:158]
	v_add_f64 v[131:132], v[131:132], v[135:136]
	v_fma_f64 v[135:136], v[127:128], v[181:182], v[193:194]
	v_add_f64 v[129:130], v[129:130], v[143:144]
	s_clause 0x2
	buffer_load_dword v150, off, s[0:3], 0 offset:876
	buffer_load_dword v144, off, s[0:3], 0 offset:852
	buffer_load_dword v143, off, s[0:3], 0 offset:848
	s_waitcnt vmcnt(58) lgkmcnt(0)
	v_mul_f64 v[181:182], v[5:6], v[163:164]
	v_mul_f64 v[163:164], v[7:8], v[163:164]
	ds_read_b128 v[125:128], v186 offset:1568
	s_waitcnt vmcnt(56)
	v_fma_f64 v[141:142], v[1:2], v[153:154], -v[141:142]
	v_fma_f64 v[153:154], v[3:4], v[153:154], v[207:208]
	v_add_f64 v[131:132], v[131:132], v[157:158]
	v_add_f64 v[129:130], v[129:130], v[135:136]
	s_clause 0x4
	buffer_load_dword v136, off, s[0:3], 0 offset:892
	buffer_load_dword v157, off, s[0:3], 0 offset:904
	;; [unrolled: 1-line block ×5, first 2 shown]
	ds_read_b128 v[1:4], v186 offset:1584
	s_waitcnt vmcnt(57) lgkmcnt(1)
	v_mul_f64 v[207:208], v[125:126], v[147:148]
	v_mul_f64 v[147:148], v[127:128], v[147:148]
	s_waitcnt vmcnt(56)
	v_fma_f64 v[163:164], v[5:6], v[165:166], -v[163:164]
	v_add_f64 v[131:132], v[131:132], v[141:142]
	v_fma_f64 v[141:142], v[7:8], v[165:166], v[181:182]
	v_add_f64 v[129:130], v[129:130], v[153:154]
	s_clause 0x2
	buffer_load_dword v158, off, s[0:3], 0 offset:908
	buffer_load_dword v154, off, s[0:3], 0 offset:884
	;; [unrolled: 1-line block ×3, first 2 shown]
	ds_read_b128 v[5:8], v186 offset:1600
	s_waitcnt vmcnt(58) lgkmcnt(1)
	v_mul_f64 v[165:166], v[1:2], v[171:172]
	v_mul_f64 v[171:172], v[3:4], v[171:172]
	s_waitcnt vmcnt(56)
	v_fma_f64 v[147:148], v[125:126], v[151:152], -v[147:148]
	v_fma_f64 v[151:152], v[127:128], v[151:152], v[207:208]
	v_add_f64 v[131:132], v[131:132], v[163:164]
	v_add_f64 v[129:130], v[129:130], v[141:142]
	s_clause 0x4
	buffer_load_dword v142, off, s[0:3], 0 offset:924
	buffer_load_dword v163, off, s[0:3], 0 offset:936
	;; [unrolled: 1-line block ×5, first 2 shown]
	ds_read_b128 v[125:128], v186 offset:1616
	s_waitcnt vmcnt(57) lgkmcnt(1)
	v_mul_f64 v[207:208], v[5:6], v[155:156]
	v_mul_f64 v[155:156], v[7:8], v[155:156]
	s_waitcnt vmcnt(56)
	v_fma_f64 v[171:172], v[1:2], v[173:174], -v[171:172]
	v_add_f64 v[131:132], v[131:132], v[147:148]
	v_fma_f64 v[147:148], v[3:4], v[173:174], v[165:166]
	v_add_f64 v[129:130], v[129:130], v[151:152]
	s_clause 0x2
	buffer_load_dword v164, off, s[0:3], 0 offset:940
	buffer_load_dword v152, off, s[0:3], 0 offset:916
	;; [unrolled: 1-line block ×3, first 2 shown]
	ds_read_b128 v[1:4], v186 offset:1632
	buffer_load_dword v182, off, s[0:3], 0 offset:932
	s_waitcnt vmcnt(59) lgkmcnt(1)
	v_mul_f64 v[173:174], v[127:128], v[177:178]
	v_mul_f64 v[165:166], v[125:126], v[177:178]
	s_waitcnt vmcnt(57)
	v_fma_f64 v[155:156], v[5:6], v[159:160], -v[155:156]
	v_fma_f64 v[159:160], v[7:8], v[159:160], v[207:208]
	ds_read_b128 v[5:8], v186 offset:1648
	v_add_f64 v[131:132], v[131:132], v[171:172]
	v_add_f64 v[129:130], v[129:130], v[147:148]
	s_waitcnt vmcnt(53) lgkmcnt(1)
	v_mul_f64 v[147:148], v[1:2], v[161:162]
	v_mul_f64 v[161:162], v[3:4], v[161:162]
	s_waitcnt vmcnt(52)
	v_fma_f64 v[171:172], v[125:126], v[179:180], -v[173:174]
	v_add_f64 v[131:132], v[131:132], v[155:156]
	v_fma_f64 v[155:156], v[127:128], v[179:180], v[165:166]
	v_add_f64 v[129:130], v[129:130], v[159:160]
	ds_read_b128 v[125:128], v186 offset:1664
	s_waitcnt vmcnt(51) lgkmcnt(1)
	v_mul_f64 v[165:166], v[7:8], v[183:184]
	v_mul_f64 v[159:160], v[5:6], v[183:184]
	s_waitcnt vmcnt(49)
	v_fma_f64 v[161:162], v[1:2], v[167:168], -v[161:162]
	v_fma_f64 v[147:148], v[3:4], v[167:168], v[147:148]
	v_add_f64 v[131:132], v[131:132], v[171:172]
	v_add_f64 v[129:130], v[129:130], v[155:156]
	s_clause 0x3
	buffer_load_dword v155, off, s[0:3], 0 offset:208
	buffer_load_dword v156, off, s[0:3], 0 offset:212
	;; [unrolled: 1-line block ×4, first 2 shown]
	ds_read_b128 v[1:4], v186 offset:1680
	s_waitcnt vmcnt(49) lgkmcnt(1)
	v_mul_f64 v[171:172], v[125:126], v[169:170]
	v_mul_f64 v[169:170], v[127:128], v[169:170]
	s_waitcnt vmcnt(48)
	v_fma_f64 v[165:166], v[5:6], v[195:196], -v[165:166]
	v_fma_f64 v[159:160], v[7:8], v[195:196], v[159:160]
	ds_read_b128 v[5:8], v186 offset:1696
	v_add_f64 v[131:132], v[131:132], v[161:162]
	v_add_f64 v[129:130], v[129:130], v[147:148]
	s_waitcnt vmcnt(47) lgkmcnt(1)
	v_mul_f64 v[161:162], v[3:4], v[189:190]
	v_mul_f64 v[147:148], v[1:2], v[189:190]
	s_waitcnt vmcnt(45)
	v_fma_f64 v[169:170], v[125:126], v[175:176], -v[169:170]
	v_add_f64 v[131:132], v[131:132], v[165:166]
	v_fma_f64 v[165:166], v[127:128], v[175:176], v[171:172]
	v_add_f64 v[129:130], v[129:130], v[159:160]
	ds_read_b128 v[125:128], v186 offset:1712
	s_waitcnt vmcnt(41) lgkmcnt(1)
	v_mul_f64 v[171:172], v[7:8], v[191:192]
	s_waitcnt vmcnt(40)
	v_fma_f64 v[161:162], v[1:2], v[199:200], -v[161:162]
	v_mul_f64 v[159:160], v[5:6], v[191:192]
	v_fma_f64 v[147:148], v[3:4], v[199:200], v[147:148]
	ds_read_b128 v[1:4], v186 offset:1728
	v_add_f64 v[131:132], v[131:132], v[169:170]
	v_add_f64 v[129:130], v[129:130], v[165:166]
	s_waitcnt vmcnt(39) lgkmcnt(1)
	v_mul_f64 v[169:170], v[127:128], v[197:198]
	v_mul_f64 v[165:166], v[125:126], v[197:198]
	s_waitcnt vmcnt(37)
	v_fma_f64 v[171:172], v[5:6], v[139:140], -v[171:172]
	v_fma_f64 v[139:140], v[7:8], v[139:140], v[159:160]
	ds_read_b128 v[5:8], v186 offset:1744
	v_add_f64 v[131:132], v[131:132], v[161:162]
	v_add_f64 v[129:130], v[129:130], v[147:148]
	s_waitcnt vmcnt(33) lgkmcnt(1)
	v_mul_f64 v[147:148], v[1:2], v[145:146]
	v_mul_f64 v[145:146], v[3:4], v[145:146]
	s_waitcnt vmcnt(32)
	v_fma_f64 v[159:160], v[125:126], v[203:204], -v[169:170]
	;; [unrolled: 9-line block ×6, first 2 shown]
	v_add_f64 v[131:132], v[131:132], v[133:134]
	v_fma_f64 v[133:134], v[3:4], v[201:202], v[137:138]
	v_add_f64 v[129:130], v[129:130], v[143:144]
	ds_read_b128 v[1:4], v186 offset:1824
	s_waitcnt vmcnt(15) lgkmcnt(1)
	v_mul_f64 v[143:144], v[127:128], v[157:158]
	v_mul_f64 v[137:138], v[125:126], v[157:158]
	s_waitcnt vmcnt(13)
	v_fma_f64 v[135:136], v[5:6], v[153:154], -v[135:136]
	v_fma_f64 v[139:140], v[7:8], v[153:154], v[139:140]
	ds_read_b128 v[5:8], v186 offset:1840
	v_add_f64 v[131:132], v[131:132], v[145:146]
	v_add_f64 v[129:130], v[129:130], v[133:134]
	s_waitcnt vmcnt(9) lgkmcnt(1)
	v_mul_f64 v[133:134], v[1:2], v[141:142]
	v_mul_f64 v[141:142], v[3:4], v[141:142]
	s_waitcnt vmcnt(8)
	v_fma_f64 v[125:126], v[125:126], v[193:194], -v[143:144]
	v_fma_f64 v[127:128], v[127:128], v[193:194], v[137:138]
	v_add_f64 v[131:132], v[131:132], v[135:136]
	v_add_f64 v[129:130], v[129:130], v[139:140]
	s_waitcnt vmcnt(7) lgkmcnt(0)
	v_mul_f64 v[137:138], v[7:8], v[163:164]
	v_mul_f64 v[135:136], v[5:6], v[163:164]
	s_waitcnt vmcnt(5)
	v_fma_f64 v[1:2], v[1:2], v[151:152], -v[141:142]
	v_fma_f64 v[3:4], v[3:4], v[151:152], v[133:134]
	v_add_f64 v[125:126], v[131:132], v[125:126]
	v_add_f64 v[127:128], v[129:130], v[127:128]
	s_waitcnt vmcnt(4)
	v_fma_f64 v[5:6], v[5:6], v[181:182], -v[137:138]
	v_fma_f64 v[7:8], v[7:8], v[181:182], v[135:136]
	v_add_f64 v[1:2], v[125:126], v[1:2]
	v_add_f64 v[3:4], v[127:128], v[3:4]
	v_add_f64 v[1:2], v[1:2], v[5:6]
	v_add_f64 v[3:4], v[3:4], v[7:8]
	s_waitcnt vmcnt(2)
	v_add_f64 v[1:2], v[155:156], -v[1:2]
	s_waitcnt vmcnt(0)
	v_add_f64 v[3:4], v[167:168], -v[3:4]
	buffer_store_dword v2, off, s[0:3], 0 offset:212
	buffer_store_dword v1, off, s[0:3], 0 offset:208
	;; [unrolled: 1-line block ×4, first 2 shown]
	v_cmpx_lt_u32_e32 11, v0
	s_cbranch_execz .LBB121_339
; %bb.338:
	v_mov_b32_e32 v4, s59
	s_clause 0x3
	buffer_load_dword v1, v4, s[0:3], 0 offen
	buffer_load_dword v2, v4, s[0:3], 0 offen offset:4
	buffer_load_dword v3, v4, s[0:3], 0 offen offset:8
	;; [unrolled: 1-line block ×3, first 2 shown]
	buffer_store_dword v186, off, s[0:3], 0 offset:192
	buffer_store_dword v186, off, s[0:3], 0 offset:196
	buffer_store_dword v186, off, s[0:3], 0 offset:200
	buffer_store_dword v186, off, s[0:3], 0 offset:204
	s_waitcnt vmcnt(0)
	ds_write_b128 v185, v[1:4]
.LBB121_339:
	s_or_b32 exec_lo, exec_lo, s4
	s_waitcnt lgkmcnt(0)
	s_waitcnt_vscnt null, 0x0
	s_barrier
	buffer_gl0_inv
	s_clause 0x37
	buffer_load_dword v133, off, s[0:3], 0 offset:216
	buffer_load_dword v134, off, s[0:3], 0 offset:220
	;; [unrolled: 1-line block ×56, first 2 shown]
	ds_read_b128 v[5:8], v186 offset:1120
	s_clause 0x2
	buffer_load_dword v182, off, s[0:3], 0 offset:444
	buffer_load_dword v184, off, s[0:3], 0 offset:420
	;; [unrolled: 1-line block ×3, first 2 shown]
	ds_read_b128 v[1:4], v186 offset:1136
	s_clause 0x4
	buffer_load_dword v194, off, s[0:3], 0 offset:460
	buffer_load_dword v195, off, s[0:3], 0 offset:472
	;; [unrolled: 1-line block ×5, first 2 shown]
	ds_read_b128 v[187:190], v186 offset:1152
	s_mov_b32 s4, exec_lo
	s_waitcnt vmcnt(62) lgkmcnt(2)
	v_mul_f64 v[191:192], v[7:8], v[133:134]
	v_mul_f64 v[133:134], v[5:6], v[133:134]
	s_waitcnt vmcnt(60) lgkmcnt(1)
	v_mul_f64 v[198:199], v[3:4], v[129:130]
	v_mul_f64 v[129:130], v[1:2], v[129:130]
	;; [unrolled: 3-line block ×3, first 2 shown]
	v_fma_f64 v[191:192], v[5:6], v[131:132], -v[191:192]
	v_fma_f64 v[131:132], v[7:8], v[131:132], v[133:134]
	s_clause 0x2
	buffer_load_dword v196, off, s[0:3], 0 offset:476
	buffer_load_dword v134, off, s[0:3], 0 offset:452
	;; [unrolled: 1-line block ×3, first 2 shown]
	s_waitcnt vmcnt(57)
	v_fma_f64 v[202:203], v[1:2], v[125:126], -v[198:199]
	ds_read_b128 v[5:8], v186 offset:1168
	v_fma_f64 v[125:126], v[3:4], v[125:126], v[129:130]
	s_waitcnt vmcnt(51)
	v_fma_f64 v[187:188], v[187:188], v[149:150], -v[127:128]
	v_fma_f64 v[149:150], v[189:190], v[149:150], v[200:201]
	v_add_f64 v[191:192], v[191:192], 0
	v_add_f64 v[129:130], v[131:132], 0
	s_clause 0x4
	buffer_load_dword v132, off, s[0:3], 0 offset:492
	buffer_load_dword v199, off, s[0:3], 0 offset:504
	;; [unrolled: 1-line block ×5, first 2 shown]
	s_waitcnt lgkmcnt(0)
	v_mul_f64 v[205:206], v[5:6], v[137:138]
	v_mul_f64 v[137:138], v[7:8], v[137:138]
	ds_read_b128 v[1:4], v186 offset:1184
	s_clause 0x2
	buffer_load_dword v200, off, s[0:3], 0 offset:508
	buffer_load_dword v190, off, s[0:3], 0 offset:484
	;; [unrolled: 1-line block ×3, first 2 shown]
	v_add_f64 v[191:192], v[191:192], v[202:203]
	v_add_f64 v[129:130], v[129:130], v[125:126]
	ds_read_b128 v[125:128], v186 offset:1200
	s_waitcnt vmcnt(58) lgkmcnt(1)
	v_mul_f64 v[201:202], v[1:2], v[141:142]
	v_mul_f64 v[141:142], v[3:4], v[141:142]
	s_waitcnt vmcnt(56)
	v_fma_f64 v[137:138], v[5:6], v[143:144], -v[137:138]
	v_fma_f64 v[143:144], v[7:8], v[143:144], v[205:206]
	s_waitcnt vmcnt(52) lgkmcnt(0)
	v_mul_f64 v[207:208], v[125:126], v[145:146]
	v_add_f64 v[187:188], v[191:192], v[187:188]
	v_add_f64 v[129:130], v[129:130], v[149:150]
	s_clause 0x4
	buffer_load_dword v150, off, s[0:3], 0 offset:524
	buffer_load_dword v191, off, s[0:3], 0 offset:536
	;; [unrolled: 1-line block ×5, first 2 shown]
	v_mul_f64 v[145:146], v[127:128], v[145:146]
	s_waitcnt vmcnt(56)
	v_fma_f64 v[141:142], v[1:2], v[135:136], -v[141:142]
	ds_read_b128 v[5:8], v186 offset:1216
	v_fma_f64 v[135:136], v[3:4], v[135:136], v[201:202]
	v_add_f64 v[137:138], v[187:188], v[137:138]
	v_add_f64 v[129:130], v[129:130], v[143:144]
	s_clause 0x2
	buffer_load_dword v192, off, s[0:3], 0 offset:540
	buffer_load_dword v144, off, s[0:3], 0 offset:516
	;; [unrolled: 1-line block ×3, first 2 shown]
	s_waitcnt vmcnt(58) lgkmcnt(0)
	v_mul_f64 v[187:188], v[5:6], v[151:152]
	v_mul_f64 v[151:152], v[7:8], v[151:152]
	s_waitcnt vmcnt(56)
	v_fma_f64 v[145:146], v[125:126], v[153:154], -v[145:146]
	ds_read_b128 v[1:4], v186 offset:1232
	v_add_f64 v[137:138], v[137:138], v[141:142]
	v_fma_f64 v[141:142], v[127:128], v[153:154], v[207:208]
	v_add_f64 v[129:130], v[129:130], v[135:136]
	s_clause 0x4
	buffer_load_dword v136, off, s[0:3], 0 offset:556
	buffer_load_dword v153, off, s[0:3], 0 offset:568
	;; [unrolled: 1-line block ×5, first 2 shown]
	s_waitcnt vmcnt(57) lgkmcnt(0)
	v_mul_f64 v[202:203], v[1:2], v[155:156]
	v_mul_f64 v[155:156], v[3:4], v[155:156]
	s_waitcnt vmcnt(56)
	v_fma_f64 v[151:152], v[5:6], v[139:140], -v[151:152]
	ds_read_b128 v[125:128], v186 offset:1248
	v_fma_f64 v[139:140], v[7:8], v[139:140], v[187:188]
	v_add_f64 v[137:138], v[137:138], v[145:146]
	v_add_f64 v[129:130], v[129:130], v[141:142]
	s_clause 0x2
	buffer_load_dword v154, off, s[0:3], 0 offset:572
	buffer_load_dword v142, off, s[0:3], 0 offset:548
	;; [unrolled: 1-line block ×3, first 2 shown]
	ds_read_b128 v[5:8], v186 offset:1264
	s_waitcnt vmcnt(58) lgkmcnt(1)
	v_mul_f64 v[145:146], v[125:126], v[159:160]
	v_mul_f64 v[159:160], v[127:128], v[159:160]
	s_waitcnt vmcnt(56)
	v_fma_f64 v[155:156], v[1:2], v[161:162], -v[155:156]
	v_add_f64 v[137:138], v[137:138], v[151:152]
	v_fma_f64 v[151:152], v[3:4], v[161:162], v[202:203]
	v_add_f64 v[129:130], v[129:130], v[139:140]
	s_clause 0x4
	buffer_load_dword v140, off, s[0:3], 0 offset:588
	buffer_load_dword v161, off, s[0:3], 0 offset:600
	;; [unrolled: 1-line block ×5, first 2 shown]
	s_waitcnt vmcnt(57) lgkmcnt(0)
	v_mul_f64 v[208:209], v[5:6], v[163:164]
	v_mul_f64 v[163:164], v[7:8], v[163:164]
	s_waitcnt vmcnt(56)
	v_fma_f64 v[159:160], v[125:126], v[147:148], -v[159:160]
	ds_read_b128 v[1:4], v186 offset:1280
	v_fma_f64 v[145:146], v[127:128], v[147:148], v[145:146]
	s_clause 0x2
	buffer_load_dword v162, off, s[0:3], 0 offset:604
	buffer_load_dword v148, off, s[0:3], 0 offset:580
	;; [unrolled: 1-line block ×3, first 2 shown]
	ds_read_b128 v[125:128], v186 offset:1296
	v_add_f64 v[137:138], v[137:138], v[155:156]
	v_add_f64 v[129:130], v[129:130], v[151:152]
	s_waitcnt vmcnt(58) lgkmcnt(1)
	v_mul_f64 v[155:156], v[3:4], v[167:168]
	s_waitcnt vmcnt(56)
	v_fma_f64 v[163:164], v[5:6], v[169:170], -v[163:164]
	v_mul_f64 v[151:152], v[1:2], v[167:168]
	v_add_f64 v[137:138], v[137:138], v[159:160]
	v_fma_f64 v[159:160], v[7:8], v[169:170], v[208:209]
	v_add_f64 v[129:130], v[129:130], v[145:146]
	s_clause 0x4
	buffer_load_dword v146, off, s[0:3], 0 offset:620
	buffer_load_dword v167, off, s[0:3], 0 offset:632
	;; [unrolled: 1-line block ×5, first 2 shown]
	s_waitcnt vmcnt(57) lgkmcnt(0)
	v_mul_f64 v[208:209], v[125:126], v[171:172]
	v_mul_f64 v[170:171], v[127:128], v[171:172]
	s_waitcnt vmcnt(56)
	v_fma_f64 v[155:156], v[1:2], v[157:158], -v[155:156]
	ds_read_b128 v[5:8], v186 offset:1312
	v_fma_f64 v[151:152], v[3:4], v[157:158], v[151:152]
	s_clause 0x2
	buffer_load_dword v168, off, s[0:3], 0 offset:636
	buffer_load_dword v158, off, s[0:3], 0 offset:612
	;; [unrolled: 1-line block ×3, first 2 shown]
	ds_read_b128 v[1:4], v186 offset:1328
	v_add_f64 v[137:138], v[137:138], v[163:164]
	v_add_f64 v[129:130], v[129:130], v[159:160]
	s_waitcnt vmcnt(58) lgkmcnt(1)
	v_mul_f64 v[163:164], v[7:8], v[175:176]
	s_waitcnt vmcnt(56)
	v_fma_f64 v[171:172], v[125:126], v[177:178], -v[170:171]
	v_mul_f64 v[159:160], v[5:6], v[175:176]
	v_add_f64 v[137:138], v[137:138], v[155:156]
	v_fma_f64 v[155:156], v[127:128], v[177:178], v[208:209]
	v_add_f64 v[129:130], v[129:130], v[151:152]
	s_clause 0x4
	buffer_load_dword v152, off, s[0:3], 0 offset:652
	buffer_load_dword v175, off, s[0:3], 0 offset:664
	;; [unrolled: 1-line block ×5, first 2 shown]
	s_waitcnt vmcnt(57) lgkmcnt(0)
	v_mul_f64 v[208:209], v[1:2], v[179:180]
	v_mul_f64 v[178:179], v[3:4], v[179:180]
	s_waitcnt vmcnt(56)
	v_fma_f64 v[163:164], v[5:6], v[165:166], -v[163:164]
	ds_read_b128 v[125:128], v186 offset:1344
	v_fma_f64 v[159:160], v[7:8], v[165:166], v[159:160]
	v_add_f64 v[137:138], v[137:138], v[171:172]
	v_add_f64 v[129:130], v[129:130], v[155:156]
	s_clause 0x2
	buffer_load_dword v176, off, s[0:3], 0 offset:668
	buffer_load_dword v156, off, s[0:3], 0 offset:644
	;; [unrolled: 1-line block ×3, first 2 shown]
	ds_read_b128 v[5:8], v186 offset:1360
	s_waitcnt vmcnt(58) lgkmcnt(1)
	v_mul_f64 v[171:172], v[127:128], v[181:182]
	s_waitcnt vmcnt(56)
	v_fma_f64 v[179:180], v[1:2], v[183:184], -v[178:179]
	v_mul_f64 v[165:166], v[125:126], v[181:182]
	v_add_f64 v[137:138], v[137:138], v[163:164]
	v_fma_f64 v[163:164], v[3:4], v[183:184], v[208:209]
	v_add_f64 v[129:130], v[129:130], v[159:160]
	s_clause 0x4
	buffer_load_dword v160, off, s[0:3], 0 offset:684
	buffer_load_dword v181, off, s[0:3], 0 offset:696
	buffer_load_dword v183, off, s[0:3], 0 offset:688
	buffer_load_dword v159, off, s[0:3], 0 offset:680
	buffer_load_dword v178, off, s[0:3], 0 offset:660
	s_waitcnt vmcnt(57) lgkmcnt(0)
	v_mul_f64 v[208:209], v[5:6], v[193:194]
	v_mul_f64 v[193:194], v[7:8], v[193:194]
	s_waitcnt vmcnt(56)
	v_fma_f64 v[171:172], v[125:126], v[173:174], -v[171:172]
	ds_read_b128 v[1:4], v186 offset:1376
	v_fma_f64 v[165:166], v[127:128], v[173:174], v[165:166]
	v_add_f64 v[137:138], v[137:138], v[179:180]
	v_add_f64 v[129:130], v[129:130], v[163:164]
	s_clause 0x2
	buffer_load_dword v182, off, s[0:3], 0 offset:700
	buffer_load_dword v164, off, s[0:3], 0 offset:676
	;; [unrolled: 1-line block ×3, first 2 shown]
	ds_read_b128 v[125:128], v186 offset:1392
	s_waitcnt vmcnt(58) lgkmcnt(1)
	v_mul_f64 v[179:180], v[3:4], v[195:196]
	v_mul_f64 v[173:174], v[1:2], v[195:196]
	s_waitcnt vmcnt(56)
	v_fma_f64 v[193:194], v[5:6], v[133:134], -v[193:194]
	v_fma_f64 v[133:134], v[7:8], v[133:134], v[208:209]
	v_add_f64 v[137:138], v[137:138], v[171:172]
	v_add_f64 v[129:130], v[129:130], v[165:166]
	s_clause 0x4
	buffer_load_dword v166, off, s[0:3], 0 offset:716
	buffer_load_dword v171, off, s[0:3], 0 offset:728
	;; [unrolled: 1-line block ×5, first 2 shown]
	ds_read_b128 v[5:8], v186 offset:1408
	s_waitcnt vmcnt(57) lgkmcnt(1)
	v_mul_f64 v[208:209], v[125:126], v[131:132]
	v_mul_f64 v[131:132], v[127:128], v[131:132]
	s_waitcnt vmcnt(56)
	v_fma_f64 v[179:180], v[1:2], v[197:198], -v[179:180]
	v_fma_f64 v[173:174], v[3:4], v[197:198], v[173:174]
	v_add_f64 v[137:138], v[137:138], v[193:194]
	v_add_f64 v[129:130], v[129:130], v[133:134]
	s_clause 0x2
	buffer_load_dword v172, off, s[0:3], 0 offset:732
	buffer_load_dword v134, off, s[0:3], 0 offset:708
	;; [unrolled: 1-line block ×3, first 2 shown]
	s_waitcnt vmcnt(58) lgkmcnt(0)
	v_mul_f64 v[197:198], v[7:8], v[199:200]
	ds_read_b128 v[1:4], v186 offset:1424
	v_mul_f64 v[193:194], v[5:6], v[199:200]
	s_waitcnt vmcnt(56)
	v_fma_f64 v[131:132], v[125:126], v[189:190], -v[131:132]
	v_add_f64 v[137:138], v[137:138], v[179:180]
	v_fma_f64 v[179:180], v[127:128], v[189:190], v[208:209]
	v_add_f64 v[129:130], v[129:130], v[173:174]
	s_clause 0x4
	buffer_load_dword v174, off, s[0:3], 0 offset:748
	buffer_load_dword v189, off, s[0:3], 0 offset:760
	;; [unrolled: 1-line block ×5, first 2 shown]
	ds_read_b128 v[125:128], v186 offset:1440
	s_waitcnt vmcnt(57) lgkmcnt(1)
	v_mul_f64 v[208:209], v[1:2], v[149:150]
	v_mul_f64 v[149:150], v[3:4], v[149:150]
	s_waitcnt vmcnt(56)
	v_fma_f64 v[197:198], v[5:6], v[204:205], -v[197:198]
	v_add_f64 v[131:132], v[137:138], v[131:132]
	v_fma_f64 v[137:138], v[7:8], v[204:205], v[193:194]
	v_add_f64 v[129:130], v[129:130], v[179:180]
	s_clause 0x2
	buffer_load_dword v190, off, s[0:3], 0 offset:764
	buffer_load_dword v180, off, s[0:3], 0 offset:740
	;; [unrolled: 1-line block ×3, first 2 shown]
	ds_read_b128 v[5:8], v186 offset:1456
	s_waitcnt vmcnt(58) lgkmcnt(1)
	v_mul_f64 v[193:194], v[125:126], v[191:192]
	v_mul_f64 v[191:192], v[127:128], v[191:192]
	s_waitcnt vmcnt(56)
	v_fma_f64 v[149:150], v[1:2], v[143:144], -v[149:150]
	v_fma_f64 v[143:144], v[3:4], v[143:144], v[208:209]
	v_add_f64 v[131:132], v[131:132], v[197:198]
	v_add_f64 v[129:130], v[129:130], v[137:138]
	s_clause 0x4
	buffer_load_dword v138, off, s[0:3], 0 offset:780
	buffer_load_dword v197, off, s[0:3], 0 offset:792
	buffer_load_dword v203, off, s[0:3], 0 offset:784
	buffer_load_dword v137, off, s[0:3], 0 offset:776
	buffer_load_dword v200, off, s[0:3], 0 offset:756
	ds_read_b128 v[1:4], v186 offset:1472
	s_waitcnt vmcnt(57) lgkmcnt(1)
	v_mul_f64 v[204:205], v[5:6], v[135:136]
	v_mul_f64 v[135:136], v[7:8], v[135:136]
	s_waitcnt vmcnt(56)
	v_fma_f64 v[191:192], v[125:126], v[206:207], -v[191:192]
	v_add_f64 v[131:132], v[131:132], v[149:150]
	v_fma_f64 v[149:150], v[127:128], v[206:207], v[193:194]
	v_add_f64 v[129:130], v[129:130], v[143:144]
	s_clause 0x2
	buffer_load_dword v198, off, s[0:3], 0 offset:796
	buffer_load_dword v144, off, s[0:3], 0 offset:772
	;; [unrolled: 1-line block ×3, first 2 shown]
	ds_read_b128 v[125:128], v186 offset:1488
	s_waitcnt vmcnt(58) lgkmcnt(1)
	v_mul_f64 v[193:194], v[1:2], v[153:154]
	v_mul_f64 v[153:154], v[3:4], v[153:154]
	s_waitcnt vmcnt(56)
	v_fma_f64 v[135:136], v[5:6], v[141:142], -v[135:136]
	v_fma_f64 v[141:142], v[7:8], v[141:142], v[204:205]
	v_add_f64 v[131:132], v[131:132], v[191:192]
	v_add_f64 v[129:130], v[129:130], v[149:150]
	s_clause 0x4
	buffer_load_dword v150, off, s[0:3], 0 offset:812
	buffer_load_dword v191, off, s[0:3], 0 offset:824
	;; [unrolled: 1-line block ×5, first 2 shown]
	ds_read_b128 v[5:8], v186 offset:1504
	s_waitcnt vmcnt(57) lgkmcnt(1)
	v_mul_f64 v[206:207], v[125:126], v[139:140]
	v_mul_f64 v[139:140], v[127:128], v[139:140]
	s_waitcnt vmcnt(56)
	v_fma_f64 v[153:154], v[1:2], v[201:202], -v[153:154]
	v_add_f64 v[131:132], v[131:132], v[135:136]
	v_fma_f64 v[135:136], v[3:4], v[201:202], v[193:194]
	v_add_f64 v[129:130], v[129:130], v[141:142]
	s_clause 0x2
	buffer_load_dword v192, off, s[0:3], 0 offset:828
	buffer_load_dword v142, off, s[0:3], 0 offset:804
	;; [unrolled: 1-line block ×3, first 2 shown]
	s_waitcnt vmcnt(58) lgkmcnt(0)
	v_mul_f64 v[193:194], v[5:6], v[161:162]
	v_mul_f64 v[161:162], v[7:8], v[161:162]
	ds_read_b128 v[1:4], v186 offset:1520
	s_waitcnt vmcnt(56)
	v_fma_f64 v[139:140], v[125:126], v[147:148], -v[139:140]
	v_fma_f64 v[147:148], v[127:128], v[147:148], v[206:207]
	v_add_f64 v[131:132], v[131:132], v[153:154]
	v_add_f64 v[129:130], v[129:130], v[135:136]
	s_clause 0x4
	buffer_load_dword v136, off, s[0:3], 0 offset:844
	buffer_load_dword v153, off, s[0:3], 0 offset:856
	;; [unrolled: 1-line block ×5, first 2 shown]
	ds_read_b128 v[125:128], v186 offset:1536
	s_waitcnt vmcnt(57) lgkmcnt(1)
	v_mul_f64 v[207:208], v[1:2], v[145:146]
	v_mul_f64 v[145:146], v[3:4], v[145:146]
	s_waitcnt vmcnt(56)
	v_fma_f64 v[161:162], v[5:6], v[187:188], -v[161:162]
	v_add_f64 v[131:132], v[131:132], v[139:140]
	v_fma_f64 v[139:140], v[7:8], v[187:188], v[193:194]
	v_add_f64 v[129:130], v[129:130], v[147:148]
	s_clause 0x2
	buffer_load_dword v154, off, s[0:3], 0 offset:860
	buffer_load_dword v148, off, s[0:3], 0 offset:836
	;; [unrolled: 1-line block ×3, first 2 shown]
	s_waitcnt vmcnt(58) lgkmcnt(0)
	v_mul_f64 v[187:188], v[125:126], v[167:168]
	v_mul_f64 v[167:168], v[127:128], v[167:168]
	ds_read_b128 v[5:8], v186 offset:1552
	s_waitcnt vmcnt(56)
	v_fma_f64 v[145:146], v[1:2], v[157:158], -v[145:146]
	v_fma_f64 v[157:158], v[3:4], v[157:158], v[207:208]
	v_add_f64 v[131:132], v[131:132], v[161:162]
	v_add_f64 v[129:130], v[129:130], v[139:140]
	s_clause 0x4
	buffer_load_dword v140, off, s[0:3], 0 offset:876
	buffer_load_dword v161, off, s[0:3], 0 offset:888
	;; [unrolled: 1-line block ×5, first 2 shown]
	ds_read_b128 v[1:4], v186 offset:1568
	s_waitcnt vmcnt(57) lgkmcnt(1)
	v_mul_f64 v[207:208], v[5:6], v[151:152]
	v_mul_f64 v[151:152], v[7:8], v[151:152]
	s_waitcnt vmcnt(56)
	v_fma_f64 v[167:168], v[125:126], v[169:170], -v[167:168]
	v_add_f64 v[131:132], v[131:132], v[145:146]
	v_fma_f64 v[145:146], v[127:128], v[169:170], v[187:188]
	v_add_f64 v[129:130], v[129:130], v[157:158]
	s_clause 0x2
	buffer_load_dword v162, off, s[0:3], 0 offset:892
	buffer_load_dword v158, off, s[0:3], 0 offset:868
	;; [unrolled: 1-line block ×3, first 2 shown]
	ds_read_b128 v[125:128], v186 offset:1584
	s_waitcnt vmcnt(58) lgkmcnt(1)
	v_mul_f64 v[169:170], v[1:2], v[175:176]
	v_mul_f64 v[175:176], v[3:4], v[175:176]
	s_waitcnt vmcnt(56)
	v_fma_f64 v[151:152], v[5:6], v[155:156], -v[151:152]
	v_fma_f64 v[155:156], v[7:8], v[155:156], v[207:208]
	v_add_f64 v[131:132], v[131:132], v[167:168]
	v_add_f64 v[129:130], v[129:130], v[145:146]
	s_clause 0x4
	buffer_load_dword v146, off, s[0:3], 0 offset:908
	buffer_load_dword v167, off, s[0:3], 0 offset:920
	;; [unrolled: 1-line block ×5, first 2 shown]
	ds_read_b128 v[5:8], v186 offset:1600
	s_waitcnt vmcnt(57) lgkmcnt(1)
	v_mul_f64 v[207:208], v[125:126], v[159:160]
	v_mul_f64 v[159:160], v[127:128], v[159:160]
	s_waitcnt vmcnt(56)
	v_fma_f64 v[175:176], v[1:2], v[177:178], -v[175:176]
	v_add_f64 v[131:132], v[131:132], v[151:152]
	v_fma_f64 v[151:152], v[3:4], v[177:178], v[169:170]
	v_add_f64 v[129:130], v[129:130], v[155:156]
	s_clause 0x2
	buffer_load_dword v168, off, s[0:3], 0 offset:924
	buffer_load_dword v156, off, s[0:3], 0 offset:900
	;; [unrolled: 1-line block ×3, first 2 shown]
	ds_read_b128 v[1:4], v186 offset:1616
	s_waitcnt vmcnt(58) lgkmcnt(1)
	v_mul_f64 v[177:178], v[7:8], v[181:182]
	v_mul_f64 v[169:170], v[5:6], v[181:182]
	s_waitcnt vmcnt(56)
	v_fma_f64 v[159:160], v[125:126], v[163:164], -v[159:160]
	v_fma_f64 v[163:164], v[127:128], v[163:164], v[207:208]
	v_add_f64 v[131:132], v[131:132], v[175:176]
	v_add_f64 v[129:130], v[129:130], v[151:152]
	s_clause 0x2
	buffer_load_dword v152, off, s[0:3], 0 offset:940
	buffer_load_dword v151, off, s[0:3], 0 offset:936
	;; [unrolled: 1-line block ×3, first 2 shown]
	ds_read_b128 v[125:128], v186 offset:1632
	s_waitcnt vmcnt(55) lgkmcnt(1)
	v_mul_f64 v[175:176], v[1:2], v[165:166]
	v_mul_f64 v[165:166], v[3:4], v[165:166]
	s_waitcnt vmcnt(54)
	v_fma_f64 v[177:178], v[5:6], v[183:184], -v[177:178]
	v_add_f64 v[131:132], v[131:132], v[159:160]
	v_fma_f64 v[159:160], v[7:8], v[183:184], v[169:170]
	v_add_f64 v[129:130], v[129:130], v[163:164]
	s_clause 0x1
	buffer_load_dword v164, off, s[0:3], 0 offset:932
	buffer_load_dword v163, off, s[0:3], 0 offset:928
	ds_read_b128 v[5:8], v186 offset:1648
	s_waitcnt vmcnt(55) lgkmcnt(1)
	v_mul_f64 v[169:170], v[125:126], v[171:172]
	v_mul_f64 v[171:172], v[127:128], v[171:172]
	s_waitcnt vmcnt(53)
	v_fma_f64 v[165:166], v[1:2], v[133:134], -v[165:166]
	v_fma_f64 v[133:134], v[3:4], v[133:134], v[175:176]
	ds_read_b128 v[1:4], v186 offset:1664
	v_add_f64 v[131:132], v[131:132], v[177:178]
	v_add_f64 v[129:130], v[129:130], v[159:160]
	s_waitcnt vmcnt(49) lgkmcnt(1)
	v_mul_f64 v[159:160], v[5:6], v[173:174]
	v_mul_f64 v[173:174], v[7:8], v[173:174]
	s_waitcnt vmcnt(48)
	v_fma_f64 v[171:172], v[125:126], v[195:196], -v[171:172]
	v_add_f64 v[131:132], v[131:132], v[165:166]
	v_fma_f64 v[165:166], v[127:128], v[195:196], v[169:170]
	v_add_f64 v[129:130], v[129:130], v[133:134]
	s_clause 0x3
	buffer_load_dword v133, off, s[0:3], 0 offset:192
	buffer_load_dword v134, off, s[0:3], 0 offset:196
	;; [unrolled: 1-line block ×4, first 2 shown]
	ds_read_b128 v[125:128], v186 offset:1680
	s_waitcnt vmcnt(51) lgkmcnt(1)
	v_mul_f64 v[177:178], v[3:4], v[189:190]
	v_mul_f64 v[175:176], v[1:2], v[189:190]
	s_waitcnt vmcnt(49)
	v_fma_f64 v[173:174], v[5:6], v[179:180], -v[173:174]
	v_fma_f64 v[159:160], v[7:8], v[179:180], v[159:160]
	ds_read_b128 v[5:8], v186 offset:1696
	v_add_f64 v[131:132], v[131:132], v[171:172]
	v_add_f64 v[129:130], v[129:130], v[165:166]
	s_waitcnt vmcnt(45) lgkmcnt(1)
	v_mul_f64 v[165:166], v[125:126], v[137:138]
	v_mul_f64 v[137:138], v[127:128], v[137:138]
	s_waitcnt vmcnt(44)
	v_fma_f64 v[171:172], v[1:2], v[199:200], -v[177:178]
	v_add_f64 v[131:132], v[131:132], v[173:174]
	v_fma_f64 v[173:174], v[3:4], v[199:200], v[175:176]
	v_add_f64 v[129:130], v[129:130], v[159:160]
	ds_read_b128 v[1:4], v186 offset:1712
	s_waitcnt vmcnt(43) lgkmcnt(1)
	v_mul_f64 v[175:176], v[7:8], v[197:198]
	v_mul_f64 v[159:160], v[5:6], v[197:198]
	s_waitcnt vmcnt(41)
	v_fma_f64 v[137:138], v[125:126], v[143:144], -v[137:138]
	v_fma_f64 v[143:144], v[127:128], v[143:144], v[165:166]
	ds_read_b128 v[125:128], v186 offset:1728
	v_add_f64 v[131:132], v[131:132], v[171:172]
	v_add_f64 v[129:130], v[129:130], v[173:174]
	s_waitcnt vmcnt(37) lgkmcnt(1)
	v_mul_f64 v[165:166], v[1:2], v[149:150]
	v_mul_f64 v[149:150], v[3:4], v[149:150]
	s_waitcnt vmcnt(36)
	v_fma_f64 v[171:172], v[5:6], v[203:204], -v[175:176]
	v_add_f64 v[131:132], v[131:132], v[137:138]
	v_fma_f64 v[137:138], v[7:8], v[203:204], v[159:160]
	v_add_f64 v[129:130], v[129:130], v[143:144]
	ds_read_b128 v[5:8], v186 offset:1744
	s_waitcnt vmcnt(35) lgkmcnt(1)
	v_mul_f64 v[159:160], v[127:128], v[191:192]
	v_mul_f64 v[143:144], v[125:126], v[191:192]
	s_waitcnt vmcnt(33)
	v_fma_f64 v[149:150], v[1:2], v[141:142], -v[149:150]
	v_fma_f64 v[141:142], v[3:4], v[141:142], v[165:166]
	ds_read_b128 v[1:4], v186 offset:1760
	v_add_f64 v[131:132], v[131:132], v[171:172]
	v_add_f64 v[129:130], v[129:130], v[137:138]
	s_waitcnt vmcnt(29) lgkmcnt(1)
	v_mul_f64 v[137:138], v[5:6], v[135:136]
	v_mul_f64 v[135:136], v[7:8], v[135:136]
	s_waitcnt vmcnt(28)
	v_fma_f64 v[159:160], v[125:126], v[205:206], -v[159:160]
	v_fma_f64 v[143:144], v[127:128], v[205:206], v[143:144]
	ds_read_b128 v[125:128], v186 offset:1776
	v_add_f64 v[131:132], v[131:132], v[149:150]
	v_add_f64 v[129:130], v[129:130], v[141:142]
	;; [unrolled: 9-line block ×3, first 2 shown]
	s_waitcnt vmcnt(21) lgkmcnt(1)
	v_mul_f64 v[143:144], v[125:126], v[139:140]
	v_mul_f64 v[139:140], v[127:128], v[139:140]
	s_waitcnt vmcnt(20)
	v_fma_f64 v[147:148], v[1:2], v[201:202], -v[149:150]
	v_add_f64 v[131:132], v[131:132], v[135:136]
	v_fma_f64 v[135:136], v[3:4], v[201:202], v[141:142]
	v_add_f64 v[129:130], v[129:130], v[137:138]
	ds_read_b128 v[1:4], v186 offset:1808
	s_waitcnt vmcnt(19) lgkmcnt(1)
	v_mul_f64 v[141:142], v[7:8], v[161:162]
	v_mul_f64 v[137:138], v[5:6], v[161:162]
	s_waitcnt vmcnt(17)
	v_fma_f64 v[139:140], v[125:126], v[157:158], -v[139:140]
	v_fma_f64 v[143:144], v[127:128], v[157:158], v[143:144]
	ds_read_b128 v[125:128], v186 offset:1824
	v_add_f64 v[131:132], v[131:132], v[147:148]
	v_add_f64 v[129:130], v[129:130], v[135:136]
	s_waitcnt vmcnt(13) lgkmcnt(1)
	v_mul_f64 v[135:136], v[1:2], v[145:146]
	v_mul_f64 v[145:146], v[3:4], v[145:146]
	s_waitcnt vmcnt(12)
	v_fma_f64 v[141:142], v[5:6], v[193:194], -v[141:142]
	v_fma_f64 v[137:138], v[7:8], v[193:194], v[137:138]
	ds_read_b128 v[5:8], v186 offset:1840
	v_add_f64 v[131:132], v[131:132], v[139:140]
	v_add_f64 v[129:130], v[129:130], v[143:144]
	s_waitcnt vmcnt(11) lgkmcnt(1)
	v_mul_f64 v[143:144], v[127:128], v[167:168]
	v_mul_f64 v[139:140], v[125:126], v[167:168]
	s_waitcnt vmcnt(9)
	v_fma_f64 v[1:2], v[1:2], v[155:156], -v[145:146]
	v_fma_f64 v[3:4], v[3:4], v[155:156], v[135:136]
	v_add_f64 v[131:132], v[131:132], v[141:142]
	v_add_f64 v[129:130], v[129:130], v[137:138]
	s_waitcnt vmcnt(7) lgkmcnt(0)
	v_mul_f64 v[137:138], v[7:8], v[151:152]
	s_waitcnt vmcnt(6)
	v_fma_f64 v[125:126], v[125:126], v[187:188], -v[143:144]
	v_mul_f64 v[135:136], v[5:6], v[151:152]
	v_fma_f64 v[127:128], v[127:128], v[187:188], v[139:140]
	v_add_f64 v[1:2], v[131:132], v[1:2]
	v_add_f64 v[3:4], v[129:130], v[3:4]
	s_waitcnt vmcnt(4)
	v_fma_f64 v[5:6], v[5:6], v[163:164], -v[137:138]
	v_fma_f64 v[7:8], v[7:8], v[163:164], v[135:136]
	v_add_f64 v[1:2], v[1:2], v[125:126]
	v_add_f64 v[3:4], v[3:4], v[127:128]
	;; [unrolled: 1-line block ×4, first 2 shown]
	s_waitcnt vmcnt(2)
	v_add_f64 v[1:2], v[133:134], -v[1:2]
	s_waitcnt vmcnt(0)
	v_add_f64 v[3:4], v[169:170], -v[3:4]
	buffer_store_dword v2, off, s[0:3], 0 offset:196
	buffer_store_dword v1, off, s[0:3], 0 offset:192
	;; [unrolled: 1-line block ×4, first 2 shown]
	v_cmpx_lt_u32_e32 10, v0
	s_cbranch_execz .LBB121_341
; %bb.340:
	v_mov_b32_e32 v4, s60
	v_mov_b32_e32 v5, 0
	s_clause 0x3
	buffer_load_dword v1, v4, s[0:3], 0 offen
	buffer_load_dword v2, v4, s[0:3], 0 offen offset:4
	buffer_load_dword v3, v4, s[0:3], 0 offen offset:8
	;; [unrolled: 1-line block ×3, first 2 shown]
	buffer_store_dword v5, off, s[0:3], 0 offset:176
	buffer_store_dword v5, off, s[0:3], 0 offset:180
	;; [unrolled: 1-line block ×4, first 2 shown]
	s_waitcnt vmcnt(0)
	ds_write_b128 v185, v[1:4]
.LBB121_341:
	s_or_b32 exec_lo, exec_lo, s4
	s_waitcnt lgkmcnt(0)
	s_waitcnt_vscnt null, 0x0
	s_barrier
	buffer_gl0_inv
	s_clause 0x37
	buffer_load_dword v133, off, s[0:3], 0 offset:200
	buffer_load_dword v134, off, s[0:3], 0 offset:204
	;; [unrolled: 1-line block ×56, first 2 shown]
	v_mov_b32_e32 v186, 0
	s_mov_b32 s4, exec_lo
	ds_read_b128 v[5:8], v186 offset:1104
	s_clause 0x2
	buffer_load_dword v182, off, s[0:3], 0 offset:428
	buffer_load_dword v184, off, s[0:3], 0 offset:404
	;; [unrolled: 1-line block ×3, first 2 shown]
	ds_read_b128 v[1:4], v186 offset:1120
	s_clause 0x4
	buffer_load_dword v194, off, s[0:3], 0 offset:444
	buffer_load_dword v195, off, s[0:3], 0 offset:456
	;; [unrolled: 1-line block ×5, first 2 shown]
	ds_read_b128 v[187:190], v186 offset:1136
	s_waitcnt vmcnt(62) lgkmcnt(2)
	v_mul_f64 v[191:192], v[7:8], v[133:134]
	v_mul_f64 v[133:134], v[5:6], v[133:134]
	s_waitcnt vmcnt(60) lgkmcnt(1)
	v_mul_f64 v[198:199], v[3:4], v[129:130]
	v_mul_f64 v[129:130], v[1:2], v[129:130]
	;; [unrolled: 3-line block ×3, first 2 shown]
	v_fma_f64 v[191:192], v[5:6], v[131:132], -v[191:192]
	v_fma_f64 v[131:132], v[7:8], v[131:132], v[133:134]
	s_clause 0x2
	buffer_load_dword v196, off, s[0:3], 0 offset:460
	buffer_load_dword v134, off, s[0:3], 0 offset:436
	;; [unrolled: 1-line block ×3, first 2 shown]
	s_waitcnt vmcnt(57)
	v_fma_f64 v[202:203], v[1:2], v[125:126], -v[198:199]
	ds_read_b128 v[5:8], v186 offset:1152
	v_fma_f64 v[125:126], v[3:4], v[125:126], v[129:130]
	s_waitcnt vmcnt(51)
	v_fma_f64 v[187:188], v[187:188], v[149:150], -v[127:128]
	v_fma_f64 v[149:150], v[189:190], v[149:150], v[200:201]
	v_add_f64 v[191:192], v[191:192], 0
	v_add_f64 v[129:130], v[131:132], 0
	s_clause 0x4
	buffer_load_dword v132, off, s[0:3], 0 offset:476
	buffer_load_dword v199, off, s[0:3], 0 offset:488
	;; [unrolled: 1-line block ×5, first 2 shown]
	s_waitcnt lgkmcnt(0)
	v_mul_f64 v[205:206], v[5:6], v[137:138]
	v_mul_f64 v[137:138], v[7:8], v[137:138]
	ds_read_b128 v[1:4], v186 offset:1168
	s_clause 0x2
	buffer_load_dword v200, off, s[0:3], 0 offset:492
	buffer_load_dword v190, off, s[0:3], 0 offset:468
	buffer_load_dword v189, off, s[0:3], 0 offset:464
	v_add_f64 v[191:192], v[191:192], v[202:203]
	v_add_f64 v[129:130], v[129:130], v[125:126]
	ds_read_b128 v[125:128], v186 offset:1184
	s_waitcnt vmcnt(58) lgkmcnt(1)
	v_mul_f64 v[201:202], v[1:2], v[141:142]
	v_mul_f64 v[141:142], v[3:4], v[141:142]
	s_waitcnt vmcnt(56)
	v_fma_f64 v[137:138], v[5:6], v[143:144], -v[137:138]
	v_fma_f64 v[143:144], v[7:8], v[143:144], v[205:206]
	s_waitcnt vmcnt(52) lgkmcnt(0)
	v_mul_f64 v[207:208], v[125:126], v[145:146]
	v_add_f64 v[187:188], v[191:192], v[187:188]
	v_add_f64 v[129:130], v[129:130], v[149:150]
	s_clause 0x4
	buffer_load_dword v150, off, s[0:3], 0 offset:508
	buffer_load_dword v191, off, s[0:3], 0 offset:520
	;; [unrolled: 1-line block ×5, first 2 shown]
	v_mul_f64 v[145:146], v[127:128], v[145:146]
	s_waitcnt vmcnt(56)
	v_fma_f64 v[141:142], v[1:2], v[135:136], -v[141:142]
	ds_read_b128 v[5:8], v186 offset:1200
	v_fma_f64 v[135:136], v[3:4], v[135:136], v[201:202]
	v_add_f64 v[137:138], v[187:188], v[137:138]
	v_add_f64 v[129:130], v[129:130], v[143:144]
	s_clause 0x2
	buffer_load_dword v192, off, s[0:3], 0 offset:524
	buffer_load_dword v144, off, s[0:3], 0 offset:500
	;; [unrolled: 1-line block ×3, first 2 shown]
	s_waitcnt vmcnt(58) lgkmcnt(0)
	v_mul_f64 v[187:188], v[5:6], v[151:152]
	v_mul_f64 v[151:152], v[7:8], v[151:152]
	s_waitcnt vmcnt(56)
	v_fma_f64 v[145:146], v[125:126], v[153:154], -v[145:146]
	ds_read_b128 v[1:4], v186 offset:1216
	v_add_f64 v[137:138], v[137:138], v[141:142]
	v_fma_f64 v[141:142], v[127:128], v[153:154], v[207:208]
	v_add_f64 v[129:130], v[129:130], v[135:136]
	s_clause 0x4
	buffer_load_dword v136, off, s[0:3], 0 offset:540
	buffer_load_dword v153, off, s[0:3], 0 offset:552
	buffer_load_dword v201, off, s[0:3], 0 offset:544
	buffer_load_dword v135, off, s[0:3], 0 offset:536
	buffer_load_dword v207, off, s[0:3], 0 offset:516
	s_waitcnt vmcnt(57) lgkmcnt(0)
	v_mul_f64 v[202:203], v[1:2], v[155:156]
	v_mul_f64 v[155:156], v[3:4], v[155:156]
	s_waitcnt vmcnt(56)
	v_fma_f64 v[151:152], v[5:6], v[139:140], -v[151:152]
	ds_read_b128 v[125:128], v186 offset:1232
	v_fma_f64 v[139:140], v[7:8], v[139:140], v[187:188]
	v_add_f64 v[137:138], v[137:138], v[145:146]
	v_add_f64 v[129:130], v[129:130], v[141:142]
	s_clause 0x2
	buffer_load_dword v154, off, s[0:3], 0 offset:556
	buffer_load_dword v142, off, s[0:3], 0 offset:532
	buffer_load_dword v141, off, s[0:3], 0 offset:528
	ds_read_b128 v[5:8], v186 offset:1248
	s_waitcnt vmcnt(58) lgkmcnt(1)
	v_mul_f64 v[145:146], v[125:126], v[159:160]
	v_mul_f64 v[159:160], v[127:128], v[159:160]
	s_waitcnt vmcnt(56)
	v_fma_f64 v[155:156], v[1:2], v[161:162], -v[155:156]
	v_add_f64 v[137:138], v[137:138], v[151:152]
	v_fma_f64 v[151:152], v[3:4], v[161:162], v[202:203]
	v_add_f64 v[129:130], v[129:130], v[139:140]
	s_clause 0x4
	buffer_load_dword v140, off, s[0:3], 0 offset:572
	buffer_load_dword v161, off, s[0:3], 0 offset:584
	;; [unrolled: 1-line block ×5, first 2 shown]
	s_waitcnt vmcnt(57) lgkmcnt(0)
	v_mul_f64 v[208:209], v[5:6], v[163:164]
	v_mul_f64 v[163:164], v[7:8], v[163:164]
	s_waitcnt vmcnt(56)
	v_fma_f64 v[159:160], v[125:126], v[147:148], -v[159:160]
	ds_read_b128 v[1:4], v186 offset:1264
	v_fma_f64 v[145:146], v[127:128], v[147:148], v[145:146]
	s_clause 0x2
	buffer_load_dword v162, off, s[0:3], 0 offset:588
	buffer_load_dword v148, off, s[0:3], 0 offset:564
	;; [unrolled: 1-line block ×3, first 2 shown]
	ds_read_b128 v[125:128], v186 offset:1280
	v_add_f64 v[137:138], v[137:138], v[155:156]
	v_add_f64 v[129:130], v[129:130], v[151:152]
	s_waitcnt vmcnt(58) lgkmcnt(1)
	v_mul_f64 v[155:156], v[3:4], v[167:168]
	s_waitcnt vmcnt(56)
	v_fma_f64 v[163:164], v[5:6], v[169:170], -v[163:164]
	v_mul_f64 v[151:152], v[1:2], v[167:168]
	v_add_f64 v[137:138], v[137:138], v[159:160]
	v_fma_f64 v[159:160], v[7:8], v[169:170], v[208:209]
	v_add_f64 v[129:130], v[129:130], v[145:146]
	s_clause 0x4
	buffer_load_dword v146, off, s[0:3], 0 offset:604
	buffer_load_dword v167, off, s[0:3], 0 offset:616
	;; [unrolled: 1-line block ×5, first 2 shown]
	s_waitcnt vmcnt(57) lgkmcnt(0)
	v_mul_f64 v[208:209], v[125:126], v[171:172]
	v_mul_f64 v[170:171], v[127:128], v[171:172]
	s_waitcnt vmcnt(56)
	v_fma_f64 v[155:156], v[1:2], v[157:158], -v[155:156]
	ds_read_b128 v[5:8], v186 offset:1296
	v_fma_f64 v[151:152], v[3:4], v[157:158], v[151:152]
	s_clause 0x2
	buffer_load_dword v168, off, s[0:3], 0 offset:620
	buffer_load_dword v158, off, s[0:3], 0 offset:596
	;; [unrolled: 1-line block ×3, first 2 shown]
	ds_read_b128 v[1:4], v186 offset:1312
	v_add_f64 v[137:138], v[137:138], v[163:164]
	v_add_f64 v[129:130], v[129:130], v[159:160]
	s_waitcnt vmcnt(58) lgkmcnt(1)
	v_mul_f64 v[163:164], v[7:8], v[175:176]
	s_waitcnt vmcnt(56)
	v_fma_f64 v[171:172], v[125:126], v[177:178], -v[170:171]
	v_mul_f64 v[159:160], v[5:6], v[175:176]
	v_add_f64 v[137:138], v[137:138], v[155:156]
	v_fma_f64 v[155:156], v[127:128], v[177:178], v[208:209]
	v_add_f64 v[129:130], v[129:130], v[151:152]
	s_clause 0x4
	buffer_load_dword v152, off, s[0:3], 0 offset:636
	buffer_load_dword v175, off, s[0:3], 0 offset:648
	;; [unrolled: 1-line block ×5, first 2 shown]
	s_waitcnt vmcnt(57) lgkmcnt(0)
	v_mul_f64 v[208:209], v[1:2], v[179:180]
	v_mul_f64 v[178:179], v[3:4], v[179:180]
	s_waitcnt vmcnt(56)
	v_fma_f64 v[163:164], v[5:6], v[165:166], -v[163:164]
	ds_read_b128 v[125:128], v186 offset:1328
	v_fma_f64 v[159:160], v[7:8], v[165:166], v[159:160]
	v_add_f64 v[137:138], v[137:138], v[171:172]
	v_add_f64 v[129:130], v[129:130], v[155:156]
	s_clause 0x2
	buffer_load_dword v176, off, s[0:3], 0 offset:652
	buffer_load_dword v156, off, s[0:3], 0 offset:628
	;; [unrolled: 1-line block ×3, first 2 shown]
	ds_read_b128 v[5:8], v186 offset:1344
	s_waitcnt vmcnt(58) lgkmcnt(1)
	v_mul_f64 v[171:172], v[127:128], v[181:182]
	s_waitcnt vmcnt(56)
	v_fma_f64 v[179:180], v[1:2], v[183:184], -v[178:179]
	v_mul_f64 v[165:166], v[125:126], v[181:182]
	v_add_f64 v[137:138], v[137:138], v[163:164]
	v_fma_f64 v[163:164], v[3:4], v[183:184], v[208:209]
	v_add_f64 v[129:130], v[129:130], v[159:160]
	s_clause 0x4
	buffer_load_dword v160, off, s[0:3], 0 offset:668
	buffer_load_dword v181, off, s[0:3], 0 offset:680
	;; [unrolled: 1-line block ×5, first 2 shown]
	s_waitcnt vmcnt(57) lgkmcnt(0)
	v_mul_f64 v[208:209], v[5:6], v[193:194]
	v_mul_f64 v[193:194], v[7:8], v[193:194]
	s_waitcnt vmcnt(56)
	v_fma_f64 v[171:172], v[125:126], v[173:174], -v[171:172]
	ds_read_b128 v[1:4], v186 offset:1360
	v_fma_f64 v[165:166], v[127:128], v[173:174], v[165:166]
	v_add_f64 v[137:138], v[137:138], v[179:180]
	v_add_f64 v[129:130], v[129:130], v[163:164]
	s_clause 0x2
	buffer_load_dword v182, off, s[0:3], 0 offset:684
	buffer_load_dword v164, off, s[0:3], 0 offset:660
	;; [unrolled: 1-line block ×3, first 2 shown]
	ds_read_b128 v[125:128], v186 offset:1376
	s_waitcnt vmcnt(58) lgkmcnt(1)
	v_mul_f64 v[179:180], v[3:4], v[195:196]
	v_mul_f64 v[173:174], v[1:2], v[195:196]
	s_waitcnt vmcnt(56)
	v_fma_f64 v[193:194], v[5:6], v[133:134], -v[193:194]
	v_fma_f64 v[133:134], v[7:8], v[133:134], v[208:209]
	v_add_f64 v[137:138], v[137:138], v[171:172]
	v_add_f64 v[129:130], v[129:130], v[165:166]
	s_clause 0x4
	buffer_load_dword v166, off, s[0:3], 0 offset:700
	buffer_load_dword v171, off, s[0:3], 0 offset:712
	;; [unrolled: 1-line block ×5, first 2 shown]
	ds_read_b128 v[5:8], v186 offset:1392
	s_waitcnt vmcnt(57) lgkmcnt(1)
	v_mul_f64 v[208:209], v[125:126], v[131:132]
	v_mul_f64 v[131:132], v[127:128], v[131:132]
	s_waitcnt vmcnt(56)
	v_fma_f64 v[179:180], v[1:2], v[197:198], -v[179:180]
	v_fma_f64 v[173:174], v[3:4], v[197:198], v[173:174]
	v_add_f64 v[137:138], v[137:138], v[193:194]
	v_add_f64 v[129:130], v[129:130], v[133:134]
	s_clause 0x2
	buffer_load_dword v172, off, s[0:3], 0 offset:716
	buffer_load_dword v134, off, s[0:3], 0 offset:692
	;; [unrolled: 1-line block ×3, first 2 shown]
	s_waitcnt vmcnt(58) lgkmcnt(0)
	v_mul_f64 v[197:198], v[7:8], v[199:200]
	ds_read_b128 v[1:4], v186 offset:1408
	v_mul_f64 v[193:194], v[5:6], v[199:200]
	s_waitcnt vmcnt(56)
	v_fma_f64 v[131:132], v[125:126], v[189:190], -v[131:132]
	v_add_f64 v[137:138], v[137:138], v[179:180]
	v_fma_f64 v[179:180], v[127:128], v[189:190], v[208:209]
	v_add_f64 v[129:130], v[129:130], v[173:174]
	s_clause 0x4
	buffer_load_dword v174, off, s[0:3], 0 offset:732
	buffer_load_dword v189, off, s[0:3], 0 offset:744
	;; [unrolled: 1-line block ×5, first 2 shown]
	ds_read_b128 v[125:128], v186 offset:1424
	s_waitcnt vmcnt(57) lgkmcnt(1)
	v_mul_f64 v[208:209], v[1:2], v[149:150]
	v_mul_f64 v[149:150], v[3:4], v[149:150]
	s_waitcnt vmcnt(56)
	v_fma_f64 v[197:198], v[5:6], v[204:205], -v[197:198]
	v_add_f64 v[131:132], v[137:138], v[131:132]
	v_fma_f64 v[137:138], v[7:8], v[204:205], v[193:194]
	v_add_f64 v[129:130], v[129:130], v[179:180]
	s_clause 0x2
	buffer_load_dword v190, off, s[0:3], 0 offset:748
	buffer_load_dword v180, off, s[0:3], 0 offset:724
	buffer_load_dword v179, off, s[0:3], 0 offset:720
	ds_read_b128 v[5:8], v186 offset:1440
	s_waitcnt vmcnt(58) lgkmcnt(1)
	v_mul_f64 v[193:194], v[125:126], v[191:192]
	v_mul_f64 v[191:192], v[127:128], v[191:192]
	s_waitcnt vmcnt(56)
	v_fma_f64 v[149:150], v[1:2], v[143:144], -v[149:150]
	v_fma_f64 v[143:144], v[3:4], v[143:144], v[208:209]
	v_add_f64 v[131:132], v[131:132], v[197:198]
	v_add_f64 v[129:130], v[129:130], v[137:138]
	s_clause 0x4
	buffer_load_dword v138, off, s[0:3], 0 offset:764
	buffer_load_dword v197, off, s[0:3], 0 offset:776
	buffer_load_dword v203, off, s[0:3], 0 offset:768
	buffer_load_dword v137, off, s[0:3], 0 offset:760
	buffer_load_dword v200, off, s[0:3], 0 offset:740
	ds_read_b128 v[1:4], v186 offset:1456
	s_waitcnt vmcnt(57) lgkmcnt(1)
	v_mul_f64 v[204:205], v[5:6], v[135:136]
	v_mul_f64 v[135:136], v[7:8], v[135:136]
	s_waitcnt vmcnt(56)
	v_fma_f64 v[191:192], v[125:126], v[206:207], -v[191:192]
	v_add_f64 v[131:132], v[131:132], v[149:150]
	v_fma_f64 v[149:150], v[127:128], v[206:207], v[193:194]
	v_add_f64 v[129:130], v[129:130], v[143:144]
	s_clause 0x2
	buffer_load_dword v198, off, s[0:3], 0 offset:780
	buffer_load_dword v144, off, s[0:3], 0 offset:756
	;; [unrolled: 1-line block ×3, first 2 shown]
	ds_read_b128 v[125:128], v186 offset:1472
	s_waitcnt vmcnt(58) lgkmcnt(1)
	v_mul_f64 v[193:194], v[1:2], v[153:154]
	v_mul_f64 v[153:154], v[3:4], v[153:154]
	s_waitcnt vmcnt(56)
	v_fma_f64 v[135:136], v[5:6], v[141:142], -v[135:136]
	v_fma_f64 v[141:142], v[7:8], v[141:142], v[204:205]
	v_add_f64 v[131:132], v[131:132], v[191:192]
	v_add_f64 v[129:130], v[129:130], v[149:150]
	s_clause 0x4
	buffer_load_dword v150, off, s[0:3], 0 offset:796
	buffer_load_dword v191, off, s[0:3], 0 offset:808
	;; [unrolled: 1-line block ×5, first 2 shown]
	ds_read_b128 v[5:8], v186 offset:1488
	s_waitcnt vmcnt(57) lgkmcnt(1)
	v_mul_f64 v[206:207], v[125:126], v[139:140]
	v_mul_f64 v[139:140], v[127:128], v[139:140]
	s_waitcnt vmcnt(56)
	v_fma_f64 v[153:154], v[1:2], v[201:202], -v[153:154]
	v_add_f64 v[131:132], v[131:132], v[135:136]
	v_fma_f64 v[135:136], v[3:4], v[201:202], v[193:194]
	v_add_f64 v[129:130], v[129:130], v[141:142]
	s_clause 0x2
	buffer_load_dword v192, off, s[0:3], 0 offset:812
	buffer_load_dword v142, off, s[0:3], 0 offset:788
	;; [unrolled: 1-line block ×3, first 2 shown]
	s_waitcnt vmcnt(58) lgkmcnt(0)
	v_mul_f64 v[193:194], v[5:6], v[161:162]
	v_mul_f64 v[161:162], v[7:8], v[161:162]
	ds_read_b128 v[1:4], v186 offset:1504
	s_waitcnt vmcnt(56)
	v_fma_f64 v[139:140], v[125:126], v[147:148], -v[139:140]
	v_fma_f64 v[147:148], v[127:128], v[147:148], v[206:207]
	v_add_f64 v[131:132], v[131:132], v[153:154]
	v_add_f64 v[129:130], v[129:130], v[135:136]
	s_clause 0x4
	buffer_load_dword v136, off, s[0:3], 0 offset:828
	buffer_load_dword v153, off, s[0:3], 0 offset:840
	;; [unrolled: 1-line block ×5, first 2 shown]
	ds_read_b128 v[125:128], v186 offset:1520
	s_waitcnt vmcnt(57) lgkmcnt(1)
	v_mul_f64 v[207:208], v[1:2], v[145:146]
	v_mul_f64 v[145:146], v[3:4], v[145:146]
	s_waitcnt vmcnt(56)
	v_fma_f64 v[161:162], v[5:6], v[187:188], -v[161:162]
	v_add_f64 v[131:132], v[131:132], v[139:140]
	v_fma_f64 v[139:140], v[7:8], v[187:188], v[193:194]
	v_add_f64 v[129:130], v[129:130], v[147:148]
	s_clause 0x2
	buffer_load_dword v154, off, s[0:3], 0 offset:844
	buffer_load_dword v148, off, s[0:3], 0 offset:820
	;; [unrolled: 1-line block ×3, first 2 shown]
	s_waitcnt vmcnt(58) lgkmcnt(0)
	v_mul_f64 v[187:188], v[125:126], v[167:168]
	v_mul_f64 v[167:168], v[127:128], v[167:168]
	ds_read_b128 v[5:8], v186 offset:1536
	s_waitcnt vmcnt(56)
	v_fma_f64 v[145:146], v[1:2], v[157:158], -v[145:146]
	v_fma_f64 v[157:158], v[3:4], v[157:158], v[207:208]
	v_add_f64 v[131:132], v[131:132], v[161:162]
	v_add_f64 v[129:130], v[129:130], v[139:140]
	s_clause 0x4
	buffer_load_dword v140, off, s[0:3], 0 offset:860
	buffer_load_dword v161, off, s[0:3], 0 offset:872
	;; [unrolled: 1-line block ×5, first 2 shown]
	ds_read_b128 v[1:4], v186 offset:1552
	s_waitcnt vmcnt(57) lgkmcnt(1)
	v_mul_f64 v[207:208], v[5:6], v[151:152]
	v_mul_f64 v[151:152], v[7:8], v[151:152]
	s_waitcnt vmcnt(56)
	v_fma_f64 v[167:168], v[125:126], v[169:170], -v[167:168]
	v_add_f64 v[131:132], v[131:132], v[145:146]
	v_fma_f64 v[145:146], v[127:128], v[169:170], v[187:188]
	v_add_f64 v[129:130], v[129:130], v[157:158]
	s_clause 0x2
	buffer_load_dword v162, off, s[0:3], 0 offset:876
	buffer_load_dword v158, off, s[0:3], 0 offset:852
	buffer_load_dword v157, off, s[0:3], 0 offset:848
	ds_read_b128 v[125:128], v186 offset:1568
	s_waitcnt vmcnt(58) lgkmcnt(1)
	v_mul_f64 v[169:170], v[1:2], v[175:176]
	v_mul_f64 v[175:176], v[3:4], v[175:176]
	s_waitcnt vmcnt(56)
	v_fma_f64 v[151:152], v[5:6], v[155:156], -v[151:152]
	v_fma_f64 v[155:156], v[7:8], v[155:156], v[207:208]
	v_add_f64 v[131:132], v[131:132], v[167:168]
	v_add_f64 v[129:130], v[129:130], v[145:146]
	s_clause 0x4
	buffer_load_dword v146, off, s[0:3], 0 offset:892
	buffer_load_dword v167, off, s[0:3], 0 offset:904
	;; [unrolled: 1-line block ×5, first 2 shown]
	ds_read_b128 v[5:8], v186 offset:1584
	s_waitcnt vmcnt(57) lgkmcnt(1)
	v_mul_f64 v[207:208], v[125:126], v[159:160]
	v_mul_f64 v[159:160], v[127:128], v[159:160]
	s_waitcnt vmcnt(56)
	v_fma_f64 v[175:176], v[1:2], v[177:178], -v[175:176]
	v_add_f64 v[131:132], v[131:132], v[151:152]
	v_fma_f64 v[151:152], v[3:4], v[177:178], v[169:170]
	v_add_f64 v[129:130], v[129:130], v[155:156]
	s_clause 0x2
	buffer_load_dword v168, off, s[0:3], 0 offset:908
	buffer_load_dword v156, off, s[0:3], 0 offset:884
	;; [unrolled: 1-line block ×3, first 2 shown]
	ds_read_b128 v[1:4], v186 offset:1600
	s_waitcnt vmcnt(58) lgkmcnt(1)
	v_mul_f64 v[177:178], v[7:8], v[181:182]
	v_mul_f64 v[169:170], v[5:6], v[181:182]
	s_waitcnt vmcnt(56)
	v_fma_f64 v[159:160], v[125:126], v[163:164], -v[159:160]
	v_fma_f64 v[163:164], v[127:128], v[163:164], v[207:208]
	v_add_f64 v[131:132], v[131:132], v[175:176]
	v_add_f64 v[129:130], v[129:130], v[151:152]
	s_clause 0x4
	buffer_load_dword v152, off, s[0:3], 0 offset:924
	buffer_load_dword v175, off, s[0:3], 0 offset:936
	;; [unrolled: 1-line block ×5, first 2 shown]
	ds_read_b128 v[125:128], v186 offset:1616
	s_waitcnt vmcnt(57) lgkmcnt(1)
	v_mul_f64 v[207:208], v[1:2], v[165:166]
	v_mul_f64 v[165:166], v[3:4], v[165:166]
	s_waitcnt vmcnt(56)
	v_fma_f64 v[177:178], v[5:6], v[183:184], -v[177:178]
	v_add_f64 v[131:132], v[131:132], v[159:160]
	v_fma_f64 v[159:160], v[7:8], v[183:184], v[169:170]
	v_add_f64 v[129:130], v[129:130], v[163:164]
	s_clause 0x2
	buffer_load_dword v176, off, s[0:3], 0 offset:940
	buffer_load_dword v164, off, s[0:3], 0 offset:916
	;; [unrolled: 1-line block ×3, first 2 shown]
	ds_read_b128 v[5:8], v186 offset:1632
	buffer_load_dword v182, off, s[0:3], 0 offset:932
	s_waitcnt vmcnt(59) lgkmcnt(1)
	v_mul_f64 v[169:170], v[125:126], v[171:172]
	v_mul_f64 v[171:172], v[127:128], v[171:172]
	s_waitcnt vmcnt(57)
	v_fma_f64 v[165:166], v[1:2], v[133:134], -v[165:166]
	v_fma_f64 v[133:134], v[3:4], v[133:134], v[207:208]
	ds_read_b128 v[1:4], v186 offset:1648
	v_add_f64 v[131:132], v[131:132], v[177:178]
	v_add_f64 v[129:130], v[129:130], v[159:160]
	s_waitcnt vmcnt(53) lgkmcnt(1)
	v_mul_f64 v[159:160], v[5:6], v[173:174]
	v_mul_f64 v[173:174], v[7:8], v[173:174]
	s_waitcnt vmcnt(52)
	v_fma_f64 v[171:172], v[125:126], v[195:196], -v[171:172]
	v_add_f64 v[131:132], v[131:132], v[165:166]
	v_fma_f64 v[165:166], v[127:128], v[195:196], v[169:170]
	v_add_f64 v[129:130], v[129:130], v[133:134]
	ds_read_b128 v[125:128], v186 offset:1664
	s_waitcnt vmcnt(51) lgkmcnt(1)
	v_mul_f64 v[169:170], v[3:4], v[189:190]
	v_mul_f64 v[133:134], v[1:2], v[189:190]
	s_waitcnt vmcnt(49)
	v_fma_f64 v[173:174], v[5:6], v[179:180], -v[173:174]
	v_fma_f64 v[159:160], v[7:8], v[179:180], v[159:160]
	v_add_f64 v[131:132], v[131:132], v[171:172]
	v_add_f64 v[129:130], v[129:130], v[165:166]
	s_clause 0x3
	buffer_load_dword v165, off, s[0:3], 0 offset:176
	buffer_load_dword v166, off, s[0:3], 0 offset:180
	;; [unrolled: 1-line block ×4, first 2 shown]
	ds_read_b128 v[5:8], v186 offset:1680
	s_waitcnt vmcnt(49) lgkmcnt(1)
	v_mul_f64 v[177:178], v[125:126], v[137:138]
	v_mul_f64 v[137:138], v[127:128], v[137:138]
	s_waitcnt vmcnt(48)
	v_fma_f64 v[169:170], v[1:2], v[199:200], -v[169:170]
	v_fma_f64 v[133:134], v[3:4], v[199:200], v[133:134]
	ds_read_b128 v[1:4], v186 offset:1696
	v_add_f64 v[131:132], v[131:132], v[173:174]
	v_add_f64 v[129:130], v[129:130], v[159:160]
	s_waitcnt vmcnt(47) lgkmcnt(1)
	v_mul_f64 v[173:174], v[7:8], v[197:198]
	v_mul_f64 v[159:160], v[5:6], v[197:198]
	s_waitcnt vmcnt(45)
	v_fma_f64 v[137:138], v[125:126], v[143:144], -v[137:138]
	v_fma_f64 v[143:144], v[127:128], v[143:144], v[177:178]
	ds_read_b128 v[125:128], v186 offset:1712
	v_add_f64 v[131:132], v[131:132], v[169:170]
	v_add_f64 v[129:130], v[129:130], v[133:134]
	s_waitcnt vmcnt(41) lgkmcnt(1)
	v_mul_f64 v[133:134], v[1:2], v[149:150]
	v_mul_f64 v[149:150], v[3:4], v[149:150]
	s_waitcnt vmcnt(40)
	v_fma_f64 v[169:170], v[5:6], v[203:204], -v[173:174]
	v_add_f64 v[131:132], v[131:132], v[137:138]
	v_fma_f64 v[137:138], v[7:8], v[203:204], v[159:160]
	v_add_f64 v[129:130], v[129:130], v[143:144]
	ds_read_b128 v[5:8], v186 offset:1728
	s_waitcnt vmcnt(39) lgkmcnt(1)
	v_mul_f64 v[159:160], v[127:128], v[191:192]
	v_mul_f64 v[143:144], v[125:126], v[191:192]
	s_waitcnt vmcnt(37)
	v_fma_f64 v[149:150], v[1:2], v[141:142], -v[149:150]
	v_fma_f64 v[133:134], v[3:4], v[141:142], v[133:134]
	ds_read_b128 v[1:4], v186 offset:1744
	v_add_f64 v[131:132], v[131:132], v[169:170]
	v_add_f64 v[129:130], v[129:130], v[137:138]
	s_waitcnt vmcnt(33) lgkmcnt(1)
	v_mul_f64 v[137:138], v[5:6], v[135:136]
	v_mul_f64 v[135:136], v[7:8], v[135:136]
	s_waitcnt vmcnt(32)
	v_fma_f64 v[141:142], v[125:126], v[205:206], -v[159:160]
	v_fma_f64 v[143:144], v[127:128], v[205:206], v[143:144]
	ds_read_b128 v[125:128], v186 offset:1760
	v_add_f64 v[131:132], v[131:132], v[149:150]
	v_add_f64 v[129:130], v[129:130], v[133:134]
	;; [unrolled: 9-line block ×5, first 2 shown]
	s_waitcnt vmcnt(17) lgkmcnt(1)
	v_mul_f64 v[143:144], v[3:4], v[145:146]
	s_waitcnt vmcnt(16)
	v_fma_f64 v[137:138], v[5:6], v[193:194], -v[137:138]
	v_mul_f64 v[133:134], v[1:2], v[145:146]
	v_fma_f64 v[135:136], v[7:8], v[193:194], v[135:136]
	ds_read_b128 v[5:8], v186 offset:1824
	v_add_f64 v[131:132], v[131:132], v[139:140]
	v_add_f64 v[129:130], v[129:130], v[141:142]
	s_waitcnt vmcnt(15) lgkmcnt(1)
	v_mul_f64 v[141:142], v[127:128], v[167:168]
	v_mul_f64 v[139:140], v[125:126], v[167:168]
	s_waitcnt vmcnt(13)
	v_fma_f64 v[143:144], v[1:2], v[155:156], -v[143:144]
	v_fma_f64 v[133:134], v[3:4], v[155:156], v[133:134]
	ds_read_b128 v[1:4], v186 offset:1840
	v_add_f64 v[131:132], v[131:132], v[137:138]
	v_add_f64 v[129:130], v[129:130], v[135:136]
	s_waitcnt vmcnt(9) lgkmcnt(1)
	v_mul_f64 v[137:138], v[7:8], v[151:152]
	s_waitcnt vmcnt(8)
	v_fma_f64 v[125:126], v[125:126], v[187:188], -v[141:142]
	v_mul_f64 v[135:136], v[5:6], v[151:152]
	v_fma_f64 v[127:128], v[127:128], v[187:188], v[139:140]
	v_add_f64 v[131:132], v[131:132], v[143:144]
	v_add_f64 v[129:130], v[129:130], v[133:134]
	s_waitcnt vmcnt(7) lgkmcnt(0)
	v_mul_f64 v[139:140], v[3:4], v[175:176]
	v_mul_f64 v[133:134], v[1:2], v[175:176]
	s_waitcnt vmcnt(5)
	v_fma_f64 v[5:6], v[5:6], v[163:164], -v[137:138]
	v_fma_f64 v[7:8], v[7:8], v[163:164], v[135:136]
	v_add_f64 v[125:126], v[131:132], v[125:126]
	v_add_f64 v[127:128], v[129:130], v[127:128]
	s_waitcnt vmcnt(4)
	v_fma_f64 v[1:2], v[1:2], v[181:182], -v[139:140]
	v_fma_f64 v[3:4], v[3:4], v[181:182], v[133:134]
	v_add_f64 v[5:6], v[125:126], v[5:6]
	v_add_f64 v[7:8], v[127:128], v[7:8]
	;; [unrolled: 1-line block ×4, first 2 shown]
	s_waitcnt vmcnt(2)
	v_add_f64 v[1:2], v[165:166], -v[1:2]
	s_waitcnt vmcnt(0)
	v_add_f64 v[3:4], v[171:172], -v[3:4]
	buffer_store_dword v2, off, s[0:3], 0 offset:180
	buffer_store_dword v1, off, s[0:3], 0 offset:176
	;; [unrolled: 1-line block ×4, first 2 shown]
	v_cmpx_lt_u32_e32 9, v0
	s_cbranch_execz .LBB121_343
; %bb.342:
	v_mov_b32_e32 v4, s61
	s_clause 0x3
	buffer_load_dword v1, v4, s[0:3], 0 offen
	buffer_load_dword v2, v4, s[0:3], 0 offen offset:4
	buffer_load_dword v3, v4, s[0:3], 0 offen offset:8
	;; [unrolled: 1-line block ×3, first 2 shown]
	buffer_store_dword v186, off, s[0:3], 0 offset:160
	buffer_store_dword v186, off, s[0:3], 0 offset:164
	;; [unrolled: 1-line block ×4, first 2 shown]
	s_waitcnt vmcnt(0)
	ds_write_b128 v185, v[1:4]
.LBB121_343:
	s_or_b32 exec_lo, exec_lo, s4
	s_waitcnt lgkmcnt(0)
	s_waitcnt_vscnt null, 0x0
	s_barrier
	buffer_gl0_inv
	s_clause 0x37
	buffer_load_dword v133, off, s[0:3], 0 offset:184
	buffer_load_dword v134, off, s[0:3], 0 offset:188
	;; [unrolled: 1-line block ×56, first 2 shown]
	ds_read_b128 v[5:8], v186 offset:1088
	s_clause 0x2
	buffer_load_dword v182, off, s[0:3], 0 offset:412
	buffer_load_dword v184, off, s[0:3], 0 offset:388
	;; [unrolled: 1-line block ×3, first 2 shown]
	ds_read_b128 v[1:4], v186 offset:1104
	s_clause 0x4
	buffer_load_dword v194, off, s[0:3], 0 offset:428
	buffer_load_dword v195, off, s[0:3], 0 offset:440
	;; [unrolled: 1-line block ×5, first 2 shown]
	ds_read_b128 v[187:190], v186 offset:1120
	s_mov_b32 s4, exec_lo
	s_waitcnt vmcnt(62) lgkmcnt(2)
	v_mul_f64 v[191:192], v[7:8], v[133:134]
	v_mul_f64 v[133:134], v[5:6], v[133:134]
	s_waitcnt vmcnt(60) lgkmcnt(1)
	v_mul_f64 v[198:199], v[3:4], v[129:130]
	v_mul_f64 v[129:130], v[1:2], v[129:130]
	;; [unrolled: 3-line block ×3, first 2 shown]
	v_fma_f64 v[191:192], v[5:6], v[131:132], -v[191:192]
	v_fma_f64 v[131:132], v[7:8], v[131:132], v[133:134]
	s_clause 0x2
	buffer_load_dword v196, off, s[0:3], 0 offset:444
	buffer_load_dword v134, off, s[0:3], 0 offset:420
	buffer_load_dword v133, off, s[0:3], 0 offset:416
	s_waitcnt vmcnt(57)
	v_fma_f64 v[202:203], v[1:2], v[125:126], -v[198:199]
	ds_read_b128 v[5:8], v186 offset:1136
	v_fma_f64 v[125:126], v[3:4], v[125:126], v[129:130]
	s_waitcnt vmcnt(51)
	v_fma_f64 v[187:188], v[187:188], v[149:150], -v[127:128]
	v_fma_f64 v[149:150], v[189:190], v[149:150], v[200:201]
	v_add_f64 v[191:192], v[191:192], 0
	v_add_f64 v[129:130], v[131:132], 0
	s_clause 0x4
	buffer_load_dword v132, off, s[0:3], 0 offset:460
	buffer_load_dword v199, off, s[0:3], 0 offset:472
	;; [unrolled: 1-line block ×5, first 2 shown]
	s_waitcnt lgkmcnt(0)
	v_mul_f64 v[205:206], v[5:6], v[137:138]
	v_mul_f64 v[137:138], v[7:8], v[137:138]
	ds_read_b128 v[1:4], v186 offset:1152
	s_clause 0x2
	buffer_load_dword v200, off, s[0:3], 0 offset:476
	buffer_load_dword v190, off, s[0:3], 0 offset:452
	;; [unrolled: 1-line block ×3, first 2 shown]
	v_add_f64 v[191:192], v[191:192], v[202:203]
	v_add_f64 v[129:130], v[129:130], v[125:126]
	ds_read_b128 v[125:128], v186 offset:1168
	s_waitcnt vmcnt(58) lgkmcnt(1)
	v_mul_f64 v[201:202], v[1:2], v[141:142]
	v_mul_f64 v[141:142], v[3:4], v[141:142]
	s_waitcnt vmcnt(56)
	v_fma_f64 v[137:138], v[5:6], v[143:144], -v[137:138]
	v_fma_f64 v[143:144], v[7:8], v[143:144], v[205:206]
	s_waitcnt vmcnt(52) lgkmcnt(0)
	v_mul_f64 v[207:208], v[125:126], v[145:146]
	v_add_f64 v[187:188], v[191:192], v[187:188]
	v_add_f64 v[129:130], v[129:130], v[149:150]
	s_clause 0x4
	buffer_load_dword v150, off, s[0:3], 0 offset:492
	buffer_load_dword v191, off, s[0:3], 0 offset:504
	;; [unrolled: 1-line block ×5, first 2 shown]
	v_mul_f64 v[145:146], v[127:128], v[145:146]
	s_waitcnt vmcnt(56)
	v_fma_f64 v[141:142], v[1:2], v[135:136], -v[141:142]
	ds_read_b128 v[5:8], v186 offset:1184
	v_fma_f64 v[135:136], v[3:4], v[135:136], v[201:202]
	v_add_f64 v[137:138], v[187:188], v[137:138]
	v_add_f64 v[129:130], v[129:130], v[143:144]
	s_clause 0x2
	buffer_load_dword v192, off, s[0:3], 0 offset:508
	buffer_load_dword v144, off, s[0:3], 0 offset:484
	;; [unrolled: 1-line block ×3, first 2 shown]
	s_waitcnt vmcnt(58) lgkmcnt(0)
	v_mul_f64 v[187:188], v[5:6], v[151:152]
	v_mul_f64 v[151:152], v[7:8], v[151:152]
	s_waitcnt vmcnt(56)
	v_fma_f64 v[145:146], v[125:126], v[153:154], -v[145:146]
	ds_read_b128 v[1:4], v186 offset:1200
	v_add_f64 v[137:138], v[137:138], v[141:142]
	v_fma_f64 v[141:142], v[127:128], v[153:154], v[207:208]
	v_add_f64 v[129:130], v[129:130], v[135:136]
	s_clause 0x4
	buffer_load_dword v136, off, s[0:3], 0 offset:524
	buffer_load_dword v153, off, s[0:3], 0 offset:536
	;; [unrolled: 1-line block ×5, first 2 shown]
	s_waitcnt vmcnt(57) lgkmcnt(0)
	v_mul_f64 v[202:203], v[1:2], v[155:156]
	v_mul_f64 v[155:156], v[3:4], v[155:156]
	s_waitcnt vmcnt(56)
	v_fma_f64 v[151:152], v[5:6], v[139:140], -v[151:152]
	ds_read_b128 v[125:128], v186 offset:1216
	v_fma_f64 v[139:140], v[7:8], v[139:140], v[187:188]
	v_add_f64 v[137:138], v[137:138], v[145:146]
	v_add_f64 v[129:130], v[129:130], v[141:142]
	s_clause 0x2
	buffer_load_dword v154, off, s[0:3], 0 offset:540
	buffer_load_dword v142, off, s[0:3], 0 offset:516
	;; [unrolled: 1-line block ×3, first 2 shown]
	ds_read_b128 v[5:8], v186 offset:1232
	s_waitcnt vmcnt(58) lgkmcnt(1)
	v_mul_f64 v[145:146], v[125:126], v[159:160]
	v_mul_f64 v[159:160], v[127:128], v[159:160]
	s_waitcnt vmcnt(56)
	v_fma_f64 v[155:156], v[1:2], v[161:162], -v[155:156]
	v_add_f64 v[137:138], v[137:138], v[151:152]
	v_fma_f64 v[151:152], v[3:4], v[161:162], v[202:203]
	v_add_f64 v[129:130], v[129:130], v[139:140]
	s_clause 0x4
	buffer_load_dword v140, off, s[0:3], 0 offset:556
	buffer_load_dword v161, off, s[0:3], 0 offset:568
	;; [unrolled: 1-line block ×5, first 2 shown]
	s_waitcnt vmcnt(57) lgkmcnt(0)
	v_mul_f64 v[208:209], v[5:6], v[163:164]
	v_mul_f64 v[163:164], v[7:8], v[163:164]
	s_waitcnt vmcnt(56)
	v_fma_f64 v[159:160], v[125:126], v[147:148], -v[159:160]
	ds_read_b128 v[1:4], v186 offset:1248
	v_fma_f64 v[145:146], v[127:128], v[147:148], v[145:146]
	s_clause 0x2
	buffer_load_dword v162, off, s[0:3], 0 offset:572
	buffer_load_dword v148, off, s[0:3], 0 offset:548
	;; [unrolled: 1-line block ×3, first 2 shown]
	ds_read_b128 v[125:128], v186 offset:1264
	v_add_f64 v[137:138], v[137:138], v[155:156]
	v_add_f64 v[129:130], v[129:130], v[151:152]
	s_waitcnt vmcnt(58) lgkmcnt(1)
	v_mul_f64 v[155:156], v[3:4], v[167:168]
	s_waitcnt vmcnt(56)
	v_fma_f64 v[163:164], v[5:6], v[169:170], -v[163:164]
	v_mul_f64 v[151:152], v[1:2], v[167:168]
	v_add_f64 v[137:138], v[137:138], v[159:160]
	v_fma_f64 v[159:160], v[7:8], v[169:170], v[208:209]
	v_add_f64 v[129:130], v[129:130], v[145:146]
	s_clause 0x4
	buffer_load_dword v146, off, s[0:3], 0 offset:588
	buffer_load_dword v167, off, s[0:3], 0 offset:600
	;; [unrolled: 1-line block ×5, first 2 shown]
	s_waitcnt vmcnt(57) lgkmcnt(0)
	v_mul_f64 v[208:209], v[125:126], v[171:172]
	v_mul_f64 v[170:171], v[127:128], v[171:172]
	s_waitcnt vmcnt(56)
	v_fma_f64 v[155:156], v[1:2], v[157:158], -v[155:156]
	ds_read_b128 v[5:8], v186 offset:1280
	v_fma_f64 v[151:152], v[3:4], v[157:158], v[151:152]
	s_clause 0x2
	buffer_load_dword v168, off, s[0:3], 0 offset:604
	buffer_load_dword v158, off, s[0:3], 0 offset:580
	;; [unrolled: 1-line block ×3, first 2 shown]
	ds_read_b128 v[1:4], v186 offset:1296
	v_add_f64 v[137:138], v[137:138], v[163:164]
	v_add_f64 v[129:130], v[129:130], v[159:160]
	s_waitcnt vmcnt(58) lgkmcnt(1)
	v_mul_f64 v[163:164], v[7:8], v[175:176]
	s_waitcnt vmcnt(56)
	v_fma_f64 v[171:172], v[125:126], v[177:178], -v[170:171]
	v_mul_f64 v[159:160], v[5:6], v[175:176]
	v_add_f64 v[137:138], v[137:138], v[155:156]
	v_fma_f64 v[155:156], v[127:128], v[177:178], v[208:209]
	v_add_f64 v[129:130], v[129:130], v[151:152]
	s_clause 0x4
	buffer_load_dword v152, off, s[0:3], 0 offset:620
	buffer_load_dword v175, off, s[0:3], 0 offset:632
	;; [unrolled: 1-line block ×5, first 2 shown]
	s_waitcnt vmcnt(57) lgkmcnt(0)
	v_mul_f64 v[208:209], v[1:2], v[179:180]
	v_mul_f64 v[178:179], v[3:4], v[179:180]
	s_waitcnt vmcnt(56)
	v_fma_f64 v[163:164], v[5:6], v[165:166], -v[163:164]
	ds_read_b128 v[125:128], v186 offset:1312
	v_fma_f64 v[159:160], v[7:8], v[165:166], v[159:160]
	v_add_f64 v[137:138], v[137:138], v[171:172]
	v_add_f64 v[129:130], v[129:130], v[155:156]
	s_clause 0x2
	buffer_load_dword v176, off, s[0:3], 0 offset:636
	buffer_load_dword v156, off, s[0:3], 0 offset:612
	;; [unrolled: 1-line block ×3, first 2 shown]
	ds_read_b128 v[5:8], v186 offset:1328
	s_waitcnt vmcnt(58) lgkmcnt(1)
	v_mul_f64 v[171:172], v[127:128], v[181:182]
	s_waitcnt vmcnt(56)
	v_fma_f64 v[179:180], v[1:2], v[183:184], -v[178:179]
	v_mul_f64 v[165:166], v[125:126], v[181:182]
	v_add_f64 v[137:138], v[137:138], v[163:164]
	v_fma_f64 v[163:164], v[3:4], v[183:184], v[208:209]
	v_add_f64 v[129:130], v[129:130], v[159:160]
	s_clause 0x4
	buffer_load_dword v160, off, s[0:3], 0 offset:652
	buffer_load_dword v181, off, s[0:3], 0 offset:664
	;; [unrolled: 1-line block ×5, first 2 shown]
	s_waitcnt vmcnt(57) lgkmcnt(0)
	v_mul_f64 v[208:209], v[5:6], v[193:194]
	v_mul_f64 v[193:194], v[7:8], v[193:194]
	s_waitcnt vmcnt(56)
	v_fma_f64 v[171:172], v[125:126], v[173:174], -v[171:172]
	ds_read_b128 v[1:4], v186 offset:1344
	v_fma_f64 v[165:166], v[127:128], v[173:174], v[165:166]
	v_add_f64 v[137:138], v[137:138], v[179:180]
	v_add_f64 v[129:130], v[129:130], v[163:164]
	s_clause 0x2
	buffer_load_dword v182, off, s[0:3], 0 offset:668
	buffer_load_dword v164, off, s[0:3], 0 offset:644
	;; [unrolled: 1-line block ×3, first 2 shown]
	ds_read_b128 v[125:128], v186 offset:1360
	s_waitcnt vmcnt(58) lgkmcnt(1)
	v_mul_f64 v[179:180], v[3:4], v[195:196]
	v_mul_f64 v[173:174], v[1:2], v[195:196]
	s_waitcnt vmcnt(56)
	v_fma_f64 v[193:194], v[5:6], v[133:134], -v[193:194]
	v_fma_f64 v[133:134], v[7:8], v[133:134], v[208:209]
	v_add_f64 v[137:138], v[137:138], v[171:172]
	v_add_f64 v[129:130], v[129:130], v[165:166]
	s_clause 0x4
	buffer_load_dword v166, off, s[0:3], 0 offset:684
	buffer_load_dword v171, off, s[0:3], 0 offset:696
	;; [unrolled: 1-line block ×5, first 2 shown]
	ds_read_b128 v[5:8], v186 offset:1376
	s_waitcnt vmcnt(57) lgkmcnt(1)
	v_mul_f64 v[208:209], v[125:126], v[131:132]
	v_mul_f64 v[131:132], v[127:128], v[131:132]
	s_waitcnt vmcnt(56)
	v_fma_f64 v[179:180], v[1:2], v[197:198], -v[179:180]
	v_fma_f64 v[173:174], v[3:4], v[197:198], v[173:174]
	v_add_f64 v[137:138], v[137:138], v[193:194]
	v_add_f64 v[129:130], v[129:130], v[133:134]
	s_clause 0x2
	buffer_load_dword v172, off, s[0:3], 0 offset:700
	buffer_load_dword v134, off, s[0:3], 0 offset:676
	;; [unrolled: 1-line block ×3, first 2 shown]
	s_waitcnt vmcnt(58) lgkmcnt(0)
	v_mul_f64 v[197:198], v[7:8], v[199:200]
	ds_read_b128 v[1:4], v186 offset:1392
	v_mul_f64 v[193:194], v[5:6], v[199:200]
	s_waitcnt vmcnt(56)
	v_fma_f64 v[131:132], v[125:126], v[189:190], -v[131:132]
	v_add_f64 v[137:138], v[137:138], v[179:180]
	v_fma_f64 v[179:180], v[127:128], v[189:190], v[208:209]
	v_add_f64 v[129:130], v[129:130], v[173:174]
	s_clause 0x4
	buffer_load_dword v174, off, s[0:3], 0 offset:716
	buffer_load_dword v189, off, s[0:3], 0 offset:728
	;; [unrolled: 1-line block ×5, first 2 shown]
	ds_read_b128 v[125:128], v186 offset:1408
	s_waitcnt vmcnt(57) lgkmcnt(1)
	v_mul_f64 v[208:209], v[1:2], v[149:150]
	v_mul_f64 v[149:150], v[3:4], v[149:150]
	s_waitcnt vmcnt(56)
	v_fma_f64 v[197:198], v[5:6], v[204:205], -v[197:198]
	v_add_f64 v[131:132], v[137:138], v[131:132]
	v_fma_f64 v[137:138], v[7:8], v[204:205], v[193:194]
	v_add_f64 v[129:130], v[129:130], v[179:180]
	s_clause 0x2
	buffer_load_dword v190, off, s[0:3], 0 offset:732
	buffer_load_dword v180, off, s[0:3], 0 offset:708
	;; [unrolled: 1-line block ×3, first 2 shown]
	ds_read_b128 v[5:8], v186 offset:1424
	s_waitcnt vmcnt(58) lgkmcnt(1)
	v_mul_f64 v[193:194], v[125:126], v[191:192]
	v_mul_f64 v[191:192], v[127:128], v[191:192]
	s_waitcnt vmcnt(56)
	v_fma_f64 v[149:150], v[1:2], v[143:144], -v[149:150]
	v_fma_f64 v[143:144], v[3:4], v[143:144], v[208:209]
	v_add_f64 v[131:132], v[131:132], v[197:198]
	v_add_f64 v[129:130], v[129:130], v[137:138]
	s_clause 0x4
	buffer_load_dword v138, off, s[0:3], 0 offset:748
	buffer_load_dword v197, off, s[0:3], 0 offset:760
	;; [unrolled: 1-line block ×5, first 2 shown]
	ds_read_b128 v[1:4], v186 offset:1440
	s_waitcnt vmcnt(57) lgkmcnt(1)
	v_mul_f64 v[204:205], v[5:6], v[135:136]
	v_mul_f64 v[135:136], v[7:8], v[135:136]
	s_waitcnt vmcnt(56)
	v_fma_f64 v[191:192], v[125:126], v[206:207], -v[191:192]
	v_add_f64 v[131:132], v[131:132], v[149:150]
	v_fma_f64 v[149:150], v[127:128], v[206:207], v[193:194]
	v_add_f64 v[129:130], v[129:130], v[143:144]
	s_clause 0x2
	buffer_load_dword v198, off, s[0:3], 0 offset:764
	buffer_load_dword v144, off, s[0:3], 0 offset:740
	;; [unrolled: 1-line block ×3, first 2 shown]
	ds_read_b128 v[125:128], v186 offset:1456
	s_waitcnt vmcnt(58) lgkmcnt(1)
	v_mul_f64 v[193:194], v[1:2], v[153:154]
	v_mul_f64 v[153:154], v[3:4], v[153:154]
	s_waitcnt vmcnt(56)
	v_fma_f64 v[135:136], v[5:6], v[141:142], -v[135:136]
	v_fma_f64 v[141:142], v[7:8], v[141:142], v[204:205]
	v_add_f64 v[131:132], v[131:132], v[191:192]
	v_add_f64 v[129:130], v[129:130], v[149:150]
	s_clause 0x4
	buffer_load_dword v150, off, s[0:3], 0 offset:780
	buffer_load_dword v191, off, s[0:3], 0 offset:792
	;; [unrolled: 1-line block ×5, first 2 shown]
	ds_read_b128 v[5:8], v186 offset:1472
	s_waitcnt vmcnt(57) lgkmcnt(1)
	v_mul_f64 v[206:207], v[125:126], v[139:140]
	v_mul_f64 v[139:140], v[127:128], v[139:140]
	s_waitcnt vmcnt(56)
	v_fma_f64 v[153:154], v[1:2], v[201:202], -v[153:154]
	v_add_f64 v[131:132], v[131:132], v[135:136]
	v_fma_f64 v[135:136], v[3:4], v[201:202], v[193:194]
	v_add_f64 v[129:130], v[129:130], v[141:142]
	s_clause 0x2
	buffer_load_dword v192, off, s[0:3], 0 offset:796
	buffer_load_dword v142, off, s[0:3], 0 offset:772
	;; [unrolled: 1-line block ×3, first 2 shown]
	s_waitcnt vmcnt(58) lgkmcnt(0)
	v_mul_f64 v[193:194], v[5:6], v[161:162]
	v_mul_f64 v[161:162], v[7:8], v[161:162]
	ds_read_b128 v[1:4], v186 offset:1488
	s_waitcnt vmcnt(56)
	v_fma_f64 v[139:140], v[125:126], v[147:148], -v[139:140]
	v_fma_f64 v[147:148], v[127:128], v[147:148], v[206:207]
	v_add_f64 v[131:132], v[131:132], v[153:154]
	v_add_f64 v[129:130], v[129:130], v[135:136]
	s_clause 0x4
	buffer_load_dword v136, off, s[0:3], 0 offset:812
	buffer_load_dword v153, off, s[0:3], 0 offset:824
	;; [unrolled: 1-line block ×5, first 2 shown]
	ds_read_b128 v[125:128], v186 offset:1504
	s_waitcnt vmcnt(57) lgkmcnt(1)
	v_mul_f64 v[207:208], v[1:2], v[145:146]
	v_mul_f64 v[145:146], v[3:4], v[145:146]
	s_waitcnt vmcnt(56)
	v_fma_f64 v[161:162], v[5:6], v[187:188], -v[161:162]
	v_add_f64 v[131:132], v[131:132], v[139:140]
	v_fma_f64 v[139:140], v[7:8], v[187:188], v[193:194]
	v_add_f64 v[129:130], v[129:130], v[147:148]
	s_clause 0x2
	buffer_load_dword v154, off, s[0:3], 0 offset:828
	buffer_load_dword v148, off, s[0:3], 0 offset:804
	;; [unrolled: 1-line block ×3, first 2 shown]
	s_waitcnt vmcnt(58) lgkmcnt(0)
	v_mul_f64 v[187:188], v[125:126], v[167:168]
	v_mul_f64 v[167:168], v[127:128], v[167:168]
	ds_read_b128 v[5:8], v186 offset:1520
	s_waitcnt vmcnt(56)
	v_fma_f64 v[145:146], v[1:2], v[157:158], -v[145:146]
	v_fma_f64 v[157:158], v[3:4], v[157:158], v[207:208]
	v_add_f64 v[131:132], v[131:132], v[161:162]
	v_add_f64 v[129:130], v[129:130], v[139:140]
	s_clause 0x4
	buffer_load_dword v140, off, s[0:3], 0 offset:844
	buffer_load_dword v161, off, s[0:3], 0 offset:856
	buffer_load_dword v193, off, s[0:3], 0 offset:848
	buffer_load_dword v139, off, s[0:3], 0 offset:840
	buffer_load_dword v202, off, s[0:3], 0 offset:820
	ds_read_b128 v[1:4], v186 offset:1536
	s_waitcnt vmcnt(57) lgkmcnt(1)
	v_mul_f64 v[207:208], v[5:6], v[151:152]
	v_mul_f64 v[151:152], v[7:8], v[151:152]
	s_waitcnt vmcnt(56)
	v_fma_f64 v[167:168], v[125:126], v[169:170], -v[167:168]
	v_add_f64 v[131:132], v[131:132], v[145:146]
	v_fma_f64 v[145:146], v[127:128], v[169:170], v[187:188]
	v_add_f64 v[129:130], v[129:130], v[157:158]
	s_clause 0x2
	buffer_load_dword v162, off, s[0:3], 0 offset:860
	buffer_load_dword v158, off, s[0:3], 0 offset:836
	buffer_load_dword v157, off, s[0:3], 0 offset:832
	ds_read_b128 v[125:128], v186 offset:1552
	s_waitcnt vmcnt(58) lgkmcnt(1)
	v_mul_f64 v[169:170], v[1:2], v[175:176]
	v_mul_f64 v[175:176], v[3:4], v[175:176]
	s_waitcnt vmcnt(56)
	v_fma_f64 v[151:152], v[5:6], v[155:156], -v[151:152]
	v_fma_f64 v[155:156], v[7:8], v[155:156], v[207:208]
	v_add_f64 v[131:132], v[131:132], v[167:168]
	v_add_f64 v[129:130], v[129:130], v[145:146]
	s_clause 0x4
	buffer_load_dword v146, off, s[0:3], 0 offset:876
	buffer_load_dword v167, off, s[0:3], 0 offset:888
	buffer_load_dword v187, off, s[0:3], 0 offset:880
	buffer_load_dword v145, off, s[0:3], 0 offset:872
	buffer_load_dword v194, off, s[0:3], 0 offset:852
	ds_read_b128 v[5:8], v186 offset:1568
	s_waitcnt vmcnt(57) lgkmcnt(1)
	v_mul_f64 v[207:208], v[125:126], v[159:160]
	v_mul_f64 v[159:160], v[127:128], v[159:160]
	s_waitcnt vmcnt(56)
	v_fma_f64 v[175:176], v[1:2], v[177:178], -v[175:176]
	v_add_f64 v[131:132], v[131:132], v[151:152]
	v_fma_f64 v[151:152], v[3:4], v[177:178], v[169:170]
	v_add_f64 v[129:130], v[129:130], v[155:156]
	s_clause 0x2
	buffer_load_dword v168, off, s[0:3], 0 offset:892
	buffer_load_dword v156, off, s[0:3], 0 offset:868
	buffer_load_dword v155, off, s[0:3], 0 offset:864
	ds_read_b128 v[1:4], v186 offset:1584
	s_waitcnt vmcnt(58) lgkmcnt(1)
	v_mul_f64 v[177:178], v[7:8], v[181:182]
	v_mul_f64 v[169:170], v[5:6], v[181:182]
	;; [unrolled: 28-line block ×3, first 2 shown]
	s_waitcnt vmcnt(56)
	v_fma_f64 v[165:166], v[1:2], v[133:134], -v[165:166]
	v_fma_f64 v[133:134], v[3:4], v[133:134], v[207:208]
	v_add_f64 v[131:132], v[131:132], v[177:178]
	v_add_f64 v[129:130], v[129:130], v[159:160]
	s_clause 0x2
	buffer_load_dword v160, off, s[0:3], 0 offset:940
	buffer_load_dword v159, off, s[0:3], 0 offset:936
	;; [unrolled: 1-line block ×3, first 2 shown]
	ds_read_b128 v[1:4], v186 offset:1632
	s_waitcnt vmcnt(55) lgkmcnt(1)
	v_mul_f64 v[177:178], v[5:6], v[173:174]
	v_mul_f64 v[173:174], v[7:8], v[173:174]
	s_waitcnt vmcnt(54)
	v_fma_f64 v[171:172], v[125:126], v[195:196], -v[171:172]
	v_add_f64 v[131:132], v[131:132], v[165:166]
	v_fma_f64 v[165:166], v[127:128], v[195:196], v[169:170]
	v_add_f64 v[129:130], v[129:130], v[133:134]
	s_clause 0x1
	buffer_load_dword v134, off, s[0:3], 0 offset:932
	buffer_load_dword v133, off, s[0:3], 0 offset:928
	ds_read_b128 v[125:128], v186 offset:1648
	s_waitcnt vmcnt(55) lgkmcnt(1)
	v_mul_f64 v[183:184], v[3:4], v[189:190]
	v_mul_f64 v[169:170], v[1:2], v[189:190]
	s_waitcnt vmcnt(53)
	v_fma_f64 v[173:174], v[5:6], v[179:180], -v[173:174]
	v_add_f64 v[131:132], v[131:132], v[171:172]
	v_fma_f64 v[171:172], v[7:8], v[179:180], v[177:178]
	v_add_f64 v[129:130], v[129:130], v[165:166]
	ds_read_b128 v[5:8], v186 offset:1664
	s_waitcnt vmcnt(49) lgkmcnt(1)
	v_mul_f64 v[165:166], v[125:126], v[137:138]
	v_mul_f64 v[137:138], v[127:128], v[137:138]
	s_waitcnt vmcnt(48)
	v_fma_f64 v[177:178], v[1:2], v[199:200], -v[183:184]
	v_fma_f64 v[169:170], v[3:4], v[199:200], v[169:170]
	v_add_f64 v[131:132], v[131:132], v[173:174]
	v_add_f64 v[129:130], v[129:130], v[171:172]
	s_clause 0x3
	buffer_load_dword v171, off, s[0:3], 0 offset:160
	buffer_load_dword v172, off, s[0:3], 0 offset:164
	;; [unrolled: 1-line block ×4, first 2 shown]
	ds_read_b128 v[1:4], v186 offset:1680
	s_waitcnt vmcnt(51) lgkmcnt(1)
	v_mul_f64 v[183:184], v[7:8], v[197:198]
	v_mul_f64 v[179:180], v[5:6], v[197:198]
	s_waitcnt vmcnt(49)
	v_fma_f64 v[137:138], v[125:126], v[143:144], -v[137:138]
	v_fma_f64 v[143:144], v[127:128], v[143:144], v[165:166]
	ds_read_b128 v[125:128], v186 offset:1696
	v_add_f64 v[131:132], v[131:132], v[177:178]
	v_add_f64 v[129:130], v[129:130], v[169:170]
	s_waitcnt vmcnt(45) lgkmcnt(1)
	v_mul_f64 v[165:166], v[1:2], v[149:150]
	v_mul_f64 v[149:150], v[3:4], v[149:150]
	s_waitcnt vmcnt(44)
	v_fma_f64 v[169:170], v[5:6], v[203:204], -v[183:184]
	v_add_f64 v[131:132], v[131:132], v[137:138]
	v_fma_f64 v[137:138], v[7:8], v[203:204], v[179:180]
	v_add_f64 v[129:130], v[129:130], v[143:144]
	ds_read_b128 v[5:8], v186 offset:1712
	s_waitcnt vmcnt(43) lgkmcnt(1)
	v_mul_f64 v[177:178], v[127:128], v[191:192]
	v_mul_f64 v[143:144], v[125:126], v[191:192]
	s_waitcnt vmcnt(41)
	v_fma_f64 v[149:150], v[1:2], v[141:142], -v[149:150]
	v_fma_f64 v[141:142], v[3:4], v[141:142], v[165:166]
	ds_read_b128 v[1:4], v186 offset:1728
	v_add_f64 v[131:132], v[131:132], v[169:170]
	v_add_f64 v[129:130], v[129:130], v[137:138]
	s_waitcnt vmcnt(37) lgkmcnt(1)
	v_mul_f64 v[137:138], v[5:6], v[135:136]
	v_mul_f64 v[135:136], v[7:8], v[135:136]
	s_waitcnt vmcnt(36)
	v_fma_f64 v[165:166], v[125:126], v[205:206], -v[177:178]
	v_fma_f64 v[143:144], v[127:128], v[205:206], v[143:144]
	ds_read_b128 v[125:128], v186 offset:1744
	v_add_f64 v[131:132], v[131:132], v[149:150]
	v_add_f64 v[129:130], v[129:130], v[141:142]
	;; [unrolled: 9-line block ×3, first 2 shown]
	s_waitcnt vmcnt(29) lgkmcnt(1)
	v_mul_f64 v[143:144], v[125:126], v[139:140]
	v_mul_f64 v[139:140], v[127:128], v[139:140]
	s_waitcnt vmcnt(28)
	v_fma_f64 v[147:148], v[1:2], v[201:202], -v[149:150]
	v_add_f64 v[131:132], v[131:132], v[135:136]
	v_fma_f64 v[135:136], v[3:4], v[201:202], v[141:142]
	v_add_f64 v[129:130], v[129:130], v[137:138]
	ds_read_b128 v[1:4], v186 offset:1776
	s_waitcnt vmcnt(27) lgkmcnt(1)
	v_mul_f64 v[141:142], v[7:8], v[161:162]
	v_mul_f64 v[137:138], v[5:6], v[161:162]
	s_waitcnt vmcnt(25)
	v_fma_f64 v[139:140], v[125:126], v[157:158], -v[139:140]
	v_fma_f64 v[143:144], v[127:128], v[157:158], v[143:144]
	ds_read_b128 v[125:128], v186 offset:1792
	v_add_f64 v[131:132], v[131:132], v[147:148]
	v_add_f64 v[129:130], v[129:130], v[135:136]
	s_waitcnt vmcnt(21) lgkmcnt(1)
	v_mul_f64 v[135:136], v[1:2], v[145:146]
	v_mul_f64 v[145:146], v[3:4], v[145:146]
	s_waitcnt vmcnt(20)
	v_fma_f64 v[141:142], v[5:6], v[193:194], -v[141:142]
	v_fma_f64 v[137:138], v[7:8], v[193:194], v[137:138]
	ds_read_b128 v[5:8], v186 offset:1808
	v_add_f64 v[131:132], v[131:132], v[139:140]
	v_add_f64 v[129:130], v[129:130], v[143:144]
	;; [unrolled: 9-line block ×3, first 2 shown]
	s_waitcnt vmcnt(13) lgkmcnt(1)
	v_mul_f64 v[141:142], v[7:8], v[151:152]
	s_waitcnt vmcnt(12)
	v_fma_f64 v[143:144], v[125:126], v[187:188], -v[143:144]
	v_mul_f64 v[137:138], v[5:6], v[151:152]
	v_fma_f64 v[139:140], v[127:128], v[187:188], v[139:140]
	ds_read_b128 v[125:128], v186 offset:1840
	v_add_f64 v[131:132], v[131:132], v[145:146]
	v_add_f64 v[129:130], v[129:130], v[135:136]
	s_waitcnt vmcnt(11) lgkmcnt(1)
	v_mul_f64 v[145:146], v[3:4], v[175:176]
	v_mul_f64 v[135:136], v[1:2], v[175:176]
	s_waitcnt vmcnt(9)
	v_fma_f64 v[5:6], v[5:6], v[163:164], -v[141:142]
	v_fma_f64 v[7:8], v[7:8], v[163:164], v[137:138]
	v_add_f64 v[131:132], v[131:132], v[143:144]
	v_add_f64 v[129:130], v[129:130], v[139:140]
	s_waitcnt vmcnt(7) lgkmcnt(0)
	v_mul_f64 v[139:140], v[127:128], v[159:160]
	s_waitcnt vmcnt(6)
	v_fma_f64 v[1:2], v[1:2], v[181:182], -v[145:146]
	v_mul_f64 v[137:138], v[125:126], v[159:160]
	v_fma_f64 v[3:4], v[3:4], v[181:182], v[135:136]
	v_add_f64 v[5:6], v[131:132], v[5:6]
	v_add_f64 v[7:8], v[129:130], v[7:8]
	s_waitcnt vmcnt(4)
	v_fma_f64 v[125:126], v[125:126], v[133:134], -v[139:140]
	v_add_f64 v[1:2], v[5:6], v[1:2]
	v_fma_f64 v[5:6], v[127:128], v[133:134], v[137:138]
	v_add_f64 v[3:4], v[7:8], v[3:4]
	v_add_f64 v[1:2], v[1:2], v[125:126]
	;; [unrolled: 1-line block ×3, first 2 shown]
	s_waitcnt vmcnt(2)
	v_add_f64 v[1:2], v[171:172], -v[1:2]
	s_waitcnt vmcnt(0)
	v_add_f64 v[3:4], v[173:174], -v[3:4]
	buffer_store_dword v2, off, s[0:3], 0 offset:164
	buffer_store_dword v1, off, s[0:3], 0 offset:160
	;; [unrolled: 1-line block ×4, first 2 shown]
	v_cmpx_lt_u32_e32 8, v0
	s_cbranch_execz .LBB121_345
; %bb.344:
	v_mov_b32_e32 v4, s62
	v_mov_b32_e32 v5, 0
	s_clause 0x3
	buffer_load_dword v1, v4, s[0:3], 0 offen
	buffer_load_dword v2, v4, s[0:3], 0 offen offset:4
	buffer_load_dword v3, v4, s[0:3], 0 offen offset:8
	;; [unrolled: 1-line block ×3, first 2 shown]
	buffer_store_dword v5, off, s[0:3], 0 offset:144
	buffer_store_dword v5, off, s[0:3], 0 offset:148
	;; [unrolled: 1-line block ×4, first 2 shown]
	s_waitcnt vmcnt(0)
	ds_write_b128 v185, v[1:4]
.LBB121_345:
	s_or_b32 exec_lo, exec_lo, s4
	s_waitcnt lgkmcnt(0)
	s_waitcnt_vscnt null, 0x0
	s_barrier
	buffer_gl0_inv
	s_clause 0x37
	buffer_load_dword v133, off, s[0:3], 0 offset:168
	buffer_load_dword v134, off, s[0:3], 0 offset:172
	;; [unrolled: 1-line block ×56, first 2 shown]
	v_mov_b32_e32 v186, 0
	s_mov_b32 s4, exec_lo
	ds_read_b128 v[5:8], v186 offset:1072
	s_clause 0x2
	buffer_load_dword v182, off, s[0:3], 0 offset:396
	buffer_load_dword v184, off, s[0:3], 0 offset:372
	;; [unrolled: 1-line block ×3, first 2 shown]
	ds_read_b128 v[1:4], v186 offset:1088
	s_clause 0x4
	buffer_load_dword v194, off, s[0:3], 0 offset:412
	buffer_load_dword v195, off, s[0:3], 0 offset:424
	;; [unrolled: 1-line block ×5, first 2 shown]
	ds_read_b128 v[187:190], v186 offset:1104
	s_waitcnt vmcnt(62) lgkmcnt(2)
	v_mul_f64 v[191:192], v[7:8], v[133:134]
	v_mul_f64 v[133:134], v[5:6], v[133:134]
	s_waitcnt vmcnt(60) lgkmcnt(1)
	v_mul_f64 v[198:199], v[3:4], v[129:130]
	v_mul_f64 v[129:130], v[1:2], v[129:130]
	;; [unrolled: 3-line block ×3, first 2 shown]
	v_fma_f64 v[191:192], v[5:6], v[131:132], -v[191:192]
	v_fma_f64 v[131:132], v[7:8], v[131:132], v[133:134]
	s_clause 0x2
	buffer_load_dword v196, off, s[0:3], 0 offset:428
	buffer_load_dword v134, off, s[0:3], 0 offset:404
	;; [unrolled: 1-line block ×3, first 2 shown]
	s_waitcnt vmcnt(57)
	v_fma_f64 v[202:203], v[1:2], v[125:126], -v[198:199]
	ds_read_b128 v[5:8], v186 offset:1120
	v_fma_f64 v[125:126], v[3:4], v[125:126], v[129:130]
	s_waitcnt vmcnt(51)
	v_fma_f64 v[187:188], v[187:188], v[149:150], -v[127:128]
	v_fma_f64 v[149:150], v[189:190], v[149:150], v[200:201]
	v_add_f64 v[191:192], v[191:192], 0
	v_add_f64 v[129:130], v[131:132], 0
	s_clause 0x4
	buffer_load_dword v132, off, s[0:3], 0 offset:444
	buffer_load_dword v199, off, s[0:3], 0 offset:456
	;; [unrolled: 1-line block ×5, first 2 shown]
	s_waitcnt lgkmcnt(0)
	v_mul_f64 v[205:206], v[5:6], v[137:138]
	v_mul_f64 v[137:138], v[7:8], v[137:138]
	ds_read_b128 v[1:4], v186 offset:1136
	s_clause 0x2
	buffer_load_dword v200, off, s[0:3], 0 offset:460
	buffer_load_dword v190, off, s[0:3], 0 offset:436
	;; [unrolled: 1-line block ×3, first 2 shown]
	v_add_f64 v[191:192], v[191:192], v[202:203]
	v_add_f64 v[129:130], v[129:130], v[125:126]
	ds_read_b128 v[125:128], v186 offset:1152
	s_waitcnt vmcnt(58) lgkmcnt(1)
	v_mul_f64 v[201:202], v[1:2], v[141:142]
	v_mul_f64 v[141:142], v[3:4], v[141:142]
	s_waitcnt vmcnt(56)
	v_fma_f64 v[137:138], v[5:6], v[143:144], -v[137:138]
	v_fma_f64 v[143:144], v[7:8], v[143:144], v[205:206]
	s_waitcnt vmcnt(52) lgkmcnt(0)
	v_mul_f64 v[207:208], v[125:126], v[145:146]
	v_add_f64 v[187:188], v[191:192], v[187:188]
	v_add_f64 v[129:130], v[129:130], v[149:150]
	s_clause 0x4
	buffer_load_dword v150, off, s[0:3], 0 offset:476
	buffer_load_dword v191, off, s[0:3], 0 offset:488
	;; [unrolled: 1-line block ×5, first 2 shown]
	v_mul_f64 v[145:146], v[127:128], v[145:146]
	s_waitcnt vmcnt(56)
	v_fma_f64 v[141:142], v[1:2], v[135:136], -v[141:142]
	ds_read_b128 v[5:8], v186 offset:1168
	v_fma_f64 v[135:136], v[3:4], v[135:136], v[201:202]
	v_add_f64 v[137:138], v[187:188], v[137:138]
	v_add_f64 v[129:130], v[129:130], v[143:144]
	s_clause 0x2
	buffer_load_dword v192, off, s[0:3], 0 offset:492
	buffer_load_dword v144, off, s[0:3], 0 offset:468
	;; [unrolled: 1-line block ×3, first 2 shown]
	s_waitcnt vmcnt(58) lgkmcnt(0)
	v_mul_f64 v[187:188], v[5:6], v[151:152]
	v_mul_f64 v[151:152], v[7:8], v[151:152]
	s_waitcnt vmcnt(56)
	v_fma_f64 v[145:146], v[125:126], v[153:154], -v[145:146]
	ds_read_b128 v[1:4], v186 offset:1184
	v_add_f64 v[137:138], v[137:138], v[141:142]
	v_fma_f64 v[141:142], v[127:128], v[153:154], v[207:208]
	v_add_f64 v[129:130], v[129:130], v[135:136]
	s_clause 0x4
	buffer_load_dword v136, off, s[0:3], 0 offset:508
	buffer_load_dword v153, off, s[0:3], 0 offset:520
	;; [unrolled: 1-line block ×5, first 2 shown]
	s_waitcnt vmcnt(57) lgkmcnt(0)
	v_mul_f64 v[202:203], v[1:2], v[155:156]
	v_mul_f64 v[155:156], v[3:4], v[155:156]
	s_waitcnt vmcnt(56)
	v_fma_f64 v[151:152], v[5:6], v[139:140], -v[151:152]
	ds_read_b128 v[125:128], v186 offset:1200
	v_fma_f64 v[139:140], v[7:8], v[139:140], v[187:188]
	v_add_f64 v[137:138], v[137:138], v[145:146]
	v_add_f64 v[129:130], v[129:130], v[141:142]
	s_clause 0x2
	buffer_load_dword v154, off, s[0:3], 0 offset:524
	buffer_load_dword v142, off, s[0:3], 0 offset:500
	;; [unrolled: 1-line block ×3, first 2 shown]
	ds_read_b128 v[5:8], v186 offset:1216
	s_waitcnt vmcnt(58) lgkmcnt(1)
	v_mul_f64 v[145:146], v[125:126], v[159:160]
	v_mul_f64 v[159:160], v[127:128], v[159:160]
	s_waitcnt vmcnt(56)
	v_fma_f64 v[155:156], v[1:2], v[161:162], -v[155:156]
	v_add_f64 v[137:138], v[137:138], v[151:152]
	v_fma_f64 v[151:152], v[3:4], v[161:162], v[202:203]
	v_add_f64 v[129:130], v[129:130], v[139:140]
	s_clause 0x4
	buffer_load_dword v140, off, s[0:3], 0 offset:540
	buffer_load_dword v161, off, s[0:3], 0 offset:552
	;; [unrolled: 1-line block ×5, first 2 shown]
	s_waitcnt vmcnt(57) lgkmcnt(0)
	v_mul_f64 v[208:209], v[5:6], v[163:164]
	v_mul_f64 v[163:164], v[7:8], v[163:164]
	s_waitcnt vmcnt(56)
	v_fma_f64 v[159:160], v[125:126], v[147:148], -v[159:160]
	ds_read_b128 v[1:4], v186 offset:1232
	v_fma_f64 v[145:146], v[127:128], v[147:148], v[145:146]
	s_clause 0x2
	buffer_load_dword v162, off, s[0:3], 0 offset:556
	buffer_load_dword v148, off, s[0:3], 0 offset:532
	;; [unrolled: 1-line block ×3, first 2 shown]
	ds_read_b128 v[125:128], v186 offset:1248
	v_add_f64 v[137:138], v[137:138], v[155:156]
	v_add_f64 v[129:130], v[129:130], v[151:152]
	s_waitcnt vmcnt(58) lgkmcnt(1)
	v_mul_f64 v[155:156], v[3:4], v[167:168]
	s_waitcnt vmcnt(56)
	v_fma_f64 v[163:164], v[5:6], v[169:170], -v[163:164]
	v_mul_f64 v[151:152], v[1:2], v[167:168]
	v_add_f64 v[137:138], v[137:138], v[159:160]
	v_fma_f64 v[159:160], v[7:8], v[169:170], v[208:209]
	v_add_f64 v[129:130], v[129:130], v[145:146]
	s_clause 0x4
	buffer_load_dword v146, off, s[0:3], 0 offset:572
	buffer_load_dword v167, off, s[0:3], 0 offset:584
	buffer_load_dword v169, off, s[0:3], 0 offset:576
	buffer_load_dword v145, off, s[0:3], 0 offset:568
	buffer_load_dword v188, off, s[0:3], 0 offset:548
	s_waitcnt vmcnt(57) lgkmcnt(0)
	v_mul_f64 v[208:209], v[125:126], v[171:172]
	v_mul_f64 v[170:171], v[127:128], v[171:172]
	s_waitcnt vmcnt(56)
	v_fma_f64 v[155:156], v[1:2], v[157:158], -v[155:156]
	ds_read_b128 v[5:8], v186 offset:1264
	v_fma_f64 v[151:152], v[3:4], v[157:158], v[151:152]
	s_clause 0x2
	buffer_load_dword v168, off, s[0:3], 0 offset:588
	buffer_load_dword v158, off, s[0:3], 0 offset:564
	buffer_load_dword v157, off, s[0:3], 0 offset:560
	ds_read_b128 v[1:4], v186 offset:1280
	v_add_f64 v[137:138], v[137:138], v[163:164]
	v_add_f64 v[129:130], v[129:130], v[159:160]
	s_waitcnt vmcnt(58) lgkmcnt(1)
	v_mul_f64 v[163:164], v[7:8], v[175:176]
	s_waitcnt vmcnt(56)
	v_fma_f64 v[171:172], v[125:126], v[177:178], -v[170:171]
	v_mul_f64 v[159:160], v[5:6], v[175:176]
	v_add_f64 v[137:138], v[137:138], v[155:156]
	v_fma_f64 v[155:156], v[127:128], v[177:178], v[208:209]
	v_add_f64 v[129:130], v[129:130], v[151:152]
	s_clause 0x4
	buffer_load_dword v152, off, s[0:3], 0 offset:604
	buffer_load_dword v175, off, s[0:3], 0 offset:616
	;; [unrolled: 1-line block ×5, first 2 shown]
	s_waitcnt vmcnt(57) lgkmcnt(0)
	v_mul_f64 v[208:209], v[1:2], v[179:180]
	v_mul_f64 v[178:179], v[3:4], v[179:180]
	s_waitcnt vmcnt(56)
	v_fma_f64 v[163:164], v[5:6], v[165:166], -v[163:164]
	ds_read_b128 v[125:128], v186 offset:1296
	v_fma_f64 v[159:160], v[7:8], v[165:166], v[159:160]
	v_add_f64 v[137:138], v[137:138], v[171:172]
	v_add_f64 v[129:130], v[129:130], v[155:156]
	s_clause 0x2
	buffer_load_dword v176, off, s[0:3], 0 offset:620
	buffer_load_dword v156, off, s[0:3], 0 offset:596
	;; [unrolled: 1-line block ×3, first 2 shown]
	ds_read_b128 v[5:8], v186 offset:1312
	s_waitcnt vmcnt(58) lgkmcnt(1)
	v_mul_f64 v[171:172], v[127:128], v[181:182]
	s_waitcnt vmcnt(56)
	v_fma_f64 v[179:180], v[1:2], v[183:184], -v[178:179]
	v_mul_f64 v[165:166], v[125:126], v[181:182]
	v_add_f64 v[137:138], v[137:138], v[163:164]
	v_fma_f64 v[163:164], v[3:4], v[183:184], v[208:209]
	v_add_f64 v[129:130], v[129:130], v[159:160]
	s_clause 0x4
	buffer_load_dword v160, off, s[0:3], 0 offset:636
	buffer_load_dword v181, off, s[0:3], 0 offset:648
	;; [unrolled: 1-line block ×5, first 2 shown]
	s_waitcnt vmcnt(57) lgkmcnt(0)
	v_mul_f64 v[208:209], v[5:6], v[193:194]
	v_mul_f64 v[193:194], v[7:8], v[193:194]
	s_waitcnt vmcnt(56)
	v_fma_f64 v[171:172], v[125:126], v[173:174], -v[171:172]
	ds_read_b128 v[1:4], v186 offset:1328
	v_fma_f64 v[165:166], v[127:128], v[173:174], v[165:166]
	v_add_f64 v[137:138], v[137:138], v[179:180]
	v_add_f64 v[129:130], v[129:130], v[163:164]
	s_clause 0x2
	buffer_load_dword v182, off, s[0:3], 0 offset:652
	buffer_load_dword v164, off, s[0:3], 0 offset:628
	;; [unrolled: 1-line block ×3, first 2 shown]
	ds_read_b128 v[125:128], v186 offset:1344
	s_waitcnt vmcnt(58) lgkmcnt(1)
	v_mul_f64 v[179:180], v[3:4], v[195:196]
	v_mul_f64 v[173:174], v[1:2], v[195:196]
	s_waitcnt vmcnt(56)
	v_fma_f64 v[193:194], v[5:6], v[133:134], -v[193:194]
	v_fma_f64 v[133:134], v[7:8], v[133:134], v[208:209]
	v_add_f64 v[137:138], v[137:138], v[171:172]
	v_add_f64 v[129:130], v[129:130], v[165:166]
	s_clause 0x4
	buffer_load_dword v166, off, s[0:3], 0 offset:668
	buffer_load_dword v171, off, s[0:3], 0 offset:680
	;; [unrolled: 1-line block ×5, first 2 shown]
	ds_read_b128 v[5:8], v186 offset:1360
	s_waitcnt vmcnt(57) lgkmcnt(1)
	v_mul_f64 v[208:209], v[125:126], v[131:132]
	v_mul_f64 v[131:132], v[127:128], v[131:132]
	s_waitcnt vmcnt(56)
	v_fma_f64 v[179:180], v[1:2], v[197:198], -v[179:180]
	v_fma_f64 v[173:174], v[3:4], v[197:198], v[173:174]
	v_add_f64 v[137:138], v[137:138], v[193:194]
	v_add_f64 v[129:130], v[129:130], v[133:134]
	s_clause 0x2
	buffer_load_dword v172, off, s[0:3], 0 offset:684
	buffer_load_dword v134, off, s[0:3], 0 offset:660
	;; [unrolled: 1-line block ×3, first 2 shown]
	s_waitcnt vmcnt(58) lgkmcnt(0)
	v_mul_f64 v[197:198], v[7:8], v[199:200]
	ds_read_b128 v[1:4], v186 offset:1376
	v_mul_f64 v[193:194], v[5:6], v[199:200]
	s_waitcnt vmcnt(56)
	v_fma_f64 v[131:132], v[125:126], v[189:190], -v[131:132]
	v_add_f64 v[137:138], v[137:138], v[179:180]
	v_fma_f64 v[179:180], v[127:128], v[189:190], v[208:209]
	v_add_f64 v[129:130], v[129:130], v[173:174]
	s_clause 0x4
	buffer_load_dword v174, off, s[0:3], 0 offset:700
	buffer_load_dword v189, off, s[0:3], 0 offset:712
	;; [unrolled: 1-line block ×5, first 2 shown]
	ds_read_b128 v[125:128], v186 offset:1392
	s_waitcnt vmcnt(57) lgkmcnt(1)
	v_mul_f64 v[208:209], v[1:2], v[149:150]
	v_mul_f64 v[149:150], v[3:4], v[149:150]
	s_waitcnt vmcnt(56)
	v_fma_f64 v[197:198], v[5:6], v[204:205], -v[197:198]
	v_add_f64 v[131:132], v[137:138], v[131:132]
	v_fma_f64 v[137:138], v[7:8], v[204:205], v[193:194]
	v_add_f64 v[129:130], v[129:130], v[179:180]
	s_clause 0x2
	buffer_load_dword v190, off, s[0:3], 0 offset:716
	buffer_load_dword v180, off, s[0:3], 0 offset:692
	;; [unrolled: 1-line block ×3, first 2 shown]
	ds_read_b128 v[5:8], v186 offset:1408
	s_waitcnt vmcnt(58) lgkmcnt(1)
	v_mul_f64 v[193:194], v[125:126], v[191:192]
	v_mul_f64 v[191:192], v[127:128], v[191:192]
	s_waitcnt vmcnt(56)
	v_fma_f64 v[149:150], v[1:2], v[143:144], -v[149:150]
	v_fma_f64 v[143:144], v[3:4], v[143:144], v[208:209]
	v_add_f64 v[131:132], v[131:132], v[197:198]
	v_add_f64 v[129:130], v[129:130], v[137:138]
	s_clause 0x4
	buffer_load_dword v138, off, s[0:3], 0 offset:732
	buffer_load_dword v197, off, s[0:3], 0 offset:744
	;; [unrolled: 1-line block ×5, first 2 shown]
	ds_read_b128 v[1:4], v186 offset:1424
	s_waitcnt vmcnt(57) lgkmcnt(1)
	v_mul_f64 v[204:205], v[5:6], v[135:136]
	v_mul_f64 v[135:136], v[7:8], v[135:136]
	s_waitcnt vmcnt(56)
	v_fma_f64 v[191:192], v[125:126], v[206:207], -v[191:192]
	v_add_f64 v[131:132], v[131:132], v[149:150]
	v_fma_f64 v[149:150], v[127:128], v[206:207], v[193:194]
	v_add_f64 v[129:130], v[129:130], v[143:144]
	s_clause 0x2
	buffer_load_dword v198, off, s[0:3], 0 offset:748
	buffer_load_dword v144, off, s[0:3], 0 offset:724
	buffer_load_dword v143, off, s[0:3], 0 offset:720
	ds_read_b128 v[125:128], v186 offset:1440
	s_waitcnt vmcnt(58) lgkmcnt(1)
	v_mul_f64 v[193:194], v[1:2], v[153:154]
	v_mul_f64 v[153:154], v[3:4], v[153:154]
	s_waitcnt vmcnt(56)
	v_fma_f64 v[135:136], v[5:6], v[141:142], -v[135:136]
	v_fma_f64 v[141:142], v[7:8], v[141:142], v[204:205]
	v_add_f64 v[131:132], v[131:132], v[191:192]
	v_add_f64 v[129:130], v[129:130], v[149:150]
	s_clause 0x4
	buffer_load_dword v150, off, s[0:3], 0 offset:764
	buffer_load_dword v191, off, s[0:3], 0 offset:776
	;; [unrolled: 1-line block ×5, first 2 shown]
	ds_read_b128 v[5:8], v186 offset:1456
	s_waitcnt vmcnt(57) lgkmcnt(1)
	v_mul_f64 v[206:207], v[125:126], v[139:140]
	v_mul_f64 v[139:140], v[127:128], v[139:140]
	s_waitcnt vmcnt(56)
	v_fma_f64 v[153:154], v[1:2], v[201:202], -v[153:154]
	v_add_f64 v[131:132], v[131:132], v[135:136]
	v_fma_f64 v[135:136], v[3:4], v[201:202], v[193:194]
	v_add_f64 v[129:130], v[129:130], v[141:142]
	s_clause 0x2
	buffer_load_dword v192, off, s[0:3], 0 offset:780
	buffer_load_dword v142, off, s[0:3], 0 offset:756
	;; [unrolled: 1-line block ×3, first 2 shown]
	s_waitcnt vmcnt(58) lgkmcnt(0)
	v_mul_f64 v[193:194], v[5:6], v[161:162]
	v_mul_f64 v[161:162], v[7:8], v[161:162]
	ds_read_b128 v[1:4], v186 offset:1472
	s_waitcnt vmcnt(56)
	v_fma_f64 v[139:140], v[125:126], v[147:148], -v[139:140]
	v_fma_f64 v[147:148], v[127:128], v[147:148], v[206:207]
	v_add_f64 v[131:132], v[131:132], v[153:154]
	v_add_f64 v[129:130], v[129:130], v[135:136]
	s_clause 0x4
	buffer_load_dword v136, off, s[0:3], 0 offset:796
	buffer_load_dword v153, off, s[0:3], 0 offset:808
	;; [unrolled: 1-line block ×5, first 2 shown]
	ds_read_b128 v[125:128], v186 offset:1488
	s_waitcnt vmcnt(57) lgkmcnt(1)
	v_mul_f64 v[207:208], v[1:2], v[145:146]
	v_mul_f64 v[145:146], v[3:4], v[145:146]
	s_waitcnt vmcnt(56)
	v_fma_f64 v[161:162], v[5:6], v[187:188], -v[161:162]
	v_add_f64 v[131:132], v[131:132], v[139:140]
	v_fma_f64 v[139:140], v[7:8], v[187:188], v[193:194]
	v_add_f64 v[129:130], v[129:130], v[147:148]
	s_clause 0x2
	buffer_load_dword v154, off, s[0:3], 0 offset:812
	buffer_load_dword v148, off, s[0:3], 0 offset:788
	;; [unrolled: 1-line block ×3, first 2 shown]
	s_waitcnt vmcnt(58) lgkmcnt(0)
	v_mul_f64 v[187:188], v[125:126], v[167:168]
	v_mul_f64 v[167:168], v[127:128], v[167:168]
	ds_read_b128 v[5:8], v186 offset:1504
	s_waitcnt vmcnt(56)
	v_fma_f64 v[145:146], v[1:2], v[157:158], -v[145:146]
	v_fma_f64 v[157:158], v[3:4], v[157:158], v[207:208]
	v_add_f64 v[131:132], v[131:132], v[161:162]
	v_add_f64 v[129:130], v[129:130], v[139:140]
	s_clause 0x4
	buffer_load_dword v140, off, s[0:3], 0 offset:828
	buffer_load_dword v161, off, s[0:3], 0 offset:840
	buffer_load_dword v193, off, s[0:3], 0 offset:832
	buffer_load_dword v139, off, s[0:3], 0 offset:824
	buffer_load_dword v202, off, s[0:3], 0 offset:804
	ds_read_b128 v[1:4], v186 offset:1520
	s_waitcnt vmcnt(57) lgkmcnt(1)
	v_mul_f64 v[207:208], v[5:6], v[151:152]
	v_mul_f64 v[151:152], v[7:8], v[151:152]
	s_waitcnt vmcnt(56)
	v_fma_f64 v[167:168], v[125:126], v[169:170], -v[167:168]
	v_add_f64 v[131:132], v[131:132], v[145:146]
	v_fma_f64 v[145:146], v[127:128], v[169:170], v[187:188]
	v_add_f64 v[129:130], v[129:130], v[157:158]
	s_clause 0x2
	buffer_load_dword v162, off, s[0:3], 0 offset:844
	buffer_load_dword v158, off, s[0:3], 0 offset:820
	buffer_load_dword v157, off, s[0:3], 0 offset:816
	ds_read_b128 v[125:128], v186 offset:1536
	s_waitcnt vmcnt(58) lgkmcnt(1)
	v_mul_f64 v[169:170], v[1:2], v[175:176]
	v_mul_f64 v[175:176], v[3:4], v[175:176]
	s_waitcnt vmcnt(56)
	v_fma_f64 v[151:152], v[5:6], v[155:156], -v[151:152]
	v_fma_f64 v[155:156], v[7:8], v[155:156], v[207:208]
	v_add_f64 v[131:132], v[131:132], v[167:168]
	v_add_f64 v[129:130], v[129:130], v[145:146]
	s_clause 0x4
	buffer_load_dword v146, off, s[0:3], 0 offset:860
	buffer_load_dword v167, off, s[0:3], 0 offset:872
	buffer_load_dword v187, off, s[0:3], 0 offset:864
	buffer_load_dword v145, off, s[0:3], 0 offset:856
	buffer_load_dword v194, off, s[0:3], 0 offset:836
	ds_read_b128 v[5:8], v186 offset:1552
	s_waitcnt vmcnt(57) lgkmcnt(1)
	v_mul_f64 v[207:208], v[125:126], v[159:160]
	v_mul_f64 v[159:160], v[127:128], v[159:160]
	s_waitcnt vmcnt(56)
	v_fma_f64 v[175:176], v[1:2], v[177:178], -v[175:176]
	v_add_f64 v[131:132], v[131:132], v[151:152]
	v_fma_f64 v[151:152], v[3:4], v[177:178], v[169:170]
	v_add_f64 v[129:130], v[129:130], v[155:156]
	s_clause 0x2
	buffer_load_dword v168, off, s[0:3], 0 offset:876
	buffer_load_dword v156, off, s[0:3], 0 offset:852
	buffer_load_dword v155, off, s[0:3], 0 offset:848
	ds_read_b128 v[1:4], v186 offset:1568
	s_waitcnt vmcnt(58) lgkmcnt(1)
	v_mul_f64 v[177:178], v[7:8], v[181:182]
	v_mul_f64 v[169:170], v[5:6], v[181:182]
	;; [unrolled: 28-line block ×3, first 2 shown]
	s_waitcnt vmcnt(56)
	v_fma_f64 v[165:166], v[1:2], v[133:134], -v[165:166]
	v_fma_f64 v[133:134], v[3:4], v[133:134], v[207:208]
	v_add_f64 v[131:132], v[131:132], v[177:178]
	v_add_f64 v[129:130], v[129:130], v[159:160]
	s_clause 0x4
	buffer_load_dword v160, off, s[0:3], 0 offset:924
	buffer_load_dword v177, off, s[0:3], 0 offset:936
	buffer_load_dword v183, off, s[0:3], 0 offset:928
	buffer_load_dword v159, off, s[0:3], 0 offset:920
	buffer_load_dword v182, off, s[0:3], 0 offset:900
	ds_read_b128 v[1:4], v186 offset:1616
	s_waitcnt vmcnt(57) lgkmcnt(1)
	v_mul_f64 v[207:208], v[5:6], v[173:174]
	v_mul_f64 v[173:174], v[7:8], v[173:174]
	s_waitcnt vmcnt(56)
	v_fma_f64 v[171:172], v[125:126], v[195:196], -v[171:172]
	v_add_f64 v[131:132], v[131:132], v[165:166]
	v_fma_f64 v[165:166], v[127:128], v[195:196], v[169:170]
	v_add_f64 v[129:130], v[129:130], v[133:134]
	s_clause 0x2
	buffer_load_dword v178, off, s[0:3], 0 offset:940
	buffer_load_dword v134, off, s[0:3], 0 offset:916
	;; [unrolled: 1-line block ×3, first 2 shown]
	ds_read_b128 v[125:128], v186 offset:1632
	buffer_load_dword v184, off, s[0:3], 0 offset:932
	s_waitcnt vmcnt(59) lgkmcnt(1)
	v_mul_f64 v[169:170], v[1:2], v[189:190]
	v_mul_f64 v[189:190], v[3:4], v[189:190]
	s_waitcnt vmcnt(57)
	v_fma_f64 v[173:174], v[5:6], v[179:180], -v[173:174]
	v_add_f64 v[131:132], v[131:132], v[171:172]
	v_fma_f64 v[171:172], v[7:8], v[179:180], v[207:208]
	v_add_f64 v[129:130], v[129:130], v[165:166]
	ds_read_b128 v[5:8], v186 offset:1648
	s_waitcnt vmcnt(53) lgkmcnt(1)
	v_mul_f64 v[165:166], v[125:126], v[137:138]
	v_mul_f64 v[137:138], v[127:128], v[137:138]
	s_waitcnt vmcnt(52)
	v_fma_f64 v[179:180], v[1:2], v[199:200], -v[189:190]
	v_fma_f64 v[169:170], v[3:4], v[199:200], v[169:170]
	ds_read_b128 v[1:4], v186 offset:1664
	v_add_f64 v[131:132], v[131:132], v[173:174]
	v_add_f64 v[129:130], v[129:130], v[171:172]
	s_waitcnt vmcnt(51) lgkmcnt(1)
	v_mul_f64 v[173:174], v[7:8], v[197:198]
	v_mul_f64 v[171:172], v[5:6], v[197:198]
	s_waitcnt vmcnt(49)
	v_fma_f64 v[137:138], v[125:126], v[143:144], -v[137:138]
	v_fma_f64 v[143:144], v[127:128], v[143:144], v[165:166]
	v_add_f64 v[131:132], v[131:132], v[179:180]
	v_add_f64 v[129:130], v[129:130], v[169:170]
	s_clause 0x3
	buffer_load_dword v165, off, s[0:3], 0 offset:144
	buffer_load_dword v166, off, s[0:3], 0 offset:148
	;; [unrolled: 1-line block ×4, first 2 shown]
	ds_read_b128 v[125:128], v186 offset:1680
	s_waitcnt vmcnt(49) lgkmcnt(1)
	v_mul_f64 v[179:180], v[1:2], v[149:150]
	v_mul_f64 v[149:150], v[3:4], v[149:150]
	s_waitcnt vmcnt(48)
	v_fma_f64 v[173:174], v[5:6], v[203:204], -v[173:174]
	v_add_f64 v[131:132], v[131:132], v[137:138]
	v_fma_f64 v[137:138], v[7:8], v[203:204], v[171:172]
	v_add_f64 v[129:130], v[129:130], v[143:144]
	ds_read_b128 v[5:8], v186 offset:1696
	s_waitcnt vmcnt(47) lgkmcnt(1)
	v_mul_f64 v[171:172], v[127:128], v[191:192]
	v_mul_f64 v[143:144], v[125:126], v[191:192]
	s_waitcnt vmcnt(45)
	v_fma_f64 v[149:150], v[1:2], v[141:142], -v[149:150]
	v_fma_f64 v[141:142], v[3:4], v[141:142], v[179:180]
	ds_read_b128 v[1:4], v186 offset:1712
	v_add_f64 v[131:132], v[131:132], v[173:174]
	v_add_f64 v[129:130], v[129:130], v[137:138]
	s_waitcnt vmcnt(41) lgkmcnt(1)
	v_mul_f64 v[137:138], v[5:6], v[135:136]
	v_mul_f64 v[135:136], v[7:8], v[135:136]
	s_waitcnt vmcnt(40)
	v_fma_f64 v[171:172], v[125:126], v[205:206], -v[171:172]
	v_fma_f64 v[143:144], v[127:128], v[205:206], v[143:144]
	ds_read_b128 v[125:128], v186 offset:1728
	v_add_f64 v[131:132], v[131:132], v[149:150]
	v_add_f64 v[129:130], v[129:130], v[141:142]
	;; [unrolled: 9-line block ×3, first 2 shown]
	s_waitcnt vmcnt(33) lgkmcnt(1)
	v_mul_f64 v[143:144], v[125:126], v[139:140]
	v_mul_f64 v[139:140], v[127:128], v[139:140]
	s_waitcnt vmcnt(32)
	v_fma_f64 v[147:148], v[1:2], v[201:202], -v[149:150]
	v_add_f64 v[131:132], v[131:132], v[135:136]
	v_fma_f64 v[135:136], v[3:4], v[201:202], v[141:142]
	v_add_f64 v[129:130], v[129:130], v[137:138]
	ds_read_b128 v[1:4], v186 offset:1760
	s_waitcnt vmcnt(31) lgkmcnt(1)
	v_mul_f64 v[141:142], v[7:8], v[161:162]
	v_mul_f64 v[137:138], v[5:6], v[161:162]
	s_waitcnt vmcnt(29)
	v_fma_f64 v[139:140], v[125:126], v[157:158], -v[139:140]
	v_fma_f64 v[143:144], v[127:128], v[157:158], v[143:144]
	ds_read_b128 v[125:128], v186 offset:1776
	v_add_f64 v[131:132], v[131:132], v[147:148]
	v_add_f64 v[129:130], v[129:130], v[135:136]
	s_waitcnt vmcnt(25) lgkmcnt(1)
	v_mul_f64 v[135:136], v[1:2], v[145:146]
	v_mul_f64 v[145:146], v[3:4], v[145:146]
	s_waitcnt vmcnt(24)
	v_fma_f64 v[141:142], v[5:6], v[193:194], -v[141:142]
	v_fma_f64 v[137:138], v[7:8], v[193:194], v[137:138]
	ds_read_b128 v[5:8], v186 offset:1792
	v_add_f64 v[131:132], v[131:132], v[139:140]
	v_add_f64 v[129:130], v[129:130], v[143:144]
	;; [unrolled: 9-line block ×3, first 2 shown]
	s_waitcnt vmcnt(17) lgkmcnt(1)
	v_mul_f64 v[141:142], v[7:8], v[151:152]
	s_waitcnt vmcnt(16)
	v_fma_f64 v[143:144], v[125:126], v[187:188], -v[143:144]
	v_mul_f64 v[137:138], v[5:6], v[151:152]
	v_fma_f64 v[139:140], v[127:128], v[187:188], v[139:140]
	ds_read_b128 v[125:128], v186 offset:1824
	v_add_f64 v[131:132], v[131:132], v[145:146]
	v_add_f64 v[129:130], v[129:130], v[135:136]
	s_waitcnt vmcnt(15) lgkmcnt(1)
	v_mul_f64 v[145:146], v[3:4], v[175:176]
	v_mul_f64 v[135:136], v[1:2], v[175:176]
	s_waitcnt vmcnt(13)
	v_fma_f64 v[141:142], v[5:6], v[163:164], -v[141:142]
	v_fma_f64 v[137:138], v[7:8], v[163:164], v[137:138]
	ds_read_b128 v[5:8], v186 offset:1840
	v_add_f64 v[131:132], v[131:132], v[143:144]
	v_add_f64 v[129:130], v[129:130], v[139:140]
	s_waitcnt vmcnt(9) lgkmcnt(1)
	v_mul_f64 v[143:144], v[127:128], v[159:160]
	s_waitcnt vmcnt(8)
	v_fma_f64 v[1:2], v[1:2], v[181:182], -v[145:146]
	v_mul_f64 v[139:140], v[125:126], v[159:160]
	v_fma_f64 v[3:4], v[3:4], v[181:182], v[135:136]
	v_add_f64 v[131:132], v[131:132], v[141:142]
	v_add_f64 v[129:130], v[129:130], v[137:138]
	s_waitcnt vmcnt(7) lgkmcnt(0)
	v_mul_f64 v[137:138], v[7:8], v[177:178]
	v_mul_f64 v[135:136], v[5:6], v[177:178]
	s_waitcnt vmcnt(5)
	v_fma_f64 v[125:126], v[125:126], v[133:134], -v[143:144]
	v_fma_f64 v[127:128], v[127:128], v[133:134], v[139:140]
	v_add_f64 v[1:2], v[131:132], v[1:2]
	v_add_f64 v[3:4], v[129:130], v[3:4]
	s_waitcnt vmcnt(4)
	v_fma_f64 v[5:6], v[5:6], v[183:184], -v[137:138]
	v_fma_f64 v[7:8], v[7:8], v[183:184], v[135:136]
	v_add_f64 v[1:2], v[1:2], v[125:126]
	v_add_f64 v[3:4], v[3:4], v[127:128]
	;; [unrolled: 1-line block ×4, first 2 shown]
	s_waitcnt vmcnt(2)
	v_add_f64 v[1:2], v[165:166], -v[1:2]
	s_waitcnt vmcnt(0)
	v_add_f64 v[3:4], v[169:170], -v[3:4]
	buffer_store_dword v2, off, s[0:3], 0 offset:148
	buffer_store_dword v1, off, s[0:3], 0 offset:144
	;; [unrolled: 1-line block ×4, first 2 shown]
	v_cmpx_lt_u32_e32 7, v0
	s_cbranch_execz .LBB121_347
; %bb.346:
	v_mov_b32_e32 v4, s63
	s_clause 0x3
	buffer_load_dword v1, v4, s[0:3], 0 offen
	buffer_load_dword v2, v4, s[0:3], 0 offen offset:4
	buffer_load_dword v3, v4, s[0:3], 0 offen offset:8
	;; [unrolled: 1-line block ×3, first 2 shown]
	buffer_store_dword v186, off, s[0:3], 0 offset:128
	buffer_store_dword v186, off, s[0:3], 0 offset:132
	;; [unrolled: 1-line block ×4, first 2 shown]
	s_waitcnt vmcnt(0)
	ds_write_b128 v185, v[1:4]
.LBB121_347:
	s_or_b32 exec_lo, exec_lo, s4
	s_waitcnt lgkmcnt(0)
	s_waitcnt_vscnt null, 0x0
	s_barrier
	buffer_gl0_inv
	s_clause 0x37
	buffer_load_dword v133, off, s[0:3], 0 offset:152
	buffer_load_dword v134, off, s[0:3], 0 offset:156
	;; [unrolled: 1-line block ×56, first 2 shown]
	ds_read_b128 v[5:8], v186 offset:1056
	s_clause 0x2
	buffer_load_dword v182, off, s[0:3], 0 offset:380
	buffer_load_dword v184, off, s[0:3], 0 offset:356
	;; [unrolled: 1-line block ×3, first 2 shown]
	ds_read_b128 v[1:4], v186 offset:1072
	s_clause 0x4
	buffer_load_dword v194, off, s[0:3], 0 offset:396
	buffer_load_dword v195, off, s[0:3], 0 offset:408
	;; [unrolled: 1-line block ×5, first 2 shown]
	ds_read_b128 v[187:190], v186 offset:1088
	s_mov_b32 s4, exec_lo
	s_waitcnt vmcnt(62) lgkmcnt(2)
	v_mul_f64 v[191:192], v[7:8], v[133:134]
	v_mul_f64 v[133:134], v[5:6], v[133:134]
	s_waitcnt vmcnt(60) lgkmcnt(1)
	v_mul_f64 v[198:199], v[3:4], v[129:130]
	v_mul_f64 v[129:130], v[1:2], v[129:130]
	;; [unrolled: 3-line block ×3, first 2 shown]
	v_fma_f64 v[191:192], v[5:6], v[131:132], -v[191:192]
	v_fma_f64 v[131:132], v[7:8], v[131:132], v[133:134]
	s_clause 0x2
	buffer_load_dword v196, off, s[0:3], 0 offset:412
	buffer_load_dword v134, off, s[0:3], 0 offset:388
	;; [unrolled: 1-line block ×3, first 2 shown]
	s_waitcnt vmcnt(57)
	v_fma_f64 v[202:203], v[1:2], v[125:126], -v[198:199]
	ds_read_b128 v[5:8], v186 offset:1104
	v_fma_f64 v[125:126], v[3:4], v[125:126], v[129:130]
	s_waitcnt vmcnt(51)
	v_fma_f64 v[187:188], v[187:188], v[149:150], -v[127:128]
	v_fma_f64 v[149:150], v[189:190], v[149:150], v[200:201]
	v_add_f64 v[191:192], v[191:192], 0
	v_add_f64 v[129:130], v[131:132], 0
	s_clause 0x4
	buffer_load_dword v132, off, s[0:3], 0 offset:428
	buffer_load_dword v199, off, s[0:3], 0 offset:440
	;; [unrolled: 1-line block ×5, first 2 shown]
	s_waitcnt lgkmcnt(0)
	v_mul_f64 v[205:206], v[5:6], v[137:138]
	v_mul_f64 v[137:138], v[7:8], v[137:138]
	ds_read_b128 v[1:4], v186 offset:1120
	s_clause 0x2
	buffer_load_dword v200, off, s[0:3], 0 offset:444
	buffer_load_dword v190, off, s[0:3], 0 offset:420
	;; [unrolled: 1-line block ×3, first 2 shown]
	v_add_f64 v[191:192], v[191:192], v[202:203]
	v_add_f64 v[129:130], v[129:130], v[125:126]
	ds_read_b128 v[125:128], v186 offset:1136
	s_waitcnt vmcnt(58) lgkmcnt(1)
	v_mul_f64 v[201:202], v[1:2], v[141:142]
	v_mul_f64 v[141:142], v[3:4], v[141:142]
	s_waitcnt vmcnt(56)
	v_fma_f64 v[137:138], v[5:6], v[143:144], -v[137:138]
	v_fma_f64 v[143:144], v[7:8], v[143:144], v[205:206]
	s_waitcnt vmcnt(52) lgkmcnt(0)
	v_mul_f64 v[207:208], v[125:126], v[145:146]
	v_add_f64 v[187:188], v[191:192], v[187:188]
	v_add_f64 v[129:130], v[129:130], v[149:150]
	s_clause 0x4
	buffer_load_dword v150, off, s[0:3], 0 offset:460
	buffer_load_dword v191, off, s[0:3], 0 offset:472
	;; [unrolled: 1-line block ×5, first 2 shown]
	v_mul_f64 v[145:146], v[127:128], v[145:146]
	s_waitcnt vmcnt(56)
	v_fma_f64 v[141:142], v[1:2], v[135:136], -v[141:142]
	ds_read_b128 v[5:8], v186 offset:1152
	v_fma_f64 v[135:136], v[3:4], v[135:136], v[201:202]
	v_add_f64 v[137:138], v[187:188], v[137:138]
	v_add_f64 v[129:130], v[129:130], v[143:144]
	s_clause 0x2
	buffer_load_dword v192, off, s[0:3], 0 offset:476
	buffer_load_dword v144, off, s[0:3], 0 offset:452
	;; [unrolled: 1-line block ×3, first 2 shown]
	s_waitcnt vmcnt(58) lgkmcnt(0)
	v_mul_f64 v[187:188], v[5:6], v[151:152]
	v_mul_f64 v[151:152], v[7:8], v[151:152]
	s_waitcnt vmcnt(56)
	v_fma_f64 v[145:146], v[125:126], v[153:154], -v[145:146]
	ds_read_b128 v[1:4], v186 offset:1168
	v_add_f64 v[137:138], v[137:138], v[141:142]
	v_fma_f64 v[141:142], v[127:128], v[153:154], v[207:208]
	v_add_f64 v[129:130], v[129:130], v[135:136]
	s_clause 0x4
	buffer_load_dword v136, off, s[0:3], 0 offset:492
	buffer_load_dword v153, off, s[0:3], 0 offset:504
	;; [unrolled: 1-line block ×5, first 2 shown]
	s_waitcnt vmcnt(57) lgkmcnt(0)
	v_mul_f64 v[202:203], v[1:2], v[155:156]
	v_mul_f64 v[155:156], v[3:4], v[155:156]
	s_waitcnt vmcnt(56)
	v_fma_f64 v[151:152], v[5:6], v[139:140], -v[151:152]
	ds_read_b128 v[125:128], v186 offset:1184
	v_fma_f64 v[139:140], v[7:8], v[139:140], v[187:188]
	v_add_f64 v[137:138], v[137:138], v[145:146]
	v_add_f64 v[129:130], v[129:130], v[141:142]
	s_clause 0x2
	buffer_load_dword v154, off, s[0:3], 0 offset:508
	buffer_load_dword v142, off, s[0:3], 0 offset:484
	buffer_load_dword v141, off, s[0:3], 0 offset:480
	ds_read_b128 v[5:8], v186 offset:1200
	s_waitcnt vmcnt(58) lgkmcnt(1)
	v_mul_f64 v[145:146], v[125:126], v[159:160]
	v_mul_f64 v[159:160], v[127:128], v[159:160]
	s_waitcnt vmcnt(56)
	v_fma_f64 v[155:156], v[1:2], v[161:162], -v[155:156]
	v_add_f64 v[137:138], v[137:138], v[151:152]
	v_fma_f64 v[151:152], v[3:4], v[161:162], v[202:203]
	v_add_f64 v[129:130], v[129:130], v[139:140]
	s_clause 0x4
	buffer_load_dword v140, off, s[0:3], 0 offset:524
	buffer_load_dword v161, off, s[0:3], 0 offset:536
	;; [unrolled: 1-line block ×5, first 2 shown]
	s_waitcnt vmcnt(57) lgkmcnt(0)
	v_mul_f64 v[208:209], v[5:6], v[163:164]
	v_mul_f64 v[163:164], v[7:8], v[163:164]
	s_waitcnt vmcnt(56)
	v_fma_f64 v[159:160], v[125:126], v[147:148], -v[159:160]
	ds_read_b128 v[1:4], v186 offset:1216
	v_fma_f64 v[145:146], v[127:128], v[147:148], v[145:146]
	s_clause 0x2
	buffer_load_dword v162, off, s[0:3], 0 offset:540
	buffer_load_dword v148, off, s[0:3], 0 offset:516
	;; [unrolled: 1-line block ×3, first 2 shown]
	ds_read_b128 v[125:128], v186 offset:1232
	v_add_f64 v[137:138], v[137:138], v[155:156]
	v_add_f64 v[129:130], v[129:130], v[151:152]
	s_waitcnt vmcnt(58) lgkmcnt(1)
	v_mul_f64 v[155:156], v[3:4], v[167:168]
	s_waitcnt vmcnt(56)
	v_fma_f64 v[163:164], v[5:6], v[169:170], -v[163:164]
	v_mul_f64 v[151:152], v[1:2], v[167:168]
	v_add_f64 v[137:138], v[137:138], v[159:160]
	v_fma_f64 v[159:160], v[7:8], v[169:170], v[208:209]
	v_add_f64 v[129:130], v[129:130], v[145:146]
	s_clause 0x4
	buffer_load_dword v146, off, s[0:3], 0 offset:556
	buffer_load_dword v167, off, s[0:3], 0 offset:568
	;; [unrolled: 1-line block ×5, first 2 shown]
	s_waitcnt vmcnt(57) lgkmcnt(0)
	v_mul_f64 v[208:209], v[125:126], v[171:172]
	v_mul_f64 v[170:171], v[127:128], v[171:172]
	s_waitcnt vmcnt(56)
	v_fma_f64 v[155:156], v[1:2], v[157:158], -v[155:156]
	ds_read_b128 v[5:8], v186 offset:1248
	v_fma_f64 v[151:152], v[3:4], v[157:158], v[151:152]
	s_clause 0x2
	buffer_load_dword v168, off, s[0:3], 0 offset:572
	buffer_load_dword v158, off, s[0:3], 0 offset:548
	;; [unrolled: 1-line block ×3, first 2 shown]
	ds_read_b128 v[1:4], v186 offset:1264
	v_add_f64 v[137:138], v[137:138], v[163:164]
	v_add_f64 v[129:130], v[129:130], v[159:160]
	s_waitcnt vmcnt(58) lgkmcnt(1)
	v_mul_f64 v[163:164], v[7:8], v[175:176]
	s_waitcnt vmcnt(56)
	v_fma_f64 v[171:172], v[125:126], v[177:178], -v[170:171]
	v_mul_f64 v[159:160], v[5:6], v[175:176]
	v_add_f64 v[137:138], v[137:138], v[155:156]
	v_fma_f64 v[155:156], v[127:128], v[177:178], v[208:209]
	v_add_f64 v[129:130], v[129:130], v[151:152]
	s_clause 0x4
	buffer_load_dword v152, off, s[0:3], 0 offset:588
	buffer_load_dword v175, off, s[0:3], 0 offset:600
	;; [unrolled: 1-line block ×5, first 2 shown]
	s_waitcnt vmcnt(57) lgkmcnt(0)
	v_mul_f64 v[208:209], v[1:2], v[179:180]
	v_mul_f64 v[178:179], v[3:4], v[179:180]
	s_waitcnt vmcnt(56)
	v_fma_f64 v[163:164], v[5:6], v[165:166], -v[163:164]
	ds_read_b128 v[125:128], v186 offset:1280
	v_fma_f64 v[159:160], v[7:8], v[165:166], v[159:160]
	v_add_f64 v[137:138], v[137:138], v[171:172]
	v_add_f64 v[129:130], v[129:130], v[155:156]
	s_clause 0x2
	buffer_load_dword v176, off, s[0:3], 0 offset:604
	buffer_load_dword v156, off, s[0:3], 0 offset:580
	buffer_load_dword v155, off, s[0:3], 0 offset:576
	ds_read_b128 v[5:8], v186 offset:1296
	s_waitcnt vmcnt(58) lgkmcnt(1)
	v_mul_f64 v[171:172], v[127:128], v[181:182]
	s_waitcnt vmcnt(56)
	v_fma_f64 v[179:180], v[1:2], v[183:184], -v[178:179]
	v_mul_f64 v[165:166], v[125:126], v[181:182]
	v_add_f64 v[137:138], v[137:138], v[163:164]
	v_fma_f64 v[163:164], v[3:4], v[183:184], v[208:209]
	v_add_f64 v[129:130], v[129:130], v[159:160]
	s_clause 0x4
	buffer_load_dword v160, off, s[0:3], 0 offset:620
	buffer_load_dword v181, off, s[0:3], 0 offset:632
	;; [unrolled: 1-line block ×5, first 2 shown]
	s_waitcnt vmcnt(57) lgkmcnt(0)
	v_mul_f64 v[208:209], v[5:6], v[193:194]
	v_mul_f64 v[193:194], v[7:8], v[193:194]
	s_waitcnt vmcnt(56)
	v_fma_f64 v[171:172], v[125:126], v[173:174], -v[171:172]
	ds_read_b128 v[1:4], v186 offset:1312
	v_fma_f64 v[165:166], v[127:128], v[173:174], v[165:166]
	v_add_f64 v[137:138], v[137:138], v[179:180]
	v_add_f64 v[129:130], v[129:130], v[163:164]
	s_clause 0x2
	buffer_load_dword v182, off, s[0:3], 0 offset:636
	buffer_load_dword v164, off, s[0:3], 0 offset:612
	;; [unrolled: 1-line block ×3, first 2 shown]
	ds_read_b128 v[125:128], v186 offset:1328
	s_waitcnt vmcnt(58) lgkmcnt(1)
	v_mul_f64 v[179:180], v[3:4], v[195:196]
	v_mul_f64 v[173:174], v[1:2], v[195:196]
	s_waitcnt vmcnt(56)
	v_fma_f64 v[193:194], v[5:6], v[133:134], -v[193:194]
	v_fma_f64 v[133:134], v[7:8], v[133:134], v[208:209]
	v_add_f64 v[137:138], v[137:138], v[171:172]
	v_add_f64 v[129:130], v[129:130], v[165:166]
	s_clause 0x4
	buffer_load_dword v166, off, s[0:3], 0 offset:652
	buffer_load_dword v171, off, s[0:3], 0 offset:664
	buffer_load_dword v195, off, s[0:3], 0 offset:656
	buffer_load_dword v165, off, s[0:3], 0 offset:648
	buffer_load_dword v184, off, s[0:3], 0 offset:628
	ds_read_b128 v[5:8], v186 offset:1344
	s_waitcnt vmcnt(57) lgkmcnt(1)
	v_mul_f64 v[208:209], v[125:126], v[131:132]
	v_mul_f64 v[131:132], v[127:128], v[131:132]
	s_waitcnt vmcnt(56)
	v_fma_f64 v[179:180], v[1:2], v[197:198], -v[179:180]
	v_fma_f64 v[173:174], v[3:4], v[197:198], v[173:174]
	v_add_f64 v[137:138], v[137:138], v[193:194]
	v_add_f64 v[129:130], v[129:130], v[133:134]
	s_clause 0x2
	buffer_load_dword v172, off, s[0:3], 0 offset:668
	buffer_load_dword v134, off, s[0:3], 0 offset:644
	;; [unrolled: 1-line block ×3, first 2 shown]
	s_waitcnt vmcnt(58) lgkmcnt(0)
	v_mul_f64 v[197:198], v[7:8], v[199:200]
	ds_read_b128 v[1:4], v186 offset:1360
	v_mul_f64 v[193:194], v[5:6], v[199:200]
	s_waitcnt vmcnt(56)
	v_fma_f64 v[131:132], v[125:126], v[189:190], -v[131:132]
	v_add_f64 v[137:138], v[137:138], v[179:180]
	v_fma_f64 v[179:180], v[127:128], v[189:190], v[208:209]
	v_add_f64 v[129:130], v[129:130], v[173:174]
	s_clause 0x4
	buffer_load_dword v174, off, s[0:3], 0 offset:684
	buffer_load_dword v189, off, s[0:3], 0 offset:696
	;; [unrolled: 1-line block ×5, first 2 shown]
	ds_read_b128 v[125:128], v186 offset:1376
	s_waitcnt vmcnt(57) lgkmcnt(1)
	v_mul_f64 v[208:209], v[1:2], v[149:150]
	v_mul_f64 v[149:150], v[3:4], v[149:150]
	s_waitcnt vmcnt(56)
	v_fma_f64 v[197:198], v[5:6], v[204:205], -v[197:198]
	v_add_f64 v[131:132], v[137:138], v[131:132]
	v_fma_f64 v[137:138], v[7:8], v[204:205], v[193:194]
	v_add_f64 v[129:130], v[129:130], v[179:180]
	s_clause 0x2
	buffer_load_dword v190, off, s[0:3], 0 offset:700
	buffer_load_dword v180, off, s[0:3], 0 offset:676
	;; [unrolled: 1-line block ×3, first 2 shown]
	ds_read_b128 v[5:8], v186 offset:1392
	s_waitcnt vmcnt(58) lgkmcnt(1)
	v_mul_f64 v[193:194], v[125:126], v[191:192]
	v_mul_f64 v[191:192], v[127:128], v[191:192]
	s_waitcnt vmcnt(56)
	v_fma_f64 v[149:150], v[1:2], v[143:144], -v[149:150]
	v_fma_f64 v[143:144], v[3:4], v[143:144], v[208:209]
	v_add_f64 v[131:132], v[131:132], v[197:198]
	v_add_f64 v[129:130], v[129:130], v[137:138]
	s_clause 0x4
	buffer_load_dword v138, off, s[0:3], 0 offset:716
	buffer_load_dword v197, off, s[0:3], 0 offset:728
	;; [unrolled: 1-line block ×5, first 2 shown]
	ds_read_b128 v[1:4], v186 offset:1408
	s_waitcnt vmcnt(57) lgkmcnt(1)
	v_mul_f64 v[204:205], v[5:6], v[135:136]
	v_mul_f64 v[135:136], v[7:8], v[135:136]
	s_waitcnt vmcnt(56)
	v_fma_f64 v[191:192], v[125:126], v[206:207], -v[191:192]
	v_add_f64 v[131:132], v[131:132], v[149:150]
	v_fma_f64 v[149:150], v[127:128], v[206:207], v[193:194]
	v_add_f64 v[129:130], v[129:130], v[143:144]
	s_clause 0x2
	buffer_load_dword v198, off, s[0:3], 0 offset:732
	buffer_load_dword v144, off, s[0:3], 0 offset:708
	;; [unrolled: 1-line block ×3, first 2 shown]
	ds_read_b128 v[125:128], v186 offset:1424
	s_waitcnt vmcnt(58) lgkmcnt(1)
	v_mul_f64 v[193:194], v[1:2], v[153:154]
	v_mul_f64 v[153:154], v[3:4], v[153:154]
	s_waitcnt vmcnt(56)
	v_fma_f64 v[135:136], v[5:6], v[141:142], -v[135:136]
	v_fma_f64 v[141:142], v[7:8], v[141:142], v[204:205]
	v_add_f64 v[131:132], v[131:132], v[191:192]
	v_add_f64 v[129:130], v[129:130], v[149:150]
	s_clause 0x4
	buffer_load_dword v150, off, s[0:3], 0 offset:748
	buffer_load_dword v191, off, s[0:3], 0 offset:760
	;; [unrolled: 1-line block ×5, first 2 shown]
	ds_read_b128 v[5:8], v186 offset:1440
	s_waitcnt vmcnt(57) lgkmcnt(1)
	v_mul_f64 v[206:207], v[125:126], v[139:140]
	v_mul_f64 v[139:140], v[127:128], v[139:140]
	s_waitcnt vmcnt(56)
	v_fma_f64 v[153:154], v[1:2], v[201:202], -v[153:154]
	v_add_f64 v[131:132], v[131:132], v[135:136]
	v_fma_f64 v[135:136], v[3:4], v[201:202], v[193:194]
	v_add_f64 v[129:130], v[129:130], v[141:142]
	s_clause 0x2
	buffer_load_dword v192, off, s[0:3], 0 offset:764
	buffer_load_dword v142, off, s[0:3], 0 offset:740
	;; [unrolled: 1-line block ×3, first 2 shown]
	s_waitcnt vmcnt(58) lgkmcnt(0)
	v_mul_f64 v[193:194], v[5:6], v[161:162]
	v_mul_f64 v[161:162], v[7:8], v[161:162]
	ds_read_b128 v[1:4], v186 offset:1456
	s_waitcnt vmcnt(56)
	v_fma_f64 v[139:140], v[125:126], v[147:148], -v[139:140]
	v_fma_f64 v[147:148], v[127:128], v[147:148], v[206:207]
	v_add_f64 v[131:132], v[131:132], v[153:154]
	v_add_f64 v[129:130], v[129:130], v[135:136]
	s_clause 0x4
	buffer_load_dword v136, off, s[0:3], 0 offset:780
	buffer_load_dword v153, off, s[0:3], 0 offset:792
	;; [unrolled: 1-line block ×5, first 2 shown]
	ds_read_b128 v[125:128], v186 offset:1472
	s_waitcnt vmcnt(57) lgkmcnt(1)
	v_mul_f64 v[207:208], v[1:2], v[145:146]
	v_mul_f64 v[145:146], v[3:4], v[145:146]
	s_waitcnt vmcnt(56)
	v_fma_f64 v[161:162], v[5:6], v[187:188], -v[161:162]
	v_add_f64 v[131:132], v[131:132], v[139:140]
	v_fma_f64 v[139:140], v[7:8], v[187:188], v[193:194]
	v_add_f64 v[129:130], v[129:130], v[147:148]
	s_clause 0x2
	buffer_load_dword v154, off, s[0:3], 0 offset:796
	buffer_load_dword v148, off, s[0:3], 0 offset:772
	;; [unrolled: 1-line block ×3, first 2 shown]
	s_waitcnt vmcnt(58) lgkmcnt(0)
	v_mul_f64 v[187:188], v[125:126], v[167:168]
	v_mul_f64 v[167:168], v[127:128], v[167:168]
	ds_read_b128 v[5:8], v186 offset:1488
	s_waitcnt vmcnt(56)
	v_fma_f64 v[145:146], v[1:2], v[157:158], -v[145:146]
	v_fma_f64 v[157:158], v[3:4], v[157:158], v[207:208]
	v_add_f64 v[131:132], v[131:132], v[161:162]
	v_add_f64 v[129:130], v[129:130], v[139:140]
	s_clause 0x4
	buffer_load_dword v140, off, s[0:3], 0 offset:812
	buffer_load_dword v161, off, s[0:3], 0 offset:824
	buffer_load_dword v193, off, s[0:3], 0 offset:816
	buffer_load_dword v139, off, s[0:3], 0 offset:808
	buffer_load_dword v202, off, s[0:3], 0 offset:788
	ds_read_b128 v[1:4], v186 offset:1504
	s_waitcnt vmcnt(57) lgkmcnt(1)
	v_mul_f64 v[207:208], v[5:6], v[151:152]
	v_mul_f64 v[151:152], v[7:8], v[151:152]
	s_waitcnt vmcnt(56)
	v_fma_f64 v[167:168], v[125:126], v[169:170], -v[167:168]
	v_add_f64 v[131:132], v[131:132], v[145:146]
	v_fma_f64 v[145:146], v[127:128], v[169:170], v[187:188]
	v_add_f64 v[129:130], v[129:130], v[157:158]
	s_clause 0x2
	buffer_load_dword v162, off, s[0:3], 0 offset:828
	buffer_load_dword v158, off, s[0:3], 0 offset:804
	buffer_load_dword v157, off, s[0:3], 0 offset:800
	ds_read_b128 v[125:128], v186 offset:1520
	s_waitcnt vmcnt(58) lgkmcnt(1)
	v_mul_f64 v[169:170], v[1:2], v[175:176]
	v_mul_f64 v[175:176], v[3:4], v[175:176]
	s_waitcnt vmcnt(56)
	v_fma_f64 v[151:152], v[5:6], v[155:156], -v[151:152]
	v_fma_f64 v[155:156], v[7:8], v[155:156], v[207:208]
	v_add_f64 v[131:132], v[131:132], v[167:168]
	v_add_f64 v[129:130], v[129:130], v[145:146]
	s_clause 0x4
	buffer_load_dword v146, off, s[0:3], 0 offset:844
	buffer_load_dword v167, off, s[0:3], 0 offset:856
	buffer_load_dword v187, off, s[0:3], 0 offset:848
	buffer_load_dword v145, off, s[0:3], 0 offset:840
	buffer_load_dword v194, off, s[0:3], 0 offset:820
	ds_read_b128 v[5:8], v186 offset:1536
	s_waitcnt vmcnt(57) lgkmcnt(1)
	v_mul_f64 v[207:208], v[125:126], v[159:160]
	v_mul_f64 v[159:160], v[127:128], v[159:160]
	s_waitcnt vmcnt(56)
	v_fma_f64 v[175:176], v[1:2], v[177:178], -v[175:176]
	v_add_f64 v[131:132], v[131:132], v[151:152]
	v_fma_f64 v[151:152], v[3:4], v[177:178], v[169:170]
	v_add_f64 v[129:130], v[129:130], v[155:156]
	s_clause 0x2
	buffer_load_dword v168, off, s[0:3], 0 offset:860
	buffer_load_dword v156, off, s[0:3], 0 offset:836
	buffer_load_dword v155, off, s[0:3], 0 offset:832
	ds_read_b128 v[1:4], v186 offset:1552
	s_waitcnt vmcnt(58) lgkmcnt(1)
	v_mul_f64 v[177:178], v[7:8], v[181:182]
	v_mul_f64 v[169:170], v[5:6], v[181:182]
	;; [unrolled: 28-line block ×4, first 2 shown]
	s_waitcnt vmcnt(56)
	v_fma_f64 v[173:174], v[5:6], v[179:180], -v[173:174]
	v_add_f64 v[131:132], v[131:132], v[171:172]
	v_fma_f64 v[171:172], v[7:8], v[179:180], v[207:208]
	v_add_f64 v[129:130], v[129:130], v[165:166]
	s_clause 0x2
	buffer_load_dword v166, off, s[0:3], 0 offset:940
	buffer_load_dword v165, off, s[0:3], 0 offset:936
	;; [unrolled: 1-line block ×3, first 2 shown]
	ds_read_b128 v[5:8], v186 offset:1632
	s_waitcnt vmcnt(55) lgkmcnt(1)
	v_mul_f64 v[179:180], v[125:126], v[137:138]
	v_mul_f64 v[137:138], v[127:128], v[137:138]
	s_waitcnt vmcnt(54)
	v_fma_f64 v[189:190], v[1:2], v[199:200], -v[189:190]
	v_fma_f64 v[169:170], v[3:4], v[199:200], v[169:170]
	v_add_f64 v[131:132], v[131:132], v[173:174]
	v_add_f64 v[129:130], v[129:130], v[171:172]
	s_clause 0x1
	buffer_load_dword v172, off, s[0:3], 0 offset:932
	buffer_load_dword v171, off, s[0:3], 0 offset:928
	ds_read_b128 v[1:4], v186 offset:1648
	s_waitcnt vmcnt(55) lgkmcnt(1)
	v_mul_f64 v[195:196], v[7:8], v[197:198]
	v_mul_f64 v[173:174], v[5:6], v[197:198]
	s_waitcnt vmcnt(53)
	v_fma_f64 v[137:138], v[125:126], v[143:144], -v[137:138]
	v_fma_f64 v[143:144], v[127:128], v[143:144], v[179:180]
	ds_read_b128 v[125:128], v186 offset:1664
	v_add_f64 v[131:132], v[131:132], v[189:190]
	v_add_f64 v[129:130], v[129:130], v[169:170]
	s_waitcnt vmcnt(49) lgkmcnt(1)
	v_mul_f64 v[169:170], v[1:2], v[149:150]
	v_mul_f64 v[149:150], v[3:4], v[149:150]
	s_waitcnt vmcnt(48)
	v_fma_f64 v[179:180], v[5:6], v[203:204], -v[195:196]
	v_add_f64 v[131:132], v[131:132], v[137:138]
	v_fma_f64 v[137:138], v[7:8], v[203:204], v[173:174]
	v_add_f64 v[129:130], v[129:130], v[143:144]
	s_clause 0x3
	buffer_load_dword v143, off, s[0:3], 0 offset:128
	buffer_load_dword v144, off, s[0:3], 0 offset:132
	;; [unrolled: 1-line block ×4, first 2 shown]
	ds_read_b128 v[5:8], v186 offset:1680
	s_waitcnt vmcnt(51) lgkmcnt(1)
	v_mul_f64 v[189:190], v[125:126], v[191:192]
	v_mul_f64 v[191:192], v[127:128], v[191:192]
	s_waitcnt vmcnt(49)
	v_fma_f64 v[149:150], v[1:2], v[141:142], -v[149:150]
	v_fma_f64 v[141:142], v[3:4], v[141:142], v[169:170]
	ds_read_b128 v[1:4], v186 offset:1696
	v_add_f64 v[131:132], v[131:132], v[179:180]
	v_add_f64 v[129:130], v[129:130], v[137:138]
	s_waitcnt vmcnt(45) lgkmcnt(1)
	v_mul_f64 v[137:138], v[5:6], v[135:136]
	v_mul_f64 v[135:136], v[7:8], v[135:136]
	s_waitcnt vmcnt(44)
	v_fma_f64 v[169:170], v[125:126], v[205:206], -v[191:192]
	v_add_f64 v[131:132], v[131:132], v[149:150]
	v_fma_f64 v[149:150], v[127:128], v[205:206], v[189:190]
	v_add_f64 v[129:130], v[129:130], v[141:142]
	ds_read_b128 v[125:128], v186 offset:1712
	s_waitcnt vmcnt(43) lgkmcnt(1)
	v_mul_f64 v[141:142], v[1:2], v[153:154]
	v_mul_f64 v[153:154], v[3:4], v[153:154]
	s_waitcnt vmcnt(41)
	v_fma_f64 v[135:136], v[5:6], v[147:148], -v[135:136]
	v_fma_f64 v[137:138], v[7:8], v[147:148], v[137:138]
	ds_read_b128 v[5:8], v186 offset:1728
	v_add_f64 v[131:132], v[131:132], v[169:170]
	v_add_f64 v[129:130], v[129:130], v[149:150]
	s_waitcnt vmcnt(37) lgkmcnt(1)
	v_mul_f64 v[147:148], v[125:126], v[139:140]
	v_mul_f64 v[139:140], v[127:128], v[139:140]
	s_waitcnt vmcnt(36)
	v_fma_f64 v[149:150], v[1:2], v[201:202], -v[153:154]
	v_add_f64 v[131:132], v[131:132], v[135:136]
	v_fma_f64 v[135:136], v[3:4], v[201:202], v[141:142]
	v_add_f64 v[129:130], v[129:130], v[137:138]
	ds_read_b128 v[1:4], v186 offset:1744
	s_waitcnt vmcnt(35) lgkmcnt(1)
	v_mul_f64 v[141:142], v[7:8], v[161:162]
	v_mul_f64 v[137:138], v[5:6], v[161:162]
	s_waitcnt vmcnt(33)
	v_fma_f64 v[139:140], v[125:126], v[157:158], -v[139:140]
	v_fma_f64 v[147:148], v[127:128], v[157:158], v[147:148]
	ds_read_b128 v[125:128], v186 offset:1760
	v_add_f64 v[131:132], v[131:132], v[149:150]
	v_add_f64 v[129:130], v[129:130], v[135:136]
	s_waitcnt vmcnt(29) lgkmcnt(1)
	v_mul_f64 v[135:136], v[1:2], v[145:146]
	v_mul_f64 v[145:146], v[3:4], v[145:146]
	s_waitcnt vmcnt(28)
	v_fma_f64 v[141:142], v[5:6], v[193:194], -v[141:142]
	v_fma_f64 v[137:138], v[7:8], v[193:194], v[137:138]
	ds_read_b128 v[5:8], v186 offset:1776
	v_add_f64 v[131:132], v[131:132], v[139:140]
	v_add_f64 v[129:130], v[129:130], v[147:148]
	;; [unrolled: 9-line block ×3, first 2 shown]
	s_waitcnt vmcnt(21) lgkmcnt(1)
	v_mul_f64 v[141:142], v[7:8], v[151:152]
	s_waitcnt vmcnt(20)
	v_fma_f64 v[147:148], v[125:126], v[187:188], -v[147:148]
	v_mul_f64 v[137:138], v[5:6], v[151:152]
	v_fma_f64 v[139:140], v[127:128], v[187:188], v[139:140]
	ds_read_b128 v[125:128], v186 offset:1808
	v_add_f64 v[131:132], v[131:132], v[145:146]
	v_add_f64 v[129:130], v[129:130], v[135:136]
	s_waitcnt vmcnt(19) lgkmcnt(1)
	v_mul_f64 v[145:146], v[3:4], v[175:176]
	v_mul_f64 v[135:136], v[1:2], v[175:176]
	s_waitcnt vmcnt(17)
	v_fma_f64 v[141:142], v[5:6], v[163:164], -v[141:142]
	v_fma_f64 v[137:138], v[7:8], v[163:164], v[137:138]
	ds_read_b128 v[5:8], v186 offset:1824
	v_add_f64 v[131:132], v[131:132], v[147:148]
	v_add_f64 v[129:130], v[129:130], v[139:140]
	s_waitcnt vmcnt(13) lgkmcnt(1)
	v_mul_f64 v[147:148], v[127:128], v[159:160]
	s_waitcnt vmcnt(12)
	v_fma_f64 v[145:146], v[1:2], v[181:182], -v[145:146]
	v_mul_f64 v[139:140], v[125:126], v[159:160]
	v_fma_f64 v[135:136], v[3:4], v[181:182], v[135:136]
	ds_read_b128 v[1:4], v186 offset:1840
	v_add_f64 v[131:132], v[131:132], v[141:142]
	v_add_f64 v[129:130], v[129:130], v[137:138]
	s_waitcnt vmcnt(11) lgkmcnt(1)
	v_mul_f64 v[141:142], v[7:8], v[177:178]
	v_mul_f64 v[137:138], v[5:6], v[177:178]
	s_waitcnt vmcnt(9)
	v_fma_f64 v[125:126], v[125:126], v[133:134], -v[147:148]
	v_fma_f64 v[127:128], v[127:128], v[133:134], v[139:140]
	v_add_f64 v[131:132], v[131:132], v[145:146]
	v_add_f64 v[129:130], v[129:130], v[135:136]
	s_waitcnt vmcnt(7) lgkmcnt(0)
	v_mul_f64 v[135:136], v[3:4], v[165:166]
	s_waitcnt vmcnt(6)
	v_fma_f64 v[5:6], v[5:6], v[183:184], -v[141:142]
	v_mul_f64 v[133:134], v[1:2], v[165:166]
	v_fma_f64 v[7:8], v[7:8], v[183:184], v[137:138]
	v_add_f64 v[125:126], v[131:132], v[125:126]
	v_add_f64 v[127:128], v[129:130], v[127:128]
	s_waitcnt vmcnt(4)
	v_fma_f64 v[1:2], v[1:2], v[171:172], -v[135:136]
	v_fma_f64 v[3:4], v[3:4], v[171:172], v[133:134]
	v_add_f64 v[5:6], v[125:126], v[5:6]
	v_add_f64 v[7:8], v[127:128], v[7:8]
	;; [unrolled: 1-line block ×4, first 2 shown]
	s_waitcnt vmcnt(2)
	v_add_f64 v[1:2], v[143:144], -v[1:2]
	s_waitcnt vmcnt(0)
	v_add_f64 v[3:4], v[173:174], -v[3:4]
	buffer_store_dword v2, off, s[0:3], 0 offset:132
	buffer_store_dword v1, off, s[0:3], 0 offset:128
	;; [unrolled: 1-line block ×4, first 2 shown]
	v_cmpx_lt_u32_e32 6, v0
	s_cbranch_execz .LBB121_349
; %bb.348:
	v_mov_b32_e32 v4, s64
	v_mov_b32_e32 v5, 0
	s_clause 0x3
	buffer_load_dword v1, v4, s[0:3], 0 offen
	buffer_load_dword v2, v4, s[0:3], 0 offen offset:4
	buffer_load_dword v3, v4, s[0:3], 0 offen offset:8
	;; [unrolled: 1-line block ×3, first 2 shown]
	buffer_store_dword v5, off, s[0:3], 0 offset:112
	buffer_store_dword v5, off, s[0:3], 0 offset:116
	;; [unrolled: 1-line block ×4, first 2 shown]
	s_waitcnt vmcnt(0)
	ds_write_b128 v185, v[1:4]
.LBB121_349:
	s_or_b32 exec_lo, exec_lo, s4
	s_waitcnt lgkmcnt(0)
	s_waitcnt_vscnt null, 0x0
	s_barrier
	buffer_gl0_inv
	s_clause 0x37
	buffer_load_dword v133, off, s[0:3], 0 offset:136
	buffer_load_dword v134, off, s[0:3], 0 offset:140
	;; [unrolled: 1-line block ×56, first 2 shown]
	v_mov_b32_e32 v186, 0
	s_mov_b32 s4, exec_lo
	ds_read_b128 v[5:8], v186 offset:1040
	s_clause 0x2
	buffer_load_dword v182, off, s[0:3], 0 offset:364
	buffer_load_dword v184, off, s[0:3], 0 offset:340
	;; [unrolled: 1-line block ×3, first 2 shown]
	ds_read_b128 v[1:4], v186 offset:1056
	s_clause 0x4
	buffer_load_dword v194, off, s[0:3], 0 offset:380
	buffer_load_dword v195, off, s[0:3], 0 offset:392
	;; [unrolled: 1-line block ×5, first 2 shown]
	ds_read_b128 v[187:190], v186 offset:1072
	s_waitcnt vmcnt(62) lgkmcnt(2)
	v_mul_f64 v[191:192], v[7:8], v[133:134]
	v_mul_f64 v[133:134], v[5:6], v[133:134]
	s_waitcnt vmcnt(60) lgkmcnt(1)
	v_mul_f64 v[198:199], v[3:4], v[129:130]
	v_mul_f64 v[129:130], v[1:2], v[129:130]
	;; [unrolled: 3-line block ×3, first 2 shown]
	v_fma_f64 v[191:192], v[5:6], v[131:132], -v[191:192]
	v_fma_f64 v[131:132], v[7:8], v[131:132], v[133:134]
	s_clause 0x2
	buffer_load_dword v196, off, s[0:3], 0 offset:396
	buffer_load_dword v134, off, s[0:3], 0 offset:372
	;; [unrolled: 1-line block ×3, first 2 shown]
	s_waitcnt vmcnt(57)
	v_fma_f64 v[202:203], v[1:2], v[125:126], -v[198:199]
	ds_read_b128 v[5:8], v186 offset:1088
	v_fma_f64 v[125:126], v[3:4], v[125:126], v[129:130]
	s_waitcnt vmcnt(51)
	v_fma_f64 v[187:188], v[187:188], v[149:150], -v[127:128]
	v_fma_f64 v[149:150], v[189:190], v[149:150], v[200:201]
	v_add_f64 v[191:192], v[191:192], 0
	v_add_f64 v[129:130], v[131:132], 0
	s_clause 0x4
	buffer_load_dword v132, off, s[0:3], 0 offset:412
	buffer_load_dword v199, off, s[0:3], 0 offset:424
	;; [unrolled: 1-line block ×5, first 2 shown]
	s_waitcnt lgkmcnt(0)
	v_mul_f64 v[205:206], v[5:6], v[137:138]
	v_mul_f64 v[137:138], v[7:8], v[137:138]
	ds_read_b128 v[1:4], v186 offset:1104
	s_clause 0x2
	buffer_load_dword v200, off, s[0:3], 0 offset:428
	buffer_load_dword v190, off, s[0:3], 0 offset:404
	;; [unrolled: 1-line block ×3, first 2 shown]
	v_add_f64 v[191:192], v[191:192], v[202:203]
	v_add_f64 v[129:130], v[129:130], v[125:126]
	ds_read_b128 v[125:128], v186 offset:1120
	s_waitcnt vmcnt(58) lgkmcnt(1)
	v_mul_f64 v[201:202], v[1:2], v[141:142]
	v_mul_f64 v[141:142], v[3:4], v[141:142]
	s_waitcnt vmcnt(56)
	v_fma_f64 v[137:138], v[5:6], v[143:144], -v[137:138]
	v_fma_f64 v[143:144], v[7:8], v[143:144], v[205:206]
	s_waitcnt vmcnt(52) lgkmcnt(0)
	v_mul_f64 v[207:208], v[125:126], v[145:146]
	v_add_f64 v[187:188], v[191:192], v[187:188]
	v_add_f64 v[129:130], v[129:130], v[149:150]
	s_clause 0x4
	buffer_load_dword v150, off, s[0:3], 0 offset:444
	buffer_load_dword v191, off, s[0:3], 0 offset:456
	;; [unrolled: 1-line block ×5, first 2 shown]
	v_mul_f64 v[145:146], v[127:128], v[145:146]
	s_waitcnt vmcnt(56)
	v_fma_f64 v[141:142], v[1:2], v[135:136], -v[141:142]
	ds_read_b128 v[5:8], v186 offset:1136
	v_fma_f64 v[135:136], v[3:4], v[135:136], v[201:202]
	v_add_f64 v[137:138], v[187:188], v[137:138]
	v_add_f64 v[129:130], v[129:130], v[143:144]
	s_clause 0x2
	buffer_load_dword v192, off, s[0:3], 0 offset:460
	buffer_load_dword v144, off, s[0:3], 0 offset:436
	;; [unrolled: 1-line block ×3, first 2 shown]
	s_waitcnt vmcnt(58) lgkmcnt(0)
	v_mul_f64 v[187:188], v[5:6], v[151:152]
	v_mul_f64 v[151:152], v[7:8], v[151:152]
	s_waitcnt vmcnt(56)
	v_fma_f64 v[145:146], v[125:126], v[153:154], -v[145:146]
	ds_read_b128 v[1:4], v186 offset:1152
	v_add_f64 v[137:138], v[137:138], v[141:142]
	v_fma_f64 v[141:142], v[127:128], v[153:154], v[207:208]
	v_add_f64 v[129:130], v[129:130], v[135:136]
	s_clause 0x4
	buffer_load_dword v136, off, s[0:3], 0 offset:476
	buffer_load_dword v153, off, s[0:3], 0 offset:488
	buffer_load_dword v201, off, s[0:3], 0 offset:480
	buffer_load_dword v135, off, s[0:3], 0 offset:472
	buffer_load_dword v207, off, s[0:3], 0 offset:452
	s_waitcnt vmcnt(57) lgkmcnt(0)
	v_mul_f64 v[202:203], v[1:2], v[155:156]
	v_mul_f64 v[155:156], v[3:4], v[155:156]
	s_waitcnt vmcnt(56)
	v_fma_f64 v[151:152], v[5:6], v[139:140], -v[151:152]
	ds_read_b128 v[125:128], v186 offset:1168
	v_fma_f64 v[139:140], v[7:8], v[139:140], v[187:188]
	v_add_f64 v[137:138], v[137:138], v[145:146]
	v_add_f64 v[129:130], v[129:130], v[141:142]
	s_clause 0x2
	buffer_load_dword v154, off, s[0:3], 0 offset:492
	buffer_load_dword v142, off, s[0:3], 0 offset:468
	;; [unrolled: 1-line block ×3, first 2 shown]
	ds_read_b128 v[5:8], v186 offset:1184
	s_waitcnt vmcnt(58) lgkmcnt(1)
	v_mul_f64 v[145:146], v[125:126], v[159:160]
	v_mul_f64 v[159:160], v[127:128], v[159:160]
	s_waitcnt vmcnt(56)
	v_fma_f64 v[155:156], v[1:2], v[161:162], -v[155:156]
	v_add_f64 v[137:138], v[137:138], v[151:152]
	v_fma_f64 v[151:152], v[3:4], v[161:162], v[202:203]
	v_add_f64 v[129:130], v[129:130], v[139:140]
	s_clause 0x4
	buffer_load_dword v140, off, s[0:3], 0 offset:508
	buffer_load_dword v161, off, s[0:3], 0 offset:520
	;; [unrolled: 1-line block ×5, first 2 shown]
	s_waitcnt vmcnt(57) lgkmcnt(0)
	v_mul_f64 v[208:209], v[5:6], v[163:164]
	v_mul_f64 v[163:164], v[7:8], v[163:164]
	s_waitcnt vmcnt(56)
	v_fma_f64 v[159:160], v[125:126], v[147:148], -v[159:160]
	ds_read_b128 v[1:4], v186 offset:1200
	v_fma_f64 v[145:146], v[127:128], v[147:148], v[145:146]
	s_clause 0x2
	buffer_load_dword v162, off, s[0:3], 0 offset:524
	buffer_load_dword v148, off, s[0:3], 0 offset:500
	;; [unrolled: 1-line block ×3, first 2 shown]
	ds_read_b128 v[125:128], v186 offset:1216
	v_add_f64 v[137:138], v[137:138], v[155:156]
	v_add_f64 v[129:130], v[129:130], v[151:152]
	s_waitcnt vmcnt(58) lgkmcnt(1)
	v_mul_f64 v[155:156], v[3:4], v[167:168]
	s_waitcnt vmcnt(56)
	v_fma_f64 v[163:164], v[5:6], v[169:170], -v[163:164]
	v_mul_f64 v[151:152], v[1:2], v[167:168]
	v_add_f64 v[137:138], v[137:138], v[159:160]
	v_fma_f64 v[159:160], v[7:8], v[169:170], v[208:209]
	v_add_f64 v[129:130], v[129:130], v[145:146]
	s_clause 0x4
	buffer_load_dword v146, off, s[0:3], 0 offset:540
	buffer_load_dword v167, off, s[0:3], 0 offset:552
	;; [unrolled: 1-line block ×5, first 2 shown]
	s_waitcnt vmcnt(57) lgkmcnt(0)
	v_mul_f64 v[208:209], v[125:126], v[171:172]
	v_mul_f64 v[170:171], v[127:128], v[171:172]
	s_waitcnt vmcnt(56)
	v_fma_f64 v[155:156], v[1:2], v[157:158], -v[155:156]
	ds_read_b128 v[5:8], v186 offset:1232
	v_fma_f64 v[151:152], v[3:4], v[157:158], v[151:152]
	s_clause 0x2
	buffer_load_dword v168, off, s[0:3], 0 offset:556
	buffer_load_dword v158, off, s[0:3], 0 offset:532
	;; [unrolled: 1-line block ×3, first 2 shown]
	ds_read_b128 v[1:4], v186 offset:1248
	v_add_f64 v[137:138], v[137:138], v[163:164]
	v_add_f64 v[129:130], v[129:130], v[159:160]
	s_waitcnt vmcnt(58) lgkmcnt(1)
	v_mul_f64 v[163:164], v[7:8], v[175:176]
	s_waitcnt vmcnt(56)
	v_fma_f64 v[171:172], v[125:126], v[177:178], -v[170:171]
	v_mul_f64 v[159:160], v[5:6], v[175:176]
	v_add_f64 v[137:138], v[137:138], v[155:156]
	v_fma_f64 v[155:156], v[127:128], v[177:178], v[208:209]
	v_add_f64 v[129:130], v[129:130], v[151:152]
	s_clause 0x4
	buffer_load_dword v152, off, s[0:3], 0 offset:572
	buffer_load_dword v175, off, s[0:3], 0 offset:584
	;; [unrolled: 1-line block ×5, first 2 shown]
	s_waitcnt vmcnt(57) lgkmcnt(0)
	v_mul_f64 v[208:209], v[1:2], v[179:180]
	v_mul_f64 v[178:179], v[3:4], v[179:180]
	s_waitcnt vmcnt(56)
	v_fma_f64 v[163:164], v[5:6], v[165:166], -v[163:164]
	ds_read_b128 v[125:128], v186 offset:1264
	v_fma_f64 v[159:160], v[7:8], v[165:166], v[159:160]
	v_add_f64 v[137:138], v[137:138], v[171:172]
	v_add_f64 v[129:130], v[129:130], v[155:156]
	s_clause 0x2
	buffer_load_dword v176, off, s[0:3], 0 offset:588
	buffer_load_dword v156, off, s[0:3], 0 offset:564
	buffer_load_dword v155, off, s[0:3], 0 offset:560
	ds_read_b128 v[5:8], v186 offset:1280
	s_waitcnt vmcnt(58) lgkmcnt(1)
	v_mul_f64 v[171:172], v[127:128], v[181:182]
	s_waitcnt vmcnt(56)
	v_fma_f64 v[179:180], v[1:2], v[183:184], -v[178:179]
	v_mul_f64 v[165:166], v[125:126], v[181:182]
	v_add_f64 v[137:138], v[137:138], v[163:164]
	v_fma_f64 v[163:164], v[3:4], v[183:184], v[208:209]
	v_add_f64 v[129:130], v[129:130], v[159:160]
	s_clause 0x4
	buffer_load_dword v160, off, s[0:3], 0 offset:604
	buffer_load_dword v181, off, s[0:3], 0 offset:616
	;; [unrolled: 1-line block ×5, first 2 shown]
	s_waitcnt vmcnt(57) lgkmcnt(0)
	v_mul_f64 v[208:209], v[5:6], v[193:194]
	v_mul_f64 v[193:194], v[7:8], v[193:194]
	s_waitcnt vmcnt(56)
	v_fma_f64 v[171:172], v[125:126], v[173:174], -v[171:172]
	ds_read_b128 v[1:4], v186 offset:1296
	v_fma_f64 v[165:166], v[127:128], v[173:174], v[165:166]
	v_add_f64 v[137:138], v[137:138], v[179:180]
	v_add_f64 v[129:130], v[129:130], v[163:164]
	s_clause 0x2
	buffer_load_dword v182, off, s[0:3], 0 offset:620
	buffer_load_dword v164, off, s[0:3], 0 offset:596
	;; [unrolled: 1-line block ×3, first 2 shown]
	ds_read_b128 v[125:128], v186 offset:1312
	s_waitcnt vmcnt(58) lgkmcnt(1)
	v_mul_f64 v[179:180], v[3:4], v[195:196]
	v_mul_f64 v[173:174], v[1:2], v[195:196]
	s_waitcnt vmcnt(56)
	v_fma_f64 v[193:194], v[5:6], v[133:134], -v[193:194]
	v_fma_f64 v[133:134], v[7:8], v[133:134], v[208:209]
	v_add_f64 v[137:138], v[137:138], v[171:172]
	v_add_f64 v[129:130], v[129:130], v[165:166]
	s_clause 0x4
	buffer_load_dword v166, off, s[0:3], 0 offset:636
	buffer_load_dword v171, off, s[0:3], 0 offset:648
	buffer_load_dword v195, off, s[0:3], 0 offset:640
	buffer_load_dword v165, off, s[0:3], 0 offset:632
	buffer_load_dword v184, off, s[0:3], 0 offset:612
	ds_read_b128 v[5:8], v186 offset:1328
	s_waitcnt vmcnt(57) lgkmcnt(1)
	v_mul_f64 v[208:209], v[125:126], v[131:132]
	v_mul_f64 v[131:132], v[127:128], v[131:132]
	s_waitcnt vmcnt(56)
	v_fma_f64 v[179:180], v[1:2], v[197:198], -v[179:180]
	v_fma_f64 v[173:174], v[3:4], v[197:198], v[173:174]
	v_add_f64 v[137:138], v[137:138], v[193:194]
	v_add_f64 v[129:130], v[129:130], v[133:134]
	s_clause 0x2
	buffer_load_dword v172, off, s[0:3], 0 offset:652
	buffer_load_dword v134, off, s[0:3], 0 offset:628
	;; [unrolled: 1-line block ×3, first 2 shown]
	s_waitcnt vmcnt(58) lgkmcnt(0)
	v_mul_f64 v[197:198], v[7:8], v[199:200]
	ds_read_b128 v[1:4], v186 offset:1344
	v_mul_f64 v[193:194], v[5:6], v[199:200]
	s_waitcnt vmcnt(56)
	v_fma_f64 v[131:132], v[125:126], v[189:190], -v[131:132]
	v_add_f64 v[137:138], v[137:138], v[179:180]
	v_fma_f64 v[179:180], v[127:128], v[189:190], v[208:209]
	v_add_f64 v[129:130], v[129:130], v[173:174]
	s_clause 0x4
	buffer_load_dword v174, off, s[0:3], 0 offset:668
	buffer_load_dword v189, off, s[0:3], 0 offset:680
	;; [unrolled: 1-line block ×5, first 2 shown]
	ds_read_b128 v[125:128], v186 offset:1360
	s_waitcnt vmcnt(57) lgkmcnt(1)
	v_mul_f64 v[208:209], v[1:2], v[149:150]
	v_mul_f64 v[149:150], v[3:4], v[149:150]
	s_waitcnt vmcnt(56)
	v_fma_f64 v[197:198], v[5:6], v[204:205], -v[197:198]
	v_add_f64 v[131:132], v[137:138], v[131:132]
	v_fma_f64 v[137:138], v[7:8], v[204:205], v[193:194]
	v_add_f64 v[129:130], v[129:130], v[179:180]
	s_clause 0x2
	buffer_load_dword v190, off, s[0:3], 0 offset:684
	buffer_load_dword v180, off, s[0:3], 0 offset:660
	;; [unrolled: 1-line block ×3, first 2 shown]
	ds_read_b128 v[5:8], v186 offset:1376
	s_waitcnt vmcnt(58) lgkmcnt(1)
	v_mul_f64 v[193:194], v[125:126], v[191:192]
	v_mul_f64 v[191:192], v[127:128], v[191:192]
	s_waitcnt vmcnt(56)
	v_fma_f64 v[149:150], v[1:2], v[143:144], -v[149:150]
	v_fma_f64 v[143:144], v[3:4], v[143:144], v[208:209]
	v_add_f64 v[131:132], v[131:132], v[197:198]
	v_add_f64 v[129:130], v[129:130], v[137:138]
	s_clause 0x4
	buffer_load_dword v138, off, s[0:3], 0 offset:700
	buffer_load_dword v197, off, s[0:3], 0 offset:712
	;; [unrolled: 1-line block ×5, first 2 shown]
	ds_read_b128 v[1:4], v186 offset:1392
	s_waitcnt vmcnt(57) lgkmcnt(1)
	v_mul_f64 v[204:205], v[5:6], v[135:136]
	v_mul_f64 v[135:136], v[7:8], v[135:136]
	s_waitcnt vmcnt(56)
	v_fma_f64 v[191:192], v[125:126], v[206:207], -v[191:192]
	v_add_f64 v[131:132], v[131:132], v[149:150]
	v_fma_f64 v[149:150], v[127:128], v[206:207], v[193:194]
	v_add_f64 v[129:130], v[129:130], v[143:144]
	s_clause 0x2
	buffer_load_dword v198, off, s[0:3], 0 offset:716
	buffer_load_dword v144, off, s[0:3], 0 offset:692
	;; [unrolled: 1-line block ×3, first 2 shown]
	ds_read_b128 v[125:128], v186 offset:1408
	s_waitcnt vmcnt(58) lgkmcnt(1)
	v_mul_f64 v[193:194], v[1:2], v[153:154]
	v_mul_f64 v[153:154], v[3:4], v[153:154]
	s_waitcnt vmcnt(56)
	v_fma_f64 v[135:136], v[5:6], v[141:142], -v[135:136]
	v_fma_f64 v[141:142], v[7:8], v[141:142], v[204:205]
	v_add_f64 v[131:132], v[131:132], v[191:192]
	v_add_f64 v[129:130], v[129:130], v[149:150]
	s_clause 0x4
	buffer_load_dword v150, off, s[0:3], 0 offset:732
	buffer_load_dword v191, off, s[0:3], 0 offset:744
	;; [unrolled: 1-line block ×5, first 2 shown]
	ds_read_b128 v[5:8], v186 offset:1424
	s_waitcnt vmcnt(57) lgkmcnt(1)
	v_mul_f64 v[206:207], v[125:126], v[139:140]
	v_mul_f64 v[139:140], v[127:128], v[139:140]
	s_waitcnt vmcnt(56)
	v_fma_f64 v[153:154], v[1:2], v[201:202], -v[153:154]
	v_add_f64 v[131:132], v[131:132], v[135:136]
	v_fma_f64 v[135:136], v[3:4], v[201:202], v[193:194]
	v_add_f64 v[129:130], v[129:130], v[141:142]
	s_clause 0x2
	buffer_load_dword v192, off, s[0:3], 0 offset:748
	buffer_load_dword v142, off, s[0:3], 0 offset:724
	;; [unrolled: 1-line block ×3, first 2 shown]
	s_waitcnt vmcnt(58) lgkmcnt(0)
	v_mul_f64 v[193:194], v[5:6], v[161:162]
	v_mul_f64 v[161:162], v[7:8], v[161:162]
	ds_read_b128 v[1:4], v186 offset:1440
	s_waitcnt vmcnt(56)
	v_fma_f64 v[139:140], v[125:126], v[147:148], -v[139:140]
	v_fma_f64 v[147:148], v[127:128], v[147:148], v[206:207]
	v_add_f64 v[131:132], v[131:132], v[153:154]
	v_add_f64 v[129:130], v[129:130], v[135:136]
	s_clause 0x4
	buffer_load_dword v136, off, s[0:3], 0 offset:764
	buffer_load_dword v153, off, s[0:3], 0 offset:776
	;; [unrolled: 1-line block ×5, first 2 shown]
	ds_read_b128 v[125:128], v186 offset:1456
	s_waitcnt vmcnt(57) lgkmcnt(1)
	v_mul_f64 v[207:208], v[1:2], v[145:146]
	v_mul_f64 v[145:146], v[3:4], v[145:146]
	s_waitcnt vmcnt(56)
	v_fma_f64 v[161:162], v[5:6], v[187:188], -v[161:162]
	v_add_f64 v[131:132], v[131:132], v[139:140]
	v_fma_f64 v[139:140], v[7:8], v[187:188], v[193:194]
	v_add_f64 v[129:130], v[129:130], v[147:148]
	s_clause 0x2
	buffer_load_dword v154, off, s[0:3], 0 offset:780
	buffer_load_dword v148, off, s[0:3], 0 offset:756
	;; [unrolled: 1-line block ×3, first 2 shown]
	s_waitcnt vmcnt(58) lgkmcnt(0)
	v_mul_f64 v[187:188], v[125:126], v[167:168]
	v_mul_f64 v[167:168], v[127:128], v[167:168]
	ds_read_b128 v[5:8], v186 offset:1472
	s_waitcnt vmcnt(56)
	v_fma_f64 v[145:146], v[1:2], v[157:158], -v[145:146]
	v_fma_f64 v[157:158], v[3:4], v[157:158], v[207:208]
	v_add_f64 v[131:132], v[131:132], v[161:162]
	v_add_f64 v[129:130], v[129:130], v[139:140]
	s_clause 0x4
	buffer_load_dword v140, off, s[0:3], 0 offset:796
	buffer_load_dword v161, off, s[0:3], 0 offset:808
	buffer_load_dword v193, off, s[0:3], 0 offset:800
	buffer_load_dword v139, off, s[0:3], 0 offset:792
	buffer_load_dword v202, off, s[0:3], 0 offset:772
	ds_read_b128 v[1:4], v186 offset:1488
	s_waitcnt vmcnt(57) lgkmcnt(1)
	v_mul_f64 v[207:208], v[5:6], v[151:152]
	v_mul_f64 v[151:152], v[7:8], v[151:152]
	s_waitcnt vmcnt(56)
	v_fma_f64 v[167:168], v[125:126], v[169:170], -v[167:168]
	v_add_f64 v[131:132], v[131:132], v[145:146]
	v_fma_f64 v[145:146], v[127:128], v[169:170], v[187:188]
	v_add_f64 v[129:130], v[129:130], v[157:158]
	s_clause 0x2
	buffer_load_dword v162, off, s[0:3], 0 offset:812
	buffer_load_dword v158, off, s[0:3], 0 offset:788
	buffer_load_dword v157, off, s[0:3], 0 offset:784
	ds_read_b128 v[125:128], v186 offset:1504
	s_waitcnt vmcnt(58) lgkmcnt(1)
	v_mul_f64 v[169:170], v[1:2], v[175:176]
	v_mul_f64 v[175:176], v[3:4], v[175:176]
	s_waitcnt vmcnt(56)
	v_fma_f64 v[151:152], v[5:6], v[155:156], -v[151:152]
	v_fma_f64 v[155:156], v[7:8], v[155:156], v[207:208]
	v_add_f64 v[131:132], v[131:132], v[167:168]
	v_add_f64 v[129:130], v[129:130], v[145:146]
	s_clause 0x4
	buffer_load_dword v146, off, s[0:3], 0 offset:828
	buffer_load_dword v167, off, s[0:3], 0 offset:840
	buffer_load_dword v187, off, s[0:3], 0 offset:832
	buffer_load_dword v145, off, s[0:3], 0 offset:824
	buffer_load_dword v194, off, s[0:3], 0 offset:804
	ds_read_b128 v[5:8], v186 offset:1520
	s_waitcnt vmcnt(57) lgkmcnt(1)
	v_mul_f64 v[207:208], v[125:126], v[159:160]
	v_mul_f64 v[159:160], v[127:128], v[159:160]
	s_waitcnt vmcnt(56)
	v_fma_f64 v[175:176], v[1:2], v[177:178], -v[175:176]
	v_add_f64 v[131:132], v[131:132], v[151:152]
	v_fma_f64 v[151:152], v[3:4], v[177:178], v[169:170]
	v_add_f64 v[129:130], v[129:130], v[155:156]
	s_clause 0x2
	buffer_load_dword v168, off, s[0:3], 0 offset:844
	buffer_load_dword v156, off, s[0:3], 0 offset:820
	buffer_load_dword v155, off, s[0:3], 0 offset:816
	ds_read_b128 v[1:4], v186 offset:1536
	s_waitcnt vmcnt(58) lgkmcnt(1)
	v_mul_f64 v[177:178], v[7:8], v[181:182]
	v_mul_f64 v[169:170], v[5:6], v[181:182]
	;; [unrolled: 28-line block ×4, first 2 shown]
	s_waitcnt vmcnt(56)
	v_fma_f64 v[173:174], v[5:6], v[179:180], -v[173:174]
	v_add_f64 v[131:132], v[131:132], v[171:172]
	v_fma_f64 v[171:172], v[7:8], v[179:180], v[207:208]
	v_add_f64 v[129:130], v[129:130], v[165:166]
	s_clause 0x4
	buffer_load_dword v166, off, s[0:3], 0 offset:924
	buffer_load_dword v179, off, s[0:3], 0 offset:936
	;; [unrolled: 1-line block ×5, first 2 shown]
	ds_read_b128 v[5:8], v186 offset:1616
	s_waitcnt vmcnt(57) lgkmcnt(1)
	v_mul_f64 v[207:208], v[125:126], v[137:138]
	v_mul_f64 v[137:138], v[127:128], v[137:138]
	s_waitcnt vmcnt(56)
	v_fma_f64 v[189:190], v[1:2], v[199:200], -v[189:190]
	v_fma_f64 v[169:170], v[3:4], v[199:200], v[169:170]
	v_add_f64 v[131:132], v[131:132], v[173:174]
	v_add_f64 v[129:130], v[129:130], v[171:172]
	s_clause 0x2
	buffer_load_dword v180, off, s[0:3], 0 offset:940
	buffer_load_dword v172, off, s[0:3], 0 offset:916
	;; [unrolled: 1-line block ×3, first 2 shown]
	ds_read_b128 v[1:4], v186 offset:1632
	buffer_load_dword v196, off, s[0:3], 0 offset:932
	s_waitcnt vmcnt(59) lgkmcnt(1)
	v_mul_f64 v[173:174], v[5:6], v[197:198]
	v_mul_f64 v[197:198], v[7:8], v[197:198]
	s_waitcnt vmcnt(57)
	v_fma_f64 v[137:138], v[125:126], v[143:144], -v[137:138]
	v_fma_f64 v[143:144], v[127:128], v[143:144], v[207:208]
	ds_read_b128 v[125:128], v186 offset:1648
	v_add_f64 v[131:132], v[131:132], v[189:190]
	v_add_f64 v[129:130], v[129:130], v[169:170]
	s_waitcnt vmcnt(53) lgkmcnt(1)
	v_mul_f64 v[169:170], v[1:2], v[149:150]
	v_mul_f64 v[149:150], v[3:4], v[149:150]
	s_waitcnt vmcnt(52)
	v_fma_f64 v[189:190], v[5:6], v[203:204], -v[197:198]
	v_add_f64 v[131:132], v[131:132], v[137:138]
	v_fma_f64 v[137:138], v[7:8], v[203:204], v[173:174]
	v_add_f64 v[129:130], v[129:130], v[143:144]
	ds_read_b128 v[5:8], v186 offset:1664
	s_waitcnt vmcnt(51) lgkmcnt(1)
	v_mul_f64 v[173:174], v[127:128], v[191:192]
	v_mul_f64 v[143:144], v[125:126], v[191:192]
	s_waitcnt vmcnt(49)
	v_fma_f64 v[149:150], v[1:2], v[141:142], -v[149:150]
	v_fma_f64 v[141:142], v[3:4], v[141:142], v[169:170]
	v_add_f64 v[131:132], v[131:132], v[189:190]
	v_add_f64 v[129:130], v[129:130], v[137:138]
	s_clause 0x3
	buffer_load_dword v137, off, s[0:3], 0 offset:112
	buffer_load_dword v138, off, s[0:3], 0 offset:116
	buffer_load_dword v169, off, s[0:3], 0 offset:120
	buffer_load_dword v170, off, s[0:3], 0 offset:124
	ds_read_b128 v[1:4], v186 offset:1680
	s_waitcnt vmcnt(49) lgkmcnt(1)
	v_mul_f64 v[189:190], v[5:6], v[135:136]
	v_mul_f64 v[135:136], v[7:8], v[135:136]
	s_waitcnt vmcnt(48)
	v_fma_f64 v[173:174], v[125:126], v[205:206], -v[173:174]
	v_fma_f64 v[143:144], v[127:128], v[205:206], v[143:144]
	ds_read_b128 v[125:128], v186 offset:1696
	v_add_f64 v[131:132], v[131:132], v[149:150]
	v_add_f64 v[129:130], v[129:130], v[141:142]
	s_waitcnt vmcnt(47) lgkmcnt(1)
	v_mul_f64 v[149:150], v[3:4], v[153:154]
	v_mul_f64 v[141:142], v[1:2], v[153:154]
	s_waitcnt vmcnt(45)
	v_fma_f64 v[135:136], v[5:6], v[147:148], -v[135:136]
	v_fma_f64 v[147:148], v[7:8], v[147:148], v[189:190]
	ds_read_b128 v[5:8], v186 offset:1712
	v_add_f64 v[131:132], v[131:132], v[173:174]
	v_add_f64 v[129:130], v[129:130], v[143:144]
	s_waitcnt vmcnt(41) lgkmcnt(1)
	v_mul_f64 v[143:144], v[125:126], v[139:140]
	v_mul_f64 v[139:140], v[127:128], v[139:140]
	s_waitcnt vmcnt(40)
	v_fma_f64 v[149:150], v[1:2], v[201:202], -v[149:150]
	v_add_f64 v[131:132], v[131:132], v[135:136]
	v_fma_f64 v[135:136], v[3:4], v[201:202], v[141:142]
	v_add_f64 v[129:130], v[129:130], v[147:148]
	ds_read_b128 v[1:4], v186 offset:1728
	s_waitcnt vmcnt(39) lgkmcnt(1)
	v_mul_f64 v[147:148], v[7:8], v[161:162]
	v_mul_f64 v[141:142], v[5:6], v[161:162]
	s_waitcnt vmcnt(37)
	v_fma_f64 v[139:140], v[125:126], v[157:158], -v[139:140]
	v_fma_f64 v[143:144], v[127:128], v[157:158], v[143:144]
	ds_read_b128 v[125:128], v186 offset:1744
	v_add_f64 v[131:132], v[131:132], v[149:150]
	v_add_f64 v[129:130], v[129:130], v[135:136]
	s_waitcnt vmcnt(33) lgkmcnt(1)
	v_mul_f64 v[135:136], v[1:2], v[145:146]
	v_mul_f64 v[145:146], v[3:4], v[145:146]
	s_waitcnt vmcnt(32)
	v_fma_f64 v[147:148], v[5:6], v[193:194], -v[147:148]
	v_add_f64 v[131:132], v[131:132], v[139:140]
	v_fma_f64 v[139:140], v[7:8], v[193:194], v[141:142]
	v_add_f64 v[129:130], v[129:130], v[143:144]
	ds_read_b128 v[5:8], v186 offset:1760
	s_waitcnt vmcnt(31) lgkmcnt(1)
	v_mul_f64 v[143:144], v[127:128], v[167:168]
	v_mul_f64 v[141:142], v[125:126], v[167:168]
	s_waitcnt vmcnt(29)
	v_fma_f64 v[145:146], v[1:2], v[155:156], -v[145:146]
	v_fma_f64 v[135:136], v[3:4], v[155:156], v[135:136]
	ds_read_b128 v[1:4], v186 offset:1776
	v_add_f64 v[131:132], v[131:132], v[147:148]
	v_add_f64 v[129:130], v[129:130], v[139:140]
	s_waitcnt vmcnt(25) lgkmcnt(1)
	v_mul_f64 v[147:148], v[7:8], v[151:152]
	s_waitcnt vmcnt(24)
	v_fma_f64 v[143:144], v[125:126], v[187:188], -v[143:144]
	v_mul_f64 v[139:140], v[5:6], v[151:152]
	v_fma_f64 v[141:142], v[127:128], v[187:188], v[141:142]
	ds_read_b128 v[125:128], v186 offset:1792
	v_add_f64 v[131:132], v[131:132], v[145:146]
	v_add_f64 v[129:130], v[129:130], v[135:136]
	s_waitcnt vmcnt(23) lgkmcnt(1)
	v_mul_f64 v[145:146], v[3:4], v[175:176]
	v_mul_f64 v[135:136], v[1:2], v[175:176]
	s_waitcnt vmcnt(21)
	v_fma_f64 v[147:148], v[5:6], v[163:164], -v[147:148]
	v_fma_f64 v[139:140], v[7:8], v[163:164], v[139:140]
	ds_read_b128 v[5:8], v186 offset:1808
	v_add_f64 v[131:132], v[131:132], v[143:144]
	v_add_f64 v[129:130], v[129:130], v[141:142]
	s_waitcnt vmcnt(17) lgkmcnt(1)
	v_mul_f64 v[143:144], v[127:128], v[159:160]
	s_waitcnt vmcnt(16)
	v_fma_f64 v[145:146], v[1:2], v[181:182], -v[145:146]
	v_mul_f64 v[141:142], v[125:126], v[159:160]
	v_fma_f64 v[135:136], v[3:4], v[181:182], v[135:136]
	ds_read_b128 v[1:4], v186 offset:1824
	v_add_f64 v[131:132], v[131:132], v[147:148]
	v_add_f64 v[129:130], v[129:130], v[139:140]
	s_waitcnt vmcnt(15) lgkmcnt(1)
	v_mul_f64 v[147:148], v[7:8], v[177:178]
	v_mul_f64 v[139:140], v[5:6], v[177:178]
	s_waitcnt vmcnt(13)
	v_fma_f64 v[143:144], v[125:126], v[133:134], -v[143:144]
	v_fma_f64 v[133:134], v[127:128], v[133:134], v[141:142]
	ds_read_b128 v[125:128], v186 offset:1840
	v_add_f64 v[131:132], v[131:132], v[145:146]
	v_add_f64 v[129:130], v[129:130], v[135:136]
	s_waitcnt vmcnt(9) lgkmcnt(1)
	v_mul_f64 v[141:142], v[3:4], v[165:166]
	s_waitcnt vmcnt(8)
	v_fma_f64 v[5:6], v[5:6], v[183:184], -v[147:148]
	v_mul_f64 v[135:136], v[1:2], v[165:166]
	v_fma_f64 v[7:8], v[7:8], v[183:184], v[139:140]
	v_add_f64 v[131:132], v[131:132], v[143:144]
	v_add_f64 v[129:130], v[129:130], v[133:134]
	s_waitcnt vmcnt(7) lgkmcnt(0)
	v_mul_f64 v[139:140], v[127:128], v[179:180]
	v_mul_f64 v[133:134], v[125:126], v[179:180]
	s_waitcnt vmcnt(5)
	v_fma_f64 v[1:2], v[1:2], v[171:172], -v[141:142]
	v_fma_f64 v[3:4], v[3:4], v[171:172], v[135:136]
	v_add_f64 v[5:6], v[131:132], v[5:6]
	v_add_f64 v[7:8], v[129:130], v[7:8]
	s_waitcnt vmcnt(4)
	v_fma_f64 v[125:126], v[125:126], v[195:196], -v[139:140]
	v_add_f64 v[1:2], v[5:6], v[1:2]
	v_fma_f64 v[5:6], v[127:128], v[195:196], v[133:134]
	v_add_f64 v[3:4], v[7:8], v[3:4]
	v_add_f64 v[1:2], v[1:2], v[125:126]
	;; [unrolled: 1-line block ×3, first 2 shown]
	s_waitcnt vmcnt(2)
	v_add_f64 v[1:2], v[137:138], -v[1:2]
	s_waitcnt vmcnt(0)
	v_add_f64 v[3:4], v[169:170], -v[3:4]
	buffer_store_dword v2, off, s[0:3], 0 offset:116
	buffer_store_dword v1, off, s[0:3], 0 offset:112
	;; [unrolled: 1-line block ×4, first 2 shown]
	v_cmpx_lt_u32_e32 5, v0
	s_cbranch_execz .LBB121_351
; %bb.350:
	v_mov_b32_e32 v4, s65
	s_clause 0x3
	buffer_load_dword v1, v4, s[0:3], 0 offen
	buffer_load_dword v2, v4, s[0:3], 0 offen offset:4
	buffer_load_dword v3, v4, s[0:3], 0 offen offset:8
	;; [unrolled: 1-line block ×3, first 2 shown]
	buffer_store_dword v186, off, s[0:3], 0 offset:96
	buffer_store_dword v186, off, s[0:3], 0 offset:100
	;; [unrolled: 1-line block ×4, first 2 shown]
	s_waitcnt vmcnt(0)
	ds_write_b128 v185, v[1:4]
.LBB121_351:
	s_or_b32 exec_lo, exec_lo, s4
	s_waitcnt lgkmcnt(0)
	s_waitcnt_vscnt null, 0x0
	s_barrier
	buffer_gl0_inv
	s_clause 0x37
	buffer_load_dword v133, off, s[0:3], 0 offset:120
	buffer_load_dword v134, off, s[0:3], 0 offset:124
	;; [unrolled: 1-line block ×56, first 2 shown]
	ds_read_b128 v[5:8], v186 offset:1024
	s_clause 0x2
	buffer_load_dword v182, off, s[0:3], 0 offset:348
	buffer_load_dword v184, off, s[0:3], 0 offset:324
	;; [unrolled: 1-line block ×3, first 2 shown]
	ds_read_b128 v[1:4], v186 offset:1040
	s_clause 0x4
	buffer_load_dword v194, off, s[0:3], 0 offset:364
	buffer_load_dword v195, off, s[0:3], 0 offset:376
	;; [unrolled: 1-line block ×5, first 2 shown]
	ds_read_b128 v[187:190], v186 offset:1056
	s_mov_b32 s4, exec_lo
	s_waitcnt vmcnt(62) lgkmcnt(2)
	v_mul_f64 v[191:192], v[7:8], v[133:134]
	v_mul_f64 v[133:134], v[5:6], v[133:134]
	s_waitcnt vmcnt(60) lgkmcnt(1)
	v_mul_f64 v[198:199], v[3:4], v[129:130]
	v_mul_f64 v[129:130], v[1:2], v[129:130]
	;; [unrolled: 3-line block ×3, first 2 shown]
	v_fma_f64 v[191:192], v[5:6], v[131:132], -v[191:192]
	v_fma_f64 v[131:132], v[7:8], v[131:132], v[133:134]
	s_clause 0x2
	buffer_load_dword v196, off, s[0:3], 0 offset:380
	buffer_load_dword v134, off, s[0:3], 0 offset:356
	;; [unrolled: 1-line block ×3, first 2 shown]
	s_waitcnt vmcnt(57)
	v_fma_f64 v[202:203], v[1:2], v[125:126], -v[198:199]
	ds_read_b128 v[5:8], v186 offset:1072
	v_fma_f64 v[125:126], v[3:4], v[125:126], v[129:130]
	s_waitcnt vmcnt(51)
	v_fma_f64 v[187:188], v[187:188], v[149:150], -v[127:128]
	v_fma_f64 v[149:150], v[189:190], v[149:150], v[200:201]
	v_add_f64 v[191:192], v[191:192], 0
	v_add_f64 v[129:130], v[131:132], 0
	s_clause 0x4
	buffer_load_dword v132, off, s[0:3], 0 offset:396
	buffer_load_dword v199, off, s[0:3], 0 offset:408
	;; [unrolled: 1-line block ×5, first 2 shown]
	s_waitcnt lgkmcnt(0)
	v_mul_f64 v[205:206], v[5:6], v[137:138]
	v_mul_f64 v[137:138], v[7:8], v[137:138]
	ds_read_b128 v[1:4], v186 offset:1088
	s_clause 0x2
	buffer_load_dword v200, off, s[0:3], 0 offset:412
	buffer_load_dword v190, off, s[0:3], 0 offset:388
	;; [unrolled: 1-line block ×3, first 2 shown]
	v_add_f64 v[191:192], v[191:192], v[202:203]
	v_add_f64 v[129:130], v[129:130], v[125:126]
	ds_read_b128 v[125:128], v186 offset:1104
	s_waitcnt vmcnt(58) lgkmcnt(1)
	v_mul_f64 v[201:202], v[1:2], v[141:142]
	v_mul_f64 v[141:142], v[3:4], v[141:142]
	s_waitcnt vmcnt(56)
	v_fma_f64 v[137:138], v[5:6], v[143:144], -v[137:138]
	v_fma_f64 v[143:144], v[7:8], v[143:144], v[205:206]
	s_waitcnt vmcnt(52) lgkmcnt(0)
	v_mul_f64 v[207:208], v[125:126], v[145:146]
	v_add_f64 v[187:188], v[191:192], v[187:188]
	v_add_f64 v[129:130], v[129:130], v[149:150]
	s_clause 0x4
	buffer_load_dword v150, off, s[0:3], 0 offset:428
	buffer_load_dword v191, off, s[0:3], 0 offset:440
	;; [unrolled: 1-line block ×5, first 2 shown]
	v_mul_f64 v[145:146], v[127:128], v[145:146]
	s_waitcnt vmcnt(56)
	v_fma_f64 v[141:142], v[1:2], v[135:136], -v[141:142]
	ds_read_b128 v[5:8], v186 offset:1120
	v_fma_f64 v[135:136], v[3:4], v[135:136], v[201:202]
	v_add_f64 v[137:138], v[187:188], v[137:138]
	v_add_f64 v[129:130], v[129:130], v[143:144]
	s_clause 0x2
	buffer_load_dword v192, off, s[0:3], 0 offset:444
	buffer_load_dword v144, off, s[0:3], 0 offset:420
	;; [unrolled: 1-line block ×3, first 2 shown]
	s_waitcnt vmcnt(58) lgkmcnt(0)
	v_mul_f64 v[187:188], v[5:6], v[151:152]
	v_mul_f64 v[151:152], v[7:8], v[151:152]
	s_waitcnt vmcnt(56)
	v_fma_f64 v[145:146], v[125:126], v[153:154], -v[145:146]
	ds_read_b128 v[1:4], v186 offset:1136
	v_add_f64 v[137:138], v[137:138], v[141:142]
	v_fma_f64 v[141:142], v[127:128], v[153:154], v[207:208]
	v_add_f64 v[129:130], v[129:130], v[135:136]
	s_clause 0x4
	buffer_load_dword v136, off, s[0:3], 0 offset:460
	buffer_load_dword v153, off, s[0:3], 0 offset:472
	;; [unrolled: 1-line block ×5, first 2 shown]
	s_waitcnt vmcnt(57) lgkmcnt(0)
	v_mul_f64 v[202:203], v[1:2], v[155:156]
	v_mul_f64 v[155:156], v[3:4], v[155:156]
	s_waitcnt vmcnt(56)
	v_fma_f64 v[151:152], v[5:6], v[139:140], -v[151:152]
	ds_read_b128 v[125:128], v186 offset:1152
	v_fma_f64 v[139:140], v[7:8], v[139:140], v[187:188]
	v_add_f64 v[137:138], v[137:138], v[145:146]
	v_add_f64 v[129:130], v[129:130], v[141:142]
	s_clause 0x2
	buffer_load_dword v154, off, s[0:3], 0 offset:476
	buffer_load_dword v142, off, s[0:3], 0 offset:452
	;; [unrolled: 1-line block ×3, first 2 shown]
	ds_read_b128 v[5:8], v186 offset:1168
	s_waitcnt vmcnt(58) lgkmcnt(1)
	v_mul_f64 v[145:146], v[125:126], v[159:160]
	v_mul_f64 v[159:160], v[127:128], v[159:160]
	s_waitcnt vmcnt(56)
	v_fma_f64 v[155:156], v[1:2], v[161:162], -v[155:156]
	v_add_f64 v[137:138], v[137:138], v[151:152]
	v_fma_f64 v[151:152], v[3:4], v[161:162], v[202:203]
	v_add_f64 v[129:130], v[129:130], v[139:140]
	s_clause 0x4
	buffer_load_dword v140, off, s[0:3], 0 offset:492
	buffer_load_dword v161, off, s[0:3], 0 offset:504
	;; [unrolled: 1-line block ×5, first 2 shown]
	s_waitcnt vmcnt(57) lgkmcnt(0)
	v_mul_f64 v[208:209], v[5:6], v[163:164]
	v_mul_f64 v[163:164], v[7:8], v[163:164]
	s_waitcnt vmcnt(56)
	v_fma_f64 v[159:160], v[125:126], v[147:148], -v[159:160]
	ds_read_b128 v[1:4], v186 offset:1184
	v_fma_f64 v[145:146], v[127:128], v[147:148], v[145:146]
	s_clause 0x2
	buffer_load_dword v162, off, s[0:3], 0 offset:508
	buffer_load_dword v148, off, s[0:3], 0 offset:484
	;; [unrolled: 1-line block ×3, first 2 shown]
	ds_read_b128 v[125:128], v186 offset:1200
	v_add_f64 v[137:138], v[137:138], v[155:156]
	v_add_f64 v[129:130], v[129:130], v[151:152]
	s_waitcnt vmcnt(58) lgkmcnt(1)
	v_mul_f64 v[155:156], v[3:4], v[167:168]
	s_waitcnt vmcnt(56)
	v_fma_f64 v[163:164], v[5:6], v[169:170], -v[163:164]
	v_mul_f64 v[151:152], v[1:2], v[167:168]
	v_add_f64 v[137:138], v[137:138], v[159:160]
	v_fma_f64 v[159:160], v[7:8], v[169:170], v[208:209]
	v_add_f64 v[129:130], v[129:130], v[145:146]
	s_clause 0x4
	buffer_load_dword v146, off, s[0:3], 0 offset:524
	buffer_load_dword v167, off, s[0:3], 0 offset:536
	;; [unrolled: 1-line block ×5, first 2 shown]
	s_waitcnt vmcnt(57) lgkmcnt(0)
	v_mul_f64 v[208:209], v[125:126], v[171:172]
	v_mul_f64 v[170:171], v[127:128], v[171:172]
	s_waitcnt vmcnt(56)
	v_fma_f64 v[155:156], v[1:2], v[157:158], -v[155:156]
	ds_read_b128 v[5:8], v186 offset:1216
	v_fma_f64 v[151:152], v[3:4], v[157:158], v[151:152]
	s_clause 0x2
	buffer_load_dword v168, off, s[0:3], 0 offset:540
	buffer_load_dword v158, off, s[0:3], 0 offset:516
	;; [unrolled: 1-line block ×3, first 2 shown]
	ds_read_b128 v[1:4], v186 offset:1232
	v_add_f64 v[137:138], v[137:138], v[163:164]
	v_add_f64 v[129:130], v[129:130], v[159:160]
	s_waitcnt vmcnt(58) lgkmcnt(1)
	v_mul_f64 v[163:164], v[7:8], v[175:176]
	s_waitcnt vmcnt(56)
	v_fma_f64 v[171:172], v[125:126], v[177:178], -v[170:171]
	v_mul_f64 v[159:160], v[5:6], v[175:176]
	v_add_f64 v[137:138], v[137:138], v[155:156]
	v_fma_f64 v[155:156], v[127:128], v[177:178], v[208:209]
	v_add_f64 v[129:130], v[129:130], v[151:152]
	s_clause 0x4
	buffer_load_dword v152, off, s[0:3], 0 offset:556
	buffer_load_dword v175, off, s[0:3], 0 offset:568
	buffer_load_dword v177, off, s[0:3], 0 offset:560
	buffer_load_dword v151, off, s[0:3], 0 offset:552
	buffer_load_dword v170, off, s[0:3], 0 offset:532
	s_waitcnt vmcnt(57) lgkmcnt(0)
	v_mul_f64 v[208:209], v[1:2], v[179:180]
	v_mul_f64 v[178:179], v[3:4], v[179:180]
	s_waitcnt vmcnt(56)
	v_fma_f64 v[163:164], v[5:6], v[165:166], -v[163:164]
	ds_read_b128 v[125:128], v186 offset:1248
	v_fma_f64 v[159:160], v[7:8], v[165:166], v[159:160]
	v_add_f64 v[137:138], v[137:138], v[171:172]
	v_add_f64 v[129:130], v[129:130], v[155:156]
	s_clause 0x2
	buffer_load_dword v176, off, s[0:3], 0 offset:572
	buffer_load_dword v156, off, s[0:3], 0 offset:548
	;; [unrolled: 1-line block ×3, first 2 shown]
	ds_read_b128 v[5:8], v186 offset:1264
	s_waitcnt vmcnt(58) lgkmcnt(1)
	v_mul_f64 v[171:172], v[127:128], v[181:182]
	s_waitcnt vmcnt(56)
	v_fma_f64 v[179:180], v[1:2], v[183:184], -v[178:179]
	v_mul_f64 v[165:166], v[125:126], v[181:182]
	v_add_f64 v[137:138], v[137:138], v[163:164]
	v_fma_f64 v[163:164], v[3:4], v[183:184], v[208:209]
	v_add_f64 v[129:130], v[129:130], v[159:160]
	s_clause 0x4
	buffer_load_dword v160, off, s[0:3], 0 offset:588
	buffer_load_dword v181, off, s[0:3], 0 offset:600
	;; [unrolled: 1-line block ×5, first 2 shown]
	s_waitcnt vmcnt(57) lgkmcnt(0)
	v_mul_f64 v[208:209], v[5:6], v[193:194]
	v_mul_f64 v[193:194], v[7:8], v[193:194]
	s_waitcnt vmcnt(56)
	v_fma_f64 v[171:172], v[125:126], v[173:174], -v[171:172]
	ds_read_b128 v[1:4], v186 offset:1280
	v_fma_f64 v[165:166], v[127:128], v[173:174], v[165:166]
	v_add_f64 v[137:138], v[137:138], v[179:180]
	v_add_f64 v[129:130], v[129:130], v[163:164]
	s_clause 0x2
	buffer_load_dword v182, off, s[0:3], 0 offset:604
	buffer_load_dword v164, off, s[0:3], 0 offset:580
	;; [unrolled: 1-line block ×3, first 2 shown]
	ds_read_b128 v[125:128], v186 offset:1296
	s_waitcnt vmcnt(58) lgkmcnt(1)
	v_mul_f64 v[179:180], v[3:4], v[195:196]
	v_mul_f64 v[173:174], v[1:2], v[195:196]
	s_waitcnt vmcnt(56)
	v_fma_f64 v[193:194], v[5:6], v[133:134], -v[193:194]
	v_fma_f64 v[133:134], v[7:8], v[133:134], v[208:209]
	v_add_f64 v[137:138], v[137:138], v[171:172]
	v_add_f64 v[129:130], v[129:130], v[165:166]
	s_clause 0x4
	buffer_load_dword v166, off, s[0:3], 0 offset:620
	buffer_load_dword v171, off, s[0:3], 0 offset:632
	;; [unrolled: 1-line block ×5, first 2 shown]
	ds_read_b128 v[5:8], v186 offset:1312
	s_waitcnt vmcnt(57) lgkmcnt(1)
	v_mul_f64 v[208:209], v[125:126], v[131:132]
	v_mul_f64 v[131:132], v[127:128], v[131:132]
	s_waitcnt vmcnt(56)
	v_fma_f64 v[179:180], v[1:2], v[197:198], -v[179:180]
	v_fma_f64 v[173:174], v[3:4], v[197:198], v[173:174]
	v_add_f64 v[137:138], v[137:138], v[193:194]
	v_add_f64 v[129:130], v[129:130], v[133:134]
	s_clause 0x2
	buffer_load_dword v172, off, s[0:3], 0 offset:636
	buffer_load_dword v134, off, s[0:3], 0 offset:612
	;; [unrolled: 1-line block ×3, first 2 shown]
	s_waitcnt vmcnt(58) lgkmcnt(0)
	v_mul_f64 v[197:198], v[7:8], v[199:200]
	ds_read_b128 v[1:4], v186 offset:1328
	v_mul_f64 v[193:194], v[5:6], v[199:200]
	s_waitcnt vmcnt(56)
	v_fma_f64 v[131:132], v[125:126], v[189:190], -v[131:132]
	v_add_f64 v[137:138], v[137:138], v[179:180]
	v_fma_f64 v[179:180], v[127:128], v[189:190], v[208:209]
	v_add_f64 v[129:130], v[129:130], v[173:174]
	s_clause 0x4
	buffer_load_dword v174, off, s[0:3], 0 offset:652
	buffer_load_dword v189, off, s[0:3], 0 offset:664
	;; [unrolled: 1-line block ×5, first 2 shown]
	ds_read_b128 v[125:128], v186 offset:1344
	s_waitcnt vmcnt(57) lgkmcnt(1)
	v_mul_f64 v[208:209], v[1:2], v[149:150]
	v_mul_f64 v[149:150], v[3:4], v[149:150]
	s_waitcnt vmcnt(56)
	v_fma_f64 v[197:198], v[5:6], v[204:205], -v[197:198]
	v_add_f64 v[131:132], v[137:138], v[131:132]
	v_fma_f64 v[137:138], v[7:8], v[204:205], v[193:194]
	v_add_f64 v[129:130], v[129:130], v[179:180]
	s_clause 0x2
	buffer_load_dword v190, off, s[0:3], 0 offset:668
	buffer_load_dword v180, off, s[0:3], 0 offset:644
	;; [unrolled: 1-line block ×3, first 2 shown]
	ds_read_b128 v[5:8], v186 offset:1360
	s_waitcnt vmcnt(58) lgkmcnt(1)
	v_mul_f64 v[193:194], v[125:126], v[191:192]
	v_mul_f64 v[191:192], v[127:128], v[191:192]
	s_waitcnt vmcnt(56)
	v_fma_f64 v[149:150], v[1:2], v[143:144], -v[149:150]
	v_fma_f64 v[143:144], v[3:4], v[143:144], v[208:209]
	v_add_f64 v[131:132], v[131:132], v[197:198]
	v_add_f64 v[129:130], v[129:130], v[137:138]
	s_clause 0x4
	buffer_load_dword v138, off, s[0:3], 0 offset:684
	buffer_load_dword v197, off, s[0:3], 0 offset:696
	;; [unrolled: 1-line block ×5, first 2 shown]
	ds_read_b128 v[1:4], v186 offset:1376
	s_waitcnt vmcnt(57) lgkmcnt(1)
	v_mul_f64 v[204:205], v[5:6], v[135:136]
	v_mul_f64 v[135:136], v[7:8], v[135:136]
	s_waitcnt vmcnt(56)
	v_fma_f64 v[191:192], v[125:126], v[206:207], -v[191:192]
	v_add_f64 v[131:132], v[131:132], v[149:150]
	v_fma_f64 v[149:150], v[127:128], v[206:207], v[193:194]
	v_add_f64 v[129:130], v[129:130], v[143:144]
	s_clause 0x2
	buffer_load_dword v198, off, s[0:3], 0 offset:700
	buffer_load_dword v144, off, s[0:3], 0 offset:676
	;; [unrolled: 1-line block ×3, first 2 shown]
	ds_read_b128 v[125:128], v186 offset:1392
	s_waitcnt vmcnt(58) lgkmcnt(1)
	v_mul_f64 v[193:194], v[1:2], v[153:154]
	v_mul_f64 v[153:154], v[3:4], v[153:154]
	s_waitcnt vmcnt(56)
	v_fma_f64 v[135:136], v[5:6], v[141:142], -v[135:136]
	v_fma_f64 v[141:142], v[7:8], v[141:142], v[204:205]
	v_add_f64 v[131:132], v[131:132], v[191:192]
	v_add_f64 v[129:130], v[129:130], v[149:150]
	s_clause 0x4
	buffer_load_dword v150, off, s[0:3], 0 offset:716
	buffer_load_dword v191, off, s[0:3], 0 offset:728
	;; [unrolled: 1-line block ×5, first 2 shown]
	ds_read_b128 v[5:8], v186 offset:1408
	s_waitcnt vmcnt(57) lgkmcnt(1)
	v_mul_f64 v[206:207], v[125:126], v[139:140]
	v_mul_f64 v[139:140], v[127:128], v[139:140]
	s_waitcnt vmcnt(56)
	v_fma_f64 v[153:154], v[1:2], v[201:202], -v[153:154]
	v_add_f64 v[131:132], v[131:132], v[135:136]
	v_fma_f64 v[135:136], v[3:4], v[201:202], v[193:194]
	v_add_f64 v[129:130], v[129:130], v[141:142]
	s_clause 0x2
	buffer_load_dword v192, off, s[0:3], 0 offset:732
	buffer_load_dword v142, off, s[0:3], 0 offset:708
	;; [unrolled: 1-line block ×3, first 2 shown]
	s_waitcnt vmcnt(58) lgkmcnt(0)
	v_mul_f64 v[193:194], v[5:6], v[161:162]
	v_mul_f64 v[161:162], v[7:8], v[161:162]
	ds_read_b128 v[1:4], v186 offset:1424
	s_waitcnt vmcnt(56)
	v_fma_f64 v[139:140], v[125:126], v[147:148], -v[139:140]
	v_fma_f64 v[147:148], v[127:128], v[147:148], v[206:207]
	v_add_f64 v[131:132], v[131:132], v[153:154]
	v_add_f64 v[129:130], v[129:130], v[135:136]
	s_clause 0x4
	buffer_load_dword v136, off, s[0:3], 0 offset:748
	buffer_load_dword v153, off, s[0:3], 0 offset:760
	;; [unrolled: 1-line block ×5, first 2 shown]
	ds_read_b128 v[125:128], v186 offset:1440
	s_waitcnt vmcnt(57) lgkmcnt(1)
	v_mul_f64 v[207:208], v[1:2], v[145:146]
	v_mul_f64 v[145:146], v[3:4], v[145:146]
	s_waitcnt vmcnt(56)
	v_fma_f64 v[161:162], v[5:6], v[187:188], -v[161:162]
	v_add_f64 v[131:132], v[131:132], v[139:140]
	v_fma_f64 v[139:140], v[7:8], v[187:188], v[193:194]
	v_add_f64 v[129:130], v[129:130], v[147:148]
	s_clause 0x2
	buffer_load_dword v154, off, s[0:3], 0 offset:764
	buffer_load_dword v148, off, s[0:3], 0 offset:740
	;; [unrolled: 1-line block ×3, first 2 shown]
	s_waitcnt vmcnt(58) lgkmcnt(0)
	v_mul_f64 v[187:188], v[125:126], v[167:168]
	v_mul_f64 v[167:168], v[127:128], v[167:168]
	ds_read_b128 v[5:8], v186 offset:1456
	s_waitcnt vmcnt(56)
	v_fma_f64 v[145:146], v[1:2], v[157:158], -v[145:146]
	v_fma_f64 v[157:158], v[3:4], v[157:158], v[207:208]
	v_add_f64 v[131:132], v[131:132], v[161:162]
	v_add_f64 v[129:130], v[129:130], v[139:140]
	s_clause 0x4
	buffer_load_dword v140, off, s[0:3], 0 offset:780
	buffer_load_dword v161, off, s[0:3], 0 offset:792
	buffer_load_dword v193, off, s[0:3], 0 offset:784
	buffer_load_dword v139, off, s[0:3], 0 offset:776
	buffer_load_dword v202, off, s[0:3], 0 offset:756
	ds_read_b128 v[1:4], v186 offset:1472
	s_waitcnt vmcnt(57) lgkmcnt(1)
	v_mul_f64 v[207:208], v[5:6], v[151:152]
	v_mul_f64 v[151:152], v[7:8], v[151:152]
	s_waitcnt vmcnt(56)
	v_fma_f64 v[167:168], v[125:126], v[169:170], -v[167:168]
	v_add_f64 v[131:132], v[131:132], v[145:146]
	v_fma_f64 v[145:146], v[127:128], v[169:170], v[187:188]
	v_add_f64 v[129:130], v[129:130], v[157:158]
	s_clause 0x2
	buffer_load_dword v162, off, s[0:3], 0 offset:796
	buffer_load_dword v158, off, s[0:3], 0 offset:772
	buffer_load_dword v157, off, s[0:3], 0 offset:768
	ds_read_b128 v[125:128], v186 offset:1488
	s_waitcnt vmcnt(58) lgkmcnt(1)
	v_mul_f64 v[169:170], v[1:2], v[175:176]
	v_mul_f64 v[175:176], v[3:4], v[175:176]
	s_waitcnt vmcnt(56)
	v_fma_f64 v[151:152], v[5:6], v[155:156], -v[151:152]
	v_fma_f64 v[155:156], v[7:8], v[155:156], v[207:208]
	v_add_f64 v[131:132], v[131:132], v[167:168]
	v_add_f64 v[129:130], v[129:130], v[145:146]
	s_clause 0x4
	buffer_load_dword v146, off, s[0:3], 0 offset:812
	buffer_load_dword v167, off, s[0:3], 0 offset:824
	buffer_load_dword v187, off, s[0:3], 0 offset:816
	buffer_load_dword v145, off, s[0:3], 0 offset:808
	buffer_load_dword v194, off, s[0:3], 0 offset:788
	ds_read_b128 v[5:8], v186 offset:1504
	s_waitcnt vmcnt(57) lgkmcnt(1)
	v_mul_f64 v[207:208], v[125:126], v[159:160]
	v_mul_f64 v[159:160], v[127:128], v[159:160]
	s_waitcnt vmcnt(56)
	v_fma_f64 v[175:176], v[1:2], v[177:178], -v[175:176]
	v_add_f64 v[131:132], v[131:132], v[151:152]
	v_fma_f64 v[151:152], v[3:4], v[177:178], v[169:170]
	v_add_f64 v[129:130], v[129:130], v[155:156]
	s_clause 0x2
	buffer_load_dword v168, off, s[0:3], 0 offset:828
	buffer_load_dword v156, off, s[0:3], 0 offset:804
	buffer_load_dword v155, off, s[0:3], 0 offset:800
	ds_read_b128 v[1:4], v186 offset:1520
	s_waitcnt vmcnt(58) lgkmcnt(1)
	v_mul_f64 v[177:178], v[7:8], v[181:182]
	v_mul_f64 v[169:170], v[5:6], v[181:182]
	;; [unrolled: 28-line block ×4, first 2 shown]
	s_waitcnt vmcnt(56)
	v_fma_f64 v[173:174], v[5:6], v[179:180], -v[173:174]
	v_add_f64 v[131:132], v[131:132], v[171:172]
	v_fma_f64 v[171:172], v[7:8], v[179:180], v[207:208]
	v_add_f64 v[129:130], v[129:130], v[165:166]
	s_clause 0x4
	buffer_load_dword v166, off, s[0:3], 0 offset:908
	buffer_load_dword v179, off, s[0:3], 0 offset:920
	;; [unrolled: 1-line block ×5, first 2 shown]
	ds_read_b128 v[5:8], v186 offset:1600
	s_waitcnt vmcnt(57) lgkmcnt(1)
	v_mul_f64 v[207:208], v[125:126], v[137:138]
	v_mul_f64 v[137:138], v[127:128], v[137:138]
	s_waitcnt vmcnt(56)
	v_fma_f64 v[189:190], v[1:2], v[199:200], -v[189:190]
	v_fma_f64 v[169:170], v[3:4], v[199:200], v[169:170]
	v_add_f64 v[131:132], v[131:132], v[173:174]
	v_add_f64 v[129:130], v[129:130], v[171:172]
	s_clause 0x2
	buffer_load_dword v180, off, s[0:3], 0 offset:924
	buffer_load_dword v172, off, s[0:3], 0 offset:900
	;; [unrolled: 1-line block ×3, first 2 shown]
	ds_read_b128 v[1:4], v186 offset:1616
	s_waitcnt vmcnt(58) lgkmcnt(1)
	v_mul_f64 v[173:174], v[5:6], v[197:198]
	v_mul_f64 v[197:198], v[7:8], v[197:198]
	s_waitcnt vmcnt(56)
	v_fma_f64 v[137:138], v[125:126], v[143:144], -v[137:138]
	v_fma_f64 v[143:144], v[127:128], v[143:144], v[207:208]
	v_add_f64 v[131:132], v[131:132], v[189:190]
	v_add_f64 v[129:130], v[129:130], v[169:170]
	s_clause 0x2
	buffer_load_dword v170, off, s[0:3], 0 offset:940
	buffer_load_dword v169, off, s[0:3], 0 offset:936
	;; [unrolled: 1-line block ×3, first 2 shown]
	ds_read_b128 v[125:128], v186 offset:1632
	s_waitcnt vmcnt(55) lgkmcnt(1)
	v_mul_f64 v[189:190], v[1:2], v[149:150]
	v_mul_f64 v[149:150], v[3:4], v[149:150]
	s_waitcnt vmcnt(54)
	v_fma_f64 v[197:198], v[5:6], v[203:204], -v[197:198]
	v_add_f64 v[131:132], v[131:132], v[137:138]
	v_fma_f64 v[137:138], v[7:8], v[203:204], v[173:174]
	v_add_f64 v[129:130], v[129:130], v[143:144]
	s_clause 0x1
	buffer_load_dword v144, off, s[0:3], 0 offset:932
	buffer_load_dword v143, off, s[0:3], 0 offset:928
	ds_read_b128 v[5:8], v186 offset:1648
	s_waitcnt vmcnt(55) lgkmcnt(1)
	v_mul_f64 v[173:174], v[125:126], v[191:192]
	v_mul_f64 v[191:192], v[127:128], v[191:192]
	s_waitcnt vmcnt(53)
	v_fma_f64 v[149:150], v[1:2], v[141:142], -v[149:150]
	v_fma_f64 v[141:142], v[3:4], v[141:142], v[189:190]
	ds_read_b128 v[1:4], v186 offset:1664
	v_add_f64 v[131:132], v[131:132], v[197:198]
	v_add_f64 v[129:130], v[129:130], v[137:138]
	s_waitcnt vmcnt(49) lgkmcnt(1)
	v_mul_f64 v[137:138], v[5:6], v[135:136]
	v_mul_f64 v[135:136], v[7:8], v[135:136]
	s_waitcnt vmcnt(48)
	v_fma_f64 v[189:190], v[125:126], v[205:206], -v[191:192]
	v_add_f64 v[131:132], v[131:132], v[149:150]
	v_fma_f64 v[149:150], v[127:128], v[205:206], v[173:174]
	v_add_f64 v[129:130], v[129:130], v[141:142]
	s_clause 0x3
	buffer_load_dword v141, off, s[0:3], 0 offset:96
	buffer_load_dword v142, off, s[0:3], 0 offset:100
	;; [unrolled: 1-line block ×4, first 2 shown]
	ds_read_b128 v[125:128], v186 offset:1680
	s_waitcnt vmcnt(51) lgkmcnt(1)
	v_mul_f64 v[191:192], v[1:2], v[153:154]
	v_mul_f64 v[153:154], v[3:4], v[153:154]
	s_waitcnt vmcnt(49)
	v_fma_f64 v[135:136], v[5:6], v[147:148], -v[135:136]
	v_fma_f64 v[137:138], v[7:8], v[147:148], v[137:138]
	ds_read_b128 v[5:8], v186 offset:1696
	v_add_f64 v[131:132], v[131:132], v[189:190]
	v_add_f64 v[129:130], v[129:130], v[149:150]
	s_waitcnt vmcnt(45) lgkmcnt(1)
	v_mul_f64 v[147:148], v[125:126], v[139:140]
	v_mul_f64 v[139:140], v[127:128], v[139:140]
	s_waitcnt vmcnt(44)
	v_fma_f64 v[149:150], v[1:2], v[201:202], -v[153:154]
	v_add_f64 v[131:132], v[131:132], v[135:136]
	v_fma_f64 v[135:136], v[3:4], v[201:202], v[191:192]
	v_add_f64 v[129:130], v[129:130], v[137:138]
	ds_read_b128 v[1:4], v186 offset:1712
	s_waitcnt vmcnt(43) lgkmcnt(1)
	v_mul_f64 v[153:154], v[7:8], v[161:162]
	v_mul_f64 v[137:138], v[5:6], v[161:162]
	s_waitcnt vmcnt(41)
	v_fma_f64 v[139:140], v[125:126], v[157:158], -v[139:140]
	v_fma_f64 v[147:148], v[127:128], v[157:158], v[147:148]
	ds_read_b128 v[125:128], v186 offset:1728
	v_add_f64 v[131:132], v[131:132], v[149:150]
	v_add_f64 v[129:130], v[129:130], v[135:136]
	s_waitcnt vmcnt(37) lgkmcnt(1)
	v_mul_f64 v[135:136], v[1:2], v[145:146]
	v_mul_f64 v[145:146], v[3:4], v[145:146]
	s_waitcnt vmcnt(36)
	v_fma_f64 v[149:150], v[5:6], v[193:194], -v[153:154]
	v_fma_f64 v[137:138], v[7:8], v[193:194], v[137:138]
	ds_read_b128 v[5:8], v186 offset:1744
	v_add_f64 v[131:132], v[131:132], v[139:140]
	v_add_f64 v[129:130], v[129:130], v[147:148]
	;; [unrolled: 9-line block ×3, first 2 shown]
	s_waitcnt vmcnt(29) lgkmcnt(1)
	v_mul_f64 v[149:150], v[7:8], v[151:152]
	s_waitcnt vmcnt(28)
	v_fma_f64 v[147:148], v[125:126], v[187:188], -v[147:148]
	v_mul_f64 v[137:138], v[5:6], v[151:152]
	v_fma_f64 v[139:140], v[127:128], v[187:188], v[139:140]
	ds_read_b128 v[125:128], v186 offset:1776
	v_add_f64 v[131:132], v[131:132], v[145:146]
	v_add_f64 v[129:130], v[129:130], v[135:136]
	s_waitcnt vmcnt(27) lgkmcnt(1)
	v_mul_f64 v[145:146], v[3:4], v[175:176]
	v_mul_f64 v[135:136], v[1:2], v[175:176]
	s_waitcnt vmcnt(25)
	v_fma_f64 v[149:150], v[5:6], v[163:164], -v[149:150]
	v_fma_f64 v[137:138], v[7:8], v[163:164], v[137:138]
	ds_read_b128 v[5:8], v186 offset:1792
	v_add_f64 v[131:132], v[131:132], v[147:148]
	v_add_f64 v[129:130], v[129:130], v[139:140]
	s_waitcnt vmcnt(21) lgkmcnt(1)
	v_mul_f64 v[147:148], v[127:128], v[159:160]
	s_waitcnt vmcnt(20)
	v_fma_f64 v[145:146], v[1:2], v[181:182], -v[145:146]
	v_mul_f64 v[139:140], v[125:126], v[159:160]
	v_fma_f64 v[135:136], v[3:4], v[181:182], v[135:136]
	ds_read_b128 v[1:4], v186 offset:1808
	v_add_f64 v[131:132], v[131:132], v[149:150]
	v_add_f64 v[129:130], v[129:130], v[137:138]
	s_waitcnt vmcnt(19) lgkmcnt(1)
	v_mul_f64 v[149:150], v[7:8], v[177:178]
	v_mul_f64 v[137:138], v[5:6], v[177:178]
	s_waitcnt vmcnt(17)
	v_fma_f64 v[147:148], v[125:126], v[133:134], -v[147:148]
	v_fma_f64 v[133:134], v[127:128], v[133:134], v[139:140]
	ds_read_b128 v[125:128], v186 offset:1824
	v_add_f64 v[131:132], v[131:132], v[145:146]
	v_add_f64 v[129:130], v[129:130], v[135:136]
	s_waitcnt vmcnt(13) lgkmcnt(1)
	v_mul_f64 v[139:140], v[3:4], v[165:166]
	s_waitcnt vmcnt(12)
	v_fma_f64 v[145:146], v[5:6], v[183:184], -v[149:150]
	v_mul_f64 v[135:136], v[1:2], v[165:166]
	v_fma_f64 v[137:138], v[7:8], v[183:184], v[137:138]
	ds_read_b128 v[5:8], v186 offset:1840
	v_add_f64 v[131:132], v[131:132], v[147:148]
	v_add_f64 v[129:130], v[129:130], v[133:134]
	s_waitcnt vmcnt(11) lgkmcnt(1)
	v_mul_f64 v[147:148], v[127:128], v[179:180]
	v_mul_f64 v[133:134], v[125:126], v[179:180]
	s_waitcnt vmcnt(9)
	v_fma_f64 v[1:2], v[1:2], v[171:172], -v[139:140]
	v_fma_f64 v[3:4], v[3:4], v[171:172], v[135:136]
	v_add_f64 v[131:132], v[131:132], v[145:146]
	v_add_f64 v[129:130], v[129:130], v[137:138]
	s_waitcnt vmcnt(7) lgkmcnt(0)
	v_mul_f64 v[137:138], v[7:8], v[169:170]
	s_waitcnt vmcnt(6)
	v_fma_f64 v[125:126], v[125:126], v[195:196], -v[147:148]
	v_mul_f64 v[135:136], v[5:6], v[169:170]
	v_fma_f64 v[127:128], v[127:128], v[195:196], v[133:134]
	v_add_f64 v[1:2], v[131:132], v[1:2]
	v_add_f64 v[3:4], v[129:130], v[3:4]
	s_waitcnt vmcnt(4)
	v_fma_f64 v[5:6], v[5:6], v[143:144], -v[137:138]
	v_fma_f64 v[7:8], v[7:8], v[143:144], v[135:136]
	v_add_f64 v[1:2], v[1:2], v[125:126]
	v_add_f64 v[3:4], v[3:4], v[127:128]
	;; [unrolled: 1-line block ×4, first 2 shown]
	s_waitcnt vmcnt(2)
	v_add_f64 v[1:2], v[141:142], -v[1:2]
	s_waitcnt vmcnt(0)
	v_add_f64 v[3:4], v[173:174], -v[3:4]
	buffer_store_dword v2, off, s[0:3], 0 offset:100
	buffer_store_dword v1, off, s[0:3], 0 offset:96
	;; [unrolled: 1-line block ×4, first 2 shown]
	v_cmpx_lt_u32_e32 4, v0
	s_cbranch_execz .LBB121_353
; %bb.352:
	v_mov_b32_e32 v4, s66
	v_mov_b32_e32 v5, 0
	s_clause 0x3
	buffer_load_dword v1, v4, s[0:3], 0 offen
	buffer_load_dword v2, v4, s[0:3], 0 offen offset:4
	buffer_load_dword v3, v4, s[0:3], 0 offen offset:8
	;; [unrolled: 1-line block ×3, first 2 shown]
	buffer_store_dword v5, off, s[0:3], 0 offset:80
	buffer_store_dword v5, off, s[0:3], 0 offset:84
	buffer_store_dword v5, off, s[0:3], 0 offset:88
	buffer_store_dword v5, off, s[0:3], 0 offset:92
	s_waitcnt vmcnt(0)
	ds_write_b128 v185, v[1:4]
.LBB121_353:
	s_or_b32 exec_lo, exec_lo, s4
	s_waitcnt lgkmcnt(0)
	s_waitcnt_vscnt null, 0x0
	s_barrier
	buffer_gl0_inv
	s_clause 0x37
	buffer_load_dword v133, off, s[0:3], 0 offset:104
	buffer_load_dword v134, off, s[0:3], 0 offset:108
	;; [unrolled: 1-line block ×56, first 2 shown]
	v_mov_b32_e32 v186, 0
	s_mov_b32 s4, exec_lo
	ds_read_b128 v[5:8], v186 offset:1008
	s_clause 0x2
	buffer_load_dword v182, off, s[0:3], 0 offset:332
	buffer_load_dword v184, off, s[0:3], 0 offset:308
	;; [unrolled: 1-line block ×3, first 2 shown]
	ds_read_b128 v[1:4], v186 offset:1024
	s_clause 0x4
	buffer_load_dword v194, off, s[0:3], 0 offset:348
	buffer_load_dword v195, off, s[0:3], 0 offset:360
	;; [unrolled: 1-line block ×5, first 2 shown]
	ds_read_b128 v[187:190], v186 offset:1040
	s_waitcnt vmcnt(62) lgkmcnt(2)
	v_mul_f64 v[191:192], v[7:8], v[133:134]
	v_mul_f64 v[133:134], v[5:6], v[133:134]
	s_waitcnt vmcnt(60) lgkmcnt(1)
	v_mul_f64 v[198:199], v[3:4], v[129:130]
	v_mul_f64 v[129:130], v[1:2], v[129:130]
	;; [unrolled: 3-line block ×3, first 2 shown]
	v_fma_f64 v[191:192], v[5:6], v[131:132], -v[191:192]
	v_fma_f64 v[131:132], v[7:8], v[131:132], v[133:134]
	s_clause 0x2
	buffer_load_dword v196, off, s[0:3], 0 offset:364
	buffer_load_dword v134, off, s[0:3], 0 offset:340
	buffer_load_dword v133, off, s[0:3], 0 offset:336
	s_waitcnt vmcnt(57)
	v_fma_f64 v[202:203], v[1:2], v[125:126], -v[198:199]
	ds_read_b128 v[5:8], v186 offset:1056
	v_fma_f64 v[125:126], v[3:4], v[125:126], v[129:130]
	s_waitcnt vmcnt(51)
	v_fma_f64 v[187:188], v[187:188], v[149:150], -v[127:128]
	v_fma_f64 v[149:150], v[189:190], v[149:150], v[200:201]
	v_add_f64 v[191:192], v[191:192], 0
	v_add_f64 v[129:130], v[131:132], 0
	s_clause 0x4
	buffer_load_dword v132, off, s[0:3], 0 offset:380
	buffer_load_dword v199, off, s[0:3], 0 offset:392
	;; [unrolled: 1-line block ×5, first 2 shown]
	s_waitcnt lgkmcnt(0)
	v_mul_f64 v[205:206], v[5:6], v[137:138]
	v_mul_f64 v[137:138], v[7:8], v[137:138]
	ds_read_b128 v[1:4], v186 offset:1072
	s_clause 0x2
	buffer_load_dword v200, off, s[0:3], 0 offset:396
	buffer_load_dword v190, off, s[0:3], 0 offset:372
	;; [unrolled: 1-line block ×3, first 2 shown]
	v_add_f64 v[191:192], v[191:192], v[202:203]
	v_add_f64 v[129:130], v[129:130], v[125:126]
	ds_read_b128 v[125:128], v186 offset:1088
	s_waitcnt vmcnt(58) lgkmcnt(1)
	v_mul_f64 v[201:202], v[1:2], v[141:142]
	v_mul_f64 v[141:142], v[3:4], v[141:142]
	s_waitcnt vmcnt(56)
	v_fma_f64 v[137:138], v[5:6], v[143:144], -v[137:138]
	v_fma_f64 v[143:144], v[7:8], v[143:144], v[205:206]
	s_waitcnt vmcnt(52) lgkmcnt(0)
	v_mul_f64 v[207:208], v[125:126], v[145:146]
	v_add_f64 v[187:188], v[191:192], v[187:188]
	v_add_f64 v[129:130], v[129:130], v[149:150]
	s_clause 0x4
	buffer_load_dword v150, off, s[0:3], 0 offset:412
	buffer_load_dword v191, off, s[0:3], 0 offset:424
	;; [unrolled: 1-line block ×5, first 2 shown]
	v_mul_f64 v[145:146], v[127:128], v[145:146]
	s_waitcnt vmcnt(56)
	v_fma_f64 v[141:142], v[1:2], v[135:136], -v[141:142]
	ds_read_b128 v[5:8], v186 offset:1104
	v_fma_f64 v[135:136], v[3:4], v[135:136], v[201:202]
	v_add_f64 v[137:138], v[187:188], v[137:138]
	v_add_f64 v[129:130], v[129:130], v[143:144]
	s_clause 0x2
	buffer_load_dword v192, off, s[0:3], 0 offset:428
	buffer_load_dword v144, off, s[0:3], 0 offset:404
	;; [unrolled: 1-line block ×3, first 2 shown]
	s_waitcnt vmcnt(58) lgkmcnt(0)
	v_mul_f64 v[187:188], v[5:6], v[151:152]
	v_mul_f64 v[151:152], v[7:8], v[151:152]
	s_waitcnt vmcnt(56)
	v_fma_f64 v[145:146], v[125:126], v[153:154], -v[145:146]
	ds_read_b128 v[1:4], v186 offset:1120
	v_add_f64 v[137:138], v[137:138], v[141:142]
	v_fma_f64 v[141:142], v[127:128], v[153:154], v[207:208]
	v_add_f64 v[129:130], v[129:130], v[135:136]
	s_clause 0x4
	buffer_load_dword v136, off, s[0:3], 0 offset:444
	buffer_load_dword v153, off, s[0:3], 0 offset:456
	;; [unrolled: 1-line block ×5, first 2 shown]
	s_waitcnt vmcnt(57) lgkmcnt(0)
	v_mul_f64 v[202:203], v[1:2], v[155:156]
	v_mul_f64 v[155:156], v[3:4], v[155:156]
	s_waitcnt vmcnt(56)
	v_fma_f64 v[151:152], v[5:6], v[139:140], -v[151:152]
	ds_read_b128 v[125:128], v186 offset:1136
	v_fma_f64 v[139:140], v[7:8], v[139:140], v[187:188]
	v_add_f64 v[137:138], v[137:138], v[145:146]
	v_add_f64 v[129:130], v[129:130], v[141:142]
	s_clause 0x2
	buffer_load_dword v154, off, s[0:3], 0 offset:460
	buffer_load_dword v142, off, s[0:3], 0 offset:436
	;; [unrolled: 1-line block ×3, first 2 shown]
	ds_read_b128 v[5:8], v186 offset:1152
	s_waitcnt vmcnt(58) lgkmcnt(1)
	v_mul_f64 v[145:146], v[125:126], v[159:160]
	v_mul_f64 v[159:160], v[127:128], v[159:160]
	s_waitcnt vmcnt(56)
	v_fma_f64 v[155:156], v[1:2], v[161:162], -v[155:156]
	v_add_f64 v[137:138], v[137:138], v[151:152]
	v_fma_f64 v[151:152], v[3:4], v[161:162], v[202:203]
	v_add_f64 v[129:130], v[129:130], v[139:140]
	s_clause 0x4
	buffer_load_dword v140, off, s[0:3], 0 offset:476
	buffer_load_dword v161, off, s[0:3], 0 offset:488
	buffer_load_dword v187, off, s[0:3], 0 offset:480
	buffer_load_dword v139, off, s[0:3], 0 offset:472
	buffer_load_dword v202, off, s[0:3], 0 offset:452
	s_waitcnt vmcnt(57) lgkmcnt(0)
	v_mul_f64 v[208:209], v[5:6], v[163:164]
	v_mul_f64 v[163:164], v[7:8], v[163:164]
	s_waitcnt vmcnt(56)
	v_fma_f64 v[159:160], v[125:126], v[147:148], -v[159:160]
	ds_read_b128 v[1:4], v186 offset:1168
	v_fma_f64 v[145:146], v[127:128], v[147:148], v[145:146]
	s_clause 0x2
	buffer_load_dword v162, off, s[0:3], 0 offset:492
	buffer_load_dword v148, off, s[0:3], 0 offset:468
	;; [unrolled: 1-line block ×3, first 2 shown]
	ds_read_b128 v[125:128], v186 offset:1184
	v_add_f64 v[137:138], v[137:138], v[155:156]
	v_add_f64 v[129:130], v[129:130], v[151:152]
	s_waitcnt vmcnt(58) lgkmcnt(1)
	v_mul_f64 v[155:156], v[3:4], v[167:168]
	s_waitcnt vmcnt(56)
	v_fma_f64 v[163:164], v[5:6], v[169:170], -v[163:164]
	v_mul_f64 v[151:152], v[1:2], v[167:168]
	v_add_f64 v[137:138], v[137:138], v[159:160]
	v_fma_f64 v[159:160], v[7:8], v[169:170], v[208:209]
	v_add_f64 v[129:130], v[129:130], v[145:146]
	s_clause 0x4
	buffer_load_dword v146, off, s[0:3], 0 offset:508
	buffer_load_dword v167, off, s[0:3], 0 offset:520
	;; [unrolled: 1-line block ×5, first 2 shown]
	s_waitcnt vmcnt(57) lgkmcnt(0)
	v_mul_f64 v[208:209], v[125:126], v[171:172]
	v_mul_f64 v[170:171], v[127:128], v[171:172]
	s_waitcnt vmcnt(56)
	v_fma_f64 v[155:156], v[1:2], v[157:158], -v[155:156]
	ds_read_b128 v[5:8], v186 offset:1200
	v_fma_f64 v[151:152], v[3:4], v[157:158], v[151:152]
	s_clause 0x2
	buffer_load_dword v168, off, s[0:3], 0 offset:524
	buffer_load_dword v158, off, s[0:3], 0 offset:500
	;; [unrolled: 1-line block ×3, first 2 shown]
	ds_read_b128 v[1:4], v186 offset:1216
	v_add_f64 v[137:138], v[137:138], v[163:164]
	v_add_f64 v[129:130], v[129:130], v[159:160]
	s_waitcnt vmcnt(58) lgkmcnt(1)
	v_mul_f64 v[163:164], v[7:8], v[175:176]
	s_waitcnt vmcnt(56)
	v_fma_f64 v[171:172], v[125:126], v[177:178], -v[170:171]
	v_mul_f64 v[159:160], v[5:6], v[175:176]
	v_add_f64 v[137:138], v[137:138], v[155:156]
	v_fma_f64 v[155:156], v[127:128], v[177:178], v[208:209]
	v_add_f64 v[129:130], v[129:130], v[151:152]
	s_clause 0x4
	buffer_load_dword v152, off, s[0:3], 0 offset:540
	buffer_load_dword v175, off, s[0:3], 0 offset:552
	buffer_load_dword v177, off, s[0:3], 0 offset:544
	buffer_load_dword v151, off, s[0:3], 0 offset:536
	buffer_load_dword v170, off, s[0:3], 0 offset:516
	s_waitcnt vmcnt(57) lgkmcnt(0)
	v_mul_f64 v[208:209], v[1:2], v[179:180]
	v_mul_f64 v[178:179], v[3:4], v[179:180]
	s_waitcnt vmcnt(56)
	v_fma_f64 v[163:164], v[5:6], v[165:166], -v[163:164]
	ds_read_b128 v[125:128], v186 offset:1232
	v_fma_f64 v[159:160], v[7:8], v[165:166], v[159:160]
	v_add_f64 v[137:138], v[137:138], v[171:172]
	v_add_f64 v[129:130], v[129:130], v[155:156]
	s_clause 0x2
	buffer_load_dword v176, off, s[0:3], 0 offset:556
	buffer_load_dword v156, off, s[0:3], 0 offset:532
	buffer_load_dword v155, off, s[0:3], 0 offset:528
	ds_read_b128 v[5:8], v186 offset:1248
	s_waitcnt vmcnt(58) lgkmcnt(1)
	v_mul_f64 v[171:172], v[127:128], v[181:182]
	s_waitcnt vmcnt(56)
	v_fma_f64 v[179:180], v[1:2], v[183:184], -v[178:179]
	v_mul_f64 v[165:166], v[125:126], v[181:182]
	v_add_f64 v[137:138], v[137:138], v[163:164]
	v_fma_f64 v[163:164], v[3:4], v[183:184], v[208:209]
	v_add_f64 v[129:130], v[129:130], v[159:160]
	s_clause 0x4
	buffer_load_dword v160, off, s[0:3], 0 offset:572
	buffer_load_dword v181, off, s[0:3], 0 offset:584
	;; [unrolled: 1-line block ×5, first 2 shown]
	s_waitcnt vmcnt(57) lgkmcnt(0)
	v_mul_f64 v[208:209], v[5:6], v[193:194]
	v_mul_f64 v[193:194], v[7:8], v[193:194]
	s_waitcnt vmcnt(56)
	v_fma_f64 v[171:172], v[125:126], v[173:174], -v[171:172]
	ds_read_b128 v[1:4], v186 offset:1264
	v_fma_f64 v[165:166], v[127:128], v[173:174], v[165:166]
	v_add_f64 v[137:138], v[137:138], v[179:180]
	v_add_f64 v[129:130], v[129:130], v[163:164]
	s_clause 0x2
	buffer_load_dword v182, off, s[0:3], 0 offset:588
	buffer_load_dword v164, off, s[0:3], 0 offset:564
	;; [unrolled: 1-line block ×3, first 2 shown]
	ds_read_b128 v[125:128], v186 offset:1280
	s_waitcnt vmcnt(58) lgkmcnt(1)
	v_mul_f64 v[179:180], v[3:4], v[195:196]
	v_mul_f64 v[173:174], v[1:2], v[195:196]
	s_waitcnt vmcnt(56)
	v_fma_f64 v[193:194], v[5:6], v[133:134], -v[193:194]
	v_fma_f64 v[133:134], v[7:8], v[133:134], v[208:209]
	v_add_f64 v[137:138], v[137:138], v[171:172]
	v_add_f64 v[129:130], v[129:130], v[165:166]
	s_clause 0x4
	buffer_load_dword v166, off, s[0:3], 0 offset:604
	buffer_load_dword v171, off, s[0:3], 0 offset:616
	;; [unrolled: 1-line block ×5, first 2 shown]
	ds_read_b128 v[5:8], v186 offset:1296
	s_waitcnt vmcnt(57) lgkmcnt(1)
	v_mul_f64 v[208:209], v[125:126], v[131:132]
	v_mul_f64 v[131:132], v[127:128], v[131:132]
	s_waitcnt vmcnt(56)
	v_fma_f64 v[179:180], v[1:2], v[197:198], -v[179:180]
	v_fma_f64 v[173:174], v[3:4], v[197:198], v[173:174]
	v_add_f64 v[137:138], v[137:138], v[193:194]
	v_add_f64 v[129:130], v[129:130], v[133:134]
	s_clause 0x2
	buffer_load_dword v172, off, s[0:3], 0 offset:620
	buffer_load_dword v134, off, s[0:3], 0 offset:596
	buffer_load_dword v133, off, s[0:3], 0 offset:592
	s_waitcnt vmcnt(58) lgkmcnt(0)
	v_mul_f64 v[197:198], v[7:8], v[199:200]
	ds_read_b128 v[1:4], v186 offset:1312
	v_mul_f64 v[193:194], v[5:6], v[199:200]
	s_waitcnt vmcnt(56)
	v_fma_f64 v[131:132], v[125:126], v[189:190], -v[131:132]
	v_add_f64 v[137:138], v[137:138], v[179:180]
	v_fma_f64 v[179:180], v[127:128], v[189:190], v[208:209]
	v_add_f64 v[129:130], v[129:130], v[173:174]
	s_clause 0x4
	buffer_load_dword v174, off, s[0:3], 0 offset:636
	buffer_load_dword v189, off, s[0:3], 0 offset:648
	buffer_load_dword v199, off, s[0:3], 0 offset:640
	buffer_load_dword v173, off, s[0:3], 0 offset:632
	buffer_load_dword v196, off, s[0:3], 0 offset:612
	ds_read_b128 v[125:128], v186 offset:1328
	s_waitcnt vmcnt(57) lgkmcnt(1)
	v_mul_f64 v[208:209], v[1:2], v[149:150]
	v_mul_f64 v[149:150], v[3:4], v[149:150]
	s_waitcnt vmcnt(56)
	v_fma_f64 v[197:198], v[5:6], v[204:205], -v[197:198]
	v_add_f64 v[131:132], v[137:138], v[131:132]
	v_fma_f64 v[137:138], v[7:8], v[204:205], v[193:194]
	v_add_f64 v[129:130], v[129:130], v[179:180]
	s_clause 0x2
	buffer_load_dword v190, off, s[0:3], 0 offset:652
	buffer_load_dword v180, off, s[0:3], 0 offset:628
	;; [unrolled: 1-line block ×3, first 2 shown]
	ds_read_b128 v[5:8], v186 offset:1344
	s_waitcnt vmcnt(58) lgkmcnt(1)
	v_mul_f64 v[193:194], v[125:126], v[191:192]
	v_mul_f64 v[191:192], v[127:128], v[191:192]
	s_waitcnt vmcnt(56)
	v_fma_f64 v[149:150], v[1:2], v[143:144], -v[149:150]
	v_fma_f64 v[143:144], v[3:4], v[143:144], v[208:209]
	v_add_f64 v[131:132], v[131:132], v[197:198]
	v_add_f64 v[129:130], v[129:130], v[137:138]
	s_clause 0x4
	buffer_load_dword v138, off, s[0:3], 0 offset:668
	buffer_load_dword v197, off, s[0:3], 0 offset:680
	;; [unrolled: 1-line block ×5, first 2 shown]
	ds_read_b128 v[1:4], v186 offset:1360
	s_waitcnt vmcnt(57) lgkmcnt(1)
	v_mul_f64 v[204:205], v[5:6], v[135:136]
	v_mul_f64 v[135:136], v[7:8], v[135:136]
	s_waitcnt vmcnt(56)
	v_fma_f64 v[191:192], v[125:126], v[206:207], -v[191:192]
	v_add_f64 v[131:132], v[131:132], v[149:150]
	v_fma_f64 v[149:150], v[127:128], v[206:207], v[193:194]
	v_add_f64 v[129:130], v[129:130], v[143:144]
	s_clause 0x2
	buffer_load_dword v198, off, s[0:3], 0 offset:684
	buffer_load_dword v144, off, s[0:3], 0 offset:660
	;; [unrolled: 1-line block ×3, first 2 shown]
	ds_read_b128 v[125:128], v186 offset:1376
	s_waitcnt vmcnt(58) lgkmcnt(1)
	v_mul_f64 v[193:194], v[1:2], v[153:154]
	v_mul_f64 v[153:154], v[3:4], v[153:154]
	s_waitcnt vmcnt(56)
	v_fma_f64 v[135:136], v[5:6], v[141:142], -v[135:136]
	v_fma_f64 v[141:142], v[7:8], v[141:142], v[204:205]
	v_add_f64 v[131:132], v[131:132], v[191:192]
	v_add_f64 v[129:130], v[129:130], v[149:150]
	s_clause 0x4
	buffer_load_dword v150, off, s[0:3], 0 offset:700
	buffer_load_dword v191, off, s[0:3], 0 offset:712
	;; [unrolled: 1-line block ×5, first 2 shown]
	ds_read_b128 v[5:8], v186 offset:1392
	s_waitcnt vmcnt(57) lgkmcnt(1)
	v_mul_f64 v[206:207], v[125:126], v[139:140]
	v_mul_f64 v[139:140], v[127:128], v[139:140]
	s_waitcnt vmcnt(56)
	v_fma_f64 v[153:154], v[1:2], v[201:202], -v[153:154]
	v_add_f64 v[131:132], v[131:132], v[135:136]
	v_fma_f64 v[135:136], v[3:4], v[201:202], v[193:194]
	v_add_f64 v[129:130], v[129:130], v[141:142]
	s_clause 0x2
	buffer_load_dword v192, off, s[0:3], 0 offset:716
	buffer_load_dword v142, off, s[0:3], 0 offset:692
	;; [unrolled: 1-line block ×3, first 2 shown]
	s_waitcnt vmcnt(58) lgkmcnt(0)
	v_mul_f64 v[193:194], v[5:6], v[161:162]
	v_mul_f64 v[161:162], v[7:8], v[161:162]
	ds_read_b128 v[1:4], v186 offset:1408
	s_waitcnt vmcnt(56)
	v_fma_f64 v[139:140], v[125:126], v[147:148], -v[139:140]
	v_fma_f64 v[147:148], v[127:128], v[147:148], v[206:207]
	v_add_f64 v[131:132], v[131:132], v[153:154]
	v_add_f64 v[129:130], v[129:130], v[135:136]
	s_clause 0x4
	buffer_load_dword v136, off, s[0:3], 0 offset:732
	buffer_load_dword v153, off, s[0:3], 0 offset:744
	;; [unrolled: 1-line block ×5, first 2 shown]
	ds_read_b128 v[125:128], v186 offset:1424
	s_waitcnt vmcnt(57) lgkmcnt(1)
	v_mul_f64 v[207:208], v[1:2], v[145:146]
	v_mul_f64 v[145:146], v[3:4], v[145:146]
	s_waitcnt vmcnt(56)
	v_fma_f64 v[161:162], v[5:6], v[187:188], -v[161:162]
	v_add_f64 v[131:132], v[131:132], v[139:140]
	v_fma_f64 v[139:140], v[7:8], v[187:188], v[193:194]
	v_add_f64 v[129:130], v[129:130], v[147:148]
	s_clause 0x2
	buffer_load_dword v154, off, s[0:3], 0 offset:748
	buffer_load_dword v148, off, s[0:3], 0 offset:724
	;; [unrolled: 1-line block ×3, first 2 shown]
	s_waitcnt vmcnt(58) lgkmcnt(0)
	v_mul_f64 v[187:188], v[125:126], v[167:168]
	v_mul_f64 v[167:168], v[127:128], v[167:168]
	ds_read_b128 v[5:8], v186 offset:1440
	s_waitcnt vmcnt(56)
	v_fma_f64 v[145:146], v[1:2], v[157:158], -v[145:146]
	v_fma_f64 v[157:158], v[3:4], v[157:158], v[207:208]
	v_add_f64 v[131:132], v[131:132], v[161:162]
	v_add_f64 v[129:130], v[129:130], v[139:140]
	s_clause 0x4
	buffer_load_dword v140, off, s[0:3], 0 offset:764
	buffer_load_dword v161, off, s[0:3], 0 offset:776
	buffer_load_dword v193, off, s[0:3], 0 offset:768
	buffer_load_dword v139, off, s[0:3], 0 offset:760
	buffer_load_dword v202, off, s[0:3], 0 offset:740
	ds_read_b128 v[1:4], v186 offset:1456
	s_waitcnt vmcnt(57) lgkmcnt(1)
	v_mul_f64 v[207:208], v[5:6], v[151:152]
	v_mul_f64 v[151:152], v[7:8], v[151:152]
	s_waitcnt vmcnt(56)
	v_fma_f64 v[167:168], v[125:126], v[169:170], -v[167:168]
	v_add_f64 v[131:132], v[131:132], v[145:146]
	v_fma_f64 v[145:146], v[127:128], v[169:170], v[187:188]
	v_add_f64 v[129:130], v[129:130], v[157:158]
	s_clause 0x2
	buffer_load_dword v162, off, s[0:3], 0 offset:780
	buffer_load_dword v158, off, s[0:3], 0 offset:756
	buffer_load_dword v157, off, s[0:3], 0 offset:752
	ds_read_b128 v[125:128], v186 offset:1472
	s_waitcnt vmcnt(58) lgkmcnt(1)
	v_mul_f64 v[169:170], v[1:2], v[175:176]
	v_mul_f64 v[175:176], v[3:4], v[175:176]
	s_waitcnt vmcnt(56)
	v_fma_f64 v[151:152], v[5:6], v[155:156], -v[151:152]
	v_fma_f64 v[155:156], v[7:8], v[155:156], v[207:208]
	v_add_f64 v[131:132], v[131:132], v[167:168]
	v_add_f64 v[129:130], v[129:130], v[145:146]
	s_clause 0x4
	buffer_load_dword v146, off, s[0:3], 0 offset:796
	buffer_load_dword v167, off, s[0:3], 0 offset:808
	buffer_load_dword v187, off, s[0:3], 0 offset:800
	buffer_load_dword v145, off, s[0:3], 0 offset:792
	buffer_load_dword v194, off, s[0:3], 0 offset:772
	ds_read_b128 v[5:8], v186 offset:1488
	s_waitcnt vmcnt(57) lgkmcnt(1)
	v_mul_f64 v[207:208], v[125:126], v[159:160]
	v_mul_f64 v[159:160], v[127:128], v[159:160]
	s_waitcnt vmcnt(56)
	v_fma_f64 v[175:176], v[1:2], v[177:178], -v[175:176]
	v_add_f64 v[131:132], v[131:132], v[151:152]
	v_fma_f64 v[151:152], v[3:4], v[177:178], v[169:170]
	v_add_f64 v[129:130], v[129:130], v[155:156]
	s_clause 0x2
	buffer_load_dword v168, off, s[0:3], 0 offset:812
	buffer_load_dword v156, off, s[0:3], 0 offset:788
	buffer_load_dword v155, off, s[0:3], 0 offset:784
	ds_read_b128 v[1:4], v186 offset:1504
	s_waitcnt vmcnt(58) lgkmcnt(1)
	v_mul_f64 v[177:178], v[7:8], v[181:182]
	v_mul_f64 v[169:170], v[5:6], v[181:182]
	;; [unrolled: 28-line block ×4, first 2 shown]
	s_waitcnt vmcnt(56)
	v_fma_f64 v[173:174], v[5:6], v[179:180], -v[173:174]
	v_add_f64 v[131:132], v[131:132], v[171:172]
	v_fma_f64 v[171:172], v[7:8], v[179:180], v[207:208]
	v_add_f64 v[129:130], v[129:130], v[165:166]
	s_clause 0x4
	buffer_load_dword v166, off, s[0:3], 0 offset:892
	buffer_load_dword v179, off, s[0:3], 0 offset:904
	;; [unrolled: 1-line block ×5, first 2 shown]
	ds_read_b128 v[5:8], v186 offset:1584
	s_waitcnt vmcnt(57) lgkmcnt(1)
	v_mul_f64 v[207:208], v[125:126], v[137:138]
	v_mul_f64 v[137:138], v[127:128], v[137:138]
	s_waitcnt vmcnt(56)
	v_fma_f64 v[189:190], v[1:2], v[199:200], -v[189:190]
	v_fma_f64 v[169:170], v[3:4], v[199:200], v[169:170]
	v_add_f64 v[131:132], v[131:132], v[173:174]
	v_add_f64 v[129:130], v[129:130], v[171:172]
	s_clause 0x2
	buffer_load_dword v180, off, s[0:3], 0 offset:908
	buffer_load_dword v172, off, s[0:3], 0 offset:884
	;; [unrolled: 1-line block ×3, first 2 shown]
	ds_read_b128 v[1:4], v186 offset:1600
	s_waitcnt vmcnt(58) lgkmcnt(1)
	v_mul_f64 v[173:174], v[5:6], v[197:198]
	v_mul_f64 v[197:198], v[7:8], v[197:198]
	s_waitcnt vmcnt(56)
	v_fma_f64 v[137:138], v[125:126], v[143:144], -v[137:138]
	v_fma_f64 v[143:144], v[127:128], v[143:144], v[207:208]
	v_add_f64 v[131:132], v[131:132], v[189:190]
	v_add_f64 v[129:130], v[129:130], v[169:170]
	s_clause 0x4
	buffer_load_dword v170, off, s[0:3], 0 offset:924
	buffer_load_dword v189, off, s[0:3], 0 offset:936
	;; [unrolled: 1-line block ×5, first 2 shown]
	ds_read_b128 v[125:128], v186 offset:1616
	s_waitcnt vmcnt(57) lgkmcnt(1)
	v_mul_f64 v[207:208], v[1:2], v[149:150]
	v_mul_f64 v[149:150], v[3:4], v[149:150]
	s_waitcnt vmcnt(56)
	v_fma_f64 v[197:198], v[5:6], v[203:204], -v[197:198]
	v_add_f64 v[131:132], v[131:132], v[137:138]
	v_fma_f64 v[137:138], v[7:8], v[203:204], v[173:174]
	v_add_f64 v[129:130], v[129:130], v[143:144]
	s_clause 0x2
	buffer_load_dword v190, off, s[0:3], 0 offset:940
	buffer_load_dword v144, off, s[0:3], 0 offset:916
	;; [unrolled: 1-line block ×3, first 2 shown]
	ds_read_b128 v[5:8], v186 offset:1632
	buffer_load_dword v200, off, s[0:3], 0 offset:932
	s_waitcnt vmcnt(59) lgkmcnt(1)
	v_mul_f64 v[173:174], v[125:126], v[191:192]
	v_mul_f64 v[191:192], v[127:128], v[191:192]
	s_waitcnt vmcnt(57)
	v_fma_f64 v[149:150], v[1:2], v[141:142], -v[149:150]
	v_fma_f64 v[141:142], v[3:4], v[141:142], v[207:208]
	ds_read_b128 v[1:4], v186 offset:1648
	v_add_f64 v[131:132], v[131:132], v[197:198]
	v_add_f64 v[129:130], v[129:130], v[137:138]
	s_waitcnt vmcnt(53) lgkmcnt(1)
	v_mul_f64 v[137:138], v[5:6], v[135:136]
	v_mul_f64 v[135:136], v[7:8], v[135:136]
	s_waitcnt vmcnt(52)
	v_fma_f64 v[191:192], v[125:126], v[205:206], -v[191:192]
	v_add_f64 v[131:132], v[131:132], v[149:150]
	v_fma_f64 v[149:150], v[127:128], v[205:206], v[173:174]
	v_add_f64 v[129:130], v[129:130], v[141:142]
	ds_read_b128 v[125:128], v186 offset:1664
	s_waitcnt vmcnt(51) lgkmcnt(1)
	v_mul_f64 v[141:142], v[1:2], v[153:154]
	v_mul_f64 v[153:154], v[3:4], v[153:154]
	s_waitcnt vmcnt(49)
	v_fma_f64 v[135:136], v[5:6], v[147:148], -v[135:136]
	v_fma_f64 v[137:138], v[7:8], v[147:148], v[137:138]
	v_add_f64 v[131:132], v[131:132], v[191:192]
	v_add_f64 v[129:130], v[129:130], v[149:150]
	s_clause 0x3
	buffer_load_dword v147, off, s[0:3], 0 offset:80
	buffer_load_dword v148, off, s[0:3], 0 offset:84
	;; [unrolled: 1-line block ×4, first 2 shown]
	ds_read_b128 v[5:8], v186 offset:1680
	s_waitcnt vmcnt(49) lgkmcnt(1)
	v_mul_f64 v[173:174], v[125:126], v[139:140]
	v_mul_f64 v[139:140], v[127:128], v[139:140]
	s_waitcnt vmcnt(48)
	v_fma_f64 v[153:154], v[1:2], v[201:202], -v[153:154]
	v_add_f64 v[131:132], v[131:132], v[135:136]
	v_fma_f64 v[135:136], v[3:4], v[201:202], v[141:142]
	v_add_f64 v[129:130], v[129:130], v[137:138]
	ds_read_b128 v[1:4], v186 offset:1696
	s_waitcnt vmcnt(47) lgkmcnt(1)
	v_mul_f64 v[141:142], v[7:8], v[161:162]
	v_mul_f64 v[137:138], v[5:6], v[161:162]
	s_waitcnt vmcnt(45)
	v_fma_f64 v[139:140], v[125:126], v[157:158], -v[139:140]
	v_add_f64 v[131:132], v[131:132], v[153:154]
	v_fma_f64 v[153:154], v[127:128], v[157:158], v[173:174]
	v_add_f64 v[129:130], v[129:130], v[135:136]
	ds_read_b128 v[125:128], v186 offset:1712
	s_waitcnt vmcnt(41) lgkmcnt(1)
	v_mul_f64 v[135:136], v[1:2], v[145:146]
	v_mul_f64 v[145:146], v[3:4], v[145:146]
	s_waitcnt vmcnt(40)
	v_fma_f64 v[141:142], v[5:6], v[193:194], -v[141:142]
	v_fma_f64 v[137:138], v[7:8], v[193:194], v[137:138]
	ds_read_b128 v[5:8], v186 offset:1728
	v_add_f64 v[131:132], v[131:132], v[139:140]
	v_add_f64 v[129:130], v[129:130], v[153:154]
	s_waitcnt vmcnt(39) lgkmcnt(1)
	v_mul_f64 v[153:154], v[127:128], v[167:168]
	v_mul_f64 v[139:140], v[125:126], v[167:168]
	s_waitcnt vmcnt(37)
	v_fma_f64 v[145:146], v[1:2], v[155:156], -v[145:146]
	v_fma_f64 v[135:136], v[3:4], v[155:156], v[135:136]
	ds_read_b128 v[1:4], v186 offset:1744
	v_add_f64 v[131:132], v[131:132], v[141:142]
	v_add_f64 v[129:130], v[129:130], v[137:138]
	;; [unrolled: 9-line block ×4, first 2 shown]
	s_waitcnt vmcnt(25) lgkmcnt(1)
	v_mul_f64 v[151:152], v[127:128], v[159:160]
	s_waitcnt vmcnt(24)
	v_fma_f64 v[145:146], v[1:2], v[181:182], -v[145:146]
	v_mul_f64 v[139:140], v[125:126], v[159:160]
	v_fma_f64 v[135:136], v[3:4], v[181:182], v[135:136]
	ds_read_b128 v[1:4], v186 offset:1792
	v_add_f64 v[131:132], v[131:132], v[141:142]
	v_add_f64 v[129:130], v[129:130], v[137:138]
	s_waitcnt vmcnt(23) lgkmcnt(1)
	v_mul_f64 v[141:142], v[7:8], v[177:178]
	v_mul_f64 v[137:138], v[5:6], v[177:178]
	s_waitcnt vmcnt(21)
	v_fma_f64 v[151:152], v[125:126], v[133:134], -v[151:152]
	v_fma_f64 v[133:134], v[127:128], v[133:134], v[139:140]
	ds_read_b128 v[125:128], v186 offset:1808
	v_add_f64 v[131:132], v[131:132], v[145:146]
	v_add_f64 v[129:130], v[129:130], v[135:136]
	s_waitcnt vmcnt(17) lgkmcnt(1)
	v_mul_f64 v[139:140], v[3:4], v[165:166]
	s_waitcnt vmcnt(16)
	v_fma_f64 v[141:142], v[5:6], v[183:184], -v[141:142]
	v_mul_f64 v[135:136], v[1:2], v[165:166]
	v_fma_f64 v[137:138], v[7:8], v[183:184], v[137:138]
	ds_read_b128 v[5:8], v186 offset:1824
	v_add_f64 v[131:132], v[131:132], v[151:152]
	v_add_f64 v[129:130], v[129:130], v[133:134]
	s_waitcnt vmcnt(15) lgkmcnt(1)
	v_mul_f64 v[145:146], v[127:128], v[179:180]
	v_mul_f64 v[133:134], v[125:126], v[179:180]
	s_waitcnt vmcnt(13)
	v_fma_f64 v[139:140], v[1:2], v[171:172], -v[139:140]
	v_fma_f64 v[135:136], v[3:4], v[171:172], v[135:136]
	ds_read_b128 v[1:4], v186 offset:1840
	v_add_f64 v[131:132], v[131:132], v[141:142]
	v_add_f64 v[129:130], v[129:130], v[137:138]
	s_waitcnt vmcnt(9) lgkmcnt(1)
	v_mul_f64 v[141:142], v[7:8], v[169:170]
	s_waitcnt vmcnt(8)
	v_fma_f64 v[125:126], v[125:126], v[195:196], -v[145:146]
	v_mul_f64 v[137:138], v[5:6], v[169:170]
	v_fma_f64 v[127:128], v[127:128], v[195:196], v[133:134]
	v_add_f64 v[131:132], v[131:132], v[139:140]
	v_add_f64 v[129:130], v[129:130], v[135:136]
	s_waitcnt vmcnt(7) lgkmcnt(0)
	v_mul_f64 v[135:136], v[3:4], v[189:190]
	v_mul_f64 v[133:134], v[1:2], v[189:190]
	s_waitcnt vmcnt(5)
	v_fma_f64 v[5:6], v[5:6], v[143:144], -v[141:142]
	v_fma_f64 v[7:8], v[7:8], v[143:144], v[137:138]
	v_add_f64 v[125:126], v[131:132], v[125:126]
	v_add_f64 v[127:128], v[129:130], v[127:128]
	s_waitcnt vmcnt(4)
	v_fma_f64 v[1:2], v[1:2], v[199:200], -v[135:136]
	v_fma_f64 v[3:4], v[3:4], v[199:200], v[133:134]
	v_add_f64 v[5:6], v[125:126], v[5:6]
	v_add_f64 v[7:8], v[127:128], v[7:8]
	;; [unrolled: 1-line block ×4, first 2 shown]
	s_waitcnt vmcnt(2)
	v_add_f64 v[1:2], v[147:148], -v[1:2]
	s_waitcnt vmcnt(0)
	v_add_f64 v[3:4], v[149:150], -v[3:4]
	buffer_store_dword v2, off, s[0:3], 0 offset:84
	buffer_store_dword v1, off, s[0:3], 0 offset:80
	;; [unrolled: 1-line block ×4, first 2 shown]
	v_cmpx_lt_u32_e32 3, v0
	s_cbranch_execz .LBB121_355
; %bb.354:
	v_mov_b32_e32 v4, s67
	s_clause 0x3
	buffer_load_dword v1, v4, s[0:3], 0 offen
	buffer_load_dword v2, v4, s[0:3], 0 offen offset:4
	buffer_load_dword v3, v4, s[0:3], 0 offen offset:8
	;; [unrolled: 1-line block ×3, first 2 shown]
	buffer_store_dword v186, off, s[0:3], 0 offset:64
	buffer_store_dword v186, off, s[0:3], 0 offset:68
	;; [unrolled: 1-line block ×4, first 2 shown]
	s_waitcnt vmcnt(0)
	ds_write_b128 v185, v[1:4]
.LBB121_355:
	s_or_b32 exec_lo, exec_lo, s4
	s_waitcnt lgkmcnt(0)
	s_waitcnt_vscnt null, 0x0
	s_barrier
	buffer_gl0_inv
	s_clause 0x37
	buffer_load_dword v133, off, s[0:3], 0 offset:88
	buffer_load_dword v134, off, s[0:3], 0 offset:92
	;; [unrolled: 1-line block ×56, first 2 shown]
	ds_read_b128 v[5:8], v186 offset:992
	s_clause 0x2
	buffer_load_dword v182, off, s[0:3], 0 offset:316
	buffer_load_dword v184, off, s[0:3], 0 offset:292
	;; [unrolled: 1-line block ×3, first 2 shown]
	ds_read_b128 v[1:4], v186 offset:1008
	s_clause 0x4
	buffer_load_dword v194, off, s[0:3], 0 offset:332
	buffer_load_dword v195, off, s[0:3], 0 offset:344
	;; [unrolled: 1-line block ×5, first 2 shown]
	ds_read_b128 v[187:190], v186 offset:1024
	s_mov_b32 s4, exec_lo
	s_waitcnt vmcnt(62) lgkmcnt(2)
	v_mul_f64 v[191:192], v[7:8], v[133:134]
	v_mul_f64 v[133:134], v[5:6], v[133:134]
	s_waitcnt vmcnt(60) lgkmcnt(1)
	v_mul_f64 v[198:199], v[3:4], v[129:130]
	v_mul_f64 v[129:130], v[1:2], v[129:130]
	;; [unrolled: 3-line block ×3, first 2 shown]
	v_fma_f64 v[191:192], v[5:6], v[131:132], -v[191:192]
	v_fma_f64 v[131:132], v[7:8], v[131:132], v[133:134]
	s_clause 0x2
	buffer_load_dword v196, off, s[0:3], 0 offset:348
	buffer_load_dword v134, off, s[0:3], 0 offset:324
	;; [unrolled: 1-line block ×3, first 2 shown]
	s_waitcnt vmcnt(57)
	v_fma_f64 v[202:203], v[1:2], v[125:126], -v[198:199]
	ds_read_b128 v[5:8], v186 offset:1040
	v_fma_f64 v[125:126], v[3:4], v[125:126], v[129:130]
	s_waitcnt vmcnt(51)
	v_fma_f64 v[187:188], v[187:188], v[149:150], -v[127:128]
	v_fma_f64 v[149:150], v[189:190], v[149:150], v[200:201]
	v_add_f64 v[191:192], v[191:192], 0
	v_add_f64 v[129:130], v[131:132], 0
	s_clause 0x4
	buffer_load_dword v132, off, s[0:3], 0 offset:364
	buffer_load_dword v199, off, s[0:3], 0 offset:376
	;; [unrolled: 1-line block ×5, first 2 shown]
	s_waitcnt lgkmcnt(0)
	v_mul_f64 v[205:206], v[5:6], v[137:138]
	v_mul_f64 v[137:138], v[7:8], v[137:138]
	ds_read_b128 v[1:4], v186 offset:1056
	s_clause 0x2
	buffer_load_dword v200, off, s[0:3], 0 offset:380
	buffer_load_dword v190, off, s[0:3], 0 offset:356
	;; [unrolled: 1-line block ×3, first 2 shown]
	v_add_f64 v[191:192], v[191:192], v[202:203]
	v_add_f64 v[129:130], v[129:130], v[125:126]
	ds_read_b128 v[125:128], v186 offset:1072
	s_waitcnt vmcnt(58) lgkmcnt(1)
	v_mul_f64 v[201:202], v[1:2], v[141:142]
	v_mul_f64 v[141:142], v[3:4], v[141:142]
	s_waitcnt vmcnt(56)
	v_fma_f64 v[137:138], v[5:6], v[143:144], -v[137:138]
	v_fma_f64 v[143:144], v[7:8], v[143:144], v[205:206]
	s_waitcnt vmcnt(52) lgkmcnt(0)
	v_mul_f64 v[207:208], v[125:126], v[145:146]
	v_add_f64 v[187:188], v[191:192], v[187:188]
	v_add_f64 v[129:130], v[129:130], v[149:150]
	s_clause 0x4
	buffer_load_dword v150, off, s[0:3], 0 offset:396
	buffer_load_dword v191, off, s[0:3], 0 offset:408
	buffer_load_dword v206, off, s[0:3], 0 offset:400
	buffer_load_dword v149, off, s[0:3], 0 offset:392
	buffer_load_dword v205, off, s[0:3], 0 offset:372
	v_mul_f64 v[145:146], v[127:128], v[145:146]
	s_waitcnt vmcnt(56)
	v_fma_f64 v[141:142], v[1:2], v[135:136], -v[141:142]
	ds_read_b128 v[5:8], v186 offset:1088
	v_fma_f64 v[135:136], v[3:4], v[135:136], v[201:202]
	v_add_f64 v[137:138], v[187:188], v[137:138]
	v_add_f64 v[129:130], v[129:130], v[143:144]
	s_clause 0x2
	buffer_load_dword v192, off, s[0:3], 0 offset:412
	buffer_load_dword v144, off, s[0:3], 0 offset:388
	;; [unrolled: 1-line block ×3, first 2 shown]
	s_waitcnt vmcnt(58) lgkmcnt(0)
	v_mul_f64 v[187:188], v[5:6], v[151:152]
	v_mul_f64 v[151:152], v[7:8], v[151:152]
	s_waitcnt vmcnt(56)
	v_fma_f64 v[145:146], v[125:126], v[153:154], -v[145:146]
	ds_read_b128 v[1:4], v186 offset:1104
	v_add_f64 v[137:138], v[137:138], v[141:142]
	v_fma_f64 v[141:142], v[127:128], v[153:154], v[207:208]
	v_add_f64 v[129:130], v[129:130], v[135:136]
	s_clause 0x4
	buffer_load_dword v136, off, s[0:3], 0 offset:428
	buffer_load_dword v153, off, s[0:3], 0 offset:440
	;; [unrolled: 1-line block ×5, first 2 shown]
	s_waitcnt vmcnt(57) lgkmcnt(0)
	v_mul_f64 v[202:203], v[1:2], v[155:156]
	v_mul_f64 v[155:156], v[3:4], v[155:156]
	s_waitcnt vmcnt(56)
	v_fma_f64 v[151:152], v[5:6], v[139:140], -v[151:152]
	ds_read_b128 v[125:128], v186 offset:1120
	v_fma_f64 v[139:140], v[7:8], v[139:140], v[187:188]
	v_add_f64 v[137:138], v[137:138], v[145:146]
	v_add_f64 v[129:130], v[129:130], v[141:142]
	s_clause 0x2
	buffer_load_dword v154, off, s[0:3], 0 offset:444
	buffer_load_dword v142, off, s[0:3], 0 offset:420
	buffer_load_dword v141, off, s[0:3], 0 offset:416
	ds_read_b128 v[5:8], v186 offset:1136
	s_waitcnt vmcnt(58) lgkmcnt(1)
	v_mul_f64 v[145:146], v[125:126], v[159:160]
	v_mul_f64 v[159:160], v[127:128], v[159:160]
	s_waitcnt vmcnt(56)
	v_fma_f64 v[155:156], v[1:2], v[161:162], -v[155:156]
	v_add_f64 v[137:138], v[137:138], v[151:152]
	v_fma_f64 v[151:152], v[3:4], v[161:162], v[202:203]
	v_add_f64 v[129:130], v[129:130], v[139:140]
	s_clause 0x4
	buffer_load_dword v140, off, s[0:3], 0 offset:460
	buffer_load_dword v161, off, s[0:3], 0 offset:472
	;; [unrolled: 1-line block ×5, first 2 shown]
	s_waitcnt vmcnt(57) lgkmcnt(0)
	v_mul_f64 v[208:209], v[5:6], v[163:164]
	v_mul_f64 v[163:164], v[7:8], v[163:164]
	s_waitcnt vmcnt(56)
	v_fma_f64 v[159:160], v[125:126], v[147:148], -v[159:160]
	ds_read_b128 v[1:4], v186 offset:1152
	v_fma_f64 v[145:146], v[127:128], v[147:148], v[145:146]
	s_clause 0x2
	buffer_load_dword v162, off, s[0:3], 0 offset:476
	buffer_load_dword v148, off, s[0:3], 0 offset:452
	;; [unrolled: 1-line block ×3, first 2 shown]
	ds_read_b128 v[125:128], v186 offset:1168
	v_add_f64 v[137:138], v[137:138], v[155:156]
	v_add_f64 v[129:130], v[129:130], v[151:152]
	s_waitcnt vmcnt(58) lgkmcnt(1)
	v_mul_f64 v[155:156], v[3:4], v[167:168]
	s_waitcnt vmcnt(56)
	v_fma_f64 v[163:164], v[5:6], v[169:170], -v[163:164]
	v_mul_f64 v[151:152], v[1:2], v[167:168]
	v_add_f64 v[137:138], v[137:138], v[159:160]
	v_fma_f64 v[159:160], v[7:8], v[169:170], v[208:209]
	v_add_f64 v[129:130], v[129:130], v[145:146]
	s_clause 0x4
	buffer_load_dword v146, off, s[0:3], 0 offset:492
	buffer_load_dword v167, off, s[0:3], 0 offset:504
	buffer_load_dword v169, off, s[0:3], 0 offset:496
	buffer_load_dword v145, off, s[0:3], 0 offset:488
	buffer_load_dword v188, off, s[0:3], 0 offset:468
	s_waitcnt vmcnt(57) lgkmcnt(0)
	v_mul_f64 v[208:209], v[125:126], v[171:172]
	v_mul_f64 v[170:171], v[127:128], v[171:172]
	s_waitcnt vmcnt(56)
	v_fma_f64 v[155:156], v[1:2], v[157:158], -v[155:156]
	ds_read_b128 v[5:8], v186 offset:1184
	v_fma_f64 v[151:152], v[3:4], v[157:158], v[151:152]
	s_clause 0x2
	buffer_load_dword v168, off, s[0:3], 0 offset:508
	buffer_load_dword v158, off, s[0:3], 0 offset:484
	;; [unrolled: 1-line block ×3, first 2 shown]
	ds_read_b128 v[1:4], v186 offset:1200
	v_add_f64 v[137:138], v[137:138], v[163:164]
	v_add_f64 v[129:130], v[129:130], v[159:160]
	s_waitcnt vmcnt(58) lgkmcnt(1)
	v_mul_f64 v[163:164], v[7:8], v[175:176]
	s_waitcnt vmcnt(56)
	v_fma_f64 v[171:172], v[125:126], v[177:178], -v[170:171]
	v_mul_f64 v[159:160], v[5:6], v[175:176]
	v_add_f64 v[137:138], v[137:138], v[155:156]
	v_fma_f64 v[155:156], v[127:128], v[177:178], v[208:209]
	v_add_f64 v[129:130], v[129:130], v[151:152]
	s_clause 0x4
	buffer_load_dword v152, off, s[0:3], 0 offset:524
	buffer_load_dword v175, off, s[0:3], 0 offset:536
	;; [unrolled: 1-line block ×5, first 2 shown]
	s_waitcnt vmcnt(57) lgkmcnt(0)
	v_mul_f64 v[208:209], v[1:2], v[179:180]
	v_mul_f64 v[178:179], v[3:4], v[179:180]
	s_waitcnt vmcnt(56)
	v_fma_f64 v[163:164], v[5:6], v[165:166], -v[163:164]
	ds_read_b128 v[125:128], v186 offset:1216
	v_fma_f64 v[159:160], v[7:8], v[165:166], v[159:160]
	v_add_f64 v[137:138], v[137:138], v[171:172]
	v_add_f64 v[129:130], v[129:130], v[155:156]
	s_clause 0x2
	buffer_load_dword v176, off, s[0:3], 0 offset:540
	buffer_load_dword v156, off, s[0:3], 0 offset:516
	;; [unrolled: 1-line block ×3, first 2 shown]
	ds_read_b128 v[5:8], v186 offset:1232
	s_waitcnt vmcnt(58) lgkmcnt(1)
	v_mul_f64 v[171:172], v[127:128], v[181:182]
	s_waitcnt vmcnt(56)
	v_fma_f64 v[179:180], v[1:2], v[183:184], -v[178:179]
	v_mul_f64 v[165:166], v[125:126], v[181:182]
	v_add_f64 v[137:138], v[137:138], v[163:164]
	v_fma_f64 v[163:164], v[3:4], v[183:184], v[208:209]
	v_add_f64 v[129:130], v[129:130], v[159:160]
	s_clause 0x4
	buffer_load_dword v160, off, s[0:3], 0 offset:556
	buffer_load_dword v181, off, s[0:3], 0 offset:568
	;; [unrolled: 1-line block ×5, first 2 shown]
	s_waitcnt vmcnt(57) lgkmcnt(0)
	v_mul_f64 v[208:209], v[5:6], v[193:194]
	v_mul_f64 v[193:194], v[7:8], v[193:194]
	s_waitcnt vmcnt(56)
	v_fma_f64 v[171:172], v[125:126], v[173:174], -v[171:172]
	ds_read_b128 v[1:4], v186 offset:1248
	v_fma_f64 v[165:166], v[127:128], v[173:174], v[165:166]
	v_add_f64 v[137:138], v[137:138], v[179:180]
	v_add_f64 v[129:130], v[129:130], v[163:164]
	s_clause 0x2
	buffer_load_dword v182, off, s[0:3], 0 offset:572
	buffer_load_dword v164, off, s[0:3], 0 offset:548
	;; [unrolled: 1-line block ×3, first 2 shown]
	ds_read_b128 v[125:128], v186 offset:1264
	s_waitcnt vmcnt(58) lgkmcnt(1)
	v_mul_f64 v[179:180], v[3:4], v[195:196]
	v_mul_f64 v[173:174], v[1:2], v[195:196]
	s_waitcnt vmcnt(56)
	v_fma_f64 v[193:194], v[5:6], v[133:134], -v[193:194]
	v_fma_f64 v[133:134], v[7:8], v[133:134], v[208:209]
	v_add_f64 v[137:138], v[137:138], v[171:172]
	v_add_f64 v[129:130], v[129:130], v[165:166]
	s_clause 0x4
	buffer_load_dword v166, off, s[0:3], 0 offset:588
	buffer_load_dword v171, off, s[0:3], 0 offset:600
	;; [unrolled: 1-line block ×5, first 2 shown]
	ds_read_b128 v[5:8], v186 offset:1280
	s_waitcnt vmcnt(57) lgkmcnt(1)
	v_mul_f64 v[208:209], v[125:126], v[131:132]
	v_mul_f64 v[131:132], v[127:128], v[131:132]
	s_waitcnt vmcnt(56)
	v_fma_f64 v[179:180], v[1:2], v[197:198], -v[179:180]
	v_fma_f64 v[173:174], v[3:4], v[197:198], v[173:174]
	v_add_f64 v[137:138], v[137:138], v[193:194]
	v_add_f64 v[129:130], v[129:130], v[133:134]
	s_clause 0x2
	buffer_load_dword v172, off, s[0:3], 0 offset:604
	buffer_load_dword v134, off, s[0:3], 0 offset:580
	;; [unrolled: 1-line block ×3, first 2 shown]
	s_waitcnt vmcnt(58) lgkmcnt(0)
	v_mul_f64 v[197:198], v[7:8], v[199:200]
	ds_read_b128 v[1:4], v186 offset:1296
	v_mul_f64 v[193:194], v[5:6], v[199:200]
	s_waitcnt vmcnt(56)
	v_fma_f64 v[131:132], v[125:126], v[189:190], -v[131:132]
	v_add_f64 v[137:138], v[137:138], v[179:180]
	v_fma_f64 v[179:180], v[127:128], v[189:190], v[208:209]
	v_add_f64 v[129:130], v[129:130], v[173:174]
	s_clause 0x4
	buffer_load_dword v174, off, s[0:3], 0 offset:620
	buffer_load_dword v189, off, s[0:3], 0 offset:632
	;; [unrolled: 1-line block ×5, first 2 shown]
	ds_read_b128 v[125:128], v186 offset:1312
	s_waitcnt vmcnt(57) lgkmcnt(1)
	v_mul_f64 v[208:209], v[1:2], v[149:150]
	v_mul_f64 v[149:150], v[3:4], v[149:150]
	s_waitcnt vmcnt(56)
	v_fma_f64 v[197:198], v[5:6], v[204:205], -v[197:198]
	v_add_f64 v[131:132], v[137:138], v[131:132]
	v_fma_f64 v[137:138], v[7:8], v[204:205], v[193:194]
	v_add_f64 v[129:130], v[129:130], v[179:180]
	s_clause 0x2
	buffer_load_dword v190, off, s[0:3], 0 offset:636
	buffer_load_dword v180, off, s[0:3], 0 offset:612
	;; [unrolled: 1-line block ×3, first 2 shown]
	ds_read_b128 v[5:8], v186 offset:1328
	s_waitcnt vmcnt(58) lgkmcnt(1)
	v_mul_f64 v[193:194], v[125:126], v[191:192]
	v_mul_f64 v[191:192], v[127:128], v[191:192]
	s_waitcnt vmcnt(56)
	v_fma_f64 v[149:150], v[1:2], v[143:144], -v[149:150]
	v_fma_f64 v[143:144], v[3:4], v[143:144], v[208:209]
	v_add_f64 v[131:132], v[131:132], v[197:198]
	v_add_f64 v[129:130], v[129:130], v[137:138]
	s_clause 0x4
	buffer_load_dword v138, off, s[0:3], 0 offset:652
	buffer_load_dword v197, off, s[0:3], 0 offset:664
	;; [unrolled: 1-line block ×5, first 2 shown]
	ds_read_b128 v[1:4], v186 offset:1344
	s_waitcnt vmcnt(57) lgkmcnt(1)
	v_mul_f64 v[204:205], v[5:6], v[135:136]
	v_mul_f64 v[135:136], v[7:8], v[135:136]
	s_waitcnt vmcnt(56)
	v_fma_f64 v[191:192], v[125:126], v[206:207], -v[191:192]
	v_add_f64 v[131:132], v[131:132], v[149:150]
	v_fma_f64 v[149:150], v[127:128], v[206:207], v[193:194]
	v_add_f64 v[129:130], v[129:130], v[143:144]
	s_clause 0x2
	buffer_load_dword v198, off, s[0:3], 0 offset:668
	buffer_load_dword v144, off, s[0:3], 0 offset:644
	;; [unrolled: 1-line block ×3, first 2 shown]
	ds_read_b128 v[125:128], v186 offset:1360
	s_waitcnt vmcnt(58) lgkmcnt(1)
	v_mul_f64 v[193:194], v[1:2], v[153:154]
	v_mul_f64 v[153:154], v[3:4], v[153:154]
	s_waitcnt vmcnt(56)
	v_fma_f64 v[135:136], v[5:6], v[141:142], -v[135:136]
	v_fma_f64 v[141:142], v[7:8], v[141:142], v[204:205]
	v_add_f64 v[131:132], v[131:132], v[191:192]
	v_add_f64 v[129:130], v[129:130], v[149:150]
	s_clause 0x4
	buffer_load_dword v150, off, s[0:3], 0 offset:684
	buffer_load_dword v191, off, s[0:3], 0 offset:696
	;; [unrolled: 1-line block ×5, first 2 shown]
	ds_read_b128 v[5:8], v186 offset:1376
	s_waitcnt vmcnt(57) lgkmcnt(1)
	v_mul_f64 v[206:207], v[125:126], v[139:140]
	v_mul_f64 v[139:140], v[127:128], v[139:140]
	s_waitcnt vmcnt(56)
	v_fma_f64 v[153:154], v[1:2], v[201:202], -v[153:154]
	v_add_f64 v[131:132], v[131:132], v[135:136]
	v_fma_f64 v[135:136], v[3:4], v[201:202], v[193:194]
	v_add_f64 v[129:130], v[129:130], v[141:142]
	s_clause 0x2
	buffer_load_dword v192, off, s[0:3], 0 offset:700
	buffer_load_dword v142, off, s[0:3], 0 offset:676
	;; [unrolled: 1-line block ×3, first 2 shown]
	s_waitcnt vmcnt(58) lgkmcnt(0)
	v_mul_f64 v[193:194], v[5:6], v[161:162]
	v_mul_f64 v[161:162], v[7:8], v[161:162]
	ds_read_b128 v[1:4], v186 offset:1392
	s_waitcnt vmcnt(56)
	v_fma_f64 v[139:140], v[125:126], v[147:148], -v[139:140]
	v_fma_f64 v[147:148], v[127:128], v[147:148], v[206:207]
	v_add_f64 v[131:132], v[131:132], v[153:154]
	v_add_f64 v[129:130], v[129:130], v[135:136]
	s_clause 0x4
	buffer_load_dword v136, off, s[0:3], 0 offset:716
	buffer_load_dword v153, off, s[0:3], 0 offset:728
	;; [unrolled: 1-line block ×5, first 2 shown]
	ds_read_b128 v[125:128], v186 offset:1408
	s_waitcnt vmcnt(57) lgkmcnt(1)
	v_mul_f64 v[207:208], v[1:2], v[145:146]
	v_mul_f64 v[145:146], v[3:4], v[145:146]
	s_waitcnt vmcnt(56)
	v_fma_f64 v[161:162], v[5:6], v[187:188], -v[161:162]
	v_add_f64 v[131:132], v[131:132], v[139:140]
	v_fma_f64 v[139:140], v[7:8], v[187:188], v[193:194]
	v_add_f64 v[129:130], v[129:130], v[147:148]
	s_clause 0x2
	buffer_load_dword v154, off, s[0:3], 0 offset:732
	buffer_load_dword v148, off, s[0:3], 0 offset:708
	buffer_load_dword v147, off, s[0:3], 0 offset:704
	s_waitcnt vmcnt(58) lgkmcnt(0)
	v_mul_f64 v[187:188], v[125:126], v[167:168]
	v_mul_f64 v[167:168], v[127:128], v[167:168]
	ds_read_b128 v[5:8], v186 offset:1424
	s_waitcnt vmcnt(56)
	v_fma_f64 v[145:146], v[1:2], v[157:158], -v[145:146]
	v_fma_f64 v[157:158], v[3:4], v[157:158], v[207:208]
	v_add_f64 v[131:132], v[131:132], v[161:162]
	v_add_f64 v[129:130], v[129:130], v[139:140]
	s_clause 0x4
	buffer_load_dword v140, off, s[0:3], 0 offset:748
	buffer_load_dword v161, off, s[0:3], 0 offset:760
	buffer_load_dword v193, off, s[0:3], 0 offset:752
	buffer_load_dword v139, off, s[0:3], 0 offset:744
	buffer_load_dword v202, off, s[0:3], 0 offset:724
	ds_read_b128 v[1:4], v186 offset:1440
	s_waitcnt vmcnt(57) lgkmcnt(1)
	v_mul_f64 v[207:208], v[5:6], v[151:152]
	v_mul_f64 v[151:152], v[7:8], v[151:152]
	s_waitcnt vmcnt(56)
	v_fma_f64 v[167:168], v[125:126], v[169:170], -v[167:168]
	v_add_f64 v[131:132], v[131:132], v[145:146]
	v_fma_f64 v[145:146], v[127:128], v[169:170], v[187:188]
	v_add_f64 v[129:130], v[129:130], v[157:158]
	s_clause 0x2
	buffer_load_dword v162, off, s[0:3], 0 offset:764
	buffer_load_dword v158, off, s[0:3], 0 offset:740
	buffer_load_dword v157, off, s[0:3], 0 offset:736
	ds_read_b128 v[125:128], v186 offset:1456
	s_waitcnt vmcnt(58) lgkmcnt(1)
	v_mul_f64 v[169:170], v[1:2], v[175:176]
	v_mul_f64 v[175:176], v[3:4], v[175:176]
	s_waitcnt vmcnt(56)
	v_fma_f64 v[151:152], v[5:6], v[155:156], -v[151:152]
	v_fma_f64 v[155:156], v[7:8], v[155:156], v[207:208]
	v_add_f64 v[131:132], v[131:132], v[167:168]
	v_add_f64 v[129:130], v[129:130], v[145:146]
	s_clause 0x4
	buffer_load_dword v146, off, s[0:3], 0 offset:780
	buffer_load_dword v167, off, s[0:3], 0 offset:792
	buffer_load_dword v187, off, s[0:3], 0 offset:784
	buffer_load_dword v145, off, s[0:3], 0 offset:776
	buffer_load_dword v194, off, s[0:3], 0 offset:756
	ds_read_b128 v[5:8], v186 offset:1472
	s_waitcnt vmcnt(57) lgkmcnt(1)
	v_mul_f64 v[207:208], v[125:126], v[159:160]
	v_mul_f64 v[159:160], v[127:128], v[159:160]
	s_waitcnt vmcnt(56)
	v_fma_f64 v[175:176], v[1:2], v[177:178], -v[175:176]
	v_add_f64 v[131:132], v[131:132], v[151:152]
	v_fma_f64 v[151:152], v[3:4], v[177:178], v[169:170]
	v_add_f64 v[129:130], v[129:130], v[155:156]
	s_clause 0x2
	buffer_load_dword v168, off, s[0:3], 0 offset:796
	buffer_load_dword v156, off, s[0:3], 0 offset:772
	buffer_load_dword v155, off, s[0:3], 0 offset:768
	ds_read_b128 v[1:4], v186 offset:1488
	s_waitcnt vmcnt(58) lgkmcnt(1)
	v_mul_f64 v[177:178], v[7:8], v[181:182]
	v_mul_f64 v[169:170], v[5:6], v[181:182]
	;; [unrolled: 28-line block ×4, first 2 shown]
	s_waitcnt vmcnt(56)
	v_fma_f64 v[173:174], v[5:6], v[179:180], -v[173:174]
	v_add_f64 v[131:132], v[131:132], v[171:172]
	v_fma_f64 v[171:172], v[7:8], v[179:180], v[207:208]
	v_add_f64 v[129:130], v[129:130], v[165:166]
	s_clause 0x4
	buffer_load_dword v166, off, s[0:3], 0 offset:876
	buffer_load_dword v179, off, s[0:3], 0 offset:888
	;; [unrolled: 1-line block ×5, first 2 shown]
	ds_read_b128 v[5:8], v186 offset:1568
	s_waitcnt vmcnt(57) lgkmcnt(1)
	v_mul_f64 v[207:208], v[125:126], v[137:138]
	v_mul_f64 v[137:138], v[127:128], v[137:138]
	s_waitcnt vmcnt(56)
	v_fma_f64 v[189:190], v[1:2], v[199:200], -v[189:190]
	v_fma_f64 v[169:170], v[3:4], v[199:200], v[169:170]
	v_add_f64 v[131:132], v[131:132], v[173:174]
	v_add_f64 v[129:130], v[129:130], v[171:172]
	s_clause 0x2
	buffer_load_dword v180, off, s[0:3], 0 offset:892
	buffer_load_dword v172, off, s[0:3], 0 offset:868
	;; [unrolled: 1-line block ×3, first 2 shown]
	ds_read_b128 v[1:4], v186 offset:1584
	s_waitcnt vmcnt(58) lgkmcnt(1)
	v_mul_f64 v[173:174], v[5:6], v[197:198]
	v_mul_f64 v[197:198], v[7:8], v[197:198]
	s_waitcnt vmcnt(56)
	v_fma_f64 v[137:138], v[125:126], v[143:144], -v[137:138]
	v_fma_f64 v[143:144], v[127:128], v[143:144], v[207:208]
	v_add_f64 v[131:132], v[131:132], v[189:190]
	v_add_f64 v[129:130], v[129:130], v[169:170]
	s_clause 0x4
	buffer_load_dword v170, off, s[0:3], 0 offset:908
	buffer_load_dword v189, off, s[0:3], 0 offset:920
	buffer_load_dword v199, off, s[0:3], 0 offset:912
	buffer_load_dword v169, off, s[0:3], 0 offset:904
	buffer_load_dword v196, off, s[0:3], 0 offset:884
	ds_read_b128 v[125:128], v186 offset:1600
	s_waitcnt vmcnt(57) lgkmcnt(1)
	v_mul_f64 v[207:208], v[1:2], v[149:150]
	v_mul_f64 v[149:150], v[3:4], v[149:150]
	s_waitcnt vmcnt(56)
	v_fma_f64 v[197:198], v[5:6], v[203:204], -v[197:198]
	v_add_f64 v[131:132], v[131:132], v[137:138]
	v_fma_f64 v[137:138], v[7:8], v[203:204], v[173:174]
	v_add_f64 v[129:130], v[129:130], v[143:144]
	s_clause 0x2
	buffer_load_dword v190, off, s[0:3], 0 offset:924
	buffer_load_dword v144, off, s[0:3], 0 offset:900
	;; [unrolled: 1-line block ×3, first 2 shown]
	ds_read_b128 v[5:8], v186 offset:1616
	s_waitcnt vmcnt(58) lgkmcnt(1)
	v_mul_f64 v[173:174], v[125:126], v[191:192]
	v_mul_f64 v[191:192], v[127:128], v[191:192]
	s_waitcnt vmcnt(56)
	v_fma_f64 v[149:150], v[1:2], v[141:142], -v[149:150]
	v_fma_f64 v[141:142], v[3:4], v[141:142], v[207:208]
	v_add_f64 v[131:132], v[131:132], v[197:198]
	v_add_f64 v[129:130], v[129:130], v[137:138]
	s_clause 0x2
	buffer_load_dword v138, off, s[0:3], 0 offset:940
	buffer_load_dword v137, off, s[0:3], 0 offset:936
	;; [unrolled: 1-line block ×3, first 2 shown]
	ds_read_b128 v[1:4], v186 offset:1632
	s_waitcnt vmcnt(55) lgkmcnt(1)
	v_mul_f64 v[197:198], v[5:6], v[135:136]
	v_mul_f64 v[135:136], v[7:8], v[135:136]
	s_waitcnt vmcnt(54)
	v_fma_f64 v[191:192], v[125:126], v[205:206], -v[191:192]
	v_add_f64 v[131:132], v[131:132], v[149:150]
	v_fma_f64 v[149:150], v[127:128], v[205:206], v[173:174]
	v_add_f64 v[129:130], v[129:130], v[141:142]
	s_clause 0x1
	buffer_load_dword v142, off, s[0:3], 0 offset:932
	buffer_load_dword v141, off, s[0:3], 0 offset:928
	ds_read_b128 v[125:128], v186 offset:1648
	s_waitcnt vmcnt(55) lgkmcnt(1)
	v_mul_f64 v[173:174], v[1:2], v[153:154]
	v_mul_f64 v[153:154], v[3:4], v[153:154]
	s_waitcnt vmcnt(53)
	v_fma_f64 v[135:136], v[5:6], v[147:148], -v[135:136]
	v_fma_f64 v[147:148], v[7:8], v[147:148], v[197:198]
	ds_read_b128 v[5:8], v186 offset:1664
	v_add_f64 v[131:132], v[131:132], v[191:192]
	v_add_f64 v[129:130], v[129:130], v[149:150]
	s_waitcnt vmcnt(49) lgkmcnt(1)
	v_mul_f64 v[149:150], v[125:126], v[139:140]
	v_mul_f64 v[139:140], v[127:128], v[139:140]
	s_waitcnt vmcnt(48)
	v_fma_f64 v[153:154], v[1:2], v[201:202], -v[153:154]
	v_add_f64 v[131:132], v[131:132], v[135:136]
	v_fma_f64 v[135:136], v[3:4], v[201:202], v[173:174]
	v_add_f64 v[129:130], v[129:130], v[147:148]
	s_clause 0x3
	buffer_load_dword v147, off, s[0:3], 0 offset:64
	buffer_load_dword v148, off, s[0:3], 0 offset:68
	;; [unrolled: 1-line block ×4, first 2 shown]
	ds_read_b128 v[1:4], v186 offset:1680
	s_waitcnt vmcnt(51) lgkmcnt(1)
	v_mul_f64 v[191:192], v[5:6], v[161:162]
	v_mul_f64 v[161:162], v[7:8], v[161:162]
	s_waitcnt vmcnt(49)
	v_fma_f64 v[139:140], v[125:126], v[157:158], -v[139:140]
	v_fma_f64 v[149:150], v[127:128], v[157:158], v[149:150]
	ds_read_b128 v[125:128], v186 offset:1696
	v_add_f64 v[131:132], v[131:132], v[153:154]
	v_add_f64 v[129:130], v[129:130], v[135:136]
	s_waitcnt vmcnt(45) lgkmcnt(1)
	v_mul_f64 v[135:136], v[1:2], v[145:146]
	v_mul_f64 v[145:146], v[3:4], v[145:146]
	s_waitcnt vmcnt(44)
	v_fma_f64 v[153:154], v[5:6], v[193:194], -v[161:162]
	v_add_f64 v[131:132], v[131:132], v[139:140]
	v_fma_f64 v[139:140], v[7:8], v[193:194], v[191:192]
	v_add_f64 v[129:130], v[129:130], v[149:150]
	ds_read_b128 v[5:8], v186 offset:1712
	s_waitcnt vmcnt(43) lgkmcnt(1)
	v_mul_f64 v[157:158], v[127:128], v[167:168]
	v_mul_f64 v[149:150], v[125:126], v[167:168]
	s_waitcnt vmcnt(41)
	v_fma_f64 v[145:146], v[1:2], v[155:156], -v[145:146]
	v_fma_f64 v[135:136], v[3:4], v[155:156], v[135:136]
	ds_read_b128 v[1:4], v186 offset:1728
	v_add_f64 v[131:132], v[131:132], v[153:154]
	v_add_f64 v[129:130], v[129:130], v[139:140]
	s_waitcnt vmcnt(37) lgkmcnt(1)
	v_mul_f64 v[139:140], v[5:6], v[151:152]
	v_mul_f64 v[151:152], v[7:8], v[151:152]
	s_waitcnt vmcnt(36)
	v_fma_f64 v[153:154], v[125:126], v[187:188], -v[157:158]
	v_add_f64 v[131:132], v[131:132], v[145:146]
	v_fma_f64 v[145:146], v[127:128], v[187:188], v[149:150]
	v_add_f64 v[129:130], v[129:130], v[135:136]
	ds_read_b128 v[125:128], v186 offset:1744
	s_waitcnt vmcnt(35) lgkmcnt(1)
	v_mul_f64 v[149:150], v[3:4], v[175:176]
	v_mul_f64 v[135:136], v[1:2], v[175:176]
	s_waitcnt vmcnt(33)
	v_fma_f64 v[151:152], v[5:6], v[163:164], -v[151:152]
	v_fma_f64 v[139:140], v[7:8], v[163:164], v[139:140]
	ds_read_b128 v[5:8], v186 offset:1760
	v_add_f64 v[131:132], v[131:132], v[153:154]
	v_add_f64 v[129:130], v[129:130], v[145:146]
	s_waitcnt vmcnt(29) lgkmcnt(1)
	v_mul_f64 v[153:154], v[127:128], v[159:160]
	s_waitcnt vmcnt(28)
	v_fma_f64 v[149:150], v[1:2], v[181:182], -v[149:150]
	v_mul_f64 v[145:146], v[125:126], v[159:160]
	v_fma_f64 v[135:136], v[3:4], v[181:182], v[135:136]
	ds_read_b128 v[1:4], v186 offset:1776
	v_add_f64 v[131:132], v[131:132], v[151:152]
	v_add_f64 v[129:130], v[129:130], v[139:140]
	s_waitcnt vmcnt(27) lgkmcnt(1)
	v_mul_f64 v[151:152], v[7:8], v[177:178]
	v_mul_f64 v[139:140], v[5:6], v[177:178]
	s_waitcnt vmcnt(25)
	v_fma_f64 v[153:154], v[125:126], v[133:134], -v[153:154]
	v_fma_f64 v[133:134], v[127:128], v[133:134], v[145:146]
	ds_read_b128 v[125:128], v186 offset:1792
	v_add_f64 v[131:132], v[131:132], v[149:150]
	v_add_f64 v[129:130], v[129:130], v[135:136]
	s_waitcnt vmcnt(21) lgkmcnt(1)
	v_mul_f64 v[145:146], v[3:4], v[165:166]
	s_waitcnt vmcnt(20)
	v_fma_f64 v[149:150], v[5:6], v[183:184], -v[151:152]
	v_mul_f64 v[135:136], v[1:2], v[165:166]
	v_fma_f64 v[139:140], v[7:8], v[183:184], v[139:140]
	ds_read_b128 v[5:8], v186 offset:1808
	v_add_f64 v[131:132], v[131:132], v[153:154]
	v_add_f64 v[129:130], v[129:130], v[133:134]
	;; [unrolled: 18-line block ×3, first 2 shown]
	s_waitcnt vmcnt(11) lgkmcnt(1)
	v_mul_f64 v[145:146], v[3:4], v[189:190]
	v_mul_f64 v[135:136], v[1:2], v[189:190]
	s_waitcnt vmcnt(9)
	v_fma_f64 v[5:6], v[5:6], v[143:144], -v[149:150]
	v_fma_f64 v[7:8], v[7:8], v[143:144], v[139:140]
	v_add_f64 v[131:132], v[131:132], v[151:152]
	v_add_f64 v[129:130], v[129:130], v[133:134]
	s_waitcnt vmcnt(7) lgkmcnt(0)
	v_mul_f64 v[133:134], v[125:126], v[137:138]
	v_mul_f64 v[137:138], v[127:128], v[137:138]
	s_waitcnt vmcnt(6)
	v_fma_f64 v[1:2], v[1:2], v[199:200], -v[145:146]
	v_fma_f64 v[3:4], v[3:4], v[199:200], v[135:136]
	v_add_f64 v[5:6], v[131:132], v[5:6]
	v_add_f64 v[7:8], v[129:130], v[7:8]
	s_waitcnt vmcnt(4)
	v_fma_f64 v[125:126], v[125:126], v[141:142], -v[137:138]
	v_add_f64 v[1:2], v[5:6], v[1:2]
	v_fma_f64 v[5:6], v[127:128], v[141:142], v[133:134]
	v_add_f64 v[3:4], v[7:8], v[3:4]
	v_add_f64 v[1:2], v[1:2], v[125:126]
	v_add_f64 v[3:4], v[3:4], v[5:6]
	s_waitcnt vmcnt(2)
	v_add_f64 v[1:2], v[147:148], -v[1:2]
	s_waitcnt vmcnt(0)
	v_add_f64 v[3:4], v[173:174], -v[3:4]
	buffer_store_dword v2, off, s[0:3], 0 offset:68
	buffer_store_dword v1, off, s[0:3], 0 offset:64
	;; [unrolled: 1-line block ×4, first 2 shown]
	v_cmpx_lt_u32_e32 2, v0
	s_cbranch_execz .LBB121_357
; %bb.356:
	v_mov_b32_e32 v4, s68
	v_mov_b32_e32 v5, 0
	s_clause 0x3
	buffer_load_dword v1, v4, s[0:3], 0 offen
	buffer_load_dword v2, v4, s[0:3], 0 offen offset:4
	buffer_load_dword v3, v4, s[0:3], 0 offen offset:8
	;; [unrolled: 1-line block ×3, first 2 shown]
	buffer_store_dword v5, off, s[0:3], 0 offset:48
	buffer_store_dword v5, off, s[0:3], 0 offset:52
	;; [unrolled: 1-line block ×4, first 2 shown]
	s_waitcnt vmcnt(0)
	ds_write_b128 v185, v[1:4]
.LBB121_357:
	s_or_b32 exec_lo, exec_lo, s4
	s_waitcnt lgkmcnt(0)
	s_waitcnt_vscnt null, 0x0
	s_barrier
	buffer_gl0_inv
	s_clause 0x37
	buffer_load_dword v133, off, s[0:3], 0 offset:72
	buffer_load_dword v134, off, s[0:3], 0 offset:76
	;; [unrolled: 1-line block ×56, first 2 shown]
	v_mov_b32_e32 v186, 0
	s_mov_b32 s4, exec_lo
	ds_read_b128 v[5:8], v186 offset:976
	s_clause 0x2
	buffer_load_dword v182, off, s[0:3], 0 offset:300
	buffer_load_dword v184, off, s[0:3], 0 offset:276
	;; [unrolled: 1-line block ×3, first 2 shown]
	ds_read_b128 v[1:4], v186 offset:992
	s_clause 0x4
	buffer_load_dword v194, off, s[0:3], 0 offset:316
	buffer_load_dword v195, off, s[0:3], 0 offset:328
	buffer_load_dword v197, off, s[0:3], 0 offset:320
	buffer_load_dword v193, off, s[0:3], 0 offset:312
	buffer_load_dword v174, off, s[0:3], 0 offset:292
	ds_read_b128 v[187:190], v186 offset:1008
	s_waitcnt vmcnt(62) lgkmcnt(2)
	v_mul_f64 v[191:192], v[7:8], v[133:134]
	v_mul_f64 v[133:134], v[5:6], v[133:134]
	s_waitcnt vmcnt(60) lgkmcnt(1)
	v_mul_f64 v[198:199], v[3:4], v[129:130]
	v_mul_f64 v[129:130], v[1:2], v[129:130]
	;; [unrolled: 3-line block ×3, first 2 shown]
	v_fma_f64 v[191:192], v[5:6], v[131:132], -v[191:192]
	v_fma_f64 v[131:132], v[7:8], v[131:132], v[133:134]
	s_clause 0x2
	buffer_load_dword v196, off, s[0:3], 0 offset:332
	buffer_load_dword v134, off, s[0:3], 0 offset:308
	;; [unrolled: 1-line block ×3, first 2 shown]
	s_waitcnt vmcnt(57)
	v_fma_f64 v[202:203], v[1:2], v[125:126], -v[198:199]
	ds_read_b128 v[5:8], v186 offset:1024
	v_fma_f64 v[125:126], v[3:4], v[125:126], v[129:130]
	s_waitcnt vmcnt(51)
	v_fma_f64 v[187:188], v[187:188], v[149:150], -v[127:128]
	v_fma_f64 v[149:150], v[189:190], v[149:150], v[200:201]
	v_add_f64 v[191:192], v[191:192], 0
	v_add_f64 v[129:130], v[131:132], 0
	s_clause 0x4
	buffer_load_dword v132, off, s[0:3], 0 offset:348
	buffer_load_dword v199, off, s[0:3], 0 offset:360
	;; [unrolled: 1-line block ×5, first 2 shown]
	s_waitcnt lgkmcnt(0)
	v_mul_f64 v[205:206], v[5:6], v[137:138]
	v_mul_f64 v[137:138], v[7:8], v[137:138]
	ds_read_b128 v[1:4], v186 offset:1040
	s_clause 0x2
	buffer_load_dword v200, off, s[0:3], 0 offset:364
	buffer_load_dword v190, off, s[0:3], 0 offset:340
	buffer_load_dword v189, off, s[0:3], 0 offset:336
	v_add_f64 v[191:192], v[191:192], v[202:203]
	v_add_f64 v[129:130], v[129:130], v[125:126]
	ds_read_b128 v[125:128], v186 offset:1056
	s_waitcnt vmcnt(58) lgkmcnt(1)
	v_mul_f64 v[201:202], v[1:2], v[141:142]
	v_mul_f64 v[141:142], v[3:4], v[141:142]
	s_waitcnt vmcnt(56)
	v_fma_f64 v[137:138], v[5:6], v[143:144], -v[137:138]
	v_fma_f64 v[143:144], v[7:8], v[143:144], v[205:206]
	s_waitcnt vmcnt(52) lgkmcnt(0)
	v_mul_f64 v[207:208], v[125:126], v[145:146]
	v_add_f64 v[187:188], v[191:192], v[187:188]
	v_add_f64 v[129:130], v[129:130], v[149:150]
	s_clause 0x4
	buffer_load_dword v150, off, s[0:3], 0 offset:380
	buffer_load_dword v191, off, s[0:3], 0 offset:392
	;; [unrolled: 1-line block ×5, first 2 shown]
	v_mul_f64 v[145:146], v[127:128], v[145:146]
	s_waitcnt vmcnt(56)
	v_fma_f64 v[141:142], v[1:2], v[135:136], -v[141:142]
	ds_read_b128 v[5:8], v186 offset:1072
	v_fma_f64 v[135:136], v[3:4], v[135:136], v[201:202]
	v_add_f64 v[137:138], v[187:188], v[137:138]
	v_add_f64 v[129:130], v[129:130], v[143:144]
	s_clause 0x2
	buffer_load_dword v192, off, s[0:3], 0 offset:396
	buffer_load_dword v144, off, s[0:3], 0 offset:372
	;; [unrolled: 1-line block ×3, first 2 shown]
	s_waitcnt vmcnt(58) lgkmcnt(0)
	v_mul_f64 v[187:188], v[5:6], v[151:152]
	v_mul_f64 v[151:152], v[7:8], v[151:152]
	s_waitcnt vmcnt(56)
	v_fma_f64 v[145:146], v[125:126], v[153:154], -v[145:146]
	ds_read_b128 v[1:4], v186 offset:1088
	v_add_f64 v[137:138], v[137:138], v[141:142]
	v_fma_f64 v[141:142], v[127:128], v[153:154], v[207:208]
	v_add_f64 v[129:130], v[129:130], v[135:136]
	s_clause 0x4
	buffer_load_dword v136, off, s[0:3], 0 offset:412
	buffer_load_dword v153, off, s[0:3], 0 offset:424
	;; [unrolled: 1-line block ×5, first 2 shown]
	s_waitcnt vmcnt(57) lgkmcnt(0)
	v_mul_f64 v[202:203], v[1:2], v[155:156]
	v_mul_f64 v[155:156], v[3:4], v[155:156]
	s_waitcnt vmcnt(56)
	v_fma_f64 v[151:152], v[5:6], v[139:140], -v[151:152]
	ds_read_b128 v[125:128], v186 offset:1104
	v_fma_f64 v[139:140], v[7:8], v[139:140], v[187:188]
	v_add_f64 v[137:138], v[137:138], v[145:146]
	v_add_f64 v[129:130], v[129:130], v[141:142]
	s_clause 0x2
	buffer_load_dword v154, off, s[0:3], 0 offset:428
	buffer_load_dword v142, off, s[0:3], 0 offset:404
	;; [unrolled: 1-line block ×3, first 2 shown]
	ds_read_b128 v[5:8], v186 offset:1120
	s_waitcnt vmcnt(58) lgkmcnt(1)
	v_mul_f64 v[145:146], v[125:126], v[159:160]
	v_mul_f64 v[159:160], v[127:128], v[159:160]
	s_waitcnt vmcnt(56)
	v_fma_f64 v[155:156], v[1:2], v[161:162], -v[155:156]
	v_add_f64 v[137:138], v[137:138], v[151:152]
	v_fma_f64 v[151:152], v[3:4], v[161:162], v[202:203]
	v_add_f64 v[129:130], v[129:130], v[139:140]
	s_clause 0x4
	buffer_load_dword v140, off, s[0:3], 0 offset:444
	buffer_load_dword v161, off, s[0:3], 0 offset:456
	buffer_load_dword v187, off, s[0:3], 0 offset:448
	buffer_load_dword v139, off, s[0:3], 0 offset:440
	buffer_load_dword v202, off, s[0:3], 0 offset:420
	s_waitcnt vmcnt(57) lgkmcnt(0)
	v_mul_f64 v[208:209], v[5:6], v[163:164]
	v_mul_f64 v[163:164], v[7:8], v[163:164]
	s_waitcnt vmcnt(56)
	v_fma_f64 v[159:160], v[125:126], v[147:148], -v[159:160]
	ds_read_b128 v[1:4], v186 offset:1136
	v_fma_f64 v[145:146], v[127:128], v[147:148], v[145:146]
	s_clause 0x2
	buffer_load_dword v162, off, s[0:3], 0 offset:460
	buffer_load_dword v148, off, s[0:3], 0 offset:436
	;; [unrolled: 1-line block ×3, first 2 shown]
	ds_read_b128 v[125:128], v186 offset:1152
	v_add_f64 v[137:138], v[137:138], v[155:156]
	v_add_f64 v[129:130], v[129:130], v[151:152]
	s_waitcnt vmcnt(58) lgkmcnt(1)
	v_mul_f64 v[155:156], v[3:4], v[167:168]
	s_waitcnt vmcnt(56)
	v_fma_f64 v[163:164], v[5:6], v[169:170], -v[163:164]
	v_mul_f64 v[151:152], v[1:2], v[167:168]
	v_add_f64 v[137:138], v[137:138], v[159:160]
	v_fma_f64 v[159:160], v[7:8], v[169:170], v[208:209]
	v_add_f64 v[129:130], v[129:130], v[145:146]
	s_clause 0x4
	buffer_load_dword v146, off, s[0:3], 0 offset:476
	buffer_load_dword v167, off, s[0:3], 0 offset:488
	buffer_load_dword v169, off, s[0:3], 0 offset:480
	buffer_load_dword v145, off, s[0:3], 0 offset:472
	buffer_load_dword v188, off, s[0:3], 0 offset:452
	s_waitcnt vmcnt(57) lgkmcnt(0)
	v_mul_f64 v[208:209], v[125:126], v[171:172]
	v_mul_f64 v[170:171], v[127:128], v[171:172]
	s_waitcnt vmcnt(56)
	v_fma_f64 v[155:156], v[1:2], v[157:158], -v[155:156]
	ds_read_b128 v[5:8], v186 offset:1168
	v_fma_f64 v[151:152], v[3:4], v[157:158], v[151:152]
	s_clause 0x2
	buffer_load_dword v168, off, s[0:3], 0 offset:492
	buffer_load_dword v158, off, s[0:3], 0 offset:468
	;; [unrolled: 1-line block ×3, first 2 shown]
	ds_read_b128 v[1:4], v186 offset:1184
	v_add_f64 v[137:138], v[137:138], v[163:164]
	v_add_f64 v[129:130], v[129:130], v[159:160]
	s_waitcnt vmcnt(58) lgkmcnt(1)
	v_mul_f64 v[163:164], v[7:8], v[175:176]
	s_waitcnt vmcnt(56)
	v_fma_f64 v[171:172], v[125:126], v[177:178], -v[170:171]
	v_mul_f64 v[159:160], v[5:6], v[175:176]
	v_add_f64 v[137:138], v[137:138], v[155:156]
	v_fma_f64 v[155:156], v[127:128], v[177:178], v[208:209]
	v_add_f64 v[129:130], v[129:130], v[151:152]
	s_clause 0x4
	buffer_load_dword v152, off, s[0:3], 0 offset:508
	buffer_load_dword v175, off, s[0:3], 0 offset:520
	;; [unrolled: 1-line block ×5, first 2 shown]
	s_waitcnt vmcnt(57) lgkmcnt(0)
	v_mul_f64 v[208:209], v[1:2], v[179:180]
	v_mul_f64 v[178:179], v[3:4], v[179:180]
	s_waitcnt vmcnt(56)
	v_fma_f64 v[163:164], v[5:6], v[165:166], -v[163:164]
	ds_read_b128 v[125:128], v186 offset:1200
	v_fma_f64 v[159:160], v[7:8], v[165:166], v[159:160]
	v_add_f64 v[137:138], v[137:138], v[171:172]
	v_add_f64 v[129:130], v[129:130], v[155:156]
	s_clause 0x2
	buffer_load_dword v176, off, s[0:3], 0 offset:524
	buffer_load_dword v156, off, s[0:3], 0 offset:500
	;; [unrolled: 1-line block ×3, first 2 shown]
	ds_read_b128 v[5:8], v186 offset:1216
	s_waitcnt vmcnt(58) lgkmcnt(1)
	v_mul_f64 v[171:172], v[127:128], v[181:182]
	s_waitcnt vmcnt(56)
	v_fma_f64 v[179:180], v[1:2], v[183:184], -v[178:179]
	v_mul_f64 v[165:166], v[125:126], v[181:182]
	v_add_f64 v[137:138], v[137:138], v[163:164]
	v_fma_f64 v[163:164], v[3:4], v[183:184], v[208:209]
	v_add_f64 v[129:130], v[129:130], v[159:160]
	s_clause 0x4
	buffer_load_dword v160, off, s[0:3], 0 offset:540
	buffer_load_dword v181, off, s[0:3], 0 offset:552
	;; [unrolled: 1-line block ×5, first 2 shown]
	s_waitcnt vmcnt(57) lgkmcnt(0)
	v_mul_f64 v[208:209], v[5:6], v[193:194]
	v_mul_f64 v[193:194], v[7:8], v[193:194]
	s_waitcnt vmcnt(56)
	v_fma_f64 v[171:172], v[125:126], v[173:174], -v[171:172]
	ds_read_b128 v[1:4], v186 offset:1232
	v_fma_f64 v[165:166], v[127:128], v[173:174], v[165:166]
	v_add_f64 v[137:138], v[137:138], v[179:180]
	v_add_f64 v[129:130], v[129:130], v[163:164]
	s_clause 0x2
	buffer_load_dword v182, off, s[0:3], 0 offset:556
	buffer_load_dword v164, off, s[0:3], 0 offset:532
	;; [unrolled: 1-line block ×3, first 2 shown]
	ds_read_b128 v[125:128], v186 offset:1248
	s_waitcnt vmcnt(58) lgkmcnt(1)
	v_mul_f64 v[179:180], v[3:4], v[195:196]
	v_mul_f64 v[173:174], v[1:2], v[195:196]
	s_waitcnt vmcnt(56)
	v_fma_f64 v[193:194], v[5:6], v[133:134], -v[193:194]
	v_fma_f64 v[133:134], v[7:8], v[133:134], v[208:209]
	v_add_f64 v[137:138], v[137:138], v[171:172]
	v_add_f64 v[129:130], v[129:130], v[165:166]
	s_clause 0x4
	buffer_load_dword v166, off, s[0:3], 0 offset:572
	buffer_load_dword v171, off, s[0:3], 0 offset:584
	;; [unrolled: 1-line block ×5, first 2 shown]
	ds_read_b128 v[5:8], v186 offset:1264
	s_waitcnt vmcnt(57) lgkmcnt(1)
	v_mul_f64 v[208:209], v[125:126], v[131:132]
	v_mul_f64 v[131:132], v[127:128], v[131:132]
	s_waitcnt vmcnt(56)
	v_fma_f64 v[179:180], v[1:2], v[197:198], -v[179:180]
	v_fma_f64 v[173:174], v[3:4], v[197:198], v[173:174]
	v_add_f64 v[137:138], v[137:138], v[193:194]
	v_add_f64 v[129:130], v[129:130], v[133:134]
	s_clause 0x2
	buffer_load_dword v172, off, s[0:3], 0 offset:588
	buffer_load_dword v134, off, s[0:3], 0 offset:564
	;; [unrolled: 1-line block ×3, first 2 shown]
	s_waitcnt vmcnt(58) lgkmcnt(0)
	v_mul_f64 v[197:198], v[7:8], v[199:200]
	ds_read_b128 v[1:4], v186 offset:1280
	v_mul_f64 v[193:194], v[5:6], v[199:200]
	s_waitcnt vmcnt(56)
	v_fma_f64 v[131:132], v[125:126], v[189:190], -v[131:132]
	v_add_f64 v[137:138], v[137:138], v[179:180]
	v_fma_f64 v[179:180], v[127:128], v[189:190], v[208:209]
	v_add_f64 v[129:130], v[129:130], v[173:174]
	s_clause 0x4
	buffer_load_dword v174, off, s[0:3], 0 offset:604
	buffer_load_dword v189, off, s[0:3], 0 offset:616
	buffer_load_dword v199, off, s[0:3], 0 offset:608
	buffer_load_dword v173, off, s[0:3], 0 offset:600
	buffer_load_dword v196, off, s[0:3], 0 offset:580
	ds_read_b128 v[125:128], v186 offset:1296
	s_waitcnt vmcnt(57) lgkmcnt(1)
	v_mul_f64 v[208:209], v[1:2], v[149:150]
	v_mul_f64 v[149:150], v[3:4], v[149:150]
	s_waitcnt vmcnt(56)
	v_fma_f64 v[197:198], v[5:6], v[204:205], -v[197:198]
	v_add_f64 v[131:132], v[137:138], v[131:132]
	v_fma_f64 v[137:138], v[7:8], v[204:205], v[193:194]
	v_add_f64 v[129:130], v[129:130], v[179:180]
	s_clause 0x2
	buffer_load_dword v190, off, s[0:3], 0 offset:620
	buffer_load_dword v180, off, s[0:3], 0 offset:596
	;; [unrolled: 1-line block ×3, first 2 shown]
	ds_read_b128 v[5:8], v186 offset:1312
	s_waitcnt vmcnt(58) lgkmcnt(1)
	v_mul_f64 v[193:194], v[125:126], v[191:192]
	v_mul_f64 v[191:192], v[127:128], v[191:192]
	s_waitcnt vmcnt(56)
	v_fma_f64 v[149:150], v[1:2], v[143:144], -v[149:150]
	v_fma_f64 v[143:144], v[3:4], v[143:144], v[208:209]
	v_add_f64 v[131:132], v[131:132], v[197:198]
	v_add_f64 v[129:130], v[129:130], v[137:138]
	s_clause 0x4
	buffer_load_dword v138, off, s[0:3], 0 offset:636
	buffer_load_dword v197, off, s[0:3], 0 offset:648
	;; [unrolled: 1-line block ×5, first 2 shown]
	ds_read_b128 v[1:4], v186 offset:1328
	s_waitcnt vmcnt(57) lgkmcnt(1)
	v_mul_f64 v[204:205], v[5:6], v[135:136]
	v_mul_f64 v[135:136], v[7:8], v[135:136]
	s_waitcnt vmcnt(56)
	v_fma_f64 v[191:192], v[125:126], v[206:207], -v[191:192]
	v_add_f64 v[131:132], v[131:132], v[149:150]
	v_fma_f64 v[149:150], v[127:128], v[206:207], v[193:194]
	v_add_f64 v[129:130], v[129:130], v[143:144]
	s_clause 0x2
	buffer_load_dword v198, off, s[0:3], 0 offset:652
	buffer_load_dword v144, off, s[0:3], 0 offset:628
	;; [unrolled: 1-line block ×3, first 2 shown]
	ds_read_b128 v[125:128], v186 offset:1344
	s_waitcnt vmcnt(58) lgkmcnt(1)
	v_mul_f64 v[193:194], v[1:2], v[153:154]
	v_mul_f64 v[153:154], v[3:4], v[153:154]
	s_waitcnt vmcnt(56)
	v_fma_f64 v[135:136], v[5:6], v[141:142], -v[135:136]
	v_fma_f64 v[141:142], v[7:8], v[141:142], v[204:205]
	v_add_f64 v[131:132], v[131:132], v[191:192]
	v_add_f64 v[129:130], v[129:130], v[149:150]
	s_clause 0x4
	buffer_load_dword v150, off, s[0:3], 0 offset:668
	buffer_load_dword v191, off, s[0:3], 0 offset:680
	;; [unrolled: 1-line block ×5, first 2 shown]
	ds_read_b128 v[5:8], v186 offset:1360
	s_waitcnt vmcnt(57) lgkmcnt(1)
	v_mul_f64 v[206:207], v[125:126], v[139:140]
	v_mul_f64 v[139:140], v[127:128], v[139:140]
	s_waitcnt vmcnt(56)
	v_fma_f64 v[153:154], v[1:2], v[201:202], -v[153:154]
	v_add_f64 v[131:132], v[131:132], v[135:136]
	v_fma_f64 v[135:136], v[3:4], v[201:202], v[193:194]
	v_add_f64 v[129:130], v[129:130], v[141:142]
	s_clause 0x2
	buffer_load_dword v192, off, s[0:3], 0 offset:684
	buffer_load_dword v142, off, s[0:3], 0 offset:660
	;; [unrolled: 1-line block ×3, first 2 shown]
	s_waitcnt vmcnt(58) lgkmcnt(0)
	v_mul_f64 v[193:194], v[5:6], v[161:162]
	v_mul_f64 v[161:162], v[7:8], v[161:162]
	ds_read_b128 v[1:4], v186 offset:1376
	s_waitcnt vmcnt(56)
	v_fma_f64 v[139:140], v[125:126], v[147:148], -v[139:140]
	v_fma_f64 v[147:148], v[127:128], v[147:148], v[206:207]
	v_add_f64 v[131:132], v[131:132], v[153:154]
	v_add_f64 v[129:130], v[129:130], v[135:136]
	s_clause 0x4
	buffer_load_dword v136, off, s[0:3], 0 offset:700
	buffer_load_dword v153, off, s[0:3], 0 offset:712
	;; [unrolled: 1-line block ×5, first 2 shown]
	ds_read_b128 v[125:128], v186 offset:1392
	s_waitcnt vmcnt(57) lgkmcnt(1)
	v_mul_f64 v[207:208], v[1:2], v[145:146]
	v_mul_f64 v[145:146], v[3:4], v[145:146]
	s_waitcnt vmcnt(56)
	v_fma_f64 v[161:162], v[5:6], v[187:188], -v[161:162]
	v_add_f64 v[131:132], v[131:132], v[139:140]
	v_fma_f64 v[139:140], v[7:8], v[187:188], v[193:194]
	v_add_f64 v[129:130], v[129:130], v[147:148]
	s_clause 0x2
	buffer_load_dword v154, off, s[0:3], 0 offset:716
	buffer_load_dword v148, off, s[0:3], 0 offset:692
	;; [unrolled: 1-line block ×3, first 2 shown]
	s_waitcnt vmcnt(58) lgkmcnt(0)
	v_mul_f64 v[187:188], v[125:126], v[167:168]
	v_mul_f64 v[167:168], v[127:128], v[167:168]
	ds_read_b128 v[5:8], v186 offset:1408
	s_waitcnt vmcnt(56)
	v_fma_f64 v[145:146], v[1:2], v[157:158], -v[145:146]
	v_fma_f64 v[157:158], v[3:4], v[157:158], v[207:208]
	v_add_f64 v[131:132], v[131:132], v[161:162]
	v_add_f64 v[129:130], v[129:130], v[139:140]
	s_clause 0x4
	buffer_load_dword v140, off, s[0:3], 0 offset:732
	buffer_load_dword v161, off, s[0:3], 0 offset:744
	buffer_load_dword v193, off, s[0:3], 0 offset:736
	buffer_load_dword v139, off, s[0:3], 0 offset:728
	buffer_load_dword v202, off, s[0:3], 0 offset:708
	ds_read_b128 v[1:4], v186 offset:1424
	s_waitcnt vmcnt(57) lgkmcnt(1)
	v_mul_f64 v[207:208], v[5:6], v[151:152]
	v_mul_f64 v[151:152], v[7:8], v[151:152]
	s_waitcnt vmcnt(56)
	v_fma_f64 v[167:168], v[125:126], v[169:170], -v[167:168]
	v_add_f64 v[131:132], v[131:132], v[145:146]
	v_fma_f64 v[145:146], v[127:128], v[169:170], v[187:188]
	v_add_f64 v[129:130], v[129:130], v[157:158]
	s_clause 0x2
	buffer_load_dword v162, off, s[0:3], 0 offset:748
	buffer_load_dword v158, off, s[0:3], 0 offset:724
	buffer_load_dword v157, off, s[0:3], 0 offset:720
	ds_read_b128 v[125:128], v186 offset:1440
	s_waitcnt vmcnt(58) lgkmcnt(1)
	v_mul_f64 v[169:170], v[1:2], v[175:176]
	v_mul_f64 v[175:176], v[3:4], v[175:176]
	s_waitcnt vmcnt(56)
	v_fma_f64 v[151:152], v[5:6], v[155:156], -v[151:152]
	v_fma_f64 v[155:156], v[7:8], v[155:156], v[207:208]
	v_add_f64 v[131:132], v[131:132], v[167:168]
	v_add_f64 v[129:130], v[129:130], v[145:146]
	s_clause 0x4
	buffer_load_dword v146, off, s[0:3], 0 offset:764
	buffer_load_dword v167, off, s[0:3], 0 offset:776
	buffer_load_dword v187, off, s[0:3], 0 offset:768
	buffer_load_dword v145, off, s[0:3], 0 offset:760
	buffer_load_dword v194, off, s[0:3], 0 offset:740
	ds_read_b128 v[5:8], v186 offset:1456
	s_waitcnt vmcnt(57) lgkmcnt(1)
	v_mul_f64 v[207:208], v[125:126], v[159:160]
	v_mul_f64 v[159:160], v[127:128], v[159:160]
	s_waitcnt vmcnt(56)
	v_fma_f64 v[175:176], v[1:2], v[177:178], -v[175:176]
	v_add_f64 v[131:132], v[131:132], v[151:152]
	v_fma_f64 v[151:152], v[3:4], v[177:178], v[169:170]
	v_add_f64 v[129:130], v[129:130], v[155:156]
	s_clause 0x2
	buffer_load_dword v168, off, s[0:3], 0 offset:780
	buffer_load_dword v156, off, s[0:3], 0 offset:756
	buffer_load_dword v155, off, s[0:3], 0 offset:752
	ds_read_b128 v[1:4], v186 offset:1472
	s_waitcnt vmcnt(58) lgkmcnt(1)
	v_mul_f64 v[177:178], v[7:8], v[181:182]
	v_mul_f64 v[169:170], v[5:6], v[181:182]
	;; [unrolled: 28-line block ×4, first 2 shown]
	s_waitcnt vmcnt(56)
	v_fma_f64 v[173:174], v[5:6], v[179:180], -v[173:174]
	v_add_f64 v[131:132], v[131:132], v[171:172]
	v_fma_f64 v[171:172], v[7:8], v[179:180], v[207:208]
	v_add_f64 v[129:130], v[129:130], v[165:166]
	s_clause 0x4
	buffer_load_dword v166, off, s[0:3], 0 offset:860
	buffer_load_dword v179, off, s[0:3], 0 offset:872
	;; [unrolled: 1-line block ×5, first 2 shown]
	ds_read_b128 v[5:8], v186 offset:1552
	s_waitcnt vmcnt(57) lgkmcnt(1)
	v_mul_f64 v[207:208], v[125:126], v[137:138]
	v_mul_f64 v[137:138], v[127:128], v[137:138]
	s_waitcnt vmcnt(56)
	v_fma_f64 v[189:190], v[1:2], v[199:200], -v[189:190]
	v_fma_f64 v[169:170], v[3:4], v[199:200], v[169:170]
	v_add_f64 v[131:132], v[131:132], v[173:174]
	v_add_f64 v[129:130], v[129:130], v[171:172]
	s_clause 0x2
	buffer_load_dword v180, off, s[0:3], 0 offset:876
	buffer_load_dword v172, off, s[0:3], 0 offset:852
	;; [unrolled: 1-line block ×3, first 2 shown]
	ds_read_b128 v[1:4], v186 offset:1568
	s_waitcnt vmcnt(58) lgkmcnt(1)
	v_mul_f64 v[173:174], v[5:6], v[197:198]
	v_mul_f64 v[197:198], v[7:8], v[197:198]
	s_waitcnt vmcnt(56)
	v_fma_f64 v[137:138], v[125:126], v[143:144], -v[137:138]
	v_fma_f64 v[143:144], v[127:128], v[143:144], v[207:208]
	v_add_f64 v[131:132], v[131:132], v[189:190]
	v_add_f64 v[129:130], v[129:130], v[169:170]
	s_clause 0x4
	buffer_load_dword v170, off, s[0:3], 0 offset:892
	buffer_load_dword v189, off, s[0:3], 0 offset:904
	buffer_load_dword v199, off, s[0:3], 0 offset:896
	buffer_load_dword v169, off, s[0:3], 0 offset:888
	buffer_load_dword v196, off, s[0:3], 0 offset:868
	ds_read_b128 v[125:128], v186 offset:1584
	s_waitcnt vmcnt(57) lgkmcnt(1)
	v_mul_f64 v[207:208], v[1:2], v[149:150]
	v_mul_f64 v[149:150], v[3:4], v[149:150]
	s_waitcnt vmcnt(56)
	v_fma_f64 v[197:198], v[5:6], v[203:204], -v[197:198]
	v_add_f64 v[131:132], v[131:132], v[137:138]
	v_fma_f64 v[137:138], v[7:8], v[203:204], v[173:174]
	v_add_f64 v[129:130], v[129:130], v[143:144]
	s_clause 0x2
	buffer_load_dword v190, off, s[0:3], 0 offset:908
	buffer_load_dword v144, off, s[0:3], 0 offset:884
	;; [unrolled: 1-line block ×3, first 2 shown]
	ds_read_b128 v[5:8], v186 offset:1600
	s_waitcnt vmcnt(58) lgkmcnt(1)
	v_mul_f64 v[173:174], v[125:126], v[191:192]
	v_mul_f64 v[191:192], v[127:128], v[191:192]
	s_waitcnt vmcnt(56)
	v_fma_f64 v[149:150], v[1:2], v[141:142], -v[149:150]
	v_fma_f64 v[141:142], v[3:4], v[141:142], v[207:208]
	v_add_f64 v[131:132], v[131:132], v[197:198]
	v_add_f64 v[129:130], v[129:130], v[137:138]
	s_clause 0x4
	buffer_load_dword v138, off, s[0:3], 0 offset:924
	buffer_load_dword v197, off, s[0:3], 0 offset:936
	buffer_load_dword v203, off, s[0:3], 0 offset:928
	buffer_load_dword v137, off, s[0:3], 0 offset:920
	buffer_load_dword v200, off, s[0:3], 0 offset:900
	ds_read_b128 v[1:4], v186 offset:1616
	s_waitcnt vmcnt(57) lgkmcnt(1)
	v_mul_f64 v[207:208], v[5:6], v[135:136]
	v_mul_f64 v[135:136], v[7:8], v[135:136]
	s_waitcnt vmcnt(56)
	v_fma_f64 v[191:192], v[125:126], v[205:206], -v[191:192]
	v_add_f64 v[131:132], v[131:132], v[149:150]
	v_fma_f64 v[149:150], v[127:128], v[205:206], v[173:174]
	v_add_f64 v[129:130], v[129:130], v[141:142]
	s_clause 0x2
	buffer_load_dword v198, off, s[0:3], 0 offset:940
	buffer_load_dword v142, off, s[0:3], 0 offset:916
	;; [unrolled: 1-line block ×3, first 2 shown]
	ds_read_b128 v[125:128], v186 offset:1632
	buffer_load_dword v204, off, s[0:3], 0 offset:932
	s_waitcnt vmcnt(59) lgkmcnt(1)
	v_mul_f64 v[173:174], v[1:2], v[153:154]
	v_mul_f64 v[153:154], v[3:4], v[153:154]
	s_waitcnt vmcnt(57)
	v_fma_f64 v[135:136], v[5:6], v[147:148], -v[135:136]
	v_fma_f64 v[147:148], v[7:8], v[147:148], v[207:208]
	ds_read_b128 v[5:8], v186 offset:1648
	v_add_f64 v[131:132], v[131:132], v[191:192]
	v_add_f64 v[129:130], v[129:130], v[149:150]
	s_waitcnt vmcnt(53) lgkmcnt(1)
	v_mul_f64 v[149:150], v[125:126], v[139:140]
	v_mul_f64 v[139:140], v[127:128], v[139:140]
	s_waitcnt vmcnt(52)
	v_fma_f64 v[153:154], v[1:2], v[201:202], -v[153:154]
	v_add_f64 v[131:132], v[131:132], v[135:136]
	v_fma_f64 v[135:136], v[3:4], v[201:202], v[173:174]
	v_add_f64 v[129:130], v[129:130], v[147:148]
	ds_read_b128 v[1:4], v186 offset:1664
	s_waitcnt vmcnt(51) lgkmcnt(1)
	v_mul_f64 v[147:148], v[5:6], v[161:162]
	v_mul_f64 v[161:162], v[7:8], v[161:162]
	s_waitcnt vmcnt(49)
	v_fma_f64 v[139:140], v[125:126], v[157:158], -v[139:140]
	v_fma_f64 v[149:150], v[127:128], v[157:158], v[149:150]
	v_add_f64 v[131:132], v[131:132], v[153:154]
	v_add_f64 v[129:130], v[129:130], v[135:136]
	s_clause 0x3
	buffer_load_dword v135, off, s[0:3], 0 offset:48
	buffer_load_dword v136, off, s[0:3], 0 offset:52
	;; [unrolled: 1-line block ×4, first 2 shown]
	ds_read_b128 v[125:128], v186 offset:1680
	s_waitcnt vmcnt(49) lgkmcnt(1)
	v_mul_f64 v[157:158], v[1:2], v[145:146]
	v_mul_f64 v[145:146], v[3:4], v[145:146]
	s_waitcnt vmcnt(48)
	v_fma_f64 v[161:162], v[5:6], v[193:194], -v[161:162]
	v_add_f64 v[131:132], v[131:132], v[139:140]
	v_fma_f64 v[139:140], v[7:8], v[193:194], v[147:148]
	v_add_f64 v[129:130], v[129:130], v[149:150]
	ds_read_b128 v[5:8], v186 offset:1696
	s_waitcnt vmcnt(47) lgkmcnt(1)
	v_mul_f64 v[149:150], v[127:128], v[167:168]
	v_mul_f64 v[147:148], v[125:126], v[167:168]
	s_waitcnt vmcnt(45)
	v_fma_f64 v[145:146], v[1:2], v[155:156], -v[145:146]
	v_fma_f64 v[155:156], v[3:4], v[155:156], v[157:158]
	ds_read_b128 v[1:4], v186 offset:1712
	v_add_f64 v[131:132], v[131:132], v[161:162]
	v_add_f64 v[129:130], v[129:130], v[139:140]
	s_waitcnt vmcnt(41) lgkmcnt(1)
	v_mul_f64 v[139:140], v[5:6], v[151:152]
	v_mul_f64 v[151:152], v[7:8], v[151:152]
	s_waitcnt vmcnt(40)
	v_fma_f64 v[149:150], v[125:126], v[187:188], -v[149:150]
	v_add_f64 v[131:132], v[131:132], v[145:146]
	v_fma_f64 v[145:146], v[127:128], v[187:188], v[147:148]
	v_add_f64 v[129:130], v[129:130], v[155:156]
	ds_read_b128 v[125:128], v186 offset:1728
	s_waitcnt vmcnt(39) lgkmcnt(1)
	v_mul_f64 v[155:156], v[3:4], v[175:176]
	v_mul_f64 v[147:148], v[1:2], v[175:176]
	s_waitcnt vmcnt(37)
	v_fma_f64 v[151:152], v[5:6], v[163:164], -v[151:152]
	v_fma_f64 v[139:140], v[7:8], v[163:164], v[139:140]
	ds_read_b128 v[5:8], v186 offset:1744
	v_add_f64 v[131:132], v[131:132], v[149:150]
	v_add_f64 v[129:130], v[129:130], v[145:146]
	s_waitcnt vmcnt(33) lgkmcnt(1)
	v_mul_f64 v[149:150], v[127:128], v[159:160]
	s_waitcnt vmcnt(32)
	v_fma_f64 v[155:156], v[1:2], v[181:182], -v[155:156]
	v_mul_f64 v[145:146], v[125:126], v[159:160]
	v_fma_f64 v[147:148], v[3:4], v[181:182], v[147:148]
	ds_read_b128 v[1:4], v186 offset:1760
	v_add_f64 v[131:132], v[131:132], v[151:152]
	v_add_f64 v[129:130], v[129:130], v[139:140]
	s_waitcnt vmcnt(31) lgkmcnt(1)
	v_mul_f64 v[151:152], v[7:8], v[177:178]
	v_mul_f64 v[139:140], v[5:6], v[177:178]
	s_waitcnt vmcnt(29)
	v_fma_f64 v[149:150], v[125:126], v[133:134], -v[149:150]
	v_fma_f64 v[133:134], v[127:128], v[133:134], v[145:146]
	ds_read_b128 v[125:128], v186 offset:1776
	v_add_f64 v[131:132], v[131:132], v[155:156]
	v_add_f64 v[129:130], v[129:130], v[147:148]
	s_waitcnt vmcnt(25) lgkmcnt(1)
	v_mul_f64 v[147:148], v[3:4], v[165:166]
	s_waitcnt vmcnt(24)
	v_fma_f64 v[151:152], v[5:6], v[183:184], -v[151:152]
	v_mul_f64 v[145:146], v[1:2], v[165:166]
	v_fma_f64 v[139:140], v[7:8], v[183:184], v[139:140]
	ds_read_b128 v[5:8], v186 offset:1792
	v_add_f64 v[131:132], v[131:132], v[149:150]
	v_add_f64 v[129:130], v[129:130], v[133:134]
	s_waitcnt vmcnt(23) lgkmcnt(1)
	v_mul_f64 v[149:150], v[127:128], v[179:180]
	v_mul_f64 v[133:134], v[125:126], v[179:180]
	s_waitcnt vmcnt(21)
	v_fma_f64 v[147:148], v[1:2], v[171:172], -v[147:148]
	v_fma_f64 v[145:146], v[3:4], v[171:172], v[145:146]
	ds_read_b128 v[1:4], v186 offset:1808
	v_add_f64 v[131:132], v[131:132], v[151:152]
	v_add_f64 v[129:130], v[129:130], v[139:140]
	s_waitcnt vmcnt(17) lgkmcnt(1)
	v_mul_f64 v[151:152], v[7:8], v[169:170]
	s_waitcnt vmcnt(16)
	v_fma_f64 v[149:150], v[125:126], v[195:196], -v[149:150]
	v_mul_f64 v[139:140], v[5:6], v[169:170]
	v_fma_f64 v[133:134], v[127:128], v[195:196], v[133:134]
	ds_read_b128 v[125:128], v186 offset:1824
	v_add_f64 v[131:132], v[131:132], v[147:148]
	v_add_f64 v[129:130], v[129:130], v[145:146]
	s_waitcnt vmcnt(15) lgkmcnt(1)
	v_mul_f64 v[147:148], v[3:4], v[189:190]
	v_mul_f64 v[145:146], v[1:2], v[189:190]
	s_waitcnt vmcnt(13)
	v_fma_f64 v[151:152], v[5:6], v[143:144], -v[151:152]
	v_fma_f64 v[139:140], v[7:8], v[143:144], v[139:140]
	ds_read_b128 v[5:8], v186 offset:1840
	v_add_f64 v[131:132], v[131:132], v[149:150]
	v_add_f64 v[129:130], v[129:130], v[133:134]
	s_waitcnt vmcnt(9) lgkmcnt(1)
	v_mul_f64 v[133:134], v[125:126], v[137:138]
	v_mul_f64 v[137:138], v[127:128], v[137:138]
	s_waitcnt vmcnt(8)
	v_fma_f64 v[1:2], v[1:2], v[199:200], -v[147:148]
	v_fma_f64 v[3:4], v[3:4], v[199:200], v[145:146]
	v_add_f64 v[131:132], v[131:132], v[151:152]
	v_add_f64 v[129:130], v[129:130], v[139:140]
	s_waitcnt vmcnt(7) lgkmcnt(0)
	v_mul_f64 v[143:144], v[7:8], v[197:198]
	v_mul_f64 v[139:140], v[5:6], v[197:198]
	s_waitcnt vmcnt(5)
	v_fma_f64 v[125:126], v[125:126], v[141:142], -v[137:138]
	v_fma_f64 v[127:128], v[127:128], v[141:142], v[133:134]
	v_add_f64 v[1:2], v[131:132], v[1:2]
	v_add_f64 v[3:4], v[129:130], v[3:4]
	s_waitcnt vmcnt(4)
	v_fma_f64 v[5:6], v[5:6], v[203:204], -v[143:144]
	v_fma_f64 v[7:8], v[7:8], v[203:204], v[139:140]
	v_add_f64 v[1:2], v[1:2], v[125:126]
	v_add_f64 v[3:4], v[3:4], v[127:128]
	v_add_f64 v[1:2], v[1:2], v[5:6]
	v_add_f64 v[3:4], v[3:4], v[7:8]
	s_waitcnt vmcnt(2)
	v_add_f64 v[1:2], v[135:136], -v[1:2]
	s_waitcnt vmcnt(0)
	v_add_f64 v[3:4], v[153:154], -v[3:4]
	buffer_store_dword v2, off, s[0:3], 0 offset:52
	buffer_store_dword v1, off, s[0:3], 0 offset:48
	;; [unrolled: 1-line block ×4, first 2 shown]
	v_cmpx_lt_u32_e32 1, v0
	s_cbranch_execz .LBB121_359
; %bb.358:
	v_mov_b32_e32 v4, s69
	s_clause 0x3
	buffer_load_dword v1, v4, s[0:3], 0 offen
	buffer_load_dword v2, v4, s[0:3], 0 offen offset:4
	buffer_load_dword v3, v4, s[0:3], 0 offen offset:8
	;; [unrolled: 1-line block ×3, first 2 shown]
	buffer_store_dword v186, off, s[0:3], 0 offset:32
	buffer_store_dword v186, off, s[0:3], 0 offset:36
	buffer_store_dword v186, off, s[0:3], 0 offset:40
	buffer_store_dword v186, off, s[0:3], 0 offset:44
	s_waitcnt vmcnt(0)
	ds_write_b128 v185, v[1:4]
.LBB121_359:
	s_or_b32 exec_lo, exec_lo, s4
	s_waitcnt lgkmcnt(0)
	s_waitcnt_vscnt null, 0x0
	s_barrier
	buffer_gl0_inv
	s_clause 0x37
	buffer_load_dword v133, off, s[0:3], 0 offset:56
	buffer_load_dword v134, off, s[0:3], 0 offset:60
	;; [unrolled: 1-line block ×56, first 2 shown]
	ds_read_b128 v[5:8], v186 offset:960
	s_clause 0x2
	buffer_load_dword v182, off, s[0:3], 0 offset:284
	buffer_load_dword v184, off, s[0:3], 0 offset:260
	;; [unrolled: 1-line block ×3, first 2 shown]
	ds_read_b128 v[1:4], v186 offset:976
	s_clause 0x4
	buffer_load_dword v194, off, s[0:3], 0 offset:300
	buffer_load_dword v195, off, s[0:3], 0 offset:312
	;; [unrolled: 1-line block ×5, first 2 shown]
	ds_read_b128 v[187:190], v186 offset:992
	s_mov_b32 s4, exec_lo
	s_waitcnt vmcnt(62) lgkmcnt(2)
	v_mul_f64 v[191:192], v[7:8], v[133:134]
	v_mul_f64 v[133:134], v[5:6], v[133:134]
	s_waitcnt vmcnt(60) lgkmcnt(1)
	v_mul_f64 v[198:199], v[3:4], v[129:130]
	v_mul_f64 v[129:130], v[1:2], v[129:130]
	;; [unrolled: 3-line block ×3, first 2 shown]
	v_fma_f64 v[191:192], v[5:6], v[131:132], -v[191:192]
	v_fma_f64 v[131:132], v[7:8], v[131:132], v[133:134]
	s_clause 0x2
	buffer_load_dword v196, off, s[0:3], 0 offset:316
	buffer_load_dword v134, off, s[0:3], 0 offset:292
	;; [unrolled: 1-line block ×3, first 2 shown]
	s_waitcnt vmcnt(57)
	v_fma_f64 v[202:203], v[1:2], v[125:126], -v[198:199]
	ds_read_b128 v[5:8], v186 offset:1008
	v_fma_f64 v[125:126], v[3:4], v[125:126], v[129:130]
	s_waitcnt vmcnt(51)
	v_fma_f64 v[187:188], v[187:188], v[149:150], -v[127:128]
	v_fma_f64 v[149:150], v[189:190], v[149:150], v[200:201]
	v_add_f64 v[191:192], v[191:192], 0
	v_add_f64 v[129:130], v[131:132], 0
	s_clause 0x4
	buffer_load_dword v132, off, s[0:3], 0 offset:332
	buffer_load_dword v199, off, s[0:3], 0 offset:344
	;; [unrolled: 1-line block ×5, first 2 shown]
	s_waitcnt lgkmcnt(0)
	v_mul_f64 v[205:206], v[5:6], v[137:138]
	v_mul_f64 v[137:138], v[7:8], v[137:138]
	ds_read_b128 v[1:4], v186 offset:1024
	s_clause 0x2
	buffer_load_dword v200, off, s[0:3], 0 offset:348
	buffer_load_dword v190, off, s[0:3], 0 offset:324
	;; [unrolled: 1-line block ×3, first 2 shown]
	v_add_f64 v[191:192], v[191:192], v[202:203]
	v_add_f64 v[129:130], v[129:130], v[125:126]
	ds_read_b128 v[125:128], v186 offset:1040
	s_waitcnt vmcnt(58) lgkmcnt(1)
	v_mul_f64 v[201:202], v[1:2], v[141:142]
	v_mul_f64 v[141:142], v[3:4], v[141:142]
	s_waitcnt vmcnt(56)
	v_fma_f64 v[137:138], v[5:6], v[143:144], -v[137:138]
	v_fma_f64 v[143:144], v[7:8], v[143:144], v[205:206]
	s_waitcnt vmcnt(52) lgkmcnt(0)
	v_mul_f64 v[207:208], v[125:126], v[145:146]
	v_add_f64 v[187:188], v[191:192], v[187:188]
	v_add_f64 v[129:130], v[129:130], v[149:150]
	s_clause 0x4
	buffer_load_dword v150, off, s[0:3], 0 offset:364
	buffer_load_dword v191, off, s[0:3], 0 offset:376
	;; [unrolled: 1-line block ×5, first 2 shown]
	v_mul_f64 v[145:146], v[127:128], v[145:146]
	s_waitcnt vmcnt(56)
	v_fma_f64 v[141:142], v[1:2], v[135:136], -v[141:142]
	ds_read_b128 v[5:8], v186 offset:1056
	v_fma_f64 v[135:136], v[3:4], v[135:136], v[201:202]
	v_add_f64 v[137:138], v[187:188], v[137:138]
	v_add_f64 v[129:130], v[129:130], v[143:144]
	s_clause 0x2
	buffer_load_dword v192, off, s[0:3], 0 offset:380
	buffer_load_dword v144, off, s[0:3], 0 offset:356
	buffer_load_dword v143, off, s[0:3], 0 offset:352
	s_waitcnt vmcnt(58) lgkmcnt(0)
	v_mul_f64 v[187:188], v[5:6], v[151:152]
	v_mul_f64 v[151:152], v[7:8], v[151:152]
	s_waitcnt vmcnt(56)
	v_fma_f64 v[145:146], v[125:126], v[153:154], -v[145:146]
	ds_read_b128 v[1:4], v186 offset:1072
	v_add_f64 v[137:138], v[137:138], v[141:142]
	v_fma_f64 v[141:142], v[127:128], v[153:154], v[207:208]
	v_add_f64 v[129:130], v[129:130], v[135:136]
	s_clause 0x4
	buffer_load_dword v136, off, s[0:3], 0 offset:396
	buffer_load_dword v153, off, s[0:3], 0 offset:408
	buffer_load_dword v201, off, s[0:3], 0 offset:400
	buffer_load_dword v135, off, s[0:3], 0 offset:392
	buffer_load_dword v207, off, s[0:3], 0 offset:372
	s_waitcnt vmcnt(57) lgkmcnt(0)
	v_mul_f64 v[202:203], v[1:2], v[155:156]
	v_mul_f64 v[155:156], v[3:4], v[155:156]
	s_waitcnt vmcnt(56)
	v_fma_f64 v[151:152], v[5:6], v[139:140], -v[151:152]
	ds_read_b128 v[125:128], v186 offset:1088
	v_fma_f64 v[139:140], v[7:8], v[139:140], v[187:188]
	v_add_f64 v[137:138], v[137:138], v[145:146]
	v_add_f64 v[129:130], v[129:130], v[141:142]
	s_clause 0x2
	buffer_load_dword v154, off, s[0:3], 0 offset:412
	buffer_load_dword v142, off, s[0:3], 0 offset:388
	buffer_load_dword v141, off, s[0:3], 0 offset:384
	ds_read_b128 v[5:8], v186 offset:1104
	s_waitcnt vmcnt(58) lgkmcnt(1)
	v_mul_f64 v[145:146], v[125:126], v[159:160]
	v_mul_f64 v[159:160], v[127:128], v[159:160]
	s_waitcnt vmcnt(56)
	v_fma_f64 v[155:156], v[1:2], v[161:162], -v[155:156]
	v_add_f64 v[137:138], v[137:138], v[151:152]
	v_fma_f64 v[151:152], v[3:4], v[161:162], v[202:203]
	v_add_f64 v[129:130], v[129:130], v[139:140]
	s_clause 0x4
	buffer_load_dword v140, off, s[0:3], 0 offset:428
	buffer_load_dword v161, off, s[0:3], 0 offset:440
	;; [unrolled: 1-line block ×5, first 2 shown]
	s_waitcnt vmcnt(57) lgkmcnt(0)
	v_mul_f64 v[208:209], v[5:6], v[163:164]
	v_mul_f64 v[163:164], v[7:8], v[163:164]
	s_waitcnt vmcnt(56)
	v_fma_f64 v[159:160], v[125:126], v[147:148], -v[159:160]
	ds_read_b128 v[1:4], v186 offset:1120
	v_fma_f64 v[145:146], v[127:128], v[147:148], v[145:146]
	s_clause 0x2
	buffer_load_dword v162, off, s[0:3], 0 offset:444
	buffer_load_dword v148, off, s[0:3], 0 offset:420
	;; [unrolled: 1-line block ×3, first 2 shown]
	ds_read_b128 v[125:128], v186 offset:1136
	v_add_f64 v[137:138], v[137:138], v[155:156]
	v_add_f64 v[129:130], v[129:130], v[151:152]
	s_waitcnt vmcnt(58) lgkmcnt(1)
	v_mul_f64 v[155:156], v[3:4], v[167:168]
	s_waitcnt vmcnt(56)
	v_fma_f64 v[163:164], v[5:6], v[169:170], -v[163:164]
	v_mul_f64 v[151:152], v[1:2], v[167:168]
	v_add_f64 v[137:138], v[137:138], v[159:160]
	v_fma_f64 v[159:160], v[7:8], v[169:170], v[208:209]
	v_add_f64 v[129:130], v[129:130], v[145:146]
	s_clause 0x4
	buffer_load_dword v146, off, s[0:3], 0 offset:460
	buffer_load_dword v167, off, s[0:3], 0 offset:472
	;; [unrolled: 1-line block ×5, first 2 shown]
	s_waitcnt vmcnt(57) lgkmcnt(0)
	v_mul_f64 v[208:209], v[125:126], v[171:172]
	v_mul_f64 v[170:171], v[127:128], v[171:172]
	s_waitcnt vmcnt(56)
	v_fma_f64 v[155:156], v[1:2], v[157:158], -v[155:156]
	ds_read_b128 v[5:8], v186 offset:1152
	v_fma_f64 v[151:152], v[3:4], v[157:158], v[151:152]
	s_clause 0x2
	buffer_load_dword v168, off, s[0:3], 0 offset:476
	buffer_load_dword v158, off, s[0:3], 0 offset:452
	;; [unrolled: 1-line block ×3, first 2 shown]
	ds_read_b128 v[1:4], v186 offset:1168
	v_add_f64 v[137:138], v[137:138], v[163:164]
	v_add_f64 v[129:130], v[129:130], v[159:160]
	s_waitcnt vmcnt(58) lgkmcnt(1)
	v_mul_f64 v[163:164], v[7:8], v[175:176]
	s_waitcnt vmcnt(56)
	v_fma_f64 v[171:172], v[125:126], v[177:178], -v[170:171]
	v_mul_f64 v[159:160], v[5:6], v[175:176]
	v_add_f64 v[137:138], v[137:138], v[155:156]
	v_fma_f64 v[155:156], v[127:128], v[177:178], v[208:209]
	v_add_f64 v[129:130], v[129:130], v[151:152]
	s_clause 0x4
	buffer_load_dword v152, off, s[0:3], 0 offset:492
	buffer_load_dword v175, off, s[0:3], 0 offset:504
	buffer_load_dword v177, off, s[0:3], 0 offset:496
	buffer_load_dword v151, off, s[0:3], 0 offset:488
	buffer_load_dword v170, off, s[0:3], 0 offset:468
	s_waitcnt vmcnt(57) lgkmcnt(0)
	v_mul_f64 v[208:209], v[1:2], v[179:180]
	v_mul_f64 v[178:179], v[3:4], v[179:180]
	s_waitcnt vmcnt(56)
	v_fma_f64 v[163:164], v[5:6], v[165:166], -v[163:164]
	ds_read_b128 v[125:128], v186 offset:1184
	v_fma_f64 v[159:160], v[7:8], v[165:166], v[159:160]
	v_add_f64 v[137:138], v[137:138], v[171:172]
	v_add_f64 v[129:130], v[129:130], v[155:156]
	s_clause 0x2
	buffer_load_dword v176, off, s[0:3], 0 offset:508
	buffer_load_dword v156, off, s[0:3], 0 offset:484
	buffer_load_dword v155, off, s[0:3], 0 offset:480
	ds_read_b128 v[5:8], v186 offset:1200
	s_waitcnt vmcnt(58) lgkmcnt(1)
	v_mul_f64 v[171:172], v[127:128], v[181:182]
	s_waitcnt vmcnt(56)
	v_fma_f64 v[179:180], v[1:2], v[183:184], -v[178:179]
	v_mul_f64 v[165:166], v[125:126], v[181:182]
	v_add_f64 v[137:138], v[137:138], v[163:164]
	v_fma_f64 v[163:164], v[3:4], v[183:184], v[208:209]
	v_add_f64 v[129:130], v[129:130], v[159:160]
	s_clause 0x4
	buffer_load_dword v160, off, s[0:3], 0 offset:524
	buffer_load_dword v181, off, s[0:3], 0 offset:536
	;; [unrolled: 1-line block ×5, first 2 shown]
	s_waitcnt vmcnt(57) lgkmcnt(0)
	v_mul_f64 v[208:209], v[5:6], v[193:194]
	v_mul_f64 v[193:194], v[7:8], v[193:194]
	s_waitcnt vmcnt(56)
	v_fma_f64 v[171:172], v[125:126], v[173:174], -v[171:172]
	ds_read_b128 v[1:4], v186 offset:1216
	v_fma_f64 v[165:166], v[127:128], v[173:174], v[165:166]
	v_add_f64 v[137:138], v[137:138], v[179:180]
	v_add_f64 v[129:130], v[129:130], v[163:164]
	s_clause 0x2
	buffer_load_dword v182, off, s[0:3], 0 offset:540
	buffer_load_dword v164, off, s[0:3], 0 offset:516
	;; [unrolled: 1-line block ×3, first 2 shown]
	ds_read_b128 v[125:128], v186 offset:1232
	s_waitcnt vmcnt(58) lgkmcnt(1)
	v_mul_f64 v[179:180], v[3:4], v[195:196]
	v_mul_f64 v[173:174], v[1:2], v[195:196]
	s_waitcnt vmcnt(56)
	v_fma_f64 v[193:194], v[5:6], v[133:134], -v[193:194]
	v_fma_f64 v[133:134], v[7:8], v[133:134], v[208:209]
	v_add_f64 v[137:138], v[137:138], v[171:172]
	v_add_f64 v[129:130], v[129:130], v[165:166]
	s_clause 0x4
	buffer_load_dword v166, off, s[0:3], 0 offset:556
	buffer_load_dword v171, off, s[0:3], 0 offset:568
	;; [unrolled: 1-line block ×5, first 2 shown]
	ds_read_b128 v[5:8], v186 offset:1248
	s_waitcnt vmcnt(57) lgkmcnt(1)
	v_mul_f64 v[208:209], v[125:126], v[131:132]
	v_mul_f64 v[131:132], v[127:128], v[131:132]
	s_waitcnt vmcnt(56)
	v_fma_f64 v[179:180], v[1:2], v[197:198], -v[179:180]
	v_fma_f64 v[173:174], v[3:4], v[197:198], v[173:174]
	v_add_f64 v[137:138], v[137:138], v[193:194]
	v_add_f64 v[129:130], v[129:130], v[133:134]
	s_clause 0x2
	buffer_load_dword v172, off, s[0:3], 0 offset:572
	buffer_load_dword v134, off, s[0:3], 0 offset:548
	;; [unrolled: 1-line block ×3, first 2 shown]
	s_waitcnt vmcnt(58) lgkmcnt(0)
	v_mul_f64 v[197:198], v[7:8], v[199:200]
	ds_read_b128 v[1:4], v186 offset:1264
	v_mul_f64 v[193:194], v[5:6], v[199:200]
	s_waitcnt vmcnt(56)
	v_fma_f64 v[131:132], v[125:126], v[189:190], -v[131:132]
	v_add_f64 v[137:138], v[137:138], v[179:180]
	v_fma_f64 v[179:180], v[127:128], v[189:190], v[208:209]
	v_add_f64 v[129:130], v[129:130], v[173:174]
	s_clause 0x4
	buffer_load_dword v174, off, s[0:3], 0 offset:588
	buffer_load_dword v189, off, s[0:3], 0 offset:600
	;; [unrolled: 1-line block ×5, first 2 shown]
	ds_read_b128 v[125:128], v186 offset:1280
	s_waitcnt vmcnt(57) lgkmcnt(1)
	v_mul_f64 v[208:209], v[1:2], v[149:150]
	v_mul_f64 v[149:150], v[3:4], v[149:150]
	s_waitcnt vmcnt(56)
	v_fma_f64 v[197:198], v[5:6], v[204:205], -v[197:198]
	v_add_f64 v[131:132], v[137:138], v[131:132]
	v_fma_f64 v[137:138], v[7:8], v[204:205], v[193:194]
	v_add_f64 v[129:130], v[129:130], v[179:180]
	s_clause 0x2
	buffer_load_dword v190, off, s[0:3], 0 offset:604
	buffer_load_dword v180, off, s[0:3], 0 offset:580
	;; [unrolled: 1-line block ×3, first 2 shown]
	ds_read_b128 v[5:8], v186 offset:1296
	s_waitcnt vmcnt(58) lgkmcnt(1)
	v_mul_f64 v[193:194], v[125:126], v[191:192]
	v_mul_f64 v[191:192], v[127:128], v[191:192]
	s_waitcnt vmcnt(56)
	v_fma_f64 v[149:150], v[1:2], v[143:144], -v[149:150]
	v_fma_f64 v[143:144], v[3:4], v[143:144], v[208:209]
	v_add_f64 v[131:132], v[131:132], v[197:198]
	v_add_f64 v[129:130], v[129:130], v[137:138]
	s_clause 0x4
	buffer_load_dword v138, off, s[0:3], 0 offset:620
	buffer_load_dword v197, off, s[0:3], 0 offset:632
	;; [unrolled: 1-line block ×5, first 2 shown]
	ds_read_b128 v[1:4], v186 offset:1312
	s_waitcnt vmcnt(57) lgkmcnt(1)
	v_mul_f64 v[204:205], v[5:6], v[135:136]
	v_mul_f64 v[135:136], v[7:8], v[135:136]
	s_waitcnt vmcnt(56)
	v_fma_f64 v[191:192], v[125:126], v[206:207], -v[191:192]
	v_add_f64 v[131:132], v[131:132], v[149:150]
	v_fma_f64 v[149:150], v[127:128], v[206:207], v[193:194]
	v_add_f64 v[129:130], v[129:130], v[143:144]
	s_clause 0x2
	buffer_load_dword v198, off, s[0:3], 0 offset:636
	buffer_load_dword v144, off, s[0:3], 0 offset:612
	;; [unrolled: 1-line block ×3, first 2 shown]
	ds_read_b128 v[125:128], v186 offset:1328
	s_waitcnt vmcnt(58) lgkmcnt(1)
	v_mul_f64 v[193:194], v[1:2], v[153:154]
	v_mul_f64 v[153:154], v[3:4], v[153:154]
	s_waitcnt vmcnt(56)
	v_fma_f64 v[135:136], v[5:6], v[141:142], -v[135:136]
	v_fma_f64 v[141:142], v[7:8], v[141:142], v[204:205]
	v_add_f64 v[131:132], v[131:132], v[191:192]
	v_add_f64 v[129:130], v[129:130], v[149:150]
	s_clause 0x4
	buffer_load_dword v150, off, s[0:3], 0 offset:652
	buffer_load_dword v191, off, s[0:3], 0 offset:664
	;; [unrolled: 1-line block ×5, first 2 shown]
	ds_read_b128 v[5:8], v186 offset:1344
	s_waitcnt vmcnt(57) lgkmcnt(1)
	v_mul_f64 v[206:207], v[125:126], v[139:140]
	v_mul_f64 v[139:140], v[127:128], v[139:140]
	s_waitcnt vmcnt(56)
	v_fma_f64 v[153:154], v[1:2], v[201:202], -v[153:154]
	v_add_f64 v[131:132], v[131:132], v[135:136]
	v_fma_f64 v[135:136], v[3:4], v[201:202], v[193:194]
	v_add_f64 v[129:130], v[129:130], v[141:142]
	s_clause 0x2
	buffer_load_dword v192, off, s[0:3], 0 offset:668
	buffer_load_dword v142, off, s[0:3], 0 offset:644
	;; [unrolled: 1-line block ×3, first 2 shown]
	s_waitcnt vmcnt(58) lgkmcnt(0)
	v_mul_f64 v[193:194], v[5:6], v[161:162]
	v_mul_f64 v[161:162], v[7:8], v[161:162]
	ds_read_b128 v[1:4], v186 offset:1360
	s_waitcnt vmcnt(56)
	v_fma_f64 v[139:140], v[125:126], v[147:148], -v[139:140]
	v_fma_f64 v[147:148], v[127:128], v[147:148], v[206:207]
	v_add_f64 v[131:132], v[131:132], v[153:154]
	v_add_f64 v[129:130], v[129:130], v[135:136]
	s_clause 0x4
	buffer_load_dword v136, off, s[0:3], 0 offset:684
	buffer_load_dword v153, off, s[0:3], 0 offset:696
	;; [unrolled: 1-line block ×5, first 2 shown]
	ds_read_b128 v[125:128], v186 offset:1376
	s_waitcnt vmcnt(57) lgkmcnt(1)
	v_mul_f64 v[207:208], v[1:2], v[145:146]
	v_mul_f64 v[145:146], v[3:4], v[145:146]
	s_waitcnt vmcnt(56)
	v_fma_f64 v[161:162], v[5:6], v[187:188], -v[161:162]
	v_add_f64 v[131:132], v[131:132], v[139:140]
	v_fma_f64 v[139:140], v[7:8], v[187:188], v[193:194]
	v_add_f64 v[129:130], v[129:130], v[147:148]
	s_clause 0x2
	buffer_load_dword v154, off, s[0:3], 0 offset:700
	buffer_load_dword v148, off, s[0:3], 0 offset:676
	;; [unrolled: 1-line block ×3, first 2 shown]
	s_waitcnt vmcnt(58) lgkmcnt(0)
	v_mul_f64 v[187:188], v[125:126], v[167:168]
	v_mul_f64 v[167:168], v[127:128], v[167:168]
	ds_read_b128 v[5:8], v186 offset:1392
	s_waitcnt vmcnt(56)
	v_fma_f64 v[145:146], v[1:2], v[157:158], -v[145:146]
	v_fma_f64 v[157:158], v[3:4], v[157:158], v[207:208]
	v_add_f64 v[131:132], v[131:132], v[161:162]
	v_add_f64 v[129:130], v[129:130], v[139:140]
	s_clause 0x4
	buffer_load_dword v140, off, s[0:3], 0 offset:716
	buffer_load_dword v161, off, s[0:3], 0 offset:728
	buffer_load_dword v193, off, s[0:3], 0 offset:720
	buffer_load_dword v139, off, s[0:3], 0 offset:712
	buffer_load_dword v202, off, s[0:3], 0 offset:692
	ds_read_b128 v[1:4], v186 offset:1408
	s_waitcnt vmcnt(57) lgkmcnt(1)
	v_mul_f64 v[207:208], v[5:6], v[151:152]
	v_mul_f64 v[151:152], v[7:8], v[151:152]
	s_waitcnt vmcnt(56)
	v_fma_f64 v[167:168], v[125:126], v[169:170], -v[167:168]
	v_add_f64 v[131:132], v[131:132], v[145:146]
	v_fma_f64 v[145:146], v[127:128], v[169:170], v[187:188]
	v_add_f64 v[129:130], v[129:130], v[157:158]
	s_clause 0x2
	buffer_load_dword v162, off, s[0:3], 0 offset:732
	buffer_load_dword v158, off, s[0:3], 0 offset:708
	buffer_load_dword v157, off, s[0:3], 0 offset:704
	ds_read_b128 v[125:128], v186 offset:1424
	s_waitcnt vmcnt(58) lgkmcnt(1)
	v_mul_f64 v[169:170], v[1:2], v[175:176]
	v_mul_f64 v[175:176], v[3:4], v[175:176]
	s_waitcnt vmcnt(56)
	v_fma_f64 v[151:152], v[5:6], v[155:156], -v[151:152]
	v_fma_f64 v[155:156], v[7:8], v[155:156], v[207:208]
	v_add_f64 v[131:132], v[131:132], v[167:168]
	v_add_f64 v[129:130], v[129:130], v[145:146]
	s_clause 0x4
	buffer_load_dword v146, off, s[0:3], 0 offset:748
	buffer_load_dword v167, off, s[0:3], 0 offset:760
	buffer_load_dword v187, off, s[0:3], 0 offset:752
	buffer_load_dword v145, off, s[0:3], 0 offset:744
	buffer_load_dword v194, off, s[0:3], 0 offset:724
	ds_read_b128 v[5:8], v186 offset:1440
	s_waitcnt vmcnt(57) lgkmcnt(1)
	v_mul_f64 v[207:208], v[125:126], v[159:160]
	v_mul_f64 v[159:160], v[127:128], v[159:160]
	s_waitcnt vmcnt(56)
	v_fma_f64 v[175:176], v[1:2], v[177:178], -v[175:176]
	v_add_f64 v[131:132], v[131:132], v[151:152]
	v_fma_f64 v[151:152], v[3:4], v[177:178], v[169:170]
	v_add_f64 v[129:130], v[129:130], v[155:156]
	s_clause 0x2
	buffer_load_dword v168, off, s[0:3], 0 offset:764
	buffer_load_dword v156, off, s[0:3], 0 offset:740
	buffer_load_dword v155, off, s[0:3], 0 offset:736
	ds_read_b128 v[1:4], v186 offset:1456
	s_waitcnt vmcnt(58) lgkmcnt(1)
	v_mul_f64 v[177:178], v[7:8], v[181:182]
	v_mul_f64 v[169:170], v[5:6], v[181:182]
	;; [unrolled: 28-line block ×4, first 2 shown]
	s_waitcnt vmcnt(56)
	v_fma_f64 v[173:174], v[5:6], v[179:180], -v[173:174]
	v_add_f64 v[131:132], v[131:132], v[171:172]
	v_fma_f64 v[171:172], v[7:8], v[179:180], v[207:208]
	v_add_f64 v[129:130], v[129:130], v[165:166]
	s_clause 0x4
	buffer_load_dword v166, off, s[0:3], 0 offset:844
	buffer_load_dword v179, off, s[0:3], 0 offset:856
	;; [unrolled: 1-line block ×5, first 2 shown]
	ds_read_b128 v[5:8], v186 offset:1536
	s_waitcnt vmcnt(57) lgkmcnt(1)
	v_mul_f64 v[207:208], v[125:126], v[137:138]
	v_mul_f64 v[137:138], v[127:128], v[137:138]
	s_waitcnt vmcnt(56)
	v_fma_f64 v[189:190], v[1:2], v[199:200], -v[189:190]
	v_fma_f64 v[169:170], v[3:4], v[199:200], v[169:170]
	v_add_f64 v[131:132], v[131:132], v[173:174]
	v_add_f64 v[129:130], v[129:130], v[171:172]
	s_clause 0x2
	buffer_load_dword v180, off, s[0:3], 0 offset:860
	buffer_load_dword v172, off, s[0:3], 0 offset:836
	;; [unrolled: 1-line block ×3, first 2 shown]
	ds_read_b128 v[1:4], v186 offset:1552
	s_waitcnt vmcnt(58) lgkmcnt(1)
	v_mul_f64 v[173:174], v[5:6], v[197:198]
	v_mul_f64 v[197:198], v[7:8], v[197:198]
	s_waitcnt vmcnt(56)
	v_fma_f64 v[137:138], v[125:126], v[143:144], -v[137:138]
	v_fma_f64 v[143:144], v[127:128], v[143:144], v[207:208]
	v_add_f64 v[131:132], v[131:132], v[189:190]
	v_add_f64 v[129:130], v[129:130], v[169:170]
	s_clause 0x4
	buffer_load_dword v170, off, s[0:3], 0 offset:876
	buffer_load_dword v189, off, s[0:3], 0 offset:888
	;; [unrolled: 1-line block ×5, first 2 shown]
	ds_read_b128 v[125:128], v186 offset:1568
	s_waitcnt vmcnt(57) lgkmcnt(1)
	v_mul_f64 v[207:208], v[1:2], v[149:150]
	v_mul_f64 v[149:150], v[3:4], v[149:150]
	s_waitcnt vmcnt(56)
	v_fma_f64 v[197:198], v[5:6], v[203:204], -v[197:198]
	v_add_f64 v[131:132], v[131:132], v[137:138]
	v_fma_f64 v[137:138], v[7:8], v[203:204], v[173:174]
	v_add_f64 v[129:130], v[129:130], v[143:144]
	s_clause 0x2
	buffer_load_dword v190, off, s[0:3], 0 offset:892
	buffer_load_dword v144, off, s[0:3], 0 offset:868
	;; [unrolled: 1-line block ×3, first 2 shown]
	ds_read_b128 v[5:8], v186 offset:1584
	s_waitcnt vmcnt(58) lgkmcnt(1)
	v_mul_f64 v[173:174], v[125:126], v[191:192]
	v_mul_f64 v[191:192], v[127:128], v[191:192]
	s_waitcnt vmcnt(56)
	v_fma_f64 v[149:150], v[1:2], v[141:142], -v[149:150]
	v_fma_f64 v[141:142], v[3:4], v[141:142], v[207:208]
	v_add_f64 v[131:132], v[131:132], v[197:198]
	v_add_f64 v[129:130], v[129:130], v[137:138]
	s_clause 0x4
	buffer_load_dword v138, off, s[0:3], 0 offset:908
	buffer_load_dword v197, off, s[0:3], 0 offset:920
	;; [unrolled: 1-line block ×5, first 2 shown]
	ds_read_b128 v[1:4], v186 offset:1600
	s_waitcnt vmcnt(57) lgkmcnt(1)
	v_mul_f64 v[207:208], v[5:6], v[135:136]
	v_mul_f64 v[135:136], v[7:8], v[135:136]
	s_waitcnt vmcnt(56)
	v_fma_f64 v[191:192], v[125:126], v[205:206], -v[191:192]
	v_add_f64 v[131:132], v[131:132], v[149:150]
	v_fma_f64 v[149:150], v[127:128], v[205:206], v[173:174]
	v_add_f64 v[129:130], v[129:130], v[141:142]
	s_clause 0x2
	buffer_load_dword v198, off, s[0:3], 0 offset:924
	buffer_load_dword v142, off, s[0:3], 0 offset:900
	;; [unrolled: 1-line block ×3, first 2 shown]
	ds_read_b128 v[125:128], v186 offset:1616
	s_waitcnt vmcnt(58) lgkmcnt(1)
	v_mul_f64 v[173:174], v[1:2], v[153:154]
	v_mul_f64 v[153:154], v[3:4], v[153:154]
	s_waitcnt vmcnt(56)
	v_fma_f64 v[135:136], v[5:6], v[147:148], -v[135:136]
	v_fma_f64 v[147:148], v[7:8], v[147:148], v[207:208]
	v_add_f64 v[131:132], v[131:132], v[191:192]
	v_add_f64 v[129:130], v[129:130], v[149:150]
	s_clause 0x2
	buffer_load_dword v150, off, s[0:3], 0 offset:940
	buffer_load_dword v149, off, s[0:3], 0 offset:936
	;; [unrolled: 1-line block ×3, first 2 shown]
	ds_read_b128 v[5:8], v186 offset:1632
	s_waitcnt vmcnt(55) lgkmcnt(1)
	v_mul_f64 v[191:192], v[125:126], v[139:140]
	v_mul_f64 v[139:140], v[127:128], v[139:140]
	s_waitcnt vmcnt(54)
	v_fma_f64 v[153:154], v[1:2], v[201:202], -v[153:154]
	v_add_f64 v[131:132], v[131:132], v[135:136]
	v_fma_f64 v[135:136], v[3:4], v[201:202], v[173:174]
	v_add_f64 v[129:130], v[129:130], v[147:148]
	s_clause 0x1
	buffer_load_dword v148, off, s[0:3], 0 offset:932
	buffer_load_dword v147, off, s[0:3], 0 offset:928
	ds_read_b128 v[1:4], v186 offset:1648
	s_waitcnt vmcnt(55) lgkmcnt(1)
	v_mul_f64 v[173:174], v[5:6], v[161:162]
	v_mul_f64 v[161:162], v[7:8], v[161:162]
	s_waitcnt vmcnt(53)
	v_fma_f64 v[139:140], v[125:126], v[157:158], -v[139:140]
	v_add_f64 v[131:132], v[131:132], v[153:154]
	v_fma_f64 v[153:154], v[127:128], v[157:158], v[191:192]
	v_add_f64 v[129:130], v[129:130], v[135:136]
	ds_read_b128 v[125:128], v186 offset:1664
	s_waitcnt vmcnt(49) lgkmcnt(1)
	v_mul_f64 v[135:136], v[1:2], v[145:146]
	v_mul_f64 v[145:146], v[3:4], v[145:146]
	s_waitcnt vmcnt(48)
	v_fma_f64 v[157:158], v[5:6], v[193:194], -v[161:162]
	v_add_f64 v[131:132], v[131:132], v[139:140]
	v_fma_f64 v[139:140], v[7:8], v[193:194], v[173:174]
	v_add_f64 v[129:130], v[129:130], v[153:154]
	s_clause 0x3
	buffer_load_dword v153, off, s[0:3], 0 offset:32
	buffer_load_dword v154, off, s[0:3], 0 offset:36
	;; [unrolled: 1-line block ×4, first 2 shown]
	ds_read_b128 v[5:8], v186 offset:1680
	s_waitcnt vmcnt(51) lgkmcnt(1)
	v_mul_f64 v[173:174], v[125:126], v[167:168]
	v_mul_f64 v[167:168], v[127:128], v[167:168]
	s_waitcnt vmcnt(49)
	v_fma_f64 v[145:146], v[1:2], v[155:156], -v[145:146]
	v_fma_f64 v[135:136], v[3:4], v[155:156], v[135:136]
	ds_read_b128 v[1:4], v186 offset:1696
	v_add_f64 v[131:132], v[131:132], v[157:158]
	v_add_f64 v[129:130], v[129:130], v[139:140]
	s_waitcnt vmcnt(45) lgkmcnt(1)
	v_mul_f64 v[139:140], v[5:6], v[151:152]
	v_mul_f64 v[151:152], v[7:8], v[151:152]
	s_waitcnt vmcnt(44)
	v_fma_f64 v[155:156], v[125:126], v[187:188], -v[167:168]
	v_add_f64 v[131:132], v[131:132], v[145:146]
	v_fma_f64 v[145:146], v[127:128], v[187:188], v[173:174]
	v_add_f64 v[129:130], v[129:130], v[135:136]
	ds_read_b128 v[125:128], v186 offset:1712
	s_waitcnt vmcnt(43) lgkmcnt(1)
	v_mul_f64 v[157:158], v[3:4], v[175:176]
	v_mul_f64 v[135:136], v[1:2], v[175:176]
	s_waitcnt vmcnt(41)
	v_fma_f64 v[151:152], v[5:6], v[163:164], -v[151:152]
	v_fma_f64 v[139:140], v[7:8], v[163:164], v[139:140]
	ds_read_b128 v[5:8], v186 offset:1728
	v_add_f64 v[131:132], v[131:132], v[155:156]
	v_add_f64 v[129:130], v[129:130], v[145:146]
	s_waitcnt vmcnt(37) lgkmcnt(1)
	v_mul_f64 v[155:156], v[127:128], v[159:160]
	s_waitcnt vmcnt(36)
	v_fma_f64 v[157:158], v[1:2], v[181:182], -v[157:158]
	v_mul_f64 v[145:146], v[125:126], v[159:160]
	v_fma_f64 v[135:136], v[3:4], v[181:182], v[135:136]
	ds_read_b128 v[1:4], v186 offset:1744
	v_add_f64 v[131:132], v[131:132], v[151:152]
	v_add_f64 v[129:130], v[129:130], v[139:140]
	s_waitcnt vmcnt(35) lgkmcnt(1)
	v_mul_f64 v[151:152], v[7:8], v[177:178]
	v_mul_f64 v[139:140], v[5:6], v[177:178]
	s_waitcnt vmcnt(33)
	v_fma_f64 v[155:156], v[125:126], v[133:134], -v[155:156]
	v_fma_f64 v[133:134], v[127:128], v[133:134], v[145:146]
	ds_read_b128 v[125:128], v186 offset:1760
	v_add_f64 v[131:132], v[131:132], v[157:158]
	v_add_f64 v[129:130], v[129:130], v[135:136]
	s_waitcnt vmcnt(29) lgkmcnt(1)
	v_mul_f64 v[145:146], v[3:4], v[165:166]
	s_waitcnt vmcnt(28)
	v_fma_f64 v[151:152], v[5:6], v[183:184], -v[151:152]
	v_mul_f64 v[135:136], v[1:2], v[165:166]
	v_fma_f64 v[139:140], v[7:8], v[183:184], v[139:140]
	ds_read_b128 v[5:8], v186 offset:1776
	v_add_f64 v[131:132], v[131:132], v[155:156]
	v_add_f64 v[129:130], v[129:130], v[133:134]
	;; [unrolled: 18-line block ×3, first 2 shown]
	s_waitcnt vmcnt(19) lgkmcnt(1)
	v_mul_f64 v[145:146], v[3:4], v[189:190]
	v_mul_f64 v[135:136], v[1:2], v[189:190]
	s_waitcnt vmcnt(17)
	v_fma_f64 v[151:152], v[5:6], v[143:144], -v[151:152]
	v_fma_f64 v[139:140], v[7:8], v[143:144], v[139:140]
	ds_read_b128 v[5:8], v186 offset:1824
	v_add_f64 v[131:132], v[131:132], v[155:156]
	v_add_f64 v[129:130], v[129:130], v[133:134]
	s_waitcnt vmcnt(13) lgkmcnt(1)
	v_mul_f64 v[133:134], v[125:126], v[137:138]
	v_mul_f64 v[137:138], v[127:128], v[137:138]
	s_waitcnt vmcnt(12)
	v_fma_f64 v[143:144], v[1:2], v[199:200], -v[145:146]
	v_fma_f64 v[135:136], v[3:4], v[199:200], v[135:136]
	ds_read_b128 v[1:4], v186 offset:1840
	v_add_f64 v[131:132], v[131:132], v[151:152]
	v_add_f64 v[129:130], v[129:130], v[139:140]
	s_waitcnt vmcnt(11) lgkmcnt(1)
	v_mul_f64 v[145:146], v[7:8], v[197:198]
	v_mul_f64 v[139:140], v[5:6], v[197:198]
	s_waitcnt vmcnt(9)
	v_fma_f64 v[125:126], v[125:126], v[141:142], -v[137:138]
	v_fma_f64 v[127:128], v[127:128], v[141:142], v[133:134]
	v_add_f64 v[131:132], v[131:132], v[143:144]
	v_add_f64 v[129:130], v[129:130], v[135:136]
	s_waitcnt vmcnt(7) lgkmcnt(0)
	v_mul_f64 v[135:136], v[3:4], v[149:150]
	s_waitcnt vmcnt(6)
	v_fma_f64 v[5:6], v[5:6], v[203:204], -v[145:146]
	v_mul_f64 v[133:134], v[1:2], v[149:150]
	v_fma_f64 v[7:8], v[7:8], v[203:204], v[139:140]
	v_add_f64 v[125:126], v[131:132], v[125:126]
	v_add_f64 v[127:128], v[129:130], v[127:128]
	s_waitcnt vmcnt(4)
	v_fma_f64 v[1:2], v[1:2], v[147:148], -v[135:136]
	v_fma_f64 v[3:4], v[3:4], v[147:148], v[133:134]
	v_add_f64 v[5:6], v[125:126], v[5:6]
	v_add_f64 v[7:8], v[127:128], v[7:8]
	;; [unrolled: 1-line block ×4, first 2 shown]
	s_waitcnt vmcnt(2)
	v_add_f64 v[1:2], v[153:154], -v[1:2]
	s_waitcnt vmcnt(0)
	v_add_f64 v[3:4], v[161:162], -v[3:4]
	buffer_store_dword v2, off, s[0:3], 0 offset:36
	buffer_store_dword v1, off, s[0:3], 0 offset:32
	;; [unrolled: 1-line block ×4, first 2 shown]
	v_cmpx_ne_u32_e32 0, v0
	s_cbranch_execz .LBB121_361
; %bb.360:
	s_clause 0x3
	buffer_load_dword v0, off, s[0:3], 0 offset:16
	buffer_load_dword v1, off, s[0:3], 0 offset:20
	;; [unrolled: 1-line block ×4, first 2 shown]
	v_mov_b32_e32 v4, 0
	buffer_store_dword v4, off, s[0:3], 0 offset:16
	buffer_store_dword v4, off, s[0:3], 0 offset:20
	;; [unrolled: 1-line block ×4, first 2 shown]
	s_waitcnt vmcnt(0)
	ds_write_b128 v185, v[0:3]
.LBB121_361:
	s_or_b32 exec_lo, exec_lo, s4
	s_waitcnt lgkmcnt(0)
	s_waitcnt_vscnt null, 0x0
	s_barrier
	buffer_gl0_inv
	s_clause 0x37
	buffer_load_dword v133, off, s[0:3], 0 offset:40
	buffer_load_dword v134, off, s[0:3], 0 offset:44
	;; [unrolled: 1-line block ×56, first 2 shown]
	v_mov_b32_e32 v8, 0
	s_and_b32 vcc_lo, exec_lo, s70
	ds_read_b128 v[4:7], v8 offset:944
	s_clause 0x2
	buffer_load_dword v182, off, s[0:3], 0 offset:268
	buffer_load_dword v184, off, s[0:3], 0 offset:244
	;; [unrolled: 1-line block ×3, first 2 shown]
	ds_read_b128 v[0:3], v8 offset:960
	s_clause 0x4
	buffer_load_dword v192, off, s[0:3], 0 offset:284
	buffer_load_dword v193, off, s[0:3], 0 offset:296
	;; [unrolled: 1-line block ×5, first 2 shown]
	ds_read_b128 v[185:188], v8 offset:976
	s_waitcnt vmcnt(62) lgkmcnt(2)
	v_mul_f64 v[189:190], v[6:7], v[133:134]
	v_mul_f64 v[133:134], v[4:5], v[133:134]
	s_waitcnt vmcnt(60) lgkmcnt(1)
	v_mul_f64 v[196:197], v[2:3], v[129:130]
	v_mul_f64 v[129:130], v[0:1], v[129:130]
	;; [unrolled: 3-line block ×3, first 2 shown]
	v_fma_f64 v[189:190], v[4:5], v[131:132], -v[189:190]
	v_fma_f64 v[131:132], v[6:7], v[131:132], v[133:134]
	s_clause 0x2
	buffer_load_dword v194, off, s[0:3], 0 offset:300
	buffer_load_dword v134, off, s[0:3], 0 offset:276
	;; [unrolled: 1-line block ×3, first 2 shown]
	s_waitcnt vmcnt(57)
	v_fma_f64 v[200:201], v[0:1], v[125:126], -v[196:197]
	ds_read_b128 v[4:7], v8 offset:992
	v_fma_f64 v[125:126], v[2:3], v[125:126], v[129:130]
	s_waitcnt vmcnt(51)
	v_fma_f64 v[185:186], v[185:186], v[149:150], -v[127:128]
	v_fma_f64 v[149:150], v[187:188], v[149:150], v[198:199]
	v_add_f64 v[189:190], v[189:190], 0
	v_add_f64 v[129:130], v[131:132], 0
	s_clause 0x4
	buffer_load_dword v132, off, s[0:3], 0 offset:316
	buffer_load_dword v197, off, s[0:3], 0 offset:328
	;; [unrolled: 1-line block ×5, first 2 shown]
	s_waitcnt lgkmcnt(0)
	v_mul_f64 v[203:204], v[4:5], v[137:138]
	v_mul_f64 v[137:138], v[6:7], v[137:138]
	ds_read_b128 v[0:3], v8 offset:1008
	s_clause 0x2
	buffer_load_dword v198, off, s[0:3], 0 offset:332
	buffer_load_dword v188, off, s[0:3], 0 offset:308
	;; [unrolled: 1-line block ×3, first 2 shown]
	v_add_f64 v[189:190], v[189:190], v[200:201]
	v_add_f64 v[129:130], v[129:130], v[125:126]
	ds_read_b128 v[125:128], v8 offset:1024
	s_waitcnt vmcnt(58) lgkmcnt(1)
	v_mul_f64 v[199:200], v[0:1], v[141:142]
	v_mul_f64 v[141:142], v[2:3], v[141:142]
	s_waitcnt vmcnt(56)
	v_fma_f64 v[137:138], v[4:5], v[143:144], -v[137:138]
	v_fma_f64 v[143:144], v[6:7], v[143:144], v[203:204]
	s_waitcnt vmcnt(52) lgkmcnt(0)
	v_mul_f64 v[205:206], v[125:126], v[145:146]
	v_add_f64 v[185:186], v[189:190], v[185:186]
	v_add_f64 v[129:130], v[129:130], v[149:150]
	s_clause 0x4
	buffer_load_dword v150, off, s[0:3], 0 offset:348
	buffer_load_dword v189, off, s[0:3], 0 offset:360
	;; [unrolled: 1-line block ×5, first 2 shown]
	v_mul_f64 v[145:146], v[127:128], v[145:146]
	s_waitcnt vmcnt(56)
	v_fma_f64 v[141:142], v[0:1], v[135:136], -v[141:142]
	ds_read_b128 v[4:7], v8 offset:1040
	v_fma_f64 v[135:136], v[2:3], v[135:136], v[199:200]
	v_add_f64 v[137:138], v[185:186], v[137:138]
	v_add_f64 v[129:130], v[129:130], v[143:144]
	s_clause 0x2
	buffer_load_dword v190, off, s[0:3], 0 offset:364
	buffer_load_dword v144, off, s[0:3], 0 offset:340
	;; [unrolled: 1-line block ×3, first 2 shown]
	s_waitcnt vmcnt(58) lgkmcnt(0)
	v_mul_f64 v[185:186], v[4:5], v[151:152]
	v_mul_f64 v[151:152], v[6:7], v[151:152]
	s_waitcnt vmcnt(56)
	v_fma_f64 v[145:146], v[125:126], v[153:154], -v[145:146]
	ds_read_b128 v[0:3], v8 offset:1056
	v_add_f64 v[137:138], v[137:138], v[141:142]
	v_fma_f64 v[141:142], v[127:128], v[153:154], v[205:206]
	v_add_f64 v[129:130], v[129:130], v[135:136]
	s_clause 0x4
	buffer_load_dword v136, off, s[0:3], 0 offset:380
	buffer_load_dword v153, off, s[0:3], 0 offset:392
	;; [unrolled: 1-line block ×5, first 2 shown]
	s_waitcnt vmcnt(57) lgkmcnt(0)
	v_mul_f64 v[200:201], v[0:1], v[155:156]
	v_mul_f64 v[155:156], v[2:3], v[155:156]
	s_waitcnt vmcnt(56)
	v_fma_f64 v[151:152], v[4:5], v[139:140], -v[151:152]
	ds_read_b128 v[125:128], v8 offset:1072
	v_fma_f64 v[139:140], v[6:7], v[139:140], v[185:186]
	v_add_f64 v[137:138], v[137:138], v[145:146]
	v_add_f64 v[129:130], v[129:130], v[141:142]
	s_clause 0x2
	buffer_load_dword v154, off, s[0:3], 0 offset:396
	buffer_load_dword v142, off, s[0:3], 0 offset:372
	buffer_load_dword v141, off, s[0:3], 0 offset:368
	ds_read_b128 v[4:7], v8 offset:1088
	s_waitcnt vmcnt(58) lgkmcnt(1)
	v_mul_f64 v[145:146], v[125:126], v[159:160]
	v_mul_f64 v[159:160], v[127:128], v[159:160]
	s_waitcnt vmcnt(56)
	v_fma_f64 v[155:156], v[0:1], v[161:162], -v[155:156]
	v_add_f64 v[137:138], v[137:138], v[151:152]
	v_fma_f64 v[151:152], v[2:3], v[161:162], v[200:201]
	v_add_f64 v[129:130], v[129:130], v[139:140]
	s_clause 0x4
	buffer_load_dword v140, off, s[0:3], 0 offset:412
	buffer_load_dword v161, off, s[0:3], 0 offset:424
	buffer_load_dword v185, off, s[0:3], 0 offset:416
	buffer_load_dword v139, off, s[0:3], 0 offset:408
	buffer_load_dword v200, off, s[0:3], 0 offset:388
	s_waitcnt vmcnt(57) lgkmcnt(0)
	v_mul_f64 v[206:207], v[4:5], v[163:164]
	v_mul_f64 v[163:164], v[6:7], v[163:164]
	s_waitcnt vmcnt(56)
	v_fma_f64 v[159:160], v[125:126], v[147:148], -v[159:160]
	ds_read_b128 v[0:3], v8 offset:1104
	v_fma_f64 v[145:146], v[127:128], v[147:148], v[145:146]
	s_clause 0x2
	buffer_load_dword v162, off, s[0:3], 0 offset:428
	buffer_load_dword v148, off, s[0:3], 0 offset:404
	buffer_load_dword v147, off, s[0:3], 0 offset:400
	ds_read_b128 v[125:128], v8 offset:1120
	v_add_f64 v[137:138], v[137:138], v[155:156]
	v_add_f64 v[129:130], v[129:130], v[151:152]
	s_waitcnt vmcnt(58) lgkmcnt(1)
	v_mul_f64 v[155:156], v[2:3], v[167:168]
	s_waitcnt vmcnt(56)
	v_fma_f64 v[163:164], v[4:5], v[169:170], -v[163:164]
	v_mul_f64 v[151:152], v[0:1], v[167:168]
	v_add_f64 v[137:138], v[137:138], v[159:160]
	v_fma_f64 v[159:160], v[6:7], v[169:170], v[206:207]
	v_add_f64 v[129:130], v[129:130], v[145:146]
	s_clause 0x4
	buffer_load_dword v146, off, s[0:3], 0 offset:444
	buffer_load_dword v167, off, s[0:3], 0 offset:456
	;; [unrolled: 1-line block ×5, first 2 shown]
	s_waitcnt vmcnt(57) lgkmcnt(0)
	v_mul_f64 v[206:207], v[125:126], v[171:172]
	v_mul_f64 v[170:171], v[127:128], v[171:172]
	s_waitcnt vmcnt(56)
	v_fma_f64 v[155:156], v[0:1], v[157:158], -v[155:156]
	ds_read_b128 v[4:7], v8 offset:1136
	v_fma_f64 v[151:152], v[2:3], v[157:158], v[151:152]
	s_clause 0x2
	buffer_load_dword v168, off, s[0:3], 0 offset:460
	buffer_load_dword v158, off, s[0:3], 0 offset:436
	;; [unrolled: 1-line block ×3, first 2 shown]
	ds_read_b128 v[0:3], v8 offset:1152
	v_add_f64 v[137:138], v[137:138], v[163:164]
	v_add_f64 v[129:130], v[129:130], v[159:160]
	s_waitcnt vmcnt(58) lgkmcnt(1)
	v_mul_f64 v[163:164], v[6:7], v[175:176]
	s_waitcnt vmcnt(56)
	v_fma_f64 v[171:172], v[125:126], v[177:178], -v[170:171]
	v_mul_f64 v[159:160], v[4:5], v[175:176]
	v_add_f64 v[137:138], v[137:138], v[155:156]
	v_fma_f64 v[155:156], v[127:128], v[177:178], v[206:207]
	v_add_f64 v[129:130], v[129:130], v[151:152]
	s_clause 0x4
	buffer_load_dword v152, off, s[0:3], 0 offset:476
	buffer_load_dword v175, off, s[0:3], 0 offset:488
	;; [unrolled: 1-line block ×5, first 2 shown]
	s_waitcnt vmcnt(57) lgkmcnt(0)
	v_mul_f64 v[206:207], v[0:1], v[179:180]
	v_mul_f64 v[178:179], v[2:3], v[179:180]
	s_waitcnt vmcnt(56)
	v_fma_f64 v[163:164], v[4:5], v[165:166], -v[163:164]
	ds_read_b128 v[125:128], v8 offset:1168
	v_fma_f64 v[159:160], v[6:7], v[165:166], v[159:160]
	v_add_f64 v[137:138], v[137:138], v[171:172]
	v_add_f64 v[129:130], v[129:130], v[155:156]
	s_clause 0x2
	buffer_load_dword v176, off, s[0:3], 0 offset:492
	buffer_load_dword v156, off, s[0:3], 0 offset:468
	;; [unrolled: 1-line block ×3, first 2 shown]
	ds_read_b128 v[4:7], v8 offset:1184
	s_waitcnt vmcnt(58) lgkmcnt(1)
	v_mul_f64 v[171:172], v[127:128], v[181:182]
	s_waitcnt vmcnt(56)
	v_fma_f64 v[179:180], v[0:1], v[183:184], -v[178:179]
	v_mul_f64 v[165:166], v[125:126], v[181:182]
	v_add_f64 v[137:138], v[137:138], v[163:164]
	v_fma_f64 v[163:164], v[2:3], v[183:184], v[206:207]
	v_add_f64 v[129:130], v[129:130], v[159:160]
	s_clause 0x4
	buffer_load_dword v160, off, s[0:3], 0 offset:508
	buffer_load_dword v181, off, s[0:3], 0 offset:520
	;; [unrolled: 1-line block ×5, first 2 shown]
	s_waitcnt vmcnt(57) lgkmcnt(0)
	v_mul_f64 v[206:207], v[4:5], v[191:192]
	v_mul_f64 v[191:192], v[6:7], v[191:192]
	s_waitcnt vmcnt(56)
	v_fma_f64 v[171:172], v[125:126], v[173:174], -v[171:172]
	ds_read_b128 v[0:3], v8 offset:1200
	v_fma_f64 v[165:166], v[127:128], v[173:174], v[165:166]
	v_add_f64 v[137:138], v[137:138], v[179:180]
	v_add_f64 v[129:130], v[129:130], v[163:164]
	s_clause 0x2
	buffer_load_dword v182, off, s[0:3], 0 offset:524
	buffer_load_dword v164, off, s[0:3], 0 offset:500
	;; [unrolled: 1-line block ×3, first 2 shown]
	ds_read_b128 v[125:128], v8 offset:1216
	s_waitcnt vmcnt(58) lgkmcnt(1)
	v_mul_f64 v[179:180], v[2:3], v[193:194]
	v_mul_f64 v[173:174], v[0:1], v[193:194]
	s_waitcnt vmcnt(56)
	v_fma_f64 v[191:192], v[4:5], v[133:134], -v[191:192]
	v_fma_f64 v[133:134], v[6:7], v[133:134], v[206:207]
	v_add_f64 v[137:138], v[137:138], v[171:172]
	v_add_f64 v[129:130], v[129:130], v[165:166]
	s_clause 0x4
	buffer_load_dword v166, off, s[0:3], 0 offset:540
	buffer_load_dword v171, off, s[0:3], 0 offset:552
	;; [unrolled: 1-line block ×5, first 2 shown]
	ds_read_b128 v[4:7], v8 offset:1232
	s_waitcnt vmcnt(57) lgkmcnt(1)
	v_mul_f64 v[206:207], v[125:126], v[131:132]
	v_mul_f64 v[131:132], v[127:128], v[131:132]
	s_waitcnt vmcnt(56)
	v_fma_f64 v[179:180], v[0:1], v[195:196], -v[179:180]
	v_fma_f64 v[173:174], v[2:3], v[195:196], v[173:174]
	v_add_f64 v[137:138], v[137:138], v[191:192]
	v_add_f64 v[129:130], v[129:130], v[133:134]
	s_clause 0x2
	buffer_load_dword v172, off, s[0:3], 0 offset:556
	buffer_load_dword v134, off, s[0:3], 0 offset:532
	;; [unrolled: 1-line block ×3, first 2 shown]
	s_waitcnt vmcnt(58) lgkmcnt(0)
	v_mul_f64 v[195:196], v[6:7], v[197:198]
	ds_read_b128 v[0:3], v8 offset:1248
	v_mul_f64 v[191:192], v[4:5], v[197:198]
	s_waitcnt vmcnt(56)
	v_fma_f64 v[131:132], v[125:126], v[187:188], -v[131:132]
	v_add_f64 v[137:138], v[137:138], v[179:180]
	v_fma_f64 v[179:180], v[127:128], v[187:188], v[206:207]
	v_add_f64 v[129:130], v[129:130], v[173:174]
	s_clause 0x4
	buffer_load_dword v174, off, s[0:3], 0 offset:572
	buffer_load_dword v187, off, s[0:3], 0 offset:584
	;; [unrolled: 1-line block ×5, first 2 shown]
	ds_read_b128 v[125:128], v8 offset:1264
	s_waitcnt vmcnt(57) lgkmcnt(1)
	v_mul_f64 v[206:207], v[0:1], v[149:150]
	v_mul_f64 v[149:150], v[2:3], v[149:150]
	s_waitcnt vmcnt(56)
	v_fma_f64 v[195:196], v[4:5], v[202:203], -v[195:196]
	v_add_f64 v[131:132], v[137:138], v[131:132]
	v_fma_f64 v[137:138], v[6:7], v[202:203], v[191:192]
	v_add_f64 v[129:130], v[129:130], v[179:180]
	s_clause 0x2
	buffer_load_dword v188, off, s[0:3], 0 offset:588
	buffer_load_dword v180, off, s[0:3], 0 offset:564
	;; [unrolled: 1-line block ×3, first 2 shown]
	ds_read_b128 v[4:7], v8 offset:1280
	s_waitcnt vmcnt(58) lgkmcnt(1)
	v_mul_f64 v[191:192], v[125:126], v[189:190]
	v_mul_f64 v[189:190], v[127:128], v[189:190]
	s_waitcnt vmcnt(56)
	v_fma_f64 v[149:150], v[0:1], v[143:144], -v[149:150]
	v_fma_f64 v[143:144], v[2:3], v[143:144], v[206:207]
	v_add_f64 v[131:132], v[131:132], v[195:196]
	v_add_f64 v[129:130], v[129:130], v[137:138]
	s_clause 0x4
	buffer_load_dword v138, off, s[0:3], 0 offset:604
	buffer_load_dword v195, off, s[0:3], 0 offset:616
	;; [unrolled: 1-line block ×5, first 2 shown]
	ds_read_b128 v[0:3], v8 offset:1296
	s_waitcnt vmcnt(57) lgkmcnt(1)
	v_mul_f64 v[202:203], v[4:5], v[135:136]
	v_mul_f64 v[135:136], v[6:7], v[135:136]
	s_waitcnt vmcnt(56)
	v_fma_f64 v[189:190], v[125:126], v[204:205], -v[189:190]
	v_add_f64 v[131:132], v[131:132], v[149:150]
	v_fma_f64 v[149:150], v[127:128], v[204:205], v[191:192]
	v_add_f64 v[129:130], v[129:130], v[143:144]
	s_clause 0x2
	buffer_load_dword v196, off, s[0:3], 0 offset:620
	buffer_load_dword v144, off, s[0:3], 0 offset:596
	;; [unrolled: 1-line block ×3, first 2 shown]
	ds_read_b128 v[125:128], v8 offset:1312
	s_waitcnt vmcnt(58) lgkmcnt(1)
	v_mul_f64 v[191:192], v[0:1], v[153:154]
	v_mul_f64 v[153:154], v[2:3], v[153:154]
	s_waitcnt vmcnt(56)
	v_fma_f64 v[135:136], v[4:5], v[141:142], -v[135:136]
	v_fma_f64 v[141:142], v[6:7], v[141:142], v[202:203]
	v_add_f64 v[131:132], v[131:132], v[189:190]
	v_add_f64 v[129:130], v[129:130], v[149:150]
	s_clause 0x4
	buffer_load_dword v150, off, s[0:3], 0 offset:636
	buffer_load_dword v189, off, s[0:3], 0 offset:648
	buffer_load_dword v203, off, s[0:3], 0 offset:640
	buffer_load_dword v149, off, s[0:3], 0 offset:632
	buffer_load_dword v202, off, s[0:3], 0 offset:612
	ds_read_b128 v[4:7], v8 offset:1328
	s_waitcnt vmcnt(57) lgkmcnt(1)
	v_mul_f64 v[204:205], v[125:126], v[139:140]
	v_mul_f64 v[139:140], v[127:128], v[139:140]
	s_waitcnt vmcnt(56)
	v_fma_f64 v[153:154], v[0:1], v[199:200], -v[153:154]
	v_add_f64 v[131:132], v[131:132], v[135:136]
	v_fma_f64 v[135:136], v[2:3], v[199:200], v[191:192]
	v_add_f64 v[129:130], v[129:130], v[141:142]
	s_clause 0x2
	buffer_load_dword v190, off, s[0:3], 0 offset:652
	buffer_load_dword v142, off, s[0:3], 0 offset:628
	;; [unrolled: 1-line block ×3, first 2 shown]
	s_waitcnt vmcnt(58) lgkmcnt(0)
	v_mul_f64 v[191:192], v[4:5], v[161:162]
	v_mul_f64 v[161:162], v[6:7], v[161:162]
	ds_read_b128 v[0:3], v8 offset:1344
	s_waitcnt vmcnt(56)
	v_fma_f64 v[139:140], v[125:126], v[147:148], -v[139:140]
	v_fma_f64 v[147:148], v[127:128], v[147:148], v[204:205]
	v_add_f64 v[131:132], v[131:132], v[153:154]
	v_add_f64 v[129:130], v[129:130], v[135:136]
	s_clause 0x4
	buffer_load_dword v136, off, s[0:3], 0 offset:668
	buffer_load_dword v153, off, s[0:3], 0 offset:680
	;; [unrolled: 1-line block ×5, first 2 shown]
	ds_read_b128 v[125:128], v8 offset:1360
	s_waitcnt vmcnt(57) lgkmcnt(1)
	v_mul_f64 v[205:206], v[0:1], v[145:146]
	v_mul_f64 v[145:146], v[2:3], v[145:146]
	s_waitcnt vmcnt(56)
	v_fma_f64 v[161:162], v[4:5], v[185:186], -v[161:162]
	v_add_f64 v[131:132], v[131:132], v[139:140]
	v_fma_f64 v[139:140], v[6:7], v[185:186], v[191:192]
	v_add_f64 v[129:130], v[129:130], v[147:148]
	s_clause 0x2
	buffer_load_dword v154, off, s[0:3], 0 offset:684
	buffer_load_dword v148, off, s[0:3], 0 offset:660
	;; [unrolled: 1-line block ×3, first 2 shown]
	s_waitcnt vmcnt(58) lgkmcnt(0)
	v_mul_f64 v[185:186], v[125:126], v[167:168]
	v_mul_f64 v[167:168], v[127:128], v[167:168]
	ds_read_b128 v[4:7], v8 offset:1376
	s_waitcnt vmcnt(56)
	v_fma_f64 v[145:146], v[0:1], v[157:158], -v[145:146]
	v_fma_f64 v[157:158], v[2:3], v[157:158], v[205:206]
	v_add_f64 v[131:132], v[131:132], v[161:162]
	v_add_f64 v[129:130], v[129:130], v[139:140]
	s_clause 0x4
	buffer_load_dword v140, off, s[0:3], 0 offset:700
	buffer_load_dword v161, off, s[0:3], 0 offset:712
	buffer_load_dword v191, off, s[0:3], 0 offset:704
	buffer_load_dword v139, off, s[0:3], 0 offset:696
	buffer_load_dword v200, off, s[0:3], 0 offset:676
	ds_read_b128 v[0:3], v8 offset:1392
	s_waitcnt vmcnt(57) lgkmcnt(1)
	v_mul_f64 v[205:206], v[4:5], v[151:152]
	v_mul_f64 v[151:152], v[6:7], v[151:152]
	s_waitcnt vmcnt(56)
	v_fma_f64 v[167:168], v[125:126], v[169:170], -v[167:168]
	v_add_f64 v[131:132], v[131:132], v[145:146]
	v_fma_f64 v[145:146], v[127:128], v[169:170], v[185:186]
	v_add_f64 v[129:130], v[129:130], v[157:158]
	s_clause 0x2
	buffer_load_dword v162, off, s[0:3], 0 offset:716
	buffer_load_dword v158, off, s[0:3], 0 offset:692
	buffer_load_dword v157, off, s[0:3], 0 offset:688
	ds_read_b128 v[125:128], v8 offset:1408
	s_waitcnt vmcnt(58) lgkmcnt(1)
	v_mul_f64 v[169:170], v[0:1], v[175:176]
	v_mul_f64 v[175:176], v[2:3], v[175:176]
	s_waitcnt vmcnt(56)
	v_fma_f64 v[151:152], v[4:5], v[155:156], -v[151:152]
	v_fma_f64 v[155:156], v[6:7], v[155:156], v[205:206]
	v_add_f64 v[131:132], v[131:132], v[167:168]
	v_add_f64 v[129:130], v[129:130], v[145:146]
	s_clause 0x4
	buffer_load_dword v146, off, s[0:3], 0 offset:732
	buffer_load_dword v167, off, s[0:3], 0 offset:744
	buffer_load_dword v185, off, s[0:3], 0 offset:736
	buffer_load_dword v145, off, s[0:3], 0 offset:728
	buffer_load_dword v192, off, s[0:3], 0 offset:708
	ds_read_b128 v[4:7], v8 offset:1424
	s_waitcnt vmcnt(57) lgkmcnt(1)
	v_mul_f64 v[205:206], v[125:126], v[159:160]
	v_mul_f64 v[159:160], v[127:128], v[159:160]
	s_waitcnt vmcnt(56)
	v_fma_f64 v[175:176], v[0:1], v[177:178], -v[175:176]
	v_add_f64 v[131:132], v[131:132], v[151:152]
	v_fma_f64 v[151:152], v[2:3], v[177:178], v[169:170]
	v_add_f64 v[129:130], v[129:130], v[155:156]
	s_clause 0x2
	buffer_load_dword v168, off, s[0:3], 0 offset:748
	buffer_load_dword v156, off, s[0:3], 0 offset:724
	buffer_load_dword v155, off, s[0:3], 0 offset:720
	ds_read_b128 v[0:3], v8 offset:1440
	s_waitcnt vmcnt(58) lgkmcnt(1)
	v_mul_f64 v[177:178], v[6:7], v[181:182]
	v_mul_f64 v[169:170], v[4:5], v[181:182]
	;; [unrolled: 28-line block ×4, first 2 shown]
	s_waitcnt vmcnt(56)
	v_fma_f64 v[173:174], v[4:5], v[179:180], -v[173:174]
	v_add_f64 v[131:132], v[131:132], v[171:172]
	v_fma_f64 v[171:172], v[6:7], v[179:180], v[205:206]
	v_add_f64 v[129:130], v[129:130], v[165:166]
	s_clause 0x4
	buffer_load_dword v166, off, s[0:3], 0 offset:828
	buffer_load_dword v179, off, s[0:3], 0 offset:840
	;; [unrolled: 1-line block ×5, first 2 shown]
	ds_read_b128 v[4:7], v8 offset:1520
	s_waitcnt vmcnt(57) lgkmcnt(1)
	v_mul_f64 v[205:206], v[125:126], v[137:138]
	v_mul_f64 v[137:138], v[127:128], v[137:138]
	s_waitcnt vmcnt(56)
	v_fma_f64 v[187:188], v[0:1], v[197:198], -v[187:188]
	v_fma_f64 v[169:170], v[2:3], v[197:198], v[169:170]
	v_add_f64 v[131:132], v[131:132], v[173:174]
	v_add_f64 v[129:130], v[129:130], v[171:172]
	s_clause 0x2
	buffer_load_dword v180, off, s[0:3], 0 offset:844
	buffer_load_dword v172, off, s[0:3], 0 offset:820
	buffer_load_dword v171, off, s[0:3], 0 offset:816
	ds_read_b128 v[0:3], v8 offset:1536
	s_waitcnt vmcnt(58) lgkmcnt(1)
	v_mul_f64 v[173:174], v[4:5], v[195:196]
	v_mul_f64 v[195:196], v[6:7], v[195:196]
	s_waitcnt vmcnt(56)
	v_fma_f64 v[137:138], v[125:126], v[143:144], -v[137:138]
	v_fma_f64 v[143:144], v[127:128], v[143:144], v[205:206]
	v_add_f64 v[131:132], v[131:132], v[187:188]
	v_add_f64 v[129:130], v[129:130], v[169:170]
	s_clause 0x4
	buffer_load_dword v170, off, s[0:3], 0 offset:860
	buffer_load_dword v187, off, s[0:3], 0 offset:872
	buffer_load_dword v197, off, s[0:3], 0 offset:864
	buffer_load_dword v169, off, s[0:3], 0 offset:856
	buffer_load_dword v194, off, s[0:3], 0 offset:836
	ds_read_b128 v[125:128], v8 offset:1552
	s_waitcnt vmcnt(57) lgkmcnt(1)
	v_mul_f64 v[205:206], v[0:1], v[149:150]
	v_mul_f64 v[149:150], v[2:3], v[149:150]
	s_waitcnt vmcnt(56)
	v_fma_f64 v[195:196], v[4:5], v[201:202], -v[195:196]
	v_add_f64 v[131:132], v[131:132], v[137:138]
	v_fma_f64 v[137:138], v[6:7], v[201:202], v[173:174]
	v_add_f64 v[129:130], v[129:130], v[143:144]
	s_clause 0x2
	buffer_load_dword v188, off, s[0:3], 0 offset:876
	buffer_load_dword v144, off, s[0:3], 0 offset:852
	buffer_load_dword v143, off, s[0:3], 0 offset:848
	ds_read_b128 v[4:7], v8 offset:1568
	s_waitcnt vmcnt(58) lgkmcnt(1)
	v_mul_f64 v[173:174], v[125:126], v[189:190]
	v_mul_f64 v[189:190], v[127:128], v[189:190]
	s_waitcnt vmcnt(56)
	v_fma_f64 v[149:150], v[0:1], v[141:142], -v[149:150]
	v_fma_f64 v[141:142], v[2:3], v[141:142], v[205:206]
	v_add_f64 v[131:132], v[131:132], v[195:196]
	v_add_f64 v[129:130], v[129:130], v[137:138]
	s_clause 0x4
	buffer_load_dword v138, off, s[0:3], 0 offset:892
	buffer_load_dword v195, off, s[0:3], 0 offset:904
	buffer_load_dword v201, off, s[0:3], 0 offset:896
	buffer_load_dword v137, off, s[0:3], 0 offset:888
	buffer_load_dword v198, off, s[0:3], 0 offset:868
	ds_read_b128 v[0:3], v8 offset:1584
	s_waitcnt vmcnt(57) lgkmcnt(1)
	v_mul_f64 v[205:206], v[4:5], v[135:136]
	v_mul_f64 v[135:136], v[6:7], v[135:136]
	s_waitcnt vmcnt(56)
	v_fma_f64 v[189:190], v[125:126], v[203:204], -v[189:190]
	v_add_f64 v[131:132], v[131:132], v[149:150]
	v_fma_f64 v[149:150], v[127:128], v[203:204], v[173:174]
	;; [unrolled: 28-line block ×3, first 2 shown]
	v_add_f64 v[129:130], v[129:130], v[147:148]
	s_clause 0x2
	buffer_load_dword v190, off, s[0:3], 0 offset:940
	buffer_load_dword v148, off, s[0:3], 0 offset:916
	;; [unrolled: 1-line block ×3, first 2 shown]
	ds_read_b128 v[0:3], v8 offset:1632
	s_waitcnt vmcnt(58) lgkmcnt(1)
	v_mul_f64 v[173:174], v[4:5], v[161:162]
	v_mul_f64 v[161:162], v[6:7], v[161:162]
	s_waitcnt vmcnt(56)
	v_fma_f64 v[139:140], v[125:126], v[157:158], -v[139:140]
	v_add_f64 v[131:132], v[131:132], v[153:154]
	v_fma_f64 v[153:154], v[127:128], v[157:158], v[204:205]
	v_add_f64 v[129:130], v[129:130], v[135:136]
	buffer_load_dword v204, off, s[0:3], 0 offset:932
	ds_read_b128 v[125:128], v8 offset:1648
	s_waitcnt vmcnt(53) lgkmcnt(1)
	v_mul_f64 v[135:136], v[0:1], v[145:146]
	v_mul_f64 v[145:146], v[2:3], v[145:146]
	s_waitcnt vmcnt(52)
	v_fma_f64 v[157:158], v[4:5], v[191:192], -v[161:162]
	v_add_f64 v[131:132], v[131:132], v[139:140]
	v_fma_f64 v[139:140], v[6:7], v[191:192], v[173:174]
	v_add_f64 v[129:130], v[129:130], v[153:154]
	ds_read_b128 v[4:7], v8 offset:1664
	s_waitcnt vmcnt(51) lgkmcnt(1)
	v_mul_f64 v[161:162], v[127:128], v[167:168]
	v_mul_f64 v[153:154], v[125:126], v[167:168]
	s_waitcnt vmcnt(49)
	v_fma_f64 v[145:146], v[0:1], v[155:156], -v[145:146]
	v_fma_f64 v[135:136], v[2:3], v[155:156], v[135:136]
	v_add_f64 v[131:132], v[131:132], v[157:158]
	v_add_f64 v[129:130], v[129:130], v[139:140]
	s_clause 0x3
	buffer_load_dword v139, off, s[0:3], 0 offset:16
	buffer_load_dword v140, off, s[0:3], 0 offset:20
	;; [unrolled: 1-line block ×4, first 2 shown]
	ds_read_b128 v[0:3], v8 offset:1680
	s_waitcnt vmcnt(49) lgkmcnt(1)
	v_mul_f64 v[157:158], v[4:5], v[151:152]
	v_mul_f64 v[151:152], v[6:7], v[151:152]
	s_waitcnt vmcnt(48)
	v_fma_f64 v[161:162], v[125:126], v[185:186], -v[161:162]
	v_add_f64 v[131:132], v[131:132], v[145:146]
	v_fma_f64 v[145:146], v[127:128], v[185:186], v[153:154]
	v_add_f64 v[129:130], v[129:130], v[135:136]
	ds_read_b128 v[125:128], v8 offset:1696
	s_waitcnt vmcnt(47) lgkmcnt(1)
	v_mul_f64 v[153:154], v[2:3], v[175:176]
	v_mul_f64 v[135:136], v[0:1], v[175:176]
	s_waitcnt vmcnt(45)
	v_fma_f64 v[151:152], v[4:5], v[163:164], -v[151:152]
	v_fma_f64 v[157:158], v[6:7], v[163:164], v[157:158]
	ds_read_b128 v[4:7], v8 offset:1712
	v_add_f64 v[131:132], v[131:132], v[161:162]
	v_add_f64 v[129:130], v[129:130], v[145:146]
	s_waitcnt vmcnt(41) lgkmcnt(1)
	v_mul_f64 v[145:146], v[125:126], v[159:160]
	v_mul_f64 v[159:160], v[127:128], v[159:160]
	s_waitcnt vmcnt(40)
	v_fma_f64 v[153:154], v[0:1], v[181:182], -v[153:154]
	v_fma_f64 v[135:136], v[2:3], v[181:182], v[135:136]
	ds_read_b128 v[0:3], v8 offset:1728
	v_add_f64 v[131:132], v[131:132], v[151:152]
	v_add_f64 v[129:130], v[129:130], v[157:158]
	;; [unrolled: 9-line block ×3, first 2 shown]
	s_waitcnt vmcnt(33) lgkmcnt(1)
	v_mul_f64 v[145:146], v[2:3], v[165:166]
	s_waitcnt vmcnt(32)
	v_fma_f64 v[153:154], v[4:5], v[183:184], -v[157:158]
	v_mul_f64 v[135:136], v[0:1], v[165:166]
	v_fma_f64 v[151:152], v[6:7], v[183:184], v[151:152]
	ds_read_b128 v[4:7], v8 offset:1760
	v_add_f64 v[131:132], v[131:132], v[159:160]
	v_add_f64 v[129:130], v[129:130], v[133:134]
	s_waitcnt vmcnt(31) lgkmcnt(1)
	v_mul_f64 v[157:158], v[127:128], v[179:180]
	v_mul_f64 v[133:134], v[125:126], v[179:180]
	s_waitcnt vmcnt(29)
	v_fma_f64 v[145:146], v[0:1], v[171:172], -v[145:146]
	v_fma_f64 v[135:136], v[2:3], v[171:172], v[135:136]
	ds_read_b128 v[0:3], v8 offset:1776
	v_add_f64 v[131:132], v[131:132], v[153:154]
	v_add_f64 v[129:130], v[129:130], v[151:152]
	s_waitcnt vmcnt(25) lgkmcnt(1)
	v_mul_f64 v[153:154], v[6:7], v[169:170]
	s_waitcnt vmcnt(24)
	v_fma_f64 v[157:158], v[125:126], v[193:194], -v[157:158]
	v_mul_f64 v[151:152], v[4:5], v[169:170]
	v_fma_f64 v[133:134], v[127:128], v[193:194], v[133:134]
	ds_read_b128 v[125:128], v8 offset:1792
	v_add_f64 v[131:132], v[131:132], v[145:146]
	v_add_f64 v[129:130], v[129:130], v[135:136]
	s_waitcnt vmcnt(23) lgkmcnt(1)
	v_mul_f64 v[145:146], v[2:3], v[187:188]
	v_mul_f64 v[135:136], v[0:1], v[187:188]
	s_waitcnt vmcnt(21)
	v_fma_f64 v[153:154], v[4:5], v[143:144], -v[153:154]
	v_fma_f64 v[143:144], v[6:7], v[143:144], v[151:152]
	ds_read_b128 v[4:7], v8 offset:1808
	v_add_f64 v[131:132], v[131:132], v[157:158]
	v_add_f64 v[129:130], v[129:130], v[133:134]
	s_waitcnt vmcnt(17) lgkmcnt(1)
	v_mul_f64 v[133:134], v[125:126], v[137:138]
	v_mul_f64 v[137:138], v[127:128], v[137:138]
	s_waitcnt vmcnt(16)
	v_fma_f64 v[145:146], v[0:1], v[197:198], -v[145:146]
	;; [unrolled: 9-line block ×3, first 2 shown]
	v_fma_f64 v[133:134], v[127:128], v[141:142], v[133:134]
	ds_read_b128 v[125:128], v8 offset:1840
	v_add_f64 v[131:132], v[131:132], v[145:146]
	v_add_f64 v[129:130], v[129:130], v[135:136]
	s_waitcnt vmcnt(9) lgkmcnt(1)
	v_mul_f64 v[141:142], v[2:3], v[149:150]
	s_waitcnt vmcnt(8)
	v_fma_f64 v[4:5], v[4:5], v[201:202], -v[151:152]
	v_mul_f64 v[135:136], v[0:1], v[149:150]
	v_fma_f64 v[6:7], v[6:7], v[201:202], v[143:144]
	v_add_f64 v[131:132], v[131:132], v[137:138]
	v_add_f64 v[129:130], v[129:130], v[133:134]
	s_waitcnt vmcnt(7) lgkmcnt(0)
	v_mul_f64 v[137:138], v[127:128], v[189:190]
	v_mul_f64 v[133:134], v[125:126], v[189:190]
	s_waitcnt vmcnt(5)
	v_fma_f64 v[0:1], v[0:1], v[147:148], -v[141:142]
	v_fma_f64 v[2:3], v[2:3], v[147:148], v[135:136]
	v_add_f64 v[4:5], v[131:132], v[4:5]
	v_add_f64 v[6:7], v[129:130], v[6:7]
	s_waitcnt vmcnt(4)
	v_fma_f64 v[125:126], v[125:126], v[203:204], -v[137:138]
	v_add_f64 v[0:1], v[4:5], v[0:1]
	v_fma_f64 v[4:5], v[127:128], v[203:204], v[133:134]
	v_add_f64 v[2:3], v[6:7], v[2:3]
	v_add_f64 v[0:1], v[0:1], v[125:126]
	;; [unrolled: 1-line block ×3, first 2 shown]
	s_waitcnt vmcnt(2)
	v_add_f64 v[0:1], v[139:140], -v[0:1]
	s_waitcnt vmcnt(0)
	v_add_f64 v[2:3], v[155:156], -v[2:3]
	buffer_store_dword v1, off, s[0:3], 0 offset:20
	buffer_store_dword v0, off, s[0:3], 0 offset:16
	;; [unrolled: 1-line block ×4, first 2 shown]
	s_cbranch_vccz .LBB121_476
; %bb.362:
	global_load_dword v0, v8, s[12:13] offset:224
	s_waitcnt vmcnt(0)
	v_add_nc_u32_e32 v0, -1, v0
	v_cmp_ne_u32_e32 vcc_lo, 56, v0
	s_cbranch_vccz .LBB121_364
; %bb.363:
	v_lshlrev_b32_e32 v0, 4, v0
	v_mov_b32_e32 v1, s9
	v_add_nc_u32_e32 v0, 16, v0
	s_clause 0x7
	buffer_load_dword v2, v0, s[0:3], 0 offen
	buffer_load_dword v3, v0, s[0:3], 0 offen offset:4
	buffer_load_dword v4, v0, s[0:3], 0 offen offset:8
	;; [unrolled: 1-line block ×6, first 2 shown]
	buffer_load_dword v125, v1, s[0:3], 0 offen
	s_waitcnt vmcnt(7)
	buffer_store_dword v2, v1, s[0:3], 0 offen
	s_waitcnt vmcnt(6)
	buffer_store_dword v3, v1, s[0:3], 0 offen offset:4
	s_waitcnt vmcnt(5)
	buffer_store_dword v4, v1, s[0:3], 0 offen offset:8
	;; [unrolled: 2-line block ×6, first 2 shown]
	s_waitcnt vmcnt(0)
	buffer_store_dword v125, v0, s[0:3], 0 offen
.LBB121_364:
	v_mov_b32_e32 v0, 0
	global_load_dword v1, v0, s[12:13] offset:220
	s_waitcnt vmcnt(0)
	v_add_nc_u32_e32 v1, -1, v1
	v_cmp_eq_u32_e32 vcc_lo, 55, v1
	s_cbranch_vccnz .LBB121_366
; %bb.365:
	v_lshlrev_b32_e32 v1, 4, v1
	v_mov_b32_e32 v2, s14
	v_add_nc_u32_e32 v1, 16, v1
	s_clause 0x7
	buffer_load_dword v3, v1, s[0:3], 0 offen
	buffer_load_dword v4, v1, s[0:3], 0 offen offset:4
	buffer_load_dword v5, v1, s[0:3], 0 offen offset:8
	;; [unrolled: 1-line block ×6, first 2 shown]
	buffer_load_dword v126, v2, s[0:3], 0 offen
	s_waitcnt vmcnt(7)
	buffer_store_dword v3, v2, s[0:3], 0 offen
	s_waitcnt vmcnt(6)
	buffer_store_dword v4, v2, s[0:3], 0 offen offset:4
	s_waitcnt vmcnt(5)
	buffer_store_dword v5, v2, s[0:3], 0 offen offset:8
	;; [unrolled: 2-line block ×6, first 2 shown]
	s_waitcnt vmcnt(0)
	buffer_store_dword v126, v1, s[0:3], 0 offen
.LBB121_366:
	global_load_dword v0, v0, s[12:13] offset:216
	s_waitcnt vmcnt(0)
	v_add_nc_u32_e32 v0, -1, v0
	v_cmp_eq_u32_e32 vcc_lo, 54, v0
	s_cbranch_vccnz .LBB121_368
; %bb.367:
	v_lshlrev_b32_e32 v0, 4, v0
	v_mov_b32_e32 v1, s15
	v_add_nc_u32_e32 v0, 16, v0
	s_clause 0x7
	buffer_load_dword v2, v0, s[0:3], 0 offen
	buffer_load_dword v3, v0, s[0:3], 0 offen offset:4
	buffer_load_dword v4, v0, s[0:3], 0 offen offset:8
	;; [unrolled: 1-line block ×6, first 2 shown]
	buffer_load_dword v125, v1, s[0:3], 0 offen
	s_waitcnt vmcnt(7)
	buffer_store_dword v2, v1, s[0:3], 0 offen
	s_waitcnt vmcnt(6)
	buffer_store_dword v3, v1, s[0:3], 0 offen offset:4
	s_waitcnt vmcnt(5)
	buffer_store_dword v4, v1, s[0:3], 0 offen offset:8
	;; [unrolled: 2-line block ×6, first 2 shown]
	s_waitcnt vmcnt(0)
	buffer_store_dword v125, v0, s[0:3], 0 offen
.LBB121_368:
	v_mov_b32_e32 v0, 0
	global_load_dword v1, v0, s[12:13] offset:212
	s_waitcnt vmcnt(0)
	v_add_nc_u32_e32 v1, -1, v1
	v_cmp_eq_u32_e32 vcc_lo, 53, v1
	s_cbranch_vccnz .LBB121_370
; %bb.369:
	v_lshlrev_b32_e32 v1, 4, v1
	v_mov_b32_e32 v2, s16
	v_add_nc_u32_e32 v1, 16, v1
	s_clause 0x7
	buffer_load_dword v3, v1, s[0:3], 0 offen
	buffer_load_dword v4, v1, s[0:3], 0 offen offset:4
	buffer_load_dword v5, v1, s[0:3], 0 offen offset:8
	;; [unrolled: 1-line block ×6, first 2 shown]
	buffer_load_dword v126, v2, s[0:3], 0 offen
	s_waitcnt vmcnt(7)
	buffer_store_dword v3, v2, s[0:3], 0 offen
	s_waitcnt vmcnt(6)
	buffer_store_dword v4, v2, s[0:3], 0 offen offset:4
	s_waitcnt vmcnt(5)
	buffer_store_dword v5, v2, s[0:3], 0 offen offset:8
	;; [unrolled: 2-line block ×6, first 2 shown]
	s_waitcnt vmcnt(0)
	buffer_store_dword v126, v1, s[0:3], 0 offen
.LBB121_370:
	global_load_dword v0, v0, s[12:13] offset:208
	s_waitcnt vmcnt(0)
	v_add_nc_u32_e32 v0, -1, v0
	v_cmp_eq_u32_e32 vcc_lo, 52, v0
	s_cbranch_vccnz .LBB121_372
; %bb.371:
	v_lshlrev_b32_e32 v0, 4, v0
	v_mov_b32_e32 v1, s17
	v_add_nc_u32_e32 v0, 16, v0
	s_clause 0x7
	buffer_load_dword v2, v0, s[0:3], 0 offen
	buffer_load_dword v3, v0, s[0:3], 0 offen offset:4
	buffer_load_dword v4, v0, s[0:3], 0 offen offset:8
	;; [unrolled: 1-line block ×6, first 2 shown]
	buffer_load_dword v125, v1, s[0:3], 0 offen
	s_waitcnt vmcnt(7)
	buffer_store_dword v2, v1, s[0:3], 0 offen
	s_waitcnt vmcnt(6)
	buffer_store_dword v3, v1, s[0:3], 0 offen offset:4
	s_waitcnt vmcnt(5)
	buffer_store_dword v4, v1, s[0:3], 0 offen offset:8
	;; [unrolled: 2-line block ×6, first 2 shown]
	s_waitcnt vmcnt(0)
	buffer_store_dword v125, v0, s[0:3], 0 offen
.LBB121_372:
	v_mov_b32_e32 v0, 0
	global_load_dword v1, v0, s[12:13] offset:204
	s_waitcnt vmcnt(0)
	v_add_nc_u32_e32 v1, -1, v1
	v_cmp_eq_u32_e32 vcc_lo, 51, v1
	s_cbranch_vccnz .LBB121_374
; %bb.373:
	v_lshlrev_b32_e32 v1, 4, v1
	v_mov_b32_e32 v2, s18
	v_add_nc_u32_e32 v1, 16, v1
	s_clause 0x7
	buffer_load_dword v3, v1, s[0:3], 0 offen
	buffer_load_dword v4, v1, s[0:3], 0 offen offset:4
	buffer_load_dword v5, v1, s[0:3], 0 offen offset:8
	;; [unrolled: 1-line block ×6, first 2 shown]
	buffer_load_dword v126, v2, s[0:3], 0 offen
	s_waitcnt vmcnt(7)
	buffer_store_dword v3, v2, s[0:3], 0 offen
	s_waitcnt vmcnt(6)
	buffer_store_dword v4, v2, s[0:3], 0 offen offset:4
	s_waitcnt vmcnt(5)
	buffer_store_dword v5, v2, s[0:3], 0 offen offset:8
	;; [unrolled: 2-line block ×6, first 2 shown]
	s_waitcnt vmcnt(0)
	buffer_store_dword v126, v1, s[0:3], 0 offen
.LBB121_374:
	global_load_dword v0, v0, s[12:13] offset:200
	s_waitcnt vmcnt(0)
	v_add_nc_u32_e32 v0, -1, v0
	v_cmp_eq_u32_e32 vcc_lo, 50, v0
	s_cbranch_vccnz .LBB121_376
; %bb.375:
	v_lshlrev_b32_e32 v0, 4, v0
	v_mov_b32_e32 v1, s19
	v_add_nc_u32_e32 v0, 16, v0
	s_clause 0x7
	buffer_load_dword v2, v0, s[0:3], 0 offen
	buffer_load_dword v3, v0, s[0:3], 0 offen offset:4
	buffer_load_dword v4, v0, s[0:3], 0 offen offset:8
	;; [unrolled: 1-line block ×6, first 2 shown]
	buffer_load_dword v125, v1, s[0:3], 0 offen
	s_waitcnt vmcnt(7)
	buffer_store_dword v2, v1, s[0:3], 0 offen
	s_waitcnt vmcnt(6)
	buffer_store_dword v3, v1, s[0:3], 0 offen offset:4
	s_waitcnt vmcnt(5)
	buffer_store_dword v4, v1, s[0:3], 0 offen offset:8
	;; [unrolled: 2-line block ×6, first 2 shown]
	s_waitcnt vmcnt(0)
	buffer_store_dword v125, v0, s[0:3], 0 offen
.LBB121_376:
	v_mov_b32_e32 v0, 0
	global_load_dword v1, v0, s[12:13] offset:196
	s_waitcnt vmcnt(0)
	v_add_nc_u32_e32 v1, -1, v1
	v_cmp_eq_u32_e32 vcc_lo, 49, v1
	s_cbranch_vccnz .LBB121_378
; %bb.377:
	v_lshlrev_b32_e32 v1, 4, v1
	v_mov_b32_e32 v2, s20
	v_add_nc_u32_e32 v1, 16, v1
	s_clause 0x7
	buffer_load_dword v3, v1, s[0:3], 0 offen
	buffer_load_dword v4, v1, s[0:3], 0 offen offset:4
	buffer_load_dword v5, v1, s[0:3], 0 offen offset:8
	;; [unrolled: 1-line block ×6, first 2 shown]
	buffer_load_dword v126, v2, s[0:3], 0 offen
	s_waitcnt vmcnt(7)
	buffer_store_dword v3, v2, s[0:3], 0 offen
	s_waitcnt vmcnt(6)
	buffer_store_dword v4, v2, s[0:3], 0 offen offset:4
	s_waitcnt vmcnt(5)
	buffer_store_dword v5, v2, s[0:3], 0 offen offset:8
	;; [unrolled: 2-line block ×6, first 2 shown]
	s_waitcnt vmcnt(0)
	buffer_store_dword v126, v1, s[0:3], 0 offen
.LBB121_378:
	global_load_dword v0, v0, s[12:13] offset:192
	s_waitcnt vmcnt(0)
	v_add_nc_u32_e32 v0, -1, v0
	v_cmp_eq_u32_e32 vcc_lo, 48, v0
	s_cbranch_vccnz .LBB121_380
; %bb.379:
	v_lshlrev_b32_e32 v0, 4, v0
	v_mov_b32_e32 v1, s21
	v_add_nc_u32_e32 v0, 16, v0
	s_clause 0x7
	buffer_load_dword v2, v0, s[0:3], 0 offen
	buffer_load_dword v3, v0, s[0:3], 0 offen offset:4
	buffer_load_dword v4, v0, s[0:3], 0 offen offset:8
	;; [unrolled: 1-line block ×6, first 2 shown]
	buffer_load_dword v125, v1, s[0:3], 0 offen
	s_waitcnt vmcnt(7)
	buffer_store_dword v2, v1, s[0:3], 0 offen
	s_waitcnt vmcnt(6)
	buffer_store_dword v3, v1, s[0:3], 0 offen offset:4
	s_waitcnt vmcnt(5)
	buffer_store_dword v4, v1, s[0:3], 0 offen offset:8
	;; [unrolled: 2-line block ×6, first 2 shown]
	s_waitcnt vmcnt(0)
	buffer_store_dword v125, v0, s[0:3], 0 offen
.LBB121_380:
	v_mov_b32_e32 v0, 0
	global_load_dword v1, v0, s[12:13] offset:188
	s_waitcnt vmcnt(0)
	v_add_nc_u32_e32 v1, -1, v1
	v_cmp_eq_u32_e32 vcc_lo, 47, v1
	s_cbranch_vccnz .LBB121_382
; %bb.381:
	v_lshlrev_b32_e32 v1, 4, v1
	v_mov_b32_e32 v2, s22
	v_add_nc_u32_e32 v1, 16, v1
	s_clause 0x7
	buffer_load_dword v3, v1, s[0:3], 0 offen
	buffer_load_dword v4, v1, s[0:3], 0 offen offset:4
	buffer_load_dword v5, v1, s[0:3], 0 offen offset:8
	;; [unrolled: 1-line block ×6, first 2 shown]
	buffer_load_dword v126, v2, s[0:3], 0 offen
	s_waitcnt vmcnt(7)
	buffer_store_dword v3, v2, s[0:3], 0 offen
	s_waitcnt vmcnt(6)
	buffer_store_dword v4, v2, s[0:3], 0 offen offset:4
	s_waitcnt vmcnt(5)
	buffer_store_dword v5, v2, s[0:3], 0 offen offset:8
	;; [unrolled: 2-line block ×6, first 2 shown]
	s_waitcnt vmcnt(0)
	buffer_store_dword v126, v1, s[0:3], 0 offen
.LBB121_382:
	global_load_dword v0, v0, s[12:13] offset:184
	s_waitcnt vmcnt(0)
	v_add_nc_u32_e32 v0, -1, v0
	v_cmp_eq_u32_e32 vcc_lo, 46, v0
	s_cbranch_vccnz .LBB121_384
; %bb.383:
	v_lshlrev_b32_e32 v0, 4, v0
	v_mov_b32_e32 v1, s23
	v_add_nc_u32_e32 v0, 16, v0
	s_clause 0x7
	buffer_load_dword v2, v0, s[0:3], 0 offen
	buffer_load_dword v3, v0, s[0:3], 0 offen offset:4
	buffer_load_dword v4, v0, s[0:3], 0 offen offset:8
	;; [unrolled: 1-line block ×6, first 2 shown]
	buffer_load_dword v125, v1, s[0:3], 0 offen
	s_waitcnt vmcnt(7)
	buffer_store_dword v2, v1, s[0:3], 0 offen
	s_waitcnt vmcnt(6)
	buffer_store_dword v3, v1, s[0:3], 0 offen offset:4
	s_waitcnt vmcnt(5)
	buffer_store_dword v4, v1, s[0:3], 0 offen offset:8
	;; [unrolled: 2-line block ×6, first 2 shown]
	s_waitcnt vmcnt(0)
	buffer_store_dword v125, v0, s[0:3], 0 offen
.LBB121_384:
	v_mov_b32_e32 v0, 0
	global_load_dword v1, v0, s[12:13] offset:180
	s_waitcnt vmcnt(0)
	v_add_nc_u32_e32 v1, -1, v1
	v_cmp_eq_u32_e32 vcc_lo, 45, v1
	s_cbranch_vccnz .LBB121_386
; %bb.385:
	v_lshlrev_b32_e32 v1, 4, v1
	v_mov_b32_e32 v2, s24
	v_add_nc_u32_e32 v1, 16, v1
	s_clause 0x7
	buffer_load_dword v3, v1, s[0:3], 0 offen
	buffer_load_dword v4, v1, s[0:3], 0 offen offset:4
	buffer_load_dword v5, v1, s[0:3], 0 offen offset:8
	;; [unrolled: 1-line block ×6, first 2 shown]
	buffer_load_dword v126, v2, s[0:3], 0 offen
	s_waitcnt vmcnt(7)
	buffer_store_dword v3, v2, s[0:3], 0 offen
	s_waitcnt vmcnt(6)
	buffer_store_dword v4, v2, s[0:3], 0 offen offset:4
	s_waitcnt vmcnt(5)
	buffer_store_dword v5, v2, s[0:3], 0 offen offset:8
	;; [unrolled: 2-line block ×6, first 2 shown]
	s_waitcnt vmcnt(0)
	buffer_store_dword v126, v1, s[0:3], 0 offen
.LBB121_386:
	global_load_dword v0, v0, s[12:13] offset:176
	s_waitcnt vmcnt(0)
	v_add_nc_u32_e32 v0, -1, v0
	v_cmp_eq_u32_e32 vcc_lo, 44, v0
	s_cbranch_vccnz .LBB121_388
; %bb.387:
	v_lshlrev_b32_e32 v0, 4, v0
	v_mov_b32_e32 v1, s25
	v_add_nc_u32_e32 v0, 16, v0
	s_clause 0x7
	buffer_load_dword v2, v0, s[0:3], 0 offen
	buffer_load_dword v3, v0, s[0:3], 0 offen offset:4
	buffer_load_dword v4, v0, s[0:3], 0 offen offset:8
	;; [unrolled: 1-line block ×6, first 2 shown]
	buffer_load_dword v125, v1, s[0:3], 0 offen
	s_waitcnt vmcnt(7)
	buffer_store_dword v2, v1, s[0:3], 0 offen
	s_waitcnt vmcnt(6)
	buffer_store_dword v3, v1, s[0:3], 0 offen offset:4
	s_waitcnt vmcnt(5)
	buffer_store_dword v4, v1, s[0:3], 0 offen offset:8
	;; [unrolled: 2-line block ×6, first 2 shown]
	s_waitcnt vmcnt(0)
	buffer_store_dword v125, v0, s[0:3], 0 offen
.LBB121_388:
	v_mov_b32_e32 v0, 0
	global_load_dword v1, v0, s[12:13] offset:172
	s_waitcnt vmcnt(0)
	v_add_nc_u32_e32 v1, -1, v1
	v_cmp_eq_u32_e32 vcc_lo, 43, v1
	s_cbranch_vccnz .LBB121_390
; %bb.389:
	v_lshlrev_b32_e32 v1, 4, v1
	v_mov_b32_e32 v2, s26
	v_add_nc_u32_e32 v1, 16, v1
	s_clause 0x7
	buffer_load_dword v3, v1, s[0:3], 0 offen
	buffer_load_dword v4, v1, s[0:3], 0 offen offset:4
	buffer_load_dword v5, v1, s[0:3], 0 offen offset:8
	;; [unrolled: 1-line block ×6, first 2 shown]
	buffer_load_dword v126, v2, s[0:3], 0 offen
	s_waitcnt vmcnt(7)
	buffer_store_dword v3, v2, s[0:3], 0 offen
	s_waitcnt vmcnt(6)
	buffer_store_dword v4, v2, s[0:3], 0 offen offset:4
	s_waitcnt vmcnt(5)
	buffer_store_dword v5, v2, s[0:3], 0 offen offset:8
	;; [unrolled: 2-line block ×6, first 2 shown]
	s_waitcnt vmcnt(0)
	buffer_store_dword v126, v1, s[0:3], 0 offen
.LBB121_390:
	global_load_dword v0, v0, s[12:13] offset:168
	s_waitcnt vmcnt(0)
	v_add_nc_u32_e32 v0, -1, v0
	v_cmp_eq_u32_e32 vcc_lo, 42, v0
	s_cbranch_vccnz .LBB121_392
; %bb.391:
	v_lshlrev_b32_e32 v0, 4, v0
	v_mov_b32_e32 v1, s27
	v_add_nc_u32_e32 v0, 16, v0
	s_clause 0x7
	buffer_load_dword v2, v0, s[0:3], 0 offen
	buffer_load_dword v3, v0, s[0:3], 0 offen offset:4
	buffer_load_dword v4, v0, s[0:3], 0 offen offset:8
	;; [unrolled: 1-line block ×6, first 2 shown]
	buffer_load_dword v125, v1, s[0:3], 0 offen
	s_waitcnt vmcnt(7)
	buffer_store_dword v2, v1, s[0:3], 0 offen
	s_waitcnt vmcnt(6)
	buffer_store_dword v3, v1, s[0:3], 0 offen offset:4
	s_waitcnt vmcnt(5)
	buffer_store_dword v4, v1, s[0:3], 0 offen offset:8
	;; [unrolled: 2-line block ×6, first 2 shown]
	s_waitcnt vmcnt(0)
	buffer_store_dword v125, v0, s[0:3], 0 offen
.LBB121_392:
	v_mov_b32_e32 v0, 0
	global_load_dword v1, v0, s[12:13] offset:164
	s_waitcnt vmcnt(0)
	v_add_nc_u32_e32 v1, -1, v1
	v_cmp_eq_u32_e32 vcc_lo, 41, v1
	s_cbranch_vccnz .LBB121_394
; %bb.393:
	v_lshlrev_b32_e32 v1, 4, v1
	v_mov_b32_e32 v2, s28
	v_add_nc_u32_e32 v1, 16, v1
	s_clause 0x7
	buffer_load_dword v3, v1, s[0:3], 0 offen
	buffer_load_dword v4, v1, s[0:3], 0 offen offset:4
	buffer_load_dword v5, v1, s[0:3], 0 offen offset:8
	;; [unrolled: 1-line block ×6, first 2 shown]
	buffer_load_dword v126, v2, s[0:3], 0 offen
	s_waitcnt vmcnt(7)
	buffer_store_dword v3, v2, s[0:3], 0 offen
	s_waitcnt vmcnt(6)
	buffer_store_dword v4, v2, s[0:3], 0 offen offset:4
	s_waitcnt vmcnt(5)
	buffer_store_dword v5, v2, s[0:3], 0 offen offset:8
	s_waitcnt vmcnt(4)
	buffer_store_dword v6, v2, s[0:3], 0 offen offset:12
	s_waitcnt vmcnt(3)
	buffer_store_dword v7, v1, s[0:3], 0 offen offset:12
	s_waitcnt vmcnt(2)
	buffer_store_dword v8, v1, s[0:3], 0 offen offset:8
	s_waitcnt vmcnt(1)
	buffer_store_dword v125, v1, s[0:3], 0 offen offset:4
	s_waitcnt vmcnt(0)
	buffer_store_dword v126, v1, s[0:3], 0 offen
.LBB121_394:
	global_load_dword v0, v0, s[12:13] offset:160
	s_waitcnt vmcnt(0)
	v_add_nc_u32_e32 v0, -1, v0
	v_cmp_eq_u32_e32 vcc_lo, 40, v0
	s_cbranch_vccnz .LBB121_396
; %bb.395:
	v_lshlrev_b32_e32 v0, 4, v0
	v_mov_b32_e32 v1, s29
	v_add_nc_u32_e32 v0, 16, v0
	s_clause 0x7
	buffer_load_dword v2, v0, s[0:3], 0 offen
	buffer_load_dword v3, v0, s[0:3], 0 offen offset:4
	buffer_load_dword v4, v0, s[0:3], 0 offen offset:8
	;; [unrolled: 1-line block ×6, first 2 shown]
	buffer_load_dword v125, v1, s[0:3], 0 offen
	s_waitcnt vmcnt(7)
	buffer_store_dword v2, v1, s[0:3], 0 offen
	s_waitcnt vmcnt(6)
	buffer_store_dword v3, v1, s[0:3], 0 offen offset:4
	s_waitcnt vmcnt(5)
	buffer_store_dword v4, v1, s[0:3], 0 offen offset:8
	;; [unrolled: 2-line block ×6, first 2 shown]
	s_waitcnt vmcnt(0)
	buffer_store_dword v125, v0, s[0:3], 0 offen
.LBB121_396:
	v_mov_b32_e32 v0, 0
	global_load_dword v1, v0, s[12:13] offset:156
	s_waitcnt vmcnt(0)
	v_add_nc_u32_e32 v1, -1, v1
	v_cmp_eq_u32_e32 vcc_lo, 39, v1
	s_cbranch_vccnz .LBB121_398
; %bb.397:
	v_lshlrev_b32_e32 v1, 4, v1
	v_mov_b32_e32 v2, s30
	v_add_nc_u32_e32 v1, 16, v1
	s_clause 0x7
	buffer_load_dword v3, v1, s[0:3], 0 offen
	buffer_load_dword v4, v1, s[0:3], 0 offen offset:4
	buffer_load_dword v5, v1, s[0:3], 0 offen offset:8
	;; [unrolled: 1-line block ×6, first 2 shown]
	buffer_load_dword v126, v2, s[0:3], 0 offen
	s_waitcnt vmcnt(7)
	buffer_store_dword v3, v2, s[0:3], 0 offen
	s_waitcnt vmcnt(6)
	buffer_store_dword v4, v2, s[0:3], 0 offen offset:4
	s_waitcnt vmcnt(5)
	buffer_store_dword v5, v2, s[0:3], 0 offen offset:8
	;; [unrolled: 2-line block ×6, first 2 shown]
	s_waitcnt vmcnt(0)
	buffer_store_dword v126, v1, s[0:3], 0 offen
.LBB121_398:
	global_load_dword v0, v0, s[12:13] offset:152
	s_waitcnt vmcnt(0)
	v_add_nc_u32_e32 v0, -1, v0
	v_cmp_eq_u32_e32 vcc_lo, 38, v0
	s_cbranch_vccnz .LBB121_400
; %bb.399:
	v_lshlrev_b32_e32 v0, 4, v0
	v_mov_b32_e32 v1, s31
	v_add_nc_u32_e32 v0, 16, v0
	s_clause 0x7
	buffer_load_dword v2, v0, s[0:3], 0 offen
	buffer_load_dword v3, v0, s[0:3], 0 offen offset:4
	buffer_load_dword v4, v0, s[0:3], 0 offen offset:8
	;; [unrolled: 1-line block ×6, first 2 shown]
	buffer_load_dword v125, v1, s[0:3], 0 offen
	s_waitcnt vmcnt(7)
	buffer_store_dword v2, v1, s[0:3], 0 offen
	s_waitcnt vmcnt(6)
	buffer_store_dword v3, v1, s[0:3], 0 offen offset:4
	s_waitcnt vmcnt(5)
	buffer_store_dword v4, v1, s[0:3], 0 offen offset:8
	;; [unrolled: 2-line block ×6, first 2 shown]
	s_waitcnt vmcnt(0)
	buffer_store_dword v125, v0, s[0:3], 0 offen
.LBB121_400:
	v_mov_b32_e32 v0, 0
	global_load_dword v1, v0, s[12:13] offset:148
	s_waitcnt vmcnt(0)
	v_add_nc_u32_e32 v1, -1, v1
	v_cmp_eq_u32_e32 vcc_lo, 37, v1
	s_cbranch_vccnz .LBB121_402
; %bb.401:
	v_lshlrev_b32_e32 v1, 4, v1
	v_mov_b32_e32 v2, s33
	v_add_nc_u32_e32 v1, 16, v1
	s_clause 0x7
	buffer_load_dword v3, v1, s[0:3], 0 offen
	buffer_load_dword v4, v1, s[0:3], 0 offen offset:4
	buffer_load_dword v5, v1, s[0:3], 0 offen offset:8
	;; [unrolled: 1-line block ×6, first 2 shown]
	buffer_load_dword v126, v2, s[0:3], 0 offen
	s_waitcnt vmcnt(7)
	buffer_store_dword v3, v2, s[0:3], 0 offen
	s_waitcnt vmcnt(6)
	buffer_store_dword v4, v2, s[0:3], 0 offen offset:4
	s_waitcnt vmcnt(5)
	buffer_store_dword v5, v2, s[0:3], 0 offen offset:8
	;; [unrolled: 2-line block ×6, first 2 shown]
	s_waitcnt vmcnt(0)
	buffer_store_dword v126, v1, s[0:3], 0 offen
.LBB121_402:
	global_load_dword v0, v0, s[12:13] offset:144
	s_waitcnt vmcnt(0)
	v_add_nc_u32_e32 v0, -1, v0
	v_cmp_eq_u32_e32 vcc_lo, 36, v0
	s_cbranch_vccnz .LBB121_404
; %bb.403:
	v_lshlrev_b32_e32 v0, 4, v0
	v_mov_b32_e32 v1, s34
	v_add_nc_u32_e32 v0, 16, v0
	s_clause 0x7
	buffer_load_dword v2, v0, s[0:3], 0 offen
	buffer_load_dword v3, v0, s[0:3], 0 offen offset:4
	buffer_load_dword v4, v0, s[0:3], 0 offen offset:8
	;; [unrolled: 1-line block ×6, first 2 shown]
	buffer_load_dword v125, v1, s[0:3], 0 offen
	s_waitcnt vmcnt(7)
	buffer_store_dword v2, v1, s[0:3], 0 offen
	s_waitcnt vmcnt(6)
	buffer_store_dword v3, v1, s[0:3], 0 offen offset:4
	s_waitcnt vmcnt(5)
	buffer_store_dword v4, v1, s[0:3], 0 offen offset:8
	;; [unrolled: 2-line block ×6, first 2 shown]
	s_waitcnt vmcnt(0)
	buffer_store_dword v125, v0, s[0:3], 0 offen
.LBB121_404:
	v_mov_b32_e32 v0, 0
	global_load_dword v1, v0, s[12:13] offset:140
	s_waitcnt vmcnt(0)
	v_add_nc_u32_e32 v1, -1, v1
	v_cmp_eq_u32_e32 vcc_lo, 35, v1
	s_cbranch_vccnz .LBB121_406
; %bb.405:
	v_lshlrev_b32_e32 v1, 4, v1
	v_mov_b32_e32 v2, s35
	v_add_nc_u32_e32 v1, 16, v1
	s_clause 0x7
	buffer_load_dword v3, v1, s[0:3], 0 offen
	buffer_load_dword v4, v1, s[0:3], 0 offen offset:4
	buffer_load_dword v5, v1, s[0:3], 0 offen offset:8
	;; [unrolled: 1-line block ×6, first 2 shown]
	buffer_load_dword v126, v2, s[0:3], 0 offen
	s_waitcnt vmcnt(7)
	buffer_store_dword v3, v2, s[0:3], 0 offen
	s_waitcnt vmcnt(6)
	buffer_store_dword v4, v2, s[0:3], 0 offen offset:4
	s_waitcnt vmcnt(5)
	buffer_store_dword v5, v2, s[0:3], 0 offen offset:8
	;; [unrolled: 2-line block ×6, first 2 shown]
	s_waitcnt vmcnt(0)
	buffer_store_dword v126, v1, s[0:3], 0 offen
.LBB121_406:
	global_load_dword v0, v0, s[12:13] offset:136
	s_waitcnt vmcnt(0)
	v_add_nc_u32_e32 v0, -1, v0
	v_cmp_eq_u32_e32 vcc_lo, 34, v0
	s_cbranch_vccnz .LBB121_408
; %bb.407:
	v_lshlrev_b32_e32 v0, 4, v0
	v_mov_b32_e32 v1, s36
	v_add_nc_u32_e32 v0, 16, v0
	s_clause 0x7
	buffer_load_dword v2, v0, s[0:3], 0 offen
	buffer_load_dword v3, v0, s[0:3], 0 offen offset:4
	buffer_load_dword v4, v0, s[0:3], 0 offen offset:8
	;; [unrolled: 1-line block ×6, first 2 shown]
	buffer_load_dword v125, v1, s[0:3], 0 offen
	s_waitcnt vmcnt(7)
	buffer_store_dword v2, v1, s[0:3], 0 offen
	s_waitcnt vmcnt(6)
	buffer_store_dword v3, v1, s[0:3], 0 offen offset:4
	s_waitcnt vmcnt(5)
	buffer_store_dword v4, v1, s[0:3], 0 offen offset:8
	;; [unrolled: 2-line block ×6, first 2 shown]
	s_waitcnt vmcnt(0)
	buffer_store_dword v125, v0, s[0:3], 0 offen
.LBB121_408:
	v_mov_b32_e32 v0, 0
	global_load_dword v1, v0, s[12:13] offset:132
	s_waitcnt vmcnt(0)
	v_add_nc_u32_e32 v1, -1, v1
	v_cmp_eq_u32_e32 vcc_lo, 33, v1
	s_cbranch_vccnz .LBB121_410
; %bb.409:
	v_lshlrev_b32_e32 v1, 4, v1
	v_mov_b32_e32 v2, s37
	v_add_nc_u32_e32 v1, 16, v1
	s_clause 0x7
	buffer_load_dword v3, v1, s[0:3], 0 offen
	buffer_load_dword v4, v1, s[0:3], 0 offen offset:4
	buffer_load_dword v5, v1, s[0:3], 0 offen offset:8
	;; [unrolled: 1-line block ×6, first 2 shown]
	buffer_load_dword v126, v2, s[0:3], 0 offen
	s_waitcnt vmcnt(7)
	buffer_store_dword v3, v2, s[0:3], 0 offen
	s_waitcnt vmcnt(6)
	buffer_store_dword v4, v2, s[0:3], 0 offen offset:4
	s_waitcnt vmcnt(5)
	buffer_store_dword v5, v2, s[0:3], 0 offen offset:8
	;; [unrolled: 2-line block ×6, first 2 shown]
	s_waitcnt vmcnt(0)
	buffer_store_dword v126, v1, s[0:3], 0 offen
.LBB121_410:
	global_load_dword v0, v0, s[12:13] offset:128
	s_waitcnt vmcnt(0)
	v_add_nc_u32_e32 v0, -1, v0
	v_cmp_eq_u32_e32 vcc_lo, 32, v0
	s_cbranch_vccnz .LBB121_412
; %bb.411:
	v_lshlrev_b32_e32 v0, 4, v0
	v_mov_b32_e32 v1, s38
	v_add_nc_u32_e32 v0, 16, v0
	s_clause 0x7
	buffer_load_dword v2, v0, s[0:3], 0 offen
	buffer_load_dword v3, v0, s[0:3], 0 offen offset:4
	buffer_load_dword v4, v0, s[0:3], 0 offen offset:8
	;; [unrolled: 1-line block ×6, first 2 shown]
	buffer_load_dword v125, v1, s[0:3], 0 offen
	s_waitcnt vmcnt(7)
	buffer_store_dword v2, v1, s[0:3], 0 offen
	s_waitcnt vmcnt(6)
	buffer_store_dword v3, v1, s[0:3], 0 offen offset:4
	s_waitcnt vmcnt(5)
	buffer_store_dword v4, v1, s[0:3], 0 offen offset:8
	;; [unrolled: 2-line block ×6, first 2 shown]
	s_waitcnt vmcnt(0)
	buffer_store_dword v125, v0, s[0:3], 0 offen
.LBB121_412:
	v_mov_b32_e32 v0, 0
	global_load_dword v1, v0, s[12:13] offset:124
	s_waitcnt vmcnt(0)
	v_add_nc_u32_e32 v1, -1, v1
	v_cmp_eq_u32_e32 vcc_lo, 31, v1
	s_cbranch_vccnz .LBB121_414
; %bb.413:
	v_lshlrev_b32_e32 v1, 4, v1
	v_mov_b32_e32 v2, s39
	v_add_nc_u32_e32 v1, 16, v1
	s_clause 0x7
	buffer_load_dword v3, v1, s[0:3], 0 offen
	buffer_load_dword v4, v1, s[0:3], 0 offen offset:4
	buffer_load_dword v5, v1, s[0:3], 0 offen offset:8
	;; [unrolled: 1-line block ×6, first 2 shown]
	buffer_load_dword v126, v2, s[0:3], 0 offen
	s_waitcnt vmcnt(7)
	buffer_store_dword v3, v2, s[0:3], 0 offen
	s_waitcnt vmcnt(6)
	buffer_store_dword v4, v2, s[0:3], 0 offen offset:4
	s_waitcnt vmcnt(5)
	buffer_store_dword v5, v2, s[0:3], 0 offen offset:8
	;; [unrolled: 2-line block ×6, first 2 shown]
	s_waitcnt vmcnt(0)
	buffer_store_dword v126, v1, s[0:3], 0 offen
.LBB121_414:
	global_load_dword v0, v0, s[12:13] offset:120
	s_waitcnt vmcnt(0)
	v_add_nc_u32_e32 v0, -1, v0
	v_cmp_eq_u32_e32 vcc_lo, 30, v0
	s_cbranch_vccnz .LBB121_416
; %bb.415:
	v_lshlrev_b32_e32 v0, 4, v0
	v_mov_b32_e32 v1, s40
	v_add_nc_u32_e32 v0, 16, v0
	s_clause 0x7
	buffer_load_dword v2, v0, s[0:3], 0 offen
	buffer_load_dword v3, v0, s[0:3], 0 offen offset:4
	buffer_load_dword v4, v0, s[0:3], 0 offen offset:8
	;; [unrolled: 1-line block ×6, first 2 shown]
	buffer_load_dword v125, v1, s[0:3], 0 offen
	s_waitcnt vmcnt(7)
	buffer_store_dword v2, v1, s[0:3], 0 offen
	s_waitcnt vmcnt(6)
	buffer_store_dword v3, v1, s[0:3], 0 offen offset:4
	s_waitcnt vmcnt(5)
	buffer_store_dword v4, v1, s[0:3], 0 offen offset:8
	;; [unrolled: 2-line block ×6, first 2 shown]
	s_waitcnt vmcnt(0)
	buffer_store_dword v125, v0, s[0:3], 0 offen
.LBB121_416:
	v_mov_b32_e32 v0, 0
	global_load_dword v1, v0, s[12:13] offset:116
	s_waitcnt vmcnt(0)
	v_add_nc_u32_e32 v1, -1, v1
	v_cmp_eq_u32_e32 vcc_lo, 29, v1
	s_cbranch_vccnz .LBB121_418
; %bb.417:
	v_lshlrev_b32_e32 v1, 4, v1
	v_mov_b32_e32 v2, s41
	v_add_nc_u32_e32 v1, 16, v1
	s_clause 0x7
	buffer_load_dword v3, v1, s[0:3], 0 offen
	buffer_load_dword v4, v1, s[0:3], 0 offen offset:4
	buffer_load_dword v5, v1, s[0:3], 0 offen offset:8
	;; [unrolled: 1-line block ×6, first 2 shown]
	buffer_load_dword v126, v2, s[0:3], 0 offen
	s_waitcnt vmcnt(7)
	buffer_store_dword v3, v2, s[0:3], 0 offen
	s_waitcnt vmcnt(6)
	buffer_store_dword v4, v2, s[0:3], 0 offen offset:4
	s_waitcnt vmcnt(5)
	buffer_store_dword v5, v2, s[0:3], 0 offen offset:8
	;; [unrolled: 2-line block ×6, first 2 shown]
	s_waitcnt vmcnt(0)
	buffer_store_dword v126, v1, s[0:3], 0 offen
.LBB121_418:
	global_load_dword v0, v0, s[12:13] offset:112
	s_waitcnt vmcnt(0)
	v_add_nc_u32_e32 v0, -1, v0
	v_cmp_eq_u32_e32 vcc_lo, 28, v0
	s_cbranch_vccnz .LBB121_420
; %bb.419:
	v_lshlrev_b32_e32 v0, 4, v0
	v_mov_b32_e32 v1, s42
	v_add_nc_u32_e32 v0, 16, v0
	s_clause 0x7
	buffer_load_dword v2, v0, s[0:3], 0 offen
	buffer_load_dword v3, v0, s[0:3], 0 offen offset:4
	buffer_load_dword v4, v0, s[0:3], 0 offen offset:8
	buffer_load_dword v5, v0, s[0:3], 0 offen offset:12
	buffer_load_dword v6, v1, s[0:3], 0 offen offset:12
	buffer_load_dword v7, v1, s[0:3], 0 offen offset:8
	buffer_load_dword v8, v1, s[0:3], 0 offen offset:4
	buffer_load_dword v125, v1, s[0:3], 0 offen
	s_waitcnt vmcnt(7)
	buffer_store_dword v2, v1, s[0:3], 0 offen
	s_waitcnt vmcnt(6)
	buffer_store_dword v3, v1, s[0:3], 0 offen offset:4
	s_waitcnt vmcnt(5)
	buffer_store_dword v4, v1, s[0:3], 0 offen offset:8
	;; [unrolled: 2-line block ×6, first 2 shown]
	s_waitcnt vmcnt(0)
	buffer_store_dword v125, v0, s[0:3], 0 offen
.LBB121_420:
	v_mov_b32_e32 v0, 0
	global_load_dword v1, v0, s[12:13] offset:108
	s_waitcnt vmcnt(0)
	v_add_nc_u32_e32 v1, -1, v1
	v_cmp_eq_u32_e32 vcc_lo, 27, v1
	s_cbranch_vccnz .LBB121_422
; %bb.421:
	v_lshlrev_b32_e32 v1, 4, v1
	v_mov_b32_e32 v2, s43
	v_add_nc_u32_e32 v1, 16, v1
	s_clause 0x7
	buffer_load_dword v3, v1, s[0:3], 0 offen
	buffer_load_dword v4, v1, s[0:3], 0 offen offset:4
	buffer_load_dword v5, v1, s[0:3], 0 offen offset:8
	;; [unrolled: 1-line block ×6, first 2 shown]
	buffer_load_dword v126, v2, s[0:3], 0 offen
	s_waitcnt vmcnt(7)
	buffer_store_dword v3, v2, s[0:3], 0 offen
	s_waitcnt vmcnt(6)
	buffer_store_dword v4, v2, s[0:3], 0 offen offset:4
	s_waitcnt vmcnt(5)
	buffer_store_dword v5, v2, s[0:3], 0 offen offset:8
	;; [unrolled: 2-line block ×6, first 2 shown]
	s_waitcnt vmcnt(0)
	buffer_store_dword v126, v1, s[0:3], 0 offen
.LBB121_422:
	global_load_dword v0, v0, s[12:13] offset:104
	s_waitcnt vmcnt(0)
	v_add_nc_u32_e32 v0, -1, v0
	v_cmp_eq_u32_e32 vcc_lo, 26, v0
	s_cbranch_vccnz .LBB121_424
; %bb.423:
	v_lshlrev_b32_e32 v0, 4, v0
	v_mov_b32_e32 v1, s44
	v_add_nc_u32_e32 v0, 16, v0
	s_clause 0x7
	buffer_load_dword v2, v0, s[0:3], 0 offen
	buffer_load_dword v3, v0, s[0:3], 0 offen offset:4
	buffer_load_dword v4, v0, s[0:3], 0 offen offset:8
	;; [unrolled: 1-line block ×6, first 2 shown]
	buffer_load_dword v125, v1, s[0:3], 0 offen
	s_waitcnt vmcnt(7)
	buffer_store_dword v2, v1, s[0:3], 0 offen
	s_waitcnt vmcnt(6)
	buffer_store_dword v3, v1, s[0:3], 0 offen offset:4
	s_waitcnt vmcnt(5)
	buffer_store_dword v4, v1, s[0:3], 0 offen offset:8
	;; [unrolled: 2-line block ×6, first 2 shown]
	s_waitcnt vmcnt(0)
	buffer_store_dword v125, v0, s[0:3], 0 offen
.LBB121_424:
	v_mov_b32_e32 v0, 0
	global_load_dword v1, v0, s[12:13] offset:100
	s_waitcnt vmcnt(0)
	v_add_nc_u32_e32 v1, -1, v1
	v_cmp_eq_u32_e32 vcc_lo, 25, v1
	s_cbranch_vccnz .LBB121_426
; %bb.425:
	v_lshlrev_b32_e32 v1, 4, v1
	v_mov_b32_e32 v2, s45
	v_add_nc_u32_e32 v1, 16, v1
	s_clause 0x7
	buffer_load_dword v3, v1, s[0:3], 0 offen
	buffer_load_dword v4, v1, s[0:3], 0 offen offset:4
	buffer_load_dword v5, v1, s[0:3], 0 offen offset:8
	;; [unrolled: 1-line block ×6, first 2 shown]
	buffer_load_dword v126, v2, s[0:3], 0 offen
	s_waitcnt vmcnt(7)
	buffer_store_dword v3, v2, s[0:3], 0 offen
	s_waitcnt vmcnt(6)
	buffer_store_dword v4, v2, s[0:3], 0 offen offset:4
	s_waitcnt vmcnt(5)
	buffer_store_dword v5, v2, s[0:3], 0 offen offset:8
	;; [unrolled: 2-line block ×6, first 2 shown]
	s_waitcnt vmcnt(0)
	buffer_store_dword v126, v1, s[0:3], 0 offen
.LBB121_426:
	global_load_dword v0, v0, s[12:13] offset:96
	s_waitcnt vmcnt(0)
	v_add_nc_u32_e32 v0, -1, v0
	v_cmp_eq_u32_e32 vcc_lo, 24, v0
	s_cbranch_vccnz .LBB121_428
; %bb.427:
	v_lshlrev_b32_e32 v0, 4, v0
	v_mov_b32_e32 v1, s46
	v_add_nc_u32_e32 v0, 16, v0
	s_clause 0x7
	buffer_load_dword v2, v0, s[0:3], 0 offen
	buffer_load_dword v3, v0, s[0:3], 0 offen offset:4
	buffer_load_dword v4, v0, s[0:3], 0 offen offset:8
	buffer_load_dword v5, v0, s[0:3], 0 offen offset:12
	buffer_load_dword v6, v1, s[0:3], 0 offen offset:12
	buffer_load_dword v7, v1, s[0:3], 0 offen offset:8
	buffer_load_dword v8, v1, s[0:3], 0 offen offset:4
	buffer_load_dword v125, v1, s[0:3], 0 offen
	s_waitcnt vmcnt(7)
	buffer_store_dword v2, v1, s[0:3], 0 offen
	s_waitcnt vmcnt(6)
	buffer_store_dword v3, v1, s[0:3], 0 offen offset:4
	s_waitcnt vmcnt(5)
	buffer_store_dword v4, v1, s[0:3], 0 offen offset:8
	;; [unrolled: 2-line block ×6, first 2 shown]
	s_waitcnt vmcnt(0)
	buffer_store_dword v125, v0, s[0:3], 0 offen
.LBB121_428:
	v_mov_b32_e32 v0, 0
	global_load_dword v1, v0, s[12:13] offset:92
	s_waitcnt vmcnt(0)
	v_add_nc_u32_e32 v1, -1, v1
	v_cmp_eq_u32_e32 vcc_lo, 23, v1
	s_cbranch_vccnz .LBB121_430
; %bb.429:
	v_lshlrev_b32_e32 v1, 4, v1
	v_mov_b32_e32 v2, s47
	v_add_nc_u32_e32 v1, 16, v1
	s_clause 0x7
	buffer_load_dword v3, v1, s[0:3], 0 offen
	buffer_load_dword v4, v1, s[0:3], 0 offen offset:4
	buffer_load_dword v5, v1, s[0:3], 0 offen offset:8
	;; [unrolled: 1-line block ×6, first 2 shown]
	buffer_load_dword v126, v2, s[0:3], 0 offen
	s_waitcnt vmcnt(7)
	buffer_store_dword v3, v2, s[0:3], 0 offen
	s_waitcnt vmcnt(6)
	buffer_store_dword v4, v2, s[0:3], 0 offen offset:4
	s_waitcnt vmcnt(5)
	buffer_store_dword v5, v2, s[0:3], 0 offen offset:8
	;; [unrolled: 2-line block ×6, first 2 shown]
	s_waitcnt vmcnt(0)
	buffer_store_dword v126, v1, s[0:3], 0 offen
.LBB121_430:
	global_load_dword v0, v0, s[12:13] offset:88
	s_waitcnt vmcnt(0)
	v_add_nc_u32_e32 v0, -1, v0
	v_cmp_eq_u32_e32 vcc_lo, 22, v0
	s_cbranch_vccnz .LBB121_432
; %bb.431:
	v_lshlrev_b32_e32 v0, 4, v0
	v_mov_b32_e32 v1, s48
	v_add_nc_u32_e32 v0, 16, v0
	s_clause 0x7
	buffer_load_dword v2, v0, s[0:3], 0 offen
	buffer_load_dword v3, v0, s[0:3], 0 offen offset:4
	buffer_load_dword v4, v0, s[0:3], 0 offen offset:8
	;; [unrolled: 1-line block ×6, first 2 shown]
	buffer_load_dword v125, v1, s[0:3], 0 offen
	s_waitcnt vmcnt(7)
	buffer_store_dword v2, v1, s[0:3], 0 offen
	s_waitcnt vmcnt(6)
	buffer_store_dword v3, v1, s[0:3], 0 offen offset:4
	s_waitcnt vmcnt(5)
	buffer_store_dword v4, v1, s[0:3], 0 offen offset:8
	;; [unrolled: 2-line block ×6, first 2 shown]
	s_waitcnt vmcnt(0)
	buffer_store_dword v125, v0, s[0:3], 0 offen
.LBB121_432:
	v_mov_b32_e32 v0, 0
	global_load_dword v1, v0, s[12:13] offset:84
	s_waitcnt vmcnt(0)
	v_add_nc_u32_e32 v1, -1, v1
	v_cmp_eq_u32_e32 vcc_lo, 21, v1
	s_cbranch_vccnz .LBB121_434
; %bb.433:
	v_lshlrev_b32_e32 v1, 4, v1
	v_mov_b32_e32 v2, s49
	v_add_nc_u32_e32 v1, 16, v1
	s_clause 0x7
	buffer_load_dword v3, v1, s[0:3], 0 offen
	buffer_load_dword v4, v1, s[0:3], 0 offen offset:4
	buffer_load_dword v5, v1, s[0:3], 0 offen offset:8
	;; [unrolled: 1-line block ×6, first 2 shown]
	buffer_load_dword v126, v2, s[0:3], 0 offen
	s_waitcnt vmcnt(7)
	buffer_store_dword v3, v2, s[0:3], 0 offen
	s_waitcnt vmcnt(6)
	buffer_store_dword v4, v2, s[0:3], 0 offen offset:4
	s_waitcnt vmcnt(5)
	buffer_store_dword v5, v2, s[0:3], 0 offen offset:8
	;; [unrolled: 2-line block ×6, first 2 shown]
	s_waitcnt vmcnt(0)
	buffer_store_dword v126, v1, s[0:3], 0 offen
.LBB121_434:
	global_load_dword v0, v0, s[12:13] offset:80
	s_waitcnt vmcnt(0)
	v_add_nc_u32_e32 v0, -1, v0
	v_cmp_eq_u32_e32 vcc_lo, 20, v0
	s_cbranch_vccnz .LBB121_436
; %bb.435:
	v_lshlrev_b32_e32 v0, 4, v0
	v_mov_b32_e32 v1, s50
	v_add_nc_u32_e32 v0, 16, v0
	s_clause 0x7
	buffer_load_dword v2, v0, s[0:3], 0 offen
	buffer_load_dword v3, v0, s[0:3], 0 offen offset:4
	buffer_load_dword v4, v0, s[0:3], 0 offen offset:8
	;; [unrolled: 1-line block ×6, first 2 shown]
	buffer_load_dword v125, v1, s[0:3], 0 offen
	s_waitcnt vmcnt(7)
	buffer_store_dword v2, v1, s[0:3], 0 offen
	s_waitcnt vmcnt(6)
	buffer_store_dword v3, v1, s[0:3], 0 offen offset:4
	s_waitcnt vmcnt(5)
	buffer_store_dword v4, v1, s[0:3], 0 offen offset:8
	;; [unrolled: 2-line block ×6, first 2 shown]
	s_waitcnt vmcnt(0)
	buffer_store_dword v125, v0, s[0:3], 0 offen
.LBB121_436:
	v_mov_b32_e32 v0, 0
	global_load_dword v1, v0, s[12:13] offset:76
	s_waitcnt vmcnt(0)
	v_add_nc_u32_e32 v1, -1, v1
	v_cmp_eq_u32_e32 vcc_lo, 19, v1
	s_cbranch_vccnz .LBB121_438
; %bb.437:
	v_lshlrev_b32_e32 v1, 4, v1
	v_mov_b32_e32 v2, s51
	v_add_nc_u32_e32 v1, 16, v1
	s_clause 0x7
	buffer_load_dword v3, v1, s[0:3], 0 offen
	buffer_load_dword v4, v1, s[0:3], 0 offen offset:4
	buffer_load_dword v5, v1, s[0:3], 0 offen offset:8
	;; [unrolled: 1-line block ×6, first 2 shown]
	buffer_load_dword v126, v2, s[0:3], 0 offen
	s_waitcnt vmcnt(7)
	buffer_store_dword v3, v2, s[0:3], 0 offen
	s_waitcnt vmcnt(6)
	buffer_store_dword v4, v2, s[0:3], 0 offen offset:4
	s_waitcnt vmcnt(5)
	buffer_store_dword v5, v2, s[0:3], 0 offen offset:8
	s_waitcnt vmcnt(4)
	buffer_store_dword v6, v2, s[0:3], 0 offen offset:12
	s_waitcnt vmcnt(3)
	buffer_store_dword v7, v1, s[0:3], 0 offen offset:12
	s_waitcnt vmcnt(2)
	buffer_store_dword v8, v1, s[0:3], 0 offen offset:8
	s_waitcnt vmcnt(1)
	buffer_store_dword v125, v1, s[0:3], 0 offen offset:4
	s_waitcnt vmcnt(0)
	buffer_store_dword v126, v1, s[0:3], 0 offen
.LBB121_438:
	global_load_dword v0, v0, s[12:13] offset:72
	s_waitcnt vmcnt(0)
	v_add_nc_u32_e32 v0, -1, v0
	v_cmp_eq_u32_e32 vcc_lo, 18, v0
	s_cbranch_vccnz .LBB121_440
; %bb.439:
	v_lshlrev_b32_e32 v0, 4, v0
	v_mov_b32_e32 v1, s52
	v_add_nc_u32_e32 v0, 16, v0
	s_clause 0x7
	buffer_load_dword v2, v0, s[0:3], 0 offen
	buffer_load_dword v3, v0, s[0:3], 0 offen offset:4
	buffer_load_dword v4, v0, s[0:3], 0 offen offset:8
	;; [unrolled: 1-line block ×6, first 2 shown]
	buffer_load_dword v125, v1, s[0:3], 0 offen
	s_waitcnt vmcnt(7)
	buffer_store_dword v2, v1, s[0:3], 0 offen
	s_waitcnt vmcnt(6)
	buffer_store_dword v3, v1, s[0:3], 0 offen offset:4
	s_waitcnt vmcnt(5)
	buffer_store_dword v4, v1, s[0:3], 0 offen offset:8
	;; [unrolled: 2-line block ×6, first 2 shown]
	s_waitcnt vmcnt(0)
	buffer_store_dword v125, v0, s[0:3], 0 offen
.LBB121_440:
	v_mov_b32_e32 v0, 0
	global_load_dword v1, v0, s[12:13] offset:68
	s_waitcnt vmcnt(0)
	v_add_nc_u32_e32 v1, -1, v1
	v_cmp_eq_u32_e32 vcc_lo, 17, v1
	s_cbranch_vccnz .LBB121_442
; %bb.441:
	v_lshlrev_b32_e32 v1, 4, v1
	v_mov_b32_e32 v2, s53
	v_add_nc_u32_e32 v1, 16, v1
	s_clause 0x7
	buffer_load_dword v3, v1, s[0:3], 0 offen
	buffer_load_dword v4, v1, s[0:3], 0 offen offset:4
	buffer_load_dword v5, v1, s[0:3], 0 offen offset:8
	;; [unrolled: 1-line block ×6, first 2 shown]
	buffer_load_dword v126, v2, s[0:3], 0 offen
	s_waitcnt vmcnt(7)
	buffer_store_dword v3, v2, s[0:3], 0 offen
	s_waitcnt vmcnt(6)
	buffer_store_dword v4, v2, s[0:3], 0 offen offset:4
	s_waitcnt vmcnt(5)
	buffer_store_dword v5, v2, s[0:3], 0 offen offset:8
	;; [unrolled: 2-line block ×6, first 2 shown]
	s_waitcnt vmcnt(0)
	buffer_store_dword v126, v1, s[0:3], 0 offen
.LBB121_442:
	global_load_dword v0, v0, s[12:13] offset:64
	s_waitcnt vmcnt(0)
	v_add_nc_u32_e32 v0, -1, v0
	v_cmp_eq_u32_e32 vcc_lo, 16, v0
	s_cbranch_vccnz .LBB121_444
; %bb.443:
	v_lshlrev_b32_e32 v0, 4, v0
	v_mov_b32_e32 v1, s54
	v_add_nc_u32_e32 v0, 16, v0
	s_clause 0x7
	buffer_load_dword v2, v0, s[0:3], 0 offen
	buffer_load_dword v3, v0, s[0:3], 0 offen offset:4
	buffer_load_dword v4, v0, s[0:3], 0 offen offset:8
	;; [unrolled: 1-line block ×6, first 2 shown]
	buffer_load_dword v125, v1, s[0:3], 0 offen
	s_waitcnt vmcnt(7)
	buffer_store_dword v2, v1, s[0:3], 0 offen
	s_waitcnt vmcnt(6)
	buffer_store_dword v3, v1, s[0:3], 0 offen offset:4
	s_waitcnt vmcnt(5)
	buffer_store_dword v4, v1, s[0:3], 0 offen offset:8
	;; [unrolled: 2-line block ×6, first 2 shown]
	s_waitcnt vmcnt(0)
	buffer_store_dword v125, v0, s[0:3], 0 offen
.LBB121_444:
	v_mov_b32_e32 v0, 0
	global_load_dword v1, v0, s[12:13] offset:60
	s_waitcnt vmcnt(0)
	v_add_nc_u32_e32 v1, -1, v1
	v_cmp_eq_u32_e32 vcc_lo, 15, v1
	s_cbranch_vccnz .LBB121_446
; %bb.445:
	v_lshlrev_b32_e32 v1, 4, v1
	v_mov_b32_e32 v2, s55
	v_add_nc_u32_e32 v1, 16, v1
	s_clause 0x7
	buffer_load_dword v3, v1, s[0:3], 0 offen
	buffer_load_dword v4, v1, s[0:3], 0 offen offset:4
	buffer_load_dword v5, v1, s[0:3], 0 offen offset:8
	buffer_load_dword v6, v1, s[0:3], 0 offen offset:12
	buffer_load_dword v7, v2, s[0:3], 0 offen offset:12
	buffer_load_dword v8, v2, s[0:3], 0 offen offset:8
	buffer_load_dword v125, v2, s[0:3], 0 offen offset:4
	buffer_load_dword v126, v2, s[0:3], 0 offen
	s_waitcnt vmcnt(7)
	buffer_store_dword v3, v2, s[0:3], 0 offen
	s_waitcnt vmcnt(6)
	buffer_store_dword v4, v2, s[0:3], 0 offen offset:4
	s_waitcnt vmcnt(5)
	buffer_store_dword v5, v2, s[0:3], 0 offen offset:8
	;; [unrolled: 2-line block ×6, first 2 shown]
	s_waitcnt vmcnt(0)
	buffer_store_dword v126, v1, s[0:3], 0 offen
.LBB121_446:
	global_load_dword v0, v0, s[12:13] offset:56
	s_waitcnt vmcnt(0)
	v_add_nc_u32_e32 v0, -1, v0
	v_cmp_eq_u32_e32 vcc_lo, 14, v0
	s_cbranch_vccnz .LBB121_448
; %bb.447:
	v_lshlrev_b32_e32 v0, 4, v0
	v_mov_b32_e32 v1, s56
	v_add_nc_u32_e32 v0, 16, v0
	s_clause 0x7
	buffer_load_dword v2, v0, s[0:3], 0 offen
	buffer_load_dword v3, v0, s[0:3], 0 offen offset:4
	buffer_load_dword v4, v0, s[0:3], 0 offen offset:8
	;; [unrolled: 1-line block ×6, first 2 shown]
	buffer_load_dword v125, v1, s[0:3], 0 offen
	s_waitcnt vmcnt(7)
	buffer_store_dword v2, v1, s[0:3], 0 offen
	s_waitcnt vmcnt(6)
	buffer_store_dword v3, v1, s[0:3], 0 offen offset:4
	s_waitcnt vmcnt(5)
	buffer_store_dword v4, v1, s[0:3], 0 offen offset:8
	;; [unrolled: 2-line block ×6, first 2 shown]
	s_waitcnt vmcnt(0)
	buffer_store_dword v125, v0, s[0:3], 0 offen
.LBB121_448:
	v_mov_b32_e32 v0, 0
	global_load_dword v1, v0, s[12:13] offset:52
	s_waitcnt vmcnt(0)
	v_add_nc_u32_e32 v1, -1, v1
	v_cmp_eq_u32_e32 vcc_lo, 13, v1
	s_cbranch_vccnz .LBB121_450
; %bb.449:
	v_lshlrev_b32_e32 v1, 4, v1
	v_mov_b32_e32 v2, s57
	v_add_nc_u32_e32 v1, 16, v1
	s_clause 0x7
	buffer_load_dword v3, v1, s[0:3], 0 offen
	buffer_load_dword v4, v1, s[0:3], 0 offen offset:4
	buffer_load_dword v5, v1, s[0:3], 0 offen offset:8
	;; [unrolled: 1-line block ×6, first 2 shown]
	buffer_load_dword v126, v2, s[0:3], 0 offen
	s_waitcnt vmcnt(7)
	buffer_store_dword v3, v2, s[0:3], 0 offen
	s_waitcnt vmcnt(6)
	buffer_store_dword v4, v2, s[0:3], 0 offen offset:4
	s_waitcnt vmcnt(5)
	buffer_store_dword v5, v2, s[0:3], 0 offen offset:8
	;; [unrolled: 2-line block ×6, first 2 shown]
	s_waitcnt vmcnt(0)
	buffer_store_dword v126, v1, s[0:3], 0 offen
.LBB121_450:
	global_load_dword v0, v0, s[12:13] offset:48
	s_waitcnt vmcnt(0)
	v_add_nc_u32_e32 v0, -1, v0
	v_cmp_eq_u32_e32 vcc_lo, 12, v0
	s_cbranch_vccnz .LBB121_452
; %bb.451:
	v_lshlrev_b32_e32 v0, 4, v0
	v_mov_b32_e32 v1, s58
	v_add_nc_u32_e32 v0, 16, v0
	s_clause 0x7
	buffer_load_dword v2, v0, s[0:3], 0 offen
	buffer_load_dword v3, v0, s[0:3], 0 offen offset:4
	buffer_load_dword v4, v0, s[0:3], 0 offen offset:8
	buffer_load_dword v5, v0, s[0:3], 0 offen offset:12
	buffer_load_dword v6, v1, s[0:3], 0 offen offset:12
	buffer_load_dword v7, v1, s[0:3], 0 offen offset:8
	buffer_load_dword v8, v1, s[0:3], 0 offen offset:4
	buffer_load_dword v125, v1, s[0:3], 0 offen
	s_waitcnt vmcnt(7)
	buffer_store_dword v2, v1, s[0:3], 0 offen
	s_waitcnt vmcnt(6)
	buffer_store_dword v3, v1, s[0:3], 0 offen offset:4
	s_waitcnt vmcnt(5)
	buffer_store_dword v4, v1, s[0:3], 0 offen offset:8
	;; [unrolled: 2-line block ×6, first 2 shown]
	s_waitcnt vmcnt(0)
	buffer_store_dword v125, v0, s[0:3], 0 offen
.LBB121_452:
	v_mov_b32_e32 v0, 0
	global_load_dword v1, v0, s[12:13] offset:44
	s_waitcnt vmcnt(0)
	v_add_nc_u32_e32 v1, -1, v1
	v_cmp_eq_u32_e32 vcc_lo, 11, v1
	s_cbranch_vccnz .LBB121_454
; %bb.453:
	v_lshlrev_b32_e32 v1, 4, v1
	v_mov_b32_e32 v2, s59
	v_add_nc_u32_e32 v1, 16, v1
	s_clause 0x7
	buffer_load_dword v3, v1, s[0:3], 0 offen
	buffer_load_dword v4, v1, s[0:3], 0 offen offset:4
	buffer_load_dword v5, v1, s[0:3], 0 offen offset:8
	;; [unrolled: 1-line block ×6, first 2 shown]
	buffer_load_dword v126, v2, s[0:3], 0 offen
	s_waitcnt vmcnt(7)
	buffer_store_dword v3, v2, s[0:3], 0 offen
	s_waitcnt vmcnt(6)
	buffer_store_dword v4, v2, s[0:3], 0 offen offset:4
	s_waitcnt vmcnt(5)
	buffer_store_dword v5, v2, s[0:3], 0 offen offset:8
	;; [unrolled: 2-line block ×6, first 2 shown]
	s_waitcnt vmcnt(0)
	buffer_store_dword v126, v1, s[0:3], 0 offen
.LBB121_454:
	global_load_dword v0, v0, s[12:13] offset:40
	s_waitcnt vmcnt(0)
	v_add_nc_u32_e32 v0, -1, v0
	v_cmp_eq_u32_e32 vcc_lo, 10, v0
	s_cbranch_vccnz .LBB121_456
; %bb.455:
	v_lshlrev_b32_e32 v0, 4, v0
	v_mov_b32_e32 v1, s60
	v_add_nc_u32_e32 v0, 16, v0
	s_clause 0x7
	buffer_load_dword v2, v0, s[0:3], 0 offen
	buffer_load_dword v3, v0, s[0:3], 0 offen offset:4
	buffer_load_dword v4, v0, s[0:3], 0 offen offset:8
	;; [unrolled: 1-line block ×6, first 2 shown]
	buffer_load_dword v125, v1, s[0:3], 0 offen
	s_waitcnt vmcnt(7)
	buffer_store_dword v2, v1, s[0:3], 0 offen
	s_waitcnt vmcnt(6)
	buffer_store_dword v3, v1, s[0:3], 0 offen offset:4
	s_waitcnt vmcnt(5)
	buffer_store_dword v4, v1, s[0:3], 0 offen offset:8
	;; [unrolled: 2-line block ×6, first 2 shown]
	s_waitcnt vmcnt(0)
	buffer_store_dword v125, v0, s[0:3], 0 offen
.LBB121_456:
	v_mov_b32_e32 v0, 0
	global_load_dword v1, v0, s[12:13] offset:36
	s_waitcnt vmcnt(0)
	v_add_nc_u32_e32 v1, -1, v1
	v_cmp_eq_u32_e32 vcc_lo, 9, v1
	s_cbranch_vccnz .LBB121_458
; %bb.457:
	v_lshlrev_b32_e32 v1, 4, v1
	v_mov_b32_e32 v2, s61
	v_add_nc_u32_e32 v1, 16, v1
	s_clause 0x7
	buffer_load_dword v3, v1, s[0:3], 0 offen
	buffer_load_dword v4, v1, s[0:3], 0 offen offset:4
	buffer_load_dword v5, v1, s[0:3], 0 offen offset:8
	buffer_load_dword v6, v1, s[0:3], 0 offen offset:12
	buffer_load_dword v7, v2, s[0:3], 0 offen offset:12
	buffer_load_dword v8, v2, s[0:3], 0 offen offset:8
	buffer_load_dword v125, v2, s[0:3], 0 offen offset:4
	buffer_load_dword v126, v2, s[0:3], 0 offen
	s_waitcnt vmcnt(7)
	buffer_store_dword v3, v2, s[0:3], 0 offen
	s_waitcnt vmcnt(6)
	buffer_store_dword v4, v2, s[0:3], 0 offen offset:4
	s_waitcnt vmcnt(5)
	buffer_store_dword v5, v2, s[0:3], 0 offen offset:8
	;; [unrolled: 2-line block ×6, first 2 shown]
	s_waitcnt vmcnt(0)
	buffer_store_dword v126, v1, s[0:3], 0 offen
.LBB121_458:
	global_load_dword v0, v0, s[12:13] offset:32
	s_waitcnt vmcnt(0)
	v_add_nc_u32_e32 v0, -1, v0
	v_cmp_eq_u32_e32 vcc_lo, 8, v0
	s_cbranch_vccnz .LBB121_460
; %bb.459:
	v_lshlrev_b32_e32 v0, 4, v0
	v_mov_b32_e32 v1, s62
	v_add_nc_u32_e32 v0, 16, v0
	s_clause 0x7
	buffer_load_dword v2, v0, s[0:3], 0 offen
	buffer_load_dword v3, v0, s[0:3], 0 offen offset:4
	buffer_load_dword v4, v0, s[0:3], 0 offen offset:8
	;; [unrolled: 1-line block ×6, first 2 shown]
	buffer_load_dword v125, v1, s[0:3], 0 offen
	s_waitcnt vmcnt(7)
	buffer_store_dword v2, v1, s[0:3], 0 offen
	s_waitcnt vmcnt(6)
	buffer_store_dword v3, v1, s[0:3], 0 offen offset:4
	s_waitcnt vmcnt(5)
	buffer_store_dword v4, v1, s[0:3], 0 offen offset:8
	;; [unrolled: 2-line block ×6, first 2 shown]
	s_waitcnt vmcnt(0)
	buffer_store_dword v125, v0, s[0:3], 0 offen
.LBB121_460:
	v_mov_b32_e32 v0, 0
	global_load_dword v1, v0, s[12:13] offset:28
	s_waitcnt vmcnt(0)
	v_add_nc_u32_e32 v1, -1, v1
	v_cmp_eq_u32_e32 vcc_lo, 7, v1
	s_cbranch_vccnz .LBB121_462
; %bb.461:
	v_lshlrev_b32_e32 v1, 4, v1
	v_mov_b32_e32 v2, s63
	v_add_nc_u32_e32 v1, 16, v1
	s_clause 0x7
	buffer_load_dword v3, v1, s[0:3], 0 offen
	buffer_load_dword v4, v1, s[0:3], 0 offen offset:4
	buffer_load_dword v5, v1, s[0:3], 0 offen offset:8
	;; [unrolled: 1-line block ×6, first 2 shown]
	buffer_load_dword v126, v2, s[0:3], 0 offen
	s_waitcnt vmcnt(7)
	buffer_store_dword v3, v2, s[0:3], 0 offen
	s_waitcnt vmcnt(6)
	buffer_store_dword v4, v2, s[0:3], 0 offen offset:4
	s_waitcnt vmcnt(5)
	buffer_store_dword v5, v2, s[0:3], 0 offen offset:8
	;; [unrolled: 2-line block ×6, first 2 shown]
	s_waitcnt vmcnt(0)
	buffer_store_dword v126, v1, s[0:3], 0 offen
.LBB121_462:
	global_load_dword v0, v0, s[12:13] offset:24
	s_waitcnt vmcnt(0)
	v_add_nc_u32_e32 v0, -1, v0
	v_cmp_eq_u32_e32 vcc_lo, 6, v0
	s_cbranch_vccnz .LBB121_464
; %bb.463:
	v_lshlrev_b32_e32 v0, 4, v0
	v_mov_b32_e32 v1, s64
	v_add_nc_u32_e32 v0, 16, v0
	s_clause 0x7
	buffer_load_dword v2, v0, s[0:3], 0 offen
	buffer_load_dword v3, v0, s[0:3], 0 offen offset:4
	buffer_load_dword v4, v0, s[0:3], 0 offen offset:8
	;; [unrolled: 1-line block ×6, first 2 shown]
	buffer_load_dword v125, v1, s[0:3], 0 offen
	s_waitcnt vmcnt(7)
	buffer_store_dword v2, v1, s[0:3], 0 offen
	s_waitcnt vmcnt(6)
	buffer_store_dword v3, v1, s[0:3], 0 offen offset:4
	s_waitcnt vmcnt(5)
	buffer_store_dword v4, v1, s[0:3], 0 offen offset:8
	;; [unrolled: 2-line block ×6, first 2 shown]
	s_waitcnt vmcnt(0)
	buffer_store_dword v125, v0, s[0:3], 0 offen
.LBB121_464:
	v_mov_b32_e32 v0, 0
	global_load_dword v1, v0, s[12:13] offset:20
	s_waitcnt vmcnt(0)
	v_add_nc_u32_e32 v1, -1, v1
	v_cmp_eq_u32_e32 vcc_lo, 5, v1
	s_cbranch_vccnz .LBB121_466
; %bb.465:
	v_lshlrev_b32_e32 v1, 4, v1
	v_mov_b32_e32 v2, s65
	v_add_nc_u32_e32 v1, 16, v1
	s_clause 0x7
	buffer_load_dword v3, v1, s[0:3], 0 offen
	buffer_load_dword v4, v1, s[0:3], 0 offen offset:4
	buffer_load_dword v5, v1, s[0:3], 0 offen offset:8
	;; [unrolled: 1-line block ×6, first 2 shown]
	buffer_load_dword v126, v2, s[0:3], 0 offen
	s_waitcnt vmcnt(7)
	buffer_store_dword v3, v2, s[0:3], 0 offen
	s_waitcnt vmcnt(6)
	buffer_store_dword v4, v2, s[0:3], 0 offen offset:4
	s_waitcnt vmcnt(5)
	buffer_store_dword v5, v2, s[0:3], 0 offen offset:8
	;; [unrolled: 2-line block ×6, first 2 shown]
	s_waitcnt vmcnt(0)
	buffer_store_dword v126, v1, s[0:3], 0 offen
.LBB121_466:
	global_load_dword v0, v0, s[12:13] offset:16
	s_waitcnt vmcnt(0)
	v_add_nc_u32_e32 v0, -1, v0
	v_cmp_eq_u32_e32 vcc_lo, 4, v0
	s_cbranch_vccnz .LBB121_468
; %bb.467:
	v_lshlrev_b32_e32 v0, 4, v0
	v_mov_b32_e32 v1, s66
	v_add_nc_u32_e32 v0, 16, v0
	s_clause 0x7
	buffer_load_dword v2, v0, s[0:3], 0 offen
	buffer_load_dword v3, v0, s[0:3], 0 offen offset:4
	buffer_load_dword v4, v0, s[0:3], 0 offen offset:8
	;; [unrolled: 1-line block ×6, first 2 shown]
	buffer_load_dword v125, v1, s[0:3], 0 offen
	s_waitcnt vmcnt(7)
	buffer_store_dword v2, v1, s[0:3], 0 offen
	s_waitcnt vmcnt(6)
	buffer_store_dword v3, v1, s[0:3], 0 offen offset:4
	s_waitcnt vmcnt(5)
	buffer_store_dword v4, v1, s[0:3], 0 offen offset:8
	;; [unrolled: 2-line block ×6, first 2 shown]
	s_waitcnt vmcnt(0)
	buffer_store_dword v125, v0, s[0:3], 0 offen
.LBB121_468:
	v_mov_b32_e32 v0, 0
	global_load_dword v1, v0, s[12:13] offset:12
	s_waitcnt vmcnt(0)
	v_add_nc_u32_e32 v1, -1, v1
	v_cmp_eq_u32_e32 vcc_lo, 3, v1
	s_cbranch_vccnz .LBB121_470
; %bb.469:
	v_lshlrev_b32_e32 v1, 4, v1
	v_mov_b32_e32 v2, s67
	v_add_nc_u32_e32 v1, 16, v1
	s_clause 0x7
	buffer_load_dword v3, v1, s[0:3], 0 offen
	buffer_load_dword v4, v1, s[0:3], 0 offen offset:4
	buffer_load_dword v5, v1, s[0:3], 0 offen offset:8
	;; [unrolled: 1-line block ×6, first 2 shown]
	buffer_load_dword v126, v2, s[0:3], 0 offen
	s_waitcnt vmcnt(7)
	buffer_store_dword v3, v2, s[0:3], 0 offen
	s_waitcnt vmcnt(6)
	buffer_store_dword v4, v2, s[0:3], 0 offen offset:4
	s_waitcnt vmcnt(5)
	buffer_store_dword v5, v2, s[0:3], 0 offen offset:8
	;; [unrolled: 2-line block ×6, first 2 shown]
	s_waitcnt vmcnt(0)
	buffer_store_dword v126, v1, s[0:3], 0 offen
.LBB121_470:
	global_load_dword v0, v0, s[12:13] offset:8
	s_waitcnt vmcnt(0)
	v_add_nc_u32_e32 v0, -1, v0
	v_cmp_eq_u32_e32 vcc_lo, 2, v0
	s_cbranch_vccnz .LBB121_472
; %bb.471:
	v_lshlrev_b32_e32 v0, 4, v0
	v_mov_b32_e32 v1, s68
	v_add_nc_u32_e32 v0, 16, v0
	s_clause 0x7
	buffer_load_dword v2, v0, s[0:3], 0 offen
	buffer_load_dword v3, v0, s[0:3], 0 offen offset:4
	buffer_load_dword v4, v0, s[0:3], 0 offen offset:8
	;; [unrolled: 1-line block ×6, first 2 shown]
	buffer_load_dword v125, v1, s[0:3], 0 offen
	s_waitcnt vmcnt(7)
	buffer_store_dword v2, v1, s[0:3], 0 offen
	s_waitcnt vmcnt(6)
	buffer_store_dword v3, v1, s[0:3], 0 offen offset:4
	s_waitcnt vmcnt(5)
	buffer_store_dword v4, v1, s[0:3], 0 offen offset:8
	;; [unrolled: 2-line block ×6, first 2 shown]
	s_waitcnt vmcnt(0)
	buffer_store_dword v125, v0, s[0:3], 0 offen
.LBB121_472:
	v_mov_b32_e32 v0, 0
	global_load_dword v1, v0, s[12:13] offset:4
	s_waitcnt vmcnt(0)
	v_add_nc_u32_e32 v1, -1, v1
	v_cmp_eq_u32_e32 vcc_lo, 1, v1
	s_cbranch_vccnz .LBB121_474
; %bb.473:
	v_lshlrev_b32_e32 v1, 4, v1
	v_mov_b32_e32 v2, s69
	v_add_nc_u32_e32 v1, 16, v1
	s_clause 0x7
	buffer_load_dword v3, v1, s[0:3], 0 offen
	buffer_load_dword v4, v1, s[0:3], 0 offen offset:4
	buffer_load_dword v5, v1, s[0:3], 0 offen offset:8
	;; [unrolled: 1-line block ×6, first 2 shown]
	buffer_load_dword v126, v2, s[0:3], 0 offen
	s_waitcnt vmcnt(7)
	buffer_store_dword v3, v2, s[0:3], 0 offen
	s_waitcnt vmcnt(6)
	buffer_store_dword v4, v2, s[0:3], 0 offen offset:4
	s_waitcnt vmcnt(5)
	buffer_store_dword v5, v2, s[0:3], 0 offen offset:8
	;; [unrolled: 2-line block ×6, first 2 shown]
	s_waitcnt vmcnt(0)
	buffer_store_dword v126, v1, s[0:3], 0 offen
.LBB121_474:
	global_load_dword v0, v0, s[12:13]
	s_waitcnt vmcnt(0)
	v_add_nc_u32_e32 v0, -1, v0
	v_cmp_eq_u32_e32 vcc_lo, 0, v0
	s_cbranch_vccnz .LBB121_476
; %bb.475:
	v_lshlrev_b32_e32 v0, 4, v0
	v_add_nc_u32_e32 v0, 16, v0
	s_clause 0x7
	buffer_load_dword v1, v0, s[0:3], 0 offen
	buffer_load_dword v2, v0, s[0:3], 0 offen offset:4
	buffer_load_dword v3, v0, s[0:3], 0 offen offset:8
	;; [unrolled: 1-line block ×3, first 2 shown]
	buffer_load_dword v5, off, s[0:3], 0 offset:28
	buffer_load_dword v6, off, s[0:3], 0 offset:24
	;; [unrolled: 1-line block ×4, first 2 shown]
	s_waitcnt vmcnt(7)
	buffer_store_dword v1, off, s[0:3], 0 offset:16
	s_waitcnt vmcnt(6)
	buffer_store_dword v2, off, s[0:3], 0 offset:20
	;; [unrolled: 2-line block ×4, first 2 shown]
	s_waitcnt vmcnt(3)
	buffer_store_dword v5, v0, s[0:3], 0 offen offset:12
	s_waitcnt vmcnt(2)
	buffer_store_dword v6, v0, s[0:3], 0 offen offset:8
	;; [unrolled: 2-line block ×3, first 2 shown]
	s_waitcnt vmcnt(0)
	buffer_store_dword v8, v0, s[0:3], 0 offen
.LBB121_476:
	s_clause 0x3
	buffer_load_dword v0, off, s[0:3], 0 offset:16
	buffer_load_dword v1, off, s[0:3], 0 offset:20
	;; [unrolled: 1-line block ×4, first 2 shown]
	v_mov_b32_e32 v4, s69
	s_waitcnt vmcnt(0)
	flat_store_dwordx4 v[9:10], v[0:3]
	s_clause 0x3
	buffer_load_dword v0, v4, s[0:3], 0 offen
	buffer_load_dword v1, v4, s[0:3], 0 offen offset:4
	buffer_load_dword v2, v4, s[0:3], 0 offen offset:8
	buffer_load_dword v3, v4, s[0:3], 0 offen offset:12
	v_mov_b32_e32 v4, s68
	s_waitcnt vmcnt(0)
	flat_store_dwordx4 v[63:64], v[0:3]
	s_clause 0x3
	buffer_load_dword v0, v4, s[0:3], 0 offen
	buffer_load_dword v1, v4, s[0:3], 0 offen offset:4
	buffer_load_dword v2, v4, s[0:3], 0 offen offset:8
	buffer_load_dword v3, v4, s[0:3], 0 offen offset:12
	;; [unrolled: 8-line block ×57, first 2 shown]
	s_waitcnt vmcnt(0)
	flat_store_dwordx4 v[123:124], v[0:3]
	s_endpgm
	.section	.rodata,"a",@progbits
	.p2align	6, 0x0
	.amdhsa_kernel _ZN9rocsolver6v33100L18getri_kernel_smallILi58E19rocblas_complex_numIdEPKPS3_EEvT1_iilPiilS8_bb
		.amdhsa_group_segment_fixed_size 1864
		.amdhsa_private_segment_fixed_size 960
		.amdhsa_kernarg_size 60
		.amdhsa_user_sgpr_count 6
		.amdhsa_user_sgpr_private_segment_buffer 1
		.amdhsa_user_sgpr_dispatch_ptr 0
		.amdhsa_user_sgpr_queue_ptr 0
		.amdhsa_user_sgpr_kernarg_segment_ptr 1
		.amdhsa_user_sgpr_dispatch_id 0
		.amdhsa_user_sgpr_flat_scratch_init 0
		.amdhsa_user_sgpr_private_segment_size 0
		.amdhsa_wavefront_size32 1
		.amdhsa_uses_dynamic_stack 0
		.amdhsa_system_sgpr_private_segment_wavefront_offset 1
		.amdhsa_system_sgpr_workgroup_id_x 1
		.amdhsa_system_sgpr_workgroup_id_y 0
		.amdhsa_system_sgpr_workgroup_id_z 0
		.amdhsa_system_sgpr_workgroup_info 0
		.amdhsa_system_vgpr_workitem_id 0
		.amdhsa_next_free_vgpr 211
		.amdhsa_next_free_sgpr 98
		.amdhsa_reserve_vcc 1
		.amdhsa_reserve_flat_scratch 0
		.amdhsa_float_round_mode_32 0
		.amdhsa_float_round_mode_16_64 0
		.amdhsa_float_denorm_mode_32 3
		.amdhsa_float_denorm_mode_16_64 3
		.amdhsa_dx10_clamp 1
		.amdhsa_ieee_mode 1
		.amdhsa_fp16_overflow 0
		.amdhsa_workgroup_processor_mode 1
		.amdhsa_memory_ordered 1
		.amdhsa_forward_progress 1
		.amdhsa_shared_vgpr_count 0
		.amdhsa_exception_fp_ieee_invalid_op 0
		.amdhsa_exception_fp_denorm_src 0
		.amdhsa_exception_fp_ieee_div_zero 0
		.amdhsa_exception_fp_ieee_overflow 0
		.amdhsa_exception_fp_ieee_underflow 0
		.amdhsa_exception_fp_ieee_inexact 0
		.amdhsa_exception_int_div_zero 0
	.end_amdhsa_kernel
	.section	.text._ZN9rocsolver6v33100L18getri_kernel_smallILi58E19rocblas_complex_numIdEPKPS3_EEvT1_iilPiilS8_bb,"axG",@progbits,_ZN9rocsolver6v33100L18getri_kernel_smallILi58E19rocblas_complex_numIdEPKPS3_EEvT1_iilPiilS8_bb,comdat
.Lfunc_end121:
	.size	_ZN9rocsolver6v33100L18getri_kernel_smallILi58E19rocblas_complex_numIdEPKPS3_EEvT1_iilPiilS8_bb, .Lfunc_end121-_ZN9rocsolver6v33100L18getri_kernel_smallILi58E19rocblas_complex_numIdEPKPS3_EEvT1_iilPiilS8_bb
                                        ; -- End function
	.set _ZN9rocsolver6v33100L18getri_kernel_smallILi58E19rocblas_complex_numIdEPKPS3_EEvT1_iilPiilS8_bb.num_vgpr, 211
	.set _ZN9rocsolver6v33100L18getri_kernel_smallILi58E19rocblas_complex_numIdEPKPS3_EEvT1_iilPiilS8_bb.num_agpr, 0
	.set _ZN9rocsolver6v33100L18getri_kernel_smallILi58E19rocblas_complex_numIdEPKPS3_EEvT1_iilPiilS8_bb.numbered_sgpr, 98
	.set _ZN9rocsolver6v33100L18getri_kernel_smallILi58E19rocblas_complex_numIdEPKPS3_EEvT1_iilPiilS8_bb.num_named_barrier, 0
	.set _ZN9rocsolver6v33100L18getri_kernel_smallILi58E19rocblas_complex_numIdEPKPS3_EEvT1_iilPiilS8_bb.private_seg_size, 960
	.set _ZN9rocsolver6v33100L18getri_kernel_smallILi58E19rocblas_complex_numIdEPKPS3_EEvT1_iilPiilS8_bb.uses_vcc, 1
	.set _ZN9rocsolver6v33100L18getri_kernel_smallILi58E19rocblas_complex_numIdEPKPS3_EEvT1_iilPiilS8_bb.uses_flat_scratch, 0
	.set _ZN9rocsolver6v33100L18getri_kernel_smallILi58E19rocblas_complex_numIdEPKPS3_EEvT1_iilPiilS8_bb.has_dyn_sized_stack, 0
	.set _ZN9rocsolver6v33100L18getri_kernel_smallILi58E19rocblas_complex_numIdEPKPS3_EEvT1_iilPiilS8_bb.has_recursion, 0
	.set _ZN9rocsolver6v33100L18getri_kernel_smallILi58E19rocblas_complex_numIdEPKPS3_EEvT1_iilPiilS8_bb.has_indirect_call, 0
	.section	.AMDGPU.csdata,"",@progbits
; Kernel info:
; codeLenInByte = 217168
; TotalNumSgprs: 100
; NumVgprs: 211
; ScratchSize: 960
; MemoryBound: 0
; FloatMode: 240
; IeeeMode: 1
; LDSByteSize: 1864 bytes/workgroup (compile time only)
; SGPRBlocks: 0
; VGPRBlocks: 26
; NumSGPRsForWavesPerEU: 100
; NumVGPRsForWavesPerEU: 211
; Occupancy: 4
; WaveLimiterHint : 1
; COMPUTE_PGM_RSRC2:SCRATCH_EN: 1
; COMPUTE_PGM_RSRC2:USER_SGPR: 6
; COMPUTE_PGM_RSRC2:TRAP_HANDLER: 0
; COMPUTE_PGM_RSRC2:TGID_X_EN: 1
; COMPUTE_PGM_RSRC2:TGID_Y_EN: 0
; COMPUTE_PGM_RSRC2:TGID_Z_EN: 0
; COMPUTE_PGM_RSRC2:TIDIG_COMP_CNT: 0
	.section	.text._ZN9rocsolver6v33100L18getri_kernel_smallILi59E19rocblas_complex_numIdEPKPS3_EEvT1_iilPiilS8_bb,"axG",@progbits,_ZN9rocsolver6v33100L18getri_kernel_smallILi59E19rocblas_complex_numIdEPKPS3_EEvT1_iilPiilS8_bb,comdat
	.globl	_ZN9rocsolver6v33100L18getri_kernel_smallILi59E19rocblas_complex_numIdEPKPS3_EEvT1_iilPiilS8_bb ; -- Begin function _ZN9rocsolver6v33100L18getri_kernel_smallILi59E19rocblas_complex_numIdEPKPS3_EEvT1_iilPiilS8_bb
	.p2align	8
	.type	_ZN9rocsolver6v33100L18getri_kernel_smallILi59E19rocblas_complex_numIdEPKPS3_EEvT1_iilPiilS8_bb,@function
_ZN9rocsolver6v33100L18getri_kernel_smallILi59E19rocblas_complex_numIdEPKPS3_EEvT1_iilPiilS8_bb: ; @_ZN9rocsolver6v33100L18getri_kernel_smallILi59E19rocblas_complex_numIdEPKPS3_EEvT1_iilPiilS8_bb
; %bb.0:
	s_add_u32 s0, s0, s7
	s_addc_u32 s1, s1, 0
	s_mov_b32 s7, exec_lo
	v_cmpx_gt_u32_e32 59, v0
	s_cbranch_execz .LBB122_250
; %bb.1:
	s_clause 0x2
	s_load_dword s16, s[4:5], 0x38
	s_load_dwordx2 s[12:13], s[4:5], 0x0
	s_load_dwordx4 s[8:11], s[4:5], 0x28
	s_waitcnt lgkmcnt(0)
	s_bitcmp1_b32 s16, 8
	s_cselect_b32 s71, -1, 0
	s_ashr_i32 s7, s6, 31
	s_lshl_b64 s[14:15], s[6:7], 3
	s_add_u32 s12, s12, s14
	s_addc_u32 s13, s13, s15
	s_load_dwordx2 s[14:15], s[12:13], 0x0
	s_bfe_u32 s12, s16, 0x10008
	s_cmp_eq_u32 s12, 0
                                        ; implicit-def: $sgpr12_sgpr13
	s_cbranch_scc1 .LBB122_3
; %bb.2:
	s_clause 0x1
	s_load_dword s12, s[4:5], 0x20
	s_load_dwordx2 s[16:17], s[4:5], 0x18
	s_mul_i32 s13, s8, s7
	s_mul_hi_u32 s18, s8, s6
	s_mul_i32 s9, s9, s6
	s_add_i32 s13, s18, s13
	s_mul_i32 s8, s8, s6
	s_add_i32 s9, s13, s9
	s_lshl_b64 s[8:9], s[8:9], 2
	s_waitcnt lgkmcnt(0)
	s_ashr_i32 s13, s12, 31
	s_add_u32 s16, s16, s8
	s_addc_u32 s17, s17, s9
	s_lshl_b64 s[8:9], s[12:13], 2
	s_add_u32 s12, s16, s8
	s_addc_u32 s13, s17, s9
.LBB122_3:
	s_clause 0x1
	s_load_dwordx2 s[8:9], s[4:5], 0x8
	s_load_dword s72, s[4:5], 0x38
	v_lshlrev_b32_e32 v129, 4, v0
	s_movk_i32 s16, 0xa0
	s_movk_i32 s17, 0xb0
	;; [unrolled: 1-line block ×17, first 2 shown]
	s_waitcnt lgkmcnt(0)
	s_ashr_i32 s5, s8, 31
	s_mov_b32 s4, s8
	v_add3_u32 v5, s9, s9, v0
	s_lshl_b64 s[4:5], s[4:5], 4
	s_movk_i32 s34, 0x1b0
	s_add_u32 s8, s14, s4
	s_addc_u32 s14, s15, s5
	v_add_co_u32 v9, s4, s8, v129
	v_add_co_ci_u32_e64 v10, null, s14, 0, s4
	s_mov_b32 s4, s9
	s_ashr_i32 s5, s9, 31
	v_ashrrev_i32_e32 v6, 31, v5
	flat_load_dwordx4 v[1:4], v[9:10]
	s_lshl_b64 s[4:5], s[4:5], 4
	s_movk_i32 s15, 0x90
	v_add_co_u32 v63, vcc_lo, v9, s4
	v_add_co_ci_u32_e64 v64, null, s5, v10, vcc_lo
	v_lshlrev_b64 v[6:7], 4, v[5:6]
	v_add_nc_u32_e32 v5, s9, v5
	s_movk_i32 s4, 0x50
	s_movk_i32 s35, 0x1c0
	s_movk_i32 s36, 0x1d0
	s_movk_i32 s37, 0x1e0
	v_add_co_u32 v61, vcc_lo, s8, v6
	v_add_co_ci_u32_e64 v62, null, s14, v7, vcc_lo
	v_ashrrev_i32_e32 v6, 31, v5
	s_movk_i32 s38, 0x1f0
	s_movk_i32 s39, 0x200
	s_movk_i32 s73, 0x210
	s_movk_i32 s74, 0x220
	v_lshlrev_b64 v[6:7], 4, v[5:6]
	v_add_nc_u32_e32 v5, s9, v5
	s_movk_i32 s75, 0x230
	s_movk_i32 s76, 0x240
	s_movk_i32 s77, 0x250
	s_movk_i32 s78, 0x260
	v_add_co_u32 v57, vcc_lo, s8, v6
	v_add_co_ci_u32_e64 v58, null, s14, v7, vcc_lo
	v_ashrrev_i32_e32 v6, 31, v5
	s_movk_i32 s79, 0x270
	s_movk_i32 s80, 0x280
	s_movk_i32 s81, 0x290
	s_movk_i32 s82, 0x2a0
	;; [unrolled: 13-line block ×4, first 2 shown]
	v_lshlrev_b64 v[6:7], 4, v[5:6]
	v_add_nc_u32_e32 v5, s9, v5
	s_add_i32 s66, s4, 16
	s_add_i32 s62, s15, 16
	s_add_i32 s61, s16, 16
	s_add_i32 s60, s17, 16
	v_add_co_u32 v51, vcc_lo, s8, v6
	v_add_co_ci_u32_e64 v52, null, s14, v7, vcc_lo
	v_ashrrev_i32_e32 v6, 31, v5
	s_add_i32 s59, s18, 16
	s_add_i32 s58, s19, 16
	s_add_i32 s57, s20, 16
	s_add_i32 s56, s21, 16
	v_lshlrev_b64 v[6:7], 4, v[5:6]
	v_add_nc_u32_e32 v5, s9, v5
	s_add_i32 s55, s22, 16
	s_add_i32 s54, s23, 16
	s_add_i32 s53, s24, 16
	s_add_i32 s52, s25, 16
	v_add_co_u32 v49, vcc_lo, s8, v6
	v_add_co_ci_u32_e64 v50, null, s14, v7, vcc_lo
	v_ashrrev_i32_e32 v6, 31, v5
	s_add_i32 s51, s26, 16
	s_add_i32 s50, s27, 16
	s_add_i32 s49, s28, 16
	s_add_i32 s48, s29, 16
	;; [unrolled: 13-line block ×6, first 2 shown]
	v_lshlrev_b64 v[6:7], 4, v[5:6]
	v_add_nc_u32_e32 v5, s9, v5
	s_mov_b32 s5, -1
	s_mov_b32 s70, 32
	s_mov_b32 s69, 48
	;; [unrolled: 1-line block ×3, first 2 shown]
	v_add_co_u32 v37, vcc_lo, s8, v6
	v_add_co_ci_u32_e64 v38, null, s14, v7, vcc_lo
	v_ashrrev_i32_e32 v6, 31, v5
	s_movk_i32 s67, 0x50
	s_waitcnt vmcnt(0) lgkmcnt(0)
	buffer_store_dword v4, off, s[0:3], 0 offset:28
	buffer_store_dword v3, off, s[0:3], 0 offset:24
	buffer_store_dword v2, off, s[0:3], 0 offset:20
	buffer_store_dword v1, off, s[0:3], 0 offset:16
	flat_load_dwordx4 v[1:4], v[63:64]
	v_lshlrev_b64 v[6:7], 4, v[5:6]
	v_add_nc_u32_e32 v5, s9, v5
	s_waitcnt vmcnt(0) lgkmcnt(0)
	buffer_store_dword v4, off, s[0:3], 0 offset:44
	buffer_store_dword v3, off, s[0:3], 0 offset:40
	buffer_store_dword v2, off, s[0:3], 0 offset:36
	buffer_store_dword v1, off, s[0:3], 0 offset:32
	flat_load_dwordx4 v[1:4], v[61:62]
	v_add_co_u32 v35, vcc_lo, s8, v6
	v_add_co_ci_u32_e64 v36, null, s14, v7, vcc_lo
	v_ashrrev_i32_e32 v6, 31, v5
	s_waitcnt vmcnt(0) lgkmcnt(0)
	buffer_store_dword v4, off, s[0:3], 0 offset:60
	buffer_store_dword v3, off, s[0:3], 0 offset:56
	buffer_store_dword v2, off, s[0:3], 0 offset:52
	buffer_store_dword v1, off, s[0:3], 0 offset:48
	flat_load_dwordx4 v[1:4], v[57:58]
	v_lshlrev_b64 v[6:7], 4, v[5:6]
	v_add_nc_u32_e32 v5, s9, v5
	s_waitcnt vmcnt(0) lgkmcnt(0)
	buffer_store_dword v4, off, s[0:3], 0 offset:76
	buffer_store_dword v3, off, s[0:3], 0 offset:72
	buffer_store_dword v2, off, s[0:3], 0 offset:68
	buffer_store_dword v1, off, s[0:3], 0 offset:64
	flat_load_dwordx4 v[1:4], v[55:56]
	v_add_co_u32 v33, vcc_lo, s8, v6
	v_add_co_ci_u32_e64 v34, null, s14, v7, vcc_lo
	v_ashrrev_i32_e32 v6, 31, v5
	;; [unrolled: 17-line block ×11, first 2 shown]
	s_waitcnt vmcnt(0) lgkmcnt(0)
	buffer_store_dword v4, off, s[0:3], 0 offset:380
	buffer_store_dword v3, off, s[0:3], 0 offset:376
	;; [unrolled: 1-line block ×4, first 2 shown]
	flat_load_dwordx4 v[1:4], v[15:16]
	v_lshlrev_b64 v[6:7], 4, v[5:6]
	v_add_nc_u32_e32 v5, s9, v5
	s_waitcnt vmcnt(0) lgkmcnt(0)
	buffer_store_dword v4, off, s[0:3], 0 offset:396
	buffer_store_dword v3, off, s[0:3], 0 offset:392
	;; [unrolled: 1-line block ×4, first 2 shown]
	v_add_co_u32 v13, vcc_lo, s8, v6
	v_add_co_ci_u32_e64 v14, null, s14, v7, vcc_lo
	v_ashrrev_i32_e32 v6, 31, v5
	flat_load_dwordx4 v[1:4], v[13:14]
	s_waitcnt vmcnt(0) lgkmcnt(0)
	buffer_store_dword v4, off, s[0:3], 0 offset:412
	buffer_store_dword v3, off, s[0:3], 0 offset:408
	buffer_store_dword v2, off, s[0:3], 0 offset:404
	buffer_store_dword v1, off, s[0:3], 0 offset:400
	v_lshlrev_b64 v[6:7], 4, v[5:6]
	v_add_nc_u32_e32 v5, s9, v5
	v_add_co_u32 v11, vcc_lo, s8, v6
	v_add_co_ci_u32_e64 v12, null, s14, v7, vcc_lo
	v_ashrrev_i32_e32 v6, 31, v5
	flat_load_dwordx4 v[1:4], v[11:12]
	s_waitcnt vmcnt(0) lgkmcnt(0)
	buffer_store_dword v4, off, s[0:3], 0 offset:428
	buffer_store_dword v3, off, s[0:3], 0 offset:424
	buffer_store_dword v2, off, s[0:3], 0 offset:420
	buffer_store_dword v1, off, s[0:3], 0 offset:416
	v_lshlrev_b64 v[6:7], 4, v[5:6]
	v_add_nc_u32_e32 v5, s9, v5
	;; [unrolled: 11-line block ×33, first 2 shown]
	s_movk_i32 s9, 0x70
	s_add_i32 s64, s9, 16
	s_add_i32 s9, s97, 16
	v_add_co_u32 v123, vcc_lo, s8, v6
	v_add_co_ci_u32_e64 v124, null, s14, v7, vcc_lo
	v_ashrrev_i32_e32 v6, 31, v5
	flat_load_dwordx4 v[1:4], v[123:124]
	s_waitcnt vmcnt(0) lgkmcnt(0)
	buffer_store_dword v4, off, s[0:3], 0 offset:940
	buffer_store_dword v3, off, s[0:3], 0 offset:936
	;; [unrolled: 1-line block ×4, first 2 shown]
	v_lshlrev_b64 v[5:6], 4, v[5:6]
	v_add_co_u32 v125, vcc_lo, s8, v5
	v_add_co_ci_u32_e64 v126, null, s14, v6, vcc_lo
	s_movk_i32 s8, 0x60
	s_movk_i32 s14, 0x80
	s_add_i32 s65, s8, 16
	flat_load_dwordx4 v[1:4], v[125:126]
	s_add_i32 s63, s14, 16
	s_add_i32 s14, s96, 16
	;; [unrolled: 1-line block ×3, first 2 shown]
	s_bitcmp0_b32 s72, 0
	s_waitcnt vmcnt(0) lgkmcnt(0)
	buffer_store_dword v4, off, s[0:3], 0 offset:956
	buffer_store_dword v3, off, s[0:3], 0 offset:952
	;; [unrolled: 1-line block ×4, first 2 shown]
	s_cbranch_scc1 .LBB122_248
; %bb.4:
	v_cmp_eq_u32_e64 s4, 0, v0
	s_and_saveexec_b32 s5, s4
; %bb.5:
	v_mov_b32_e32 v1, 0
	ds_write_b32 v1, v1 offset:1888
; %bb.6:
	s_or_b32 exec_lo, exec_lo, s5
	v_lshl_add_u32 v130, v0, 4, 16
	s_waitcnt lgkmcnt(0)
	s_waitcnt_vscnt null, 0x0
	s_barrier
	buffer_gl0_inv
	s_clause 0x3
	buffer_load_dword v1, v130, s[0:3], 0 offen
	buffer_load_dword v2, v130, s[0:3], 0 offen offset:4
	buffer_load_dword v3, v130, s[0:3], 0 offen offset:8
	buffer_load_dword v4, v130, s[0:3], 0 offen offset:12
	s_waitcnt vmcnt(2)
	v_cmp_eq_f64_e32 vcc_lo, 0, v[1:2]
	s_waitcnt vmcnt(0)
	v_cmp_eq_f64_e64 s5, 0, v[3:4]
	s_and_b32 s5, vcc_lo, s5
	s_and_saveexec_b32 s72, s5
	s_cbranch_execz .LBB122_10
; %bb.7:
	v_mov_b32_e32 v1, 0
	s_mov_b32 s73, 0
	ds_read_b32 v2, v1 offset:1888
	s_waitcnt lgkmcnt(0)
	v_readfirstlane_b32 s5, v2
	v_add_nc_u32_e32 v2, 1, v0
	s_cmp_eq_u32 s5, 0
	v_cmp_gt_i32_e32 vcc_lo, s5, v2
	s_cselect_b32 s74, -1, 0
	s_or_b32 s74, s74, vcc_lo
	s_and_b32 exec_lo, exec_lo, s74
	s_cbranch_execz .LBB122_10
; %bb.8:
	v_mov_b32_e32 v3, s5
.LBB122_9:                              ; =>This Inner Loop Header: Depth=1
	ds_cmpst_rtn_b32 v3, v1, v3, v2 offset:1888
	s_waitcnt lgkmcnt(0)
	v_cmp_ne_u32_e32 vcc_lo, 0, v3
	v_cmp_le_i32_e64 s5, v3, v2
	s_and_b32 s5, vcc_lo, s5
	s_and_b32 s5, exec_lo, s5
	s_or_b32 s73, s5, s73
	s_andn2_b32 exec_lo, exec_lo, s73
	s_cbranch_execnz .LBB122_9
.LBB122_10:
	s_or_b32 exec_lo, exec_lo, s72
	v_mov_b32_e32 v1, 0
	s_barrier
	buffer_gl0_inv
	ds_read_b32 v2, v1 offset:1888
	s_and_saveexec_b32 s5, s4
	s_cbranch_execz .LBB122_12
; %bb.11:
	s_lshl_b64 s[72:73], s[6:7], 2
	s_add_u32 s72, s10, s72
	s_addc_u32 s73, s11, s73
	s_waitcnt lgkmcnt(0)
	global_store_dword v1, v2, s[72:73]
.LBB122_12:
	s_or_b32 exec_lo, exec_lo, s5
	s_waitcnt lgkmcnt(0)
	v_cmp_ne_u32_e32 vcc_lo, 0, v2
	s_mov_b32 s5, 0
	s_cbranch_vccnz .LBB122_248
; %bb.13:
	s_clause 0x3
	buffer_load_dword v7, v130, s[0:3], 0 offen
	buffer_load_dword v8, v130, s[0:3], 0 offen offset:4
	buffer_load_dword v127, v130, s[0:3], 0 offen offset:8
	;; [unrolled: 1-line block ×3, first 2 shown]
                                        ; implicit-def: $vgpr5_vgpr6
                                        ; implicit-def: $vgpr3_vgpr4
	s_waitcnt vmcnt(0)
	v_cmp_ngt_f64_e64 s5, |v[7:8]|, |v[127:128]|
	s_and_saveexec_b32 s72, s5
	s_xor_b32 s5, exec_lo, s72
	s_cbranch_execz .LBB122_15
; %bb.14:
	v_div_scale_f64 v[1:2], null, v[127:128], v[127:128], v[7:8]
	v_div_scale_f64 v[131:132], vcc_lo, v[7:8], v[127:128], v[7:8]
	v_rcp_f64_e32 v[3:4], v[1:2]
	v_fma_f64 v[5:6], -v[1:2], v[3:4], 1.0
	v_fma_f64 v[3:4], v[3:4], v[5:6], v[3:4]
	v_fma_f64 v[5:6], -v[1:2], v[3:4], 1.0
	v_fma_f64 v[3:4], v[3:4], v[5:6], v[3:4]
	v_mul_f64 v[5:6], v[131:132], v[3:4]
	v_fma_f64 v[1:2], -v[1:2], v[5:6], v[131:132]
	v_div_fmas_f64 v[1:2], v[1:2], v[3:4], v[5:6]
	v_div_fixup_f64 v[1:2], v[1:2], v[127:128], v[7:8]
	v_fma_f64 v[3:4], v[7:8], v[1:2], v[127:128]
	v_div_scale_f64 v[5:6], null, v[3:4], v[3:4], 1.0
	v_div_scale_f64 v[131:132], vcc_lo, 1.0, v[3:4], 1.0
	v_rcp_f64_e32 v[7:8], v[5:6]
	v_fma_f64 v[127:128], -v[5:6], v[7:8], 1.0
	v_fma_f64 v[7:8], v[7:8], v[127:128], v[7:8]
	v_fma_f64 v[127:128], -v[5:6], v[7:8], 1.0
	v_fma_f64 v[7:8], v[7:8], v[127:128], v[7:8]
	v_mul_f64 v[127:128], v[131:132], v[7:8]
	v_fma_f64 v[5:6], -v[5:6], v[127:128], v[131:132]
	v_div_fmas_f64 v[5:6], v[5:6], v[7:8], v[127:128]
                                        ; implicit-def: $vgpr7_vgpr8
                                        ; implicit-def: $vgpr127_vgpr128
	v_div_fixup_f64 v[3:4], v[5:6], v[3:4], 1.0
	v_mul_f64 v[5:6], v[1:2], v[3:4]
	v_xor_b32_e32 v4, 0x80000000, v4
	v_xor_b32_e32 v2, 0x80000000, v6
	v_mov_b32_e32 v1, v5
.LBB122_15:
	s_andn2_saveexec_b32 s5, s5
	s_cbranch_execz .LBB122_17
; %bb.16:
	v_div_scale_f64 v[1:2], null, v[7:8], v[7:8], v[127:128]
	v_div_scale_f64 v[131:132], vcc_lo, v[127:128], v[7:8], v[127:128]
	v_rcp_f64_e32 v[3:4], v[1:2]
	v_fma_f64 v[5:6], -v[1:2], v[3:4], 1.0
	v_fma_f64 v[3:4], v[3:4], v[5:6], v[3:4]
	v_fma_f64 v[5:6], -v[1:2], v[3:4], 1.0
	v_fma_f64 v[3:4], v[3:4], v[5:6], v[3:4]
	v_mul_f64 v[5:6], v[131:132], v[3:4]
	v_fma_f64 v[1:2], -v[1:2], v[5:6], v[131:132]
	v_div_fmas_f64 v[1:2], v[1:2], v[3:4], v[5:6]
	v_div_fixup_f64 v[1:2], v[1:2], v[7:8], v[127:128]
	v_fma_f64 v[3:4], v[127:128], v[1:2], v[7:8]
	v_div_scale_f64 v[5:6], null, v[3:4], v[3:4], 1.0
	v_rcp_f64_e32 v[7:8], v[5:6]
	v_fma_f64 v[127:128], -v[5:6], v[7:8], 1.0
	v_fma_f64 v[7:8], v[7:8], v[127:128], v[7:8]
	v_fma_f64 v[127:128], -v[5:6], v[7:8], 1.0
	v_fma_f64 v[7:8], v[7:8], v[127:128], v[7:8]
	v_div_scale_f64 v[127:128], vcc_lo, 1.0, v[3:4], 1.0
	v_mul_f64 v[131:132], v[127:128], v[7:8]
	v_fma_f64 v[5:6], -v[5:6], v[131:132], v[127:128]
	v_div_fmas_f64 v[5:6], v[5:6], v[7:8], v[131:132]
	v_div_fixup_f64 v[5:6], v[5:6], v[3:4], 1.0
	v_mul_f64 v[3:4], v[1:2], -v[5:6]
	v_xor_b32_e32 v2, 0x80000000, v6
	v_mov_b32_e32 v1, v5
.LBB122_17:
	s_or_b32 exec_lo, exec_lo, s5
	v_mov_b32_e32 v7, s70
	buffer_store_dword v6, v130, s[0:3], 0 offen offset:4
	buffer_store_dword v5, v130, s[0:3], 0 offen
	buffer_store_dword v4, v130, s[0:3], 0 offen offset:12
	buffer_store_dword v3, v130, s[0:3], 0 offen offset:8
	v_xor_b32_e32 v4, 0x80000000, v4
	v_add_nc_u32_e32 v5, 0x3b0, v129
	s_clause 0x3
	buffer_load_dword v134, v7, s[0:3], 0 offen offset:12
	buffer_load_dword v133, v7, s[0:3], 0 offen offset:8
	;; [unrolled: 1-line block ×3, first 2 shown]
	buffer_load_dword v131, v7, s[0:3], 0 offen
	ds_write_b128 v129, v[1:4]
	s_waitcnt vmcnt(0)
	ds_write_b128 v129, v[131:134] offset:944
	s_waitcnt lgkmcnt(0)
	s_waitcnt_vscnt null, 0x0
	s_barrier
	buffer_gl0_inv
	s_and_saveexec_b32 s5, s4
	s_cbranch_execz .LBB122_19
; %bb.18:
	s_clause 0x3
	buffer_load_dword v6, v130, s[0:3], 0 offen offset:8
	buffer_load_dword v7, v130, s[0:3], 0 offen offset:12
	buffer_load_dword v127, v130, s[0:3], 0 offen
	buffer_load_dword v128, v130, s[0:3], 0 offen offset:4
	ds_read_b128 v[1:4], v5
	v_mov_b32_e32 v8, 0
	ds_read_b128 v[131:134], v8 offset:16
	s_waitcnt vmcnt(2) lgkmcnt(1)
	v_mul_f64 v[135:136], v[1:2], v[6:7]
	v_mul_f64 v[6:7], v[3:4], v[6:7]
	s_waitcnt vmcnt(0)
	v_fma_f64 v[3:4], v[3:4], v[127:128], v[135:136]
	v_fma_f64 v[1:2], v[1:2], v[127:128], -v[6:7]
	v_add_f64 v[3:4], v[3:4], 0
	v_add_f64 v[1:2], v[1:2], 0
	s_waitcnt lgkmcnt(0)
	v_mul_f64 v[6:7], v[3:4], v[133:134]
	v_mul_f64 v[127:128], v[1:2], v[133:134]
	v_fma_f64 v[1:2], v[1:2], v[131:132], -v[6:7]
	v_fma_f64 v[3:4], v[3:4], v[131:132], v[127:128]
	buffer_store_dword v1, off, s[0:3], 0 offset:32
	buffer_store_dword v2, off, s[0:3], 0 offset:36
	;; [unrolled: 1-line block ×4, first 2 shown]
.LBB122_19:
	s_or_b32 exec_lo, exec_lo, s5
	v_mov_b32_e32 v4, s69
	s_waitcnt_vscnt null, 0x0
	s_barrier
	buffer_gl0_inv
	s_mov_b32 s5, exec_lo
	s_clause 0x3
	buffer_load_dword v1, v4, s[0:3], 0 offen
	buffer_load_dword v2, v4, s[0:3], 0 offen offset:4
	buffer_load_dword v3, v4, s[0:3], 0 offen offset:8
	;; [unrolled: 1-line block ×3, first 2 shown]
	s_waitcnt vmcnt(0)
	ds_write_b128 v5, v[1:4]
	s_waitcnt lgkmcnt(0)
	s_barrier
	buffer_gl0_inv
	v_cmpx_gt_u32_e32 2, v0
	s_cbranch_execz .LBB122_23
; %bb.20:
	s_clause 0x3
	buffer_load_dword v6, v130, s[0:3], 0 offen offset:8
	buffer_load_dword v7, v130, s[0:3], 0 offen offset:12
	buffer_load_dword v127, v130, s[0:3], 0 offen
	buffer_load_dword v128, v130, s[0:3], 0 offen offset:4
	ds_read_b128 v[1:4], v5
	s_waitcnt vmcnt(2) lgkmcnt(0)
	v_mul_f64 v[130:131], v[3:4], v[6:7]
	v_mul_f64 v[6:7], v[1:2], v[6:7]
	s_waitcnt vmcnt(0)
	v_fma_f64 v[1:2], v[1:2], v[127:128], -v[130:131]
	v_fma_f64 v[3:4], v[3:4], v[127:128], v[6:7]
	v_add_f64 v[1:2], v[1:2], 0
	v_add_f64 v[3:4], v[3:4], 0
	s_and_saveexec_b32 s72, s4
	s_cbranch_execz .LBB122_22
; %bb.21:
	s_clause 0x3
	buffer_load_dword v6, off, s[0:3], 0 offset:40
	buffer_load_dword v7, off, s[0:3], 0 offset:44
	;; [unrolled: 1-line block ×4, first 2 shown]
	v_mov_b32_e32 v8, 0
	ds_read_b128 v[130:133], v8 offset:960
	s_waitcnt vmcnt(2) lgkmcnt(0)
	v_mul_f64 v[134:135], v[130:131], v[6:7]
	v_mul_f64 v[6:7], v[132:133], v[6:7]
	s_waitcnt vmcnt(0)
	v_fma_f64 v[132:133], v[132:133], v[127:128], v[134:135]
	v_fma_f64 v[6:7], v[130:131], v[127:128], -v[6:7]
	v_add_f64 v[3:4], v[3:4], v[132:133]
	v_add_f64 v[1:2], v[1:2], v[6:7]
.LBB122_22:
	s_or_b32 exec_lo, exec_lo, s72
	v_mov_b32_e32 v6, 0
	ds_read_b128 v[130:133], v6 offset:32
	s_waitcnt lgkmcnt(0)
	v_mul_f64 v[6:7], v[3:4], v[132:133]
	v_mul_f64 v[127:128], v[1:2], v[132:133]
	v_fma_f64 v[1:2], v[1:2], v[130:131], -v[6:7]
	v_fma_f64 v[3:4], v[3:4], v[130:131], v[127:128]
	buffer_store_dword v2, off, s[0:3], 0 offset:52
	buffer_store_dword v1, off, s[0:3], 0 offset:48
	;; [unrolled: 1-line block ×4, first 2 shown]
.LBB122_23:
	s_or_b32 exec_lo, exec_lo, s5
	v_mov_b32_e32 v4, s68
	s_waitcnt_vscnt null, 0x0
	s_barrier
	buffer_gl0_inv
	v_add_nc_u32_e32 v6, -1, v0
	s_clause 0x3
	buffer_load_dword v1, v4, s[0:3], 0 offen
	buffer_load_dword v2, v4, s[0:3], 0 offen offset:4
	buffer_load_dword v3, v4, s[0:3], 0 offen offset:8
	;; [unrolled: 1-line block ×3, first 2 shown]
	s_mov_b32 s4, exec_lo
	s_waitcnt vmcnt(0)
	ds_write_b128 v5, v[1:4]
	s_waitcnt lgkmcnt(0)
	s_barrier
	buffer_gl0_inv
	v_cmpx_gt_u32_e32 3, v0
	s_cbranch_execz .LBB122_27
; %bb.24:
	v_mov_b32_e32 v1, 0
	v_mov_b32_e32 v3, 0
	v_add_nc_u32_e32 v7, -1, v0
	v_add_nc_u32_e32 v8, 0x3b0, v129
	v_mov_b32_e32 v2, 0
	v_mov_b32_e32 v4, 0
	v_add_nc_u32_e32 v127, 16, v129
	s_mov_b32 s5, 0
	.p2align	6
.LBB122_25:                             ; =>This Inner Loop Header: Depth=1
	s_clause 0x3
	buffer_load_dword v134, v127, s[0:3], 0 offen offset:8
	buffer_load_dword v135, v127, s[0:3], 0 offen offset:12
	buffer_load_dword v136, v127, s[0:3], 0 offen
	buffer_load_dword v137, v127, s[0:3], 0 offen offset:4
	ds_read_b128 v[130:133], v8
	v_add_nc_u32_e32 v7, 1, v7
	v_add_nc_u32_e32 v8, 16, v8
	;; [unrolled: 1-line block ×3, first 2 shown]
	v_cmp_lt_u32_e32 vcc_lo, 1, v7
	s_or_b32 s5, vcc_lo, s5
	s_waitcnt vmcnt(2) lgkmcnt(0)
	v_mul_f64 v[138:139], v[132:133], v[134:135]
	v_mul_f64 v[134:135], v[130:131], v[134:135]
	s_waitcnt vmcnt(0)
	v_fma_f64 v[130:131], v[130:131], v[136:137], -v[138:139]
	v_fma_f64 v[132:133], v[132:133], v[136:137], v[134:135]
	v_add_f64 v[3:4], v[3:4], v[130:131]
	v_add_f64 v[1:2], v[1:2], v[132:133]
	s_andn2_b32 exec_lo, exec_lo, s5
	s_cbranch_execnz .LBB122_25
; %bb.26:
	s_or_b32 exec_lo, exec_lo, s5
	v_mov_b32_e32 v7, 0
	ds_read_b128 v[130:133], v7 offset:48
	s_waitcnt lgkmcnt(0)
	v_mul_f64 v[7:8], v[1:2], v[132:133]
	v_mul_f64 v[127:128], v[3:4], v[132:133]
	v_fma_f64 v[3:4], v[3:4], v[130:131], -v[7:8]
	v_fma_f64 v[1:2], v[1:2], v[130:131], v[127:128]
	buffer_store_dword v4, off, s[0:3], 0 offset:68
	buffer_store_dword v3, off, s[0:3], 0 offset:64
	;; [unrolled: 1-line block ×4, first 2 shown]
.LBB122_27:
	s_or_b32 exec_lo, exec_lo, s4
	v_mov_b32_e32 v4, s67
	s_waitcnt_vscnt null, 0x0
	s_barrier
	buffer_gl0_inv
	s_mov_b32 s4, exec_lo
	s_clause 0x3
	buffer_load_dword v1, v4, s[0:3], 0 offen
	buffer_load_dword v2, v4, s[0:3], 0 offen offset:4
	buffer_load_dword v3, v4, s[0:3], 0 offen offset:8
	;; [unrolled: 1-line block ×3, first 2 shown]
	s_waitcnt vmcnt(0)
	ds_write_b128 v5, v[1:4]
	s_waitcnt lgkmcnt(0)
	s_barrier
	buffer_gl0_inv
	v_cmpx_gt_u32_e32 4, v0
	s_cbranch_execz .LBB122_31
; %bb.28:
	v_mov_b32_e32 v1, 0
	v_mov_b32_e32 v3, 0
	v_add_nc_u32_e32 v7, -1, v0
	v_add_nc_u32_e32 v8, 0x3b0, v129
	v_mov_b32_e32 v2, 0
	v_mov_b32_e32 v4, 0
	v_add_nc_u32_e32 v127, 16, v129
	s_mov_b32 s5, 0
	.p2align	6
.LBB122_29:                             ; =>This Inner Loop Header: Depth=1
	s_clause 0x3
	buffer_load_dword v134, v127, s[0:3], 0 offen offset:8
	buffer_load_dword v135, v127, s[0:3], 0 offen offset:12
	buffer_load_dword v136, v127, s[0:3], 0 offen
	buffer_load_dword v137, v127, s[0:3], 0 offen offset:4
	ds_read_b128 v[130:133], v8
	v_add_nc_u32_e32 v7, 1, v7
	v_add_nc_u32_e32 v8, 16, v8
	;; [unrolled: 1-line block ×3, first 2 shown]
	v_cmp_lt_u32_e32 vcc_lo, 2, v7
	s_or_b32 s5, vcc_lo, s5
	s_waitcnt vmcnt(2) lgkmcnt(0)
	v_mul_f64 v[138:139], v[132:133], v[134:135]
	v_mul_f64 v[134:135], v[130:131], v[134:135]
	s_waitcnt vmcnt(0)
	v_fma_f64 v[130:131], v[130:131], v[136:137], -v[138:139]
	v_fma_f64 v[132:133], v[132:133], v[136:137], v[134:135]
	v_add_f64 v[3:4], v[3:4], v[130:131]
	v_add_f64 v[1:2], v[1:2], v[132:133]
	s_andn2_b32 exec_lo, exec_lo, s5
	s_cbranch_execnz .LBB122_29
; %bb.30:
	s_or_b32 exec_lo, exec_lo, s5
	v_mov_b32_e32 v7, 0
	ds_read_b128 v[130:133], v7 offset:64
	s_waitcnt lgkmcnt(0)
	v_mul_f64 v[7:8], v[1:2], v[132:133]
	v_mul_f64 v[127:128], v[3:4], v[132:133]
	v_fma_f64 v[3:4], v[3:4], v[130:131], -v[7:8]
	v_fma_f64 v[1:2], v[1:2], v[130:131], v[127:128]
	buffer_store_dword v4, off, s[0:3], 0 offset:84
	buffer_store_dword v3, off, s[0:3], 0 offset:80
	;; [unrolled: 1-line block ×4, first 2 shown]
.LBB122_31:
	s_or_b32 exec_lo, exec_lo, s4
	v_mov_b32_e32 v4, s66
	s_waitcnt_vscnt null, 0x0
	s_barrier
	buffer_gl0_inv
	s_mov_b32 s4, exec_lo
	s_clause 0x3
	buffer_load_dword v1, v4, s[0:3], 0 offen
	buffer_load_dword v2, v4, s[0:3], 0 offen offset:4
	buffer_load_dword v3, v4, s[0:3], 0 offen offset:8
	buffer_load_dword v4, v4, s[0:3], 0 offen offset:12
	s_waitcnt vmcnt(0)
	ds_write_b128 v5, v[1:4]
	s_waitcnt lgkmcnt(0)
	s_barrier
	buffer_gl0_inv
	v_cmpx_gt_u32_e32 5, v0
	s_cbranch_execz .LBB122_35
; %bb.32:
	v_mov_b32_e32 v1, 0
	v_mov_b32_e32 v3, 0
	v_add_nc_u32_e32 v7, -1, v0
	v_add_nc_u32_e32 v8, 0x3b0, v129
	v_mov_b32_e32 v2, 0
	v_mov_b32_e32 v4, 0
	v_add_nc_u32_e32 v127, 16, v129
	s_mov_b32 s5, 0
	.p2align	6
.LBB122_33:                             ; =>This Inner Loop Header: Depth=1
	s_clause 0x3
	buffer_load_dword v134, v127, s[0:3], 0 offen offset:8
	buffer_load_dword v135, v127, s[0:3], 0 offen offset:12
	buffer_load_dword v136, v127, s[0:3], 0 offen
	buffer_load_dword v137, v127, s[0:3], 0 offen offset:4
	ds_read_b128 v[130:133], v8
	v_add_nc_u32_e32 v7, 1, v7
	v_add_nc_u32_e32 v8, 16, v8
	;; [unrolled: 1-line block ×3, first 2 shown]
	v_cmp_lt_u32_e32 vcc_lo, 3, v7
	s_or_b32 s5, vcc_lo, s5
	s_waitcnt vmcnt(2) lgkmcnt(0)
	v_mul_f64 v[138:139], v[132:133], v[134:135]
	v_mul_f64 v[134:135], v[130:131], v[134:135]
	s_waitcnt vmcnt(0)
	v_fma_f64 v[130:131], v[130:131], v[136:137], -v[138:139]
	v_fma_f64 v[132:133], v[132:133], v[136:137], v[134:135]
	v_add_f64 v[3:4], v[3:4], v[130:131]
	v_add_f64 v[1:2], v[1:2], v[132:133]
	s_andn2_b32 exec_lo, exec_lo, s5
	s_cbranch_execnz .LBB122_33
; %bb.34:
	s_or_b32 exec_lo, exec_lo, s5
	v_mov_b32_e32 v7, 0
	ds_read_b128 v[130:133], v7 offset:80
	s_waitcnt lgkmcnt(0)
	v_mul_f64 v[7:8], v[1:2], v[132:133]
	v_mul_f64 v[127:128], v[3:4], v[132:133]
	v_fma_f64 v[3:4], v[3:4], v[130:131], -v[7:8]
	v_fma_f64 v[1:2], v[1:2], v[130:131], v[127:128]
	buffer_store_dword v4, off, s[0:3], 0 offset:100
	buffer_store_dword v3, off, s[0:3], 0 offset:96
	buffer_store_dword v2, off, s[0:3], 0 offset:108
	buffer_store_dword v1, off, s[0:3], 0 offset:104
.LBB122_35:
	s_or_b32 exec_lo, exec_lo, s4
	v_mov_b32_e32 v4, s65
	s_waitcnt_vscnt null, 0x0
	s_barrier
	buffer_gl0_inv
	s_mov_b32 s4, exec_lo
	s_clause 0x3
	buffer_load_dword v1, v4, s[0:3], 0 offen
	buffer_load_dword v2, v4, s[0:3], 0 offen offset:4
	buffer_load_dword v3, v4, s[0:3], 0 offen offset:8
	;; [unrolled: 1-line block ×3, first 2 shown]
	s_waitcnt vmcnt(0)
	ds_write_b128 v5, v[1:4]
	s_waitcnt lgkmcnt(0)
	s_barrier
	buffer_gl0_inv
	v_cmpx_gt_u32_e32 6, v0
	s_cbranch_execz .LBB122_39
; %bb.36:
	v_mov_b32_e32 v1, 0
	v_mov_b32_e32 v3, 0
	v_add_nc_u32_e32 v7, -1, v0
	v_add_nc_u32_e32 v8, 0x3b0, v129
	v_mov_b32_e32 v2, 0
	v_mov_b32_e32 v4, 0
	v_add_nc_u32_e32 v127, 16, v129
	s_mov_b32 s5, 0
	.p2align	6
.LBB122_37:                             ; =>This Inner Loop Header: Depth=1
	s_clause 0x3
	buffer_load_dword v134, v127, s[0:3], 0 offen offset:8
	buffer_load_dword v135, v127, s[0:3], 0 offen offset:12
	buffer_load_dword v136, v127, s[0:3], 0 offen
	buffer_load_dword v137, v127, s[0:3], 0 offen offset:4
	ds_read_b128 v[130:133], v8
	v_add_nc_u32_e32 v7, 1, v7
	v_add_nc_u32_e32 v8, 16, v8
	;; [unrolled: 1-line block ×3, first 2 shown]
	v_cmp_lt_u32_e32 vcc_lo, 4, v7
	s_or_b32 s5, vcc_lo, s5
	s_waitcnt vmcnt(2) lgkmcnt(0)
	v_mul_f64 v[138:139], v[132:133], v[134:135]
	v_mul_f64 v[134:135], v[130:131], v[134:135]
	s_waitcnt vmcnt(0)
	v_fma_f64 v[130:131], v[130:131], v[136:137], -v[138:139]
	v_fma_f64 v[132:133], v[132:133], v[136:137], v[134:135]
	v_add_f64 v[3:4], v[3:4], v[130:131]
	v_add_f64 v[1:2], v[1:2], v[132:133]
	s_andn2_b32 exec_lo, exec_lo, s5
	s_cbranch_execnz .LBB122_37
; %bb.38:
	s_or_b32 exec_lo, exec_lo, s5
	v_mov_b32_e32 v7, 0
	ds_read_b128 v[130:133], v7 offset:96
	s_waitcnt lgkmcnt(0)
	v_mul_f64 v[7:8], v[1:2], v[132:133]
	v_mul_f64 v[127:128], v[3:4], v[132:133]
	v_fma_f64 v[3:4], v[3:4], v[130:131], -v[7:8]
	v_fma_f64 v[1:2], v[1:2], v[130:131], v[127:128]
	buffer_store_dword v4, off, s[0:3], 0 offset:116
	buffer_store_dword v3, off, s[0:3], 0 offset:112
	;; [unrolled: 1-line block ×4, first 2 shown]
.LBB122_39:
	s_or_b32 exec_lo, exec_lo, s4
	v_mov_b32_e32 v4, s64
	s_waitcnt_vscnt null, 0x0
	s_barrier
	buffer_gl0_inv
	s_mov_b32 s4, exec_lo
	s_clause 0x3
	buffer_load_dword v1, v4, s[0:3], 0 offen
	buffer_load_dword v2, v4, s[0:3], 0 offen offset:4
	buffer_load_dword v3, v4, s[0:3], 0 offen offset:8
	;; [unrolled: 1-line block ×3, first 2 shown]
	s_waitcnt vmcnt(0)
	ds_write_b128 v5, v[1:4]
	s_waitcnt lgkmcnt(0)
	s_barrier
	buffer_gl0_inv
	v_cmpx_gt_u32_e32 7, v0
	s_cbranch_execz .LBB122_43
; %bb.40:
	v_mov_b32_e32 v1, 0
	v_mov_b32_e32 v3, 0
	v_add_nc_u32_e32 v7, -1, v0
	v_add_nc_u32_e32 v8, 0x3b0, v129
	v_mov_b32_e32 v2, 0
	v_mov_b32_e32 v4, 0
	v_add_nc_u32_e32 v127, 16, v129
	s_mov_b32 s5, 0
	.p2align	6
.LBB122_41:                             ; =>This Inner Loop Header: Depth=1
	s_clause 0x3
	buffer_load_dword v134, v127, s[0:3], 0 offen offset:8
	buffer_load_dword v135, v127, s[0:3], 0 offen offset:12
	buffer_load_dword v136, v127, s[0:3], 0 offen
	buffer_load_dword v137, v127, s[0:3], 0 offen offset:4
	ds_read_b128 v[130:133], v8
	v_add_nc_u32_e32 v7, 1, v7
	v_add_nc_u32_e32 v8, 16, v8
	;; [unrolled: 1-line block ×3, first 2 shown]
	v_cmp_lt_u32_e32 vcc_lo, 5, v7
	s_or_b32 s5, vcc_lo, s5
	s_waitcnt vmcnt(2) lgkmcnt(0)
	v_mul_f64 v[138:139], v[132:133], v[134:135]
	v_mul_f64 v[134:135], v[130:131], v[134:135]
	s_waitcnt vmcnt(0)
	v_fma_f64 v[130:131], v[130:131], v[136:137], -v[138:139]
	v_fma_f64 v[132:133], v[132:133], v[136:137], v[134:135]
	v_add_f64 v[3:4], v[3:4], v[130:131]
	v_add_f64 v[1:2], v[1:2], v[132:133]
	s_andn2_b32 exec_lo, exec_lo, s5
	s_cbranch_execnz .LBB122_41
; %bb.42:
	s_or_b32 exec_lo, exec_lo, s5
	v_mov_b32_e32 v7, 0
	ds_read_b128 v[130:133], v7 offset:112
	s_waitcnt lgkmcnt(0)
	v_mul_f64 v[7:8], v[1:2], v[132:133]
	v_mul_f64 v[127:128], v[3:4], v[132:133]
	v_fma_f64 v[3:4], v[3:4], v[130:131], -v[7:8]
	v_fma_f64 v[1:2], v[1:2], v[130:131], v[127:128]
	buffer_store_dword v4, off, s[0:3], 0 offset:132
	buffer_store_dword v3, off, s[0:3], 0 offset:128
	;; [unrolled: 1-line block ×4, first 2 shown]
.LBB122_43:
	s_or_b32 exec_lo, exec_lo, s4
	v_mov_b32_e32 v4, s63
	s_waitcnt_vscnt null, 0x0
	s_barrier
	buffer_gl0_inv
	s_mov_b32 s4, exec_lo
	s_clause 0x3
	buffer_load_dword v1, v4, s[0:3], 0 offen
	buffer_load_dword v2, v4, s[0:3], 0 offen offset:4
	buffer_load_dword v3, v4, s[0:3], 0 offen offset:8
	buffer_load_dword v4, v4, s[0:3], 0 offen offset:12
	s_waitcnt vmcnt(0)
	ds_write_b128 v5, v[1:4]
	s_waitcnt lgkmcnt(0)
	s_barrier
	buffer_gl0_inv
	v_cmpx_gt_u32_e32 8, v0
	s_cbranch_execz .LBB122_47
; %bb.44:
	v_mov_b32_e32 v1, 0
	v_mov_b32_e32 v3, 0
	v_add_nc_u32_e32 v7, -1, v0
	v_add_nc_u32_e32 v8, 0x3b0, v129
	v_mov_b32_e32 v2, 0
	v_mov_b32_e32 v4, 0
	v_add_nc_u32_e32 v127, 16, v129
	s_mov_b32 s5, 0
	.p2align	6
.LBB122_45:                             ; =>This Inner Loop Header: Depth=1
	s_clause 0x3
	buffer_load_dword v134, v127, s[0:3], 0 offen offset:8
	buffer_load_dword v135, v127, s[0:3], 0 offen offset:12
	buffer_load_dword v136, v127, s[0:3], 0 offen
	buffer_load_dword v137, v127, s[0:3], 0 offen offset:4
	ds_read_b128 v[130:133], v8
	v_add_nc_u32_e32 v7, 1, v7
	v_add_nc_u32_e32 v8, 16, v8
	;; [unrolled: 1-line block ×3, first 2 shown]
	v_cmp_lt_u32_e32 vcc_lo, 6, v7
	s_or_b32 s5, vcc_lo, s5
	s_waitcnt vmcnt(2) lgkmcnt(0)
	v_mul_f64 v[138:139], v[132:133], v[134:135]
	v_mul_f64 v[134:135], v[130:131], v[134:135]
	s_waitcnt vmcnt(0)
	v_fma_f64 v[130:131], v[130:131], v[136:137], -v[138:139]
	v_fma_f64 v[132:133], v[132:133], v[136:137], v[134:135]
	v_add_f64 v[3:4], v[3:4], v[130:131]
	v_add_f64 v[1:2], v[1:2], v[132:133]
	s_andn2_b32 exec_lo, exec_lo, s5
	s_cbranch_execnz .LBB122_45
; %bb.46:
	s_or_b32 exec_lo, exec_lo, s5
	v_mov_b32_e32 v7, 0
	ds_read_b128 v[130:133], v7 offset:128
	s_waitcnt lgkmcnt(0)
	v_mul_f64 v[7:8], v[1:2], v[132:133]
	v_mul_f64 v[127:128], v[3:4], v[132:133]
	v_fma_f64 v[3:4], v[3:4], v[130:131], -v[7:8]
	v_fma_f64 v[1:2], v[1:2], v[130:131], v[127:128]
	buffer_store_dword v4, off, s[0:3], 0 offset:148
	buffer_store_dword v3, off, s[0:3], 0 offset:144
	;; [unrolled: 1-line block ×4, first 2 shown]
.LBB122_47:
	s_or_b32 exec_lo, exec_lo, s4
	v_mov_b32_e32 v4, s62
	s_waitcnt_vscnt null, 0x0
	s_barrier
	buffer_gl0_inv
	s_mov_b32 s4, exec_lo
	s_clause 0x3
	buffer_load_dword v1, v4, s[0:3], 0 offen
	buffer_load_dword v2, v4, s[0:3], 0 offen offset:4
	buffer_load_dword v3, v4, s[0:3], 0 offen offset:8
	;; [unrolled: 1-line block ×3, first 2 shown]
	s_waitcnt vmcnt(0)
	ds_write_b128 v5, v[1:4]
	s_waitcnt lgkmcnt(0)
	s_barrier
	buffer_gl0_inv
	v_cmpx_gt_u32_e32 9, v0
	s_cbranch_execz .LBB122_51
; %bb.48:
	v_mov_b32_e32 v1, 0
	v_mov_b32_e32 v3, 0
	v_add_nc_u32_e32 v7, -1, v0
	v_add_nc_u32_e32 v8, 0x3b0, v129
	v_mov_b32_e32 v2, 0
	v_mov_b32_e32 v4, 0
	v_add_nc_u32_e32 v127, 16, v129
	s_mov_b32 s5, 0
	.p2align	6
.LBB122_49:                             ; =>This Inner Loop Header: Depth=1
	s_clause 0x3
	buffer_load_dword v134, v127, s[0:3], 0 offen offset:8
	buffer_load_dword v135, v127, s[0:3], 0 offen offset:12
	buffer_load_dword v136, v127, s[0:3], 0 offen
	buffer_load_dword v137, v127, s[0:3], 0 offen offset:4
	ds_read_b128 v[130:133], v8
	v_add_nc_u32_e32 v7, 1, v7
	v_add_nc_u32_e32 v8, 16, v8
	;; [unrolled: 1-line block ×3, first 2 shown]
	v_cmp_lt_u32_e32 vcc_lo, 7, v7
	s_or_b32 s5, vcc_lo, s5
	s_waitcnt vmcnt(2) lgkmcnt(0)
	v_mul_f64 v[138:139], v[132:133], v[134:135]
	v_mul_f64 v[134:135], v[130:131], v[134:135]
	s_waitcnt vmcnt(0)
	v_fma_f64 v[130:131], v[130:131], v[136:137], -v[138:139]
	v_fma_f64 v[132:133], v[132:133], v[136:137], v[134:135]
	v_add_f64 v[3:4], v[3:4], v[130:131]
	v_add_f64 v[1:2], v[1:2], v[132:133]
	s_andn2_b32 exec_lo, exec_lo, s5
	s_cbranch_execnz .LBB122_49
; %bb.50:
	s_or_b32 exec_lo, exec_lo, s5
	v_mov_b32_e32 v7, 0
	ds_read_b128 v[130:133], v7 offset:144
	s_waitcnt lgkmcnt(0)
	v_mul_f64 v[7:8], v[1:2], v[132:133]
	v_mul_f64 v[127:128], v[3:4], v[132:133]
	v_fma_f64 v[3:4], v[3:4], v[130:131], -v[7:8]
	v_fma_f64 v[1:2], v[1:2], v[130:131], v[127:128]
	buffer_store_dword v4, off, s[0:3], 0 offset:164
	buffer_store_dword v3, off, s[0:3], 0 offset:160
	;; [unrolled: 1-line block ×4, first 2 shown]
.LBB122_51:
	s_or_b32 exec_lo, exec_lo, s4
	v_mov_b32_e32 v4, s61
	s_waitcnt_vscnt null, 0x0
	s_barrier
	buffer_gl0_inv
	s_mov_b32 s4, exec_lo
	s_clause 0x3
	buffer_load_dword v1, v4, s[0:3], 0 offen
	buffer_load_dword v2, v4, s[0:3], 0 offen offset:4
	buffer_load_dword v3, v4, s[0:3], 0 offen offset:8
	;; [unrolled: 1-line block ×3, first 2 shown]
	s_waitcnt vmcnt(0)
	ds_write_b128 v5, v[1:4]
	s_waitcnt lgkmcnt(0)
	s_barrier
	buffer_gl0_inv
	v_cmpx_gt_u32_e32 10, v0
	s_cbranch_execz .LBB122_55
; %bb.52:
	v_mov_b32_e32 v1, 0
	v_mov_b32_e32 v3, 0
	v_add_nc_u32_e32 v7, -1, v0
	v_add_nc_u32_e32 v8, 0x3b0, v129
	v_mov_b32_e32 v2, 0
	v_mov_b32_e32 v4, 0
	v_add_nc_u32_e32 v127, 16, v129
	s_mov_b32 s5, 0
	.p2align	6
.LBB122_53:                             ; =>This Inner Loop Header: Depth=1
	s_clause 0x3
	buffer_load_dword v134, v127, s[0:3], 0 offen offset:8
	buffer_load_dword v135, v127, s[0:3], 0 offen offset:12
	buffer_load_dword v136, v127, s[0:3], 0 offen
	buffer_load_dword v137, v127, s[0:3], 0 offen offset:4
	ds_read_b128 v[130:133], v8
	v_add_nc_u32_e32 v7, 1, v7
	v_add_nc_u32_e32 v8, 16, v8
	;; [unrolled: 1-line block ×3, first 2 shown]
	v_cmp_lt_u32_e32 vcc_lo, 8, v7
	s_or_b32 s5, vcc_lo, s5
	s_waitcnt vmcnt(2) lgkmcnt(0)
	v_mul_f64 v[138:139], v[132:133], v[134:135]
	v_mul_f64 v[134:135], v[130:131], v[134:135]
	s_waitcnt vmcnt(0)
	v_fma_f64 v[130:131], v[130:131], v[136:137], -v[138:139]
	v_fma_f64 v[132:133], v[132:133], v[136:137], v[134:135]
	v_add_f64 v[3:4], v[3:4], v[130:131]
	v_add_f64 v[1:2], v[1:2], v[132:133]
	s_andn2_b32 exec_lo, exec_lo, s5
	s_cbranch_execnz .LBB122_53
; %bb.54:
	s_or_b32 exec_lo, exec_lo, s5
	v_mov_b32_e32 v7, 0
	ds_read_b128 v[130:133], v7 offset:160
	s_waitcnt lgkmcnt(0)
	v_mul_f64 v[7:8], v[1:2], v[132:133]
	v_mul_f64 v[127:128], v[3:4], v[132:133]
	v_fma_f64 v[3:4], v[3:4], v[130:131], -v[7:8]
	v_fma_f64 v[1:2], v[1:2], v[130:131], v[127:128]
	buffer_store_dword v4, off, s[0:3], 0 offset:180
	buffer_store_dword v3, off, s[0:3], 0 offset:176
	;; [unrolled: 1-line block ×4, first 2 shown]
.LBB122_55:
	s_or_b32 exec_lo, exec_lo, s4
	v_mov_b32_e32 v4, s60
	s_waitcnt_vscnt null, 0x0
	s_barrier
	buffer_gl0_inv
	s_mov_b32 s4, exec_lo
	s_clause 0x3
	buffer_load_dword v1, v4, s[0:3], 0 offen
	buffer_load_dword v2, v4, s[0:3], 0 offen offset:4
	buffer_load_dword v3, v4, s[0:3], 0 offen offset:8
	;; [unrolled: 1-line block ×3, first 2 shown]
	s_waitcnt vmcnt(0)
	ds_write_b128 v5, v[1:4]
	s_waitcnt lgkmcnt(0)
	s_barrier
	buffer_gl0_inv
	v_cmpx_gt_u32_e32 11, v0
	s_cbranch_execz .LBB122_59
; %bb.56:
	v_mov_b32_e32 v1, 0
	v_mov_b32_e32 v3, 0
	v_add_nc_u32_e32 v7, -1, v0
	v_add_nc_u32_e32 v8, 0x3b0, v129
	v_mov_b32_e32 v2, 0
	v_mov_b32_e32 v4, 0
	v_add_nc_u32_e32 v127, 16, v129
	s_mov_b32 s5, 0
	.p2align	6
.LBB122_57:                             ; =>This Inner Loop Header: Depth=1
	s_clause 0x3
	buffer_load_dword v134, v127, s[0:3], 0 offen offset:8
	buffer_load_dword v135, v127, s[0:3], 0 offen offset:12
	buffer_load_dword v136, v127, s[0:3], 0 offen
	buffer_load_dword v137, v127, s[0:3], 0 offen offset:4
	ds_read_b128 v[130:133], v8
	v_add_nc_u32_e32 v7, 1, v7
	v_add_nc_u32_e32 v8, 16, v8
	;; [unrolled: 1-line block ×3, first 2 shown]
	v_cmp_lt_u32_e32 vcc_lo, 9, v7
	s_or_b32 s5, vcc_lo, s5
	s_waitcnt vmcnt(2) lgkmcnt(0)
	v_mul_f64 v[138:139], v[132:133], v[134:135]
	v_mul_f64 v[134:135], v[130:131], v[134:135]
	s_waitcnt vmcnt(0)
	v_fma_f64 v[130:131], v[130:131], v[136:137], -v[138:139]
	v_fma_f64 v[132:133], v[132:133], v[136:137], v[134:135]
	v_add_f64 v[3:4], v[3:4], v[130:131]
	v_add_f64 v[1:2], v[1:2], v[132:133]
	s_andn2_b32 exec_lo, exec_lo, s5
	s_cbranch_execnz .LBB122_57
; %bb.58:
	s_or_b32 exec_lo, exec_lo, s5
	v_mov_b32_e32 v7, 0
	ds_read_b128 v[130:133], v7 offset:176
	s_waitcnt lgkmcnt(0)
	v_mul_f64 v[7:8], v[1:2], v[132:133]
	v_mul_f64 v[127:128], v[3:4], v[132:133]
	v_fma_f64 v[3:4], v[3:4], v[130:131], -v[7:8]
	v_fma_f64 v[1:2], v[1:2], v[130:131], v[127:128]
	buffer_store_dword v4, off, s[0:3], 0 offset:196
	buffer_store_dword v3, off, s[0:3], 0 offset:192
	;; [unrolled: 1-line block ×4, first 2 shown]
.LBB122_59:
	s_or_b32 exec_lo, exec_lo, s4
	v_mov_b32_e32 v4, s59
	s_waitcnt_vscnt null, 0x0
	s_barrier
	buffer_gl0_inv
	s_mov_b32 s4, exec_lo
	s_clause 0x3
	buffer_load_dword v1, v4, s[0:3], 0 offen
	buffer_load_dword v2, v4, s[0:3], 0 offen offset:4
	buffer_load_dword v3, v4, s[0:3], 0 offen offset:8
	;; [unrolled: 1-line block ×3, first 2 shown]
	s_waitcnt vmcnt(0)
	ds_write_b128 v5, v[1:4]
	s_waitcnt lgkmcnt(0)
	s_barrier
	buffer_gl0_inv
	v_cmpx_gt_u32_e32 12, v0
	s_cbranch_execz .LBB122_63
; %bb.60:
	v_mov_b32_e32 v1, 0
	v_mov_b32_e32 v3, 0
	v_add_nc_u32_e32 v7, -1, v0
	v_add_nc_u32_e32 v8, 0x3b0, v129
	v_mov_b32_e32 v2, 0
	v_mov_b32_e32 v4, 0
	v_add_nc_u32_e32 v127, 16, v129
	s_mov_b32 s5, 0
	.p2align	6
.LBB122_61:                             ; =>This Inner Loop Header: Depth=1
	s_clause 0x3
	buffer_load_dword v134, v127, s[0:3], 0 offen offset:8
	buffer_load_dword v135, v127, s[0:3], 0 offen offset:12
	buffer_load_dword v136, v127, s[0:3], 0 offen
	buffer_load_dword v137, v127, s[0:3], 0 offen offset:4
	ds_read_b128 v[130:133], v8
	v_add_nc_u32_e32 v7, 1, v7
	v_add_nc_u32_e32 v8, 16, v8
	;; [unrolled: 1-line block ×3, first 2 shown]
	v_cmp_lt_u32_e32 vcc_lo, 10, v7
	s_or_b32 s5, vcc_lo, s5
	s_waitcnt vmcnt(2) lgkmcnt(0)
	v_mul_f64 v[138:139], v[132:133], v[134:135]
	v_mul_f64 v[134:135], v[130:131], v[134:135]
	s_waitcnt vmcnt(0)
	v_fma_f64 v[130:131], v[130:131], v[136:137], -v[138:139]
	v_fma_f64 v[132:133], v[132:133], v[136:137], v[134:135]
	v_add_f64 v[3:4], v[3:4], v[130:131]
	v_add_f64 v[1:2], v[1:2], v[132:133]
	s_andn2_b32 exec_lo, exec_lo, s5
	s_cbranch_execnz .LBB122_61
; %bb.62:
	s_or_b32 exec_lo, exec_lo, s5
	v_mov_b32_e32 v7, 0
	ds_read_b128 v[130:133], v7 offset:192
	s_waitcnt lgkmcnt(0)
	v_mul_f64 v[7:8], v[1:2], v[132:133]
	v_mul_f64 v[127:128], v[3:4], v[132:133]
	v_fma_f64 v[3:4], v[3:4], v[130:131], -v[7:8]
	v_fma_f64 v[1:2], v[1:2], v[130:131], v[127:128]
	buffer_store_dword v4, off, s[0:3], 0 offset:212
	buffer_store_dword v3, off, s[0:3], 0 offset:208
	;; [unrolled: 1-line block ×4, first 2 shown]
.LBB122_63:
	s_or_b32 exec_lo, exec_lo, s4
	v_mov_b32_e32 v4, s58
	s_waitcnt_vscnt null, 0x0
	s_barrier
	buffer_gl0_inv
	s_mov_b32 s4, exec_lo
	s_clause 0x3
	buffer_load_dword v1, v4, s[0:3], 0 offen
	buffer_load_dword v2, v4, s[0:3], 0 offen offset:4
	buffer_load_dword v3, v4, s[0:3], 0 offen offset:8
	;; [unrolled: 1-line block ×3, first 2 shown]
	s_waitcnt vmcnt(0)
	ds_write_b128 v5, v[1:4]
	s_waitcnt lgkmcnt(0)
	s_barrier
	buffer_gl0_inv
	v_cmpx_gt_u32_e32 13, v0
	s_cbranch_execz .LBB122_67
; %bb.64:
	v_mov_b32_e32 v1, 0
	v_mov_b32_e32 v3, 0
	v_add_nc_u32_e32 v7, -1, v0
	v_add_nc_u32_e32 v8, 0x3b0, v129
	v_mov_b32_e32 v2, 0
	v_mov_b32_e32 v4, 0
	v_add_nc_u32_e32 v127, 16, v129
	s_mov_b32 s5, 0
	.p2align	6
.LBB122_65:                             ; =>This Inner Loop Header: Depth=1
	s_clause 0x3
	buffer_load_dword v134, v127, s[0:3], 0 offen offset:8
	buffer_load_dword v135, v127, s[0:3], 0 offen offset:12
	buffer_load_dword v136, v127, s[0:3], 0 offen
	buffer_load_dword v137, v127, s[0:3], 0 offen offset:4
	ds_read_b128 v[130:133], v8
	v_add_nc_u32_e32 v7, 1, v7
	v_add_nc_u32_e32 v8, 16, v8
	;; [unrolled: 1-line block ×3, first 2 shown]
	v_cmp_lt_u32_e32 vcc_lo, 11, v7
	s_or_b32 s5, vcc_lo, s5
	s_waitcnt vmcnt(2) lgkmcnt(0)
	v_mul_f64 v[138:139], v[132:133], v[134:135]
	v_mul_f64 v[134:135], v[130:131], v[134:135]
	s_waitcnt vmcnt(0)
	v_fma_f64 v[130:131], v[130:131], v[136:137], -v[138:139]
	v_fma_f64 v[132:133], v[132:133], v[136:137], v[134:135]
	v_add_f64 v[3:4], v[3:4], v[130:131]
	v_add_f64 v[1:2], v[1:2], v[132:133]
	s_andn2_b32 exec_lo, exec_lo, s5
	s_cbranch_execnz .LBB122_65
; %bb.66:
	s_or_b32 exec_lo, exec_lo, s5
	v_mov_b32_e32 v7, 0
	ds_read_b128 v[130:133], v7 offset:208
	s_waitcnt lgkmcnt(0)
	v_mul_f64 v[7:8], v[1:2], v[132:133]
	v_mul_f64 v[127:128], v[3:4], v[132:133]
	v_fma_f64 v[3:4], v[3:4], v[130:131], -v[7:8]
	v_fma_f64 v[1:2], v[1:2], v[130:131], v[127:128]
	buffer_store_dword v4, off, s[0:3], 0 offset:228
	buffer_store_dword v3, off, s[0:3], 0 offset:224
	;; [unrolled: 1-line block ×4, first 2 shown]
.LBB122_67:
	s_or_b32 exec_lo, exec_lo, s4
	v_mov_b32_e32 v4, s57
	s_waitcnt_vscnt null, 0x0
	s_barrier
	buffer_gl0_inv
	s_mov_b32 s4, exec_lo
	s_clause 0x3
	buffer_load_dword v1, v4, s[0:3], 0 offen
	buffer_load_dword v2, v4, s[0:3], 0 offen offset:4
	buffer_load_dword v3, v4, s[0:3], 0 offen offset:8
	;; [unrolled: 1-line block ×3, first 2 shown]
	s_waitcnt vmcnt(0)
	ds_write_b128 v5, v[1:4]
	s_waitcnt lgkmcnt(0)
	s_barrier
	buffer_gl0_inv
	v_cmpx_gt_u32_e32 14, v0
	s_cbranch_execz .LBB122_71
; %bb.68:
	v_mov_b32_e32 v1, 0
	v_mov_b32_e32 v3, 0
	v_add_nc_u32_e32 v7, -1, v0
	v_add_nc_u32_e32 v8, 0x3b0, v129
	v_mov_b32_e32 v2, 0
	v_mov_b32_e32 v4, 0
	v_add_nc_u32_e32 v127, 16, v129
	s_mov_b32 s5, 0
	.p2align	6
.LBB122_69:                             ; =>This Inner Loop Header: Depth=1
	s_clause 0x3
	buffer_load_dword v134, v127, s[0:3], 0 offen offset:8
	buffer_load_dword v135, v127, s[0:3], 0 offen offset:12
	buffer_load_dword v136, v127, s[0:3], 0 offen
	buffer_load_dword v137, v127, s[0:3], 0 offen offset:4
	ds_read_b128 v[130:133], v8
	v_add_nc_u32_e32 v7, 1, v7
	v_add_nc_u32_e32 v8, 16, v8
	;; [unrolled: 1-line block ×3, first 2 shown]
	v_cmp_lt_u32_e32 vcc_lo, 12, v7
	s_or_b32 s5, vcc_lo, s5
	s_waitcnt vmcnt(2) lgkmcnt(0)
	v_mul_f64 v[138:139], v[132:133], v[134:135]
	v_mul_f64 v[134:135], v[130:131], v[134:135]
	s_waitcnt vmcnt(0)
	v_fma_f64 v[130:131], v[130:131], v[136:137], -v[138:139]
	v_fma_f64 v[132:133], v[132:133], v[136:137], v[134:135]
	v_add_f64 v[3:4], v[3:4], v[130:131]
	v_add_f64 v[1:2], v[1:2], v[132:133]
	s_andn2_b32 exec_lo, exec_lo, s5
	s_cbranch_execnz .LBB122_69
; %bb.70:
	s_or_b32 exec_lo, exec_lo, s5
	v_mov_b32_e32 v7, 0
	ds_read_b128 v[130:133], v7 offset:224
	s_waitcnt lgkmcnt(0)
	v_mul_f64 v[7:8], v[1:2], v[132:133]
	v_mul_f64 v[127:128], v[3:4], v[132:133]
	v_fma_f64 v[3:4], v[3:4], v[130:131], -v[7:8]
	v_fma_f64 v[1:2], v[1:2], v[130:131], v[127:128]
	buffer_store_dword v4, off, s[0:3], 0 offset:244
	buffer_store_dword v3, off, s[0:3], 0 offset:240
	;; [unrolled: 1-line block ×4, first 2 shown]
.LBB122_71:
	s_or_b32 exec_lo, exec_lo, s4
	v_mov_b32_e32 v4, s56
	s_waitcnt_vscnt null, 0x0
	s_barrier
	buffer_gl0_inv
	s_mov_b32 s4, exec_lo
	s_clause 0x3
	buffer_load_dword v1, v4, s[0:3], 0 offen
	buffer_load_dword v2, v4, s[0:3], 0 offen offset:4
	buffer_load_dword v3, v4, s[0:3], 0 offen offset:8
	;; [unrolled: 1-line block ×3, first 2 shown]
	s_waitcnt vmcnt(0)
	ds_write_b128 v5, v[1:4]
	s_waitcnt lgkmcnt(0)
	s_barrier
	buffer_gl0_inv
	v_cmpx_gt_u32_e32 15, v0
	s_cbranch_execz .LBB122_75
; %bb.72:
	v_mov_b32_e32 v1, 0
	v_mov_b32_e32 v3, 0
	v_add_nc_u32_e32 v7, -1, v0
	v_add_nc_u32_e32 v8, 0x3b0, v129
	v_mov_b32_e32 v2, 0
	v_mov_b32_e32 v4, 0
	v_add_nc_u32_e32 v127, 16, v129
	s_mov_b32 s5, 0
	.p2align	6
.LBB122_73:                             ; =>This Inner Loop Header: Depth=1
	s_clause 0x3
	buffer_load_dword v134, v127, s[0:3], 0 offen offset:8
	buffer_load_dword v135, v127, s[0:3], 0 offen offset:12
	buffer_load_dword v136, v127, s[0:3], 0 offen
	buffer_load_dword v137, v127, s[0:3], 0 offen offset:4
	ds_read_b128 v[130:133], v8
	v_add_nc_u32_e32 v7, 1, v7
	v_add_nc_u32_e32 v8, 16, v8
	;; [unrolled: 1-line block ×3, first 2 shown]
	v_cmp_lt_u32_e32 vcc_lo, 13, v7
	s_or_b32 s5, vcc_lo, s5
	s_waitcnt vmcnt(2) lgkmcnt(0)
	v_mul_f64 v[138:139], v[132:133], v[134:135]
	v_mul_f64 v[134:135], v[130:131], v[134:135]
	s_waitcnt vmcnt(0)
	v_fma_f64 v[130:131], v[130:131], v[136:137], -v[138:139]
	v_fma_f64 v[132:133], v[132:133], v[136:137], v[134:135]
	v_add_f64 v[3:4], v[3:4], v[130:131]
	v_add_f64 v[1:2], v[1:2], v[132:133]
	s_andn2_b32 exec_lo, exec_lo, s5
	s_cbranch_execnz .LBB122_73
; %bb.74:
	s_or_b32 exec_lo, exec_lo, s5
	v_mov_b32_e32 v7, 0
	ds_read_b128 v[130:133], v7 offset:240
	s_waitcnt lgkmcnt(0)
	v_mul_f64 v[7:8], v[1:2], v[132:133]
	v_mul_f64 v[127:128], v[3:4], v[132:133]
	v_fma_f64 v[3:4], v[3:4], v[130:131], -v[7:8]
	v_fma_f64 v[1:2], v[1:2], v[130:131], v[127:128]
	buffer_store_dword v4, off, s[0:3], 0 offset:260
	buffer_store_dword v3, off, s[0:3], 0 offset:256
	;; [unrolled: 1-line block ×4, first 2 shown]
.LBB122_75:
	s_or_b32 exec_lo, exec_lo, s4
	v_mov_b32_e32 v4, s55
	s_waitcnt_vscnt null, 0x0
	s_barrier
	buffer_gl0_inv
	s_mov_b32 s4, exec_lo
	s_clause 0x3
	buffer_load_dword v1, v4, s[0:3], 0 offen
	buffer_load_dword v2, v4, s[0:3], 0 offen offset:4
	buffer_load_dword v3, v4, s[0:3], 0 offen offset:8
	;; [unrolled: 1-line block ×3, first 2 shown]
	s_waitcnt vmcnt(0)
	ds_write_b128 v5, v[1:4]
	s_waitcnt lgkmcnt(0)
	s_barrier
	buffer_gl0_inv
	v_cmpx_gt_u32_e32 16, v0
	s_cbranch_execz .LBB122_79
; %bb.76:
	v_mov_b32_e32 v1, 0
	v_mov_b32_e32 v3, 0
	v_add_nc_u32_e32 v7, -1, v0
	v_add_nc_u32_e32 v8, 0x3b0, v129
	v_mov_b32_e32 v2, 0
	v_mov_b32_e32 v4, 0
	v_add_nc_u32_e32 v127, 16, v129
	s_mov_b32 s5, 0
	.p2align	6
.LBB122_77:                             ; =>This Inner Loop Header: Depth=1
	s_clause 0x3
	buffer_load_dword v134, v127, s[0:3], 0 offen offset:8
	buffer_load_dword v135, v127, s[0:3], 0 offen offset:12
	buffer_load_dword v136, v127, s[0:3], 0 offen
	buffer_load_dword v137, v127, s[0:3], 0 offen offset:4
	ds_read_b128 v[130:133], v8
	v_add_nc_u32_e32 v7, 1, v7
	v_add_nc_u32_e32 v8, 16, v8
	v_add_nc_u32_e32 v127, 16, v127
	v_cmp_lt_u32_e32 vcc_lo, 14, v7
	s_or_b32 s5, vcc_lo, s5
	s_waitcnt vmcnt(2) lgkmcnt(0)
	v_mul_f64 v[138:139], v[132:133], v[134:135]
	v_mul_f64 v[134:135], v[130:131], v[134:135]
	s_waitcnt vmcnt(0)
	v_fma_f64 v[130:131], v[130:131], v[136:137], -v[138:139]
	v_fma_f64 v[132:133], v[132:133], v[136:137], v[134:135]
	v_add_f64 v[3:4], v[3:4], v[130:131]
	v_add_f64 v[1:2], v[1:2], v[132:133]
	s_andn2_b32 exec_lo, exec_lo, s5
	s_cbranch_execnz .LBB122_77
; %bb.78:
	s_or_b32 exec_lo, exec_lo, s5
	v_mov_b32_e32 v7, 0
	ds_read_b128 v[130:133], v7 offset:256
	s_waitcnt lgkmcnt(0)
	v_mul_f64 v[7:8], v[1:2], v[132:133]
	v_mul_f64 v[127:128], v[3:4], v[132:133]
	v_fma_f64 v[3:4], v[3:4], v[130:131], -v[7:8]
	v_fma_f64 v[1:2], v[1:2], v[130:131], v[127:128]
	buffer_store_dword v4, off, s[0:3], 0 offset:276
	buffer_store_dword v3, off, s[0:3], 0 offset:272
	;; [unrolled: 1-line block ×4, first 2 shown]
.LBB122_79:
	s_or_b32 exec_lo, exec_lo, s4
	v_mov_b32_e32 v4, s54
	s_waitcnt_vscnt null, 0x0
	s_barrier
	buffer_gl0_inv
	s_mov_b32 s4, exec_lo
	s_clause 0x3
	buffer_load_dword v1, v4, s[0:3], 0 offen
	buffer_load_dword v2, v4, s[0:3], 0 offen offset:4
	buffer_load_dword v3, v4, s[0:3], 0 offen offset:8
	;; [unrolled: 1-line block ×3, first 2 shown]
	s_waitcnt vmcnt(0)
	ds_write_b128 v5, v[1:4]
	s_waitcnt lgkmcnt(0)
	s_barrier
	buffer_gl0_inv
	v_cmpx_gt_u32_e32 17, v0
	s_cbranch_execz .LBB122_83
; %bb.80:
	v_mov_b32_e32 v1, 0
	v_mov_b32_e32 v3, 0
	v_add_nc_u32_e32 v7, -1, v0
	v_add_nc_u32_e32 v8, 0x3b0, v129
	v_mov_b32_e32 v2, 0
	v_mov_b32_e32 v4, 0
	v_add_nc_u32_e32 v127, 16, v129
	s_mov_b32 s5, 0
	.p2align	6
.LBB122_81:                             ; =>This Inner Loop Header: Depth=1
	s_clause 0x3
	buffer_load_dword v134, v127, s[0:3], 0 offen offset:8
	buffer_load_dword v135, v127, s[0:3], 0 offen offset:12
	buffer_load_dword v136, v127, s[0:3], 0 offen
	buffer_load_dword v137, v127, s[0:3], 0 offen offset:4
	ds_read_b128 v[130:133], v8
	v_add_nc_u32_e32 v7, 1, v7
	v_add_nc_u32_e32 v8, 16, v8
	;; [unrolled: 1-line block ×3, first 2 shown]
	v_cmp_lt_u32_e32 vcc_lo, 15, v7
	s_or_b32 s5, vcc_lo, s5
	s_waitcnt vmcnt(2) lgkmcnt(0)
	v_mul_f64 v[138:139], v[132:133], v[134:135]
	v_mul_f64 v[134:135], v[130:131], v[134:135]
	s_waitcnt vmcnt(0)
	v_fma_f64 v[130:131], v[130:131], v[136:137], -v[138:139]
	v_fma_f64 v[132:133], v[132:133], v[136:137], v[134:135]
	v_add_f64 v[3:4], v[3:4], v[130:131]
	v_add_f64 v[1:2], v[1:2], v[132:133]
	s_andn2_b32 exec_lo, exec_lo, s5
	s_cbranch_execnz .LBB122_81
; %bb.82:
	s_or_b32 exec_lo, exec_lo, s5
	v_mov_b32_e32 v7, 0
	ds_read_b128 v[130:133], v7 offset:272
	s_waitcnt lgkmcnt(0)
	v_mul_f64 v[7:8], v[1:2], v[132:133]
	v_mul_f64 v[127:128], v[3:4], v[132:133]
	v_fma_f64 v[3:4], v[3:4], v[130:131], -v[7:8]
	v_fma_f64 v[1:2], v[1:2], v[130:131], v[127:128]
	buffer_store_dword v4, off, s[0:3], 0 offset:292
	buffer_store_dword v3, off, s[0:3], 0 offset:288
	;; [unrolled: 1-line block ×4, first 2 shown]
.LBB122_83:
	s_or_b32 exec_lo, exec_lo, s4
	v_mov_b32_e32 v4, s53
	s_waitcnt_vscnt null, 0x0
	s_barrier
	buffer_gl0_inv
	s_mov_b32 s4, exec_lo
	s_clause 0x3
	buffer_load_dword v1, v4, s[0:3], 0 offen
	buffer_load_dword v2, v4, s[0:3], 0 offen offset:4
	buffer_load_dword v3, v4, s[0:3], 0 offen offset:8
	;; [unrolled: 1-line block ×3, first 2 shown]
	s_waitcnt vmcnt(0)
	ds_write_b128 v5, v[1:4]
	s_waitcnt lgkmcnt(0)
	s_barrier
	buffer_gl0_inv
	v_cmpx_gt_u32_e32 18, v0
	s_cbranch_execz .LBB122_87
; %bb.84:
	v_mov_b32_e32 v1, 0
	v_mov_b32_e32 v3, 0
	v_add_nc_u32_e32 v7, -1, v0
	v_add_nc_u32_e32 v8, 0x3b0, v129
	v_mov_b32_e32 v2, 0
	v_mov_b32_e32 v4, 0
	v_add_nc_u32_e32 v127, 16, v129
	s_mov_b32 s5, 0
	.p2align	6
.LBB122_85:                             ; =>This Inner Loop Header: Depth=1
	s_clause 0x3
	buffer_load_dword v134, v127, s[0:3], 0 offen offset:8
	buffer_load_dword v135, v127, s[0:3], 0 offen offset:12
	buffer_load_dword v136, v127, s[0:3], 0 offen
	buffer_load_dword v137, v127, s[0:3], 0 offen offset:4
	ds_read_b128 v[130:133], v8
	v_add_nc_u32_e32 v7, 1, v7
	v_add_nc_u32_e32 v8, 16, v8
	;; [unrolled: 1-line block ×3, first 2 shown]
	v_cmp_lt_u32_e32 vcc_lo, 16, v7
	s_or_b32 s5, vcc_lo, s5
	s_waitcnt vmcnt(2) lgkmcnt(0)
	v_mul_f64 v[138:139], v[132:133], v[134:135]
	v_mul_f64 v[134:135], v[130:131], v[134:135]
	s_waitcnt vmcnt(0)
	v_fma_f64 v[130:131], v[130:131], v[136:137], -v[138:139]
	v_fma_f64 v[132:133], v[132:133], v[136:137], v[134:135]
	v_add_f64 v[3:4], v[3:4], v[130:131]
	v_add_f64 v[1:2], v[1:2], v[132:133]
	s_andn2_b32 exec_lo, exec_lo, s5
	s_cbranch_execnz .LBB122_85
; %bb.86:
	s_or_b32 exec_lo, exec_lo, s5
	v_mov_b32_e32 v7, 0
	ds_read_b128 v[130:133], v7 offset:288
	s_waitcnt lgkmcnt(0)
	v_mul_f64 v[7:8], v[1:2], v[132:133]
	v_mul_f64 v[127:128], v[3:4], v[132:133]
	v_fma_f64 v[3:4], v[3:4], v[130:131], -v[7:8]
	v_fma_f64 v[1:2], v[1:2], v[130:131], v[127:128]
	buffer_store_dword v4, off, s[0:3], 0 offset:308
	buffer_store_dword v3, off, s[0:3], 0 offset:304
	;; [unrolled: 1-line block ×4, first 2 shown]
.LBB122_87:
	s_or_b32 exec_lo, exec_lo, s4
	v_mov_b32_e32 v4, s52
	s_waitcnt_vscnt null, 0x0
	s_barrier
	buffer_gl0_inv
	s_mov_b32 s4, exec_lo
	s_clause 0x3
	buffer_load_dword v1, v4, s[0:3], 0 offen
	buffer_load_dword v2, v4, s[0:3], 0 offen offset:4
	buffer_load_dword v3, v4, s[0:3], 0 offen offset:8
	;; [unrolled: 1-line block ×3, first 2 shown]
	s_waitcnt vmcnt(0)
	ds_write_b128 v5, v[1:4]
	s_waitcnt lgkmcnt(0)
	s_barrier
	buffer_gl0_inv
	v_cmpx_gt_u32_e32 19, v0
	s_cbranch_execz .LBB122_91
; %bb.88:
	v_mov_b32_e32 v1, 0
	v_mov_b32_e32 v3, 0
	v_add_nc_u32_e32 v7, -1, v0
	v_add_nc_u32_e32 v8, 0x3b0, v129
	v_mov_b32_e32 v2, 0
	v_mov_b32_e32 v4, 0
	v_add_nc_u32_e32 v127, 16, v129
	s_mov_b32 s5, 0
	.p2align	6
.LBB122_89:                             ; =>This Inner Loop Header: Depth=1
	s_clause 0x3
	buffer_load_dword v134, v127, s[0:3], 0 offen offset:8
	buffer_load_dword v135, v127, s[0:3], 0 offen offset:12
	buffer_load_dword v136, v127, s[0:3], 0 offen
	buffer_load_dword v137, v127, s[0:3], 0 offen offset:4
	ds_read_b128 v[130:133], v8
	v_add_nc_u32_e32 v7, 1, v7
	v_add_nc_u32_e32 v8, 16, v8
	;; [unrolled: 1-line block ×3, first 2 shown]
	v_cmp_lt_u32_e32 vcc_lo, 17, v7
	s_or_b32 s5, vcc_lo, s5
	s_waitcnt vmcnt(2) lgkmcnt(0)
	v_mul_f64 v[138:139], v[132:133], v[134:135]
	v_mul_f64 v[134:135], v[130:131], v[134:135]
	s_waitcnt vmcnt(0)
	v_fma_f64 v[130:131], v[130:131], v[136:137], -v[138:139]
	v_fma_f64 v[132:133], v[132:133], v[136:137], v[134:135]
	v_add_f64 v[3:4], v[3:4], v[130:131]
	v_add_f64 v[1:2], v[1:2], v[132:133]
	s_andn2_b32 exec_lo, exec_lo, s5
	s_cbranch_execnz .LBB122_89
; %bb.90:
	s_or_b32 exec_lo, exec_lo, s5
	v_mov_b32_e32 v7, 0
	ds_read_b128 v[130:133], v7 offset:304
	s_waitcnt lgkmcnt(0)
	v_mul_f64 v[7:8], v[1:2], v[132:133]
	v_mul_f64 v[127:128], v[3:4], v[132:133]
	v_fma_f64 v[3:4], v[3:4], v[130:131], -v[7:8]
	v_fma_f64 v[1:2], v[1:2], v[130:131], v[127:128]
	buffer_store_dword v4, off, s[0:3], 0 offset:324
	buffer_store_dword v3, off, s[0:3], 0 offset:320
	;; [unrolled: 1-line block ×4, first 2 shown]
.LBB122_91:
	s_or_b32 exec_lo, exec_lo, s4
	v_mov_b32_e32 v4, s51
	s_waitcnt_vscnt null, 0x0
	s_barrier
	buffer_gl0_inv
	s_mov_b32 s4, exec_lo
	s_clause 0x3
	buffer_load_dword v1, v4, s[0:3], 0 offen
	buffer_load_dword v2, v4, s[0:3], 0 offen offset:4
	buffer_load_dword v3, v4, s[0:3], 0 offen offset:8
	;; [unrolled: 1-line block ×3, first 2 shown]
	s_waitcnt vmcnt(0)
	ds_write_b128 v5, v[1:4]
	s_waitcnt lgkmcnt(0)
	s_barrier
	buffer_gl0_inv
	v_cmpx_gt_u32_e32 20, v0
	s_cbranch_execz .LBB122_95
; %bb.92:
	v_mov_b32_e32 v1, 0
	v_mov_b32_e32 v3, 0
	v_add_nc_u32_e32 v7, -1, v0
	v_add_nc_u32_e32 v8, 0x3b0, v129
	v_mov_b32_e32 v2, 0
	v_mov_b32_e32 v4, 0
	v_add_nc_u32_e32 v127, 16, v129
	s_mov_b32 s5, 0
	.p2align	6
.LBB122_93:                             ; =>This Inner Loop Header: Depth=1
	s_clause 0x3
	buffer_load_dword v134, v127, s[0:3], 0 offen offset:8
	buffer_load_dword v135, v127, s[0:3], 0 offen offset:12
	buffer_load_dword v136, v127, s[0:3], 0 offen
	buffer_load_dword v137, v127, s[0:3], 0 offen offset:4
	ds_read_b128 v[130:133], v8
	v_add_nc_u32_e32 v7, 1, v7
	v_add_nc_u32_e32 v8, 16, v8
	v_add_nc_u32_e32 v127, 16, v127
	v_cmp_lt_u32_e32 vcc_lo, 18, v7
	s_or_b32 s5, vcc_lo, s5
	s_waitcnt vmcnt(2) lgkmcnt(0)
	v_mul_f64 v[138:139], v[132:133], v[134:135]
	v_mul_f64 v[134:135], v[130:131], v[134:135]
	s_waitcnt vmcnt(0)
	v_fma_f64 v[130:131], v[130:131], v[136:137], -v[138:139]
	v_fma_f64 v[132:133], v[132:133], v[136:137], v[134:135]
	v_add_f64 v[3:4], v[3:4], v[130:131]
	v_add_f64 v[1:2], v[1:2], v[132:133]
	s_andn2_b32 exec_lo, exec_lo, s5
	s_cbranch_execnz .LBB122_93
; %bb.94:
	s_or_b32 exec_lo, exec_lo, s5
	v_mov_b32_e32 v7, 0
	ds_read_b128 v[130:133], v7 offset:320
	s_waitcnt lgkmcnt(0)
	v_mul_f64 v[7:8], v[1:2], v[132:133]
	v_mul_f64 v[127:128], v[3:4], v[132:133]
	v_fma_f64 v[3:4], v[3:4], v[130:131], -v[7:8]
	v_fma_f64 v[1:2], v[1:2], v[130:131], v[127:128]
	buffer_store_dword v4, off, s[0:3], 0 offset:340
	buffer_store_dword v3, off, s[0:3], 0 offset:336
	;; [unrolled: 1-line block ×4, first 2 shown]
.LBB122_95:
	s_or_b32 exec_lo, exec_lo, s4
	v_mov_b32_e32 v4, s50
	s_waitcnt_vscnt null, 0x0
	s_barrier
	buffer_gl0_inv
	s_mov_b32 s4, exec_lo
	s_clause 0x3
	buffer_load_dword v1, v4, s[0:3], 0 offen
	buffer_load_dword v2, v4, s[0:3], 0 offen offset:4
	buffer_load_dword v3, v4, s[0:3], 0 offen offset:8
	buffer_load_dword v4, v4, s[0:3], 0 offen offset:12
	s_waitcnt vmcnt(0)
	ds_write_b128 v5, v[1:4]
	s_waitcnt lgkmcnt(0)
	s_barrier
	buffer_gl0_inv
	v_cmpx_gt_u32_e32 21, v0
	s_cbranch_execz .LBB122_99
; %bb.96:
	v_mov_b32_e32 v1, 0
	v_mov_b32_e32 v3, 0
	v_add_nc_u32_e32 v7, -1, v0
	v_add_nc_u32_e32 v8, 0x3b0, v129
	v_mov_b32_e32 v2, 0
	v_mov_b32_e32 v4, 0
	v_add_nc_u32_e32 v127, 16, v129
	s_mov_b32 s5, 0
	.p2align	6
.LBB122_97:                             ; =>This Inner Loop Header: Depth=1
	s_clause 0x3
	buffer_load_dword v134, v127, s[0:3], 0 offen offset:8
	buffer_load_dword v135, v127, s[0:3], 0 offen offset:12
	buffer_load_dword v136, v127, s[0:3], 0 offen
	buffer_load_dword v137, v127, s[0:3], 0 offen offset:4
	ds_read_b128 v[130:133], v8
	v_add_nc_u32_e32 v7, 1, v7
	v_add_nc_u32_e32 v8, 16, v8
	;; [unrolled: 1-line block ×3, first 2 shown]
	v_cmp_lt_u32_e32 vcc_lo, 19, v7
	s_or_b32 s5, vcc_lo, s5
	s_waitcnt vmcnt(2) lgkmcnt(0)
	v_mul_f64 v[138:139], v[132:133], v[134:135]
	v_mul_f64 v[134:135], v[130:131], v[134:135]
	s_waitcnt vmcnt(0)
	v_fma_f64 v[130:131], v[130:131], v[136:137], -v[138:139]
	v_fma_f64 v[132:133], v[132:133], v[136:137], v[134:135]
	v_add_f64 v[3:4], v[3:4], v[130:131]
	v_add_f64 v[1:2], v[1:2], v[132:133]
	s_andn2_b32 exec_lo, exec_lo, s5
	s_cbranch_execnz .LBB122_97
; %bb.98:
	s_or_b32 exec_lo, exec_lo, s5
	v_mov_b32_e32 v7, 0
	ds_read_b128 v[130:133], v7 offset:336
	s_waitcnt lgkmcnt(0)
	v_mul_f64 v[7:8], v[1:2], v[132:133]
	v_mul_f64 v[127:128], v[3:4], v[132:133]
	v_fma_f64 v[3:4], v[3:4], v[130:131], -v[7:8]
	v_fma_f64 v[1:2], v[1:2], v[130:131], v[127:128]
	buffer_store_dword v4, off, s[0:3], 0 offset:356
	buffer_store_dword v3, off, s[0:3], 0 offset:352
	;; [unrolled: 1-line block ×4, first 2 shown]
.LBB122_99:
	s_or_b32 exec_lo, exec_lo, s4
	v_mov_b32_e32 v4, s49
	s_waitcnt_vscnt null, 0x0
	s_barrier
	buffer_gl0_inv
	s_mov_b32 s4, exec_lo
	s_clause 0x3
	buffer_load_dword v1, v4, s[0:3], 0 offen
	buffer_load_dword v2, v4, s[0:3], 0 offen offset:4
	buffer_load_dword v3, v4, s[0:3], 0 offen offset:8
	;; [unrolled: 1-line block ×3, first 2 shown]
	s_waitcnt vmcnt(0)
	ds_write_b128 v5, v[1:4]
	s_waitcnt lgkmcnt(0)
	s_barrier
	buffer_gl0_inv
	v_cmpx_gt_u32_e32 22, v0
	s_cbranch_execz .LBB122_103
; %bb.100:
	v_mov_b32_e32 v1, 0
	v_mov_b32_e32 v3, 0
	v_add_nc_u32_e32 v7, -1, v0
	v_add_nc_u32_e32 v8, 0x3b0, v129
	v_mov_b32_e32 v2, 0
	v_mov_b32_e32 v4, 0
	v_add_nc_u32_e32 v127, 16, v129
	s_mov_b32 s5, 0
	.p2align	6
.LBB122_101:                            ; =>This Inner Loop Header: Depth=1
	s_clause 0x3
	buffer_load_dword v134, v127, s[0:3], 0 offen offset:8
	buffer_load_dword v135, v127, s[0:3], 0 offen offset:12
	buffer_load_dword v136, v127, s[0:3], 0 offen
	buffer_load_dword v137, v127, s[0:3], 0 offen offset:4
	ds_read_b128 v[130:133], v8
	v_add_nc_u32_e32 v7, 1, v7
	v_add_nc_u32_e32 v8, 16, v8
	;; [unrolled: 1-line block ×3, first 2 shown]
	v_cmp_lt_u32_e32 vcc_lo, 20, v7
	s_or_b32 s5, vcc_lo, s5
	s_waitcnt vmcnt(2) lgkmcnt(0)
	v_mul_f64 v[138:139], v[132:133], v[134:135]
	v_mul_f64 v[134:135], v[130:131], v[134:135]
	s_waitcnt vmcnt(0)
	v_fma_f64 v[130:131], v[130:131], v[136:137], -v[138:139]
	v_fma_f64 v[132:133], v[132:133], v[136:137], v[134:135]
	v_add_f64 v[3:4], v[3:4], v[130:131]
	v_add_f64 v[1:2], v[1:2], v[132:133]
	s_andn2_b32 exec_lo, exec_lo, s5
	s_cbranch_execnz .LBB122_101
; %bb.102:
	s_or_b32 exec_lo, exec_lo, s5
	v_mov_b32_e32 v7, 0
	ds_read_b128 v[130:133], v7 offset:352
	s_waitcnt lgkmcnt(0)
	v_mul_f64 v[7:8], v[1:2], v[132:133]
	v_mul_f64 v[127:128], v[3:4], v[132:133]
	v_fma_f64 v[3:4], v[3:4], v[130:131], -v[7:8]
	v_fma_f64 v[1:2], v[1:2], v[130:131], v[127:128]
	buffer_store_dword v4, off, s[0:3], 0 offset:372
	buffer_store_dword v3, off, s[0:3], 0 offset:368
	;; [unrolled: 1-line block ×4, first 2 shown]
.LBB122_103:
	s_or_b32 exec_lo, exec_lo, s4
	v_mov_b32_e32 v4, s48
	s_waitcnt_vscnt null, 0x0
	s_barrier
	buffer_gl0_inv
	s_mov_b32 s4, exec_lo
	s_clause 0x3
	buffer_load_dword v1, v4, s[0:3], 0 offen
	buffer_load_dword v2, v4, s[0:3], 0 offen offset:4
	buffer_load_dword v3, v4, s[0:3], 0 offen offset:8
	;; [unrolled: 1-line block ×3, first 2 shown]
	s_waitcnt vmcnt(0)
	ds_write_b128 v5, v[1:4]
	s_waitcnt lgkmcnt(0)
	s_barrier
	buffer_gl0_inv
	v_cmpx_gt_u32_e32 23, v0
	s_cbranch_execz .LBB122_107
; %bb.104:
	v_mov_b32_e32 v1, 0
	v_mov_b32_e32 v3, 0
	v_add_nc_u32_e32 v7, -1, v0
	v_add_nc_u32_e32 v8, 0x3b0, v129
	v_mov_b32_e32 v2, 0
	v_mov_b32_e32 v4, 0
	v_add_nc_u32_e32 v127, 16, v129
	s_mov_b32 s5, 0
	.p2align	6
.LBB122_105:                            ; =>This Inner Loop Header: Depth=1
	s_clause 0x3
	buffer_load_dword v134, v127, s[0:3], 0 offen offset:8
	buffer_load_dword v135, v127, s[0:3], 0 offen offset:12
	buffer_load_dword v136, v127, s[0:3], 0 offen
	buffer_load_dword v137, v127, s[0:3], 0 offen offset:4
	ds_read_b128 v[130:133], v8
	v_add_nc_u32_e32 v7, 1, v7
	v_add_nc_u32_e32 v8, 16, v8
	;; [unrolled: 1-line block ×3, first 2 shown]
	v_cmp_lt_u32_e32 vcc_lo, 21, v7
	s_or_b32 s5, vcc_lo, s5
	s_waitcnt vmcnt(2) lgkmcnt(0)
	v_mul_f64 v[138:139], v[132:133], v[134:135]
	v_mul_f64 v[134:135], v[130:131], v[134:135]
	s_waitcnt vmcnt(0)
	v_fma_f64 v[130:131], v[130:131], v[136:137], -v[138:139]
	v_fma_f64 v[132:133], v[132:133], v[136:137], v[134:135]
	v_add_f64 v[3:4], v[3:4], v[130:131]
	v_add_f64 v[1:2], v[1:2], v[132:133]
	s_andn2_b32 exec_lo, exec_lo, s5
	s_cbranch_execnz .LBB122_105
; %bb.106:
	s_or_b32 exec_lo, exec_lo, s5
	v_mov_b32_e32 v7, 0
	ds_read_b128 v[130:133], v7 offset:368
	s_waitcnt lgkmcnt(0)
	v_mul_f64 v[7:8], v[1:2], v[132:133]
	v_mul_f64 v[127:128], v[3:4], v[132:133]
	v_fma_f64 v[3:4], v[3:4], v[130:131], -v[7:8]
	v_fma_f64 v[1:2], v[1:2], v[130:131], v[127:128]
	buffer_store_dword v4, off, s[0:3], 0 offset:388
	buffer_store_dword v3, off, s[0:3], 0 offset:384
	;; [unrolled: 1-line block ×4, first 2 shown]
.LBB122_107:
	s_or_b32 exec_lo, exec_lo, s4
	v_mov_b32_e32 v4, s47
	s_waitcnt_vscnt null, 0x0
	s_barrier
	buffer_gl0_inv
	s_mov_b32 s4, exec_lo
	s_clause 0x3
	buffer_load_dword v1, v4, s[0:3], 0 offen
	buffer_load_dword v2, v4, s[0:3], 0 offen offset:4
	buffer_load_dword v3, v4, s[0:3], 0 offen offset:8
	;; [unrolled: 1-line block ×3, first 2 shown]
	s_waitcnt vmcnt(0)
	ds_write_b128 v5, v[1:4]
	s_waitcnt lgkmcnt(0)
	s_barrier
	buffer_gl0_inv
	v_cmpx_gt_u32_e32 24, v0
	s_cbranch_execz .LBB122_111
; %bb.108:
	v_mov_b32_e32 v1, 0
	v_mov_b32_e32 v3, 0
	v_add_nc_u32_e32 v7, -1, v0
	v_add_nc_u32_e32 v8, 0x3b0, v129
	v_mov_b32_e32 v2, 0
	v_mov_b32_e32 v4, 0
	v_add_nc_u32_e32 v127, 16, v129
	s_mov_b32 s5, 0
	.p2align	6
.LBB122_109:                            ; =>This Inner Loop Header: Depth=1
	s_clause 0x3
	buffer_load_dword v134, v127, s[0:3], 0 offen offset:8
	buffer_load_dword v135, v127, s[0:3], 0 offen offset:12
	buffer_load_dword v136, v127, s[0:3], 0 offen
	buffer_load_dword v137, v127, s[0:3], 0 offen offset:4
	ds_read_b128 v[130:133], v8
	v_add_nc_u32_e32 v7, 1, v7
	v_add_nc_u32_e32 v8, 16, v8
	;; [unrolled: 1-line block ×3, first 2 shown]
	v_cmp_lt_u32_e32 vcc_lo, 22, v7
	s_or_b32 s5, vcc_lo, s5
	s_waitcnt vmcnt(2) lgkmcnt(0)
	v_mul_f64 v[138:139], v[132:133], v[134:135]
	v_mul_f64 v[134:135], v[130:131], v[134:135]
	s_waitcnt vmcnt(0)
	v_fma_f64 v[130:131], v[130:131], v[136:137], -v[138:139]
	v_fma_f64 v[132:133], v[132:133], v[136:137], v[134:135]
	v_add_f64 v[3:4], v[3:4], v[130:131]
	v_add_f64 v[1:2], v[1:2], v[132:133]
	s_andn2_b32 exec_lo, exec_lo, s5
	s_cbranch_execnz .LBB122_109
; %bb.110:
	s_or_b32 exec_lo, exec_lo, s5
	v_mov_b32_e32 v7, 0
	ds_read_b128 v[130:133], v7 offset:384
	s_waitcnt lgkmcnt(0)
	v_mul_f64 v[7:8], v[1:2], v[132:133]
	v_mul_f64 v[127:128], v[3:4], v[132:133]
	v_fma_f64 v[3:4], v[3:4], v[130:131], -v[7:8]
	v_fma_f64 v[1:2], v[1:2], v[130:131], v[127:128]
	buffer_store_dword v4, off, s[0:3], 0 offset:404
	buffer_store_dword v3, off, s[0:3], 0 offset:400
	;; [unrolled: 1-line block ×4, first 2 shown]
.LBB122_111:
	s_or_b32 exec_lo, exec_lo, s4
	v_mov_b32_e32 v4, s46
	s_waitcnt_vscnt null, 0x0
	s_barrier
	buffer_gl0_inv
	s_mov_b32 s4, exec_lo
	s_clause 0x3
	buffer_load_dword v1, v4, s[0:3], 0 offen
	buffer_load_dword v2, v4, s[0:3], 0 offen offset:4
	buffer_load_dword v3, v4, s[0:3], 0 offen offset:8
	;; [unrolled: 1-line block ×3, first 2 shown]
	s_waitcnt vmcnt(0)
	ds_write_b128 v5, v[1:4]
	s_waitcnt lgkmcnt(0)
	s_barrier
	buffer_gl0_inv
	v_cmpx_gt_u32_e32 25, v0
	s_cbranch_execz .LBB122_115
; %bb.112:
	v_mov_b32_e32 v1, 0
	v_mov_b32_e32 v3, 0
	v_add_nc_u32_e32 v7, -1, v0
	v_add_nc_u32_e32 v8, 0x3b0, v129
	v_mov_b32_e32 v2, 0
	v_mov_b32_e32 v4, 0
	v_add_nc_u32_e32 v127, 16, v129
	s_mov_b32 s5, 0
	.p2align	6
.LBB122_113:                            ; =>This Inner Loop Header: Depth=1
	s_clause 0x3
	buffer_load_dword v134, v127, s[0:3], 0 offen offset:8
	buffer_load_dword v135, v127, s[0:3], 0 offen offset:12
	buffer_load_dword v136, v127, s[0:3], 0 offen
	buffer_load_dword v137, v127, s[0:3], 0 offen offset:4
	ds_read_b128 v[130:133], v8
	v_add_nc_u32_e32 v7, 1, v7
	v_add_nc_u32_e32 v8, 16, v8
	;; [unrolled: 1-line block ×3, first 2 shown]
	v_cmp_lt_u32_e32 vcc_lo, 23, v7
	s_or_b32 s5, vcc_lo, s5
	s_waitcnt vmcnt(2) lgkmcnt(0)
	v_mul_f64 v[138:139], v[132:133], v[134:135]
	v_mul_f64 v[134:135], v[130:131], v[134:135]
	s_waitcnt vmcnt(0)
	v_fma_f64 v[130:131], v[130:131], v[136:137], -v[138:139]
	v_fma_f64 v[132:133], v[132:133], v[136:137], v[134:135]
	v_add_f64 v[3:4], v[3:4], v[130:131]
	v_add_f64 v[1:2], v[1:2], v[132:133]
	s_andn2_b32 exec_lo, exec_lo, s5
	s_cbranch_execnz .LBB122_113
; %bb.114:
	s_or_b32 exec_lo, exec_lo, s5
	v_mov_b32_e32 v7, 0
	ds_read_b128 v[130:133], v7 offset:400
	s_waitcnt lgkmcnt(0)
	v_mul_f64 v[7:8], v[1:2], v[132:133]
	v_mul_f64 v[127:128], v[3:4], v[132:133]
	v_fma_f64 v[3:4], v[3:4], v[130:131], -v[7:8]
	v_fma_f64 v[1:2], v[1:2], v[130:131], v[127:128]
	buffer_store_dword v4, off, s[0:3], 0 offset:420
	buffer_store_dword v3, off, s[0:3], 0 offset:416
	;; [unrolled: 1-line block ×4, first 2 shown]
.LBB122_115:
	s_or_b32 exec_lo, exec_lo, s4
	v_mov_b32_e32 v4, s45
	s_waitcnt_vscnt null, 0x0
	s_barrier
	buffer_gl0_inv
	s_mov_b32 s4, exec_lo
	s_clause 0x3
	buffer_load_dword v1, v4, s[0:3], 0 offen
	buffer_load_dword v2, v4, s[0:3], 0 offen offset:4
	buffer_load_dword v3, v4, s[0:3], 0 offen offset:8
	;; [unrolled: 1-line block ×3, first 2 shown]
	s_waitcnt vmcnt(0)
	ds_write_b128 v5, v[1:4]
	s_waitcnt lgkmcnt(0)
	s_barrier
	buffer_gl0_inv
	v_cmpx_gt_u32_e32 26, v0
	s_cbranch_execz .LBB122_119
; %bb.116:
	v_mov_b32_e32 v1, 0
	v_mov_b32_e32 v3, 0
	v_add_nc_u32_e32 v7, -1, v0
	v_add_nc_u32_e32 v8, 0x3b0, v129
	v_mov_b32_e32 v2, 0
	v_mov_b32_e32 v4, 0
	v_add_nc_u32_e32 v127, 16, v129
	s_mov_b32 s5, 0
	.p2align	6
.LBB122_117:                            ; =>This Inner Loop Header: Depth=1
	s_clause 0x3
	buffer_load_dword v134, v127, s[0:3], 0 offen offset:8
	buffer_load_dword v135, v127, s[0:3], 0 offen offset:12
	buffer_load_dword v136, v127, s[0:3], 0 offen
	buffer_load_dword v137, v127, s[0:3], 0 offen offset:4
	ds_read_b128 v[130:133], v8
	v_add_nc_u32_e32 v7, 1, v7
	v_add_nc_u32_e32 v8, 16, v8
	;; [unrolled: 1-line block ×3, first 2 shown]
	v_cmp_lt_u32_e32 vcc_lo, 24, v7
	s_or_b32 s5, vcc_lo, s5
	s_waitcnt vmcnt(2) lgkmcnt(0)
	v_mul_f64 v[138:139], v[132:133], v[134:135]
	v_mul_f64 v[134:135], v[130:131], v[134:135]
	s_waitcnt vmcnt(0)
	v_fma_f64 v[130:131], v[130:131], v[136:137], -v[138:139]
	v_fma_f64 v[132:133], v[132:133], v[136:137], v[134:135]
	v_add_f64 v[3:4], v[3:4], v[130:131]
	v_add_f64 v[1:2], v[1:2], v[132:133]
	s_andn2_b32 exec_lo, exec_lo, s5
	s_cbranch_execnz .LBB122_117
; %bb.118:
	s_or_b32 exec_lo, exec_lo, s5
	v_mov_b32_e32 v7, 0
	ds_read_b128 v[130:133], v7 offset:416
	s_waitcnt lgkmcnt(0)
	v_mul_f64 v[7:8], v[1:2], v[132:133]
	v_mul_f64 v[127:128], v[3:4], v[132:133]
	v_fma_f64 v[3:4], v[3:4], v[130:131], -v[7:8]
	v_fma_f64 v[1:2], v[1:2], v[130:131], v[127:128]
	buffer_store_dword v4, off, s[0:3], 0 offset:436
	buffer_store_dword v3, off, s[0:3], 0 offset:432
	;; [unrolled: 1-line block ×4, first 2 shown]
.LBB122_119:
	s_or_b32 exec_lo, exec_lo, s4
	v_mov_b32_e32 v4, s44
	s_waitcnt_vscnt null, 0x0
	s_barrier
	buffer_gl0_inv
	s_mov_b32 s4, exec_lo
	s_clause 0x3
	buffer_load_dword v1, v4, s[0:3], 0 offen
	buffer_load_dword v2, v4, s[0:3], 0 offen offset:4
	buffer_load_dword v3, v4, s[0:3], 0 offen offset:8
	;; [unrolled: 1-line block ×3, first 2 shown]
	s_waitcnt vmcnt(0)
	ds_write_b128 v5, v[1:4]
	s_waitcnt lgkmcnt(0)
	s_barrier
	buffer_gl0_inv
	v_cmpx_gt_u32_e32 27, v0
	s_cbranch_execz .LBB122_123
; %bb.120:
	v_mov_b32_e32 v1, 0
	v_mov_b32_e32 v3, 0
	v_add_nc_u32_e32 v7, -1, v0
	v_add_nc_u32_e32 v8, 0x3b0, v129
	v_mov_b32_e32 v2, 0
	v_mov_b32_e32 v4, 0
	v_add_nc_u32_e32 v127, 16, v129
	s_mov_b32 s5, 0
	.p2align	6
.LBB122_121:                            ; =>This Inner Loop Header: Depth=1
	s_clause 0x3
	buffer_load_dword v134, v127, s[0:3], 0 offen offset:8
	buffer_load_dword v135, v127, s[0:3], 0 offen offset:12
	buffer_load_dword v136, v127, s[0:3], 0 offen
	buffer_load_dword v137, v127, s[0:3], 0 offen offset:4
	ds_read_b128 v[130:133], v8
	v_add_nc_u32_e32 v7, 1, v7
	v_add_nc_u32_e32 v8, 16, v8
	;; [unrolled: 1-line block ×3, first 2 shown]
	v_cmp_lt_u32_e32 vcc_lo, 25, v7
	s_or_b32 s5, vcc_lo, s5
	s_waitcnt vmcnt(2) lgkmcnt(0)
	v_mul_f64 v[138:139], v[132:133], v[134:135]
	v_mul_f64 v[134:135], v[130:131], v[134:135]
	s_waitcnt vmcnt(0)
	v_fma_f64 v[130:131], v[130:131], v[136:137], -v[138:139]
	v_fma_f64 v[132:133], v[132:133], v[136:137], v[134:135]
	v_add_f64 v[3:4], v[3:4], v[130:131]
	v_add_f64 v[1:2], v[1:2], v[132:133]
	s_andn2_b32 exec_lo, exec_lo, s5
	s_cbranch_execnz .LBB122_121
; %bb.122:
	s_or_b32 exec_lo, exec_lo, s5
	v_mov_b32_e32 v7, 0
	ds_read_b128 v[130:133], v7 offset:432
	s_waitcnt lgkmcnt(0)
	v_mul_f64 v[7:8], v[1:2], v[132:133]
	v_mul_f64 v[127:128], v[3:4], v[132:133]
	v_fma_f64 v[3:4], v[3:4], v[130:131], -v[7:8]
	v_fma_f64 v[1:2], v[1:2], v[130:131], v[127:128]
	buffer_store_dword v4, off, s[0:3], 0 offset:452
	buffer_store_dword v3, off, s[0:3], 0 offset:448
	;; [unrolled: 1-line block ×4, first 2 shown]
.LBB122_123:
	s_or_b32 exec_lo, exec_lo, s4
	v_mov_b32_e32 v4, s43
	s_waitcnt_vscnt null, 0x0
	s_barrier
	buffer_gl0_inv
	s_mov_b32 s4, exec_lo
	s_clause 0x3
	buffer_load_dword v1, v4, s[0:3], 0 offen
	buffer_load_dword v2, v4, s[0:3], 0 offen offset:4
	buffer_load_dword v3, v4, s[0:3], 0 offen offset:8
	;; [unrolled: 1-line block ×3, first 2 shown]
	s_waitcnt vmcnt(0)
	ds_write_b128 v5, v[1:4]
	s_waitcnt lgkmcnt(0)
	s_barrier
	buffer_gl0_inv
	v_cmpx_gt_u32_e32 28, v0
	s_cbranch_execz .LBB122_127
; %bb.124:
	v_mov_b32_e32 v1, 0
	v_mov_b32_e32 v3, 0
	v_add_nc_u32_e32 v7, -1, v0
	v_add_nc_u32_e32 v8, 0x3b0, v129
	v_mov_b32_e32 v2, 0
	v_mov_b32_e32 v4, 0
	v_add_nc_u32_e32 v127, 16, v129
	s_mov_b32 s5, 0
	.p2align	6
.LBB122_125:                            ; =>This Inner Loop Header: Depth=1
	s_clause 0x3
	buffer_load_dword v134, v127, s[0:3], 0 offen offset:8
	buffer_load_dword v135, v127, s[0:3], 0 offen offset:12
	buffer_load_dword v136, v127, s[0:3], 0 offen
	buffer_load_dword v137, v127, s[0:3], 0 offen offset:4
	ds_read_b128 v[130:133], v8
	v_add_nc_u32_e32 v7, 1, v7
	v_add_nc_u32_e32 v8, 16, v8
	;; [unrolled: 1-line block ×3, first 2 shown]
	v_cmp_lt_u32_e32 vcc_lo, 26, v7
	s_or_b32 s5, vcc_lo, s5
	s_waitcnt vmcnt(2) lgkmcnt(0)
	v_mul_f64 v[138:139], v[132:133], v[134:135]
	v_mul_f64 v[134:135], v[130:131], v[134:135]
	s_waitcnt vmcnt(0)
	v_fma_f64 v[130:131], v[130:131], v[136:137], -v[138:139]
	v_fma_f64 v[132:133], v[132:133], v[136:137], v[134:135]
	v_add_f64 v[3:4], v[3:4], v[130:131]
	v_add_f64 v[1:2], v[1:2], v[132:133]
	s_andn2_b32 exec_lo, exec_lo, s5
	s_cbranch_execnz .LBB122_125
; %bb.126:
	s_or_b32 exec_lo, exec_lo, s5
	v_mov_b32_e32 v7, 0
	ds_read_b128 v[130:133], v7 offset:448
	s_waitcnt lgkmcnt(0)
	v_mul_f64 v[7:8], v[1:2], v[132:133]
	v_mul_f64 v[127:128], v[3:4], v[132:133]
	v_fma_f64 v[3:4], v[3:4], v[130:131], -v[7:8]
	v_fma_f64 v[1:2], v[1:2], v[130:131], v[127:128]
	buffer_store_dword v4, off, s[0:3], 0 offset:468
	buffer_store_dword v3, off, s[0:3], 0 offset:464
	;; [unrolled: 1-line block ×4, first 2 shown]
.LBB122_127:
	s_or_b32 exec_lo, exec_lo, s4
	v_mov_b32_e32 v4, s42
	s_waitcnt_vscnt null, 0x0
	s_barrier
	buffer_gl0_inv
	s_mov_b32 s4, exec_lo
	s_clause 0x3
	buffer_load_dword v1, v4, s[0:3], 0 offen
	buffer_load_dword v2, v4, s[0:3], 0 offen offset:4
	buffer_load_dword v3, v4, s[0:3], 0 offen offset:8
	;; [unrolled: 1-line block ×3, first 2 shown]
	s_waitcnt vmcnt(0)
	ds_write_b128 v5, v[1:4]
	s_waitcnt lgkmcnt(0)
	s_barrier
	buffer_gl0_inv
	v_cmpx_gt_u32_e32 29, v0
	s_cbranch_execz .LBB122_131
; %bb.128:
	v_mov_b32_e32 v1, 0
	v_mov_b32_e32 v3, 0
	v_add_nc_u32_e32 v7, -1, v0
	v_add_nc_u32_e32 v8, 0x3b0, v129
	v_mov_b32_e32 v2, 0
	v_mov_b32_e32 v4, 0
	v_add_nc_u32_e32 v127, 16, v129
	s_mov_b32 s5, 0
	.p2align	6
.LBB122_129:                            ; =>This Inner Loop Header: Depth=1
	s_clause 0x3
	buffer_load_dword v134, v127, s[0:3], 0 offen offset:8
	buffer_load_dword v135, v127, s[0:3], 0 offen offset:12
	buffer_load_dword v136, v127, s[0:3], 0 offen
	buffer_load_dword v137, v127, s[0:3], 0 offen offset:4
	ds_read_b128 v[130:133], v8
	v_add_nc_u32_e32 v7, 1, v7
	v_add_nc_u32_e32 v8, 16, v8
	;; [unrolled: 1-line block ×3, first 2 shown]
	v_cmp_lt_u32_e32 vcc_lo, 27, v7
	s_or_b32 s5, vcc_lo, s5
	s_waitcnt vmcnt(2) lgkmcnt(0)
	v_mul_f64 v[138:139], v[132:133], v[134:135]
	v_mul_f64 v[134:135], v[130:131], v[134:135]
	s_waitcnt vmcnt(0)
	v_fma_f64 v[130:131], v[130:131], v[136:137], -v[138:139]
	v_fma_f64 v[132:133], v[132:133], v[136:137], v[134:135]
	v_add_f64 v[3:4], v[3:4], v[130:131]
	v_add_f64 v[1:2], v[1:2], v[132:133]
	s_andn2_b32 exec_lo, exec_lo, s5
	s_cbranch_execnz .LBB122_129
; %bb.130:
	s_or_b32 exec_lo, exec_lo, s5
	v_mov_b32_e32 v7, 0
	ds_read_b128 v[130:133], v7 offset:464
	s_waitcnt lgkmcnt(0)
	v_mul_f64 v[7:8], v[1:2], v[132:133]
	v_mul_f64 v[127:128], v[3:4], v[132:133]
	v_fma_f64 v[3:4], v[3:4], v[130:131], -v[7:8]
	v_fma_f64 v[1:2], v[1:2], v[130:131], v[127:128]
	buffer_store_dword v4, off, s[0:3], 0 offset:484
	buffer_store_dword v3, off, s[0:3], 0 offset:480
	;; [unrolled: 1-line block ×4, first 2 shown]
.LBB122_131:
	s_or_b32 exec_lo, exec_lo, s4
	v_mov_b32_e32 v4, s41
	s_waitcnt_vscnt null, 0x0
	s_barrier
	buffer_gl0_inv
	s_mov_b32 s4, exec_lo
	s_clause 0x3
	buffer_load_dword v1, v4, s[0:3], 0 offen
	buffer_load_dword v2, v4, s[0:3], 0 offen offset:4
	buffer_load_dword v3, v4, s[0:3], 0 offen offset:8
	;; [unrolled: 1-line block ×3, first 2 shown]
	s_waitcnt vmcnt(0)
	ds_write_b128 v5, v[1:4]
	s_waitcnt lgkmcnt(0)
	s_barrier
	buffer_gl0_inv
	v_cmpx_gt_u32_e32 30, v0
	s_cbranch_execz .LBB122_135
; %bb.132:
	v_mov_b32_e32 v1, 0
	v_mov_b32_e32 v3, 0
	v_add_nc_u32_e32 v7, -1, v0
	v_add_nc_u32_e32 v8, 0x3b0, v129
	v_mov_b32_e32 v2, 0
	v_mov_b32_e32 v4, 0
	v_add_nc_u32_e32 v127, 16, v129
	s_mov_b32 s5, 0
	.p2align	6
.LBB122_133:                            ; =>This Inner Loop Header: Depth=1
	s_clause 0x3
	buffer_load_dword v134, v127, s[0:3], 0 offen offset:8
	buffer_load_dword v135, v127, s[0:3], 0 offen offset:12
	buffer_load_dword v136, v127, s[0:3], 0 offen
	buffer_load_dword v137, v127, s[0:3], 0 offen offset:4
	ds_read_b128 v[130:133], v8
	v_add_nc_u32_e32 v7, 1, v7
	v_add_nc_u32_e32 v8, 16, v8
	;; [unrolled: 1-line block ×3, first 2 shown]
	v_cmp_lt_u32_e32 vcc_lo, 28, v7
	s_or_b32 s5, vcc_lo, s5
	s_waitcnt vmcnt(2) lgkmcnt(0)
	v_mul_f64 v[138:139], v[132:133], v[134:135]
	v_mul_f64 v[134:135], v[130:131], v[134:135]
	s_waitcnt vmcnt(0)
	v_fma_f64 v[130:131], v[130:131], v[136:137], -v[138:139]
	v_fma_f64 v[132:133], v[132:133], v[136:137], v[134:135]
	v_add_f64 v[3:4], v[3:4], v[130:131]
	v_add_f64 v[1:2], v[1:2], v[132:133]
	s_andn2_b32 exec_lo, exec_lo, s5
	s_cbranch_execnz .LBB122_133
; %bb.134:
	s_or_b32 exec_lo, exec_lo, s5
	v_mov_b32_e32 v7, 0
	ds_read_b128 v[130:133], v7 offset:480
	s_waitcnt lgkmcnt(0)
	v_mul_f64 v[7:8], v[1:2], v[132:133]
	v_mul_f64 v[127:128], v[3:4], v[132:133]
	v_fma_f64 v[3:4], v[3:4], v[130:131], -v[7:8]
	v_fma_f64 v[1:2], v[1:2], v[130:131], v[127:128]
	buffer_store_dword v4, off, s[0:3], 0 offset:500
	buffer_store_dword v3, off, s[0:3], 0 offset:496
	;; [unrolled: 1-line block ×4, first 2 shown]
.LBB122_135:
	s_or_b32 exec_lo, exec_lo, s4
	v_mov_b32_e32 v4, s40
	s_waitcnt_vscnt null, 0x0
	s_barrier
	buffer_gl0_inv
	s_mov_b32 s4, exec_lo
	s_clause 0x3
	buffer_load_dword v1, v4, s[0:3], 0 offen
	buffer_load_dword v2, v4, s[0:3], 0 offen offset:4
	buffer_load_dword v3, v4, s[0:3], 0 offen offset:8
	;; [unrolled: 1-line block ×3, first 2 shown]
	s_waitcnt vmcnt(0)
	ds_write_b128 v5, v[1:4]
	s_waitcnt lgkmcnt(0)
	s_barrier
	buffer_gl0_inv
	v_cmpx_gt_u32_e32 31, v0
	s_cbranch_execz .LBB122_139
; %bb.136:
	v_mov_b32_e32 v1, 0
	v_mov_b32_e32 v3, 0
	v_add_nc_u32_e32 v7, -1, v0
	v_add_nc_u32_e32 v8, 0x3b0, v129
	v_mov_b32_e32 v2, 0
	v_mov_b32_e32 v4, 0
	v_add_nc_u32_e32 v127, 16, v129
	s_mov_b32 s5, 0
	.p2align	6
.LBB122_137:                            ; =>This Inner Loop Header: Depth=1
	s_clause 0x3
	buffer_load_dword v134, v127, s[0:3], 0 offen offset:8
	buffer_load_dword v135, v127, s[0:3], 0 offen offset:12
	buffer_load_dword v136, v127, s[0:3], 0 offen
	buffer_load_dword v137, v127, s[0:3], 0 offen offset:4
	ds_read_b128 v[130:133], v8
	v_add_nc_u32_e32 v7, 1, v7
	v_add_nc_u32_e32 v8, 16, v8
	;; [unrolled: 1-line block ×3, first 2 shown]
	v_cmp_lt_u32_e32 vcc_lo, 29, v7
	s_or_b32 s5, vcc_lo, s5
	s_waitcnt vmcnt(2) lgkmcnt(0)
	v_mul_f64 v[138:139], v[132:133], v[134:135]
	v_mul_f64 v[134:135], v[130:131], v[134:135]
	s_waitcnt vmcnt(0)
	v_fma_f64 v[130:131], v[130:131], v[136:137], -v[138:139]
	v_fma_f64 v[132:133], v[132:133], v[136:137], v[134:135]
	v_add_f64 v[3:4], v[3:4], v[130:131]
	v_add_f64 v[1:2], v[1:2], v[132:133]
	s_andn2_b32 exec_lo, exec_lo, s5
	s_cbranch_execnz .LBB122_137
; %bb.138:
	s_or_b32 exec_lo, exec_lo, s5
	v_mov_b32_e32 v7, 0
	ds_read_b128 v[130:133], v7 offset:496
	s_waitcnt lgkmcnt(0)
	v_mul_f64 v[7:8], v[1:2], v[132:133]
	v_mul_f64 v[127:128], v[3:4], v[132:133]
	v_fma_f64 v[3:4], v[3:4], v[130:131], -v[7:8]
	v_fma_f64 v[1:2], v[1:2], v[130:131], v[127:128]
	buffer_store_dword v4, off, s[0:3], 0 offset:516
	buffer_store_dword v3, off, s[0:3], 0 offset:512
	;; [unrolled: 1-line block ×4, first 2 shown]
.LBB122_139:
	s_or_b32 exec_lo, exec_lo, s4
	v_mov_b32_e32 v4, s39
	s_waitcnt_vscnt null, 0x0
	s_barrier
	buffer_gl0_inv
	s_mov_b32 s4, exec_lo
	s_clause 0x3
	buffer_load_dword v1, v4, s[0:3], 0 offen
	buffer_load_dword v2, v4, s[0:3], 0 offen offset:4
	buffer_load_dword v3, v4, s[0:3], 0 offen offset:8
	;; [unrolled: 1-line block ×3, first 2 shown]
	s_waitcnt vmcnt(0)
	ds_write_b128 v5, v[1:4]
	s_waitcnt lgkmcnt(0)
	s_barrier
	buffer_gl0_inv
	v_cmpx_gt_u32_e32 32, v0
	s_cbranch_execz .LBB122_143
; %bb.140:
	v_mov_b32_e32 v1, 0
	v_mov_b32_e32 v3, 0
	v_add_nc_u32_e32 v7, -1, v0
	v_add_nc_u32_e32 v8, 0x3b0, v129
	v_mov_b32_e32 v2, 0
	v_mov_b32_e32 v4, 0
	v_add_nc_u32_e32 v127, 16, v129
	s_mov_b32 s5, 0
	.p2align	6
.LBB122_141:                            ; =>This Inner Loop Header: Depth=1
	s_clause 0x3
	buffer_load_dword v134, v127, s[0:3], 0 offen offset:8
	buffer_load_dword v135, v127, s[0:3], 0 offen offset:12
	buffer_load_dword v136, v127, s[0:3], 0 offen
	buffer_load_dword v137, v127, s[0:3], 0 offen offset:4
	ds_read_b128 v[130:133], v8
	v_add_nc_u32_e32 v7, 1, v7
	v_add_nc_u32_e32 v8, 16, v8
	;; [unrolled: 1-line block ×3, first 2 shown]
	v_cmp_lt_u32_e32 vcc_lo, 30, v7
	s_or_b32 s5, vcc_lo, s5
	s_waitcnt vmcnt(2) lgkmcnt(0)
	v_mul_f64 v[138:139], v[132:133], v[134:135]
	v_mul_f64 v[134:135], v[130:131], v[134:135]
	s_waitcnt vmcnt(0)
	v_fma_f64 v[130:131], v[130:131], v[136:137], -v[138:139]
	v_fma_f64 v[132:133], v[132:133], v[136:137], v[134:135]
	v_add_f64 v[3:4], v[3:4], v[130:131]
	v_add_f64 v[1:2], v[1:2], v[132:133]
	s_andn2_b32 exec_lo, exec_lo, s5
	s_cbranch_execnz .LBB122_141
; %bb.142:
	s_or_b32 exec_lo, exec_lo, s5
	v_mov_b32_e32 v7, 0
	ds_read_b128 v[130:133], v7 offset:512
	s_waitcnt lgkmcnt(0)
	v_mul_f64 v[7:8], v[1:2], v[132:133]
	v_mul_f64 v[127:128], v[3:4], v[132:133]
	v_fma_f64 v[3:4], v[3:4], v[130:131], -v[7:8]
	v_fma_f64 v[1:2], v[1:2], v[130:131], v[127:128]
	buffer_store_dword v4, off, s[0:3], 0 offset:532
	buffer_store_dword v3, off, s[0:3], 0 offset:528
	;; [unrolled: 1-line block ×4, first 2 shown]
.LBB122_143:
	s_or_b32 exec_lo, exec_lo, s4
	v_mov_b32_e32 v4, s38
	s_waitcnt_vscnt null, 0x0
	s_barrier
	buffer_gl0_inv
	s_mov_b32 s4, exec_lo
	s_clause 0x3
	buffer_load_dword v1, v4, s[0:3], 0 offen
	buffer_load_dword v2, v4, s[0:3], 0 offen offset:4
	buffer_load_dword v3, v4, s[0:3], 0 offen offset:8
	;; [unrolled: 1-line block ×3, first 2 shown]
	s_waitcnt vmcnt(0)
	ds_write_b128 v5, v[1:4]
	s_waitcnt lgkmcnt(0)
	s_barrier
	buffer_gl0_inv
	v_cmpx_gt_u32_e32 33, v0
	s_cbranch_execz .LBB122_147
; %bb.144:
	v_mov_b32_e32 v1, 0
	v_mov_b32_e32 v3, 0
	v_add_nc_u32_e32 v7, -1, v0
	v_add_nc_u32_e32 v8, 0x3b0, v129
	v_mov_b32_e32 v2, 0
	v_mov_b32_e32 v4, 0
	v_add_nc_u32_e32 v127, 16, v129
	s_mov_b32 s5, 0
	.p2align	6
.LBB122_145:                            ; =>This Inner Loop Header: Depth=1
	s_clause 0x3
	buffer_load_dword v134, v127, s[0:3], 0 offen offset:8
	buffer_load_dword v135, v127, s[0:3], 0 offen offset:12
	buffer_load_dword v136, v127, s[0:3], 0 offen
	buffer_load_dword v137, v127, s[0:3], 0 offen offset:4
	ds_read_b128 v[130:133], v8
	v_add_nc_u32_e32 v7, 1, v7
	v_add_nc_u32_e32 v8, 16, v8
	v_add_nc_u32_e32 v127, 16, v127
	v_cmp_lt_u32_e32 vcc_lo, 31, v7
	s_or_b32 s5, vcc_lo, s5
	s_waitcnt vmcnt(2) lgkmcnt(0)
	v_mul_f64 v[138:139], v[132:133], v[134:135]
	v_mul_f64 v[134:135], v[130:131], v[134:135]
	s_waitcnt vmcnt(0)
	v_fma_f64 v[130:131], v[130:131], v[136:137], -v[138:139]
	v_fma_f64 v[132:133], v[132:133], v[136:137], v[134:135]
	v_add_f64 v[3:4], v[3:4], v[130:131]
	v_add_f64 v[1:2], v[1:2], v[132:133]
	s_andn2_b32 exec_lo, exec_lo, s5
	s_cbranch_execnz .LBB122_145
; %bb.146:
	s_or_b32 exec_lo, exec_lo, s5
	v_mov_b32_e32 v7, 0
	ds_read_b128 v[130:133], v7 offset:528
	s_waitcnt lgkmcnt(0)
	v_mul_f64 v[7:8], v[1:2], v[132:133]
	v_mul_f64 v[127:128], v[3:4], v[132:133]
	v_fma_f64 v[3:4], v[3:4], v[130:131], -v[7:8]
	v_fma_f64 v[1:2], v[1:2], v[130:131], v[127:128]
	buffer_store_dword v4, off, s[0:3], 0 offset:548
	buffer_store_dword v3, off, s[0:3], 0 offset:544
	;; [unrolled: 1-line block ×4, first 2 shown]
.LBB122_147:
	s_or_b32 exec_lo, exec_lo, s4
	v_mov_b32_e32 v4, s37
	s_waitcnt_vscnt null, 0x0
	s_barrier
	buffer_gl0_inv
	s_mov_b32 s4, exec_lo
	s_clause 0x3
	buffer_load_dword v1, v4, s[0:3], 0 offen
	buffer_load_dword v2, v4, s[0:3], 0 offen offset:4
	buffer_load_dword v3, v4, s[0:3], 0 offen offset:8
	;; [unrolled: 1-line block ×3, first 2 shown]
	s_waitcnt vmcnt(0)
	ds_write_b128 v5, v[1:4]
	s_waitcnt lgkmcnt(0)
	s_barrier
	buffer_gl0_inv
	v_cmpx_gt_u32_e32 34, v0
	s_cbranch_execz .LBB122_151
; %bb.148:
	v_mov_b32_e32 v1, 0
	v_mov_b32_e32 v3, 0
	v_add_nc_u32_e32 v7, -1, v0
	v_add_nc_u32_e32 v8, 0x3b0, v129
	v_mov_b32_e32 v2, 0
	v_mov_b32_e32 v4, 0
	v_add_nc_u32_e32 v127, 16, v129
	s_mov_b32 s5, 0
	.p2align	6
.LBB122_149:                            ; =>This Inner Loop Header: Depth=1
	s_clause 0x3
	buffer_load_dword v134, v127, s[0:3], 0 offen offset:8
	buffer_load_dword v135, v127, s[0:3], 0 offen offset:12
	buffer_load_dword v136, v127, s[0:3], 0 offen
	buffer_load_dword v137, v127, s[0:3], 0 offen offset:4
	ds_read_b128 v[130:133], v8
	v_add_nc_u32_e32 v7, 1, v7
	v_add_nc_u32_e32 v8, 16, v8
	;; [unrolled: 1-line block ×3, first 2 shown]
	v_cmp_lt_u32_e32 vcc_lo, 32, v7
	s_or_b32 s5, vcc_lo, s5
	s_waitcnt vmcnt(2) lgkmcnt(0)
	v_mul_f64 v[138:139], v[132:133], v[134:135]
	v_mul_f64 v[134:135], v[130:131], v[134:135]
	s_waitcnt vmcnt(0)
	v_fma_f64 v[130:131], v[130:131], v[136:137], -v[138:139]
	v_fma_f64 v[132:133], v[132:133], v[136:137], v[134:135]
	v_add_f64 v[3:4], v[3:4], v[130:131]
	v_add_f64 v[1:2], v[1:2], v[132:133]
	s_andn2_b32 exec_lo, exec_lo, s5
	s_cbranch_execnz .LBB122_149
; %bb.150:
	s_or_b32 exec_lo, exec_lo, s5
	v_mov_b32_e32 v7, 0
	ds_read_b128 v[130:133], v7 offset:544
	s_waitcnt lgkmcnt(0)
	v_mul_f64 v[7:8], v[1:2], v[132:133]
	v_mul_f64 v[127:128], v[3:4], v[132:133]
	v_fma_f64 v[3:4], v[3:4], v[130:131], -v[7:8]
	v_fma_f64 v[1:2], v[1:2], v[130:131], v[127:128]
	buffer_store_dword v4, off, s[0:3], 0 offset:564
	buffer_store_dword v3, off, s[0:3], 0 offset:560
	;; [unrolled: 1-line block ×4, first 2 shown]
.LBB122_151:
	s_or_b32 exec_lo, exec_lo, s4
	v_mov_b32_e32 v4, s36
	s_waitcnt_vscnt null, 0x0
	s_barrier
	buffer_gl0_inv
	s_mov_b32 s4, exec_lo
	s_clause 0x3
	buffer_load_dword v1, v4, s[0:3], 0 offen
	buffer_load_dword v2, v4, s[0:3], 0 offen offset:4
	buffer_load_dword v3, v4, s[0:3], 0 offen offset:8
	;; [unrolled: 1-line block ×3, first 2 shown]
	s_waitcnt vmcnt(0)
	ds_write_b128 v5, v[1:4]
	s_waitcnt lgkmcnt(0)
	s_barrier
	buffer_gl0_inv
	v_cmpx_gt_u32_e32 35, v0
	s_cbranch_execz .LBB122_155
; %bb.152:
	v_mov_b32_e32 v1, 0
	v_mov_b32_e32 v3, 0
	v_add_nc_u32_e32 v7, -1, v0
	v_add_nc_u32_e32 v8, 0x3b0, v129
	v_mov_b32_e32 v2, 0
	v_mov_b32_e32 v4, 0
	v_add_nc_u32_e32 v127, 16, v129
	s_mov_b32 s5, 0
	.p2align	6
.LBB122_153:                            ; =>This Inner Loop Header: Depth=1
	s_clause 0x3
	buffer_load_dword v134, v127, s[0:3], 0 offen offset:8
	buffer_load_dword v135, v127, s[0:3], 0 offen offset:12
	buffer_load_dword v136, v127, s[0:3], 0 offen
	buffer_load_dword v137, v127, s[0:3], 0 offen offset:4
	ds_read_b128 v[130:133], v8
	v_add_nc_u32_e32 v7, 1, v7
	v_add_nc_u32_e32 v8, 16, v8
	;; [unrolled: 1-line block ×3, first 2 shown]
	v_cmp_lt_u32_e32 vcc_lo, 33, v7
	s_or_b32 s5, vcc_lo, s5
	s_waitcnt vmcnt(2) lgkmcnt(0)
	v_mul_f64 v[138:139], v[132:133], v[134:135]
	v_mul_f64 v[134:135], v[130:131], v[134:135]
	s_waitcnt vmcnt(0)
	v_fma_f64 v[130:131], v[130:131], v[136:137], -v[138:139]
	v_fma_f64 v[132:133], v[132:133], v[136:137], v[134:135]
	v_add_f64 v[3:4], v[3:4], v[130:131]
	v_add_f64 v[1:2], v[1:2], v[132:133]
	s_andn2_b32 exec_lo, exec_lo, s5
	s_cbranch_execnz .LBB122_153
; %bb.154:
	s_or_b32 exec_lo, exec_lo, s5
	v_mov_b32_e32 v7, 0
	ds_read_b128 v[130:133], v7 offset:560
	s_waitcnt lgkmcnt(0)
	v_mul_f64 v[7:8], v[1:2], v[132:133]
	v_mul_f64 v[127:128], v[3:4], v[132:133]
	v_fma_f64 v[3:4], v[3:4], v[130:131], -v[7:8]
	v_fma_f64 v[1:2], v[1:2], v[130:131], v[127:128]
	buffer_store_dword v4, off, s[0:3], 0 offset:580
	buffer_store_dword v3, off, s[0:3], 0 offset:576
	;; [unrolled: 1-line block ×4, first 2 shown]
.LBB122_155:
	s_or_b32 exec_lo, exec_lo, s4
	v_mov_b32_e32 v4, s35
	s_waitcnt_vscnt null, 0x0
	s_barrier
	buffer_gl0_inv
	s_mov_b32 s4, exec_lo
	s_clause 0x3
	buffer_load_dword v1, v4, s[0:3], 0 offen
	buffer_load_dword v2, v4, s[0:3], 0 offen offset:4
	buffer_load_dword v3, v4, s[0:3], 0 offen offset:8
	;; [unrolled: 1-line block ×3, first 2 shown]
	s_waitcnt vmcnt(0)
	ds_write_b128 v5, v[1:4]
	s_waitcnt lgkmcnt(0)
	s_barrier
	buffer_gl0_inv
	v_cmpx_gt_u32_e32 36, v0
	s_cbranch_execz .LBB122_159
; %bb.156:
	v_mov_b32_e32 v1, 0
	v_mov_b32_e32 v3, 0
	v_add_nc_u32_e32 v7, -1, v0
	v_add_nc_u32_e32 v8, 0x3b0, v129
	v_mov_b32_e32 v2, 0
	v_mov_b32_e32 v4, 0
	v_add_nc_u32_e32 v127, 16, v129
	s_mov_b32 s5, 0
	.p2align	6
.LBB122_157:                            ; =>This Inner Loop Header: Depth=1
	s_clause 0x3
	buffer_load_dword v134, v127, s[0:3], 0 offen offset:8
	buffer_load_dword v135, v127, s[0:3], 0 offen offset:12
	buffer_load_dword v136, v127, s[0:3], 0 offen
	buffer_load_dword v137, v127, s[0:3], 0 offen offset:4
	ds_read_b128 v[130:133], v8
	v_add_nc_u32_e32 v7, 1, v7
	v_add_nc_u32_e32 v8, 16, v8
	;; [unrolled: 1-line block ×3, first 2 shown]
	v_cmp_lt_u32_e32 vcc_lo, 34, v7
	s_or_b32 s5, vcc_lo, s5
	s_waitcnt vmcnt(2) lgkmcnt(0)
	v_mul_f64 v[138:139], v[132:133], v[134:135]
	v_mul_f64 v[134:135], v[130:131], v[134:135]
	s_waitcnt vmcnt(0)
	v_fma_f64 v[130:131], v[130:131], v[136:137], -v[138:139]
	v_fma_f64 v[132:133], v[132:133], v[136:137], v[134:135]
	v_add_f64 v[3:4], v[3:4], v[130:131]
	v_add_f64 v[1:2], v[1:2], v[132:133]
	s_andn2_b32 exec_lo, exec_lo, s5
	s_cbranch_execnz .LBB122_157
; %bb.158:
	s_or_b32 exec_lo, exec_lo, s5
	v_mov_b32_e32 v7, 0
	ds_read_b128 v[130:133], v7 offset:576
	s_waitcnt lgkmcnt(0)
	v_mul_f64 v[7:8], v[1:2], v[132:133]
	v_mul_f64 v[127:128], v[3:4], v[132:133]
	v_fma_f64 v[3:4], v[3:4], v[130:131], -v[7:8]
	v_fma_f64 v[1:2], v[1:2], v[130:131], v[127:128]
	buffer_store_dword v4, off, s[0:3], 0 offset:596
	buffer_store_dword v3, off, s[0:3], 0 offset:592
	;; [unrolled: 1-line block ×4, first 2 shown]
.LBB122_159:
	s_or_b32 exec_lo, exec_lo, s4
	v_mov_b32_e32 v4, s34
	s_waitcnt_vscnt null, 0x0
	s_barrier
	buffer_gl0_inv
	s_mov_b32 s4, exec_lo
	s_clause 0x3
	buffer_load_dword v1, v4, s[0:3], 0 offen
	buffer_load_dword v2, v4, s[0:3], 0 offen offset:4
	buffer_load_dword v3, v4, s[0:3], 0 offen offset:8
	;; [unrolled: 1-line block ×3, first 2 shown]
	s_waitcnt vmcnt(0)
	ds_write_b128 v5, v[1:4]
	s_waitcnt lgkmcnt(0)
	s_barrier
	buffer_gl0_inv
	v_cmpx_gt_u32_e32 37, v0
	s_cbranch_execz .LBB122_163
; %bb.160:
	v_mov_b32_e32 v1, 0
	v_mov_b32_e32 v3, 0
	v_add_nc_u32_e32 v7, -1, v0
	v_add_nc_u32_e32 v8, 0x3b0, v129
	v_mov_b32_e32 v2, 0
	v_mov_b32_e32 v4, 0
	v_add_nc_u32_e32 v127, 16, v129
	s_mov_b32 s5, 0
	.p2align	6
.LBB122_161:                            ; =>This Inner Loop Header: Depth=1
	s_clause 0x3
	buffer_load_dword v134, v127, s[0:3], 0 offen offset:8
	buffer_load_dword v135, v127, s[0:3], 0 offen offset:12
	buffer_load_dword v136, v127, s[0:3], 0 offen
	buffer_load_dword v137, v127, s[0:3], 0 offen offset:4
	ds_read_b128 v[130:133], v8
	v_add_nc_u32_e32 v7, 1, v7
	v_add_nc_u32_e32 v8, 16, v8
	;; [unrolled: 1-line block ×3, first 2 shown]
	v_cmp_lt_u32_e32 vcc_lo, 35, v7
	s_or_b32 s5, vcc_lo, s5
	s_waitcnt vmcnt(2) lgkmcnt(0)
	v_mul_f64 v[138:139], v[132:133], v[134:135]
	v_mul_f64 v[134:135], v[130:131], v[134:135]
	s_waitcnt vmcnt(0)
	v_fma_f64 v[130:131], v[130:131], v[136:137], -v[138:139]
	v_fma_f64 v[132:133], v[132:133], v[136:137], v[134:135]
	v_add_f64 v[3:4], v[3:4], v[130:131]
	v_add_f64 v[1:2], v[1:2], v[132:133]
	s_andn2_b32 exec_lo, exec_lo, s5
	s_cbranch_execnz .LBB122_161
; %bb.162:
	s_or_b32 exec_lo, exec_lo, s5
	v_mov_b32_e32 v7, 0
	ds_read_b128 v[130:133], v7 offset:592
	s_waitcnt lgkmcnt(0)
	v_mul_f64 v[7:8], v[1:2], v[132:133]
	v_mul_f64 v[127:128], v[3:4], v[132:133]
	v_fma_f64 v[3:4], v[3:4], v[130:131], -v[7:8]
	v_fma_f64 v[1:2], v[1:2], v[130:131], v[127:128]
	buffer_store_dword v4, off, s[0:3], 0 offset:612
	buffer_store_dword v3, off, s[0:3], 0 offset:608
	;; [unrolled: 1-line block ×4, first 2 shown]
.LBB122_163:
	s_or_b32 exec_lo, exec_lo, s4
	v_mov_b32_e32 v4, s33
	s_waitcnt_vscnt null, 0x0
	s_barrier
	buffer_gl0_inv
	s_mov_b32 s4, exec_lo
	s_clause 0x3
	buffer_load_dword v1, v4, s[0:3], 0 offen
	buffer_load_dword v2, v4, s[0:3], 0 offen offset:4
	buffer_load_dword v3, v4, s[0:3], 0 offen offset:8
	buffer_load_dword v4, v4, s[0:3], 0 offen offset:12
	s_waitcnt vmcnt(0)
	ds_write_b128 v5, v[1:4]
	s_waitcnt lgkmcnt(0)
	s_barrier
	buffer_gl0_inv
	v_cmpx_gt_u32_e32 38, v0
	s_cbranch_execz .LBB122_167
; %bb.164:
	v_mov_b32_e32 v1, 0
	v_mov_b32_e32 v3, 0
	v_add_nc_u32_e32 v7, -1, v0
	v_add_nc_u32_e32 v8, 0x3b0, v129
	v_mov_b32_e32 v2, 0
	v_mov_b32_e32 v4, 0
	v_add_nc_u32_e32 v127, 16, v129
	s_mov_b32 s5, 0
	.p2align	6
.LBB122_165:                            ; =>This Inner Loop Header: Depth=1
	s_clause 0x3
	buffer_load_dword v134, v127, s[0:3], 0 offen offset:8
	buffer_load_dword v135, v127, s[0:3], 0 offen offset:12
	buffer_load_dword v136, v127, s[0:3], 0 offen
	buffer_load_dword v137, v127, s[0:3], 0 offen offset:4
	ds_read_b128 v[130:133], v8
	v_add_nc_u32_e32 v7, 1, v7
	v_add_nc_u32_e32 v8, 16, v8
	;; [unrolled: 1-line block ×3, first 2 shown]
	v_cmp_lt_u32_e32 vcc_lo, 36, v7
	s_or_b32 s5, vcc_lo, s5
	s_waitcnt vmcnt(2) lgkmcnt(0)
	v_mul_f64 v[138:139], v[132:133], v[134:135]
	v_mul_f64 v[134:135], v[130:131], v[134:135]
	s_waitcnt vmcnt(0)
	v_fma_f64 v[130:131], v[130:131], v[136:137], -v[138:139]
	v_fma_f64 v[132:133], v[132:133], v[136:137], v[134:135]
	v_add_f64 v[3:4], v[3:4], v[130:131]
	v_add_f64 v[1:2], v[1:2], v[132:133]
	s_andn2_b32 exec_lo, exec_lo, s5
	s_cbranch_execnz .LBB122_165
; %bb.166:
	s_or_b32 exec_lo, exec_lo, s5
	v_mov_b32_e32 v7, 0
	ds_read_b128 v[130:133], v7 offset:608
	s_waitcnt lgkmcnt(0)
	v_mul_f64 v[7:8], v[1:2], v[132:133]
	v_mul_f64 v[127:128], v[3:4], v[132:133]
	v_fma_f64 v[3:4], v[3:4], v[130:131], -v[7:8]
	v_fma_f64 v[1:2], v[1:2], v[130:131], v[127:128]
	buffer_store_dword v4, off, s[0:3], 0 offset:628
	buffer_store_dword v3, off, s[0:3], 0 offset:624
	;; [unrolled: 1-line block ×4, first 2 shown]
.LBB122_167:
	s_or_b32 exec_lo, exec_lo, s4
	v_mov_b32_e32 v4, s31
	s_waitcnt_vscnt null, 0x0
	s_barrier
	buffer_gl0_inv
	s_mov_b32 s4, exec_lo
	s_clause 0x3
	buffer_load_dword v1, v4, s[0:3], 0 offen
	buffer_load_dword v2, v4, s[0:3], 0 offen offset:4
	buffer_load_dword v3, v4, s[0:3], 0 offen offset:8
	;; [unrolled: 1-line block ×3, first 2 shown]
	s_waitcnt vmcnt(0)
	ds_write_b128 v5, v[1:4]
	s_waitcnt lgkmcnt(0)
	s_barrier
	buffer_gl0_inv
	v_cmpx_gt_u32_e32 39, v0
	s_cbranch_execz .LBB122_171
; %bb.168:
	v_mov_b32_e32 v1, 0
	v_mov_b32_e32 v3, 0
	v_add_nc_u32_e32 v7, -1, v0
	v_add_nc_u32_e32 v8, 0x3b0, v129
	v_mov_b32_e32 v2, 0
	v_mov_b32_e32 v4, 0
	v_add_nc_u32_e32 v127, 16, v129
	s_mov_b32 s5, 0
	.p2align	6
.LBB122_169:                            ; =>This Inner Loop Header: Depth=1
	s_clause 0x3
	buffer_load_dword v134, v127, s[0:3], 0 offen offset:8
	buffer_load_dword v135, v127, s[0:3], 0 offen offset:12
	buffer_load_dword v136, v127, s[0:3], 0 offen
	buffer_load_dword v137, v127, s[0:3], 0 offen offset:4
	ds_read_b128 v[130:133], v8
	v_add_nc_u32_e32 v7, 1, v7
	v_add_nc_u32_e32 v8, 16, v8
	;; [unrolled: 1-line block ×3, first 2 shown]
	v_cmp_lt_u32_e32 vcc_lo, 37, v7
	s_or_b32 s5, vcc_lo, s5
	s_waitcnt vmcnt(2) lgkmcnt(0)
	v_mul_f64 v[138:139], v[132:133], v[134:135]
	v_mul_f64 v[134:135], v[130:131], v[134:135]
	s_waitcnt vmcnt(0)
	v_fma_f64 v[130:131], v[130:131], v[136:137], -v[138:139]
	v_fma_f64 v[132:133], v[132:133], v[136:137], v[134:135]
	v_add_f64 v[3:4], v[3:4], v[130:131]
	v_add_f64 v[1:2], v[1:2], v[132:133]
	s_andn2_b32 exec_lo, exec_lo, s5
	s_cbranch_execnz .LBB122_169
; %bb.170:
	s_or_b32 exec_lo, exec_lo, s5
	v_mov_b32_e32 v7, 0
	ds_read_b128 v[130:133], v7 offset:624
	s_waitcnt lgkmcnt(0)
	v_mul_f64 v[7:8], v[1:2], v[132:133]
	v_mul_f64 v[127:128], v[3:4], v[132:133]
	v_fma_f64 v[3:4], v[3:4], v[130:131], -v[7:8]
	v_fma_f64 v[1:2], v[1:2], v[130:131], v[127:128]
	buffer_store_dword v4, off, s[0:3], 0 offset:644
	buffer_store_dword v3, off, s[0:3], 0 offset:640
	;; [unrolled: 1-line block ×4, first 2 shown]
.LBB122_171:
	s_or_b32 exec_lo, exec_lo, s4
	v_mov_b32_e32 v4, s30
	s_waitcnt_vscnt null, 0x0
	s_barrier
	buffer_gl0_inv
	s_mov_b32 s4, exec_lo
	s_clause 0x3
	buffer_load_dword v1, v4, s[0:3], 0 offen
	buffer_load_dword v2, v4, s[0:3], 0 offen offset:4
	buffer_load_dword v3, v4, s[0:3], 0 offen offset:8
	;; [unrolled: 1-line block ×3, first 2 shown]
	s_waitcnt vmcnt(0)
	ds_write_b128 v5, v[1:4]
	s_waitcnt lgkmcnt(0)
	s_barrier
	buffer_gl0_inv
	v_cmpx_gt_u32_e32 40, v0
	s_cbranch_execz .LBB122_175
; %bb.172:
	v_mov_b32_e32 v1, 0
	v_mov_b32_e32 v3, 0
	v_add_nc_u32_e32 v7, -1, v0
	v_add_nc_u32_e32 v8, 0x3b0, v129
	v_mov_b32_e32 v2, 0
	v_mov_b32_e32 v4, 0
	v_add_nc_u32_e32 v127, 16, v129
	s_mov_b32 s5, 0
	.p2align	6
.LBB122_173:                            ; =>This Inner Loop Header: Depth=1
	s_clause 0x3
	buffer_load_dword v134, v127, s[0:3], 0 offen offset:8
	buffer_load_dword v135, v127, s[0:3], 0 offen offset:12
	buffer_load_dword v136, v127, s[0:3], 0 offen
	buffer_load_dword v137, v127, s[0:3], 0 offen offset:4
	ds_read_b128 v[130:133], v8
	v_add_nc_u32_e32 v7, 1, v7
	v_add_nc_u32_e32 v8, 16, v8
	;; [unrolled: 1-line block ×3, first 2 shown]
	v_cmp_lt_u32_e32 vcc_lo, 38, v7
	s_or_b32 s5, vcc_lo, s5
	s_waitcnt vmcnt(2) lgkmcnt(0)
	v_mul_f64 v[138:139], v[132:133], v[134:135]
	v_mul_f64 v[134:135], v[130:131], v[134:135]
	s_waitcnt vmcnt(0)
	v_fma_f64 v[130:131], v[130:131], v[136:137], -v[138:139]
	v_fma_f64 v[132:133], v[132:133], v[136:137], v[134:135]
	v_add_f64 v[3:4], v[3:4], v[130:131]
	v_add_f64 v[1:2], v[1:2], v[132:133]
	s_andn2_b32 exec_lo, exec_lo, s5
	s_cbranch_execnz .LBB122_173
; %bb.174:
	s_or_b32 exec_lo, exec_lo, s5
	v_mov_b32_e32 v7, 0
	ds_read_b128 v[130:133], v7 offset:640
	s_waitcnt lgkmcnt(0)
	v_mul_f64 v[7:8], v[1:2], v[132:133]
	v_mul_f64 v[127:128], v[3:4], v[132:133]
	v_fma_f64 v[3:4], v[3:4], v[130:131], -v[7:8]
	v_fma_f64 v[1:2], v[1:2], v[130:131], v[127:128]
	buffer_store_dword v4, off, s[0:3], 0 offset:660
	buffer_store_dword v3, off, s[0:3], 0 offset:656
	;; [unrolled: 1-line block ×4, first 2 shown]
.LBB122_175:
	s_or_b32 exec_lo, exec_lo, s4
	v_mov_b32_e32 v4, s29
	s_waitcnt_vscnt null, 0x0
	s_barrier
	buffer_gl0_inv
	s_mov_b32 s4, exec_lo
	s_clause 0x3
	buffer_load_dword v1, v4, s[0:3], 0 offen
	buffer_load_dword v2, v4, s[0:3], 0 offen offset:4
	buffer_load_dword v3, v4, s[0:3], 0 offen offset:8
	;; [unrolled: 1-line block ×3, first 2 shown]
	s_waitcnt vmcnt(0)
	ds_write_b128 v5, v[1:4]
	s_waitcnt lgkmcnt(0)
	s_barrier
	buffer_gl0_inv
	v_cmpx_gt_u32_e32 41, v0
	s_cbranch_execz .LBB122_179
; %bb.176:
	v_mov_b32_e32 v1, 0
	v_mov_b32_e32 v3, 0
	v_add_nc_u32_e32 v7, -1, v0
	v_add_nc_u32_e32 v8, 0x3b0, v129
	v_mov_b32_e32 v2, 0
	v_mov_b32_e32 v4, 0
	v_add_nc_u32_e32 v127, 16, v129
	s_mov_b32 s5, 0
	.p2align	6
.LBB122_177:                            ; =>This Inner Loop Header: Depth=1
	s_clause 0x3
	buffer_load_dword v134, v127, s[0:3], 0 offen offset:8
	buffer_load_dword v135, v127, s[0:3], 0 offen offset:12
	buffer_load_dword v136, v127, s[0:3], 0 offen
	buffer_load_dword v137, v127, s[0:3], 0 offen offset:4
	ds_read_b128 v[130:133], v8
	v_add_nc_u32_e32 v7, 1, v7
	v_add_nc_u32_e32 v8, 16, v8
	;; [unrolled: 1-line block ×3, first 2 shown]
	v_cmp_lt_u32_e32 vcc_lo, 39, v7
	s_or_b32 s5, vcc_lo, s5
	s_waitcnt vmcnt(2) lgkmcnt(0)
	v_mul_f64 v[138:139], v[132:133], v[134:135]
	v_mul_f64 v[134:135], v[130:131], v[134:135]
	s_waitcnt vmcnt(0)
	v_fma_f64 v[130:131], v[130:131], v[136:137], -v[138:139]
	v_fma_f64 v[132:133], v[132:133], v[136:137], v[134:135]
	v_add_f64 v[3:4], v[3:4], v[130:131]
	v_add_f64 v[1:2], v[1:2], v[132:133]
	s_andn2_b32 exec_lo, exec_lo, s5
	s_cbranch_execnz .LBB122_177
; %bb.178:
	s_or_b32 exec_lo, exec_lo, s5
	v_mov_b32_e32 v7, 0
	ds_read_b128 v[130:133], v7 offset:656
	s_waitcnt lgkmcnt(0)
	v_mul_f64 v[7:8], v[1:2], v[132:133]
	v_mul_f64 v[127:128], v[3:4], v[132:133]
	v_fma_f64 v[3:4], v[3:4], v[130:131], -v[7:8]
	v_fma_f64 v[1:2], v[1:2], v[130:131], v[127:128]
	buffer_store_dword v4, off, s[0:3], 0 offset:676
	buffer_store_dword v3, off, s[0:3], 0 offset:672
	;; [unrolled: 1-line block ×4, first 2 shown]
.LBB122_179:
	s_or_b32 exec_lo, exec_lo, s4
	v_mov_b32_e32 v4, s28
	s_waitcnt_vscnt null, 0x0
	s_barrier
	buffer_gl0_inv
	s_mov_b32 s4, exec_lo
	s_clause 0x3
	buffer_load_dword v1, v4, s[0:3], 0 offen
	buffer_load_dword v2, v4, s[0:3], 0 offen offset:4
	buffer_load_dword v3, v4, s[0:3], 0 offen offset:8
	;; [unrolled: 1-line block ×3, first 2 shown]
	s_waitcnt vmcnt(0)
	ds_write_b128 v5, v[1:4]
	s_waitcnt lgkmcnt(0)
	s_barrier
	buffer_gl0_inv
	v_cmpx_gt_u32_e32 42, v0
	s_cbranch_execz .LBB122_183
; %bb.180:
	v_mov_b32_e32 v1, 0
	v_mov_b32_e32 v3, 0
	v_add_nc_u32_e32 v7, -1, v0
	v_add_nc_u32_e32 v8, 0x3b0, v129
	v_mov_b32_e32 v2, 0
	v_mov_b32_e32 v4, 0
	v_add_nc_u32_e32 v127, 16, v129
	s_mov_b32 s5, 0
	.p2align	6
.LBB122_181:                            ; =>This Inner Loop Header: Depth=1
	s_clause 0x3
	buffer_load_dword v134, v127, s[0:3], 0 offen offset:8
	buffer_load_dword v135, v127, s[0:3], 0 offen offset:12
	buffer_load_dword v136, v127, s[0:3], 0 offen
	buffer_load_dword v137, v127, s[0:3], 0 offen offset:4
	ds_read_b128 v[130:133], v8
	v_add_nc_u32_e32 v7, 1, v7
	v_add_nc_u32_e32 v8, 16, v8
	;; [unrolled: 1-line block ×3, first 2 shown]
	v_cmp_lt_u32_e32 vcc_lo, 40, v7
	s_or_b32 s5, vcc_lo, s5
	s_waitcnt vmcnt(2) lgkmcnt(0)
	v_mul_f64 v[138:139], v[132:133], v[134:135]
	v_mul_f64 v[134:135], v[130:131], v[134:135]
	s_waitcnt vmcnt(0)
	v_fma_f64 v[130:131], v[130:131], v[136:137], -v[138:139]
	v_fma_f64 v[132:133], v[132:133], v[136:137], v[134:135]
	v_add_f64 v[3:4], v[3:4], v[130:131]
	v_add_f64 v[1:2], v[1:2], v[132:133]
	s_andn2_b32 exec_lo, exec_lo, s5
	s_cbranch_execnz .LBB122_181
; %bb.182:
	s_or_b32 exec_lo, exec_lo, s5
	v_mov_b32_e32 v7, 0
	ds_read_b128 v[130:133], v7 offset:672
	s_waitcnt lgkmcnt(0)
	v_mul_f64 v[7:8], v[1:2], v[132:133]
	v_mul_f64 v[127:128], v[3:4], v[132:133]
	v_fma_f64 v[3:4], v[3:4], v[130:131], -v[7:8]
	v_fma_f64 v[1:2], v[1:2], v[130:131], v[127:128]
	buffer_store_dword v4, off, s[0:3], 0 offset:692
	buffer_store_dword v3, off, s[0:3], 0 offset:688
	;; [unrolled: 1-line block ×4, first 2 shown]
.LBB122_183:
	s_or_b32 exec_lo, exec_lo, s4
	v_mov_b32_e32 v4, s27
	s_waitcnt_vscnt null, 0x0
	s_barrier
	buffer_gl0_inv
	s_mov_b32 s4, exec_lo
	s_clause 0x3
	buffer_load_dword v1, v4, s[0:3], 0 offen
	buffer_load_dword v2, v4, s[0:3], 0 offen offset:4
	buffer_load_dword v3, v4, s[0:3], 0 offen offset:8
	;; [unrolled: 1-line block ×3, first 2 shown]
	s_waitcnt vmcnt(0)
	ds_write_b128 v5, v[1:4]
	s_waitcnt lgkmcnt(0)
	s_barrier
	buffer_gl0_inv
	v_cmpx_gt_u32_e32 43, v0
	s_cbranch_execz .LBB122_187
; %bb.184:
	v_mov_b32_e32 v1, 0
	v_mov_b32_e32 v3, 0
	v_add_nc_u32_e32 v7, -1, v0
	v_add_nc_u32_e32 v8, 0x3b0, v129
	v_mov_b32_e32 v2, 0
	v_mov_b32_e32 v4, 0
	v_add_nc_u32_e32 v127, 16, v129
	s_mov_b32 s5, 0
	.p2align	6
.LBB122_185:                            ; =>This Inner Loop Header: Depth=1
	s_clause 0x3
	buffer_load_dword v134, v127, s[0:3], 0 offen offset:8
	buffer_load_dword v135, v127, s[0:3], 0 offen offset:12
	buffer_load_dword v136, v127, s[0:3], 0 offen
	buffer_load_dword v137, v127, s[0:3], 0 offen offset:4
	ds_read_b128 v[130:133], v8
	v_add_nc_u32_e32 v7, 1, v7
	v_add_nc_u32_e32 v8, 16, v8
	;; [unrolled: 1-line block ×3, first 2 shown]
	v_cmp_lt_u32_e32 vcc_lo, 41, v7
	s_or_b32 s5, vcc_lo, s5
	s_waitcnt vmcnt(2) lgkmcnt(0)
	v_mul_f64 v[138:139], v[132:133], v[134:135]
	v_mul_f64 v[134:135], v[130:131], v[134:135]
	s_waitcnt vmcnt(0)
	v_fma_f64 v[130:131], v[130:131], v[136:137], -v[138:139]
	v_fma_f64 v[132:133], v[132:133], v[136:137], v[134:135]
	v_add_f64 v[3:4], v[3:4], v[130:131]
	v_add_f64 v[1:2], v[1:2], v[132:133]
	s_andn2_b32 exec_lo, exec_lo, s5
	s_cbranch_execnz .LBB122_185
; %bb.186:
	s_or_b32 exec_lo, exec_lo, s5
	v_mov_b32_e32 v7, 0
	ds_read_b128 v[130:133], v7 offset:688
	s_waitcnt lgkmcnt(0)
	v_mul_f64 v[7:8], v[1:2], v[132:133]
	v_mul_f64 v[127:128], v[3:4], v[132:133]
	v_fma_f64 v[3:4], v[3:4], v[130:131], -v[7:8]
	v_fma_f64 v[1:2], v[1:2], v[130:131], v[127:128]
	buffer_store_dword v4, off, s[0:3], 0 offset:708
	buffer_store_dword v3, off, s[0:3], 0 offset:704
	;; [unrolled: 1-line block ×4, first 2 shown]
.LBB122_187:
	s_or_b32 exec_lo, exec_lo, s4
	v_mov_b32_e32 v4, s26
	s_waitcnt_vscnt null, 0x0
	s_barrier
	buffer_gl0_inv
	s_mov_b32 s4, exec_lo
	s_clause 0x3
	buffer_load_dword v1, v4, s[0:3], 0 offen
	buffer_load_dword v2, v4, s[0:3], 0 offen offset:4
	buffer_load_dword v3, v4, s[0:3], 0 offen offset:8
	;; [unrolled: 1-line block ×3, first 2 shown]
	s_waitcnt vmcnt(0)
	ds_write_b128 v5, v[1:4]
	s_waitcnt lgkmcnt(0)
	s_barrier
	buffer_gl0_inv
	v_cmpx_gt_u32_e32 44, v0
	s_cbranch_execz .LBB122_191
; %bb.188:
	v_mov_b32_e32 v1, 0
	v_mov_b32_e32 v3, 0
	v_add_nc_u32_e32 v7, -1, v0
	v_add_nc_u32_e32 v8, 0x3b0, v129
	v_mov_b32_e32 v2, 0
	v_mov_b32_e32 v4, 0
	v_add_nc_u32_e32 v127, 16, v129
	s_mov_b32 s5, 0
	.p2align	6
.LBB122_189:                            ; =>This Inner Loop Header: Depth=1
	s_clause 0x3
	buffer_load_dword v134, v127, s[0:3], 0 offen offset:8
	buffer_load_dword v135, v127, s[0:3], 0 offen offset:12
	buffer_load_dword v136, v127, s[0:3], 0 offen
	buffer_load_dword v137, v127, s[0:3], 0 offen offset:4
	ds_read_b128 v[130:133], v8
	v_add_nc_u32_e32 v7, 1, v7
	v_add_nc_u32_e32 v8, 16, v8
	;; [unrolled: 1-line block ×3, first 2 shown]
	v_cmp_lt_u32_e32 vcc_lo, 42, v7
	s_or_b32 s5, vcc_lo, s5
	s_waitcnt vmcnt(2) lgkmcnt(0)
	v_mul_f64 v[138:139], v[132:133], v[134:135]
	v_mul_f64 v[134:135], v[130:131], v[134:135]
	s_waitcnt vmcnt(0)
	v_fma_f64 v[130:131], v[130:131], v[136:137], -v[138:139]
	v_fma_f64 v[132:133], v[132:133], v[136:137], v[134:135]
	v_add_f64 v[3:4], v[3:4], v[130:131]
	v_add_f64 v[1:2], v[1:2], v[132:133]
	s_andn2_b32 exec_lo, exec_lo, s5
	s_cbranch_execnz .LBB122_189
; %bb.190:
	s_or_b32 exec_lo, exec_lo, s5
	v_mov_b32_e32 v7, 0
	ds_read_b128 v[130:133], v7 offset:704
	s_waitcnt lgkmcnt(0)
	v_mul_f64 v[7:8], v[1:2], v[132:133]
	v_mul_f64 v[127:128], v[3:4], v[132:133]
	v_fma_f64 v[3:4], v[3:4], v[130:131], -v[7:8]
	v_fma_f64 v[1:2], v[1:2], v[130:131], v[127:128]
	buffer_store_dword v4, off, s[0:3], 0 offset:724
	buffer_store_dword v3, off, s[0:3], 0 offset:720
	buffer_store_dword v2, off, s[0:3], 0 offset:732
	buffer_store_dword v1, off, s[0:3], 0 offset:728
.LBB122_191:
	s_or_b32 exec_lo, exec_lo, s4
	v_mov_b32_e32 v4, s25
	s_waitcnt_vscnt null, 0x0
	s_barrier
	buffer_gl0_inv
	s_mov_b32 s4, exec_lo
	s_clause 0x3
	buffer_load_dword v1, v4, s[0:3], 0 offen
	buffer_load_dword v2, v4, s[0:3], 0 offen offset:4
	buffer_load_dword v3, v4, s[0:3], 0 offen offset:8
	buffer_load_dword v4, v4, s[0:3], 0 offen offset:12
	s_waitcnt vmcnt(0)
	ds_write_b128 v5, v[1:4]
	s_waitcnt lgkmcnt(0)
	s_barrier
	buffer_gl0_inv
	v_cmpx_gt_u32_e32 45, v0
	s_cbranch_execz .LBB122_195
; %bb.192:
	v_mov_b32_e32 v1, 0
	v_mov_b32_e32 v3, 0
	v_add_nc_u32_e32 v7, -1, v0
	v_add_nc_u32_e32 v8, 0x3b0, v129
	v_mov_b32_e32 v2, 0
	v_mov_b32_e32 v4, 0
	v_add_nc_u32_e32 v127, 16, v129
	s_mov_b32 s5, 0
	.p2align	6
.LBB122_193:                            ; =>This Inner Loop Header: Depth=1
	s_clause 0x3
	buffer_load_dword v134, v127, s[0:3], 0 offen offset:8
	buffer_load_dword v135, v127, s[0:3], 0 offen offset:12
	buffer_load_dword v136, v127, s[0:3], 0 offen
	buffer_load_dword v137, v127, s[0:3], 0 offen offset:4
	ds_read_b128 v[130:133], v8
	v_add_nc_u32_e32 v7, 1, v7
	v_add_nc_u32_e32 v8, 16, v8
	;; [unrolled: 1-line block ×3, first 2 shown]
	v_cmp_lt_u32_e32 vcc_lo, 43, v7
	s_or_b32 s5, vcc_lo, s5
	s_waitcnt vmcnt(2) lgkmcnt(0)
	v_mul_f64 v[138:139], v[132:133], v[134:135]
	v_mul_f64 v[134:135], v[130:131], v[134:135]
	s_waitcnt vmcnt(0)
	v_fma_f64 v[130:131], v[130:131], v[136:137], -v[138:139]
	v_fma_f64 v[132:133], v[132:133], v[136:137], v[134:135]
	v_add_f64 v[3:4], v[3:4], v[130:131]
	v_add_f64 v[1:2], v[1:2], v[132:133]
	s_andn2_b32 exec_lo, exec_lo, s5
	s_cbranch_execnz .LBB122_193
; %bb.194:
	s_or_b32 exec_lo, exec_lo, s5
	v_mov_b32_e32 v7, 0
	ds_read_b128 v[130:133], v7 offset:720
	s_waitcnt lgkmcnt(0)
	v_mul_f64 v[7:8], v[1:2], v[132:133]
	v_mul_f64 v[127:128], v[3:4], v[132:133]
	v_fma_f64 v[3:4], v[3:4], v[130:131], -v[7:8]
	v_fma_f64 v[1:2], v[1:2], v[130:131], v[127:128]
	buffer_store_dword v4, off, s[0:3], 0 offset:740
	buffer_store_dword v3, off, s[0:3], 0 offset:736
	;; [unrolled: 1-line block ×4, first 2 shown]
.LBB122_195:
	s_or_b32 exec_lo, exec_lo, s4
	v_mov_b32_e32 v4, s24
	s_waitcnt_vscnt null, 0x0
	s_barrier
	buffer_gl0_inv
	s_mov_b32 s4, exec_lo
	s_clause 0x3
	buffer_load_dword v1, v4, s[0:3], 0 offen
	buffer_load_dword v2, v4, s[0:3], 0 offen offset:4
	buffer_load_dword v3, v4, s[0:3], 0 offen offset:8
	;; [unrolled: 1-line block ×3, first 2 shown]
	s_waitcnt vmcnt(0)
	ds_write_b128 v5, v[1:4]
	s_waitcnt lgkmcnt(0)
	s_barrier
	buffer_gl0_inv
	v_cmpx_gt_u32_e32 46, v0
	s_cbranch_execz .LBB122_199
; %bb.196:
	v_mov_b32_e32 v1, 0
	v_mov_b32_e32 v3, 0
	v_add_nc_u32_e32 v7, -1, v0
	v_add_nc_u32_e32 v8, 0x3b0, v129
	v_mov_b32_e32 v2, 0
	v_mov_b32_e32 v4, 0
	v_add_nc_u32_e32 v127, 16, v129
	s_mov_b32 s5, 0
	.p2align	6
.LBB122_197:                            ; =>This Inner Loop Header: Depth=1
	s_clause 0x3
	buffer_load_dword v134, v127, s[0:3], 0 offen offset:8
	buffer_load_dword v135, v127, s[0:3], 0 offen offset:12
	buffer_load_dword v136, v127, s[0:3], 0 offen
	buffer_load_dword v137, v127, s[0:3], 0 offen offset:4
	ds_read_b128 v[130:133], v8
	v_add_nc_u32_e32 v7, 1, v7
	v_add_nc_u32_e32 v8, 16, v8
	;; [unrolled: 1-line block ×3, first 2 shown]
	v_cmp_lt_u32_e32 vcc_lo, 44, v7
	s_or_b32 s5, vcc_lo, s5
	s_waitcnt vmcnt(2) lgkmcnt(0)
	v_mul_f64 v[138:139], v[132:133], v[134:135]
	v_mul_f64 v[134:135], v[130:131], v[134:135]
	s_waitcnt vmcnt(0)
	v_fma_f64 v[130:131], v[130:131], v[136:137], -v[138:139]
	v_fma_f64 v[132:133], v[132:133], v[136:137], v[134:135]
	v_add_f64 v[3:4], v[3:4], v[130:131]
	v_add_f64 v[1:2], v[1:2], v[132:133]
	s_andn2_b32 exec_lo, exec_lo, s5
	s_cbranch_execnz .LBB122_197
; %bb.198:
	s_or_b32 exec_lo, exec_lo, s5
	v_mov_b32_e32 v7, 0
	ds_read_b128 v[130:133], v7 offset:736
	s_waitcnt lgkmcnt(0)
	v_mul_f64 v[7:8], v[1:2], v[132:133]
	v_mul_f64 v[127:128], v[3:4], v[132:133]
	v_fma_f64 v[3:4], v[3:4], v[130:131], -v[7:8]
	v_fma_f64 v[1:2], v[1:2], v[130:131], v[127:128]
	buffer_store_dword v4, off, s[0:3], 0 offset:756
	buffer_store_dword v3, off, s[0:3], 0 offset:752
	;; [unrolled: 1-line block ×4, first 2 shown]
.LBB122_199:
	s_or_b32 exec_lo, exec_lo, s4
	v_mov_b32_e32 v4, s23
	s_waitcnt_vscnt null, 0x0
	s_barrier
	buffer_gl0_inv
	s_mov_b32 s4, exec_lo
	s_clause 0x3
	buffer_load_dword v1, v4, s[0:3], 0 offen
	buffer_load_dword v2, v4, s[0:3], 0 offen offset:4
	buffer_load_dword v3, v4, s[0:3], 0 offen offset:8
	;; [unrolled: 1-line block ×3, first 2 shown]
	s_waitcnt vmcnt(0)
	ds_write_b128 v5, v[1:4]
	s_waitcnt lgkmcnt(0)
	s_barrier
	buffer_gl0_inv
	v_cmpx_gt_u32_e32 47, v0
	s_cbranch_execz .LBB122_203
; %bb.200:
	v_mov_b32_e32 v1, 0
	v_mov_b32_e32 v3, 0
	v_add_nc_u32_e32 v7, -1, v0
	v_add_nc_u32_e32 v8, 0x3b0, v129
	v_mov_b32_e32 v2, 0
	v_mov_b32_e32 v4, 0
	v_add_nc_u32_e32 v127, 16, v129
	s_mov_b32 s5, 0
	.p2align	6
.LBB122_201:                            ; =>This Inner Loop Header: Depth=1
	s_clause 0x3
	buffer_load_dword v134, v127, s[0:3], 0 offen offset:8
	buffer_load_dword v135, v127, s[0:3], 0 offen offset:12
	buffer_load_dword v136, v127, s[0:3], 0 offen
	buffer_load_dword v137, v127, s[0:3], 0 offen offset:4
	ds_read_b128 v[130:133], v8
	v_add_nc_u32_e32 v7, 1, v7
	v_add_nc_u32_e32 v8, 16, v8
	;; [unrolled: 1-line block ×3, first 2 shown]
	v_cmp_lt_u32_e32 vcc_lo, 45, v7
	s_or_b32 s5, vcc_lo, s5
	s_waitcnt vmcnt(2) lgkmcnt(0)
	v_mul_f64 v[138:139], v[132:133], v[134:135]
	v_mul_f64 v[134:135], v[130:131], v[134:135]
	s_waitcnt vmcnt(0)
	v_fma_f64 v[130:131], v[130:131], v[136:137], -v[138:139]
	v_fma_f64 v[132:133], v[132:133], v[136:137], v[134:135]
	v_add_f64 v[3:4], v[3:4], v[130:131]
	v_add_f64 v[1:2], v[1:2], v[132:133]
	s_andn2_b32 exec_lo, exec_lo, s5
	s_cbranch_execnz .LBB122_201
; %bb.202:
	s_or_b32 exec_lo, exec_lo, s5
	v_mov_b32_e32 v7, 0
	ds_read_b128 v[130:133], v7 offset:752
	s_waitcnt lgkmcnt(0)
	v_mul_f64 v[7:8], v[1:2], v[132:133]
	v_mul_f64 v[127:128], v[3:4], v[132:133]
	v_fma_f64 v[3:4], v[3:4], v[130:131], -v[7:8]
	v_fma_f64 v[1:2], v[1:2], v[130:131], v[127:128]
	buffer_store_dword v4, off, s[0:3], 0 offset:772
	buffer_store_dword v3, off, s[0:3], 0 offset:768
	buffer_store_dword v2, off, s[0:3], 0 offset:780
	buffer_store_dword v1, off, s[0:3], 0 offset:776
.LBB122_203:
	s_or_b32 exec_lo, exec_lo, s4
	v_mov_b32_e32 v4, s22
	s_waitcnt_vscnt null, 0x0
	s_barrier
	buffer_gl0_inv
	s_mov_b32 s4, exec_lo
	s_clause 0x3
	buffer_load_dword v1, v4, s[0:3], 0 offen
	buffer_load_dword v2, v4, s[0:3], 0 offen offset:4
	buffer_load_dword v3, v4, s[0:3], 0 offen offset:8
	;; [unrolled: 1-line block ×3, first 2 shown]
	s_waitcnt vmcnt(0)
	ds_write_b128 v5, v[1:4]
	s_waitcnt lgkmcnt(0)
	s_barrier
	buffer_gl0_inv
	v_cmpx_gt_u32_e32 48, v0
	s_cbranch_execz .LBB122_207
; %bb.204:
	v_mov_b32_e32 v1, 0
	v_mov_b32_e32 v3, 0
	v_add_nc_u32_e32 v7, -1, v0
	v_add_nc_u32_e32 v8, 0x3b0, v129
	v_mov_b32_e32 v2, 0
	v_mov_b32_e32 v4, 0
	v_add_nc_u32_e32 v127, 16, v129
	s_mov_b32 s5, 0
	.p2align	6
.LBB122_205:                            ; =>This Inner Loop Header: Depth=1
	s_clause 0x3
	buffer_load_dword v134, v127, s[0:3], 0 offen offset:8
	buffer_load_dword v135, v127, s[0:3], 0 offen offset:12
	buffer_load_dword v136, v127, s[0:3], 0 offen
	buffer_load_dword v137, v127, s[0:3], 0 offen offset:4
	ds_read_b128 v[130:133], v8
	v_add_nc_u32_e32 v7, 1, v7
	v_add_nc_u32_e32 v8, 16, v8
	;; [unrolled: 1-line block ×3, first 2 shown]
	v_cmp_lt_u32_e32 vcc_lo, 46, v7
	s_or_b32 s5, vcc_lo, s5
	s_waitcnt vmcnt(2) lgkmcnt(0)
	v_mul_f64 v[138:139], v[132:133], v[134:135]
	v_mul_f64 v[134:135], v[130:131], v[134:135]
	s_waitcnt vmcnt(0)
	v_fma_f64 v[130:131], v[130:131], v[136:137], -v[138:139]
	v_fma_f64 v[132:133], v[132:133], v[136:137], v[134:135]
	v_add_f64 v[3:4], v[3:4], v[130:131]
	v_add_f64 v[1:2], v[1:2], v[132:133]
	s_andn2_b32 exec_lo, exec_lo, s5
	s_cbranch_execnz .LBB122_205
; %bb.206:
	s_or_b32 exec_lo, exec_lo, s5
	v_mov_b32_e32 v7, 0
	ds_read_b128 v[130:133], v7 offset:768
	s_waitcnt lgkmcnt(0)
	v_mul_f64 v[7:8], v[1:2], v[132:133]
	v_mul_f64 v[127:128], v[3:4], v[132:133]
	v_fma_f64 v[3:4], v[3:4], v[130:131], -v[7:8]
	v_fma_f64 v[1:2], v[1:2], v[130:131], v[127:128]
	buffer_store_dword v4, off, s[0:3], 0 offset:788
	buffer_store_dword v3, off, s[0:3], 0 offset:784
	buffer_store_dword v2, off, s[0:3], 0 offset:796
	buffer_store_dword v1, off, s[0:3], 0 offset:792
.LBB122_207:
	s_or_b32 exec_lo, exec_lo, s4
	v_mov_b32_e32 v4, s21
	s_waitcnt_vscnt null, 0x0
	s_barrier
	buffer_gl0_inv
	s_mov_b32 s4, exec_lo
	s_clause 0x3
	buffer_load_dword v1, v4, s[0:3], 0 offen
	buffer_load_dword v2, v4, s[0:3], 0 offen offset:4
	buffer_load_dword v3, v4, s[0:3], 0 offen offset:8
	;; [unrolled: 1-line block ×3, first 2 shown]
	s_waitcnt vmcnt(0)
	ds_write_b128 v5, v[1:4]
	s_waitcnt lgkmcnt(0)
	s_barrier
	buffer_gl0_inv
	v_cmpx_gt_u32_e32 49, v0
	s_cbranch_execz .LBB122_211
; %bb.208:
	v_mov_b32_e32 v1, 0
	v_mov_b32_e32 v3, 0
	v_add_nc_u32_e32 v7, -1, v0
	v_add_nc_u32_e32 v8, 0x3b0, v129
	v_mov_b32_e32 v2, 0
	v_mov_b32_e32 v4, 0
	v_add_nc_u32_e32 v127, 16, v129
	s_mov_b32 s5, 0
	.p2align	6
.LBB122_209:                            ; =>This Inner Loop Header: Depth=1
	s_clause 0x3
	buffer_load_dword v134, v127, s[0:3], 0 offen offset:8
	buffer_load_dword v135, v127, s[0:3], 0 offen offset:12
	buffer_load_dword v136, v127, s[0:3], 0 offen
	buffer_load_dword v137, v127, s[0:3], 0 offen offset:4
	ds_read_b128 v[130:133], v8
	v_add_nc_u32_e32 v7, 1, v7
	v_add_nc_u32_e32 v8, 16, v8
	;; [unrolled: 1-line block ×3, first 2 shown]
	v_cmp_lt_u32_e32 vcc_lo, 47, v7
	s_or_b32 s5, vcc_lo, s5
	s_waitcnt vmcnt(2) lgkmcnt(0)
	v_mul_f64 v[138:139], v[132:133], v[134:135]
	v_mul_f64 v[134:135], v[130:131], v[134:135]
	s_waitcnt vmcnt(0)
	v_fma_f64 v[130:131], v[130:131], v[136:137], -v[138:139]
	v_fma_f64 v[132:133], v[132:133], v[136:137], v[134:135]
	v_add_f64 v[3:4], v[3:4], v[130:131]
	v_add_f64 v[1:2], v[1:2], v[132:133]
	s_andn2_b32 exec_lo, exec_lo, s5
	s_cbranch_execnz .LBB122_209
; %bb.210:
	s_or_b32 exec_lo, exec_lo, s5
	v_mov_b32_e32 v7, 0
	ds_read_b128 v[130:133], v7 offset:784
	s_waitcnt lgkmcnt(0)
	v_mul_f64 v[7:8], v[1:2], v[132:133]
	v_mul_f64 v[127:128], v[3:4], v[132:133]
	v_fma_f64 v[3:4], v[3:4], v[130:131], -v[7:8]
	v_fma_f64 v[1:2], v[1:2], v[130:131], v[127:128]
	buffer_store_dword v4, off, s[0:3], 0 offset:804
	buffer_store_dword v3, off, s[0:3], 0 offset:800
	;; [unrolled: 1-line block ×4, first 2 shown]
.LBB122_211:
	s_or_b32 exec_lo, exec_lo, s4
	v_mov_b32_e32 v4, s20
	s_waitcnt_vscnt null, 0x0
	s_barrier
	buffer_gl0_inv
	s_mov_b32 s4, exec_lo
	s_clause 0x3
	buffer_load_dword v1, v4, s[0:3], 0 offen
	buffer_load_dword v2, v4, s[0:3], 0 offen offset:4
	buffer_load_dword v3, v4, s[0:3], 0 offen offset:8
	buffer_load_dword v4, v4, s[0:3], 0 offen offset:12
	s_waitcnt vmcnt(0)
	ds_write_b128 v5, v[1:4]
	s_waitcnt lgkmcnt(0)
	s_barrier
	buffer_gl0_inv
	v_cmpx_gt_u32_e32 50, v0
	s_cbranch_execz .LBB122_215
; %bb.212:
	v_mov_b32_e32 v1, 0
	v_mov_b32_e32 v3, 0
	v_add_nc_u32_e32 v7, -1, v0
	v_add_nc_u32_e32 v8, 0x3b0, v129
	v_mov_b32_e32 v2, 0
	v_mov_b32_e32 v4, 0
	v_add_nc_u32_e32 v127, 16, v129
	s_mov_b32 s5, 0
	.p2align	6
.LBB122_213:                            ; =>This Inner Loop Header: Depth=1
	s_clause 0x3
	buffer_load_dword v134, v127, s[0:3], 0 offen offset:8
	buffer_load_dword v135, v127, s[0:3], 0 offen offset:12
	buffer_load_dword v136, v127, s[0:3], 0 offen
	buffer_load_dword v137, v127, s[0:3], 0 offen offset:4
	ds_read_b128 v[130:133], v8
	v_add_nc_u32_e32 v7, 1, v7
	v_add_nc_u32_e32 v8, 16, v8
	;; [unrolled: 1-line block ×3, first 2 shown]
	v_cmp_lt_u32_e32 vcc_lo, 48, v7
	s_or_b32 s5, vcc_lo, s5
	s_waitcnt vmcnt(2) lgkmcnt(0)
	v_mul_f64 v[138:139], v[132:133], v[134:135]
	v_mul_f64 v[134:135], v[130:131], v[134:135]
	s_waitcnt vmcnt(0)
	v_fma_f64 v[130:131], v[130:131], v[136:137], -v[138:139]
	v_fma_f64 v[132:133], v[132:133], v[136:137], v[134:135]
	v_add_f64 v[3:4], v[3:4], v[130:131]
	v_add_f64 v[1:2], v[1:2], v[132:133]
	s_andn2_b32 exec_lo, exec_lo, s5
	s_cbranch_execnz .LBB122_213
; %bb.214:
	s_or_b32 exec_lo, exec_lo, s5
	v_mov_b32_e32 v7, 0
	ds_read_b128 v[130:133], v7 offset:800
	s_waitcnt lgkmcnt(0)
	v_mul_f64 v[7:8], v[1:2], v[132:133]
	v_mul_f64 v[127:128], v[3:4], v[132:133]
	v_fma_f64 v[3:4], v[3:4], v[130:131], -v[7:8]
	v_fma_f64 v[1:2], v[1:2], v[130:131], v[127:128]
	buffer_store_dword v4, off, s[0:3], 0 offset:820
	buffer_store_dword v3, off, s[0:3], 0 offset:816
	;; [unrolled: 1-line block ×4, first 2 shown]
.LBB122_215:
	s_or_b32 exec_lo, exec_lo, s4
	v_mov_b32_e32 v4, s19
	s_waitcnt_vscnt null, 0x0
	s_barrier
	buffer_gl0_inv
	s_mov_b32 s4, exec_lo
	s_clause 0x3
	buffer_load_dword v1, v4, s[0:3], 0 offen
	buffer_load_dword v2, v4, s[0:3], 0 offen offset:4
	buffer_load_dword v3, v4, s[0:3], 0 offen offset:8
	buffer_load_dword v4, v4, s[0:3], 0 offen offset:12
	s_waitcnt vmcnt(0)
	ds_write_b128 v5, v[1:4]
	s_waitcnt lgkmcnt(0)
	s_barrier
	buffer_gl0_inv
	v_cmpx_gt_u32_e32 51, v0
	s_cbranch_execz .LBB122_219
; %bb.216:
	v_mov_b32_e32 v1, 0
	v_mov_b32_e32 v3, 0
	v_add_nc_u32_e32 v7, -1, v0
	v_add_nc_u32_e32 v8, 0x3b0, v129
	v_mov_b32_e32 v2, 0
	v_mov_b32_e32 v4, 0
	v_add_nc_u32_e32 v127, 16, v129
	s_mov_b32 s5, 0
	.p2align	6
.LBB122_217:                            ; =>This Inner Loop Header: Depth=1
	s_clause 0x3
	buffer_load_dword v134, v127, s[0:3], 0 offen offset:8
	buffer_load_dword v135, v127, s[0:3], 0 offen offset:12
	buffer_load_dword v136, v127, s[0:3], 0 offen
	buffer_load_dword v137, v127, s[0:3], 0 offen offset:4
	ds_read_b128 v[130:133], v8
	v_add_nc_u32_e32 v7, 1, v7
	v_add_nc_u32_e32 v8, 16, v8
	;; [unrolled: 1-line block ×3, first 2 shown]
	v_cmp_lt_u32_e32 vcc_lo, 49, v7
	s_or_b32 s5, vcc_lo, s5
	s_waitcnt vmcnt(2) lgkmcnt(0)
	v_mul_f64 v[138:139], v[132:133], v[134:135]
	v_mul_f64 v[134:135], v[130:131], v[134:135]
	s_waitcnt vmcnt(0)
	v_fma_f64 v[130:131], v[130:131], v[136:137], -v[138:139]
	v_fma_f64 v[132:133], v[132:133], v[136:137], v[134:135]
	v_add_f64 v[3:4], v[3:4], v[130:131]
	v_add_f64 v[1:2], v[1:2], v[132:133]
	s_andn2_b32 exec_lo, exec_lo, s5
	s_cbranch_execnz .LBB122_217
; %bb.218:
	s_or_b32 exec_lo, exec_lo, s5
	v_mov_b32_e32 v7, 0
	ds_read_b128 v[130:133], v7 offset:816
	s_waitcnt lgkmcnt(0)
	v_mul_f64 v[7:8], v[1:2], v[132:133]
	v_mul_f64 v[127:128], v[3:4], v[132:133]
	v_fma_f64 v[3:4], v[3:4], v[130:131], -v[7:8]
	v_fma_f64 v[1:2], v[1:2], v[130:131], v[127:128]
	buffer_store_dword v4, off, s[0:3], 0 offset:836
	buffer_store_dword v3, off, s[0:3], 0 offset:832
	;; [unrolled: 1-line block ×4, first 2 shown]
.LBB122_219:
	s_or_b32 exec_lo, exec_lo, s4
	v_mov_b32_e32 v4, s18
	s_waitcnt_vscnt null, 0x0
	s_barrier
	buffer_gl0_inv
	s_mov_b32 s4, exec_lo
	s_clause 0x3
	buffer_load_dword v1, v4, s[0:3], 0 offen
	buffer_load_dword v2, v4, s[0:3], 0 offen offset:4
	buffer_load_dword v3, v4, s[0:3], 0 offen offset:8
	;; [unrolled: 1-line block ×3, first 2 shown]
	s_waitcnt vmcnt(0)
	ds_write_b128 v5, v[1:4]
	s_waitcnt lgkmcnt(0)
	s_barrier
	buffer_gl0_inv
	v_cmpx_gt_u32_e32 52, v0
	s_cbranch_execz .LBB122_223
; %bb.220:
	v_mov_b32_e32 v1, 0
	v_mov_b32_e32 v3, 0
	v_add_nc_u32_e32 v7, -1, v0
	v_add_nc_u32_e32 v8, 0x3b0, v129
	v_mov_b32_e32 v2, 0
	v_mov_b32_e32 v4, 0
	v_add_nc_u32_e32 v127, 16, v129
	s_mov_b32 s5, 0
	.p2align	6
.LBB122_221:                            ; =>This Inner Loop Header: Depth=1
	s_clause 0x3
	buffer_load_dword v134, v127, s[0:3], 0 offen offset:8
	buffer_load_dword v135, v127, s[0:3], 0 offen offset:12
	buffer_load_dword v136, v127, s[0:3], 0 offen
	buffer_load_dword v137, v127, s[0:3], 0 offen offset:4
	ds_read_b128 v[130:133], v8
	v_add_nc_u32_e32 v7, 1, v7
	v_add_nc_u32_e32 v8, 16, v8
	v_add_nc_u32_e32 v127, 16, v127
	v_cmp_lt_u32_e32 vcc_lo, 50, v7
	s_or_b32 s5, vcc_lo, s5
	s_waitcnt vmcnt(2) lgkmcnt(0)
	v_mul_f64 v[138:139], v[132:133], v[134:135]
	v_mul_f64 v[134:135], v[130:131], v[134:135]
	s_waitcnt vmcnt(0)
	v_fma_f64 v[130:131], v[130:131], v[136:137], -v[138:139]
	v_fma_f64 v[132:133], v[132:133], v[136:137], v[134:135]
	v_add_f64 v[3:4], v[3:4], v[130:131]
	v_add_f64 v[1:2], v[1:2], v[132:133]
	s_andn2_b32 exec_lo, exec_lo, s5
	s_cbranch_execnz .LBB122_221
; %bb.222:
	s_or_b32 exec_lo, exec_lo, s5
	v_mov_b32_e32 v7, 0
	ds_read_b128 v[130:133], v7 offset:832
	s_waitcnt lgkmcnt(0)
	v_mul_f64 v[7:8], v[1:2], v[132:133]
	v_mul_f64 v[127:128], v[3:4], v[132:133]
	v_fma_f64 v[3:4], v[3:4], v[130:131], -v[7:8]
	v_fma_f64 v[1:2], v[1:2], v[130:131], v[127:128]
	buffer_store_dword v4, off, s[0:3], 0 offset:852
	buffer_store_dword v3, off, s[0:3], 0 offset:848
	buffer_store_dword v2, off, s[0:3], 0 offset:860
	buffer_store_dword v1, off, s[0:3], 0 offset:856
.LBB122_223:
	s_or_b32 exec_lo, exec_lo, s4
	v_mov_b32_e32 v4, s17
	s_waitcnt_vscnt null, 0x0
	s_barrier
	buffer_gl0_inv
	s_mov_b32 s4, exec_lo
	s_clause 0x3
	buffer_load_dword v1, v4, s[0:3], 0 offen
	buffer_load_dword v2, v4, s[0:3], 0 offen offset:4
	buffer_load_dword v3, v4, s[0:3], 0 offen offset:8
	;; [unrolled: 1-line block ×3, first 2 shown]
	s_waitcnt vmcnt(0)
	ds_write_b128 v5, v[1:4]
	s_waitcnt lgkmcnt(0)
	s_barrier
	buffer_gl0_inv
	v_cmpx_gt_u32_e32 53, v0
	s_cbranch_execz .LBB122_227
; %bb.224:
	v_mov_b32_e32 v1, 0
	v_mov_b32_e32 v3, 0
	v_add_nc_u32_e32 v7, -1, v0
	v_add_nc_u32_e32 v8, 0x3b0, v129
	v_mov_b32_e32 v2, 0
	v_mov_b32_e32 v4, 0
	v_add_nc_u32_e32 v127, 16, v129
	s_mov_b32 s5, 0
	.p2align	6
.LBB122_225:                            ; =>This Inner Loop Header: Depth=1
	s_clause 0x3
	buffer_load_dword v134, v127, s[0:3], 0 offen offset:8
	buffer_load_dword v135, v127, s[0:3], 0 offen offset:12
	buffer_load_dword v136, v127, s[0:3], 0 offen
	buffer_load_dword v137, v127, s[0:3], 0 offen offset:4
	ds_read_b128 v[130:133], v8
	v_add_nc_u32_e32 v7, 1, v7
	v_add_nc_u32_e32 v8, 16, v8
	;; [unrolled: 1-line block ×3, first 2 shown]
	v_cmp_lt_u32_e32 vcc_lo, 51, v7
	s_or_b32 s5, vcc_lo, s5
	s_waitcnt vmcnt(2) lgkmcnt(0)
	v_mul_f64 v[138:139], v[132:133], v[134:135]
	v_mul_f64 v[134:135], v[130:131], v[134:135]
	s_waitcnt vmcnt(0)
	v_fma_f64 v[130:131], v[130:131], v[136:137], -v[138:139]
	v_fma_f64 v[132:133], v[132:133], v[136:137], v[134:135]
	v_add_f64 v[3:4], v[3:4], v[130:131]
	v_add_f64 v[1:2], v[1:2], v[132:133]
	s_andn2_b32 exec_lo, exec_lo, s5
	s_cbranch_execnz .LBB122_225
; %bb.226:
	s_or_b32 exec_lo, exec_lo, s5
	v_mov_b32_e32 v7, 0
	ds_read_b128 v[130:133], v7 offset:848
	s_waitcnt lgkmcnt(0)
	v_mul_f64 v[7:8], v[1:2], v[132:133]
	v_mul_f64 v[127:128], v[3:4], v[132:133]
	v_fma_f64 v[3:4], v[3:4], v[130:131], -v[7:8]
	v_fma_f64 v[1:2], v[1:2], v[130:131], v[127:128]
	buffer_store_dword v4, off, s[0:3], 0 offset:868
	buffer_store_dword v3, off, s[0:3], 0 offset:864
	;; [unrolled: 1-line block ×4, first 2 shown]
.LBB122_227:
	s_or_b32 exec_lo, exec_lo, s4
	v_mov_b32_e32 v4, s16
	s_waitcnt_vscnt null, 0x0
	s_barrier
	buffer_gl0_inv
	s_mov_b32 s4, exec_lo
	s_clause 0x3
	buffer_load_dword v1, v4, s[0:3], 0 offen
	buffer_load_dword v2, v4, s[0:3], 0 offen offset:4
	buffer_load_dword v3, v4, s[0:3], 0 offen offset:8
	;; [unrolled: 1-line block ×3, first 2 shown]
	s_waitcnt vmcnt(0)
	ds_write_b128 v5, v[1:4]
	s_waitcnt lgkmcnt(0)
	s_barrier
	buffer_gl0_inv
	v_cmpx_gt_u32_e32 54, v0
	s_cbranch_execz .LBB122_231
; %bb.228:
	v_mov_b32_e32 v1, 0
	v_mov_b32_e32 v3, 0
	v_add_nc_u32_e32 v7, -1, v0
	v_add_nc_u32_e32 v8, 0x3b0, v129
	v_mov_b32_e32 v2, 0
	v_mov_b32_e32 v4, 0
	v_add_nc_u32_e32 v127, 16, v129
	s_mov_b32 s5, 0
	.p2align	6
.LBB122_229:                            ; =>This Inner Loop Header: Depth=1
	s_clause 0x3
	buffer_load_dword v134, v127, s[0:3], 0 offen offset:8
	buffer_load_dword v135, v127, s[0:3], 0 offen offset:12
	buffer_load_dword v136, v127, s[0:3], 0 offen
	buffer_load_dword v137, v127, s[0:3], 0 offen offset:4
	ds_read_b128 v[130:133], v8
	v_add_nc_u32_e32 v7, 1, v7
	v_add_nc_u32_e32 v8, 16, v8
	;; [unrolled: 1-line block ×3, first 2 shown]
	v_cmp_lt_u32_e32 vcc_lo, 52, v7
	s_or_b32 s5, vcc_lo, s5
	s_waitcnt vmcnt(2) lgkmcnt(0)
	v_mul_f64 v[138:139], v[132:133], v[134:135]
	v_mul_f64 v[134:135], v[130:131], v[134:135]
	s_waitcnt vmcnt(0)
	v_fma_f64 v[130:131], v[130:131], v[136:137], -v[138:139]
	v_fma_f64 v[132:133], v[132:133], v[136:137], v[134:135]
	v_add_f64 v[3:4], v[3:4], v[130:131]
	v_add_f64 v[1:2], v[1:2], v[132:133]
	s_andn2_b32 exec_lo, exec_lo, s5
	s_cbranch_execnz .LBB122_229
; %bb.230:
	s_or_b32 exec_lo, exec_lo, s5
	v_mov_b32_e32 v7, 0
	ds_read_b128 v[130:133], v7 offset:864
	s_waitcnt lgkmcnt(0)
	v_mul_f64 v[7:8], v[1:2], v[132:133]
	v_mul_f64 v[127:128], v[3:4], v[132:133]
	v_fma_f64 v[3:4], v[3:4], v[130:131], -v[7:8]
	v_fma_f64 v[1:2], v[1:2], v[130:131], v[127:128]
	buffer_store_dword v4, off, s[0:3], 0 offset:884
	buffer_store_dword v3, off, s[0:3], 0 offset:880
	;; [unrolled: 1-line block ×4, first 2 shown]
.LBB122_231:
	s_or_b32 exec_lo, exec_lo, s4
	v_mov_b32_e32 v4, s15
	s_waitcnt_vscnt null, 0x0
	s_barrier
	buffer_gl0_inv
	s_mov_b32 s4, exec_lo
	s_clause 0x3
	buffer_load_dword v1, v4, s[0:3], 0 offen
	buffer_load_dword v2, v4, s[0:3], 0 offen offset:4
	buffer_load_dword v3, v4, s[0:3], 0 offen offset:8
	;; [unrolled: 1-line block ×3, first 2 shown]
	s_waitcnt vmcnt(0)
	ds_write_b128 v5, v[1:4]
	s_waitcnt lgkmcnt(0)
	s_barrier
	buffer_gl0_inv
	v_cmpx_gt_u32_e32 55, v0
	s_cbranch_execz .LBB122_235
; %bb.232:
	v_mov_b32_e32 v1, 0
	v_mov_b32_e32 v3, 0
	v_add_nc_u32_e32 v7, -1, v0
	v_add_nc_u32_e32 v8, 0x3b0, v129
	v_mov_b32_e32 v2, 0
	v_mov_b32_e32 v4, 0
	v_add_nc_u32_e32 v127, 16, v129
	s_mov_b32 s5, 0
	.p2align	6
.LBB122_233:                            ; =>This Inner Loop Header: Depth=1
	s_clause 0x3
	buffer_load_dword v134, v127, s[0:3], 0 offen offset:8
	buffer_load_dword v135, v127, s[0:3], 0 offen offset:12
	buffer_load_dword v136, v127, s[0:3], 0 offen
	buffer_load_dword v137, v127, s[0:3], 0 offen offset:4
	ds_read_b128 v[130:133], v8
	v_add_nc_u32_e32 v7, 1, v7
	v_add_nc_u32_e32 v8, 16, v8
	;; [unrolled: 1-line block ×3, first 2 shown]
	v_cmp_lt_u32_e32 vcc_lo, 53, v7
	s_or_b32 s5, vcc_lo, s5
	s_waitcnt vmcnt(2) lgkmcnt(0)
	v_mul_f64 v[138:139], v[132:133], v[134:135]
	v_mul_f64 v[134:135], v[130:131], v[134:135]
	s_waitcnt vmcnt(0)
	v_fma_f64 v[130:131], v[130:131], v[136:137], -v[138:139]
	v_fma_f64 v[132:133], v[132:133], v[136:137], v[134:135]
	v_add_f64 v[3:4], v[3:4], v[130:131]
	v_add_f64 v[1:2], v[1:2], v[132:133]
	s_andn2_b32 exec_lo, exec_lo, s5
	s_cbranch_execnz .LBB122_233
; %bb.234:
	s_or_b32 exec_lo, exec_lo, s5
	v_mov_b32_e32 v7, 0
	ds_read_b128 v[130:133], v7 offset:880
	s_waitcnt lgkmcnt(0)
	v_mul_f64 v[7:8], v[1:2], v[132:133]
	v_mul_f64 v[127:128], v[3:4], v[132:133]
	v_fma_f64 v[3:4], v[3:4], v[130:131], -v[7:8]
	v_fma_f64 v[1:2], v[1:2], v[130:131], v[127:128]
	buffer_store_dword v4, off, s[0:3], 0 offset:900
	buffer_store_dword v3, off, s[0:3], 0 offset:896
	;; [unrolled: 1-line block ×4, first 2 shown]
.LBB122_235:
	s_or_b32 exec_lo, exec_lo, s4
	v_mov_b32_e32 v4, s14
	s_waitcnt_vscnt null, 0x0
	s_barrier
	buffer_gl0_inv
	s_mov_b32 s4, exec_lo
	s_clause 0x3
	buffer_load_dword v1, v4, s[0:3], 0 offen
	buffer_load_dword v2, v4, s[0:3], 0 offen offset:4
	buffer_load_dword v3, v4, s[0:3], 0 offen offset:8
	;; [unrolled: 1-line block ×3, first 2 shown]
	s_waitcnt vmcnt(0)
	ds_write_b128 v5, v[1:4]
	s_waitcnt lgkmcnt(0)
	s_barrier
	buffer_gl0_inv
	v_cmpx_gt_u32_e32 56, v0
	s_cbranch_execz .LBB122_239
; %bb.236:
	v_mov_b32_e32 v1, 0
	v_mov_b32_e32 v3, 0
	v_add_nc_u32_e32 v7, -1, v0
	v_add_nc_u32_e32 v8, 0x3b0, v129
	v_mov_b32_e32 v2, 0
	v_mov_b32_e32 v4, 0
	v_add_nc_u32_e32 v127, 16, v129
	s_mov_b32 s5, 0
	.p2align	6
.LBB122_237:                            ; =>This Inner Loop Header: Depth=1
	s_clause 0x3
	buffer_load_dword v134, v127, s[0:3], 0 offen offset:8
	buffer_load_dword v135, v127, s[0:3], 0 offen offset:12
	buffer_load_dword v136, v127, s[0:3], 0 offen
	buffer_load_dword v137, v127, s[0:3], 0 offen offset:4
	ds_read_b128 v[130:133], v8
	v_add_nc_u32_e32 v7, 1, v7
	v_add_nc_u32_e32 v8, 16, v8
	v_add_nc_u32_e32 v127, 16, v127
	v_cmp_lt_u32_e32 vcc_lo, 54, v7
	s_or_b32 s5, vcc_lo, s5
	s_waitcnt vmcnt(2) lgkmcnt(0)
	v_mul_f64 v[138:139], v[132:133], v[134:135]
	v_mul_f64 v[134:135], v[130:131], v[134:135]
	s_waitcnt vmcnt(0)
	v_fma_f64 v[130:131], v[130:131], v[136:137], -v[138:139]
	v_fma_f64 v[132:133], v[132:133], v[136:137], v[134:135]
	v_add_f64 v[3:4], v[3:4], v[130:131]
	v_add_f64 v[1:2], v[1:2], v[132:133]
	s_andn2_b32 exec_lo, exec_lo, s5
	s_cbranch_execnz .LBB122_237
; %bb.238:
	s_or_b32 exec_lo, exec_lo, s5
	v_mov_b32_e32 v7, 0
	ds_read_b128 v[130:133], v7 offset:896
	s_waitcnt lgkmcnt(0)
	v_mul_f64 v[7:8], v[1:2], v[132:133]
	v_mul_f64 v[127:128], v[3:4], v[132:133]
	v_fma_f64 v[3:4], v[3:4], v[130:131], -v[7:8]
	v_fma_f64 v[1:2], v[1:2], v[130:131], v[127:128]
	buffer_store_dword v4, off, s[0:3], 0 offset:916
	buffer_store_dword v3, off, s[0:3], 0 offset:912
	;; [unrolled: 1-line block ×4, first 2 shown]
.LBB122_239:
	s_or_b32 exec_lo, exec_lo, s4
	v_mov_b32_e32 v4, s9
	s_waitcnt_vscnt null, 0x0
	s_barrier
	buffer_gl0_inv
	s_mov_b32 s4, exec_lo
	s_clause 0x3
	buffer_load_dword v1, v4, s[0:3], 0 offen
	buffer_load_dword v2, v4, s[0:3], 0 offen offset:4
	buffer_load_dword v3, v4, s[0:3], 0 offen offset:8
	;; [unrolled: 1-line block ×3, first 2 shown]
	s_waitcnt vmcnt(0)
	ds_write_b128 v5, v[1:4]
	s_waitcnt lgkmcnt(0)
	s_barrier
	buffer_gl0_inv
	v_cmpx_gt_u32_e32 57, v0
	s_cbranch_execz .LBB122_243
; %bb.240:
	v_mov_b32_e32 v1, 0
	v_mov_b32_e32 v3, 0
	v_add_nc_u32_e32 v7, -1, v0
	v_add_nc_u32_e32 v8, 0x3b0, v129
	v_mov_b32_e32 v2, 0
	v_mov_b32_e32 v4, 0
	v_add_nc_u32_e32 v127, 16, v129
	s_mov_b32 s5, 0
	.p2align	6
.LBB122_241:                            ; =>This Inner Loop Header: Depth=1
	s_clause 0x3
	buffer_load_dword v134, v127, s[0:3], 0 offen offset:8
	buffer_load_dword v135, v127, s[0:3], 0 offen offset:12
	buffer_load_dword v136, v127, s[0:3], 0 offen
	buffer_load_dword v137, v127, s[0:3], 0 offen offset:4
	ds_read_b128 v[130:133], v8
	v_add_nc_u32_e32 v7, 1, v7
	v_add_nc_u32_e32 v8, 16, v8
	v_add_nc_u32_e32 v127, 16, v127
	v_cmp_lt_u32_e32 vcc_lo, 55, v7
	s_or_b32 s5, vcc_lo, s5
	s_waitcnt vmcnt(2) lgkmcnt(0)
	v_mul_f64 v[138:139], v[132:133], v[134:135]
	v_mul_f64 v[134:135], v[130:131], v[134:135]
	s_waitcnt vmcnt(0)
	v_fma_f64 v[130:131], v[130:131], v[136:137], -v[138:139]
	v_fma_f64 v[132:133], v[132:133], v[136:137], v[134:135]
	v_add_f64 v[3:4], v[3:4], v[130:131]
	v_add_f64 v[1:2], v[1:2], v[132:133]
	s_andn2_b32 exec_lo, exec_lo, s5
	s_cbranch_execnz .LBB122_241
; %bb.242:
	s_or_b32 exec_lo, exec_lo, s5
	v_mov_b32_e32 v7, 0
	ds_read_b128 v[130:133], v7 offset:912
	s_waitcnt lgkmcnt(0)
	v_mul_f64 v[7:8], v[1:2], v[132:133]
	v_mul_f64 v[127:128], v[3:4], v[132:133]
	v_fma_f64 v[3:4], v[3:4], v[130:131], -v[7:8]
	v_fma_f64 v[1:2], v[1:2], v[130:131], v[127:128]
	buffer_store_dword v4, off, s[0:3], 0 offset:932
	buffer_store_dword v3, off, s[0:3], 0 offset:928
	;; [unrolled: 1-line block ×4, first 2 shown]
.LBB122_243:
	s_or_b32 exec_lo, exec_lo, s4
	v_mov_b32_e32 v4, s8
	s_waitcnt_vscnt null, 0x0
	s_barrier
	buffer_gl0_inv
	s_mov_b32 s4, exec_lo
	s_clause 0x3
	buffer_load_dword v1, v4, s[0:3], 0 offen
	buffer_load_dword v2, v4, s[0:3], 0 offen offset:4
	buffer_load_dword v3, v4, s[0:3], 0 offen offset:8
	;; [unrolled: 1-line block ×3, first 2 shown]
	s_waitcnt vmcnt(0)
	ds_write_b128 v5, v[1:4]
	s_waitcnt lgkmcnt(0)
	s_barrier
	buffer_gl0_inv
	v_cmpx_ne_u32_e32 58, v0
	s_cbranch_execz .LBB122_247
; %bb.244:
	v_mov_b32_e32 v1, 0
	v_mov_b32_e32 v3, 0
	v_mov_b32_e32 v2, 0
	v_mov_b32_e32 v4, 0
	v_add_nc_u32_e32 v7, 16, v129
	s_mov_b32 s5, 0
	.p2align	6
.LBB122_245:                            ; =>This Inner Loop Header: Depth=1
	s_clause 0x3
	buffer_load_dword v131, v7, s[0:3], 0 offen offset:8
	buffer_load_dword v132, v7, s[0:3], 0 offen offset:12
	buffer_load_dword v133, v7, s[0:3], 0 offen
	buffer_load_dword v134, v7, s[0:3], 0 offen offset:4
	ds_read_b128 v[127:130], v5
	v_add_nc_u32_e32 v6, 1, v6
	v_add_nc_u32_e32 v5, 16, v5
	;; [unrolled: 1-line block ×3, first 2 shown]
	v_cmp_lt_u32_e32 vcc_lo, 56, v6
	s_or_b32 s5, vcc_lo, s5
	s_waitcnt vmcnt(2) lgkmcnt(0)
	v_mul_f64 v[135:136], v[129:130], v[131:132]
	v_mul_f64 v[131:132], v[127:128], v[131:132]
	s_waitcnt vmcnt(0)
	v_fma_f64 v[127:128], v[127:128], v[133:134], -v[135:136]
	v_fma_f64 v[129:130], v[129:130], v[133:134], v[131:132]
	v_add_f64 v[3:4], v[3:4], v[127:128]
	v_add_f64 v[1:2], v[1:2], v[129:130]
	s_andn2_b32 exec_lo, exec_lo, s5
	s_cbranch_execnz .LBB122_245
; %bb.246:
	s_or_b32 exec_lo, exec_lo, s5
	v_mov_b32_e32 v5, 0
	ds_read_b128 v[5:8], v5 offset:928
	s_waitcnt lgkmcnt(0)
	v_mul_f64 v[127:128], v[1:2], v[7:8]
	v_mul_f64 v[7:8], v[3:4], v[7:8]
	v_fma_f64 v[3:4], v[3:4], v[5:6], -v[127:128]
	v_fma_f64 v[1:2], v[1:2], v[5:6], v[7:8]
	buffer_store_dword v4, off, s[0:3], 0 offset:948
	buffer_store_dword v3, off, s[0:3], 0 offset:944
	;; [unrolled: 1-line block ×4, first 2 shown]
.LBB122_247:
	s_or_b32 exec_lo, exec_lo, s4
	s_mov_b32 s5, -1
	s_waitcnt_vscnt null, 0x0
	s_barrier
	buffer_gl0_inv
.LBB122_248:
	s_and_b32 vcc_lo, exec_lo, s5
	s_cbranch_vccz .LBB122_250
; %bb.249:
	s_lshl_b64 s[4:5], s[6:7], 2
	v_mov_b32_e32 v1, 0
	s_add_u32 s4, s10, s4
	s_addc_u32 s5, s11, s5
	global_load_dword v1, v1, s[4:5]
	s_waitcnt vmcnt(0)
	v_cmp_ne_u32_e32 vcc_lo, 0, v1
	s_cbranch_vccz .LBB122_251
.LBB122_250:
	s_endpgm
.LBB122_251:
	v_lshl_add_u32 v187, v0, 4, 0x3b0
	s_mov_b32 s4, exec_lo
	v_cmpx_eq_u32_e32 58, v0
	s_cbranch_execz .LBB122_253
; %bb.252:
	v_mov_b32_e32 v4, s9
	v_mov_b32_e32 v5, 0
	s_clause 0x3
	buffer_load_dword v1, v4, s[0:3], 0 offen
	buffer_load_dword v2, v4, s[0:3], 0 offen offset:4
	buffer_load_dword v3, v4, s[0:3], 0 offen offset:8
	buffer_load_dword v4, v4, s[0:3], 0 offen offset:12
	buffer_store_dword v5, off, s[0:3], 0 offset:928
	buffer_store_dword v5, off, s[0:3], 0 offset:932
	buffer_store_dword v5, off, s[0:3], 0 offset:936
	buffer_store_dword v5, off, s[0:3], 0 offset:940
	s_waitcnt vmcnt(0)
	ds_write_b128 v187, v[1:4]
.LBB122_253:
	s_or_b32 exec_lo, exec_lo, s4
	s_waitcnt lgkmcnt(0)
	s_waitcnt_vscnt null, 0x0
	s_barrier
	buffer_gl0_inv
	s_clause 0x7
	buffer_load_dword v6, off, s[0:3], 0 offset:952
	buffer_load_dword v7, off, s[0:3], 0 offset:956
	;; [unrolled: 1-line block ×8, first 2 shown]
	v_mov_b32_e32 v1, 0
	s_mov_b32 s4, exec_lo
	ds_read_b128 v[2:5], v1 offset:1872
	s_waitcnt vmcnt(6) lgkmcnt(0)
	v_mul_f64 v[133:134], v[4:5], v[6:7]
	v_mul_f64 v[6:7], v[2:3], v[6:7]
	s_waitcnt vmcnt(4)
	v_fma_f64 v[2:3], v[2:3], v[127:128], -v[133:134]
	v_fma_f64 v[4:5], v[4:5], v[127:128], v[6:7]
	v_add_f64 v[2:3], v[2:3], 0
	v_add_f64 v[4:5], v[4:5], 0
	s_waitcnt vmcnt(2)
	v_add_f64 v[2:3], v[129:130], -v[2:3]
	s_waitcnt vmcnt(0)
	v_add_f64 v[4:5], v[131:132], -v[4:5]
	buffer_store_dword v2, off, s[0:3], 0 offset:928
	buffer_store_dword v3, off, s[0:3], 0 offset:932
	;; [unrolled: 1-line block ×4, first 2 shown]
	v_cmpx_lt_u32_e32 56, v0
	s_cbranch_execz .LBB122_255
; %bb.254:
	v_mov_b32_e32 v5, s14
	s_clause 0x3
	buffer_load_dword v2, v5, s[0:3], 0 offen
	buffer_load_dword v3, v5, s[0:3], 0 offen offset:4
	buffer_load_dword v4, v5, s[0:3], 0 offen offset:8
	;; [unrolled: 1-line block ×3, first 2 shown]
	buffer_store_dword v1, off, s[0:3], 0 offset:912
	buffer_store_dword v1, off, s[0:3], 0 offset:916
	;; [unrolled: 1-line block ×4, first 2 shown]
	s_waitcnt vmcnt(0)
	ds_write_b128 v187, v[2:5]
.LBB122_255:
	s_or_b32 exec_lo, exec_lo, s4
	s_waitcnt lgkmcnt(0)
	s_waitcnt_vscnt null, 0x0
	s_barrier
	buffer_gl0_inv
	s_clause 0xb
	buffer_load_dword v6, off, s[0:3], 0 offset:936
	buffer_load_dword v7, off, s[0:3], 0 offset:940
	;; [unrolled: 1-line block ×12, first 2 shown]
	ds_read_b128 v[2:5], v1 offset:1856
	ds_read_b128 v[127:130], v1 offset:1872
	s_mov_b32 s4, exec_lo
	s_waitcnt vmcnt(10) lgkmcnt(1)
	v_mul_f64 v[141:142], v[4:5], v[6:7]
	v_mul_f64 v[6:7], v[2:3], v[6:7]
	s_waitcnt vmcnt(8) lgkmcnt(0)
	v_mul_f64 v[143:144], v[129:130], v[131:132]
	v_mul_f64 v[131:132], v[127:128], v[131:132]
	s_waitcnt vmcnt(6)
	v_fma_f64 v[1:2], v[2:3], v[133:134], -v[141:142]
	v_fma_f64 v[3:4], v[4:5], v[133:134], v[6:7]
	s_waitcnt vmcnt(4)
	v_fma_f64 v[5:6], v[127:128], v[135:136], -v[143:144]
	v_fma_f64 v[7:8], v[129:130], v[135:136], v[131:132]
	v_add_f64 v[1:2], v[1:2], 0
	v_add_f64 v[3:4], v[3:4], 0
	v_add_f64 v[1:2], v[1:2], v[5:6]
	v_add_f64 v[3:4], v[3:4], v[7:8]
	s_waitcnt vmcnt(2)
	v_add_f64 v[1:2], v[137:138], -v[1:2]
	s_waitcnt vmcnt(0)
	v_add_f64 v[3:4], v[139:140], -v[3:4]
	buffer_store_dword v1, off, s[0:3], 0 offset:912
	buffer_store_dword v2, off, s[0:3], 0 offset:916
	;; [unrolled: 1-line block ×4, first 2 shown]
	v_cmpx_lt_u32_e32 55, v0
	s_cbranch_execz .LBB122_257
; %bb.256:
	v_mov_b32_e32 v4, s15
	v_mov_b32_e32 v5, 0
	s_clause 0x3
	buffer_load_dword v1, v4, s[0:3], 0 offen
	buffer_load_dword v2, v4, s[0:3], 0 offen offset:4
	buffer_load_dword v3, v4, s[0:3], 0 offen offset:8
	;; [unrolled: 1-line block ×3, first 2 shown]
	buffer_store_dword v5, off, s[0:3], 0 offset:896
	buffer_store_dword v5, off, s[0:3], 0 offset:900
	;; [unrolled: 1-line block ×4, first 2 shown]
	s_waitcnt vmcnt(0)
	ds_write_b128 v187, v[1:4]
.LBB122_257:
	s_or_b32 exec_lo, exec_lo, s4
	s_waitcnt lgkmcnt(0)
	s_waitcnt_vscnt null, 0x0
	s_barrier
	buffer_gl0_inv
	s_clause 0xf
	buffer_load_dword v6, off, s[0:3], 0 offset:920
	buffer_load_dword v7, off, s[0:3], 0 offset:924
	;; [unrolled: 1-line block ×16, first 2 shown]
	v_mov_b32_e32 v1, 0
	ds_read_b128 v[2:5], v1 offset:1840
	ds_read_b128 v[127:130], v1 offset:1856
	;; [unrolled: 1-line block ×3, first 2 shown]
	s_mov_b32 s4, exec_lo
	s_waitcnt vmcnt(14) lgkmcnt(2)
	v_mul_f64 v[149:150], v[4:5], v[6:7]
	v_mul_f64 v[6:7], v[2:3], v[6:7]
	s_waitcnt vmcnt(12) lgkmcnt(1)
	v_mul_f64 v[151:152], v[129:130], v[135:136]
	v_mul_f64 v[135:136], v[127:128], v[135:136]
	s_waitcnt vmcnt(10)
	v_fma_f64 v[2:3], v[2:3], v[137:138], -v[149:150]
	v_fma_f64 v[4:5], v[4:5], v[137:138], v[6:7]
	s_waitcnt vmcnt(8) lgkmcnt(0)
	v_mul_f64 v[137:138], v[133:134], v[139:140]
	s_waitcnt vmcnt(6)
	v_fma_f64 v[127:128], v[127:128], v[141:142], -v[151:152]
	v_mul_f64 v[6:7], v[131:132], v[139:140]
	v_fma_f64 v[129:130], v[129:130], v[141:142], v[135:136]
	v_add_f64 v[2:3], v[2:3], 0
	v_add_f64 v[4:5], v[4:5], 0
	s_waitcnt vmcnt(4)
	v_fma_f64 v[131:132], v[131:132], v[143:144], -v[137:138]
	v_fma_f64 v[6:7], v[133:134], v[143:144], v[6:7]
	v_add_f64 v[2:3], v[2:3], v[127:128]
	v_add_f64 v[4:5], v[4:5], v[129:130]
	;; [unrolled: 1-line block ×4, first 2 shown]
	s_waitcnt vmcnt(2)
	v_add_f64 v[2:3], v[145:146], -v[2:3]
	s_waitcnt vmcnt(0)
	v_add_f64 v[4:5], v[147:148], -v[4:5]
	buffer_store_dword v2, off, s[0:3], 0 offset:896
	buffer_store_dword v3, off, s[0:3], 0 offset:900
	;; [unrolled: 1-line block ×4, first 2 shown]
	v_cmpx_lt_u32_e32 54, v0
	s_cbranch_execz .LBB122_259
; %bb.258:
	v_mov_b32_e32 v5, s16
	s_clause 0x3
	buffer_load_dword v2, v5, s[0:3], 0 offen
	buffer_load_dword v3, v5, s[0:3], 0 offen offset:4
	buffer_load_dword v4, v5, s[0:3], 0 offen offset:8
	;; [unrolled: 1-line block ×3, first 2 shown]
	buffer_store_dword v1, off, s[0:3], 0 offset:880
	buffer_store_dword v1, off, s[0:3], 0 offset:884
	;; [unrolled: 1-line block ×4, first 2 shown]
	s_waitcnt vmcnt(0)
	ds_write_b128 v187, v[2:5]
.LBB122_259:
	s_or_b32 exec_lo, exec_lo, s4
	s_waitcnt lgkmcnt(0)
	s_waitcnt_vscnt null, 0x0
	s_barrier
	buffer_gl0_inv
	s_clause 0x13
	buffer_load_dword v6, off, s[0:3], 0 offset:904
	buffer_load_dword v7, off, s[0:3], 0 offset:908
	;; [unrolled: 1-line block ×20, first 2 shown]
	ds_read_b128 v[2:5], v1 offset:1824
	ds_read_b128 v[127:130], v1 offset:1840
	ds_read_b128 v[131:134], v1 offset:1856
	s_mov_b32 s4, exec_lo
	s_waitcnt vmcnt(18) lgkmcnt(2)
	v_mul_f64 v[153:154], v[4:5], v[6:7]
	v_mul_f64 v[6:7], v[2:3], v[6:7]
	s_waitcnt vmcnt(16) lgkmcnt(1)
	v_mul_f64 v[155:156], v[129:130], v[135:136]
	v_mul_f64 v[135:136], v[127:128], v[135:136]
	s_waitcnt vmcnt(14)
	v_fma_f64 v[153:154], v[2:3], v[137:138], -v[153:154]
	v_fma_f64 v[5:6], v[4:5], v[137:138], v[6:7]
	s_waitcnt vmcnt(12) lgkmcnt(0)
	v_mul_f64 v[7:8], v[131:132], v[139:140]
	v_mul_f64 v[137:138], v[133:134], v[139:140]
	s_waitcnt vmcnt(10)
	v_fma_f64 v[127:128], v[127:128], v[141:142], -v[155:156]
	ds_read_b128 v[1:4], v1 offset:1872
	v_fma_f64 v[129:130], v[129:130], v[141:142], v[135:136]
	v_add_f64 v[139:140], v[153:154], 0
	v_add_f64 v[5:6], v[5:6], 0
	s_waitcnt vmcnt(6)
	v_fma_f64 v[7:8], v[133:134], v[145:146], v[7:8]
	s_waitcnt lgkmcnt(0)
	v_mul_f64 v[141:142], v[3:4], v[143:144]
	v_fma_f64 v[131:132], v[131:132], v[145:146], -v[137:138]
	v_mul_f64 v[135:136], v[1:2], v[143:144]
	v_add_f64 v[127:128], v[139:140], v[127:128]
	v_add_f64 v[5:6], v[5:6], v[129:130]
	s_waitcnt vmcnt(4)
	v_fma_f64 v[1:2], v[1:2], v[147:148], -v[141:142]
	v_fma_f64 v[3:4], v[3:4], v[147:148], v[135:136]
	v_add_f64 v[127:128], v[127:128], v[131:132]
	v_add_f64 v[5:6], v[5:6], v[7:8]
	;; [unrolled: 1-line block ×4, first 2 shown]
	s_waitcnt vmcnt(2)
	v_add_f64 v[1:2], v[149:150], -v[1:2]
	s_waitcnt vmcnt(0)
	v_add_f64 v[3:4], v[151:152], -v[3:4]
	buffer_store_dword v1, off, s[0:3], 0 offset:880
	buffer_store_dword v2, off, s[0:3], 0 offset:884
	;; [unrolled: 1-line block ×4, first 2 shown]
	v_cmpx_lt_u32_e32 53, v0
	s_cbranch_execz .LBB122_261
; %bb.260:
	v_mov_b32_e32 v4, s17
	v_mov_b32_e32 v5, 0
	s_clause 0x3
	buffer_load_dword v1, v4, s[0:3], 0 offen
	buffer_load_dword v2, v4, s[0:3], 0 offen offset:4
	buffer_load_dword v3, v4, s[0:3], 0 offen offset:8
	;; [unrolled: 1-line block ×3, first 2 shown]
	buffer_store_dword v5, off, s[0:3], 0 offset:864
	buffer_store_dword v5, off, s[0:3], 0 offset:868
	;; [unrolled: 1-line block ×4, first 2 shown]
	s_waitcnt vmcnt(0)
	ds_write_b128 v187, v[1:4]
.LBB122_261:
	s_or_b32 exec_lo, exec_lo, s4
	s_waitcnt lgkmcnt(0)
	s_waitcnt_vscnt null, 0x0
	s_barrier
	buffer_gl0_inv
	s_clause 0x17
	buffer_load_dword v6, off, s[0:3], 0 offset:888
	buffer_load_dword v7, off, s[0:3], 0 offset:892
	;; [unrolled: 1-line block ×24, first 2 shown]
	v_mov_b32_e32 v1, 0
	ds_read_b128 v[2:5], v1 offset:1808
	ds_read_b128 v[127:130], v1 offset:1824
	;; [unrolled: 1-line block ×3, first 2 shown]
	s_mov_b32 s4, exec_lo
	s_waitcnt vmcnt(22) lgkmcnt(2)
	v_mul_f64 v[157:158], v[4:5], v[6:7]
	v_mul_f64 v[6:7], v[2:3], v[6:7]
	s_waitcnt vmcnt(20) lgkmcnt(1)
	v_mul_f64 v[159:160], v[129:130], v[135:136]
	v_mul_f64 v[135:136], v[127:128], v[135:136]
	s_waitcnt vmcnt(18)
	v_fma_f64 v[157:158], v[2:3], v[137:138], -v[157:158]
	v_fma_f64 v[6:7], v[4:5], v[137:138], v[6:7]
	ds_read_b128 v[2:5], v1 offset:1856
	s_waitcnt vmcnt(16) lgkmcnt(1)
	v_mul_f64 v[137:138], v[131:132], v[139:140]
	v_mul_f64 v[139:140], v[133:134], v[139:140]
	s_waitcnt vmcnt(14)
	v_fma_f64 v[159:160], v[127:128], v[141:142], -v[159:160]
	v_fma_f64 v[135:136], v[129:130], v[141:142], v[135:136]
	ds_read_b128 v[127:130], v1 offset:1872
	s_waitcnt vmcnt(10) lgkmcnt(1)
	v_mul_f64 v[141:142], v[2:3], v[143:144]
	v_add_f64 v[157:158], v[157:158], 0
	v_add_f64 v[6:7], v[6:7], 0
	v_mul_f64 v[143:144], v[4:5], v[143:144]
	s_waitcnt vmcnt(8)
	v_fma_f64 v[131:132], v[131:132], v[149:150], -v[139:140]
	v_fma_f64 v[133:134], v[133:134], v[149:150], v[137:138]
	s_waitcnt vmcnt(7) lgkmcnt(0)
	v_mul_f64 v[137:138], v[129:130], v[145:146]
	s_waitcnt vmcnt(5)
	v_fma_f64 v[4:5], v[4:5], v[151:152], v[141:142]
	v_add_f64 v[139:140], v[157:158], v[159:160]
	v_add_f64 v[6:7], v[6:7], v[135:136]
	v_fma_f64 v[2:3], v[2:3], v[151:152], -v[143:144]
	v_mul_f64 v[135:136], v[127:128], v[145:146]
	s_waitcnt vmcnt(4)
	v_fma_f64 v[127:128], v[127:128], v[147:148], -v[137:138]
	v_add_f64 v[131:132], v[139:140], v[131:132]
	v_add_f64 v[6:7], v[6:7], v[133:134]
	v_fma_f64 v[129:130], v[129:130], v[147:148], v[135:136]
	v_add_f64 v[2:3], v[131:132], v[2:3]
	v_add_f64 v[4:5], v[6:7], v[4:5]
	;; [unrolled: 1-line block ×4, first 2 shown]
	s_waitcnt vmcnt(2)
	v_add_f64 v[2:3], v[153:154], -v[2:3]
	s_waitcnt vmcnt(0)
	v_add_f64 v[4:5], v[155:156], -v[4:5]
	buffer_store_dword v3, off, s[0:3], 0 offset:868
	buffer_store_dword v2, off, s[0:3], 0 offset:864
	;; [unrolled: 1-line block ×4, first 2 shown]
	v_cmpx_lt_u32_e32 52, v0
	s_cbranch_execz .LBB122_263
; %bb.262:
	v_mov_b32_e32 v5, s18
	s_clause 0x3
	buffer_load_dword v2, v5, s[0:3], 0 offen
	buffer_load_dword v3, v5, s[0:3], 0 offen offset:4
	buffer_load_dword v4, v5, s[0:3], 0 offen offset:8
	;; [unrolled: 1-line block ×3, first 2 shown]
	buffer_store_dword v1, off, s[0:3], 0 offset:848
	buffer_store_dword v1, off, s[0:3], 0 offset:852
	;; [unrolled: 1-line block ×4, first 2 shown]
	s_waitcnt vmcnt(0)
	ds_write_b128 v187, v[2:5]
.LBB122_263:
	s_or_b32 exec_lo, exec_lo, s4
	s_waitcnt lgkmcnt(0)
	s_waitcnt_vscnt null, 0x0
	s_barrier
	buffer_gl0_inv
	s_clause 0x1b
	buffer_load_dword v6, off, s[0:3], 0 offset:872
	buffer_load_dword v7, off, s[0:3], 0 offset:876
	;; [unrolled: 1-line block ×28, first 2 shown]
	ds_read_b128 v[2:5], v1 offset:1792
	ds_read_b128 v[127:130], v1 offset:1808
	;; [unrolled: 1-line block ×3, first 2 shown]
	s_mov_b32 s4, exec_lo
	s_waitcnt vmcnt(26) lgkmcnt(2)
	v_mul_f64 v[161:162], v[4:5], v[6:7]
	v_mul_f64 v[6:7], v[2:3], v[6:7]
	s_waitcnt vmcnt(24) lgkmcnt(1)
	v_mul_f64 v[163:164], v[129:130], v[135:136]
	v_mul_f64 v[135:136], v[127:128], v[135:136]
	s_waitcnt vmcnt(22)
	v_fma_f64 v[161:162], v[2:3], v[137:138], -v[161:162]
	v_fma_f64 v[6:7], v[4:5], v[137:138], v[6:7]
	ds_read_b128 v[2:5], v1 offset:1840
	s_waitcnt vmcnt(20) lgkmcnt(1)
	v_mul_f64 v[137:138], v[131:132], v[139:140]
	v_mul_f64 v[139:140], v[133:134], v[139:140]
	s_waitcnt vmcnt(18)
	v_fma_f64 v[163:164], v[127:128], v[141:142], -v[163:164]
	v_fma_f64 v[135:136], v[129:130], v[141:142], v[135:136]
	ds_read_b128 v[127:130], v1 offset:1856
	s_waitcnt vmcnt(14) lgkmcnt(1)
	v_mul_f64 v[141:142], v[2:3], v[143:144]
	v_add_f64 v[161:162], v[161:162], 0
	v_add_f64 v[6:7], v[6:7], 0
	v_mul_f64 v[143:144], v[4:5], v[143:144]
	s_waitcnt vmcnt(12)
	v_fma_f64 v[139:140], v[131:132], v[149:150], -v[139:140]
	v_fma_f64 v[137:138], v[133:134], v[149:150], v[137:138]
	ds_read_b128 v[131:134], v1 offset:1872
	v_add_f64 v[161:162], v[161:162], v[163:164]
	v_add_f64 v[6:7], v[6:7], v[135:136]
	s_waitcnt vmcnt(11) lgkmcnt(1)
	v_mul_f64 v[135:136], v[127:128], v[145:146]
	v_mul_f64 v[145:146], v[129:130], v[145:146]
	s_waitcnt vmcnt(9)
	v_fma_f64 v[1:2], v[2:3], v[151:152], -v[143:144]
	v_fma_f64 v[3:4], v[4:5], v[151:152], v[141:142]
	v_add_f64 v[139:140], v[161:162], v[139:140]
	v_add_f64 v[5:6], v[6:7], v[137:138]
	s_waitcnt vmcnt(7) lgkmcnt(0)
	v_mul_f64 v[137:138], v[133:134], v[153:154]
	s_waitcnt vmcnt(6)
	v_fma_f64 v[127:128], v[127:128], v[147:148], -v[145:146]
	v_mul_f64 v[7:8], v[131:132], v[153:154]
	v_fma_f64 v[129:130], v[129:130], v[147:148], v[135:136]
	v_add_f64 v[1:2], v[139:140], v[1:2]
	v_add_f64 v[3:4], v[5:6], v[3:4]
	s_waitcnt vmcnt(4)
	v_fma_f64 v[5:6], v[131:132], v[155:156], -v[137:138]
	v_fma_f64 v[7:8], v[133:134], v[155:156], v[7:8]
	v_add_f64 v[1:2], v[1:2], v[127:128]
	v_add_f64 v[3:4], v[3:4], v[129:130]
	;; [unrolled: 1-line block ×4, first 2 shown]
	s_waitcnt vmcnt(2)
	v_add_f64 v[1:2], v[157:158], -v[1:2]
	s_waitcnt vmcnt(0)
	v_add_f64 v[3:4], v[159:160], -v[3:4]
	buffer_store_dword v2, off, s[0:3], 0 offset:852
	buffer_store_dword v1, off, s[0:3], 0 offset:848
	;; [unrolled: 1-line block ×4, first 2 shown]
	v_cmpx_lt_u32_e32 51, v0
	s_cbranch_execz .LBB122_265
; %bb.264:
	v_mov_b32_e32 v4, s19
	v_mov_b32_e32 v5, 0
	s_clause 0x3
	buffer_load_dword v1, v4, s[0:3], 0 offen
	buffer_load_dword v2, v4, s[0:3], 0 offen offset:4
	buffer_load_dword v3, v4, s[0:3], 0 offen offset:8
	buffer_load_dword v4, v4, s[0:3], 0 offen offset:12
	buffer_store_dword v5, off, s[0:3], 0 offset:832
	buffer_store_dword v5, off, s[0:3], 0 offset:836
	;; [unrolled: 1-line block ×4, first 2 shown]
	s_waitcnt vmcnt(0)
	ds_write_b128 v187, v[1:4]
.LBB122_265:
	s_or_b32 exec_lo, exec_lo, s4
	s_waitcnt lgkmcnt(0)
	s_waitcnt_vscnt null, 0x0
	s_barrier
	buffer_gl0_inv
	s_clause 0x1f
	buffer_load_dword v6, off, s[0:3], 0 offset:856
	buffer_load_dword v7, off, s[0:3], 0 offset:860
	;; [unrolled: 1-line block ×32, first 2 shown]
	v_mov_b32_e32 v1, 0
	ds_read_b128 v[2:5], v1 offset:1776
	ds_read_b128 v[127:130], v1 offset:1792
	;; [unrolled: 1-line block ×3, first 2 shown]
	s_mov_b32 s4, exec_lo
	s_waitcnt vmcnt(30) lgkmcnt(2)
	v_mul_f64 v[165:166], v[4:5], v[6:7]
	v_mul_f64 v[6:7], v[2:3], v[6:7]
	s_waitcnt vmcnt(28) lgkmcnt(1)
	v_mul_f64 v[167:168], v[129:130], v[135:136]
	v_mul_f64 v[135:136], v[127:128], v[135:136]
	s_waitcnt vmcnt(26)
	v_fma_f64 v[165:166], v[2:3], v[137:138], -v[165:166]
	v_fma_f64 v[6:7], v[4:5], v[137:138], v[6:7]
	ds_read_b128 v[2:5], v1 offset:1824
	s_waitcnt vmcnt(24) lgkmcnt(1)
	v_mul_f64 v[137:138], v[131:132], v[139:140]
	v_mul_f64 v[139:140], v[133:134], v[139:140]
	s_waitcnt vmcnt(22)
	v_fma_f64 v[167:168], v[127:128], v[141:142], -v[167:168]
	v_fma_f64 v[135:136], v[129:130], v[141:142], v[135:136]
	ds_read_b128 v[127:130], v1 offset:1840
	s_waitcnt vmcnt(18) lgkmcnt(1)
	v_mul_f64 v[141:142], v[2:3], v[143:144]
	v_add_f64 v[165:166], v[165:166], 0
	v_add_f64 v[6:7], v[6:7], 0
	v_mul_f64 v[143:144], v[4:5], v[143:144]
	s_waitcnt vmcnt(16)
	v_fma_f64 v[139:140], v[131:132], v[149:150], -v[139:140]
	v_fma_f64 v[137:138], v[133:134], v[149:150], v[137:138]
	ds_read_b128 v[131:134], v1 offset:1856
	s_waitcnt vmcnt(13)
	v_fma_f64 v[141:142], v[4:5], v[151:152], v[141:142]
	v_add_f64 v[165:166], v[165:166], v[167:168]
	v_add_f64 v[6:7], v[6:7], v[135:136]
	s_waitcnt lgkmcnt(1)
	v_mul_f64 v[135:136], v[127:128], v[145:146]
	v_mul_f64 v[145:146], v[129:130], v[145:146]
	v_fma_f64 v[143:144], v[2:3], v[151:152], -v[143:144]
	s_waitcnt vmcnt(9) lgkmcnt(0)
	v_mul_f64 v[149:150], v[133:134], v[153:154]
	ds_read_b128 v[2:5], v1 offset:1872
	v_add_f64 v[139:140], v[165:166], v[139:140]
	v_add_f64 v[6:7], v[6:7], v[137:138]
	v_mul_f64 v[137:138], v[131:132], v[153:154]
	s_waitcnt vmcnt(8)
	v_fma_f64 v[127:128], v[127:128], v[147:148], -v[145:146]
	v_fma_f64 v[129:130], v[129:130], v[147:148], v[135:136]
	s_waitcnt vmcnt(5)
	v_fma_f64 v[131:132], v[131:132], v[159:160], -v[149:150]
	s_waitcnt lgkmcnt(0)
	v_mul_f64 v[135:136], v[2:3], v[155:156]
	v_add_f64 v[139:140], v[139:140], v[143:144]
	v_add_f64 v[6:7], v[6:7], v[141:142]
	v_mul_f64 v[141:142], v[4:5], v[155:156]
	v_fma_f64 v[133:134], v[133:134], v[159:160], v[137:138]
	s_waitcnt vmcnt(4)
	v_fma_f64 v[4:5], v[4:5], v[157:158], v[135:136]
	v_add_f64 v[127:128], v[139:140], v[127:128]
	v_add_f64 v[6:7], v[6:7], v[129:130]
	v_fma_f64 v[2:3], v[2:3], v[157:158], -v[141:142]
	v_add_f64 v[127:128], v[127:128], v[131:132]
	v_add_f64 v[6:7], v[6:7], v[133:134]
	;; [unrolled: 1-line block ×4, first 2 shown]
	s_waitcnt vmcnt(2)
	v_add_f64 v[2:3], v[161:162], -v[2:3]
	s_waitcnt vmcnt(0)
	v_add_f64 v[4:5], v[163:164], -v[4:5]
	buffer_store_dword v3, off, s[0:3], 0 offset:836
	buffer_store_dword v2, off, s[0:3], 0 offset:832
	;; [unrolled: 1-line block ×4, first 2 shown]
	v_cmpx_lt_u32_e32 50, v0
	s_cbranch_execz .LBB122_267
; %bb.266:
	v_mov_b32_e32 v5, s20
	s_clause 0x3
	buffer_load_dword v2, v5, s[0:3], 0 offen
	buffer_load_dword v3, v5, s[0:3], 0 offen offset:4
	buffer_load_dword v4, v5, s[0:3], 0 offen offset:8
	;; [unrolled: 1-line block ×3, first 2 shown]
	buffer_store_dword v1, off, s[0:3], 0 offset:816
	buffer_store_dword v1, off, s[0:3], 0 offset:820
	;; [unrolled: 1-line block ×4, first 2 shown]
	s_waitcnt vmcnt(0)
	ds_write_b128 v187, v[2:5]
.LBB122_267:
	s_or_b32 exec_lo, exec_lo, s4
	s_waitcnt lgkmcnt(0)
	s_waitcnt_vscnt null, 0x0
	s_barrier
	buffer_gl0_inv
	s_clause 0x23
	buffer_load_dword v6, off, s[0:3], 0 offset:840
	buffer_load_dword v7, off, s[0:3], 0 offset:844
	;; [unrolled: 1-line block ×36, first 2 shown]
	ds_read_b128 v[2:5], v1 offset:1760
	ds_read_b128 v[127:130], v1 offset:1776
	;; [unrolled: 1-line block ×3, first 2 shown]
	s_mov_b32 s4, exec_lo
	s_waitcnt vmcnt(34) lgkmcnt(2)
	v_mul_f64 v[169:170], v[4:5], v[6:7]
	v_mul_f64 v[6:7], v[2:3], v[6:7]
	s_waitcnt vmcnt(32) lgkmcnt(1)
	v_mul_f64 v[171:172], v[129:130], v[135:136]
	v_mul_f64 v[135:136], v[127:128], v[135:136]
	s_waitcnt vmcnt(30)
	v_fma_f64 v[169:170], v[2:3], v[137:138], -v[169:170]
	v_fma_f64 v[6:7], v[4:5], v[137:138], v[6:7]
	ds_read_b128 v[2:5], v1 offset:1808
	s_waitcnt vmcnt(28) lgkmcnt(1)
	v_mul_f64 v[137:138], v[131:132], v[139:140]
	v_mul_f64 v[139:140], v[133:134], v[139:140]
	s_waitcnt vmcnt(26)
	v_fma_f64 v[171:172], v[127:128], v[141:142], -v[171:172]
	v_fma_f64 v[135:136], v[129:130], v[141:142], v[135:136]
	ds_read_b128 v[127:130], v1 offset:1824
	s_waitcnt vmcnt(22) lgkmcnt(1)
	v_mul_f64 v[141:142], v[2:3], v[143:144]
	v_add_f64 v[169:170], v[169:170], 0
	v_add_f64 v[6:7], v[6:7], 0
	v_mul_f64 v[143:144], v[4:5], v[143:144]
	s_waitcnt vmcnt(20)
	v_fma_f64 v[139:140], v[131:132], v[149:150], -v[139:140]
	v_fma_f64 v[137:138], v[133:134], v[149:150], v[137:138]
	ds_read_b128 v[131:134], v1 offset:1840
	s_waitcnt vmcnt(17)
	v_fma_f64 v[141:142], v[4:5], v[151:152], v[141:142]
	v_add_f64 v[169:170], v[169:170], v[171:172]
	v_add_f64 v[6:7], v[6:7], v[135:136]
	s_waitcnt lgkmcnt(1)
	v_mul_f64 v[135:136], v[127:128], v[145:146]
	v_mul_f64 v[145:146], v[129:130], v[145:146]
	v_fma_f64 v[143:144], v[2:3], v[151:152], -v[143:144]
	s_waitcnt vmcnt(13) lgkmcnt(0)
	v_mul_f64 v[149:150], v[133:134], v[153:154]
	ds_read_b128 v[2:5], v1 offset:1856
	v_add_f64 v[139:140], v[169:170], v[139:140]
	v_add_f64 v[6:7], v[6:7], v[137:138]
	v_mul_f64 v[137:138], v[131:132], v[153:154]
	s_waitcnt vmcnt(12)
	v_fma_f64 v[145:146], v[127:128], v[147:148], -v[145:146]
	v_fma_f64 v[135:136], v[129:130], v[147:148], v[135:136]
	ds_read_b128 v[127:130], v1 offset:1872
	s_waitcnt vmcnt(9)
	v_fma_f64 v[131:132], v[131:132], v[159:160], -v[149:150]
	v_add_f64 v[139:140], v[139:140], v[143:144]
	v_add_f64 v[6:7], v[6:7], v[141:142]
	s_waitcnt lgkmcnt(1)
	v_mul_f64 v[143:144], v[4:5], v[155:156]
	v_mul_f64 v[141:142], v[2:3], v[155:156]
	v_fma_f64 v[133:134], v[133:134], v[159:160], v[137:138]
	s_waitcnt vmcnt(7) lgkmcnt(0)
	v_mul_f64 v[137:138], v[129:130], v[161:162]
	v_add_f64 v[139:140], v[139:140], v[145:146]
	v_add_f64 v[6:7], v[6:7], v[135:136]
	s_waitcnt vmcnt(6)
	v_fma_f64 v[1:2], v[2:3], v[157:158], -v[143:144]
	v_mul_f64 v[135:136], v[127:128], v[161:162]
	v_fma_f64 v[3:4], v[4:5], v[157:158], v[141:142]
	v_add_f64 v[131:132], v[139:140], v[131:132]
	v_add_f64 v[5:6], v[6:7], v[133:134]
	s_waitcnt vmcnt(4)
	v_fma_f64 v[7:8], v[127:128], v[163:164], -v[137:138]
	v_fma_f64 v[127:128], v[129:130], v[163:164], v[135:136]
	v_add_f64 v[1:2], v[131:132], v[1:2]
	v_add_f64 v[3:4], v[5:6], v[3:4]
	;; [unrolled: 1-line block ×4, first 2 shown]
	s_waitcnt vmcnt(2)
	v_add_f64 v[1:2], v[165:166], -v[1:2]
	s_waitcnt vmcnt(0)
	v_add_f64 v[3:4], v[167:168], -v[3:4]
	buffer_store_dword v2, off, s[0:3], 0 offset:820
	buffer_store_dword v1, off, s[0:3], 0 offset:816
	;; [unrolled: 1-line block ×4, first 2 shown]
	v_cmpx_lt_u32_e32 49, v0
	s_cbranch_execz .LBB122_269
; %bb.268:
	v_mov_b32_e32 v4, s21
	v_mov_b32_e32 v5, 0
	s_clause 0x3
	buffer_load_dword v1, v4, s[0:3], 0 offen
	buffer_load_dword v2, v4, s[0:3], 0 offen offset:4
	buffer_load_dword v3, v4, s[0:3], 0 offen offset:8
	;; [unrolled: 1-line block ×3, first 2 shown]
	buffer_store_dword v5, off, s[0:3], 0 offset:800
	buffer_store_dword v5, off, s[0:3], 0 offset:804
	;; [unrolled: 1-line block ×4, first 2 shown]
	s_waitcnt vmcnt(0)
	ds_write_b128 v187, v[1:4]
.LBB122_269:
	s_or_b32 exec_lo, exec_lo, s4
	s_waitcnt lgkmcnt(0)
	s_waitcnt_vscnt null, 0x0
	s_barrier
	buffer_gl0_inv
	s_clause 0x27
	buffer_load_dword v6, off, s[0:3], 0 offset:824
	buffer_load_dword v7, off, s[0:3], 0 offset:828
	;; [unrolled: 1-line block ×40, first 2 shown]
	v_mov_b32_e32 v1, 0
	ds_read_b128 v[2:5], v1 offset:1744
	ds_read_b128 v[127:130], v1 offset:1760
	;; [unrolled: 1-line block ×3, first 2 shown]
	s_mov_b32 s4, exec_lo
	s_waitcnt vmcnt(38) lgkmcnt(2)
	v_mul_f64 v[173:174], v[4:5], v[6:7]
	v_mul_f64 v[6:7], v[2:3], v[6:7]
	s_waitcnt vmcnt(36) lgkmcnt(1)
	v_mul_f64 v[175:176], v[129:130], v[135:136]
	v_mul_f64 v[135:136], v[127:128], v[135:136]
	s_waitcnt vmcnt(34)
	v_fma_f64 v[173:174], v[2:3], v[137:138], -v[173:174]
	v_fma_f64 v[6:7], v[4:5], v[137:138], v[6:7]
	ds_read_b128 v[2:5], v1 offset:1792
	s_waitcnt vmcnt(32) lgkmcnt(1)
	v_mul_f64 v[137:138], v[131:132], v[139:140]
	v_mul_f64 v[139:140], v[133:134], v[139:140]
	s_waitcnt vmcnt(30)
	v_fma_f64 v[175:176], v[127:128], v[141:142], -v[175:176]
	v_fma_f64 v[135:136], v[129:130], v[141:142], v[135:136]
	ds_read_b128 v[127:130], v1 offset:1808
	s_waitcnt vmcnt(26) lgkmcnt(1)
	v_mul_f64 v[141:142], v[2:3], v[143:144]
	v_add_f64 v[173:174], v[173:174], 0
	v_add_f64 v[6:7], v[6:7], 0
	v_mul_f64 v[143:144], v[4:5], v[143:144]
	s_waitcnt vmcnt(24)
	v_fma_f64 v[139:140], v[131:132], v[149:150], -v[139:140]
	v_fma_f64 v[137:138], v[133:134], v[149:150], v[137:138]
	ds_read_b128 v[131:134], v1 offset:1824
	s_waitcnt vmcnt(21)
	v_fma_f64 v[141:142], v[4:5], v[151:152], v[141:142]
	v_add_f64 v[173:174], v[173:174], v[175:176]
	v_add_f64 v[6:7], v[6:7], v[135:136]
	s_waitcnt lgkmcnt(1)
	v_mul_f64 v[135:136], v[127:128], v[145:146]
	v_mul_f64 v[145:146], v[129:130], v[145:146]
	v_fma_f64 v[143:144], v[2:3], v[151:152], -v[143:144]
	s_waitcnt vmcnt(17) lgkmcnt(0)
	v_mul_f64 v[149:150], v[133:134], v[153:154]
	ds_read_b128 v[2:5], v1 offset:1840
	v_add_f64 v[139:140], v[173:174], v[139:140]
	v_add_f64 v[6:7], v[6:7], v[137:138]
	v_mul_f64 v[137:138], v[131:132], v[153:154]
	s_waitcnt vmcnt(16)
	v_fma_f64 v[145:146], v[127:128], v[147:148], -v[145:146]
	v_fma_f64 v[135:136], v[129:130], v[147:148], v[135:136]
	ds_read_b128 v[127:130], v1 offset:1856
	s_waitcnt vmcnt(13)
	v_fma_f64 v[147:148], v[131:132], v[159:160], -v[149:150]
	v_add_f64 v[139:140], v[139:140], v[143:144]
	v_add_f64 v[6:7], v[6:7], v[141:142]
	s_waitcnt lgkmcnt(1)
	v_mul_f64 v[143:144], v[4:5], v[155:156]
	v_mul_f64 v[141:142], v[2:3], v[155:156]
	v_fma_f64 v[137:138], v[133:134], v[159:160], v[137:138]
	ds_read_b128 v[131:134], v1 offset:1872
	v_add_f64 v[139:140], v[139:140], v[145:146]
	v_add_f64 v[6:7], v[6:7], v[135:136]
	s_waitcnt vmcnt(9) lgkmcnt(1)
	v_mul_f64 v[145:146], v[129:130], v[161:162]
	s_waitcnt vmcnt(8)
	v_fma_f64 v[2:3], v[2:3], v[157:158], -v[143:144]
	v_mul_f64 v[135:136], v[127:128], v[161:162]
	v_fma_f64 v[4:5], v[4:5], v[157:158], v[141:142]
	s_waitcnt vmcnt(7) lgkmcnt(0)
	v_mul_f64 v[141:142], v[133:134], v[163:164]
	v_add_f64 v[139:140], v[139:140], v[147:148]
	v_add_f64 v[6:7], v[6:7], v[137:138]
	s_waitcnt vmcnt(5)
	v_fma_f64 v[127:128], v[127:128], v[167:168], -v[145:146]
	v_mul_f64 v[137:138], v[131:132], v[163:164]
	v_fma_f64 v[129:130], v[129:130], v[167:168], v[135:136]
	v_add_f64 v[2:3], v[139:140], v[2:3]
	v_add_f64 v[4:5], v[6:7], v[4:5]
	s_waitcnt vmcnt(4)
	v_fma_f64 v[6:7], v[131:132], v[165:166], -v[141:142]
	v_add_f64 v[2:3], v[2:3], v[127:128]
	v_fma_f64 v[127:128], v[133:134], v[165:166], v[137:138]
	v_add_f64 v[4:5], v[4:5], v[129:130]
	v_add_f64 v[2:3], v[2:3], v[6:7]
	v_add_f64 v[4:5], v[4:5], v[127:128]
	s_waitcnt vmcnt(2)
	v_add_f64 v[2:3], v[169:170], -v[2:3]
	s_waitcnt vmcnt(0)
	v_add_f64 v[4:5], v[171:172], -v[4:5]
	buffer_store_dword v3, off, s[0:3], 0 offset:804
	buffer_store_dword v2, off, s[0:3], 0 offset:800
	;; [unrolled: 1-line block ×4, first 2 shown]
	v_cmpx_lt_u32_e32 48, v0
	s_cbranch_execz .LBB122_271
; %bb.270:
	v_mov_b32_e32 v5, s22
	s_clause 0x3
	buffer_load_dword v2, v5, s[0:3], 0 offen
	buffer_load_dword v3, v5, s[0:3], 0 offen offset:4
	buffer_load_dword v4, v5, s[0:3], 0 offen offset:8
	;; [unrolled: 1-line block ×3, first 2 shown]
	buffer_store_dword v1, off, s[0:3], 0 offset:784
	buffer_store_dword v1, off, s[0:3], 0 offset:788
	;; [unrolled: 1-line block ×4, first 2 shown]
	s_waitcnt vmcnt(0)
	ds_write_b128 v187, v[2:5]
.LBB122_271:
	s_or_b32 exec_lo, exec_lo, s4
	s_waitcnt lgkmcnt(0)
	s_waitcnt_vscnt null, 0x0
	s_barrier
	buffer_gl0_inv
	s_clause 0x2b
	buffer_load_dword v6, off, s[0:3], 0 offset:808
	buffer_load_dword v7, off, s[0:3], 0 offset:812
	;; [unrolled: 1-line block ×44, first 2 shown]
	ds_read_b128 v[2:5], v1 offset:1728
	ds_read_b128 v[127:130], v1 offset:1744
	;; [unrolled: 1-line block ×3, first 2 shown]
	s_mov_b32 s4, exec_lo
	s_waitcnt vmcnt(42) lgkmcnt(2)
	v_mul_f64 v[177:178], v[4:5], v[6:7]
	v_mul_f64 v[6:7], v[2:3], v[6:7]
	s_waitcnt vmcnt(40) lgkmcnt(1)
	v_mul_f64 v[179:180], v[129:130], v[135:136]
	v_mul_f64 v[135:136], v[127:128], v[135:136]
	s_waitcnt vmcnt(38)
	v_fma_f64 v[177:178], v[2:3], v[137:138], -v[177:178]
	v_fma_f64 v[6:7], v[4:5], v[137:138], v[6:7]
	ds_read_b128 v[2:5], v1 offset:1776
	s_waitcnt vmcnt(36) lgkmcnt(1)
	v_mul_f64 v[137:138], v[131:132], v[139:140]
	v_mul_f64 v[139:140], v[133:134], v[139:140]
	s_waitcnt vmcnt(34)
	v_fma_f64 v[179:180], v[127:128], v[141:142], -v[179:180]
	v_fma_f64 v[135:136], v[129:130], v[141:142], v[135:136]
	ds_read_b128 v[127:130], v1 offset:1792
	s_waitcnt vmcnt(30) lgkmcnt(1)
	v_mul_f64 v[141:142], v[2:3], v[143:144]
	v_add_f64 v[177:178], v[177:178], 0
	v_add_f64 v[6:7], v[6:7], 0
	v_mul_f64 v[143:144], v[4:5], v[143:144]
	s_waitcnt vmcnt(28)
	v_fma_f64 v[139:140], v[131:132], v[149:150], -v[139:140]
	v_fma_f64 v[137:138], v[133:134], v[149:150], v[137:138]
	ds_read_b128 v[131:134], v1 offset:1808
	s_waitcnt vmcnt(25)
	v_fma_f64 v[141:142], v[4:5], v[151:152], v[141:142]
	v_add_f64 v[177:178], v[177:178], v[179:180]
	v_add_f64 v[6:7], v[6:7], v[135:136]
	s_waitcnt lgkmcnt(1)
	v_mul_f64 v[135:136], v[127:128], v[145:146]
	v_mul_f64 v[145:146], v[129:130], v[145:146]
	v_fma_f64 v[143:144], v[2:3], v[151:152], -v[143:144]
	s_waitcnt vmcnt(21) lgkmcnt(0)
	v_mul_f64 v[149:150], v[133:134], v[153:154]
	ds_read_b128 v[2:5], v1 offset:1824
	v_add_f64 v[139:140], v[177:178], v[139:140]
	v_add_f64 v[6:7], v[6:7], v[137:138]
	v_mul_f64 v[137:138], v[131:132], v[153:154]
	s_waitcnt vmcnt(20)
	v_fma_f64 v[145:146], v[127:128], v[147:148], -v[145:146]
	v_fma_f64 v[135:136], v[129:130], v[147:148], v[135:136]
	ds_read_b128 v[127:130], v1 offset:1840
	s_waitcnt vmcnt(17)
	v_fma_f64 v[147:148], v[131:132], v[159:160], -v[149:150]
	v_add_f64 v[139:140], v[139:140], v[143:144]
	v_add_f64 v[6:7], v[6:7], v[141:142]
	s_waitcnt lgkmcnt(1)
	v_mul_f64 v[143:144], v[4:5], v[155:156]
	v_mul_f64 v[141:142], v[2:3], v[155:156]
	v_fma_f64 v[137:138], v[133:134], v[159:160], v[137:138]
	ds_read_b128 v[131:134], v1 offset:1856
	v_add_f64 v[139:140], v[139:140], v[145:146]
	v_add_f64 v[6:7], v[6:7], v[135:136]
	s_waitcnt vmcnt(13) lgkmcnt(1)
	v_mul_f64 v[145:146], v[129:130], v[161:162]
	s_waitcnt vmcnt(12)
	v_fma_f64 v[143:144], v[2:3], v[157:158], -v[143:144]
	v_mul_f64 v[135:136], v[127:128], v[161:162]
	v_fma_f64 v[141:142], v[4:5], v[157:158], v[141:142]
	ds_read_b128 v[1:4], v1 offset:1872
	v_add_f64 v[139:140], v[139:140], v[147:148]
	v_add_f64 v[5:6], v[6:7], v[137:138]
	s_waitcnt vmcnt(11) lgkmcnt(1)
	v_mul_f64 v[137:138], v[133:134], v[163:164]
	s_waitcnt vmcnt(9)
	v_fma_f64 v[127:128], v[127:128], v[167:168], -v[145:146]
	v_mul_f64 v[7:8], v[131:132], v[163:164]
	v_fma_f64 v[129:130], v[129:130], v[167:168], v[135:136]
	s_waitcnt vmcnt(7) lgkmcnt(0)
	v_mul_f64 v[135:136], v[1:2], v[169:170]
	v_add_f64 v[139:140], v[139:140], v[143:144]
	v_add_f64 v[5:6], v[5:6], v[141:142]
	v_mul_f64 v[141:142], v[3:4], v[169:170]
	s_waitcnt vmcnt(6)
	v_fma_f64 v[131:132], v[131:132], v[165:166], -v[137:138]
	v_fma_f64 v[7:8], v[133:134], v[165:166], v[7:8]
	s_waitcnt vmcnt(4)
	v_fma_f64 v[3:4], v[3:4], v[171:172], v[135:136]
	v_add_f64 v[127:128], v[139:140], v[127:128]
	v_add_f64 v[5:6], v[5:6], v[129:130]
	v_fma_f64 v[1:2], v[1:2], v[171:172], -v[141:142]
	v_add_f64 v[127:128], v[127:128], v[131:132]
	v_add_f64 v[5:6], v[5:6], v[7:8]
	;; [unrolled: 1-line block ×4, first 2 shown]
	s_waitcnt vmcnt(2)
	v_add_f64 v[1:2], v[173:174], -v[1:2]
	s_waitcnt vmcnt(0)
	v_add_f64 v[3:4], v[175:176], -v[3:4]
	buffer_store_dword v2, off, s[0:3], 0 offset:788
	buffer_store_dword v1, off, s[0:3], 0 offset:784
	;; [unrolled: 1-line block ×4, first 2 shown]
	v_cmpx_lt_u32_e32 47, v0
	s_cbranch_execz .LBB122_273
; %bb.272:
	v_mov_b32_e32 v4, s23
	v_mov_b32_e32 v5, 0
	s_clause 0x3
	buffer_load_dword v1, v4, s[0:3], 0 offen
	buffer_load_dword v2, v4, s[0:3], 0 offen offset:4
	buffer_load_dword v3, v4, s[0:3], 0 offen offset:8
	;; [unrolled: 1-line block ×3, first 2 shown]
	buffer_store_dword v5, off, s[0:3], 0 offset:768
	buffer_store_dword v5, off, s[0:3], 0 offset:772
	;; [unrolled: 1-line block ×4, first 2 shown]
	s_waitcnt vmcnt(0)
	ds_write_b128 v187, v[1:4]
.LBB122_273:
	s_or_b32 exec_lo, exec_lo, s4
	s_waitcnt lgkmcnt(0)
	s_waitcnt_vscnt null, 0x0
	s_barrier
	buffer_gl0_inv
	s_clause 0x2f
	buffer_load_dword v6, off, s[0:3], 0 offset:792
	buffer_load_dword v7, off, s[0:3], 0 offset:796
	;; [unrolled: 1-line block ×48, first 2 shown]
	v_mov_b32_e32 v1, 0
	ds_read_b128 v[2:5], v1 offset:1712
	ds_read_b128 v[127:130], v1 offset:1728
	;; [unrolled: 1-line block ×3, first 2 shown]
	s_mov_b32 s4, exec_lo
	s_waitcnt vmcnt(46) lgkmcnt(2)
	v_mul_f64 v[181:182], v[4:5], v[6:7]
	v_mul_f64 v[6:7], v[2:3], v[6:7]
	s_waitcnt vmcnt(44) lgkmcnt(1)
	v_mul_f64 v[183:184], v[129:130], v[135:136]
	v_mul_f64 v[135:136], v[127:128], v[135:136]
	s_waitcnt vmcnt(42)
	v_fma_f64 v[181:182], v[2:3], v[137:138], -v[181:182]
	v_fma_f64 v[6:7], v[4:5], v[137:138], v[6:7]
	ds_read_b128 v[2:5], v1 offset:1760
	s_waitcnt vmcnt(40) lgkmcnt(1)
	v_mul_f64 v[137:138], v[131:132], v[139:140]
	v_mul_f64 v[139:140], v[133:134], v[139:140]
	s_waitcnt vmcnt(38)
	v_fma_f64 v[183:184], v[127:128], v[141:142], -v[183:184]
	v_fma_f64 v[135:136], v[129:130], v[141:142], v[135:136]
	ds_read_b128 v[127:130], v1 offset:1776
	s_waitcnt vmcnt(34) lgkmcnt(1)
	v_mul_f64 v[141:142], v[2:3], v[143:144]
	v_add_f64 v[181:182], v[181:182], 0
	v_add_f64 v[6:7], v[6:7], 0
	v_mul_f64 v[143:144], v[4:5], v[143:144]
	s_waitcnt vmcnt(32)
	v_fma_f64 v[139:140], v[131:132], v[149:150], -v[139:140]
	v_fma_f64 v[137:138], v[133:134], v[149:150], v[137:138]
	ds_read_b128 v[131:134], v1 offset:1792
	s_waitcnt vmcnt(29)
	v_fma_f64 v[141:142], v[4:5], v[151:152], v[141:142]
	v_add_f64 v[181:182], v[181:182], v[183:184]
	v_add_f64 v[6:7], v[6:7], v[135:136]
	s_waitcnt lgkmcnt(1)
	v_mul_f64 v[135:136], v[127:128], v[145:146]
	v_mul_f64 v[145:146], v[129:130], v[145:146]
	v_fma_f64 v[143:144], v[2:3], v[151:152], -v[143:144]
	s_waitcnt vmcnt(25) lgkmcnt(0)
	v_mul_f64 v[149:150], v[133:134], v[153:154]
	ds_read_b128 v[2:5], v1 offset:1808
	v_add_f64 v[139:140], v[181:182], v[139:140]
	v_add_f64 v[6:7], v[6:7], v[137:138]
	v_mul_f64 v[137:138], v[131:132], v[153:154]
	s_waitcnt vmcnt(24)
	v_fma_f64 v[145:146], v[127:128], v[147:148], -v[145:146]
	v_fma_f64 v[135:136], v[129:130], v[147:148], v[135:136]
	ds_read_b128 v[127:130], v1 offset:1824
	s_waitcnt vmcnt(21)
	v_fma_f64 v[147:148], v[131:132], v[159:160], -v[149:150]
	v_add_f64 v[139:140], v[139:140], v[143:144]
	v_add_f64 v[6:7], v[6:7], v[141:142]
	s_waitcnt lgkmcnt(1)
	v_mul_f64 v[143:144], v[4:5], v[155:156]
	v_mul_f64 v[141:142], v[2:3], v[155:156]
	v_fma_f64 v[137:138], v[133:134], v[159:160], v[137:138]
	ds_read_b128 v[131:134], v1 offset:1840
	v_add_f64 v[139:140], v[139:140], v[145:146]
	v_add_f64 v[6:7], v[6:7], v[135:136]
	s_waitcnt vmcnt(17) lgkmcnt(1)
	v_mul_f64 v[145:146], v[129:130], v[161:162]
	s_waitcnt vmcnt(16)
	v_fma_f64 v[143:144], v[2:3], v[157:158], -v[143:144]
	v_mul_f64 v[135:136], v[127:128], v[161:162]
	v_fma_f64 v[141:142], v[4:5], v[157:158], v[141:142]
	ds_read_b128 v[2:5], v1 offset:1856
	v_add_f64 v[139:140], v[139:140], v[147:148]
	v_add_f64 v[6:7], v[6:7], v[137:138]
	s_waitcnt vmcnt(15) lgkmcnt(1)
	v_mul_f64 v[147:148], v[133:134], v[163:164]
	s_waitcnt vmcnt(13)
	v_fma_f64 v[145:146], v[127:128], v[167:168], -v[145:146]
	;; [unrolled: 9-line block ×3, first 2 shown]
	v_mul_f64 v[141:142], v[2:3], v[169:170]
	v_fma_f64 v[133:134], v[133:134], v[165:166], v[137:138]
	s_waitcnt vmcnt(7) lgkmcnt(0)
	v_mul_f64 v[137:138], v[129:130], v[171:172]
	v_add_f64 v[139:140], v[139:140], v[145:146]
	v_add_f64 v[6:7], v[6:7], v[135:136]
	s_waitcnt vmcnt(5)
	v_fma_f64 v[2:3], v[2:3], v[175:176], -v[143:144]
	v_mul_f64 v[135:136], v[127:128], v[171:172]
	v_fma_f64 v[4:5], v[4:5], v[175:176], v[141:142]
	s_waitcnt vmcnt(4)
	v_fma_f64 v[127:128], v[127:128], v[173:174], -v[137:138]
	v_add_f64 v[131:132], v[139:140], v[131:132]
	v_add_f64 v[6:7], v[6:7], v[133:134]
	v_fma_f64 v[129:130], v[129:130], v[173:174], v[135:136]
	v_add_f64 v[2:3], v[131:132], v[2:3]
	v_add_f64 v[4:5], v[6:7], v[4:5]
	;; [unrolled: 1-line block ×4, first 2 shown]
	s_waitcnt vmcnt(2)
	v_add_f64 v[2:3], v[177:178], -v[2:3]
	s_waitcnt vmcnt(0)
	v_add_f64 v[4:5], v[179:180], -v[4:5]
	buffer_store_dword v3, off, s[0:3], 0 offset:772
	buffer_store_dword v2, off, s[0:3], 0 offset:768
	;; [unrolled: 1-line block ×4, first 2 shown]
	v_cmpx_lt_u32_e32 46, v0
	s_cbranch_execz .LBB122_275
; %bb.274:
	v_mov_b32_e32 v5, s24
	s_clause 0x3
	buffer_load_dword v2, v5, s[0:3], 0 offen
	buffer_load_dword v3, v5, s[0:3], 0 offen offset:4
	buffer_load_dword v4, v5, s[0:3], 0 offen offset:8
	;; [unrolled: 1-line block ×3, first 2 shown]
	buffer_store_dword v1, off, s[0:3], 0 offset:752
	buffer_store_dword v1, off, s[0:3], 0 offset:756
	;; [unrolled: 1-line block ×4, first 2 shown]
	s_waitcnt vmcnt(0)
	ds_write_b128 v187, v[2:5]
.LBB122_275:
	s_or_b32 exec_lo, exec_lo, s4
	s_waitcnt lgkmcnt(0)
	s_waitcnt_vscnt null, 0x0
	s_barrier
	buffer_gl0_inv
	s_clause 0x2f
	buffer_load_dword v6, off, s[0:3], 0 offset:776
	buffer_load_dword v7, off, s[0:3], 0 offset:780
	buffer_load_dword v135, off, s[0:3], 0 offset:792
	buffer_load_dword v136, off, s[0:3], 0 offset:796
	buffer_load_dword v137, off, s[0:3], 0 offset:768
	buffer_load_dword v138, off, s[0:3], 0 offset:772
	buffer_load_dword v139, off, s[0:3], 0 offset:808
	buffer_load_dword v140, off, s[0:3], 0 offset:812
	buffer_load_dword v141, off, s[0:3], 0 offset:784
	buffer_load_dword v142, off, s[0:3], 0 offset:788
	buffer_load_dword v144, off, s[0:3], 0 offset:828
	buffer_load_dword v145, off, s[0:3], 0 offset:840
	buffer_load_dword v147, off, s[0:3], 0 offset:832
	buffer_load_dword v143, off, s[0:3], 0 offset:824
	buffer_load_dword v149, off, s[0:3], 0 offset:800
	buffer_load_dword v150, off, s[0:3], 0 offset:804
	buffer_load_dword v146, off, s[0:3], 0 offset:844
	buffer_load_dword v152, off, s[0:3], 0 offset:820
	buffer_load_dword v151, off, s[0:3], 0 offset:816
	buffer_load_dword v154, off, s[0:3], 0 offset:860
	buffer_load_dword v155, off, s[0:3], 0 offset:872
	buffer_load_dword v157, off, s[0:3], 0 offset:864
	buffer_load_dword v153, off, s[0:3], 0 offset:856
	buffer_load_dword v148, off, s[0:3], 0 offset:836
	buffer_load_dword v156, off, s[0:3], 0 offset:876
	buffer_load_dword v160, off, s[0:3], 0 offset:852
	buffer_load_dword v159, off, s[0:3], 0 offset:848
	buffer_load_dword v162, off, s[0:3], 0 offset:892
	buffer_load_dword v163, off, s[0:3], 0 offset:904
	buffer_load_dword v165, off, s[0:3], 0 offset:896
	buffer_load_dword v161, off, s[0:3], 0 offset:888
	buffer_load_dword v158, off, s[0:3], 0 offset:868
	buffer_load_dword v164, off, s[0:3], 0 offset:908
	buffer_load_dword v168, off, s[0:3], 0 offset:884
	buffer_load_dword v167, off, s[0:3], 0 offset:880
	buffer_load_dword v170, off, s[0:3], 0 offset:924
	buffer_load_dword v171, off, s[0:3], 0 offset:936
	buffer_load_dword v173, off, s[0:3], 0 offset:928
	buffer_load_dword v169, off, s[0:3], 0 offset:920
	buffer_load_dword v166, off, s[0:3], 0 offset:900
	buffer_load_dword v172, off, s[0:3], 0 offset:940
	buffer_load_dword v176, off, s[0:3], 0 offset:916
	buffer_load_dword v175, off, s[0:3], 0 offset:912
	buffer_load_dword v178, off, s[0:3], 0 offset:956
	buffer_load_dword v177, off, s[0:3], 0 offset:952
	buffer_load_dword v174, off, s[0:3], 0 offset:932
	buffer_load_dword v180, off, s[0:3], 0 offset:948
	buffer_load_dword v179, off, s[0:3], 0 offset:944
	ds_read_b128 v[2:5], v1 offset:1696
	s_clause 0x3
	buffer_load_dword v181, off, s[0:3], 0 offset:752
	buffer_load_dword v182, off, s[0:3], 0 offset:756
	buffer_load_dword v183, off, s[0:3], 0 offset:760
	buffer_load_dword v184, off, s[0:3], 0 offset:764
	ds_read_b128 v[127:130], v1 offset:1712
	ds_read_b128 v[131:134], v1 offset:1728
	s_mov_b32 s4, exec_lo
	s_waitcnt vmcnt(50) lgkmcnt(2)
	v_mul_f64 v[185:186], v[4:5], v[6:7]
	v_mul_f64 v[6:7], v[2:3], v[6:7]
	s_waitcnt vmcnt(48) lgkmcnt(1)
	v_mul_f64 v[188:189], v[129:130], v[135:136]
	v_mul_f64 v[135:136], v[127:128], v[135:136]
	s_waitcnt vmcnt(46)
	v_fma_f64 v[185:186], v[2:3], v[137:138], -v[185:186]
	v_fma_f64 v[6:7], v[4:5], v[137:138], v[6:7]
	s_waitcnt vmcnt(44) lgkmcnt(0)
	v_mul_f64 v[137:138], v[131:132], v[139:140]
	v_mul_f64 v[139:140], v[133:134], v[139:140]
	s_waitcnt vmcnt(42)
	v_fma_f64 v[188:189], v[127:128], v[141:142], -v[188:189]
	ds_read_b128 v[2:5], v1 offset:1744
	v_fma_f64 v[135:136], v[129:130], v[141:142], v[135:136]
	ds_read_b128 v[127:130], v1 offset:1760
	v_add_f64 v[185:186], v[185:186], 0
	v_add_f64 v[6:7], v[6:7], 0
	s_waitcnt vmcnt(36)
	v_fma_f64 v[137:138], v[133:134], v[149:150], v[137:138]
	s_waitcnt lgkmcnt(1)
	v_mul_f64 v[141:142], v[2:3], v[143:144]
	v_mul_f64 v[143:144], v[4:5], v[143:144]
	v_fma_f64 v[139:140], v[131:132], v[149:150], -v[139:140]
	ds_read_b128 v[131:134], v1 offset:1776
	v_add_f64 v[185:186], v[185:186], v[188:189]
	v_add_f64 v[6:7], v[6:7], v[135:136]
	s_waitcnt vmcnt(35) lgkmcnt(1)
	v_mul_f64 v[135:136], v[127:128], v[145:146]
	v_mul_f64 v[145:146], v[129:130], v[145:146]
	s_waitcnt vmcnt(33)
	v_fma_f64 v[143:144], v[2:3], v[151:152], -v[143:144]
	v_fma_f64 v[141:142], v[4:5], v[151:152], v[141:142]
	ds_read_b128 v[2:5], v1 offset:1792
	s_waitcnt vmcnt(29) lgkmcnt(1)
	v_mul_f64 v[149:150], v[133:134], v[153:154]
	v_add_f64 v[139:140], v[185:186], v[139:140]
	v_add_f64 v[6:7], v[6:7], v[137:138]
	v_mul_f64 v[137:138], v[131:132], v[153:154]
	s_waitcnt vmcnt(28)
	v_fma_f64 v[145:146], v[127:128], v[147:148], -v[145:146]
	v_fma_f64 v[135:136], v[129:130], v[147:148], v[135:136]
	ds_read_b128 v[127:130], v1 offset:1808
	s_waitcnt vmcnt(25)
	v_fma_f64 v[147:148], v[131:132], v[159:160], -v[149:150]
	v_add_f64 v[139:140], v[139:140], v[143:144]
	v_add_f64 v[6:7], v[6:7], v[141:142]
	s_waitcnt lgkmcnt(1)
	v_mul_f64 v[143:144], v[4:5], v[155:156]
	v_mul_f64 v[141:142], v[2:3], v[155:156]
	v_fma_f64 v[137:138], v[133:134], v[159:160], v[137:138]
	ds_read_b128 v[131:134], v1 offset:1824
	v_add_f64 v[139:140], v[139:140], v[145:146]
	v_add_f64 v[6:7], v[6:7], v[135:136]
	s_waitcnt vmcnt(21) lgkmcnt(1)
	v_mul_f64 v[145:146], v[129:130], v[161:162]
	s_waitcnt vmcnt(20)
	v_fma_f64 v[143:144], v[2:3], v[157:158], -v[143:144]
	v_mul_f64 v[135:136], v[127:128], v[161:162]
	v_fma_f64 v[141:142], v[4:5], v[157:158], v[141:142]
	ds_read_b128 v[2:5], v1 offset:1840
	v_add_f64 v[139:140], v[139:140], v[147:148]
	v_add_f64 v[6:7], v[6:7], v[137:138]
	s_waitcnt vmcnt(19) lgkmcnt(1)
	v_mul_f64 v[147:148], v[133:134], v[163:164]
	s_waitcnt vmcnt(17)
	v_fma_f64 v[145:146], v[127:128], v[167:168], -v[145:146]
	;; [unrolled: 9-line block ×4, first 2 shown]
	v_mul_f64 v[135:136], v[127:128], v[171:172]
	v_fma_f64 v[3:4], v[4:5], v[175:176], v[141:142]
	v_add_f64 v[139:140], v[139:140], v[147:148]
	v_add_f64 v[5:6], v[6:7], v[137:138]
	s_waitcnt vmcnt(7) lgkmcnt(0)
	v_mul_f64 v[137:138], v[133:134], v[177:178]
	s_waitcnt vmcnt(6)
	v_fma_f64 v[127:128], v[127:128], v[173:174], -v[145:146]
	v_mul_f64 v[7:8], v[131:132], v[177:178]
	v_fma_f64 v[129:130], v[129:130], v[173:174], v[135:136]
	v_add_f64 v[1:2], v[139:140], v[1:2]
	v_add_f64 v[3:4], v[5:6], v[3:4]
	s_waitcnt vmcnt(4)
	v_fma_f64 v[5:6], v[131:132], v[179:180], -v[137:138]
	v_fma_f64 v[7:8], v[133:134], v[179:180], v[7:8]
	v_add_f64 v[1:2], v[1:2], v[127:128]
	v_add_f64 v[3:4], v[3:4], v[129:130]
	;; [unrolled: 1-line block ×4, first 2 shown]
	s_waitcnt vmcnt(2)
	v_add_f64 v[1:2], v[181:182], -v[1:2]
	s_waitcnt vmcnt(0)
	v_add_f64 v[3:4], v[183:184], -v[3:4]
	buffer_store_dword v2, off, s[0:3], 0 offset:756
	buffer_store_dword v1, off, s[0:3], 0 offset:752
	;; [unrolled: 1-line block ×4, first 2 shown]
	v_cmpx_lt_u32_e32 45, v0
	s_cbranch_execz .LBB122_277
; %bb.276:
	v_mov_b32_e32 v4, s25
	v_mov_b32_e32 v5, 0
	s_clause 0x3
	buffer_load_dword v1, v4, s[0:3], 0 offen
	buffer_load_dword v2, v4, s[0:3], 0 offen offset:4
	buffer_load_dword v3, v4, s[0:3], 0 offen offset:8
	;; [unrolled: 1-line block ×3, first 2 shown]
	buffer_store_dword v5, off, s[0:3], 0 offset:736
	buffer_store_dword v5, off, s[0:3], 0 offset:740
	;; [unrolled: 1-line block ×4, first 2 shown]
	s_waitcnt vmcnt(0)
	ds_write_b128 v187, v[1:4]
.LBB122_277:
	s_or_b32 exec_lo, exec_lo, s4
	s_waitcnt lgkmcnt(0)
	s_waitcnt_vscnt null, 0x0
	s_barrier
	buffer_gl0_inv
	s_clause 0x33
	buffer_load_dword v6, off, s[0:3], 0 offset:760
	buffer_load_dword v7, off, s[0:3], 0 offset:764
	;; [unrolled: 1-line block ×52, first 2 shown]
	v_mov_b32_e32 v1, 0
	s_mov_b32 s4, exec_lo
	ds_read_b128 v[2:5], v1 offset:1680
	ds_read_b128 v[127:130], v1 offset:1696
	s_clause 0x3
	buffer_load_dword v188, off, s[0:3], 0 offset:736
	buffer_load_dword v189, off, s[0:3], 0 offset:740
	;; [unrolled: 1-line block ×4, first 2 shown]
	ds_read_b128 v[131:134], v1 offset:1712
	s_waitcnt vmcnt(54) lgkmcnt(2)
	v_mul_f64 v[185:186], v[4:5], v[6:7]
	v_mul_f64 v[6:7], v[2:3], v[6:7]
	s_waitcnt vmcnt(52) lgkmcnt(1)
	v_mul_f64 v[192:193], v[129:130], v[135:136]
	v_mul_f64 v[135:136], v[127:128], v[135:136]
	s_waitcnt vmcnt(50)
	v_fma_f64 v[185:186], v[2:3], v[137:138], -v[185:186]
	v_fma_f64 v[6:7], v[4:5], v[137:138], v[6:7]
	ds_read_b128 v[2:5], v1 offset:1728
	s_waitcnt vmcnt(48) lgkmcnt(1)
	v_mul_f64 v[137:138], v[131:132], v[139:140]
	v_mul_f64 v[139:140], v[133:134], v[139:140]
	s_waitcnt vmcnt(46)
	v_fma_f64 v[192:193], v[127:128], v[141:142], -v[192:193]
	v_fma_f64 v[135:136], v[129:130], v[141:142], v[135:136]
	ds_read_b128 v[127:130], v1 offset:1744
	s_waitcnt vmcnt(44) lgkmcnt(1)
	v_mul_f64 v[141:142], v[2:3], v[143:144]
	v_add_f64 v[185:186], v[185:186], 0
	v_add_f64 v[6:7], v[6:7], 0
	v_mul_f64 v[143:144], v[4:5], v[143:144]
	s_waitcnt vmcnt(42)
	v_fma_f64 v[139:140], v[131:132], v[145:146], -v[139:140]
	v_fma_f64 v[137:138], v[133:134], v[145:146], v[137:138]
	ds_read_b128 v[131:134], v1 offset:1760
	s_waitcnt vmcnt(40) lgkmcnt(1)
	v_mul_f64 v[145:146], v[129:130], v[147:148]
	s_waitcnt vmcnt(38)
	v_fma_f64 v[141:142], v[4:5], v[149:150], v[141:142]
	v_add_f64 v[185:186], v[185:186], v[192:193]
	v_add_f64 v[6:7], v[6:7], v[135:136]
	v_fma_f64 v[143:144], v[2:3], v[149:150], -v[143:144]
	v_mul_f64 v[135:136], v[127:128], v[147:148]
	s_waitcnt vmcnt(36) lgkmcnt(0)
	v_mul_f64 v[147:148], v[133:134], v[151:152]
	ds_read_b128 v[2:5], v1 offset:1776
	s_waitcnt vmcnt(34)
	v_fma_f64 v[145:146], v[127:128], v[153:154], -v[145:146]
	v_add_f64 v[139:140], v[185:186], v[139:140]
	v_add_f64 v[6:7], v[6:7], v[137:138]
	v_mul_f64 v[137:138], v[131:132], v[151:152]
	v_fma_f64 v[135:136], v[129:130], v[153:154], v[135:136]
	ds_read_b128 v[127:130], v1 offset:1792
	s_waitcnt vmcnt(30)
	v_fma_f64 v[147:148], v[131:132], v[157:158], -v[147:148]
	v_add_f64 v[139:140], v[139:140], v[143:144]
	v_add_f64 v[6:7], v[6:7], v[141:142]
	s_waitcnt lgkmcnt(1)
	v_mul_f64 v[143:144], v[4:5], v[155:156]
	v_mul_f64 v[141:142], v[2:3], v[155:156]
	v_fma_f64 v[137:138], v[133:134], v[157:158], v[137:138]
	ds_read_b128 v[131:134], v1 offset:1808
	v_add_f64 v[139:140], v[139:140], v[145:146]
	v_add_f64 v[6:7], v[6:7], v[135:136]
	s_waitcnt vmcnt(28) lgkmcnt(1)
	v_mul_f64 v[145:146], v[129:130], v[159:160]
	s_waitcnt vmcnt(26)
	v_fma_f64 v[143:144], v[2:3], v[161:162], -v[143:144]
	v_mul_f64 v[135:136], v[127:128], v[159:160]
	v_fma_f64 v[141:142], v[4:5], v[161:162], v[141:142]
	ds_read_b128 v[2:5], v1 offset:1824
	v_add_f64 v[139:140], v[139:140], v[147:148]
	v_add_f64 v[6:7], v[6:7], v[137:138]
	s_waitcnt vmcnt(24) lgkmcnt(1)
	v_mul_f64 v[147:148], v[133:134], v[163:164]
	s_waitcnt vmcnt(22)
	v_fma_f64 v[145:146], v[127:128], v[165:166], -v[145:146]
	;; [unrolled: 9-line block ×5, first 2 shown]
	v_mul_f64 v[137:138], v[131:132], v[175:176]
	v_fma_f64 v[129:130], v[129:130], v[177:178], v[135:136]
	s_waitcnt vmcnt(8) lgkmcnt(0)
	v_mul_f64 v[135:136], v[2:3], v[179:180]
	v_add_f64 v[139:140], v[139:140], v[143:144]
	v_add_f64 v[6:7], v[6:7], v[141:142]
	v_mul_f64 v[141:142], v[4:5], v[179:180]
	s_waitcnt vmcnt(6)
	v_fma_f64 v[131:132], v[131:132], v[181:182], -v[147:148]
	v_fma_f64 v[133:134], v[133:134], v[181:182], v[137:138]
	s_waitcnt vmcnt(4)
	v_fma_f64 v[4:5], v[4:5], v[183:184], v[135:136]
	v_add_f64 v[127:128], v[139:140], v[127:128]
	v_add_f64 v[6:7], v[6:7], v[129:130]
	v_fma_f64 v[2:3], v[2:3], v[183:184], -v[141:142]
	v_add_f64 v[127:128], v[127:128], v[131:132]
	v_add_f64 v[6:7], v[6:7], v[133:134]
	v_add_f64 v[2:3], v[127:128], v[2:3]
	v_add_f64 v[4:5], v[6:7], v[4:5]
	s_waitcnt vmcnt(2)
	v_add_f64 v[2:3], v[188:189], -v[2:3]
	s_waitcnt vmcnt(0)
	v_add_f64 v[4:5], v[190:191], -v[4:5]
	buffer_store_dword v3, off, s[0:3], 0 offset:740
	buffer_store_dword v2, off, s[0:3], 0 offset:736
	;; [unrolled: 1-line block ×4, first 2 shown]
	v_cmpx_lt_u32_e32 44, v0
	s_cbranch_execz .LBB122_279
; %bb.278:
	v_mov_b32_e32 v5, s26
	s_clause 0x3
	buffer_load_dword v2, v5, s[0:3], 0 offen
	buffer_load_dword v3, v5, s[0:3], 0 offen offset:4
	buffer_load_dword v4, v5, s[0:3], 0 offen offset:8
	;; [unrolled: 1-line block ×3, first 2 shown]
	buffer_store_dword v1, off, s[0:3], 0 offset:720
	buffer_store_dword v1, off, s[0:3], 0 offset:724
	;; [unrolled: 1-line block ×4, first 2 shown]
	s_waitcnt vmcnt(0)
	ds_write_b128 v187, v[2:5]
.LBB122_279:
	s_or_b32 exec_lo, exec_lo, s4
	s_waitcnt lgkmcnt(0)
	s_waitcnt_vscnt null, 0x0
	s_barrier
	buffer_gl0_inv
	s_clause 0x35
	buffer_load_dword v6, off, s[0:3], 0 offset:744
	buffer_load_dword v7, off, s[0:3], 0 offset:748
	;; [unrolled: 1-line block ×54, first 2 shown]
	ds_read_b128 v[2:5], v1 offset:1664
	s_clause 0x1
	buffer_load_dword v189, off, s[0:3], 0 offset:948
	buffer_load_dword v188, off, s[0:3], 0 offset:944
	ds_read_b128 v[127:130], v1 offset:1680
	ds_read_b128 v[131:134], v1 offset:1696
	s_mov_b32 s4, exec_lo
	s_waitcnt vmcnt(54) lgkmcnt(2)
	v_mul_f64 v[190:191], v[4:5], v[6:7]
	v_mul_f64 v[6:7], v[2:3], v[6:7]
	s_waitcnt vmcnt(52) lgkmcnt(1)
	v_mul_f64 v[192:193], v[129:130], v[135:136]
	v_mul_f64 v[135:136], v[127:128], v[135:136]
	;; [unrolled: 3-line block ×3, first 2 shown]
	v_fma_f64 v[190:191], v[2:3], v[137:138], -v[190:191]
	v_fma_f64 v[6:7], v[4:5], v[137:138], v[6:7]
	s_clause 0x3
	buffer_load_dword v137, off, s[0:3], 0 offset:720
	buffer_load_dword v138, off, s[0:3], 0 offset:724
	;; [unrolled: 1-line block ×4, first 2 shown]
	s_waitcnt vmcnt(50)
	v_fma_f64 v[192:193], v[127:128], v[141:142], -v[192:193]
	ds_read_b128 v[2:5], v1 offset:1712
	v_fma_f64 v[135:136], v[129:130], v[141:142], v[135:136]
	ds_read_b128 v[127:130], v1 offset:1728
	s_waitcnt vmcnt(44)
	v_fma_f64 v[139:140], v[131:132], v[149:150], -v[139:140]
	v_fma_f64 v[149:150], v[133:134], v[149:150], v[196:197]
	ds_read_b128 v[131:134], v1 offset:1744
	v_add_f64 v[190:191], v[190:191], 0
	v_add_f64 v[6:7], v[6:7], 0
	s_waitcnt lgkmcnt(2)
	v_mul_f64 v[141:142], v[2:3], v[143:144]
	v_mul_f64 v[143:144], v[4:5], v[143:144]
	v_add_f64 v[190:191], v[190:191], v[192:193]
	v_add_f64 v[6:7], v[6:7], v[135:136]
	s_waitcnt vmcnt(43) lgkmcnt(1)
	v_mul_f64 v[135:136], v[127:128], v[145:146]
	v_mul_f64 v[145:146], v[129:130], v[145:146]
	s_waitcnt vmcnt(41)
	v_fma_f64 v[143:144], v[2:3], v[151:152], -v[143:144]
	v_fma_f64 v[141:142], v[4:5], v[151:152], v[141:142]
	ds_read_b128 v[2:5], v1 offset:1760
	s_waitcnt vmcnt(37) lgkmcnt(1)
	v_mul_f64 v[151:152], v[133:134], v[153:154]
	v_add_f64 v[139:140], v[190:191], v[139:140]
	v_add_f64 v[6:7], v[6:7], v[149:150]
	v_mul_f64 v[149:150], v[131:132], v[153:154]
	s_waitcnt vmcnt(36)
	v_fma_f64 v[145:146], v[127:128], v[147:148], -v[145:146]
	v_fma_f64 v[135:136], v[129:130], v[147:148], v[135:136]
	ds_read_b128 v[127:130], v1 offset:1776
	s_waitcnt vmcnt(33)
	v_fma_f64 v[147:148], v[131:132], v[159:160], -v[151:152]
	v_add_f64 v[139:140], v[139:140], v[143:144]
	v_add_f64 v[6:7], v[6:7], v[141:142]
	s_waitcnt lgkmcnt(1)
	v_mul_f64 v[143:144], v[4:5], v[155:156]
	v_mul_f64 v[141:142], v[2:3], v[155:156]
	v_add_f64 v[139:140], v[139:140], v[145:146]
	v_fma_f64 v[145:146], v[133:134], v[159:160], v[149:150]
	v_add_f64 v[6:7], v[6:7], v[135:136]
	ds_read_b128 v[131:134], v1 offset:1792
	s_waitcnt vmcnt(29) lgkmcnt(1)
	v_mul_f64 v[149:150], v[129:130], v[161:162]
	s_waitcnt vmcnt(28)
	v_fma_f64 v[143:144], v[2:3], v[157:158], -v[143:144]
	v_mul_f64 v[135:136], v[127:128], v[161:162]
	v_fma_f64 v[141:142], v[4:5], v[157:158], v[141:142]
	ds_read_b128 v[2:5], v1 offset:1808
	v_add_f64 v[139:140], v[139:140], v[147:148]
	s_waitcnt vmcnt(27) lgkmcnt(1)
	v_mul_f64 v[147:148], v[133:134], v[163:164]
	v_add_f64 v[6:7], v[6:7], v[145:146]
	v_mul_f64 v[145:146], v[131:132], v[163:164]
	s_waitcnt vmcnt(25)
	v_fma_f64 v[149:150], v[127:128], v[167:168], -v[149:150]
	v_fma_f64 v[135:136], v[129:130], v[167:168], v[135:136]
	ds_read_b128 v[127:130], v1 offset:1824
	v_add_f64 v[139:140], v[139:140], v[143:144]
	s_waitcnt vmcnt(21) lgkmcnt(1)
	v_mul_f64 v[143:144], v[4:5], v[169:170]
	v_add_f64 v[6:7], v[6:7], v[141:142]
	s_waitcnt vmcnt(20)
	v_fma_f64 v[147:148], v[131:132], v[165:166], -v[147:148]
	v_mul_f64 v[141:142], v[2:3], v[169:170]
	v_fma_f64 v[145:146], v[133:134], v[165:166], v[145:146]
	ds_read_b128 v[131:134], v1 offset:1840
	v_add_f64 v[139:140], v[139:140], v[149:150]
	s_waitcnt vmcnt(19) lgkmcnt(1)
	v_mul_f64 v[149:150], v[129:130], v[171:172]
	v_add_f64 v[6:7], v[6:7], v[135:136]
	s_waitcnt vmcnt(17)
	v_fma_f64 v[143:144], v[2:3], v[175:176], -v[143:144]
	v_mul_f64 v[135:136], v[127:128], v[171:172]
	;; [unrolled: 9-line block ×4, first 2 shown]
	v_fma_f64 v[133:134], v[133:134], v[183:184], v[145:146]
	s_waitcnt vmcnt(7) lgkmcnt(0)
	v_mul_f64 v[145:146], v[129:130], v[185:186]
	v_add_f64 v[139:140], v[139:140], v[149:150]
	s_waitcnt vmcnt(6)
	v_fma_f64 v[1:2], v[2:3], v[181:182], -v[143:144]
	v_add_f64 v[6:7], v[6:7], v[135:136]
	v_mul_f64 v[135:136], v[127:128], v[185:186]
	v_fma_f64 v[3:4], v[4:5], v[181:182], v[141:142]
	v_add_f64 v[131:132], v[139:140], v[131:132]
	v_add_f64 v[5:6], v[6:7], v[133:134]
	s_waitcnt vmcnt(4)
	v_fma_f64 v[7:8], v[127:128], v[188:189], -v[145:146]
	v_fma_f64 v[127:128], v[129:130], v[188:189], v[135:136]
	v_add_f64 v[1:2], v[131:132], v[1:2]
	v_add_f64 v[3:4], v[5:6], v[3:4]
	;; [unrolled: 1-line block ×4, first 2 shown]
	s_waitcnt vmcnt(2)
	v_add_f64 v[1:2], v[137:138], -v[1:2]
	s_waitcnt vmcnt(0)
	v_add_f64 v[3:4], v[194:195], -v[3:4]
	buffer_store_dword v2, off, s[0:3], 0 offset:724
	buffer_store_dword v1, off, s[0:3], 0 offset:720
	;; [unrolled: 1-line block ×4, first 2 shown]
	v_cmpx_lt_u32_e32 43, v0
	s_cbranch_execz .LBB122_281
; %bb.280:
	v_mov_b32_e32 v4, s27
	v_mov_b32_e32 v5, 0
	s_clause 0x3
	buffer_load_dword v1, v4, s[0:3], 0 offen
	buffer_load_dword v2, v4, s[0:3], 0 offen offset:4
	buffer_load_dword v3, v4, s[0:3], 0 offen offset:8
	;; [unrolled: 1-line block ×3, first 2 shown]
	buffer_store_dword v5, off, s[0:3], 0 offset:704
	buffer_store_dword v5, off, s[0:3], 0 offset:708
	;; [unrolled: 1-line block ×4, first 2 shown]
	s_waitcnt vmcnt(0)
	ds_write_b128 v187, v[1:4]
.LBB122_281:
	s_or_b32 exec_lo, exec_lo, s4
	s_waitcnt lgkmcnt(0)
	s_waitcnt_vscnt null, 0x0
	s_barrier
	buffer_gl0_inv
	s_clause 0x37
	buffer_load_dword v6, off, s[0:3], 0 offset:728
	buffer_load_dword v7, off, s[0:3], 0 offset:732
	;; [unrolled: 1-line block ×56, first 2 shown]
	v_mov_b32_e32 v1, 0
	s_mov_b32 s4, exec_lo
	ds_read_b128 v[2:5], v1 offset:1648
	s_clause 0x2
	buffer_load_dword v189, off, s[0:3], 0 offset:956
	buffer_load_dword v193, off, s[0:3], 0 offset:932
	buffer_load_dword v192, off, s[0:3], 0 offset:928
	ds_read_b128 v[127:130], v1 offset:1664
	ds_read_b128 v[131:134], v1 offset:1680
	buffer_load_dword v191, off, s[0:3], 0 offset:948
	s_waitcnt vmcnt(58) lgkmcnt(2)
	v_mul_f64 v[194:195], v[4:5], v[6:7]
	v_mul_f64 v[6:7], v[2:3], v[6:7]
	s_waitcnt vmcnt(56) lgkmcnt(1)
	v_mul_f64 v[196:197], v[129:130], v[135:136]
	v_mul_f64 v[135:136], v[127:128], v[135:136]
	s_waitcnt vmcnt(54)
	v_fma_f64 v[194:195], v[2:3], v[137:138], -v[194:195]
	v_fma_f64 v[6:7], v[4:5], v[137:138], v[6:7]
	s_waitcnt vmcnt(52) lgkmcnt(0)
	v_mul_f64 v[137:138], v[131:132], v[139:140]
	v_mul_f64 v[139:140], v[133:134], v[139:140]
	s_waitcnt vmcnt(50)
	v_fma_f64 v[196:197], v[127:128], v[141:142], -v[196:197]
	ds_read_b128 v[2:5], v1 offset:1696
	v_fma_f64 v[135:136], v[129:130], v[141:142], v[135:136]
	s_clause 0x3
	buffer_load_dword v141, off, s[0:3], 0 offset:704
	buffer_load_dword v142, off, s[0:3], 0 offset:708
	;; [unrolled: 1-line block ×4, first 2 shown]
	ds_read_b128 v[127:130], v1 offset:1712
	v_add_f64 v[194:195], v[194:195], 0
	v_add_f64 v[6:7], v[6:7], 0
	s_waitcnt vmcnt(48)
	v_fma_f64 v[137:138], v[133:134], v[149:150], v[137:138]
	s_waitcnt lgkmcnt(1)
	v_mul_f64 v[200:201], v[2:3], v[143:144]
	v_mul_f64 v[143:144], v[4:5], v[143:144]
	v_fma_f64 v[139:140], v[131:132], v[149:150], -v[139:140]
	ds_read_b128 v[131:134], v1 offset:1728
	v_add_f64 v[194:195], v[194:195], v[196:197]
	v_add_f64 v[6:7], v[6:7], v[135:136]
	s_waitcnt vmcnt(47) lgkmcnt(1)
	v_mul_f64 v[135:136], v[127:128], v[145:146]
	v_mul_f64 v[145:146], v[129:130], v[145:146]
	s_waitcnt vmcnt(45)
	v_fma_f64 v[143:144], v[2:3], v[151:152], -v[143:144]
	v_fma_f64 v[149:150], v[4:5], v[151:152], v[200:201]
	s_waitcnt vmcnt(41) lgkmcnt(0)
	v_mul_f64 v[151:152], v[133:134], v[153:154]
	ds_read_b128 v[2:5], v1 offset:1744
	v_add_f64 v[139:140], v[194:195], v[139:140]
	v_add_f64 v[6:7], v[6:7], v[137:138]
	v_mul_f64 v[137:138], v[131:132], v[153:154]
	s_waitcnt vmcnt(40)
	v_fma_f64 v[145:146], v[127:128], v[147:148], -v[145:146]
	v_fma_f64 v[135:136], v[129:130], v[147:148], v[135:136]
	ds_read_b128 v[127:130], v1 offset:1760
	s_waitcnt vmcnt(39) lgkmcnt(1)
	v_mul_f64 v[147:148], v[4:5], v[155:156]
	v_add_f64 v[139:140], v[139:140], v[143:144]
	v_add_f64 v[6:7], v[6:7], v[149:150]
	s_waitcnt vmcnt(37)
	v_fma_f64 v[149:150], v[131:132], v[159:160], -v[151:152]
	v_mul_f64 v[143:144], v[2:3], v[155:156]
	v_fma_f64 v[137:138], v[133:134], v[159:160], v[137:138]
	ds_read_b128 v[131:134], v1 offset:1776
	s_waitcnt vmcnt(32)
	v_fma_f64 v[147:148], v[2:3], v[157:158], -v[147:148]
	v_add_f64 v[139:140], v[139:140], v[145:146]
	v_add_f64 v[6:7], v[6:7], v[135:136]
	s_waitcnt lgkmcnt(1)
	v_mul_f64 v[145:146], v[129:130], v[161:162]
	v_mul_f64 v[135:136], v[127:128], v[161:162]
	v_fma_f64 v[143:144], v[4:5], v[157:158], v[143:144]
	ds_read_b128 v[2:5], v1 offset:1792
	v_add_f64 v[139:140], v[139:140], v[149:150]
	v_add_f64 v[6:7], v[6:7], v[137:138]
	s_waitcnt vmcnt(31) lgkmcnt(1)
	v_mul_f64 v[149:150], v[133:134], v[163:164]
	s_waitcnt vmcnt(29)
	v_fma_f64 v[145:146], v[127:128], v[167:168], -v[145:146]
	v_mul_f64 v[137:138], v[131:132], v[163:164]
	v_fma_f64 v[135:136], v[129:130], v[167:168], v[135:136]
	ds_read_b128 v[127:130], v1 offset:1808
	v_add_f64 v[139:140], v[139:140], v[147:148]
	v_add_f64 v[6:7], v[6:7], v[143:144]
	s_waitcnt vmcnt(25) lgkmcnt(1)
	v_mul_f64 v[147:148], v[4:5], v[169:170]
	s_waitcnt vmcnt(24)
	v_fma_f64 v[149:150], v[131:132], v[165:166], -v[149:150]
	;; [unrolled: 9-line block ×6, first 2 shown]
	v_mul_f64 v[135:136], v[127:128], v[185:186]
	v_fma_f64 v[4:5], v[4:5], v[181:182], v[143:144]
	s_waitcnt vmcnt(7) lgkmcnt(0)
	v_mul_f64 v[143:144], v[133:134], v[188:189]
	v_add_f64 v[139:140], v[139:140], v[149:150]
	v_add_f64 v[6:7], v[6:7], v[137:138]
	s_waitcnt vmcnt(5)
	v_fma_f64 v[127:128], v[127:128], v[192:193], -v[145:146]
	v_mul_f64 v[137:138], v[131:132], v[188:189]
	v_fma_f64 v[129:130], v[129:130], v[192:193], v[135:136]
	v_add_f64 v[2:3], v[139:140], v[2:3]
	v_add_f64 v[4:5], v[6:7], v[4:5]
	s_waitcnt vmcnt(4)
	v_fma_f64 v[6:7], v[131:132], v[190:191], -v[143:144]
	v_add_f64 v[2:3], v[2:3], v[127:128]
	v_fma_f64 v[127:128], v[133:134], v[190:191], v[137:138]
	v_add_f64 v[4:5], v[4:5], v[129:130]
	v_add_f64 v[2:3], v[2:3], v[6:7]
	;; [unrolled: 1-line block ×3, first 2 shown]
	s_waitcnt vmcnt(2)
	v_add_f64 v[2:3], v[141:142], -v[2:3]
	s_waitcnt vmcnt(0)
	v_add_f64 v[4:5], v[198:199], -v[4:5]
	buffer_store_dword v3, off, s[0:3], 0 offset:708
	buffer_store_dword v2, off, s[0:3], 0 offset:704
	;; [unrolled: 1-line block ×4, first 2 shown]
	v_cmpx_lt_u32_e32 42, v0
	s_cbranch_execz .LBB122_283
; %bb.282:
	v_mov_b32_e32 v5, s28
	s_clause 0x3
	buffer_load_dword v2, v5, s[0:3], 0 offen
	buffer_load_dword v3, v5, s[0:3], 0 offen offset:4
	buffer_load_dword v4, v5, s[0:3], 0 offen offset:8
	;; [unrolled: 1-line block ×3, first 2 shown]
	buffer_store_dword v1, off, s[0:3], 0 offset:688
	buffer_store_dword v1, off, s[0:3], 0 offset:692
	;; [unrolled: 1-line block ×4, first 2 shown]
	s_waitcnt vmcnt(0)
	ds_write_b128 v187, v[2:5]
.LBB122_283:
	s_or_b32 exec_lo, exec_lo, s4
	s_waitcnt lgkmcnt(0)
	s_waitcnt_vscnt null, 0x0
	s_barrier
	buffer_gl0_inv
	s_clause 0x37
	buffer_load_dword v6, off, s[0:3], 0 offset:712
	buffer_load_dword v7, off, s[0:3], 0 offset:716
	;; [unrolled: 1-line block ×56, first 2 shown]
	ds_read_b128 v[2:5], v1 offset:1632
	s_clause 0x2
	buffer_load_dword v189, off, s[0:3], 0 offset:940
	buffer_load_dword v193, off, s[0:3], 0 offset:916
	;; [unrolled: 1-line block ×3, first 2 shown]
	ds_read_b128 v[127:130], v1 offset:1648
	s_clause 0x2
	buffer_load_dword v197, off, s[0:3], 0 offset:956
	buffer_load_dword v196, off, s[0:3], 0 offset:952
	buffer_load_dword v191, off, s[0:3], 0 offset:932
	ds_read_b128 v[131:134], v1 offset:1664
	s_mov_b32 s4, exec_lo
	s_waitcnt vmcnt(60) lgkmcnt(2)
	v_mul_f64 v[194:195], v[4:5], v[6:7]
	v_mul_f64 v[6:7], v[2:3], v[6:7]
	s_waitcnt vmcnt(58) lgkmcnt(1)
	v_mul_f64 v[198:199], v[129:130], v[135:136]
	v_mul_f64 v[135:136], v[127:128], v[135:136]
	;; [unrolled: 3-line block ×3, first 2 shown]
	v_fma_f64 v[194:195], v[2:3], v[137:138], -v[194:195]
	v_fma_f64 v[6:7], v[4:5], v[137:138], v[6:7]
	s_clause 0x1
	buffer_load_dword v138, off, s[0:3], 0 offset:948
	buffer_load_dword v137, off, s[0:3], 0 offset:944
	s_waitcnt vmcnt(54)
	v_fma_f64 v[198:199], v[127:128], v[141:142], -v[198:199]
	ds_read_b128 v[2:5], v1 offset:1680
	v_fma_f64 v[135:136], v[129:130], v[141:142], v[135:136]
	ds_read_b128 v[127:130], v1 offset:1696
	s_waitcnt vmcnt(48)
	v_fma_f64 v[139:140], v[131:132], v[149:150], -v[139:140]
	v_fma_f64 v[149:150], v[133:134], v[149:150], v[200:201]
	v_add_f64 v[194:195], v[194:195], 0
	v_add_f64 v[6:7], v[6:7], 0
	s_waitcnt lgkmcnt(1)
	v_mul_f64 v[141:142], v[2:3], v[143:144]
	v_mul_f64 v[143:144], v[4:5], v[143:144]
	s_waitcnt vmcnt(47) lgkmcnt(0)
	v_mul_f64 v[200:201], v[127:128], v[145:146]
	v_mul_f64 v[145:146], v[129:130], v[145:146]
	v_add_f64 v[194:195], v[194:195], v[198:199]
	v_add_f64 v[6:7], v[6:7], v[135:136]
	s_clause 0x3
	buffer_load_dword v135, off, s[0:3], 0 offset:688
	buffer_load_dword v136, off, s[0:3], 0 offset:692
	;; [unrolled: 1-line block ×4, first 2 shown]
	s_waitcnt vmcnt(49)
	v_fma_f64 v[143:144], v[2:3], v[151:152], -v[143:144]
	ds_read_b128 v[131:134], v1 offset:1712
	v_fma_f64 v[141:142], v[4:5], v[151:152], v[141:142]
	ds_read_b128 v[2:5], v1 offset:1728
	s_waitcnt vmcnt(44)
	v_fma_f64 v[145:146], v[127:128], v[147:148], -v[145:146]
	v_add_f64 v[139:140], v[194:195], v[139:140]
	v_add_f64 v[6:7], v[6:7], v[149:150]
	s_waitcnt lgkmcnt(1)
	v_mul_f64 v[151:152], v[133:134], v[153:154]
	v_mul_f64 v[149:150], v[131:132], v[153:154]
	v_add_f64 v[139:140], v[139:140], v[143:144]
	v_fma_f64 v[143:144], v[129:130], v[147:148], v[200:201]
	v_add_f64 v[6:7], v[6:7], v[141:142]
	s_waitcnt vmcnt(43) lgkmcnt(0)
	v_mul_f64 v[147:148], v[4:5], v[155:156]
	s_waitcnt vmcnt(41)
	v_fma_f64 v[151:152], v[131:132], v[159:160], -v[151:152]
	ds_read_b128 v[127:130], v1 offset:1744
	v_mul_f64 v[141:142], v[2:3], v[155:156]
	v_add_f64 v[139:140], v[139:140], v[145:146]
	v_fma_f64 v[145:146], v[133:134], v[159:160], v[149:150]
	v_add_f64 v[6:7], v[6:7], v[143:144]
	ds_read_b128 v[131:134], v1 offset:1760
	s_waitcnt vmcnt(37) lgkmcnt(1)
	v_mul_f64 v[149:150], v[129:130], v[161:162]
	s_waitcnt vmcnt(36)
	v_fma_f64 v[147:148], v[2:3], v[157:158], -v[147:148]
	v_mul_f64 v[143:144], v[127:128], v[161:162]
	v_fma_f64 v[141:142], v[4:5], v[157:158], v[141:142]
	ds_read_b128 v[2:5], v1 offset:1776
	v_add_f64 v[139:140], v[139:140], v[151:152]
	s_waitcnt vmcnt(35) lgkmcnt(1)
	v_mul_f64 v[151:152], v[133:134], v[163:164]
	v_add_f64 v[6:7], v[6:7], v[145:146]
	v_mul_f64 v[145:146], v[131:132], v[163:164]
	s_waitcnt vmcnt(33)
	v_fma_f64 v[149:150], v[127:128], v[167:168], -v[149:150]
	v_fma_f64 v[143:144], v[129:130], v[167:168], v[143:144]
	ds_read_b128 v[127:130], v1 offset:1792
	v_add_f64 v[139:140], v[139:140], v[147:148]
	s_waitcnt vmcnt(29) lgkmcnt(1)
	v_mul_f64 v[147:148], v[4:5], v[169:170]
	v_add_f64 v[6:7], v[6:7], v[141:142]
	s_waitcnt vmcnt(28)
	v_fma_f64 v[151:152], v[131:132], v[165:166], -v[151:152]
	v_mul_f64 v[141:142], v[2:3], v[169:170]
	v_fma_f64 v[145:146], v[133:134], v[165:166], v[145:146]
	ds_read_b128 v[131:134], v1 offset:1808
	v_add_f64 v[139:140], v[139:140], v[149:150]
	s_waitcnt vmcnt(27) lgkmcnt(1)
	v_mul_f64 v[149:150], v[129:130], v[171:172]
	v_add_f64 v[6:7], v[6:7], v[143:144]
	s_waitcnt vmcnt(25)
	v_fma_f64 v[147:148], v[2:3], v[175:176], -v[147:148]
	v_mul_f64 v[143:144], v[127:128], v[171:172]
	;; [unrolled: 9-line block ×5, first 2 shown]
	v_fma_f64 v[141:142], v[4:5], v[181:182], v[141:142]
	ds_read_b128 v[1:4], v1 offset:1872
	v_add_f64 v[139:140], v[139:140], v[151:152]
	s_waitcnt vmcnt(9)
	v_fma_f64 v[127:128], v[127:128], v[192:193], -v[149:150]
	v_add_f64 v[5:6], v[6:7], v[145:146]
	s_waitcnt lgkmcnt(1)
	v_mul_f64 v[145:146], v[133:134], v[188:189]
	v_mul_f64 v[7:8], v[131:132], v[188:189]
	v_fma_f64 v[129:130], v[129:130], v[192:193], v[143:144]
	s_waitcnt vmcnt(7) lgkmcnt(0)
	v_mul_f64 v[143:144], v[3:4], v[196:197]
	v_add_f64 v[139:140], v[139:140], v[147:148]
	v_add_f64 v[5:6], v[5:6], v[141:142]
	s_waitcnt vmcnt(6)
	v_fma_f64 v[131:132], v[131:132], v[190:191], -v[145:146]
	v_mul_f64 v[141:142], v[1:2], v[196:197]
	v_fma_f64 v[7:8], v[133:134], v[190:191], v[7:8]
	v_add_f64 v[127:128], v[139:140], v[127:128]
	v_add_f64 v[5:6], v[5:6], v[129:130]
	s_waitcnt vmcnt(4)
	v_fma_f64 v[1:2], v[1:2], v[137:138], -v[143:144]
	v_fma_f64 v[3:4], v[3:4], v[137:138], v[141:142]
	v_add_f64 v[127:128], v[127:128], v[131:132]
	v_add_f64 v[5:6], v[5:6], v[7:8]
	;; [unrolled: 1-line block ×4, first 2 shown]
	s_waitcnt vmcnt(2)
	v_add_f64 v[1:2], v[135:136], -v[1:2]
	s_waitcnt vmcnt(0)
	v_add_f64 v[3:4], v[198:199], -v[3:4]
	buffer_store_dword v2, off, s[0:3], 0 offset:692
	buffer_store_dword v1, off, s[0:3], 0 offset:688
	;; [unrolled: 1-line block ×4, first 2 shown]
	v_cmpx_lt_u32_e32 41, v0
	s_cbranch_execz .LBB122_285
; %bb.284:
	v_mov_b32_e32 v4, s29
	v_mov_b32_e32 v5, 0
	s_clause 0x3
	buffer_load_dword v1, v4, s[0:3], 0 offen
	buffer_load_dword v2, v4, s[0:3], 0 offen offset:4
	buffer_load_dword v3, v4, s[0:3], 0 offen offset:8
	;; [unrolled: 1-line block ×3, first 2 shown]
	buffer_store_dword v5, off, s[0:3], 0 offset:672
	buffer_store_dword v5, off, s[0:3], 0 offset:676
	;; [unrolled: 1-line block ×4, first 2 shown]
	s_waitcnt vmcnt(0)
	ds_write_b128 v187, v[1:4]
.LBB122_285:
	s_or_b32 exec_lo, exec_lo, s4
	s_waitcnt lgkmcnt(0)
	s_waitcnt_vscnt null, 0x0
	s_barrier
	buffer_gl0_inv
	s_clause 0x37
	buffer_load_dword v6, off, s[0:3], 0 offset:696
	buffer_load_dword v7, off, s[0:3], 0 offset:700
	;; [unrolled: 1-line block ×56, first 2 shown]
	v_mov_b32_e32 v1, 0
	s_mov_b32 s4, exec_lo
	ds_read_b128 v[2:5], v1 offset:1616
	s_clause 0x2
	buffer_load_dword v189, off, s[0:3], 0 offset:924
	buffer_load_dword v193, off, s[0:3], 0 offset:900
	;; [unrolled: 1-line block ×3, first 2 shown]
	ds_read_b128 v[127:130], v1 offset:1632
	s_clause 0x4
	buffer_load_dword v197, off, s[0:3], 0 offset:940
	buffer_load_dword v198, off, s[0:3], 0 offset:952
	;; [unrolled: 1-line block ×5, first 2 shown]
	ds_read_b128 v[131:134], v1 offset:1648
	s_waitcnt vmcnt(62) lgkmcnt(2)
	v_mul_f64 v[194:195], v[4:5], v[6:7]
	v_mul_f64 v[6:7], v[2:3], v[6:7]
	s_waitcnt vmcnt(60) lgkmcnt(1)
	v_mul_f64 v[201:202], v[129:130], v[135:136]
	v_mul_f64 v[135:136], v[127:128], v[135:136]
	;; [unrolled: 3-line block ×3, first 2 shown]
	v_fma_f64 v[194:195], v[2:3], v[137:138], -v[194:195]
	v_fma_f64 v[6:7], v[4:5], v[137:138], v[6:7]
	s_clause 0x2
	buffer_load_dword v199, off, s[0:3], 0 offset:956
	buffer_load_dword v138, off, s[0:3], 0 offset:932
	;; [unrolled: 1-line block ×3, first 2 shown]
	s_waitcnt vmcnt(57)
	v_fma_f64 v[205:206], v[127:128], v[141:142], -v[201:202]
	ds_read_b128 v[2:5], v1 offset:1664
	v_fma_f64 v[135:136], v[129:130], v[141:142], v[135:136]
	buffer_load_dword v201, off, s[0:3], 0 offset:948
	ds_read_b128 v[127:130], v1 offset:1680
	s_waitcnt vmcnt(52)
	v_fma_f64 v[139:140], v[131:132], v[149:150], -v[139:140]
	v_fma_f64 v[149:150], v[133:134], v[149:150], v[203:204]
	ds_read_b128 v[131:134], v1 offset:1696
	v_add_f64 v[194:195], v[194:195], 0
	v_add_f64 v[6:7], v[6:7], 0
	s_waitcnt lgkmcnt(2)
	v_mul_f64 v[141:142], v[2:3], v[143:144]
	v_mul_f64 v[143:144], v[4:5], v[143:144]
	v_add_f64 v[194:195], v[194:195], v[205:206]
	v_add_f64 v[6:7], v[6:7], v[135:136]
	s_waitcnt vmcnt(51) lgkmcnt(1)
	v_mul_f64 v[135:136], v[127:128], v[145:146]
	v_mul_f64 v[145:146], v[129:130], v[145:146]
	s_waitcnt vmcnt(49)
	v_fma_f64 v[143:144], v[2:3], v[151:152], -v[143:144]
	v_fma_f64 v[141:142], v[4:5], v[151:152], v[141:142]
	v_add_f64 v[139:140], v[194:195], v[139:140]
	v_add_f64 v[6:7], v[6:7], v[149:150]
	s_clause 0x3
	buffer_load_dword v149, off, s[0:3], 0 offset:672
	buffer_load_dword v150, off, s[0:3], 0 offset:676
	;; [unrolled: 1-line block ×4, first 2 shown]
	s_waitcnt vmcnt(49) lgkmcnt(0)
	v_mul_f64 v[194:195], v[131:132], v[153:154]
	v_mul_f64 v[153:154], v[133:134], v[153:154]
	s_waitcnt vmcnt(48)
	v_fma_f64 v[145:146], v[127:128], v[147:148], -v[145:146]
	ds_read_b128 v[2:5], v1 offset:1712
	v_fma_f64 v[135:136], v[129:130], v[147:148], v[135:136]
	ds_read_b128 v[127:130], v1 offset:1728
	v_add_f64 v[139:140], v[139:140], v[143:144]
	v_add_f64 v[6:7], v[6:7], v[141:142]
	s_waitcnt vmcnt(47) lgkmcnt(1)
	v_mul_f64 v[143:144], v[4:5], v[155:156]
	s_waitcnt vmcnt(45)
	v_fma_f64 v[147:148], v[131:132], v[159:160], -v[153:154]
	v_mul_f64 v[141:142], v[2:3], v[155:156]
	s_waitcnt vmcnt(41) lgkmcnt(0)
	v_mul_f64 v[153:154], v[129:130], v[161:162]
	v_add_f64 v[139:140], v[139:140], v[145:146]
	v_fma_f64 v[145:146], v[133:134], v[159:160], v[194:195]
	v_add_f64 v[6:7], v[6:7], v[135:136]
	ds_read_b128 v[131:134], v1 offset:1744
	s_waitcnt vmcnt(40)
	v_fma_f64 v[143:144], v[2:3], v[157:158], -v[143:144]
	v_mul_f64 v[135:136], v[127:128], v[161:162]
	v_fma_f64 v[141:142], v[4:5], v[157:158], v[141:142]
	ds_read_b128 v[2:5], v1 offset:1760
	s_waitcnt vmcnt(37)
	v_fma_f64 v[153:154], v[127:128], v[167:168], -v[153:154]
	v_add_f64 v[139:140], v[139:140], v[147:148]
	s_waitcnt lgkmcnt(1)
	v_mul_f64 v[147:148], v[133:134], v[163:164]
	v_add_f64 v[6:7], v[6:7], v[145:146]
	v_mul_f64 v[145:146], v[131:132], v[163:164]
	v_fma_f64 v[135:136], v[129:130], v[167:168], v[135:136]
	ds_read_b128 v[127:130], v1 offset:1776
	v_add_f64 v[139:140], v[139:140], v[143:144]
	s_waitcnt vmcnt(33) lgkmcnt(1)
	v_mul_f64 v[143:144], v[4:5], v[169:170]
	v_add_f64 v[6:7], v[6:7], v[141:142]
	s_waitcnt vmcnt(32)
	v_fma_f64 v[147:148], v[131:132], v[165:166], -v[147:148]
	v_mul_f64 v[141:142], v[2:3], v[169:170]
	v_fma_f64 v[145:146], v[133:134], v[165:166], v[145:146]
	ds_read_b128 v[131:134], v1 offset:1792
	v_add_f64 v[139:140], v[139:140], v[153:154]
	s_waitcnt vmcnt(31) lgkmcnt(1)
	v_mul_f64 v[153:154], v[129:130], v[171:172]
	v_add_f64 v[6:7], v[6:7], v[135:136]
	s_waitcnt vmcnt(29)
	v_fma_f64 v[143:144], v[2:3], v[175:176], -v[143:144]
	;; [unrolled: 9-line block ×7, first 2 shown]
	v_mul_f64 v[141:142], v[2:3], v[196:197]
	v_fma_f64 v[133:134], v[133:134], v[190:191], v[145:146]
	v_add_f64 v[139:140], v[139:140], v[153:154]
	v_add_f64 v[6:7], v[6:7], v[135:136]
	s_waitcnt vmcnt(7) lgkmcnt(0)
	v_mul_f64 v[145:146], v[129:130], v[198:199]
	v_mul_f64 v[135:136], v[127:128], v[198:199]
	s_waitcnt vmcnt(5)
	v_fma_f64 v[2:3], v[2:3], v[137:138], -v[143:144]
	v_fma_f64 v[4:5], v[4:5], v[137:138], v[141:142]
	v_add_f64 v[131:132], v[139:140], v[131:132]
	v_add_f64 v[6:7], v[6:7], v[133:134]
	s_waitcnt vmcnt(4)
	v_fma_f64 v[127:128], v[127:128], v[200:201], -v[145:146]
	v_fma_f64 v[129:130], v[129:130], v[200:201], v[135:136]
	v_add_f64 v[2:3], v[131:132], v[2:3]
	v_add_f64 v[4:5], v[6:7], v[4:5]
	;; [unrolled: 1-line block ×4, first 2 shown]
	s_waitcnt vmcnt(2)
	v_add_f64 v[2:3], v[149:150], -v[2:3]
	s_waitcnt vmcnt(0)
	v_add_f64 v[4:5], v[151:152], -v[4:5]
	buffer_store_dword v3, off, s[0:3], 0 offset:676
	buffer_store_dword v2, off, s[0:3], 0 offset:672
	;; [unrolled: 1-line block ×4, first 2 shown]
	v_cmpx_lt_u32_e32 40, v0
	s_cbranch_execz .LBB122_287
; %bb.286:
	v_mov_b32_e32 v5, s30
	s_clause 0x3
	buffer_load_dword v2, v5, s[0:3], 0 offen
	buffer_load_dword v3, v5, s[0:3], 0 offen offset:4
	buffer_load_dword v4, v5, s[0:3], 0 offen offset:8
	;; [unrolled: 1-line block ×3, first 2 shown]
	buffer_store_dword v1, off, s[0:3], 0 offset:656
	buffer_store_dword v1, off, s[0:3], 0 offset:660
	;; [unrolled: 1-line block ×4, first 2 shown]
	s_waitcnt vmcnt(0)
	ds_write_b128 v187, v[2:5]
.LBB122_287:
	s_or_b32 exec_lo, exec_lo, s4
	s_waitcnt lgkmcnt(0)
	s_waitcnt_vscnt null, 0x0
	s_barrier
	buffer_gl0_inv
	s_clause 0x37
	buffer_load_dword v6, off, s[0:3], 0 offset:680
	buffer_load_dword v7, off, s[0:3], 0 offset:684
	;; [unrolled: 1-line block ×56, first 2 shown]
	ds_read_b128 v[2:5], v1 offset:1600
	s_clause 0x2
	buffer_load_dword v189, off, s[0:3], 0 offset:908
	buffer_load_dword v193, off, s[0:3], 0 offset:884
	;; [unrolled: 1-line block ×3, first 2 shown]
	ds_read_b128 v[127:130], v1 offset:1616
	s_clause 0x4
	buffer_load_dword v197, off, s[0:3], 0 offset:924
	buffer_load_dword v198, off, s[0:3], 0 offset:936
	;; [unrolled: 1-line block ×5, first 2 shown]
	ds_read_b128 v[131:134], v1 offset:1632
	s_mov_b32 s4, exec_lo
	s_waitcnt vmcnt(62) lgkmcnt(2)
	v_mul_f64 v[194:195], v[4:5], v[6:7]
	v_mul_f64 v[6:7], v[2:3], v[6:7]
	s_waitcnt vmcnt(60) lgkmcnt(1)
	v_mul_f64 v[201:202], v[129:130], v[135:136]
	v_mul_f64 v[135:136], v[127:128], v[135:136]
	;; [unrolled: 3-line block ×3, first 2 shown]
	v_fma_f64 v[194:195], v[2:3], v[137:138], -v[194:195]
	v_fma_f64 v[6:7], v[4:5], v[137:138], v[6:7]
	s_clause 0x2
	buffer_load_dword v199, off, s[0:3], 0 offset:940
	buffer_load_dword v138, off, s[0:3], 0 offset:916
	;; [unrolled: 1-line block ×3, first 2 shown]
	s_waitcnt vmcnt(57)
	v_fma_f64 v[205:206], v[127:128], v[141:142], -v[201:202]
	ds_read_b128 v[2:5], v1 offset:1648
	v_fma_f64 v[135:136], v[129:130], v[141:142], v[135:136]
	s_clause 0x2
	buffer_load_dword v142, off, s[0:3], 0 offset:956
	buffer_load_dword v141, off, s[0:3], 0 offset:952
	;; [unrolled: 1-line block ×3, first 2 shown]
	s_waitcnt vmcnt(54)
	v_fma_f64 v[139:140], v[131:132], v[149:150], -v[139:140]
	ds_read_b128 v[127:130], v1 offset:1664
	v_fma_f64 v[149:150], v[133:134], v[149:150], v[203:204]
	v_add_f64 v[194:195], v[194:195], 0
	v_add_f64 v[6:7], v[6:7], 0
	s_waitcnt lgkmcnt(1)
	v_mul_f64 v[207:208], v[2:3], v[143:144]
	v_mul_f64 v[143:144], v[4:5], v[143:144]
	s_waitcnt vmcnt(53) lgkmcnt(0)
	v_mul_f64 v[202:203], v[127:128], v[145:146]
	v_mul_f64 v[145:146], v[129:130], v[145:146]
	v_add_f64 v[194:195], v[194:195], v[205:206]
	v_add_f64 v[6:7], v[6:7], v[135:136]
	s_clause 0x1
	buffer_load_dword v136, off, s[0:3], 0 offset:948
	buffer_load_dword v135, off, s[0:3], 0 offset:944
	s_waitcnt vmcnt(53)
	v_fma_f64 v[143:144], v[2:3], v[151:152], -v[143:144]
	ds_read_b128 v[131:134], v1 offset:1680
	v_fma_f64 v[151:152], v[4:5], v[151:152], v[207:208]
	ds_read_b128 v[2:5], v1 offset:1696
	s_waitcnt vmcnt(48)
	v_fma_f64 v[145:146], v[127:128], v[147:148], -v[145:146]
	v_add_f64 v[139:140], v[194:195], v[139:140]
	v_add_f64 v[6:7], v[6:7], v[149:150]
	s_waitcnt lgkmcnt(1)
	v_mul_f64 v[149:150], v[131:132], v[153:154]
	v_mul_f64 v[153:154], v[133:134], v[153:154]
	s_waitcnt vmcnt(47) lgkmcnt(0)
	v_mul_f64 v[194:195], v[2:3], v[155:156]
	v_mul_f64 v[155:156], v[4:5], v[155:156]
	v_add_f64 v[139:140], v[139:140], v[143:144]
	v_fma_f64 v[143:144], v[129:130], v[147:148], v[202:203]
	v_add_f64 v[6:7], v[6:7], v[151:152]
	s_clause 0x3
	buffer_load_dword v147, off, s[0:3], 0 offset:656
	buffer_load_dword v148, off, s[0:3], 0 offset:660
	;; [unrolled: 1-line block ×4, first 2 shown]
	s_waitcnt vmcnt(49)
	v_fma_f64 v[153:154], v[131:132], v[159:160], -v[153:154]
	ds_read_b128 v[127:130], v1 offset:1712
	s_waitcnt vmcnt(44)
	v_fma_f64 v[155:156], v[2:3], v[157:158], -v[155:156]
	v_add_f64 v[139:140], v[139:140], v[145:146]
	v_fma_f64 v[145:146], v[133:134], v[159:160], v[149:150]
	v_add_f64 v[6:7], v[6:7], v[143:144]
	ds_read_b128 v[131:134], v1 offset:1728
	s_waitcnt lgkmcnt(1)
	v_mul_f64 v[149:150], v[129:130], v[161:162]
	v_mul_f64 v[143:144], v[127:128], v[161:162]
	v_add_f64 v[139:140], v[139:140], v[153:154]
	v_fma_f64 v[153:154], v[4:5], v[157:158], v[194:195]
	v_add_f64 v[6:7], v[6:7], v[145:146]
	s_waitcnt vmcnt(43) lgkmcnt(0)
	v_mul_f64 v[157:158], v[133:134], v[163:164]
	s_waitcnt vmcnt(41)
	v_fma_f64 v[149:150], v[127:128], v[167:168], -v[149:150]
	ds_read_b128 v[2:5], v1 offset:1744
	v_mul_f64 v[145:146], v[131:132], v[163:164]
	v_fma_f64 v[143:144], v[129:130], v[167:168], v[143:144]
	ds_read_b128 v[127:130], v1 offset:1760
	v_add_f64 v[139:140], v[139:140], v[155:156]
	v_add_f64 v[6:7], v[6:7], v[153:154]
	s_waitcnt vmcnt(37) lgkmcnt(1)
	v_mul_f64 v[155:156], v[4:5], v[169:170]
	s_waitcnt vmcnt(36)
	v_fma_f64 v[157:158], v[131:132], v[165:166], -v[157:158]
	v_mul_f64 v[153:154], v[2:3], v[169:170]
	v_fma_f64 v[145:146], v[133:134], v[165:166], v[145:146]
	ds_read_b128 v[131:134], v1 offset:1776
	v_add_f64 v[139:140], v[139:140], v[149:150]
	s_waitcnt vmcnt(35) lgkmcnt(1)
	v_mul_f64 v[149:150], v[129:130], v[171:172]
	v_add_f64 v[6:7], v[6:7], v[143:144]
	s_waitcnt vmcnt(33)
	v_fma_f64 v[155:156], v[2:3], v[175:176], -v[155:156]
	v_mul_f64 v[143:144], v[127:128], v[171:172]
	v_fma_f64 v[153:154], v[4:5], v[175:176], v[153:154]
	ds_read_b128 v[2:5], v1 offset:1792
	v_add_f64 v[139:140], v[139:140], v[157:158]
	s_waitcnt vmcnt(29) lgkmcnt(1)
	v_mul_f64 v[157:158], v[133:134], v[177:178]
	v_add_f64 v[6:7], v[6:7], v[145:146]
	;; [unrolled: 9-line block ×6, first 2 shown]
	s_waitcnt vmcnt(12)
	v_fma_f64 v[157:158], v[131:132], v[190:191], -v[157:158]
	v_mul_f64 v[153:154], v[2:3], v[196:197]
	v_fma_f64 v[145:146], v[133:134], v[190:191], v[145:146]
	ds_read_b128 v[131:134], v1 offset:1872
	v_add_f64 v[139:140], v[139:140], v[149:150]
	v_add_f64 v[6:7], v[6:7], v[143:144]
	s_waitcnt vmcnt(11) lgkmcnt(1)
	v_mul_f64 v[149:150], v[129:130], v[198:199]
	v_mul_f64 v[143:144], v[127:128], v[198:199]
	s_waitcnt vmcnt(9)
	v_fma_f64 v[1:2], v[2:3], v[137:138], -v[155:156]
	v_fma_f64 v[3:4], v[4:5], v[137:138], v[153:154]
	s_waitcnt vmcnt(7) lgkmcnt(0)
	v_mul_f64 v[137:138], v[133:134], v[141:142]
	v_add_f64 v[139:140], v[139:140], v[157:158]
	v_add_f64 v[5:6], v[6:7], v[145:146]
	v_mul_f64 v[7:8], v[131:132], v[141:142]
	s_waitcnt vmcnt(6)
	v_fma_f64 v[127:128], v[127:128], v[200:201], -v[149:150]
	v_fma_f64 v[129:130], v[129:130], v[200:201], v[143:144]
	v_add_f64 v[1:2], v[139:140], v[1:2]
	v_add_f64 v[3:4], v[5:6], v[3:4]
	s_waitcnt vmcnt(4)
	v_fma_f64 v[5:6], v[131:132], v[135:136], -v[137:138]
	v_fma_f64 v[7:8], v[133:134], v[135:136], v[7:8]
	v_add_f64 v[1:2], v[1:2], v[127:128]
	v_add_f64 v[3:4], v[3:4], v[129:130]
	;; [unrolled: 1-line block ×4, first 2 shown]
	s_waitcnt vmcnt(2)
	v_add_f64 v[1:2], v[147:148], -v[1:2]
	s_waitcnt vmcnt(0)
	v_add_f64 v[3:4], v[151:152], -v[3:4]
	buffer_store_dword v2, off, s[0:3], 0 offset:660
	buffer_store_dword v1, off, s[0:3], 0 offset:656
	;; [unrolled: 1-line block ×4, first 2 shown]
	v_cmpx_lt_u32_e32 39, v0
	s_cbranch_execz .LBB122_289
; %bb.288:
	v_mov_b32_e32 v4, s31
	v_mov_b32_e32 v5, 0
	s_clause 0x3
	buffer_load_dword v1, v4, s[0:3], 0 offen
	buffer_load_dword v2, v4, s[0:3], 0 offen offset:4
	buffer_load_dword v3, v4, s[0:3], 0 offen offset:8
	;; [unrolled: 1-line block ×3, first 2 shown]
	buffer_store_dword v5, off, s[0:3], 0 offset:640
	buffer_store_dword v5, off, s[0:3], 0 offset:644
	;; [unrolled: 1-line block ×4, first 2 shown]
	s_waitcnt vmcnt(0)
	ds_write_b128 v187, v[1:4]
.LBB122_289:
	s_or_b32 exec_lo, exec_lo, s4
	s_waitcnt lgkmcnt(0)
	s_waitcnt_vscnt null, 0x0
	s_barrier
	buffer_gl0_inv
	s_clause 0x37
	buffer_load_dword v6, off, s[0:3], 0 offset:664
	buffer_load_dword v7, off, s[0:3], 0 offset:668
	;; [unrolled: 1-line block ×56, first 2 shown]
	v_mov_b32_e32 v1, 0
	s_mov_b32 s4, exec_lo
	ds_read_b128 v[2:5], v1 offset:1584
	s_clause 0x2
	buffer_load_dword v189, off, s[0:3], 0 offset:892
	buffer_load_dword v193, off, s[0:3], 0 offset:868
	;; [unrolled: 1-line block ×3, first 2 shown]
	ds_read_b128 v[127:130], v1 offset:1600
	s_clause 0x4
	buffer_load_dword v197, off, s[0:3], 0 offset:908
	buffer_load_dword v198, off, s[0:3], 0 offset:920
	buffer_load_dword v200, off, s[0:3], 0 offset:912
	buffer_load_dword v196, off, s[0:3], 0 offset:904
	buffer_load_dword v191, off, s[0:3], 0 offset:884
	ds_read_b128 v[131:134], v1 offset:1616
	s_waitcnt vmcnt(62) lgkmcnt(2)
	v_mul_f64 v[194:195], v[4:5], v[6:7]
	v_mul_f64 v[6:7], v[2:3], v[6:7]
	s_waitcnt vmcnt(60) lgkmcnt(1)
	v_mul_f64 v[201:202], v[129:130], v[135:136]
	v_mul_f64 v[135:136], v[127:128], v[135:136]
	;; [unrolled: 3-line block ×3, first 2 shown]
	v_fma_f64 v[194:195], v[2:3], v[137:138], -v[194:195]
	v_fma_f64 v[6:7], v[4:5], v[137:138], v[6:7]
	s_clause 0x2
	buffer_load_dword v199, off, s[0:3], 0 offset:924
	buffer_load_dword v138, off, s[0:3], 0 offset:900
	;; [unrolled: 1-line block ×3, first 2 shown]
	s_waitcnt vmcnt(57)
	v_fma_f64 v[205:206], v[127:128], v[141:142], -v[201:202]
	ds_read_b128 v[2:5], v1 offset:1632
	v_fma_f64 v[135:136], v[129:130], v[141:142], v[135:136]
	s_clause 0x4
	buffer_load_dword v142, off, s[0:3], 0 offset:940
	buffer_load_dword v202, off, s[0:3], 0 offset:952
	;; [unrolled: 1-line block ×5, first 2 shown]
	s_waitcnt vmcnt(56)
	v_fma_f64 v[139:140], v[131:132], v[149:150], -v[139:140]
	ds_read_b128 v[127:130], v1 offset:1648
	v_fma_f64 v[149:150], v[133:134], v[149:150], v[203:204]
	v_add_f64 v[194:195], v[194:195], 0
	v_add_f64 v[6:7], v[6:7], 0
	s_waitcnt lgkmcnt(1)
	v_mul_f64 v[208:209], v[2:3], v[143:144]
	v_mul_f64 v[143:144], v[4:5], v[143:144]
	v_add_f64 v[194:195], v[194:195], v[205:206]
	v_add_f64 v[6:7], v[6:7], v[135:136]
	s_clause 0x2
	buffer_load_dword v203, off, s[0:3], 0 offset:956
	buffer_load_dword v136, off, s[0:3], 0 offset:932
	;; [unrolled: 1-line block ×3, first 2 shown]
	s_waitcnt vmcnt(58) lgkmcnt(0)
	v_mul_f64 v[204:205], v[127:128], v[145:146]
	v_mul_f64 v[145:146], v[129:130], v[145:146]
	s_waitcnt vmcnt(56)
	v_fma_f64 v[143:144], v[2:3], v[151:152], -v[143:144]
	ds_read_b128 v[131:134], v1 offset:1664
	v_fma_f64 v[151:152], v[4:5], v[151:152], v[208:209]
	buffer_load_dword v208, off, s[0:3], 0 offset:948
	ds_read_b128 v[2:5], v1 offset:1680
	v_add_f64 v[139:140], v[194:195], v[139:140]
	v_add_f64 v[6:7], v[6:7], v[149:150]
	s_waitcnt vmcnt(53) lgkmcnt(1)
	v_mul_f64 v[149:150], v[131:132], v[153:154]
	v_mul_f64 v[153:154], v[133:134], v[153:154]
	s_waitcnt vmcnt(52)
	v_fma_f64 v[145:146], v[127:128], v[147:148], -v[145:146]
	v_add_f64 v[139:140], v[139:140], v[143:144]
	v_fma_f64 v[143:144], v[129:130], v[147:148], v[204:205]
	v_add_f64 v[6:7], v[6:7], v[151:152]
	s_waitcnt vmcnt(51) lgkmcnt(0)
	v_mul_f64 v[151:152], v[4:5], v[155:156]
	ds_read_b128 v[127:130], v1 offset:1696
	s_waitcnt vmcnt(49)
	v_fma_f64 v[153:154], v[131:132], v[159:160], -v[153:154]
	v_mul_f64 v[147:148], v[2:3], v[155:156]
	v_add_f64 v[139:140], v[139:140], v[145:146]
	v_fma_f64 v[145:146], v[133:134], v[159:160], v[149:150]
	v_add_f64 v[6:7], v[6:7], v[143:144]
	s_clause 0x3
	buffer_load_dword v143, off, s[0:3], 0 offset:640
	buffer_load_dword v144, off, s[0:3], 0 offset:644
	;; [unrolled: 1-line block ×4, first 2 shown]
	s_waitcnt vmcnt(49) lgkmcnt(0)
	v_mul_f64 v[159:160], v[129:130], v[161:162]
	s_waitcnt vmcnt(48)
	v_fma_f64 v[151:152], v[2:3], v[157:158], -v[151:152]
	ds_read_b128 v[131:134], v1 offset:1712
	v_mul_f64 v[155:156], v[127:128], v[161:162]
	v_fma_f64 v[147:148], v[4:5], v[157:158], v[147:148]
	ds_read_b128 v[2:5], v1 offset:1728
	v_add_f64 v[139:140], v[139:140], v[153:154]
	v_add_f64 v[6:7], v[6:7], v[145:146]
	s_waitcnt vmcnt(47) lgkmcnt(1)
	v_mul_f64 v[153:154], v[133:134], v[163:164]
	s_waitcnt vmcnt(45)
	v_fma_f64 v[157:158], v[127:128], v[167:168], -v[159:160]
	v_mul_f64 v[145:146], v[131:132], v[163:164]
	v_add_f64 v[139:140], v[139:140], v[151:152]
	v_fma_f64 v[151:152], v[129:130], v[167:168], v[155:156]
	v_add_f64 v[6:7], v[6:7], v[147:148]
	s_waitcnt vmcnt(41) lgkmcnt(0)
	v_mul_f64 v[155:156], v[4:5], v[169:170]
	s_waitcnt vmcnt(40)
	v_fma_f64 v[153:154], v[131:132], v[165:166], -v[153:154]
	ds_read_b128 v[127:130], v1 offset:1744
	v_mul_f64 v[147:148], v[2:3], v[169:170]
	v_fma_f64 v[145:146], v[133:134], v[165:166], v[145:146]
	ds_read_b128 v[131:134], v1 offset:1760
	v_add_f64 v[139:140], v[139:140], v[157:158]
	v_add_f64 v[6:7], v[6:7], v[151:152]
	s_waitcnt vmcnt(39) lgkmcnt(1)
	v_mul_f64 v[157:158], v[129:130], v[171:172]
	s_waitcnt vmcnt(37)
	v_fma_f64 v[155:156], v[2:3], v[175:176], -v[155:156]
	v_mul_f64 v[151:152], v[127:128], v[171:172]
	v_fma_f64 v[147:148], v[4:5], v[175:176], v[147:148]
	ds_read_b128 v[2:5], v1 offset:1776
	v_add_f64 v[139:140], v[139:140], v[153:154]
	s_waitcnt vmcnt(33) lgkmcnt(1)
	v_mul_f64 v[153:154], v[133:134], v[177:178]
	v_add_f64 v[6:7], v[6:7], v[145:146]
	s_waitcnt vmcnt(32)
	v_fma_f64 v[157:158], v[127:128], v[173:174], -v[157:158]
	v_mul_f64 v[145:146], v[131:132], v[177:178]
	v_fma_f64 v[151:152], v[129:130], v[173:174], v[151:152]
	ds_read_b128 v[127:130], v1 offset:1792
	v_add_f64 v[139:140], v[139:140], v[155:156]
	s_waitcnt vmcnt(31) lgkmcnt(1)
	v_mul_f64 v[155:156], v[4:5], v[179:180]
	v_add_f64 v[6:7], v[6:7], v[147:148]
	;; [unrolled: 9-line block ×5, first 2 shown]
	s_waitcnt vmcnt(16)
	v_fma_f64 v[153:154], v[131:132], v[190:191], -v[153:154]
	v_mul_f64 v[147:148], v[2:3], v[196:197]
	v_fma_f64 v[145:146], v[133:134], v[190:191], v[145:146]
	ds_read_b128 v[131:134], v1 offset:1856
	v_add_f64 v[139:140], v[139:140], v[157:158]
	v_add_f64 v[6:7], v[6:7], v[151:152]
	s_waitcnt vmcnt(15) lgkmcnt(1)
	v_mul_f64 v[157:158], v[129:130], v[198:199]
	v_mul_f64 v[151:152], v[127:128], v[198:199]
	s_waitcnt vmcnt(13)
	v_fma_f64 v[155:156], v[2:3], v[137:138], -v[155:156]
	v_fma_f64 v[137:138], v[4:5], v[137:138], v[147:148]
	ds_read_b128 v[2:5], v1 offset:1872
	v_add_f64 v[139:140], v[139:140], v[153:154]
	v_add_f64 v[6:7], v[6:7], v[145:146]
	s_waitcnt vmcnt(9) lgkmcnt(1)
	v_mul_f64 v[145:146], v[131:132], v[141:142]
	v_mul_f64 v[141:142], v[133:134], v[141:142]
	s_waitcnt vmcnt(8)
	v_fma_f64 v[127:128], v[127:128], v[200:201], -v[157:158]
	v_fma_f64 v[129:130], v[129:130], v[200:201], v[151:152]
	v_add_f64 v[139:140], v[139:140], v[155:156]
	v_add_f64 v[6:7], v[6:7], v[137:138]
	s_waitcnt vmcnt(7) lgkmcnt(0)
	v_mul_f64 v[147:148], v[4:5], v[202:203]
	v_mul_f64 v[137:138], v[2:3], v[202:203]
	s_waitcnt vmcnt(5)
	v_fma_f64 v[131:132], v[131:132], v[135:136], -v[141:142]
	v_fma_f64 v[133:134], v[133:134], v[135:136], v[145:146]
	v_add_f64 v[127:128], v[139:140], v[127:128]
	v_add_f64 v[6:7], v[6:7], v[129:130]
	s_waitcnt vmcnt(4)
	v_fma_f64 v[2:3], v[2:3], v[207:208], -v[147:148]
	v_fma_f64 v[4:5], v[4:5], v[207:208], v[137:138]
	v_add_f64 v[127:128], v[127:128], v[131:132]
	v_add_f64 v[6:7], v[6:7], v[133:134]
	;; [unrolled: 1-line block ×4, first 2 shown]
	s_waitcnt vmcnt(2)
	v_add_f64 v[2:3], v[143:144], -v[2:3]
	s_waitcnt vmcnt(0)
	v_add_f64 v[4:5], v[149:150], -v[4:5]
	buffer_store_dword v3, off, s[0:3], 0 offset:644
	buffer_store_dword v2, off, s[0:3], 0 offset:640
	;; [unrolled: 1-line block ×4, first 2 shown]
	v_cmpx_lt_u32_e32 38, v0
	s_cbranch_execz .LBB122_291
; %bb.290:
	v_mov_b32_e32 v5, s33
	s_clause 0x3
	buffer_load_dword v2, v5, s[0:3], 0 offen
	buffer_load_dword v3, v5, s[0:3], 0 offen offset:4
	buffer_load_dword v4, v5, s[0:3], 0 offen offset:8
	;; [unrolled: 1-line block ×3, first 2 shown]
	buffer_store_dword v1, off, s[0:3], 0 offset:624
	buffer_store_dword v1, off, s[0:3], 0 offset:628
	;; [unrolled: 1-line block ×4, first 2 shown]
	s_waitcnt vmcnt(0)
	ds_write_b128 v187, v[2:5]
.LBB122_291:
	s_or_b32 exec_lo, exec_lo, s4
	s_waitcnt lgkmcnt(0)
	s_waitcnt_vscnt null, 0x0
	s_barrier
	buffer_gl0_inv
	s_clause 0x37
	buffer_load_dword v6, off, s[0:3], 0 offset:648
	buffer_load_dword v7, off, s[0:3], 0 offset:652
	;; [unrolled: 1-line block ×56, first 2 shown]
	ds_read_b128 v[2:5], v1 offset:1568
	s_clause 0x2
	buffer_load_dword v189, off, s[0:3], 0 offset:876
	buffer_load_dword v193, off, s[0:3], 0 offset:852
	;; [unrolled: 1-line block ×3, first 2 shown]
	ds_read_b128 v[127:130], v1 offset:1584
	s_clause 0x4
	buffer_load_dword v197, off, s[0:3], 0 offset:892
	buffer_load_dword v198, off, s[0:3], 0 offset:904
	;; [unrolled: 1-line block ×5, first 2 shown]
	ds_read_b128 v[131:134], v1 offset:1600
	s_mov_b32 s4, exec_lo
	s_waitcnt vmcnt(62) lgkmcnt(2)
	v_mul_f64 v[194:195], v[4:5], v[6:7]
	v_mul_f64 v[6:7], v[2:3], v[6:7]
	s_waitcnt vmcnt(60) lgkmcnt(1)
	v_mul_f64 v[201:202], v[129:130], v[135:136]
	v_mul_f64 v[135:136], v[127:128], v[135:136]
	;; [unrolled: 3-line block ×3, first 2 shown]
	v_fma_f64 v[194:195], v[2:3], v[137:138], -v[194:195]
	v_fma_f64 v[6:7], v[4:5], v[137:138], v[6:7]
	s_clause 0x2
	buffer_load_dword v199, off, s[0:3], 0 offset:908
	buffer_load_dword v138, off, s[0:3], 0 offset:884
	;; [unrolled: 1-line block ×3, first 2 shown]
	s_waitcnt vmcnt(57)
	v_fma_f64 v[205:206], v[127:128], v[141:142], -v[201:202]
	ds_read_b128 v[2:5], v1 offset:1616
	v_fma_f64 v[135:136], v[129:130], v[141:142], v[135:136]
	s_clause 0x4
	buffer_load_dword v142, off, s[0:3], 0 offset:924
	buffer_load_dword v202, off, s[0:3], 0 offset:936
	;; [unrolled: 1-line block ×5, first 2 shown]
	s_waitcnt vmcnt(56)
	v_fma_f64 v[139:140], v[131:132], v[149:150], -v[139:140]
	ds_read_b128 v[127:130], v1 offset:1632
	v_fma_f64 v[149:150], v[133:134], v[149:150], v[203:204]
	v_add_f64 v[194:195], v[194:195], 0
	v_add_f64 v[6:7], v[6:7], 0
	s_waitcnt lgkmcnt(1)
	v_mul_f64 v[208:209], v[2:3], v[143:144]
	v_mul_f64 v[143:144], v[4:5], v[143:144]
	v_add_f64 v[194:195], v[194:195], v[205:206]
	v_add_f64 v[6:7], v[6:7], v[135:136]
	s_clause 0x2
	buffer_load_dword v203, off, s[0:3], 0 offset:940
	buffer_load_dword v136, off, s[0:3], 0 offset:916
	;; [unrolled: 1-line block ×3, first 2 shown]
	s_waitcnt vmcnt(58) lgkmcnt(0)
	v_mul_f64 v[204:205], v[127:128], v[145:146]
	v_mul_f64 v[145:146], v[129:130], v[145:146]
	s_waitcnt vmcnt(56)
	v_fma_f64 v[143:144], v[2:3], v[151:152], -v[143:144]
	ds_read_b128 v[131:134], v1 offset:1648
	v_fma_f64 v[151:152], v[4:5], v[151:152], v[208:209]
	v_add_f64 v[139:140], v[194:195], v[139:140]
	v_add_f64 v[6:7], v[6:7], v[149:150]
	s_clause 0x2
	buffer_load_dword v150, off, s[0:3], 0 offset:956
	buffer_load_dword v149, off, s[0:3], 0 offset:952
	;; [unrolled: 1-line block ×3, first 2 shown]
	ds_read_b128 v[2:5], v1 offset:1664
	s_waitcnt vmcnt(55) lgkmcnt(1)
	v_mul_f64 v[194:195], v[131:132], v[153:154]
	v_mul_f64 v[153:154], v[133:134], v[153:154]
	s_waitcnt vmcnt(54)
	v_fma_f64 v[145:146], v[127:128], v[147:148], -v[145:146]
	v_add_f64 v[139:140], v[139:140], v[143:144]
	v_fma_f64 v[143:144], v[129:130], v[147:148], v[204:205]
	v_add_f64 v[6:7], v[6:7], v[151:152]
	s_clause 0x1
	buffer_load_dword v148, off, s[0:3], 0 offset:948
	buffer_load_dword v147, off, s[0:3], 0 offset:944
	s_waitcnt vmcnt(55) lgkmcnt(0)
	v_mul_f64 v[151:152], v[2:3], v[155:156]
	v_mul_f64 v[155:156], v[4:5], v[155:156]
	s_waitcnt vmcnt(53)
	v_fma_f64 v[153:154], v[131:132], v[159:160], -v[153:154]
	ds_read_b128 v[127:130], v1 offset:1680
	v_add_f64 v[139:140], v[139:140], v[145:146]
	v_fma_f64 v[145:146], v[133:134], v[159:160], v[194:195]
	v_add_f64 v[6:7], v[6:7], v[143:144]
	ds_read_b128 v[131:134], v1 offset:1696
	s_waitcnt vmcnt(48)
	v_fma_f64 v[151:152], v[4:5], v[157:158], v[151:152]
	s_waitcnt lgkmcnt(1)
	v_mul_f64 v[159:160], v[129:130], v[161:162]
	v_fma_f64 v[155:156], v[2:3], v[157:158], -v[155:156]
	v_mul_f64 v[143:144], v[127:128], v[161:162]
	v_add_f64 v[139:140], v[139:140], v[153:154]
	s_waitcnt vmcnt(47) lgkmcnt(0)
	v_mul_f64 v[161:162], v[133:134], v[163:164]
	v_add_f64 v[6:7], v[6:7], v[145:146]
	s_clause 0x3
	buffer_load_dword v145, off, s[0:3], 0 offset:624
	buffer_load_dword v146, off, s[0:3], 0 offset:628
	buffer_load_dword v153, off, s[0:3], 0 offset:632
	buffer_load_dword v154, off, s[0:3], 0 offset:636
	ds_read_b128 v[2:5], v1 offset:1712
	s_waitcnt vmcnt(49)
	v_fma_f64 v[159:160], v[127:128], v[167:168], -v[159:160]
	v_mul_f64 v[157:158], v[131:132], v[163:164]
	v_fma_f64 v[143:144], v[129:130], v[167:168], v[143:144]
	ds_read_b128 v[127:130], v1 offset:1728
	v_add_f64 v[139:140], v[139:140], v[155:156]
	s_waitcnt vmcnt(44)
	v_fma_f64 v[161:162], v[131:132], v[165:166], -v[161:162]
	v_add_f64 v[6:7], v[6:7], v[151:152]
	s_waitcnt lgkmcnt(1)
	v_mul_f64 v[155:156], v[4:5], v[169:170]
	v_mul_f64 v[151:152], v[2:3], v[169:170]
	v_fma_f64 v[157:158], v[133:134], v[165:166], v[157:158]
	ds_read_b128 v[131:134], v1 offset:1744
	v_add_f64 v[139:140], v[139:140], v[159:160]
	s_waitcnt vmcnt(43) lgkmcnt(1)
	v_mul_f64 v[159:160], v[129:130], v[171:172]
	v_add_f64 v[6:7], v[6:7], v[143:144]
	s_waitcnt vmcnt(41)
	v_fma_f64 v[155:156], v[2:3], v[175:176], -v[155:156]
	v_mul_f64 v[143:144], v[127:128], v[171:172]
	v_fma_f64 v[151:152], v[4:5], v[175:176], v[151:152]
	ds_read_b128 v[2:5], v1 offset:1760
	v_add_f64 v[139:140], v[139:140], v[161:162]
	s_waitcnt vmcnt(37) lgkmcnt(1)
	v_mul_f64 v[161:162], v[133:134], v[177:178]
	v_add_f64 v[6:7], v[6:7], v[157:158]
	s_waitcnt vmcnt(36)
	v_fma_f64 v[159:160], v[127:128], v[173:174], -v[159:160]
	v_mul_f64 v[157:158], v[131:132], v[177:178]
	v_fma_f64 v[143:144], v[129:130], v[173:174], v[143:144]
	ds_read_b128 v[127:130], v1 offset:1776
	v_add_f64 v[139:140], v[139:140], v[155:156]
	s_waitcnt vmcnt(35) lgkmcnt(1)
	v_mul_f64 v[155:156], v[4:5], v[179:180]
	v_add_f64 v[6:7], v[6:7], v[151:152]
	s_waitcnt vmcnt(33)
	v_fma_f64 v[161:162], v[131:132], v[183:184], -v[161:162]
	v_mul_f64 v[151:152], v[2:3], v[179:180]
	v_fma_f64 v[157:158], v[133:134], v[183:184], v[157:158]
	ds_read_b128 v[131:134], v1 offset:1792
	v_add_f64 v[139:140], v[139:140], v[159:160]
	s_waitcnt vmcnt(29) lgkmcnt(1)
	v_mul_f64 v[159:160], v[129:130], v[185:186]
	v_add_f64 v[6:7], v[6:7], v[143:144]
	s_waitcnt vmcnt(28)
	v_fma_f64 v[155:156], v[2:3], v[181:182], -v[155:156]
	v_mul_f64 v[143:144], v[127:128], v[185:186]
	v_fma_f64 v[151:152], v[4:5], v[181:182], v[151:152]
	ds_read_b128 v[2:5], v1 offset:1808
	v_add_f64 v[139:140], v[139:140], v[161:162]
	s_waitcnt vmcnt(27) lgkmcnt(1)
	v_mul_f64 v[161:162], v[133:134], v[188:189]
	v_add_f64 v[6:7], v[6:7], v[157:158]
	s_waitcnt vmcnt(25)
	v_fma_f64 v[159:160], v[127:128], v[192:193], -v[159:160]
	v_mul_f64 v[157:158], v[131:132], v[188:189]
	v_fma_f64 v[143:144], v[129:130], v[192:193], v[143:144]
	ds_read_b128 v[127:130], v1 offset:1824
	v_add_f64 v[139:140], v[139:140], v[155:156]
	s_waitcnt vmcnt(21) lgkmcnt(1)
	v_mul_f64 v[155:156], v[4:5], v[196:197]
	v_add_f64 v[6:7], v[6:7], v[151:152]
	s_waitcnt vmcnt(20)
	v_fma_f64 v[161:162], v[131:132], v[190:191], -v[161:162]
	v_mul_f64 v[151:152], v[2:3], v[196:197]
	v_fma_f64 v[157:158], v[133:134], v[190:191], v[157:158]
	ds_read_b128 v[131:134], v1 offset:1840
	v_add_f64 v[139:140], v[139:140], v[159:160]
	v_add_f64 v[6:7], v[6:7], v[143:144]
	s_waitcnt vmcnt(19) lgkmcnt(1)
	v_mul_f64 v[159:160], v[129:130], v[198:199]
	v_mul_f64 v[143:144], v[127:128], v[198:199]
	s_waitcnt vmcnt(17)
	v_fma_f64 v[155:156], v[2:3], v[137:138], -v[155:156]
	v_fma_f64 v[137:138], v[4:5], v[137:138], v[151:152]
	ds_read_b128 v[2:5], v1 offset:1856
	s_waitcnt vmcnt(13) lgkmcnt(1)
	v_mul_f64 v[151:152], v[131:132], v[141:142]
	v_mul_f64 v[141:142], v[133:134], v[141:142]
	v_add_f64 v[139:140], v[139:140], v[161:162]
	v_add_f64 v[6:7], v[6:7], v[157:158]
	s_waitcnt vmcnt(12)
	v_fma_f64 v[157:158], v[127:128], v[200:201], -v[159:160]
	v_fma_f64 v[143:144], v[129:130], v[200:201], v[143:144]
	ds_read_b128 v[127:130], v1 offset:1872
	v_add_f64 v[139:140], v[139:140], v[155:156]
	v_add_f64 v[6:7], v[6:7], v[137:138]
	s_waitcnt vmcnt(11) lgkmcnt(1)
	v_mul_f64 v[155:156], v[4:5], v[202:203]
	v_mul_f64 v[137:138], v[2:3], v[202:203]
	s_waitcnt vmcnt(9)
	v_fma_f64 v[131:132], v[131:132], v[135:136], -v[141:142]
	v_fma_f64 v[133:134], v[133:134], v[135:136], v[151:152]
	v_add_f64 v[139:140], v[139:140], v[157:158]
	v_add_f64 v[6:7], v[6:7], v[143:144]
	s_waitcnt vmcnt(7) lgkmcnt(0)
	v_mul_f64 v[141:142], v[129:130], v[149:150]
	s_waitcnt vmcnt(6)
	v_fma_f64 v[1:2], v[2:3], v[207:208], -v[155:156]
	v_mul_f64 v[135:136], v[127:128], v[149:150]
	v_fma_f64 v[3:4], v[4:5], v[207:208], v[137:138]
	v_add_f64 v[131:132], v[139:140], v[131:132]
	v_add_f64 v[5:6], v[6:7], v[133:134]
	s_waitcnt vmcnt(4)
	v_fma_f64 v[7:8], v[127:128], v[147:148], -v[141:142]
	v_fma_f64 v[127:128], v[129:130], v[147:148], v[135:136]
	v_add_f64 v[1:2], v[131:132], v[1:2]
	v_add_f64 v[3:4], v[5:6], v[3:4]
	;; [unrolled: 1-line block ×4, first 2 shown]
	s_waitcnt vmcnt(2)
	v_add_f64 v[1:2], v[145:146], -v[1:2]
	s_waitcnt vmcnt(0)
	v_add_f64 v[3:4], v[153:154], -v[3:4]
	buffer_store_dword v2, off, s[0:3], 0 offset:628
	buffer_store_dword v1, off, s[0:3], 0 offset:624
	;; [unrolled: 1-line block ×4, first 2 shown]
	v_cmpx_lt_u32_e32 37, v0
	s_cbranch_execz .LBB122_293
; %bb.292:
	v_mov_b32_e32 v4, s34
	v_mov_b32_e32 v5, 0
	s_clause 0x3
	buffer_load_dword v1, v4, s[0:3], 0 offen
	buffer_load_dword v2, v4, s[0:3], 0 offen offset:4
	buffer_load_dword v3, v4, s[0:3], 0 offen offset:8
	buffer_load_dword v4, v4, s[0:3], 0 offen offset:12
	buffer_store_dword v5, off, s[0:3], 0 offset:608
	buffer_store_dword v5, off, s[0:3], 0 offset:612
	;; [unrolled: 1-line block ×4, first 2 shown]
	s_waitcnt vmcnt(0)
	ds_write_b128 v187, v[1:4]
.LBB122_293:
	s_or_b32 exec_lo, exec_lo, s4
	s_waitcnt lgkmcnt(0)
	s_waitcnt_vscnt null, 0x0
	s_barrier
	buffer_gl0_inv
	s_clause 0x37
	buffer_load_dword v6, off, s[0:3], 0 offset:632
	buffer_load_dword v7, off, s[0:3], 0 offset:636
	;; [unrolled: 1-line block ×56, first 2 shown]
	v_mov_b32_e32 v1, 0
	s_mov_b32 s4, exec_lo
	ds_read_b128 v[2:5], v1 offset:1552
	s_clause 0x2
	buffer_load_dword v189, off, s[0:3], 0 offset:860
	buffer_load_dword v193, off, s[0:3], 0 offset:836
	;; [unrolled: 1-line block ×3, first 2 shown]
	ds_read_b128 v[127:130], v1 offset:1568
	s_clause 0x4
	buffer_load_dword v197, off, s[0:3], 0 offset:876
	buffer_load_dword v198, off, s[0:3], 0 offset:888
	;; [unrolled: 1-line block ×5, first 2 shown]
	ds_read_b128 v[131:134], v1 offset:1584
	s_waitcnt vmcnt(62) lgkmcnt(2)
	v_mul_f64 v[194:195], v[4:5], v[6:7]
	v_mul_f64 v[6:7], v[2:3], v[6:7]
	s_waitcnt vmcnt(60) lgkmcnt(1)
	v_mul_f64 v[201:202], v[129:130], v[135:136]
	v_mul_f64 v[135:136], v[127:128], v[135:136]
	;; [unrolled: 3-line block ×3, first 2 shown]
	v_fma_f64 v[194:195], v[2:3], v[137:138], -v[194:195]
	v_fma_f64 v[6:7], v[4:5], v[137:138], v[6:7]
	s_clause 0x2
	buffer_load_dword v199, off, s[0:3], 0 offset:892
	buffer_load_dword v138, off, s[0:3], 0 offset:868
	buffer_load_dword v137, off, s[0:3], 0 offset:864
	s_waitcnt vmcnt(57)
	v_fma_f64 v[205:206], v[127:128], v[141:142], -v[201:202]
	ds_read_b128 v[2:5], v1 offset:1600
	v_fma_f64 v[135:136], v[129:130], v[141:142], v[135:136]
	s_clause 0x4
	buffer_load_dword v142, off, s[0:3], 0 offset:908
	buffer_load_dword v202, off, s[0:3], 0 offset:920
	;; [unrolled: 1-line block ×5, first 2 shown]
	s_waitcnt vmcnt(56)
	v_fma_f64 v[139:140], v[131:132], v[149:150], -v[139:140]
	ds_read_b128 v[127:130], v1 offset:1616
	v_fma_f64 v[149:150], v[133:134], v[149:150], v[203:204]
	v_add_f64 v[194:195], v[194:195], 0
	v_add_f64 v[6:7], v[6:7], 0
	s_waitcnt lgkmcnt(1)
	v_mul_f64 v[208:209], v[2:3], v[143:144]
	v_mul_f64 v[143:144], v[4:5], v[143:144]
	v_add_f64 v[194:195], v[194:195], v[205:206]
	v_add_f64 v[6:7], v[6:7], v[135:136]
	s_clause 0x2
	buffer_load_dword v203, off, s[0:3], 0 offset:924
	buffer_load_dword v136, off, s[0:3], 0 offset:900
	;; [unrolled: 1-line block ×3, first 2 shown]
	s_waitcnt vmcnt(58) lgkmcnt(0)
	v_mul_f64 v[204:205], v[127:128], v[145:146]
	v_mul_f64 v[145:146], v[129:130], v[145:146]
	s_waitcnt vmcnt(56)
	v_fma_f64 v[143:144], v[2:3], v[151:152], -v[143:144]
	ds_read_b128 v[131:134], v1 offset:1632
	v_fma_f64 v[151:152], v[4:5], v[151:152], v[208:209]
	v_add_f64 v[139:140], v[194:195], v[139:140]
	v_add_f64 v[6:7], v[6:7], v[149:150]
	s_clause 0x4
	buffer_load_dword v150, off, s[0:3], 0 offset:940
	buffer_load_dword v194, off, s[0:3], 0 offset:952
	;; [unrolled: 1-line block ×5, first 2 shown]
	ds_read_b128 v[2:5], v1 offset:1648
	s_waitcnt vmcnt(57) lgkmcnt(1)
	v_mul_f64 v[210:211], v[131:132], v[153:154]
	v_mul_f64 v[153:154], v[133:134], v[153:154]
	s_waitcnt vmcnt(56)
	v_fma_f64 v[145:146], v[127:128], v[147:148], -v[145:146]
	v_add_f64 v[139:140], v[139:140], v[143:144]
	v_fma_f64 v[143:144], v[129:130], v[147:148], v[204:205]
	v_add_f64 v[6:7], v[6:7], v[151:152]
	s_clause 0x2
	buffer_load_dword v195, off, s[0:3], 0 offset:956
	buffer_load_dword v148, off, s[0:3], 0 offset:932
	;; [unrolled: 1-line block ×3, first 2 shown]
	s_waitcnt vmcnt(58) lgkmcnt(0)
	v_mul_f64 v[151:152], v[2:3], v[155:156]
	v_mul_f64 v[155:156], v[4:5], v[155:156]
	s_waitcnt vmcnt(56)
	v_fma_f64 v[153:154], v[131:132], v[159:160], -v[153:154]
	ds_read_b128 v[127:130], v1 offset:1664
	v_add_f64 v[139:140], v[139:140], v[145:146]
	v_fma_f64 v[145:146], v[133:134], v[159:160], v[210:211]
	v_add_f64 v[6:7], v[6:7], v[143:144]
	buffer_load_dword v210, off, s[0:3], 0 offset:948
	ds_read_b128 v[131:134], v1 offset:1680
	s_waitcnt vmcnt(53) lgkmcnt(1)
	v_mul_f64 v[159:160], v[129:130], v[161:162]
	s_waitcnt vmcnt(52)
	v_fma_f64 v[155:156], v[2:3], v[157:158], -v[155:156]
	v_mul_f64 v[143:144], v[127:128], v[161:162]
	v_fma_f64 v[151:152], v[4:5], v[157:158], v[151:152]
	ds_read_b128 v[2:5], v1 offset:1696
	v_add_f64 v[139:140], v[139:140], v[153:154]
	v_add_f64 v[6:7], v[6:7], v[145:146]
	s_waitcnt vmcnt(51) lgkmcnt(1)
	v_mul_f64 v[153:154], v[133:134], v[163:164]
	v_mul_f64 v[145:146], v[131:132], v[163:164]
	s_waitcnt vmcnt(49)
	v_fma_f64 v[157:158], v[127:128], v[167:168], -v[159:160]
	v_fma_f64 v[143:144], v[129:130], v[167:168], v[143:144]
	s_waitcnt vmcnt(45) lgkmcnt(0)
	v_mul_f64 v[161:162], v[4:5], v[169:170]
	v_mul_f64 v[159:160], v[2:3], v[169:170]
	v_add_f64 v[139:140], v[139:140], v[155:156]
	v_add_f64 v[6:7], v[6:7], v[151:152]
	s_clause 0x3
	buffer_load_dword v151, off, s[0:3], 0 offset:608
	buffer_load_dword v152, off, s[0:3], 0 offset:612
	;; [unrolled: 1-line block ×4, first 2 shown]
	s_waitcnt vmcnt(48)
	v_fma_f64 v[153:154], v[131:132], v[165:166], -v[153:154]
	ds_read_b128 v[127:130], v1 offset:1712
	v_fma_f64 v[145:146], v[133:134], v[165:166], v[145:146]
	ds_read_b128 v[131:134], v1 offset:1728
	s_waitcnt vmcnt(45)
	v_fma_f64 v[161:162], v[2:3], v[175:176], -v[161:162]
	v_add_f64 v[139:140], v[139:140], v[157:158]
	v_add_f64 v[6:7], v[6:7], v[143:144]
	s_waitcnt lgkmcnt(1)
	v_mul_f64 v[157:158], v[129:130], v[171:172]
	v_mul_f64 v[143:144], v[127:128], v[171:172]
	v_add_f64 v[139:140], v[139:140], v[153:154]
	v_fma_f64 v[153:154], v[4:5], v[175:176], v[159:160]
	v_add_f64 v[6:7], v[6:7], v[145:146]
	s_waitcnt vmcnt(41) lgkmcnt(0)
	v_mul_f64 v[159:160], v[133:134], v[177:178]
	s_waitcnt vmcnt(40)
	v_fma_f64 v[157:158], v[127:128], v[173:174], -v[157:158]
	ds_read_b128 v[2:5], v1 offset:1744
	v_mul_f64 v[145:146], v[131:132], v[177:178]
	v_fma_f64 v[143:144], v[129:130], v[173:174], v[143:144]
	ds_read_b128 v[127:130], v1 offset:1760
	v_add_f64 v[139:140], v[139:140], v[161:162]
	v_add_f64 v[6:7], v[6:7], v[153:154]
	s_waitcnt vmcnt(39) lgkmcnt(1)
	v_mul_f64 v[161:162], v[4:5], v[179:180]
	s_waitcnt vmcnt(37)
	v_fma_f64 v[159:160], v[131:132], v[183:184], -v[159:160]
	v_mul_f64 v[153:154], v[2:3], v[179:180]
	v_fma_f64 v[145:146], v[133:134], v[183:184], v[145:146]
	ds_read_b128 v[131:134], v1 offset:1776
	v_add_f64 v[139:140], v[139:140], v[157:158]
	s_waitcnt vmcnt(33) lgkmcnt(1)
	v_mul_f64 v[157:158], v[129:130], v[185:186]
	v_add_f64 v[6:7], v[6:7], v[143:144]
	s_waitcnt vmcnt(32)
	v_fma_f64 v[161:162], v[2:3], v[181:182], -v[161:162]
	v_mul_f64 v[143:144], v[127:128], v[185:186]
	v_fma_f64 v[153:154], v[4:5], v[181:182], v[153:154]
	ds_read_b128 v[2:5], v1 offset:1792
	v_add_f64 v[139:140], v[139:140], v[159:160]
	s_waitcnt vmcnt(31) lgkmcnt(1)
	v_mul_f64 v[159:160], v[133:134], v[188:189]
	v_add_f64 v[6:7], v[6:7], v[145:146]
	;; [unrolled: 9-line block ×3, first 2 shown]
	s_waitcnt vmcnt(24)
	v_fma_f64 v[159:160], v[131:132], v[190:191], -v[159:160]
	v_mul_f64 v[153:154], v[2:3], v[196:197]
	v_fma_f64 v[145:146], v[133:134], v[190:191], v[145:146]
	ds_read_b128 v[131:134], v1 offset:1824
	v_add_f64 v[139:140], v[139:140], v[157:158]
	v_add_f64 v[6:7], v[6:7], v[143:144]
	s_waitcnt vmcnt(23) lgkmcnt(1)
	v_mul_f64 v[157:158], v[129:130], v[198:199]
	v_mul_f64 v[143:144], v[127:128], v[198:199]
	s_waitcnt vmcnt(21)
	v_fma_f64 v[161:162], v[2:3], v[137:138], -v[161:162]
	v_fma_f64 v[137:138], v[4:5], v[137:138], v[153:154]
	ds_read_b128 v[2:5], v1 offset:1840
	v_add_f64 v[139:140], v[139:140], v[159:160]
	v_add_f64 v[6:7], v[6:7], v[145:146]
	s_waitcnt vmcnt(17) lgkmcnt(1)
	v_mul_f64 v[145:146], v[131:132], v[141:142]
	v_mul_f64 v[141:142], v[133:134], v[141:142]
	s_waitcnt vmcnt(16)
	v_fma_f64 v[153:154], v[127:128], v[200:201], -v[157:158]
	;; [unrolled: 9-line block ×3, first 2 shown]
	v_fma_f64 v[135:136], v[133:134], v[135:136], v[145:146]
	ds_read_b128 v[131:134], v1 offset:1872
	v_add_f64 v[139:140], v[139:140], v[153:154]
	v_add_f64 v[6:7], v[6:7], v[143:144]
	s_waitcnt vmcnt(9) lgkmcnt(1)
	v_mul_f64 v[145:146], v[129:130], v[149:150]
	s_waitcnt vmcnt(8)
	v_fma_f64 v[2:3], v[2:3], v[207:208], -v[157:158]
	v_mul_f64 v[143:144], v[127:128], v[149:150]
	v_fma_f64 v[4:5], v[4:5], v[207:208], v[137:138]
	v_add_f64 v[139:140], v[139:140], v[141:142]
	v_add_f64 v[6:7], v[6:7], v[135:136]
	s_waitcnt vmcnt(7) lgkmcnt(0)
	v_mul_f64 v[137:138], v[133:134], v[194:195]
	v_mul_f64 v[135:136], v[131:132], v[194:195]
	s_waitcnt vmcnt(5)
	v_fma_f64 v[127:128], v[127:128], v[147:148], -v[145:146]
	v_fma_f64 v[129:130], v[129:130], v[147:148], v[143:144]
	v_add_f64 v[2:3], v[139:140], v[2:3]
	v_add_f64 v[4:5], v[6:7], v[4:5]
	s_waitcnt vmcnt(4)
	v_fma_f64 v[6:7], v[131:132], v[209:210], -v[137:138]
	v_add_f64 v[2:3], v[2:3], v[127:128]
	v_fma_f64 v[127:128], v[133:134], v[209:210], v[135:136]
	v_add_f64 v[4:5], v[4:5], v[129:130]
	v_add_f64 v[2:3], v[2:3], v[6:7]
	;; [unrolled: 1-line block ×3, first 2 shown]
	s_waitcnt vmcnt(2)
	v_add_f64 v[2:3], v[151:152], -v[2:3]
	s_waitcnt vmcnt(0)
	v_add_f64 v[4:5], v[155:156], -v[4:5]
	buffer_store_dword v3, off, s[0:3], 0 offset:612
	buffer_store_dword v2, off, s[0:3], 0 offset:608
	buffer_store_dword v5, off, s[0:3], 0 offset:620
	buffer_store_dword v4, off, s[0:3], 0 offset:616
	v_cmpx_lt_u32_e32 36, v0
	s_cbranch_execz .LBB122_295
; %bb.294:
	v_mov_b32_e32 v5, s35
	s_clause 0x3
	buffer_load_dword v2, v5, s[0:3], 0 offen
	buffer_load_dword v3, v5, s[0:3], 0 offen offset:4
	buffer_load_dword v4, v5, s[0:3], 0 offen offset:8
	buffer_load_dword v5, v5, s[0:3], 0 offen offset:12
	buffer_store_dword v1, off, s[0:3], 0 offset:592
	buffer_store_dword v1, off, s[0:3], 0 offset:596
	;; [unrolled: 1-line block ×4, first 2 shown]
	s_waitcnt vmcnt(0)
	ds_write_b128 v187, v[2:5]
.LBB122_295:
	s_or_b32 exec_lo, exec_lo, s4
	s_waitcnt lgkmcnt(0)
	s_waitcnt_vscnt null, 0x0
	s_barrier
	buffer_gl0_inv
	s_clause 0x37
	buffer_load_dword v6, off, s[0:3], 0 offset:616
	buffer_load_dword v7, off, s[0:3], 0 offset:620
	;; [unrolled: 1-line block ×56, first 2 shown]
	ds_read_b128 v[2:5], v1 offset:1536
	s_clause 0x2
	buffer_load_dword v189, off, s[0:3], 0 offset:844
	buffer_load_dword v193, off, s[0:3], 0 offset:820
	;; [unrolled: 1-line block ×3, first 2 shown]
	ds_read_b128 v[127:130], v1 offset:1552
	s_clause 0x4
	buffer_load_dword v197, off, s[0:3], 0 offset:860
	buffer_load_dword v198, off, s[0:3], 0 offset:872
	;; [unrolled: 1-line block ×5, first 2 shown]
	ds_read_b128 v[131:134], v1 offset:1568
	s_mov_b32 s4, exec_lo
	s_waitcnt vmcnt(62) lgkmcnt(2)
	v_mul_f64 v[194:195], v[4:5], v[6:7]
	v_mul_f64 v[6:7], v[2:3], v[6:7]
	s_waitcnt vmcnt(60) lgkmcnt(1)
	v_mul_f64 v[201:202], v[129:130], v[135:136]
	v_mul_f64 v[135:136], v[127:128], v[135:136]
	;; [unrolled: 3-line block ×3, first 2 shown]
	v_fma_f64 v[194:195], v[2:3], v[137:138], -v[194:195]
	v_fma_f64 v[6:7], v[4:5], v[137:138], v[6:7]
	s_clause 0x2
	buffer_load_dword v199, off, s[0:3], 0 offset:876
	buffer_load_dword v138, off, s[0:3], 0 offset:852
	;; [unrolled: 1-line block ×3, first 2 shown]
	s_waitcnt vmcnt(57)
	v_fma_f64 v[205:206], v[127:128], v[141:142], -v[201:202]
	ds_read_b128 v[2:5], v1 offset:1584
	v_fma_f64 v[135:136], v[129:130], v[141:142], v[135:136]
	s_clause 0x4
	buffer_load_dword v142, off, s[0:3], 0 offset:892
	buffer_load_dword v202, off, s[0:3], 0 offset:904
	;; [unrolled: 1-line block ×5, first 2 shown]
	s_waitcnt vmcnt(56)
	v_fma_f64 v[139:140], v[131:132], v[149:150], -v[139:140]
	ds_read_b128 v[127:130], v1 offset:1600
	v_fma_f64 v[149:150], v[133:134], v[149:150], v[203:204]
	v_add_f64 v[194:195], v[194:195], 0
	v_add_f64 v[6:7], v[6:7], 0
	s_waitcnt lgkmcnt(1)
	v_mul_f64 v[208:209], v[2:3], v[143:144]
	v_mul_f64 v[143:144], v[4:5], v[143:144]
	v_add_f64 v[194:195], v[194:195], v[205:206]
	v_add_f64 v[6:7], v[6:7], v[135:136]
	s_clause 0x2
	buffer_load_dword v203, off, s[0:3], 0 offset:908
	buffer_load_dword v136, off, s[0:3], 0 offset:884
	;; [unrolled: 1-line block ×3, first 2 shown]
	s_waitcnt vmcnt(58) lgkmcnt(0)
	v_mul_f64 v[204:205], v[127:128], v[145:146]
	v_mul_f64 v[145:146], v[129:130], v[145:146]
	s_waitcnt vmcnt(56)
	v_fma_f64 v[143:144], v[2:3], v[151:152], -v[143:144]
	ds_read_b128 v[131:134], v1 offset:1616
	v_fma_f64 v[151:152], v[4:5], v[151:152], v[208:209]
	v_add_f64 v[139:140], v[194:195], v[139:140]
	v_add_f64 v[6:7], v[6:7], v[149:150]
	s_clause 0x4
	buffer_load_dword v150, off, s[0:3], 0 offset:924
	buffer_load_dword v194, off, s[0:3], 0 offset:936
	;; [unrolled: 1-line block ×5, first 2 shown]
	ds_read_b128 v[2:5], v1 offset:1632
	s_waitcnt vmcnt(57) lgkmcnt(1)
	v_mul_f64 v[210:211], v[131:132], v[153:154]
	v_mul_f64 v[153:154], v[133:134], v[153:154]
	s_waitcnt vmcnt(56)
	v_fma_f64 v[145:146], v[127:128], v[147:148], -v[145:146]
	v_add_f64 v[139:140], v[139:140], v[143:144]
	v_fma_f64 v[143:144], v[129:130], v[147:148], v[204:205]
	v_add_f64 v[6:7], v[6:7], v[151:152]
	s_clause 0x2
	buffer_load_dword v195, off, s[0:3], 0 offset:940
	buffer_load_dword v148, off, s[0:3], 0 offset:916
	;; [unrolled: 1-line block ×3, first 2 shown]
	s_waitcnt vmcnt(58) lgkmcnt(0)
	v_mul_f64 v[151:152], v[2:3], v[155:156]
	v_mul_f64 v[155:156], v[4:5], v[155:156]
	s_waitcnt vmcnt(56)
	v_fma_f64 v[153:154], v[131:132], v[159:160], -v[153:154]
	ds_read_b128 v[127:130], v1 offset:1648
	v_add_f64 v[139:140], v[139:140], v[145:146]
	v_fma_f64 v[145:146], v[133:134], v[159:160], v[210:211]
	v_add_f64 v[6:7], v[6:7], v[143:144]
	s_clause 0x2
	buffer_load_dword v144, off, s[0:3], 0 offset:956
	buffer_load_dword v143, off, s[0:3], 0 offset:952
	;; [unrolled: 1-line block ×3, first 2 shown]
	ds_read_b128 v[131:134], v1 offset:1664
	s_waitcnt vmcnt(55) lgkmcnt(1)
	v_mul_f64 v[159:160], v[127:128], v[161:162]
	v_mul_f64 v[161:162], v[129:130], v[161:162]
	s_waitcnt vmcnt(54)
	v_fma_f64 v[155:156], v[2:3], v[157:158], -v[155:156]
	v_fma_f64 v[151:152], v[4:5], v[157:158], v[151:152]
	v_add_f64 v[139:140], v[139:140], v[153:154]
	v_add_f64 v[6:7], v[6:7], v[145:146]
	s_clause 0x1
	buffer_load_dword v146, off, s[0:3], 0 offset:948
	buffer_load_dword v145, off, s[0:3], 0 offset:944
	s_waitcnt vmcnt(55) lgkmcnt(0)
	v_mul_f64 v[157:158], v[133:134], v[163:164]
	ds_read_b128 v[2:5], v1 offset:1680
	s_waitcnt vmcnt(53)
	v_fma_f64 v[161:162], v[127:128], v[167:168], -v[161:162]
	v_mul_f64 v[153:154], v[131:132], v[163:164]
	v_add_f64 v[139:140], v[139:140], v[155:156]
	v_fma_f64 v[155:156], v[129:130], v[167:168], v[159:160]
	v_add_f64 v[6:7], v[6:7], v[151:152]
	ds_read_b128 v[127:130], v1 offset:1696
	s_waitcnt vmcnt(49) lgkmcnt(1)
	v_mul_f64 v[159:160], v[4:5], v[169:170]
	s_waitcnt vmcnt(48)
	v_fma_f64 v[157:158], v[131:132], v[165:166], -v[157:158]
	v_mul_f64 v[151:152], v[2:3], v[169:170]
	v_fma_f64 v[153:154], v[133:134], v[165:166], v[153:154]
	v_add_f64 v[139:140], v[139:140], v[161:162]
	s_waitcnt vmcnt(47) lgkmcnt(0)
	v_mul_f64 v[165:166], v[129:130], v[171:172]
	v_add_f64 v[6:7], v[6:7], v[155:156]
	s_clause 0x3
	buffer_load_dword v155, off, s[0:3], 0 offset:592
	buffer_load_dword v156, off, s[0:3], 0 offset:596
	;; [unrolled: 1-line block ×4, first 2 shown]
	s_waitcnt vmcnt(49)
	v_fma_f64 v[159:160], v[2:3], v[175:176], -v[159:160]
	ds_read_b128 v[131:134], v1 offset:1712
	v_mul_f64 v[163:164], v[127:128], v[171:172]
	v_fma_f64 v[151:152], v[4:5], v[175:176], v[151:152]
	ds_read_b128 v[2:5], v1 offset:1728
	v_add_f64 v[139:140], v[139:140], v[157:158]
	s_waitcnt vmcnt(44)
	v_fma_f64 v[165:166], v[127:128], v[173:174], -v[165:166]
	v_add_f64 v[6:7], v[6:7], v[153:154]
	s_waitcnt lgkmcnt(1)
	v_mul_f64 v[157:158], v[133:134], v[177:178]
	v_mul_f64 v[153:154], v[131:132], v[177:178]
	v_add_f64 v[139:140], v[139:140], v[159:160]
	v_fma_f64 v[159:160], v[129:130], v[173:174], v[163:164]
	v_add_f64 v[6:7], v[6:7], v[151:152]
	s_waitcnt vmcnt(43) lgkmcnt(0)
	v_mul_f64 v[163:164], v[4:5], v[179:180]
	s_waitcnt vmcnt(41)
	v_fma_f64 v[157:158], v[131:132], v[183:184], -v[157:158]
	ds_read_b128 v[127:130], v1 offset:1744
	v_mul_f64 v[151:152], v[2:3], v[179:180]
	v_fma_f64 v[153:154], v[133:134], v[183:184], v[153:154]
	ds_read_b128 v[131:134], v1 offset:1760
	v_add_f64 v[139:140], v[139:140], v[165:166]
	v_add_f64 v[6:7], v[6:7], v[159:160]
	s_waitcnt vmcnt(37) lgkmcnt(1)
	v_mul_f64 v[165:166], v[129:130], v[185:186]
	s_waitcnt vmcnt(36)
	v_fma_f64 v[163:164], v[2:3], v[181:182], -v[163:164]
	v_mul_f64 v[159:160], v[127:128], v[185:186]
	v_fma_f64 v[151:152], v[4:5], v[181:182], v[151:152]
	ds_read_b128 v[2:5], v1 offset:1776
	v_add_f64 v[139:140], v[139:140], v[157:158]
	s_waitcnt vmcnt(35) lgkmcnt(1)
	v_mul_f64 v[157:158], v[133:134], v[188:189]
	v_add_f64 v[6:7], v[6:7], v[153:154]
	s_waitcnt vmcnt(33)
	v_fma_f64 v[165:166], v[127:128], v[192:193], -v[165:166]
	v_mul_f64 v[153:154], v[131:132], v[188:189]
	v_fma_f64 v[159:160], v[129:130], v[192:193], v[159:160]
	ds_read_b128 v[127:130], v1 offset:1792
	v_add_f64 v[139:140], v[139:140], v[163:164]
	s_waitcnt vmcnt(29) lgkmcnt(1)
	v_mul_f64 v[163:164], v[4:5], v[196:197]
	v_add_f64 v[6:7], v[6:7], v[151:152]
	s_waitcnt vmcnt(28)
	v_fma_f64 v[157:158], v[131:132], v[190:191], -v[157:158]
	v_mul_f64 v[151:152], v[2:3], v[196:197]
	v_fma_f64 v[153:154], v[133:134], v[190:191], v[153:154]
	ds_read_b128 v[131:134], v1 offset:1808
	v_add_f64 v[139:140], v[139:140], v[165:166]
	v_add_f64 v[6:7], v[6:7], v[159:160]
	s_waitcnt vmcnt(27) lgkmcnt(1)
	v_mul_f64 v[165:166], v[129:130], v[198:199]
	v_mul_f64 v[159:160], v[127:128], v[198:199]
	s_waitcnt vmcnt(25)
	v_fma_f64 v[163:164], v[2:3], v[137:138], -v[163:164]
	v_fma_f64 v[137:138], v[4:5], v[137:138], v[151:152]
	ds_read_b128 v[2:5], v1 offset:1824
	s_waitcnt vmcnt(21) lgkmcnt(1)
	v_mul_f64 v[151:152], v[131:132], v[141:142]
	v_mul_f64 v[141:142], v[133:134], v[141:142]
	v_add_f64 v[139:140], v[139:140], v[157:158]
	v_add_f64 v[6:7], v[6:7], v[153:154]
	s_waitcnt vmcnt(20)
	v_fma_f64 v[153:154], v[127:128], v[200:201], -v[165:166]
	v_fma_f64 v[157:158], v[129:130], v[200:201], v[159:160]
	ds_read_b128 v[127:130], v1 offset:1840
	v_add_f64 v[139:140], v[139:140], v[163:164]
	v_add_f64 v[6:7], v[6:7], v[137:138]
	s_waitcnt vmcnt(19) lgkmcnt(1)
	v_mul_f64 v[159:160], v[4:5], v[202:203]
	v_mul_f64 v[137:138], v[2:3], v[202:203]
	s_waitcnt vmcnt(17)
	v_fma_f64 v[141:142], v[131:132], v[135:136], -v[141:142]
	v_fma_f64 v[135:136], v[133:134], v[135:136], v[151:152]
	ds_read_b128 v[131:134], v1 offset:1856
	v_add_f64 v[139:140], v[139:140], v[153:154]
	v_add_f64 v[6:7], v[6:7], v[157:158]
	s_waitcnt vmcnt(13) lgkmcnt(1)
	v_mul_f64 v[151:152], v[127:128], v[149:150]
	v_mul_f64 v[149:150], v[129:130], v[149:150]
	;; [unrolled: 9-line block ×3, first 2 shown]
	s_waitcnt vmcnt(9)
	v_fma_f64 v[127:128], v[127:128], v[147:148], -v[149:150]
	v_fma_f64 v[129:130], v[129:130], v[147:148], v[151:152]
	v_add_f64 v[139:140], v[139:140], v[153:154]
	v_add_f64 v[5:6], v[5:6], v[137:138]
	s_waitcnt vmcnt(7) lgkmcnt(0)
	v_mul_f64 v[141:142], v[3:4], v[143:144]
	s_waitcnt vmcnt(6)
	v_fma_f64 v[131:132], v[131:132], v[209:210], -v[135:136]
	v_mul_f64 v[137:138], v[1:2], v[143:144]
	v_fma_f64 v[7:8], v[133:134], v[209:210], v[7:8]
	v_add_f64 v[127:128], v[139:140], v[127:128]
	v_add_f64 v[5:6], v[5:6], v[129:130]
	s_waitcnt vmcnt(4)
	v_fma_f64 v[1:2], v[1:2], v[145:146], -v[141:142]
	v_fma_f64 v[3:4], v[3:4], v[145:146], v[137:138]
	v_add_f64 v[127:128], v[127:128], v[131:132]
	v_add_f64 v[5:6], v[5:6], v[7:8]
	;; [unrolled: 1-line block ×4, first 2 shown]
	s_waitcnt vmcnt(2)
	v_add_f64 v[1:2], v[155:156], -v[1:2]
	s_waitcnt vmcnt(0)
	v_add_f64 v[3:4], v[161:162], -v[3:4]
	buffer_store_dword v2, off, s[0:3], 0 offset:596
	buffer_store_dword v1, off, s[0:3], 0 offset:592
	;; [unrolled: 1-line block ×4, first 2 shown]
	v_cmpx_lt_u32_e32 35, v0
	s_cbranch_execz .LBB122_297
; %bb.296:
	v_mov_b32_e32 v4, s36
	v_mov_b32_e32 v5, 0
	s_clause 0x3
	buffer_load_dword v1, v4, s[0:3], 0 offen
	buffer_load_dword v2, v4, s[0:3], 0 offen offset:4
	buffer_load_dword v3, v4, s[0:3], 0 offen offset:8
	;; [unrolled: 1-line block ×3, first 2 shown]
	buffer_store_dword v5, off, s[0:3], 0 offset:576
	buffer_store_dword v5, off, s[0:3], 0 offset:580
	;; [unrolled: 1-line block ×4, first 2 shown]
	s_waitcnt vmcnt(0)
	ds_write_b128 v187, v[1:4]
.LBB122_297:
	s_or_b32 exec_lo, exec_lo, s4
	s_waitcnt lgkmcnt(0)
	s_waitcnt_vscnt null, 0x0
	s_barrier
	buffer_gl0_inv
	s_clause 0x37
	buffer_load_dword v6, off, s[0:3], 0 offset:600
	buffer_load_dword v7, off, s[0:3], 0 offset:604
	;; [unrolled: 1-line block ×56, first 2 shown]
	v_mov_b32_e32 v1, 0
	s_mov_b32 s4, exec_lo
	ds_read_b128 v[2:5], v1 offset:1520
	s_clause 0x2
	buffer_load_dword v189, off, s[0:3], 0 offset:828
	buffer_load_dword v193, off, s[0:3], 0 offset:804
	;; [unrolled: 1-line block ×3, first 2 shown]
	ds_read_b128 v[127:130], v1 offset:1536
	s_clause 0x4
	buffer_load_dword v197, off, s[0:3], 0 offset:844
	buffer_load_dword v198, off, s[0:3], 0 offset:856
	;; [unrolled: 1-line block ×5, first 2 shown]
	ds_read_b128 v[131:134], v1 offset:1552
	s_waitcnt vmcnt(62) lgkmcnt(2)
	v_mul_f64 v[194:195], v[4:5], v[6:7]
	v_mul_f64 v[6:7], v[2:3], v[6:7]
	s_waitcnt vmcnt(60) lgkmcnt(1)
	v_mul_f64 v[201:202], v[129:130], v[135:136]
	v_mul_f64 v[135:136], v[127:128], v[135:136]
	;; [unrolled: 3-line block ×3, first 2 shown]
	v_fma_f64 v[194:195], v[2:3], v[137:138], -v[194:195]
	v_fma_f64 v[6:7], v[4:5], v[137:138], v[6:7]
	s_clause 0x2
	buffer_load_dword v199, off, s[0:3], 0 offset:860
	buffer_load_dword v138, off, s[0:3], 0 offset:836
	;; [unrolled: 1-line block ×3, first 2 shown]
	s_waitcnt vmcnt(57)
	v_fma_f64 v[205:206], v[127:128], v[141:142], -v[201:202]
	ds_read_b128 v[2:5], v1 offset:1568
	v_fma_f64 v[135:136], v[129:130], v[141:142], v[135:136]
	s_clause 0x4
	buffer_load_dword v142, off, s[0:3], 0 offset:876
	buffer_load_dword v202, off, s[0:3], 0 offset:888
	;; [unrolled: 1-line block ×5, first 2 shown]
	s_waitcnt vmcnt(56)
	v_fma_f64 v[139:140], v[131:132], v[149:150], -v[139:140]
	ds_read_b128 v[127:130], v1 offset:1584
	v_fma_f64 v[149:150], v[133:134], v[149:150], v[203:204]
	v_add_f64 v[194:195], v[194:195], 0
	v_add_f64 v[6:7], v[6:7], 0
	s_waitcnt lgkmcnt(1)
	v_mul_f64 v[208:209], v[2:3], v[143:144]
	v_mul_f64 v[143:144], v[4:5], v[143:144]
	v_add_f64 v[194:195], v[194:195], v[205:206]
	v_add_f64 v[6:7], v[6:7], v[135:136]
	s_clause 0x2
	buffer_load_dword v203, off, s[0:3], 0 offset:892
	buffer_load_dword v136, off, s[0:3], 0 offset:868
	;; [unrolled: 1-line block ×3, first 2 shown]
	s_waitcnt vmcnt(58) lgkmcnt(0)
	v_mul_f64 v[204:205], v[127:128], v[145:146]
	v_mul_f64 v[145:146], v[129:130], v[145:146]
	s_waitcnt vmcnt(56)
	v_fma_f64 v[143:144], v[2:3], v[151:152], -v[143:144]
	ds_read_b128 v[131:134], v1 offset:1600
	v_fma_f64 v[151:152], v[4:5], v[151:152], v[208:209]
	v_add_f64 v[139:140], v[194:195], v[139:140]
	v_add_f64 v[6:7], v[6:7], v[149:150]
	s_clause 0x4
	buffer_load_dword v150, off, s[0:3], 0 offset:908
	buffer_load_dword v194, off, s[0:3], 0 offset:920
	;; [unrolled: 1-line block ×5, first 2 shown]
	ds_read_b128 v[2:5], v1 offset:1616
	s_waitcnt vmcnt(57) lgkmcnt(1)
	v_mul_f64 v[210:211], v[131:132], v[153:154]
	v_mul_f64 v[153:154], v[133:134], v[153:154]
	s_waitcnt vmcnt(56)
	v_fma_f64 v[145:146], v[127:128], v[147:148], -v[145:146]
	v_add_f64 v[139:140], v[139:140], v[143:144]
	v_fma_f64 v[143:144], v[129:130], v[147:148], v[204:205]
	v_add_f64 v[6:7], v[6:7], v[151:152]
	s_clause 0x2
	buffer_load_dword v195, off, s[0:3], 0 offset:924
	buffer_load_dword v148, off, s[0:3], 0 offset:900
	;; [unrolled: 1-line block ×3, first 2 shown]
	s_waitcnt vmcnt(58) lgkmcnt(0)
	v_mul_f64 v[151:152], v[2:3], v[155:156]
	v_mul_f64 v[155:156], v[4:5], v[155:156]
	s_waitcnt vmcnt(56)
	v_fma_f64 v[153:154], v[131:132], v[159:160], -v[153:154]
	ds_read_b128 v[127:130], v1 offset:1632
	v_add_f64 v[139:140], v[139:140], v[145:146]
	v_fma_f64 v[145:146], v[133:134], v[159:160], v[210:211]
	v_add_f64 v[6:7], v[6:7], v[143:144]
	s_clause 0x4
	buffer_load_dword v144, off, s[0:3], 0 offset:940
	buffer_load_dword v159, off, s[0:3], 0 offset:952
	;; [unrolled: 1-line block ×5, first 2 shown]
	ds_read_b128 v[131:134], v1 offset:1648
	s_waitcnt vmcnt(57) lgkmcnt(1)
	v_mul_f64 v[205:206], v[127:128], v[161:162]
	v_mul_f64 v[161:162], v[129:130], v[161:162]
	s_waitcnt vmcnt(56)
	v_fma_f64 v[155:156], v[2:3], v[157:158], -v[155:156]
	v_fma_f64 v[151:152], v[4:5], v[157:158], v[151:152]
	v_add_f64 v[139:140], v[139:140], v[153:154]
	v_add_f64 v[6:7], v[6:7], v[145:146]
	s_clause 0x2
	buffer_load_dword v160, off, s[0:3], 0 offset:956
	buffer_load_dword v146, off, s[0:3], 0 offset:932
	;; [unrolled: 1-line block ×3, first 2 shown]
	s_waitcnt vmcnt(58) lgkmcnt(0)
	v_mul_f64 v[157:158], v[133:134], v[163:164]
	ds_read_b128 v[2:5], v1 offset:1664
	s_waitcnt vmcnt(56)
	v_fma_f64 v[161:162], v[127:128], v[167:168], -v[161:162]
	v_mul_f64 v[153:154], v[131:132], v[163:164]
	v_add_f64 v[139:140], v[139:140], v[155:156]
	v_fma_f64 v[155:156], v[129:130], v[167:168], v[205:206]
	v_add_f64 v[6:7], v[6:7], v[151:152]
	buffer_load_dword v205, off, s[0:3], 0 offset:948
	ds_read_b128 v[127:130], v1 offset:1680
	s_waitcnt vmcnt(53) lgkmcnt(1)
	v_mul_f64 v[163:164], v[4:5], v[169:170]
	s_waitcnt vmcnt(52)
	v_fma_f64 v[157:158], v[131:132], v[165:166], -v[157:158]
	v_mul_f64 v[151:152], v[2:3], v[169:170]
	v_fma_f64 v[153:154], v[133:134], v[165:166], v[153:154]
	ds_read_b128 v[131:134], v1 offset:1696
	v_add_f64 v[139:140], v[139:140], v[161:162]
	v_add_f64 v[6:7], v[6:7], v[155:156]
	s_waitcnt vmcnt(51) lgkmcnt(1)
	v_mul_f64 v[161:162], v[129:130], v[171:172]
	v_mul_f64 v[155:156], v[127:128], v[171:172]
	s_waitcnt vmcnt(49)
	v_fma_f64 v[163:164], v[2:3], v[175:176], -v[163:164]
	v_fma_f64 v[151:152], v[4:5], v[175:176], v[151:152]
	s_waitcnt vmcnt(45) lgkmcnt(0)
	v_mul_f64 v[167:168], v[133:134], v[177:178]
	v_mul_f64 v[165:166], v[131:132], v[177:178]
	v_add_f64 v[139:140], v[139:140], v[157:158]
	v_add_f64 v[6:7], v[6:7], v[153:154]
	s_clause 0x3
	buffer_load_dword v153, off, s[0:3], 0 offset:576
	buffer_load_dword v154, off, s[0:3], 0 offset:580
	;; [unrolled: 1-line block ×4, first 2 shown]
	s_waitcnt vmcnt(48)
	v_fma_f64 v[161:162], v[127:128], v[173:174], -v[161:162]
	ds_read_b128 v[2:5], v1 offset:1712
	v_fma_f64 v[155:156], v[129:130], v[173:174], v[155:156]
	ds_read_b128 v[127:130], v1 offset:1728
	s_waitcnt vmcnt(45)
	v_fma_f64 v[167:168], v[131:132], v[183:184], -v[167:168]
	v_add_f64 v[139:140], v[139:140], v[163:164]
	v_add_f64 v[6:7], v[6:7], v[151:152]
	s_waitcnt lgkmcnt(1)
	v_mul_f64 v[163:164], v[4:5], v[179:180]
	v_mul_f64 v[151:152], v[2:3], v[179:180]
	v_add_f64 v[139:140], v[139:140], v[161:162]
	v_fma_f64 v[161:162], v[133:134], v[183:184], v[165:166]
	v_add_f64 v[6:7], v[6:7], v[155:156]
	s_waitcnt vmcnt(41) lgkmcnt(0)
	v_mul_f64 v[165:166], v[129:130], v[185:186]
	s_waitcnt vmcnt(40)
	v_fma_f64 v[163:164], v[2:3], v[181:182], -v[163:164]
	ds_read_b128 v[131:134], v1 offset:1744
	v_mul_f64 v[155:156], v[127:128], v[185:186]
	v_fma_f64 v[151:152], v[4:5], v[181:182], v[151:152]
	ds_read_b128 v[2:5], v1 offset:1760
	v_add_f64 v[139:140], v[139:140], v[167:168]
	v_add_f64 v[6:7], v[6:7], v[161:162]
	s_waitcnt vmcnt(39) lgkmcnt(1)
	v_mul_f64 v[167:168], v[133:134], v[188:189]
	s_waitcnt vmcnt(37)
	v_fma_f64 v[165:166], v[127:128], v[192:193], -v[165:166]
	v_mul_f64 v[161:162], v[131:132], v[188:189]
	v_fma_f64 v[155:156], v[129:130], v[192:193], v[155:156]
	ds_read_b128 v[127:130], v1 offset:1776
	v_add_f64 v[139:140], v[139:140], v[163:164]
	s_waitcnt vmcnt(33) lgkmcnt(1)
	v_mul_f64 v[163:164], v[4:5], v[196:197]
	v_add_f64 v[6:7], v[6:7], v[151:152]
	s_waitcnt vmcnt(32)
	v_fma_f64 v[167:168], v[131:132], v[190:191], -v[167:168]
	v_mul_f64 v[151:152], v[2:3], v[196:197]
	v_fma_f64 v[161:162], v[133:134], v[190:191], v[161:162]
	ds_read_b128 v[131:134], v1 offset:1792
	v_add_f64 v[139:140], v[139:140], v[165:166]
	v_add_f64 v[6:7], v[6:7], v[155:156]
	s_waitcnt vmcnt(31) lgkmcnt(1)
	v_mul_f64 v[165:166], v[129:130], v[198:199]
	v_mul_f64 v[155:156], v[127:128], v[198:199]
	s_waitcnt vmcnt(29)
	v_fma_f64 v[163:164], v[2:3], v[137:138], -v[163:164]
	v_fma_f64 v[137:138], v[4:5], v[137:138], v[151:152]
	ds_read_b128 v[2:5], v1 offset:1808
	s_waitcnt vmcnt(25) lgkmcnt(1)
	v_mul_f64 v[151:152], v[131:132], v[141:142]
	v_mul_f64 v[141:142], v[133:134], v[141:142]
	v_add_f64 v[139:140], v[139:140], v[167:168]
	v_add_f64 v[6:7], v[6:7], v[161:162]
	s_waitcnt vmcnt(24)
	v_fma_f64 v[161:162], v[127:128], v[200:201], -v[165:166]
	v_fma_f64 v[155:156], v[129:130], v[200:201], v[155:156]
	ds_read_b128 v[127:130], v1 offset:1824
	v_add_f64 v[139:140], v[139:140], v[163:164]
	v_add_f64 v[6:7], v[6:7], v[137:138]
	s_waitcnt vmcnt(23) lgkmcnt(1)
	v_mul_f64 v[163:164], v[4:5], v[202:203]
	v_mul_f64 v[137:138], v[2:3], v[202:203]
	s_waitcnt vmcnt(21)
	v_fma_f64 v[141:142], v[131:132], v[135:136], -v[141:142]
	v_fma_f64 v[135:136], v[133:134], v[135:136], v[151:152]
	ds_read_b128 v[131:134], v1 offset:1840
	v_add_f64 v[139:140], v[139:140], v[161:162]
	v_add_f64 v[6:7], v[6:7], v[155:156]
	s_waitcnt vmcnt(17) lgkmcnt(1)
	v_mul_f64 v[151:152], v[127:128], v[149:150]
	v_mul_f64 v[149:150], v[129:130], v[149:150]
	;; [unrolled: 9-line block ×4, first 2 shown]
	s_waitcnt vmcnt(8)
	v_fma_f64 v[131:132], v[131:132], v[209:210], -v[141:142]
	v_fma_f64 v[133:134], v[133:134], v[209:210], v[135:136]
	v_add_f64 v[139:140], v[139:140], v[149:150]
	v_add_f64 v[6:7], v[6:7], v[147:148]
	s_waitcnt vmcnt(7) lgkmcnt(0)
	v_mul_f64 v[141:142], v[129:130], v[159:160]
	v_mul_f64 v[135:136], v[127:128], v[159:160]
	s_waitcnt vmcnt(5)
	v_fma_f64 v[2:3], v[2:3], v[145:146], -v[143:144]
	v_fma_f64 v[4:5], v[4:5], v[145:146], v[137:138]
	v_add_f64 v[131:132], v[139:140], v[131:132]
	v_add_f64 v[6:7], v[6:7], v[133:134]
	s_waitcnt vmcnt(4)
	v_fma_f64 v[127:128], v[127:128], v[204:205], -v[141:142]
	v_fma_f64 v[129:130], v[129:130], v[204:205], v[135:136]
	v_add_f64 v[2:3], v[131:132], v[2:3]
	v_add_f64 v[4:5], v[6:7], v[4:5]
	;; [unrolled: 1-line block ×4, first 2 shown]
	s_waitcnt vmcnt(2)
	v_add_f64 v[2:3], v[153:154], -v[2:3]
	s_waitcnt vmcnt(0)
	v_add_f64 v[4:5], v[157:158], -v[4:5]
	buffer_store_dword v3, off, s[0:3], 0 offset:580
	buffer_store_dword v2, off, s[0:3], 0 offset:576
	;; [unrolled: 1-line block ×4, first 2 shown]
	v_cmpx_lt_u32_e32 34, v0
	s_cbranch_execz .LBB122_299
; %bb.298:
	v_mov_b32_e32 v5, s37
	s_clause 0x3
	buffer_load_dword v2, v5, s[0:3], 0 offen
	buffer_load_dword v3, v5, s[0:3], 0 offen offset:4
	buffer_load_dword v4, v5, s[0:3], 0 offen offset:8
	;; [unrolled: 1-line block ×3, first 2 shown]
	buffer_store_dword v1, off, s[0:3], 0 offset:560
	buffer_store_dword v1, off, s[0:3], 0 offset:564
	;; [unrolled: 1-line block ×4, first 2 shown]
	s_waitcnt vmcnt(0)
	ds_write_b128 v187, v[2:5]
.LBB122_299:
	s_or_b32 exec_lo, exec_lo, s4
	s_waitcnt lgkmcnt(0)
	s_waitcnt_vscnt null, 0x0
	s_barrier
	buffer_gl0_inv
	s_clause 0x37
	buffer_load_dword v6, off, s[0:3], 0 offset:584
	buffer_load_dword v7, off, s[0:3], 0 offset:588
	buffer_load_dword v135, off, s[0:3], 0 offset:600
	buffer_load_dword v136, off, s[0:3], 0 offset:604
	buffer_load_dword v137, off, s[0:3], 0 offset:576
	buffer_load_dword v138, off, s[0:3], 0 offset:580
	buffer_load_dword v139, off, s[0:3], 0 offset:616
	buffer_load_dword v140, off, s[0:3], 0 offset:620
	buffer_load_dword v141, off, s[0:3], 0 offset:592
	buffer_load_dword v142, off, s[0:3], 0 offset:596
	buffer_load_dword v144, off, s[0:3], 0 offset:636
	buffer_load_dword v145, off, s[0:3], 0 offset:648
	buffer_load_dword v147, off, s[0:3], 0 offset:640
	buffer_load_dword v143, off, s[0:3], 0 offset:632
	buffer_load_dword v149, off, s[0:3], 0 offset:608
	buffer_load_dword v150, off, s[0:3], 0 offset:612
	buffer_load_dword v146, off, s[0:3], 0 offset:652
	buffer_load_dword v152, off, s[0:3], 0 offset:628
	buffer_load_dword v151, off, s[0:3], 0 offset:624
	buffer_load_dword v154, off, s[0:3], 0 offset:668
	buffer_load_dword v155, off, s[0:3], 0 offset:680
	buffer_load_dword v157, off, s[0:3], 0 offset:672
	buffer_load_dword v153, off, s[0:3], 0 offset:664
	buffer_load_dword v148, off, s[0:3], 0 offset:644
	buffer_load_dword v156, off, s[0:3], 0 offset:684
	buffer_load_dword v160, off, s[0:3], 0 offset:660
	buffer_load_dword v159, off, s[0:3], 0 offset:656
	buffer_load_dword v162, off, s[0:3], 0 offset:700
	buffer_load_dword v163, off, s[0:3], 0 offset:712
	buffer_load_dword v165, off, s[0:3], 0 offset:704
	buffer_load_dword v161, off, s[0:3], 0 offset:696
	buffer_load_dword v158, off, s[0:3], 0 offset:676
	buffer_load_dword v164, off, s[0:3], 0 offset:716
	buffer_load_dword v168, off, s[0:3], 0 offset:692
	buffer_load_dword v167, off, s[0:3], 0 offset:688
	buffer_load_dword v170, off, s[0:3], 0 offset:732
	buffer_load_dword v171, off, s[0:3], 0 offset:744
	buffer_load_dword v173, off, s[0:3], 0 offset:736
	buffer_load_dword v169, off, s[0:3], 0 offset:728
	buffer_load_dword v166, off, s[0:3], 0 offset:708
	buffer_load_dword v172, off, s[0:3], 0 offset:748
	buffer_load_dword v176, off, s[0:3], 0 offset:724
	buffer_load_dword v175, off, s[0:3], 0 offset:720
	buffer_load_dword v178, off, s[0:3], 0 offset:764
	buffer_load_dword v179, off, s[0:3], 0 offset:776
	buffer_load_dword v181, off, s[0:3], 0 offset:768
	buffer_load_dword v177, off, s[0:3], 0 offset:760
	buffer_load_dword v174, off, s[0:3], 0 offset:740
	buffer_load_dword v180, off, s[0:3], 0 offset:780
	buffer_load_dword v184, off, s[0:3], 0 offset:756
	buffer_load_dword v183, off, s[0:3], 0 offset:752
	buffer_load_dword v186, off, s[0:3], 0 offset:796
	buffer_load_dword v188, off, s[0:3], 0 offset:808
	buffer_load_dword v190, off, s[0:3], 0 offset:800
	buffer_load_dword v185, off, s[0:3], 0 offset:792
	buffer_load_dword v182, off, s[0:3], 0 offset:772
	ds_read_b128 v[2:5], v1 offset:1504
	s_clause 0x2
	buffer_load_dword v189, off, s[0:3], 0 offset:812
	buffer_load_dword v193, off, s[0:3], 0 offset:788
	;; [unrolled: 1-line block ×3, first 2 shown]
	ds_read_b128 v[127:130], v1 offset:1520
	s_clause 0x4
	buffer_load_dword v197, off, s[0:3], 0 offset:828
	buffer_load_dword v198, off, s[0:3], 0 offset:840
	;; [unrolled: 1-line block ×5, first 2 shown]
	ds_read_b128 v[131:134], v1 offset:1536
	s_mov_b32 s4, exec_lo
	s_waitcnt vmcnt(62) lgkmcnt(2)
	v_mul_f64 v[194:195], v[4:5], v[6:7]
	v_mul_f64 v[6:7], v[2:3], v[6:7]
	s_waitcnt vmcnt(60) lgkmcnt(1)
	v_mul_f64 v[201:202], v[129:130], v[135:136]
	v_mul_f64 v[135:136], v[127:128], v[135:136]
	;; [unrolled: 3-line block ×3, first 2 shown]
	v_fma_f64 v[194:195], v[2:3], v[137:138], -v[194:195]
	v_fma_f64 v[6:7], v[4:5], v[137:138], v[6:7]
	s_clause 0x2
	buffer_load_dword v199, off, s[0:3], 0 offset:844
	buffer_load_dword v138, off, s[0:3], 0 offset:820
	;; [unrolled: 1-line block ×3, first 2 shown]
	s_waitcnt vmcnt(57)
	v_fma_f64 v[205:206], v[127:128], v[141:142], -v[201:202]
	ds_read_b128 v[2:5], v1 offset:1552
	v_fma_f64 v[135:136], v[129:130], v[141:142], v[135:136]
	s_clause 0x4
	buffer_load_dword v142, off, s[0:3], 0 offset:860
	buffer_load_dword v202, off, s[0:3], 0 offset:872
	;; [unrolled: 1-line block ×5, first 2 shown]
	s_waitcnt vmcnt(56)
	v_fma_f64 v[139:140], v[131:132], v[149:150], -v[139:140]
	ds_read_b128 v[127:130], v1 offset:1568
	v_fma_f64 v[149:150], v[133:134], v[149:150], v[203:204]
	v_add_f64 v[194:195], v[194:195], 0
	v_add_f64 v[6:7], v[6:7], 0
	s_waitcnt lgkmcnt(1)
	v_mul_f64 v[208:209], v[2:3], v[143:144]
	v_mul_f64 v[143:144], v[4:5], v[143:144]
	v_add_f64 v[194:195], v[194:195], v[205:206]
	v_add_f64 v[6:7], v[6:7], v[135:136]
	s_clause 0x2
	buffer_load_dword v203, off, s[0:3], 0 offset:876
	buffer_load_dword v136, off, s[0:3], 0 offset:852
	;; [unrolled: 1-line block ×3, first 2 shown]
	s_waitcnt vmcnt(58) lgkmcnt(0)
	v_mul_f64 v[204:205], v[127:128], v[145:146]
	v_mul_f64 v[145:146], v[129:130], v[145:146]
	s_waitcnt vmcnt(56)
	v_fma_f64 v[143:144], v[2:3], v[151:152], -v[143:144]
	ds_read_b128 v[131:134], v1 offset:1584
	v_fma_f64 v[151:152], v[4:5], v[151:152], v[208:209]
	v_add_f64 v[139:140], v[194:195], v[139:140]
	v_add_f64 v[6:7], v[6:7], v[149:150]
	s_clause 0x4
	buffer_load_dword v150, off, s[0:3], 0 offset:892
	buffer_load_dword v194, off, s[0:3], 0 offset:904
	;; [unrolled: 1-line block ×5, first 2 shown]
	ds_read_b128 v[2:5], v1 offset:1600
	s_waitcnt vmcnt(57) lgkmcnt(1)
	v_mul_f64 v[210:211], v[131:132], v[153:154]
	v_mul_f64 v[153:154], v[133:134], v[153:154]
	s_waitcnt vmcnt(56)
	v_fma_f64 v[145:146], v[127:128], v[147:148], -v[145:146]
	v_add_f64 v[139:140], v[139:140], v[143:144]
	v_fma_f64 v[143:144], v[129:130], v[147:148], v[204:205]
	v_add_f64 v[6:7], v[6:7], v[151:152]
	s_clause 0x2
	buffer_load_dword v195, off, s[0:3], 0 offset:908
	buffer_load_dword v148, off, s[0:3], 0 offset:884
	;; [unrolled: 1-line block ×3, first 2 shown]
	s_waitcnt vmcnt(58) lgkmcnt(0)
	v_mul_f64 v[151:152], v[2:3], v[155:156]
	v_mul_f64 v[155:156], v[4:5], v[155:156]
	s_waitcnt vmcnt(56)
	v_fma_f64 v[153:154], v[131:132], v[159:160], -v[153:154]
	ds_read_b128 v[127:130], v1 offset:1616
	v_add_f64 v[139:140], v[139:140], v[145:146]
	v_fma_f64 v[145:146], v[133:134], v[159:160], v[210:211]
	v_add_f64 v[6:7], v[6:7], v[143:144]
	s_clause 0x4
	buffer_load_dword v144, off, s[0:3], 0 offset:924
	buffer_load_dword v159, off, s[0:3], 0 offset:936
	;; [unrolled: 1-line block ×5, first 2 shown]
	ds_read_b128 v[131:134], v1 offset:1632
	s_waitcnt vmcnt(57) lgkmcnt(1)
	v_mul_f64 v[205:206], v[127:128], v[161:162]
	v_mul_f64 v[161:162], v[129:130], v[161:162]
	s_waitcnt vmcnt(56)
	v_fma_f64 v[155:156], v[2:3], v[157:158], -v[155:156]
	v_fma_f64 v[151:152], v[4:5], v[157:158], v[151:152]
	v_add_f64 v[139:140], v[139:140], v[153:154]
	v_add_f64 v[6:7], v[6:7], v[145:146]
	s_clause 0x2
	buffer_load_dword v160, off, s[0:3], 0 offset:940
	buffer_load_dword v146, off, s[0:3], 0 offset:916
	;; [unrolled: 1-line block ×3, first 2 shown]
	s_waitcnt vmcnt(58) lgkmcnt(0)
	v_mul_f64 v[157:158], v[133:134], v[163:164]
	ds_read_b128 v[2:5], v1 offset:1648
	s_waitcnt vmcnt(56)
	v_fma_f64 v[161:162], v[127:128], v[167:168], -v[161:162]
	v_mul_f64 v[153:154], v[131:132], v[163:164]
	v_add_f64 v[139:140], v[139:140], v[155:156]
	v_fma_f64 v[155:156], v[129:130], v[167:168], v[205:206]
	v_add_f64 v[6:7], v[6:7], v[151:152]
	s_clause 0x2
	buffer_load_dword v152, off, s[0:3], 0 offset:956
	buffer_load_dword v151, off, s[0:3], 0 offset:952
	;; [unrolled: 1-line block ×3, first 2 shown]
	s_waitcnt vmcnt(55) lgkmcnt(0)
	v_mul_f64 v[167:168], v[4:5], v[169:170]
	s_waitcnt vmcnt(54)
	v_fma_f64 v[157:158], v[131:132], v[165:166], -v[157:158]
	ds_read_b128 v[127:130], v1 offset:1664
	v_mul_f64 v[163:164], v[2:3], v[169:170]
	v_fma_f64 v[153:154], v[133:134], v[165:166], v[153:154]
	v_add_f64 v[139:140], v[139:140], v[161:162]
	v_add_f64 v[6:7], v[6:7], v[155:156]
	s_clause 0x1
	buffer_load_dword v156, off, s[0:3], 0 offset:948
	buffer_load_dword v155, off, s[0:3], 0 offset:944
	s_waitcnt vmcnt(55) lgkmcnt(0)
	v_mul_f64 v[165:166], v[129:130], v[171:172]
	s_waitcnt vmcnt(53)
	v_fma_f64 v[167:168], v[2:3], v[175:176], -v[167:168]
	ds_read_b128 v[131:134], v1 offset:1680
	v_mul_f64 v[161:162], v[127:128], v[171:172]
	v_add_f64 v[139:140], v[139:140], v[157:158]
	v_fma_f64 v[157:158], v[4:5], v[175:176], v[163:164]
	v_add_f64 v[6:7], v[6:7], v[153:154]
	ds_read_b128 v[2:5], v1 offset:1696
	s_waitcnt vmcnt(49) lgkmcnt(1)
	v_mul_f64 v[163:164], v[133:134], v[177:178]
	s_waitcnt vmcnt(48)
	v_fma_f64 v[165:166], v[127:128], v[173:174], -v[165:166]
	v_mul_f64 v[153:154], v[131:132], v[177:178]
	v_fma_f64 v[161:162], v[129:130], v[173:174], v[161:162]
	v_add_f64 v[139:140], v[139:140], v[167:168]
	s_waitcnt vmcnt(47) lgkmcnt(0)
	v_mul_f64 v[171:172], v[4:5], v[179:180]
	v_add_f64 v[6:7], v[6:7], v[157:158]
	s_clause 0x3
	buffer_load_dword v157, off, s[0:3], 0 offset:560
	buffer_load_dword v158, off, s[0:3], 0 offset:564
	;; [unrolled: 1-line block ×4, first 2 shown]
	s_waitcnt vmcnt(49)
	v_fma_f64 v[163:164], v[131:132], v[183:184], -v[163:164]
	ds_read_b128 v[127:130], v1 offset:1712
	v_mul_f64 v[169:170], v[2:3], v[179:180]
	v_fma_f64 v[153:154], v[133:134], v[183:184], v[153:154]
	ds_read_b128 v[131:134], v1 offset:1728
	v_add_f64 v[139:140], v[139:140], v[165:166]
	s_waitcnt vmcnt(44)
	v_fma_f64 v[171:172], v[2:3], v[181:182], -v[171:172]
	v_add_f64 v[6:7], v[6:7], v[161:162]
	s_waitcnt lgkmcnt(1)
	v_mul_f64 v[165:166], v[129:130], v[185:186]
	v_mul_f64 v[161:162], v[127:128], v[185:186]
	v_add_f64 v[139:140], v[139:140], v[163:164]
	v_fma_f64 v[163:164], v[4:5], v[181:182], v[169:170]
	v_add_f64 v[6:7], v[6:7], v[153:154]
	s_waitcnt vmcnt(43) lgkmcnt(0)
	v_mul_f64 v[169:170], v[133:134], v[188:189]
	s_waitcnt vmcnt(41)
	v_fma_f64 v[165:166], v[127:128], v[192:193], -v[165:166]
	ds_read_b128 v[2:5], v1 offset:1744
	v_mul_f64 v[153:154], v[131:132], v[188:189]
	v_fma_f64 v[161:162], v[129:130], v[192:193], v[161:162]
	ds_read_b128 v[127:130], v1 offset:1760
	v_add_f64 v[139:140], v[139:140], v[171:172]
	v_add_f64 v[6:7], v[6:7], v[163:164]
	s_waitcnt vmcnt(37) lgkmcnt(1)
	v_mul_f64 v[171:172], v[4:5], v[196:197]
	s_waitcnt vmcnt(36)
	v_fma_f64 v[169:170], v[131:132], v[190:191], -v[169:170]
	v_mul_f64 v[163:164], v[2:3], v[196:197]
	v_fma_f64 v[153:154], v[133:134], v[190:191], v[153:154]
	ds_read_b128 v[131:134], v1 offset:1776
	v_add_f64 v[139:140], v[139:140], v[165:166]
	v_add_f64 v[6:7], v[6:7], v[161:162]
	s_waitcnt vmcnt(35) lgkmcnt(1)
	v_mul_f64 v[165:166], v[129:130], v[198:199]
	v_mul_f64 v[161:162], v[127:128], v[198:199]
	s_waitcnt vmcnt(33)
	v_fma_f64 v[171:172], v[2:3], v[137:138], -v[171:172]
	v_fma_f64 v[137:138], v[4:5], v[137:138], v[163:164]
	ds_read_b128 v[2:5], v1 offset:1792
	v_add_f64 v[139:140], v[139:140], v[169:170]
	v_add_f64 v[6:7], v[6:7], v[153:154]
	s_waitcnt vmcnt(29) lgkmcnt(1)
	v_mul_f64 v[153:154], v[131:132], v[141:142]
	v_mul_f64 v[141:142], v[133:134], v[141:142]
	s_waitcnt vmcnt(28)
	v_fma_f64 v[163:164], v[127:128], v[200:201], -v[165:166]
	;; [unrolled: 9-line block ×7, first 2 shown]
	v_fma_f64 v[3:4], v[4:5], v[145:146], v[137:138]
	v_add_f64 v[139:140], v[139:140], v[141:142]
	v_add_f64 v[5:6], v[6:7], v[135:136]
	s_waitcnt vmcnt(7) lgkmcnt(0)
	v_mul_f64 v[135:136], v[133:134], v[151:152]
	s_waitcnt vmcnt(6)
	v_fma_f64 v[127:128], v[127:128], v[204:205], -v[149:150]
	v_mul_f64 v[7:8], v[131:132], v[151:152]
	v_fma_f64 v[129:130], v[129:130], v[204:205], v[147:148]
	v_add_f64 v[1:2], v[139:140], v[1:2]
	v_add_f64 v[3:4], v[5:6], v[3:4]
	s_waitcnt vmcnt(4)
	v_fma_f64 v[5:6], v[131:132], v[155:156], -v[135:136]
	v_fma_f64 v[7:8], v[133:134], v[155:156], v[7:8]
	v_add_f64 v[1:2], v[1:2], v[127:128]
	v_add_f64 v[3:4], v[3:4], v[129:130]
	;; [unrolled: 1-line block ×4, first 2 shown]
	s_waitcnt vmcnt(2)
	v_add_f64 v[1:2], v[157:158], -v[1:2]
	s_waitcnt vmcnt(0)
	v_add_f64 v[3:4], v[167:168], -v[3:4]
	buffer_store_dword v2, off, s[0:3], 0 offset:564
	buffer_store_dword v1, off, s[0:3], 0 offset:560
	;; [unrolled: 1-line block ×4, first 2 shown]
	v_cmpx_lt_u32_e32 33, v0
	s_cbranch_execz .LBB122_301
; %bb.300:
	v_mov_b32_e32 v4, s38
	v_mov_b32_e32 v5, 0
	s_clause 0x3
	buffer_load_dword v1, v4, s[0:3], 0 offen
	buffer_load_dword v2, v4, s[0:3], 0 offen offset:4
	buffer_load_dword v3, v4, s[0:3], 0 offen offset:8
	;; [unrolled: 1-line block ×3, first 2 shown]
	buffer_store_dword v5, off, s[0:3], 0 offset:544
	buffer_store_dword v5, off, s[0:3], 0 offset:548
	;; [unrolled: 1-line block ×4, first 2 shown]
	s_waitcnt vmcnt(0)
	ds_write_b128 v187, v[1:4]
.LBB122_301:
	s_or_b32 exec_lo, exec_lo, s4
	s_waitcnt lgkmcnt(0)
	s_waitcnt_vscnt null, 0x0
	s_barrier
	buffer_gl0_inv
	s_clause 0x37
	buffer_load_dword v6, off, s[0:3], 0 offset:568
	buffer_load_dword v7, off, s[0:3], 0 offset:572
	;; [unrolled: 1-line block ×56, first 2 shown]
	v_mov_b32_e32 v1, 0
	s_mov_b32 s4, exec_lo
	ds_read_b128 v[2:5], v1 offset:1488
	s_clause 0x2
	buffer_load_dword v189, off, s[0:3], 0 offset:796
	buffer_load_dword v193, off, s[0:3], 0 offset:772
	;; [unrolled: 1-line block ×3, first 2 shown]
	ds_read_b128 v[127:130], v1 offset:1504
	s_clause 0x4
	buffer_load_dword v197, off, s[0:3], 0 offset:812
	buffer_load_dword v198, off, s[0:3], 0 offset:824
	;; [unrolled: 1-line block ×5, first 2 shown]
	ds_read_b128 v[131:134], v1 offset:1520
	s_waitcnt vmcnt(62) lgkmcnt(2)
	v_mul_f64 v[194:195], v[4:5], v[6:7]
	v_mul_f64 v[6:7], v[2:3], v[6:7]
	s_waitcnt vmcnt(60) lgkmcnt(1)
	v_mul_f64 v[201:202], v[129:130], v[135:136]
	v_mul_f64 v[135:136], v[127:128], v[135:136]
	;; [unrolled: 3-line block ×3, first 2 shown]
	v_fma_f64 v[194:195], v[2:3], v[137:138], -v[194:195]
	v_fma_f64 v[6:7], v[4:5], v[137:138], v[6:7]
	s_clause 0x2
	buffer_load_dword v199, off, s[0:3], 0 offset:828
	buffer_load_dword v138, off, s[0:3], 0 offset:804
	;; [unrolled: 1-line block ×3, first 2 shown]
	s_waitcnt vmcnt(57)
	v_fma_f64 v[205:206], v[127:128], v[141:142], -v[201:202]
	ds_read_b128 v[2:5], v1 offset:1536
	v_fma_f64 v[135:136], v[129:130], v[141:142], v[135:136]
	s_clause 0x4
	buffer_load_dword v142, off, s[0:3], 0 offset:844
	buffer_load_dword v202, off, s[0:3], 0 offset:856
	;; [unrolled: 1-line block ×5, first 2 shown]
	s_waitcnt vmcnt(56)
	v_fma_f64 v[139:140], v[131:132], v[149:150], -v[139:140]
	ds_read_b128 v[127:130], v1 offset:1552
	v_fma_f64 v[149:150], v[133:134], v[149:150], v[203:204]
	v_add_f64 v[194:195], v[194:195], 0
	v_add_f64 v[6:7], v[6:7], 0
	s_waitcnt lgkmcnt(1)
	v_mul_f64 v[208:209], v[2:3], v[143:144]
	v_mul_f64 v[143:144], v[4:5], v[143:144]
	v_add_f64 v[194:195], v[194:195], v[205:206]
	v_add_f64 v[6:7], v[6:7], v[135:136]
	s_clause 0x2
	buffer_load_dword v203, off, s[0:3], 0 offset:860
	buffer_load_dword v136, off, s[0:3], 0 offset:836
	;; [unrolled: 1-line block ×3, first 2 shown]
	s_waitcnt vmcnt(58) lgkmcnt(0)
	v_mul_f64 v[204:205], v[127:128], v[145:146]
	v_mul_f64 v[145:146], v[129:130], v[145:146]
	s_waitcnt vmcnt(56)
	v_fma_f64 v[143:144], v[2:3], v[151:152], -v[143:144]
	ds_read_b128 v[131:134], v1 offset:1568
	v_fma_f64 v[151:152], v[4:5], v[151:152], v[208:209]
	v_add_f64 v[139:140], v[194:195], v[139:140]
	v_add_f64 v[6:7], v[6:7], v[149:150]
	s_clause 0x4
	buffer_load_dword v150, off, s[0:3], 0 offset:876
	buffer_load_dword v194, off, s[0:3], 0 offset:888
	;; [unrolled: 1-line block ×5, first 2 shown]
	ds_read_b128 v[2:5], v1 offset:1584
	s_waitcnt vmcnt(57) lgkmcnt(1)
	v_mul_f64 v[210:211], v[131:132], v[153:154]
	v_mul_f64 v[153:154], v[133:134], v[153:154]
	s_waitcnt vmcnt(56)
	v_fma_f64 v[145:146], v[127:128], v[147:148], -v[145:146]
	v_add_f64 v[139:140], v[139:140], v[143:144]
	v_fma_f64 v[143:144], v[129:130], v[147:148], v[204:205]
	v_add_f64 v[6:7], v[6:7], v[151:152]
	s_clause 0x2
	buffer_load_dword v195, off, s[0:3], 0 offset:892
	buffer_load_dword v148, off, s[0:3], 0 offset:868
	;; [unrolled: 1-line block ×3, first 2 shown]
	s_waitcnt vmcnt(58) lgkmcnt(0)
	v_mul_f64 v[151:152], v[2:3], v[155:156]
	v_mul_f64 v[155:156], v[4:5], v[155:156]
	s_waitcnt vmcnt(56)
	v_fma_f64 v[153:154], v[131:132], v[159:160], -v[153:154]
	ds_read_b128 v[127:130], v1 offset:1600
	v_add_f64 v[139:140], v[139:140], v[145:146]
	v_fma_f64 v[145:146], v[133:134], v[159:160], v[210:211]
	v_add_f64 v[6:7], v[6:7], v[143:144]
	s_clause 0x4
	buffer_load_dword v144, off, s[0:3], 0 offset:908
	buffer_load_dword v159, off, s[0:3], 0 offset:920
	;; [unrolled: 1-line block ×5, first 2 shown]
	ds_read_b128 v[131:134], v1 offset:1616
	s_waitcnt vmcnt(57) lgkmcnt(1)
	v_mul_f64 v[205:206], v[127:128], v[161:162]
	v_mul_f64 v[161:162], v[129:130], v[161:162]
	s_waitcnt vmcnt(56)
	v_fma_f64 v[155:156], v[2:3], v[157:158], -v[155:156]
	v_fma_f64 v[151:152], v[4:5], v[157:158], v[151:152]
	v_add_f64 v[139:140], v[139:140], v[153:154]
	v_add_f64 v[6:7], v[6:7], v[145:146]
	s_clause 0x2
	buffer_load_dword v160, off, s[0:3], 0 offset:924
	buffer_load_dword v146, off, s[0:3], 0 offset:900
	;; [unrolled: 1-line block ×3, first 2 shown]
	s_waitcnt vmcnt(58) lgkmcnt(0)
	v_mul_f64 v[157:158], v[133:134], v[163:164]
	ds_read_b128 v[2:5], v1 offset:1632
	s_waitcnt vmcnt(56)
	v_fma_f64 v[161:162], v[127:128], v[167:168], -v[161:162]
	v_mul_f64 v[153:154], v[131:132], v[163:164]
	v_add_f64 v[139:140], v[139:140], v[155:156]
	v_fma_f64 v[155:156], v[129:130], v[167:168], v[205:206]
	v_add_f64 v[6:7], v[6:7], v[151:152]
	s_clause 0x4
	buffer_load_dword v152, off, s[0:3], 0 offset:940
	buffer_load_dword v163, off, s[0:3], 0 offset:952
	;; [unrolled: 1-line block ×5, first 2 shown]
	s_waitcnt vmcnt(57) lgkmcnt(0)
	v_mul_f64 v[211:212], v[2:3], v[169:170]
	v_mul_f64 v[168:169], v[4:5], v[169:170]
	s_waitcnt vmcnt(56)
	v_fma_f64 v[157:158], v[131:132], v[165:166], -v[157:158]
	ds_read_b128 v[127:130], v1 offset:1648
	v_fma_f64 v[153:154], v[133:134], v[165:166], v[153:154]
	v_add_f64 v[139:140], v[139:140], v[161:162]
	v_add_f64 v[6:7], v[6:7], v[155:156]
	s_clause 0x2
	buffer_load_dword v164, off, s[0:3], 0 offset:956
	buffer_load_dword v156, off, s[0:3], 0 offset:932
	;; [unrolled: 1-line block ×3, first 2 shown]
	ds_read_b128 v[131:134], v1 offset:1664
	s_waitcnt vmcnt(58) lgkmcnt(1)
	v_mul_f64 v[165:166], v[129:130], v[171:172]
	s_waitcnt vmcnt(56)
	v_fma_f64 v[169:170], v[2:3], v[175:176], -v[168:169]
	v_mul_f64 v[161:162], v[127:128], v[171:172]
	buffer_load_dword v168, off, s[0:3], 0 offset:948
	v_add_f64 v[139:140], v[139:140], v[157:158]
	v_fma_f64 v[157:158], v[4:5], v[175:176], v[211:212]
	v_add_f64 v[6:7], v[6:7], v[153:154]
	ds_read_b128 v[2:5], v1 offset:1680
	s_waitcnt vmcnt(53) lgkmcnt(1)
	v_mul_f64 v[171:172], v[133:134], v[177:178]
	s_waitcnt vmcnt(52)
	v_fma_f64 v[165:166], v[127:128], v[173:174], -v[165:166]
	v_mul_f64 v[153:154], v[131:132], v[177:178]
	v_fma_f64 v[161:162], v[129:130], v[173:174], v[161:162]
	ds_read_b128 v[127:130], v1 offset:1696
	v_add_f64 v[139:140], v[139:140], v[169:170]
	s_waitcnt vmcnt(51) lgkmcnt(1)
	v_mul_f64 v[169:170], v[4:5], v[179:180]
	v_add_f64 v[6:7], v[6:7], v[157:158]
	v_mul_f64 v[157:158], v[2:3], v[179:180]
	s_waitcnt vmcnt(49)
	v_fma_f64 v[171:172], v[131:132], v[183:184], -v[171:172]
	v_fma_f64 v[153:154], v[133:134], v[183:184], v[153:154]
	s_waitcnt vmcnt(45) lgkmcnt(0)
	v_mul_f64 v[175:176], v[129:130], v[185:186]
	v_mul_f64 v[173:174], v[127:128], v[185:186]
	v_add_f64 v[139:140], v[139:140], v[165:166]
	s_waitcnt vmcnt(44)
	v_fma_f64 v[169:170], v[2:3], v[181:182], -v[169:170]
	v_add_f64 v[6:7], v[6:7], v[161:162]
	s_clause 0x3
	buffer_load_dword v161, off, s[0:3], 0 offset:544
	buffer_load_dword v162, off, s[0:3], 0 offset:548
	;; [unrolled: 1-line block ×4, first 2 shown]
	ds_read_b128 v[131:134], v1 offset:1712
	v_fma_f64 v[157:158], v[4:5], v[181:182], v[157:158]
	ds_read_b128 v[2:5], v1 offset:1728
	s_waitcnt vmcnt(45)
	v_fma_f64 v[175:176], v[127:128], v[192:193], -v[175:176]
	v_add_f64 v[139:140], v[139:140], v[171:172]
	v_add_f64 v[6:7], v[6:7], v[153:154]
	s_waitcnt lgkmcnt(1)
	v_mul_f64 v[171:172], v[133:134], v[188:189]
	v_mul_f64 v[153:154], v[131:132], v[188:189]
	v_add_f64 v[139:140], v[139:140], v[169:170]
	v_fma_f64 v[169:170], v[129:130], v[192:193], v[173:174]
	v_add_f64 v[6:7], v[6:7], v[157:158]
	s_waitcnt vmcnt(41) lgkmcnt(0)
	v_mul_f64 v[173:174], v[4:5], v[196:197]
	s_waitcnt vmcnt(40)
	v_fma_f64 v[171:172], v[131:132], v[190:191], -v[171:172]
	ds_read_b128 v[127:130], v1 offset:1744
	v_mul_f64 v[157:158], v[2:3], v[196:197]
	v_fma_f64 v[153:154], v[133:134], v[190:191], v[153:154]
	ds_read_b128 v[131:134], v1 offset:1760
	v_add_f64 v[139:140], v[139:140], v[175:176]
	v_add_f64 v[6:7], v[6:7], v[169:170]
	s_waitcnt vmcnt(39) lgkmcnt(1)
	v_mul_f64 v[175:176], v[129:130], v[198:199]
	v_mul_f64 v[169:170], v[127:128], v[198:199]
	s_waitcnt vmcnt(37)
	v_fma_f64 v[173:174], v[2:3], v[137:138], -v[173:174]
	v_fma_f64 v[137:138], v[4:5], v[137:138], v[157:158]
	ds_read_b128 v[2:5], v1 offset:1776
	v_add_f64 v[139:140], v[139:140], v[171:172]
	v_add_f64 v[6:7], v[6:7], v[153:154]
	s_waitcnt vmcnt(33) lgkmcnt(1)
	v_mul_f64 v[153:154], v[131:132], v[141:142]
	v_mul_f64 v[141:142], v[133:134], v[141:142]
	s_waitcnt vmcnt(32)
	v_fma_f64 v[157:158], v[127:128], v[200:201], -v[175:176]
	;; [unrolled: 9-line block ×7, first 2 shown]
	v_fma_f64 v[137:138], v[4:5], v[145:146], v[137:138]
	ds_read_b128 v[2:5], v1 offset:1872
	v_add_f64 v[139:140], v[139:140], v[141:142]
	v_add_f64 v[6:7], v[6:7], v[135:136]
	s_waitcnt vmcnt(9) lgkmcnt(1)
	v_mul_f64 v[141:142], v[133:134], v[151:152]
	s_waitcnt vmcnt(8)
	v_fma_f64 v[127:128], v[127:128], v[204:205], -v[149:150]
	v_mul_f64 v[135:136], v[131:132], v[151:152]
	v_fma_f64 v[129:130], v[129:130], v[204:205], v[147:148]
	v_add_f64 v[139:140], v[139:140], v[143:144]
	v_add_f64 v[6:7], v[6:7], v[137:138]
	s_waitcnt vmcnt(7) lgkmcnt(0)
	v_mul_f64 v[143:144], v[4:5], v[163:164]
	v_mul_f64 v[137:138], v[2:3], v[163:164]
	s_waitcnt vmcnt(5)
	v_fma_f64 v[131:132], v[131:132], v[155:156], -v[141:142]
	v_fma_f64 v[133:134], v[133:134], v[155:156], v[135:136]
	v_add_f64 v[127:128], v[139:140], v[127:128]
	v_add_f64 v[6:7], v[6:7], v[129:130]
	s_waitcnt vmcnt(4)
	v_fma_f64 v[2:3], v[2:3], v[167:168], -v[143:144]
	v_fma_f64 v[4:5], v[4:5], v[167:168], v[137:138]
	v_add_f64 v[127:128], v[127:128], v[131:132]
	v_add_f64 v[6:7], v[6:7], v[133:134]
	;; [unrolled: 1-line block ×4, first 2 shown]
	s_waitcnt vmcnt(2)
	v_add_f64 v[2:3], v[161:162], -v[2:3]
	s_waitcnt vmcnt(0)
	v_add_f64 v[4:5], v[165:166], -v[4:5]
	buffer_store_dword v3, off, s[0:3], 0 offset:548
	buffer_store_dword v2, off, s[0:3], 0 offset:544
	;; [unrolled: 1-line block ×4, first 2 shown]
	v_cmpx_lt_u32_e32 32, v0
	s_cbranch_execz .LBB122_303
; %bb.302:
	v_mov_b32_e32 v5, s39
	s_clause 0x3
	buffer_load_dword v2, v5, s[0:3], 0 offen
	buffer_load_dword v3, v5, s[0:3], 0 offen offset:4
	buffer_load_dword v4, v5, s[0:3], 0 offen offset:8
	;; [unrolled: 1-line block ×3, first 2 shown]
	buffer_store_dword v1, off, s[0:3], 0 offset:528
	buffer_store_dword v1, off, s[0:3], 0 offset:532
	;; [unrolled: 1-line block ×4, first 2 shown]
	s_waitcnt vmcnt(0)
	ds_write_b128 v187, v[2:5]
.LBB122_303:
	s_or_b32 exec_lo, exec_lo, s4
	s_waitcnt lgkmcnt(0)
	s_waitcnt_vscnt null, 0x0
	s_barrier
	buffer_gl0_inv
	s_clause 0x37
	buffer_load_dword v6, off, s[0:3], 0 offset:552
	buffer_load_dword v7, off, s[0:3], 0 offset:556
	;; [unrolled: 1-line block ×56, first 2 shown]
	ds_read_b128 v[2:5], v1 offset:1472
	s_clause 0x2
	buffer_load_dword v189, off, s[0:3], 0 offset:780
	buffer_load_dword v193, off, s[0:3], 0 offset:756
	;; [unrolled: 1-line block ×3, first 2 shown]
	ds_read_b128 v[127:130], v1 offset:1488
	s_clause 0x4
	buffer_load_dword v197, off, s[0:3], 0 offset:796
	buffer_load_dword v198, off, s[0:3], 0 offset:808
	;; [unrolled: 1-line block ×5, first 2 shown]
	ds_read_b128 v[131:134], v1 offset:1504
	s_mov_b32 s4, exec_lo
	s_waitcnt vmcnt(62) lgkmcnt(2)
	v_mul_f64 v[194:195], v[4:5], v[6:7]
	v_mul_f64 v[6:7], v[2:3], v[6:7]
	s_waitcnt vmcnt(60) lgkmcnt(1)
	v_mul_f64 v[201:202], v[129:130], v[135:136]
	v_mul_f64 v[135:136], v[127:128], v[135:136]
	;; [unrolled: 3-line block ×3, first 2 shown]
	v_fma_f64 v[194:195], v[2:3], v[137:138], -v[194:195]
	v_fma_f64 v[6:7], v[4:5], v[137:138], v[6:7]
	s_clause 0x2
	buffer_load_dword v199, off, s[0:3], 0 offset:812
	buffer_load_dword v138, off, s[0:3], 0 offset:788
	;; [unrolled: 1-line block ×3, first 2 shown]
	s_waitcnt vmcnt(57)
	v_fma_f64 v[205:206], v[127:128], v[141:142], -v[201:202]
	ds_read_b128 v[2:5], v1 offset:1520
	v_fma_f64 v[135:136], v[129:130], v[141:142], v[135:136]
	s_clause 0x4
	buffer_load_dword v142, off, s[0:3], 0 offset:828
	buffer_load_dword v202, off, s[0:3], 0 offset:840
	buffer_load_dword v207, off, s[0:3], 0 offset:832
	buffer_load_dword v141, off, s[0:3], 0 offset:824
	buffer_load_dword v201, off, s[0:3], 0 offset:804
	s_waitcnt vmcnt(56)
	v_fma_f64 v[139:140], v[131:132], v[149:150], -v[139:140]
	ds_read_b128 v[127:130], v1 offset:1536
	v_fma_f64 v[149:150], v[133:134], v[149:150], v[203:204]
	v_add_f64 v[194:195], v[194:195], 0
	v_add_f64 v[6:7], v[6:7], 0
	s_waitcnt lgkmcnt(1)
	v_mul_f64 v[208:209], v[2:3], v[143:144]
	v_mul_f64 v[143:144], v[4:5], v[143:144]
	v_add_f64 v[194:195], v[194:195], v[205:206]
	v_add_f64 v[6:7], v[6:7], v[135:136]
	s_clause 0x2
	buffer_load_dword v203, off, s[0:3], 0 offset:844
	buffer_load_dword v136, off, s[0:3], 0 offset:820
	buffer_load_dword v135, off, s[0:3], 0 offset:816
	s_waitcnt vmcnt(58) lgkmcnt(0)
	v_mul_f64 v[204:205], v[127:128], v[145:146]
	v_mul_f64 v[145:146], v[129:130], v[145:146]
	s_waitcnt vmcnt(56)
	v_fma_f64 v[143:144], v[2:3], v[151:152], -v[143:144]
	ds_read_b128 v[131:134], v1 offset:1552
	v_fma_f64 v[151:152], v[4:5], v[151:152], v[208:209]
	v_add_f64 v[139:140], v[194:195], v[139:140]
	v_add_f64 v[6:7], v[6:7], v[149:150]
	s_clause 0x4
	buffer_load_dword v150, off, s[0:3], 0 offset:860
	buffer_load_dword v194, off, s[0:3], 0 offset:872
	;; [unrolled: 1-line block ×5, first 2 shown]
	ds_read_b128 v[2:5], v1 offset:1568
	s_waitcnt vmcnt(57) lgkmcnt(1)
	v_mul_f64 v[210:211], v[131:132], v[153:154]
	v_mul_f64 v[153:154], v[133:134], v[153:154]
	s_waitcnt vmcnt(56)
	v_fma_f64 v[145:146], v[127:128], v[147:148], -v[145:146]
	v_add_f64 v[139:140], v[139:140], v[143:144]
	v_fma_f64 v[143:144], v[129:130], v[147:148], v[204:205]
	v_add_f64 v[6:7], v[6:7], v[151:152]
	s_clause 0x2
	buffer_load_dword v195, off, s[0:3], 0 offset:876
	buffer_load_dword v148, off, s[0:3], 0 offset:852
	;; [unrolled: 1-line block ×3, first 2 shown]
	s_waitcnt vmcnt(58) lgkmcnt(0)
	v_mul_f64 v[151:152], v[2:3], v[155:156]
	v_mul_f64 v[155:156], v[4:5], v[155:156]
	s_waitcnt vmcnt(56)
	v_fma_f64 v[153:154], v[131:132], v[159:160], -v[153:154]
	ds_read_b128 v[127:130], v1 offset:1584
	v_add_f64 v[139:140], v[139:140], v[145:146]
	v_fma_f64 v[145:146], v[133:134], v[159:160], v[210:211]
	v_add_f64 v[6:7], v[6:7], v[143:144]
	s_clause 0x4
	buffer_load_dword v144, off, s[0:3], 0 offset:892
	buffer_load_dword v159, off, s[0:3], 0 offset:904
	;; [unrolled: 1-line block ×5, first 2 shown]
	ds_read_b128 v[131:134], v1 offset:1600
	s_waitcnt vmcnt(57) lgkmcnt(1)
	v_mul_f64 v[205:206], v[127:128], v[161:162]
	v_mul_f64 v[161:162], v[129:130], v[161:162]
	s_waitcnt vmcnt(56)
	v_fma_f64 v[155:156], v[2:3], v[157:158], -v[155:156]
	v_fma_f64 v[151:152], v[4:5], v[157:158], v[151:152]
	v_add_f64 v[139:140], v[139:140], v[153:154]
	v_add_f64 v[6:7], v[6:7], v[145:146]
	s_clause 0x2
	buffer_load_dword v160, off, s[0:3], 0 offset:908
	buffer_load_dword v146, off, s[0:3], 0 offset:884
	;; [unrolled: 1-line block ×3, first 2 shown]
	s_waitcnt vmcnt(58) lgkmcnt(0)
	v_mul_f64 v[157:158], v[133:134], v[163:164]
	ds_read_b128 v[2:5], v1 offset:1616
	s_waitcnt vmcnt(56)
	v_fma_f64 v[161:162], v[127:128], v[167:168], -v[161:162]
	v_mul_f64 v[153:154], v[131:132], v[163:164]
	v_add_f64 v[139:140], v[139:140], v[155:156]
	v_fma_f64 v[155:156], v[129:130], v[167:168], v[205:206]
	v_add_f64 v[6:7], v[6:7], v[151:152]
	s_clause 0x4
	buffer_load_dword v152, off, s[0:3], 0 offset:924
	buffer_load_dword v163, off, s[0:3], 0 offset:936
	;; [unrolled: 1-line block ×5, first 2 shown]
	s_waitcnt vmcnt(57) lgkmcnt(0)
	v_mul_f64 v[211:212], v[2:3], v[169:170]
	v_mul_f64 v[168:169], v[4:5], v[169:170]
	s_waitcnt vmcnt(56)
	v_fma_f64 v[157:158], v[131:132], v[165:166], -v[157:158]
	ds_read_b128 v[127:130], v1 offset:1632
	v_fma_f64 v[153:154], v[133:134], v[165:166], v[153:154]
	v_add_f64 v[139:140], v[139:140], v[161:162]
	v_add_f64 v[6:7], v[6:7], v[155:156]
	s_clause 0x2
	buffer_load_dword v164, off, s[0:3], 0 offset:940
	buffer_load_dword v156, off, s[0:3], 0 offset:916
	;; [unrolled: 1-line block ×3, first 2 shown]
	ds_read_b128 v[131:134], v1 offset:1648
	s_waitcnt vmcnt(58) lgkmcnt(1)
	v_mul_f64 v[165:166], v[129:130], v[171:172]
	s_waitcnt vmcnt(56)
	v_fma_f64 v[169:170], v[2:3], v[175:176], -v[168:169]
	v_mul_f64 v[161:162], v[127:128], v[171:172]
	v_add_f64 v[139:140], v[139:140], v[157:158]
	v_fma_f64 v[157:158], v[4:5], v[175:176], v[211:212]
	v_add_f64 v[6:7], v[6:7], v[153:154]
	s_clause 0x2
	buffer_load_dword v154, off, s[0:3], 0 offset:956
	buffer_load_dword v153, off, s[0:3], 0 offset:952
	;; [unrolled: 1-line block ×3, first 2 shown]
	s_waitcnt vmcnt(55) lgkmcnt(0)
	v_mul_f64 v[175:176], v[133:134], v[177:178]
	s_waitcnt vmcnt(54)
	v_fma_f64 v[165:166], v[127:128], v[173:174], -v[165:166]
	ds_read_b128 v[2:5], v1 offset:1664
	v_mul_f64 v[171:172], v[131:132], v[177:178]
	v_fma_f64 v[161:162], v[129:130], v[173:174], v[161:162]
	v_add_f64 v[139:140], v[139:140], v[169:170]
	v_add_f64 v[6:7], v[6:7], v[157:158]
	s_clause 0x1
	buffer_load_dword v158, off, s[0:3], 0 offset:948
	buffer_load_dword v157, off, s[0:3], 0 offset:944
	s_waitcnt vmcnt(55) lgkmcnt(0)
	v_mul_f64 v[173:174], v[4:5], v[179:180]
	s_waitcnt vmcnt(53)
	v_fma_f64 v[175:176], v[131:132], v[183:184], -v[175:176]
	ds_read_b128 v[127:130], v1 offset:1680
	v_mul_f64 v[169:170], v[2:3], v[179:180]
	v_add_f64 v[139:140], v[139:140], v[165:166]
	v_fma_f64 v[165:166], v[133:134], v[183:184], v[171:172]
	v_add_f64 v[6:7], v[6:7], v[161:162]
	ds_read_b128 v[131:134], v1 offset:1696
	s_waitcnt vmcnt(49) lgkmcnt(1)
	v_mul_f64 v[171:172], v[129:130], v[185:186]
	s_waitcnt vmcnt(48)
	v_fma_f64 v[173:174], v[2:3], v[181:182], -v[173:174]
	v_mul_f64 v[161:162], v[127:128], v[185:186]
	v_fma_f64 v[169:170], v[4:5], v[181:182], v[169:170]
	v_add_f64 v[139:140], v[139:140], v[175:176]
	s_waitcnt vmcnt(47) lgkmcnt(0)
	v_mul_f64 v[179:180], v[133:134], v[188:189]
	v_add_f64 v[6:7], v[6:7], v[165:166]
	s_clause 0x3
	buffer_load_dword v165, off, s[0:3], 0 offset:528
	buffer_load_dword v166, off, s[0:3], 0 offset:532
	;; [unrolled: 1-line block ×4, first 2 shown]
	s_waitcnt vmcnt(49)
	v_fma_f64 v[171:172], v[127:128], v[192:193], -v[171:172]
	ds_read_b128 v[2:5], v1 offset:1712
	v_mul_f64 v[177:178], v[131:132], v[188:189]
	v_fma_f64 v[161:162], v[129:130], v[192:193], v[161:162]
	ds_read_b128 v[127:130], v1 offset:1728
	v_add_f64 v[139:140], v[139:140], v[173:174]
	s_waitcnt vmcnt(44)
	v_fma_f64 v[179:180], v[131:132], v[190:191], -v[179:180]
	v_add_f64 v[6:7], v[6:7], v[169:170]
	s_waitcnt lgkmcnt(1)
	v_mul_f64 v[173:174], v[4:5], v[196:197]
	v_mul_f64 v[169:170], v[2:3], v[196:197]
	v_add_f64 v[139:140], v[139:140], v[171:172]
	v_fma_f64 v[171:172], v[133:134], v[190:191], v[177:178]
	v_add_f64 v[6:7], v[6:7], v[161:162]
	ds_read_b128 v[131:134], v1 offset:1744
	s_waitcnt vmcnt(43) lgkmcnt(1)
	v_mul_f64 v[177:178], v[129:130], v[198:199]
	v_mul_f64 v[161:162], v[127:128], v[198:199]
	s_waitcnt vmcnt(41)
	v_fma_f64 v[173:174], v[2:3], v[137:138], -v[173:174]
	v_fma_f64 v[137:138], v[4:5], v[137:138], v[169:170]
	ds_read_b128 v[2:5], v1 offset:1760
	v_add_f64 v[139:140], v[139:140], v[179:180]
	s_waitcnt vmcnt(37) lgkmcnt(1)
	v_mul_f64 v[169:170], v[131:132], v[141:142]
	v_add_f64 v[6:7], v[6:7], v[171:172]
	v_mul_f64 v[141:142], v[133:134], v[141:142]
	s_waitcnt vmcnt(36)
	v_fma_f64 v[171:172], v[127:128], v[200:201], -v[177:178]
	v_fma_f64 v[161:162], v[129:130], v[200:201], v[161:162]
	ds_read_b128 v[127:130], v1 offset:1776
	v_add_f64 v[139:140], v[139:140], v[173:174]
	v_add_f64 v[6:7], v[6:7], v[137:138]
	s_waitcnt vmcnt(35) lgkmcnt(1)
	v_mul_f64 v[173:174], v[4:5], v[202:203]
	v_mul_f64 v[137:138], v[2:3], v[202:203]
	s_waitcnt vmcnt(33)
	v_fma_f64 v[141:142], v[131:132], v[135:136], -v[141:142]
	v_fma_f64 v[135:136], v[133:134], v[135:136], v[169:170]
	ds_read_b128 v[131:134], v1 offset:1792
	v_add_f64 v[139:140], v[139:140], v[171:172]
	v_add_f64 v[6:7], v[6:7], v[161:162]
	s_waitcnt vmcnt(29) lgkmcnt(1)
	v_mul_f64 v[161:162], v[127:128], v[149:150]
	;; [unrolled: 9-line block ×6, first 2 shown]
	s_waitcnt vmcnt(12)
	v_fma_f64 v[145:146], v[127:128], v[204:205], -v[149:150]
	v_mul_f64 v[135:136], v[131:132], v[151:152]
	v_add_f64 v[139:140], v[139:140], v[143:144]
	v_fma_f64 v[143:144], v[129:130], v[204:205], v[147:148]
	v_add_f64 v[6:7], v[6:7], v[137:138]
	ds_read_b128 v[127:130], v1 offset:1872
	s_waitcnt vmcnt(11) lgkmcnt(1)
	v_mul_f64 v[147:148], v[4:5], v[163:164]
	v_mul_f64 v[137:138], v[2:3], v[163:164]
	s_waitcnt vmcnt(9)
	v_fma_f64 v[131:132], v[131:132], v[155:156], -v[141:142]
	v_fma_f64 v[133:134], v[133:134], v[155:156], v[135:136]
	v_add_f64 v[139:140], v[139:140], v[145:146]
	v_add_f64 v[6:7], v[6:7], v[143:144]
	s_waitcnt vmcnt(7) lgkmcnt(0)
	v_mul_f64 v[141:142], v[129:130], v[153:154]
	s_waitcnt vmcnt(6)
	v_fma_f64 v[1:2], v[2:3], v[167:168], -v[147:148]
	v_mul_f64 v[135:136], v[127:128], v[153:154]
	v_fma_f64 v[3:4], v[4:5], v[167:168], v[137:138]
	v_add_f64 v[131:132], v[139:140], v[131:132]
	v_add_f64 v[5:6], v[6:7], v[133:134]
	s_waitcnt vmcnt(4)
	v_fma_f64 v[7:8], v[127:128], v[157:158], -v[141:142]
	v_fma_f64 v[127:128], v[129:130], v[157:158], v[135:136]
	v_add_f64 v[1:2], v[131:132], v[1:2]
	v_add_f64 v[3:4], v[5:6], v[3:4]
	v_add_f64 v[1:2], v[1:2], v[7:8]
	v_add_f64 v[3:4], v[3:4], v[127:128]
	s_waitcnt vmcnt(2)
	v_add_f64 v[1:2], v[165:166], -v[1:2]
	s_waitcnt vmcnt(0)
	v_add_f64 v[3:4], v[175:176], -v[3:4]
	buffer_store_dword v2, off, s[0:3], 0 offset:532
	buffer_store_dword v1, off, s[0:3], 0 offset:528
	;; [unrolled: 1-line block ×4, first 2 shown]
	v_cmpx_lt_u32_e32 31, v0
	s_cbranch_execz .LBB122_305
; %bb.304:
	v_mov_b32_e32 v4, s40
	v_mov_b32_e32 v5, 0
	s_clause 0x3
	buffer_load_dword v1, v4, s[0:3], 0 offen
	buffer_load_dword v2, v4, s[0:3], 0 offen offset:4
	buffer_load_dword v3, v4, s[0:3], 0 offen offset:8
	;; [unrolled: 1-line block ×3, first 2 shown]
	buffer_store_dword v5, off, s[0:3], 0 offset:512
	buffer_store_dword v5, off, s[0:3], 0 offset:516
	;; [unrolled: 1-line block ×4, first 2 shown]
	s_waitcnt vmcnt(0)
	ds_write_b128 v187, v[1:4]
.LBB122_305:
	s_or_b32 exec_lo, exec_lo, s4
	s_waitcnt lgkmcnt(0)
	s_waitcnt_vscnt null, 0x0
	s_barrier
	buffer_gl0_inv
	s_clause 0x37
	buffer_load_dword v6, off, s[0:3], 0 offset:536
	buffer_load_dword v7, off, s[0:3], 0 offset:540
	;; [unrolled: 1-line block ×56, first 2 shown]
	v_mov_b32_e32 v1, 0
	s_mov_b32 s4, exec_lo
	ds_read_b128 v[2:5], v1 offset:1456
	s_clause 0x2
	buffer_load_dword v189, off, s[0:3], 0 offset:764
	buffer_load_dword v193, off, s[0:3], 0 offset:740
	;; [unrolled: 1-line block ×3, first 2 shown]
	ds_read_b128 v[127:130], v1 offset:1472
	s_clause 0x4
	buffer_load_dword v197, off, s[0:3], 0 offset:780
	buffer_load_dword v198, off, s[0:3], 0 offset:792
	;; [unrolled: 1-line block ×5, first 2 shown]
	ds_read_b128 v[131:134], v1 offset:1488
	s_waitcnt vmcnt(62) lgkmcnt(2)
	v_mul_f64 v[194:195], v[4:5], v[6:7]
	v_mul_f64 v[6:7], v[2:3], v[6:7]
	s_waitcnt vmcnt(60) lgkmcnt(1)
	v_mul_f64 v[201:202], v[129:130], v[135:136]
	v_mul_f64 v[135:136], v[127:128], v[135:136]
	;; [unrolled: 3-line block ×3, first 2 shown]
	v_fma_f64 v[194:195], v[2:3], v[137:138], -v[194:195]
	v_fma_f64 v[6:7], v[4:5], v[137:138], v[6:7]
	s_clause 0x2
	buffer_load_dword v199, off, s[0:3], 0 offset:796
	buffer_load_dword v138, off, s[0:3], 0 offset:772
	;; [unrolled: 1-line block ×3, first 2 shown]
	s_waitcnt vmcnt(57)
	v_fma_f64 v[205:206], v[127:128], v[141:142], -v[201:202]
	ds_read_b128 v[2:5], v1 offset:1504
	v_fma_f64 v[135:136], v[129:130], v[141:142], v[135:136]
	s_clause 0x4
	buffer_load_dword v142, off, s[0:3], 0 offset:812
	buffer_load_dword v202, off, s[0:3], 0 offset:824
	;; [unrolled: 1-line block ×5, first 2 shown]
	s_waitcnt vmcnt(56)
	v_fma_f64 v[139:140], v[131:132], v[149:150], -v[139:140]
	ds_read_b128 v[127:130], v1 offset:1520
	v_fma_f64 v[149:150], v[133:134], v[149:150], v[203:204]
	v_add_f64 v[194:195], v[194:195], 0
	v_add_f64 v[6:7], v[6:7], 0
	s_waitcnt lgkmcnt(1)
	v_mul_f64 v[208:209], v[2:3], v[143:144]
	v_mul_f64 v[143:144], v[4:5], v[143:144]
	v_add_f64 v[194:195], v[194:195], v[205:206]
	v_add_f64 v[6:7], v[6:7], v[135:136]
	s_clause 0x2
	buffer_load_dword v203, off, s[0:3], 0 offset:828
	buffer_load_dword v136, off, s[0:3], 0 offset:804
	;; [unrolled: 1-line block ×3, first 2 shown]
	s_waitcnt vmcnt(58) lgkmcnt(0)
	v_mul_f64 v[204:205], v[127:128], v[145:146]
	v_mul_f64 v[145:146], v[129:130], v[145:146]
	s_waitcnt vmcnt(56)
	v_fma_f64 v[143:144], v[2:3], v[151:152], -v[143:144]
	ds_read_b128 v[131:134], v1 offset:1536
	v_fma_f64 v[151:152], v[4:5], v[151:152], v[208:209]
	v_add_f64 v[139:140], v[194:195], v[139:140]
	v_add_f64 v[6:7], v[6:7], v[149:150]
	s_clause 0x4
	buffer_load_dword v150, off, s[0:3], 0 offset:844
	buffer_load_dword v194, off, s[0:3], 0 offset:856
	;; [unrolled: 1-line block ×5, first 2 shown]
	ds_read_b128 v[2:5], v1 offset:1552
	s_waitcnt vmcnt(57) lgkmcnt(1)
	v_mul_f64 v[210:211], v[131:132], v[153:154]
	v_mul_f64 v[153:154], v[133:134], v[153:154]
	s_waitcnt vmcnt(56)
	v_fma_f64 v[145:146], v[127:128], v[147:148], -v[145:146]
	v_add_f64 v[139:140], v[139:140], v[143:144]
	v_fma_f64 v[143:144], v[129:130], v[147:148], v[204:205]
	v_add_f64 v[6:7], v[6:7], v[151:152]
	s_clause 0x2
	buffer_load_dword v195, off, s[0:3], 0 offset:860
	buffer_load_dword v148, off, s[0:3], 0 offset:836
	;; [unrolled: 1-line block ×3, first 2 shown]
	s_waitcnt vmcnt(58) lgkmcnt(0)
	v_mul_f64 v[151:152], v[2:3], v[155:156]
	v_mul_f64 v[155:156], v[4:5], v[155:156]
	s_waitcnt vmcnt(56)
	v_fma_f64 v[153:154], v[131:132], v[159:160], -v[153:154]
	ds_read_b128 v[127:130], v1 offset:1568
	v_add_f64 v[139:140], v[139:140], v[145:146]
	v_fma_f64 v[145:146], v[133:134], v[159:160], v[210:211]
	v_add_f64 v[6:7], v[6:7], v[143:144]
	s_clause 0x4
	buffer_load_dword v144, off, s[0:3], 0 offset:876
	buffer_load_dword v159, off, s[0:3], 0 offset:888
	;; [unrolled: 1-line block ×5, first 2 shown]
	ds_read_b128 v[131:134], v1 offset:1584
	s_waitcnt vmcnt(57) lgkmcnt(1)
	v_mul_f64 v[205:206], v[127:128], v[161:162]
	v_mul_f64 v[161:162], v[129:130], v[161:162]
	s_waitcnt vmcnt(56)
	v_fma_f64 v[155:156], v[2:3], v[157:158], -v[155:156]
	v_fma_f64 v[151:152], v[4:5], v[157:158], v[151:152]
	v_add_f64 v[139:140], v[139:140], v[153:154]
	v_add_f64 v[6:7], v[6:7], v[145:146]
	s_clause 0x2
	buffer_load_dword v160, off, s[0:3], 0 offset:892
	buffer_load_dword v146, off, s[0:3], 0 offset:868
	;; [unrolled: 1-line block ×3, first 2 shown]
	s_waitcnt vmcnt(58) lgkmcnt(0)
	v_mul_f64 v[157:158], v[133:134], v[163:164]
	ds_read_b128 v[2:5], v1 offset:1600
	s_waitcnt vmcnt(56)
	v_fma_f64 v[161:162], v[127:128], v[167:168], -v[161:162]
	v_mul_f64 v[153:154], v[131:132], v[163:164]
	v_add_f64 v[139:140], v[139:140], v[155:156]
	v_fma_f64 v[155:156], v[129:130], v[167:168], v[205:206]
	v_add_f64 v[6:7], v[6:7], v[151:152]
	s_clause 0x4
	buffer_load_dword v152, off, s[0:3], 0 offset:908
	buffer_load_dword v163, off, s[0:3], 0 offset:920
	;; [unrolled: 1-line block ×5, first 2 shown]
	s_waitcnt vmcnt(57) lgkmcnt(0)
	v_mul_f64 v[211:212], v[2:3], v[169:170]
	v_mul_f64 v[168:169], v[4:5], v[169:170]
	s_waitcnt vmcnt(56)
	v_fma_f64 v[157:158], v[131:132], v[165:166], -v[157:158]
	ds_read_b128 v[127:130], v1 offset:1616
	v_fma_f64 v[153:154], v[133:134], v[165:166], v[153:154]
	v_add_f64 v[139:140], v[139:140], v[161:162]
	v_add_f64 v[6:7], v[6:7], v[155:156]
	s_clause 0x2
	buffer_load_dword v164, off, s[0:3], 0 offset:924
	buffer_load_dword v156, off, s[0:3], 0 offset:900
	;; [unrolled: 1-line block ×3, first 2 shown]
	ds_read_b128 v[131:134], v1 offset:1632
	s_waitcnt vmcnt(58) lgkmcnt(1)
	v_mul_f64 v[165:166], v[129:130], v[171:172]
	s_waitcnt vmcnt(56)
	v_fma_f64 v[169:170], v[2:3], v[175:176], -v[168:169]
	v_mul_f64 v[161:162], v[127:128], v[171:172]
	v_add_f64 v[139:140], v[139:140], v[157:158]
	v_fma_f64 v[157:158], v[4:5], v[175:176], v[211:212]
	v_add_f64 v[6:7], v[6:7], v[153:154]
	s_clause 0x4
	buffer_load_dword v154, off, s[0:3], 0 offset:940
	buffer_load_dword v171, off, s[0:3], 0 offset:952
	;; [unrolled: 1-line block ×5, first 2 shown]
	s_waitcnt vmcnt(57) lgkmcnt(0)
	v_mul_f64 v[211:212], v[131:132], v[177:178]
	v_mul_f64 v[176:177], v[133:134], v[177:178]
	s_waitcnt vmcnt(56)
	v_fma_f64 v[165:166], v[127:128], v[173:174], -v[165:166]
	ds_read_b128 v[2:5], v1 offset:1648
	v_fma_f64 v[161:162], v[129:130], v[173:174], v[161:162]
	v_add_f64 v[139:140], v[139:140], v[169:170]
	v_add_f64 v[6:7], v[6:7], v[157:158]
	s_clause 0x2
	buffer_load_dword v172, off, s[0:3], 0 offset:956
	buffer_load_dword v158, off, s[0:3], 0 offset:932
	buffer_load_dword v157, off, s[0:3], 0 offset:928
	ds_read_b128 v[127:130], v1 offset:1664
	s_waitcnt vmcnt(58) lgkmcnt(1)
	v_mul_f64 v[173:174], v[4:5], v[179:180]
	s_waitcnt vmcnt(56)
	v_fma_f64 v[177:178], v[131:132], v[183:184], -v[176:177]
	v_mul_f64 v[169:170], v[2:3], v[179:180]
	buffer_load_dword v176, off, s[0:3], 0 offset:948
	v_add_f64 v[139:140], v[139:140], v[165:166]
	v_fma_f64 v[165:166], v[133:134], v[183:184], v[211:212]
	v_add_f64 v[6:7], v[6:7], v[161:162]
	ds_read_b128 v[131:134], v1 offset:1680
	s_waitcnt vmcnt(53) lgkmcnt(1)
	v_mul_f64 v[179:180], v[129:130], v[185:186]
	s_waitcnt vmcnt(52)
	v_fma_f64 v[173:174], v[2:3], v[181:182], -v[173:174]
	v_mul_f64 v[161:162], v[127:128], v[185:186]
	v_fma_f64 v[169:170], v[4:5], v[181:182], v[169:170]
	ds_read_b128 v[2:5], v1 offset:1696
	v_add_f64 v[139:140], v[139:140], v[177:178]
	s_waitcnt vmcnt(51) lgkmcnt(1)
	v_mul_f64 v[177:178], v[133:134], v[188:189]
	v_add_f64 v[6:7], v[6:7], v[165:166]
	v_mul_f64 v[165:166], v[131:132], v[188:189]
	s_waitcnt vmcnt(49)
	v_fma_f64 v[179:180], v[127:128], v[192:193], -v[179:180]
	v_fma_f64 v[161:162], v[129:130], v[192:193], v[161:162]
	s_waitcnt vmcnt(45) lgkmcnt(0)
	v_mul_f64 v[183:184], v[4:5], v[196:197]
	v_mul_f64 v[181:182], v[2:3], v[196:197]
	v_add_f64 v[139:140], v[139:140], v[173:174]
	s_waitcnt vmcnt(44)
	v_fma_f64 v[177:178], v[131:132], v[190:191], -v[177:178]
	v_add_f64 v[6:7], v[6:7], v[169:170]
	s_clause 0x3
	buffer_load_dword v169, off, s[0:3], 0 offset:512
	buffer_load_dword v170, off, s[0:3], 0 offset:516
	buffer_load_dword v173, off, s[0:3], 0 offset:520
	buffer_load_dword v174, off, s[0:3], 0 offset:524
	ds_read_b128 v[127:130], v1 offset:1712
	v_fma_f64 v[165:166], v[133:134], v[190:191], v[165:166]
	ds_read_b128 v[131:134], v1 offset:1728
	v_add_f64 v[139:140], v[139:140], v[179:180]
	v_add_f64 v[6:7], v[6:7], v[161:162]
	s_waitcnt vmcnt(47) lgkmcnt(1)
	v_mul_f64 v[179:180], v[129:130], v[198:199]
	v_mul_f64 v[161:162], v[127:128], v[198:199]
	s_waitcnt vmcnt(45)
	v_fma_f64 v[183:184], v[2:3], v[137:138], -v[183:184]
	v_fma_f64 v[137:138], v[4:5], v[137:138], v[181:182]
	ds_read_b128 v[2:5], v1 offset:1744
	v_add_f64 v[139:140], v[139:140], v[177:178]
	v_add_f64 v[6:7], v[6:7], v[165:166]
	s_waitcnt vmcnt(41) lgkmcnt(1)
	v_mul_f64 v[165:166], v[131:132], v[141:142]
	v_mul_f64 v[141:142], v[133:134], v[141:142]
	s_waitcnt vmcnt(40)
	v_fma_f64 v[177:178], v[127:128], v[200:201], -v[179:180]
	;; [unrolled: 9-line block ×7, first 2 shown]
	v_fma_f64 v[137:138], v[4:5], v[145:146], v[137:138]
	ds_read_b128 v[2:5], v1 offset:1840
	v_add_f64 v[139:140], v[139:140], v[141:142]
	v_add_f64 v[6:7], v[6:7], v[135:136]
	s_waitcnt vmcnt(17) lgkmcnt(1)
	v_mul_f64 v[141:142], v[133:134], v[151:152]
	s_waitcnt vmcnt(16)
	v_fma_f64 v[145:146], v[127:128], v[204:205], -v[149:150]
	v_mul_f64 v[135:136], v[131:132], v[151:152]
	v_add_f64 v[139:140], v[139:140], v[143:144]
	v_fma_f64 v[143:144], v[129:130], v[204:205], v[147:148]
	v_add_f64 v[6:7], v[6:7], v[137:138]
	ds_read_b128 v[127:130], v1 offset:1856
	s_waitcnt vmcnt(15) lgkmcnt(1)
	v_mul_f64 v[147:148], v[4:5], v[163:164]
	v_mul_f64 v[137:138], v[2:3], v[163:164]
	s_waitcnt vmcnt(13)
	v_fma_f64 v[141:142], v[131:132], v[155:156], -v[141:142]
	v_fma_f64 v[135:136], v[133:134], v[155:156], v[135:136]
	ds_read_b128 v[131:134], v1 offset:1872
	v_add_f64 v[139:140], v[139:140], v[145:146]
	v_add_f64 v[6:7], v[6:7], v[143:144]
	s_waitcnt vmcnt(9) lgkmcnt(1)
	v_mul_f64 v[145:146], v[129:130], v[153:154]
	s_waitcnt vmcnt(8)
	v_fma_f64 v[2:3], v[2:3], v[167:168], -v[147:148]
	v_mul_f64 v[143:144], v[127:128], v[153:154]
	v_fma_f64 v[4:5], v[4:5], v[167:168], v[137:138]
	v_add_f64 v[139:140], v[139:140], v[141:142]
	v_add_f64 v[6:7], v[6:7], v[135:136]
	s_waitcnt vmcnt(7) lgkmcnt(0)
	v_mul_f64 v[137:138], v[133:134], v[171:172]
	v_mul_f64 v[135:136], v[131:132], v[171:172]
	s_waitcnt vmcnt(5)
	v_fma_f64 v[127:128], v[127:128], v[157:158], -v[145:146]
	v_fma_f64 v[129:130], v[129:130], v[157:158], v[143:144]
	v_add_f64 v[2:3], v[139:140], v[2:3]
	v_add_f64 v[4:5], v[6:7], v[4:5]
	s_waitcnt vmcnt(4)
	v_fma_f64 v[6:7], v[131:132], v[175:176], -v[137:138]
	v_add_f64 v[2:3], v[2:3], v[127:128]
	v_fma_f64 v[127:128], v[133:134], v[175:176], v[135:136]
	v_add_f64 v[4:5], v[4:5], v[129:130]
	v_add_f64 v[2:3], v[2:3], v[6:7]
	;; [unrolled: 1-line block ×3, first 2 shown]
	s_waitcnt vmcnt(2)
	v_add_f64 v[2:3], v[169:170], -v[2:3]
	s_waitcnt vmcnt(0)
	v_add_f64 v[4:5], v[173:174], -v[4:5]
	buffer_store_dword v3, off, s[0:3], 0 offset:516
	buffer_store_dword v2, off, s[0:3], 0 offset:512
	;; [unrolled: 1-line block ×4, first 2 shown]
	v_cmpx_lt_u32_e32 30, v0
	s_cbranch_execz .LBB122_307
; %bb.306:
	v_mov_b32_e32 v5, s41
	s_clause 0x3
	buffer_load_dword v2, v5, s[0:3], 0 offen
	buffer_load_dword v3, v5, s[0:3], 0 offen offset:4
	buffer_load_dword v4, v5, s[0:3], 0 offen offset:8
	buffer_load_dword v5, v5, s[0:3], 0 offen offset:12
	buffer_store_dword v1, off, s[0:3], 0 offset:496
	buffer_store_dword v1, off, s[0:3], 0 offset:500
	;; [unrolled: 1-line block ×4, first 2 shown]
	s_waitcnt vmcnt(0)
	ds_write_b128 v187, v[2:5]
.LBB122_307:
	s_or_b32 exec_lo, exec_lo, s4
	s_waitcnt lgkmcnt(0)
	s_waitcnt_vscnt null, 0x0
	s_barrier
	buffer_gl0_inv
	s_clause 0x37
	buffer_load_dword v6, off, s[0:3], 0 offset:520
	buffer_load_dword v7, off, s[0:3], 0 offset:524
	;; [unrolled: 1-line block ×56, first 2 shown]
	ds_read_b128 v[2:5], v1 offset:1440
	s_clause 0x2
	buffer_load_dword v189, off, s[0:3], 0 offset:748
	buffer_load_dword v193, off, s[0:3], 0 offset:724
	;; [unrolled: 1-line block ×3, first 2 shown]
	ds_read_b128 v[127:130], v1 offset:1456
	s_clause 0x4
	buffer_load_dword v197, off, s[0:3], 0 offset:764
	buffer_load_dword v198, off, s[0:3], 0 offset:776
	;; [unrolled: 1-line block ×5, first 2 shown]
	ds_read_b128 v[131:134], v1 offset:1472
	s_mov_b32 s4, exec_lo
	s_waitcnt vmcnt(62) lgkmcnt(2)
	v_mul_f64 v[194:195], v[4:5], v[6:7]
	v_mul_f64 v[6:7], v[2:3], v[6:7]
	s_waitcnt vmcnt(60) lgkmcnt(1)
	v_mul_f64 v[201:202], v[129:130], v[135:136]
	v_mul_f64 v[135:136], v[127:128], v[135:136]
	;; [unrolled: 3-line block ×3, first 2 shown]
	v_fma_f64 v[194:195], v[2:3], v[137:138], -v[194:195]
	v_fma_f64 v[6:7], v[4:5], v[137:138], v[6:7]
	s_clause 0x2
	buffer_load_dword v199, off, s[0:3], 0 offset:780
	buffer_load_dword v138, off, s[0:3], 0 offset:756
	buffer_load_dword v137, off, s[0:3], 0 offset:752
	s_waitcnt vmcnt(57)
	v_fma_f64 v[205:206], v[127:128], v[141:142], -v[201:202]
	ds_read_b128 v[2:5], v1 offset:1488
	v_fma_f64 v[135:136], v[129:130], v[141:142], v[135:136]
	s_clause 0x4
	buffer_load_dword v142, off, s[0:3], 0 offset:796
	buffer_load_dword v202, off, s[0:3], 0 offset:808
	;; [unrolled: 1-line block ×5, first 2 shown]
	s_waitcnt vmcnt(56)
	v_fma_f64 v[139:140], v[131:132], v[149:150], -v[139:140]
	ds_read_b128 v[127:130], v1 offset:1504
	v_fma_f64 v[149:150], v[133:134], v[149:150], v[203:204]
	v_add_f64 v[194:195], v[194:195], 0
	v_add_f64 v[6:7], v[6:7], 0
	s_waitcnt lgkmcnt(1)
	v_mul_f64 v[208:209], v[2:3], v[143:144]
	v_mul_f64 v[143:144], v[4:5], v[143:144]
	v_add_f64 v[194:195], v[194:195], v[205:206]
	v_add_f64 v[6:7], v[6:7], v[135:136]
	s_clause 0x2
	buffer_load_dword v203, off, s[0:3], 0 offset:812
	buffer_load_dword v136, off, s[0:3], 0 offset:788
	;; [unrolled: 1-line block ×3, first 2 shown]
	s_waitcnt vmcnt(58) lgkmcnt(0)
	v_mul_f64 v[204:205], v[127:128], v[145:146]
	v_mul_f64 v[145:146], v[129:130], v[145:146]
	s_waitcnt vmcnt(56)
	v_fma_f64 v[143:144], v[2:3], v[151:152], -v[143:144]
	ds_read_b128 v[131:134], v1 offset:1520
	v_fma_f64 v[151:152], v[4:5], v[151:152], v[208:209]
	v_add_f64 v[139:140], v[194:195], v[139:140]
	v_add_f64 v[6:7], v[6:7], v[149:150]
	s_clause 0x4
	buffer_load_dword v150, off, s[0:3], 0 offset:828
	buffer_load_dword v194, off, s[0:3], 0 offset:840
	;; [unrolled: 1-line block ×5, first 2 shown]
	ds_read_b128 v[2:5], v1 offset:1536
	s_waitcnt vmcnt(57) lgkmcnt(1)
	v_mul_f64 v[210:211], v[131:132], v[153:154]
	v_mul_f64 v[153:154], v[133:134], v[153:154]
	s_waitcnt vmcnt(56)
	v_fma_f64 v[145:146], v[127:128], v[147:148], -v[145:146]
	v_add_f64 v[139:140], v[139:140], v[143:144]
	v_fma_f64 v[143:144], v[129:130], v[147:148], v[204:205]
	v_add_f64 v[6:7], v[6:7], v[151:152]
	s_clause 0x2
	buffer_load_dword v195, off, s[0:3], 0 offset:844
	buffer_load_dword v148, off, s[0:3], 0 offset:820
	;; [unrolled: 1-line block ×3, first 2 shown]
	s_waitcnt vmcnt(58) lgkmcnt(0)
	v_mul_f64 v[151:152], v[2:3], v[155:156]
	v_mul_f64 v[155:156], v[4:5], v[155:156]
	s_waitcnt vmcnt(56)
	v_fma_f64 v[153:154], v[131:132], v[159:160], -v[153:154]
	ds_read_b128 v[127:130], v1 offset:1552
	v_add_f64 v[139:140], v[139:140], v[145:146]
	v_fma_f64 v[145:146], v[133:134], v[159:160], v[210:211]
	v_add_f64 v[6:7], v[6:7], v[143:144]
	s_clause 0x4
	buffer_load_dword v144, off, s[0:3], 0 offset:860
	buffer_load_dword v159, off, s[0:3], 0 offset:872
	;; [unrolled: 1-line block ×5, first 2 shown]
	ds_read_b128 v[131:134], v1 offset:1568
	s_waitcnt vmcnt(57) lgkmcnt(1)
	v_mul_f64 v[205:206], v[127:128], v[161:162]
	v_mul_f64 v[161:162], v[129:130], v[161:162]
	s_waitcnt vmcnt(56)
	v_fma_f64 v[155:156], v[2:3], v[157:158], -v[155:156]
	v_fma_f64 v[151:152], v[4:5], v[157:158], v[151:152]
	v_add_f64 v[139:140], v[139:140], v[153:154]
	v_add_f64 v[6:7], v[6:7], v[145:146]
	s_clause 0x2
	buffer_load_dword v160, off, s[0:3], 0 offset:876
	buffer_load_dword v146, off, s[0:3], 0 offset:852
	;; [unrolled: 1-line block ×3, first 2 shown]
	s_waitcnt vmcnt(58) lgkmcnt(0)
	v_mul_f64 v[157:158], v[133:134], v[163:164]
	ds_read_b128 v[2:5], v1 offset:1584
	s_waitcnt vmcnt(56)
	v_fma_f64 v[161:162], v[127:128], v[167:168], -v[161:162]
	v_mul_f64 v[153:154], v[131:132], v[163:164]
	v_add_f64 v[139:140], v[139:140], v[155:156]
	v_fma_f64 v[155:156], v[129:130], v[167:168], v[205:206]
	v_add_f64 v[6:7], v[6:7], v[151:152]
	s_clause 0x4
	buffer_load_dword v152, off, s[0:3], 0 offset:892
	buffer_load_dword v163, off, s[0:3], 0 offset:904
	buffer_load_dword v167, off, s[0:3], 0 offset:896
	buffer_load_dword v151, off, s[0:3], 0 offset:888
	buffer_load_dword v205, off, s[0:3], 0 offset:868
	s_waitcnt vmcnt(57) lgkmcnt(0)
	v_mul_f64 v[211:212], v[2:3], v[169:170]
	v_mul_f64 v[168:169], v[4:5], v[169:170]
	s_waitcnt vmcnt(56)
	v_fma_f64 v[157:158], v[131:132], v[165:166], -v[157:158]
	ds_read_b128 v[127:130], v1 offset:1600
	v_fma_f64 v[153:154], v[133:134], v[165:166], v[153:154]
	v_add_f64 v[139:140], v[139:140], v[161:162]
	v_add_f64 v[6:7], v[6:7], v[155:156]
	s_clause 0x2
	buffer_load_dword v164, off, s[0:3], 0 offset:908
	buffer_load_dword v156, off, s[0:3], 0 offset:884
	;; [unrolled: 1-line block ×3, first 2 shown]
	ds_read_b128 v[131:134], v1 offset:1616
	s_waitcnt vmcnt(58) lgkmcnt(1)
	v_mul_f64 v[165:166], v[129:130], v[171:172]
	s_waitcnt vmcnt(56)
	v_fma_f64 v[169:170], v[2:3], v[175:176], -v[168:169]
	v_mul_f64 v[161:162], v[127:128], v[171:172]
	v_add_f64 v[139:140], v[139:140], v[157:158]
	v_fma_f64 v[157:158], v[4:5], v[175:176], v[211:212]
	v_add_f64 v[6:7], v[6:7], v[153:154]
	s_clause 0x4
	buffer_load_dword v154, off, s[0:3], 0 offset:924
	buffer_load_dword v171, off, s[0:3], 0 offset:936
	;; [unrolled: 1-line block ×5, first 2 shown]
	s_waitcnt vmcnt(57) lgkmcnt(0)
	v_mul_f64 v[211:212], v[131:132], v[177:178]
	v_mul_f64 v[176:177], v[133:134], v[177:178]
	s_waitcnt vmcnt(56)
	v_fma_f64 v[165:166], v[127:128], v[173:174], -v[165:166]
	ds_read_b128 v[2:5], v1 offset:1632
	v_fma_f64 v[161:162], v[129:130], v[173:174], v[161:162]
	v_add_f64 v[139:140], v[139:140], v[169:170]
	v_add_f64 v[6:7], v[6:7], v[157:158]
	s_clause 0x2
	buffer_load_dword v172, off, s[0:3], 0 offset:940
	buffer_load_dword v158, off, s[0:3], 0 offset:916
	;; [unrolled: 1-line block ×3, first 2 shown]
	ds_read_b128 v[127:130], v1 offset:1648
	s_waitcnt vmcnt(58) lgkmcnt(1)
	v_mul_f64 v[173:174], v[4:5], v[179:180]
	s_waitcnt vmcnt(56)
	v_fma_f64 v[177:178], v[131:132], v[183:184], -v[176:177]
	v_mul_f64 v[169:170], v[2:3], v[179:180]
	v_add_f64 v[139:140], v[139:140], v[165:166]
	v_fma_f64 v[165:166], v[133:134], v[183:184], v[211:212]
	v_add_f64 v[6:7], v[6:7], v[161:162]
	s_clause 0x2
	buffer_load_dword v162, off, s[0:3], 0 offset:956
	buffer_load_dword v161, off, s[0:3], 0 offset:952
	;; [unrolled: 1-line block ×3, first 2 shown]
	s_waitcnt vmcnt(55) lgkmcnt(0)
	v_mul_f64 v[183:184], v[129:130], v[185:186]
	s_waitcnt vmcnt(54)
	v_fma_f64 v[173:174], v[2:3], v[181:182], -v[173:174]
	ds_read_b128 v[131:134], v1 offset:1664
	v_mul_f64 v[179:180], v[127:128], v[185:186]
	v_fma_f64 v[169:170], v[4:5], v[181:182], v[169:170]
	v_add_f64 v[139:140], v[139:140], v[177:178]
	v_add_f64 v[6:7], v[6:7], v[165:166]
	s_clause 0x1
	buffer_load_dword v166, off, s[0:3], 0 offset:948
	buffer_load_dword v165, off, s[0:3], 0 offset:944
	s_waitcnt vmcnt(55) lgkmcnt(0)
	v_mul_f64 v[181:182], v[133:134], v[188:189]
	s_waitcnt vmcnt(53)
	v_fma_f64 v[183:184], v[127:128], v[192:193], -v[183:184]
	ds_read_b128 v[2:5], v1 offset:1680
	v_mul_f64 v[177:178], v[131:132], v[188:189]
	v_add_f64 v[139:140], v[139:140], v[173:174]
	v_fma_f64 v[173:174], v[129:130], v[192:193], v[179:180]
	v_add_f64 v[6:7], v[6:7], v[169:170]
	ds_read_b128 v[127:130], v1 offset:1696
	s_waitcnt vmcnt(49) lgkmcnt(1)
	v_mul_f64 v[179:180], v[4:5], v[196:197]
	s_waitcnt vmcnt(48)
	v_fma_f64 v[181:182], v[131:132], v[190:191], -v[181:182]
	v_mul_f64 v[169:170], v[2:3], v[196:197]
	v_fma_f64 v[177:178], v[133:134], v[190:191], v[177:178]
	v_add_f64 v[139:140], v[139:140], v[183:184]
	v_add_f64 v[6:7], v[6:7], v[173:174]
	s_clause 0x3
	buffer_load_dword v173, off, s[0:3], 0 offset:496
	buffer_load_dword v174, off, s[0:3], 0 offset:500
	;; [unrolled: 1-line block ×4, first 2 shown]
	ds_read_b128 v[131:134], v1 offset:1712
	s_waitcnt vmcnt(51) lgkmcnt(1)
	v_mul_f64 v[188:189], v[129:130], v[198:199]
	v_mul_f64 v[185:186], v[127:128], v[198:199]
	s_waitcnt vmcnt(49)
	v_fma_f64 v[179:180], v[2:3], v[137:138], -v[179:180]
	v_fma_f64 v[137:138], v[4:5], v[137:138], v[169:170]
	ds_read_b128 v[2:5], v1 offset:1728
	v_add_f64 v[139:140], v[139:140], v[181:182]
	v_add_f64 v[6:7], v[6:7], v[177:178]
	s_waitcnt vmcnt(45) lgkmcnt(1)
	v_mul_f64 v[169:170], v[131:132], v[141:142]
	v_mul_f64 v[141:142], v[133:134], v[141:142]
	s_waitcnt vmcnt(44)
	v_fma_f64 v[177:178], v[127:128], v[200:201], -v[188:189]
	v_add_f64 v[139:140], v[139:140], v[179:180]
	v_fma_f64 v[179:180], v[129:130], v[200:201], v[185:186]
	v_add_f64 v[6:7], v[6:7], v[137:138]
	ds_read_b128 v[127:130], v1 offset:1744
	s_waitcnt vmcnt(43) lgkmcnt(1)
	v_mul_f64 v[181:182], v[4:5], v[202:203]
	v_mul_f64 v[137:138], v[2:3], v[202:203]
	s_waitcnt vmcnt(41)
	v_fma_f64 v[141:142], v[131:132], v[135:136], -v[141:142]
	v_fma_f64 v[135:136], v[133:134], v[135:136], v[169:170]
	ds_read_b128 v[131:134], v1 offset:1760
	v_add_f64 v[139:140], v[139:140], v[177:178]
	v_add_f64 v[6:7], v[6:7], v[179:180]
	s_waitcnt vmcnt(37) lgkmcnt(1)
	v_mul_f64 v[169:170], v[127:128], v[149:150]
	v_mul_f64 v[149:150], v[129:130], v[149:150]
	s_waitcnt vmcnt(36)
	v_fma_f64 v[177:178], v[2:3], v[207:208], -v[181:182]
	v_fma_f64 v[137:138], v[4:5], v[207:208], v[137:138]
	ds_read_b128 v[2:5], v1 offset:1776
	v_add_f64 v[139:140], v[139:140], v[141:142]
	v_add_f64 v[6:7], v[6:7], v[135:136]
	;; [unrolled: 9-line block ×5, first 2 shown]
	s_waitcnt vmcnt(21) lgkmcnt(1)
	v_mul_f64 v[141:142], v[133:134], v[151:152]
	s_waitcnt vmcnt(20)
	v_fma_f64 v[145:146], v[127:128], v[204:205], -v[149:150]
	v_mul_f64 v[135:136], v[131:132], v[151:152]
	v_add_f64 v[139:140], v[139:140], v[143:144]
	v_fma_f64 v[143:144], v[129:130], v[204:205], v[147:148]
	v_add_f64 v[6:7], v[6:7], v[137:138]
	ds_read_b128 v[127:130], v1 offset:1840
	s_waitcnt vmcnt(19) lgkmcnt(1)
	v_mul_f64 v[147:148], v[4:5], v[163:164]
	v_mul_f64 v[137:138], v[2:3], v[163:164]
	s_waitcnt vmcnt(17)
	v_fma_f64 v[141:142], v[131:132], v[155:156], -v[141:142]
	v_fma_f64 v[135:136], v[133:134], v[155:156], v[135:136]
	ds_read_b128 v[131:134], v1 offset:1856
	v_add_f64 v[139:140], v[139:140], v[145:146]
	v_add_f64 v[6:7], v[6:7], v[143:144]
	s_waitcnt vmcnt(13) lgkmcnt(1)
	v_mul_f64 v[145:146], v[129:130], v[153:154]
	s_waitcnt vmcnt(12)
	v_fma_f64 v[147:148], v[2:3], v[167:168], -v[147:148]
	v_mul_f64 v[143:144], v[127:128], v[153:154]
	v_fma_f64 v[137:138], v[4:5], v[167:168], v[137:138]
	ds_read_b128 v[1:4], v1 offset:1872
	v_add_f64 v[139:140], v[139:140], v[141:142]
	v_add_f64 v[5:6], v[6:7], v[135:136]
	s_waitcnt vmcnt(11) lgkmcnt(1)
	v_mul_f64 v[135:136], v[133:134], v[171:172]
	v_mul_f64 v[7:8], v[131:132], v[171:172]
	s_waitcnt vmcnt(9)
	v_fma_f64 v[127:128], v[127:128], v[157:158], -v[145:146]
	v_fma_f64 v[129:130], v[129:130], v[157:158], v[143:144]
	v_add_f64 v[139:140], v[139:140], v[147:148]
	v_add_f64 v[5:6], v[5:6], v[137:138]
	s_waitcnt vmcnt(7) lgkmcnt(0)
	v_mul_f64 v[141:142], v[3:4], v[161:162]
	s_waitcnt vmcnt(6)
	v_fma_f64 v[131:132], v[131:132], v[175:176], -v[135:136]
	v_mul_f64 v[137:138], v[1:2], v[161:162]
	v_fma_f64 v[7:8], v[133:134], v[175:176], v[7:8]
	v_add_f64 v[127:128], v[139:140], v[127:128]
	v_add_f64 v[5:6], v[5:6], v[129:130]
	s_waitcnt vmcnt(4)
	v_fma_f64 v[1:2], v[1:2], v[165:166], -v[141:142]
	v_fma_f64 v[3:4], v[3:4], v[165:166], v[137:138]
	v_add_f64 v[127:128], v[127:128], v[131:132]
	v_add_f64 v[5:6], v[5:6], v[7:8]
	;; [unrolled: 1-line block ×4, first 2 shown]
	s_waitcnt vmcnt(2)
	v_add_f64 v[1:2], v[173:174], -v[1:2]
	s_waitcnt vmcnt(0)
	v_add_f64 v[3:4], v[183:184], -v[3:4]
	buffer_store_dword v2, off, s[0:3], 0 offset:500
	buffer_store_dword v1, off, s[0:3], 0 offset:496
	buffer_store_dword v4, off, s[0:3], 0 offset:508
	buffer_store_dword v3, off, s[0:3], 0 offset:504
	v_cmpx_lt_u32_e32 29, v0
	s_cbranch_execz .LBB122_309
; %bb.308:
	v_mov_b32_e32 v4, s42
	v_mov_b32_e32 v5, 0
	s_clause 0x3
	buffer_load_dword v1, v4, s[0:3], 0 offen
	buffer_load_dword v2, v4, s[0:3], 0 offen offset:4
	buffer_load_dword v3, v4, s[0:3], 0 offen offset:8
	;; [unrolled: 1-line block ×3, first 2 shown]
	buffer_store_dword v5, off, s[0:3], 0 offset:480
	buffer_store_dword v5, off, s[0:3], 0 offset:484
	;; [unrolled: 1-line block ×4, first 2 shown]
	s_waitcnt vmcnt(0)
	ds_write_b128 v187, v[1:4]
.LBB122_309:
	s_or_b32 exec_lo, exec_lo, s4
	s_waitcnt lgkmcnt(0)
	s_waitcnt_vscnt null, 0x0
	s_barrier
	buffer_gl0_inv
	s_clause 0x37
	buffer_load_dword v127, off, s[0:3], 0 offset:504
	buffer_load_dword v128, off, s[0:3], 0 offset:508
	;; [unrolled: 1-line block ×56, first 2 shown]
	v_mov_b32_e32 v129, 0
	s_mov_b32 s4, exec_lo
	ds_read_b128 v[5:8], v129 offset:1424
	s_clause 0x2
	buffer_load_dword v189, off, s[0:3], 0 offset:732
	buffer_load_dword v193, off, s[0:3], 0 offset:708
	;; [unrolled: 1-line block ×3, first 2 shown]
	ds_read_b128 v[130:133], v129 offset:1440
	s_clause 0x4
	buffer_load_dword v197, off, s[0:3], 0 offset:748
	buffer_load_dword v198, off, s[0:3], 0 offset:760
	;; [unrolled: 1-line block ×5, first 2 shown]
	ds_read_b128 v[134:137], v129 offset:1456
	s_waitcnt vmcnt(62) lgkmcnt(2)
	v_mul_f64 v[194:195], v[7:8], v[127:128]
	v_mul_f64 v[127:128], v[5:6], v[127:128]
	s_waitcnt vmcnt(60) lgkmcnt(1)
	v_mul_f64 v[201:202], v[132:133], v[138:139]
	v_mul_f64 v[138:139], v[130:131], v[138:139]
	;; [unrolled: 3-line block ×3, first 2 shown]
	v_fma_f64 v[194:195], v[5:6], v[140:141], -v[194:195]
	v_fma_f64 v[127:128], v[7:8], v[140:141], v[127:128]
	s_clause 0x2
	buffer_load_dword v199, off, s[0:3], 0 offset:764
	buffer_load_dword v141, off, s[0:3], 0 offset:740
	;; [unrolled: 1-line block ×3, first 2 shown]
	s_waitcnt vmcnt(57)
	v_fma_f64 v[130:131], v[130:131], v[1:2], -v[201:202]
	ds_read_b128 v[5:8], v129 offset:1472
	v_fma_f64 v[132:133], v[132:133], v[1:2], v[138:139]
	s_clause 0x4
	buffer_load_dword v139, off, s[0:3], 0 offset:780
	buffer_load_dword v202, off, s[0:3], 0 offset:792
	buffer_load_dword v207, off, s[0:3], 0 offset:784
	buffer_load_dword v138, off, s[0:3], 0 offset:776
	buffer_load_dword v201, off, s[0:3], 0 offset:756
	s_waitcnt vmcnt(56)
	v_fma_f64 v[134:135], v[134:135], v[148:149], -v[205:206]
	ds_read_b128 v[1:4], v129 offset:1488
	v_fma_f64 v[136:137], v[136:137], v[148:149], v[203:204]
	s_clause 0x2
	buffer_load_dword v203, off, s[0:3], 0 offset:796
	buffer_load_dword v149, off, s[0:3], 0 offset:772
	;; [unrolled: 1-line block ×3, first 2 shown]
	v_add_f64 v[194:195], v[194:195], 0
	v_add_f64 v[127:128], v[127:128], 0
	s_waitcnt lgkmcnt(1)
	v_mul_f64 v[208:209], v[5:6], v[142:143]
	v_mul_f64 v[142:143], v[7:8], v[142:143]
	s_waitcnt vmcnt(58) lgkmcnt(0)
	v_mul_f64 v[204:205], v[1:2], v[144:145]
	v_mul_f64 v[144:145], v[3:4], v[144:145]
	v_add_f64 v[194:195], v[194:195], v[130:131]
	v_add_f64 v[127:128], v[127:128], v[132:133]
	ds_read_b128 v[130:133], v129 offset:1504
	s_waitcnt vmcnt(56)
	v_fma_f64 v[142:143], v[5:6], v[150:151], -v[142:143]
	v_fma_f64 v[150:151], v[7:8], v[150:151], v[208:209]
	s_waitcnt vmcnt(51)
	v_fma_f64 v[144:145], v[1:2], v[146:147], -v[144:145]
	s_waitcnt lgkmcnt(0)
	v_mul_f64 v[210:211], v[130:131], v[152:153]
	v_add_f64 v[134:135], v[194:195], v[134:135]
	v_add_f64 v[127:128], v[127:128], v[136:137]
	s_clause 0x4
	buffer_load_dword v137, off, s[0:3], 0 offset:812
	buffer_load_dword v194, off, s[0:3], 0 offset:824
	;; [unrolled: 1-line block ×5, first 2 shown]
	v_mul_f64 v[152:153], v[132:133], v[152:153]
	ds_read_b128 v[5:8], v129 offset:1520
	v_add_f64 v[134:135], v[134:135], v[142:143]
	v_fma_f64 v[142:143], v[3:4], v[146:147], v[204:205]
	v_add_f64 v[127:128], v[127:128], v[150:151]
	s_clause 0x2
	buffer_load_dword v195, off, s[0:3], 0 offset:828
	buffer_load_dword v147, off, s[0:3], 0 offset:804
	;; [unrolled: 1-line block ×3, first 2 shown]
	s_waitcnt vmcnt(58) lgkmcnt(0)
	v_mul_f64 v[150:151], v[5:6], v[154:155]
	v_mul_f64 v[154:155], v[7:8], v[154:155]
	s_waitcnt vmcnt(56)
	v_fma_f64 v[152:153], v[130:131], v[158:159], -v[152:153]
	ds_read_b128 v[1:4], v129 offset:1536
	v_add_f64 v[134:135], v[134:135], v[144:145]
	v_fma_f64 v[144:145], v[132:133], v[158:159], v[210:211]
	v_add_f64 v[127:128], v[127:128], v[142:143]
	s_clause 0x4
	buffer_load_dword v143, off, s[0:3], 0 offset:844
	buffer_load_dword v158, off, s[0:3], 0 offset:856
	;; [unrolled: 1-line block ×5, first 2 shown]
	ds_read_b128 v[130:133], v129 offset:1552
	s_waitcnt vmcnt(57) lgkmcnt(1)
	v_mul_f64 v[205:206], v[1:2], v[160:161]
	v_mul_f64 v[160:161], v[3:4], v[160:161]
	s_waitcnt vmcnt(56)
	v_fma_f64 v[154:155], v[5:6], v[156:157], -v[154:155]
	v_fma_f64 v[150:151], v[7:8], v[156:157], v[150:151]
	v_add_f64 v[134:135], v[134:135], v[152:153]
	v_add_f64 v[127:128], v[127:128], v[144:145]
	s_clause 0x2
	buffer_load_dword v159, off, s[0:3], 0 offset:860
	buffer_load_dword v145, off, s[0:3], 0 offset:836
	;; [unrolled: 1-line block ×3, first 2 shown]
	s_waitcnt vmcnt(58) lgkmcnt(0)
	v_mul_f64 v[156:157], v[132:133], v[162:163]
	ds_read_b128 v[5:8], v129 offset:1568
	s_waitcnt vmcnt(56)
	v_fma_f64 v[160:161], v[1:2], v[166:167], -v[160:161]
	v_mul_f64 v[152:153], v[130:131], v[162:163]
	v_add_f64 v[134:135], v[134:135], v[154:155]
	v_fma_f64 v[154:155], v[3:4], v[166:167], v[205:206]
	v_add_f64 v[127:128], v[127:128], v[150:151]
	s_clause 0x4
	buffer_load_dword v151, off, s[0:3], 0 offset:876
	buffer_load_dword v162, off, s[0:3], 0 offset:888
	buffer_load_dword v166, off, s[0:3], 0 offset:880
	buffer_load_dword v150, off, s[0:3], 0 offset:872
	buffer_load_dword v205, off, s[0:3], 0 offset:852
	s_waitcnt vmcnt(57) lgkmcnt(0)
	v_mul_f64 v[211:212], v[5:6], v[168:169]
	v_mul_f64 v[167:168], v[7:8], v[168:169]
	s_waitcnt vmcnt(56)
	v_fma_f64 v[156:157], v[130:131], v[164:165], -v[156:157]
	ds_read_b128 v[1:4], v129 offset:1584
	v_fma_f64 v[152:153], v[132:133], v[164:165], v[152:153]
	v_add_f64 v[134:135], v[134:135], v[160:161]
	v_add_f64 v[127:128], v[127:128], v[154:155]
	s_clause 0x2
	buffer_load_dword v163, off, s[0:3], 0 offset:892
	buffer_load_dword v155, off, s[0:3], 0 offset:868
	buffer_load_dword v154, off, s[0:3], 0 offset:864
	ds_read_b128 v[130:133], v129 offset:1600
	s_waitcnt vmcnt(58) lgkmcnt(1)
	v_mul_f64 v[164:165], v[3:4], v[170:171]
	s_waitcnt vmcnt(56)
	v_fma_f64 v[168:169], v[5:6], v[174:175], -v[167:168]
	v_mul_f64 v[160:161], v[1:2], v[170:171]
	v_add_f64 v[134:135], v[134:135], v[156:157]
	v_fma_f64 v[156:157], v[7:8], v[174:175], v[211:212]
	v_add_f64 v[127:128], v[127:128], v[152:153]
	s_clause 0x4
	buffer_load_dword v153, off, s[0:3], 0 offset:908
	buffer_load_dword v170, off, s[0:3], 0 offset:920
	buffer_load_dword v174, off, s[0:3], 0 offset:912
	buffer_load_dword v152, off, s[0:3], 0 offset:904
	buffer_load_dword v167, off, s[0:3], 0 offset:884
	s_waitcnt vmcnt(57) lgkmcnt(0)
	v_mul_f64 v[211:212], v[130:131], v[176:177]
	v_mul_f64 v[175:176], v[132:133], v[176:177]
	s_waitcnt vmcnt(56)
	v_fma_f64 v[164:165], v[1:2], v[172:173], -v[164:165]
	ds_read_b128 v[5:8], v129 offset:1616
	v_fma_f64 v[160:161], v[3:4], v[172:173], v[160:161]
	v_add_f64 v[134:135], v[134:135], v[168:169]
	v_add_f64 v[127:128], v[127:128], v[156:157]
	s_clause 0x2
	buffer_load_dword v171, off, s[0:3], 0 offset:924
	buffer_load_dword v157, off, s[0:3], 0 offset:900
	buffer_load_dword v156, off, s[0:3], 0 offset:896
	ds_read_b128 v[1:4], v129 offset:1632
	s_waitcnt vmcnt(58) lgkmcnt(1)
	v_mul_f64 v[172:173], v[7:8], v[178:179]
	;; [unrolled: 28-line block ×3, first 2 shown]
	s_waitcnt vmcnt(56)
	v_fma_f64 v[184:185], v[1:2], v[192:193], -v[183:184]
	v_mul_f64 v[176:177], v[130:131], v[188:189]
	buffer_load_dword v183, off, s[0:3], 0 offset:948
	v_add_f64 v[134:135], v[134:135], v[172:173]
	v_fma_f64 v[172:173], v[3:4], v[192:193], v[211:212]
	v_add_f64 v[127:128], v[127:128], v[168:169]
	ds_read_b128 v[1:4], v129 offset:1680
	s_waitcnt vmcnt(53) lgkmcnt(1)
	v_mul_f64 v[188:189], v[7:8], v[196:197]
	s_waitcnt vmcnt(52)
	v_fma_f64 v[180:181], v[130:131], v[190:191], -v[180:181]
	v_mul_f64 v[168:169], v[5:6], v[196:197]
	v_fma_f64 v[176:177], v[132:133], v[190:191], v[176:177]
	ds_read_b128 v[130:133], v129 offset:1696
	v_add_f64 v[134:135], v[134:135], v[184:185]
	v_add_f64 v[127:128], v[127:128], v[172:173]
	s_waitcnt vmcnt(51) lgkmcnt(1)
	v_mul_f64 v[184:185], v[3:4], v[198:199]
	v_mul_f64 v[172:173], v[1:2], v[198:199]
	s_waitcnt vmcnt(49)
	v_fma_f64 v[188:189], v[5:6], v[140:141], -v[188:189]
	v_fma_f64 v[140:141], v[7:8], v[140:141], v[168:169]
	v_add_f64 v[134:135], v[134:135], v[180:181]
	s_waitcnt vmcnt(45) lgkmcnt(0)
	v_mul_f64 v[180:181], v[130:131], v[138:139]
	v_add_f64 v[127:128], v[127:128], v[176:177]
	s_clause 0x3
	buffer_load_dword v168, off, s[0:3], 0 offset:480
	buffer_load_dword v169, off, s[0:3], 0 offset:484
	;; [unrolled: 1-line block ×4, first 2 shown]
	v_mul_f64 v[138:139], v[132:133], v[138:139]
	ds_read_b128 v[5:8], v129 offset:1712
	s_waitcnt vmcnt(48)
	v_fma_f64 v[184:185], v[1:2], v[200:201], -v[184:185]
	v_fma_f64 v[172:173], v[3:4], v[200:201], v[172:173]
	ds_read_b128 v[1:4], v129 offset:1728
	v_add_f64 v[134:135], v[134:135], v[188:189]
	v_add_f64 v[127:128], v[127:128], v[140:141]
	s_waitcnt vmcnt(47) lgkmcnt(1)
	v_mul_f64 v[188:189], v[7:8], v[202:203]
	s_waitcnt vmcnt(45)
	v_fma_f64 v[138:139], v[130:131], v[148:149], -v[138:139]
	v_mul_f64 v[140:141], v[5:6], v[202:203]
	v_fma_f64 v[148:149], v[132:133], v[148:149], v[180:181]
	ds_read_b128 v[130:133], v129 offset:1744
	v_add_f64 v[134:135], v[134:135], v[184:185]
	v_add_f64 v[127:128], v[127:128], v[172:173]
	s_waitcnt vmcnt(41) lgkmcnt(1)
	v_mul_f64 v[172:173], v[1:2], v[136:137]
	v_mul_f64 v[136:137], v[3:4], v[136:137]
	s_waitcnt vmcnt(40)
	v_fma_f64 v[180:181], v[5:6], v[207:208], -v[188:189]
	v_add_f64 v[134:135], v[134:135], v[138:139]
	v_fma_f64 v[138:139], v[7:8], v[207:208], v[140:141]
	v_add_f64 v[127:128], v[127:128], v[148:149]
	ds_read_b128 v[5:8], v129 offset:1760
	s_waitcnt vmcnt(39) lgkmcnt(1)
	v_mul_f64 v[148:149], v[132:133], v[194:195]
	v_mul_f64 v[140:141], v[130:131], v[194:195]
	s_waitcnt vmcnt(37)
	v_fma_f64 v[136:137], v[1:2], v[146:147], -v[136:137]
	v_fma_f64 v[146:147], v[3:4], v[146:147], v[172:173]
	ds_read_b128 v[1:4], v129 offset:1776
	v_add_f64 v[134:135], v[134:135], v[180:181]
	v_add_f64 v[127:128], v[127:128], v[138:139]
	s_waitcnt vmcnt(33) lgkmcnt(1)
	v_mul_f64 v[138:139], v[5:6], v[142:143]
	v_mul_f64 v[142:143], v[7:8], v[142:143]
	s_waitcnt vmcnt(32)
	v_fma_f64 v[148:149], v[130:131], v[209:210], -v[148:149]
	v_add_f64 v[134:135], v[134:135], v[136:137]
	v_fma_f64 v[136:137], v[132:133], v[209:210], v[140:141]
	v_add_f64 v[127:128], v[127:128], v[146:147]
	ds_read_b128 v[130:133], v129 offset:1792
	s_waitcnt vmcnt(31) lgkmcnt(1)
	v_mul_f64 v[146:147], v[3:4], v[158:159]
	v_mul_f64 v[140:141], v[1:2], v[158:159]
	s_waitcnt vmcnt(29)
	v_fma_f64 v[142:143], v[5:6], v[144:145], -v[142:143]
	v_fma_f64 v[138:139], v[7:8], v[144:145], v[138:139]
	ds_read_b128 v[5:8], v129 offset:1808
	v_add_f64 v[134:135], v[134:135], v[148:149]
	v_add_f64 v[127:128], v[127:128], v[136:137]
	s_waitcnt vmcnt(25) lgkmcnt(1)
	v_mul_f64 v[144:145], v[132:133], v[150:151]
	s_waitcnt vmcnt(24)
	v_fma_f64 v[146:147], v[1:2], v[204:205], -v[146:147]
	v_mul_f64 v[136:137], v[130:131], v[150:151]
	v_fma_f64 v[140:141], v[3:4], v[204:205], v[140:141]
	ds_read_b128 v[1:4], v129 offset:1824
	v_add_f64 v[134:135], v[134:135], v[142:143]
	v_add_f64 v[127:128], v[127:128], v[138:139]
	s_waitcnt vmcnt(23) lgkmcnt(1)
	v_mul_f64 v[142:143], v[7:8], v[162:163]
	v_mul_f64 v[138:139], v[5:6], v[162:163]
	s_waitcnt vmcnt(21)
	v_fma_f64 v[144:145], v[130:131], v[154:155], -v[144:145]
	v_fma_f64 v[136:137], v[132:133], v[154:155], v[136:137]
	ds_read_b128 v[130:133], v129 offset:1840
	v_add_f64 v[134:135], v[134:135], v[146:147]
	v_add_f64 v[127:128], v[127:128], v[140:141]
	s_waitcnt vmcnt(17) lgkmcnt(1)
	v_mul_f64 v[146:147], v[3:4], v[152:153]
	s_waitcnt vmcnt(16)
	v_fma_f64 v[142:143], v[5:6], v[166:167], -v[142:143]
	v_mul_f64 v[140:141], v[1:2], v[152:153]
	v_fma_f64 v[138:139], v[7:8], v[166:167], v[138:139]
	ds_read_b128 v[5:8], v129 offset:1856
	v_add_f64 v[134:135], v[134:135], v[144:145]
	v_add_f64 v[127:128], v[127:128], v[136:137]
	s_waitcnt vmcnt(15) lgkmcnt(1)
	v_mul_f64 v[144:145], v[132:133], v[170:171]
	v_mul_f64 v[136:137], v[130:131], v[170:171]
	s_waitcnt vmcnt(13)
	v_fma_f64 v[146:147], v[1:2], v[156:157], -v[146:147]
	v_fma_f64 v[140:141], v[3:4], v[156:157], v[140:141]
	ds_read_b128 v[1:4], v129 offset:1872
	v_add_f64 v[134:135], v[134:135], v[142:143]
	v_add_f64 v[127:128], v[127:128], v[138:139]
	s_waitcnt vmcnt(9) lgkmcnt(1)
	v_mul_f64 v[142:143], v[7:8], v[160:161]
	s_waitcnt vmcnt(8)
	v_fma_f64 v[130:131], v[130:131], v[174:175], -v[144:145]
	v_mul_f64 v[138:139], v[5:6], v[160:161]
	v_fma_f64 v[132:133], v[132:133], v[174:175], v[136:137]
	v_add_f64 v[134:135], v[134:135], v[146:147]
	v_add_f64 v[127:128], v[127:128], v[140:141]
	s_waitcnt vmcnt(7) lgkmcnt(0)
	v_mul_f64 v[140:141], v[3:4], v[178:179]
	v_mul_f64 v[136:137], v[1:2], v[178:179]
	s_waitcnt vmcnt(5)
	v_fma_f64 v[5:6], v[5:6], v[164:165], -v[142:143]
	v_fma_f64 v[7:8], v[7:8], v[164:165], v[138:139]
	v_add_f64 v[130:131], v[134:135], v[130:131]
	v_add_f64 v[127:128], v[127:128], v[132:133]
	s_waitcnt vmcnt(4)
	v_fma_f64 v[1:2], v[1:2], v[182:183], -v[140:141]
	v_fma_f64 v[3:4], v[3:4], v[182:183], v[136:137]
	v_add_f64 v[5:6], v[130:131], v[5:6]
	v_add_f64 v[7:8], v[127:128], v[7:8]
	;; [unrolled: 1-line block ×4, first 2 shown]
	s_waitcnt vmcnt(2)
	v_add_f64 v[1:2], v[168:169], -v[1:2]
	s_waitcnt vmcnt(0)
	v_add_f64 v[3:4], v[176:177], -v[3:4]
	buffer_store_dword v2, off, s[0:3], 0 offset:484
	buffer_store_dword v1, off, s[0:3], 0 offset:480
	;; [unrolled: 1-line block ×4, first 2 shown]
	v_cmpx_lt_u32_e32 28, v0
	s_cbranch_execz .LBB122_311
; %bb.310:
	v_mov_b32_e32 v4, s43
	s_clause 0x3
	buffer_load_dword v1, v4, s[0:3], 0 offen
	buffer_load_dword v2, v4, s[0:3], 0 offen offset:4
	buffer_load_dword v3, v4, s[0:3], 0 offen offset:8
	;; [unrolled: 1-line block ×3, first 2 shown]
	buffer_store_dword v129, off, s[0:3], 0 offset:464
	buffer_store_dword v129, off, s[0:3], 0 offset:468
	;; [unrolled: 1-line block ×4, first 2 shown]
	s_waitcnt vmcnt(0)
	ds_write_b128 v187, v[1:4]
.LBB122_311:
	s_or_b32 exec_lo, exec_lo, s4
	s_waitcnt lgkmcnt(0)
	s_waitcnt_vscnt null, 0x0
	s_barrier
	buffer_gl0_inv
	s_clause 0x37
	buffer_load_dword v127, off, s[0:3], 0 offset:488
	buffer_load_dword v128, off, s[0:3], 0 offset:492
	;; [unrolled: 1-line block ×56, first 2 shown]
	ds_read_b128 v[130:133], v129 offset:1408
	s_clause 0x2
	buffer_load_dword v189, off, s[0:3], 0 offset:716
	buffer_load_dword v193, off, s[0:3], 0 offset:692
	;; [unrolled: 1-line block ×3, first 2 shown]
	ds_read_b128 v[134:137], v129 offset:1424
	s_clause 0x4
	buffer_load_dword v197, off, s[0:3], 0 offset:732
	buffer_load_dword v198, off, s[0:3], 0 offset:744
	;; [unrolled: 1-line block ×5, first 2 shown]
	ds_read_b128 v[138:141], v129 offset:1440
	s_clause 0x2
	buffer_load_dword v199, off, s[0:3], 0 offset:748
	buffer_load_dword v204, off, s[0:3], 0 offset:724
	;; [unrolled: 1-line block ×3, first 2 shown]
	s_mov_b32 s4, exec_lo
	s_waitcnt vmcnt(62) lgkmcnt(2)
	v_mul_f64 v[194:195], v[132:133], v[127:128]
	v_mul_f64 v[127:128], v[130:131], v[127:128]
	s_waitcnt lgkmcnt(1)
	v_mul_f64 v[201:202], v[136:137], v[5:6]
	s_waitcnt vmcnt(59) lgkmcnt(0)
	v_mul_f64 v[205:206], v[140:141], v[3:4]
	v_fma_f64 v[130:131], v[130:131], v[7:8], -v[194:195]
	v_mul_f64 v[194:195], v[134:135], v[5:6]
	v_fma_f64 v[127:128], v[132:133], v[7:8], v[127:128]
	s_waitcnt vmcnt(57)
	v_fma_f64 v[134:135], v[134:135], v[1:2], -v[201:202]
	ds_read_b128 v[5:8], v129 offset:1456
	v_mul_f64 v[132:133], v[138:139], v[3:4]
	s_waitcnt vmcnt(51)
	v_fma_f64 v[138:139], v[138:139], v[148:149], -v[205:206]
	v_add_f64 v[130:131], v[130:131], 0
	v_fma_f64 v[136:137], v[136:137], v[1:2], v[194:195]
	v_add_f64 v[127:128], v[127:128], 0
	s_clause 0x4
	buffer_load_dword v195, off, s[0:3], 0 offset:764
	buffer_load_dword v207, off, s[0:3], 0 offset:776
	;; [unrolled: 1-line block ×5, first 2 shown]
	s_waitcnt lgkmcnt(0)
	v_mul_f64 v[210:211], v[5:6], v[142:143]
	v_mul_f64 v[142:143], v[7:8], v[142:143]
	ds_read_b128 v[1:4], v129 offset:1472
	v_fma_f64 v[140:141], v[140:141], v[148:149], v[132:133]
	v_add_f64 v[134:135], v[130:131], v[134:135]
	v_add_f64 v[127:128], v[127:128], v[136:137]
	s_clause 0x2
	buffer_load_dword v208, off, s[0:3], 0 offset:780
	buffer_load_dword v137, off, s[0:3], 0 offset:756
	;; [unrolled: 1-line block ×3, first 2 shown]
	s_waitcnt vmcnt(58) lgkmcnt(0)
	v_mul_f64 v[148:149], v[1:2], v[144:145]
	v_mul_f64 v[144:145], v[3:4], v[144:145]
	s_waitcnt vmcnt(56)
	v_fma_f64 v[142:143], v[5:6], v[150:151], -v[142:143]
	ds_read_b128 v[130:133], v129 offset:1488
	v_add_f64 v[134:135], v[134:135], v[138:139]
	v_fma_f64 v[138:139], v[7:8], v[150:151], v[210:211]
	v_add_f64 v[127:128], v[127:128], v[140:141]
	s_clause 0x4
	buffer_load_dword v141, off, s[0:3], 0 offset:796
	buffer_load_dword v150, off, s[0:3], 0 offset:808
	;; [unrolled: 1-line block ×5, first 2 shown]
	ds_read_b128 v[5:8], v129 offset:1504
	s_waitcnt vmcnt(57) lgkmcnt(1)
	v_mul_f64 v[211:212], v[130:131], v[152:153]
	v_mul_f64 v[152:153], v[132:133], v[152:153]
	s_waitcnt vmcnt(56)
	v_fma_f64 v[144:145], v[1:2], v[146:147], -v[144:145]
	v_add_f64 v[134:135], v[134:135], v[142:143]
	v_fma_f64 v[142:143], v[3:4], v[146:147], v[148:149]
	v_add_f64 v[127:128], v[127:128], v[138:139]
	s_clause 0x2
	buffer_load_dword v151, off, s[0:3], 0 offset:812
	buffer_load_dword v139, off, s[0:3], 0 offset:788
	;; [unrolled: 1-line block ×3, first 2 shown]
	s_waitcnt vmcnt(58) lgkmcnt(0)
	v_mul_f64 v[148:149], v[7:8], v[154:155]
	ds_read_b128 v[1:4], v129 offset:1520
	s_waitcnt vmcnt(56)
	v_fma_f64 v[152:153], v[130:131], v[158:159], -v[152:153]
	v_mul_f64 v[146:147], v[5:6], v[154:155]
	v_add_f64 v[134:135], v[134:135], v[144:145]
	v_fma_f64 v[144:145], v[132:133], v[158:159], v[211:212]
	v_add_f64 v[127:128], v[127:128], v[142:143]
	s_clause 0x4
	buffer_load_dword v143, off, s[0:3], 0 offset:828
	buffer_load_dword v154, off, s[0:3], 0 offset:840
	buffer_load_dword v158, off, s[0:3], 0 offset:832
	buffer_load_dword v142, off, s[0:3], 0 offset:824
	buffer_load_dword v206, off, s[0:3], 0 offset:804
	s_waitcnt vmcnt(57) lgkmcnt(0)
	v_mul_f64 v[211:212], v[1:2], v[160:161]
	v_mul_f64 v[159:160], v[3:4], v[160:161]
	s_waitcnt vmcnt(56)
	v_fma_f64 v[148:149], v[5:6], v[156:157], -v[148:149]
	ds_read_b128 v[130:133], v129 offset:1536
	v_fma_f64 v[146:147], v[7:8], v[156:157], v[146:147]
	v_add_f64 v[134:135], v[134:135], v[152:153]
	v_add_f64 v[127:128], v[127:128], v[144:145]
	s_clause 0x2
	buffer_load_dword v155, off, s[0:3], 0 offset:844
	buffer_load_dword v145, off, s[0:3], 0 offset:820
	buffer_load_dword v144, off, s[0:3], 0 offset:816
	ds_read_b128 v[5:8], v129 offset:1552
	s_waitcnt vmcnt(58) lgkmcnt(1)
	v_mul_f64 v[156:157], v[132:133], v[162:163]
	s_waitcnt vmcnt(56)
	v_fma_f64 v[160:161], v[1:2], v[166:167], -v[159:160]
	v_mul_f64 v[152:153], v[130:131], v[162:163]
	v_add_f64 v[134:135], v[134:135], v[148:149]
	v_fma_f64 v[148:149], v[3:4], v[166:167], v[211:212]
	v_add_f64 v[127:128], v[127:128], v[146:147]
	s_clause 0x4
	buffer_load_dword v147, off, s[0:3], 0 offset:860
	buffer_load_dword v162, off, s[0:3], 0 offset:872
	buffer_load_dword v166, off, s[0:3], 0 offset:864
	buffer_load_dword v146, off, s[0:3], 0 offset:856
	buffer_load_dword v159, off, s[0:3], 0 offset:836
	s_waitcnt vmcnt(57) lgkmcnt(0)
	v_mul_f64 v[211:212], v[5:6], v[168:169]
	v_mul_f64 v[167:168], v[7:8], v[168:169]
	s_waitcnt vmcnt(56)
	v_fma_f64 v[156:157], v[130:131], v[164:165], -v[156:157]
	ds_read_b128 v[1:4], v129 offset:1568
	v_fma_f64 v[152:153], v[132:133], v[164:165], v[152:153]
	v_add_f64 v[134:135], v[134:135], v[160:161]
	v_add_f64 v[127:128], v[127:128], v[148:149]
	s_clause 0x2
	buffer_load_dword v163, off, s[0:3], 0 offset:876
	buffer_load_dword v149, off, s[0:3], 0 offset:852
	buffer_load_dword v148, off, s[0:3], 0 offset:848
	ds_read_b128 v[130:133], v129 offset:1584
	s_waitcnt vmcnt(58) lgkmcnt(1)
	v_mul_f64 v[164:165], v[3:4], v[170:171]
	s_waitcnt vmcnt(56)
	v_fma_f64 v[168:169], v[5:6], v[174:175], -v[167:168]
	v_mul_f64 v[160:161], v[1:2], v[170:171]
	v_add_f64 v[134:135], v[134:135], v[156:157]
	v_fma_f64 v[156:157], v[7:8], v[174:175], v[211:212]
	v_add_f64 v[127:128], v[127:128], v[152:153]
	s_clause 0x4
	buffer_load_dword v153, off, s[0:3], 0 offset:892
	buffer_load_dword v170, off, s[0:3], 0 offset:904
	buffer_load_dword v174, off, s[0:3], 0 offset:896
	buffer_load_dword v152, off, s[0:3], 0 offset:888
	buffer_load_dword v167, off, s[0:3], 0 offset:868
	s_waitcnt vmcnt(57) lgkmcnt(0)
	v_mul_f64 v[211:212], v[130:131], v[176:177]
	v_mul_f64 v[175:176], v[132:133], v[176:177]
	s_waitcnt vmcnt(56)
	v_fma_f64 v[164:165], v[1:2], v[172:173], -v[164:165]
	ds_read_b128 v[5:8], v129 offset:1600
	v_fma_f64 v[160:161], v[3:4], v[172:173], v[160:161]
	v_add_f64 v[134:135], v[134:135], v[168:169]
	v_add_f64 v[127:128], v[127:128], v[156:157]
	s_clause 0x2
	buffer_load_dword v171, off, s[0:3], 0 offset:908
	buffer_load_dword v157, off, s[0:3], 0 offset:884
	buffer_load_dword v156, off, s[0:3], 0 offset:880
	ds_read_b128 v[1:4], v129 offset:1616
	s_waitcnt vmcnt(58) lgkmcnt(1)
	v_mul_f64 v[172:173], v[7:8], v[178:179]
	s_waitcnt vmcnt(56)
	v_fma_f64 v[176:177], v[130:131], v[182:183], -v[175:176]
	v_mul_f64 v[168:169], v[5:6], v[178:179]
	v_add_f64 v[134:135], v[134:135], v[164:165]
	v_fma_f64 v[164:165], v[132:133], v[182:183], v[211:212]
	v_add_f64 v[127:128], v[127:128], v[160:161]
	s_clause 0x4
	buffer_load_dword v161, off, s[0:3], 0 offset:924
	buffer_load_dword v178, off, s[0:3], 0 offset:936
	buffer_load_dword v182, off, s[0:3], 0 offset:928
	buffer_load_dword v160, off, s[0:3], 0 offset:920
	buffer_load_dword v175, off, s[0:3], 0 offset:900
	s_waitcnt vmcnt(57) lgkmcnt(0)
	v_mul_f64 v[211:212], v[1:2], v[184:185]
	v_mul_f64 v[183:184], v[3:4], v[184:185]
	s_waitcnt vmcnt(56)
	v_fma_f64 v[172:173], v[5:6], v[180:181], -v[172:173]
	ds_read_b128 v[130:133], v129 offset:1632
	v_fma_f64 v[168:169], v[7:8], v[180:181], v[168:169]
	v_add_f64 v[134:135], v[134:135], v[176:177]
	v_add_f64 v[127:128], v[127:128], v[164:165]
	s_clause 0x2
	buffer_load_dword v179, off, s[0:3], 0 offset:940
	buffer_load_dword v165, off, s[0:3], 0 offset:916
	buffer_load_dword v164, off, s[0:3], 0 offset:912
	ds_read_b128 v[5:8], v129 offset:1648
	s_waitcnt vmcnt(58) lgkmcnt(1)
	v_mul_f64 v[180:181], v[132:133], v[188:189]
	s_waitcnt vmcnt(56)
	v_fma_f64 v[184:185], v[1:2], v[192:193], -v[183:184]
	v_mul_f64 v[176:177], v[130:131], v[188:189]
	v_add_f64 v[134:135], v[134:135], v[172:173]
	v_fma_f64 v[172:173], v[3:4], v[192:193], v[211:212]
	v_add_f64 v[127:128], v[127:128], v[168:169]
	s_clause 0x2
	buffer_load_dword v169, off, s[0:3], 0 offset:956
	buffer_load_dword v168, off, s[0:3], 0 offset:952
	;; [unrolled: 1-line block ×3, first 2 shown]
	s_waitcnt vmcnt(55) lgkmcnt(0)
	v_mul_f64 v[192:193], v[7:8], v[196:197]
	s_waitcnt vmcnt(54)
	v_fma_f64 v[180:181], v[130:131], v[190:191], -v[180:181]
	ds_read_b128 v[1:4], v129 offset:1664
	v_mul_f64 v[188:189], v[5:6], v[196:197]
	v_fma_f64 v[176:177], v[132:133], v[190:191], v[176:177]
	v_add_f64 v[134:135], v[134:135], v[184:185]
	v_add_f64 v[127:128], v[127:128], v[172:173]
	s_clause 0x1
	buffer_load_dword v173, off, s[0:3], 0 offset:948
	buffer_load_dword v172, off, s[0:3], 0 offset:944
	s_waitcnt vmcnt(55) lgkmcnt(0)
	v_mul_f64 v[190:191], v[3:4], v[198:199]
	s_waitcnt vmcnt(53)
	v_fma_f64 v[192:193], v[5:6], v[203:204], -v[192:193]
	ds_read_b128 v[130:133], v129 offset:1680
	v_mul_f64 v[184:185], v[1:2], v[198:199]
	v_add_f64 v[134:135], v[134:135], v[180:181]
	v_fma_f64 v[180:181], v[7:8], v[203:204], v[188:189]
	v_add_f64 v[127:128], v[127:128], v[176:177]
	ds_read_b128 v[5:8], v129 offset:1696
	s_waitcnt vmcnt(49) lgkmcnt(1)
	v_mul_f64 v[188:189], v[132:133], v[194:195]
	s_waitcnt vmcnt(48)
	v_fma_f64 v[190:191], v[1:2], v[200:201], -v[190:191]
	v_mul_f64 v[176:177], v[130:131], v[194:195]
	v_fma_f64 v[184:185], v[3:4], v[200:201], v[184:185]
	v_add_f64 v[134:135], v[134:135], v[192:193]
	v_add_f64 v[127:128], v[127:128], v[180:181]
	s_clause 0x3
	buffer_load_dword v180, off, s[0:3], 0 offset:464
	buffer_load_dword v181, off, s[0:3], 0 offset:468
	;; [unrolled: 1-line block ×4, first 2 shown]
	ds_read_b128 v[1:4], v129 offset:1712
	s_waitcnt vmcnt(51) lgkmcnt(1)
	v_mul_f64 v[196:197], v[7:8], v[207:208]
	v_mul_f64 v[194:195], v[5:6], v[207:208]
	s_waitcnt vmcnt(49)
	v_fma_f64 v[188:189], v[130:131], v[136:137], -v[188:189]
	v_fma_f64 v[136:137], v[132:133], v[136:137], v[176:177]
	ds_read_b128 v[130:133], v129 offset:1728
	v_add_f64 v[134:135], v[134:135], v[190:191]
	v_add_f64 v[127:128], v[127:128], v[184:185]
	s_waitcnt vmcnt(45) lgkmcnt(1)
	v_mul_f64 v[176:177], v[1:2], v[140:141]
	v_mul_f64 v[140:141], v[3:4], v[140:141]
	s_waitcnt vmcnt(44)
	v_fma_f64 v[184:185], v[5:6], v[209:210], -v[196:197]
	v_add_f64 v[134:135], v[134:135], v[188:189]
	v_fma_f64 v[188:189], v[7:8], v[209:210], v[194:195]
	v_add_f64 v[127:128], v[127:128], v[136:137]
	ds_read_b128 v[5:8], v129 offset:1744
	s_waitcnt vmcnt(43) lgkmcnt(1)
	v_mul_f64 v[136:137], v[130:131], v[150:151]
	v_mul_f64 v[150:151], v[132:133], v[150:151]
	s_waitcnt vmcnt(41)
	v_fma_f64 v[140:141], v[1:2], v[138:139], -v[140:141]
	v_fma_f64 v[138:139], v[3:4], v[138:139], v[176:177]
	ds_read_b128 v[1:4], v129 offset:1760
	v_add_f64 v[134:135], v[134:135], v[184:185]
	v_add_f64 v[127:128], v[127:128], v[188:189]
	s_waitcnt vmcnt(37) lgkmcnt(1)
	v_mul_f64 v[176:177], v[5:6], v[142:143]
	v_mul_f64 v[142:143], v[7:8], v[142:143]
	s_waitcnt vmcnt(36)
	v_fma_f64 v[150:151], v[130:131], v[205:206], -v[150:151]
	v_fma_f64 v[136:137], v[132:133], v[205:206], v[136:137]
	ds_read_b128 v[130:133], v129 offset:1776
	v_add_f64 v[134:135], v[134:135], v[140:141]
	v_add_f64 v[127:128], v[127:128], v[138:139]
	;; [unrolled: 9-line block ×5, first 2 shown]
	s_waitcnt vmcnt(21) lgkmcnt(1)
	v_mul_f64 v[140:141], v[3:4], v[152:153]
	s_waitcnt vmcnt(20)
	v_fma_f64 v[144:145], v[5:6], v[166:167], -v[144:145]
	v_mul_f64 v[138:139], v[1:2], v[152:153]
	v_fma_f64 v[142:143], v[7:8], v[166:167], v[142:143]
	ds_read_b128 v[5:8], v129 offset:1840
	v_add_f64 v[134:135], v[134:135], v[146:147]
	v_add_f64 v[127:128], v[127:128], v[136:137]
	s_waitcnt vmcnt(19) lgkmcnt(1)
	v_mul_f64 v[146:147], v[132:133], v[170:171]
	v_mul_f64 v[136:137], v[130:131], v[170:171]
	s_waitcnt vmcnt(17)
	v_fma_f64 v[140:141], v[1:2], v[156:157], -v[140:141]
	v_fma_f64 v[138:139], v[3:4], v[156:157], v[138:139]
	ds_read_b128 v[1:4], v129 offset:1856
	v_add_f64 v[134:135], v[134:135], v[144:145]
	v_add_f64 v[127:128], v[127:128], v[142:143]
	s_waitcnt vmcnt(13) lgkmcnt(1)
	v_mul_f64 v[144:145], v[7:8], v[160:161]
	s_waitcnt vmcnt(12)
	v_fma_f64 v[146:147], v[130:131], v[174:175], -v[146:147]
	v_mul_f64 v[142:143], v[5:6], v[160:161]
	v_fma_f64 v[131:132], v[132:133], v[174:175], v[136:137]
	v_add_f64 v[134:135], v[134:135], v[140:141]
	v_add_f64 v[136:137], v[127:128], v[138:139]
	ds_read_b128 v[127:130], v129 offset:1872
	s_waitcnt vmcnt(11) lgkmcnt(1)
	v_mul_f64 v[140:141], v[3:4], v[178:179]
	v_mul_f64 v[138:139], v[1:2], v[178:179]
	s_waitcnt vmcnt(9)
	v_fma_f64 v[5:6], v[5:6], v[164:165], -v[144:145]
	v_fma_f64 v[7:8], v[7:8], v[164:165], v[142:143]
	v_add_f64 v[133:134], v[134:135], v[146:147]
	v_add_f64 v[131:132], v[136:137], v[131:132]
	s_waitcnt vmcnt(7) lgkmcnt(0)
	v_mul_f64 v[142:143], v[129:130], v[168:169]
	s_waitcnt vmcnt(6)
	v_fma_f64 v[1:2], v[1:2], v[182:183], -v[140:141]
	v_mul_f64 v[135:136], v[127:128], v[168:169]
	v_fma_f64 v[3:4], v[3:4], v[182:183], v[138:139]
	v_add_f64 v[5:6], v[133:134], v[5:6]
	v_add_f64 v[7:8], v[131:132], v[7:8]
	s_waitcnt vmcnt(4)
	v_fma_f64 v[127:128], v[127:128], v[172:173], -v[142:143]
	v_add_f64 v[1:2], v[5:6], v[1:2]
	v_fma_f64 v[5:6], v[129:130], v[172:173], v[135:136]
	v_add_f64 v[3:4], v[7:8], v[3:4]
	v_add_f64 v[1:2], v[1:2], v[127:128]
	;; [unrolled: 1-line block ×3, first 2 shown]
	s_waitcnt vmcnt(2)
	v_add_f64 v[1:2], v[180:181], -v[1:2]
	s_waitcnt vmcnt(0)
	v_add_f64 v[3:4], v[192:193], -v[3:4]
	buffer_store_dword v2, off, s[0:3], 0 offset:468
	buffer_store_dword v1, off, s[0:3], 0 offset:464
	;; [unrolled: 1-line block ×4, first 2 shown]
	v_cmpx_lt_u32_e32 27, v0
	s_cbranch_execz .LBB122_313
; %bb.312:
	v_mov_b32_e32 v4, s44
	v_mov_b32_e32 v5, 0
	s_clause 0x3
	buffer_load_dword v1, v4, s[0:3], 0 offen
	buffer_load_dword v2, v4, s[0:3], 0 offen offset:4
	buffer_load_dword v3, v4, s[0:3], 0 offen offset:8
	;; [unrolled: 1-line block ×3, first 2 shown]
	buffer_store_dword v5, off, s[0:3], 0 offset:448
	buffer_store_dword v5, off, s[0:3], 0 offset:452
	;; [unrolled: 1-line block ×4, first 2 shown]
	s_waitcnt vmcnt(0)
	ds_write_b128 v187, v[1:4]
.LBB122_313:
	s_or_b32 exec_lo, exec_lo, s4
	s_waitcnt lgkmcnt(0)
	s_waitcnt_vscnt null, 0x0
	s_barrier
	buffer_gl0_inv
	s_clause 0x37
	buffer_load_dword v127, off, s[0:3], 0 offset:472
	buffer_load_dword v128, off, s[0:3], 0 offset:476
	;; [unrolled: 1-line block ×56, first 2 shown]
	v_mov_b32_e32 v147, 0
	s_mov_b32 s4, exec_lo
	ds_read_b128 v[135:138], v147 offset:1392
	s_clause 0x2
	buffer_load_dword v189, off, s[0:3], 0 offset:700
	buffer_load_dword v193, off, s[0:3], 0 offset:676
	;; [unrolled: 1-line block ×3, first 2 shown]
	ds_read_b128 v[139:142], v147 offset:1408
	s_clause 0x4
	buffer_load_dword v197, off, s[0:3], 0 offset:716
	buffer_load_dword v198, off, s[0:3], 0 offset:728
	buffer_load_dword v200, off, s[0:3], 0 offset:720
	buffer_load_dword v196, off, s[0:3], 0 offset:712
	buffer_load_dword v191, off, s[0:3], 0 offset:692
	ds_read_b128 v[143:146], v147 offset:1424
	s_clause 0x2
	buffer_load_dword v199, off, s[0:3], 0 offset:732
	buffer_load_dword v204, off, s[0:3], 0 offset:708
	;; [unrolled: 1-line block ×3, first 2 shown]
	s_waitcnt vmcnt(62) lgkmcnt(2)
	v_mul_f64 v[194:195], v[137:138], v[127:128]
	v_mul_f64 v[127:128], v[135:136], v[127:128]
	s_waitcnt lgkmcnt(1)
	v_mul_f64 v[201:202], v[141:142], v[5:6]
	s_waitcnt vmcnt(59) lgkmcnt(0)
	v_mul_f64 v[205:206], v[145:146], v[3:4]
	v_fma_f64 v[135:136], v[135:136], v[7:8], -v[194:195]
	v_mul_f64 v[194:195], v[139:140], v[5:6]
	v_fma_f64 v[127:128], v[137:138], v[7:8], v[127:128]
	s_waitcnt vmcnt(57)
	v_fma_f64 v[139:140], v[139:140], v[1:2], -v[201:202]
	ds_read_b128 v[5:8], v147 offset:1440
	v_mul_f64 v[137:138], v[143:144], v[3:4]
	s_waitcnt vmcnt(51)
	v_fma_f64 v[143:144], v[143:144], v[150:151], -v[205:206]
	v_add_f64 v[135:136], v[135:136], 0
	v_fma_f64 v[141:142], v[141:142], v[1:2], v[194:195]
	v_add_f64 v[127:128], v[127:128], 0
	s_clause 0x4
	buffer_load_dword v195, off, s[0:3], 0 offset:748
	buffer_load_dword v207, off, s[0:3], 0 offset:760
	;; [unrolled: 1-line block ×5, first 2 shown]
	s_waitcnt lgkmcnt(0)
	v_mul_f64 v[210:211], v[5:6], v[131:132]
	v_mul_f64 v[131:132], v[7:8], v[131:132]
	ds_read_b128 v[1:4], v147 offset:1456
	v_fma_f64 v[145:146], v[145:146], v[150:151], v[137:138]
	v_add_f64 v[139:140], v[135:136], v[139:140]
	v_add_f64 v[127:128], v[127:128], v[141:142]
	s_clause 0x2
	buffer_load_dword v208, off, s[0:3], 0 offset:764
	buffer_load_dword v142, off, s[0:3], 0 offset:740
	;; [unrolled: 1-line block ×3, first 2 shown]
	s_waitcnt vmcnt(58) lgkmcnt(0)
	v_mul_f64 v[150:151], v[1:2], v[148:149]
	v_mul_f64 v[148:149], v[3:4], v[148:149]
	s_waitcnt vmcnt(56)
	v_fma_f64 v[131:132], v[5:6], v[152:153], -v[131:132]
	ds_read_b128 v[135:138], v147 offset:1472
	v_add_f64 v[139:140], v[139:140], v[143:144]
	v_fma_f64 v[143:144], v[7:8], v[152:153], v[210:211]
	v_add_f64 v[127:128], v[127:128], v[145:146]
	s_clause 0x4
	buffer_load_dword v146, off, s[0:3], 0 offset:780
	buffer_load_dword v152, off, s[0:3], 0 offset:792
	;; [unrolled: 1-line block ×5, first 2 shown]
	ds_read_b128 v[5:8], v147 offset:1488
	s_waitcnt vmcnt(57) lgkmcnt(1)
	v_mul_f64 v[211:212], v[135:136], v[154:155]
	v_mul_f64 v[154:155], v[137:138], v[154:155]
	s_waitcnt vmcnt(56)
	v_fma_f64 v[148:149], v[1:2], v[129:130], -v[148:149]
	v_fma_f64 v[129:130], v[3:4], v[129:130], v[150:151]
	v_add_f64 v[131:132], v[139:140], v[131:132]
	s_clause 0x2
	buffer_load_dword v153, off, s[0:3], 0 offset:796
	buffer_load_dword v140, off, s[0:3], 0 offset:772
	;; [unrolled: 1-line block ×3, first 2 shown]
	v_add_f64 v[127:128], v[127:128], v[143:144]
	s_waitcnt vmcnt(58) lgkmcnt(0)
	v_mul_f64 v[150:151], v[7:8], v[156:157]
	ds_read_b128 v[1:4], v147 offset:1504
	v_mul_f64 v[143:144], v[5:6], v[156:157]
	s_waitcnt vmcnt(56)
	v_fma_f64 v[135:136], v[135:136], v[158:159], -v[154:155]
	v_fma_f64 v[137:138], v[137:138], v[158:159], v[211:212]
	s_clause 0x4
	buffer_load_dword v155, off, s[0:3], 0 offset:812
	buffer_load_dword v156, off, s[0:3], 0 offset:824
	;; [unrolled: 1-line block ×5, first 2 shown]
	v_add_f64 v[131:132], v[131:132], v[148:149]
	v_add_f64 v[148:149], v[127:128], v[129:130]
	s_waitcnt vmcnt(57) lgkmcnt(0)
	v_mul_f64 v[211:212], v[1:2], v[160:161]
	v_mul_f64 v[159:160], v[3:4], v[160:161]
	s_waitcnt vmcnt(56)
	v_fma_f64 v[150:151], v[5:6], v[133:134], -v[150:151]
	ds_read_b128 v[127:130], v147 offset:1520
	v_fma_f64 v[133:134], v[7:8], v[133:134], v[143:144]
	v_add_f64 v[131:132], v[131:132], v[135:136]
	v_add_f64 v[135:136], v[148:149], v[137:138]
	s_clause 0x2
	buffer_load_dword v157, off, s[0:3], 0 offset:828
	buffer_load_dword v138, off, s[0:3], 0 offset:804
	;; [unrolled: 1-line block ×3, first 2 shown]
	s_waitcnt vmcnt(58) lgkmcnt(0)
	v_mul_f64 v[148:149], v[129:130], v[162:163]
	s_waitcnt vmcnt(56)
	v_fma_f64 v[160:161], v[1:2], v[166:167], -v[159:160]
	ds_read_b128 v[5:8], v147 offset:1536
	v_mul_f64 v[143:144], v[127:128], v[162:163]
	v_add_f64 v[131:132], v[131:132], v[150:151]
	v_fma_f64 v[150:151], v[3:4], v[166:167], v[211:212]
	v_add_f64 v[133:134], v[135:136], v[133:134]
	s_clause 0x4
	buffer_load_dword v136, off, s[0:3], 0 offset:844
	buffer_load_dword v162, off, s[0:3], 0 offset:856
	buffer_load_dword v166, off, s[0:3], 0 offset:848
	buffer_load_dword v135, off, s[0:3], 0 offset:840
	buffer_load_dword v159, off, s[0:3], 0 offset:820
	s_waitcnt vmcnt(57) lgkmcnt(0)
	v_mul_f64 v[211:212], v[5:6], v[168:169]
	v_mul_f64 v[167:168], v[7:8], v[168:169]
	s_waitcnt vmcnt(56)
	v_fma_f64 v[148:149], v[127:128], v[164:165], -v[148:149]
	ds_read_b128 v[1:4], v147 offset:1552
	v_fma_f64 v[143:144], v[129:130], v[164:165], v[143:144]
	v_add_f64 v[131:132], v[131:132], v[160:161]
	v_add_f64 v[133:134], v[133:134], v[150:151]
	s_clause 0x2
	buffer_load_dword v163, off, s[0:3], 0 offset:860
	buffer_load_dword v151, off, s[0:3], 0 offset:836
	buffer_load_dword v150, off, s[0:3], 0 offset:832
	ds_read_b128 v[127:130], v147 offset:1568
	s_waitcnt vmcnt(58) lgkmcnt(1)
	v_mul_f64 v[164:165], v[3:4], v[170:171]
	s_waitcnt vmcnt(56)
	v_fma_f64 v[168:169], v[5:6], v[174:175], -v[167:168]
	v_mul_f64 v[160:161], v[1:2], v[170:171]
	v_add_f64 v[131:132], v[131:132], v[148:149]
	v_fma_f64 v[148:149], v[7:8], v[174:175], v[211:212]
	v_add_f64 v[133:134], v[133:134], v[143:144]
	s_clause 0x4
	buffer_load_dword v144, off, s[0:3], 0 offset:876
	buffer_load_dword v170, off, s[0:3], 0 offset:888
	buffer_load_dword v174, off, s[0:3], 0 offset:880
	buffer_load_dword v143, off, s[0:3], 0 offset:872
	buffer_load_dword v167, off, s[0:3], 0 offset:852
	s_waitcnt vmcnt(57) lgkmcnt(0)
	v_mul_f64 v[211:212], v[127:128], v[176:177]
	v_mul_f64 v[175:176], v[129:130], v[176:177]
	s_waitcnt vmcnt(56)
	v_fma_f64 v[164:165], v[1:2], v[172:173], -v[164:165]
	ds_read_b128 v[5:8], v147 offset:1584
	v_fma_f64 v[160:161], v[3:4], v[172:173], v[160:161]
	v_add_f64 v[131:132], v[131:132], v[168:169]
	v_add_f64 v[133:134], v[133:134], v[148:149]
	s_clause 0x2
	buffer_load_dword v171, off, s[0:3], 0 offset:892
	buffer_load_dword v149, off, s[0:3], 0 offset:868
	buffer_load_dword v148, off, s[0:3], 0 offset:864
	ds_read_b128 v[1:4], v147 offset:1600
	s_waitcnt vmcnt(58) lgkmcnt(1)
	v_mul_f64 v[172:173], v[7:8], v[178:179]
	s_waitcnt vmcnt(56)
	v_fma_f64 v[176:177], v[127:128], v[182:183], -v[175:176]
	;; [unrolled: 28-line block ×4, first 2 shown]
	v_mul_f64 v[184:185], v[1:2], v[198:199]
	buffer_load_dword v193, off, s[0:3], 0 offset:948
	v_add_f64 v[131:132], v[131:132], v[180:181]
	v_fma_f64 v[180:181], v[7:8], v[203:204], v[211:212]
	v_add_f64 v[133:134], v[133:134], v[176:177]
	ds_read_b128 v[5:8], v147 offset:1680
	s_waitcnt vmcnt(53) lgkmcnt(1)
	v_mul_f64 v[176:177], v[127:128], v[194:195]
	v_mul_f64 v[194:195], v[129:130], v[194:195]
	s_waitcnt vmcnt(52)
	v_fma_f64 v[190:191], v[1:2], v[200:201], -v[190:191]
	v_fma_f64 v[184:185], v[3:4], v[200:201], v[184:185]
	ds_read_b128 v[1:4], v147 offset:1696
	v_add_f64 v[131:132], v[131:132], v[196:197]
	v_add_f64 v[133:134], v[133:134], v[180:181]
	s_waitcnt vmcnt(51) lgkmcnt(1)
	v_mul_f64 v[196:197], v[7:8], v[207:208]
	v_mul_f64 v[180:181], v[5:6], v[207:208]
	s_waitcnt vmcnt(49)
	v_fma_f64 v[194:195], v[127:128], v[141:142], -v[194:195]
	v_fma_f64 v[141:142], v[129:130], v[141:142], v[176:177]
	v_add_f64 v[131:132], v[131:132], v[190:191]
	v_add_f64 v[133:134], v[133:134], v[184:185]
	s_clause 0x3
	buffer_load_dword v176, off, s[0:3], 0 offset:448
	buffer_load_dword v177, off, s[0:3], 0 offset:452
	;; [unrolled: 1-line block ×4, first 2 shown]
	ds_read_b128 v[127:130], v147 offset:1712
	s_waitcnt vmcnt(49) lgkmcnt(1)
	v_mul_f64 v[190:191], v[1:2], v[145:146]
	v_mul_f64 v[145:146], v[3:4], v[145:146]
	s_waitcnt vmcnt(48)
	v_fma_f64 v[196:197], v[5:6], v[209:210], -v[196:197]
	v_fma_f64 v[180:181], v[7:8], v[209:210], v[180:181]
	ds_read_b128 v[5:8], v147 offset:1728
	v_add_f64 v[131:132], v[131:132], v[194:195]
	v_add_f64 v[133:134], v[133:134], v[141:142]
	s_waitcnt vmcnt(47) lgkmcnt(1)
	v_mul_f64 v[141:142], v[127:128], v[152:153]
	v_mul_f64 v[152:153], v[129:130], v[152:153]
	s_waitcnt vmcnt(45)
	v_fma_f64 v[145:146], v[1:2], v[139:140], -v[145:146]
	v_fma_f64 v[139:140], v[3:4], v[139:140], v[190:191]
	ds_read_b128 v[1:4], v147 offset:1744
	v_add_f64 v[131:132], v[131:132], v[196:197]
	v_add_f64 v[133:134], v[133:134], v[180:181]
	s_waitcnt vmcnt(41) lgkmcnt(1)
	v_mul_f64 v[180:181], v[5:6], v[154:155]
	v_mul_f64 v[154:155], v[7:8], v[154:155]
	s_waitcnt vmcnt(40)
	v_fma_f64 v[141:142], v[129:130], v[205:206], v[141:142]
	v_fma_f64 v[152:153], v[127:128], v[205:206], -v[152:153]
	ds_read_b128 v[127:130], v147 offset:1760
	v_add_f64 v[131:132], v[131:132], v[145:146]
	v_add_f64 v[133:134], v[133:134], v[139:140]
	s_waitcnt vmcnt(39) lgkmcnt(1)
	v_mul_f64 v[145:146], v[3:4], v[156:157]
	v_mul_f64 v[139:140], v[1:2], v[156:157]
	s_waitcnt vmcnt(37)
	v_fma_f64 v[154:155], v[5:6], v[137:138], -v[154:155]
	v_fma_f64 v[137:138], v[7:8], v[137:138], v[180:181]
	ds_read_b128 v[5:8], v147 offset:1776
	v_add_f64 v[131:132], v[131:132], v[152:153]
	v_add_f64 v[133:134], v[133:134], v[141:142]
	s_waitcnt vmcnt(33) lgkmcnt(1)
	v_mul_f64 v[141:142], v[127:128], v[135:136]
	v_mul_f64 v[135:136], v[129:130], v[135:136]
	s_waitcnt vmcnt(32)
	v_fma_f64 v[145:146], v[1:2], v[158:159], -v[145:146]
	v_fma_f64 v[139:140], v[3:4], v[158:159], v[139:140]
	;; [unrolled: 9-line block ×3, first 2 shown]
	ds_read_b128 v[127:130], v147 offset:1808
	v_add_f64 v[131:132], v[131:132], v[145:146]
	v_add_f64 v[133:134], v[133:134], v[139:140]
	s_waitcnt vmcnt(25) lgkmcnt(1)
	v_mul_f64 v[139:140], v[1:2], v[143:144]
	v_mul_f64 v[143:144], v[3:4], v[143:144]
	s_waitcnt vmcnt(24)
	v_fma_f64 v[145:146], v[5:6], v[166:167], -v[152:153]
	v_add_f64 v[131:132], v[131:132], v[135:136]
	v_fma_f64 v[135:136], v[7:8], v[166:167], v[137:138]
	v_add_f64 v[133:134], v[133:134], v[141:142]
	ds_read_b128 v[5:8], v147 offset:1824
	s_waitcnt vmcnt(23) lgkmcnt(1)
	v_mul_f64 v[141:142], v[129:130], v[170:171]
	v_mul_f64 v[137:138], v[127:128], v[170:171]
	s_waitcnt vmcnt(21)
	v_fma_f64 v[143:144], v[1:2], v[148:149], -v[143:144]
	v_fma_f64 v[139:140], v[3:4], v[148:149], v[139:140]
	ds_read_b128 v[1:4], v147 offset:1840
	v_add_f64 v[131:132], v[131:132], v[145:146]
	v_add_f64 v[133:134], v[133:134], v[135:136]
	s_waitcnt vmcnt(17) lgkmcnt(1)
	v_mul_f64 v[145:146], v[7:8], v[160:161]
	s_waitcnt vmcnt(16)
	v_fma_f64 v[141:142], v[127:128], v[174:175], -v[141:142]
	v_mul_f64 v[135:136], v[5:6], v[160:161]
	v_fma_f64 v[137:138], v[129:130], v[174:175], v[137:138]
	ds_read_b128 v[127:130], v147 offset:1856
	v_add_f64 v[131:132], v[131:132], v[143:144]
	v_add_f64 v[133:134], v[133:134], v[139:140]
	s_waitcnt vmcnt(15) lgkmcnt(1)
	v_mul_f64 v[143:144], v[3:4], v[178:179]
	v_mul_f64 v[139:140], v[1:2], v[178:179]
	s_waitcnt vmcnt(13)
	v_fma_f64 v[145:146], v[5:6], v[164:165], -v[145:146]
	v_fma_f64 v[135:136], v[7:8], v[164:165], v[135:136]
	ds_read_b128 v[5:8], v147 offset:1872
	v_add_f64 v[131:132], v[131:132], v[141:142]
	v_add_f64 v[133:134], v[133:134], v[137:138]
	s_waitcnt vmcnt(9) lgkmcnt(1)
	v_mul_f64 v[141:142], v[129:130], v[168:169]
	s_waitcnt vmcnt(8)
	v_fma_f64 v[1:2], v[1:2], v[182:183], -v[143:144]
	v_mul_f64 v[137:138], v[127:128], v[168:169]
	v_fma_f64 v[3:4], v[3:4], v[182:183], v[139:140]
	v_add_f64 v[131:132], v[131:132], v[145:146]
	v_add_f64 v[133:134], v[133:134], v[135:136]
	s_waitcnt vmcnt(7) lgkmcnt(0)
	v_mul_f64 v[139:140], v[7:8], v[188:189]
	v_mul_f64 v[135:136], v[5:6], v[188:189]
	s_waitcnt vmcnt(5)
	v_fma_f64 v[127:128], v[127:128], v[172:173], -v[141:142]
	v_fma_f64 v[129:130], v[129:130], v[172:173], v[137:138]
	v_add_f64 v[1:2], v[131:132], v[1:2]
	v_add_f64 v[3:4], v[133:134], v[3:4]
	s_waitcnt vmcnt(4)
	v_fma_f64 v[5:6], v[5:6], v[192:193], -v[139:140]
	v_fma_f64 v[7:8], v[7:8], v[192:193], v[135:136]
	v_add_f64 v[1:2], v[1:2], v[127:128]
	v_add_f64 v[3:4], v[3:4], v[129:130]
	;; [unrolled: 1-line block ×4, first 2 shown]
	s_waitcnt vmcnt(2)
	v_add_f64 v[1:2], v[176:177], -v[1:2]
	s_waitcnt vmcnt(0)
	v_add_f64 v[3:4], v[184:185], -v[3:4]
	buffer_store_dword v2, off, s[0:3], 0 offset:452
	buffer_store_dword v1, off, s[0:3], 0 offset:448
	;; [unrolled: 1-line block ×4, first 2 shown]
	v_cmpx_lt_u32_e32 26, v0
	s_cbranch_execz .LBB122_315
; %bb.314:
	v_mov_b32_e32 v4, s45
	s_clause 0x3
	buffer_load_dword v1, v4, s[0:3], 0 offen
	buffer_load_dword v2, v4, s[0:3], 0 offen offset:4
	buffer_load_dword v3, v4, s[0:3], 0 offen offset:8
	;; [unrolled: 1-line block ×3, first 2 shown]
	buffer_store_dword v147, off, s[0:3], 0 offset:432
	buffer_store_dword v147, off, s[0:3], 0 offset:436
	;; [unrolled: 1-line block ×4, first 2 shown]
	s_waitcnt vmcnt(0)
	ds_write_b128 v187, v[1:4]
.LBB122_315:
	s_or_b32 exec_lo, exec_lo, s4
	s_waitcnt lgkmcnt(0)
	s_waitcnt_vscnt null, 0x0
	s_barrier
	buffer_gl0_inv
	s_clause 0x37
	buffer_load_dword v127, off, s[0:3], 0 offset:456
	buffer_load_dword v128, off, s[0:3], 0 offset:460
	;; [unrolled: 1-line block ×56, first 2 shown]
	ds_read_b128 v[148:151], v147 offset:1376
	s_clause 0x2
	buffer_load_dword v189, off, s[0:3], 0 offset:684
	buffer_load_dword v193, off, s[0:3], 0 offset:660
	;; [unrolled: 1-line block ×3, first 2 shown]
	ds_read_b128 v[152:155], v147 offset:1392
	s_clause 0x4
	buffer_load_dword v197, off, s[0:3], 0 offset:700
	buffer_load_dword v198, off, s[0:3], 0 offset:712
	;; [unrolled: 1-line block ×5, first 2 shown]
	ds_read_b128 v[156:159], v147 offset:1408
	s_clause 0x2
	buffer_load_dword v199, off, s[0:3], 0 offset:716
	buffer_load_dword v204, off, s[0:3], 0 offset:692
	;; [unrolled: 1-line block ×3, first 2 shown]
	s_mov_b32 s4, exec_lo
	s_waitcnt vmcnt(62) lgkmcnt(2)
	v_mul_f64 v[194:195], v[150:151], v[127:128]
	v_mul_f64 v[127:128], v[148:149], v[127:128]
	s_waitcnt lgkmcnt(1)
	v_mul_f64 v[201:202], v[154:155], v[5:6]
	s_waitcnt vmcnt(59) lgkmcnt(0)
	v_mul_f64 v[205:206], v[158:159], v[3:4]
	v_fma_f64 v[148:149], v[148:149], v[7:8], -v[194:195]
	v_mul_f64 v[194:195], v[152:153], v[5:6]
	v_fma_f64 v[127:128], v[150:151], v[7:8], v[127:128]
	s_waitcnt vmcnt(57)
	v_fma_f64 v[152:153], v[152:153], v[1:2], -v[201:202]
	ds_read_b128 v[5:8], v147 offset:1424
	v_mul_f64 v[150:151], v[156:157], v[3:4]
	s_waitcnt vmcnt(51)
	v_fma_f64 v[156:157], v[156:157], v[143:144], -v[205:206]
	v_add_f64 v[148:149], v[148:149], 0
	v_fma_f64 v[154:155], v[154:155], v[1:2], v[194:195]
	v_add_f64 v[127:128], v[127:128], 0
	s_clause 0x4
	buffer_load_dword v195, off, s[0:3], 0 offset:732
	buffer_load_dword v207, off, s[0:3], 0 offset:744
	;; [unrolled: 1-line block ×5, first 2 shown]
	s_waitcnt lgkmcnt(0)
	v_mul_f64 v[210:211], v[5:6], v[131:132]
	v_mul_f64 v[131:132], v[7:8], v[131:132]
	ds_read_b128 v[1:4], v147 offset:1440
	v_fma_f64 v[143:144], v[158:159], v[143:144], v[150:151]
	v_add_f64 v[152:153], v[148:149], v[152:153]
	v_add_f64 v[127:128], v[127:128], v[154:155]
	s_clause 0x2
	buffer_load_dword v208, off, s[0:3], 0 offset:748
	buffer_load_dword v155, off, s[0:3], 0 offset:724
	;; [unrolled: 1-line block ×3, first 2 shown]
	s_waitcnt vmcnt(58) lgkmcnt(0)
	v_mul_f64 v[158:159], v[1:2], v[135:136]
	v_mul_f64 v[135:136], v[3:4], v[135:136]
	s_waitcnt vmcnt(56)
	v_fma_f64 v[131:132], v[5:6], v[137:138], -v[131:132]
	ds_read_b128 v[148:151], v147 offset:1456
	v_fma_f64 v[137:138], v[7:8], v[137:138], v[210:211]
	v_add_f64 v[152:153], v[152:153], v[156:157]
	v_add_f64 v[127:128], v[127:128], v[143:144]
	s_clause 0x4
	buffer_load_dword v144, off, s[0:3], 0 offset:764
	buffer_load_dword v156, off, s[0:3], 0 offset:776
	;; [unrolled: 1-line block ×5, first 2 shown]
	ds_read_b128 v[5:8], v147 offset:1472
	s_waitcnt vmcnt(57) lgkmcnt(1)
	v_mul_f64 v[211:212], v[148:149], v[139:140]
	v_mul_f64 v[139:140], v[150:151], v[139:140]
	s_waitcnt vmcnt(56)
	v_fma_f64 v[135:136], v[1:2], v[129:130], -v[135:136]
	v_fma_f64 v[129:130], v[3:4], v[129:130], v[158:159]
	v_add_f64 v[131:132], v[152:153], v[131:132]
	v_add_f64 v[127:128], v[127:128], v[137:138]
	s_clause 0x2
	buffer_load_dword v157, off, s[0:3], 0 offset:780
	buffer_load_dword v138, off, s[0:3], 0 offset:756
	;; [unrolled: 1-line block ×3, first 2 shown]
	s_waitcnt vmcnt(58) lgkmcnt(0)
	v_mul_f64 v[152:153], v[5:6], v[145:146]
	v_mul_f64 v[145:146], v[7:8], v[145:146]
	s_waitcnt vmcnt(56)
	v_fma_f64 v[139:140], v[148:149], v[160:161], -v[139:140]
	ds_read_b128 v[1:4], v147 offset:1488
	v_add_f64 v[131:132], v[131:132], v[135:136]
	v_fma_f64 v[135:136], v[150:151], v[160:161], v[211:212]
	v_add_f64 v[148:149], v[127:128], v[129:130]
	s_clause 0x4
	buffer_load_dword v151, off, s[0:3], 0 offset:796
	buffer_load_dword v158, off, s[0:3], 0 offset:808
	;; [unrolled: 1-line block ×5, first 2 shown]
	ds_read_b128 v[127:130], v147 offset:1504
	s_waitcnt vmcnt(57) lgkmcnt(1)
	v_mul_f64 v[211:212], v[1:2], v[162:163]
	v_mul_f64 v[161:162], v[3:4], v[162:163]
	s_waitcnt vmcnt(56)
	v_fma_f64 v[145:146], v[5:6], v[133:134], -v[145:146]
	v_fma_f64 v[133:134], v[7:8], v[133:134], v[152:153]
	v_add_f64 v[131:132], v[131:132], v[139:140]
	s_clause 0x2
	buffer_load_dword v159, off, s[0:3], 0 offset:812
	buffer_load_dword v140, off, s[0:3], 0 offset:788
	;; [unrolled: 1-line block ×3, first 2 shown]
	v_add_f64 v[135:136], v[148:149], v[135:136]
	s_waitcnt vmcnt(58) lgkmcnt(0)
	v_mul_f64 v[152:153], v[129:130], v[164:165]
	ds_read_b128 v[5:8], v147 offset:1520
	v_mul_f64 v[148:149], v[127:128], v[164:165]
	s_waitcnt vmcnt(56)
	v_fma_f64 v[162:163], v[1:2], v[166:167], -v[161:162]
	v_add_f64 v[131:132], v[131:132], v[145:146]
	v_fma_f64 v[145:146], v[3:4], v[166:167], v[211:212]
	v_add_f64 v[133:134], v[135:136], v[133:134]
	s_clause 0x4
	buffer_load_dword v136, off, s[0:3], 0 offset:828
	buffer_load_dword v164, off, s[0:3], 0 offset:840
	buffer_load_dword v166, off, s[0:3], 0 offset:832
	buffer_load_dword v135, off, s[0:3], 0 offset:824
	buffer_load_dword v161, off, s[0:3], 0 offset:804
	s_waitcnt vmcnt(57) lgkmcnt(0)
	v_mul_f64 v[211:212], v[5:6], v[168:169]
	v_mul_f64 v[167:168], v[7:8], v[168:169]
	s_waitcnt vmcnt(56)
	v_fma_f64 v[152:153], v[127:128], v[141:142], -v[152:153]
	ds_read_b128 v[1:4], v147 offset:1536
	v_fma_f64 v[141:142], v[129:130], v[141:142], v[148:149]
	v_add_f64 v[131:132], v[131:132], v[162:163]
	v_add_f64 v[133:134], v[133:134], v[145:146]
	s_clause 0x2
	buffer_load_dword v165, off, s[0:3], 0 offset:844
	buffer_load_dword v146, off, s[0:3], 0 offset:820
	buffer_load_dword v145, off, s[0:3], 0 offset:816
	ds_read_b128 v[127:130], v147 offset:1552
	s_waitcnt vmcnt(58) lgkmcnt(1)
	v_mul_f64 v[162:163], v[3:4], v[170:171]
	s_waitcnt vmcnt(56)
	v_fma_f64 v[168:169], v[5:6], v[174:175], -v[167:168]
	v_mul_f64 v[148:149], v[1:2], v[170:171]
	v_add_f64 v[131:132], v[131:132], v[152:153]
	v_fma_f64 v[152:153], v[7:8], v[174:175], v[211:212]
	v_add_f64 v[133:134], v[133:134], v[141:142]
	s_clause 0x4
	buffer_load_dword v142, off, s[0:3], 0 offset:860
	buffer_load_dword v170, off, s[0:3], 0 offset:872
	buffer_load_dword v174, off, s[0:3], 0 offset:864
	buffer_load_dword v141, off, s[0:3], 0 offset:856
	buffer_load_dword v167, off, s[0:3], 0 offset:836
	s_waitcnt vmcnt(57) lgkmcnt(0)
	v_mul_f64 v[211:212], v[127:128], v[176:177]
	v_mul_f64 v[175:176], v[129:130], v[176:177]
	s_waitcnt vmcnt(56)
	v_fma_f64 v[162:163], v[1:2], v[172:173], -v[162:163]
	ds_read_b128 v[5:8], v147 offset:1568
	v_fma_f64 v[148:149], v[3:4], v[172:173], v[148:149]
	v_add_f64 v[131:132], v[131:132], v[168:169]
	v_add_f64 v[133:134], v[133:134], v[152:153]
	s_clause 0x2
	buffer_load_dword v171, off, s[0:3], 0 offset:876
	buffer_load_dword v153, off, s[0:3], 0 offset:852
	buffer_load_dword v152, off, s[0:3], 0 offset:848
	ds_read_b128 v[1:4], v147 offset:1584
	s_waitcnt vmcnt(58) lgkmcnt(1)
	v_mul_f64 v[172:173], v[7:8], v[178:179]
	s_waitcnt vmcnt(56)
	v_fma_f64 v[176:177], v[127:128], v[182:183], -v[175:176]
	v_mul_f64 v[168:169], v[5:6], v[178:179]
	;; [unrolled: 28-line block ×4, first 2 shown]
	v_add_f64 v[131:132], v[131:132], v[180:181]
	v_fma_f64 v[180:181], v[7:8], v[203:204], v[211:212]
	v_add_f64 v[133:134], v[133:134], v[176:177]
	s_clause 0x2
	buffer_load_dword v177, off, s[0:3], 0 offset:956
	buffer_load_dword v176, off, s[0:3], 0 offset:952
	;; [unrolled: 1-line block ×3, first 2 shown]
	ds_read_b128 v[5:8], v147 offset:1664
	s_waitcnt vmcnt(55) lgkmcnt(1)
	v_mul_f64 v[198:199], v[127:128], v[194:195]
	v_mul_f64 v[194:195], v[129:130], v[194:195]
	s_waitcnt vmcnt(54)
	v_fma_f64 v[190:191], v[1:2], v[200:201], -v[190:191]
	v_fma_f64 v[184:185], v[3:4], v[200:201], v[184:185]
	v_add_f64 v[131:132], v[131:132], v[196:197]
	v_add_f64 v[133:134], v[133:134], v[180:181]
	s_clause 0x1
	buffer_load_dword v181, off, s[0:3], 0 offset:948
	buffer_load_dword v180, off, s[0:3], 0 offset:944
	ds_read_b128 v[1:4], v147 offset:1680
	s_waitcnt vmcnt(55) lgkmcnt(1)
	v_mul_f64 v[200:201], v[7:8], v[207:208]
	v_mul_f64 v[196:197], v[5:6], v[207:208]
	s_waitcnt vmcnt(53)
	v_fma_f64 v[194:195], v[127:128], v[154:155], -v[194:195]
	v_fma_f64 v[154:155], v[129:130], v[154:155], v[198:199]
	ds_read_b128 v[127:130], v147 offset:1696
	v_add_f64 v[131:132], v[131:132], v[190:191]
	v_add_f64 v[133:134], v[133:134], v[184:185]
	s_waitcnt vmcnt(49) lgkmcnt(1)
	v_mul_f64 v[184:185], v[1:2], v[143:144]
	v_mul_f64 v[143:144], v[3:4], v[143:144]
	s_waitcnt vmcnt(48)
	v_fma_f64 v[190:191], v[5:6], v[209:210], -v[200:201]
	v_add_f64 v[131:132], v[131:132], v[194:195]
	v_fma_f64 v[194:195], v[7:8], v[209:210], v[196:197]
	v_add_f64 v[133:134], v[133:134], v[154:155]
	s_clause 0x3
	buffer_load_dword v154, off, s[0:3], 0 offset:432
	buffer_load_dword v155, off, s[0:3], 0 offset:436
	;; [unrolled: 1-line block ×4, first 2 shown]
	ds_read_b128 v[5:8], v147 offset:1712
	s_waitcnt vmcnt(51) lgkmcnt(1)
	v_mul_f64 v[198:199], v[127:128], v[156:157]
	v_mul_f64 v[156:157], v[129:130], v[156:157]
	s_waitcnt vmcnt(49)
	v_fma_f64 v[143:144], v[1:2], v[137:138], -v[143:144]
	v_fma_f64 v[137:138], v[3:4], v[137:138], v[184:185]
	ds_read_b128 v[1:4], v147 offset:1728
	v_add_f64 v[131:132], v[131:132], v[190:191]
	v_add_f64 v[133:134], v[133:134], v[194:195]
	s_waitcnt vmcnt(45) lgkmcnt(1)
	v_mul_f64 v[184:185], v[5:6], v[150:151]
	v_mul_f64 v[150:151], v[7:8], v[150:151]
	s_waitcnt vmcnt(44)
	v_fma_f64 v[156:157], v[127:128], v[205:206], -v[156:157]
	v_add_f64 v[131:132], v[131:132], v[143:144]
	v_fma_f64 v[143:144], v[129:130], v[205:206], v[198:199]
	v_add_f64 v[133:134], v[133:134], v[137:138]
	ds_read_b128 v[127:130], v147 offset:1744
	s_waitcnt vmcnt(43) lgkmcnt(1)
	v_mul_f64 v[137:138], v[1:2], v[158:159]
	v_mul_f64 v[158:159], v[3:4], v[158:159]
	s_waitcnt vmcnt(41)
	v_fma_f64 v[150:151], v[5:6], v[139:140], -v[150:151]
	v_fma_f64 v[139:140], v[7:8], v[139:140], v[184:185]
	ds_read_b128 v[5:8], v147 offset:1760
	v_add_f64 v[131:132], v[131:132], v[156:157]
	v_add_f64 v[133:134], v[133:134], v[143:144]
	s_waitcnt vmcnt(37) lgkmcnt(1)
	v_mul_f64 v[143:144], v[127:128], v[135:136]
	v_mul_f64 v[135:136], v[129:130], v[135:136]
	s_waitcnt vmcnt(36)
	v_fma_f64 v[156:157], v[1:2], v[160:161], -v[158:159]
	v_fma_f64 v[137:138], v[3:4], v[160:161], v[137:138]
	ds_read_b128 v[1:4], v147 offset:1776
	v_add_f64 v[131:132], v[131:132], v[150:151]
	v_add_f64 v[133:134], v[133:134], v[139:140]
	s_waitcnt vmcnt(35) lgkmcnt(1)
	v_mul_f64 v[150:151], v[7:8], v[164:165]
	v_mul_f64 v[139:140], v[5:6], v[164:165]
	s_waitcnt vmcnt(33)
	v_fma_f64 v[135:136], v[127:128], v[145:146], -v[135:136]
	v_fma_f64 v[143:144], v[129:130], v[145:146], v[143:144]
	ds_read_b128 v[127:130], v147 offset:1792
	v_add_f64 v[131:132], v[131:132], v[156:157]
	v_add_f64 v[133:134], v[133:134], v[137:138]
	s_waitcnt vmcnt(29) lgkmcnt(1)
	v_mul_f64 v[137:138], v[1:2], v[141:142]
	v_mul_f64 v[141:142], v[3:4], v[141:142]
	s_waitcnt vmcnt(28)
	v_fma_f64 v[145:146], v[5:6], v[166:167], -v[150:151]
	v_add_f64 v[131:132], v[131:132], v[135:136]
	v_fma_f64 v[135:136], v[7:8], v[166:167], v[139:140]
	v_add_f64 v[133:134], v[133:134], v[143:144]
	ds_read_b128 v[5:8], v147 offset:1808
	s_waitcnt vmcnt(27) lgkmcnt(1)
	v_mul_f64 v[143:144], v[129:130], v[170:171]
	v_mul_f64 v[139:140], v[127:128], v[170:171]
	s_waitcnt vmcnt(25)
	v_fma_f64 v[141:142], v[1:2], v[152:153], -v[141:142]
	v_fma_f64 v[137:138], v[3:4], v[152:153], v[137:138]
	ds_read_b128 v[1:4], v147 offset:1824
	v_add_f64 v[131:132], v[131:132], v[145:146]
	v_add_f64 v[133:134], v[133:134], v[135:136]
	s_waitcnt vmcnt(21) lgkmcnt(1)
	v_mul_f64 v[145:146], v[7:8], v[148:149]
	s_waitcnt vmcnt(20)
	v_fma_f64 v[143:144], v[127:128], v[174:175], -v[143:144]
	v_mul_f64 v[135:136], v[5:6], v[148:149]
	v_fma_f64 v[139:140], v[129:130], v[174:175], v[139:140]
	ds_read_b128 v[127:130], v147 offset:1840
	v_add_f64 v[131:132], v[131:132], v[141:142]
	v_add_f64 v[133:134], v[133:134], v[137:138]
	s_waitcnt vmcnt(19) lgkmcnt(1)
	v_mul_f64 v[141:142], v[3:4], v[178:179]
	v_mul_f64 v[137:138], v[1:2], v[178:179]
	s_waitcnt vmcnt(17)
	v_fma_f64 v[145:146], v[5:6], v[162:163], -v[145:146]
	v_fma_f64 v[135:136], v[7:8], v[162:163], v[135:136]
	ds_read_b128 v[5:8], v147 offset:1856
	v_add_f64 v[131:132], v[131:132], v[143:144]
	v_add_f64 v[133:134], v[133:134], v[139:140]
	s_waitcnt vmcnt(13) lgkmcnt(1)
	v_mul_f64 v[143:144], v[129:130], v[168:169]
	s_waitcnt vmcnt(12)
	v_fma_f64 v[141:142], v[1:2], v[182:183], -v[141:142]
	v_mul_f64 v[139:140], v[127:128], v[168:169]
	v_fma_f64 v[137:138], v[3:4], v[182:183], v[137:138]
	ds_read_b128 v[1:4], v147 offset:1872
	v_add_f64 v[131:132], v[131:132], v[145:146]
	v_add_f64 v[133:134], v[133:134], v[135:136]
	s_waitcnt vmcnt(11) lgkmcnt(1)
	v_mul_f64 v[145:146], v[7:8], v[188:189]
	v_mul_f64 v[135:136], v[5:6], v[188:189]
	s_waitcnt vmcnt(9)
	v_fma_f64 v[127:128], v[127:128], v[172:173], -v[143:144]
	v_fma_f64 v[129:130], v[129:130], v[172:173], v[139:140]
	v_add_f64 v[131:132], v[131:132], v[141:142]
	v_add_f64 v[133:134], v[133:134], v[137:138]
	s_waitcnt vmcnt(7) lgkmcnt(0)
	v_mul_f64 v[139:140], v[3:4], v[176:177]
	s_waitcnt vmcnt(6)
	v_fma_f64 v[5:6], v[5:6], v[192:193], -v[145:146]
	v_mul_f64 v[137:138], v[1:2], v[176:177]
	v_fma_f64 v[7:8], v[7:8], v[192:193], v[135:136]
	v_add_f64 v[127:128], v[131:132], v[127:128]
	v_add_f64 v[129:130], v[133:134], v[129:130]
	s_waitcnt vmcnt(4)
	v_fma_f64 v[1:2], v[1:2], v[180:181], -v[139:140]
	v_fma_f64 v[3:4], v[3:4], v[180:181], v[137:138]
	v_add_f64 v[5:6], v[127:128], v[5:6]
	v_add_f64 v[7:8], v[129:130], v[7:8]
	;; [unrolled: 1-line block ×4, first 2 shown]
	s_waitcnt vmcnt(2)
	v_add_f64 v[1:2], v[154:155], -v[1:2]
	s_waitcnt vmcnt(0)
	v_add_f64 v[3:4], v[196:197], -v[3:4]
	buffer_store_dword v2, off, s[0:3], 0 offset:436
	buffer_store_dword v1, off, s[0:3], 0 offset:432
	;; [unrolled: 1-line block ×4, first 2 shown]
	v_cmpx_lt_u32_e32 25, v0
	s_cbranch_execz .LBB122_317
; %bb.316:
	v_mov_b32_e32 v4, s46
	v_mov_b32_e32 v5, 0
	s_clause 0x3
	buffer_load_dword v1, v4, s[0:3], 0 offen
	buffer_load_dword v2, v4, s[0:3], 0 offen offset:4
	buffer_load_dword v3, v4, s[0:3], 0 offen offset:8
	;; [unrolled: 1-line block ×3, first 2 shown]
	buffer_store_dword v5, off, s[0:3], 0 offset:416
	buffer_store_dword v5, off, s[0:3], 0 offset:420
	buffer_store_dword v5, off, s[0:3], 0 offset:424
	buffer_store_dword v5, off, s[0:3], 0 offset:428
	s_waitcnt vmcnt(0)
	ds_write_b128 v187, v[1:4]
.LBB122_317:
	s_or_b32 exec_lo, exec_lo, s4
	s_waitcnt lgkmcnt(0)
	s_waitcnt_vscnt null, 0x0
	s_barrier
	buffer_gl0_inv
	s_clause 0x37
	buffer_load_dword v127, off, s[0:3], 0 offset:440
	buffer_load_dword v128, off, s[0:3], 0 offset:444
	;; [unrolled: 1-line block ×56, first 2 shown]
	v_mov_b32_e32 v169, 0
	s_mov_b32 s4, exec_lo
	ds_read_b128 v[157:160], v169 offset:1360
	s_clause 0x2
	buffer_load_dword v189, off, s[0:3], 0 offset:668
	buffer_load_dword v193, off, s[0:3], 0 offset:644
	;; [unrolled: 1-line block ×3, first 2 shown]
	ds_read_b128 v[161:164], v169 offset:1376
	s_clause 0x4
	buffer_load_dword v197, off, s[0:3], 0 offset:684
	buffer_load_dword v198, off, s[0:3], 0 offset:696
	;; [unrolled: 1-line block ×5, first 2 shown]
	ds_read_b128 v[165:168], v169 offset:1392
	s_clause 0x2
	buffer_load_dword v199, off, s[0:3], 0 offset:700
	buffer_load_dword v204, off, s[0:3], 0 offset:676
	;; [unrolled: 1-line block ×3, first 2 shown]
	s_waitcnt vmcnt(62) lgkmcnt(2)
	v_mul_f64 v[194:195], v[159:160], v[127:128]
	v_mul_f64 v[127:128], v[157:158], v[127:128]
	s_waitcnt lgkmcnt(1)
	v_mul_f64 v[201:202], v[163:164], v[5:6]
	s_waitcnt vmcnt(59) lgkmcnt(0)
	v_mul_f64 v[205:206], v[167:168], v[3:4]
	v_fma_f64 v[157:158], v[157:158], v[7:8], -v[194:195]
	v_mul_f64 v[194:195], v[161:162], v[5:6]
	v_fma_f64 v[127:128], v[159:160], v[7:8], v[127:128]
	s_waitcnt vmcnt(57)
	v_fma_f64 v[161:162], v[161:162], v[1:2], -v[201:202]
	ds_read_b128 v[5:8], v169 offset:1408
	v_mul_f64 v[159:160], v[165:166], v[3:4]
	s_waitcnt vmcnt(51)
	v_fma_f64 v[165:166], v[165:166], v[143:144], -v[205:206]
	v_add_f64 v[157:158], v[157:158], 0
	v_fma_f64 v[163:164], v[163:164], v[1:2], v[194:195]
	v_add_f64 v[127:128], v[127:128], 0
	s_clause 0x4
	buffer_load_dword v195, off, s[0:3], 0 offset:716
	buffer_load_dword v207, off, s[0:3], 0 offset:728
	;; [unrolled: 1-line block ×5, first 2 shown]
	s_waitcnt lgkmcnt(0)
	v_mul_f64 v[210:211], v[5:6], v[131:132]
	v_mul_f64 v[131:132], v[7:8], v[131:132]
	ds_read_b128 v[1:4], v169 offset:1424
	v_fma_f64 v[143:144], v[167:168], v[143:144], v[159:160]
	v_add_f64 v[161:162], v[157:158], v[161:162]
	v_add_f64 v[127:128], v[127:128], v[163:164]
	s_clause 0x2
	buffer_load_dword v208, off, s[0:3], 0 offset:732
	buffer_load_dword v164, off, s[0:3], 0 offset:708
	;; [unrolled: 1-line block ×3, first 2 shown]
	s_waitcnt vmcnt(58) lgkmcnt(0)
	v_mul_f64 v[167:168], v[1:2], v[135:136]
	v_mul_f64 v[135:136], v[3:4], v[135:136]
	s_waitcnt vmcnt(56)
	v_fma_f64 v[131:132], v[5:6], v[137:138], -v[131:132]
	ds_read_b128 v[157:160], v169 offset:1440
	v_fma_f64 v[137:138], v[7:8], v[137:138], v[210:211]
	v_add_f64 v[161:162], v[161:162], v[165:166]
	v_add_f64 v[127:128], v[127:128], v[143:144]
	s_clause 0x4
	buffer_load_dword v144, off, s[0:3], 0 offset:748
	buffer_load_dword v165, off, s[0:3], 0 offset:760
	buffer_load_dword v205, off, s[0:3], 0 offset:752
	buffer_load_dword v143, off, s[0:3], 0 offset:744
	buffer_load_dword v210, off, s[0:3], 0 offset:724
	ds_read_b128 v[5:8], v169 offset:1456
	s_waitcnt vmcnt(57) lgkmcnt(1)
	v_mul_f64 v[211:212], v[157:158], v[139:140]
	v_mul_f64 v[139:140], v[159:160], v[139:140]
	s_waitcnt vmcnt(56)
	v_fma_f64 v[135:136], v[1:2], v[129:130], -v[135:136]
	v_fma_f64 v[129:130], v[3:4], v[129:130], v[167:168]
	v_add_f64 v[131:132], v[161:162], v[131:132]
	v_add_f64 v[127:128], v[127:128], v[137:138]
	s_clause 0x2
	buffer_load_dword v166, off, s[0:3], 0 offset:764
	buffer_load_dword v138, off, s[0:3], 0 offset:740
	;; [unrolled: 1-line block ×3, first 2 shown]
	s_waitcnt vmcnt(58) lgkmcnt(0)
	v_mul_f64 v[161:162], v[5:6], v[145:146]
	v_mul_f64 v[145:146], v[7:8], v[145:146]
	s_waitcnt vmcnt(56)
	v_fma_f64 v[139:140], v[157:158], v[147:148], -v[139:140]
	ds_read_b128 v[1:4], v169 offset:1472
	v_add_f64 v[131:132], v[131:132], v[135:136]
	v_fma_f64 v[135:136], v[159:160], v[147:148], v[211:212]
	v_add_f64 v[147:148], v[127:128], v[129:130]
	s_clause 0x4
	buffer_load_dword v158, off, s[0:3], 0 offset:780
	buffer_load_dword v159, off, s[0:3], 0 offset:792
	;; [unrolled: 1-line block ×5, first 2 shown]
	ds_read_b128 v[127:130], v169 offset:1488
	s_waitcnt vmcnt(57) lgkmcnt(1)
	v_mul_f64 v[211:212], v[1:2], v[149:150]
	v_mul_f64 v[149:150], v[3:4], v[149:150]
	s_waitcnt vmcnt(56)
	v_fma_f64 v[145:146], v[5:6], v[133:134], -v[145:146]
	v_fma_f64 v[133:134], v[7:8], v[133:134], v[161:162]
	v_add_f64 v[131:132], v[131:132], v[139:140]
	s_clause 0x2
	buffer_load_dword v160, off, s[0:3], 0 offset:796
	buffer_load_dword v140, off, s[0:3], 0 offset:772
	;; [unrolled: 1-line block ×3, first 2 shown]
	v_add_f64 v[135:136], v[147:148], v[135:136]
	s_waitcnt vmcnt(58) lgkmcnt(0)
	v_mul_f64 v[147:148], v[127:128], v[153:154]
	v_mul_f64 v[153:154], v[129:130], v[153:154]
	ds_read_b128 v[5:8], v169 offset:1504
	s_waitcnt vmcnt(56)
	v_fma_f64 v[149:150], v[1:2], v[155:156], -v[149:150]
	v_add_f64 v[131:132], v[131:132], v[145:146]
	v_fma_f64 v[145:146], v[3:4], v[155:156], v[211:212]
	v_add_f64 v[133:134], v[135:136], v[133:134]
	s_clause 0x4
	buffer_load_dword v136, off, s[0:3], 0 offset:812
	buffer_load_dword v155, off, s[0:3], 0 offset:824
	;; [unrolled: 1-line block ×5, first 2 shown]
	s_waitcnt vmcnt(57) lgkmcnt(0)
	v_mul_f64 v[211:212], v[5:6], v[170:171]
	v_mul_f64 v[170:171], v[7:8], v[170:171]
	s_waitcnt vmcnt(56)
	v_fma_f64 v[153:154], v[127:128], v[141:142], -v[153:154]
	ds_read_b128 v[1:4], v169 offset:1520
	v_fma_f64 v[141:142], v[129:130], v[141:142], v[147:148]
	v_add_f64 v[131:132], v[131:132], v[149:150]
	v_add_f64 v[133:134], v[133:134], v[145:146]
	s_clause 0x2
	buffer_load_dword v156, off, s[0:3], 0 offset:828
	buffer_load_dword v146, off, s[0:3], 0 offset:804
	;; [unrolled: 1-line block ×3, first 2 shown]
	ds_read_b128 v[127:130], v169 offset:1536
	s_waitcnt vmcnt(58) lgkmcnt(1)
	v_mul_f64 v[149:150], v[3:4], v[172:173]
	s_waitcnt vmcnt(56)
	v_fma_f64 v[170:171], v[5:6], v[174:175], -v[170:171]
	v_mul_f64 v[147:148], v[1:2], v[172:173]
	v_add_f64 v[131:132], v[131:132], v[153:154]
	v_fma_f64 v[153:154], v[7:8], v[174:175], v[211:212]
	v_add_f64 v[133:134], v[133:134], v[141:142]
	s_clause 0x4
	buffer_load_dword v142, off, s[0:3], 0 offset:844
	buffer_load_dword v172, off, s[0:3], 0 offset:856
	;; [unrolled: 1-line block ×5, first 2 shown]
	s_waitcnt vmcnt(57) lgkmcnt(0)
	v_mul_f64 v[211:212], v[127:128], v[176:177]
	v_mul_f64 v[175:176], v[129:130], v[176:177]
	s_waitcnt vmcnt(56)
	v_fma_f64 v[149:150], v[1:2], v[151:152], -v[149:150]
	ds_read_b128 v[5:8], v169 offset:1552
	v_fma_f64 v[147:148], v[3:4], v[151:152], v[147:148]
	s_clause 0x2
	buffer_load_dword v173, off, s[0:3], 0 offset:860
	buffer_load_dword v152, off, s[0:3], 0 offset:836
	;; [unrolled: 1-line block ×3, first 2 shown]
	ds_read_b128 v[1:4], v169 offset:1568
	v_add_f64 v[131:132], v[131:132], v[170:171]
	v_add_f64 v[133:134], v[133:134], v[153:154]
	s_waitcnt vmcnt(58) lgkmcnt(1)
	v_mul_f64 v[170:171], v[7:8], v[178:179]
	s_waitcnt vmcnt(56)
	v_fma_f64 v[176:177], v[127:128], v[182:183], -v[175:176]
	v_mul_f64 v[153:154], v[5:6], v[178:179]
	v_add_f64 v[131:132], v[131:132], v[149:150]
	v_fma_f64 v[149:150], v[129:130], v[182:183], v[211:212]
	v_add_f64 v[133:134], v[133:134], v[147:148]
	s_clause 0x4
	buffer_load_dword v148, off, s[0:3], 0 offset:876
	buffer_load_dword v178, off, s[0:3], 0 offset:888
	;; [unrolled: 1-line block ×5, first 2 shown]
	s_waitcnt vmcnt(57) lgkmcnt(0)
	v_mul_f64 v[211:212], v[1:2], v[184:185]
	v_mul_f64 v[183:184], v[3:4], v[184:185]
	s_waitcnt vmcnt(56)
	v_fma_f64 v[170:171], v[5:6], v[180:181], -v[170:171]
	ds_read_b128 v[127:130], v169 offset:1584
	v_fma_f64 v[153:154], v[7:8], v[180:181], v[153:154]
	v_add_f64 v[131:132], v[131:132], v[176:177]
	v_add_f64 v[133:134], v[133:134], v[149:150]
	s_clause 0x2
	buffer_load_dword v179, off, s[0:3], 0 offset:892
	buffer_load_dword v150, off, s[0:3], 0 offset:868
	buffer_load_dword v149, off, s[0:3], 0 offset:864
	ds_read_b128 v[5:8], v169 offset:1600
	s_waitcnt vmcnt(58) lgkmcnt(1)
	v_mul_f64 v[180:181], v[129:130], v[188:189]
	s_waitcnt vmcnt(56)
	v_fma_f64 v[184:185], v[1:2], v[192:193], -v[183:184]
	v_mul_f64 v[176:177], v[127:128], v[188:189]
	v_add_f64 v[131:132], v[131:132], v[170:171]
	v_fma_f64 v[170:171], v[3:4], v[192:193], v[211:212]
	v_add_f64 v[133:134], v[133:134], v[153:154]
	s_clause 0x4
	buffer_load_dword v154, off, s[0:3], 0 offset:908
	buffer_load_dword v188, off, s[0:3], 0 offset:920
	;; [unrolled: 1-line block ×5, first 2 shown]
	s_waitcnt vmcnt(57) lgkmcnt(0)
	v_mul_f64 v[211:212], v[5:6], v[196:197]
	v_mul_f64 v[196:197], v[7:8], v[196:197]
	s_waitcnt vmcnt(56)
	v_fma_f64 v[180:181], v[127:128], v[190:191], -v[180:181]
	ds_read_b128 v[1:4], v169 offset:1616
	v_fma_f64 v[176:177], v[129:130], v[190:191], v[176:177]
	v_add_f64 v[131:132], v[131:132], v[184:185]
	v_add_f64 v[133:134], v[133:134], v[170:171]
	s_clause 0x2
	buffer_load_dword v189, off, s[0:3], 0 offset:924
	buffer_load_dword v171, off, s[0:3], 0 offset:900
	;; [unrolled: 1-line block ×3, first 2 shown]
	ds_read_b128 v[127:130], v169 offset:1632
	s_waitcnt vmcnt(58) lgkmcnt(1)
	v_mul_f64 v[190:191], v[3:4], v[198:199]
	s_waitcnt vmcnt(56)
	v_fma_f64 v[196:197], v[5:6], v[203:204], -v[196:197]
	v_mul_f64 v[184:185], v[1:2], v[198:199]
	v_add_f64 v[131:132], v[131:132], v[180:181]
	v_fma_f64 v[180:181], v[7:8], v[203:204], v[211:212]
	v_add_f64 v[133:134], v[133:134], v[176:177]
	s_clause 0x4
	buffer_load_dword v177, off, s[0:3], 0 offset:940
	buffer_load_dword v198, off, s[0:3], 0 offset:952
	;; [unrolled: 1-line block ×5, first 2 shown]
	ds_read_b128 v[5:8], v169 offset:1648
	s_waitcnt vmcnt(57) lgkmcnt(1)
	v_mul_f64 v[203:204], v[127:128], v[194:195]
	v_mul_f64 v[194:195], v[129:130], v[194:195]
	s_waitcnt vmcnt(56)
	v_fma_f64 v[190:191], v[1:2], v[200:201], -v[190:191]
	v_fma_f64 v[184:185], v[3:4], v[200:201], v[184:185]
	v_add_f64 v[131:132], v[131:132], v[196:197]
	v_add_f64 v[133:134], v[133:134], v[180:181]
	s_clause 0x2
	buffer_load_dword v199, off, s[0:3], 0 offset:956
	buffer_load_dword v181, off, s[0:3], 0 offset:932
	;; [unrolled: 1-line block ×3, first 2 shown]
	ds_read_b128 v[1:4], v169 offset:1664
	s_waitcnt vmcnt(58) lgkmcnt(1)
	v_mul_f64 v[200:201], v[7:8], v[207:208]
	v_mul_f64 v[196:197], v[5:6], v[207:208]
	s_waitcnt vmcnt(56)
	v_fma_f64 v[194:195], v[127:128], v[163:164], -v[194:195]
	v_fma_f64 v[163:164], v[129:130], v[163:164], v[203:204]
	buffer_load_dword v203, off, s[0:3], 0 offset:948
	ds_read_b128 v[127:130], v169 offset:1680
	v_add_f64 v[131:132], v[131:132], v[190:191]
	v_add_f64 v[133:134], v[133:134], v[184:185]
	s_waitcnt vmcnt(53) lgkmcnt(1)
	v_mul_f64 v[184:185], v[1:2], v[143:144]
	v_mul_f64 v[143:144], v[3:4], v[143:144]
	s_waitcnt vmcnt(52)
	v_fma_f64 v[190:191], v[5:6], v[209:210], -v[200:201]
	v_add_f64 v[131:132], v[131:132], v[194:195]
	v_fma_f64 v[194:195], v[7:8], v[209:210], v[196:197]
	v_add_f64 v[133:134], v[133:134], v[163:164]
	ds_read_b128 v[5:8], v169 offset:1696
	s_waitcnt vmcnt(51) lgkmcnt(1)
	v_mul_f64 v[163:164], v[127:128], v[165:166]
	v_mul_f64 v[165:166], v[129:130], v[165:166]
	s_waitcnt vmcnt(49)
	v_fma_f64 v[143:144], v[1:2], v[137:138], -v[143:144]
	v_fma_f64 v[137:138], v[3:4], v[137:138], v[184:185]
	v_add_f64 v[131:132], v[131:132], v[190:191]
	s_clause 0x3
	buffer_load_dword v184, off, s[0:3], 0 offset:416
	buffer_load_dword v185, off, s[0:3], 0 offset:420
	;; [unrolled: 1-line block ×4, first 2 shown]
	v_add_f64 v[133:134], v[133:134], v[194:195]
	ds_read_b128 v[1:4], v169 offset:1712
	s_waitcnt vmcnt(49) lgkmcnt(1)
	v_mul_f64 v[194:195], v[5:6], v[157:158]
	v_mul_f64 v[157:158], v[7:8], v[157:158]
	s_waitcnt vmcnt(48)
	v_fma_f64 v[165:166], v[127:128], v[205:206], -v[165:166]
	v_add_f64 v[131:132], v[131:132], v[143:144]
	v_fma_f64 v[143:144], v[129:130], v[205:206], v[163:164]
	v_add_f64 v[133:134], v[133:134], v[137:138]
	ds_read_b128 v[127:130], v169 offset:1728
	s_waitcnt vmcnt(47) lgkmcnt(1)
	v_mul_f64 v[137:138], v[1:2], v[159:160]
	v_mul_f64 v[159:160], v[3:4], v[159:160]
	s_waitcnt vmcnt(45)
	v_fma_f64 v[157:158], v[5:6], v[139:140], -v[157:158]
	v_fma_f64 v[139:140], v[7:8], v[139:140], v[194:195]
	ds_read_b128 v[5:8], v169 offset:1744
	v_add_f64 v[131:132], v[131:132], v[165:166]
	v_add_f64 v[133:134], v[133:134], v[143:144]
	s_waitcnt vmcnt(41) lgkmcnt(1)
	v_mul_f64 v[143:144], v[127:128], v[135:136]
	v_mul_f64 v[135:136], v[129:130], v[135:136]
	s_waitcnt vmcnt(40)
	v_fma_f64 v[159:160], v[1:2], v[167:168], -v[159:160]
	v_fma_f64 v[137:138], v[3:4], v[167:168], v[137:138]
	ds_read_b128 v[1:4], v169 offset:1760
	v_add_f64 v[131:132], v[131:132], v[157:158]
	v_add_f64 v[133:134], v[133:134], v[139:140]
	;; [unrolled: 9-line block ×3, first 2 shown]
	s_waitcnt vmcnt(33) lgkmcnt(1)
	v_mul_f64 v[137:138], v[1:2], v[141:142]
	v_mul_f64 v[141:142], v[3:4], v[141:142]
	s_waitcnt vmcnt(32)
	v_fma_f64 v[145:146], v[5:6], v[161:162], -v[155:156]
	v_add_f64 v[131:132], v[131:132], v[135:136]
	v_fma_f64 v[135:136], v[7:8], v[161:162], v[139:140]
	v_add_f64 v[133:134], v[133:134], v[143:144]
	ds_read_b128 v[5:8], v169 offset:1792
	s_waitcnt vmcnt(31) lgkmcnt(1)
	v_mul_f64 v[143:144], v[129:130], v[172:173]
	v_mul_f64 v[139:140], v[127:128], v[172:173]
	s_waitcnt vmcnt(29)
	v_fma_f64 v[137:138], v[3:4], v[151:152], v[137:138]
	v_fma_f64 v[141:142], v[1:2], v[151:152], -v[141:142]
	ds_read_b128 v[1:4], v169 offset:1808
	v_add_f64 v[131:132], v[131:132], v[145:146]
	v_add_f64 v[133:134], v[133:134], v[135:136]
	s_waitcnt vmcnt(25) lgkmcnt(1)
	v_mul_f64 v[145:146], v[7:8], v[147:148]
	s_waitcnt vmcnt(24)
	v_fma_f64 v[143:144], v[127:128], v[174:175], -v[143:144]
	v_mul_f64 v[135:136], v[5:6], v[147:148]
	v_fma_f64 v[139:140], v[129:130], v[174:175], v[139:140]
	ds_read_b128 v[127:130], v169 offset:1824
	v_add_f64 v[131:132], v[131:132], v[141:142]
	v_add_f64 v[133:134], v[133:134], v[137:138]
	s_waitcnt vmcnt(23) lgkmcnt(1)
	v_mul_f64 v[141:142], v[3:4], v[178:179]
	v_mul_f64 v[137:138], v[1:2], v[178:179]
	s_waitcnt vmcnt(21)
	v_fma_f64 v[145:146], v[5:6], v[149:150], -v[145:146]
	v_fma_f64 v[135:136], v[7:8], v[149:150], v[135:136]
	ds_read_b128 v[5:8], v169 offset:1840
	v_add_f64 v[131:132], v[131:132], v[143:144]
	v_add_f64 v[133:134], v[133:134], v[139:140]
	s_waitcnt vmcnt(17) lgkmcnt(1)
	v_mul_f64 v[143:144], v[129:130], v[153:154]
	s_waitcnt vmcnt(16)
	v_fma_f64 v[141:142], v[1:2], v[182:183], -v[141:142]
	v_mul_f64 v[139:140], v[127:128], v[153:154]
	v_fma_f64 v[137:138], v[3:4], v[182:183], v[137:138]
	ds_read_b128 v[1:4], v169 offset:1856
	v_add_f64 v[131:132], v[131:132], v[145:146]
	v_add_f64 v[133:134], v[133:134], v[135:136]
	s_waitcnt vmcnt(15) lgkmcnt(1)
	v_mul_f64 v[145:146], v[7:8], v[188:189]
	v_mul_f64 v[135:136], v[5:6], v[188:189]
	s_waitcnt vmcnt(13)
	v_fma_f64 v[143:144], v[127:128], v[170:171], -v[143:144]
	v_fma_f64 v[139:140], v[129:130], v[170:171], v[139:140]
	ds_read_b128 v[127:130], v169 offset:1872
	v_add_f64 v[131:132], v[131:132], v[141:142]
	v_add_f64 v[133:134], v[133:134], v[137:138]
	s_waitcnt vmcnt(9) lgkmcnt(1)
	v_mul_f64 v[141:142], v[3:4], v[176:177]
	s_waitcnt vmcnt(8)
	v_fma_f64 v[5:6], v[5:6], v[192:193], -v[145:146]
	v_mul_f64 v[137:138], v[1:2], v[176:177]
	v_fma_f64 v[7:8], v[7:8], v[192:193], v[135:136]
	v_add_f64 v[131:132], v[131:132], v[143:144]
	v_add_f64 v[133:134], v[133:134], v[139:140]
	s_waitcnt vmcnt(7) lgkmcnt(0)
	v_mul_f64 v[139:140], v[129:130], v[198:199]
	v_mul_f64 v[135:136], v[127:128], v[198:199]
	s_waitcnt vmcnt(5)
	v_fma_f64 v[1:2], v[1:2], v[180:181], -v[141:142]
	v_fma_f64 v[3:4], v[3:4], v[180:181], v[137:138]
	v_add_f64 v[5:6], v[131:132], v[5:6]
	v_add_f64 v[7:8], v[133:134], v[7:8]
	s_waitcnt vmcnt(4)
	v_fma_f64 v[127:128], v[127:128], v[202:203], -v[139:140]
	v_add_f64 v[1:2], v[5:6], v[1:2]
	v_fma_f64 v[5:6], v[129:130], v[202:203], v[135:136]
	v_add_f64 v[3:4], v[7:8], v[3:4]
	v_add_f64 v[1:2], v[1:2], v[127:128]
	;; [unrolled: 1-line block ×3, first 2 shown]
	s_waitcnt vmcnt(2)
	v_add_f64 v[1:2], v[184:185], -v[1:2]
	s_waitcnt vmcnt(0)
	v_add_f64 v[3:4], v[190:191], -v[3:4]
	buffer_store_dword v2, off, s[0:3], 0 offset:420
	buffer_store_dword v1, off, s[0:3], 0 offset:416
	;; [unrolled: 1-line block ×4, first 2 shown]
	v_cmpx_lt_u32_e32 24, v0
	s_cbranch_execz .LBB122_319
; %bb.318:
	v_mov_b32_e32 v4, s47
	s_clause 0x3
	buffer_load_dword v1, v4, s[0:3], 0 offen
	buffer_load_dword v2, v4, s[0:3], 0 offen offset:4
	buffer_load_dword v3, v4, s[0:3], 0 offen offset:8
	;; [unrolled: 1-line block ×3, first 2 shown]
	buffer_store_dword v169, off, s[0:3], 0 offset:400
	buffer_store_dword v169, off, s[0:3], 0 offset:404
	;; [unrolled: 1-line block ×4, first 2 shown]
	s_waitcnt vmcnt(0)
	ds_write_b128 v187, v[1:4]
.LBB122_319:
	s_or_b32 exec_lo, exec_lo, s4
	s_waitcnt lgkmcnt(0)
	s_waitcnt_vscnt null, 0x0
	s_barrier
	buffer_gl0_inv
	s_clause 0x37
	buffer_load_dword v127, off, s[0:3], 0 offset:424
	buffer_load_dword v128, off, s[0:3], 0 offset:428
	;; [unrolled: 1-line block ×56, first 2 shown]
	ds_read_b128 v[170:173], v169 offset:1344
	s_clause 0x2
	buffer_load_dword v191, off, s[0:3], 0 offset:652
	buffer_load_dword v193, off, s[0:3], 0 offset:628
	;; [unrolled: 1-line block ×3, first 2 shown]
	ds_read_b128 v[174:177], v169 offset:1360
	s_clause 0x4
	buffer_load_dword v197, off, s[0:3], 0 offset:668
	buffer_load_dword v198, off, s[0:3], 0 offset:680
	;; [unrolled: 1-line block ×5, first 2 shown]
	ds_read_b128 v[178:181], v169 offset:1376
	s_clause 0x2
	buffer_load_dword v199, off, s[0:3], 0 offset:684
	buffer_load_dword v204, off, s[0:3], 0 offset:660
	;; [unrolled: 1-line block ×3, first 2 shown]
	s_mov_b32 s4, exec_lo
	s_waitcnt vmcnt(62) lgkmcnt(2)
	v_mul_f64 v[194:195], v[172:173], v[127:128]
	v_mul_f64 v[127:128], v[170:171], v[127:128]
	s_waitcnt lgkmcnt(1)
	v_mul_f64 v[201:202], v[176:177], v[5:6]
	s_waitcnt vmcnt(59) lgkmcnt(0)
	v_mul_f64 v[205:206], v[180:181], v[3:4]
	v_fma_f64 v[170:171], v[170:171], v[7:8], -v[194:195]
	v_mul_f64 v[194:195], v[174:175], v[5:6]
	v_fma_f64 v[127:128], v[172:173], v[7:8], v[127:128]
	s_waitcnt vmcnt(57)
	v_fma_f64 v[174:175], v[174:175], v[1:2], -v[201:202]
	ds_read_b128 v[5:8], v169 offset:1392
	v_mul_f64 v[172:173], v[178:179], v[3:4]
	s_waitcnt vmcnt(51)
	v_fma_f64 v[178:179], v[178:179], v[143:144], -v[205:206]
	v_add_f64 v[170:171], v[170:171], 0
	v_fma_f64 v[176:177], v[176:177], v[1:2], v[194:195]
	v_add_f64 v[127:128], v[127:128], 0
	s_clause 0x4
	buffer_load_dword v195, off, s[0:3], 0 offset:700
	buffer_load_dword v207, off, s[0:3], 0 offset:712
	;; [unrolled: 1-line block ×5, first 2 shown]
	s_waitcnt lgkmcnt(0)
	v_mul_f64 v[210:211], v[5:6], v[131:132]
	v_mul_f64 v[131:132], v[7:8], v[131:132]
	ds_read_b128 v[1:4], v169 offset:1408
	v_fma_f64 v[143:144], v[180:181], v[143:144], v[172:173]
	v_add_f64 v[174:175], v[170:171], v[174:175]
	v_add_f64 v[127:128], v[127:128], v[176:177]
	s_clause 0x2
	buffer_load_dword v208, off, s[0:3], 0 offset:716
	buffer_load_dword v177, off, s[0:3], 0 offset:692
	;; [unrolled: 1-line block ×3, first 2 shown]
	s_waitcnt vmcnt(58) lgkmcnt(0)
	v_mul_f64 v[180:181], v[1:2], v[135:136]
	v_mul_f64 v[135:136], v[3:4], v[135:136]
	s_waitcnt vmcnt(56)
	v_fma_f64 v[131:132], v[5:6], v[137:138], -v[131:132]
	ds_read_b128 v[170:173], v169 offset:1424
	v_fma_f64 v[137:138], v[7:8], v[137:138], v[210:211]
	v_add_f64 v[174:175], v[174:175], v[178:179]
	v_add_f64 v[127:128], v[127:128], v[143:144]
	s_clause 0x4
	buffer_load_dword v144, off, s[0:3], 0 offset:732
	buffer_load_dword v178, off, s[0:3], 0 offset:744
	;; [unrolled: 1-line block ×5, first 2 shown]
	ds_read_b128 v[5:8], v169 offset:1440
	s_waitcnt vmcnt(57) lgkmcnt(1)
	v_mul_f64 v[211:212], v[170:171], v[139:140]
	v_mul_f64 v[139:140], v[172:173], v[139:140]
	s_waitcnt vmcnt(56)
	v_fma_f64 v[135:136], v[1:2], v[129:130], -v[135:136]
	v_fma_f64 v[129:130], v[3:4], v[129:130], v[180:181]
	v_add_f64 v[131:132], v[174:175], v[131:132]
	v_add_f64 v[127:128], v[127:128], v[137:138]
	s_clause 0x2
	buffer_load_dword v179, off, s[0:3], 0 offset:748
	buffer_load_dword v138, off, s[0:3], 0 offset:724
	buffer_load_dword v137, off, s[0:3], 0 offset:720
	s_waitcnt vmcnt(58) lgkmcnt(0)
	v_mul_f64 v[174:175], v[5:6], v[145:146]
	v_mul_f64 v[145:146], v[7:8], v[145:146]
	s_waitcnt vmcnt(56)
	v_fma_f64 v[139:140], v[170:171], v[147:148], -v[139:140]
	ds_read_b128 v[1:4], v169 offset:1456
	v_add_f64 v[131:132], v[131:132], v[135:136]
	v_fma_f64 v[135:136], v[172:173], v[147:148], v[211:212]
	v_add_f64 v[147:148], v[127:128], v[129:130]
	s_clause 0x4
	buffer_load_dword v171, off, s[0:3], 0 offset:764
	buffer_load_dword v172, off, s[0:3], 0 offset:776
	;; [unrolled: 1-line block ×5, first 2 shown]
	ds_read_b128 v[127:130], v169 offset:1472
	s_waitcnt vmcnt(57) lgkmcnt(1)
	v_mul_f64 v[211:212], v[1:2], v[149:150]
	v_mul_f64 v[149:150], v[3:4], v[149:150]
	s_waitcnt vmcnt(56)
	v_fma_f64 v[145:146], v[5:6], v[133:134], -v[145:146]
	v_fma_f64 v[133:134], v[7:8], v[133:134], v[174:175]
	v_add_f64 v[131:132], v[131:132], v[139:140]
	s_clause 0x2
	buffer_load_dword v173, off, s[0:3], 0 offset:780
	buffer_load_dword v140, off, s[0:3], 0 offset:756
	;; [unrolled: 1-line block ×3, first 2 shown]
	v_add_f64 v[135:136], v[147:148], v[135:136]
	s_waitcnt vmcnt(58) lgkmcnt(0)
	v_mul_f64 v[147:148], v[127:128], v[153:154]
	v_mul_f64 v[153:154], v[129:130], v[153:154]
	ds_read_b128 v[5:8], v169 offset:1488
	s_waitcnt vmcnt(56)
	v_fma_f64 v[149:150], v[1:2], v[155:156], -v[149:150]
	v_add_f64 v[131:132], v[131:132], v[145:146]
	v_fma_f64 v[145:146], v[3:4], v[155:156], v[211:212]
	v_add_f64 v[133:134], v[135:136], v[133:134]
	s_clause 0x4
	buffer_load_dword v136, off, s[0:3], 0 offset:796
	buffer_load_dword v155, off, s[0:3], 0 offset:808
	;; [unrolled: 1-line block ×5, first 2 shown]
	s_waitcnt vmcnt(57) lgkmcnt(0)
	v_mul_f64 v[211:212], v[5:6], v[157:158]
	v_mul_f64 v[157:158], v[7:8], v[157:158]
	s_waitcnt vmcnt(56)
	v_fma_f64 v[153:154], v[127:128], v[141:142], -v[153:154]
	ds_read_b128 v[1:4], v169 offset:1504
	v_fma_f64 v[141:142], v[129:130], v[141:142], v[147:148]
	v_add_f64 v[131:132], v[131:132], v[149:150]
	v_add_f64 v[133:134], v[133:134], v[145:146]
	s_clause 0x2
	buffer_load_dword v156, off, s[0:3], 0 offset:812
	buffer_load_dword v146, off, s[0:3], 0 offset:788
	;; [unrolled: 1-line block ×3, first 2 shown]
	ds_read_b128 v[127:130], v169 offset:1520
	s_waitcnt vmcnt(58) lgkmcnt(1)
	v_mul_f64 v[149:150], v[3:4], v[161:162]
	s_waitcnt vmcnt(56)
	v_fma_f64 v[157:158], v[5:6], v[163:164], -v[157:158]
	v_mul_f64 v[147:148], v[1:2], v[161:162]
	v_add_f64 v[131:132], v[131:132], v[153:154]
	v_fma_f64 v[153:154], v[7:8], v[163:164], v[211:212]
	v_add_f64 v[133:134], v[133:134], v[141:142]
	s_clause 0x4
	buffer_load_dword v142, off, s[0:3], 0 offset:828
	buffer_load_dword v161, off, s[0:3], 0 offset:840
	;; [unrolled: 1-line block ×5, first 2 shown]
	s_waitcnt vmcnt(57) lgkmcnt(0)
	v_mul_f64 v[211:212], v[127:128], v[165:166]
	v_mul_f64 v[164:165], v[129:130], v[165:166]
	s_waitcnt vmcnt(56)
	v_fma_f64 v[149:150], v[1:2], v[151:152], -v[149:150]
	ds_read_b128 v[5:8], v169 offset:1536
	v_fma_f64 v[147:148], v[3:4], v[151:152], v[147:148]
	s_clause 0x2
	buffer_load_dword v162, off, s[0:3], 0 offset:844
	buffer_load_dword v152, off, s[0:3], 0 offset:820
	;; [unrolled: 1-line block ×3, first 2 shown]
	ds_read_b128 v[1:4], v169 offset:1552
	v_add_f64 v[131:132], v[131:132], v[157:158]
	v_add_f64 v[133:134], v[133:134], v[153:154]
	s_waitcnt vmcnt(58) lgkmcnt(1)
	v_mul_f64 v[157:158], v[7:8], v[182:183]
	s_waitcnt vmcnt(56)
	v_fma_f64 v[165:166], v[127:128], v[184:185], -v[164:165]
	v_mul_f64 v[153:154], v[5:6], v[182:183]
	v_add_f64 v[131:132], v[131:132], v[149:150]
	v_fma_f64 v[149:150], v[129:130], v[184:185], v[211:212]
	v_add_f64 v[133:134], v[133:134], v[147:148]
	s_clause 0x4
	buffer_load_dword v148, off, s[0:3], 0 offset:860
	buffer_load_dword v182, off, s[0:3], 0 offset:872
	;; [unrolled: 1-line block ×5, first 2 shown]
	s_waitcnt vmcnt(57) lgkmcnt(0)
	v_mul_f64 v[185:186], v[1:2], v[188:189]
	v_mul_f64 v[188:189], v[3:4], v[188:189]
	s_waitcnt vmcnt(56)
	v_fma_f64 v[157:158], v[5:6], v[159:160], -v[157:158]
	ds_read_b128 v[127:130], v169 offset:1568
	v_fma_f64 v[153:154], v[7:8], v[159:160], v[153:154]
	v_add_f64 v[131:132], v[131:132], v[165:166]
	v_add_f64 v[133:134], v[133:134], v[149:150]
	s_clause 0x2
	buffer_load_dword v183, off, s[0:3], 0 offset:876
	buffer_load_dword v150, off, s[0:3], 0 offset:852
	;; [unrolled: 1-line block ×3, first 2 shown]
	ds_read_b128 v[5:8], v169 offset:1584
	s_waitcnt vmcnt(58) lgkmcnt(1)
	v_mul_f64 v[165:166], v[129:130], v[190:191]
	s_waitcnt vmcnt(56)
	v_fma_f64 v[188:189], v[1:2], v[192:193], -v[188:189]
	v_mul_f64 v[159:160], v[127:128], v[190:191]
	v_add_f64 v[131:132], v[131:132], v[157:158]
	v_fma_f64 v[157:158], v[3:4], v[192:193], v[185:186]
	v_add_f64 v[133:134], v[133:134], v[153:154]
	s_clause 0x4
	buffer_load_dword v154, off, s[0:3], 0 offset:892
	buffer_load_dword v190, off, s[0:3], 0 offset:904
	;; [unrolled: 1-line block ×5, first 2 shown]
	s_waitcnt vmcnt(57) lgkmcnt(0)
	v_mul_f64 v[211:212], v[5:6], v[196:197]
	v_mul_f64 v[196:197], v[7:8], v[196:197]
	s_waitcnt vmcnt(56)
	v_fma_f64 v[165:166], v[127:128], v[167:168], -v[165:166]
	ds_read_b128 v[1:4], v169 offset:1600
	v_fma_f64 v[159:160], v[129:130], v[167:168], v[159:160]
	v_add_f64 v[131:132], v[131:132], v[188:189]
	v_add_f64 v[133:134], v[133:134], v[157:158]
	s_clause 0x2
	buffer_load_dword v191, off, s[0:3], 0 offset:908
	buffer_load_dword v158, off, s[0:3], 0 offset:884
	;; [unrolled: 1-line block ×3, first 2 shown]
	ds_read_b128 v[127:130], v169 offset:1616
	s_waitcnt vmcnt(58) lgkmcnt(1)
	v_mul_f64 v[188:189], v[3:4], v[198:199]
	s_waitcnt vmcnt(56)
	v_fma_f64 v[196:197], v[5:6], v[203:204], -v[196:197]
	v_mul_f64 v[167:168], v[1:2], v[198:199]
	v_add_f64 v[131:132], v[131:132], v[165:166]
	v_fma_f64 v[165:166], v[7:8], v[203:204], v[211:212]
	v_add_f64 v[133:134], v[133:134], v[159:160]
	s_clause 0x4
	buffer_load_dword v160, off, s[0:3], 0 offset:924
	buffer_load_dword v198, off, s[0:3], 0 offset:936
	;; [unrolled: 1-line block ×5, first 2 shown]
	ds_read_b128 v[5:8], v169 offset:1632
	s_waitcnt vmcnt(57) lgkmcnt(1)
	v_mul_f64 v[203:204], v[127:128], v[194:195]
	v_mul_f64 v[194:195], v[129:130], v[194:195]
	s_waitcnt vmcnt(56)
	v_fma_f64 v[188:189], v[1:2], v[200:201], -v[188:189]
	v_fma_f64 v[167:168], v[3:4], v[200:201], v[167:168]
	v_add_f64 v[131:132], v[131:132], v[196:197]
	v_add_f64 v[133:134], v[133:134], v[165:166]
	s_clause 0x2
	buffer_load_dword v199, off, s[0:3], 0 offset:940
	buffer_load_dword v166, off, s[0:3], 0 offset:916
	;; [unrolled: 1-line block ×3, first 2 shown]
	ds_read_b128 v[1:4], v169 offset:1648
	s_waitcnt vmcnt(58) lgkmcnt(1)
	v_mul_f64 v[200:201], v[7:8], v[207:208]
	v_mul_f64 v[196:197], v[5:6], v[207:208]
	s_waitcnt vmcnt(56)
	v_fma_f64 v[194:195], v[127:128], v[176:177], -v[194:195]
	v_fma_f64 v[176:177], v[129:130], v[176:177], v[203:204]
	v_add_f64 v[131:132], v[131:132], v[188:189]
	v_add_f64 v[133:134], v[133:134], v[167:168]
	s_clause 0x2
	buffer_load_dword v168, off, s[0:3], 0 offset:956
	buffer_load_dword v167, off, s[0:3], 0 offset:952
	;; [unrolled: 1-line block ×3, first 2 shown]
	ds_read_b128 v[127:130], v169 offset:1664
	s_waitcnt vmcnt(55) lgkmcnt(1)
	v_mul_f64 v[188:189], v[1:2], v[143:144]
	v_mul_f64 v[143:144], v[3:4], v[143:144]
	s_waitcnt vmcnt(54)
	v_fma_f64 v[200:201], v[5:6], v[209:210], -v[200:201]
	v_add_f64 v[131:132], v[131:132], v[194:195]
	v_fma_f64 v[194:195], v[7:8], v[209:210], v[196:197]
	v_add_f64 v[133:134], v[133:134], v[176:177]
	s_clause 0x1
	buffer_load_dword v177, off, s[0:3], 0 offset:948
	buffer_load_dword v176, off, s[0:3], 0 offset:944
	ds_read_b128 v[5:8], v169 offset:1680
	s_waitcnt vmcnt(55) lgkmcnt(1)
	v_mul_f64 v[196:197], v[127:128], v[178:179]
	v_mul_f64 v[178:179], v[129:130], v[178:179]
	s_waitcnt vmcnt(53)
	v_fma_f64 v[143:144], v[1:2], v[137:138], -v[143:144]
	v_fma_f64 v[137:138], v[3:4], v[137:138], v[188:189]
	ds_read_b128 v[1:4], v169 offset:1696
	v_add_f64 v[131:132], v[131:132], v[200:201]
	v_add_f64 v[133:134], v[133:134], v[194:195]
	s_waitcnt vmcnt(49) lgkmcnt(1)
	v_mul_f64 v[188:189], v[5:6], v[170:171]
	v_mul_f64 v[170:171], v[7:8], v[170:171]
	s_waitcnt vmcnt(48)
	v_fma_f64 v[178:179], v[127:128], v[205:206], -v[178:179]
	v_add_f64 v[131:132], v[131:132], v[143:144]
	v_fma_f64 v[143:144], v[129:130], v[205:206], v[196:197]
	v_add_f64 v[133:134], v[133:134], v[137:138]
	s_clause 0x3
	buffer_load_dword v137, off, s[0:3], 0 offset:400
	buffer_load_dword v138, off, s[0:3], 0 offset:404
	;; [unrolled: 1-line block ×4, first 2 shown]
	ds_read_b128 v[127:130], v169 offset:1712
	s_waitcnt vmcnt(51) lgkmcnt(1)
	v_mul_f64 v[196:197], v[1:2], v[172:173]
	v_mul_f64 v[172:173], v[3:4], v[172:173]
	s_waitcnt vmcnt(49)
	v_fma_f64 v[170:171], v[5:6], v[139:140], -v[170:171]
	v_fma_f64 v[139:140], v[7:8], v[139:140], v[188:189]
	ds_read_b128 v[5:8], v169 offset:1728
	v_add_f64 v[131:132], v[131:132], v[178:179]
	v_add_f64 v[133:134], v[133:134], v[143:144]
	s_waitcnt vmcnt(45) lgkmcnt(1)
	v_mul_f64 v[143:144], v[127:128], v[135:136]
	v_mul_f64 v[135:136], v[129:130], v[135:136]
	s_waitcnt vmcnt(44)
	v_fma_f64 v[172:173], v[1:2], v[180:181], -v[172:173]
	v_add_f64 v[131:132], v[131:132], v[170:171]
	v_fma_f64 v[170:171], v[3:4], v[180:181], v[196:197]
	v_add_f64 v[133:134], v[133:134], v[139:140]
	ds_read_b128 v[1:4], v169 offset:1744
	s_waitcnt vmcnt(43) lgkmcnt(1)
	v_mul_f64 v[139:140], v[5:6], v[155:156]
	v_mul_f64 v[155:156], v[7:8], v[155:156]
	s_waitcnt vmcnt(41)
	v_fma_f64 v[135:136], v[127:128], v[145:146], -v[135:136]
	v_fma_f64 v[143:144], v[129:130], v[145:146], v[143:144]
	ds_read_b128 v[127:130], v169 offset:1760
	v_add_f64 v[131:132], v[131:132], v[172:173]
	v_add_f64 v[133:134], v[133:134], v[170:171]
	s_waitcnt vmcnt(37) lgkmcnt(1)
	v_mul_f64 v[145:146], v[1:2], v[141:142]
	v_mul_f64 v[141:142], v[3:4], v[141:142]
	s_waitcnt vmcnt(36)
	v_fma_f64 v[155:156], v[5:6], v[174:175], -v[155:156]
	v_add_f64 v[131:132], v[131:132], v[135:136]
	v_fma_f64 v[135:136], v[7:8], v[174:175], v[139:140]
	v_add_f64 v[133:134], v[133:134], v[143:144]
	s_waitcnt vmcnt(35) lgkmcnt(0)
	v_mul_f64 v[143:144], v[129:130], v[161:162]
	ds_read_b128 v[5:8], v169 offset:1776
	v_mul_f64 v[139:140], v[127:128], v[161:162]
	s_waitcnt vmcnt(33)
	v_fma_f64 v[145:146], v[3:4], v[151:152], v[145:146]
	v_fma_f64 v[141:142], v[1:2], v[151:152], -v[141:142]
	ds_read_b128 v[1:4], v169 offset:1792
	v_add_f64 v[131:132], v[131:132], v[155:156]
	v_add_f64 v[133:134], v[133:134], v[135:136]
	s_waitcnt vmcnt(29) lgkmcnt(1)
	v_mul_f64 v[135:136], v[5:6], v[147:148]
	v_mul_f64 v[147:148], v[7:8], v[147:148]
	s_waitcnt vmcnt(28)
	v_fma_f64 v[143:144], v[127:128], v[163:164], -v[143:144]
	v_fma_f64 v[139:140], v[129:130], v[163:164], v[139:140]
	ds_read_b128 v[127:130], v169 offset:1808
	v_add_f64 v[131:132], v[131:132], v[141:142]
	v_add_f64 v[133:134], v[133:134], v[145:146]
	s_waitcnt vmcnt(27) lgkmcnt(1)
	v_mul_f64 v[145:146], v[3:4], v[182:183]
	v_mul_f64 v[141:142], v[1:2], v[182:183]
	s_waitcnt vmcnt(25)
	v_fma_f64 v[147:148], v[5:6], v[149:150], -v[147:148]
	v_fma_f64 v[135:136], v[7:8], v[149:150], v[135:136]
	ds_read_b128 v[5:8], v169 offset:1824
	v_add_f64 v[131:132], v[131:132], v[143:144]
	v_add_f64 v[133:134], v[133:134], v[139:140]
	s_waitcnt vmcnt(21) lgkmcnt(1)
	v_mul_f64 v[143:144], v[129:130], v[153:154]
	s_waitcnt vmcnt(20)
	v_fma_f64 v[145:146], v[1:2], v[184:185], -v[145:146]
	v_mul_f64 v[139:140], v[127:128], v[153:154]
	v_fma_f64 v[141:142], v[3:4], v[184:185], v[141:142]
	ds_read_b128 v[1:4], v169 offset:1840
	v_add_f64 v[131:132], v[131:132], v[147:148]
	v_add_f64 v[133:134], v[133:134], v[135:136]
	s_waitcnt vmcnt(19) lgkmcnt(1)
	v_mul_f64 v[147:148], v[7:8], v[190:191]
	v_mul_f64 v[135:136], v[5:6], v[190:191]
	s_waitcnt vmcnt(17)
	v_fma_f64 v[143:144], v[127:128], v[157:158], -v[143:144]
	v_fma_f64 v[139:140], v[129:130], v[157:158], v[139:140]
	ds_read_b128 v[127:130], v169 offset:1856
	v_add_f64 v[131:132], v[131:132], v[145:146]
	v_add_f64 v[133:134], v[133:134], v[141:142]
	s_waitcnt vmcnt(13) lgkmcnt(1)
	v_mul_f64 v[145:146], v[3:4], v[159:160]
	s_waitcnt vmcnt(12)
	v_fma_f64 v[147:148], v[5:6], v[192:193], -v[147:148]
	v_mul_f64 v[141:142], v[1:2], v[159:160]
	v_fma_f64 v[135:136], v[7:8], v[192:193], v[135:136]
	ds_read_b128 v[5:8], v169 offset:1872
	v_add_f64 v[131:132], v[131:132], v[143:144]
	v_add_f64 v[133:134], v[133:134], v[139:140]
	s_waitcnt vmcnt(11) lgkmcnt(1)
	v_mul_f64 v[143:144], v[129:130], v[198:199]
	v_mul_f64 v[139:140], v[127:128], v[198:199]
	s_waitcnt vmcnt(9)
	v_fma_f64 v[1:2], v[1:2], v[165:166], -v[145:146]
	v_fma_f64 v[3:4], v[3:4], v[165:166], v[141:142]
	v_add_f64 v[131:132], v[131:132], v[147:148]
	v_add_f64 v[133:134], v[133:134], v[135:136]
	s_waitcnt vmcnt(7) lgkmcnt(0)
	v_mul_f64 v[141:142], v[7:8], v[167:168]
	s_waitcnt vmcnt(6)
	v_fma_f64 v[127:128], v[127:128], v[202:203], -v[143:144]
	v_mul_f64 v[135:136], v[5:6], v[167:168]
	v_fma_f64 v[129:130], v[129:130], v[202:203], v[139:140]
	v_add_f64 v[1:2], v[131:132], v[1:2]
	v_add_f64 v[3:4], v[133:134], v[3:4]
	s_waitcnt vmcnt(4)
	v_fma_f64 v[5:6], v[5:6], v[176:177], -v[141:142]
	v_fma_f64 v[7:8], v[7:8], v[176:177], v[135:136]
	v_add_f64 v[1:2], v[1:2], v[127:128]
	v_add_f64 v[3:4], v[3:4], v[129:130]
	;; [unrolled: 1-line block ×4, first 2 shown]
	s_waitcnt vmcnt(2)
	v_add_f64 v[1:2], v[137:138], -v[1:2]
	s_waitcnt vmcnt(0)
	v_add_f64 v[3:4], v[194:195], -v[3:4]
	buffer_store_dword v2, off, s[0:3], 0 offset:404
	buffer_store_dword v1, off, s[0:3], 0 offset:400
	;; [unrolled: 1-line block ×4, first 2 shown]
	v_cmpx_lt_u32_e32 23, v0
	s_cbranch_execz .LBB122_321
; %bb.320:
	v_mov_b32_e32 v4, s48
	v_mov_b32_e32 v5, 0
	s_clause 0x3
	buffer_load_dword v1, v4, s[0:3], 0 offen
	buffer_load_dword v2, v4, s[0:3], 0 offen offset:4
	buffer_load_dword v3, v4, s[0:3], 0 offen offset:8
	;; [unrolled: 1-line block ×3, first 2 shown]
	buffer_store_dword v5, off, s[0:3], 0 offset:384
	buffer_store_dword v5, off, s[0:3], 0 offset:388
	buffer_store_dword v5, off, s[0:3], 0 offset:392
	buffer_store_dword v5, off, s[0:3], 0 offset:396
	s_waitcnt vmcnt(0)
	ds_write_b128 v187, v[1:4]
.LBB122_321:
	s_or_b32 exec_lo, exec_lo, s4
	s_waitcnt lgkmcnt(0)
	s_waitcnt_vscnt null, 0x0
	s_barrier
	buffer_gl0_inv
	s_clause 0x37
	buffer_load_dword v127, off, s[0:3], 0 offset:408
	buffer_load_dword v128, off, s[0:3], 0 offset:412
	;; [unrolled: 1-line block ×56, first 2 shown]
	v_mov_b32_e32 v179, 0
	s_mov_b32 s4, exec_lo
	ds_read_b128 v[180:183], v179 offset:1328
	s_clause 0x2
	buffer_load_dword v176, off, s[0:3], 0 offset:636
	buffer_load_dword v178, off, s[0:3], 0 offset:612
	;; [unrolled: 1-line block ×3, first 2 shown]
	ds_read_b128 v[188:191], v179 offset:1344
	s_clause 0x4
	buffer_load_dword v197, off, s[0:3], 0 offset:652
	buffer_load_dword v198, off, s[0:3], 0 offset:664
	;; [unrolled: 1-line block ×5, first 2 shown]
	ds_read_b128 v[192:195], v179 offset:1360
	s_clause 0x2
	buffer_load_dword v199, off, s[0:3], 0 offset:668
	buffer_load_dword v204, off, s[0:3], 0 offset:644
	;; [unrolled: 1-line block ×3, first 2 shown]
	s_waitcnt vmcnt(62) lgkmcnt(2)
	v_mul_f64 v[184:185], v[182:183], v[127:128]
	v_mul_f64 v[127:128], v[180:181], v[127:128]
	s_waitcnt lgkmcnt(1)
	v_mul_f64 v[201:202], v[190:191], v[5:6]
	s_waitcnt vmcnt(59) lgkmcnt(0)
	v_mul_f64 v[205:206], v[194:195], v[3:4]
	v_fma_f64 v[180:181], v[180:181], v[7:8], -v[184:185]
	v_mul_f64 v[184:185], v[188:189], v[5:6]
	v_fma_f64 v[127:128], v[182:183], v[7:8], v[127:128]
	s_waitcnt vmcnt(57)
	v_fma_f64 v[188:189], v[188:189], v[1:2], -v[201:202]
	ds_read_b128 v[5:8], v179 offset:1376
	v_mul_f64 v[182:183], v[192:193], v[3:4]
	s_waitcnt vmcnt(51)
	v_fma_f64 v[192:193], v[192:193], v[143:144], -v[205:206]
	v_add_f64 v[180:181], v[180:181], 0
	v_fma_f64 v[184:185], v[190:191], v[1:2], v[184:185]
	v_add_f64 v[127:128], v[127:128], 0
	s_clause 0x4
	buffer_load_dword v191, off, s[0:3], 0 offset:684
	buffer_load_dword v207, off, s[0:3], 0 offset:696
	;; [unrolled: 1-line block ×5, first 2 shown]
	s_waitcnt lgkmcnt(0)
	v_mul_f64 v[210:211], v[5:6], v[131:132]
	v_mul_f64 v[131:132], v[7:8], v[131:132]
	ds_read_b128 v[1:4], v179 offset:1392
	v_fma_f64 v[143:144], v[194:195], v[143:144], v[182:183]
	v_add_f64 v[188:189], v[180:181], v[188:189]
	v_add_f64 v[127:128], v[127:128], v[184:185]
	s_clause 0x2
	buffer_load_dword v208, off, s[0:3], 0 offset:700
	buffer_load_dword v185, off, s[0:3], 0 offset:676
	;; [unrolled: 1-line block ×3, first 2 shown]
	s_waitcnt vmcnt(58) lgkmcnt(0)
	v_mul_f64 v[194:195], v[1:2], v[135:136]
	v_mul_f64 v[135:136], v[3:4], v[135:136]
	s_waitcnt vmcnt(56)
	v_fma_f64 v[131:132], v[5:6], v[137:138], -v[131:132]
	ds_read_b128 v[180:183], v179 offset:1408
	v_fma_f64 v[137:138], v[7:8], v[137:138], v[210:211]
	v_add_f64 v[188:189], v[188:189], v[192:193]
	v_add_f64 v[127:128], v[127:128], v[143:144]
	s_clause 0x4
	buffer_load_dword v144, off, s[0:3], 0 offset:716
	buffer_load_dword v192, off, s[0:3], 0 offset:728
	;; [unrolled: 1-line block ×5, first 2 shown]
	ds_read_b128 v[5:8], v179 offset:1424
	s_waitcnt vmcnt(57) lgkmcnt(1)
	v_mul_f64 v[211:212], v[180:181], v[139:140]
	v_mul_f64 v[139:140], v[182:183], v[139:140]
	s_waitcnt vmcnt(56)
	v_fma_f64 v[135:136], v[1:2], v[129:130], -v[135:136]
	v_fma_f64 v[129:130], v[3:4], v[129:130], v[194:195]
	v_add_f64 v[131:132], v[188:189], v[131:132]
	v_add_f64 v[127:128], v[127:128], v[137:138]
	s_clause 0x2
	buffer_load_dword v193, off, s[0:3], 0 offset:732
	buffer_load_dword v138, off, s[0:3], 0 offset:708
	;; [unrolled: 1-line block ×3, first 2 shown]
	s_waitcnt vmcnt(58) lgkmcnt(0)
	v_mul_f64 v[188:189], v[5:6], v[145:146]
	v_mul_f64 v[145:146], v[7:8], v[145:146]
	s_waitcnt vmcnt(56)
	v_fma_f64 v[139:140], v[180:181], v[147:148], -v[139:140]
	ds_read_b128 v[1:4], v179 offset:1440
	v_add_f64 v[131:132], v[131:132], v[135:136]
	v_fma_f64 v[135:136], v[182:183], v[147:148], v[211:212]
	v_add_f64 v[147:148], v[127:128], v[129:130]
	s_clause 0x4
	buffer_load_dword v181, off, s[0:3], 0 offset:748
	buffer_load_dword v182, off, s[0:3], 0 offset:760
	;; [unrolled: 1-line block ×5, first 2 shown]
	ds_read_b128 v[127:130], v179 offset:1456
	s_waitcnt vmcnt(57) lgkmcnt(1)
	v_mul_f64 v[211:212], v[1:2], v[149:150]
	v_mul_f64 v[149:150], v[3:4], v[149:150]
	s_waitcnt vmcnt(56)
	v_fma_f64 v[145:146], v[5:6], v[133:134], -v[145:146]
	v_fma_f64 v[133:134], v[7:8], v[133:134], v[188:189]
	v_add_f64 v[131:132], v[131:132], v[139:140]
	s_clause 0x2
	buffer_load_dword v183, off, s[0:3], 0 offset:764
	buffer_load_dword v140, off, s[0:3], 0 offset:740
	;; [unrolled: 1-line block ×3, first 2 shown]
	v_add_f64 v[135:136], v[147:148], v[135:136]
	s_waitcnt vmcnt(58) lgkmcnt(0)
	v_mul_f64 v[147:148], v[127:128], v[153:154]
	v_mul_f64 v[153:154], v[129:130], v[153:154]
	ds_read_b128 v[5:8], v179 offset:1472
	s_waitcnt vmcnt(56)
	v_fma_f64 v[149:150], v[1:2], v[155:156], -v[149:150]
	v_add_f64 v[131:132], v[131:132], v[145:146]
	v_fma_f64 v[145:146], v[3:4], v[155:156], v[211:212]
	v_add_f64 v[133:134], v[135:136], v[133:134]
	s_clause 0x4
	buffer_load_dword v136, off, s[0:3], 0 offset:780
	buffer_load_dword v155, off, s[0:3], 0 offset:792
	;; [unrolled: 1-line block ×5, first 2 shown]
	s_waitcnt vmcnt(57) lgkmcnt(0)
	v_mul_f64 v[211:212], v[5:6], v[157:158]
	v_mul_f64 v[157:158], v[7:8], v[157:158]
	s_waitcnt vmcnt(56)
	v_fma_f64 v[153:154], v[127:128], v[141:142], -v[153:154]
	ds_read_b128 v[1:4], v179 offset:1488
	v_fma_f64 v[141:142], v[129:130], v[141:142], v[147:148]
	v_add_f64 v[131:132], v[131:132], v[149:150]
	v_add_f64 v[133:134], v[133:134], v[145:146]
	s_clause 0x2
	buffer_load_dword v156, off, s[0:3], 0 offset:796
	buffer_load_dword v146, off, s[0:3], 0 offset:772
	;; [unrolled: 1-line block ×3, first 2 shown]
	ds_read_b128 v[127:130], v179 offset:1504
	s_waitcnt vmcnt(58) lgkmcnt(1)
	v_mul_f64 v[149:150], v[3:4], v[161:162]
	s_waitcnt vmcnt(56)
	v_fma_f64 v[157:158], v[5:6], v[163:164], -v[157:158]
	v_mul_f64 v[147:148], v[1:2], v[161:162]
	v_add_f64 v[131:132], v[131:132], v[153:154]
	v_fma_f64 v[153:154], v[7:8], v[163:164], v[211:212]
	v_add_f64 v[133:134], v[133:134], v[141:142]
	s_clause 0x4
	buffer_load_dword v142, off, s[0:3], 0 offset:812
	buffer_load_dword v161, off, s[0:3], 0 offset:824
	;; [unrolled: 1-line block ×5, first 2 shown]
	s_waitcnt vmcnt(57) lgkmcnt(0)
	v_mul_f64 v[211:212], v[127:128], v[165:166]
	v_mul_f64 v[164:165], v[129:130], v[165:166]
	s_waitcnt vmcnt(56)
	v_fma_f64 v[149:150], v[1:2], v[151:152], -v[149:150]
	ds_read_b128 v[5:8], v179 offset:1520
	v_fma_f64 v[147:148], v[3:4], v[151:152], v[147:148]
	s_clause 0x2
	buffer_load_dword v162, off, s[0:3], 0 offset:828
	buffer_load_dword v152, off, s[0:3], 0 offset:804
	buffer_load_dword v151, off, s[0:3], 0 offset:800
	ds_read_b128 v[1:4], v179 offset:1536
	v_add_f64 v[131:132], v[131:132], v[157:158]
	v_add_f64 v[133:134], v[133:134], v[153:154]
	s_waitcnt vmcnt(58) lgkmcnt(1)
	v_mul_f64 v[157:158], v[7:8], v[169:170]
	s_waitcnt vmcnt(56)
	v_fma_f64 v[165:166], v[127:128], v[171:172], -v[164:165]
	v_mul_f64 v[153:154], v[5:6], v[169:170]
	v_add_f64 v[131:132], v[131:132], v[149:150]
	v_fma_f64 v[149:150], v[129:130], v[171:172], v[211:212]
	v_add_f64 v[133:134], v[133:134], v[147:148]
	s_clause 0x4
	buffer_load_dword v148, off, s[0:3], 0 offset:844
	buffer_load_dword v169, off, s[0:3], 0 offset:856
	;; [unrolled: 1-line block ×5, first 2 shown]
	s_waitcnt vmcnt(57) lgkmcnt(0)
	v_mul_f64 v[211:212], v[1:2], v[173:174]
	v_mul_f64 v[172:173], v[3:4], v[173:174]
	s_waitcnt vmcnt(56)
	v_fma_f64 v[157:158], v[5:6], v[159:160], -v[157:158]
	ds_read_b128 v[127:130], v179 offset:1552
	v_fma_f64 v[153:154], v[7:8], v[159:160], v[153:154]
	v_add_f64 v[131:132], v[131:132], v[165:166]
	v_add_f64 v[133:134], v[133:134], v[149:150]
	s_clause 0x2
	buffer_load_dword v170, off, s[0:3], 0 offset:860
	buffer_load_dword v150, off, s[0:3], 0 offset:836
	;; [unrolled: 1-line block ×3, first 2 shown]
	ds_read_b128 v[5:8], v179 offset:1568
	s_waitcnt vmcnt(58) lgkmcnt(1)
	v_mul_f64 v[165:166], v[129:130], v[175:176]
	s_waitcnt vmcnt(56)
	v_fma_f64 v[173:174], v[1:2], v[177:178], -v[172:173]
	v_mul_f64 v[159:160], v[127:128], v[175:176]
	v_add_f64 v[131:132], v[131:132], v[157:158]
	v_fma_f64 v[157:158], v[3:4], v[177:178], v[211:212]
	v_add_f64 v[133:134], v[133:134], v[153:154]
	s_clause 0x4
	buffer_load_dword v154, off, s[0:3], 0 offset:876
	buffer_load_dword v175, off, s[0:3], 0 offset:888
	;; [unrolled: 1-line block ×5, first 2 shown]
	s_waitcnt vmcnt(57) lgkmcnt(0)
	v_mul_f64 v[211:212], v[5:6], v[196:197]
	v_mul_f64 v[196:197], v[7:8], v[196:197]
	s_waitcnt vmcnt(56)
	v_fma_f64 v[165:166], v[127:128], v[167:168], -v[165:166]
	ds_read_b128 v[1:4], v179 offset:1584
	v_fma_f64 v[159:160], v[129:130], v[167:168], v[159:160]
	v_add_f64 v[131:132], v[131:132], v[173:174]
	v_add_f64 v[133:134], v[133:134], v[157:158]
	s_clause 0x2
	buffer_load_dword v176, off, s[0:3], 0 offset:892
	buffer_load_dword v158, off, s[0:3], 0 offset:868
	buffer_load_dword v157, off, s[0:3], 0 offset:864
	ds_read_b128 v[127:130], v179 offset:1600
	s_waitcnt vmcnt(58) lgkmcnt(1)
	v_mul_f64 v[173:174], v[3:4], v[198:199]
	s_waitcnt vmcnt(56)
	v_fma_f64 v[196:197], v[5:6], v[203:204], -v[196:197]
	v_mul_f64 v[167:168], v[1:2], v[198:199]
	v_add_f64 v[131:132], v[131:132], v[165:166]
	v_fma_f64 v[165:166], v[7:8], v[203:204], v[211:212]
	v_add_f64 v[133:134], v[133:134], v[159:160]
	s_clause 0x4
	buffer_load_dword v160, off, s[0:3], 0 offset:908
	buffer_load_dword v198, off, s[0:3], 0 offset:920
	buffer_load_dword v202, off, s[0:3], 0 offset:912
	buffer_load_dword v159, off, s[0:3], 0 offset:904
	buffer_load_dword v178, off, s[0:3], 0 offset:884
	ds_read_b128 v[5:8], v179 offset:1616
	s_waitcnt vmcnt(57) lgkmcnt(1)
	v_mul_f64 v[203:204], v[127:128], v[190:191]
	v_mul_f64 v[190:191], v[129:130], v[190:191]
	s_waitcnt vmcnt(56)
	v_fma_f64 v[173:174], v[1:2], v[200:201], -v[173:174]
	v_fma_f64 v[167:168], v[3:4], v[200:201], v[167:168]
	v_add_f64 v[131:132], v[131:132], v[196:197]
	v_add_f64 v[133:134], v[133:134], v[165:166]
	s_clause 0x2
	buffer_load_dword v199, off, s[0:3], 0 offset:924
	buffer_load_dword v166, off, s[0:3], 0 offset:900
	;; [unrolled: 1-line block ×3, first 2 shown]
	ds_read_b128 v[1:4], v179 offset:1632
	s_waitcnt vmcnt(58) lgkmcnt(1)
	v_mul_f64 v[200:201], v[7:8], v[207:208]
	v_mul_f64 v[196:197], v[5:6], v[207:208]
	s_waitcnt vmcnt(56)
	v_fma_f64 v[190:191], v[127:128], v[184:185], -v[190:191]
	v_add_f64 v[131:132], v[131:132], v[173:174]
	v_fma_f64 v[173:174], v[129:130], v[184:185], v[203:204]
	v_add_f64 v[133:134], v[133:134], v[167:168]
	s_clause 0x4
	buffer_load_dword v168, off, s[0:3], 0 offset:940
	buffer_load_dword v184, off, s[0:3], 0 offset:952
	;; [unrolled: 1-line block ×5, first 2 shown]
	ds_read_b128 v[127:130], v179 offset:1648
	s_waitcnt vmcnt(57) lgkmcnt(1)
	v_mul_f64 v[211:212], v[1:2], v[143:144]
	v_mul_f64 v[143:144], v[3:4], v[143:144]
	s_waitcnt vmcnt(56)
	v_fma_f64 v[200:201], v[5:6], v[209:210], -v[200:201]
	v_add_f64 v[131:132], v[131:132], v[190:191]
	v_fma_f64 v[190:191], v[7:8], v[209:210], v[196:197]
	v_add_f64 v[133:134], v[133:134], v[173:174]
	s_clause 0x2
	buffer_load_dword v185, off, s[0:3], 0 offset:956
	buffer_load_dword v174, off, s[0:3], 0 offset:932
	;; [unrolled: 1-line block ×3, first 2 shown]
	ds_read_b128 v[5:8], v179 offset:1664
	buffer_load_dword v208, off, s[0:3], 0 offset:948
	s_waitcnt vmcnt(59) lgkmcnt(1)
	v_mul_f64 v[196:197], v[127:128], v[192:193]
	v_mul_f64 v[192:193], v[129:130], v[192:193]
	s_waitcnt vmcnt(57)
	v_fma_f64 v[143:144], v[1:2], v[137:138], -v[143:144]
	v_fma_f64 v[137:138], v[3:4], v[137:138], v[211:212]
	ds_read_b128 v[1:4], v179 offset:1680
	v_add_f64 v[131:132], v[131:132], v[200:201]
	v_add_f64 v[133:134], v[133:134], v[190:191]
	s_waitcnt vmcnt(53) lgkmcnt(1)
	v_mul_f64 v[190:191], v[5:6], v[180:181]
	v_mul_f64 v[180:181], v[7:8], v[180:181]
	s_waitcnt vmcnt(52)
	v_fma_f64 v[192:193], v[127:128], v[205:206], -v[192:193]
	v_add_f64 v[131:132], v[131:132], v[143:144]
	v_fma_f64 v[143:144], v[129:130], v[205:206], v[196:197]
	v_add_f64 v[133:134], v[133:134], v[137:138]
	ds_read_b128 v[127:130], v179 offset:1696
	s_waitcnt vmcnt(51) lgkmcnt(1)
	v_mul_f64 v[137:138], v[1:2], v[182:183]
	v_mul_f64 v[182:183], v[3:4], v[182:183]
	s_waitcnt vmcnt(49)
	v_fma_f64 v[180:181], v[5:6], v[139:140], -v[180:181]
	v_fma_f64 v[139:140], v[7:8], v[139:140], v[190:191]
	v_add_f64 v[131:132], v[131:132], v[192:193]
	v_add_f64 v[133:134], v[133:134], v[143:144]
	s_clause 0x3
	buffer_load_dword v143, off, s[0:3], 0 offset:384
	buffer_load_dword v144, off, s[0:3], 0 offset:388
	;; [unrolled: 1-line block ×4, first 2 shown]
	ds_read_b128 v[5:8], v179 offset:1712
	s_waitcnt vmcnt(49) lgkmcnt(1)
	v_mul_f64 v[192:193], v[127:128], v[135:136]
	v_mul_f64 v[135:136], v[129:130], v[135:136]
	s_waitcnt vmcnt(48)
	v_fma_f64 v[182:183], v[1:2], v[194:195], -v[182:183]
	v_fma_f64 v[137:138], v[3:4], v[194:195], v[137:138]
	ds_read_b128 v[1:4], v179 offset:1728
	v_add_f64 v[131:132], v[131:132], v[180:181]
	v_add_f64 v[133:134], v[133:134], v[139:140]
	s_waitcnt vmcnt(47) lgkmcnt(1)
	v_mul_f64 v[139:140], v[5:6], v[155:156]
	v_mul_f64 v[155:156], v[7:8], v[155:156]
	s_waitcnt vmcnt(45)
	v_fma_f64 v[135:136], v[127:128], v[145:146], -v[135:136]
	v_fma_f64 v[145:146], v[129:130], v[145:146], v[192:193]
	ds_read_b128 v[127:130], v179 offset:1744
	v_add_f64 v[131:132], v[131:132], v[182:183]
	v_add_f64 v[133:134], v[133:134], v[137:138]
	s_waitcnt vmcnt(41) lgkmcnt(1)
	v_mul_f64 v[137:138], v[1:2], v[141:142]
	v_mul_f64 v[141:142], v[3:4], v[141:142]
	s_waitcnt vmcnt(40)
	v_fma_f64 v[155:156], v[5:6], v[188:189], -v[155:156]
	v_add_f64 v[131:132], v[131:132], v[135:136]
	v_fma_f64 v[135:136], v[7:8], v[188:189], v[139:140]
	v_add_f64 v[133:134], v[133:134], v[145:146]
	ds_read_b128 v[5:8], v179 offset:1760
	s_waitcnt vmcnt(39) lgkmcnt(1)
	v_mul_f64 v[145:146], v[129:130], v[161:162]
	v_mul_f64 v[139:140], v[127:128], v[161:162]
	s_waitcnt vmcnt(37)
	v_fma_f64 v[137:138], v[3:4], v[151:152], v[137:138]
	v_fma_f64 v[141:142], v[1:2], v[151:152], -v[141:142]
	ds_read_b128 v[1:4], v179 offset:1776
	v_add_f64 v[131:132], v[131:132], v[155:156]
	v_add_f64 v[133:134], v[133:134], v[135:136]
	s_waitcnt vmcnt(33) lgkmcnt(1)
	v_mul_f64 v[135:136], v[5:6], v[147:148]
	v_mul_f64 v[147:148], v[7:8], v[147:148]
	s_waitcnt vmcnt(32)
	v_fma_f64 v[145:146], v[127:128], v[163:164], -v[145:146]
	v_fma_f64 v[139:140], v[129:130], v[163:164], v[139:140]
	ds_read_b128 v[127:130], v179 offset:1792
	v_add_f64 v[131:132], v[131:132], v[141:142]
	v_add_f64 v[133:134], v[133:134], v[137:138]
	s_waitcnt vmcnt(31) lgkmcnt(1)
	v_mul_f64 v[141:142], v[3:4], v[169:170]
	v_mul_f64 v[137:138], v[1:2], v[169:170]
	s_waitcnt vmcnt(29)
	v_fma_f64 v[147:148], v[5:6], v[149:150], -v[147:148]
	v_fma_f64 v[135:136], v[7:8], v[149:150], v[135:136]
	ds_read_b128 v[5:8], v179 offset:1808
	v_add_f64 v[131:132], v[131:132], v[145:146]
	v_add_f64 v[133:134], v[133:134], v[139:140]
	s_waitcnt vmcnt(25) lgkmcnt(1)
	v_mul_f64 v[145:146], v[129:130], v[153:154]
	s_waitcnt vmcnt(24)
	v_fma_f64 v[141:142], v[1:2], v[171:172], -v[141:142]
	v_mul_f64 v[139:140], v[127:128], v[153:154]
	v_fma_f64 v[137:138], v[3:4], v[171:172], v[137:138]
	ds_read_b128 v[1:4], v179 offset:1824
	v_add_f64 v[131:132], v[131:132], v[147:148]
	v_add_f64 v[133:134], v[133:134], v[135:136]
	s_waitcnt vmcnt(23) lgkmcnt(1)
	v_mul_f64 v[147:148], v[7:8], v[175:176]
	v_mul_f64 v[135:136], v[5:6], v[175:176]
	s_waitcnt vmcnt(21)
	v_fma_f64 v[145:146], v[127:128], v[157:158], -v[145:146]
	v_fma_f64 v[139:140], v[129:130], v[157:158], v[139:140]
	ds_read_b128 v[127:130], v179 offset:1840
	v_add_f64 v[131:132], v[131:132], v[141:142]
	v_add_f64 v[133:134], v[133:134], v[137:138]
	s_waitcnt vmcnt(17) lgkmcnt(1)
	v_mul_f64 v[141:142], v[3:4], v[159:160]
	s_waitcnt vmcnt(16)
	v_fma_f64 v[147:148], v[5:6], v[177:178], -v[147:148]
	v_mul_f64 v[137:138], v[1:2], v[159:160]
	;; [unrolled: 18-line block ×3, first 2 shown]
	v_fma_f64 v[129:130], v[129:130], v[202:203], v[139:140]
	v_add_f64 v[131:132], v[131:132], v[141:142]
	v_add_f64 v[133:134], v[133:134], v[137:138]
	s_waitcnt vmcnt(7) lgkmcnt(0)
	v_mul_f64 v[139:140], v[3:4], v[184:185]
	v_mul_f64 v[137:138], v[1:2], v[184:185]
	s_waitcnt vmcnt(5)
	v_fma_f64 v[5:6], v[5:6], v[173:174], -v[147:148]
	v_fma_f64 v[7:8], v[7:8], v[173:174], v[135:136]
	v_add_f64 v[127:128], v[131:132], v[127:128]
	v_add_f64 v[129:130], v[133:134], v[129:130]
	s_waitcnt vmcnt(4)
	v_fma_f64 v[1:2], v[1:2], v[207:208], -v[139:140]
	v_fma_f64 v[3:4], v[3:4], v[207:208], v[137:138]
	v_add_f64 v[5:6], v[127:128], v[5:6]
	v_add_f64 v[7:8], v[129:130], v[7:8]
	;; [unrolled: 1-line block ×4, first 2 shown]
	s_waitcnt vmcnt(2)
	v_add_f64 v[1:2], v[143:144], -v[1:2]
	s_waitcnt vmcnt(0)
	v_add_f64 v[3:4], v[190:191], -v[3:4]
	buffer_store_dword v2, off, s[0:3], 0 offset:388
	buffer_store_dword v1, off, s[0:3], 0 offset:384
	;; [unrolled: 1-line block ×4, first 2 shown]
	v_cmpx_lt_u32_e32 22, v0
	s_cbranch_execz .LBB122_323
; %bb.322:
	v_mov_b32_e32 v4, s49
	s_clause 0x3
	buffer_load_dword v1, v4, s[0:3], 0 offen
	buffer_load_dword v2, v4, s[0:3], 0 offen offset:4
	buffer_load_dword v3, v4, s[0:3], 0 offen offset:8
	;; [unrolled: 1-line block ×3, first 2 shown]
	buffer_store_dword v179, off, s[0:3], 0 offset:368
	buffer_store_dword v179, off, s[0:3], 0 offset:372
	;; [unrolled: 1-line block ×4, first 2 shown]
	s_waitcnt vmcnt(0)
	ds_write_b128 v187, v[1:4]
.LBB122_323:
	s_or_b32 exec_lo, exec_lo, s4
	s_waitcnt lgkmcnt(0)
	s_waitcnt_vscnt null, 0x0
	s_barrier
	buffer_gl0_inv
	s_clause 0x37
	buffer_load_dword v127, off, s[0:3], 0 offset:392
	buffer_load_dword v128, off, s[0:3], 0 offset:396
	;; [unrolled: 1-line block ×56, first 2 shown]
	ds_read_b128 v[180:183], v179 offset:1312
	s_clause 0x2
	buffer_load_dword v176, off, s[0:3], 0 offset:620
	buffer_load_dword v178, off, s[0:3], 0 offset:596
	;; [unrolled: 1-line block ×3, first 2 shown]
	ds_read_b128 v[188:191], v179 offset:1328
	s_clause 0x4
	buffer_load_dword v197, off, s[0:3], 0 offset:636
	buffer_load_dword v198, off, s[0:3], 0 offset:648
	;; [unrolled: 1-line block ×5, first 2 shown]
	ds_read_b128 v[192:195], v179 offset:1344
	s_clause 0x2
	buffer_load_dword v199, off, s[0:3], 0 offset:652
	buffer_load_dword v204, off, s[0:3], 0 offset:628
	;; [unrolled: 1-line block ×3, first 2 shown]
	s_mov_b32 s4, exec_lo
	s_waitcnt vmcnt(62) lgkmcnt(2)
	v_mul_f64 v[184:185], v[182:183], v[127:128]
	v_mul_f64 v[127:128], v[180:181], v[127:128]
	s_waitcnt lgkmcnt(1)
	v_mul_f64 v[201:202], v[190:191], v[5:6]
	s_waitcnt vmcnt(59) lgkmcnt(0)
	v_mul_f64 v[205:206], v[194:195], v[3:4]
	v_fma_f64 v[180:181], v[180:181], v[7:8], -v[184:185]
	v_mul_f64 v[184:185], v[188:189], v[5:6]
	v_fma_f64 v[127:128], v[182:183], v[7:8], v[127:128]
	s_waitcnt vmcnt(57)
	v_fma_f64 v[188:189], v[188:189], v[1:2], -v[201:202]
	ds_read_b128 v[5:8], v179 offset:1360
	v_mul_f64 v[182:183], v[192:193], v[3:4]
	s_waitcnt vmcnt(51)
	v_fma_f64 v[192:193], v[192:193], v[143:144], -v[205:206]
	v_add_f64 v[180:181], v[180:181], 0
	v_fma_f64 v[184:185], v[190:191], v[1:2], v[184:185]
	v_add_f64 v[127:128], v[127:128], 0
	s_clause 0x4
	buffer_load_dword v191, off, s[0:3], 0 offset:668
	buffer_load_dword v207, off, s[0:3], 0 offset:680
	;; [unrolled: 1-line block ×5, first 2 shown]
	s_waitcnt lgkmcnt(0)
	v_mul_f64 v[210:211], v[5:6], v[131:132]
	v_mul_f64 v[131:132], v[7:8], v[131:132]
	ds_read_b128 v[1:4], v179 offset:1376
	v_fma_f64 v[143:144], v[194:195], v[143:144], v[182:183]
	v_add_f64 v[188:189], v[180:181], v[188:189]
	v_add_f64 v[127:128], v[127:128], v[184:185]
	s_clause 0x2
	buffer_load_dword v208, off, s[0:3], 0 offset:684
	buffer_load_dword v185, off, s[0:3], 0 offset:660
	;; [unrolled: 1-line block ×3, first 2 shown]
	s_waitcnt vmcnt(58) lgkmcnt(0)
	v_mul_f64 v[194:195], v[1:2], v[135:136]
	v_mul_f64 v[135:136], v[3:4], v[135:136]
	s_waitcnt vmcnt(56)
	v_fma_f64 v[131:132], v[5:6], v[137:138], -v[131:132]
	ds_read_b128 v[180:183], v179 offset:1392
	v_fma_f64 v[137:138], v[7:8], v[137:138], v[210:211]
	v_add_f64 v[188:189], v[188:189], v[192:193]
	v_add_f64 v[127:128], v[127:128], v[143:144]
	s_clause 0x4
	buffer_load_dword v144, off, s[0:3], 0 offset:700
	buffer_load_dword v192, off, s[0:3], 0 offset:712
	;; [unrolled: 1-line block ×5, first 2 shown]
	ds_read_b128 v[5:8], v179 offset:1408
	s_waitcnt vmcnt(57) lgkmcnt(1)
	v_mul_f64 v[211:212], v[180:181], v[139:140]
	v_mul_f64 v[139:140], v[182:183], v[139:140]
	s_waitcnt vmcnt(56)
	v_fma_f64 v[135:136], v[1:2], v[129:130], -v[135:136]
	v_fma_f64 v[129:130], v[3:4], v[129:130], v[194:195]
	v_add_f64 v[131:132], v[188:189], v[131:132]
	v_add_f64 v[127:128], v[127:128], v[137:138]
	s_clause 0x2
	buffer_load_dword v193, off, s[0:3], 0 offset:716
	buffer_load_dword v138, off, s[0:3], 0 offset:692
	;; [unrolled: 1-line block ×3, first 2 shown]
	s_waitcnt vmcnt(58) lgkmcnt(0)
	v_mul_f64 v[188:189], v[5:6], v[145:146]
	v_mul_f64 v[145:146], v[7:8], v[145:146]
	s_waitcnt vmcnt(56)
	v_fma_f64 v[139:140], v[180:181], v[147:148], -v[139:140]
	ds_read_b128 v[1:4], v179 offset:1424
	v_add_f64 v[131:132], v[131:132], v[135:136]
	v_fma_f64 v[135:136], v[182:183], v[147:148], v[211:212]
	v_add_f64 v[147:148], v[127:128], v[129:130]
	s_clause 0x4
	buffer_load_dword v181, off, s[0:3], 0 offset:732
	buffer_load_dword v182, off, s[0:3], 0 offset:744
	;; [unrolled: 1-line block ×5, first 2 shown]
	ds_read_b128 v[127:130], v179 offset:1440
	s_waitcnt vmcnt(57) lgkmcnt(1)
	v_mul_f64 v[211:212], v[1:2], v[149:150]
	v_mul_f64 v[149:150], v[3:4], v[149:150]
	s_waitcnt vmcnt(56)
	v_fma_f64 v[145:146], v[5:6], v[133:134], -v[145:146]
	v_fma_f64 v[133:134], v[7:8], v[133:134], v[188:189]
	v_add_f64 v[131:132], v[131:132], v[139:140]
	s_clause 0x2
	buffer_load_dword v183, off, s[0:3], 0 offset:748
	buffer_load_dword v140, off, s[0:3], 0 offset:724
	;; [unrolled: 1-line block ×3, first 2 shown]
	v_add_f64 v[135:136], v[147:148], v[135:136]
	s_waitcnt vmcnt(58) lgkmcnt(0)
	v_mul_f64 v[147:148], v[127:128], v[153:154]
	v_mul_f64 v[153:154], v[129:130], v[153:154]
	ds_read_b128 v[5:8], v179 offset:1456
	s_waitcnt vmcnt(56)
	v_fma_f64 v[149:150], v[1:2], v[155:156], -v[149:150]
	v_add_f64 v[131:132], v[131:132], v[145:146]
	v_fma_f64 v[145:146], v[3:4], v[155:156], v[211:212]
	v_add_f64 v[133:134], v[135:136], v[133:134]
	s_clause 0x4
	buffer_load_dword v136, off, s[0:3], 0 offset:764
	buffer_load_dword v155, off, s[0:3], 0 offset:776
	;; [unrolled: 1-line block ×5, first 2 shown]
	s_waitcnt vmcnt(57) lgkmcnt(0)
	v_mul_f64 v[211:212], v[5:6], v[157:158]
	v_mul_f64 v[157:158], v[7:8], v[157:158]
	s_waitcnt vmcnt(56)
	v_fma_f64 v[153:154], v[127:128], v[141:142], -v[153:154]
	ds_read_b128 v[1:4], v179 offset:1472
	v_fma_f64 v[141:142], v[129:130], v[141:142], v[147:148]
	v_add_f64 v[131:132], v[131:132], v[149:150]
	v_add_f64 v[133:134], v[133:134], v[145:146]
	s_clause 0x2
	buffer_load_dword v156, off, s[0:3], 0 offset:780
	buffer_load_dword v146, off, s[0:3], 0 offset:756
	;; [unrolled: 1-line block ×3, first 2 shown]
	ds_read_b128 v[127:130], v179 offset:1488
	s_waitcnt vmcnt(58) lgkmcnt(1)
	v_mul_f64 v[149:150], v[3:4], v[161:162]
	s_waitcnt vmcnt(56)
	v_fma_f64 v[157:158], v[5:6], v[163:164], -v[157:158]
	v_mul_f64 v[147:148], v[1:2], v[161:162]
	v_add_f64 v[131:132], v[131:132], v[153:154]
	v_fma_f64 v[153:154], v[7:8], v[163:164], v[211:212]
	v_add_f64 v[133:134], v[133:134], v[141:142]
	s_clause 0x4
	buffer_load_dword v142, off, s[0:3], 0 offset:796
	buffer_load_dword v161, off, s[0:3], 0 offset:808
	;; [unrolled: 1-line block ×5, first 2 shown]
	s_waitcnt vmcnt(57) lgkmcnt(0)
	v_mul_f64 v[211:212], v[127:128], v[165:166]
	v_mul_f64 v[164:165], v[129:130], v[165:166]
	s_waitcnt vmcnt(56)
	v_fma_f64 v[149:150], v[1:2], v[151:152], -v[149:150]
	ds_read_b128 v[5:8], v179 offset:1504
	v_fma_f64 v[147:148], v[3:4], v[151:152], v[147:148]
	s_clause 0x2
	buffer_load_dword v162, off, s[0:3], 0 offset:812
	buffer_load_dword v152, off, s[0:3], 0 offset:788
	;; [unrolled: 1-line block ×3, first 2 shown]
	ds_read_b128 v[1:4], v179 offset:1520
	v_add_f64 v[131:132], v[131:132], v[157:158]
	v_add_f64 v[133:134], v[133:134], v[153:154]
	s_waitcnt vmcnt(58) lgkmcnt(1)
	v_mul_f64 v[157:158], v[7:8], v[169:170]
	s_waitcnt vmcnt(56)
	v_fma_f64 v[165:166], v[127:128], v[171:172], -v[164:165]
	v_mul_f64 v[153:154], v[5:6], v[169:170]
	v_add_f64 v[131:132], v[131:132], v[149:150]
	v_fma_f64 v[149:150], v[129:130], v[171:172], v[211:212]
	v_add_f64 v[133:134], v[133:134], v[147:148]
	s_clause 0x4
	buffer_load_dword v148, off, s[0:3], 0 offset:828
	buffer_load_dword v169, off, s[0:3], 0 offset:840
	;; [unrolled: 1-line block ×5, first 2 shown]
	s_waitcnt vmcnt(57) lgkmcnt(0)
	v_mul_f64 v[211:212], v[1:2], v[173:174]
	v_mul_f64 v[172:173], v[3:4], v[173:174]
	s_waitcnt vmcnt(56)
	v_fma_f64 v[157:158], v[5:6], v[159:160], -v[157:158]
	ds_read_b128 v[127:130], v179 offset:1536
	v_fma_f64 v[153:154], v[7:8], v[159:160], v[153:154]
	v_add_f64 v[131:132], v[131:132], v[165:166]
	v_add_f64 v[133:134], v[133:134], v[149:150]
	s_clause 0x2
	buffer_load_dword v170, off, s[0:3], 0 offset:844
	buffer_load_dword v150, off, s[0:3], 0 offset:820
	;; [unrolled: 1-line block ×3, first 2 shown]
	ds_read_b128 v[5:8], v179 offset:1552
	s_waitcnt vmcnt(58) lgkmcnt(1)
	v_mul_f64 v[165:166], v[129:130], v[175:176]
	s_waitcnt vmcnt(56)
	v_fma_f64 v[173:174], v[1:2], v[177:178], -v[172:173]
	v_mul_f64 v[159:160], v[127:128], v[175:176]
	v_add_f64 v[131:132], v[131:132], v[157:158]
	v_fma_f64 v[157:158], v[3:4], v[177:178], v[211:212]
	v_add_f64 v[133:134], v[133:134], v[153:154]
	s_clause 0x4
	buffer_load_dword v154, off, s[0:3], 0 offset:860
	buffer_load_dword v175, off, s[0:3], 0 offset:872
	;; [unrolled: 1-line block ×5, first 2 shown]
	s_waitcnt vmcnt(57) lgkmcnt(0)
	v_mul_f64 v[211:212], v[5:6], v[196:197]
	v_mul_f64 v[196:197], v[7:8], v[196:197]
	s_waitcnt vmcnt(56)
	v_fma_f64 v[165:166], v[127:128], v[167:168], -v[165:166]
	ds_read_b128 v[1:4], v179 offset:1568
	v_fma_f64 v[159:160], v[129:130], v[167:168], v[159:160]
	v_add_f64 v[131:132], v[131:132], v[173:174]
	v_add_f64 v[133:134], v[133:134], v[157:158]
	s_clause 0x2
	buffer_load_dword v176, off, s[0:3], 0 offset:876
	buffer_load_dword v158, off, s[0:3], 0 offset:852
	;; [unrolled: 1-line block ×3, first 2 shown]
	ds_read_b128 v[127:130], v179 offset:1584
	s_waitcnt vmcnt(58) lgkmcnt(1)
	v_mul_f64 v[173:174], v[3:4], v[198:199]
	s_waitcnt vmcnt(56)
	v_fma_f64 v[196:197], v[5:6], v[203:204], -v[196:197]
	v_mul_f64 v[167:168], v[1:2], v[198:199]
	v_add_f64 v[131:132], v[131:132], v[165:166]
	v_fma_f64 v[165:166], v[7:8], v[203:204], v[211:212]
	v_add_f64 v[133:134], v[133:134], v[159:160]
	s_clause 0x4
	buffer_load_dword v160, off, s[0:3], 0 offset:892
	buffer_load_dword v198, off, s[0:3], 0 offset:904
	;; [unrolled: 1-line block ×5, first 2 shown]
	ds_read_b128 v[5:8], v179 offset:1600
	s_waitcnt vmcnt(57) lgkmcnt(1)
	v_mul_f64 v[203:204], v[127:128], v[190:191]
	v_mul_f64 v[190:191], v[129:130], v[190:191]
	s_waitcnt vmcnt(56)
	v_fma_f64 v[173:174], v[1:2], v[200:201], -v[173:174]
	v_fma_f64 v[167:168], v[3:4], v[200:201], v[167:168]
	v_add_f64 v[131:132], v[131:132], v[196:197]
	v_add_f64 v[133:134], v[133:134], v[165:166]
	s_clause 0x2
	buffer_load_dword v199, off, s[0:3], 0 offset:908
	buffer_load_dword v166, off, s[0:3], 0 offset:884
	;; [unrolled: 1-line block ×3, first 2 shown]
	ds_read_b128 v[1:4], v179 offset:1616
	s_waitcnt vmcnt(58) lgkmcnt(1)
	v_mul_f64 v[200:201], v[7:8], v[207:208]
	v_mul_f64 v[196:197], v[5:6], v[207:208]
	s_waitcnt vmcnt(56)
	v_fma_f64 v[190:191], v[127:128], v[184:185], -v[190:191]
	v_add_f64 v[131:132], v[131:132], v[173:174]
	v_fma_f64 v[173:174], v[129:130], v[184:185], v[203:204]
	v_add_f64 v[133:134], v[133:134], v[167:168]
	s_clause 0x4
	buffer_load_dword v168, off, s[0:3], 0 offset:924
	buffer_load_dword v184, off, s[0:3], 0 offset:936
	;; [unrolled: 1-line block ×5, first 2 shown]
	ds_read_b128 v[127:130], v179 offset:1632
	s_waitcnt vmcnt(57) lgkmcnt(1)
	v_mul_f64 v[211:212], v[1:2], v[143:144]
	v_mul_f64 v[143:144], v[3:4], v[143:144]
	s_waitcnt vmcnt(56)
	v_fma_f64 v[200:201], v[5:6], v[209:210], -v[200:201]
	v_add_f64 v[131:132], v[131:132], v[190:191]
	v_fma_f64 v[190:191], v[7:8], v[209:210], v[196:197]
	v_add_f64 v[133:134], v[133:134], v[173:174]
	s_clause 0x2
	buffer_load_dword v185, off, s[0:3], 0 offset:940
	buffer_load_dword v174, off, s[0:3], 0 offset:916
	;; [unrolled: 1-line block ×3, first 2 shown]
	ds_read_b128 v[5:8], v179 offset:1648
	s_waitcnt vmcnt(58) lgkmcnt(1)
	v_mul_f64 v[196:197], v[127:128], v[192:193]
	v_mul_f64 v[192:193], v[129:130], v[192:193]
	s_waitcnt vmcnt(56)
	v_fma_f64 v[143:144], v[1:2], v[137:138], -v[143:144]
	v_fma_f64 v[137:138], v[3:4], v[137:138], v[211:212]
	v_add_f64 v[131:132], v[131:132], v[200:201]
	v_add_f64 v[133:134], v[133:134], v[190:191]
	s_clause 0x2
	buffer_load_dword v191, off, s[0:3], 0 offset:956
	buffer_load_dword v190, off, s[0:3], 0 offset:952
	;; [unrolled: 1-line block ×3, first 2 shown]
	ds_read_b128 v[1:4], v179 offset:1664
	s_waitcnt vmcnt(55) lgkmcnt(1)
	v_mul_f64 v[200:201], v[5:6], v[180:181]
	v_mul_f64 v[180:181], v[7:8], v[180:181]
	s_waitcnt vmcnt(54)
	v_fma_f64 v[192:193], v[127:128], v[205:206], -v[192:193]
	v_add_f64 v[131:132], v[131:132], v[143:144]
	v_fma_f64 v[143:144], v[129:130], v[205:206], v[196:197]
	v_add_f64 v[133:134], v[133:134], v[137:138]
	s_clause 0x1
	buffer_load_dword v138, off, s[0:3], 0 offset:948
	buffer_load_dword v137, off, s[0:3], 0 offset:944
	ds_read_b128 v[127:130], v179 offset:1680
	s_waitcnt vmcnt(55) lgkmcnt(1)
	v_mul_f64 v[196:197], v[1:2], v[182:183]
	v_mul_f64 v[182:183], v[3:4], v[182:183]
	s_waitcnt vmcnt(53)
	v_fma_f64 v[180:181], v[5:6], v[139:140], -v[180:181]
	v_fma_f64 v[139:140], v[7:8], v[139:140], v[200:201]
	ds_read_b128 v[5:8], v179 offset:1696
	v_add_f64 v[131:132], v[131:132], v[192:193]
	v_add_f64 v[133:134], v[133:134], v[143:144]
	s_waitcnt vmcnt(49) lgkmcnt(1)
	v_mul_f64 v[143:144], v[127:128], v[135:136]
	v_mul_f64 v[135:136], v[129:130], v[135:136]
	s_waitcnt vmcnt(48)
	v_fma_f64 v[182:183], v[1:2], v[194:195], -v[182:183]
	v_add_f64 v[131:132], v[131:132], v[180:181]
	v_fma_f64 v[180:181], v[3:4], v[194:195], v[196:197]
	v_add_f64 v[133:134], v[133:134], v[139:140]
	s_clause 0x3
	buffer_load_dword v139, off, s[0:3], 0 offset:368
	buffer_load_dword v140, off, s[0:3], 0 offset:372
	;; [unrolled: 1-line block ×4, first 2 shown]
	ds_read_b128 v[1:4], v179 offset:1712
	s_waitcnt vmcnt(51) lgkmcnt(1)
	v_mul_f64 v[194:195], v[5:6], v[155:156]
	v_mul_f64 v[155:156], v[7:8], v[155:156]
	s_waitcnt vmcnt(49)
	v_fma_f64 v[135:136], v[127:128], v[145:146], -v[135:136]
	v_fma_f64 v[143:144], v[129:130], v[145:146], v[143:144]
	ds_read_b128 v[127:130], v179 offset:1728
	v_add_f64 v[131:132], v[131:132], v[182:183]
	v_add_f64 v[133:134], v[133:134], v[180:181]
	s_waitcnt vmcnt(45) lgkmcnt(1)
	v_mul_f64 v[145:146], v[1:2], v[141:142]
	v_mul_f64 v[141:142], v[3:4], v[141:142]
	s_waitcnt vmcnt(44)
	v_fma_f64 v[155:156], v[5:6], v[188:189], -v[155:156]
	v_add_f64 v[131:132], v[131:132], v[135:136]
	v_fma_f64 v[135:136], v[7:8], v[188:189], v[194:195]
	v_add_f64 v[133:134], v[133:134], v[143:144]
	s_waitcnt vmcnt(43) lgkmcnt(0)
	v_mul_f64 v[143:144], v[127:128], v[161:162]
	v_mul_f64 v[161:162], v[129:130], v[161:162]
	ds_read_b128 v[5:8], v179 offset:1744
	s_waitcnt vmcnt(41)
	v_fma_f64 v[145:146], v[3:4], v[151:152], v[145:146]
	v_fma_f64 v[141:142], v[1:2], v[151:152], -v[141:142]
	ds_read_b128 v[1:4], v179 offset:1760
	v_add_f64 v[131:132], v[131:132], v[155:156]
	v_add_f64 v[133:134], v[133:134], v[135:136]
	s_waitcnt vmcnt(37) lgkmcnt(1)
	v_mul_f64 v[135:136], v[5:6], v[147:148]
	v_mul_f64 v[147:148], v[7:8], v[147:148]
	s_waitcnt vmcnt(36)
	v_fma_f64 v[151:152], v[127:128], v[163:164], -v[161:162]
	v_add_f64 v[131:132], v[131:132], v[141:142]
	v_fma_f64 v[141:142], v[129:130], v[163:164], v[143:144]
	v_add_f64 v[133:134], v[133:134], v[145:146]
	ds_read_b128 v[127:130], v179 offset:1776
	s_waitcnt vmcnt(35) lgkmcnt(1)
	v_mul_f64 v[145:146], v[3:4], v[169:170]
	v_mul_f64 v[143:144], v[1:2], v[169:170]
	s_waitcnt vmcnt(33)
	v_fma_f64 v[147:148], v[5:6], v[149:150], -v[147:148]
	v_fma_f64 v[135:136], v[7:8], v[149:150], v[135:136]
	ds_read_b128 v[5:8], v179 offset:1792
	v_add_f64 v[131:132], v[131:132], v[151:152]
	v_add_f64 v[133:134], v[133:134], v[141:142]
	s_waitcnt vmcnt(29) lgkmcnt(1)
	v_mul_f64 v[149:150], v[129:130], v[153:154]
	s_waitcnt vmcnt(28)
	v_fma_f64 v[145:146], v[1:2], v[171:172], -v[145:146]
	v_mul_f64 v[141:142], v[127:128], v[153:154]
	v_fma_f64 v[143:144], v[3:4], v[171:172], v[143:144]
	ds_read_b128 v[1:4], v179 offset:1808
	v_add_f64 v[131:132], v[131:132], v[147:148]
	v_add_f64 v[133:134], v[133:134], v[135:136]
	s_waitcnt vmcnt(27) lgkmcnt(1)
	v_mul_f64 v[147:148], v[7:8], v[175:176]
	v_mul_f64 v[135:136], v[5:6], v[175:176]
	s_waitcnt vmcnt(25)
	v_fma_f64 v[149:150], v[127:128], v[157:158], -v[149:150]
	v_fma_f64 v[141:142], v[129:130], v[157:158], v[141:142]
	ds_read_b128 v[127:130], v179 offset:1824
	v_add_f64 v[131:132], v[131:132], v[145:146]
	v_add_f64 v[133:134], v[133:134], v[143:144]
	s_waitcnt vmcnt(21) lgkmcnt(1)
	v_mul_f64 v[145:146], v[3:4], v[159:160]
	s_waitcnt vmcnt(20)
	v_fma_f64 v[147:148], v[5:6], v[177:178], -v[147:148]
	v_mul_f64 v[143:144], v[1:2], v[159:160]
	v_fma_f64 v[135:136], v[7:8], v[177:178], v[135:136]
	ds_read_b128 v[5:8], v179 offset:1840
	v_add_f64 v[131:132], v[131:132], v[149:150]
	v_add_f64 v[133:134], v[133:134], v[141:142]
	;; [unrolled: 18-line block ×3, first 2 shown]
	s_waitcnt vmcnt(11) lgkmcnt(1)
	v_mul_f64 v[145:146], v[3:4], v[184:185]
	v_mul_f64 v[143:144], v[1:2], v[184:185]
	s_waitcnt vmcnt(9)
	v_fma_f64 v[5:6], v[5:6], v[173:174], -v[147:148]
	v_fma_f64 v[7:8], v[7:8], v[173:174], v[135:136]
	v_add_f64 v[131:132], v[131:132], v[149:150]
	v_add_f64 v[133:134], v[133:134], v[141:142]
	s_waitcnt vmcnt(7) lgkmcnt(0)
	v_mul_f64 v[141:142], v[129:130], v[190:191]
	s_waitcnt vmcnt(6)
	v_fma_f64 v[1:2], v[1:2], v[207:208], -v[145:146]
	v_mul_f64 v[135:136], v[127:128], v[190:191]
	v_fma_f64 v[3:4], v[3:4], v[207:208], v[143:144]
	v_add_f64 v[5:6], v[131:132], v[5:6]
	v_add_f64 v[7:8], v[133:134], v[7:8]
	s_waitcnt vmcnt(4)
	v_fma_f64 v[127:128], v[127:128], v[137:138], -v[141:142]
	v_add_f64 v[1:2], v[5:6], v[1:2]
	v_fma_f64 v[5:6], v[129:130], v[137:138], v[135:136]
	v_add_f64 v[3:4], v[7:8], v[3:4]
	v_add_f64 v[1:2], v[1:2], v[127:128]
	;; [unrolled: 1-line block ×3, first 2 shown]
	s_waitcnt vmcnt(2)
	v_add_f64 v[1:2], v[139:140], -v[1:2]
	s_waitcnt vmcnt(0)
	v_add_f64 v[3:4], v[192:193], -v[3:4]
	buffer_store_dword v2, off, s[0:3], 0 offset:372
	buffer_store_dword v1, off, s[0:3], 0 offset:368
	buffer_store_dword v4, off, s[0:3], 0 offset:380
	buffer_store_dword v3, off, s[0:3], 0 offset:376
	v_cmpx_lt_u32_e32 21, v0
	s_cbranch_execz .LBB122_325
; %bb.324:
	v_mov_b32_e32 v4, s50
	v_mov_b32_e32 v5, 0
	s_clause 0x3
	buffer_load_dword v1, v4, s[0:3], 0 offen
	buffer_load_dword v2, v4, s[0:3], 0 offen offset:4
	buffer_load_dword v3, v4, s[0:3], 0 offen offset:8
	;; [unrolled: 1-line block ×3, first 2 shown]
	buffer_store_dword v5, off, s[0:3], 0 offset:352
	buffer_store_dword v5, off, s[0:3], 0 offset:356
	;; [unrolled: 1-line block ×4, first 2 shown]
	s_waitcnt vmcnt(0)
	ds_write_b128 v187, v[1:4]
.LBB122_325:
	s_or_b32 exec_lo, exec_lo, s4
	s_waitcnt lgkmcnt(0)
	s_waitcnt_vscnt null, 0x0
	s_barrier
	buffer_gl0_inv
	s_clause 0x37
	buffer_load_dword v127, off, s[0:3], 0 offset:376
	buffer_load_dword v128, off, s[0:3], 0 offset:380
	;; [unrolled: 1-line block ×56, first 2 shown]
	v_mov_b32_e32 v179, 0
	s_mov_b32 s4, exec_lo
	ds_read_b128 v[180:183], v179 offset:1296
	s_clause 0x2
	buffer_load_dword v176, off, s[0:3], 0 offset:604
	buffer_load_dword v178, off, s[0:3], 0 offset:580
	;; [unrolled: 1-line block ×3, first 2 shown]
	ds_read_b128 v[188:191], v179 offset:1312
	s_clause 0x4
	buffer_load_dword v197, off, s[0:3], 0 offset:620
	buffer_load_dword v198, off, s[0:3], 0 offset:632
	;; [unrolled: 1-line block ×5, first 2 shown]
	ds_read_b128 v[192:195], v179 offset:1328
	s_clause 0x2
	buffer_load_dword v199, off, s[0:3], 0 offset:636
	buffer_load_dword v204, off, s[0:3], 0 offset:612
	;; [unrolled: 1-line block ×3, first 2 shown]
	s_waitcnt vmcnt(62) lgkmcnt(2)
	v_mul_f64 v[184:185], v[182:183], v[127:128]
	v_mul_f64 v[127:128], v[180:181], v[127:128]
	s_waitcnt lgkmcnt(1)
	v_mul_f64 v[201:202], v[190:191], v[5:6]
	s_waitcnt vmcnt(59) lgkmcnt(0)
	v_mul_f64 v[205:206], v[194:195], v[3:4]
	v_fma_f64 v[180:181], v[180:181], v[7:8], -v[184:185]
	v_mul_f64 v[184:185], v[188:189], v[5:6]
	v_fma_f64 v[127:128], v[182:183], v[7:8], v[127:128]
	s_waitcnt vmcnt(57)
	v_fma_f64 v[188:189], v[188:189], v[1:2], -v[201:202]
	ds_read_b128 v[5:8], v179 offset:1344
	v_mul_f64 v[182:183], v[192:193], v[3:4]
	s_waitcnt vmcnt(51)
	v_fma_f64 v[192:193], v[192:193], v[143:144], -v[205:206]
	v_add_f64 v[180:181], v[180:181], 0
	v_fma_f64 v[184:185], v[190:191], v[1:2], v[184:185]
	v_add_f64 v[127:128], v[127:128], 0
	s_clause 0x4
	buffer_load_dword v191, off, s[0:3], 0 offset:652
	buffer_load_dword v207, off, s[0:3], 0 offset:664
	;; [unrolled: 1-line block ×5, first 2 shown]
	s_waitcnt lgkmcnt(0)
	v_mul_f64 v[210:211], v[5:6], v[131:132]
	v_mul_f64 v[131:132], v[7:8], v[131:132]
	ds_read_b128 v[1:4], v179 offset:1360
	v_fma_f64 v[143:144], v[194:195], v[143:144], v[182:183]
	v_add_f64 v[188:189], v[180:181], v[188:189]
	v_add_f64 v[127:128], v[127:128], v[184:185]
	s_clause 0x2
	buffer_load_dword v208, off, s[0:3], 0 offset:668
	buffer_load_dword v185, off, s[0:3], 0 offset:644
	;; [unrolled: 1-line block ×3, first 2 shown]
	s_waitcnt vmcnt(58) lgkmcnt(0)
	v_mul_f64 v[194:195], v[1:2], v[135:136]
	v_mul_f64 v[135:136], v[3:4], v[135:136]
	s_waitcnt vmcnt(56)
	v_fma_f64 v[131:132], v[5:6], v[137:138], -v[131:132]
	ds_read_b128 v[180:183], v179 offset:1376
	v_fma_f64 v[137:138], v[7:8], v[137:138], v[210:211]
	v_add_f64 v[188:189], v[188:189], v[192:193]
	v_add_f64 v[127:128], v[127:128], v[143:144]
	s_clause 0x4
	buffer_load_dword v144, off, s[0:3], 0 offset:684
	buffer_load_dword v192, off, s[0:3], 0 offset:696
	;; [unrolled: 1-line block ×5, first 2 shown]
	ds_read_b128 v[5:8], v179 offset:1392
	s_waitcnt vmcnt(57) lgkmcnt(1)
	v_mul_f64 v[211:212], v[180:181], v[139:140]
	v_mul_f64 v[139:140], v[182:183], v[139:140]
	s_waitcnt vmcnt(56)
	v_fma_f64 v[135:136], v[1:2], v[129:130], -v[135:136]
	v_fma_f64 v[129:130], v[3:4], v[129:130], v[194:195]
	v_add_f64 v[131:132], v[188:189], v[131:132]
	v_add_f64 v[127:128], v[127:128], v[137:138]
	s_clause 0x2
	buffer_load_dword v193, off, s[0:3], 0 offset:700
	buffer_load_dword v138, off, s[0:3], 0 offset:676
	;; [unrolled: 1-line block ×3, first 2 shown]
	s_waitcnt vmcnt(58) lgkmcnt(0)
	v_mul_f64 v[188:189], v[5:6], v[145:146]
	v_mul_f64 v[145:146], v[7:8], v[145:146]
	s_waitcnt vmcnt(56)
	v_fma_f64 v[139:140], v[180:181], v[147:148], -v[139:140]
	ds_read_b128 v[1:4], v179 offset:1408
	v_add_f64 v[131:132], v[131:132], v[135:136]
	v_fma_f64 v[135:136], v[182:183], v[147:148], v[211:212]
	v_add_f64 v[147:148], v[127:128], v[129:130]
	s_clause 0x4
	buffer_load_dword v181, off, s[0:3], 0 offset:716
	buffer_load_dword v182, off, s[0:3], 0 offset:728
	;; [unrolled: 1-line block ×5, first 2 shown]
	ds_read_b128 v[127:130], v179 offset:1424
	s_waitcnt vmcnt(57) lgkmcnt(1)
	v_mul_f64 v[211:212], v[1:2], v[149:150]
	v_mul_f64 v[149:150], v[3:4], v[149:150]
	s_waitcnt vmcnt(56)
	v_fma_f64 v[145:146], v[5:6], v[133:134], -v[145:146]
	v_fma_f64 v[133:134], v[7:8], v[133:134], v[188:189]
	v_add_f64 v[131:132], v[131:132], v[139:140]
	s_clause 0x2
	buffer_load_dword v183, off, s[0:3], 0 offset:732
	buffer_load_dword v140, off, s[0:3], 0 offset:708
	;; [unrolled: 1-line block ×3, first 2 shown]
	v_add_f64 v[135:136], v[147:148], v[135:136]
	s_waitcnt vmcnt(58) lgkmcnt(0)
	v_mul_f64 v[147:148], v[127:128], v[153:154]
	v_mul_f64 v[153:154], v[129:130], v[153:154]
	ds_read_b128 v[5:8], v179 offset:1440
	s_waitcnt vmcnt(56)
	v_fma_f64 v[149:150], v[1:2], v[155:156], -v[149:150]
	v_add_f64 v[131:132], v[131:132], v[145:146]
	v_fma_f64 v[145:146], v[3:4], v[155:156], v[211:212]
	v_add_f64 v[133:134], v[135:136], v[133:134]
	s_clause 0x4
	buffer_load_dword v136, off, s[0:3], 0 offset:748
	buffer_load_dword v155, off, s[0:3], 0 offset:760
	;; [unrolled: 1-line block ×5, first 2 shown]
	s_waitcnt vmcnt(57) lgkmcnt(0)
	v_mul_f64 v[211:212], v[5:6], v[157:158]
	v_mul_f64 v[157:158], v[7:8], v[157:158]
	s_waitcnt vmcnt(56)
	v_fma_f64 v[153:154], v[127:128], v[141:142], -v[153:154]
	ds_read_b128 v[1:4], v179 offset:1456
	v_fma_f64 v[141:142], v[129:130], v[141:142], v[147:148]
	v_add_f64 v[131:132], v[131:132], v[149:150]
	v_add_f64 v[133:134], v[133:134], v[145:146]
	s_clause 0x2
	buffer_load_dword v156, off, s[0:3], 0 offset:764
	buffer_load_dword v146, off, s[0:3], 0 offset:740
	;; [unrolled: 1-line block ×3, first 2 shown]
	ds_read_b128 v[127:130], v179 offset:1472
	s_waitcnt vmcnt(58) lgkmcnt(1)
	v_mul_f64 v[149:150], v[3:4], v[161:162]
	s_waitcnt vmcnt(56)
	v_fma_f64 v[157:158], v[5:6], v[163:164], -v[157:158]
	v_mul_f64 v[147:148], v[1:2], v[161:162]
	v_add_f64 v[131:132], v[131:132], v[153:154]
	v_fma_f64 v[153:154], v[7:8], v[163:164], v[211:212]
	v_add_f64 v[133:134], v[133:134], v[141:142]
	s_clause 0x4
	buffer_load_dword v142, off, s[0:3], 0 offset:780
	buffer_load_dword v161, off, s[0:3], 0 offset:792
	;; [unrolled: 1-line block ×5, first 2 shown]
	s_waitcnt vmcnt(57) lgkmcnt(0)
	v_mul_f64 v[211:212], v[127:128], v[165:166]
	v_mul_f64 v[164:165], v[129:130], v[165:166]
	s_waitcnt vmcnt(56)
	v_fma_f64 v[149:150], v[1:2], v[151:152], -v[149:150]
	ds_read_b128 v[5:8], v179 offset:1488
	v_fma_f64 v[147:148], v[3:4], v[151:152], v[147:148]
	s_clause 0x2
	buffer_load_dword v162, off, s[0:3], 0 offset:796
	buffer_load_dword v152, off, s[0:3], 0 offset:772
	;; [unrolled: 1-line block ×3, first 2 shown]
	ds_read_b128 v[1:4], v179 offset:1504
	v_add_f64 v[131:132], v[131:132], v[157:158]
	v_add_f64 v[133:134], v[133:134], v[153:154]
	s_waitcnt vmcnt(58) lgkmcnt(1)
	v_mul_f64 v[157:158], v[7:8], v[169:170]
	s_waitcnt vmcnt(56)
	v_fma_f64 v[165:166], v[127:128], v[171:172], -v[164:165]
	v_mul_f64 v[153:154], v[5:6], v[169:170]
	v_add_f64 v[131:132], v[131:132], v[149:150]
	v_fma_f64 v[149:150], v[129:130], v[171:172], v[211:212]
	v_add_f64 v[133:134], v[133:134], v[147:148]
	s_clause 0x4
	buffer_load_dword v148, off, s[0:3], 0 offset:812
	buffer_load_dword v169, off, s[0:3], 0 offset:824
	;; [unrolled: 1-line block ×5, first 2 shown]
	s_waitcnt vmcnt(57) lgkmcnt(0)
	v_mul_f64 v[211:212], v[1:2], v[173:174]
	v_mul_f64 v[172:173], v[3:4], v[173:174]
	s_waitcnt vmcnt(56)
	v_fma_f64 v[157:158], v[5:6], v[159:160], -v[157:158]
	ds_read_b128 v[127:130], v179 offset:1520
	v_fma_f64 v[153:154], v[7:8], v[159:160], v[153:154]
	v_add_f64 v[131:132], v[131:132], v[165:166]
	v_add_f64 v[133:134], v[133:134], v[149:150]
	s_clause 0x2
	buffer_load_dword v170, off, s[0:3], 0 offset:828
	buffer_load_dword v150, off, s[0:3], 0 offset:804
	;; [unrolled: 1-line block ×3, first 2 shown]
	ds_read_b128 v[5:8], v179 offset:1536
	s_waitcnt vmcnt(58) lgkmcnt(1)
	v_mul_f64 v[165:166], v[129:130], v[175:176]
	s_waitcnt vmcnt(56)
	v_fma_f64 v[173:174], v[1:2], v[177:178], -v[172:173]
	v_mul_f64 v[159:160], v[127:128], v[175:176]
	v_add_f64 v[131:132], v[131:132], v[157:158]
	v_fma_f64 v[157:158], v[3:4], v[177:178], v[211:212]
	v_add_f64 v[133:134], v[133:134], v[153:154]
	s_clause 0x4
	buffer_load_dword v154, off, s[0:3], 0 offset:844
	buffer_load_dword v175, off, s[0:3], 0 offset:856
	;; [unrolled: 1-line block ×5, first 2 shown]
	s_waitcnt vmcnt(57) lgkmcnt(0)
	v_mul_f64 v[211:212], v[5:6], v[196:197]
	v_mul_f64 v[196:197], v[7:8], v[196:197]
	s_waitcnt vmcnt(56)
	v_fma_f64 v[165:166], v[127:128], v[167:168], -v[165:166]
	ds_read_b128 v[1:4], v179 offset:1552
	v_fma_f64 v[159:160], v[129:130], v[167:168], v[159:160]
	v_add_f64 v[131:132], v[131:132], v[173:174]
	v_add_f64 v[133:134], v[133:134], v[157:158]
	s_clause 0x2
	buffer_load_dword v176, off, s[0:3], 0 offset:860
	buffer_load_dword v158, off, s[0:3], 0 offset:836
	buffer_load_dword v157, off, s[0:3], 0 offset:832
	ds_read_b128 v[127:130], v179 offset:1568
	s_waitcnt vmcnt(58) lgkmcnt(1)
	v_mul_f64 v[173:174], v[3:4], v[198:199]
	s_waitcnt vmcnt(56)
	v_fma_f64 v[196:197], v[5:6], v[203:204], -v[196:197]
	v_mul_f64 v[167:168], v[1:2], v[198:199]
	v_add_f64 v[131:132], v[131:132], v[165:166]
	v_fma_f64 v[165:166], v[7:8], v[203:204], v[211:212]
	v_add_f64 v[133:134], v[133:134], v[159:160]
	s_clause 0x4
	buffer_load_dword v160, off, s[0:3], 0 offset:876
	buffer_load_dword v198, off, s[0:3], 0 offset:888
	;; [unrolled: 1-line block ×5, first 2 shown]
	ds_read_b128 v[5:8], v179 offset:1584
	s_waitcnt vmcnt(57) lgkmcnt(1)
	v_mul_f64 v[203:204], v[127:128], v[190:191]
	v_mul_f64 v[190:191], v[129:130], v[190:191]
	s_waitcnt vmcnt(56)
	v_fma_f64 v[173:174], v[1:2], v[200:201], -v[173:174]
	v_fma_f64 v[167:168], v[3:4], v[200:201], v[167:168]
	v_add_f64 v[131:132], v[131:132], v[196:197]
	v_add_f64 v[133:134], v[133:134], v[165:166]
	s_clause 0x2
	buffer_load_dword v199, off, s[0:3], 0 offset:892
	buffer_load_dword v166, off, s[0:3], 0 offset:868
	;; [unrolled: 1-line block ×3, first 2 shown]
	ds_read_b128 v[1:4], v179 offset:1600
	s_waitcnt vmcnt(58) lgkmcnt(1)
	v_mul_f64 v[200:201], v[7:8], v[207:208]
	v_mul_f64 v[196:197], v[5:6], v[207:208]
	s_waitcnt vmcnt(56)
	v_fma_f64 v[190:191], v[127:128], v[184:185], -v[190:191]
	v_add_f64 v[131:132], v[131:132], v[173:174]
	v_fma_f64 v[173:174], v[129:130], v[184:185], v[203:204]
	v_add_f64 v[133:134], v[133:134], v[167:168]
	s_clause 0x4
	buffer_load_dword v168, off, s[0:3], 0 offset:908
	buffer_load_dword v184, off, s[0:3], 0 offset:920
	;; [unrolled: 1-line block ×5, first 2 shown]
	ds_read_b128 v[127:130], v179 offset:1616
	s_waitcnt vmcnt(57) lgkmcnt(1)
	v_mul_f64 v[211:212], v[1:2], v[143:144]
	v_mul_f64 v[143:144], v[3:4], v[143:144]
	s_waitcnt vmcnt(56)
	v_fma_f64 v[200:201], v[5:6], v[209:210], -v[200:201]
	v_add_f64 v[131:132], v[131:132], v[190:191]
	v_fma_f64 v[190:191], v[7:8], v[209:210], v[196:197]
	v_add_f64 v[133:134], v[133:134], v[173:174]
	s_clause 0x2
	buffer_load_dword v185, off, s[0:3], 0 offset:924
	buffer_load_dword v174, off, s[0:3], 0 offset:900
	;; [unrolled: 1-line block ×3, first 2 shown]
	ds_read_b128 v[5:8], v179 offset:1632
	s_waitcnt vmcnt(58) lgkmcnt(1)
	v_mul_f64 v[196:197], v[127:128], v[192:193]
	v_mul_f64 v[192:193], v[129:130], v[192:193]
	s_waitcnt vmcnt(56)
	v_fma_f64 v[143:144], v[1:2], v[137:138], -v[143:144]
	v_fma_f64 v[137:138], v[3:4], v[137:138], v[211:212]
	v_add_f64 v[131:132], v[131:132], v[200:201]
	v_add_f64 v[133:134], v[133:134], v[190:191]
	s_clause 0x4
	buffer_load_dword v191, off, s[0:3], 0 offset:940
	buffer_load_dword v200, off, s[0:3], 0 offset:952
	;; [unrolled: 1-line block ×5, first 2 shown]
	ds_read_b128 v[1:4], v179 offset:1648
	s_waitcnt vmcnt(57) lgkmcnt(1)
	v_mul_f64 v[209:210], v[5:6], v[180:181]
	v_mul_f64 v[180:181], v[7:8], v[180:181]
	s_waitcnt vmcnt(56)
	v_fma_f64 v[192:193], v[127:128], v[205:206], -v[192:193]
	v_add_f64 v[131:132], v[131:132], v[143:144]
	v_fma_f64 v[143:144], v[129:130], v[205:206], v[196:197]
	v_add_f64 v[133:134], v[133:134], v[137:138]
	s_clause 0x2
	buffer_load_dword v201, off, s[0:3], 0 offset:956
	buffer_load_dword v138, off, s[0:3], 0 offset:932
	;; [unrolled: 1-line block ×3, first 2 shown]
	ds_read_b128 v[127:130], v179 offset:1664
	buffer_load_dword v205, off, s[0:3], 0 offset:948
	s_waitcnt vmcnt(59) lgkmcnt(1)
	v_mul_f64 v[196:197], v[1:2], v[182:183]
	v_mul_f64 v[182:183], v[3:4], v[182:183]
	s_waitcnt vmcnt(57)
	v_fma_f64 v[180:181], v[5:6], v[139:140], -v[180:181]
	v_fma_f64 v[139:140], v[7:8], v[139:140], v[209:210]
	ds_read_b128 v[5:8], v179 offset:1680
	v_add_f64 v[131:132], v[131:132], v[192:193]
	v_add_f64 v[133:134], v[133:134], v[143:144]
	s_waitcnt vmcnt(53) lgkmcnt(1)
	v_mul_f64 v[143:144], v[127:128], v[135:136]
	v_mul_f64 v[135:136], v[129:130], v[135:136]
	s_waitcnt vmcnt(52)
	v_fma_f64 v[182:183], v[1:2], v[194:195], -v[182:183]
	v_add_f64 v[131:132], v[131:132], v[180:181]
	v_fma_f64 v[180:181], v[3:4], v[194:195], v[196:197]
	v_add_f64 v[133:134], v[133:134], v[139:140]
	ds_read_b128 v[1:4], v179 offset:1696
	s_waitcnt vmcnt(51) lgkmcnt(1)
	v_mul_f64 v[139:140], v[5:6], v[155:156]
	v_mul_f64 v[155:156], v[7:8], v[155:156]
	s_waitcnt vmcnt(49)
	v_fma_f64 v[135:136], v[127:128], v[145:146], -v[135:136]
	v_fma_f64 v[143:144], v[129:130], v[145:146], v[143:144]
	v_add_f64 v[131:132], v[131:132], v[182:183]
	v_add_f64 v[133:134], v[133:134], v[180:181]
	s_clause 0x3
	buffer_load_dword v145, off, s[0:3], 0 offset:352
	buffer_load_dword v146, off, s[0:3], 0 offset:356
	;; [unrolled: 1-line block ×4, first 2 shown]
	ds_read_b128 v[127:130], v179 offset:1712
	s_waitcnt vmcnt(49) lgkmcnt(1)
	v_mul_f64 v[182:183], v[1:2], v[141:142]
	v_mul_f64 v[141:142], v[3:4], v[141:142]
	s_waitcnt vmcnt(48)
	v_fma_f64 v[155:156], v[5:6], v[188:189], -v[155:156]
	v_add_f64 v[131:132], v[131:132], v[135:136]
	v_fma_f64 v[135:136], v[7:8], v[188:189], v[139:140]
	v_add_f64 v[133:134], v[133:134], v[143:144]
	ds_read_b128 v[5:8], v179 offset:1728
	s_waitcnt vmcnt(47) lgkmcnt(1)
	v_mul_f64 v[143:144], v[129:130], v[161:162]
	v_mul_f64 v[139:140], v[127:128], v[161:162]
	s_waitcnt vmcnt(45)
	v_fma_f64 v[141:142], v[1:2], v[151:152], -v[141:142]
	v_fma_f64 v[151:152], v[3:4], v[151:152], v[182:183]
	ds_read_b128 v[1:4], v179 offset:1744
	v_add_f64 v[131:132], v[131:132], v[155:156]
	v_add_f64 v[133:134], v[133:134], v[135:136]
	s_waitcnt vmcnt(41) lgkmcnt(1)
	v_mul_f64 v[135:136], v[5:6], v[147:148]
	v_mul_f64 v[147:148], v[7:8], v[147:148]
	s_waitcnt vmcnt(40)
	v_fma_f64 v[143:144], v[127:128], v[163:164], -v[143:144]
	v_fma_f64 v[139:140], v[129:130], v[163:164], v[139:140]
	ds_read_b128 v[127:130], v179 offset:1760
	v_add_f64 v[131:132], v[131:132], v[141:142]
	v_add_f64 v[133:134], v[133:134], v[151:152]
	;; [unrolled: 9-line block ×3, first 2 shown]
	s_waitcnt vmcnt(33) lgkmcnt(1)
	v_mul_f64 v[143:144], v[129:130], v[153:154]
	s_waitcnt vmcnt(32)
	v_fma_f64 v[149:150], v[1:2], v[171:172], -v[151:152]
	v_mul_f64 v[139:140], v[127:128], v[153:154]
	v_fma_f64 v[141:142], v[3:4], v[171:172], v[141:142]
	ds_read_b128 v[1:4], v179 offset:1792
	v_add_f64 v[131:132], v[131:132], v[147:148]
	v_add_f64 v[133:134], v[133:134], v[135:136]
	s_waitcnt vmcnt(31) lgkmcnt(1)
	v_mul_f64 v[147:148], v[7:8], v[175:176]
	v_mul_f64 v[135:136], v[5:6], v[175:176]
	s_waitcnt vmcnt(29)
	v_fma_f64 v[143:144], v[127:128], v[157:158], -v[143:144]
	v_fma_f64 v[139:140], v[129:130], v[157:158], v[139:140]
	ds_read_b128 v[127:130], v179 offset:1808
	v_add_f64 v[131:132], v[131:132], v[149:150]
	v_add_f64 v[133:134], v[133:134], v[141:142]
	s_waitcnt vmcnt(25) lgkmcnt(1)
	v_mul_f64 v[149:150], v[3:4], v[159:160]
	s_waitcnt vmcnt(24)
	v_fma_f64 v[147:148], v[5:6], v[177:178], -v[147:148]
	v_mul_f64 v[141:142], v[1:2], v[159:160]
	v_fma_f64 v[135:136], v[7:8], v[177:178], v[135:136]
	ds_read_b128 v[5:8], v179 offset:1824
	v_add_f64 v[131:132], v[131:132], v[143:144]
	v_add_f64 v[133:134], v[133:134], v[139:140]
	s_waitcnt vmcnt(23) lgkmcnt(1)
	v_mul_f64 v[143:144], v[129:130], v[198:199]
	v_mul_f64 v[139:140], v[127:128], v[198:199]
	s_waitcnt vmcnt(21)
	v_fma_f64 v[149:150], v[1:2], v[165:166], -v[149:150]
	v_fma_f64 v[141:142], v[3:4], v[165:166], v[141:142]
	ds_read_b128 v[1:4], v179 offset:1840
	v_add_f64 v[131:132], v[131:132], v[147:148]
	v_add_f64 v[133:134], v[133:134], v[135:136]
	;; [unrolled: 18-line block ×3, first 2 shown]
	s_waitcnt vmcnt(9) lgkmcnt(1)
	v_mul_f64 v[143:144], v[129:130], v[190:191]
	s_waitcnt vmcnt(8)
	v_fma_f64 v[1:2], v[1:2], v[207:208], -v[149:150]
	v_mul_f64 v[139:140], v[127:128], v[190:191]
	v_fma_f64 v[3:4], v[3:4], v[207:208], v[141:142]
	v_add_f64 v[131:132], v[131:132], v[147:148]
	v_add_f64 v[133:134], v[133:134], v[135:136]
	s_waitcnt vmcnt(7) lgkmcnt(0)
	v_mul_f64 v[141:142], v[7:8], v[200:201]
	v_mul_f64 v[135:136], v[5:6], v[200:201]
	s_waitcnt vmcnt(5)
	v_fma_f64 v[127:128], v[127:128], v[137:138], -v[143:144]
	v_fma_f64 v[129:130], v[129:130], v[137:138], v[139:140]
	v_add_f64 v[1:2], v[131:132], v[1:2]
	v_add_f64 v[3:4], v[133:134], v[3:4]
	s_waitcnt vmcnt(4)
	v_fma_f64 v[5:6], v[5:6], v[204:205], -v[141:142]
	v_fma_f64 v[7:8], v[7:8], v[204:205], v[135:136]
	v_add_f64 v[1:2], v[1:2], v[127:128]
	v_add_f64 v[3:4], v[3:4], v[129:130]
	;; [unrolled: 1-line block ×4, first 2 shown]
	s_waitcnt vmcnt(2)
	v_add_f64 v[1:2], v[145:146], -v[1:2]
	s_waitcnt vmcnt(0)
	v_add_f64 v[3:4], v[180:181], -v[3:4]
	buffer_store_dword v2, off, s[0:3], 0 offset:356
	buffer_store_dword v1, off, s[0:3], 0 offset:352
	;; [unrolled: 1-line block ×4, first 2 shown]
	v_cmpx_lt_u32_e32 20, v0
	s_cbranch_execz .LBB122_327
; %bb.326:
	v_mov_b32_e32 v4, s51
	s_clause 0x3
	buffer_load_dword v1, v4, s[0:3], 0 offen
	buffer_load_dword v2, v4, s[0:3], 0 offen offset:4
	buffer_load_dword v3, v4, s[0:3], 0 offen offset:8
	;; [unrolled: 1-line block ×3, first 2 shown]
	buffer_store_dword v179, off, s[0:3], 0 offset:336
	buffer_store_dword v179, off, s[0:3], 0 offset:340
	;; [unrolled: 1-line block ×4, first 2 shown]
	s_waitcnt vmcnt(0)
	ds_write_b128 v187, v[1:4]
.LBB122_327:
	s_or_b32 exec_lo, exec_lo, s4
	s_waitcnt lgkmcnt(0)
	s_waitcnt_vscnt null, 0x0
	s_barrier
	buffer_gl0_inv
	s_clause 0x37
	buffer_load_dword v127, off, s[0:3], 0 offset:360
	buffer_load_dword v128, off, s[0:3], 0 offset:364
	;; [unrolled: 1-line block ×56, first 2 shown]
	ds_read_b128 v[180:183], v179 offset:1280
	s_clause 0x2
	buffer_load_dword v176, off, s[0:3], 0 offset:588
	buffer_load_dword v178, off, s[0:3], 0 offset:564
	;; [unrolled: 1-line block ×3, first 2 shown]
	ds_read_b128 v[188:191], v179 offset:1296
	s_clause 0x4
	buffer_load_dword v197, off, s[0:3], 0 offset:604
	buffer_load_dword v198, off, s[0:3], 0 offset:616
	;; [unrolled: 1-line block ×5, first 2 shown]
	ds_read_b128 v[192:195], v179 offset:1312
	s_clause 0x2
	buffer_load_dword v199, off, s[0:3], 0 offset:620
	buffer_load_dword v204, off, s[0:3], 0 offset:596
	;; [unrolled: 1-line block ×3, first 2 shown]
	s_mov_b32 s4, exec_lo
	s_waitcnt vmcnt(62) lgkmcnt(2)
	v_mul_f64 v[184:185], v[182:183], v[127:128]
	v_mul_f64 v[127:128], v[180:181], v[127:128]
	s_waitcnt lgkmcnt(1)
	v_mul_f64 v[201:202], v[190:191], v[5:6]
	s_waitcnt vmcnt(59) lgkmcnt(0)
	v_mul_f64 v[205:206], v[194:195], v[3:4]
	v_fma_f64 v[180:181], v[180:181], v[7:8], -v[184:185]
	v_mul_f64 v[184:185], v[188:189], v[5:6]
	v_fma_f64 v[127:128], v[182:183], v[7:8], v[127:128]
	s_waitcnt vmcnt(57)
	v_fma_f64 v[188:189], v[188:189], v[1:2], -v[201:202]
	ds_read_b128 v[5:8], v179 offset:1328
	v_mul_f64 v[182:183], v[192:193], v[3:4]
	s_waitcnt vmcnt(51)
	v_fma_f64 v[192:193], v[192:193], v[143:144], -v[205:206]
	v_add_f64 v[180:181], v[180:181], 0
	v_fma_f64 v[184:185], v[190:191], v[1:2], v[184:185]
	v_add_f64 v[127:128], v[127:128], 0
	s_clause 0x4
	buffer_load_dword v191, off, s[0:3], 0 offset:636
	buffer_load_dword v207, off, s[0:3], 0 offset:648
	;; [unrolled: 1-line block ×5, first 2 shown]
	s_waitcnt lgkmcnt(0)
	v_mul_f64 v[210:211], v[5:6], v[131:132]
	v_mul_f64 v[131:132], v[7:8], v[131:132]
	ds_read_b128 v[1:4], v179 offset:1344
	v_fma_f64 v[143:144], v[194:195], v[143:144], v[182:183]
	v_add_f64 v[188:189], v[180:181], v[188:189]
	v_add_f64 v[127:128], v[127:128], v[184:185]
	s_clause 0x2
	buffer_load_dword v208, off, s[0:3], 0 offset:652
	buffer_load_dword v185, off, s[0:3], 0 offset:628
	;; [unrolled: 1-line block ×3, first 2 shown]
	s_waitcnt vmcnt(58) lgkmcnt(0)
	v_mul_f64 v[194:195], v[1:2], v[135:136]
	v_mul_f64 v[135:136], v[3:4], v[135:136]
	s_waitcnt vmcnt(56)
	v_fma_f64 v[131:132], v[5:6], v[137:138], -v[131:132]
	ds_read_b128 v[180:183], v179 offset:1360
	v_fma_f64 v[137:138], v[7:8], v[137:138], v[210:211]
	v_add_f64 v[188:189], v[188:189], v[192:193]
	v_add_f64 v[127:128], v[127:128], v[143:144]
	s_clause 0x4
	buffer_load_dword v144, off, s[0:3], 0 offset:668
	buffer_load_dword v192, off, s[0:3], 0 offset:680
	;; [unrolled: 1-line block ×5, first 2 shown]
	ds_read_b128 v[5:8], v179 offset:1376
	s_waitcnt vmcnt(57) lgkmcnt(1)
	v_mul_f64 v[211:212], v[180:181], v[139:140]
	v_mul_f64 v[139:140], v[182:183], v[139:140]
	s_waitcnt vmcnt(56)
	v_fma_f64 v[135:136], v[1:2], v[129:130], -v[135:136]
	v_fma_f64 v[129:130], v[3:4], v[129:130], v[194:195]
	v_add_f64 v[131:132], v[188:189], v[131:132]
	v_add_f64 v[127:128], v[127:128], v[137:138]
	s_clause 0x2
	buffer_load_dword v193, off, s[0:3], 0 offset:684
	buffer_load_dword v138, off, s[0:3], 0 offset:660
	;; [unrolled: 1-line block ×3, first 2 shown]
	s_waitcnt vmcnt(58) lgkmcnt(0)
	v_mul_f64 v[188:189], v[5:6], v[145:146]
	v_mul_f64 v[145:146], v[7:8], v[145:146]
	s_waitcnt vmcnt(56)
	v_fma_f64 v[139:140], v[180:181], v[147:148], -v[139:140]
	ds_read_b128 v[1:4], v179 offset:1392
	v_add_f64 v[131:132], v[131:132], v[135:136]
	v_fma_f64 v[135:136], v[182:183], v[147:148], v[211:212]
	v_add_f64 v[147:148], v[127:128], v[129:130]
	s_clause 0x4
	buffer_load_dword v181, off, s[0:3], 0 offset:700
	buffer_load_dword v182, off, s[0:3], 0 offset:712
	;; [unrolled: 1-line block ×5, first 2 shown]
	ds_read_b128 v[127:130], v179 offset:1408
	s_waitcnt vmcnt(57) lgkmcnt(1)
	v_mul_f64 v[211:212], v[1:2], v[149:150]
	v_mul_f64 v[149:150], v[3:4], v[149:150]
	s_waitcnt vmcnt(56)
	v_fma_f64 v[145:146], v[5:6], v[133:134], -v[145:146]
	v_fma_f64 v[133:134], v[7:8], v[133:134], v[188:189]
	v_add_f64 v[131:132], v[131:132], v[139:140]
	s_clause 0x2
	buffer_load_dword v183, off, s[0:3], 0 offset:716
	buffer_load_dword v140, off, s[0:3], 0 offset:692
	;; [unrolled: 1-line block ×3, first 2 shown]
	v_add_f64 v[135:136], v[147:148], v[135:136]
	s_waitcnt vmcnt(58) lgkmcnt(0)
	v_mul_f64 v[147:148], v[127:128], v[153:154]
	v_mul_f64 v[153:154], v[129:130], v[153:154]
	ds_read_b128 v[5:8], v179 offset:1424
	s_waitcnt vmcnt(56)
	v_fma_f64 v[149:150], v[1:2], v[155:156], -v[149:150]
	v_add_f64 v[131:132], v[131:132], v[145:146]
	v_fma_f64 v[145:146], v[3:4], v[155:156], v[211:212]
	v_add_f64 v[133:134], v[135:136], v[133:134]
	s_clause 0x4
	buffer_load_dword v136, off, s[0:3], 0 offset:732
	buffer_load_dword v155, off, s[0:3], 0 offset:744
	;; [unrolled: 1-line block ×5, first 2 shown]
	s_waitcnt vmcnt(57) lgkmcnt(0)
	v_mul_f64 v[211:212], v[5:6], v[157:158]
	v_mul_f64 v[157:158], v[7:8], v[157:158]
	s_waitcnt vmcnt(56)
	v_fma_f64 v[153:154], v[127:128], v[141:142], -v[153:154]
	ds_read_b128 v[1:4], v179 offset:1440
	v_fma_f64 v[141:142], v[129:130], v[141:142], v[147:148]
	v_add_f64 v[131:132], v[131:132], v[149:150]
	v_add_f64 v[133:134], v[133:134], v[145:146]
	s_clause 0x2
	buffer_load_dword v156, off, s[0:3], 0 offset:748
	buffer_load_dword v146, off, s[0:3], 0 offset:724
	;; [unrolled: 1-line block ×3, first 2 shown]
	ds_read_b128 v[127:130], v179 offset:1456
	s_waitcnt vmcnt(58) lgkmcnt(1)
	v_mul_f64 v[149:150], v[3:4], v[161:162]
	s_waitcnt vmcnt(56)
	v_fma_f64 v[157:158], v[5:6], v[163:164], -v[157:158]
	v_mul_f64 v[147:148], v[1:2], v[161:162]
	v_add_f64 v[131:132], v[131:132], v[153:154]
	v_fma_f64 v[153:154], v[7:8], v[163:164], v[211:212]
	v_add_f64 v[133:134], v[133:134], v[141:142]
	s_clause 0x4
	buffer_load_dword v142, off, s[0:3], 0 offset:764
	buffer_load_dword v161, off, s[0:3], 0 offset:776
	;; [unrolled: 1-line block ×5, first 2 shown]
	s_waitcnt vmcnt(57) lgkmcnt(0)
	v_mul_f64 v[211:212], v[127:128], v[165:166]
	v_mul_f64 v[164:165], v[129:130], v[165:166]
	s_waitcnt vmcnt(56)
	v_fma_f64 v[149:150], v[1:2], v[151:152], -v[149:150]
	ds_read_b128 v[5:8], v179 offset:1472
	v_fma_f64 v[147:148], v[3:4], v[151:152], v[147:148]
	s_clause 0x2
	buffer_load_dword v162, off, s[0:3], 0 offset:780
	buffer_load_dword v152, off, s[0:3], 0 offset:756
	;; [unrolled: 1-line block ×3, first 2 shown]
	ds_read_b128 v[1:4], v179 offset:1488
	v_add_f64 v[131:132], v[131:132], v[157:158]
	v_add_f64 v[133:134], v[133:134], v[153:154]
	s_waitcnt vmcnt(58) lgkmcnt(1)
	v_mul_f64 v[157:158], v[7:8], v[169:170]
	s_waitcnt vmcnt(56)
	v_fma_f64 v[165:166], v[127:128], v[171:172], -v[164:165]
	v_mul_f64 v[153:154], v[5:6], v[169:170]
	v_add_f64 v[131:132], v[131:132], v[149:150]
	v_fma_f64 v[149:150], v[129:130], v[171:172], v[211:212]
	v_add_f64 v[133:134], v[133:134], v[147:148]
	s_clause 0x4
	buffer_load_dword v148, off, s[0:3], 0 offset:796
	buffer_load_dword v169, off, s[0:3], 0 offset:808
	;; [unrolled: 1-line block ×5, first 2 shown]
	s_waitcnt vmcnt(57) lgkmcnt(0)
	v_mul_f64 v[211:212], v[1:2], v[173:174]
	v_mul_f64 v[172:173], v[3:4], v[173:174]
	s_waitcnt vmcnt(56)
	v_fma_f64 v[157:158], v[5:6], v[159:160], -v[157:158]
	ds_read_b128 v[127:130], v179 offset:1504
	v_fma_f64 v[153:154], v[7:8], v[159:160], v[153:154]
	v_add_f64 v[131:132], v[131:132], v[165:166]
	v_add_f64 v[133:134], v[133:134], v[149:150]
	s_clause 0x2
	buffer_load_dword v170, off, s[0:3], 0 offset:812
	buffer_load_dword v150, off, s[0:3], 0 offset:788
	;; [unrolled: 1-line block ×3, first 2 shown]
	ds_read_b128 v[5:8], v179 offset:1520
	s_waitcnt vmcnt(58) lgkmcnt(1)
	v_mul_f64 v[165:166], v[129:130], v[175:176]
	s_waitcnt vmcnt(56)
	v_fma_f64 v[173:174], v[1:2], v[177:178], -v[172:173]
	v_mul_f64 v[159:160], v[127:128], v[175:176]
	v_add_f64 v[131:132], v[131:132], v[157:158]
	v_fma_f64 v[157:158], v[3:4], v[177:178], v[211:212]
	v_add_f64 v[133:134], v[133:134], v[153:154]
	s_clause 0x4
	buffer_load_dword v154, off, s[0:3], 0 offset:828
	buffer_load_dword v175, off, s[0:3], 0 offset:840
	;; [unrolled: 1-line block ×5, first 2 shown]
	s_waitcnt vmcnt(57) lgkmcnt(0)
	v_mul_f64 v[211:212], v[5:6], v[196:197]
	v_mul_f64 v[196:197], v[7:8], v[196:197]
	s_waitcnt vmcnt(56)
	v_fma_f64 v[165:166], v[127:128], v[167:168], -v[165:166]
	ds_read_b128 v[1:4], v179 offset:1536
	v_fma_f64 v[159:160], v[129:130], v[167:168], v[159:160]
	v_add_f64 v[131:132], v[131:132], v[173:174]
	v_add_f64 v[133:134], v[133:134], v[157:158]
	s_clause 0x2
	buffer_load_dword v176, off, s[0:3], 0 offset:844
	buffer_load_dword v158, off, s[0:3], 0 offset:820
	;; [unrolled: 1-line block ×3, first 2 shown]
	ds_read_b128 v[127:130], v179 offset:1552
	s_waitcnt vmcnt(58) lgkmcnt(1)
	v_mul_f64 v[173:174], v[3:4], v[198:199]
	s_waitcnt vmcnt(56)
	v_fma_f64 v[196:197], v[5:6], v[203:204], -v[196:197]
	v_mul_f64 v[167:168], v[1:2], v[198:199]
	v_add_f64 v[131:132], v[131:132], v[165:166]
	v_fma_f64 v[165:166], v[7:8], v[203:204], v[211:212]
	v_add_f64 v[133:134], v[133:134], v[159:160]
	s_clause 0x4
	buffer_load_dword v160, off, s[0:3], 0 offset:860
	buffer_load_dword v198, off, s[0:3], 0 offset:872
	;; [unrolled: 1-line block ×5, first 2 shown]
	ds_read_b128 v[5:8], v179 offset:1568
	s_waitcnt vmcnt(57) lgkmcnt(1)
	v_mul_f64 v[203:204], v[127:128], v[190:191]
	v_mul_f64 v[190:191], v[129:130], v[190:191]
	s_waitcnt vmcnt(56)
	v_fma_f64 v[173:174], v[1:2], v[200:201], -v[173:174]
	v_fma_f64 v[167:168], v[3:4], v[200:201], v[167:168]
	v_add_f64 v[131:132], v[131:132], v[196:197]
	v_add_f64 v[133:134], v[133:134], v[165:166]
	s_clause 0x2
	buffer_load_dword v199, off, s[0:3], 0 offset:876
	buffer_load_dword v166, off, s[0:3], 0 offset:852
	;; [unrolled: 1-line block ×3, first 2 shown]
	ds_read_b128 v[1:4], v179 offset:1584
	s_waitcnt vmcnt(58) lgkmcnt(1)
	v_mul_f64 v[200:201], v[7:8], v[207:208]
	v_mul_f64 v[196:197], v[5:6], v[207:208]
	s_waitcnt vmcnt(56)
	v_fma_f64 v[190:191], v[127:128], v[184:185], -v[190:191]
	v_add_f64 v[131:132], v[131:132], v[173:174]
	v_fma_f64 v[173:174], v[129:130], v[184:185], v[203:204]
	v_add_f64 v[133:134], v[133:134], v[167:168]
	s_clause 0x4
	buffer_load_dword v168, off, s[0:3], 0 offset:892
	buffer_load_dword v184, off, s[0:3], 0 offset:904
	;; [unrolled: 1-line block ×5, first 2 shown]
	ds_read_b128 v[127:130], v179 offset:1600
	s_waitcnt vmcnt(57) lgkmcnt(1)
	v_mul_f64 v[211:212], v[1:2], v[143:144]
	v_mul_f64 v[143:144], v[3:4], v[143:144]
	s_waitcnt vmcnt(56)
	v_fma_f64 v[200:201], v[5:6], v[209:210], -v[200:201]
	v_add_f64 v[131:132], v[131:132], v[190:191]
	v_fma_f64 v[190:191], v[7:8], v[209:210], v[196:197]
	v_add_f64 v[133:134], v[133:134], v[173:174]
	s_clause 0x2
	buffer_load_dword v185, off, s[0:3], 0 offset:908
	buffer_load_dword v174, off, s[0:3], 0 offset:884
	;; [unrolled: 1-line block ×3, first 2 shown]
	ds_read_b128 v[5:8], v179 offset:1616
	s_waitcnt vmcnt(58) lgkmcnt(1)
	v_mul_f64 v[196:197], v[127:128], v[192:193]
	v_mul_f64 v[192:193], v[129:130], v[192:193]
	s_waitcnt vmcnt(56)
	v_fma_f64 v[143:144], v[1:2], v[137:138], -v[143:144]
	v_fma_f64 v[137:138], v[3:4], v[137:138], v[211:212]
	v_add_f64 v[131:132], v[131:132], v[200:201]
	v_add_f64 v[133:134], v[133:134], v[190:191]
	s_clause 0x4
	buffer_load_dword v191, off, s[0:3], 0 offset:924
	buffer_load_dword v200, off, s[0:3], 0 offset:936
	;; [unrolled: 1-line block ×5, first 2 shown]
	ds_read_b128 v[1:4], v179 offset:1632
	s_waitcnt vmcnt(57) lgkmcnt(1)
	v_mul_f64 v[209:210], v[5:6], v[180:181]
	v_mul_f64 v[180:181], v[7:8], v[180:181]
	s_waitcnt vmcnt(56)
	v_fma_f64 v[192:193], v[127:128], v[205:206], -v[192:193]
	v_add_f64 v[131:132], v[131:132], v[143:144]
	v_fma_f64 v[143:144], v[129:130], v[205:206], v[196:197]
	v_add_f64 v[133:134], v[133:134], v[137:138]
	s_clause 0x2
	buffer_load_dword v201, off, s[0:3], 0 offset:940
	buffer_load_dword v138, off, s[0:3], 0 offset:916
	;; [unrolled: 1-line block ×3, first 2 shown]
	ds_read_b128 v[127:130], v179 offset:1648
	s_waitcnt vmcnt(58) lgkmcnt(1)
	v_mul_f64 v[196:197], v[1:2], v[182:183]
	v_mul_f64 v[182:183], v[3:4], v[182:183]
	s_waitcnt vmcnt(56)
	v_fma_f64 v[180:181], v[5:6], v[139:140], -v[180:181]
	v_fma_f64 v[139:140], v[7:8], v[139:140], v[209:210]
	v_add_f64 v[131:132], v[131:132], v[192:193]
	v_add_f64 v[133:134], v[133:134], v[143:144]
	s_clause 0x2
	buffer_load_dword v144, off, s[0:3], 0 offset:956
	buffer_load_dword v143, off, s[0:3], 0 offset:952
	;; [unrolled: 1-line block ×3, first 2 shown]
	ds_read_b128 v[5:8], v179 offset:1664
	s_waitcnt vmcnt(55) lgkmcnt(1)
	v_mul_f64 v[192:193], v[127:128], v[135:136]
	v_mul_f64 v[135:136], v[129:130], v[135:136]
	s_waitcnt vmcnt(54)
	v_fma_f64 v[182:183], v[1:2], v[194:195], -v[182:183]
	v_add_f64 v[131:132], v[131:132], v[180:181]
	v_fma_f64 v[180:181], v[3:4], v[194:195], v[196:197]
	v_add_f64 v[133:134], v[133:134], v[139:140]
	s_clause 0x1
	buffer_load_dword v140, off, s[0:3], 0 offset:948
	buffer_load_dword v139, off, s[0:3], 0 offset:944
	ds_read_b128 v[1:4], v179 offset:1680
	s_waitcnt vmcnt(55) lgkmcnt(1)
	v_mul_f64 v[194:195], v[5:6], v[155:156]
	v_mul_f64 v[155:156], v[7:8], v[155:156]
	s_waitcnt vmcnt(53)
	v_fma_f64 v[135:136], v[127:128], v[145:146], -v[135:136]
	v_fma_f64 v[145:146], v[129:130], v[145:146], v[192:193]
	ds_read_b128 v[127:130], v179 offset:1696
	v_add_f64 v[131:132], v[131:132], v[182:183]
	v_add_f64 v[133:134], v[133:134], v[180:181]
	s_waitcnt vmcnt(49) lgkmcnt(1)
	v_mul_f64 v[180:181], v[1:2], v[141:142]
	v_mul_f64 v[141:142], v[3:4], v[141:142]
	s_waitcnt vmcnt(48)
	v_fma_f64 v[155:156], v[5:6], v[188:189], -v[155:156]
	v_add_f64 v[131:132], v[131:132], v[135:136]
	v_fma_f64 v[135:136], v[7:8], v[188:189], v[194:195]
	v_add_f64 v[133:134], v[133:134], v[145:146]
	s_clause 0x3
	buffer_load_dword v145, off, s[0:3], 0 offset:336
	buffer_load_dword v146, off, s[0:3], 0 offset:340
	;; [unrolled: 1-line block ×4, first 2 shown]
	s_waitcnt vmcnt(51) lgkmcnt(0)
	v_mul_f64 v[188:189], v[127:128], v[161:162]
	v_mul_f64 v[161:162], v[129:130], v[161:162]
	ds_read_b128 v[5:8], v179 offset:1712
	s_waitcnt vmcnt(49)
	v_fma_f64 v[141:142], v[1:2], v[151:152], -v[141:142]
	v_fma_f64 v[151:152], v[3:4], v[151:152], v[180:181]
	ds_read_b128 v[1:4], v179 offset:1728
	v_add_f64 v[131:132], v[131:132], v[155:156]
	v_add_f64 v[133:134], v[133:134], v[135:136]
	s_waitcnt vmcnt(45) lgkmcnt(1)
	v_mul_f64 v[135:136], v[5:6], v[147:148]
	v_mul_f64 v[147:148], v[7:8], v[147:148]
	s_waitcnt vmcnt(44)
	v_fma_f64 v[155:156], v[127:128], v[163:164], -v[161:162]
	v_add_f64 v[131:132], v[131:132], v[141:142]
	v_fma_f64 v[141:142], v[129:130], v[163:164], v[188:189]
	v_add_f64 v[133:134], v[133:134], v[151:152]
	ds_read_b128 v[127:130], v179 offset:1744
	s_waitcnt vmcnt(43) lgkmcnt(1)
	v_mul_f64 v[161:162], v[3:4], v[169:170]
	v_mul_f64 v[151:152], v[1:2], v[169:170]
	s_waitcnt vmcnt(41)
	v_fma_f64 v[147:148], v[5:6], v[149:150], -v[147:148]
	v_fma_f64 v[135:136], v[7:8], v[149:150], v[135:136]
	ds_read_b128 v[5:8], v179 offset:1760
	v_add_f64 v[131:132], v[131:132], v[155:156]
	v_add_f64 v[133:134], v[133:134], v[141:142]
	s_waitcnt vmcnt(37) lgkmcnt(1)
	v_mul_f64 v[141:142], v[127:128], v[153:154]
	v_mul_f64 v[149:150], v[129:130], v[153:154]
	s_waitcnt vmcnt(36)
	v_fma_f64 v[153:154], v[1:2], v[171:172], -v[161:162]
	v_add_f64 v[131:132], v[131:132], v[147:148]
	v_fma_f64 v[147:148], v[3:4], v[171:172], v[151:152]
	v_add_f64 v[133:134], v[133:134], v[135:136]
	ds_read_b128 v[1:4], v179 offset:1776
	s_waitcnt vmcnt(35) lgkmcnt(1)
	v_mul_f64 v[151:152], v[7:8], v[175:176]
	v_mul_f64 v[135:136], v[5:6], v[175:176]
	s_waitcnt vmcnt(33)
	v_fma_f64 v[149:150], v[127:128], v[157:158], -v[149:150]
	v_fma_f64 v[141:142], v[129:130], v[157:158], v[141:142]
	ds_read_b128 v[127:130], v179 offset:1792
	v_add_f64 v[131:132], v[131:132], v[153:154]
	v_add_f64 v[133:134], v[133:134], v[147:148]
	s_waitcnt vmcnt(29) lgkmcnt(1)
	v_mul_f64 v[153:154], v[3:4], v[159:160]
	s_waitcnt vmcnt(28)
	v_fma_f64 v[151:152], v[5:6], v[177:178], -v[151:152]
	v_mul_f64 v[147:148], v[1:2], v[159:160]
	v_fma_f64 v[135:136], v[7:8], v[177:178], v[135:136]
	ds_read_b128 v[5:8], v179 offset:1808
	v_add_f64 v[131:132], v[131:132], v[149:150]
	v_add_f64 v[133:134], v[133:134], v[141:142]
	s_waitcnt vmcnt(27) lgkmcnt(1)
	v_mul_f64 v[149:150], v[129:130], v[198:199]
	v_mul_f64 v[141:142], v[127:128], v[198:199]
	s_waitcnt vmcnt(25)
	v_fma_f64 v[153:154], v[1:2], v[165:166], -v[153:154]
	v_fma_f64 v[147:148], v[3:4], v[165:166], v[147:148]
	ds_read_b128 v[1:4], v179 offset:1824
	v_add_f64 v[131:132], v[131:132], v[151:152]
	v_add_f64 v[133:134], v[133:134], v[135:136]
	s_waitcnt vmcnt(21) lgkmcnt(1)
	v_mul_f64 v[151:152], v[7:8], v[167:168]
	s_waitcnt vmcnt(20)
	v_fma_f64 v[149:150], v[127:128], v[202:203], -v[149:150]
	v_mul_f64 v[135:136], v[5:6], v[167:168]
	v_fma_f64 v[141:142], v[129:130], v[202:203], v[141:142]
	ds_read_b128 v[127:130], v179 offset:1840
	v_add_f64 v[131:132], v[131:132], v[153:154]
	v_add_f64 v[133:134], v[133:134], v[147:148]
	;; [unrolled: 18-line block ×3, first 2 shown]
	s_waitcnt vmcnt(11) lgkmcnt(1)
	v_mul_f64 v[151:152], v[7:8], v[200:201]
	v_mul_f64 v[135:136], v[5:6], v[200:201]
	s_waitcnt vmcnt(9)
	v_fma_f64 v[127:128], v[127:128], v[137:138], -v[149:150]
	v_fma_f64 v[129:130], v[129:130], v[137:138], v[141:142]
	v_add_f64 v[131:132], v[131:132], v[153:154]
	v_add_f64 v[133:134], v[133:134], v[147:148]
	s_waitcnt vmcnt(7) lgkmcnt(0)
	v_mul_f64 v[141:142], v[3:4], v[143:144]
	s_waitcnt vmcnt(6)
	v_fma_f64 v[5:6], v[5:6], v[204:205], -v[151:152]
	v_mul_f64 v[137:138], v[1:2], v[143:144]
	v_fma_f64 v[7:8], v[7:8], v[204:205], v[135:136]
	v_add_f64 v[127:128], v[131:132], v[127:128]
	v_add_f64 v[129:130], v[133:134], v[129:130]
	s_waitcnt vmcnt(4)
	v_fma_f64 v[1:2], v[1:2], v[139:140], -v[141:142]
	v_fma_f64 v[3:4], v[3:4], v[139:140], v[137:138]
	v_add_f64 v[5:6], v[127:128], v[5:6]
	v_add_f64 v[7:8], v[129:130], v[7:8]
	;; [unrolled: 1-line block ×4, first 2 shown]
	s_waitcnt vmcnt(2)
	v_add_f64 v[1:2], v[145:146], -v[1:2]
	s_waitcnt vmcnt(0)
	v_add_f64 v[3:4], v[182:183], -v[3:4]
	buffer_store_dword v2, off, s[0:3], 0 offset:340
	buffer_store_dword v1, off, s[0:3], 0 offset:336
	;; [unrolled: 1-line block ×4, first 2 shown]
	v_cmpx_lt_u32_e32 19, v0
	s_cbranch_execz .LBB122_329
; %bb.328:
	v_mov_b32_e32 v4, s52
	v_mov_b32_e32 v5, 0
	s_clause 0x3
	buffer_load_dword v1, v4, s[0:3], 0 offen
	buffer_load_dword v2, v4, s[0:3], 0 offen offset:4
	buffer_load_dword v3, v4, s[0:3], 0 offen offset:8
	;; [unrolled: 1-line block ×3, first 2 shown]
	buffer_store_dword v5, off, s[0:3], 0 offset:320
	buffer_store_dword v5, off, s[0:3], 0 offset:324
	;; [unrolled: 1-line block ×4, first 2 shown]
	s_waitcnt vmcnt(0)
	ds_write_b128 v187, v[1:4]
.LBB122_329:
	s_or_b32 exec_lo, exec_lo, s4
	s_waitcnt lgkmcnt(0)
	s_waitcnt_vscnt null, 0x0
	s_barrier
	buffer_gl0_inv
	s_clause 0x37
	buffer_load_dword v127, off, s[0:3], 0 offset:344
	buffer_load_dword v128, off, s[0:3], 0 offset:348
	;; [unrolled: 1-line block ×56, first 2 shown]
	v_mov_b32_e32 v179, 0
	s_mov_b32 s4, exec_lo
	ds_read_b128 v[180:183], v179 offset:1264
	s_clause 0x2
	buffer_load_dword v176, off, s[0:3], 0 offset:572
	buffer_load_dword v178, off, s[0:3], 0 offset:548
	;; [unrolled: 1-line block ×3, first 2 shown]
	ds_read_b128 v[188:191], v179 offset:1280
	s_clause 0x4
	buffer_load_dword v197, off, s[0:3], 0 offset:588
	buffer_load_dword v198, off, s[0:3], 0 offset:600
	;; [unrolled: 1-line block ×5, first 2 shown]
	ds_read_b128 v[192:195], v179 offset:1296
	s_clause 0x2
	buffer_load_dword v199, off, s[0:3], 0 offset:604
	buffer_load_dword v204, off, s[0:3], 0 offset:580
	;; [unrolled: 1-line block ×3, first 2 shown]
	s_waitcnt vmcnt(62) lgkmcnt(2)
	v_mul_f64 v[184:185], v[182:183], v[127:128]
	v_mul_f64 v[127:128], v[180:181], v[127:128]
	s_waitcnt lgkmcnt(1)
	v_mul_f64 v[201:202], v[190:191], v[5:6]
	s_waitcnt vmcnt(59) lgkmcnt(0)
	v_mul_f64 v[205:206], v[194:195], v[3:4]
	v_fma_f64 v[180:181], v[180:181], v[7:8], -v[184:185]
	v_mul_f64 v[184:185], v[188:189], v[5:6]
	v_fma_f64 v[127:128], v[182:183], v[7:8], v[127:128]
	s_waitcnt vmcnt(57)
	v_fma_f64 v[188:189], v[188:189], v[1:2], -v[201:202]
	ds_read_b128 v[5:8], v179 offset:1312
	v_mul_f64 v[182:183], v[192:193], v[3:4]
	s_waitcnt vmcnt(51)
	v_fma_f64 v[192:193], v[192:193], v[143:144], -v[205:206]
	v_add_f64 v[180:181], v[180:181], 0
	v_fma_f64 v[184:185], v[190:191], v[1:2], v[184:185]
	v_add_f64 v[127:128], v[127:128], 0
	s_clause 0x4
	buffer_load_dword v191, off, s[0:3], 0 offset:620
	buffer_load_dword v207, off, s[0:3], 0 offset:632
	;; [unrolled: 1-line block ×5, first 2 shown]
	s_waitcnt lgkmcnt(0)
	v_mul_f64 v[210:211], v[5:6], v[131:132]
	v_mul_f64 v[131:132], v[7:8], v[131:132]
	ds_read_b128 v[1:4], v179 offset:1328
	v_fma_f64 v[143:144], v[194:195], v[143:144], v[182:183]
	v_add_f64 v[188:189], v[180:181], v[188:189]
	v_add_f64 v[127:128], v[127:128], v[184:185]
	s_clause 0x2
	buffer_load_dword v208, off, s[0:3], 0 offset:636
	buffer_load_dword v185, off, s[0:3], 0 offset:612
	buffer_load_dword v184, off, s[0:3], 0 offset:608
	s_waitcnt vmcnt(58) lgkmcnt(0)
	v_mul_f64 v[194:195], v[1:2], v[135:136]
	v_mul_f64 v[135:136], v[3:4], v[135:136]
	s_waitcnt vmcnt(56)
	v_fma_f64 v[131:132], v[5:6], v[137:138], -v[131:132]
	ds_read_b128 v[180:183], v179 offset:1344
	v_fma_f64 v[137:138], v[7:8], v[137:138], v[210:211]
	v_add_f64 v[188:189], v[188:189], v[192:193]
	v_add_f64 v[127:128], v[127:128], v[143:144]
	s_clause 0x4
	buffer_load_dword v144, off, s[0:3], 0 offset:652
	buffer_load_dword v192, off, s[0:3], 0 offset:664
	;; [unrolled: 1-line block ×5, first 2 shown]
	ds_read_b128 v[5:8], v179 offset:1360
	s_waitcnt vmcnt(57) lgkmcnt(1)
	v_mul_f64 v[211:212], v[180:181], v[139:140]
	v_mul_f64 v[139:140], v[182:183], v[139:140]
	s_waitcnt vmcnt(56)
	v_fma_f64 v[135:136], v[1:2], v[129:130], -v[135:136]
	v_fma_f64 v[129:130], v[3:4], v[129:130], v[194:195]
	v_add_f64 v[131:132], v[188:189], v[131:132]
	v_add_f64 v[127:128], v[127:128], v[137:138]
	s_clause 0x2
	buffer_load_dword v193, off, s[0:3], 0 offset:668
	buffer_load_dword v138, off, s[0:3], 0 offset:644
	;; [unrolled: 1-line block ×3, first 2 shown]
	s_waitcnt vmcnt(58) lgkmcnt(0)
	v_mul_f64 v[188:189], v[5:6], v[145:146]
	v_mul_f64 v[145:146], v[7:8], v[145:146]
	s_waitcnt vmcnt(56)
	v_fma_f64 v[139:140], v[180:181], v[147:148], -v[139:140]
	ds_read_b128 v[1:4], v179 offset:1376
	v_add_f64 v[131:132], v[131:132], v[135:136]
	v_fma_f64 v[135:136], v[182:183], v[147:148], v[211:212]
	v_add_f64 v[147:148], v[127:128], v[129:130]
	s_clause 0x4
	buffer_load_dword v181, off, s[0:3], 0 offset:684
	buffer_load_dword v182, off, s[0:3], 0 offset:696
	;; [unrolled: 1-line block ×5, first 2 shown]
	ds_read_b128 v[127:130], v179 offset:1392
	s_waitcnt vmcnt(57) lgkmcnt(1)
	v_mul_f64 v[211:212], v[1:2], v[149:150]
	v_mul_f64 v[149:150], v[3:4], v[149:150]
	s_waitcnt vmcnt(56)
	v_fma_f64 v[145:146], v[5:6], v[133:134], -v[145:146]
	v_fma_f64 v[133:134], v[7:8], v[133:134], v[188:189]
	v_add_f64 v[131:132], v[131:132], v[139:140]
	s_clause 0x2
	buffer_load_dword v183, off, s[0:3], 0 offset:700
	buffer_load_dword v140, off, s[0:3], 0 offset:676
	;; [unrolled: 1-line block ×3, first 2 shown]
	v_add_f64 v[135:136], v[147:148], v[135:136]
	s_waitcnt vmcnt(58) lgkmcnt(0)
	v_mul_f64 v[147:148], v[127:128], v[153:154]
	v_mul_f64 v[153:154], v[129:130], v[153:154]
	ds_read_b128 v[5:8], v179 offset:1408
	s_waitcnt vmcnt(56)
	v_fma_f64 v[149:150], v[1:2], v[155:156], -v[149:150]
	v_add_f64 v[131:132], v[131:132], v[145:146]
	v_fma_f64 v[145:146], v[3:4], v[155:156], v[211:212]
	v_add_f64 v[133:134], v[135:136], v[133:134]
	s_clause 0x4
	buffer_load_dword v136, off, s[0:3], 0 offset:716
	buffer_load_dword v155, off, s[0:3], 0 offset:728
	;; [unrolled: 1-line block ×5, first 2 shown]
	s_waitcnt vmcnt(57) lgkmcnt(0)
	v_mul_f64 v[211:212], v[5:6], v[157:158]
	v_mul_f64 v[157:158], v[7:8], v[157:158]
	s_waitcnt vmcnt(56)
	v_fma_f64 v[153:154], v[127:128], v[141:142], -v[153:154]
	ds_read_b128 v[1:4], v179 offset:1424
	v_fma_f64 v[141:142], v[129:130], v[141:142], v[147:148]
	v_add_f64 v[131:132], v[131:132], v[149:150]
	v_add_f64 v[133:134], v[133:134], v[145:146]
	s_clause 0x2
	buffer_load_dword v156, off, s[0:3], 0 offset:732
	buffer_load_dword v146, off, s[0:3], 0 offset:708
	;; [unrolled: 1-line block ×3, first 2 shown]
	ds_read_b128 v[127:130], v179 offset:1440
	s_waitcnt vmcnt(58) lgkmcnt(1)
	v_mul_f64 v[149:150], v[3:4], v[161:162]
	s_waitcnt vmcnt(56)
	v_fma_f64 v[157:158], v[5:6], v[163:164], -v[157:158]
	v_mul_f64 v[147:148], v[1:2], v[161:162]
	v_add_f64 v[131:132], v[131:132], v[153:154]
	v_fma_f64 v[153:154], v[7:8], v[163:164], v[211:212]
	v_add_f64 v[133:134], v[133:134], v[141:142]
	s_clause 0x4
	buffer_load_dword v142, off, s[0:3], 0 offset:748
	buffer_load_dword v161, off, s[0:3], 0 offset:760
	buffer_load_dword v163, off, s[0:3], 0 offset:752
	buffer_load_dword v141, off, s[0:3], 0 offset:744
	buffer_load_dword v189, off, s[0:3], 0 offset:724
	s_waitcnt vmcnt(57) lgkmcnt(0)
	v_mul_f64 v[211:212], v[127:128], v[165:166]
	v_mul_f64 v[164:165], v[129:130], v[165:166]
	s_waitcnt vmcnt(56)
	v_fma_f64 v[149:150], v[1:2], v[151:152], -v[149:150]
	ds_read_b128 v[5:8], v179 offset:1456
	v_fma_f64 v[147:148], v[3:4], v[151:152], v[147:148]
	s_clause 0x2
	buffer_load_dword v162, off, s[0:3], 0 offset:764
	buffer_load_dword v152, off, s[0:3], 0 offset:740
	;; [unrolled: 1-line block ×3, first 2 shown]
	ds_read_b128 v[1:4], v179 offset:1472
	v_add_f64 v[131:132], v[131:132], v[157:158]
	v_add_f64 v[133:134], v[133:134], v[153:154]
	s_waitcnt vmcnt(58) lgkmcnt(1)
	v_mul_f64 v[157:158], v[7:8], v[169:170]
	s_waitcnt vmcnt(56)
	v_fma_f64 v[165:166], v[127:128], v[171:172], -v[164:165]
	v_mul_f64 v[153:154], v[5:6], v[169:170]
	v_add_f64 v[131:132], v[131:132], v[149:150]
	v_fma_f64 v[149:150], v[129:130], v[171:172], v[211:212]
	v_add_f64 v[133:134], v[133:134], v[147:148]
	s_clause 0x4
	buffer_load_dword v148, off, s[0:3], 0 offset:780
	buffer_load_dword v169, off, s[0:3], 0 offset:792
	;; [unrolled: 1-line block ×5, first 2 shown]
	s_waitcnt vmcnt(57) lgkmcnt(0)
	v_mul_f64 v[211:212], v[1:2], v[173:174]
	v_mul_f64 v[172:173], v[3:4], v[173:174]
	s_waitcnt vmcnt(56)
	v_fma_f64 v[157:158], v[5:6], v[159:160], -v[157:158]
	ds_read_b128 v[127:130], v179 offset:1488
	v_fma_f64 v[153:154], v[7:8], v[159:160], v[153:154]
	v_add_f64 v[131:132], v[131:132], v[165:166]
	v_add_f64 v[133:134], v[133:134], v[149:150]
	s_clause 0x2
	buffer_load_dword v170, off, s[0:3], 0 offset:796
	buffer_load_dword v150, off, s[0:3], 0 offset:772
	;; [unrolled: 1-line block ×3, first 2 shown]
	ds_read_b128 v[5:8], v179 offset:1504
	s_waitcnt vmcnt(58) lgkmcnt(1)
	v_mul_f64 v[165:166], v[129:130], v[175:176]
	s_waitcnt vmcnt(56)
	v_fma_f64 v[173:174], v[1:2], v[177:178], -v[172:173]
	v_mul_f64 v[159:160], v[127:128], v[175:176]
	v_add_f64 v[131:132], v[131:132], v[157:158]
	v_fma_f64 v[157:158], v[3:4], v[177:178], v[211:212]
	v_add_f64 v[133:134], v[133:134], v[153:154]
	s_clause 0x4
	buffer_load_dword v154, off, s[0:3], 0 offset:812
	buffer_load_dword v175, off, s[0:3], 0 offset:824
	;; [unrolled: 1-line block ×5, first 2 shown]
	s_waitcnt vmcnt(57) lgkmcnt(0)
	v_mul_f64 v[211:212], v[5:6], v[196:197]
	v_mul_f64 v[196:197], v[7:8], v[196:197]
	s_waitcnt vmcnt(56)
	v_fma_f64 v[165:166], v[127:128], v[167:168], -v[165:166]
	ds_read_b128 v[1:4], v179 offset:1520
	v_fma_f64 v[159:160], v[129:130], v[167:168], v[159:160]
	v_add_f64 v[131:132], v[131:132], v[173:174]
	v_add_f64 v[133:134], v[133:134], v[157:158]
	s_clause 0x2
	buffer_load_dword v176, off, s[0:3], 0 offset:828
	buffer_load_dword v158, off, s[0:3], 0 offset:804
	;; [unrolled: 1-line block ×3, first 2 shown]
	ds_read_b128 v[127:130], v179 offset:1536
	s_waitcnt vmcnt(58) lgkmcnt(1)
	v_mul_f64 v[173:174], v[3:4], v[198:199]
	s_waitcnt vmcnt(56)
	v_fma_f64 v[196:197], v[5:6], v[203:204], -v[196:197]
	v_mul_f64 v[167:168], v[1:2], v[198:199]
	v_add_f64 v[131:132], v[131:132], v[165:166]
	v_fma_f64 v[165:166], v[7:8], v[203:204], v[211:212]
	v_add_f64 v[133:134], v[133:134], v[159:160]
	s_clause 0x4
	buffer_load_dword v160, off, s[0:3], 0 offset:844
	buffer_load_dword v198, off, s[0:3], 0 offset:856
	buffer_load_dword v202, off, s[0:3], 0 offset:848
	buffer_load_dword v159, off, s[0:3], 0 offset:840
	buffer_load_dword v178, off, s[0:3], 0 offset:820
	ds_read_b128 v[5:8], v179 offset:1552
	s_waitcnt vmcnt(57) lgkmcnt(1)
	v_mul_f64 v[203:204], v[127:128], v[190:191]
	v_mul_f64 v[190:191], v[129:130], v[190:191]
	s_waitcnt vmcnt(56)
	v_fma_f64 v[173:174], v[1:2], v[200:201], -v[173:174]
	v_fma_f64 v[167:168], v[3:4], v[200:201], v[167:168]
	v_add_f64 v[131:132], v[131:132], v[196:197]
	v_add_f64 v[133:134], v[133:134], v[165:166]
	s_clause 0x2
	buffer_load_dword v199, off, s[0:3], 0 offset:860
	buffer_load_dword v166, off, s[0:3], 0 offset:836
	buffer_load_dword v165, off, s[0:3], 0 offset:832
	ds_read_b128 v[1:4], v179 offset:1568
	s_waitcnt vmcnt(58) lgkmcnt(1)
	v_mul_f64 v[200:201], v[7:8], v[207:208]
	v_mul_f64 v[196:197], v[5:6], v[207:208]
	s_waitcnt vmcnt(56)
	v_fma_f64 v[190:191], v[127:128], v[184:185], -v[190:191]
	v_add_f64 v[131:132], v[131:132], v[173:174]
	v_fma_f64 v[173:174], v[129:130], v[184:185], v[203:204]
	v_add_f64 v[133:134], v[133:134], v[167:168]
	s_clause 0x4
	buffer_load_dword v168, off, s[0:3], 0 offset:876
	buffer_load_dword v184, off, s[0:3], 0 offset:888
	;; [unrolled: 1-line block ×5, first 2 shown]
	ds_read_b128 v[127:130], v179 offset:1584
	s_waitcnt vmcnt(57) lgkmcnt(1)
	v_mul_f64 v[211:212], v[1:2], v[143:144]
	v_mul_f64 v[143:144], v[3:4], v[143:144]
	s_waitcnt vmcnt(56)
	v_fma_f64 v[200:201], v[5:6], v[209:210], -v[200:201]
	v_add_f64 v[131:132], v[131:132], v[190:191]
	v_fma_f64 v[190:191], v[7:8], v[209:210], v[196:197]
	v_add_f64 v[133:134], v[133:134], v[173:174]
	s_clause 0x2
	buffer_load_dword v185, off, s[0:3], 0 offset:892
	buffer_load_dword v174, off, s[0:3], 0 offset:868
	;; [unrolled: 1-line block ×3, first 2 shown]
	ds_read_b128 v[5:8], v179 offset:1600
	s_waitcnt vmcnt(58) lgkmcnt(1)
	v_mul_f64 v[196:197], v[127:128], v[192:193]
	v_mul_f64 v[192:193], v[129:130], v[192:193]
	s_waitcnt vmcnt(56)
	v_fma_f64 v[143:144], v[1:2], v[137:138], -v[143:144]
	v_fma_f64 v[137:138], v[3:4], v[137:138], v[211:212]
	v_add_f64 v[131:132], v[131:132], v[200:201]
	v_add_f64 v[133:134], v[133:134], v[190:191]
	s_clause 0x4
	buffer_load_dword v191, off, s[0:3], 0 offset:908
	buffer_load_dword v200, off, s[0:3], 0 offset:920
	;; [unrolled: 1-line block ×5, first 2 shown]
	ds_read_b128 v[1:4], v179 offset:1616
	s_waitcnt vmcnt(57) lgkmcnt(1)
	v_mul_f64 v[209:210], v[5:6], v[180:181]
	v_mul_f64 v[180:181], v[7:8], v[180:181]
	s_waitcnt vmcnt(56)
	v_fma_f64 v[192:193], v[127:128], v[205:206], -v[192:193]
	v_add_f64 v[131:132], v[131:132], v[143:144]
	v_fma_f64 v[143:144], v[129:130], v[205:206], v[196:197]
	v_add_f64 v[133:134], v[133:134], v[137:138]
	s_clause 0x2
	buffer_load_dword v201, off, s[0:3], 0 offset:924
	buffer_load_dword v138, off, s[0:3], 0 offset:900
	;; [unrolled: 1-line block ×3, first 2 shown]
	ds_read_b128 v[127:130], v179 offset:1632
	s_waitcnt vmcnt(58) lgkmcnt(1)
	v_mul_f64 v[196:197], v[1:2], v[182:183]
	v_mul_f64 v[182:183], v[3:4], v[182:183]
	s_waitcnt vmcnt(56)
	v_fma_f64 v[180:181], v[5:6], v[139:140], -v[180:181]
	v_fma_f64 v[139:140], v[7:8], v[139:140], v[209:210]
	v_add_f64 v[131:132], v[131:132], v[192:193]
	v_add_f64 v[133:134], v[133:134], v[143:144]
	s_clause 0x4
	buffer_load_dword v144, off, s[0:3], 0 offset:940
	buffer_load_dword v192, off, s[0:3], 0 offset:952
	;; [unrolled: 1-line block ×5, first 2 shown]
	ds_read_b128 v[5:8], v179 offset:1648
	s_waitcnt vmcnt(57) lgkmcnt(1)
	v_mul_f64 v[210:211], v[127:128], v[135:136]
	v_mul_f64 v[135:136], v[129:130], v[135:136]
	s_waitcnt vmcnt(56)
	v_fma_f64 v[182:183], v[1:2], v[194:195], -v[182:183]
	v_add_f64 v[131:132], v[131:132], v[180:181]
	v_fma_f64 v[180:181], v[3:4], v[194:195], v[196:197]
	v_add_f64 v[133:134], v[133:134], v[139:140]
	s_clause 0x2
	buffer_load_dword v193, off, s[0:3], 0 offset:956
	buffer_load_dword v140, off, s[0:3], 0 offset:932
	;; [unrolled: 1-line block ×3, first 2 shown]
	ds_read_b128 v[1:4], v179 offset:1664
	s_waitcnt vmcnt(58) lgkmcnt(1)
	v_mul_f64 v[194:195], v[5:6], v[155:156]
	v_mul_f64 v[155:156], v[7:8], v[155:156]
	s_waitcnt vmcnt(56)
	v_fma_f64 v[135:136], v[127:128], v[145:146], -v[135:136]
	v_fma_f64 v[145:146], v[129:130], v[145:146], v[210:211]
	buffer_load_dword v210, off, s[0:3], 0 offset:948
	ds_read_b128 v[127:130], v179 offset:1680
	v_add_f64 v[131:132], v[131:132], v[182:183]
	v_add_f64 v[133:134], v[133:134], v[180:181]
	s_waitcnt vmcnt(53) lgkmcnt(1)
	v_mul_f64 v[180:181], v[1:2], v[141:142]
	v_mul_f64 v[141:142], v[3:4], v[141:142]
	s_waitcnt vmcnt(52)
	v_fma_f64 v[155:156], v[5:6], v[188:189], -v[155:156]
	v_add_f64 v[131:132], v[131:132], v[135:136]
	v_fma_f64 v[135:136], v[7:8], v[188:189], v[194:195]
	v_add_f64 v[133:134], v[133:134], v[145:146]
	s_waitcnt vmcnt(51) lgkmcnt(0)
	v_mul_f64 v[145:146], v[127:128], v[161:162]
	v_mul_f64 v[161:162], v[129:130], v[161:162]
	ds_read_b128 v[5:8], v179 offset:1696
	s_waitcnt vmcnt(49)
	v_fma_f64 v[141:142], v[1:2], v[151:152], -v[141:142]
	v_fma_f64 v[151:152], v[3:4], v[151:152], v[180:181]
	v_add_f64 v[131:132], v[131:132], v[155:156]
	v_add_f64 v[133:134], v[133:134], v[135:136]
	s_clause 0x3
	buffer_load_dword v135, off, s[0:3], 0 offset:320
	buffer_load_dword v136, off, s[0:3], 0 offset:324
	buffer_load_dword v155, off, s[0:3], 0 offset:328
	buffer_load_dword v156, off, s[0:3], 0 offset:332
	ds_read_b128 v[1:4], v179 offset:1712
	s_waitcnt vmcnt(49) lgkmcnt(1)
	v_mul_f64 v[180:181], v[5:6], v[147:148]
	v_mul_f64 v[147:148], v[7:8], v[147:148]
	s_waitcnt vmcnt(48)
	v_fma_f64 v[161:162], v[127:128], v[163:164], -v[161:162]
	v_add_f64 v[131:132], v[131:132], v[141:142]
	v_fma_f64 v[141:142], v[129:130], v[163:164], v[145:146]
	v_add_f64 v[133:134], v[133:134], v[151:152]
	ds_read_b128 v[127:130], v179 offset:1728
	s_waitcnt vmcnt(47) lgkmcnt(1)
	v_mul_f64 v[151:152], v[3:4], v[169:170]
	v_mul_f64 v[145:146], v[1:2], v[169:170]
	s_waitcnt vmcnt(45)
	v_fma_f64 v[147:148], v[5:6], v[149:150], -v[147:148]
	v_fma_f64 v[149:150], v[7:8], v[149:150], v[180:181]
	ds_read_b128 v[5:8], v179 offset:1744
	v_add_f64 v[131:132], v[131:132], v[161:162]
	v_add_f64 v[133:134], v[133:134], v[141:142]
	s_waitcnt vmcnt(41) lgkmcnt(1)
	v_mul_f64 v[141:142], v[127:128], v[153:154]
	v_mul_f64 v[153:154], v[129:130], v[153:154]
	s_waitcnt vmcnt(40)
	v_fma_f64 v[151:152], v[1:2], v[171:172], -v[151:152]
	v_fma_f64 v[145:146], v[3:4], v[171:172], v[145:146]
	ds_read_b128 v[1:4], v179 offset:1760
	v_add_f64 v[131:132], v[131:132], v[147:148]
	v_add_f64 v[133:134], v[133:134], v[149:150]
	;; [unrolled: 9-line block ×3, first 2 shown]
	s_waitcnt vmcnt(33) lgkmcnt(1)
	v_mul_f64 v[151:152], v[3:4], v[159:160]
	s_waitcnt vmcnt(32)
	v_fma_f64 v[149:150], v[5:6], v[177:178], -v[149:150]
	v_mul_f64 v[145:146], v[1:2], v[159:160]
	v_fma_f64 v[147:148], v[7:8], v[177:178], v[147:148]
	ds_read_b128 v[5:8], v179 offset:1792
	v_add_f64 v[131:132], v[131:132], v[153:154]
	v_add_f64 v[133:134], v[133:134], v[141:142]
	s_waitcnt vmcnt(31) lgkmcnt(1)
	v_mul_f64 v[153:154], v[129:130], v[198:199]
	v_mul_f64 v[141:142], v[127:128], v[198:199]
	s_waitcnt vmcnt(29)
	v_fma_f64 v[151:152], v[1:2], v[165:166], -v[151:152]
	v_fma_f64 v[145:146], v[3:4], v[165:166], v[145:146]
	ds_read_b128 v[1:4], v179 offset:1808
	v_add_f64 v[131:132], v[131:132], v[149:150]
	v_add_f64 v[133:134], v[133:134], v[147:148]
	s_waitcnt vmcnt(25) lgkmcnt(1)
	v_mul_f64 v[149:150], v[7:8], v[167:168]
	s_waitcnt vmcnt(24)
	v_fma_f64 v[153:154], v[127:128], v[202:203], -v[153:154]
	v_mul_f64 v[147:148], v[5:6], v[167:168]
	v_fma_f64 v[141:142], v[129:130], v[202:203], v[141:142]
	ds_read_b128 v[127:130], v179 offset:1824
	v_add_f64 v[131:132], v[131:132], v[151:152]
	v_add_f64 v[133:134], v[133:134], v[145:146]
	s_waitcnt vmcnt(23) lgkmcnt(1)
	v_mul_f64 v[151:152], v[3:4], v[184:185]
	v_mul_f64 v[145:146], v[1:2], v[184:185]
	s_waitcnt vmcnt(21)
	v_fma_f64 v[149:150], v[5:6], v[173:174], -v[149:150]
	v_fma_f64 v[147:148], v[7:8], v[173:174], v[147:148]
	ds_read_b128 v[5:8], v179 offset:1840
	v_add_f64 v[131:132], v[131:132], v[153:154]
	v_add_f64 v[133:134], v[133:134], v[141:142]
	;; [unrolled: 18-line block ×3, first 2 shown]
	s_waitcnt vmcnt(9) lgkmcnt(1)
	v_mul_f64 v[141:142], v[1:2], v[143:144]
	v_mul_f64 v[143:144], v[3:4], v[143:144]
	s_waitcnt vmcnt(8)
	v_fma_f64 v[5:6], v[5:6], v[204:205], -v[149:150]
	v_fma_f64 v[7:8], v[7:8], v[204:205], v[147:148]
	v_add_f64 v[131:132], v[131:132], v[153:154]
	v_add_f64 v[133:134], v[133:134], v[137:138]
	s_waitcnt vmcnt(7) lgkmcnt(0)
	v_mul_f64 v[145:146], v[129:130], v[192:193]
	v_mul_f64 v[137:138], v[127:128], v[192:193]
	s_waitcnt vmcnt(5)
	v_fma_f64 v[1:2], v[1:2], v[139:140], -v[143:144]
	v_fma_f64 v[3:4], v[3:4], v[139:140], v[141:142]
	v_add_f64 v[5:6], v[131:132], v[5:6]
	v_add_f64 v[7:8], v[133:134], v[7:8]
	s_waitcnt vmcnt(4)
	v_fma_f64 v[127:128], v[127:128], v[209:210], -v[145:146]
	v_add_f64 v[1:2], v[5:6], v[1:2]
	v_fma_f64 v[5:6], v[129:130], v[209:210], v[137:138]
	v_add_f64 v[3:4], v[7:8], v[3:4]
	v_add_f64 v[1:2], v[1:2], v[127:128]
	;; [unrolled: 1-line block ×3, first 2 shown]
	s_waitcnt vmcnt(2)
	v_add_f64 v[1:2], v[135:136], -v[1:2]
	s_waitcnt vmcnt(0)
	v_add_f64 v[3:4], v[155:156], -v[3:4]
	buffer_store_dword v2, off, s[0:3], 0 offset:324
	buffer_store_dword v1, off, s[0:3], 0 offset:320
	;; [unrolled: 1-line block ×4, first 2 shown]
	v_cmpx_lt_u32_e32 18, v0
	s_cbranch_execz .LBB122_331
; %bb.330:
	v_mov_b32_e32 v4, s53
	s_clause 0x3
	buffer_load_dword v1, v4, s[0:3], 0 offen
	buffer_load_dword v2, v4, s[0:3], 0 offen offset:4
	buffer_load_dword v3, v4, s[0:3], 0 offen offset:8
	;; [unrolled: 1-line block ×3, first 2 shown]
	buffer_store_dword v179, off, s[0:3], 0 offset:304
	buffer_store_dword v179, off, s[0:3], 0 offset:308
	;; [unrolled: 1-line block ×4, first 2 shown]
	s_waitcnt vmcnt(0)
	ds_write_b128 v187, v[1:4]
.LBB122_331:
	s_or_b32 exec_lo, exec_lo, s4
	s_waitcnt lgkmcnt(0)
	s_waitcnt_vscnt null, 0x0
	s_barrier
	buffer_gl0_inv
	s_clause 0x37
	buffer_load_dword v127, off, s[0:3], 0 offset:328
	buffer_load_dword v128, off, s[0:3], 0 offset:332
	;; [unrolled: 1-line block ×56, first 2 shown]
	ds_read_b128 v[180:183], v179 offset:1248
	s_clause 0x2
	buffer_load_dword v176, off, s[0:3], 0 offset:556
	buffer_load_dword v178, off, s[0:3], 0 offset:532
	;; [unrolled: 1-line block ×3, first 2 shown]
	ds_read_b128 v[188:191], v179 offset:1264
	s_clause 0x4
	buffer_load_dword v197, off, s[0:3], 0 offset:572
	buffer_load_dword v198, off, s[0:3], 0 offset:584
	buffer_load_dword v200, off, s[0:3], 0 offset:576
	buffer_load_dword v196, off, s[0:3], 0 offset:568
	buffer_load_dword v168, off, s[0:3], 0 offset:548
	ds_read_b128 v[192:195], v179 offset:1280
	s_clause 0x2
	buffer_load_dword v199, off, s[0:3], 0 offset:588
	buffer_load_dword v204, off, s[0:3], 0 offset:564
	;; [unrolled: 1-line block ×3, first 2 shown]
	s_mov_b32 s4, exec_lo
	s_waitcnt vmcnt(62) lgkmcnt(2)
	v_mul_f64 v[184:185], v[182:183], v[127:128]
	v_mul_f64 v[127:128], v[180:181], v[127:128]
	s_waitcnt lgkmcnt(1)
	v_mul_f64 v[201:202], v[190:191], v[5:6]
	s_waitcnt vmcnt(59) lgkmcnt(0)
	v_mul_f64 v[205:206], v[194:195], v[3:4]
	v_fma_f64 v[180:181], v[180:181], v[7:8], -v[184:185]
	v_mul_f64 v[184:185], v[188:189], v[5:6]
	v_fma_f64 v[127:128], v[182:183], v[7:8], v[127:128]
	s_waitcnt vmcnt(57)
	v_fma_f64 v[188:189], v[188:189], v[1:2], -v[201:202]
	ds_read_b128 v[5:8], v179 offset:1296
	v_mul_f64 v[182:183], v[192:193], v[3:4]
	s_waitcnt vmcnt(51)
	v_fma_f64 v[192:193], v[192:193], v[143:144], -v[205:206]
	v_add_f64 v[180:181], v[180:181], 0
	v_fma_f64 v[184:185], v[190:191], v[1:2], v[184:185]
	v_add_f64 v[127:128], v[127:128], 0
	s_clause 0x4
	buffer_load_dword v191, off, s[0:3], 0 offset:604
	buffer_load_dword v207, off, s[0:3], 0 offset:616
	;; [unrolled: 1-line block ×5, first 2 shown]
	s_waitcnt lgkmcnt(0)
	v_mul_f64 v[210:211], v[5:6], v[131:132]
	v_mul_f64 v[131:132], v[7:8], v[131:132]
	ds_read_b128 v[1:4], v179 offset:1312
	v_fma_f64 v[143:144], v[194:195], v[143:144], v[182:183]
	v_add_f64 v[188:189], v[180:181], v[188:189]
	v_add_f64 v[127:128], v[127:128], v[184:185]
	s_clause 0x2
	buffer_load_dword v208, off, s[0:3], 0 offset:620
	buffer_load_dword v185, off, s[0:3], 0 offset:596
	;; [unrolled: 1-line block ×3, first 2 shown]
	s_waitcnt vmcnt(58) lgkmcnt(0)
	v_mul_f64 v[194:195], v[1:2], v[135:136]
	v_mul_f64 v[135:136], v[3:4], v[135:136]
	s_waitcnt vmcnt(56)
	v_fma_f64 v[131:132], v[5:6], v[137:138], -v[131:132]
	ds_read_b128 v[180:183], v179 offset:1328
	v_fma_f64 v[137:138], v[7:8], v[137:138], v[210:211]
	v_add_f64 v[188:189], v[188:189], v[192:193]
	v_add_f64 v[127:128], v[127:128], v[143:144]
	s_clause 0x4
	buffer_load_dword v144, off, s[0:3], 0 offset:636
	buffer_load_dword v192, off, s[0:3], 0 offset:648
	;; [unrolled: 1-line block ×5, first 2 shown]
	ds_read_b128 v[5:8], v179 offset:1344
	s_waitcnt vmcnt(57) lgkmcnt(1)
	v_mul_f64 v[211:212], v[180:181], v[139:140]
	v_mul_f64 v[139:140], v[182:183], v[139:140]
	s_waitcnt vmcnt(56)
	v_fma_f64 v[135:136], v[1:2], v[129:130], -v[135:136]
	v_fma_f64 v[129:130], v[3:4], v[129:130], v[194:195]
	v_add_f64 v[131:132], v[188:189], v[131:132]
	v_add_f64 v[127:128], v[127:128], v[137:138]
	s_clause 0x2
	buffer_load_dword v193, off, s[0:3], 0 offset:652
	buffer_load_dword v138, off, s[0:3], 0 offset:628
	;; [unrolled: 1-line block ×3, first 2 shown]
	s_waitcnt vmcnt(58) lgkmcnt(0)
	v_mul_f64 v[188:189], v[5:6], v[145:146]
	v_mul_f64 v[145:146], v[7:8], v[145:146]
	s_waitcnt vmcnt(56)
	v_fma_f64 v[139:140], v[180:181], v[147:148], -v[139:140]
	ds_read_b128 v[1:4], v179 offset:1360
	v_add_f64 v[131:132], v[131:132], v[135:136]
	v_fma_f64 v[135:136], v[182:183], v[147:148], v[211:212]
	v_add_f64 v[147:148], v[127:128], v[129:130]
	s_clause 0x4
	buffer_load_dword v181, off, s[0:3], 0 offset:668
	buffer_load_dword v182, off, s[0:3], 0 offset:680
	;; [unrolled: 1-line block ×5, first 2 shown]
	ds_read_b128 v[127:130], v179 offset:1376
	s_waitcnt vmcnt(57) lgkmcnt(1)
	v_mul_f64 v[211:212], v[1:2], v[149:150]
	v_mul_f64 v[149:150], v[3:4], v[149:150]
	s_waitcnt vmcnt(56)
	v_fma_f64 v[145:146], v[5:6], v[133:134], -v[145:146]
	v_fma_f64 v[133:134], v[7:8], v[133:134], v[188:189]
	v_add_f64 v[131:132], v[131:132], v[139:140]
	s_clause 0x2
	buffer_load_dword v183, off, s[0:3], 0 offset:684
	buffer_load_dword v140, off, s[0:3], 0 offset:660
	;; [unrolled: 1-line block ×3, first 2 shown]
	v_add_f64 v[135:136], v[147:148], v[135:136]
	s_waitcnt vmcnt(58) lgkmcnt(0)
	v_mul_f64 v[147:148], v[127:128], v[153:154]
	v_mul_f64 v[153:154], v[129:130], v[153:154]
	ds_read_b128 v[5:8], v179 offset:1392
	s_waitcnt vmcnt(56)
	v_fma_f64 v[149:150], v[1:2], v[155:156], -v[149:150]
	v_add_f64 v[131:132], v[131:132], v[145:146]
	v_fma_f64 v[145:146], v[3:4], v[155:156], v[211:212]
	v_add_f64 v[133:134], v[135:136], v[133:134]
	s_clause 0x4
	buffer_load_dword v136, off, s[0:3], 0 offset:700
	buffer_load_dword v155, off, s[0:3], 0 offset:712
	;; [unrolled: 1-line block ×5, first 2 shown]
	s_waitcnt vmcnt(57) lgkmcnt(0)
	v_mul_f64 v[211:212], v[5:6], v[157:158]
	v_mul_f64 v[157:158], v[7:8], v[157:158]
	s_waitcnt vmcnt(56)
	v_fma_f64 v[153:154], v[127:128], v[141:142], -v[153:154]
	ds_read_b128 v[1:4], v179 offset:1408
	v_fma_f64 v[141:142], v[129:130], v[141:142], v[147:148]
	v_add_f64 v[131:132], v[131:132], v[149:150]
	v_add_f64 v[133:134], v[133:134], v[145:146]
	s_clause 0x2
	buffer_load_dword v156, off, s[0:3], 0 offset:716
	buffer_load_dword v146, off, s[0:3], 0 offset:692
	;; [unrolled: 1-line block ×3, first 2 shown]
	ds_read_b128 v[127:130], v179 offset:1424
	s_waitcnt vmcnt(58) lgkmcnt(1)
	v_mul_f64 v[149:150], v[3:4], v[161:162]
	s_waitcnt vmcnt(56)
	v_fma_f64 v[157:158], v[5:6], v[163:164], -v[157:158]
	v_mul_f64 v[147:148], v[1:2], v[161:162]
	v_add_f64 v[131:132], v[131:132], v[153:154]
	v_fma_f64 v[153:154], v[7:8], v[163:164], v[211:212]
	v_add_f64 v[133:134], v[133:134], v[141:142]
	s_clause 0x4
	buffer_load_dword v142, off, s[0:3], 0 offset:732
	buffer_load_dword v161, off, s[0:3], 0 offset:744
	;; [unrolled: 1-line block ×5, first 2 shown]
	s_waitcnt vmcnt(57) lgkmcnt(0)
	v_mul_f64 v[211:212], v[127:128], v[165:166]
	v_mul_f64 v[164:165], v[129:130], v[165:166]
	s_waitcnt vmcnt(56)
	v_fma_f64 v[149:150], v[1:2], v[151:152], -v[149:150]
	ds_read_b128 v[5:8], v179 offset:1440
	v_fma_f64 v[147:148], v[3:4], v[151:152], v[147:148]
	s_clause 0x2
	buffer_load_dword v162, off, s[0:3], 0 offset:748
	buffer_load_dword v152, off, s[0:3], 0 offset:724
	;; [unrolled: 1-line block ×3, first 2 shown]
	ds_read_b128 v[1:4], v179 offset:1456
	v_add_f64 v[131:132], v[131:132], v[157:158]
	v_add_f64 v[133:134], v[133:134], v[153:154]
	s_waitcnt vmcnt(58) lgkmcnt(1)
	v_mul_f64 v[157:158], v[7:8], v[169:170]
	s_waitcnt vmcnt(56)
	v_fma_f64 v[165:166], v[127:128], v[171:172], -v[164:165]
	v_mul_f64 v[153:154], v[5:6], v[169:170]
	v_add_f64 v[131:132], v[131:132], v[149:150]
	v_fma_f64 v[149:150], v[129:130], v[171:172], v[211:212]
	v_add_f64 v[133:134], v[133:134], v[147:148]
	s_clause 0x4
	buffer_load_dword v148, off, s[0:3], 0 offset:764
	buffer_load_dword v169, off, s[0:3], 0 offset:776
	;; [unrolled: 1-line block ×5, first 2 shown]
	s_waitcnt vmcnt(57) lgkmcnt(0)
	v_mul_f64 v[211:212], v[1:2], v[173:174]
	v_mul_f64 v[172:173], v[3:4], v[173:174]
	s_waitcnt vmcnt(56)
	v_fma_f64 v[157:158], v[5:6], v[159:160], -v[157:158]
	ds_read_b128 v[127:130], v179 offset:1472
	v_fma_f64 v[153:154], v[7:8], v[159:160], v[153:154]
	v_add_f64 v[131:132], v[131:132], v[165:166]
	v_add_f64 v[133:134], v[133:134], v[149:150]
	s_clause 0x2
	buffer_load_dword v170, off, s[0:3], 0 offset:780
	buffer_load_dword v150, off, s[0:3], 0 offset:756
	;; [unrolled: 1-line block ×3, first 2 shown]
	ds_read_b128 v[5:8], v179 offset:1488
	s_waitcnt vmcnt(58) lgkmcnt(1)
	v_mul_f64 v[165:166], v[129:130], v[175:176]
	s_waitcnt vmcnt(56)
	v_fma_f64 v[173:174], v[1:2], v[177:178], -v[172:173]
	v_mul_f64 v[159:160], v[127:128], v[175:176]
	v_add_f64 v[131:132], v[131:132], v[157:158]
	v_fma_f64 v[157:158], v[3:4], v[177:178], v[211:212]
	v_add_f64 v[133:134], v[133:134], v[153:154]
	s_clause 0x4
	buffer_load_dword v154, off, s[0:3], 0 offset:796
	buffer_load_dword v175, off, s[0:3], 0 offset:808
	;; [unrolled: 1-line block ×5, first 2 shown]
	s_waitcnt vmcnt(57) lgkmcnt(0)
	v_mul_f64 v[211:212], v[5:6], v[196:197]
	v_mul_f64 v[196:197], v[7:8], v[196:197]
	s_waitcnt vmcnt(56)
	v_fma_f64 v[165:166], v[127:128], v[167:168], -v[165:166]
	ds_read_b128 v[1:4], v179 offset:1504
	v_fma_f64 v[159:160], v[129:130], v[167:168], v[159:160]
	v_add_f64 v[131:132], v[131:132], v[173:174]
	v_add_f64 v[133:134], v[133:134], v[157:158]
	s_clause 0x2
	buffer_load_dword v176, off, s[0:3], 0 offset:812
	buffer_load_dword v158, off, s[0:3], 0 offset:788
	;; [unrolled: 1-line block ×3, first 2 shown]
	ds_read_b128 v[127:130], v179 offset:1520
	s_waitcnt vmcnt(58) lgkmcnt(1)
	v_mul_f64 v[173:174], v[3:4], v[198:199]
	s_waitcnt vmcnt(56)
	v_fma_f64 v[196:197], v[5:6], v[203:204], -v[196:197]
	v_mul_f64 v[167:168], v[1:2], v[198:199]
	v_add_f64 v[131:132], v[131:132], v[165:166]
	v_fma_f64 v[165:166], v[7:8], v[203:204], v[211:212]
	v_add_f64 v[133:134], v[133:134], v[159:160]
	s_clause 0x4
	buffer_load_dword v160, off, s[0:3], 0 offset:828
	buffer_load_dword v198, off, s[0:3], 0 offset:840
	;; [unrolled: 1-line block ×5, first 2 shown]
	ds_read_b128 v[5:8], v179 offset:1536
	s_waitcnt vmcnt(57) lgkmcnt(1)
	v_mul_f64 v[203:204], v[127:128], v[190:191]
	v_mul_f64 v[190:191], v[129:130], v[190:191]
	s_waitcnt vmcnt(56)
	v_fma_f64 v[173:174], v[1:2], v[200:201], -v[173:174]
	v_fma_f64 v[167:168], v[3:4], v[200:201], v[167:168]
	v_add_f64 v[131:132], v[131:132], v[196:197]
	v_add_f64 v[133:134], v[133:134], v[165:166]
	s_clause 0x2
	buffer_load_dword v199, off, s[0:3], 0 offset:844
	buffer_load_dword v166, off, s[0:3], 0 offset:820
	;; [unrolled: 1-line block ×3, first 2 shown]
	ds_read_b128 v[1:4], v179 offset:1552
	s_waitcnt vmcnt(58) lgkmcnt(1)
	v_mul_f64 v[200:201], v[7:8], v[207:208]
	v_mul_f64 v[196:197], v[5:6], v[207:208]
	s_waitcnt vmcnt(56)
	v_fma_f64 v[190:191], v[127:128], v[184:185], -v[190:191]
	v_add_f64 v[131:132], v[131:132], v[173:174]
	v_fma_f64 v[173:174], v[129:130], v[184:185], v[203:204]
	v_add_f64 v[133:134], v[133:134], v[167:168]
	s_clause 0x4
	buffer_load_dword v168, off, s[0:3], 0 offset:860
	buffer_load_dword v184, off, s[0:3], 0 offset:872
	buffer_load_dword v207, off, s[0:3], 0 offset:864
	buffer_load_dword v167, off, s[0:3], 0 offset:856
	buffer_load_dword v203, off, s[0:3], 0 offset:836
	ds_read_b128 v[127:130], v179 offset:1568
	s_waitcnt vmcnt(57) lgkmcnt(1)
	v_mul_f64 v[211:212], v[1:2], v[143:144]
	v_mul_f64 v[143:144], v[3:4], v[143:144]
	s_waitcnt vmcnt(56)
	v_fma_f64 v[200:201], v[5:6], v[209:210], -v[200:201]
	v_add_f64 v[131:132], v[131:132], v[190:191]
	v_fma_f64 v[190:191], v[7:8], v[209:210], v[196:197]
	v_add_f64 v[133:134], v[133:134], v[173:174]
	s_clause 0x2
	buffer_load_dword v185, off, s[0:3], 0 offset:876
	buffer_load_dword v174, off, s[0:3], 0 offset:852
	buffer_load_dword v173, off, s[0:3], 0 offset:848
	ds_read_b128 v[5:8], v179 offset:1584
	s_waitcnt vmcnt(58) lgkmcnt(1)
	v_mul_f64 v[196:197], v[127:128], v[192:193]
	v_mul_f64 v[192:193], v[129:130], v[192:193]
	s_waitcnt vmcnt(56)
	v_fma_f64 v[143:144], v[1:2], v[137:138], -v[143:144]
	v_fma_f64 v[137:138], v[3:4], v[137:138], v[211:212]
	v_add_f64 v[131:132], v[131:132], v[200:201]
	v_add_f64 v[133:134], v[133:134], v[190:191]
	s_clause 0x4
	buffer_load_dword v191, off, s[0:3], 0 offset:892
	buffer_load_dword v200, off, s[0:3], 0 offset:904
	buffer_load_dword v204, off, s[0:3], 0 offset:896
	buffer_load_dword v190, off, s[0:3], 0 offset:888
	buffer_load_dword v208, off, s[0:3], 0 offset:868
	ds_read_b128 v[1:4], v179 offset:1600
	s_waitcnt vmcnt(57) lgkmcnt(1)
	v_mul_f64 v[209:210], v[5:6], v[180:181]
	v_mul_f64 v[180:181], v[7:8], v[180:181]
	s_waitcnt vmcnt(56)
	v_fma_f64 v[192:193], v[127:128], v[205:206], -v[192:193]
	v_add_f64 v[131:132], v[131:132], v[143:144]
	v_fma_f64 v[143:144], v[129:130], v[205:206], v[196:197]
	v_add_f64 v[133:134], v[133:134], v[137:138]
	s_clause 0x2
	buffer_load_dword v201, off, s[0:3], 0 offset:908
	buffer_load_dword v138, off, s[0:3], 0 offset:884
	buffer_load_dword v137, off, s[0:3], 0 offset:880
	ds_read_b128 v[127:130], v179 offset:1616
	s_waitcnt vmcnt(58) lgkmcnt(1)
	v_mul_f64 v[196:197], v[1:2], v[182:183]
	v_mul_f64 v[182:183], v[3:4], v[182:183]
	s_waitcnt vmcnt(56)
	v_fma_f64 v[180:181], v[5:6], v[139:140], -v[180:181]
	v_fma_f64 v[139:140], v[7:8], v[139:140], v[209:210]
	v_add_f64 v[131:132], v[131:132], v[192:193]
	;; [unrolled: 28-line block ×3, first 2 shown]
	v_add_f64 v[133:134], v[133:134], v[180:181]
	s_clause 0x2
	buffer_load_dword v181, off, s[0:3], 0 offset:956
	buffer_load_dword v180, off, s[0:3], 0 offset:952
	;; [unrolled: 1-line block ×3, first 2 shown]
	ds_read_b128 v[127:130], v179 offset:1664
	s_waitcnt vmcnt(55) lgkmcnt(1)
	v_mul_f64 v[182:183], v[1:2], v[141:142]
	v_mul_f64 v[141:142], v[3:4], v[141:142]
	s_waitcnt vmcnt(54)
	v_fma_f64 v[155:156], v[5:6], v[188:189], -v[155:156]
	v_add_f64 v[131:132], v[131:132], v[135:136]
	v_fma_f64 v[135:136], v[7:8], v[188:189], v[194:195]
	v_add_f64 v[133:134], v[133:134], v[145:146]
	s_clause 0x1
	buffer_load_dword v146, off, s[0:3], 0 offset:948
	buffer_load_dword v145, off, s[0:3], 0 offset:944
	s_waitcnt vmcnt(55) lgkmcnt(0)
	v_mul_f64 v[188:189], v[127:128], v[161:162]
	v_mul_f64 v[161:162], v[129:130], v[161:162]
	ds_read_b128 v[5:8], v179 offset:1680
	s_waitcnt vmcnt(53)
	v_fma_f64 v[141:142], v[1:2], v[151:152], -v[141:142]
	v_fma_f64 v[151:152], v[3:4], v[151:152], v[182:183]
	ds_read_b128 v[1:4], v179 offset:1696
	v_add_f64 v[131:132], v[131:132], v[155:156]
	v_add_f64 v[133:134], v[133:134], v[135:136]
	s_waitcnt vmcnt(49) lgkmcnt(1)
	v_mul_f64 v[135:136], v[5:6], v[147:148]
	v_mul_f64 v[147:148], v[7:8], v[147:148]
	s_waitcnt vmcnt(48)
	v_fma_f64 v[155:156], v[127:128], v[163:164], -v[161:162]
	v_add_f64 v[131:132], v[131:132], v[141:142]
	v_fma_f64 v[141:142], v[129:130], v[163:164], v[188:189]
	v_add_f64 v[133:134], v[133:134], v[151:152]
	s_clause 0x3
	buffer_load_dword v151, off, s[0:3], 0 offset:304
	buffer_load_dword v152, off, s[0:3], 0 offset:308
	buffer_load_dword v161, off, s[0:3], 0 offset:312
	buffer_load_dword v162, off, s[0:3], 0 offset:316
	ds_read_b128 v[127:130], v179 offset:1712
	s_waitcnt vmcnt(51) lgkmcnt(1)
	v_mul_f64 v[163:164], v[1:2], v[169:170]
	v_mul_f64 v[169:170], v[3:4], v[169:170]
	s_waitcnt vmcnt(49)
	v_fma_f64 v[147:148], v[5:6], v[149:150], -v[147:148]
	v_fma_f64 v[135:136], v[7:8], v[149:150], v[135:136]
	ds_read_b128 v[5:8], v179 offset:1728
	v_add_f64 v[131:132], v[131:132], v[155:156]
	v_add_f64 v[133:134], v[133:134], v[141:142]
	s_waitcnt vmcnt(45) lgkmcnt(1)
	v_mul_f64 v[141:142], v[127:128], v[153:154]
	v_mul_f64 v[149:150], v[129:130], v[153:154]
	s_waitcnt vmcnt(44)
	v_fma_f64 v[153:154], v[1:2], v[171:172], -v[169:170]
	v_add_f64 v[131:132], v[131:132], v[147:148]
	v_fma_f64 v[147:148], v[3:4], v[171:172], v[163:164]
	v_add_f64 v[133:134], v[133:134], v[135:136]
	ds_read_b128 v[1:4], v179 offset:1744
	s_waitcnt vmcnt(43) lgkmcnt(1)
	v_mul_f64 v[155:156], v[7:8], v[175:176]
	v_mul_f64 v[135:136], v[5:6], v[175:176]
	s_waitcnt vmcnt(41)
	v_fma_f64 v[149:150], v[127:128], v[157:158], -v[149:150]
	v_fma_f64 v[141:142], v[129:130], v[157:158], v[141:142]
	ds_read_b128 v[127:130], v179 offset:1760
	v_add_f64 v[131:132], v[131:132], v[153:154]
	v_add_f64 v[133:134], v[133:134], v[147:148]
	s_waitcnt vmcnt(37) lgkmcnt(1)
	v_mul_f64 v[153:154], v[3:4], v[159:160]
	s_waitcnt vmcnt(36)
	v_fma_f64 v[155:156], v[5:6], v[177:178], -v[155:156]
	v_mul_f64 v[147:148], v[1:2], v[159:160]
	v_fma_f64 v[135:136], v[7:8], v[177:178], v[135:136]
	ds_read_b128 v[5:8], v179 offset:1776
	v_add_f64 v[131:132], v[131:132], v[149:150]
	v_add_f64 v[133:134], v[133:134], v[141:142]
	s_waitcnt vmcnt(35) lgkmcnt(1)
	v_mul_f64 v[149:150], v[129:130], v[198:199]
	v_mul_f64 v[141:142], v[127:128], v[198:199]
	s_waitcnt vmcnt(33)
	v_fma_f64 v[153:154], v[1:2], v[165:166], -v[153:154]
	v_fma_f64 v[147:148], v[3:4], v[165:166], v[147:148]
	ds_read_b128 v[1:4], v179 offset:1792
	v_add_f64 v[131:132], v[131:132], v[155:156]
	v_add_f64 v[133:134], v[133:134], v[135:136]
	s_waitcnt vmcnt(29) lgkmcnt(1)
	v_mul_f64 v[155:156], v[7:8], v[167:168]
	s_waitcnt vmcnt(28)
	v_fma_f64 v[149:150], v[127:128], v[202:203], -v[149:150]
	v_mul_f64 v[135:136], v[5:6], v[167:168]
	v_fma_f64 v[141:142], v[129:130], v[202:203], v[141:142]
	ds_read_b128 v[127:130], v179 offset:1808
	v_add_f64 v[131:132], v[131:132], v[153:154]
	v_add_f64 v[133:134], v[133:134], v[147:148]
	;; [unrolled: 18-line block ×3, first 2 shown]
	s_waitcnt vmcnt(19) lgkmcnt(1)
	v_mul_f64 v[155:156], v[7:8], v[200:201]
	v_mul_f64 v[135:136], v[5:6], v[200:201]
	s_waitcnt vmcnt(17)
	v_fma_f64 v[149:150], v[127:128], v[137:138], -v[149:150]
	v_fma_f64 v[137:138], v[129:130], v[137:138], v[141:142]
	ds_read_b128 v[127:130], v179 offset:1856
	v_add_f64 v[131:132], v[131:132], v[153:154]
	v_add_f64 v[133:134], v[133:134], v[147:148]
	s_waitcnt vmcnt(13) lgkmcnt(1)
	v_mul_f64 v[141:142], v[1:2], v[143:144]
	v_mul_f64 v[143:144], v[3:4], v[143:144]
	s_waitcnt vmcnt(12)
	v_fma_f64 v[147:148], v[5:6], v[204:205], -v[155:156]
	v_fma_f64 v[135:136], v[7:8], v[204:205], v[135:136]
	ds_read_b128 v[5:8], v179 offset:1872
	v_add_f64 v[131:132], v[131:132], v[149:150]
	v_add_f64 v[133:134], v[133:134], v[137:138]
	s_waitcnt vmcnt(11) lgkmcnt(1)
	v_mul_f64 v[149:150], v[129:130], v[192:193]
	v_mul_f64 v[137:138], v[127:128], v[192:193]
	s_waitcnt vmcnt(9)
	v_fma_f64 v[1:2], v[1:2], v[139:140], -v[143:144]
	v_fma_f64 v[3:4], v[3:4], v[139:140], v[141:142]
	v_add_f64 v[131:132], v[131:132], v[147:148]
	v_add_f64 v[133:134], v[133:134], v[135:136]
	s_waitcnt vmcnt(7) lgkmcnt(0)
	v_mul_f64 v[139:140], v[7:8], v[180:181]
	s_waitcnt vmcnt(6)
	v_fma_f64 v[127:128], v[127:128], v[209:210], -v[149:150]
	v_mul_f64 v[135:136], v[5:6], v[180:181]
	v_fma_f64 v[129:130], v[129:130], v[209:210], v[137:138]
	v_add_f64 v[1:2], v[131:132], v[1:2]
	v_add_f64 v[3:4], v[133:134], v[3:4]
	s_waitcnt vmcnt(4)
	v_fma_f64 v[5:6], v[5:6], v[145:146], -v[139:140]
	v_fma_f64 v[7:8], v[7:8], v[145:146], v[135:136]
	v_add_f64 v[1:2], v[1:2], v[127:128]
	v_add_f64 v[3:4], v[3:4], v[129:130]
	;; [unrolled: 1-line block ×4, first 2 shown]
	s_waitcnt vmcnt(2)
	v_add_f64 v[1:2], v[151:152], -v[1:2]
	s_waitcnt vmcnt(0)
	v_add_f64 v[3:4], v[161:162], -v[3:4]
	buffer_store_dword v2, off, s[0:3], 0 offset:308
	buffer_store_dword v1, off, s[0:3], 0 offset:304
	;; [unrolled: 1-line block ×4, first 2 shown]
	v_cmpx_lt_u32_e32 17, v0
	s_cbranch_execz .LBB122_333
; %bb.332:
	v_mov_b32_e32 v4, s54
	v_mov_b32_e32 v5, 0
	s_clause 0x3
	buffer_load_dword v1, v4, s[0:3], 0 offen
	buffer_load_dword v2, v4, s[0:3], 0 offen offset:4
	buffer_load_dword v3, v4, s[0:3], 0 offen offset:8
	;; [unrolled: 1-line block ×3, first 2 shown]
	buffer_store_dword v5, off, s[0:3], 0 offset:288
	buffer_store_dword v5, off, s[0:3], 0 offset:292
	;; [unrolled: 1-line block ×4, first 2 shown]
	s_waitcnt vmcnt(0)
	ds_write_b128 v187, v[1:4]
.LBB122_333:
	s_or_b32 exec_lo, exec_lo, s4
	s_waitcnt lgkmcnt(0)
	s_waitcnt_vscnt null, 0x0
	s_barrier
	buffer_gl0_inv
	s_clause 0x37
	buffer_load_dword v127, off, s[0:3], 0 offset:312
	buffer_load_dword v128, off, s[0:3], 0 offset:316
	;; [unrolled: 1-line block ×56, first 2 shown]
	v_mov_b32_e32 v179, 0
	s_mov_b32 s4, exec_lo
	ds_read_b128 v[180:183], v179 offset:1232
	s_clause 0x2
	buffer_load_dword v176, off, s[0:3], 0 offset:540
	buffer_load_dword v178, off, s[0:3], 0 offset:516
	;; [unrolled: 1-line block ×3, first 2 shown]
	ds_read_b128 v[188:191], v179 offset:1248
	s_clause 0x4
	buffer_load_dword v197, off, s[0:3], 0 offset:556
	buffer_load_dword v198, off, s[0:3], 0 offset:568
	;; [unrolled: 1-line block ×5, first 2 shown]
	ds_read_b128 v[192:195], v179 offset:1264
	s_clause 0x2
	buffer_load_dword v199, off, s[0:3], 0 offset:572
	buffer_load_dword v204, off, s[0:3], 0 offset:548
	;; [unrolled: 1-line block ×3, first 2 shown]
	s_waitcnt vmcnt(62) lgkmcnt(2)
	v_mul_f64 v[184:185], v[182:183], v[127:128]
	v_mul_f64 v[127:128], v[180:181], v[127:128]
	s_waitcnt lgkmcnt(1)
	v_mul_f64 v[201:202], v[190:191], v[5:6]
	s_waitcnt vmcnt(59) lgkmcnt(0)
	v_mul_f64 v[205:206], v[194:195], v[3:4]
	v_fma_f64 v[180:181], v[180:181], v[7:8], -v[184:185]
	v_mul_f64 v[184:185], v[188:189], v[5:6]
	v_fma_f64 v[127:128], v[182:183], v[7:8], v[127:128]
	s_waitcnt vmcnt(57)
	v_fma_f64 v[188:189], v[188:189], v[1:2], -v[201:202]
	ds_read_b128 v[5:8], v179 offset:1280
	v_mul_f64 v[182:183], v[192:193], v[3:4]
	s_waitcnt vmcnt(51)
	v_fma_f64 v[192:193], v[192:193], v[143:144], -v[205:206]
	v_add_f64 v[180:181], v[180:181], 0
	v_fma_f64 v[184:185], v[190:191], v[1:2], v[184:185]
	v_add_f64 v[127:128], v[127:128], 0
	s_clause 0x4
	buffer_load_dword v191, off, s[0:3], 0 offset:588
	buffer_load_dword v207, off, s[0:3], 0 offset:600
	;; [unrolled: 1-line block ×5, first 2 shown]
	s_waitcnt lgkmcnt(0)
	v_mul_f64 v[210:211], v[5:6], v[131:132]
	v_mul_f64 v[131:132], v[7:8], v[131:132]
	ds_read_b128 v[1:4], v179 offset:1296
	v_fma_f64 v[143:144], v[194:195], v[143:144], v[182:183]
	v_add_f64 v[188:189], v[180:181], v[188:189]
	v_add_f64 v[127:128], v[127:128], v[184:185]
	s_clause 0x2
	buffer_load_dword v208, off, s[0:3], 0 offset:604
	buffer_load_dword v185, off, s[0:3], 0 offset:580
	;; [unrolled: 1-line block ×3, first 2 shown]
	s_waitcnt vmcnt(58) lgkmcnt(0)
	v_mul_f64 v[194:195], v[1:2], v[135:136]
	v_mul_f64 v[135:136], v[3:4], v[135:136]
	s_waitcnt vmcnt(56)
	v_fma_f64 v[131:132], v[5:6], v[137:138], -v[131:132]
	ds_read_b128 v[180:183], v179 offset:1312
	v_fma_f64 v[137:138], v[7:8], v[137:138], v[210:211]
	v_add_f64 v[188:189], v[188:189], v[192:193]
	v_add_f64 v[127:128], v[127:128], v[143:144]
	s_clause 0x4
	buffer_load_dword v144, off, s[0:3], 0 offset:620
	buffer_load_dword v192, off, s[0:3], 0 offset:632
	;; [unrolled: 1-line block ×5, first 2 shown]
	ds_read_b128 v[5:8], v179 offset:1328
	s_waitcnt vmcnt(57) lgkmcnt(1)
	v_mul_f64 v[211:212], v[180:181], v[139:140]
	v_mul_f64 v[139:140], v[182:183], v[139:140]
	s_waitcnt vmcnt(56)
	v_fma_f64 v[135:136], v[1:2], v[129:130], -v[135:136]
	v_fma_f64 v[129:130], v[3:4], v[129:130], v[194:195]
	v_add_f64 v[131:132], v[188:189], v[131:132]
	v_add_f64 v[127:128], v[127:128], v[137:138]
	s_clause 0x2
	buffer_load_dword v193, off, s[0:3], 0 offset:636
	buffer_load_dword v138, off, s[0:3], 0 offset:612
	;; [unrolled: 1-line block ×3, first 2 shown]
	s_waitcnt vmcnt(58) lgkmcnt(0)
	v_mul_f64 v[188:189], v[5:6], v[145:146]
	v_mul_f64 v[145:146], v[7:8], v[145:146]
	s_waitcnt vmcnt(56)
	v_fma_f64 v[139:140], v[180:181], v[147:148], -v[139:140]
	ds_read_b128 v[1:4], v179 offset:1344
	v_add_f64 v[131:132], v[131:132], v[135:136]
	v_fma_f64 v[135:136], v[182:183], v[147:148], v[211:212]
	v_add_f64 v[147:148], v[127:128], v[129:130]
	s_clause 0x4
	buffer_load_dword v181, off, s[0:3], 0 offset:652
	buffer_load_dword v182, off, s[0:3], 0 offset:664
	;; [unrolled: 1-line block ×5, first 2 shown]
	ds_read_b128 v[127:130], v179 offset:1360
	s_waitcnt vmcnt(57) lgkmcnt(1)
	v_mul_f64 v[211:212], v[1:2], v[149:150]
	v_mul_f64 v[149:150], v[3:4], v[149:150]
	s_waitcnt vmcnt(56)
	v_fma_f64 v[145:146], v[5:6], v[133:134], -v[145:146]
	v_fma_f64 v[133:134], v[7:8], v[133:134], v[188:189]
	v_add_f64 v[131:132], v[131:132], v[139:140]
	s_clause 0x2
	buffer_load_dword v183, off, s[0:3], 0 offset:668
	buffer_load_dword v140, off, s[0:3], 0 offset:644
	buffer_load_dword v139, off, s[0:3], 0 offset:640
	v_add_f64 v[135:136], v[147:148], v[135:136]
	s_waitcnt vmcnt(58) lgkmcnt(0)
	v_mul_f64 v[147:148], v[127:128], v[153:154]
	v_mul_f64 v[153:154], v[129:130], v[153:154]
	ds_read_b128 v[5:8], v179 offset:1376
	s_waitcnt vmcnt(56)
	v_fma_f64 v[149:150], v[1:2], v[155:156], -v[149:150]
	v_add_f64 v[131:132], v[131:132], v[145:146]
	v_fma_f64 v[145:146], v[3:4], v[155:156], v[211:212]
	v_add_f64 v[133:134], v[135:136], v[133:134]
	s_clause 0x4
	buffer_load_dword v136, off, s[0:3], 0 offset:684
	buffer_load_dword v155, off, s[0:3], 0 offset:696
	buffer_load_dword v188, off, s[0:3], 0 offset:688
	buffer_load_dword v135, off, s[0:3], 0 offset:680
	buffer_load_dword v195, off, s[0:3], 0 offset:660
	s_waitcnt vmcnt(57) lgkmcnt(0)
	v_mul_f64 v[211:212], v[5:6], v[157:158]
	v_mul_f64 v[157:158], v[7:8], v[157:158]
	s_waitcnt vmcnt(56)
	v_fma_f64 v[153:154], v[127:128], v[141:142], -v[153:154]
	ds_read_b128 v[1:4], v179 offset:1392
	v_fma_f64 v[141:142], v[129:130], v[141:142], v[147:148]
	v_add_f64 v[131:132], v[131:132], v[149:150]
	v_add_f64 v[133:134], v[133:134], v[145:146]
	s_clause 0x2
	buffer_load_dword v156, off, s[0:3], 0 offset:700
	buffer_load_dword v146, off, s[0:3], 0 offset:676
	buffer_load_dword v145, off, s[0:3], 0 offset:672
	ds_read_b128 v[127:130], v179 offset:1408
	s_waitcnt vmcnt(58) lgkmcnt(1)
	v_mul_f64 v[149:150], v[3:4], v[161:162]
	s_waitcnt vmcnt(56)
	v_fma_f64 v[157:158], v[5:6], v[163:164], -v[157:158]
	v_mul_f64 v[147:148], v[1:2], v[161:162]
	v_add_f64 v[131:132], v[131:132], v[153:154]
	v_fma_f64 v[153:154], v[7:8], v[163:164], v[211:212]
	v_add_f64 v[133:134], v[133:134], v[141:142]
	s_clause 0x4
	buffer_load_dword v142, off, s[0:3], 0 offset:716
	buffer_load_dword v161, off, s[0:3], 0 offset:728
	;; [unrolled: 1-line block ×5, first 2 shown]
	s_waitcnt vmcnt(57) lgkmcnt(0)
	v_mul_f64 v[211:212], v[127:128], v[165:166]
	v_mul_f64 v[164:165], v[129:130], v[165:166]
	s_waitcnt vmcnt(56)
	v_fma_f64 v[149:150], v[1:2], v[151:152], -v[149:150]
	ds_read_b128 v[5:8], v179 offset:1424
	v_fma_f64 v[147:148], v[3:4], v[151:152], v[147:148]
	s_clause 0x2
	buffer_load_dword v162, off, s[0:3], 0 offset:732
	buffer_load_dword v152, off, s[0:3], 0 offset:708
	;; [unrolled: 1-line block ×3, first 2 shown]
	ds_read_b128 v[1:4], v179 offset:1440
	v_add_f64 v[131:132], v[131:132], v[157:158]
	v_add_f64 v[133:134], v[133:134], v[153:154]
	s_waitcnt vmcnt(58) lgkmcnt(1)
	v_mul_f64 v[157:158], v[7:8], v[169:170]
	s_waitcnt vmcnt(56)
	v_fma_f64 v[165:166], v[127:128], v[171:172], -v[164:165]
	v_mul_f64 v[153:154], v[5:6], v[169:170]
	v_add_f64 v[131:132], v[131:132], v[149:150]
	v_fma_f64 v[149:150], v[129:130], v[171:172], v[211:212]
	v_add_f64 v[133:134], v[133:134], v[147:148]
	s_clause 0x4
	buffer_load_dword v148, off, s[0:3], 0 offset:748
	buffer_load_dword v169, off, s[0:3], 0 offset:760
	;; [unrolled: 1-line block ×5, first 2 shown]
	s_waitcnt vmcnt(57) lgkmcnt(0)
	v_mul_f64 v[211:212], v[1:2], v[173:174]
	v_mul_f64 v[172:173], v[3:4], v[173:174]
	s_waitcnt vmcnt(56)
	v_fma_f64 v[157:158], v[5:6], v[159:160], -v[157:158]
	ds_read_b128 v[127:130], v179 offset:1456
	v_fma_f64 v[153:154], v[7:8], v[159:160], v[153:154]
	v_add_f64 v[131:132], v[131:132], v[165:166]
	v_add_f64 v[133:134], v[133:134], v[149:150]
	s_clause 0x2
	buffer_load_dword v170, off, s[0:3], 0 offset:764
	buffer_load_dword v150, off, s[0:3], 0 offset:740
	;; [unrolled: 1-line block ×3, first 2 shown]
	ds_read_b128 v[5:8], v179 offset:1472
	s_waitcnt vmcnt(58) lgkmcnt(1)
	v_mul_f64 v[165:166], v[129:130], v[175:176]
	s_waitcnt vmcnt(56)
	v_fma_f64 v[173:174], v[1:2], v[177:178], -v[172:173]
	v_mul_f64 v[159:160], v[127:128], v[175:176]
	v_add_f64 v[131:132], v[131:132], v[157:158]
	v_fma_f64 v[157:158], v[3:4], v[177:178], v[211:212]
	v_add_f64 v[133:134], v[133:134], v[153:154]
	s_clause 0x4
	buffer_load_dword v154, off, s[0:3], 0 offset:780
	buffer_load_dword v175, off, s[0:3], 0 offset:792
	;; [unrolled: 1-line block ×5, first 2 shown]
	s_waitcnt vmcnt(57) lgkmcnt(0)
	v_mul_f64 v[211:212], v[5:6], v[196:197]
	v_mul_f64 v[196:197], v[7:8], v[196:197]
	s_waitcnt vmcnt(56)
	v_fma_f64 v[165:166], v[127:128], v[167:168], -v[165:166]
	ds_read_b128 v[1:4], v179 offset:1488
	v_fma_f64 v[159:160], v[129:130], v[167:168], v[159:160]
	v_add_f64 v[131:132], v[131:132], v[173:174]
	v_add_f64 v[133:134], v[133:134], v[157:158]
	s_clause 0x2
	buffer_load_dword v176, off, s[0:3], 0 offset:796
	buffer_load_dword v158, off, s[0:3], 0 offset:772
	;; [unrolled: 1-line block ×3, first 2 shown]
	ds_read_b128 v[127:130], v179 offset:1504
	s_waitcnt vmcnt(58) lgkmcnt(1)
	v_mul_f64 v[173:174], v[3:4], v[198:199]
	s_waitcnt vmcnt(56)
	v_fma_f64 v[196:197], v[5:6], v[203:204], -v[196:197]
	v_mul_f64 v[167:168], v[1:2], v[198:199]
	v_add_f64 v[131:132], v[131:132], v[165:166]
	v_fma_f64 v[165:166], v[7:8], v[203:204], v[211:212]
	v_add_f64 v[133:134], v[133:134], v[159:160]
	s_clause 0x4
	buffer_load_dword v160, off, s[0:3], 0 offset:812
	buffer_load_dword v198, off, s[0:3], 0 offset:824
	;; [unrolled: 1-line block ×5, first 2 shown]
	ds_read_b128 v[5:8], v179 offset:1520
	s_waitcnt vmcnt(57) lgkmcnt(1)
	v_mul_f64 v[203:204], v[127:128], v[190:191]
	v_mul_f64 v[190:191], v[129:130], v[190:191]
	s_waitcnt vmcnt(56)
	v_fma_f64 v[173:174], v[1:2], v[200:201], -v[173:174]
	v_fma_f64 v[167:168], v[3:4], v[200:201], v[167:168]
	v_add_f64 v[131:132], v[131:132], v[196:197]
	v_add_f64 v[133:134], v[133:134], v[165:166]
	s_clause 0x2
	buffer_load_dword v199, off, s[0:3], 0 offset:828
	buffer_load_dword v166, off, s[0:3], 0 offset:804
	;; [unrolled: 1-line block ×3, first 2 shown]
	ds_read_b128 v[1:4], v179 offset:1536
	s_waitcnt vmcnt(58) lgkmcnt(1)
	v_mul_f64 v[200:201], v[7:8], v[207:208]
	v_mul_f64 v[196:197], v[5:6], v[207:208]
	s_waitcnt vmcnt(56)
	v_fma_f64 v[190:191], v[127:128], v[184:185], -v[190:191]
	v_add_f64 v[131:132], v[131:132], v[173:174]
	v_fma_f64 v[173:174], v[129:130], v[184:185], v[203:204]
	v_add_f64 v[133:134], v[133:134], v[167:168]
	s_clause 0x4
	buffer_load_dword v168, off, s[0:3], 0 offset:844
	buffer_load_dword v184, off, s[0:3], 0 offset:856
	buffer_load_dword v207, off, s[0:3], 0 offset:848
	buffer_load_dword v167, off, s[0:3], 0 offset:840
	buffer_load_dword v203, off, s[0:3], 0 offset:820
	ds_read_b128 v[127:130], v179 offset:1552
	s_waitcnt vmcnt(57) lgkmcnt(1)
	v_mul_f64 v[211:212], v[1:2], v[143:144]
	v_mul_f64 v[143:144], v[3:4], v[143:144]
	s_waitcnt vmcnt(56)
	v_fma_f64 v[200:201], v[5:6], v[209:210], -v[200:201]
	v_add_f64 v[131:132], v[131:132], v[190:191]
	v_fma_f64 v[190:191], v[7:8], v[209:210], v[196:197]
	v_add_f64 v[133:134], v[133:134], v[173:174]
	s_clause 0x2
	buffer_load_dword v185, off, s[0:3], 0 offset:860
	buffer_load_dword v174, off, s[0:3], 0 offset:836
	buffer_load_dword v173, off, s[0:3], 0 offset:832
	ds_read_b128 v[5:8], v179 offset:1568
	s_waitcnt vmcnt(58) lgkmcnt(1)
	v_mul_f64 v[196:197], v[127:128], v[192:193]
	v_mul_f64 v[192:193], v[129:130], v[192:193]
	s_waitcnt vmcnt(56)
	v_fma_f64 v[143:144], v[1:2], v[137:138], -v[143:144]
	v_fma_f64 v[137:138], v[3:4], v[137:138], v[211:212]
	v_add_f64 v[131:132], v[131:132], v[200:201]
	v_add_f64 v[133:134], v[133:134], v[190:191]
	s_clause 0x4
	buffer_load_dword v191, off, s[0:3], 0 offset:876
	buffer_load_dword v200, off, s[0:3], 0 offset:888
	buffer_load_dword v204, off, s[0:3], 0 offset:880
	buffer_load_dword v190, off, s[0:3], 0 offset:872
	buffer_load_dword v208, off, s[0:3], 0 offset:852
	ds_read_b128 v[1:4], v179 offset:1584
	s_waitcnt vmcnt(57) lgkmcnt(1)
	v_mul_f64 v[209:210], v[5:6], v[180:181]
	v_mul_f64 v[180:181], v[7:8], v[180:181]
	s_waitcnt vmcnt(56)
	v_fma_f64 v[192:193], v[127:128], v[205:206], -v[192:193]
	v_add_f64 v[131:132], v[131:132], v[143:144]
	v_fma_f64 v[143:144], v[129:130], v[205:206], v[196:197]
	v_add_f64 v[133:134], v[133:134], v[137:138]
	s_clause 0x2
	buffer_load_dword v201, off, s[0:3], 0 offset:892
	buffer_load_dword v138, off, s[0:3], 0 offset:868
	buffer_load_dword v137, off, s[0:3], 0 offset:864
	ds_read_b128 v[127:130], v179 offset:1600
	s_waitcnt vmcnt(58) lgkmcnt(1)
	v_mul_f64 v[196:197], v[1:2], v[182:183]
	v_mul_f64 v[182:183], v[3:4], v[182:183]
	s_waitcnt vmcnt(56)
	v_fma_f64 v[180:181], v[5:6], v[139:140], -v[180:181]
	v_fma_f64 v[139:140], v[7:8], v[139:140], v[209:210]
	v_add_f64 v[131:132], v[131:132], v[192:193]
	;; [unrolled: 28-line block ×3, first 2 shown]
	v_add_f64 v[133:134], v[133:134], v[180:181]
	s_clause 0x4
	buffer_load_dword v181, off, s[0:3], 0 offset:940
	buffer_load_dword v182, off, s[0:3], 0 offset:952
	;; [unrolled: 1-line block ×5, first 2 shown]
	ds_read_b128 v[127:130], v179 offset:1648
	s_waitcnt vmcnt(57) lgkmcnt(1)
	v_mul_f64 v[211:212], v[1:2], v[141:142]
	v_mul_f64 v[141:142], v[3:4], v[141:142]
	s_waitcnt vmcnt(56)
	v_fma_f64 v[155:156], v[5:6], v[188:189], -v[155:156]
	v_add_f64 v[131:132], v[131:132], v[135:136]
	v_fma_f64 v[135:136], v[7:8], v[188:189], v[194:195]
	v_add_f64 v[133:134], v[133:134], v[145:146]
	s_clause 0x2
	buffer_load_dword v183, off, s[0:3], 0 offset:956
	buffer_load_dword v146, off, s[0:3], 0 offset:932
	;; [unrolled: 1-line block ×3, first 2 shown]
	s_waitcnt vmcnt(58) lgkmcnt(0)
	v_mul_f64 v[188:189], v[127:128], v[161:162]
	v_mul_f64 v[161:162], v[129:130], v[161:162]
	ds_read_b128 v[5:8], v179 offset:1664
	buffer_load_dword v197, off, s[0:3], 0 offset:948
	s_waitcnt vmcnt(57)
	v_fma_f64 v[141:142], v[1:2], v[151:152], -v[141:142]
	v_fma_f64 v[151:152], v[3:4], v[151:152], v[211:212]
	ds_read_b128 v[1:4], v179 offset:1680
	v_add_f64 v[131:132], v[131:132], v[155:156]
	v_add_f64 v[133:134], v[133:134], v[135:136]
	s_waitcnt vmcnt(53) lgkmcnt(1)
	v_mul_f64 v[135:136], v[5:6], v[147:148]
	v_mul_f64 v[147:148], v[7:8], v[147:148]
	s_waitcnt vmcnt(52)
	v_fma_f64 v[155:156], v[127:128], v[163:164], -v[161:162]
	v_add_f64 v[131:132], v[131:132], v[141:142]
	v_fma_f64 v[141:142], v[129:130], v[163:164], v[188:189]
	v_add_f64 v[133:134], v[133:134], v[151:152]
	ds_read_b128 v[127:130], v179 offset:1696
	s_waitcnt vmcnt(51) lgkmcnt(1)
	v_mul_f64 v[161:162], v[3:4], v[169:170]
	v_mul_f64 v[151:152], v[1:2], v[169:170]
	s_waitcnt vmcnt(49)
	v_fma_f64 v[147:148], v[5:6], v[149:150], -v[147:148]
	v_fma_f64 v[135:136], v[7:8], v[149:150], v[135:136]
	v_add_f64 v[131:132], v[131:132], v[155:156]
	v_add_f64 v[133:134], v[133:134], v[141:142]
	s_clause 0x3
	buffer_load_dword v141, off, s[0:3], 0 offset:288
	buffer_load_dword v142, off, s[0:3], 0 offset:292
	;; [unrolled: 1-line block ×4, first 2 shown]
	ds_read_b128 v[5:8], v179 offset:1712
	s_waitcnt vmcnt(49) lgkmcnt(1)
	v_mul_f64 v[155:156], v[127:128], v[153:154]
	v_mul_f64 v[153:154], v[129:130], v[153:154]
	s_waitcnt vmcnt(48)
	v_fma_f64 v[161:162], v[1:2], v[171:172], -v[161:162]
	v_add_f64 v[131:132], v[131:132], v[147:148]
	v_fma_f64 v[147:148], v[3:4], v[171:172], v[151:152]
	v_add_f64 v[133:134], v[133:134], v[135:136]
	ds_read_b128 v[1:4], v179 offset:1728
	s_waitcnt vmcnt(47) lgkmcnt(1)
	v_mul_f64 v[151:152], v[7:8], v[175:176]
	v_mul_f64 v[135:136], v[5:6], v[175:176]
	s_waitcnt vmcnt(45)
	v_fma_f64 v[153:154], v[127:128], v[157:158], -v[153:154]
	v_fma_f64 v[155:156], v[129:130], v[157:158], v[155:156]
	ds_read_b128 v[127:130], v179 offset:1744
	v_add_f64 v[131:132], v[131:132], v[161:162]
	v_add_f64 v[133:134], v[133:134], v[147:148]
	s_waitcnt vmcnt(41) lgkmcnt(1)
	v_mul_f64 v[157:158], v[3:4], v[159:160]
	s_waitcnt vmcnt(40)
	v_fma_f64 v[151:152], v[5:6], v[177:178], -v[151:152]
	v_mul_f64 v[147:148], v[1:2], v[159:160]
	v_fma_f64 v[135:136], v[7:8], v[177:178], v[135:136]
	ds_read_b128 v[5:8], v179 offset:1760
	v_add_f64 v[131:132], v[131:132], v[153:154]
	v_add_f64 v[133:134], v[133:134], v[155:156]
	s_waitcnt vmcnt(39) lgkmcnt(1)
	v_mul_f64 v[155:156], v[129:130], v[198:199]
	v_mul_f64 v[153:154], v[127:128], v[198:199]
	s_waitcnt vmcnt(37)
	v_fma_f64 v[157:158], v[1:2], v[165:166], -v[157:158]
	v_fma_f64 v[147:148], v[3:4], v[165:166], v[147:148]
	ds_read_b128 v[1:4], v179 offset:1776
	v_add_f64 v[131:132], v[131:132], v[151:152]
	v_add_f64 v[133:134], v[133:134], v[135:136]
	s_waitcnt vmcnt(33) lgkmcnt(1)
	v_mul_f64 v[151:152], v[7:8], v[167:168]
	s_waitcnt vmcnt(32)
	v_fma_f64 v[155:156], v[127:128], v[202:203], -v[155:156]
	v_mul_f64 v[135:136], v[5:6], v[167:168]
	v_fma_f64 v[153:154], v[129:130], v[202:203], v[153:154]
	ds_read_b128 v[127:130], v179 offset:1792
	v_add_f64 v[131:132], v[131:132], v[157:158]
	v_add_f64 v[133:134], v[133:134], v[147:148]
	;; [unrolled: 18-line block ×3, first 2 shown]
	s_waitcnt vmcnt(23) lgkmcnt(1)
	v_mul_f64 v[151:152], v[7:8], v[200:201]
	v_mul_f64 v[135:136], v[5:6], v[200:201]
	s_waitcnt vmcnt(21)
	v_fma_f64 v[155:156], v[127:128], v[137:138], -v[155:156]
	v_fma_f64 v[137:138], v[129:130], v[137:138], v[153:154]
	ds_read_b128 v[127:130], v179 offset:1840
	v_add_f64 v[131:132], v[131:132], v[157:158]
	v_add_f64 v[133:134], v[133:134], v[147:148]
	s_waitcnt vmcnt(17) lgkmcnt(1)
	v_mul_f64 v[147:148], v[1:2], v[143:144]
	v_mul_f64 v[143:144], v[3:4], v[143:144]
	s_waitcnt vmcnt(16)
	v_fma_f64 v[151:152], v[5:6], v[204:205], -v[151:152]
	v_fma_f64 v[135:136], v[7:8], v[204:205], v[135:136]
	ds_read_b128 v[5:8], v179 offset:1856
	v_add_f64 v[131:132], v[131:132], v[155:156]
	v_add_f64 v[133:134], v[133:134], v[137:138]
	;; [unrolled: 9-line block ×3, first 2 shown]
	s_waitcnt vmcnt(9) lgkmcnt(1)
	v_mul_f64 v[147:148], v[7:8], v[180:181]
	s_waitcnt vmcnt(8)
	v_fma_f64 v[127:128], v[127:128], v[209:210], -v[153:154]
	v_mul_f64 v[135:136], v[5:6], v[180:181]
	v_fma_f64 v[129:130], v[129:130], v[209:210], v[137:138]
	v_add_f64 v[131:132], v[131:132], v[143:144]
	v_add_f64 v[133:134], v[133:134], v[139:140]
	s_waitcnt vmcnt(7) lgkmcnt(0)
	v_mul_f64 v[139:140], v[3:4], v[182:183]
	v_mul_f64 v[137:138], v[1:2], v[182:183]
	s_waitcnt vmcnt(5)
	v_fma_f64 v[5:6], v[5:6], v[145:146], -v[147:148]
	v_fma_f64 v[7:8], v[7:8], v[145:146], v[135:136]
	v_add_f64 v[127:128], v[131:132], v[127:128]
	v_add_f64 v[129:130], v[133:134], v[129:130]
	s_waitcnt vmcnt(4)
	v_fma_f64 v[1:2], v[1:2], v[196:197], -v[139:140]
	v_fma_f64 v[3:4], v[3:4], v[196:197], v[137:138]
	v_add_f64 v[5:6], v[127:128], v[5:6]
	v_add_f64 v[7:8], v[129:130], v[7:8]
	;; [unrolled: 1-line block ×4, first 2 shown]
	s_waitcnt vmcnt(2)
	v_add_f64 v[1:2], v[141:142], -v[1:2]
	s_waitcnt vmcnt(0)
	v_add_f64 v[3:4], v[149:150], -v[3:4]
	buffer_store_dword v2, off, s[0:3], 0 offset:292
	buffer_store_dword v1, off, s[0:3], 0 offset:288
	;; [unrolled: 1-line block ×4, first 2 shown]
	v_cmpx_lt_u32_e32 16, v0
	s_cbranch_execz .LBB122_335
; %bb.334:
	v_mov_b32_e32 v4, s55
	s_clause 0x3
	buffer_load_dword v1, v4, s[0:3], 0 offen
	buffer_load_dword v2, v4, s[0:3], 0 offen offset:4
	buffer_load_dword v3, v4, s[0:3], 0 offen offset:8
	;; [unrolled: 1-line block ×3, first 2 shown]
	buffer_store_dword v179, off, s[0:3], 0 offset:272
	buffer_store_dword v179, off, s[0:3], 0 offset:276
	;; [unrolled: 1-line block ×4, first 2 shown]
	s_waitcnt vmcnt(0)
	ds_write_b128 v187, v[1:4]
.LBB122_335:
	s_or_b32 exec_lo, exec_lo, s4
	s_waitcnt lgkmcnt(0)
	s_waitcnt_vscnt null, 0x0
	s_barrier
	buffer_gl0_inv
	s_clause 0x37
	buffer_load_dword v127, off, s[0:3], 0 offset:296
	buffer_load_dword v128, off, s[0:3], 0 offset:300
	;; [unrolled: 1-line block ×56, first 2 shown]
	ds_read_b128 v[180:183], v179 offset:1216
	s_clause 0x2
	buffer_load_dword v176, off, s[0:3], 0 offset:524
	buffer_load_dword v178, off, s[0:3], 0 offset:500
	;; [unrolled: 1-line block ×3, first 2 shown]
	ds_read_b128 v[188:191], v179 offset:1232
	s_clause 0x4
	buffer_load_dword v197, off, s[0:3], 0 offset:540
	buffer_load_dword v198, off, s[0:3], 0 offset:552
	;; [unrolled: 1-line block ×5, first 2 shown]
	ds_read_b128 v[192:195], v179 offset:1248
	s_clause 0x2
	buffer_load_dword v199, off, s[0:3], 0 offset:556
	buffer_load_dword v204, off, s[0:3], 0 offset:532
	;; [unrolled: 1-line block ×3, first 2 shown]
	s_mov_b32 s4, exec_lo
	s_waitcnt vmcnt(62) lgkmcnt(2)
	v_mul_f64 v[184:185], v[182:183], v[127:128]
	v_mul_f64 v[127:128], v[180:181], v[127:128]
	s_waitcnt lgkmcnt(1)
	v_mul_f64 v[201:202], v[190:191], v[5:6]
	s_waitcnt vmcnt(59) lgkmcnt(0)
	v_mul_f64 v[205:206], v[194:195], v[3:4]
	v_fma_f64 v[180:181], v[180:181], v[7:8], -v[184:185]
	v_mul_f64 v[184:185], v[188:189], v[5:6]
	v_fma_f64 v[127:128], v[182:183], v[7:8], v[127:128]
	s_waitcnt vmcnt(57)
	v_fma_f64 v[188:189], v[188:189], v[1:2], -v[201:202]
	ds_read_b128 v[5:8], v179 offset:1264
	v_mul_f64 v[182:183], v[192:193], v[3:4]
	s_waitcnt vmcnt(51)
	v_fma_f64 v[192:193], v[192:193], v[143:144], -v[205:206]
	v_add_f64 v[180:181], v[180:181], 0
	v_fma_f64 v[184:185], v[190:191], v[1:2], v[184:185]
	v_add_f64 v[127:128], v[127:128], 0
	s_clause 0x4
	buffer_load_dword v191, off, s[0:3], 0 offset:572
	buffer_load_dword v207, off, s[0:3], 0 offset:584
	;; [unrolled: 1-line block ×5, first 2 shown]
	s_waitcnt lgkmcnt(0)
	v_mul_f64 v[210:211], v[5:6], v[131:132]
	v_mul_f64 v[131:132], v[7:8], v[131:132]
	ds_read_b128 v[1:4], v179 offset:1280
	v_fma_f64 v[143:144], v[194:195], v[143:144], v[182:183]
	v_add_f64 v[188:189], v[180:181], v[188:189]
	v_add_f64 v[127:128], v[127:128], v[184:185]
	s_clause 0x2
	buffer_load_dword v208, off, s[0:3], 0 offset:588
	buffer_load_dword v185, off, s[0:3], 0 offset:564
	;; [unrolled: 1-line block ×3, first 2 shown]
	s_waitcnt vmcnt(58) lgkmcnt(0)
	v_mul_f64 v[194:195], v[1:2], v[135:136]
	v_mul_f64 v[135:136], v[3:4], v[135:136]
	s_waitcnt vmcnt(56)
	v_fma_f64 v[131:132], v[5:6], v[137:138], -v[131:132]
	ds_read_b128 v[180:183], v179 offset:1296
	v_fma_f64 v[137:138], v[7:8], v[137:138], v[210:211]
	v_add_f64 v[188:189], v[188:189], v[192:193]
	v_add_f64 v[127:128], v[127:128], v[143:144]
	s_clause 0x4
	buffer_load_dword v144, off, s[0:3], 0 offset:604
	buffer_load_dword v192, off, s[0:3], 0 offset:616
	;; [unrolled: 1-line block ×5, first 2 shown]
	ds_read_b128 v[5:8], v179 offset:1312
	s_waitcnt vmcnt(57) lgkmcnt(1)
	v_mul_f64 v[211:212], v[180:181], v[139:140]
	v_mul_f64 v[139:140], v[182:183], v[139:140]
	s_waitcnt vmcnt(56)
	v_fma_f64 v[135:136], v[1:2], v[129:130], -v[135:136]
	v_fma_f64 v[129:130], v[3:4], v[129:130], v[194:195]
	v_add_f64 v[131:132], v[188:189], v[131:132]
	v_add_f64 v[127:128], v[127:128], v[137:138]
	s_clause 0x2
	buffer_load_dword v193, off, s[0:3], 0 offset:620
	buffer_load_dword v138, off, s[0:3], 0 offset:596
	;; [unrolled: 1-line block ×3, first 2 shown]
	s_waitcnt vmcnt(58) lgkmcnt(0)
	v_mul_f64 v[188:189], v[5:6], v[145:146]
	v_mul_f64 v[145:146], v[7:8], v[145:146]
	s_waitcnt vmcnt(56)
	v_fma_f64 v[139:140], v[180:181], v[147:148], -v[139:140]
	ds_read_b128 v[1:4], v179 offset:1328
	v_add_f64 v[131:132], v[131:132], v[135:136]
	v_fma_f64 v[135:136], v[182:183], v[147:148], v[211:212]
	v_add_f64 v[147:148], v[127:128], v[129:130]
	s_clause 0x4
	buffer_load_dword v181, off, s[0:3], 0 offset:636
	buffer_load_dword v182, off, s[0:3], 0 offset:648
	;; [unrolled: 1-line block ×5, first 2 shown]
	ds_read_b128 v[127:130], v179 offset:1344
	s_waitcnt vmcnt(57) lgkmcnt(1)
	v_mul_f64 v[211:212], v[1:2], v[149:150]
	v_mul_f64 v[149:150], v[3:4], v[149:150]
	s_waitcnt vmcnt(56)
	v_fma_f64 v[145:146], v[5:6], v[133:134], -v[145:146]
	v_fma_f64 v[133:134], v[7:8], v[133:134], v[188:189]
	v_add_f64 v[131:132], v[131:132], v[139:140]
	s_clause 0x2
	buffer_load_dword v183, off, s[0:3], 0 offset:652
	buffer_load_dword v140, off, s[0:3], 0 offset:628
	;; [unrolled: 1-line block ×3, first 2 shown]
	v_add_f64 v[135:136], v[147:148], v[135:136]
	s_waitcnt vmcnt(58) lgkmcnt(0)
	v_mul_f64 v[147:148], v[127:128], v[153:154]
	v_mul_f64 v[153:154], v[129:130], v[153:154]
	ds_read_b128 v[5:8], v179 offset:1360
	s_waitcnt vmcnt(56)
	v_fma_f64 v[149:150], v[1:2], v[155:156], -v[149:150]
	v_add_f64 v[131:132], v[131:132], v[145:146]
	v_fma_f64 v[145:146], v[3:4], v[155:156], v[211:212]
	v_add_f64 v[133:134], v[135:136], v[133:134]
	s_clause 0x4
	buffer_load_dword v136, off, s[0:3], 0 offset:668
	buffer_load_dword v155, off, s[0:3], 0 offset:680
	;; [unrolled: 1-line block ×5, first 2 shown]
	s_waitcnt vmcnt(57) lgkmcnt(0)
	v_mul_f64 v[211:212], v[5:6], v[157:158]
	v_mul_f64 v[157:158], v[7:8], v[157:158]
	s_waitcnt vmcnt(56)
	v_fma_f64 v[153:154], v[127:128], v[141:142], -v[153:154]
	ds_read_b128 v[1:4], v179 offset:1376
	v_fma_f64 v[141:142], v[129:130], v[141:142], v[147:148]
	v_add_f64 v[131:132], v[131:132], v[149:150]
	v_add_f64 v[133:134], v[133:134], v[145:146]
	s_clause 0x2
	buffer_load_dword v156, off, s[0:3], 0 offset:684
	buffer_load_dword v146, off, s[0:3], 0 offset:660
	;; [unrolled: 1-line block ×3, first 2 shown]
	ds_read_b128 v[127:130], v179 offset:1392
	s_waitcnt vmcnt(58) lgkmcnt(1)
	v_mul_f64 v[149:150], v[3:4], v[161:162]
	s_waitcnt vmcnt(56)
	v_fma_f64 v[157:158], v[5:6], v[163:164], -v[157:158]
	v_mul_f64 v[147:148], v[1:2], v[161:162]
	v_add_f64 v[131:132], v[131:132], v[153:154]
	v_fma_f64 v[153:154], v[7:8], v[163:164], v[211:212]
	v_add_f64 v[133:134], v[133:134], v[141:142]
	s_clause 0x4
	buffer_load_dword v142, off, s[0:3], 0 offset:700
	buffer_load_dword v161, off, s[0:3], 0 offset:712
	;; [unrolled: 1-line block ×5, first 2 shown]
	s_waitcnt vmcnt(57) lgkmcnt(0)
	v_mul_f64 v[211:212], v[127:128], v[165:166]
	v_mul_f64 v[164:165], v[129:130], v[165:166]
	s_waitcnt vmcnt(56)
	v_fma_f64 v[149:150], v[1:2], v[151:152], -v[149:150]
	ds_read_b128 v[5:8], v179 offset:1408
	v_fma_f64 v[147:148], v[3:4], v[151:152], v[147:148]
	s_clause 0x2
	buffer_load_dword v162, off, s[0:3], 0 offset:716
	buffer_load_dword v152, off, s[0:3], 0 offset:692
	;; [unrolled: 1-line block ×3, first 2 shown]
	ds_read_b128 v[1:4], v179 offset:1424
	v_add_f64 v[131:132], v[131:132], v[157:158]
	v_add_f64 v[133:134], v[133:134], v[153:154]
	s_waitcnt vmcnt(58) lgkmcnt(1)
	v_mul_f64 v[157:158], v[7:8], v[169:170]
	s_waitcnt vmcnt(56)
	v_fma_f64 v[165:166], v[127:128], v[171:172], -v[164:165]
	v_mul_f64 v[153:154], v[5:6], v[169:170]
	v_add_f64 v[131:132], v[131:132], v[149:150]
	v_fma_f64 v[149:150], v[129:130], v[171:172], v[211:212]
	v_add_f64 v[133:134], v[133:134], v[147:148]
	s_clause 0x4
	buffer_load_dword v148, off, s[0:3], 0 offset:732
	buffer_load_dword v169, off, s[0:3], 0 offset:744
	;; [unrolled: 1-line block ×5, first 2 shown]
	s_waitcnt vmcnt(57) lgkmcnt(0)
	v_mul_f64 v[211:212], v[1:2], v[173:174]
	v_mul_f64 v[172:173], v[3:4], v[173:174]
	s_waitcnt vmcnt(56)
	v_fma_f64 v[157:158], v[5:6], v[159:160], -v[157:158]
	ds_read_b128 v[127:130], v179 offset:1440
	v_fma_f64 v[153:154], v[7:8], v[159:160], v[153:154]
	v_add_f64 v[131:132], v[131:132], v[165:166]
	v_add_f64 v[133:134], v[133:134], v[149:150]
	s_clause 0x2
	buffer_load_dword v170, off, s[0:3], 0 offset:748
	buffer_load_dword v150, off, s[0:3], 0 offset:724
	;; [unrolled: 1-line block ×3, first 2 shown]
	ds_read_b128 v[5:8], v179 offset:1456
	s_waitcnt vmcnt(58) lgkmcnt(1)
	v_mul_f64 v[165:166], v[129:130], v[175:176]
	s_waitcnt vmcnt(56)
	v_fma_f64 v[173:174], v[1:2], v[177:178], -v[172:173]
	v_mul_f64 v[159:160], v[127:128], v[175:176]
	v_add_f64 v[131:132], v[131:132], v[157:158]
	v_fma_f64 v[157:158], v[3:4], v[177:178], v[211:212]
	v_add_f64 v[133:134], v[133:134], v[153:154]
	s_clause 0x4
	buffer_load_dword v154, off, s[0:3], 0 offset:764
	buffer_load_dword v175, off, s[0:3], 0 offset:776
	;; [unrolled: 1-line block ×5, first 2 shown]
	s_waitcnt vmcnt(57) lgkmcnt(0)
	v_mul_f64 v[211:212], v[5:6], v[196:197]
	v_mul_f64 v[196:197], v[7:8], v[196:197]
	s_waitcnt vmcnt(56)
	v_fma_f64 v[165:166], v[127:128], v[167:168], -v[165:166]
	ds_read_b128 v[1:4], v179 offset:1472
	v_fma_f64 v[159:160], v[129:130], v[167:168], v[159:160]
	v_add_f64 v[131:132], v[131:132], v[173:174]
	v_add_f64 v[133:134], v[133:134], v[157:158]
	s_clause 0x2
	buffer_load_dword v176, off, s[0:3], 0 offset:780
	buffer_load_dword v158, off, s[0:3], 0 offset:756
	;; [unrolled: 1-line block ×3, first 2 shown]
	ds_read_b128 v[127:130], v179 offset:1488
	s_waitcnt vmcnt(58) lgkmcnt(1)
	v_mul_f64 v[173:174], v[3:4], v[198:199]
	s_waitcnt vmcnt(56)
	v_fma_f64 v[196:197], v[5:6], v[203:204], -v[196:197]
	v_mul_f64 v[167:168], v[1:2], v[198:199]
	v_add_f64 v[131:132], v[131:132], v[165:166]
	v_fma_f64 v[165:166], v[7:8], v[203:204], v[211:212]
	v_add_f64 v[133:134], v[133:134], v[159:160]
	s_clause 0x4
	buffer_load_dword v160, off, s[0:3], 0 offset:796
	buffer_load_dword v198, off, s[0:3], 0 offset:808
	;; [unrolled: 1-line block ×5, first 2 shown]
	ds_read_b128 v[5:8], v179 offset:1504
	s_waitcnt vmcnt(57) lgkmcnt(1)
	v_mul_f64 v[203:204], v[127:128], v[190:191]
	v_mul_f64 v[190:191], v[129:130], v[190:191]
	s_waitcnt vmcnt(56)
	v_fma_f64 v[173:174], v[1:2], v[200:201], -v[173:174]
	v_fma_f64 v[167:168], v[3:4], v[200:201], v[167:168]
	v_add_f64 v[131:132], v[131:132], v[196:197]
	v_add_f64 v[133:134], v[133:134], v[165:166]
	s_clause 0x2
	buffer_load_dword v199, off, s[0:3], 0 offset:812
	buffer_load_dword v166, off, s[0:3], 0 offset:788
	;; [unrolled: 1-line block ×3, first 2 shown]
	ds_read_b128 v[1:4], v179 offset:1520
	s_waitcnt vmcnt(58) lgkmcnt(1)
	v_mul_f64 v[200:201], v[7:8], v[207:208]
	v_mul_f64 v[196:197], v[5:6], v[207:208]
	s_waitcnt vmcnt(56)
	v_fma_f64 v[190:191], v[127:128], v[184:185], -v[190:191]
	v_add_f64 v[131:132], v[131:132], v[173:174]
	v_fma_f64 v[173:174], v[129:130], v[184:185], v[203:204]
	v_add_f64 v[133:134], v[133:134], v[167:168]
	s_clause 0x4
	buffer_load_dword v168, off, s[0:3], 0 offset:828
	buffer_load_dword v184, off, s[0:3], 0 offset:840
	buffer_load_dword v207, off, s[0:3], 0 offset:832
	buffer_load_dword v167, off, s[0:3], 0 offset:824
	buffer_load_dword v203, off, s[0:3], 0 offset:804
	ds_read_b128 v[127:130], v179 offset:1536
	s_waitcnt vmcnt(57) lgkmcnt(1)
	v_mul_f64 v[211:212], v[1:2], v[143:144]
	v_mul_f64 v[143:144], v[3:4], v[143:144]
	s_waitcnt vmcnt(56)
	v_fma_f64 v[200:201], v[5:6], v[209:210], -v[200:201]
	v_add_f64 v[131:132], v[131:132], v[190:191]
	v_fma_f64 v[190:191], v[7:8], v[209:210], v[196:197]
	v_add_f64 v[133:134], v[133:134], v[173:174]
	s_clause 0x2
	buffer_load_dword v185, off, s[0:3], 0 offset:844
	buffer_load_dword v174, off, s[0:3], 0 offset:820
	buffer_load_dword v173, off, s[0:3], 0 offset:816
	ds_read_b128 v[5:8], v179 offset:1552
	s_waitcnt vmcnt(58) lgkmcnt(1)
	v_mul_f64 v[196:197], v[127:128], v[192:193]
	v_mul_f64 v[192:193], v[129:130], v[192:193]
	s_waitcnt vmcnt(56)
	v_fma_f64 v[143:144], v[1:2], v[137:138], -v[143:144]
	v_fma_f64 v[137:138], v[3:4], v[137:138], v[211:212]
	v_add_f64 v[131:132], v[131:132], v[200:201]
	v_add_f64 v[133:134], v[133:134], v[190:191]
	s_clause 0x4
	buffer_load_dword v191, off, s[0:3], 0 offset:860
	buffer_load_dword v200, off, s[0:3], 0 offset:872
	buffer_load_dword v204, off, s[0:3], 0 offset:864
	buffer_load_dword v190, off, s[0:3], 0 offset:856
	buffer_load_dword v208, off, s[0:3], 0 offset:836
	ds_read_b128 v[1:4], v179 offset:1568
	s_waitcnt vmcnt(57) lgkmcnt(1)
	v_mul_f64 v[209:210], v[5:6], v[180:181]
	v_mul_f64 v[180:181], v[7:8], v[180:181]
	s_waitcnt vmcnt(56)
	v_fma_f64 v[192:193], v[127:128], v[205:206], -v[192:193]
	v_add_f64 v[131:132], v[131:132], v[143:144]
	v_fma_f64 v[143:144], v[129:130], v[205:206], v[196:197]
	v_add_f64 v[133:134], v[133:134], v[137:138]
	s_clause 0x2
	buffer_load_dword v201, off, s[0:3], 0 offset:876
	buffer_load_dword v138, off, s[0:3], 0 offset:852
	buffer_load_dword v137, off, s[0:3], 0 offset:848
	ds_read_b128 v[127:130], v179 offset:1584
	s_waitcnt vmcnt(58) lgkmcnt(1)
	v_mul_f64 v[196:197], v[1:2], v[182:183]
	v_mul_f64 v[182:183], v[3:4], v[182:183]
	s_waitcnt vmcnt(56)
	v_fma_f64 v[180:181], v[5:6], v[139:140], -v[180:181]
	v_fma_f64 v[139:140], v[7:8], v[139:140], v[209:210]
	v_add_f64 v[131:132], v[131:132], v[192:193]
	;; [unrolled: 28-line block ×3, first 2 shown]
	v_add_f64 v[133:134], v[133:134], v[180:181]
	s_clause 0x4
	buffer_load_dword v181, off, s[0:3], 0 offset:924
	buffer_load_dword v182, off, s[0:3], 0 offset:936
	;; [unrolled: 1-line block ×5, first 2 shown]
	ds_read_b128 v[127:130], v179 offset:1632
	s_waitcnt vmcnt(57) lgkmcnt(1)
	v_mul_f64 v[211:212], v[1:2], v[141:142]
	v_mul_f64 v[141:142], v[3:4], v[141:142]
	s_waitcnt vmcnt(56)
	v_fma_f64 v[155:156], v[5:6], v[188:189], -v[155:156]
	v_add_f64 v[131:132], v[131:132], v[135:136]
	v_fma_f64 v[135:136], v[7:8], v[188:189], v[194:195]
	v_add_f64 v[133:134], v[133:134], v[145:146]
	s_clause 0x2
	buffer_load_dword v183, off, s[0:3], 0 offset:940
	buffer_load_dword v146, off, s[0:3], 0 offset:916
	;; [unrolled: 1-line block ×3, first 2 shown]
	s_waitcnt vmcnt(58) lgkmcnt(0)
	v_mul_f64 v[188:189], v[127:128], v[161:162]
	v_mul_f64 v[161:162], v[129:130], v[161:162]
	ds_read_b128 v[5:8], v179 offset:1648
	s_waitcnt vmcnt(56)
	v_fma_f64 v[141:142], v[1:2], v[151:152], -v[141:142]
	v_fma_f64 v[151:152], v[3:4], v[151:152], v[211:212]
	v_add_f64 v[131:132], v[131:132], v[155:156]
	v_add_f64 v[133:134], v[133:134], v[135:136]
	s_clause 0x2
	buffer_load_dword v136, off, s[0:3], 0 offset:956
	buffer_load_dword v135, off, s[0:3], 0 offset:952
	;; [unrolled: 1-line block ×3, first 2 shown]
	ds_read_b128 v[1:4], v179 offset:1664
	s_waitcnt vmcnt(55) lgkmcnt(1)
	v_mul_f64 v[155:156], v[5:6], v[147:148]
	v_mul_f64 v[147:148], v[7:8], v[147:148]
	s_waitcnt vmcnt(54)
	v_fma_f64 v[161:162], v[127:128], v[163:164], -v[161:162]
	v_add_f64 v[131:132], v[131:132], v[141:142]
	v_fma_f64 v[141:142], v[129:130], v[163:164], v[188:189]
	v_add_f64 v[133:134], v[133:134], v[151:152]
	s_clause 0x1
	buffer_load_dword v152, off, s[0:3], 0 offset:948
	buffer_load_dword v151, off, s[0:3], 0 offset:944
	ds_read_b128 v[127:130], v179 offset:1680
	s_waitcnt vmcnt(55) lgkmcnt(1)
	v_mul_f64 v[163:164], v[1:2], v[169:170]
	v_mul_f64 v[169:170], v[3:4], v[169:170]
	s_waitcnt vmcnt(53)
	v_fma_f64 v[147:148], v[5:6], v[149:150], -v[147:148]
	v_fma_f64 v[149:150], v[7:8], v[149:150], v[155:156]
	ds_read_b128 v[5:8], v179 offset:1696
	v_add_f64 v[131:132], v[131:132], v[161:162]
	v_add_f64 v[133:134], v[133:134], v[141:142]
	s_waitcnt vmcnt(49) lgkmcnt(1)
	v_mul_f64 v[141:142], v[127:128], v[153:154]
	v_mul_f64 v[153:154], v[129:130], v[153:154]
	s_waitcnt vmcnt(48)
	v_fma_f64 v[155:156], v[1:2], v[171:172], -v[169:170]
	v_add_f64 v[131:132], v[131:132], v[147:148]
	v_fma_f64 v[147:148], v[3:4], v[171:172], v[163:164]
	v_add_f64 v[133:134], v[133:134], v[149:150]
	s_clause 0x3
	buffer_load_dword v149, off, s[0:3], 0 offset:272
	buffer_load_dword v150, off, s[0:3], 0 offset:276
	;; [unrolled: 1-line block ×4, first 2 shown]
	ds_read_b128 v[1:4], v179 offset:1712
	s_waitcnt vmcnt(51) lgkmcnt(1)
	v_mul_f64 v[169:170], v[7:8], v[175:176]
	v_mul_f64 v[163:164], v[5:6], v[175:176]
	s_waitcnt vmcnt(49)
	v_fma_f64 v[153:154], v[127:128], v[157:158], -v[153:154]
	v_fma_f64 v[141:142], v[129:130], v[157:158], v[141:142]
	ds_read_b128 v[127:130], v179 offset:1728
	v_add_f64 v[131:132], v[131:132], v[155:156]
	v_add_f64 v[133:134], v[133:134], v[147:148]
	s_waitcnt vmcnt(45) lgkmcnt(1)
	v_mul_f64 v[155:156], v[3:4], v[159:160]
	s_waitcnt vmcnt(44)
	v_fma_f64 v[157:158], v[5:6], v[177:178], -v[169:170]
	v_mul_f64 v[147:148], v[1:2], v[159:160]
	v_add_f64 v[131:132], v[131:132], v[153:154]
	v_fma_f64 v[153:154], v[7:8], v[177:178], v[163:164]
	v_add_f64 v[133:134], v[133:134], v[141:142]
	ds_read_b128 v[5:8], v179 offset:1744
	s_waitcnt vmcnt(43) lgkmcnt(1)
	v_mul_f64 v[159:160], v[129:130], v[198:199]
	v_mul_f64 v[141:142], v[127:128], v[198:199]
	s_waitcnt vmcnt(41)
	v_fma_f64 v[155:156], v[1:2], v[165:166], -v[155:156]
	v_fma_f64 v[147:148], v[3:4], v[165:166], v[147:148]
	ds_read_b128 v[1:4], v179 offset:1760
	v_add_f64 v[131:132], v[131:132], v[157:158]
	v_add_f64 v[133:134], v[133:134], v[153:154]
	s_waitcnt vmcnt(37) lgkmcnt(1)
	v_mul_f64 v[157:158], v[7:8], v[167:168]
	s_waitcnt vmcnt(36)
	v_fma_f64 v[159:160], v[127:128], v[202:203], -v[159:160]
	v_mul_f64 v[153:154], v[5:6], v[167:168]
	v_fma_f64 v[141:142], v[129:130], v[202:203], v[141:142]
	ds_read_b128 v[127:130], v179 offset:1776
	v_add_f64 v[131:132], v[131:132], v[155:156]
	v_add_f64 v[133:134], v[133:134], v[147:148]
	s_waitcnt vmcnt(35) lgkmcnt(1)
	v_mul_f64 v[155:156], v[3:4], v[184:185]
	v_mul_f64 v[147:148], v[1:2], v[184:185]
	s_waitcnt vmcnt(33)
	v_fma_f64 v[157:158], v[5:6], v[173:174], -v[157:158]
	v_fma_f64 v[153:154], v[7:8], v[173:174], v[153:154]
	ds_read_b128 v[5:8], v179 offset:1792
	v_add_f64 v[131:132], v[131:132], v[159:160]
	v_add_f64 v[133:134], v[133:134], v[141:142]
	s_waitcnt vmcnt(29) lgkmcnt(1)
	v_mul_f64 v[159:160], v[129:130], v[190:191]
	s_waitcnt vmcnt(28)
	v_fma_f64 v[155:156], v[1:2], v[207:208], -v[155:156]
	v_mul_f64 v[141:142], v[127:128], v[190:191]
	v_fma_f64 v[147:148], v[3:4], v[207:208], v[147:148]
	ds_read_b128 v[1:4], v179 offset:1808
	v_add_f64 v[131:132], v[131:132], v[157:158]
	v_add_f64 v[133:134], v[133:134], v[153:154]
	s_waitcnt vmcnt(27) lgkmcnt(1)
	v_mul_f64 v[157:158], v[7:8], v[200:201]
	v_mul_f64 v[153:154], v[5:6], v[200:201]
	s_waitcnt vmcnt(25)
	v_fma_f64 v[159:160], v[127:128], v[137:138], -v[159:160]
	v_fma_f64 v[137:138], v[129:130], v[137:138], v[141:142]
	ds_read_b128 v[127:130], v179 offset:1824
	v_add_f64 v[131:132], v[131:132], v[155:156]
	v_add_f64 v[133:134], v[133:134], v[147:148]
	s_waitcnt vmcnt(21) lgkmcnt(1)
	v_mul_f64 v[141:142], v[1:2], v[143:144]
	v_mul_f64 v[143:144], v[3:4], v[143:144]
	s_waitcnt vmcnt(20)
	v_fma_f64 v[147:148], v[5:6], v[204:205], -v[157:158]
	;; [unrolled: 9-line block ×3, first 2 shown]
	v_fma_f64 v[139:140], v[3:4], v[139:140], v[141:142]
	ds_read_b128 v[1:4], v179 offset:1856
	v_add_f64 v[131:132], v[131:132], v[147:148]
	v_add_f64 v[133:134], v[133:134], v[153:154]
	s_waitcnt vmcnt(13) lgkmcnt(1)
	v_mul_f64 v[147:148], v[7:8], v[180:181]
	s_waitcnt vmcnt(12)
	v_fma_f64 v[153:154], v[127:128], v[209:210], -v[155:156]
	v_mul_f64 v[141:142], v[5:6], v[180:181]
	v_fma_f64 v[137:138], v[129:130], v[209:210], v[137:138]
	ds_read_b128 v[127:130], v179 offset:1872
	v_add_f64 v[131:132], v[131:132], v[143:144]
	v_add_f64 v[133:134], v[133:134], v[139:140]
	s_waitcnt vmcnt(11) lgkmcnt(1)
	v_mul_f64 v[143:144], v[3:4], v[182:183]
	v_mul_f64 v[139:140], v[1:2], v[182:183]
	s_waitcnt vmcnt(9)
	v_fma_f64 v[5:6], v[5:6], v[145:146], -v[147:148]
	v_fma_f64 v[7:8], v[7:8], v[145:146], v[141:142]
	v_add_f64 v[131:132], v[131:132], v[153:154]
	v_add_f64 v[133:134], v[133:134], v[137:138]
	s_waitcnt vmcnt(7) lgkmcnt(0)
	v_mul_f64 v[137:138], v[127:128], v[135:136]
	v_mul_f64 v[135:136], v[129:130], v[135:136]
	s_waitcnt vmcnt(6)
	v_fma_f64 v[1:2], v[1:2], v[196:197], -v[143:144]
	v_fma_f64 v[3:4], v[3:4], v[196:197], v[139:140]
	v_add_f64 v[5:6], v[131:132], v[5:6]
	v_add_f64 v[7:8], v[133:134], v[7:8]
	s_waitcnt vmcnt(4)
	v_fma_f64 v[127:128], v[127:128], v[151:152], -v[135:136]
	v_add_f64 v[1:2], v[5:6], v[1:2]
	v_fma_f64 v[5:6], v[129:130], v[151:152], v[137:138]
	v_add_f64 v[3:4], v[7:8], v[3:4]
	v_add_f64 v[1:2], v[1:2], v[127:128]
	;; [unrolled: 1-line block ×3, first 2 shown]
	s_waitcnt vmcnt(2)
	v_add_f64 v[1:2], v[149:150], -v[1:2]
	s_waitcnt vmcnt(0)
	v_add_f64 v[3:4], v[161:162], -v[3:4]
	buffer_store_dword v2, off, s[0:3], 0 offset:276
	buffer_store_dword v1, off, s[0:3], 0 offset:272
	;; [unrolled: 1-line block ×4, first 2 shown]
	v_cmpx_lt_u32_e32 15, v0
	s_cbranch_execz .LBB122_337
; %bb.336:
	v_mov_b32_e32 v4, s56
	v_mov_b32_e32 v5, 0
	s_clause 0x3
	buffer_load_dword v1, v4, s[0:3], 0 offen
	buffer_load_dword v2, v4, s[0:3], 0 offen offset:4
	buffer_load_dword v3, v4, s[0:3], 0 offen offset:8
	;; [unrolled: 1-line block ×3, first 2 shown]
	buffer_store_dword v5, off, s[0:3], 0 offset:256
	buffer_store_dword v5, off, s[0:3], 0 offset:260
	;; [unrolled: 1-line block ×4, first 2 shown]
	s_waitcnt vmcnt(0)
	ds_write_b128 v187, v[1:4]
.LBB122_337:
	s_or_b32 exec_lo, exec_lo, s4
	s_waitcnt lgkmcnt(0)
	s_waitcnt_vscnt null, 0x0
	s_barrier
	buffer_gl0_inv
	s_clause 0x37
	buffer_load_dword v127, off, s[0:3], 0 offset:280
	buffer_load_dword v128, off, s[0:3], 0 offset:284
	;; [unrolled: 1-line block ×56, first 2 shown]
	v_mov_b32_e32 v179, 0
	s_mov_b32 s4, exec_lo
	ds_read_b128 v[180:183], v179 offset:1200
	s_clause 0x2
	buffer_load_dword v176, off, s[0:3], 0 offset:508
	buffer_load_dword v178, off, s[0:3], 0 offset:484
	;; [unrolled: 1-line block ×3, first 2 shown]
	ds_read_b128 v[188:191], v179 offset:1216
	s_clause 0x4
	buffer_load_dword v197, off, s[0:3], 0 offset:524
	buffer_load_dword v198, off, s[0:3], 0 offset:536
	;; [unrolled: 1-line block ×5, first 2 shown]
	ds_read_b128 v[192:195], v179 offset:1232
	s_clause 0x2
	buffer_load_dword v199, off, s[0:3], 0 offset:540
	buffer_load_dword v204, off, s[0:3], 0 offset:516
	;; [unrolled: 1-line block ×3, first 2 shown]
	s_waitcnt vmcnt(62) lgkmcnt(2)
	v_mul_f64 v[184:185], v[182:183], v[127:128]
	v_mul_f64 v[127:128], v[180:181], v[127:128]
	s_waitcnt lgkmcnt(1)
	v_mul_f64 v[201:202], v[190:191], v[5:6]
	s_waitcnt vmcnt(59) lgkmcnt(0)
	v_mul_f64 v[205:206], v[194:195], v[3:4]
	v_fma_f64 v[180:181], v[180:181], v[7:8], -v[184:185]
	v_mul_f64 v[184:185], v[188:189], v[5:6]
	v_fma_f64 v[127:128], v[182:183], v[7:8], v[127:128]
	s_waitcnt vmcnt(57)
	v_fma_f64 v[188:189], v[188:189], v[1:2], -v[201:202]
	ds_read_b128 v[5:8], v179 offset:1248
	v_mul_f64 v[182:183], v[192:193], v[3:4]
	s_waitcnt vmcnt(51)
	v_fma_f64 v[192:193], v[192:193], v[143:144], -v[205:206]
	v_add_f64 v[180:181], v[180:181], 0
	v_fma_f64 v[184:185], v[190:191], v[1:2], v[184:185]
	v_add_f64 v[127:128], v[127:128], 0
	s_clause 0x4
	buffer_load_dword v191, off, s[0:3], 0 offset:556
	buffer_load_dword v207, off, s[0:3], 0 offset:568
	;; [unrolled: 1-line block ×5, first 2 shown]
	s_waitcnt lgkmcnt(0)
	v_mul_f64 v[210:211], v[5:6], v[131:132]
	v_mul_f64 v[131:132], v[7:8], v[131:132]
	ds_read_b128 v[1:4], v179 offset:1264
	v_fma_f64 v[143:144], v[194:195], v[143:144], v[182:183]
	v_add_f64 v[188:189], v[180:181], v[188:189]
	v_add_f64 v[127:128], v[127:128], v[184:185]
	s_clause 0x2
	buffer_load_dword v208, off, s[0:3], 0 offset:572
	buffer_load_dword v185, off, s[0:3], 0 offset:548
	;; [unrolled: 1-line block ×3, first 2 shown]
	s_waitcnt vmcnt(58) lgkmcnt(0)
	v_mul_f64 v[194:195], v[1:2], v[135:136]
	v_mul_f64 v[135:136], v[3:4], v[135:136]
	s_waitcnt vmcnt(56)
	v_fma_f64 v[131:132], v[5:6], v[137:138], -v[131:132]
	ds_read_b128 v[180:183], v179 offset:1280
	v_fma_f64 v[137:138], v[7:8], v[137:138], v[210:211]
	v_add_f64 v[188:189], v[188:189], v[192:193]
	v_add_f64 v[127:128], v[127:128], v[143:144]
	s_clause 0x4
	buffer_load_dword v144, off, s[0:3], 0 offset:588
	buffer_load_dword v192, off, s[0:3], 0 offset:600
	;; [unrolled: 1-line block ×5, first 2 shown]
	ds_read_b128 v[5:8], v179 offset:1296
	s_waitcnt vmcnt(57) lgkmcnt(1)
	v_mul_f64 v[211:212], v[180:181], v[139:140]
	v_mul_f64 v[139:140], v[182:183], v[139:140]
	s_waitcnt vmcnt(56)
	v_fma_f64 v[135:136], v[1:2], v[129:130], -v[135:136]
	v_fma_f64 v[129:130], v[3:4], v[129:130], v[194:195]
	v_add_f64 v[131:132], v[188:189], v[131:132]
	v_add_f64 v[127:128], v[127:128], v[137:138]
	s_clause 0x2
	buffer_load_dword v193, off, s[0:3], 0 offset:604
	buffer_load_dword v138, off, s[0:3], 0 offset:580
	;; [unrolled: 1-line block ×3, first 2 shown]
	s_waitcnt vmcnt(58) lgkmcnt(0)
	v_mul_f64 v[188:189], v[5:6], v[145:146]
	v_mul_f64 v[145:146], v[7:8], v[145:146]
	s_waitcnt vmcnt(56)
	v_fma_f64 v[139:140], v[180:181], v[147:148], -v[139:140]
	ds_read_b128 v[1:4], v179 offset:1312
	v_add_f64 v[131:132], v[131:132], v[135:136]
	v_fma_f64 v[135:136], v[182:183], v[147:148], v[211:212]
	v_add_f64 v[147:148], v[127:128], v[129:130]
	s_clause 0x4
	buffer_load_dword v181, off, s[0:3], 0 offset:620
	buffer_load_dword v182, off, s[0:3], 0 offset:632
	;; [unrolled: 1-line block ×5, first 2 shown]
	ds_read_b128 v[127:130], v179 offset:1328
	s_waitcnt vmcnt(57) lgkmcnt(1)
	v_mul_f64 v[211:212], v[1:2], v[149:150]
	v_mul_f64 v[149:150], v[3:4], v[149:150]
	s_waitcnt vmcnt(56)
	v_fma_f64 v[145:146], v[5:6], v[133:134], -v[145:146]
	v_fma_f64 v[133:134], v[7:8], v[133:134], v[188:189]
	v_add_f64 v[131:132], v[131:132], v[139:140]
	s_clause 0x2
	buffer_load_dword v183, off, s[0:3], 0 offset:636
	buffer_load_dword v140, off, s[0:3], 0 offset:612
	buffer_load_dword v139, off, s[0:3], 0 offset:608
	v_add_f64 v[135:136], v[147:148], v[135:136]
	s_waitcnt vmcnt(58) lgkmcnt(0)
	v_mul_f64 v[147:148], v[127:128], v[153:154]
	v_mul_f64 v[153:154], v[129:130], v[153:154]
	ds_read_b128 v[5:8], v179 offset:1344
	s_waitcnt vmcnt(56)
	v_fma_f64 v[149:150], v[1:2], v[155:156], -v[149:150]
	v_add_f64 v[131:132], v[131:132], v[145:146]
	v_fma_f64 v[145:146], v[3:4], v[155:156], v[211:212]
	v_add_f64 v[133:134], v[135:136], v[133:134]
	s_clause 0x4
	buffer_load_dword v136, off, s[0:3], 0 offset:652
	buffer_load_dword v155, off, s[0:3], 0 offset:664
	;; [unrolled: 1-line block ×5, first 2 shown]
	s_waitcnt vmcnt(57) lgkmcnt(0)
	v_mul_f64 v[211:212], v[5:6], v[157:158]
	v_mul_f64 v[157:158], v[7:8], v[157:158]
	s_waitcnt vmcnt(56)
	v_fma_f64 v[153:154], v[127:128], v[141:142], -v[153:154]
	ds_read_b128 v[1:4], v179 offset:1360
	v_fma_f64 v[141:142], v[129:130], v[141:142], v[147:148]
	v_add_f64 v[131:132], v[131:132], v[149:150]
	v_add_f64 v[133:134], v[133:134], v[145:146]
	s_clause 0x2
	buffer_load_dword v156, off, s[0:3], 0 offset:668
	buffer_load_dword v146, off, s[0:3], 0 offset:644
	;; [unrolled: 1-line block ×3, first 2 shown]
	ds_read_b128 v[127:130], v179 offset:1376
	s_waitcnt vmcnt(58) lgkmcnt(1)
	v_mul_f64 v[149:150], v[3:4], v[161:162]
	s_waitcnt vmcnt(56)
	v_fma_f64 v[157:158], v[5:6], v[163:164], -v[157:158]
	v_mul_f64 v[147:148], v[1:2], v[161:162]
	v_add_f64 v[131:132], v[131:132], v[153:154]
	v_fma_f64 v[153:154], v[7:8], v[163:164], v[211:212]
	v_add_f64 v[133:134], v[133:134], v[141:142]
	s_clause 0x4
	buffer_load_dword v142, off, s[0:3], 0 offset:684
	buffer_load_dword v161, off, s[0:3], 0 offset:696
	;; [unrolled: 1-line block ×5, first 2 shown]
	s_waitcnt vmcnt(57) lgkmcnt(0)
	v_mul_f64 v[211:212], v[127:128], v[165:166]
	v_mul_f64 v[164:165], v[129:130], v[165:166]
	s_waitcnt vmcnt(56)
	v_fma_f64 v[149:150], v[1:2], v[151:152], -v[149:150]
	ds_read_b128 v[5:8], v179 offset:1392
	v_fma_f64 v[147:148], v[3:4], v[151:152], v[147:148]
	s_clause 0x2
	buffer_load_dword v162, off, s[0:3], 0 offset:700
	buffer_load_dword v152, off, s[0:3], 0 offset:676
	buffer_load_dword v151, off, s[0:3], 0 offset:672
	ds_read_b128 v[1:4], v179 offset:1408
	v_add_f64 v[131:132], v[131:132], v[157:158]
	v_add_f64 v[133:134], v[133:134], v[153:154]
	s_waitcnt vmcnt(58) lgkmcnt(1)
	v_mul_f64 v[157:158], v[7:8], v[169:170]
	s_waitcnt vmcnt(56)
	v_fma_f64 v[165:166], v[127:128], v[171:172], -v[164:165]
	v_mul_f64 v[153:154], v[5:6], v[169:170]
	v_add_f64 v[131:132], v[131:132], v[149:150]
	v_fma_f64 v[149:150], v[129:130], v[171:172], v[211:212]
	v_add_f64 v[133:134], v[133:134], v[147:148]
	s_clause 0x4
	buffer_load_dword v148, off, s[0:3], 0 offset:716
	buffer_load_dword v169, off, s[0:3], 0 offset:728
	;; [unrolled: 1-line block ×5, first 2 shown]
	s_waitcnt vmcnt(57) lgkmcnt(0)
	v_mul_f64 v[211:212], v[1:2], v[173:174]
	v_mul_f64 v[172:173], v[3:4], v[173:174]
	s_waitcnt vmcnt(56)
	v_fma_f64 v[157:158], v[5:6], v[159:160], -v[157:158]
	ds_read_b128 v[127:130], v179 offset:1424
	v_fma_f64 v[153:154], v[7:8], v[159:160], v[153:154]
	v_add_f64 v[131:132], v[131:132], v[165:166]
	v_add_f64 v[133:134], v[133:134], v[149:150]
	s_clause 0x2
	buffer_load_dword v170, off, s[0:3], 0 offset:732
	buffer_load_dword v150, off, s[0:3], 0 offset:708
	;; [unrolled: 1-line block ×3, first 2 shown]
	ds_read_b128 v[5:8], v179 offset:1440
	s_waitcnt vmcnt(58) lgkmcnt(1)
	v_mul_f64 v[165:166], v[129:130], v[175:176]
	s_waitcnt vmcnt(56)
	v_fma_f64 v[173:174], v[1:2], v[177:178], -v[172:173]
	v_mul_f64 v[159:160], v[127:128], v[175:176]
	v_add_f64 v[131:132], v[131:132], v[157:158]
	v_fma_f64 v[157:158], v[3:4], v[177:178], v[211:212]
	v_add_f64 v[133:134], v[133:134], v[153:154]
	s_clause 0x4
	buffer_load_dword v154, off, s[0:3], 0 offset:748
	buffer_load_dword v175, off, s[0:3], 0 offset:760
	;; [unrolled: 1-line block ×5, first 2 shown]
	s_waitcnt vmcnt(57) lgkmcnt(0)
	v_mul_f64 v[211:212], v[5:6], v[196:197]
	v_mul_f64 v[196:197], v[7:8], v[196:197]
	s_waitcnt vmcnt(56)
	v_fma_f64 v[165:166], v[127:128], v[167:168], -v[165:166]
	ds_read_b128 v[1:4], v179 offset:1456
	v_fma_f64 v[159:160], v[129:130], v[167:168], v[159:160]
	v_add_f64 v[131:132], v[131:132], v[173:174]
	v_add_f64 v[133:134], v[133:134], v[157:158]
	s_clause 0x2
	buffer_load_dword v176, off, s[0:3], 0 offset:764
	buffer_load_dword v158, off, s[0:3], 0 offset:740
	;; [unrolled: 1-line block ×3, first 2 shown]
	ds_read_b128 v[127:130], v179 offset:1472
	s_waitcnt vmcnt(58) lgkmcnt(1)
	v_mul_f64 v[173:174], v[3:4], v[198:199]
	s_waitcnt vmcnt(56)
	v_fma_f64 v[196:197], v[5:6], v[203:204], -v[196:197]
	v_mul_f64 v[167:168], v[1:2], v[198:199]
	v_add_f64 v[131:132], v[131:132], v[165:166]
	v_fma_f64 v[165:166], v[7:8], v[203:204], v[211:212]
	v_add_f64 v[133:134], v[133:134], v[159:160]
	s_clause 0x4
	buffer_load_dword v160, off, s[0:3], 0 offset:780
	buffer_load_dword v198, off, s[0:3], 0 offset:792
	;; [unrolled: 1-line block ×5, first 2 shown]
	ds_read_b128 v[5:8], v179 offset:1488
	s_waitcnt vmcnt(57) lgkmcnt(1)
	v_mul_f64 v[203:204], v[127:128], v[190:191]
	v_mul_f64 v[190:191], v[129:130], v[190:191]
	s_waitcnt vmcnt(56)
	v_fma_f64 v[173:174], v[1:2], v[200:201], -v[173:174]
	v_fma_f64 v[167:168], v[3:4], v[200:201], v[167:168]
	v_add_f64 v[131:132], v[131:132], v[196:197]
	v_add_f64 v[133:134], v[133:134], v[165:166]
	s_clause 0x2
	buffer_load_dword v199, off, s[0:3], 0 offset:796
	buffer_load_dword v166, off, s[0:3], 0 offset:772
	;; [unrolled: 1-line block ×3, first 2 shown]
	ds_read_b128 v[1:4], v179 offset:1504
	s_waitcnt vmcnt(58) lgkmcnt(1)
	v_mul_f64 v[200:201], v[7:8], v[207:208]
	v_mul_f64 v[196:197], v[5:6], v[207:208]
	s_waitcnt vmcnt(56)
	v_fma_f64 v[190:191], v[127:128], v[184:185], -v[190:191]
	v_add_f64 v[131:132], v[131:132], v[173:174]
	v_fma_f64 v[173:174], v[129:130], v[184:185], v[203:204]
	v_add_f64 v[133:134], v[133:134], v[167:168]
	s_clause 0x4
	buffer_load_dword v168, off, s[0:3], 0 offset:812
	buffer_load_dword v184, off, s[0:3], 0 offset:824
	buffer_load_dword v207, off, s[0:3], 0 offset:816
	buffer_load_dword v167, off, s[0:3], 0 offset:808
	buffer_load_dword v203, off, s[0:3], 0 offset:788
	ds_read_b128 v[127:130], v179 offset:1520
	s_waitcnt vmcnt(57) lgkmcnt(1)
	v_mul_f64 v[211:212], v[1:2], v[143:144]
	v_mul_f64 v[143:144], v[3:4], v[143:144]
	s_waitcnt vmcnt(56)
	v_fma_f64 v[200:201], v[5:6], v[209:210], -v[200:201]
	v_add_f64 v[131:132], v[131:132], v[190:191]
	v_fma_f64 v[190:191], v[7:8], v[209:210], v[196:197]
	v_add_f64 v[133:134], v[133:134], v[173:174]
	s_clause 0x2
	buffer_load_dword v185, off, s[0:3], 0 offset:828
	buffer_load_dword v174, off, s[0:3], 0 offset:804
	buffer_load_dword v173, off, s[0:3], 0 offset:800
	ds_read_b128 v[5:8], v179 offset:1536
	s_waitcnt vmcnt(58) lgkmcnt(1)
	v_mul_f64 v[196:197], v[127:128], v[192:193]
	v_mul_f64 v[192:193], v[129:130], v[192:193]
	s_waitcnt vmcnt(56)
	v_fma_f64 v[143:144], v[1:2], v[137:138], -v[143:144]
	v_fma_f64 v[137:138], v[3:4], v[137:138], v[211:212]
	v_add_f64 v[131:132], v[131:132], v[200:201]
	v_add_f64 v[133:134], v[133:134], v[190:191]
	s_clause 0x4
	buffer_load_dword v191, off, s[0:3], 0 offset:844
	buffer_load_dword v200, off, s[0:3], 0 offset:856
	buffer_load_dword v204, off, s[0:3], 0 offset:848
	buffer_load_dword v190, off, s[0:3], 0 offset:840
	buffer_load_dword v208, off, s[0:3], 0 offset:820
	ds_read_b128 v[1:4], v179 offset:1552
	s_waitcnt vmcnt(57) lgkmcnt(1)
	v_mul_f64 v[209:210], v[5:6], v[180:181]
	v_mul_f64 v[180:181], v[7:8], v[180:181]
	s_waitcnt vmcnt(56)
	v_fma_f64 v[192:193], v[127:128], v[205:206], -v[192:193]
	v_add_f64 v[131:132], v[131:132], v[143:144]
	v_fma_f64 v[143:144], v[129:130], v[205:206], v[196:197]
	v_add_f64 v[133:134], v[133:134], v[137:138]
	s_clause 0x2
	buffer_load_dword v201, off, s[0:3], 0 offset:860
	buffer_load_dword v138, off, s[0:3], 0 offset:836
	buffer_load_dword v137, off, s[0:3], 0 offset:832
	ds_read_b128 v[127:130], v179 offset:1568
	s_waitcnt vmcnt(58) lgkmcnt(1)
	v_mul_f64 v[196:197], v[1:2], v[182:183]
	v_mul_f64 v[182:183], v[3:4], v[182:183]
	s_waitcnt vmcnt(56)
	v_fma_f64 v[180:181], v[5:6], v[139:140], -v[180:181]
	v_fma_f64 v[139:140], v[7:8], v[139:140], v[209:210]
	v_add_f64 v[131:132], v[131:132], v[192:193]
	;; [unrolled: 28-line block ×3, first 2 shown]
	v_add_f64 v[133:134], v[133:134], v[180:181]
	s_clause 0x4
	buffer_load_dword v181, off, s[0:3], 0 offset:908
	buffer_load_dword v182, off, s[0:3], 0 offset:920
	;; [unrolled: 1-line block ×5, first 2 shown]
	ds_read_b128 v[127:130], v179 offset:1616
	s_waitcnt vmcnt(57) lgkmcnt(1)
	v_mul_f64 v[211:212], v[1:2], v[141:142]
	v_mul_f64 v[141:142], v[3:4], v[141:142]
	s_waitcnt vmcnt(56)
	v_fma_f64 v[155:156], v[5:6], v[188:189], -v[155:156]
	v_add_f64 v[131:132], v[131:132], v[135:136]
	v_fma_f64 v[135:136], v[7:8], v[188:189], v[194:195]
	v_add_f64 v[133:134], v[133:134], v[145:146]
	s_clause 0x2
	buffer_load_dword v183, off, s[0:3], 0 offset:924
	buffer_load_dword v146, off, s[0:3], 0 offset:900
	;; [unrolled: 1-line block ×3, first 2 shown]
	s_waitcnt vmcnt(58) lgkmcnt(0)
	v_mul_f64 v[188:189], v[127:128], v[161:162]
	v_mul_f64 v[161:162], v[129:130], v[161:162]
	ds_read_b128 v[5:8], v179 offset:1632
	s_waitcnt vmcnt(56)
	v_fma_f64 v[141:142], v[1:2], v[151:152], -v[141:142]
	v_fma_f64 v[151:152], v[3:4], v[151:152], v[211:212]
	v_add_f64 v[131:132], v[131:132], v[155:156]
	v_add_f64 v[133:134], v[133:134], v[135:136]
	s_clause 0x4
	buffer_load_dword v136, off, s[0:3], 0 offset:940
	buffer_load_dword v155, off, s[0:3], 0 offset:952
	buffer_load_dword v194, off, s[0:3], 0 offset:944
	buffer_load_dword v135, off, s[0:3], 0 offset:936
	buffer_load_dword v197, off, s[0:3], 0 offset:916
	ds_read_b128 v[1:4], v179 offset:1648
	s_waitcnt vmcnt(57) lgkmcnt(1)
	v_mul_f64 v[211:212], v[5:6], v[147:148]
	v_mul_f64 v[147:148], v[7:8], v[147:148]
	s_waitcnt vmcnt(56)
	v_fma_f64 v[161:162], v[127:128], v[163:164], -v[161:162]
	v_add_f64 v[131:132], v[131:132], v[141:142]
	v_fma_f64 v[141:142], v[129:130], v[163:164], v[188:189]
	v_add_f64 v[133:134], v[133:134], v[151:152]
	s_clause 0x2
	buffer_load_dword v156, off, s[0:3], 0 offset:956
	buffer_load_dword v152, off, s[0:3], 0 offset:932
	;; [unrolled: 1-line block ×3, first 2 shown]
	ds_read_b128 v[127:130], v179 offset:1664
	buffer_load_dword v195, off, s[0:3], 0 offset:948
	s_waitcnt vmcnt(59) lgkmcnt(1)
	v_mul_f64 v[163:164], v[1:2], v[169:170]
	v_mul_f64 v[169:170], v[3:4], v[169:170]
	s_waitcnt vmcnt(57)
	v_fma_f64 v[147:148], v[5:6], v[149:150], -v[147:148]
	v_fma_f64 v[149:150], v[7:8], v[149:150], v[211:212]
	ds_read_b128 v[5:8], v179 offset:1680
	v_add_f64 v[131:132], v[131:132], v[161:162]
	v_add_f64 v[133:134], v[133:134], v[141:142]
	s_waitcnt vmcnt(53) lgkmcnt(1)
	v_mul_f64 v[141:142], v[127:128], v[153:154]
	v_mul_f64 v[153:154], v[129:130], v[153:154]
	s_waitcnt vmcnt(52)
	v_fma_f64 v[161:162], v[1:2], v[171:172], -v[169:170]
	v_add_f64 v[131:132], v[131:132], v[147:148]
	v_fma_f64 v[147:148], v[3:4], v[171:172], v[163:164]
	v_add_f64 v[133:134], v[133:134], v[149:150]
	ds_read_b128 v[1:4], v179 offset:1696
	s_waitcnt vmcnt(51) lgkmcnt(1)
	v_mul_f64 v[163:164], v[7:8], v[175:176]
	v_mul_f64 v[149:150], v[5:6], v[175:176]
	s_waitcnt vmcnt(49)
	v_fma_f64 v[153:154], v[127:128], v[157:158], -v[153:154]
	v_fma_f64 v[141:142], v[129:130], v[157:158], v[141:142]
	v_add_f64 v[131:132], v[131:132], v[161:162]
	v_add_f64 v[133:134], v[133:134], v[147:148]
	s_clause 0x3
	buffer_load_dword v147, off, s[0:3], 0 offset:256
	buffer_load_dword v148, off, s[0:3], 0 offset:260
	;; [unrolled: 1-line block ×4, first 2 shown]
	ds_read_b128 v[127:130], v179 offset:1712
	s_waitcnt vmcnt(49) lgkmcnt(1)
	v_mul_f64 v[161:162], v[1:2], v[159:160]
	v_mul_f64 v[159:160], v[3:4], v[159:160]
	s_waitcnt vmcnt(48)
	v_fma_f64 v[163:164], v[5:6], v[177:178], -v[163:164]
	v_fma_f64 v[149:150], v[7:8], v[177:178], v[149:150]
	ds_read_b128 v[5:8], v179 offset:1728
	v_add_f64 v[131:132], v[131:132], v[153:154]
	v_add_f64 v[133:134], v[133:134], v[141:142]
	s_waitcnt vmcnt(47) lgkmcnt(1)
	v_mul_f64 v[153:154], v[129:130], v[198:199]
	v_mul_f64 v[141:142], v[127:128], v[198:199]
	s_waitcnt vmcnt(45)
	v_fma_f64 v[159:160], v[1:2], v[165:166], -v[159:160]
	v_fma_f64 v[161:162], v[3:4], v[165:166], v[161:162]
	ds_read_b128 v[1:4], v179 offset:1744
	v_add_f64 v[131:132], v[131:132], v[163:164]
	v_add_f64 v[133:134], v[133:134], v[149:150]
	s_waitcnt vmcnt(41) lgkmcnt(1)
	v_mul_f64 v[163:164], v[7:8], v[167:168]
	s_waitcnt vmcnt(40)
	v_fma_f64 v[153:154], v[127:128], v[202:203], -v[153:154]
	v_mul_f64 v[149:150], v[5:6], v[167:168]
	v_fma_f64 v[141:142], v[129:130], v[202:203], v[141:142]
	ds_read_b128 v[127:130], v179 offset:1760
	v_add_f64 v[131:132], v[131:132], v[159:160]
	v_add_f64 v[133:134], v[133:134], v[161:162]
	s_waitcnt vmcnt(39) lgkmcnt(1)
	v_mul_f64 v[161:162], v[3:4], v[184:185]
	v_mul_f64 v[159:160], v[1:2], v[184:185]
	s_waitcnt vmcnt(37)
	v_fma_f64 v[163:164], v[5:6], v[173:174], -v[163:164]
	v_fma_f64 v[149:150], v[7:8], v[173:174], v[149:150]
	ds_read_b128 v[5:8], v179 offset:1776
	v_add_f64 v[131:132], v[131:132], v[153:154]
	v_add_f64 v[133:134], v[133:134], v[141:142]
	s_waitcnt vmcnt(33) lgkmcnt(1)
	v_mul_f64 v[153:154], v[129:130], v[190:191]
	s_waitcnt vmcnt(32)
	v_fma_f64 v[161:162], v[1:2], v[207:208], -v[161:162]
	v_mul_f64 v[141:142], v[127:128], v[190:191]
	v_fma_f64 v[159:160], v[3:4], v[207:208], v[159:160]
	ds_read_b128 v[1:4], v179 offset:1792
	v_add_f64 v[131:132], v[131:132], v[163:164]
	v_add_f64 v[133:134], v[133:134], v[149:150]
	s_waitcnt vmcnt(31) lgkmcnt(1)
	v_mul_f64 v[163:164], v[7:8], v[200:201]
	v_mul_f64 v[149:150], v[5:6], v[200:201]
	s_waitcnt vmcnt(29)
	v_fma_f64 v[153:154], v[127:128], v[137:138], -v[153:154]
	v_fma_f64 v[137:138], v[129:130], v[137:138], v[141:142]
	ds_read_b128 v[127:130], v179 offset:1808
	v_add_f64 v[131:132], v[131:132], v[161:162]
	v_add_f64 v[133:134], v[133:134], v[159:160]
	s_waitcnt vmcnt(25) lgkmcnt(1)
	v_mul_f64 v[141:142], v[1:2], v[143:144]
	v_mul_f64 v[143:144], v[3:4], v[143:144]
	s_waitcnt vmcnt(24)
	v_fma_f64 v[159:160], v[5:6], v[204:205], -v[163:164]
	;; [unrolled: 9-line block ×3, first 2 shown]
	v_fma_f64 v[139:140], v[3:4], v[139:140], v[141:142]
	ds_read_b128 v[1:4], v179 offset:1840
	v_add_f64 v[131:132], v[131:132], v[159:160]
	v_add_f64 v[133:134], v[133:134], v[149:150]
	s_waitcnt vmcnt(17) lgkmcnt(1)
	v_mul_f64 v[149:150], v[7:8], v[180:181]
	s_waitcnt vmcnt(16)
	v_fma_f64 v[153:154], v[127:128], v[209:210], -v[153:154]
	v_mul_f64 v[141:142], v[5:6], v[180:181]
	v_fma_f64 v[137:138], v[129:130], v[209:210], v[137:138]
	ds_read_b128 v[127:130], v179 offset:1856
	v_add_f64 v[131:132], v[131:132], v[143:144]
	v_add_f64 v[133:134], v[133:134], v[139:140]
	s_waitcnt vmcnt(15) lgkmcnt(1)
	v_mul_f64 v[143:144], v[3:4], v[182:183]
	v_mul_f64 v[139:140], v[1:2], v[182:183]
	s_waitcnt vmcnt(13)
	v_fma_f64 v[149:150], v[5:6], v[145:146], -v[149:150]
	v_fma_f64 v[141:142], v[7:8], v[145:146], v[141:142]
	ds_read_b128 v[5:8], v179 offset:1872
	v_add_f64 v[131:132], v[131:132], v[153:154]
	v_add_f64 v[133:134], v[133:134], v[137:138]
	s_waitcnt vmcnt(9) lgkmcnt(1)
	v_mul_f64 v[137:138], v[127:128], v[135:136]
	v_mul_f64 v[135:136], v[129:130], v[135:136]
	s_waitcnt vmcnt(8)
	v_fma_f64 v[1:2], v[1:2], v[196:197], -v[143:144]
	v_fma_f64 v[3:4], v[3:4], v[196:197], v[139:140]
	v_add_f64 v[131:132], v[131:132], v[149:150]
	v_add_f64 v[133:134], v[133:134], v[141:142]
	s_waitcnt vmcnt(7) lgkmcnt(0)
	v_mul_f64 v[141:142], v[7:8], v[155:156]
	v_mul_f64 v[139:140], v[5:6], v[155:156]
	s_waitcnt vmcnt(5)
	v_fma_f64 v[127:128], v[127:128], v[151:152], -v[135:136]
	v_fma_f64 v[129:130], v[129:130], v[151:152], v[137:138]
	v_add_f64 v[1:2], v[131:132], v[1:2]
	v_add_f64 v[3:4], v[133:134], v[3:4]
	s_waitcnt vmcnt(4)
	v_fma_f64 v[5:6], v[5:6], v[194:195], -v[141:142]
	v_fma_f64 v[7:8], v[7:8], v[194:195], v[139:140]
	v_add_f64 v[1:2], v[1:2], v[127:128]
	v_add_f64 v[3:4], v[3:4], v[129:130]
	;; [unrolled: 1-line block ×4, first 2 shown]
	s_waitcnt vmcnt(2)
	v_add_f64 v[1:2], v[147:148], -v[1:2]
	s_waitcnt vmcnt(0)
	v_add_f64 v[3:4], v[157:158], -v[3:4]
	buffer_store_dword v2, off, s[0:3], 0 offset:260
	buffer_store_dword v1, off, s[0:3], 0 offset:256
	;; [unrolled: 1-line block ×4, first 2 shown]
	v_cmpx_lt_u32_e32 14, v0
	s_cbranch_execz .LBB122_339
; %bb.338:
	v_mov_b32_e32 v4, s57
	s_clause 0x3
	buffer_load_dword v1, v4, s[0:3], 0 offen
	buffer_load_dword v2, v4, s[0:3], 0 offen offset:4
	buffer_load_dword v3, v4, s[0:3], 0 offen offset:8
	buffer_load_dword v4, v4, s[0:3], 0 offen offset:12
	buffer_store_dword v179, off, s[0:3], 0 offset:240
	buffer_store_dword v179, off, s[0:3], 0 offset:244
	;; [unrolled: 1-line block ×4, first 2 shown]
	s_waitcnt vmcnt(0)
	ds_write_b128 v187, v[1:4]
.LBB122_339:
	s_or_b32 exec_lo, exec_lo, s4
	s_waitcnt lgkmcnt(0)
	s_waitcnt_vscnt null, 0x0
	s_barrier
	buffer_gl0_inv
	s_clause 0x37
	buffer_load_dword v127, off, s[0:3], 0 offset:264
	buffer_load_dword v128, off, s[0:3], 0 offset:268
	;; [unrolled: 1-line block ×56, first 2 shown]
	ds_read_b128 v[180:183], v179 offset:1184
	s_clause 0x2
	buffer_load_dword v176, off, s[0:3], 0 offset:492
	buffer_load_dword v178, off, s[0:3], 0 offset:468
	;; [unrolled: 1-line block ×3, first 2 shown]
	ds_read_b128 v[188:191], v179 offset:1200
	s_clause 0x4
	buffer_load_dword v197, off, s[0:3], 0 offset:508
	buffer_load_dword v198, off, s[0:3], 0 offset:520
	;; [unrolled: 1-line block ×5, first 2 shown]
	ds_read_b128 v[192:195], v179 offset:1216
	s_clause 0x2
	buffer_load_dword v199, off, s[0:3], 0 offset:524
	buffer_load_dword v204, off, s[0:3], 0 offset:500
	;; [unrolled: 1-line block ×3, first 2 shown]
	s_mov_b32 s4, exec_lo
	s_waitcnt vmcnt(62) lgkmcnt(2)
	v_mul_f64 v[184:185], v[182:183], v[127:128]
	v_mul_f64 v[127:128], v[180:181], v[127:128]
	s_waitcnt lgkmcnt(1)
	v_mul_f64 v[201:202], v[190:191], v[5:6]
	s_waitcnt vmcnt(59) lgkmcnt(0)
	v_mul_f64 v[205:206], v[194:195], v[3:4]
	v_fma_f64 v[180:181], v[180:181], v[7:8], -v[184:185]
	v_mul_f64 v[184:185], v[188:189], v[5:6]
	v_fma_f64 v[127:128], v[182:183], v[7:8], v[127:128]
	s_waitcnt vmcnt(57)
	v_fma_f64 v[188:189], v[188:189], v[1:2], -v[201:202]
	ds_read_b128 v[5:8], v179 offset:1232
	v_mul_f64 v[182:183], v[192:193], v[3:4]
	s_waitcnt vmcnt(51)
	v_fma_f64 v[192:193], v[192:193], v[143:144], -v[205:206]
	v_add_f64 v[180:181], v[180:181], 0
	v_fma_f64 v[184:185], v[190:191], v[1:2], v[184:185]
	v_add_f64 v[127:128], v[127:128], 0
	s_clause 0x4
	buffer_load_dword v191, off, s[0:3], 0 offset:540
	buffer_load_dword v207, off, s[0:3], 0 offset:552
	;; [unrolled: 1-line block ×5, first 2 shown]
	s_waitcnt lgkmcnt(0)
	v_mul_f64 v[210:211], v[5:6], v[131:132]
	v_mul_f64 v[131:132], v[7:8], v[131:132]
	ds_read_b128 v[1:4], v179 offset:1248
	v_fma_f64 v[143:144], v[194:195], v[143:144], v[182:183]
	v_add_f64 v[188:189], v[180:181], v[188:189]
	v_add_f64 v[127:128], v[127:128], v[184:185]
	s_clause 0x2
	buffer_load_dword v208, off, s[0:3], 0 offset:556
	buffer_load_dword v185, off, s[0:3], 0 offset:532
	;; [unrolled: 1-line block ×3, first 2 shown]
	s_waitcnt vmcnt(58) lgkmcnt(0)
	v_mul_f64 v[194:195], v[1:2], v[135:136]
	v_mul_f64 v[135:136], v[3:4], v[135:136]
	s_waitcnt vmcnt(56)
	v_fma_f64 v[131:132], v[5:6], v[137:138], -v[131:132]
	ds_read_b128 v[180:183], v179 offset:1264
	v_fma_f64 v[137:138], v[7:8], v[137:138], v[210:211]
	v_add_f64 v[188:189], v[188:189], v[192:193]
	v_add_f64 v[127:128], v[127:128], v[143:144]
	s_clause 0x4
	buffer_load_dword v144, off, s[0:3], 0 offset:572
	buffer_load_dword v192, off, s[0:3], 0 offset:584
	;; [unrolled: 1-line block ×5, first 2 shown]
	ds_read_b128 v[5:8], v179 offset:1280
	s_waitcnt vmcnt(57) lgkmcnt(1)
	v_mul_f64 v[211:212], v[180:181], v[139:140]
	v_mul_f64 v[139:140], v[182:183], v[139:140]
	s_waitcnt vmcnt(56)
	v_fma_f64 v[135:136], v[1:2], v[129:130], -v[135:136]
	v_fma_f64 v[129:130], v[3:4], v[129:130], v[194:195]
	v_add_f64 v[131:132], v[188:189], v[131:132]
	v_add_f64 v[127:128], v[127:128], v[137:138]
	s_clause 0x2
	buffer_load_dword v193, off, s[0:3], 0 offset:588
	buffer_load_dword v138, off, s[0:3], 0 offset:564
	;; [unrolled: 1-line block ×3, first 2 shown]
	s_waitcnt vmcnt(58) lgkmcnt(0)
	v_mul_f64 v[188:189], v[5:6], v[145:146]
	v_mul_f64 v[145:146], v[7:8], v[145:146]
	s_waitcnt vmcnt(56)
	v_fma_f64 v[139:140], v[180:181], v[147:148], -v[139:140]
	ds_read_b128 v[1:4], v179 offset:1296
	v_add_f64 v[131:132], v[131:132], v[135:136]
	v_fma_f64 v[135:136], v[182:183], v[147:148], v[211:212]
	v_add_f64 v[147:148], v[127:128], v[129:130]
	s_clause 0x4
	buffer_load_dword v181, off, s[0:3], 0 offset:604
	buffer_load_dword v182, off, s[0:3], 0 offset:616
	;; [unrolled: 1-line block ×5, first 2 shown]
	ds_read_b128 v[127:130], v179 offset:1312
	s_waitcnt vmcnt(57) lgkmcnt(1)
	v_mul_f64 v[211:212], v[1:2], v[149:150]
	v_mul_f64 v[149:150], v[3:4], v[149:150]
	s_waitcnt vmcnt(56)
	v_fma_f64 v[145:146], v[5:6], v[133:134], -v[145:146]
	v_fma_f64 v[133:134], v[7:8], v[133:134], v[188:189]
	v_add_f64 v[131:132], v[131:132], v[139:140]
	s_clause 0x2
	buffer_load_dword v183, off, s[0:3], 0 offset:620
	buffer_load_dword v140, off, s[0:3], 0 offset:596
	;; [unrolled: 1-line block ×3, first 2 shown]
	v_add_f64 v[135:136], v[147:148], v[135:136]
	s_waitcnt vmcnt(58) lgkmcnt(0)
	v_mul_f64 v[147:148], v[127:128], v[153:154]
	v_mul_f64 v[153:154], v[129:130], v[153:154]
	ds_read_b128 v[5:8], v179 offset:1328
	s_waitcnt vmcnt(56)
	v_fma_f64 v[149:150], v[1:2], v[155:156], -v[149:150]
	v_add_f64 v[131:132], v[131:132], v[145:146]
	v_fma_f64 v[145:146], v[3:4], v[155:156], v[211:212]
	v_add_f64 v[133:134], v[135:136], v[133:134]
	s_clause 0x4
	buffer_load_dword v136, off, s[0:3], 0 offset:636
	buffer_load_dword v155, off, s[0:3], 0 offset:648
	;; [unrolled: 1-line block ×5, first 2 shown]
	s_waitcnt vmcnt(57) lgkmcnt(0)
	v_mul_f64 v[211:212], v[5:6], v[157:158]
	v_mul_f64 v[157:158], v[7:8], v[157:158]
	s_waitcnt vmcnt(56)
	v_fma_f64 v[153:154], v[127:128], v[141:142], -v[153:154]
	ds_read_b128 v[1:4], v179 offset:1344
	v_fma_f64 v[141:142], v[129:130], v[141:142], v[147:148]
	v_add_f64 v[131:132], v[131:132], v[149:150]
	v_add_f64 v[133:134], v[133:134], v[145:146]
	s_clause 0x2
	buffer_load_dword v156, off, s[0:3], 0 offset:652
	buffer_load_dword v146, off, s[0:3], 0 offset:628
	;; [unrolled: 1-line block ×3, first 2 shown]
	ds_read_b128 v[127:130], v179 offset:1360
	s_waitcnt vmcnt(58) lgkmcnt(1)
	v_mul_f64 v[149:150], v[3:4], v[161:162]
	s_waitcnt vmcnt(56)
	v_fma_f64 v[157:158], v[5:6], v[163:164], -v[157:158]
	v_mul_f64 v[147:148], v[1:2], v[161:162]
	v_add_f64 v[131:132], v[131:132], v[153:154]
	v_fma_f64 v[153:154], v[7:8], v[163:164], v[211:212]
	v_add_f64 v[133:134], v[133:134], v[141:142]
	s_clause 0x4
	buffer_load_dword v142, off, s[0:3], 0 offset:668
	buffer_load_dword v161, off, s[0:3], 0 offset:680
	buffer_load_dword v163, off, s[0:3], 0 offset:672
	buffer_load_dword v141, off, s[0:3], 0 offset:664
	buffer_load_dword v189, off, s[0:3], 0 offset:644
	s_waitcnt vmcnt(57) lgkmcnt(0)
	v_mul_f64 v[211:212], v[127:128], v[165:166]
	v_mul_f64 v[164:165], v[129:130], v[165:166]
	s_waitcnt vmcnt(56)
	v_fma_f64 v[149:150], v[1:2], v[151:152], -v[149:150]
	ds_read_b128 v[5:8], v179 offset:1376
	v_fma_f64 v[147:148], v[3:4], v[151:152], v[147:148]
	s_clause 0x2
	buffer_load_dword v162, off, s[0:3], 0 offset:684
	buffer_load_dword v152, off, s[0:3], 0 offset:660
	buffer_load_dword v151, off, s[0:3], 0 offset:656
	ds_read_b128 v[1:4], v179 offset:1392
	v_add_f64 v[131:132], v[131:132], v[157:158]
	v_add_f64 v[133:134], v[133:134], v[153:154]
	s_waitcnt vmcnt(58) lgkmcnt(1)
	v_mul_f64 v[157:158], v[7:8], v[169:170]
	s_waitcnt vmcnt(56)
	v_fma_f64 v[165:166], v[127:128], v[171:172], -v[164:165]
	v_mul_f64 v[153:154], v[5:6], v[169:170]
	v_add_f64 v[131:132], v[131:132], v[149:150]
	v_fma_f64 v[149:150], v[129:130], v[171:172], v[211:212]
	v_add_f64 v[133:134], v[133:134], v[147:148]
	s_clause 0x4
	buffer_load_dword v148, off, s[0:3], 0 offset:700
	buffer_load_dword v169, off, s[0:3], 0 offset:712
	;; [unrolled: 1-line block ×5, first 2 shown]
	s_waitcnt vmcnt(57) lgkmcnt(0)
	v_mul_f64 v[211:212], v[1:2], v[173:174]
	v_mul_f64 v[172:173], v[3:4], v[173:174]
	s_waitcnt vmcnt(56)
	v_fma_f64 v[157:158], v[5:6], v[159:160], -v[157:158]
	ds_read_b128 v[127:130], v179 offset:1408
	v_fma_f64 v[153:154], v[7:8], v[159:160], v[153:154]
	v_add_f64 v[131:132], v[131:132], v[165:166]
	v_add_f64 v[133:134], v[133:134], v[149:150]
	s_clause 0x2
	buffer_load_dword v170, off, s[0:3], 0 offset:716
	buffer_load_dword v150, off, s[0:3], 0 offset:692
	;; [unrolled: 1-line block ×3, first 2 shown]
	ds_read_b128 v[5:8], v179 offset:1424
	s_waitcnt vmcnt(58) lgkmcnt(1)
	v_mul_f64 v[165:166], v[129:130], v[175:176]
	s_waitcnt vmcnt(56)
	v_fma_f64 v[173:174], v[1:2], v[177:178], -v[172:173]
	v_mul_f64 v[159:160], v[127:128], v[175:176]
	v_add_f64 v[131:132], v[131:132], v[157:158]
	v_fma_f64 v[157:158], v[3:4], v[177:178], v[211:212]
	v_add_f64 v[133:134], v[133:134], v[153:154]
	s_clause 0x4
	buffer_load_dword v154, off, s[0:3], 0 offset:732
	buffer_load_dword v175, off, s[0:3], 0 offset:744
	;; [unrolled: 1-line block ×5, first 2 shown]
	s_waitcnt vmcnt(57) lgkmcnt(0)
	v_mul_f64 v[211:212], v[5:6], v[196:197]
	v_mul_f64 v[196:197], v[7:8], v[196:197]
	s_waitcnt vmcnt(56)
	v_fma_f64 v[165:166], v[127:128], v[167:168], -v[165:166]
	ds_read_b128 v[1:4], v179 offset:1440
	v_fma_f64 v[159:160], v[129:130], v[167:168], v[159:160]
	v_add_f64 v[131:132], v[131:132], v[173:174]
	v_add_f64 v[133:134], v[133:134], v[157:158]
	s_clause 0x2
	buffer_load_dword v176, off, s[0:3], 0 offset:748
	buffer_load_dword v158, off, s[0:3], 0 offset:724
	;; [unrolled: 1-line block ×3, first 2 shown]
	ds_read_b128 v[127:130], v179 offset:1456
	s_waitcnt vmcnt(58) lgkmcnt(1)
	v_mul_f64 v[173:174], v[3:4], v[198:199]
	s_waitcnt vmcnt(56)
	v_fma_f64 v[196:197], v[5:6], v[203:204], -v[196:197]
	v_mul_f64 v[167:168], v[1:2], v[198:199]
	v_add_f64 v[131:132], v[131:132], v[165:166]
	v_fma_f64 v[165:166], v[7:8], v[203:204], v[211:212]
	v_add_f64 v[133:134], v[133:134], v[159:160]
	s_clause 0x4
	buffer_load_dword v160, off, s[0:3], 0 offset:764
	buffer_load_dword v198, off, s[0:3], 0 offset:776
	;; [unrolled: 1-line block ×5, first 2 shown]
	ds_read_b128 v[5:8], v179 offset:1472
	s_waitcnt vmcnt(57) lgkmcnt(1)
	v_mul_f64 v[203:204], v[127:128], v[190:191]
	v_mul_f64 v[190:191], v[129:130], v[190:191]
	s_waitcnt vmcnt(56)
	v_fma_f64 v[173:174], v[1:2], v[200:201], -v[173:174]
	v_fma_f64 v[167:168], v[3:4], v[200:201], v[167:168]
	v_add_f64 v[131:132], v[131:132], v[196:197]
	v_add_f64 v[133:134], v[133:134], v[165:166]
	s_clause 0x2
	buffer_load_dword v199, off, s[0:3], 0 offset:780
	buffer_load_dword v166, off, s[0:3], 0 offset:756
	;; [unrolled: 1-line block ×3, first 2 shown]
	ds_read_b128 v[1:4], v179 offset:1488
	s_waitcnt vmcnt(58) lgkmcnt(1)
	v_mul_f64 v[200:201], v[7:8], v[207:208]
	v_mul_f64 v[196:197], v[5:6], v[207:208]
	s_waitcnt vmcnt(56)
	v_fma_f64 v[190:191], v[127:128], v[184:185], -v[190:191]
	v_add_f64 v[131:132], v[131:132], v[173:174]
	v_fma_f64 v[173:174], v[129:130], v[184:185], v[203:204]
	v_add_f64 v[133:134], v[133:134], v[167:168]
	s_clause 0x4
	buffer_load_dword v168, off, s[0:3], 0 offset:796
	buffer_load_dword v184, off, s[0:3], 0 offset:808
	buffer_load_dword v207, off, s[0:3], 0 offset:800
	buffer_load_dword v167, off, s[0:3], 0 offset:792
	buffer_load_dword v203, off, s[0:3], 0 offset:772
	ds_read_b128 v[127:130], v179 offset:1504
	s_waitcnt vmcnt(57) lgkmcnt(1)
	v_mul_f64 v[211:212], v[1:2], v[143:144]
	v_mul_f64 v[143:144], v[3:4], v[143:144]
	s_waitcnt vmcnt(56)
	v_fma_f64 v[200:201], v[5:6], v[209:210], -v[200:201]
	v_add_f64 v[131:132], v[131:132], v[190:191]
	v_fma_f64 v[190:191], v[7:8], v[209:210], v[196:197]
	v_add_f64 v[133:134], v[133:134], v[173:174]
	s_clause 0x2
	buffer_load_dword v185, off, s[0:3], 0 offset:812
	buffer_load_dword v174, off, s[0:3], 0 offset:788
	buffer_load_dword v173, off, s[0:3], 0 offset:784
	ds_read_b128 v[5:8], v179 offset:1520
	s_waitcnt vmcnt(58) lgkmcnt(1)
	v_mul_f64 v[196:197], v[127:128], v[192:193]
	v_mul_f64 v[192:193], v[129:130], v[192:193]
	s_waitcnt vmcnt(56)
	v_fma_f64 v[143:144], v[1:2], v[137:138], -v[143:144]
	v_fma_f64 v[137:138], v[3:4], v[137:138], v[211:212]
	v_add_f64 v[131:132], v[131:132], v[200:201]
	v_add_f64 v[133:134], v[133:134], v[190:191]
	s_clause 0x4
	buffer_load_dword v191, off, s[0:3], 0 offset:828
	buffer_load_dword v200, off, s[0:3], 0 offset:840
	buffer_load_dword v204, off, s[0:3], 0 offset:832
	buffer_load_dword v190, off, s[0:3], 0 offset:824
	buffer_load_dword v208, off, s[0:3], 0 offset:804
	ds_read_b128 v[1:4], v179 offset:1536
	s_waitcnt vmcnt(57) lgkmcnt(1)
	v_mul_f64 v[209:210], v[5:6], v[180:181]
	v_mul_f64 v[180:181], v[7:8], v[180:181]
	s_waitcnt vmcnt(56)
	v_fma_f64 v[192:193], v[127:128], v[205:206], -v[192:193]
	v_add_f64 v[131:132], v[131:132], v[143:144]
	v_fma_f64 v[143:144], v[129:130], v[205:206], v[196:197]
	v_add_f64 v[133:134], v[133:134], v[137:138]
	s_clause 0x2
	buffer_load_dword v201, off, s[0:3], 0 offset:844
	buffer_load_dword v138, off, s[0:3], 0 offset:820
	buffer_load_dword v137, off, s[0:3], 0 offset:816
	ds_read_b128 v[127:130], v179 offset:1552
	s_waitcnt vmcnt(58) lgkmcnt(1)
	v_mul_f64 v[196:197], v[1:2], v[182:183]
	v_mul_f64 v[182:183], v[3:4], v[182:183]
	s_waitcnt vmcnt(56)
	v_fma_f64 v[180:181], v[5:6], v[139:140], -v[180:181]
	v_fma_f64 v[139:140], v[7:8], v[139:140], v[209:210]
	v_add_f64 v[131:132], v[131:132], v[192:193]
	v_add_f64 v[133:134], v[133:134], v[143:144]
	s_clause 0x4
	buffer_load_dword v144, off, s[0:3], 0 offset:860
	buffer_load_dword v192, off, s[0:3], 0 offset:872
	buffer_load_dword v209, off, s[0:3], 0 offset:864
	buffer_load_dword v143, off, s[0:3], 0 offset:856
	buffer_load_dword v205, off, s[0:3], 0 offset:836
	ds_read_b128 v[5:8], v179 offset:1568
	s_waitcnt vmcnt(57) lgkmcnt(1)
	v_mul_f64 v[210:211], v[127:128], v[135:136]
	v_mul_f64 v[135:136], v[129:130], v[135:136]
	s_waitcnt vmcnt(56)
	v_fma_f64 v[182:183], v[1:2], v[194:195], -v[182:183]
	v_add_f64 v[131:132], v[131:132], v[180:181]
	v_fma_f64 v[180:181], v[3:4], v[194:195], v[196:197]
	v_add_f64 v[133:134], v[133:134], v[139:140]
	s_clause 0x2
	buffer_load_dword v193, off, s[0:3], 0 offset:876
	buffer_load_dword v140, off, s[0:3], 0 offset:852
	buffer_load_dword v139, off, s[0:3], 0 offset:848
	ds_read_b128 v[1:4], v179 offset:1584
	s_waitcnt vmcnt(58) lgkmcnt(1)
	v_mul_f64 v[194:195], v[5:6], v[155:156]
	v_mul_f64 v[155:156], v[7:8], v[155:156]
	s_waitcnt vmcnt(56)
	v_fma_f64 v[135:136], v[127:128], v[145:146], -v[135:136]
	v_fma_f64 v[145:146], v[129:130], v[145:146], v[210:211]
	v_add_f64 v[131:132], v[131:132], v[182:183]
	v_add_f64 v[133:134], v[133:134], v[180:181]
	s_clause 0x4
	buffer_load_dword v181, off, s[0:3], 0 offset:892
	buffer_load_dword v182, off, s[0:3], 0 offset:904
	;; [unrolled: 1-line block ×5, first 2 shown]
	ds_read_b128 v[127:130], v179 offset:1600
	s_waitcnt vmcnt(57) lgkmcnt(1)
	v_mul_f64 v[211:212], v[1:2], v[141:142]
	v_mul_f64 v[141:142], v[3:4], v[141:142]
	s_waitcnt vmcnt(56)
	v_fma_f64 v[155:156], v[5:6], v[188:189], -v[155:156]
	v_add_f64 v[131:132], v[131:132], v[135:136]
	v_fma_f64 v[135:136], v[7:8], v[188:189], v[194:195]
	v_add_f64 v[133:134], v[133:134], v[145:146]
	s_clause 0x2
	buffer_load_dword v183, off, s[0:3], 0 offset:908
	buffer_load_dword v146, off, s[0:3], 0 offset:884
	;; [unrolled: 1-line block ×3, first 2 shown]
	s_waitcnt vmcnt(58) lgkmcnt(0)
	v_mul_f64 v[188:189], v[127:128], v[161:162]
	v_mul_f64 v[161:162], v[129:130], v[161:162]
	ds_read_b128 v[5:8], v179 offset:1616
	s_waitcnt vmcnt(56)
	v_fma_f64 v[141:142], v[1:2], v[151:152], -v[141:142]
	v_fma_f64 v[151:152], v[3:4], v[151:152], v[211:212]
	v_add_f64 v[131:132], v[131:132], v[155:156]
	v_add_f64 v[133:134], v[133:134], v[135:136]
	s_clause 0x4
	buffer_load_dword v136, off, s[0:3], 0 offset:924
	buffer_load_dword v155, off, s[0:3], 0 offset:936
	;; [unrolled: 1-line block ×5, first 2 shown]
	ds_read_b128 v[1:4], v179 offset:1632
	s_waitcnt vmcnt(57) lgkmcnt(1)
	v_mul_f64 v[211:212], v[5:6], v[147:148]
	v_mul_f64 v[147:148], v[7:8], v[147:148]
	s_waitcnt vmcnt(56)
	v_fma_f64 v[161:162], v[127:128], v[163:164], -v[161:162]
	v_add_f64 v[131:132], v[131:132], v[141:142]
	v_fma_f64 v[141:142], v[129:130], v[163:164], v[188:189]
	v_add_f64 v[133:134], v[133:134], v[151:152]
	s_clause 0x2
	buffer_load_dword v156, off, s[0:3], 0 offset:940
	buffer_load_dword v152, off, s[0:3], 0 offset:916
	;; [unrolled: 1-line block ×3, first 2 shown]
	ds_read_b128 v[127:130], v179 offset:1648
	s_waitcnt vmcnt(58) lgkmcnt(1)
	v_mul_f64 v[163:164], v[1:2], v[169:170]
	v_mul_f64 v[169:170], v[3:4], v[169:170]
	s_waitcnt vmcnt(56)
	v_fma_f64 v[147:148], v[5:6], v[149:150], -v[147:148]
	v_fma_f64 v[149:150], v[7:8], v[149:150], v[211:212]
	v_add_f64 v[131:132], v[131:132], v[161:162]
	v_add_f64 v[133:134], v[133:134], v[141:142]
	s_clause 0x2
	buffer_load_dword v142, off, s[0:3], 0 offset:956
	buffer_load_dword v141, off, s[0:3], 0 offset:952
	;; [unrolled: 1-line block ×3, first 2 shown]
	ds_read_b128 v[5:8], v179 offset:1664
	s_waitcnt vmcnt(55) lgkmcnt(1)
	v_mul_f64 v[161:162], v[127:128], v[153:154]
	v_mul_f64 v[153:154], v[129:130], v[153:154]
	s_waitcnt vmcnt(54)
	v_fma_f64 v[169:170], v[1:2], v[171:172], -v[169:170]
	v_add_f64 v[131:132], v[131:132], v[147:148]
	v_fma_f64 v[147:148], v[3:4], v[171:172], v[163:164]
	v_add_f64 v[133:134], v[133:134], v[149:150]
	s_clause 0x1
	buffer_load_dword v150, off, s[0:3], 0 offset:948
	buffer_load_dword v149, off, s[0:3], 0 offset:944
	ds_read_b128 v[1:4], v179 offset:1680
	s_waitcnt vmcnt(55) lgkmcnt(1)
	v_mul_f64 v[171:172], v[7:8], v[175:176]
	v_mul_f64 v[163:164], v[5:6], v[175:176]
	s_waitcnt vmcnt(53)
	v_fma_f64 v[153:154], v[127:128], v[157:158], -v[153:154]
	v_fma_f64 v[157:158], v[129:130], v[157:158], v[161:162]
	ds_read_b128 v[127:130], v179 offset:1696
	v_add_f64 v[131:132], v[131:132], v[169:170]
	v_add_f64 v[133:134], v[133:134], v[147:148]
	s_waitcnt vmcnt(49) lgkmcnt(1)
	v_mul_f64 v[147:148], v[1:2], v[159:160]
	v_mul_f64 v[159:160], v[3:4], v[159:160]
	s_waitcnt vmcnt(48)
	v_fma_f64 v[161:162], v[5:6], v[177:178], -v[171:172]
	v_add_f64 v[131:132], v[131:132], v[153:154]
	v_fma_f64 v[153:154], v[7:8], v[177:178], v[163:164]
	v_add_f64 v[133:134], v[133:134], v[157:158]
	s_clause 0x3
	buffer_load_dword v157, off, s[0:3], 0 offset:240
	buffer_load_dword v158, off, s[0:3], 0 offset:244
	;; [unrolled: 1-line block ×4, first 2 shown]
	ds_read_b128 v[5:8], v179 offset:1712
	s_waitcnt vmcnt(51) lgkmcnt(1)
	v_mul_f64 v[171:172], v[129:130], v[198:199]
	v_mul_f64 v[169:170], v[127:128], v[198:199]
	s_waitcnt vmcnt(49)
	v_fma_f64 v[159:160], v[1:2], v[165:166], -v[159:160]
	v_fma_f64 v[147:148], v[3:4], v[165:166], v[147:148]
	ds_read_b128 v[1:4], v179 offset:1728
	v_add_f64 v[131:132], v[131:132], v[161:162]
	v_add_f64 v[133:134], v[133:134], v[153:154]
	s_waitcnt vmcnt(45) lgkmcnt(1)
	v_mul_f64 v[161:162], v[7:8], v[167:168]
	s_waitcnt vmcnt(44)
	v_fma_f64 v[165:166], v[127:128], v[202:203], -v[171:172]
	v_mul_f64 v[153:154], v[5:6], v[167:168]
	v_add_f64 v[131:132], v[131:132], v[159:160]
	v_fma_f64 v[159:160], v[129:130], v[202:203], v[169:170]
	v_add_f64 v[133:134], v[133:134], v[147:148]
	ds_read_b128 v[127:130], v179 offset:1744
	s_waitcnt vmcnt(43) lgkmcnt(1)
	v_mul_f64 v[167:168], v[3:4], v[184:185]
	v_mul_f64 v[147:148], v[1:2], v[184:185]
	s_waitcnt vmcnt(41)
	v_fma_f64 v[161:162], v[5:6], v[173:174], -v[161:162]
	v_fma_f64 v[153:154], v[7:8], v[173:174], v[153:154]
	ds_read_b128 v[5:8], v179 offset:1760
	v_add_f64 v[131:132], v[131:132], v[165:166]
	v_add_f64 v[133:134], v[133:134], v[159:160]
	s_waitcnt vmcnt(37) lgkmcnt(1)
	v_mul_f64 v[165:166], v[129:130], v[190:191]
	s_waitcnt vmcnt(36)
	v_fma_f64 v[167:168], v[1:2], v[207:208], -v[167:168]
	v_mul_f64 v[159:160], v[127:128], v[190:191]
	v_fma_f64 v[147:148], v[3:4], v[207:208], v[147:148]
	ds_read_b128 v[1:4], v179 offset:1776
	v_add_f64 v[131:132], v[131:132], v[161:162]
	v_add_f64 v[133:134], v[133:134], v[153:154]
	s_waitcnt vmcnt(35) lgkmcnt(1)
	v_mul_f64 v[161:162], v[7:8], v[200:201]
	v_mul_f64 v[153:154], v[5:6], v[200:201]
	s_waitcnt vmcnt(33)
	v_fma_f64 v[165:166], v[127:128], v[137:138], -v[165:166]
	v_fma_f64 v[137:138], v[129:130], v[137:138], v[159:160]
	ds_read_b128 v[127:130], v179 offset:1792
	v_add_f64 v[131:132], v[131:132], v[167:168]
	v_add_f64 v[133:134], v[133:134], v[147:148]
	s_waitcnt vmcnt(29) lgkmcnt(1)
	v_mul_f64 v[147:148], v[1:2], v[143:144]
	v_mul_f64 v[143:144], v[3:4], v[143:144]
	s_waitcnt vmcnt(28)
	v_fma_f64 v[159:160], v[5:6], v[204:205], -v[161:162]
	v_fma_f64 v[153:154], v[7:8], v[204:205], v[153:154]
	ds_read_b128 v[5:8], v179 offset:1808
	v_add_f64 v[131:132], v[131:132], v[165:166]
	v_add_f64 v[133:134], v[133:134], v[137:138]
	s_waitcnt vmcnt(27) lgkmcnt(1)
	v_mul_f64 v[161:162], v[129:130], v[192:193]
	v_mul_f64 v[137:138], v[127:128], v[192:193]
	s_waitcnt vmcnt(25)
	v_fma_f64 v[143:144], v[1:2], v[139:140], -v[143:144]
	v_fma_f64 v[139:140], v[3:4], v[139:140], v[147:148]
	ds_read_b128 v[1:4], v179 offset:1824
	v_add_f64 v[131:132], v[131:132], v[159:160]
	v_add_f64 v[133:134], v[133:134], v[153:154]
	s_waitcnt vmcnt(21) lgkmcnt(1)
	v_mul_f64 v[153:154], v[7:8], v[180:181]
	s_waitcnt vmcnt(20)
	v_fma_f64 v[159:160], v[127:128], v[209:210], -v[161:162]
	v_mul_f64 v[147:148], v[5:6], v[180:181]
	v_fma_f64 v[137:138], v[129:130], v[209:210], v[137:138]
	ds_read_b128 v[127:130], v179 offset:1840
	v_add_f64 v[131:132], v[131:132], v[143:144]
	v_add_f64 v[133:134], v[133:134], v[139:140]
	s_waitcnt vmcnt(19) lgkmcnt(1)
	v_mul_f64 v[143:144], v[3:4], v[182:183]
	v_mul_f64 v[139:140], v[1:2], v[182:183]
	s_waitcnt vmcnt(17)
	v_fma_f64 v[153:154], v[5:6], v[145:146], -v[153:154]
	v_fma_f64 v[145:146], v[7:8], v[145:146], v[147:148]
	ds_read_b128 v[5:8], v179 offset:1856
	v_add_f64 v[131:132], v[131:132], v[159:160]
	v_add_f64 v[133:134], v[133:134], v[137:138]
	s_waitcnt vmcnt(13) lgkmcnt(1)
	v_mul_f64 v[137:138], v[127:128], v[135:136]
	v_mul_f64 v[135:136], v[129:130], v[135:136]
	s_waitcnt vmcnt(12)
	v_fma_f64 v[143:144], v[1:2], v[196:197], -v[143:144]
	;; [unrolled: 9-line block ×3, first 2 shown]
	v_fma_f64 v[129:130], v[129:130], v[151:152], v[137:138]
	v_add_f64 v[131:132], v[131:132], v[143:144]
	v_add_f64 v[133:134], v[133:134], v[139:140]
	s_waitcnt vmcnt(7) lgkmcnt(0)
	v_mul_f64 v[137:138], v[3:4], v[141:142]
	s_waitcnt vmcnt(6)
	v_fma_f64 v[5:6], v[5:6], v[194:195], -v[147:148]
	v_mul_f64 v[135:136], v[1:2], v[141:142]
	v_fma_f64 v[7:8], v[7:8], v[194:195], v[145:146]
	v_add_f64 v[127:128], v[131:132], v[127:128]
	v_add_f64 v[129:130], v[133:134], v[129:130]
	s_waitcnt vmcnt(4)
	v_fma_f64 v[1:2], v[1:2], v[149:150], -v[137:138]
	v_fma_f64 v[3:4], v[3:4], v[149:150], v[135:136]
	v_add_f64 v[5:6], v[127:128], v[5:6]
	v_add_f64 v[7:8], v[129:130], v[7:8]
	v_add_f64 v[1:2], v[5:6], v[1:2]
	v_add_f64 v[3:4], v[7:8], v[3:4]
	s_waitcnt vmcnt(2)
	v_add_f64 v[1:2], v[157:158], -v[1:2]
	s_waitcnt vmcnt(0)
	v_add_f64 v[3:4], v[163:164], -v[3:4]
	buffer_store_dword v2, off, s[0:3], 0 offset:244
	buffer_store_dword v1, off, s[0:3], 0 offset:240
	;; [unrolled: 1-line block ×4, first 2 shown]
	v_cmpx_lt_u32_e32 13, v0
	s_cbranch_execz .LBB122_341
; %bb.340:
	v_mov_b32_e32 v4, s58
	v_mov_b32_e32 v5, 0
	s_clause 0x3
	buffer_load_dword v1, v4, s[0:3], 0 offen
	buffer_load_dword v2, v4, s[0:3], 0 offen offset:4
	buffer_load_dword v3, v4, s[0:3], 0 offen offset:8
	;; [unrolled: 1-line block ×3, first 2 shown]
	buffer_store_dword v5, off, s[0:3], 0 offset:224
	buffer_store_dword v5, off, s[0:3], 0 offset:228
	;; [unrolled: 1-line block ×4, first 2 shown]
	s_waitcnt vmcnt(0)
	ds_write_b128 v187, v[1:4]
.LBB122_341:
	s_or_b32 exec_lo, exec_lo, s4
	s_waitcnt lgkmcnt(0)
	s_waitcnt_vscnt null, 0x0
	s_barrier
	buffer_gl0_inv
	s_clause 0x37
	buffer_load_dword v131, off, s[0:3], 0 offset:248
	buffer_load_dword v132, off, s[0:3], 0 offset:252
	;; [unrolled: 1-line block ×56, first 2 shown]
	v_mov_b32_e32 v188, 0
	s_mov_b32 s4, exec_lo
	ds_read_b128 v[183:186], v188 offset:1168
	s_clause 0x2
	buffer_load_dword v180, off, s[0:3], 0 offset:476
	buffer_load_dword v182, off, s[0:3], 0 offset:452
	;; [unrolled: 1-line block ×3, first 2 shown]
	ds_read_b128 v[1:4], v188 offset:1184
	s_clause 0x4
	buffer_load_dword v196, off, s[0:3], 0 offset:492
	buffer_load_dword v197, off, s[0:3], 0 offset:504
	;; [unrolled: 1-line block ×5, first 2 shown]
	ds_read_b128 v[189:192], v188 offset:1200
	s_waitcnt vmcnt(62) lgkmcnt(2)
	v_mul_f64 v[193:194], v[185:186], v[131:132]
	v_mul_f64 v[131:132], v[183:184], v[131:132]
	s_waitcnt vmcnt(60) lgkmcnt(1)
	v_mul_f64 v[200:201], v[3:4], v[127:128]
	s_waitcnt vmcnt(56) lgkmcnt(0)
	v_mul_f64 v[202:203], v[189:190], v[7:8]
	v_mul_f64 v[7:8], v[191:192], v[7:8]
	v_fma_f64 v[183:184], v[183:184], v[129:130], -v[193:194]
	v_mul_f64 v[193:194], v[1:2], v[127:128]
	v_fma_f64 v[131:132], v[185:186], v[129:130], v[131:132]
	s_clause 0x2
	buffer_load_dword v198, off, s[0:3], 0 offset:508
	buffer_load_dword v186, off, s[0:3], 0 offset:484
	;; [unrolled: 1-line block ×3, first 2 shown]
	s_waitcnt vmcnt(57)
	v_fma_f64 v[204:205], v[1:2], v[5:6], -v[200:201]
	ds_read_b128 v[127:130], v188 offset:1216
	s_waitcnt vmcnt(51)
	v_fma_f64 v[189:190], v[189:190], v[147:148], -v[7:8]
	v_fma_f64 v[147:148], v[191:192], v[147:148], v[202:203]
	v_add_f64 v[183:184], v[183:184], 0
	v_fma_f64 v[5:6], v[3:4], v[5:6], v[193:194]
	v_add_f64 v[131:132], v[131:132], 0
	s_clause 0x4
	buffer_load_dword v194, off, s[0:3], 0 offset:524
	buffer_load_dword v201, off, s[0:3], 0 offset:536
	;; [unrolled: 1-line block ×5, first 2 shown]
	s_waitcnt lgkmcnt(0)
	v_mul_f64 v[207:208], v[127:128], v[135:136]
	v_mul_f64 v[135:136], v[129:130], v[135:136]
	ds_read_b128 v[1:4], v188 offset:1232
	s_clause 0x2
	buffer_load_dword v202, off, s[0:3], 0 offset:540
	buffer_load_dword v192, off, s[0:3], 0 offset:516
	;; [unrolled: 1-line block ×3, first 2 shown]
	v_add_f64 v[183:184], v[183:184], v[204:205]
	v_add_f64 v[131:132], v[131:132], v[5:6]
	ds_read_b128 v[5:8], v188 offset:1248
	s_waitcnt vmcnt(58) lgkmcnt(1)
	v_mul_f64 v[203:204], v[1:2], v[139:140]
	v_mul_f64 v[139:140], v[3:4], v[139:140]
	s_waitcnt vmcnt(56)
	v_fma_f64 v[135:136], v[127:128], v[141:142], -v[135:136]
	v_fma_f64 v[141:142], v[129:130], v[141:142], v[207:208]
	v_add_f64 v[183:184], v[183:184], v[189:190]
	s_waitcnt vmcnt(52) lgkmcnt(0)
	v_mul_f64 v[209:210], v[5:6], v[143:144]
	v_add_f64 v[131:132], v[131:132], v[147:148]
	s_clause 0x4
	buffer_load_dword v148, off, s[0:3], 0 offset:556
	buffer_load_dword v189, off, s[0:3], 0 offset:568
	;; [unrolled: 1-line block ×5, first 2 shown]
	v_mul_f64 v[143:144], v[7:8], v[143:144]
	s_waitcnt vmcnt(56)
	v_fma_f64 v[139:140], v[1:2], v[133:134], -v[139:140]
	ds_read_b128 v[127:130], v188 offset:1264
	v_fma_f64 v[133:134], v[3:4], v[133:134], v[203:204]
	v_add_f64 v[135:136], v[183:184], v[135:136]
	v_add_f64 v[131:132], v[131:132], v[141:142]
	s_clause 0x2
	buffer_load_dword v190, off, s[0:3], 0 offset:572
	buffer_load_dword v142, off, s[0:3], 0 offset:548
	;; [unrolled: 1-line block ×3, first 2 shown]
	s_waitcnt vmcnt(58) lgkmcnt(0)
	v_mul_f64 v[183:184], v[127:128], v[149:150]
	v_mul_f64 v[149:150], v[129:130], v[149:150]
	s_waitcnt vmcnt(56)
	v_fma_f64 v[143:144], v[5:6], v[151:152], -v[143:144]
	ds_read_b128 v[1:4], v188 offset:1280
	v_add_f64 v[135:136], v[135:136], v[139:140]
	v_fma_f64 v[139:140], v[7:8], v[151:152], v[209:210]
	v_add_f64 v[131:132], v[131:132], v[133:134]
	s_clause 0x4
	buffer_load_dword v134, off, s[0:3], 0 offset:588
	buffer_load_dword v151, off, s[0:3], 0 offset:600
	;; [unrolled: 1-line block ×5, first 2 shown]
	ds_read_b128 v[5:8], v188 offset:1296
	s_waitcnt vmcnt(57) lgkmcnt(1)
	v_mul_f64 v[204:205], v[1:2], v[153:154]
	v_mul_f64 v[153:154], v[3:4], v[153:154]
	s_waitcnt vmcnt(56)
	v_fma_f64 v[149:150], v[127:128], v[137:138], -v[149:150]
	v_fma_f64 v[137:138], v[129:130], v[137:138], v[183:184]
	v_add_f64 v[135:136], v[135:136], v[143:144]
	v_add_f64 v[131:132], v[131:132], v[139:140]
	s_clause 0x2
	buffer_load_dword v152, off, s[0:3], 0 offset:604
	buffer_load_dword v140, off, s[0:3], 0 offset:580
	;; [unrolled: 1-line block ×3, first 2 shown]
	s_waitcnt vmcnt(58) lgkmcnt(0)
	v_mul_f64 v[143:144], v[5:6], v[157:158]
	v_mul_f64 v[157:158], v[7:8], v[157:158]
	s_waitcnt vmcnt(56)
	v_fma_f64 v[153:154], v[1:2], v[159:160], -v[153:154]
	ds_read_b128 v[127:130], v188 offset:1312
	v_add_f64 v[135:136], v[135:136], v[149:150]
	v_fma_f64 v[149:150], v[3:4], v[159:160], v[204:205]
	v_add_f64 v[131:132], v[131:132], v[137:138]
	s_clause 0x4
	buffer_load_dword v138, off, s[0:3], 0 offset:620
	buffer_load_dword v159, off, s[0:3], 0 offset:632
	buffer_load_dword v183, off, s[0:3], 0 offset:624
	buffer_load_dword v137, off, s[0:3], 0 offset:616
	buffer_load_dword v204, off, s[0:3], 0 offset:596
	ds_read_b128 v[1:4], v188 offset:1328
	s_waitcnt vmcnt(57) lgkmcnt(1)
	v_mul_f64 v[210:211], v[127:128], v[161:162]
	v_mul_f64 v[161:162], v[129:130], v[161:162]
	s_waitcnt vmcnt(56)
	v_fma_f64 v[157:158], v[5:6], v[145:146], -v[157:158]
	v_fma_f64 v[143:144], v[7:8], v[145:146], v[143:144]
	s_clause 0x2
	buffer_load_dword v160, off, s[0:3], 0 offset:636
	buffer_load_dword v146, off, s[0:3], 0 offset:612
	;; [unrolled: 1-line block ×3, first 2 shown]
	ds_read_b128 v[5:8], v188 offset:1344
	v_add_f64 v[135:136], v[135:136], v[153:154]
	v_add_f64 v[131:132], v[131:132], v[149:150]
	s_waitcnt vmcnt(58) lgkmcnt(1)
	v_mul_f64 v[153:154], v[3:4], v[165:166]
	v_mul_f64 v[149:150], v[1:2], v[165:166]
	s_waitcnt vmcnt(56)
	v_fma_f64 v[161:162], v[127:128], v[167:168], -v[161:162]
	v_add_f64 v[135:136], v[135:136], v[157:158]
	v_fma_f64 v[157:158], v[129:130], v[167:168], v[210:211]
	v_add_f64 v[131:132], v[131:132], v[143:144]
	s_clause 0x4
	buffer_load_dword v144, off, s[0:3], 0 offset:652
	buffer_load_dword v165, off, s[0:3], 0 offset:664
	;; [unrolled: 1-line block ×5, first 2 shown]
	s_waitcnt vmcnt(57) lgkmcnt(0)
	v_mul_f64 v[210:211], v[5:6], v[169:170]
	v_mul_f64 v[168:169], v[7:8], v[169:170]
	s_waitcnt vmcnt(56)
	v_fma_f64 v[153:154], v[1:2], v[155:156], -v[153:154]
	ds_read_b128 v[127:130], v188 offset:1360
	v_fma_f64 v[149:150], v[3:4], v[155:156], v[149:150]
	s_clause 0x2
	buffer_load_dword v166, off, s[0:3], 0 offset:668
	buffer_load_dword v156, off, s[0:3], 0 offset:644
	buffer_load_dword v155, off, s[0:3], 0 offset:640
	ds_read_b128 v[1:4], v188 offset:1376
	v_add_f64 v[135:136], v[135:136], v[161:162]
	v_add_f64 v[131:132], v[131:132], v[157:158]
	s_waitcnt vmcnt(58) lgkmcnt(1)
	v_mul_f64 v[161:162], v[129:130], v[173:174]
	s_waitcnt vmcnt(56)
	v_fma_f64 v[169:170], v[5:6], v[175:176], -v[168:169]
	v_mul_f64 v[157:158], v[127:128], v[173:174]
	v_add_f64 v[135:136], v[135:136], v[153:154]
	v_fma_f64 v[153:154], v[7:8], v[175:176], v[210:211]
	v_add_f64 v[131:132], v[131:132], v[149:150]
	s_clause 0x4
	buffer_load_dword v150, off, s[0:3], 0 offset:684
	buffer_load_dword v173, off, s[0:3], 0 offset:696
	buffer_load_dword v175, off, s[0:3], 0 offset:688
	buffer_load_dword v149, off, s[0:3], 0 offset:680
	buffer_load_dword v168, off, s[0:3], 0 offset:660
	s_waitcnt vmcnt(57) lgkmcnt(0)
	v_mul_f64 v[210:211], v[1:2], v[177:178]
	v_mul_f64 v[176:177], v[3:4], v[177:178]
	s_waitcnt vmcnt(56)
	v_fma_f64 v[161:162], v[127:128], v[163:164], -v[161:162]
	ds_read_b128 v[5:8], v188 offset:1392
	v_fma_f64 v[157:158], v[129:130], v[163:164], v[157:158]
	v_add_f64 v[135:136], v[135:136], v[169:170]
	v_add_f64 v[131:132], v[131:132], v[153:154]
	s_clause 0x2
	buffer_load_dword v174, off, s[0:3], 0 offset:700
	buffer_load_dword v154, off, s[0:3], 0 offset:676
	;; [unrolled: 1-line block ×3, first 2 shown]
	ds_read_b128 v[127:130], v188 offset:1408
	s_waitcnt vmcnt(58) lgkmcnt(1)
	v_mul_f64 v[169:170], v[7:8], v[179:180]
	s_waitcnt vmcnt(56)
	v_fma_f64 v[177:178], v[1:2], v[181:182], -v[176:177]
	v_mul_f64 v[163:164], v[5:6], v[179:180]
	v_add_f64 v[135:136], v[135:136], v[161:162]
	v_fma_f64 v[161:162], v[3:4], v[181:182], v[210:211]
	v_add_f64 v[131:132], v[131:132], v[157:158]
	s_clause 0x4
	buffer_load_dword v158, off, s[0:3], 0 offset:716
	buffer_load_dword v179, off, s[0:3], 0 offset:728
	;; [unrolled: 1-line block ×5, first 2 shown]
	s_waitcnt vmcnt(57) lgkmcnt(0)
	v_mul_f64 v[210:211], v[127:128], v[195:196]
	v_mul_f64 v[195:196], v[129:130], v[195:196]
	s_waitcnt vmcnt(56)
	v_fma_f64 v[169:170], v[5:6], v[171:172], -v[169:170]
	ds_read_b128 v[1:4], v188 offset:1424
	v_fma_f64 v[163:164], v[7:8], v[171:172], v[163:164]
	v_add_f64 v[135:136], v[135:136], v[177:178]
	v_add_f64 v[131:132], v[131:132], v[161:162]
	s_clause 0x2
	buffer_load_dword v180, off, s[0:3], 0 offset:732
	buffer_load_dword v162, off, s[0:3], 0 offset:708
	;; [unrolled: 1-line block ×3, first 2 shown]
	ds_read_b128 v[5:8], v188 offset:1440
	s_waitcnt vmcnt(58) lgkmcnt(1)
	v_mul_f64 v[177:178], v[3:4], v[197:198]
	v_mul_f64 v[171:172], v[1:2], v[197:198]
	s_waitcnt vmcnt(56)
	v_fma_f64 v[195:196], v[127:128], v[185:186], -v[195:196]
	v_add_f64 v[135:136], v[135:136], v[169:170]
	v_fma_f64 v[169:170], v[129:130], v[185:186], v[210:211]
	v_add_f64 v[131:132], v[131:132], v[163:164]
	s_clause 0x4
	buffer_load_dword v164, off, s[0:3], 0 offset:748
	buffer_load_dword v185, off, s[0:3], 0 offset:760
	buffer_load_dword v197, off, s[0:3], 0 offset:752
	buffer_load_dword v163, off, s[0:3], 0 offset:744
	buffer_load_dword v182, off, s[0:3], 0 offset:724
	ds_read_b128 v[127:130], v188 offset:1456
	s_waitcnt vmcnt(57) lgkmcnt(1)
	v_mul_f64 v[210:211], v[5:6], v[193:194]
	v_mul_f64 v[193:194], v[7:8], v[193:194]
	s_waitcnt vmcnt(56)
	v_fma_f64 v[177:178], v[1:2], v[199:200], -v[177:178]
	v_fma_f64 v[171:172], v[3:4], v[199:200], v[171:172]
	v_add_f64 v[135:136], v[135:136], v[195:196]
	v_add_f64 v[131:132], v[131:132], v[169:170]
	s_clause 0x2
	buffer_load_dword v186, off, s[0:3], 0 offset:764
	buffer_load_dword v170, off, s[0:3], 0 offset:740
	;; [unrolled: 1-line block ×3, first 2 shown]
	s_waitcnt vmcnt(58) lgkmcnt(0)
	v_mul_f64 v[199:200], v[129:130], v[201:202]
	ds_read_b128 v[1:4], v188 offset:1472
	v_mul_f64 v[195:196], v[127:128], v[201:202]
	s_waitcnt vmcnt(56)
	v_fma_f64 v[193:194], v[5:6], v[191:192], -v[193:194]
	v_add_f64 v[135:136], v[135:136], v[177:178]
	v_fma_f64 v[177:178], v[7:8], v[191:192], v[210:211]
	v_add_f64 v[131:132], v[131:132], v[171:172]
	s_clause 0x4
	buffer_load_dword v172, off, s[0:3], 0 offset:780
	buffer_load_dword v191, off, s[0:3], 0 offset:792
	;; [unrolled: 1-line block ×5, first 2 shown]
	ds_read_b128 v[5:8], v188 offset:1488
	s_waitcnt vmcnt(57) lgkmcnt(1)
	v_mul_f64 v[210:211], v[1:2], v[147:148]
	v_mul_f64 v[147:148], v[3:4], v[147:148]
	s_waitcnt vmcnt(56)
	v_fma_f64 v[199:200], v[127:128], v[206:207], -v[199:200]
	v_add_f64 v[135:136], v[135:136], v[193:194]
	v_fma_f64 v[193:194], v[129:130], v[206:207], v[195:196]
	v_add_f64 v[131:132], v[131:132], v[177:178]
	s_clause 0x2
	buffer_load_dword v192, off, s[0:3], 0 offset:796
	buffer_load_dword v178, off, s[0:3], 0 offset:772
	;; [unrolled: 1-line block ×3, first 2 shown]
	ds_read_b128 v[127:130], v188 offset:1504
	s_waitcnt vmcnt(58) lgkmcnt(1)
	v_mul_f64 v[195:196], v[5:6], v[189:190]
	v_mul_f64 v[189:190], v[7:8], v[189:190]
	s_waitcnt vmcnt(56)
	v_fma_f64 v[147:148], v[1:2], v[141:142], -v[147:148]
	v_fma_f64 v[141:142], v[3:4], v[141:142], v[210:211]
	v_add_f64 v[135:136], v[135:136], v[199:200]
	v_add_f64 v[131:132], v[131:132], v[193:194]
	s_clause 0x4
	buffer_load_dword v194, off, s[0:3], 0 offset:812
	buffer_load_dword v199, off, s[0:3], 0 offset:824
	;; [unrolled: 1-line block ×5, first 2 shown]
	ds_read_b128 v[1:4], v188 offset:1520
	s_waitcnt vmcnt(57) lgkmcnt(1)
	v_mul_f64 v[206:207], v[127:128], v[133:134]
	v_mul_f64 v[133:134], v[129:130], v[133:134]
	s_waitcnt vmcnt(56)
	v_fma_f64 v[189:190], v[5:6], v[208:209], -v[189:190]
	v_add_f64 v[135:136], v[135:136], v[147:148]
	v_fma_f64 v[147:148], v[7:8], v[208:209], v[195:196]
	v_add_f64 v[131:132], v[131:132], v[141:142]
	s_clause 0x2
	buffer_load_dword v200, off, s[0:3], 0 offset:828
	buffer_load_dword v142, off, s[0:3], 0 offset:804
	;; [unrolled: 1-line block ×3, first 2 shown]
	ds_read_b128 v[5:8], v188 offset:1536
	s_waitcnt vmcnt(58) lgkmcnt(1)
	v_mul_f64 v[195:196], v[1:2], v[151:152]
	v_mul_f64 v[151:152], v[3:4], v[151:152]
	s_waitcnt vmcnt(56)
	v_fma_f64 v[133:134], v[127:128], v[139:140], -v[133:134]
	v_fma_f64 v[139:140], v[129:130], v[139:140], v[206:207]
	v_add_f64 v[135:136], v[135:136], v[189:190]
	v_add_f64 v[131:132], v[131:132], v[147:148]
	s_clause 0x4
	buffer_load_dword v148, off, s[0:3], 0 offset:844
	buffer_load_dword v189, off, s[0:3], 0 offset:856
	buffer_load_dword v207, off, s[0:3], 0 offset:848
	buffer_load_dword v147, off, s[0:3], 0 offset:840
	buffer_load_dword v206, off, s[0:3], 0 offset:820
	ds_read_b128 v[127:130], v188 offset:1552
	s_waitcnt vmcnt(57) lgkmcnt(1)
	v_mul_f64 v[208:209], v[5:6], v[137:138]
	v_mul_f64 v[137:138], v[7:8], v[137:138]
	s_waitcnt vmcnt(56)
	v_fma_f64 v[151:152], v[1:2], v[203:204], -v[151:152]
	v_add_f64 v[133:134], v[135:136], v[133:134]
	v_fma_f64 v[135:136], v[3:4], v[203:204], v[195:196]
	v_add_f64 v[131:132], v[131:132], v[139:140]
	s_clause 0x2
	buffer_load_dword v190, off, s[0:3], 0 offset:860
	buffer_load_dword v140, off, s[0:3], 0 offset:836
	;; [unrolled: 1-line block ×3, first 2 shown]
	s_waitcnt vmcnt(58) lgkmcnt(0)
	v_mul_f64 v[195:196], v[127:128], v[159:160]
	v_mul_f64 v[159:160], v[129:130], v[159:160]
	ds_read_b128 v[1:4], v188 offset:1568
	s_waitcnt vmcnt(56)
	v_fma_f64 v[137:138], v[5:6], v[145:146], -v[137:138]
	v_fma_f64 v[145:146], v[7:8], v[145:146], v[208:209]
	v_add_f64 v[133:134], v[133:134], v[151:152]
	v_add_f64 v[131:132], v[131:132], v[135:136]
	s_clause 0x4
	buffer_load_dword v136, off, s[0:3], 0 offset:876
	buffer_load_dword v151, off, s[0:3], 0 offset:888
	;; [unrolled: 1-line block ×5, first 2 shown]
	ds_read_b128 v[5:8], v188 offset:1584
	s_waitcnt vmcnt(57) lgkmcnt(1)
	v_mul_f64 v[209:210], v[1:2], v[143:144]
	v_mul_f64 v[143:144], v[3:4], v[143:144]
	s_waitcnt vmcnt(56)
	v_fma_f64 v[159:160], v[127:128], v[183:184], -v[159:160]
	v_add_f64 v[133:134], v[133:134], v[137:138]
	v_fma_f64 v[137:138], v[129:130], v[183:184], v[195:196]
	v_add_f64 v[131:132], v[131:132], v[145:146]
	s_clause 0x2
	buffer_load_dword v152, off, s[0:3], 0 offset:892
	buffer_load_dword v146, off, s[0:3], 0 offset:868
	;; [unrolled: 1-line block ×3, first 2 shown]
	s_waitcnt vmcnt(58) lgkmcnt(0)
	v_mul_f64 v[183:184], v[5:6], v[165:166]
	v_mul_f64 v[165:166], v[7:8], v[165:166]
	ds_read_b128 v[127:130], v188 offset:1600
	s_waitcnt vmcnt(56)
	v_fma_f64 v[143:144], v[1:2], v[155:156], -v[143:144]
	v_fma_f64 v[155:156], v[3:4], v[155:156], v[209:210]
	v_add_f64 v[133:134], v[133:134], v[159:160]
	v_add_f64 v[131:132], v[131:132], v[137:138]
	s_clause 0x4
	buffer_load_dword v138, off, s[0:3], 0 offset:908
	buffer_load_dword v159, off, s[0:3], 0 offset:920
	;; [unrolled: 1-line block ×5, first 2 shown]
	ds_read_b128 v[1:4], v188 offset:1616
	s_waitcnt vmcnt(57) lgkmcnt(1)
	v_mul_f64 v[209:210], v[127:128], v[149:150]
	v_mul_f64 v[149:150], v[129:130], v[149:150]
	s_waitcnt vmcnt(56)
	v_fma_f64 v[165:166], v[5:6], v[167:168], -v[165:166]
	v_add_f64 v[133:134], v[133:134], v[143:144]
	v_fma_f64 v[143:144], v[7:8], v[167:168], v[183:184]
	v_add_f64 v[131:132], v[131:132], v[155:156]
	s_clause 0x2
	buffer_load_dword v160, off, s[0:3], 0 offset:924
	buffer_load_dword v156, off, s[0:3], 0 offset:900
	;; [unrolled: 1-line block ×3, first 2 shown]
	ds_read_b128 v[5:8], v188 offset:1632
	s_waitcnt vmcnt(58) lgkmcnt(1)
	v_mul_f64 v[167:168], v[1:2], v[173:174]
	v_mul_f64 v[173:174], v[3:4], v[173:174]
	s_waitcnt vmcnt(56)
	v_fma_f64 v[149:150], v[127:128], v[153:154], -v[149:150]
	v_fma_f64 v[153:154], v[129:130], v[153:154], v[209:210]
	v_add_f64 v[133:134], v[133:134], v[165:166]
	v_add_f64 v[131:132], v[131:132], v[143:144]
	s_clause 0x4
	buffer_load_dword v144, off, s[0:3], 0 offset:940
	buffer_load_dword v165, off, s[0:3], 0 offset:952
	;; [unrolled: 1-line block ×5, first 2 shown]
	ds_read_b128 v[127:130], v188 offset:1648
	s_waitcnt vmcnt(57) lgkmcnt(1)
	v_mul_f64 v[209:210], v[5:6], v[157:158]
	v_mul_f64 v[157:158], v[7:8], v[157:158]
	s_waitcnt vmcnt(56)
	v_fma_f64 v[173:174], v[1:2], v[175:176], -v[173:174]
	v_add_f64 v[133:134], v[133:134], v[149:150]
	v_fma_f64 v[149:150], v[3:4], v[175:176], v[167:168]
	v_add_f64 v[131:132], v[131:132], v[153:154]
	s_clause 0x2
	buffer_load_dword v166, off, s[0:3], 0 offset:956
	buffer_load_dword v154, off, s[0:3], 0 offset:932
	;; [unrolled: 1-line block ×3, first 2 shown]
	ds_read_b128 v[1:4], v188 offset:1664
	buffer_load_dword v184, off, s[0:3], 0 offset:948
	s_waitcnt vmcnt(59) lgkmcnt(1)
	v_mul_f64 v[175:176], v[129:130], v[179:180]
	v_mul_f64 v[167:168], v[127:128], v[179:180]
	s_waitcnt vmcnt(57)
	v_fma_f64 v[157:158], v[5:6], v[161:162], -v[157:158]
	v_fma_f64 v[161:162], v[7:8], v[161:162], v[209:210]
	ds_read_b128 v[5:8], v188 offset:1680
	v_add_f64 v[133:134], v[133:134], v[173:174]
	v_add_f64 v[131:132], v[131:132], v[149:150]
	s_waitcnt vmcnt(53) lgkmcnt(1)
	v_mul_f64 v[149:150], v[1:2], v[163:164]
	v_mul_f64 v[163:164], v[3:4], v[163:164]
	s_waitcnt vmcnt(52)
	v_fma_f64 v[173:174], v[127:128], v[181:182], -v[175:176]
	v_add_f64 v[133:134], v[133:134], v[157:158]
	v_fma_f64 v[157:158], v[129:130], v[181:182], v[167:168]
	v_add_f64 v[131:132], v[131:132], v[161:162]
	ds_read_b128 v[127:130], v188 offset:1696
	s_waitcnt vmcnt(51) lgkmcnt(1)
	v_mul_f64 v[167:168], v[7:8], v[185:186]
	v_mul_f64 v[161:162], v[5:6], v[185:186]
	s_waitcnt vmcnt(49)
	v_fma_f64 v[163:164], v[1:2], v[169:170], -v[163:164]
	v_fma_f64 v[149:150], v[3:4], v[169:170], v[149:150]
	v_add_f64 v[133:134], v[133:134], v[173:174]
	v_add_f64 v[131:132], v[131:132], v[157:158]
	s_clause 0x3
	buffer_load_dword v157, off, s[0:3], 0 offset:224
	buffer_load_dword v158, off, s[0:3], 0 offset:228
	;; [unrolled: 1-line block ×4, first 2 shown]
	ds_read_b128 v[1:4], v188 offset:1712
	s_waitcnt vmcnt(49) lgkmcnt(1)
	v_mul_f64 v[173:174], v[127:128], v[171:172]
	v_mul_f64 v[171:172], v[129:130], v[171:172]
	s_waitcnt vmcnt(48)
	v_fma_f64 v[167:168], v[5:6], v[197:198], -v[167:168]
	v_fma_f64 v[161:162], v[7:8], v[197:198], v[161:162]
	ds_read_b128 v[5:8], v188 offset:1728
	v_add_f64 v[133:134], v[133:134], v[163:164]
	v_add_f64 v[131:132], v[131:132], v[149:150]
	s_waitcnt vmcnt(47) lgkmcnt(1)
	v_mul_f64 v[163:164], v[3:4], v[191:192]
	v_mul_f64 v[149:150], v[1:2], v[191:192]
	s_waitcnt vmcnt(45)
	v_fma_f64 v[171:172], v[127:128], v[177:178], -v[171:172]
	v_add_f64 v[133:134], v[133:134], v[167:168]
	v_fma_f64 v[167:168], v[129:130], v[177:178], v[173:174]
	v_add_f64 v[131:132], v[131:132], v[161:162]
	ds_read_b128 v[127:130], v188 offset:1744
	s_waitcnt vmcnt(41) lgkmcnt(1)
	v_mul_f64 v[173:174], v[7:8], v[193:194]
	s_waitcnt vmcnt(40)
	v_fma_f64 v[163:164], v[1:2], v[201:202], -v[163:164]
	v_mul_f64 v[161:162], v[5:6], v[193:194]
	v_fma_f64 v[149:150], v[3:4], v[201:202], v[149:150]
	ds_read_b128 v[1:4], v188 offset:1760
	v_add_f64 v[133:134], v[133:134], v[171:172]
	v_add_f64 v[131:132], v[131:132], v[167:168]
	s_waitcnt vmcnt(39) lgkmcnt(1)
	v_mul_f64 v[171:172], v[129:130], v[199:200]
	v_mul_f64 v[167:168], v[127:128], v[199:200]
	s_waitcnt vmcnt(37)
	v_fma_f64 v[173:174], v[5:6], v[141:142], -v[173:174]
	v_fma_f64 v[141:142], v[7:8], v[141:142], v[161:162]
	ds_read_b128 v[5:8], v188 offset:1776
	v_add_f64 v[133:134], v[133:134], v[163:164]
	v_add_f64 v[131:132], v[131:132], v[149:150]
	s_waitcnt vmcnt(33) lgkmcnt(1)
	v_mul_f64 v[149:150], v[1:2], v[147:148]
	v_mul_f64 v[147:148], v[3:4], v[147:148]
	s_waitcnt vmcnt(32)
	v_fma_f64 v[161:162], v[127:128], v[205:206], -v[171:172]
	;; [unrolled: 9-line block ×6, first 2 shown]
	v_add_f64 v[133:134], v[133:134], v[135:136]
	v_fma_f64 v[135:136], v[3:4], v[203:204], v[139:140]
	v_add_f64 v[131:132], v[131:132], v[145:146]
	ds_read_b128 v[1:4], v188 offset:1856
	s_waitcnt vmcnt(15) lgkmcnt(1)
	v_mul_f64 v[145:146], v[129:130], v[159:160]
	v_mul_f64 v[139:140], v[127:128], v[159:160]
	s_waitcnt vmcnt(13)
	v_fma_f64 v[137:138], v[5:6], v[155:156], -v[137:138]
	v_fma_f64 v[141:142], v[7:8], v[155:156], v[141:142]
	ds_read_b128 v[5:8], v188 offset:1872
	v_add_f64 v[133:134], v[133:134], v[147:148]
	v_add_f64 v[131:132], v[131:132], v[135:136]
	s_waitcnt vmcnt(9) lgkmcnt(1)
	v_mul_f64 v[135:136], v[1:2], v[143:144]
	v_mul_f64 v[143:144], v[3:4], v[143:144]
	s_waitcnt vmcnt(8)
	v_fma_f64 v[127:128], v[127:128], v[195:196], -v[145:146]
	v_fma_f64 v[129:130], v[129:130], v[195:196], v[139:140]
	v_add_f64 v[133:134], v[133:134], v[137:138]
	v_add_f64 v[131:132], v[131:132], v[141:142]
	s_waitcnt vmcnt(7) lgkmcnt(0)
	v_mul_f64 v[139:140], v[7:8], v[165:166]
	v_mul_f64 v[137:138], v[5:6], v[165:166]
	s_waitcnt vmcnt(5)
	v_fma_f64 v[1:2], v[1:2], v[153:154], -v[143:144]
	v_fma_f64 v[3:4], v[3:4], v[153:154], v[135:136]
	v_add_f64 v[127:128], v[133:134], v[127:128]
	v_add_f64 v[129:130], v[131:132], v[129:130]
	s_waitcnt vmcnt(4)
	v_fma_f64 v[5:6], v[5:6], v[183:184], -v[139:140]
	v_fma_f64 v[7:8], v[7:8], v[183:184], v[137:138]
	v_add_f64 v[1:2], v[127:128], v[1:2]
	v_add_f64 v[3:4], v[129:130], v[3:4]
	v_add_f64 v[1:2], v[1:2], v[5:6]
	v_add_f64 v[3:4], v[3:4], v[7:8]
	s_waitcnt vmcnt(2)
	v_add_f64 v[1:2], v[157:158], -v[1:2]
	s_waitcnt vmcnt(0)
	v_add_f64 v[3:4], v[169:170], -v[3:4]
	buffer_store_dword v2, off, s[0:3], 0 offset:228
	buffer_store_dword v1, off, s[0:3], 0 offset:224
	;; [unrolled: 1-line block ×4, first 2 shown]
	v_cmpx_lt_u32_e32 12, v0
	s_cbranch_execz .LBB122_343
; %bb.342:
	v_mov_b32_e32 v4, s59
	s_clause 0x3
	buffer_load_dword v1, v4, s[0:3], 0 offen
	buffer_load_dword v2, v4, s[0:3], 0 offen offset:4
	buffer_load_dword v3, v4, s[0:3], 0 offen offset:8
	;; [unrolled: 1-line block ×3, first 2 shown]
	buffer_store_dword v188, off, s[0:3], 0 offset:208
	buffer_store_dword v188, off, s[0:3], 0 offset:212
	;; [unrolled: 1-line block ×4, first 2 shown]
	s_waitcnt vmcnt(0)
	ds_write_b128 v187, v[1:4]
.LBB122_343:
	s_or_b32 exec_lo, exec_lo, s4
	s_waitcnt lgkmcnt(0)
	s_waitcnt_vscnt null, 0x0
	s_barrier
	buffer_gl0_inv
	s_clause 0x37
	buffer_load_dword v135, off, s[0:3], 0 offset:232
	buffer_load_dword v136, off, s[0:3], 0 offset:236
	;; [unrolled: 1-line block ×56, first 2 shown]
	ds_read_b128 v[5:8], v188 offset:1152
	s_clause 0x2
	buffer_load_dword v184, off, s[0:3], 0 offset:460
	buffer_load_dword v186, off, s[0:3], 0 offset:436
	;; [unrolled: 1-line block ×3, first 2 shown]
	ds_read_b128 v[1:4], v188 offset:1168
	s_clause 0x4
	buffer_load_dword v196, off, s[0:3], 0 offset:476
	buffer_load_dword v197, off, s[0:3], 0 offset:488
	buffer_load_dword v199, off, s[0:3], 0 offset:480
	buffer_load_dword v195, off, s[0:3], 0 offset:472
	buffer_load_dword v176, off, s[0:3], 0 offset:452
	ds_read_b128 v[189:192], v188 offset:1184
	s_mov_b32 s4, exec_lo
	s_waitcnt vmcnt(62) lgkmcnt(2)
	v_mul_f64 v[193:194], v[7:8], v[135:136]
	v_mul_f64 v[135:136], v[5:6], v[135:136]
	s_waitcnt vmcnt(60) lgkmcnt(1)
	v_mul_f64 v[200:201], v[3:4], v[131:132]
	v_mul_f64 v[131:132], v[1:2], v[131:132]
	;; [unrolled: 3-line block ×3, first 2 shown]
	v_fma_f64 v[193:194], v[5:6], v[133:134], -v[193:194]
	v_fma_f64 v[133:134], v[7:8], v[133:134], v[135:136]
	s_clause 0x2
	buffer_load_dword v198, off, s[0:3], 0 offset:492
	buffer_load_dword v136, off, s[0:3], 0 offset:468
	;; [unrolled: 1-line block ×3, first 2 shown]
	s_waitcnt vmcnt(57)
	v_fma_f64 v[204:205], v[1:2], v[127:128], -v[200:201]
	ds_read_b128 v[5:8], v188 offset:1200
	v_fma_f64 v[127:128], v[3:4], v[127:128], v[131:132]
	s_waitcnt vmcnt(51)
	v_fma_f64 v[189:190], v[189:190], v[151:152], -v[129:130]
	v_fma_f64 v[151:152], v[191:192], v[151:152], v[202:203]
	v_add_f64 v[193:194], v[193:194], 0
	v_add_f64 v[131:132], v[133:134], 0
	s_clause 0x4
	buffer_load_dword v134, off, s[0:3], 0 offset:508
	buffer_load_dword v201, off, s[0:3], 0 offset:520
	;; [unrolled: 1-line block ×5, first 2 shown]
	s_waitcnt lgkmcnt(0)
	v_mul_f64 v[207:208], v[5:6], v[139:140]
	v_mul_f64 v[139:140], v[7:8], v[139:140]
	ds_read_b128 v[1:4], v188 offset:1216
	s_clause 0x2
	buffer_load_dword v202, off, s[0:3], 0 offset:524
	buffer_load_dword v192, off, s[0:3], 0 offset:500
	;; [unrolled: 1-line block ×3, first 2 shown]
	v_add_f64 v[193:194], v[193:194], v[204:205]
	v_add_f64 v[131:132], v[131:132], v[127:128]
	ds_read_b128 v[127:130], v188 offset:1232
	s_waitcnt vmcnt(58) lgkmcnt(1)
	v_mul_f64 v[203:204], v[1:2], v[143:144]
	v_mul_f64 v[143:144], v[3:4], v[143:144]
	s_waitcnt vmcnt(56)
	v_fma_f64 v[139:140], v[5:6], v[145:146], -v[139:140]
	v_fma_f64 v[145:146], v[7:8], v[145:146], v[207:208]
	s_waitcnt vmcnt(52) lgkmcnt(0)
	v_mul_f64 v[209:210], v[127:128], v[147:148]
	v_add_f64 v[189:190], v[193:194], v[189:190]
	v_add_f64 v[131:132], v[131:132], v[151:152]
	s_clause 0x4
	buffer_load_dword v152, off, s[0:3], 0 offset:540
	buffer_load_dword v193, off, s[0:3], 0 offset:552
	;; [unrolled: 1-line block ×5, first 2 shown]
	v_mul_f64 v[147:148], v[129:130], v[147:148]
	s_waitcnt vmcnt(56)
	v_fma_f64 v[143:144], v[1:2], v[137:138], -v[143:144]
	ds_read_b128 v[5:8], v188 offset:1248
	v_fma_f64 v[137:138], v[3:4], v[137:138], v[203:204]
	v_add_f64 v[139:140], v[189:190], v[139:140]
	v_add_f64 v[131:132], v[131:132], v[145:146]
	s_clause 0x2
	buffer_load_dword v194, off, s[0:3], 0 offset:556
	buffer_load_dword v146, off, s[0:3], 0 offset:532
	buffer_load_dword v145, off, s[0:3], 0 offset:528
	s_waitcnt vmcnt(58) lgkmcnt(0)
	v_mul_f64 v[189:190], v[5:6], v[153:154]
	v_mul_f64 v[153:154], v[7:8], v[153:154]
	s_waitcnt vmcnt(56)
	v_fma_f64 v[147:148], v[127:128], v[155:156], -v[147:148]
	ds_read_b128 v[1:4], v188 offset:1264
	v_add_f64 v[139:140], v[139:140], v[143:144]
	v_fma_f64 v[143:144], v[129:130], v[155:156], v[209:210]
	v_add_f64 v[131:132], v[131:132], v[137:138]
	s_clause 0x4
	buffer_load_dword v138, off, s[0:3], 0 offset:572
	buffer_load_dword v155, off, s[0:3], 0 offset:584
	;; [unrolled: 1-line block ×5, first 2 shown]
	s_waitcnt vmcnt(57) lgkmcnt(0)
	v_mul_f64 v[204:205], v[1:2], v[157:158]
	v_mul_f64 v[157:158], v[3:4], v[157:158]
	s_waitcnt vmcnt(56)
	v_fma_f64 v[153:154], v[5:6], v[141:142], -v[153:154]
	ds_read_b128 v[127:130], v188 offset:1280
	v_fma_f64 v[141:142], v[7:8], v[141:142], v[189:190]
	v_add_f64 v[139:140], v[139:140], v[147:148]
	v_add_f64 v[131:132], v[131:132], v[143:144]
	s_clause 0x2
	buffer_load_dword v156, off, s[0:3], 0 offset:588
	buffer_load_dword v144, off, s[0:3], 0 offset:564
	;; [unrolled: 1-line block ×3, first 2 shown]
	ds_read_b128 v[5:8], v188 offset:1296
	s_waitcnt vmcnt(58) lgkmcnt(1)
	v_mul_f64 v[147:148], v[127:128], v[161:162]
	v_mul_f64 v[161:162], v[129:130], v[161:162]
	s_waitcnt vmcnt(56)
	v_fma_f64 v[157:158], v[1:2], v[163:164], -v[157:158]
	v_add_f64 v[139:140], v[139:140], v[153:154]
	v_fma_f64 v[153:154], v[3:4], v[163:164], v[204:205]
	v_add_f64 v[131:132], v[131:132], v[141:142]
	s_clause 0x4
	buffer_load_dword v142, off, s[0:3], 0 offset:604
	buffer_load_dword v163, off, s[0:3], 0 offset:616
	;; [unrolled: 1-line block ×5, first 2 shown]
	s_waitcnt vmcnt(57) lgkmcnt(0)
	v_mul_f64 v[210:211], v[5:6], v[165:166]
	v_mul_f64 v[165:166], v[7:8], v[165:166]
	s_waitcnt vmcnt(56)
	v_fma_f64 v[161:162], v[127:128], v[149:150], -v[161:162]
	ds_read_b128 v[1:4], v188 offset:1312
	v_fma_f64 v[147:148], v[129:130], v[149:150], v[147:148]
	s_clause 0x2
	buffer_load_dword v164, off, s[0:3], 0 offset:620
	buffer_load_dword v150, off, s[0:3], 0 offset:596
	;; [unrolled: 1-line block ×3, first 2 shown]
	ds_read_b128 v[127:130], v188 offset:1328
	v_add_f64 v[139:140], v[139:140], v[157:158]
	v_add_f64 v[131:132], v[131:132], v[153:154]
	s_waitcnt vmcnt(58) lgkmcnt(1)
	v_mul_f64 v[157:158], v[3:4], v[169:170]
	s_waitcnt vmcnt(56)
	v_fma_f64 v[165:166], v[5:6], v[171:172], -v[165:166]
	v_mul_f64 v[153:154], v[1:2], v[169:170]
	v_add_f64 v[139:140], v[139:140], v[161:162]
	v_fma_f64 v[161:162], v[7:8], v[171:172], v[210:211]
	v_add_f64 v[131:132], v[131:132], v[147:148]
	s_clause 0x4
	buffer_load_dword v148, off, s[0:3], 0 offset:636
	buffer_load_dword v169, off, s[0:3], 0 offset:648
	;; [unrolled: 1-line block ×5, first 2 shown]
	s_waitcnt vmcnt(57) lgkmcnt(0)
	v_mul_f64 v[210:211], v[127:128], v[173:174]
	v_mul_f64 v[172:173], v[129:130], v[173:174]
	s_waitcnt vmcnt(56)
	v_fma_f64 v[157:158], v[1:2], v[159:160], -v[157:158]
	ds_read_b128 v[5:8], v188 offset:1344
	v_fma_f64 v[153:154], v[3:4], v[159:160], v[153:154]
	s_clause 0x2
	buffer_load_dword v170, off, s[0:3], 0 offset:652
	buffer_load_dword v160, off, s[0:3], 0 offset:628
	;; [unrolled: 1-line block ×3, first 2 shown]
	ds_read_b128 v[1:4], v188 offset:1360
	v_add_f64 v[139:140], v[139:140], v[165:166]
	v_add_f64 v[131:132], v[131:132], v[161:162]
	s_waitcnt vmcnt(58) lgkmcnt(1)
	v_mul_f64 v[165:166], v[7:8], v[177:178]
	s_waitcnt vmcnt(56)
	v_fma_f64 v[173:174], v[127:128], v[179:180], -v[172:173]
	v_mul_f64 v[161:162], v[5:6], v[177:178]
	v_add_f64 v[139:140], v[139:140], v[157:158]
	v_fma_f64 v[157:158], v[129:130], v[179:180], v[210:211]
	v_add_f64 v[131:132], v[131:132], v[153:154]
	s_clause 0x4
	buffer_load_dword v154, off, s[0:3], 0 offset:668
	buffer_load_dword v177, off, s[0:3], 0 offset:680
	;; [unrolled: 1-line block ×5, first 2 shown]
	s_waitcnt vmcnt(57) lgkmcnt(0)
	v_mul_f64 v[210:211], v[1:2], v[181:182]
	v_mul_f64 v[180:181], v[3:4], v[181:182]
	s_waitcnt vmcnt(56)
	v_fma_f64 v[165:166], v[5:6], v[167:168], -v[165:166]
	ds_read_b128 v[127:130], v188 offset:1376
	v_fma_f64 v[161:162], v[7:8], v[167:168], v[161:162]
	v_add_f64 v[139:140], v[139:140], v[173:174]
	v_add_f64 v[131:132], v[131:132], v[157:158]
	s_clause 0x2
	buffer_load_dword v178, off, s[0:3], 0 offset:684
	buffer_load_dword v158, off, s[0:3], 0 offset:660
	;; [unrolled: 1-line block ×3, first 2 shown]
	ds_read_b128 v[5:8], v188 offset:1392
	s_waitcnt vmcnt(58) lgkmcnt(1)
	v_mul_f64 v[173:174], v[129:130], v[183:184]
	s_waitcnt vmcnt(56)
	v_fma_f64 v[181:182], v[1:2], v[185:186], -v[180:181]
	v_mul_f64 v[167:168], v[127:128], v[183:184]
	v_add_f64 v[139:140], v[139:140], v[165:166]
	v_fma_f64 v[165:166], v[3:4], v[185:186], v[210:211]
	v_add_f64 v[131:132], v[131:132], v[161:162]
	s_clause 0x4
	buffer_load_dword v162, off, s[0:3], 0 offset:700
	buffer_load_dword v183, off, s[0:3], 0 offset:712
	;; [unrolled: 1-line block ×5, first 2 shown]
	s_waitcnt vmcnt(57) lgkmcnt(0)
	v_mul_f64 v[210:211], v[5:6], v[195:196]
	v_mul_f64 v[195:196], v[7:8], v[195:196]
	s_waitcnt vmcnt(56)
	v_fma_f64 v[173:174], v[127:128], v[175:176], -v[173:174]
	ds_read_b128 v[1:4], v188 offset:1408
	v_fma_f64 v[167:168], v[129:130], v[175:176], v[167:168]
	v_add_f64 v[139:140], v[139:140], v[181:182]
	v_add_f64 v[131:132], v[131:132], v[165:166]
	s_clause 0x2
	buffer_load_dword v184, off, s[0:3], 0 offset:716
	buffer_load_dword v166, off, s[0:3], 0 offset:692
	;; [unrolled: 1-line block ×3, first 2 shown]
	ds_read_b128 v[127:130], v188 offset:1424
	s_waitcnt vmcnt(58) lgkmcnt(1)
	v_mul_f64 v[181:182], v[3:4], v[197:198]
	v_mul_f64 v[175:176], v[1:2], v[197:198]
	s_waitcnt vmcnt(56)
	v_fma_f64 v[195:196], v[5:6], v[135:136], -v[195:196]
	v_fma_f64 v[135:136], v[7:8], v[135:136], v[210:211]
	v_add_f64 v[139:140], v[139:140], v[173:174]
	v_add_f64 v[131:132], v[131:132], v[167:168]
	s_clause 0x4
	buffer_load_dword v168, off, s[0:3], 0 offset:732
	buffer_load_dword v173, off, s[0:3], 0 offset:744
	;; [unrolled: 1-line block ×5, first 2 shown]
	ds_read_b128 v[5:8], v188 offset:1440
	s_waitcnt vmcnt(57) lgkmcnt(1)
	v_mul_f64 v[210:211], v[127:128], v[133:134]
	v_mul_f64 v[133:134], v[129:130], v[133:134]
	s_waitcnt vmcnt(56)
	v_fma_f64 v[181:182], v[1:2], v[199:200], -v[181:182]
	v_fma_f64 v[175:176], v[3:4], v[199:200], v[175:176]
	v_add_f64 v[139:140], v[139:140], v[195:196]
	v_add_f64 v[131:132], v[131:132], v[135:136]
	s_clause 0x2
	buffer_load_dword v174, off, s[0:3], 0 offset:748
	buffer_load_dword v136, off, s[0:3], 0 offset:724
	;; [unrolled: 1-line block ×3, first 2 shown]
	s_waitcnt vmcnt(58) lgkmcnt(0)
	v_mul_f64 v[199:200], v[7:8], v[201:202]
	ds_read_b128 v[1:4], v188 offset:1456
	v_mul_f64 v[195:196], v[5:6], v[201:202]
	s_waitcnt vmcnt(56)
	v_fma_f64 v[133:134], v[127:128], v[191:192], -v[133:134]
	v_add_f64 v[139:140], v[139:140], v[181:182]
	v_fma_f64 v[181:182], v[129:130], v[191:192], v[210:211]
	v_add_f64 v[131:132], v[131:132], v[175:176]
	s_clause 0x4
	buffer_load_dword v176, off, s[0:3], 0 offset:764
	buffer_load_dword v191, off, s[0:3], 0 offset:776
	;; [unrolled: 1-line block ×5, first 2 shown]
	ds_read_b128 v[127:130], v188 offset:1472
	s_waitcnt vmcnt(57) lgkmcnt(1)
	v_mul_f64 v[210:211], v[1:2], v[151:152]
	v_mul_f64 v[151:152], v[3:4], v[151:152]
	s_waitcnt vmcnt(56)
	v_fma_f64 v[199:200], v[5:6], v[206:207], -v[199:200]
	v_add_f64 v[133:134], v[139:140], v[133:134]
	v_fma_f64 v[139:140], v[7:8], v[206:207], v[195:196]
	v_add_f64 v[131:132], v[131:132], v[181:182]
	s_clause 0x2
	buffer_load_dword v192, off, s[0:3], 0 offset:780
	buffer_load_dword v182, off, s[0:3], 0 offset:756
	;; [unrolled: 1-line block ×3, first 2 shown]
	ds_read_b128 v[5:8], v188 offset:1488
	s_waitcnt vmcnt(58) lgkmcnt(1)
	v_mul_f64 v[195:196], v[127:128], v[193:194]
	v_mul_f64 v[193:194], v[129:130], v[193:194]
	s_waitcnt vmcnt(56)
	v_fma_f64 v[151:152], v[1:2], v[145:146], -v[151:152]
	v_fma_f64 v[145:146], v[3:4], v[145:146], v[210:211]
	v_add_f64 v[133:134], v[133:134], v[199:200]
	v_add_f64 v[131:132], v[131:132], v[139:140]
	s_clause 0x4
	buffer_load_dword v140, off, s[0:3], 0 offset:796
	buffer_load_dword v199, off, s[0:3], 0 offset:808
	;; [unrolled: 1-line block ×5, first 2 shown]
	ds_read_b128 v[1:4], v188 offset:1504
	s_waitcnt vmcnt(57) lgkmcnt(1)
	v_mul_f64 v[206:207], v[5:6], v[137:138]
	v_mul_f64 v[137:138], v[7:8], v[137:138]
	s_waitcnt vmcnt(56)
	v_fma_f64 v[193:194], v[127:128], v[208:209], -v[193:194]
	v_add_f64 v[133:134], v[133:134], v[151:152]
	v_fma_f64 v[151:152], v[129:130], v[208:209], v[195:196]
	v_add_f64 v[131:132], v[131:132], v[145:146]
	s_clause 0x2
	buffer_load_dword v200, off, s[0:3], 0 offset:812
	buffer_load_dword v146, off, s[0:3], 0 offset:788
	;; [unrolled: 1-line block ×3, first 2 shown]
	ds_read_b128 v[127:130], v188 offset:1520
	s_waitcnt vmcnt(58) lgkmcnt(1)
	v_mul_f64 v[195:196], v[1:2], v[155:156]
	v_mul_f64 v[155:156], v[3:4], v[155:156]
	s_waitcnt vmcnt(56)
	v_fma_f64 v[137:138], v[5:6], v[143:144], -v[137:138]
	v_fma_f64 v[143:144], v[7:8], v[143:144], v[206:207]
	v_add_f64 v[133:134], v[133:134], v[193:194]
	v_add_f64 v[131:132], v[131:132], v[151:152]
	s_clause 0x4
	buffer_load_dword v152, off, s[0:3], 0 offset:828
	buffer_load_dword v193, off, s[0:3], 0 offset:840
	buffer_load_dword v207, off, s[0:3], 0 offset:832
	buffer_load_dword v151, off, s[0:3], 0 offset:824
	buffer_load_dword v206, off, s[0:3], 0 offset:804
	ds_read_b128 v[5:8], v188 offset:1536
	s_waitcnt vmcnt(57) lgkmcnt(1)
	v_mul_f64 v[208:209], v[127:128], v[141:142]
	v_mul_f64 v[141:142], v[129:130], v[141:142]
	s_waitcnt vmcnt(56)
	v_fma_f64 v[155:156], v[1:2], v[203:204], -v[155:156]
	v_add_f64 v[133:134], v[133:134], v[137:138]
	v_fma_f64 v[137:138], v[3:4], v[203:204], v[195:196]
	v_add_f64 v[131:132], v[131:132], v[143:144]
	s_clause 0x2
	buffer_load_dword v194, off, s[0:3], 0 offset:844
	buffer_load_dword v144, off, s[0:3], 0 offset:820
	;; [unrolled: 1-line block ×3, first 2 shown]
	s_waitcnt vmcnt(58) lgkmcnt(0)
	v_mul_f64 v[195:196], v[5:6], v[163:164]
	v_mul_f64 v[163:164], v[7:8], v[163:164]
	ds_read_b128 v[1:4], v188 offset:1552
	s_waitcnt vmcnt(56)
	v_fma_f64 v[141:142], v[127:128], v[149:150], -v[141:142]
	v_fma_f64 v[149:150], v[129:130], v[149:150], v[208:209]
	v_add_f64 v[133:134], v[133:134], v[155:156]
	v_add_f64 v[131:132], v[131:132], v[137:138]
	s_clause 0x4
	buffer_load_dword v138, off, s[0:3], 0 offset:860
	buffer_load_dword v155, off, s[0:3], 0 offset:872
	;; [unrolled: 1-line block ×5, first 2 shown]
	ds_read_b128 v[127:130], v188 offset:1568
	s_waitcnt vmcnt(57) lgkmcnt(1)
	v_mul_f64 v[209:210], v[1:2], v[147:148]
	v_mul_f64 v[147:148], v[3:4], v[147:148]
	s_waitcnt vmcnt(56)
	v_fma_f64 v[163:164], v[5:6], v[189:190], -v[163:164]
	v_add_f64 v[133:134], v[133:134], v[141:142]
	v_fma_f64 v[141:142], v[7:8], v[189:190], v[195:196]
	v_add_f64 v[131:132], v[131:132], v[149:150]
	s_clause 0x2
	buffer_load_dword v156, off, s[0:3], 0 offset:876
	buffer_load_dword v150, off, s[0:3], 0 offset:852
	buffer_load_dword v149, off, s[0:3], 0 offset:848
	s_waitcnt vmcnt(58) lgkmcnt(0)
	v_mul_f64 v[189:190], v[127:128], v[169:170]
	v_mul_f64 v[169:170], v[129:130], v[169:170]
	ds_read_b128 v[5:8], v188 offset:1584
	s_waitcnt vmcnt(56)
	v_fma_f64 v[147:148], v[1:2], v[159:160], -v[147:148]
	v_fma_f64 v[159:160], v[3:4], v[159:160], v[209:210]
	v_add_f64 v[133:134], v[133:134], v[163:164]
	v_add_f64 v[131:132], v[131:132], v[141:142]
	s_clause 0x4
	buffer_load_dword v142, off, s[0:3], 0 offset:892
	buffer_load_dword v163, off, s[0:3], 0 offset:904
	;; [unrolled: 1-line block ×5, first 2 shown]
	ds_read_b128 v[1:4], v188 offset:1600
	s_waitcnt vmcnt(57) lgkmcnt(1)
	v_mul_f64 v[209:210], v[5:6], v[153:154]
	v_mul_f64 v[153:154], v[7:8], v[153:154]
	s_waitcnt vmcnt(56)
	v_fma_f64 v[169:170], v[127:128], v[171:172], -v[169:170]
	v_add_f64 v[133:134], v[133:134], v[147:148]
	v_fma_f64 v[147:148], v[129:130], v[171:172], v[189:190]
	v_add_f64 v[131:132], v[131:132], v[159:160]
	s_clause 0x2
	buffer_load_dword v164, off, s[0:3], 0 offset:908
	buffer_load_dword v160, off, s[0:3], 0 offset:884
	buffer_load_dword v159, off, s[0:3], 0 offset:880
	ds_read_b128 v[127:130], v188 offset:1616
	s_waitcnt vmcnt(58) lgkmcnt(1)
	v_mul_f64 v[171:172], v[1:2], v[177:178]
	v_mul_f64 v[177:178], v[3:4], v[177:178]
	s_waitcnt vmcnt(56)
	v_fma_f64 v[153:154], v[5:6], v[157:158], -v[153:154]
	v_fma_f64 v[157:158], v[7:8], v[157:158], v[209:210]
	v_add_f64 v[133:134], v[133:134], v[169:170]
	v_add_f64 v[131:132], v[131:132], v[147:148]
	s_clause 0x4
	buffer_load_dword v148, off, s[0:3], 0 offset:924
	buffer_load_dword v169, off, s[0:3], 0 offset:936
	buffer_load_dword v189, off, s[0:3], 0 offset:928
	buffer_load_dword v147, off, s[0:3], 0 offset:920
	buffer_load_dword v196, off, s[0:3], 0 offset:900
	ds_read_b128 v[5:8], v188 offset:1632
	s_waitcnt vmcnt(57) lgkmcnt(1)
	v_mul_f64 v[209:210], v[127:128], v[161:162]
	v_mul_f64 v[161:162], v[129:130], v[161:162]
	s_waitcnt vmcnt(56)
	v_fma_f64 v[177:178], v[1:2], v[179:180], -v[177:178]
	v_add_f64 v[133:134], v[133:134], v[153:154]
	v_fma_f64 v[153:154], v[3:4], v[179:180], v[171:172]
	v_add_f64 v[131:132], v[131:132], v[157:158]
	s_clause 0x2
	buffer_load_dword v170, off, s[0:3], 0 offset:940
	buffer_load_dword v158, off, s[0:3], 0 offset:916
	;; [unrolled: 1-line block ×3, first 2 shown]
	ds_read_b128 v[1:4], v188 offset:1648
	s_waitcnt vmcnt(58) lgkmcnt(1)
	v_mul_f64 v[179:180], v[7:8], v[183:184]
	v_mul_f64 v[171:172], v[5:6], v[183:184]
	s_waitcnt vmcnt(56)
	v_fma_f64 v[161:162], v[127:128], v[165:166], -v[161:162]
	v_fma_f64 v[165:166], v[129:130], v[165:166], v[209:210]
	v_add_f64 v[133:134], v[133:134], v[177:178]
	v_add_f64 v[131:132], v[131:132], v[153:154]
	s_clause 0x2
	buffer_load_dword v154, off, s[0:3], 0 offset:956
	buffer_load_dword v153, off, s[0:3], 0 offset:952
	;; [unrolled: 1-line block ×3, first 2 shown]
	ds_read_b128 v[127:130], v188 offset:1664
	s_waitcnt vmcnt(55) lgkmcnt(1)
	v_mul_f64 v[177:178], v[1:2], v[167:168]
	v_mul_f64 v[167:168], v[3:4], v[167:168]
	s_waitcnt vmcnt(54)
	v_fma_f64 v[179:180], v[5:6], v[185:186], -v[179:180]
	v_add_f64 v[133:134], v[133:134], v[161:162]
	v_fma_f64 v[161:162], v[7:8], v[185:186], v[171:172]
	v_add_f64 v[131:132], v[131:132], v[165:166]
	s_clause 0x1
	buffer_load_dword v166, off, s[0:3], 0 offset:948
	buffer_load_dword v165, off, s[0:3], 0 offset:944
	ds_read_b128 v[5:8], v188 offset:1680
	s_waitcnt vmcnt(55) lgkmcnt(1)
	v_mul_f64 v[171:172], v[127:128], v[173:174]
	v_mul_f64 v[173:174], v[129:130], v[173:174]
	s_waitcnt vmcnt(53)
	v_fma_f64 v[167:168], v[1:2], v[135:136], -v[167:168]
	v_fma_f64 v[135:136], v[3:4], v[135:136], v[177:178]
	ds_read_b128 v[1:4], v188 offset:1696
	v_add_f64 v[133:134], v[133:134], v[179:180]
	v_add_f64 v[131:132], v[131:132], v[161:162]
	s_waitcnt vmcnt(49) lgkmcnt(1)
	v_mul_f64 v[161:162], v[5:6], v[175:176]
	v_mul_f64 v[175:176], v[7:8], v[175:176]
	s_waitcnt vmcnt(48)
	v_fma_f64 v[173:174], v[127:128], v[197:198], -v[173:174]
	v_add_f64 v[133:134], v[133:134], v[167:168]
	v_fma_f64 v[167:168], v[129:130], v[197:198], v[171:172]
	v_add_f64 v[131:132], v[131:132], v[135:136]
	s_clause 0x3
	buffer_load_dword v135, off, s[0:3], 0 offset:208
	buffer_load_dword v136, off, s[0:3], 0 offset:212
	;; [unrolled: 1-line block ×4, first 2 shown]
	ds_read_b128 v[127:130], v188 offset:1712
	s_waitcnt vmcnt(51) lgkmcnt(1)
	v_mul_f64 v[179:180], v[3:4], v[191:192]
	v_mul_f64 v[177:178], v[1:2], v[191:192]
	s_waitcnt vmcnt(49)
	v_fma_f64 v[175:176], v[5:6], v[181:182], -v[175:176]
	v_fma_f64 v[161:162], v[7:8], v[181:182], v[161:162]
	ds_read_b128 v[5:8], v188 offset:1728
	v_add_f64 v[133:134], v[133:134], v[173:174]
	v_add_f64 v[131:132], v[131:132], v[167:168]
	s_waitcnt vmcnt(45) lgkmcnt(1)
	v_mul_f64 v[167:168], v[127:128], v[139:140]
	v_mul_f64 v[139:140], v[129:130], v[139:140]
	s_waitcnt vmcnt(44)
	v_fma_f64 v[173:174], v[1:2], v[201:202], -v[179:180]
	v_add_f64 v[133:134], v[133:134], v[175:176]
	v_fma_f64 v[175:176], v[3:4], v[201:202], v[177:178]
	v_add_f64 v[131:132], v[131:132], v[161:162]
	ds_read_b128 v[1:4], v188 offset:1744
	s_waitcnt vmcnt(43) lgkmcnt(1)
	v_mul_f64 v[177:178], v[7:8], v[199:200]
	v_mul_f64 v[161:162], v[5:6], v[199:200]
	s_waitcnt vmcnt(41)
	v_fma_f64 v[139:140], v[127:128], v[145:146], -v[139:140]
	v_fma_f64 v[145:146], v[129:130], v[145:146], v[167:168]
	ds_read_b128 v[127:130], v188 offset:1760
	v_add_f64 v[133:134], v[133:134], v[173:174]
	v_add_f64 v[131:132], v[131:132], v[175:176]
	s_waitcnt vmcnt(37) lgkmcnt(1)
	v_mul_f64 v[167:168], v[1:2], v[151:152]
	v_mul_f64 v[151:152], v[3:4], v[151:152]
	s_waitcnt vmcnt(36)
	v_fma_f64 v[173:174], v[5:6], v[205:206], -v[177:178]
	v_add_f64 v[133:134], v[133:134], v[139:140]
	v_fma_f64 v[139:140], v[7:8], v[205:206], v[161:162]
	v_add_f64 v[131:132], v[131:132], v[145:146]
	ds_read_b128 v[5:8], v188 offset:1776
	s_waitcnt vmcnt(35) lgkmcnt(1)
	v_mul_f64 v[161:162], v[129:130], v[193:194]
	v_mul_f64 v[145:146], v[127:128], v[193:194]
	s_waitcnt vmcnt(33)
	v_fma_f64 v[151:152], v[1:2], v[143:144], -v[151:152]
	v_fma_f64 v[143:144], v[3:4], v[143:144], v[167:168]
	ds_read_b128 v[1:4], v188 offset:1792
	v_add_f64 v[133:134], v[133:134], v[173:174]
	v_add_f64 v[131:132], v[131:132], v[139:140]
	s_waitcnt vmcnt(29) lgkmcnt(1)
	v_mul_f64 v[139:140], v[5:6], v[137:138]
	v_mul_f64 v[137:138], v[7:8], v[137:138]
	s_waitcnt vmcnt(28)
	v_fma_f64 v[161:162], v[127:128], v[207:208], -v[161:162]
	v_fma_f64 v[145:146], v[129:130], v[207:208], v[145:146]
	ds_read_b128 v[127:130], v188 offset:1808
	v_add_f64 v[133:134], v[133:134], v[151:152]
	v_add_f64 v[131:132], v[131:132], v[143:144]
	;; [unrolled: 9-line block ×3, first 2 shown]
	s_waitcnt vmcnt(21) lgkmcnt(1)
	v_mul_f64 v[145:146], v[127:128], v[141:142]
	v_mul_f64 v[141:142], v[129:130], v[141:142]
	s_waitcnt vmcnt(20)
	v_fma_f64 v[149:150], v[1:2], v[203:204], -v[151:152]
	v_add_f64 v[133:134], v[133:134], v[137:138]
	v_fma_f64 v[137:138], v[3:4], v[203:204], v[143:144]
	v_add_f64 v[131:132], v[131:132], v[139:140]
	ds_read_b128 v[1:4], v188 offset:1840
	s_waitcnt vmcnt(19) lgkmcnt(1)
	v_mul_f64 v[143:144], v[7:8], v[163:164]
	v_mul_f64 v[139:140], v[5:6], v[163:164]
	s_waitcnt vmcnt(17)
	v_fma_f64 v[141:142], v[127:128], v[159:160], -v[141:142]
	v_fma_f64 v[145:146], v[129:130], v[159:160], v[145:146]
	ds_read_b128 v[127:130], v188 offset:1856
	v_add_f64 v[133:134], v[133:134], v[149:150]
	v_add_f64 v[131:132], v[131:132], v[137:138]
	s_waitcnt vmcnt(13) lgkmcnt(1)
	v_mul_f64 v[137:138], v[1:2], v[147:148]
	v_mul_f64 v[147:148], v[3:4], v[147:148]
	s_waitcnt vmcnt(12)
	v_fma_f64 v[143:144], v[5:6], v[195:196], -v[143:144]
	v_fma_f64 v[139:140], v[7:8], v[195:196], v[139:140]
	ds_read_b128 v[5:8], v188 offset:1872
	v_add_f64 v[133:134], v[133:134], v[141:142]
	v_add_f64 v[131:132], v[131:132], v[145:146]
	s_waitcnt vmcnt(11) lgkmcnt(1)
	v_mul_f64 v[145:146], v[129:130], v[169:170]
	v_mul_f64 v[141:142], v[127:128], v[169:170]
	s_waitcnt vmcnt(9)
	v_fma_f64 v[1:2], v[1:2], v[157:158], -v[147:148]
	v_fma_f64 v[3:4], v[3:4], v[157:158], v[137:138]
	v_add_f64 v[133:134], v[133:134], v[143:144]
	v_add_f64 v[131:132], v[131:132], v[139:140]
	s_waitcnt vmcnt(7) lgkmcnt(0)
	v_mul_f64 v[139:140], v[7:8], v[153:154]
	s_waitcnt vmcnt(6)
	v_fma_f64 v[127:128], v[127:128], v[189:190], -v[145:146]
	v_mul_f64 v[137:138], v[5:6], v[153:154]
	v_fma_f64 v[129:130], v[129:130], v[189:190], v[141:142]
	v_add_f64 v[1:2], v[133:134], v[1:2]
	v_add_f64 v[3:4], v[131:132], v[3:4]
	s_waitcnt vmcnt(4)
	v_fma_f64 v[5:6], v[5:6], v[165:166], -v[139:140]
	v_fma_f64 v[7:8], v[7:8], v[165:166], v[137:138]
	v_add_f64 v[1:2], v[1:2], v[127:128]
	v_add_f64 v[3:4], v[3:4], v[129:130]
	;; [unrolled: 1-line block ×4, first 2 shown]
	s_waitcnt vmcnt(2)
	v_add_f64 v[1:2], v[135:136], -v[1:2]
	s_waitcnt vmcnt(0)
	v_add_f64 v[3:4], v[171:172], -v[3:4]
	buffer_store_dword v2, off, s[0:3], 0 offset:212
	buffer_store_dword v1, off, s[0:3], 0 offset:208
	;; [unrolled: 1-line block ×4, first 2 shown]
	v_cmpx_lt_u32_e32 11, v0
	s_cbranch_execz .LBB122_345
; %bb.344:
	v_mov_b32_e32 v4, s60
	v_mov_b32_e32 v5, 0
	s_clause 0x3
	buffer_load_dword v1, v4, s[0:3], 0 offen
	buffer_load_dword v2, v4, s[0:3], 0 offen offset:4
	buffer_load_dword v3, v4, s[0:3], 0 offen offset:8
	;; [unrolled: 1-line block ×3, first 2 shown]
	buffer_store_dword v5, off, s[0:3], 0 offset:192
	buffer_store_dword v5, off, s[0:3], 0 offset:196
	buffer_store_dword v5, off, s[0:3], 0 offset:200
	buffer_store_dword v5, off, s[0:3], 0 offset:204
	s_waitcnt vmcnt(0)
	ds_write_b128 v187, v[1:4]
.LBB122_345:
	s_or_b32 exec_lo, exec_lo, s4
	s_waitcnt lgkmcnt(0)
	s_waitcnt_vscnt null, 0x0
	s_barrier
	buffer_gl0_inv
	s_clause 0x37
	buffer_load_dword v135, off, s[0:3], 0 offset:216
	buffer_load_dword v136, off, s[0:3], 0 offset:220
	;; [unrolled: 1-line block ×56, first 2 shown]
	v_mov_b32_e32 v188, 0
	s_mov_b32 s4, exec_lo
	ds_read_b128 v[5:8], v188 offset:1136
	s_clause 0x2
	buffer_load_dword v184, off, s[0:3], 0 offset:444
	buffer_load_dword v186, off, s[0:3], 0 offset:420
	;; [unrolled: 1-line block ×3, first 2 shown]
	ds_read_b128 v[1:4], v188 offset:1152
	s_clause 0x4
	buffer_load_dword v196, off, s[0:3], 0 offset:460
	buffer_load_dword v197, off, s[0:3], 0 offset:472
	;; [unrolled: 1-line block ×5, first 2 shown]
	ds_read_b128 v[189:192], v188 offset:1168
	s_waitcnt vmcnt(62) lgkmcnt(2)
	v_mul_f64 v[193:194], v[7:8], v[135:136]
	v_mul_f64 v[135:136], v[5:6], v[135:136]
	s_waitcnt vmcnt(60) lgkmcnt(1)
	v_mul_f64 v[200:201], v[3:4], v[131:132]
	v_mul_f64 v[131:132], v[1:2], v[131:132]
	;; [unrolled: 3-line block ×3, first 2 shown]
	v_fma_f64 v[193:194], v[5:6], v[133:134], -v[193:194]
	v_fma_f64 v[133:134], v[7:8], v[133:134], v[135:136]
	s_clause 0x2
	buffer_load_dword v198, off, s[0:3], 0 offset:476
	buffer_load_dword v136, off, s[0:3], 0 offset:452
	;; [unrolled: 1-line block ×3, first 2 shown]
	s_waitcnt vmcnt(57)
	v_fma_f64 v[204:205], v[1:2], v[127:128], -v[200:201]
	ds_read_b128 v[5:8], v188 offset:1184
	v_fma_f64 v[127:128], v[3:4], v[127:128], v[131:132]
	s_waitcnt vmcnt(51)
	v_fma_f64 v[189:190], v[189:190], v[151:152], -v[129:130]
	v_fma_f64 v[151:152], v[191:192], v[151:152], v[202:203]
	v_add_f64 v[193:194], v[193:194], 0
	v_add_f64 v[131:132], v[133:134], 0
	s_clause 0x4
	buffer_load_dword v134, off, s[0:3], 0 offset:492
	buffer_load_dword v201, off, s[0:3], 0 offset:504
	;; [unrolled: 1-line block ×5, first 2 shown]
	s_waitcnt lgkmcnt(0)
	v_mul_f64 v[207:208], v[5:6], v[139:140]
	v_mul_f64 v[139:140], v[7:8], v[139:140]
	ds_read_b128 v[1:4], v188 offset:1200
	s_clause 0x2
	buffer_load_dword v202, off, s[0:3], 0 offset:508
	buffer_load_dword v192, off, s[0:3], 0 offset:484
	;; [unrolled: 1-line block ×3, first 2 shown]
	v_add_f64 v[193:194], v[193:194], v[204:205]
	v_add_f64 v[131:132], v[131:132], v[127:128]
	ds_read_b128 v[127:130], v188 offset:1216
	s_waitcnt vmcnt(58) lgkmcnt(1)
	v_mul_f64 v[203:204], v[1:2], v[143:144]
	v_mul_f64 v[143:144], v[3:4], v[143:144]
	s_waitcnt vmcnt(56)
	v_fma_f64 v[139:140], v[5:6], v[145:146], -v[139:140]
	v_fma_f64 v[145:146], v[7:8], v[145:146], v[207:208]
	s_waitcnt vmcnt(52) lgkmcnt(0)
	v_mul_f64 v[209:210], v[127:128], v[147:148]
	v_add_f64 v[189:190], v[193:194], v[189:190]
	v_add_f64 v[131:132], v[131:132], v[151:152]
	s_clause 0x4
	buffer_load_dword v152, off, s[0:3], 0 offset:524
	buffer_load_dword v193, off, s[0:3], 0 offset:536
	;; [unrolled: 1-line block ×5, first 2 shown]
	v_mul_f64 v[147:148], v[129:130], v[147:148]
	s_waitcnt vmcnt(56)
	v_fma_f64 v[143:144], v[1:2], v[137:138], -v[143:144]
	ds_read_b128 v[5:8], v188 offset:1232
	v_fma_f64 v[137:138], v[3:4], v[137:138], v[203:204]
	v_add_f64 v[139:140], v[189:190], v[139:140]
	v_add_f64 v[131:132], v[131:132], v[145:146]
	s_clause 0x2
	buffer_load_dword v194, off, s[0:3], 0 offset:540
	buffer_load_dword v146, off, s[0:3], 0 offset:516
	;; [unrolled: 1-line block ×3, first 2 shown]
	s_waitcnt vmcnt(58) lgkmcnt(0)
	v_mul_f64 v[189:190], v[5:6], v[153:154]
	v_mul_f64 v[153:154], v[7:8], v[153:154]
	s_waitcnt vmcnt(56)
	v_fma_f64 v[147:148], v[127:128], v[155:156], -v[147:148]
	ds_read_b128 v[1:4], v188 offset:1248
	v_add_f64 v[139:140], v[139:140], v[143:144]
	v_fma_f64 v[143:144], v[129:130], v[155:156], v[209:210]
	v_add_f64 v[131:132], v[131:132], v[137:138]
	s_clause 0x4
	buffer_load_dword v138, off, s[0:3], 0 offset:556
	buffer_load_dword v155, off, s[0:3], 0 offset:568
	;; [unrolled: 1-line block ×5, first 2 shown]
	s_waitcnt vmcnt(57) lgkmcnt(0)
	v_mul_f64 v[204:205], v[1:2], v[157:158]
	v_mul_f64 v[157:158], v[3:4], v[157:158]
	s_waitcnt vmcnt(56)
	v_fma_f64 v[153:154], v[5:6], v[141:142], -v[153:154]
	ds_read_b128 v[127:130], v188 offset:1264
	v_fma_f64 v[141:142], v[7:8], v[141:142], v[189:190]
	v_add_f64 v[139:140], v[139:140], v[147:148]
	v_add_f64 v[131:132], v[131:132], v[143:144]
	s_clause 0x2
	buffer_load_dword v156, off, s[0:3], 0 offset:572
	buffer_load_dword v144, off, s[0:3], 0 offset:548
	buffer_load_dword v143, off, s[0:3], 0 offset:544
	ds_read_b128 v[5:8], v188 offset:1280
	s_waitcnt vmcnt(58) lgkmcnt(1)
	v_mul_f64 v[147:148], v[127:128], v[161:162]
	v_mul_f64 v[161:162], v[129:130], v[161:162]
	s_waitcnt vmcnt(56)
	v_fma_f64 v[157:158], v[1:2], v[163:164], -v[157:158]
	v_add_f64 v[139:140], v[139:140], v[153:154]
	v_fma_f64 v[153:154], v[3:4], v[163:164], v[204:205]
	v_add_f64 v[131:132], v[131:132], v[141:142]
	s_clause 0x4
	buffer_load_dword v142, off, s[0:3], 0 offset:588
	buffer_load_dword v163, off, s[0:3], 0 offset:600
	;; [unrolled: 1-line block ×5, first 2 shown]
	s_waitcnt vmcnt(57) lgkmcnt(0)
	v_mul_f64 v[210:211], v[5:6], v[165:166]
	v_mul_f64 v[165:166], v[7:8], v[165:166]
	s_waitcnt vmcnt(56)
	v_fma_f64 v[161:162], v[127:128], v[149:150], -v[161:162]
	ds_read_b128 v[1:4], v188 offset:1296
	v_fma_f64 v[147:148], v[129:130], v[149:150], v[147:148]
	s_clause 0x2
	buffer_load_dword v164, off, s[0:3], 0 offset:604
	buffer_load_dword v150, off, s[0:3], 0 offset:580
	;; [unrolled: 1-line block ×3, first 2 shown]
	ds_read_b128 v[127:130], v188 offset:1312
	v_add_f64 v[139:140], v[139:140], v[157:158]
	v_add_f64 v[131:132], v[131:132], v[153:154]
	s_waitcnt vmcnt(58) lgkmcnt(1)
	v_mul_f64 v[157:158], v[3:4], v[169:170]
	s_waitcnt vmcnt(56)
	v_fma_f64 v[165:166], v[5:6], v[171:172], -v[165:166]
	v_mul_f64 v[153:154], v[1:2], v[169:170]
	v_add_f64 v[139:140], v[139:140], v[161:162]
	v_fma_f64 v[161:162], v[7:8], v[171:172], v[210:211]
	v_add_f64 v[131:132], v[131:132], v[147:148]
	s_clause 0x4
	buffer_load_dword v148, off, s[0:3], 0 offset:620
	buffer_load_dword v169, off, s[0:3], 0 offset:632
	;; [unrolled: 1-line block ×5, first 2 shown]
	s_waitcnt vmcnt(57) lgkmcnt(0)
	v_mul_f64 v[210:211], v[127:128], v[173:174]
	v_mul_f64 v[172:173], v[129:130], v[173:174]
	s_waitcnt vmcnt(56)
	v_fma_f64 v[157:158], v[1:2], v[159:160], -v[157:158]
	ds_read_b128 v[5:8], v188 offset:1328
	v_fma_f64 v[153:154], v[3:4], v[159:160], v[153:154]
	s_clause 0x2
	buffer_load_dword v170, off, s[0:3], 0 offset:636
	buffer_load_dword v160, off, s[0:3], 0 offset:612
	;; [unrolled: 1-line block ×3, first 2 shown]
	ds_read_b128 v[1:4], v188 offset:1344
	v_add_f64 v[139:140], v[139:140], v[165:166]
	v_add_f64 v[131:132], v[131:132], v[161:162]
	s_waitcnt vmcnt(58) lgkmcnt(1)
	v_mul_f64 v[165:166], v[7:8], v[177:178]
	s_waitcnt vmcnt(56)
	v_fma_f64 v[173:174], v[127:128], v[179:180], -v[172:173]
	v_mul_f64 v[161:162], v[5:6], v[177:178]
	v_add_f64 v[139:140], v[139:140], v[157:158]
	v_fma_f64 v[157:158], v[129:130], v[179:180], v[210:211]
	v_add_f64 v[131:132], v[131:132], v[153:154]
	s_clause 0x4
	buffer_load_dword v154, off, s[0:3], 0 offset:652
	buffer_load_dword v177, off, s[0:3], 0 offset:664
	;; [unrolled: 1-line block ×5, first 2 shown]
	s_waitcnt vmcnt(57) lgkmcnt(0)
	v_mul_f64 v[210:211], v[1:2], v[181:182]
	v_mul_f64 v[180:181], v[3:4], v[181:182]
	s_waitcnt vmcnt(56)
	v_fma_f64 v[165:166], v[5:6], v[167:168], -v[165:166]
	ds_read_b128 v[127:130], v188 offset:1360
	v_fma_f64 v[161:162], v[7:8], v[167:168], v[161:162]
	v_add_f64 v[139:140], v[139:140], v[173:174]
	v_add_f64 v[131:132], v[131:132], v[157:158]
	s_clause 0x2
	buffer_load_dword v178, off, s[0:3], 0 offset:668
	buffer_load_dword v158, off, s[0:3], 0 offset:644
	;; [unrolled: 1-line block ×3, first 2 shown]
	ds_read_b128 v[5:8], v188 offset:1376
	s_waitcnt vmcnt(58) lgkmcnt(1)
	v_mul_f64 v[173:174], v[129:130], v[183:184]
	s_waitcnt vmcnt(56)
	v_fma_f64 v[181:182], v[1:2], v[185:186], -v[180:181]
	v_mul_f64 v[167:168], v[127:128], v[183:184]
	v_add_f64 v[139:140], v[139:140], v[165:166]
	v_fma_f64 v[165:166], v[3:4], v[185:186], v[210:211]
	v_add_f64 v[131:132], v[131:132], v[161:162]
	s_clause 0x4
	buffer_load_dword v162, off, s[0:3], 0 offset:684
	buffer_load_dword v183, off, s[0:3], 0 offset:696
	;; [unrolled: 1-line block ×5, first 2 shown]
	s_waitcnt vmcnt(57) lgkmcnt(0)
	v_mul_f64 v[210:211], v[5:6], v[195:196]
	v_mul_f64 v[195:196], v[7:8], v[195:196]
	s_waitcnt vmcnt(56)
	v_fma_f64 v[173:174], v[127:128], v[175:176], -v[173:174]
	ds_read_b128 v[1:4], v188 offset:1392
	v_fma_f64 v[167:168], v[129:130], v[175:176], v[167:168]
	v_add_f64 v[139:140], v[139:140], v[181:182]
	v_add_f64 v[131:132], v[131:132], v[165:166]
	s_clause 0x2
	buffer_load_dword v184, off, s[0:3], 0 offset:700
	buffer_load_dword v166, off, s[0:3], 0 offset:676
	;; [unrolled: 1-line block ×3, first 2 shown]
	ds_read_b128 v[127:130], v188 offset:1408
	s_waitcnt vmcnt(58) lgkmcnt(1)
	v_mul_f64 v[181:182], v[3:4], v[197:198]
	v_mul_f64 v[175:176], v[1:2], v[197:198]
	s_waitcnt vmcnt(56)
	v_fma_f64 v[195:196], v[5:6], v[135:136], -v[195:196]
	v_fma_f64 v[135:136], v[7:8], v[135:136], v[210:211]
	v_add_f64 v[139:140], v[139:140], v[173:174]
	v_add_f64 v[131:132], v[131:132], v[167:168]
	s_clause 0x4
	buffer_load_dword v168, off, s[0:3], 0 offset:716
	buffer_load_dword v173, off, s[0:3], 0 offset:728
	;; [unrolled: 1-line block ×5, first 2 shown]
	ds_read_b128 v[5:8], v188 offset:1424
	s_waitcnt vmcnt(57) lgkmcnt(1)
	v_mul_f64 v[210:211], v[127:128], v[133:134]
	v_mul_f64 v[133:134], v[129:130], v[133:134]
	s_waitcnt vmcnt(56)
	v_fma_f64 v[181:182], v[1:2], v[199:200], -v[181:182]
	v_fma_f64 v[175:176], v[3:4], v[199:200], v[175:176]
	v_add_f64 v[139:140], v[139:140], v[195:196]
	v_add_f64 v[131:132], v[131:132], v[135:136]
	s_clause 0x2
	buffer_load_dword v174, off, s[0:3], 0 offset:732
	buffer_load_dword v136, off, s[0:3], 0 offset:708
	;; [unrolled: 1-line block ×3, first 2 shown]
	s_waitcnt vmcnt(58) lgkmcnt(0)
	v_mul_f64 v[199:200], v[7:8], v[201:202]
	ds_read_b128 v[1:4], v188 offset:1440
	v_mul_f64 v[195:196], v[5:6], v[201:202]
	s_waitcnt vmcnt(56)
	v_fma_f64 v[133:134], v[127:128], v[191:192], -v[133:134]
	v_add_f64 v[139:140], v[139:140], v[181:182]
	v_fma_f64 v[181:182], v[129:130], v[191:192], v[210:211]
	v_add_f64 v[131:132], v[131:132], v[175:176]
	s_clause 0x4
	buffer_load_dword v176, off, s[0:3], 0 offset:748
	buffer_load_dword v191, off, s[0:3], 0 offset:760
	;; [unrolled: 1-line block ×5, first 2 shown]
	ds_read_b128 v[127:130], v188 offset:1456
	s_waitcnt vmcnt(57) lgkmcnt(1)
	v_mul_f64 v[210:211], v[1:2], v[151:152]
	v_mul_f64 v[151:152], v[3:4], v[151:152]
	s_waitcnt vmcnt(56)
	v_fma_f64 v[199:200], v[5:6], v[206:207], -v[199:200]
	v_add_f64 v[133:134], v[139:140], v[133:134]
	v_fma_f64 v[139:140], v[7:8], v[206:207], v[195:196]
	v_add_f64 v[131:132], v[131:132], v[181:182]
	s_clause 0x2
	buffer_load_dword v192, off, s[0:3], 0 offset:764
	buffer_load_dword v182, off, s[0:3], 0 offset:740
	;; [unrolled: 1-line block ×3, first 2 shown]
	ds_read_b128 v[5:8], v188 offset:1472
	s_waitcnt vmcnt(58) lgkmcnt(1)
	v_mul_f64 v[195:196], v[127:128], v[193:194]
	v_mul_f64 v[193:194], v[129:130], v[193:194]
	s_waitcnt vmcnt(56)
	v_fma_f64 v[151:152], v[1:2], v[145:146], -v[151:152]
	v_fma_f64 v[145:146], v[3:4], v[145:146], v[210:211]
	v_add_f64 v[133:134], v[133:134], v[199:200]
	v_add_f64 v[131:132], v[131:132], v[139:140]
	s_clause 0x4
	buffer_load_dword v140, off, s[0:3], 0 offset:780
	buffer_load_dword v199, off, s[0:3], 0 offset:792
	;; [unrolled: 1-line block ×5, first 2 shown]
	ds_read_b128 v[1:4], v188 offset:1488
	s_waitcnt vmcnt(57) lgkmcnt(1)
	v_mul_f64 v[206:207], v[5:6], v[137:138]
	v_mul_f64 v[137:138], v[7:8], v[137:138]
	s_waitcnt vmcnt(56)
	v_fma_f64 v[193:194], v[127:128], v[208:209], -v[193:194]
	v_add_f64 v[133:134], v[133:134], v[151:152]
	v_fma_f64 v[151:152], v[129:130], v[208:209], v[195:196]
	v_add_f64 v[131:132], v[131:132], v[145:146]
	s_clause 0x2
	buffer_load_dword v200, off, s[0:3], 0 offset:796
	buffer_load_dword v146, off, s[0:3], 0 offset:772
	buffer_load_dword v145, off, s[0:3], 0 offset:768
	ds_read_b128 v[127:130], v188 offset:1504
	s_waitcnt vmcnt(58) lgkmcnt(1)
	v_mul_f64 v[195:196], v[1:2], v[155:156]
	v_mul_f64 v[155:156], v[3:4], v[155:156]
	s_waitcnt vmcnt(56)
	v_fma_f64 v[137:138], v[5:6], v[143:144], -v[137:138]
	v_fma_f64 v[143:144], v[7:8], v[143:144], v[206:207]
	v_add_f64 v[133:134], v[133:134], v[193:194]
	v_add_f64 v[131:132], v[131:132], v[151:152]
	s_clause 0x4
	buffer_load_dword v152, off, s[0:3], 0 offset:812
	buffer_load_dword v193, off, s[0:3], 0 offset:824
	;; [unrolled: 1-line block ×5, first 2 shown]
	ds_read_b128 v[5:8], v188 offset:1520
	s_waitcnt vmcnt(57) lgkmcnt(1)
	v_mul_f64 v[208:209], v[127:128], v[141:142]
	v_mul_f64 v[141:142], v[129:130], v[141:142]
	s_waitcnt vmcnt(56)
	v_fma_f64 v[155:156], v[1:2], v[203:204], -v[155:156]
	v_add_f64 v[133:134], v[133:134], v[137:138]
	v_fma_f64 v[137:138], v[3:4], v[203:204], v[195:196]
	v_add_f64 v[131:132], v[131:132], v[143:144]
	s_clause 0x2
	buffer_load_dword v194, off, s[0:3], 0 offset:828
	buffer_load_dword v144, off, s[0:3], 0 offset:804
	;; [unrolled: 1-line block ×3, first 2 shown]
	s_waitcnt vmcnt(58) lgkmcnt(0)
	v_mul_f64 v[195:196], v[5:6], v[163:164]
	v_mul_f64 v[163:164], v[7:8], v[163:164]
	ds_read_b128 v[1:4], v188 offset:1536
	s_waitcnt vmcnt(56)
	v_fma_f64 v[141:142], v[127:128], v[149:150], -v[141:142]
	v_fma_f64 v[149:150], v[129:130], v[149:150], v[208:209]
	v_add_f64 v[133:134], v[133:134], v[155:156]
	v_add_f64 v[131:132], v[131:132], v[137:138]
	s_clause 0x4
	buffer_load_dword v138, off, s[0:3], 0 offset:844
	buffer_load_dword v155, off, s[0:3], 0 offset:856
	;; [unrolled: 1-line block ×5, first 2 shown]
	ds_read_b128 v[127:130], v188 offset:1552
	s_waitcnt vmcnt(57) lgkmcnt(1)
	v_mul_f64 v[209:210], v[1:2], v[147:148]
	v_mul_f64 v[147:148], v[3:4], v[147:148]
	s_waitcnt vmcnt(56)
	v_fma_f64 v[163:164], v[5:6], v[189:190], -v[163:164]
	v_add_f64 v[133:134], v[133:134], v[141:142]
	v_fma_f64 v[141:142], v[7:8], v[189:190], v[195:196]
	v_add_f64 v[131:132], v[131:132], v[149:150]
	s_clause 0x2
	buffer_load_dword v156, off, s[0:3], 0 offset:860
	buffer_load_dword v150, off, s[0:3], 0 offset:836
	;; [unrolled: 1-line block ×3, first 2 shown]
	s_waitcnt vmcnt(58) lgkmcnt(0)
	v_mul_f64 v[189:190], v[127:128], v[169:170]
	v_mul_f64 v[169:170], v[129:130], v[169:170]
	ds_read_b128 v[5:8], v188 offset:1568
	s_waitcnt vmcnt(56)
	v_fma_f64 v[147:148], v[1:2], v[159:160], -v[147:148]
	v_fma_f64 v[159:160], v[3:4], v[159:160], v[209:210]
	v_add_f64 v[133:134], v[133:134], v[163:164]
	v_add_f64 v[131:132], v[131:132], v[141:142]
	s_clause 0x4
	buffer_load_dword v142, off, s[0:3], 0 offset:876
	buffer_load_dword v163, off, s[0:3], 0 offset:888
	;; [unrolled: 1-line block ×5, first 2 shown]
	ds_read_b128 v[1:4], v188 offset:1584
	s_waitcnt vmcnt(57) lgkmcnt(1)
	v_mul_f64 v[209:210], v[5:6], v[153:154]
	v_mul_f64 v[153:154], v[7:8], v[153:154]
	s_waitcnt vmcnt(56)
	v_fma_f64 v[169:170], v[127:128], v[171:172], -v[169:170]
	v_add_f64 v[133:134], v[133:134], v[147:148]
	v_fma_f64 v[147:148], v[129:130], v[171:172], v[189:190]
	v_add_f64 v[131:132], v[131:132], v[159:160]
	s_clause 0x2
	buffer_load_dword v164, off, s[0:3], 0 offset:892
	buffer_load_dword v160, off, s[0:3], 0 offset:868
	;; [unrolled: 1-line block ×3, first 2 shown]
	ds_read_b128 v[127:130], v188 offset:1600
	s_waitcnt vmcnt(58) lgkmcnt(1)
	v_mul_f64 v[171:172], v[1:2], v[177:178]
	v_mul_f64 v[177:178], v[3:4], v[177:178]
	s_waitcnt vmcnt(56)
	v_fma_f64 v[153:154], v[5:6], v[157:158], -v[153:154]
	v_fma_f64 v[157:158], v[7:8], v[157:158], v[209:210]
	v_add_f64 v[133:134], v[133:134], v[169:170]
	v_add_f64 v[131:132], v[131:132], v[147:148]
	s_clause 0x4
	buffer_load_dword v148, off, s[0:3], 0 offset:908
	buffer_load_dword v169, off, s[0:3], 0 offset:920
	;; [unrolled: 1-line block ×5, first 2 shown]
	ds_read_b128 v[5:8], v188 offset:1616
	s_waitcnt vmcnt(57) lgkmcnt(1)
	v_mul_f64 v[209:210], v[127:128], v[161:162]
	v_mul_f64 v[161:162], v[129:130], v[161:162]
	s_waitcnt vmcnt(56)
	v_fma_f64 v[177:178], v[1:2], v[179:180], -v[177:178]
	v_add_f64 v[133:134], v[133:134], v[153:154]
	v_fma_f64 v[153:154], v[3:4], v[179:180], v[171:172]
	v_add_f64 v[131:132], v[131:132], v[157:158]
	s_clause 0x2
	buffer_load_dword v170, off, s[0:3], 0 offset:924
	buffer_load_dword v158, off, s[0:3], 0 offset:900
	;; [unrolled: 1-line block ×3, first 2 shown]
	ds_read_b128 v[1:4], v188 offset:1632
	s_waitcnt vmcnt(58) lgkmcnt(1)
	v_mul_f64 v[179:180], v[7:8], v[183:184]
	v_mul_f64 v[171:172], v[5:6], v[183:184]
	s_waitcnt vmcnt(56)
	v_fma_f64 v[161:162], v[127:128], v[165:166], -v[161:162]
	v_fma_f64 v[165:166], v[129:130], v[165:166], v[209:210]
	v_add_f64 v[133:134], v[133:134], v[177:178]
	v_add_f64 v[131:132], v[131:132], v[153:154]
	s_clause 0x4
	buffer_load_dword v154, off, s[0:3], 0 offset:940
	buffer_load_dword v177, off, s[0:3], 0 offset:952
	;; [unrolled: 1-line block ×5, first 2 shown]
	ds_read_b128 v[127:130], v188 offset:1648
	s_waitcnt vmcnt(57) lgkmcnt(1)
	v_mul_f64 v[209:210], v[1:2], v[167:168]
	v_mul_f64 v[167:168], v[3:4], v[167:168]
	s_waitcnt vmcnt(56)
	v_fma_f64 v[179:180], v[5:6], v[185:186], -v[179:180]
	v_add_f64 v[133:134], v[133:134], v[161:162]
	v_fma_f64 v[161:162], v[7:8], v[185:186], v[171:172]
	v_add_f64 v[131:132], v[131:132], v[165:166]
	s_clause 0x2
	buffer_load_dword v178, off, s[0:3], 0 offset:956
	buffer_load_dword v166, off, s[0:3], 0 offset:932
	;; [unrolled: 1-line block ×3, first 2 shown]
	ds_read_b128 v[5:8], v188 offset:1664
	buffer_load_dword v184, off, s[0:3], 0 offset:948
	s_waitcnt vmcnt(59) lgkmcnt(1)
	v_mul_f64 v[171:172], v[127:128], v[173:174]
	v_mul_f64 v[173:174], v[129:130], v[173:174]
	s_waitcnt vmcnt(57)
	v_fma_f64 v[167:168], v[1:2], v[135:136], -v[167:168]
	v_fma_f64 v[135:136], v[3:4], v[135:136], v[209:210]
	ds_read_b128 v[1:4], v188 offset:1680
	v_add_f64 v[133:134], v[133:134], v[179:180]
	v_add_f64 v[131:132], v[131:132], v[161:162]
	s_waitcnt vmcnt(53) lgkmcnt(1)
	v_mul_f64 v[161:162], v[5:6], v[175:176]
	v_mul_f64 v[175:176], v[7:8], v[175:176]
	s_waitcnt vmcnt(52)
	v_fma_f64 v[173:174], v[127:128], v[197:198], -v[173:174]
	v_add_f64 v[133:134], v[133:134], v[167:168]
	v_fma_f64 v[167:168], v[129:130], v[197:198], v[171:172]
	v_add_f64 v[131:132], v[131:132], v[135:136]
	ds_read_b128 v[127:130], v188 offset:1696
	s_waitcnt vmcnt(51) lgkmcnt(1)
	v_mul_f64 v[171:172], v[3:4], v[191:192]
	v_mul_f64 v[135:136], v[1:2], v[191:192]
	s_waitcnt vmcnt(49)
	v_fma_f64 v[175:176], v[5:6], v[181:182], -v[175:176]
	v_fma_f64 v[161:162], v[7:8], v[181:182], v[161:162]
	v_add_f64 v[133:134], v[133:134], v[173:174]
	v_add_f64 v[131:132], v[131:132], v[167:168]
	s_clause 0x3
	buffer_load_dword v167, off, s[0:3], 0 offset:192
	buffer_load_dword v168, off, s[0:3], 0 offset:196
	;; [unrolled: 1-line block ×4, first 2 shown]
	ds_read_b128 v[5:8], v188 offset:1712
	s_waitcnt vmcnt(49) lgkmcnt(1)
	v_mul_f64 v[179:180], v[127:128], v[139:140]
	v_mul_f64 v[139:140], v[129:130], v[139:140]
	s_waitcnt vmcnt(48)
	v_fma_f64 v[171:172], v[1:2], v[201:202], -v[171:172]
	v_fma_f64 v[135:136], v[3:4], v[201:202], v[135:136]
	ds_read_b128 v[1:4], v188 offset:1728
	v_add_f64 v[133:134], v[133:134], v[175:176]
	v_add_f64 v[131:132], v[131:132], v[161:162]
	s_waitcnt vmcnt(47) lgkmcnt(1)
	v_mul_f64 v[175:176], v[7:8], v[199:200]
	v_mul_f64 v[161:162], v[5:6], v[199:200]
	s_waitcnt vmcnt(45)
	v_fma_f64 v[139:140], v[127:128], v[145:146], -v[139:140]
	v_fma_f64 v[145:146], v[129:130], v[145:146], v[179:180]
	ds_read_b128 v[127:130], v188 offset:1744
	v_add_f64 v[133:134], v[133:134], v[171:172]
	v_add_f64 v[131:132], v[131:132], v[135:136]
	s_waitcnt vmcnt(41) lgkmcnt(1)
	v_mul_f64 v[135:136], v[1:2], v[151:152]
	v_mul_f64 v[151:152], v[3:4], v[151:152]
	s_waitcnt vmcnt(40)
	v_fma_f64 v[171:172], v[5:6], v[205:206], -v[175:176]
	v_add_f64 v[133:134], v[133:134], v[139:140]
	v_fma_f64 v[139:140], v[7:8], v[205:206], v[161:162]
	v_add_f64 v[131:132], v[131:132], v[145:146]
	ds_read_b128 v[5:8], v188 offset:1760
	s_waitcnt vmcnt(39) lgkmcnt(1)
	v_mul_f64 v[161:162], v[129:130], v[193:194]
	v_mul_f64 v[145:146], v[127:128], v[193:194]
	s_waitcnt vmcnt(37)
	v_fma_f64 v[151:152], v[1:2], v[143:144], -v[151:152]
	v_fma_f64 v[135:136], v[3:4], v[143:144], v[135:136]
	ds_read_b128 v[1:4], v188 offset:1776
	v_add_f64 v[133:134], v[133:134], v[171:172]
	v_add_f64 v[131:132], v[131:132], v[139:140]
	s_waitcnt vmcnt(33) lgkmcnt(1)
	v_mul_f64 v[139:140], v[5:6], v[137:138]
	v_mul_f64 v[137:138], v[7:8], v[137:138]
	s_waitcnt vmcnt(32)
	v_fma_f64 v[143:144], v[127:128], v[207:208], -v[161:162]
	v_fma_f64 v[145:146], v[129:130], v[207:208], v[145:146]
	ds_read_b128 v[127:130], v188 offset:1792
	v_add_f64 v[133:134], v[133:134], v[151:152]
	v_add_f64 v[131:132], v[131:132], v[135:136]
	s_waitcnt vmcnt(31) lgkmcnt(1)
	v_mul_f64 v[151:152], v[3:4], v[155:156]
	v_mul_f64 v[135:136], v[1:2], v[155:156]
	s_waitcnt vmcnt(29)
	v_fma_f64 v[137:138], v[5:6], v[149:150], -v[137:138]
	v_fma_f64 v[139:140], v[7:8], v[149:150], v[139:140]
	ds_read_b128 v[5:8], v188 offset:1808
	v_add_f64 v[133:134], v[133:134], v[143:144]
	v_add_f64 v[131:132], v[131:132], v[145:146]
	s_waitcnt vmcnt(25) lgkmcnt(1)
	v_mul_f64 v[143:144], v[127:128], v[141:142]
	v_mul_f64 v[141:142], v[129:130], v[141:142]
	s_waitcnt vmcnt(24)
	v_fma_f64 v[145:146], v[1:2], v[203:204], -v[151:152]
	v_fma_f64 v[135:136], v[3:4], v[203:204], v[135:136]
	ds_read_b128 v[1:4], v188 offset:1824
	v_add_f64 v[133:134], v[133:134], v[137:138]
	v_add_f64 v[131:132], v[131:132], v[139:140]
	s_waitcnt vmcnt(23) lgkmcnt(1)
	v_mul_f64 v[139:140], v[7:8], v[163:164]
	v_mul_f64 v[137:138], v[5:6], v[163:164]
	s_waitcnt vmcnt(21)
	v_fma_f64 v[141:142], v[127:128], v[159:160], -v[141:142]
	v_fma_f64 v[143:144], v[129:130], v[159:160], v[143:144]
	ds_read_b128 v[127:130], v188 offset:1840
	v_add_f64 v[133:134], v[133:134], v[145:146]
	v_add_f64 v[131:132], v[131:132], v[135:136]
	s_waitcnt vmcnt(17) lgkmcnt(1)
	v_mul_f64 v[145:146], v[3:4], v[147:148]
	s_waitcnt vmcnt(16)
	v_fma_f64 v[139:140], v[5:6], v[195:196], -v[139:140]
	v_mul_f64 v[135:136], v[1:2], v[147:148]
	v_fma_f64 v[137:138], v[7:8], v[195:196], v[137:138]
	ds_read_b128 v[5:8], v188 offset:1856
	v_add_f64 v[133:134], v[133:134], v[141:142]
	v_add_f64 v[131:132], v[131:132], v[143:144]
	s_waitcnt vmcnt(15) lgkmcnt(1)
	v_mul_f64 v[143:144], v[129:130], v[169:170]
	v_mul_f64 v[141:142], v[127:128], v[169:170]
	s_waitcnt vmcnt(13)
	v_fma_f64 v[145:146], v[1:2], v[157:158], -v[145:146]
	v_fma_f64 v[135:136], v[3:4], v[157:158], v[135:136]
	ds_read_b128 v[1:4], v188 offset:1872
	v_add_f64 v[133:134], v[133:134], v[139:140]
	v_add_f64 v[131:132], v[131:132], v[137:138]
	s_waitcnt vmcnt(9) lgkmcnt(1)
	v_mul_f64 v[139:140], v[7:8], v[153:154]
	s_waitcnt vmcnt(8)
	v_fma_f64 v[127:128], v[127:128], v[189:190], -v[143:144]
	v_mul_f64 v[137:138], v[5:6], v[153:154]
	v_fma_f64 v[129:130], v[129:130], v[189:190], v[141:142]
	v_add_f64 v[133:134], v[133:134], v[145:146]
	v_add_f64 v[131:132], v[131:132], v[135:136]
	s_waitcnt vmcnt(7) lgkmcnt(0)
	v_mul_f64 v[141:142], v[3:4], v[177:178]
	v_mul_f64 v[135:136], v[1:2], v[177:178]
	s_waitcnt vmcnt(5)
	v_fma_f64 v[5:6], v[5:6], v[165:166], -v[139:140]
	v_fma_f64 v[7:8], v[7:8], v[165:166], v[137:138]
	v_add_f64 v[127:128], v[133:134], v[127:128]
	v_add_f64 v[129:130], v[131:132], v[129:130]
	s_waitcnt vmcnt(4)
	v_fma_f64 v[1:2], v[1:2], v[183:184], -v[141:142]
	v_fma_f64 v[3:4], v[3:4], v[183:184], v[135:136]
	v_add_f64 v[5:6], v[127:128], v[5:6]
	v_add_f64 v[7:8], v[129:130], v[7:8]
	;; [unrolled: 1-line block ×4, first 2 shown]
	s_waitcnt vmcnt(2)
	v_add_f64 v[1:2], v[167:168], -v[1:2]
	s_waitcnt vmcnt(0)
	v_add_f64 v[3:4], v[173:174], -v[3:4]
	buffer_store_dword v2, off, s[0:3], 0 offset:196
	buffer_store_dword v1, off, s[0:3], 0 offset:192
	;; [unrolled: 1-line block ×4, first 2 shown]
	v_cmpx_lt_u32_e32 10, v0
	s_cbranch_execz .LBB122_347
; %bb.346:
	v_mov_b32_e32 v4, s61
	s_clause 0x3
	buffer_load_dword v1, v4, s[0:3], 0 offen
	buffer_load_dword v2, v4, s[0:3], 0 offen offset:4
	buffer_load_dword v3, v4, s[0:3], 0 offen offset:8
	;; [unrolled: 1-line block ×3, first 2 shown]
	buffer_store_dword v188, off, s[0:3], 0 offset:176
	buffer_store_dword v188, off, s[0:3], 0 offset:180
	;; [unrolled: 1-line block ×4, first 2 shown]
	s_waitcnt vmcnt(0)
	ds_write_b128 v187, v[1:4]
.LBB122_347:
	s_or_b32 exec_lo, exec_lo, s4
	s_waitcnt lgkmcnt(0)
	s_waitcnt_vscnt null, 0x0
	s_barrier
	buffer_gl0_inv
	s_clause 0x37
	buffer_load_dword v135, off, s[0:3], 0 offset:200
	buffer_load_dword v136, off, s[0:3], 0 offset:204
	;; [unrolled: 1-line block ×56, first 2 shown]
	ds_read_b128 v[5:8], v188 offset:1120
	s_clause 0x2
	buffer_load_dword v184, off, s[0:3], 0 offset:428
	buffer_load_dword v186, off, s[0:3], 0 offset:404
	;; [unrolled: 1-line block ×3, first 2 shown]
	ds_read_b128 v[1:4], v188 offset:1136
	s_clause 0x4
	buffer_load_dword v196, off, s[0:3], 0 offset:444
	buffer_load_dword v197, off, s[0:3], 0 offset:456
	;; [unrolled: 1-line block ×5, first 2 shown]
	ds_read_b128 v[189:192], v188 offset:1152
	s_mov_b32 s4, exec_lo
	s_waitcnt vmcnt(62) lgkmcnt(2)
	v_mul_f64 v[193:194], v[7:8], v[135:136]
	v_mul_f64 v[135:136], v[5:6], v[135:136]
	s_waitcnt vmcnt(60) lgkmcnt(1)
	v_mul_f64 v[200:201], v[3:4], v[131:132]
	v_mul_f64 v[131:132], v[1:2], v[131:132]
	;; [unrolled: 3-line block ×3, first 2 shown]
	v_fma_f64 v[193:194], v[5:6], v[133:134], -v[193:194]
	v_fma_f64 v[133:134], v[7:8], v[133:134], v[135:136]
	s_clause 0x2
	buffer_load_dword v198, off, s[0:3], 0 offset:460
	buffer_load_dword v136, off, s[0:3], 0 offset:436
	;; [unrolled: 1-line block ×3, first 2 shown]
	s_waitcnt vmcnt(57)
	v_fma_f64 v[204:205], v[1:2], v[127:128], -v[200:201]
	ds_read_b128 v[5:8], v188 offset:1168
	v_fma_f64 v[127:128], v[3:4], v[127:128], v[131:132]
	s_waitcnt vmcnt(51)
	v_fma_f64 v[189:190], v[189:190], v[151:152], -v[129:130]
	v_fma_f64 v[151:152], v[191:192], v[151:152], v[202:203]
	v_add_f64 v[193:194], v[193:194], 0
	v_add_f64 v[131:132], v[133:134], 0
	s_clause 0x4
	buffer_load_dword v134, off, s[0:3], 0 offset:476
	buffer_load_dword v201, off, s[0:3], 0 offset:488
	;; [unrolled: 1-line block ×5, first 2 shown]
	s_waitcnt lgkmcnt(0)
	v_mul_f64 v[207:208], v[5:6], v[139:140]
	v_mul_f64 v[139:140], v[7:8], v[139:140]
	ds_read_b128 v[1:4], v188 offset:1184
	s_clause 0x2
	buffer_load_dword v202, off, s[0:3], 0 offset:492
	buffer_load_dword v192, off, s[0:3], 0 offset:468
	;; [unrolled: 1-line block ×3, first 2 shown]
	v_add_f64 v[193:194], v[193:194], v[204:205]
	v_add_f64 v[131:132], v[131:132], v[127:128]
	ds_read_b128 v[127:130], v188 offset:1200
	s_waitcnt vmcnt(58) lgkmcnt(1)
	v_mul_f64 v[203:204], v[1:2], v[143:144]
	v_mul_f64 v[143:144], v[3:4], v[143:144]
	s_waitcnt vmcnt(56)
	v_fma_f64 v[139:140], v[5:6], v[145:146], -v[139:140]
	v_fma_f64 v[145:146], v[7:8], v[145:146], v[207:208]
	s_waitcnt vmcnt(52) lgkmcnt(0)
	v_mul_f64 v[209:210], v[127:128], v[147:148]
	v_add_f64 v[189:190], v[193:194], v[189:190]
	v_add_f64 v[131:132], v[131:132], v[151:152]
	s_clause 0x4
	buffer_load_dword v152, off, s[0:3], 0 offset:508
	buffer_load_dword v193, off, s[0:3], 0 offset:520
	;; [unrolled: 1-line block ×5, first 2 shown]
	v_mul_f64 v[147:148], v[129:130], v[147:148]
	s_waitcnt vmcnt(56)
	v_fma_f64 v[143:144], v[1:2], v[137:138], -v[143:144]
	ds_read_b128 v[5:8], v188 offset:1216
	v_fma_f64 v[137:138], v[3:4], v[137:138], v[203:204]
	v_add_f64 v[139:140], v[189:190], v[139:140]
	v_add_f64 v[131:132], v[131:132], v[145:146]
	s_clause 0x2
	buffer_load_dword v194, off, s[0:3], 0 offset:524
	buffer_load_dword v146, off, s[0:3], 0 offset:500
	;; [unrolled: 1-line block ×3, first 2 shown]
	s_waitcnt vmcnt(58) lgkmcnt(0)
	v_mul_f64 v[189:190], v[5:6], v[153:154]
	v_mul_f64 v[153:154], v[7:8], v[153:154]
	s_waitcnt vmcnt(56)
	v_fma_f64 v[147:148], v[127:128], v[155:156], -v[147:148]
	ds_read_b128 v[1:4], v188 offset:1232
	v_add_f64 v[139:140], v[139:140], v[143:144]
	v_fma_f64 v[143:144], v[129:130], v[155:156], v[209:210]
	v_add_f64 v[131:132], v[131:132], v[137:138]
	s_clause 0x4
	buffer_load_dword v138, off, s[0:3], 0 offset:540
	buffer_load_dword v155, off, s[0:3], 0 offset:552
	;; [unrolled: 1-line block ×5, first 2 shown]
	s_waitcnt vmcnt(57) lgkmcnt(0)
	v_mul_f64 v[204:205], v[1:2], v[157:158]
	v_mul_f64 v[157:158], v[3:4], v[157:158]
	s_waitcnt vmcnt(56)
	v_fma_f64 v[153:154], v[5:6], v[141:142], -v[153:154]
	ds_read_b128 v[127:130], v188 offset:1248
	v_fma_f64 v[141:142], v[7:8], v[141:142], v[189:190]
	v_add_f64 v[139:140], v[139:140], v[147:148]
	v_add_f64 v[131:132], v[131:132], v[143:144]
	s_clause 0x2
	buffer_load_dword v156, off, s[0:3], 0 offset:556
	buffer_load_dword v144, off, s[0:3], 0 offset:532
	;; [unrolled: 1-line block ×3, first 2 shown]
	ds_read_b128 v[5:8], v188 offset:1264
	s_waitcnt vmcnt(58) lgkmcnt(1)
	v_mul_f64 v[147:148], v[127:128], v[161:162]
	v_mul_f64 v[161:162], v[129:130], v[161:162]
	s_waitcnt vmcnt(56)
	v_fma_f64 v[157:158], v[1:2], v[163:164], -v[157:158]
	v_add_f64 v[139:140], v[139:140], v[153:154]
	v_fma_f64 v[153:154], v[3:4], v[163:164], v[204:205]
	v_add_f64 v[131:132], v[131:132], v[141:142]
	s_clause 0x4
	buffer_load_dword v142, off, s[0:3], 0 offset:572
	buffer_load_dword v163, off, s[0:3], 0 offset:584
	;; [unrolled: 1-line block ×5, first 2 shown]
	s_waitcnt vmcnt(57) lgkmcnt(0)
	v_mul_f64 v[210:211], v[5:6], v[165:166]
	v_mul_f64 v[165:166], v[7:8], v[165:166]
	s_waitcnt vmcnt(56)
	v_fma_f64 v[161:162], v[127:128], v[149:150], -v[161:162]
	ds_read_b128 v[1:4], v188 offset:1280
	v_fma_f64 v[147:148], v[129:130], v[149:150], v[147:148]
	s_clause 0x2
	buffer_load_dword v164, off, s[0:3], 0 offset:588
	buffer_load_dword v150, off, s[0:3], 0 offset:564
	;; [unrolled: 1-line block ×3, first 2 shown]
	ds_read_b128 v[127:130], v188 offset:1296
	v_add_f64 v[139:140], v[139:140], v[157:158]
	v_add_f64 v[131:132], v[131:132], v[153:154]
	s_waitcnt vmcnt(58) lgkmcnt(1)
	v_mul_f64 v[157:158], v[3:4], v[169:170]
	s_waitcnt vmcnt(56)
	v_fma_f64 v[165:166], v[5:6], v[171:172], -v[165:166]
	v_mul_f64 v[153:154], v[1:2], v[169:170]
	v_add_f64 v[139:140], v[139:140], v[161:162]
	v_fma_f64 v[161:162], v[7:8], v[171:172], v[210:211]
	v_add_f64 v[131:132], v[131:132], v[147:148]
	s_clause 0x4
	buffer_load_dword v148, off, s[0:3], 0 offset:604
	buffer_load_dword v169, off, s[0:3], 0 offset:616
	;; [unrolled: 1-line block ×5, first 2 shown]
	s_waitcnt vmcnt(57) lgkmcnt(0)
	v_mul_f64 v[210:211], v[127:128], v[173:174]
	v_mul_f64 v[172:173], v[129:130], v[173:174]
	s_waitcnt vmcnt(56)
	v_fma_f64 v[157:158], v[1:2], v[159:160], -v[157:158]
	ds_read_b128 v[5:8], v188 offset:1312
	v_fma_f64 v[153:154], v[3:4], v[159:160], v[153:154]
	s_clause 0x2
	buffer_load_dword v170, off, s[0:3], 0 offset:620
	buffer_load_dword v160, off, s[0:3], 0 offset:596
	;; [unrolled: 1-line block ×3, first 2 shown]
	ds_read_b128 v[1:4], v188 offset:1328
	v_add_f64 v[139:140], v[139:140], v[165:166]
	v_add_f64 v[131:132], v[131:132], v[161:162]
	s_waitcnt vmcnt(58) lgkmcnt(1)
	v_mul_f64 v[165:166], v[7:8], v[177:178]
	s_waitcnt vmcnt(56)
	v_fma_f64 v[173:174], v[127:128], v[179:180], -v[172:173]
	v_mul_f64 v[161:162], v[5:6], v[177:178]
	v_add_f64 v[139:140], v[139:140], v[157:158]
	v_fma_f64 v[157:158], v[129:130], v[179:180], v[210:211]
	v_add_f64 v[131:132], v[131:132], v[153:154]
	s_clause 0x4
	buffer_load_dword v154, off, s[0:3], 0 offset:636
	buffer_load_dword v177, off, s[0:3], 0 offset:648
	;; [unrolled: 1-line block ×5, first 2 shown]
	s_waitcnt vmcnt(57) lgkmcnt(0)
	v_mul_f64 v[210:211], v[1:2], v[181:182]
	v_mul_f64 v[180:181], v[3:4], v[181:182]
	s_waitcnt vmcnt(56)
	v_fma_f64 v[165:166], v[5:6], v[167:168], -v[165:166]
	ds_read_b128 v[127:130], v188 offset:1344
	v_fma_f64 v[161:162], v[7:8], v[167:168], v[161:162]
	v_add_f64 v[139:140], v[139:140], v[173:174]
	v_add_f64 v[131:132], v[131:132], v[157:158]
	s_clause 0x2
	buffer_load_dword v178, off, s[0:3], 0 offset:652
	buffer_load_dword v158, off, s[0:3], 0 offset:628
	;; [unrolled: 1-line block ×3, first 2 shown]
	ds_read_b128 v[5:8], v188 offset:1360
	s_waitcnt vmcnt(58) lgkmcnt(1)
	v_mul_f64 v[173:174], v[129:130], v[183:184]
	s_waitcnt vmcnt(56)
	v_fma_f64 v[181:182], v[1:2], v[185:186], -v[180:181]
	v_mul_f64 v[167:168], v[127:128], v[183:184]
	v_add_f64 v[139:140], v[139:140], v[165:166]
	v_fma_f64 v[165:166], v[3:4], v[185:186], v[210:211]
	v_add_f64 v[131:132], v[131:132], v[161:162]
	s_clause 0x4
	buffer_load_dword v162, off, s[0:3], 0 offset:668
	buffer_load_dword v183, off, s[0:3], 0 offset:680
	;; [unrolled: 1-line block ×5, first 2 shown]
	s_waitcnt vmcnt(57) lgkmcnt(0)
	v_mul_f64 v[210:211], v[5:6], v[195:196]
	v_mul_f64 v[195:196], v[7:8], v[195:196]
	s_waitcnt vmcnt(56)
	v_fma_f64 v[173:174], v[127:128], v[175:176], -v[173:174]
	ds_read_b128 v[1:4], v188 offset:1376
	v_fma_f64 v[167:168], v[129:130], v[175:176], v[167:168]
	v_add_f64 v[139:140], v[139:140], v[181:182]
	v_add_f64 v[131:132], v[131:132], v[165:166]
	s_clause 0x2
	buffer_load_dword v184, off, s[0:3], 0 offset:684
	buffer_load_dword v166, off, s[0:3], 0 offset:660
	;; [unrolled: 1-line block ×3, first 2 shown]
	ds_read_b128 v[127:130], v188 offset:1392
	s_waitcnt vmcnt(58) lgkmcnt(1)
	v_mul_f64 v[181:182], v[3:4], v[197:198]
	v_mul_f64 v[175:176], v[1:2], v[197:198]
	s_waitcnt vmcnt(56)
	v_fma_f64 v[195:196], v[5:6], v[135:136], -v[195:196]
	v_fma_f64 v[135:136], v[7:8], v[135:136], v[210:211]
	v_add_f64 v[139:140], v[139:140], v[173:174]
	v_add_f64 v[131:132], v[131:132], v[167:168]
	s_clause 0x4
	buffer_load_dword v168, off, s[0:3], 0 offset:700
	buffer_load_dword v173, off, s[0:3], 0 offset:712
	;; [unrolled: 1-line block ×5, first 2 shown]
	ds_read_b128 v[5:8], v188 offset:1408
	s_waitcnt vmcnt(57) lgkmcnt(1)
	v_mul_f64 v[210:211], v[127:128], v[133:134]
	v_mul_f64 v[133:134], v[129:130], v[133:134]
	s_waitcnt vmcnt(56)
	v_fma_f64 v[181:182], v[1:2], v[199:200], -v[181:182]
	v_fma_f64 v[175:176], v[3:4], v[199:200], v[175:176]
	v_add_f64 v[139:140], v[139:140], v[195:196]
	v_add_f64 v[131:132], v[131:132], v[135:136]
	s_clause 0x2
	buffer_load_dword v174, off, s[0:3], 0 offset:716
	buffer_load_dword v136, off, s[0:3], 0 offset:692
	buffer_load_dword v135, off, s[0:3], 0 offset:688
	s_waitcnt vmcnt(58) lgkmcnt(0)
	v_mul_f64 v[199:200], v[7:8], v[201:202]
	ds_read_b128 v[1:4], v188 offset:1424
	v_mul_f64 v[195:196], v[5:6], v[201:202]
	s_waitcnt vmcnt(56)
	v_fma_f64 v[133:134], v[127:128], v[191:192], -v[133:134]
	v_add_f64 v[139:140], v[139:140], v[181:182]
	v_fma_f64 v[181:182], v[129:130], v[191:192], v[210:211]
	v_add_f64 v[131:132], v[131:132], v[175:176]
	s_clause 0x4
	buffer_load_dword v176, off, s[0:3], 0 offset:732
	buffer_load_dword v191, off, s[0:3], 0 offset:744
	buffer_load_dword v201, off, s[0:3], 0 offset:736
	buffer_load_dword v175, off, s[0:3], 0 offset:728
	buffer_load_dword v198, off, s[0:3], 0 offset:708
	ds_read_b128 v[127:130], v188 offset:1440
	s_waitcnt vmcnt(57) lgkmcnt(1)
	v_mul_f64 v[210:211], v[1:2], v[151:152]
	v_mul_f64 v[151:152], v[3:4], v[151:152]
	s_waitcnt vmcnt(56)
	v_fma_f64 v[199:200], v[5:6], v[206:207], -v[199:200]
	v_add_f64 v[133:134], v[139:140], v[133:134]
	v_fma_f64 v[139:140], v[7:8], v[206:207], v[195:196]
	v_add_f64 v[131:132], v[131:132], v[181:182]
	s_clause 0x2
	buffer_load_dword v192, off, s[0:3], 0 offset:748
	buffer_load_dword v182, off, s[0:3], 0 offset:724
	;; [unrolled: 1-line block ×3, first 2 shown]
	ds_read_b128 v[5:8], v188 offset:1456
	s_waitcnt vmcnt(58) lgkmcnt(1)
	v_mul_f64 v[195:196], v[127:128], v[193:194]
	v_mul_f64 v[193:194], v[129:130], v[193:194]
	s_waitcnt vmcnt(56)
	v_fma_f64 v[151:152], v[1:2], v[145:146], -v[151:152]
	v_fma_f64 v[145:146], v[3:4], v[145:146], v[210:211]
	v_add_f64 v[133:134], v[133:134], v[199:200]
	v_add_f64 v[131:132], v[131:132], v[139:140]
	s_clause 0x4
	buffer_load_dword v140, off, s[0:3], 0 offset:764
	buffer_load_dword v199, off, s[0:3], 0 offset:776
	;; [unrolled: 1-line block ×5, first 2 shown]
	ds_read_b128 v[1:4], v188 offset:1472
	s_waitcnt vmcnt(57) lgkmcnt(1)
	v_mul_f64 v[206:207], v[5:6], v[137:138]
	v_mul_f64 v[137:138], v[7:8], v[137:138]
	s_waitcnt vmcnt(56)
	v_fma_f64 v[193:194], v[127:128], v[208:209], -v[193:194]
	v_add_f64 v[133:134], v[133:134], v[151:152]
	v_fma_f64 v[151:152], v[129:130], v[208:209], v[195:196]
	v_add_f64 v[131:132], v[131:132], v[145:146]
	s_clause 0x2
	buffer_load_dword v200, off, s[0:3], 0 offset:780
	buffer_load_dword v146, off, s[0:3], 0 offset:756
	;; [unrolled: 1-line block ×3, first 2 shown]
	ds_read_b128 v[127:130], v188 offset:1488
	s_waitcnt vmcnt(58) lgkmcnt(1)
	v_mul_f64 v[195:196], v[1:2], v[155:156]
	v_mul_f64 v[155:156], v[3:4], v[155:156]
	s_waitcnt vmcnt(56)
	v_fma_f64 v[137:138], v[5:6], v[143:144], -v[137:138]
	v_fma_f64 v[143:144], v[7:8], v[143:144], v[206:207]
	v_add_f64 v[133:134], v[133:134], v[193:194]
	v_add_f64 v[131:132], v[131:132], v[151:152]
	s_clause 0x4
	buffer_load_dword v152, off, s[0:3], 0 offset:796
	buffer_load_dword v193, off, s[0:3], 0 offset:808
	;; [unrolled: 1-line block ×5, first 2 shown]
	ds_read_b128 v[5:8], v188 offset:1504
	s_waitcnt vmcnt(57) lgkmcnt(1)
	v_mul_f64 v[208:209], v[127:128], v[141:142]
	v_mul_f64 v[141:142], v[129:130], v[141:142]
	s_waitcnt vmcnt(56)
	v_fma_f64 v[155:156], v[1:2], v[203:204], -v[155:156]
	v_add_f64 v[133:134], v[133:134], v[137:138]
	v_fma_f64 v[137:138], v[3:4], v[203:204], v[195:196]
	v_add_f64 v[131:132], v[131:132], v[143:144]
	s_clause 0x2
	buffer_load_dword v194, off, s[0:3], 0 offset:812
	buffer_load_dword v144, off, s[0:3], 0 offset:788
	;; [unrolled: 1-line block ×3, first 2 shown]
	s_waitcnt vmcnt(58) lgkmcnt(0)
	v_mul_f64 v[195:196], v[5:6], v[163:164]
	v_mul_f64 v[163:164], v[7:8], v[163:164]
	ds_read_b128 v[1:4], v188 offset:1520
	s_waitcnt vmcnt(56)
	v_fma_f64 v[141:142], v[127:128], v[149:150], -v[141:142]
	v_fma_f64 v[149:150], v[129:130], v[149:150], v[208:209]
	v_add_f64 v[133:134], v[133:134], v[155:156]
	v_add_f64 v[131:132], v[131:132], v[137:138]
	s_clause 0x4
	buffer_load_dword v138, off, s[0:3], 0 offset:828
	buffer_load_dword v155, off, s[0:3], 0 offset:840
	;; [unrolled: 1-line block ×5, first 2 shown]
	ds_read_b128 v[127:130], v188 offset:1536
	s_waitcnt vmcnt(57) lgkmcnt(1)
	v_mul_f64 v[209:210], v[1:2], v[147:148]
	v_mul_f64 v[147:148], v[3:4], v[147:148]
	s_waitcnt vmcnt(56)
	v_fma_f64 v[163:164], v[5:6], v[189:190], -v[163:164]
	v_add_f64 v[133:134], v[133:134], v[141:142]
	v_fma_f64 v[141:142], v[7:8], v[189:190], v[195:196]
	v_add_f64 v[131:132], v[131:132], v[149:150]
	s_clause 0x2
	buffer_load_dword v156, off, s[0:3], 0 offset:844
	buffer_load_dword v150, off, s[0:3], 0 offset:820
	;; [unrolled: 1-line block ×3, first 2 shown]
	s_waitcnt vmcnt(58) lgkmcnt(0)
	v_mul_f64 v[189:190], v[127:128], v[169:170]
	v_mul_f64 v[169:170], v[129:130], v[169:170]
	ds_read_b128 v[5:8], v188 offset:1552
	s_waitcnt vmcnt(56)
	v_fma_f64 v[147:148], v[1:2], v[159:160], -v[147:148]
	v_fma_f64 v[159:160], v[3:4], v[159:160], v[209:210]
	v_add_f64 v[133:134], v[133:134], v[163:164]
	v_add_f64 v[131:132], v[131:132], v[141:142]
	s_clause 0x4
	buffer_load_dword v142, off, s[0:3], 0 offset:860
	buffer_load_dword v163, off, s[0:3], 0 offset:872
	buffer_load_dword v195, off, s[0:3], 0 offset:864
	buffer_load_dword v141, off, s[0:3], 0 offset:856
	buffer_load_dword v204, off, s[0:3], 0 offset:836
	ds_read_b128 v[1:4], v188 offset:1568
	s_waitcnt vmcnt(57) lgkmcnt(1)
	v_mul_f64 v[209:210], v[5:6], v[153:154]
	v_mul_f64 v[153:154], v[7:8], v[153:154]
	s_waitcnt vmcnt(56)
	v_fma_f64 v[169:170], v[127:128], v[171:172], -v[169:170]
	v_add_f64 v[133:134], v[133:134], v[147:148]
	v_fma_f64 v[147:148], v[129:130], v[171:172], v[189:190]
	v_add_f64 v[131:132], v[131:132], v[159:160]
	s_clause 0x2
	buffer_load_dword v164, off, s[0:3], 0 offset:876
	buffer_load_dword v160, off, s[0:3], 0 offset:852
	buffer_load_dword v159, off, s[0:3], 0 offset:848
	ds_read_b128 v[127:130], v188 offset:1584
	s_waitcnt vmcnt(58) lgkmcnt(1)
	v_mul_f64 v[171:172], v[1:2], v[177:178]
	v_mul_f64 v[177:178], v[3:4], v[177:178]
	s_waitcnt vmcnt(56)
	v_fma_f64 v[153:154], v[5:6], v[157:158], -v[153:154]
	v_fma_f64 v[157:158], v[7:8], v[157:158], v[209:210]
	v_add_f64 v[133:134], v[133:134], v[169:170]
	v_add_f64 v[131:132], v[131:132], v[147:148]
	s_clause 0x4
	buffer_load_dword v148, off, s[0:3], 0 offset:892
	buffer_load_dword v169, off, s[0:3], 0 offset:904
	buffer_load_dword v189, off, s[0:3], 0 offset:896
	buffer_load_dword v147, off, s[0:3], 0 offset:888
	buffer_load_dword v196, off, s[0:3], 0 offset:868
	ds_read_b128 v[5:8], v188 offset:1600
	s_waitcnt vmcnt(57) lgkmcnt(1)
	v_mul_f64 v[209:210], v[127:128], v[161:162]
	v_mul_f64 v[161:162], v[129:130], v[161:162]
	s_waitcnt vmcnt(56)
	v_fma_f64 v[177:178], v[1:2], v[179:180], -v[177:178]
	v_add_f64 v[133:134], v[133:134], v[153:154]
	v_fma_f64 v[153:154], v[3:4], v[179:180], v[171:172]
	v_add_f64 v[131:132], v[131:132], v[157:158]
	s_clause 0x2
	buffer_load_dword v170, off, s[0:3], 0 offset:908
	buffer_load_dword v158, off, s[0:3], 0 offset:884
	buffer_load_dword v157, off, s[0:3], 0 offset:880
	ds_read_b128 v[1:4], v188 offset:1616
	s_waitcnt vmcnt(58) lgkmcnt(1)
	v_mul_f64 v[179:180], v[7:8], v[183:184]
	v_mul_f64 v[171:172], v[5:6], v[183:184]
	;; [unrolled: 28-line block ×3, first 2 shown]
	s_waitcnt vmcnt(56)
	v_fma_f64 v[167:168], v[1:2], v[135:136], -v[167:168]
	v_fma_f64 v[135:136], v[3:4], v[135:136], v[209:210]
	v_add_f64 v[133:134], v[133:134], v[179:180]
	v_add_f64 v[131:132], v[131:132], v[161:162]
	s_clause 0x2
	buffer_load_dword v162, off, s[0:3], 0 offset:956
	buffer_load_dword v161, off, s[0:3], 0 offset:952
	;; [unrolled: 1-line block ×3, first 2 shown]
	ds_read_b128 v[1:4], v188 offset:1664
	s_waitcnt vmcnt(55) lgkmcnt(1)
	v_mul_f64 v[179:180], v[5:6], v[175:176]
	v_mul_f64 v[175:176], v[7:8], v[175:176]
	s_waitcnt vmcnt(54)
	v_fma_f64 v[173:174], v[127:128], v[197:198], -v[173:174]
	v_add_f64 v[133:134], v[133:134], v[167:168]
	v_fma_f64 v[167:168], v[129:130], v[197:198], v[171:172]
	v_add_f64 v[131:132], v[131:132], v[135:136]
	s_clause 0x1
	buffer_load_dword v136, off, s[0:3], 0 offset:948
	buffer_load_dword v135, off, s[0:3], 0 offset:944
	ds_read_b128 v[127:130], v188 offset:1680
	s_waitcnt vmcnt(55) lgkmcnt(1)
	v_mul_f64 v[185:186], v[3:4], v[191:192]
	v_mul_f64 v[171:172], v[1:2], v[191:192]
	s_waitcnt vmcnt(53)
	v_fma_f64 v[175:176], v[5:6], v[181:182], -v[175:176]
	v_add_f64 v[133:134], v[133:134], v[173:174]
	v_fma_f64 v[173:174], v[7:8], v[181:182], v[179:180]
	v_add_f64 v[131:132], v[131:132], v[167:168]
	ds_read_b128 v[5:8], v188 offset:1696
	s_waitcnt vmcnt(49) lgkmcnt(1)
	v_mul_f64 v[167:168], v[127:128], v[139:140]
	v_mul_f64 v[139:140], v[129:130], v[139:140]
	s_waitcnt vmcnt(48)
	v_fma_f64 v[179:180], v[1:2], v[201:202], -v[185:186]
	v_fma_f64 v[171:172], v[3:4], v[201:202], v[171:172]
	v_add_f64 v[133:134], v[133:134], v[175:176]
	v_add_f64 v[131:132], v[131:132], v[173:174]
	s_clause 0x3
	buffer_load_dword v173, off, s[0:3], 0 offset:176
	buffer_load_dword v174, off, s[0:3], 0 offset:180
	;; [unrolled: 1-line block ×4, first 2 shown]
	ds_read_b128 v[1:4], v188 offset:1712
	s_waitcnt vmcnt(51) lgkmcnt(1)
	v_mul_f64 v[185:186], v[7:8], v[199:200]
	v_mul_f64 v[181:182], v[5:6], v[199:200]
	s_waitcnt vmcnt(49)
	v_fma_f64 v[139:140], v[127:128], v[145:146], -v[139:140]
	v_fma_f64 v[145:146], v[129:130], v[145:146], v[167:168]
	ds_read_b128 v[127:130], v188 offset:1728
	v_add_f64 v[133:134], v[133:134], v[179:180]
	v_add_f64 v[131:132], v[131:132], v[171:172]
	s_waitcnt vmcnt(45) lgkmcnt(1)
	v_mul_f64 v[167:168], v[1:2], v[151:152]
	v_mul_f64 v[151:152], v[3:4], v[151:152]
	s_waitcnt vmcnt(44)
	v_fma_f64 v[171:172], v[5:6], v[205:206], -v[185:186]
	v_add_f64 v[133:134], v[133:134], v[139:140]
	v_fma_f64 v[139:140], v[7:8], v[205:206], v[181:182]
	v_add_f64 v[131:132], v[131:132], v[145:146]
	ds_read_b128 v[5:8], v188 offset:1744
	s_waitcnt vmcnt(43) lgkmcnt(1)
	v_mul_f64 v[179:180], v[129:130], v[193:194]
	v_mul_f64 v[145:146], v[127:128], v[193:194]
	s_waitcnt vmcnt(41)
	v_fma_f64 v[151:152], v[1:2], v[143:144], -v[151:152]
	v_fma_f64 v[143:144], v[3:4], v[143:144], v[167:168]
	ds_read_b128 v[1:4], v188 offset:1760
	v_add_f64 v[133:134], v[133:134], v[171:172]
	v_add_f64 v[131:132], v[131:132], v[139:140]
	s_waitcnt vmcnt(37) lgkmcnt(1)
	v_mul_f64 v[139:140], v[5:6], v[137:138]
	v_mul_f64 v[137:138], v[7:8], v[137:138]
	s_waitcnt vmcnt(36)
	v_fma_f64 v[167:168], v[127:128], v[207:208], -v[179:180]
	v_fma_f64 v[145:146], v[129:130], v[207:208], v[145:146]
	ds_read_b128 v[127:130], v188 offset:1776
	v_add_f64 v[133:134], v[133:134], v[151:152]
	v_add_f64 v[131:132], v[131:132], v[143:144]
	;; [unrolled: 9-line block ×3, first 2 shown]
	s_waitcnt vmcnt(29) lgkmcnt(1)
	v_mul_f64 v[145:146], v[127:128], v[141:142]
	v_mul_f64 v[141:142], v[129:130], v[141:142]
	s_waitcnt vmcnt(28)
	v_fma_f64 v[149:150], v[1:2], v[203:204], -v[151:152]
	v_add_f64 v[133:134], v[133:134], v[137:138]
	v_fma_f64 v[137:138], v[3:4], v[203:204], v[143:144]
	v_add_f64 v[131:132], v[131:132], v[139:140]
	ds_read_b128 v[1:4], v188 offset:1808
	s_waitcnt vmcnt(27) lgkmcnt(1)
	v_mul_f64 v[143:144], v[7:8], v[163:164]
	v_mul_f64 v[139:140], v[5:6], v[163:164]
	s_waitcnt vmcnt(25)
	v_fma_f64 v[141:142], v[127:128], v[159:160], -v[141:142]
	v_fma_f64 v[145:146], v[129:130], v[159:160], v[145:146]
	ds_read_b128 v[127:130], v188 offset:1824
	v_add_f64 v[133:134], v[133:134], v[149:150]
	v_add_f64 v[131:132], v[131:132], v[137:138]
	s_waitcnt vmcnt(21) lgkmcnt(1)
	v_mul_f64 v[137:138], v[1:2], v[147:148]
	v_mul_f64 v[147:148], v[3:4], v[147:148]
	s_waitcnt vmcnt(20)
	v_fma_f64 v[143:144], v[5:6], v[195:196], -v[143:144]
	v_fma_f64 v[139:140], v[7:8], v[195:196], v[139:140]
	ds_read_b128 v[5:8], v188 offset:1840
	v_add_f64 v[133:134], v[133:134], v[141:142]
	v_add_f64 v[131:132], v[131:132], v[145:146]
	;; [unrolled: 9-line block ×3, first 2 shown]
	s_waitcnt vmcnt(13) lgkmcnt(1)
	v_mul_f64 v[143:144], v[7:8], v[153:154]
	s_waitcnt vmcnt(12)
	v_fma_f64 v[145:146], v[127:128], v[189:190], -v[145:146]
	v_mul_f64 v[139:140], v[5:6], v[153:154]
	v_fma_f64 v[141:142], v[129:130], v[189:190], v[141:142]
	ds_read_b128 v[127:130], v188 offset:1872
	v_add_f64 v[133:134], v[133:134], v[147:148]
	v_add_f64 v[131:132], v[131:132], v[137:138]
	s_waitcnt vmcnt(11) lgkmcnt(1)
	v_mul_f64 v[147:148], v[3:4], v[177:178]
	v_mul_f64 v[137:138], v[1:2], v[177:178]
	s_waitcnt vmcnt(9)
	v_fma_f64 v[5:6], v[5:6], v[165:166], -v[143:144]
	v_fma_f64 v[7:8], v[7:8], v[165:166], v[139:140]
	v_add_f64 v[133:134], v[133:134], v[145:146]
	v_add_f64 v[131:132], v[131:132], v[141:142]
	s_waitcnt vmcnt(7) lgkmcnt(0)
	v_mul_f64 v[141:142], v[129:130], v[161:162]
	s_waitcnt vmcnt(6)
	v_fma_f64 v[1:2], v[1:2], v[183:184], -v[147:148]
	v_mul_f64 v[139:140], v[127:128], v[161:162]
	v_fma_f64 v[3:4], v[3:4], v[183:184], v[137:138]
	v_add_f64 v[5:6], v[133:134], v[5:6]
	v_add_f64 v[7:8], v[131:132], v[7:8]
	s_waitcnt vmcnt(4)
	v_fma_f64 v[127:128], v[127:128], v[135:136], -v[141:142]
	v_add_f64 v[1:2], v[5:6], v[1:2]
	v_fma_f64 v[5:6], v[129:130], v[135:136], v[139:140]
	v_add_f64 v[3:4], v[7:8], v[3:4]
	v_add_f64 v[1:2], v[1:2], v[127:128]
	;; [unrolled: 1-line block ×3, first 2 shown]
	s_waitcnt vmcnt(2)
	v_add_f64 v[1:2], v[173:174], -v[1:2]
	s_waitcnt vmcnt(0)
	v_add_f64 v[3:4], v[175:176], -v[3:4]
	buffer_store_dword v2, off, s[0:3], 0 offset:180
	buffer_store_dword v1, off, s[0:3], 0 offset:176
	;; [unrolled: 1-line block ×4, first 2 shown]
	v_cmpx_lt_u32_e32 9, v0
	s_cbranch_execz .LBB122_349
; %bb.348:
	v_mov_b32_e32 v4, s62
	v_mov_b32_e32 v5, 0
	s_clause 0x3
	buffer_load_dword v1, v4, s[0:3], 0 offen
	buffer_load_dword v2, v4, s[0:3], 0 offen offset:4
	buffer_load_dword v3, v4, s[0:3], 0 offen offset:8
	;; [unrolled: 1-line block ×3, first 2 shown]
	buffer_store_dword v5, off, s[0:3], 0 offset:160
	buffer_store_dword v5, off, s[0:3], 0 offset:164
	;; [unrolled: 1-line block ×4, first 2 shown]
	s_waitcnt vmcnt(0)
	ds_write_b128 v187, v[1:4]
.LBB122_349:
	s_or_b32 exec_lo, exec_lo, s4
	s_waitcnt lgkmcnt(0)
	s_waitcnt_vscnt null, 0x0
	s_barrier
	buffer_gl0_inv
	s_clause 0x37
	buffer_load_dword v135, off, s[0:3], 0 offset:184
	buffer_load_dword v136, off, s[0:3], 0 offset:188
	;; [unrolled: 1-line block ×56, first 2 shown]
	v_mov_b32_e32 v188, 0
	s_mov_b32 s4, exec_lo
	ds_read_b128 v[5:8], v188 offset:1104
	s_clause 0x2
	buffer_load_dword v184, off, s[0:3], 0 offset:412
	buffer_load_dword v186, off, s[0:3], 0 offset:388
	;; [unrolled: 1-line block ×3, first 2 shown]
	ds_read_b128 v[1:4], v188 offset:1120
	s_clause 0x4
	buffer_load_dword v196, off, s[0:3], 0 offset:428
	buffer_load_dword v197, off, s[0:3], 0 offset:440
	;; [unrolled: 1-line block ×5, first 2 shown]
	ds_read_b128 v[189:192], v188 offset:1136
	s_waitcnt vmcnt(62) lgkmcnt(2)
	v_mul_f64 v[193:194], v[7:8], v[135:136]
	v_mul_f64 v[135:136], v[5:6], v[135:136]
	s_waitcnt vmcnt(60) lgkmcnt(1)
	v_mul_f64 v[200:201], v[3:4], v[131:132]
	v_mul_f64 v[131:132], v[1:2], v[131:132]
	;; [unrolled: 3-line block ×3, first 2 shown]
	v_fma_f64 v[193:194], v[5:6], v[133:134], -v[193:194]
	v_fma_f64 v[133:134], v[7:8], v[133:134], v[135:136]
	s_clause 0x2
	buffer_load_dword v198, off, s[0:3], 0 offset:444
	buffer_load_dword v136, off, s[0:3], 0 offset:420
	;; [unrolled: 1-line block ×3, first 2 shown]
	s_waitcnt vmcnt(57)
	v_fma_f64 v[204:205], v[1:2], v[127:128], -v[200:201]
	ds_read_b128 v[5:8], v188 offset:1152
	v_fma_f64 v[127:128], v[3:4], v[127:128], v[131:132]
	s_waitcnt vmcnt(51)
	v_fma_f64 v[189:190], v[189:190], v[151:152], -v[129:130]
	v_fma_f64 v[151:152], v[191:192], v[151:152], v[202:203]
	v_add_f64 v[193:194], v[193:194], 0
	v_add_f64 v[131:132], v[133:134], 0
	s_clause 0x4
	buffer_load_dword v134, off, s[0:3], 0 offset:460
	buffer_load_dword v201, off, s[0:3], 0 offset:472
	;; [unrolled: 1-line block ×5, first 2 shown]
	s_waitcnt lgkmcnt(0)
	v_mul_f64 v[207:208], v[5:6], v[139:140]
	v_mul_f64 v[139:140], v[7:8], v[139:140]
	ds_read_b128 v[1:4], v188 offset:1168
	s_clause 0x2
	buffer_load_dword v202, off, s[0:3], 0 offset:476
	buffer_load_dword v192, off, s[0:3], 0 offset:452
	;; [unrolled: 1-line block ×3, first 2 shown]
	v_add_f64 v[193:194], v[193:194], v[204:205]
	v_add_f64 v[131:132], v[131:132], v[127:128]
	ds_read_b128 v[127:130], v188 offset:1184
	s_waitcnt vmcnt(58) lgkmcnt(1)
	v_mul_f64 v[203:204], v[1:2], v[143:144]
	v_mul_f64 v[143:144], v[3:4], v[143:144]
	s_waitcnt vmcnt(56)
	v_fma_f64 v[139:140], v[5:6], v[145:146], -v[139:140]
	v_fma_f64 v[145:146], v[7:8], v[145:146], v[207:208]
	s_waitcnt vmcnt(52) lgkmcnt(0)
	v_mul_f64 v[209:210], v[127:128], v[147:148]
	v_add_f64 v[189:190], v[193:194], v[189:190]
	v_add_f64 v[131:132], v[131:132], v[151:152]
	s_clause 0x4
	buffer_load_dword v152, off, s[0:3], 0 offset:492
	buffer_load_dword v193, off, s[0:3], 0 offset:504
	;; [unrolled: 1-line block ×5, first 2 shown]
	v_mul_f64 v[147:148], v[129:130], v[147:148]
	s_waitcnt vmcnt(56)
	v_fma_f64 v[143:144], v[1:2], v[137:138], -v[143:144]
	ds_read_b128 v[5:8], v188 offset:1200
	v_fma_f64 v[137:138], v[3:4], v[137:138], v[203:204]
	v_add_f64 v[139:140], v[189:190], v[139:140]
	v_add_f64 v[131:132], v[131:132], v[145:146]
	s_clause 0x2
	buffer_load_dword v194, off, s[0:3], 0 offset:508
	buffer_load_dword v146, off, s[0:3], 0 offset:484
	;; [unrolled: 1-line block ×3, first 2 shown]
	s_waitcnt vmcnt(58) lgkmcnt(0)
	v_mul_f64 v[189:190], v[5:6], v[153:154]
	v_mul_f64 v[153:154], v[7:8], v[153:154]
	s_waitcnt vmcnt(56)
	v_fma_f64 v[147:148], v[127:128], v[155:156], -v[147:148]
	ds_read_b128 v[1:4], v188 offset:1216
	v_add_f64 v[139:140], v[139:140], v[143:144]
	v_fma_f64 v[143:144], v[129:130], v[155:156], v[209:210]
	v_add_f64 v[131:132], v[131:132], v[137:138]
	s_clause 0x4
	buffer_load_dword v138, off, s[0:3], 0 offset:524
	buffer_load_dword v155, off, s[0:3], 0 offset:536
	buffer_load_dword v203, off, s[0:3], 0 offset:528
	buffer_load_dword v137, off, s[0:3], 0 offset:520
	buffer_load_dword v209, off, s[0:3], 0 offset:500
	s_waitcnt vmcnt(57) lgkmcnt(0)
	v_mul_f64 v[204:205], v[1:2], v[157:158]
	v_mul_f64 v[157:158], v[3:4], v[157:158]
	s_waitcnt vmcnt(56)
	v_fma_f64 v[153:154], v[5:6], v[141:142], -v[153:154]
	ds_read_b128 v[127:130], v188 offset:1232
	v_fma_f64 v[141:142], v[7:8], v[141:142], v[189:190]
	v_add_f64 v[139:140], v[139:140], v[147:148]
	v_add_f64 v[131:132], v[131:132], v[143:144]
	s_clause 0x2
	buffer_load_dword v156, off, s[0:3], 0 offset:540
	buffer_load_dword v144, off, s[0:3], 0 offset:516
	;; [unrolled: 1-line block ×3, first 2 shown]
	ds_read_b128 v[5:8], v188 offset:1248
	s_waitcnt vmcnt(58) lgkmcnt(1)
	v_mul_f64 v[147:148], v[127:128], v[161:162]
	v_mul_f64 v[161:162], v[129:130], v[161:162]
	s_waitcnt vmcnt(56)
	v_fma_f64 v[157:158], v[1:2], v[163:164], -v[157:158]
	v_add_f64 v[139:140], v[139:140], v[153:154]
	v_fma_f64 v[153:154], v[3:4], v[163:164], v[204:205]
	v_add_f64 v[131:132], v[131:132], v[141:142]
	s_clause 0x4
	buffer_load_dword v142, off, s[0:3], 0 offset:556
	buffer_load_dword v163, off, s[0:3], 0 offset:568
	;; [unrolled: 1-line block ×5, first 2 shown]
	s_waitcnt vmcnt(57) lgkmcnt(0)
	v_mul_f64 v[210:211], v[5:6], v[165:166]
	v_mul_f64 v[165:166], v[7:8], v[165:166]
	s_waitcnt vmcnt(56)
	v_fma_f64 v[161:162], v[127:128], v[149:150], -v[161:162]
	ds_read_b128 v[1:4], v188 offset:1264
	v_fma_f64 v[147:148], v[129:130], v[149:150], v[147:148]
	s_clause 0x2
	buffer_load_dword v164, off, s[0:3], 0 offset:572
	buffer_load_dword v150, off, s[0:3], 0 offset:548
	;; [unrolled: 1-line block ×3, first 2 shown]
	ds_read_b128 v[127:130], v188 offset:1280
	v_add_f64 v[139:140], v[139:140], v[157:158]
	v_add_f64 v[131:132], v[131:132], v[153:154]
	s_waitcnt vmcnt(58) lgkmcnt(1)
	v_mul_f64 v[157:158], v[3:4], v[169:170]
	s_waitcnt vmcnt(56)
	v_fma_f64 v[165:166], v[5:6], v[171:172], -v[165:166]
	v_mul_f64 v[153:154], v[1:2], v[169:170]
	v_add_f64 v[139:140], v[139:140], v[161:162]
	v_fma_f64 v[161:162], v[7:8], v[171:172], v[210:211]
	v_add_f64 v[131:132], v[131:132], v[147:148]
	s_clause 0x4
	buffer_load_dword v148, off, s[0:3], 0 offset:588
	buffer_load_dword v169, off, s[0:3], 0 offset:600
	;; [unrolled: 1-line block ×5, first 2 shown]
	s_waitcnt vmcnt(57) lgkmcnt(0)
	v_mul_f64 v[210:211], v[127:128], v[173:174]
	v_mul_f64 v[172:173], v[129:130], v[173:174]
	s_waitcnt vmcnt(56)
	v_fma_f64 v[157:158], v[1:2], v[159:160], -v[157:158]
	ds_read_b128 v[5:8], v188 offset:1296
	v_fma_f64 v[153:154], v[3:4], v[159:160], v[153:154]
	s_clause 0x2
	buffer_load_dword v170, off, s[0:3], 0 offset:604
	buffer_load_dword v160, off, s[0:3], 0 offset:580
	;; [unrolled: 1-line block ×3, first 2 shown]
	ds_read_b128 v[1:4], v188 offset:1312
	v_add_f64 v[139:140], v[139:140], v[165:166]
	v_add_f64 v[131:132], v[131:132], v[161:162]
	s_waitcnt vmcnt(58) lgkmcnt(1)
	v_mul_f64 v[165:166], v[7:8], v[177:178]
	s_waitcnt vmcnt(56)
	v_fma_f64 v[173:174], v[127:128], v[179:180], -v[172:173]
	v_mul_f64 v[161:162], v[5:6], v[177:178]
	v_add_f64 v[139:140], v[139:140], v[157:158]
	v_fma_f64 v[157:158], v[129:130], v[179:180], v[210:211]
	v_add_f64 v[131:132], v[131:132], v[153:154]
	s_clause 0x4
	buffer_load_dword v154, off, s[0:3], 0 offset:620
	buffer_load_dword v177, off, s[0:3], 0 offset:632
	;; [unrolled: 1-line block ×5, first 2 shown]
	s_waitcnt vmcnt(57) lgkmcnt(0)
	v_mul_f64 v[210:211], v[1:2], v[181:182]
	v_mul_f64 v[180:181], v[3:4], v[181:182]
	s_waitcnt vmcnt(56)
	v_fma_f64 v[165:166], v[5:6], v[167:168], -v[165:166]
	ds_read_b128 v[127:130], v188 offset:1328
	v_fma_f64 v[161:162], v[7:8], v[167:168], v[161:162]
	v_add_f64 v[139:140], v[139:140], v[173:174]
	v_add_f64 v[131:132], v[131:132], v[157:158]
	s_clause 0x2
	buffer_load_dword v178, off, s[0:3], 0 offset:636
	buffer_load_dword v158, off, s[0:3], 0 offset:612
	;; [unrolled: 1-line block ×3, first 2 shown]
	ds_read_b128 v[5:8], v188 offset:1344
	s_waitcnt vmcnt(58) lgkmcnt(1)
	v_mul_f64 v[173:174], v[129:130], v[183:184]
	s_waitcnt vmcnt(56)
	v_fma_f64 v[181:182], v[1:2], v[185:186], -v[180:181]
	v_mul_f64 v[167:168], v[127:128], v[183:184]
	v_add_f64 v[139:140], v[139:140], v[165:166]
	v_fma_f64 v[165:166], v[3:4], v[185:186], v[210:211]
	v_add_f64 v[131:132], v[131:132], v[161:162]
	s_clause 0x4
	buffer_load_dword v162, off, s[0:3], 0 offset:652
	buffer_load_dword v183, off, s[0:3], 0 offset:664
	;; [unrolled: 1-line block ×5, first 2 shown]
	s_waitcnt vmcnt(57) lgkmcnt(0)
	v_mul_f64 v[210:211], v[5:6], v[195:196]
	v_mul_f64 v[195:196], v[7:8], v[195:196]
	s_waitcnt vmcnt(56)
	v_fma_f64 v[173:174], v[127:128], v[175:176], -v[173:174]
	ds_read_b128 v[1:4], v188 offset:1360
	v_fma_f64 v[167:168], v[129:130], v[175:176], v[167:168]
	v_add_f64 v[139:140], v[139:140], v[181:182]
	v_add_f64 v[131:132], v[131:132], v[165:166]
	s_clause 0x2
	buffer_load_dword v184, off, s[0:3], 0 offset:668
	buffer_load_dword v166, off, s[0:3], 0 offset:644
	;; [unrolled: 1-line block ×3, first 2 shown]
	ds_read_b128 v[127:130], v188 offset:1376
	s_waitcnt vmcnt(58) lgkmcnt(1)
	v_mul_f64 v[181:182], v[3:4], v[197:198]
	v_mul_f64 v[175:176], v[1:2], v[197:198]
	s_waitcnt vmcnt(56)
	v_fma_f64 v[195:196], v[5:6], v[135:136], -v[195:196]
	v_fma_f64 v[135:136], v[7:8], v[135:136], v[210:211]
	v_add_f64 v[139:140], v[139:140], v[173:174]
	v_add_f64 v[131:132], v[131:132], v[167:168]
	s_clause 0x4
	buffer_load_dword v168, off, s[0:3], 0 offset:684
	buffer_load_dword v173, off, s[0:3], 0 offset:696
	;; [unrolled: 1-line block ×5, first 2 shown]
	ds_read_b128 v[5:8], v188 offset:1392
	s_waitcnt vmcnt(57) lgkmcnt(1)
	v_mul_f64 v[210:211], v[127:128], v[133:134]
	v_mul_f64 v[133:134], v[129:130], v[133:134]
	s_waitcnt vmcnt(56)
	v_fma_f64 v[181:182], v[1:2], v[199:200], -v[181:182]
	v_fma_f64 v[175:176], v[3:4], v[199:200], v[175:176]
	v_add_f64 v[139:140], v[139:140], v[195:196]
	v_add_f64 v[131:132], v[131:132], v[135:136]
	s_clause 0x2
	buffer_load_dword v174, off, s[0:3], 0 offset:700
	buffer_load_dword v136, off, s[0:3], 0 offset:676
	;; [unrolled: 1-line block ×3, first 2 shown]
	s_waitcnt vmcnt(58) lgkmcnt(0)
	v_mul_f64 v[199:200], v[7:8], v[201:202]
	ds_read_b128 v[1:4], v188 offset:1408
	v_mul_f64 v[195:196], v[5:6], v[201:202]
	s_waitcnt vmcnt(56)
	v_fma_f64 v[133:134], v[127:128], v[191:192], -v[133:134]
	v_add_f64 v[139:140], v[139:140], v[181:182]
	v_fma_f64 v[181:182], v[129:130], v[191:192], v[210:211]
	v_add_f64 v[131:132], v[131:132], v[175:176]
	s_clause 0x4
	buffer_load_dword v176, off, s[0:3], 0 offset:716
	buffer_load_dword v191, off, s[0:3], 0 offset:728
	buffer_load_dword v201, off, s[0:3], 0 offset:720
	buffer_load_dword v175, off, s[0:3], 0 offset:712
	buffer_load_dword v198, off, s[0:3], 0 offset:692
	ds_read_b128 v[127:130], v188 offset:1424
	s_waitcnt vmcnt(57) lgkmcnt(1)
	v_mul_f64 v[210:211], v[1:2], v[151:152]
	v_mul_f64 v[151:152], v[3:4], v[151:152]
	s_waitcnt vmcnt(56)
	v_fma_f64 v[199:200], v[5:6], v[206:207], -v[199:200]
	v_add_f64 v[133:134], v[139:140], v[133:134]
	v_fma_f64 v[139:140], v[7:8], v[206:207], v[195:196]
	v_add_f64 v[131:132], v[131:132], v[181:182]
	s_clause 0x2
	buffer_load_dword v192, off, s[0:3], 0 offset:732
	buffer_load_dword v182, off, s[0:3], 0 offset:708
	;; [unrolled: 1-line block ×3, first 2 shown]
	ds_read_b128 v[5:8], v188 offset:1440
	s_waitcnt vmcnt(58) lgkmcnt(1)
	v_mul_f64 v[195:196], v[127:128], v[193:194]
	v_mul_f64 v[193:194], v[129:130], v[193:194]
	s_waitcnt vmcnt(56)
	v_fma_f64 v[151:152], v[1:2], v[145:146], -v[151:152]
	v_fma_f64 v[145:146], v[3:4], v[145:146], v[210:211]
	v_add_f64 v[133:134], v[133:134], v[199:200]
	v_add_f64 v[131:132], v[131:132], v[139:140]
	s_clause 0x4
	buffer_load_dword v140, off, s[0:3], 0 offset:748
	buffer_load_dword v199, off, s[0:3], 0 offset:760
	;; [unrolled: 1-line block ×5, first 2 shown]
	ds_read_b128 v[1:4], v188 offset:1456
	s_waitcnt vmcnt(57) lgkmcnt(1)
	v_mul_f64 v[206:207], v[5:6], v[137:138]
	v_mul_f64 v[137:138], v[7:8], v[137:138]
	s_waitcnt vmcnt(56)
	v_fma_f64 v[193:194], v[127:128], v[208:209], -v[193:194]
	v_add_f64 v[133:134], v[133:134], v[151:152]
	v_fma_f64 v[151:152], v[129:130], v[208:209], v[195:196]
	v_add_f64 v[131:132], v[131:132], v[145:146]
	s_clause 0x2
	buffer_load_dword v200, off, s[0:3], 0 offset:764
	buffer_load_dword v146, off, s[0:3], 0 offset:740
	;; [unrolled: 1-line block ×3, first 2 shown]
	ds_read_b128 v[127:130], v188 offset:1472
	s_waitcnt vmcnt(58) lgkmcnt(1)
	v_mul_f64 v[195:196], v[1:2], v[155:156]
	v_mul_f64 v[155:156], v[3:4], v[155:156]
	s_waitcnt vmcnt(56)
	v_fma_f64 v[137:138], v[5:6], v[143:144], -v[137:138]
	v_fma_f64 v[143:144], v[7:8], v[143:144], v[206:207]
	v_add_f64 v[133:134], v[133:134], v[193:194]
	v_add_f64 v[131:132], v[131:132], v[151:152]
	s_clause 0x4
	buffer_load_dword v152, off, s[0:3], 0 offset:780
	buffer_load_dword v193, off, s[0:3], 0 offset:792
	buffer_load_dword v207, off, s[0:3], 0 offset:784
	buffer_load_dword v151, off, s[0:3], 0 offset:776
	buffer_load_dword v206, off, s[0:3], 0 offset:756
	ds_read_b128 v[5:8], v188 offset:1488
	s_waitcnt vmcnt(57) lgkmcnt(1)
	v_mul_f64 v[208:209], v[127:128], v[141:142]
	v_mul_f64 v[141:142], v[129:130], v[141:142]
	s_waitcnt vmcnt(56)
	v_fma_f64 v[155:156], v[1:2], v[203:204], -v[155:156]
	v_add_f64 v[133:134], v[133:134], v[137:138]
	v_fma_f64 v[137:138], v[3:4], v[203:204], v[195:196]
	v_add_f64 v[131:132], v[131:132], v[143:144]
	s_clause 0x2
	buffer_load_dword v194, off, s[0:3], 0 offset:796
	buffer_load_dword v144, off, s[0:3], 0 offset:772
	;; [unrolled: 1-line block ×3, first 2 shown]
	s_waitcnt vmcnt(58) lgkmcnt(0)
	v_mul_f64 v[195:196], v[5:6], v[163:164]
	v_mul_f64 v[163:164], v[7:8], v[163:164]
	ds_read_b128 v[1:4], v188 offset:1504
	s_waitcnt vmcnt(56)
	v_fma_f64 v[141:142], v[127:128], v[149:150], -v[141:142]
	v_fma_f64 v[149:150], v[129:130], v[149:150], v[208:209]
	v_add_f64 v[133:134], v[133:134], v[155:156]
	v_add_f64 v[131:132], v[131:132], v[137:138]
	s_clause 0x4
	buffer_load_dword v138, off, s[0:3], 0 offset:812
	buffer_load_dword v155, off, s[0:3], 0 offset:824
	;; [unrolled: 1-line block ×5, first 2 shown]
	ds_read_b128 v[127:130], v188 offset:1520
	s_waitcnt vmcnt(57) lgkmcnt(1)
	v_mul_f64 v[209:210], v[1:2], v[147:148]
	v_mul_f64 v[147:148], v[3:4], v[147:148]
	s_waitcnt vmcnt(56)
	v_fma_f64 v[163:164], v[5:6], v[189:190], -v[163:164]
	v_add_f64 v[133:134], v[133:134], v[141:142]
	v_fma_f64 v[141:142], v[7:8], v[189:190], v[195:196]
	v_add_f64 v[131:132], v[131:132], v[149:150]
	s_clause 0x2
	buffer_load_dword v156, off, s[0:3], 0 offset:828
	buffer_load_dword v150, off, s[0:3], 0 offset:804
	;; [unrolled: 1-line block ×3, first 2 shown]
	s_waitcnt vmcnt(58) lgkmcnt(0)
	v_mul_f64 v[189:190], v[127:128], v[169:170]
	v_mul_f64 v[169:170], v[129:130], v[169:170]
	ds_read_b128 v[5:8], v188 offset:1536
	s_waitcnt vmcnt(56)
	v_fma_f64 v[147:148], v[1:2], v[159:160], -v[147:148]
	v_fma_f64 v[159:160], v[3:4], v[159:160], v[209:210]
	v_add_f64 v[133:134], v[133:134], v[163:164]
	v_add_f64 v[131:132], v[131:132], v[141:142]
	s_clause 0x4
	buffer_load_dword v142, off, s[0:3], 0 offset:844
	buffer_load_dword v163, off, s[0:3], 0 offset:856
	buffer_load_dword v195, off, s[0:3], 0 offset:848
	buffer_load_dword v141, off, s[0:3], 0 offset:840
	buffer_load_dword v204, off, s[0:3], 0 offset:820
	ds_read_b128 v[1:4], v188 offset:1552
	s_waitcnt vmcnt(57) lgkmcnt(1)
	v_mul_f64 v[209:210], v[5:6], v[153:154]
	v_mul_f64 v[153:154], v[7:8], v[153:154]
	s_waitcnt vmcnt(56)
	v_fma_f64 v[169:170], v[127:128], v[171:172], -v[169:170]
	v_add_f64 v[133:134], v[133:134], v[147:148]
	v_fma_f64 v[147:148], v[129:130], v[171:172], v[189:190]
	v_add_f64 v[131:132], v[131:132], v[159:160]
	s_clause 0x2
	buffer_load_dword v164, off, s[0:3], 0 offset:860
	buffer_load_dword v160, off, s[0:3], 0 offset:836
	buffer_load_dword v159, off, s[0:3], 0 offset:832
	ds_read_b128 v[127:130], v188 offset:1568
	s_waitcnt vmcnt(58) lgkmcnt(1)
	v_mul_f64 v[171:172], v[1:2], v[177:178]
	v_mul_f64 v[177:178], v[3:4], v[177:178]
	s_waitcnt vmcnt(56)
	v_fma_f64 v[153:154], v[5:6], v[157:158], -v[153:154]
	v_fma_f64 v[157:158], v[7:8], v[157:158], v[209:210]
	v_add_f64 v[133:134], v[133:134], v[169:170]
	v_add_f64 v[131:132], v[131:132], v[147:148]
	s_clause 0x4
	buffer_load_dword v148, off, s[0:3], 0 offset:876
	buffer_load_dword v169, off, s[0:3], 0 offset:888
	buffer_load_dword v189, off, s[0:3], 0 offset:880
	buffer_load_dword v147, off, s[0:3], 0 offset:872
	buffer_load_dword v196, off, s[0:3], 0 offset:852
	ds_read_b128 v[5:8], v188 offset:1584
	s_waitcnt vmcnt(57) lgkmcnt(1)
	v_mul_f64 v[209:210], v[127:128], v[161:162]
	v_mul_f64 v[161:162], v[129:130], v[161:162]
	s_waitcnt vmcnt(56)
	v_fma_f64 v[177:178], v[1:2], v[179:180], -v[177:178]
	v_add_f64 v[133:134], v[133:134], v[153:154]
	v_fma_f64 v[153:154], v[3:4], v[179:180], v[171:172]
	v_add_f64 v[131:132], v[131:132], v[157:158]
	s_clause 0x2
	buffer_load_dword v170, off, s[0:3], 0 offset:892
	buffer_load_dword v158, off, s[0:3], 0 offset:868
	buffer_load_dword v157, off, s[0:3], 0 offset:864
	ds_read_b128 v[1:4], v188 offset:1600
	s_waitcnt vmcnt(58) lgkmcnt(1)
	v_mul_f64 v[179:180], v[7:8], v[183:184]
	v_mul_f64 v[171:172], v[5:6], v[183:184]
	;; [unrolled: 28-line block ×3, first 2 shown]
	s_waitcnt vmcnt(56)
	v_fma_f64 v[167:168], v[1:2], v[135:136], -v[167:168]
	v_fma_f64 v[135:136], v[3:4], v[135:136], v[209:210]
	v_add_f64 v[133:134], v[133:134], v[179:180]
	v_add_f64 v[131:132], v[131:132], v[161:162]
	s_clause 0x4
	buffer_load_dword v162, off, s[0:3], 0 offset:940
	buffer_load_dword v179, off, s[0:3], 0 offset:952
	;; [unrolled: 1-line block ×5, first 2 shown]
	ds_read_b128 v[1:4], v188 offset:1648
	s_waitcnt vmcnt(57) lgkmcnt(1)
	v_mul_f64 v[209:210], v[5:6], v[175:176]
	v_mul_f64 v[175:176], v[7:8], v[175:176]
	s_waitcnt vmcnt(56)
	v_fma_f64 v[173:174], v[127:128], v[197:198], -v[173:174]
	v_add_f64 v[133:134], v[133:134], v[167:168]
	v_fma_f64 v[167:168], v[129:130], v[197:198], v[171:172]
	v_add_f64 v[131:132], v[131:132], v[135:136]
	s_clause 0x2
	buffer_load_dword v180, off, s[0:3], 0 offset:956
	buffer_load_dword v136, off, s[0:3], 0 offset:932
	;; [unrolled: 1-line block ×3, first 2 shown]
	ds_read_b128 v[127:130], v188 offset:1664
	buffer_load_dword v186, off, s[0:3], 0 offset:948
	s_waitcnt vmcnt(59) lgkmcnt(1)
	v_mul_f64 v[171:172], v[1:2], v[191:192]
	v_mul_f64 v[191:192], v[3:4], v[191:192]
	s_waitcnt vmcnt(57)
	v_fma_f64 v[175:176], v[5:6], v[181:182], -v[175:176]
	v_add_f64 v[133:134], v[133:134], v[173:174]
	v_fma_f64 v[173:174], v[7:8], v[181:182], v[209:210]
	v_add_f64 v[131:132], v[131:132], v[167:168]
	ds_read_b128 v[5:8], v188 offset:1680
	s_waitcnt vmcnt(53) lgkmcnt(1)
	v_mul_f64 v[167:168], v[127:128], v[139:140]
	v_mul_f64 v[139:140], v[129:130], v[139:140]
	s_waitcnt vmcnt(52)
	v_fma_f64 v[181:182], v[1:2], v[201:202], -v[191:192]
	v_fma_f64 v[171:172], v[3:4], v[201:202], v[171:172]
	ds_read_b128 v[1:4], v188 offset:1696
	v_add_f64 v[133:134], v[133:134], v[175:176]
	v_add_f64 v[131:132], v[131:132], v[173:174]
	s_waitcnt vmcnt(51) lgkmcnt(1)
	v_mul_f64 v[175:176], v[7:8], v[199:200]
	v_mul_f64 v[173:174], v[5:6], v[199:200]
	s_waitcnt vmcnt(49)
	v_fma_f64 v[139:140], v[127:128], v[145:146], -v[139:140]
	v_fma_f64 v[145:146], v[129:130], v[145:146], v[167:168]
	v_add_f64 v[133:134], v[133:134], v[181:182]
	v_add_f64 v[131:132], v[131:132], v[171:172]
	s_clause 0x3
	buffer_load_dword v167, off, s[0:3], 0 offset:160
	buffer_load_dword v168, off, s[0:3], 0 offset:164
	;; [unrolled: 1-line block ×4, first 2 shown]
	ds_read_b128 v[127:130], v188 offset:1712
	s_waitcnt vmcnt(49) lgkmcnt(1)
	v_mul_f64 v[181:182], v[1:2], v[151:152]
	v_mul_f64 v[151:152], v[3:4], v[151:152]
	s_waitcnt vmcnt(48)
	v_fma_f64 v[175:176], v[5:6], v[205:206], -v[175:176]
	v_add_f64 v[133:134], v[133:134], v[139:140]
	v_fma_f64 v[139:140], v[7:8], v[205:206], v[173:174]
	v_add_f64 v[131:132], v[131:132], v[145:146]
	ds_read_b128 v[5:8], v188 offset:1728
	s_waitcnt vmcnt(47) lgkmcnt(1)
	v_mul_f64 v[173:174], v[129:130], v[193:194]
	v_mul_f64 v[145:146], v[127:128], v[193:194]
	s_waitcnt vmcnt(45)
	v_fma_f64 v[151:152], v[1:2], v[143:144], -v[151:152]
	v_fma_f64 v[143:144], v[3:4], v[143:144], v[181:182]
	ds_read_b128 v[1:4], v188 offset:1744
	v_add_f64 v[133:134], v[133:134], v[175:176]
	v_add_f64 v[131:132], v[131:132], v[139:140]
	s_waitcnt vmcnt(41) lgkmcnt(1)
	v_mul_f64 v[139:140], v[5:6], v[137:138]
	v_mul_f64 v[137:138], v[7:8], v[137:138]
	s_waitcnt vmcnt(40)
	v_fma_f64 v[173:174], v[127:128], v[207:208], -v[173:174]
	v_fma_f64 v[145:146], v[129:130], v[207:208], v[145:146]
	ds_read_b128 v[127:130], v188 offset:1760
	v_add_f64 v[133:134], v[133:134], v[151:152]
	v_add_f64 v[131:132], v[131:132], v[143:144]
	;; [unrolled: 9-line block ×3, first 2 shown]
	s_waitcnt vmcnt(33) lgkmcnt(1)
	v_mul_f64 v[145:146], v[127:128], v[141:142]
	v_mul_f64 v[141:142], v[129:130], v[141:142]
	s_waitcnt vmcnt(32)
	v_fma_f64 v[149:150], v[1:2], v[203:204], -v[151:152]
	v_add_f64 v[133:134], v[133:134], v[137:138]
	v_fma_f64 v[137:138], v[3:4], v[203:204], v[143:144]
	v_add_f64 v[131:132], v[131:132], v[139:140]
	ds_read_b128 v[1:4], v188 offset:1792
	s_waitcnt vmcnt(31) lgkmcnt(1)
	v_mul_f64 v[143:144], v[7:8], v[163:164]
	v_mul_f64 v[139:140], v[5:6], v[163:164]
	s_waitcnt vmcnt(29)
	v_fma_f64 v[141:142], v[127:128], v[159:160], -v[141:142]
	v_fma_f64 v[145:146], v[129:130], v[159:160], v[145:146]
	ds_read_b128 v[127:130], v188 offset:1808
	v_add_f64 v[133:134], v[133:134], v[149:150]
	v_add_f64 v[131:132], v[131:132], v[137:138]
	s_waitcnt vmcnt(25) lgkmcnt(1)
	v_mul_f64 v[137:138], v[1:2], v[147:148]
	v_mul_f64 v[147:148], v[3:4], v[147:148]
	s_waitcnt vmcnt(24)
	v_fma_f64 v[143:144], v[5:6], v[195:196], -v[143:144]
	v_fma_f64 v[139:140], v[7:8], v[195:196], v[139:140]
	ds_read_b128 v[5:8], v188 offset:1824
	v_add_f64 v[133:134], v[133:134], v[141:142]
	v_add_f64 v[131:132], v[131:132], v[145:146]
	;; [unrolled: 9-line block ×3, first 2 shown]
	s_waitcnt vmcnt(17) lgkmcnt(1)
	v_mul_f64 v[143:144], v[7:8], v[153:154]
	s_waitcnt vmcnt(16)
	v_fma_f64 v[145:146], v[127:128], v[189:190], -v[145:146]
	v_mul_f64 v[139:140], v[5:6], v[153:154]
	v_fma_f64 v[141:142], v[129:130], v[189:190], v[141:142]
	ds_read_b128 v[127:130], v188 offset:1856
	v_add_f64 v[133:134], v[133:134], v[147:148]
	v_add_f64 v[131:132], v[131:132], v[137:138]
	s_waitcnt vmcnt(15) lgkmcnt(1)
	v_mul_f64 v[147:148], v[3:4], v[177:178]
	v_mul_f64 v[137:138], v[1:2], v[177:178]
	s_waitcnt vmcnt(13)
	v_fma_f64 v[143:144], v[5:6], v[165:166], -v[143:144]
	v_fma_f64 v[139:140], v[7:8], v[165:166], v[139:140]
	ds_read_b128 v[5:8], v188 offset:1872
	v_add_f64 v[133:134], v[133:134], v[145:146]
	v_add_f64 v[131:132], v[131:132], v[141:142]
	s_waitcnt vmcnt(9) lgkmcnt(1)
	v_mul_f64 v[145:146], v[129:130], v[161:162]
	s_waitcnt vmcnt(8)
	v_fma_f64 v[1:2], v[1:2], v[183:184], -v[147:148]
	v_mul_f64 v[141:142], v[127:128], v[161:162]
	v_fma_f64 v[3:4], v[3:4], v[183:184], v[137:138]
	v_add_f64 v[133:134], v[133:134], v[143:144]
	v_add_f64 v[131:132], v[131:132], v[139:140]
	s_waitcnt vmcnt(7) lgkmcnt(0)
	v_mul_f64 v[139:140], v[7:8], v[179:180]
	v_mul_f64 v[137:138], v[5:6], v[179:180]
	s_waitcnt vmcnt(5)
	v_fma_f64 v[127:128], v[127:128], v[135:136], -v[145:146]
	v_fma_f64 v[129:130], v[129:130], v[135:136], v[141:142]
	v_add_f64 v[1:2], v[133:134], v[1:2]
	v_add_f64 v[3:4], v[131:132], v[3:4]
	s_waitcnt vmcnt(4)
	v_fma_f64 v[5:6], v[5:6], v[185:186], -v[139:140]
	v_fma_f64 v[7:8], v[7:8], v[185:186], v[137:138]
	v_add_f64 v[1:2], v[1:2], v[127:128]
	v_add_f64 v[3:4], v[3:4], v[129:130]
	;; [unrolled: 1-line block ×4, first 2 shown]
	s_waitcnt vmcnt(2)
	v_add_f64 v[1:2], v[167:168], -v[1:2]
	s_waitcnt vmcnt(0)
	v_add_f64 v[3:4], v[171:172], -v[3:4]
	buffer_store_dword v2, off, s[0:3], 0 offset:164
	buffer_store_dword v1, off, s[0:3], 0 offset:160
	;; [unrolled: 1-line block ×4, first 2 shown]
	v_cmpx_lt_u32_e32 8, v0
	s_cbranch_execz .LBB122_351
; %bb.350:
	v_mov_b32_e32 v4, s63
	s_clause 0x3
	buffer_load_dword v1, v4, s[0:3], 0 offen
	buffer_load_dword v2, v4, s[0:3], 0 offen offset:4
	buffer_load_dword v3, v4, s[0:3], 0 offen offset:8
	;; [unrolled: 1-line block ×3, first 2 shown]
	buffer_store_dword v188, off, s[0:3], 0 offset:144
	buffer_store_dword v188, off, s[0:3], 0 offset:148
	;; [unrolled: 1-line block ×4, first 2 shown]
	s_waitcnt vmcnt(0)
	ds_write_b128 v187, v[1:4]
.LBB122_351:
	s_or_b32 exec_lo, exec_lo, s4
	s_waitcnt lgkmcnt(0)
	s_waitcnt_vscnt null, 0x0
	s_barrier
	buffer_gl0_inv
	s_clause 0x37
	buffer_load_dword v135, off, s[0:3], 0 offset:168
	buffer_load_dword v136, off, s[0:3], 0 offset:172
	;; [unrolled: 1-line block ×56, first 2 shown]
	ds_read_b128 v[5:8], v188 offset:1088
	s_clause 0x2
	buffer_load_dword v184, off, s[0:3], 0 offset:396
	buffer_load_dword v186, off, s[0:3], 0 offset:372
	;; [unrolled: 1-line block ×3, first 2 shown]
	ds_read_b128 v[1:4], v188 offset:1104
	s_clause 0x4
	buffer_load_dword v196, off, s[0:3], 0 offset:412
	buffer_load_dword v197, off, s[0:3], 0 offset:424
	;; [unrolled: 1-line block ×5, first 2 shown]
	ds_read_b128 v[189:192], v188 offset:1120
	s_mov_b32 s4, exec_lo
	s_waitcnt vmcnt(62) lgkmcnt(2)
	v_mul_f64 v[193:194], v[7:8], v[135:136]
	v_mul_f64 v[135:136], v[5:6], v[135:136]
	s_waitcnt vmcnt(60) lgkmcnt(1)
	v_mul_f64 v[200:201], v[3:4], v[131:132]
	v_mul_f64 v[131:132], v[1:2], v[131:132]
	;; [unrolled: 3-line block ×3, first 2 shown]
	v_fma_f64 v[193:194], v[5:6], v[133:134], -v[193:194]
	v_fma_f64 v[133:134], v[7:8], v[133:134], v[135:136]
	s_clause 0x2
	buffer_load_dword v198, off, s[0:3], 0 offset:428
	buffer_load_dword v136, off, s[0:3], 0 offset:404
	;; [unrolled: 1-line block ×3, first 2 shown]
	s_waitcnt vmcnt(57)
	v_fma_f64 v[204:205], v[1:2], v[127:128], -v[200:201]
	ds_read_b128 v[5:8], v188 offset:1136
	v_fma_f64 v[127:128], v[3:4], v[127:128], v[131:132]
	s_waitcnt vmcnt(51)
	v_fma_f64 v[189:190], v[189:190], v[151:152], -v[129:130]
	v_fma_f64 v[151:152], v[191:192], v[151:152], v[202:203]
	v_add_f64 v[193:194], v[193:194], 0
	v_add_f64 v[131:132], v[133:134], 0
	s_clause 0x4
	buffer_load_dword v134, off, s[0:3], 0 offset:444
	buffer_load_dword v201, off, s[0:3], 0 offset:456
	;; [unrolled: 1-line block ×5, first 2 shown]
	s_waitcnt lgkmcnt(0)
	v_mul_f64 v[207:208], v[5:6], v[139:140]
	v_mul_f64 v[139:140], v[7:8], v[139:140]
	ds_read_b128 v[1:4], v188 offset:1152
	s_clause 0x2
	buffer_load_dword v202, off, s[0:3], 0 offset:460
	buffer_load_dword v192, off, s[0:3], 0 offset:436
	;; [unrolled: 1-line block ×3, first 2 shown]
	v_add_f64 v[193:194], v[193:194], v[204:205]
	v_add_f64 v[131:132], v[131:132], v[127:128]
	ds_read_b128 v[127:130], v188 offset:1168
	s_waitcnt vmcnt(58) lgkmcnt(1)
	v_mul_f64 v[203:204], v[1:2], v[143:144]
	v_mul_f64 v[143:144], v[3:4], v[143:144]
	s_waitcnt vmcnt(56)
	v_fma_f64 v[139:140], v[5:6], v[145:146], -v[139:140]
	v_fma_f64 v[145:146], v[7:8], v[145:146], v[207:208]
	s_waitcnt vmcnt(52) lgkmcnt(0)
	v_mul_f64 v[209:210], v[127:128], v[147:148]
	v_add_f64 v[189:190], v[193:194], v[189:190]
	v_add_f64 v[131:132], v[131:132], v[151:152]
	s_clause 0x4
	buffer_load_dword v152, off, s[0:3], 0 offset:476
	buffer_load_dword v193, off, s[0:3], 0 offset:488
	;; [unrolled: 1-line block ×5, first 2 shown]
	v_mul_f64 v[147:148], v[129:130], v[147:148]
	s_waitcnt vmcnt(56)
	v_fma_f64 v[143:144], v[1:2], v[137:138], -v[143:144]
	ds_read_b128 v[5:8], v188 offset:1184
	v_fma_f64 v[137:138], v[3:4], v[137:138], v[203:204]
	v_add_f64 v[139:140], v[189:190], v[139:140]
	v_add_f64 v[131:132], v[131:132], v[145:146]
	s_clause 0x2
	buffer_load_dword v194, off, s[0:3], 0 offset:492
	buffer_load_dword v146, off, s[0:3], 0 offset:468
	;; [unrolled: 1-line block ×3, first 2 shown]
	s_waitcnt vmcnt(58) lgkmcnt(0)
	v_mul_f64 v[189:190], v[5:6], v[153:154]
	v_mul_f64 v[153:154], v[7:8], v[153:154]
	s_waitcnt vmcnt(56)
	v_fma_f64 v[147:148], v[127:128], v[155:156], -v[147:148]
	ds_read_b128 v[1:4], v188 offset:1200
	v_add_f64 v[139:140], v[139:140], v[143:144]
	v_fma_f64 v[143:144], v[129:130], v[155:156], v[209:210]
	v_add_f64 v[131:132], v[131:132], v[137:138]
	s_clause 0x4
	buffer_load_dword v138, off, s[0:3], 0 offset:508
	buffer_load_dword v155, off, s[0:3], 0 offset:520
	;; [unrolled: 1-line block ×5, first 2 shown]
	s_waitcnt vmcnt(57) lgkmcnt(0)
	v_mul_f64 v[204:205], v[1:2], v[157:158]
	v_mul_f64 v[157:158], v[3:4], v[157:158]
	s_waitcnt vmcnt(56)
	v_fma_f64 v[153:154], v[5:6], v[141:142], -v[153:154]
	ds_read_b128 v[127:130], v188 offset:1216
	v_fma_f64 v[141:142], v[7:8], v[141:142], v[189:190]
	v_add_f64 v[139:140], v[139:140], v[147:148]
	v_add_f64 v[131:132], v[131:132], v[143:144]
	s_clause 0x2
	buffer_load_dword v156, off, s[0:3], 0 offset:524
	buffer_load_dword v144, off, s[0:3], 0 offset:500
	;; [unrolled: 1-line block ×3, first 2 shown]
	ds_read_b128 v[5:8], v188 offset:1232
	s_waitcnt vmcnt(58) lgkmcnt(1)
	v_mul_f64 v[147:148], v[127:128], v[161:162]
	v_mul_f64 v[161:162], v[129:130], v[161:162]
	s_waitcnt vmcnt(56)
	v_fma_f64 v[157:158], v[1:2], v[163:164], -v[157:158]
	v_add_f64 v[139:140], v[139:140], v[153:154]
	v_fma_f64 v[153:154], v[3:4], v[163:164], v[204:205]
	v_add_f64 v[131:132], v[131:132], v[141:142]
	s_clause 0x4
	buffer_load_dword v142, off, s[0:3], 0 offset:540
	buffer_load_dword v163, off, s[0:3], 0 offset:552
	;; [unrolled: 1-line block ×5, first 2 shown]
	s_waitcnt vmcnt(57) lgkmcnt(0)
	v_mul_f64 v[210:211], v[5:6], v[165:166]
	v_mul_f64 v[165:166], v[7:8], v[165:166]
	s_waitcnt vmcnt(56)
	v_fma_f64 v[161:162], v[127:128], v[149:150], -v[161:162]
	ds_read_b128 v[1:4], v188 offset:1248
	v_fma_f64 v[147:148], v[129:130], v[149:150], v[147:148]
	s_clause 0x2
	buffer_load_dword v164, off, s[0:3], 0 offset:556
	buffer_load_dword v150, off, s[0:3], 0 offset:532
	;; [unrolled: 1-line block ×3, first 2 shown]
	ds_read_b128 v[127:130], v188 offset:1264
	v_add_f64 v[139:140], v[139:140], v[157:158]
	v_add_f64 v[131:132], v[131:132], v[153:154]
	s_waitcnt vmcnt(58) lgkmcnt(1)
	v_mul_f64 v[157:158], v[3:4], v[169:170]
	s_waitcnt vmcnt(56)
	v_fma_f64 v[165:166], v[5:6], v[171:172], -v[165:166]
	v_mul_f64 v[153:154], v[1:2], v[169:170]
	v_add_f64 v[139:140], v[139:140], v[161:162]
	v_fma_f64 v[161:162], v[7:8], v[171:172], v[210:211]
	v_add_f64 v[131:132], v[131:132], v[147:148]
	s_clause 0x4
	buffer_load_dword v148, off, s[0:3], 0 offset:572
	buffer_load_dword v169, off, s[0:3], 0 offset:584
	;; [unrolled: 1-line block ×5, first 2 shown]
	s_waitcnt vmcnt(57) lgkmcnt(0)
	v_mul_f64 v[210:211], v[127:128], v[173:174]
	v_mul_f64 v[172:173], v[129:130], v[173:174]
	s_waitcnt vmcnt(56)
	v_fma_f64 v[157:158], v[1:2], v[159:160], -v[157:158]
	ds_read_b128 v[5:8], v188 offset:1280
	v_fma_f64 v[153:154], v[3:4], v[159:160], v[153:154]
	s_clause 0x2
	buffer_load_dword v170, off, s[0:3], 0 offset:588
	buffer_load_dword v160, off, s[0:3], 0 offset:564
	buffer_load_dword v159, off, s[0:3], 0 offset:560
	ds_read_b128 v[1:4], v188 offset:1296
	v_add_f64 v[139:140], v[139:140], v[165:166]
	v_add_f64 v[131:132], v[131:132], v[161:162]
	s_waitcnt vmcnt(58) lgkmcnt(1)
	v_mul_f64 v[165:166], v[7:8], v[177:178]
	s_waitcnt vmcnt(56)
	v_fma_f64 v[173:174], v[127:128], v[179:180], -v[172:173]
	v_mul_f64 v[161:162], v[5:6], v[177:178]
	v_add_f64 v[139:140], v[139:140], v[157:158]
	v_fma_f64 v[157:158], v[129:130], v[179:180], v[210:211]
	v_add_f64 v[131:132], v[131:132], v[153:154]
	s_clause 0x4
	buffer_load_dword v154, off, s[0:3], 0 offset:604
	buffer_load_dword v177, off, s[0:3], 0 offset:616
	;; [unrolled: 1-line block ×5, first 2 shown]
	s_waitcnt vmcnt(57) lgkmcnt(0)
	v_mul_f64 v[210:211], v[1:2], v[181:182]
	v_mul_f64 v[180:181], v[3:4], v[181:182]
	s_waitcnt vmcnt(56)
	v_fma_f64 v[165:166], v[5:6], v[167:168], -v[165:166]
	ds_read_b128 v[127:130], v188 offset:1312
	v_fma_f64 v[161:162], v[7:8], v[167:168], v[161:162]
	v_add_f64 v[139:140], v[139:140], v[173:174]
	v_add_f64 v[131:132], v[131:132], v[157:158]
	s_clause 0x2
	buffer_load_dword v178, off, s[0:3], 0 offset:620
	buffer_load_dword v158, off, s[0:3], 0 offset:596
	;; [unrolled: 1-line block ×3, first 2 shown]
	ds_read_b128 v[5:8], v188 offset:1328
	s_waitcnt vmcnt(58) lgkmcnt(1)
	v_mul_f64 v[173:174], v[129:130], v[183:184]
	s_waitcnt vmcnt(56)
	v_fma_f64 v[181:182], v[1:2], v[185:186], -v[180:181]
	v_mul_f64 v[167:168], v[127:128], v[183:184]
	v_add_f64 v[139:140], v[139:140], v[165:166]
	v_fma_f64 v[165:166], v[3:4], v[185:186], v[210:211]
	v_add_f64 v[131:132], v[131:132], v[161:162]
	s_clause 0x4
	buffer_load_dword v162, off, s[0:3], 0 offset:636
	buffer_load_dword v183, off, s[0:3], 0 offset:648
	;; [unrolled: 1-line block ×5, first 2 shown]
	s_waitcnt vmcnt(57) lgkmcnt(0)
	v_mul_f64 v[210:211], v[5:6], v[195:196]
	v_mul_f64 v[195:196], v[7:8], v[195:196]
	s_waitcnt vmcnt(56)
	v_fma_f64 v[173:174], v[127:128], v[175:176], -v[173:174]
	ds_read_b128 v[1:4], v188 offset:1344
	v_fma_f64 v[167:168], v[129:130], v[175:176], v[167:168]
	v_add_f64 v[139:140], v[139:140], v[181:182]
	v_add_f64 v[131:132], v[131:132], v[165:166]
	s_clause 0x2
	buffer_load_dword v184, off, s[0:3], 0 offset:652
	buffer_load_dword v166, off, s[0:3], 0 offset:628
	;; [unrolled: 1-line block ×3, first 2 shown]
	ds_read_b128 v[127:130], v188 offset:1360
	s_waitcnt vmcnt(58) lgkmcnt(1)
	v_mul_f64 v[181:182], v[3:4], v[197:198]
	v_mul_f64 v[175:176], v[1:2], v[197:198]
	s_waitcnt vmcnt(56)
	v_fma_f64 v[195:196], v[5:6], v[135:136], -v[195:196]
	v_fma_f64 v[135:136], v[7:8], v[135:136], v[210:211]
	v_add_f64 v[139:140], v[139:140], v[173:174]
	v_add_f64 v[131:132], v[131:132], v[167:168]
	s_clause 0x4
	buffer_load_dword v168, off, s[0:3], 0 offset:668
	buffer_load_dword v173, off, s[0:3], 0 offset:680
	;; [unrolled: 1-line block ×5, first 2 shown]
	ds_read_b128 v[5:8], v188 offset:1376
	s_waitcnt vmcnt(57) lgkmcnt(1)
	v_mul_f64 v[210:211], v[127:128], v[133:134]
	v_mul_f64 v[133:134], v[129:130], v[133:134]
	s_waitcnt vmcnt(56)
	v_fma_f64 v[181:182], v[1:2], v[199:200], -v[181:182]
	v_fma_f64 v[175:176], v[3:4], v[199:200], v[175:176]
	v_add_f64 v[139:140], v[139:140], v[195:196]
	v_add_f64 v[131:132], v[131:132], v[135:136]
	s_clause 0x2
	buffer_load_dword v174, off, s[0:3], 0 offset:684
	buffer_load_dword v136, off, s[0:3], 0 offset:660
	;; [unrolled: 1-line block ×3, first 2 shown]
	s_waitcnt vmcnt(58) lgkmcnt(0)
	v_mul_f64 v[199:200], v[7:8], v[201:202]
	ds_read_b128 v[1:4], v188 offset:1392
	v_mul_f64 v[195:196], v[5:6], v[201:202]
	s_waitcnt vmcnt(56)
	v_fma_f64 v[133:134], v[127:128], v[191:192], -v[133:134]
	v_add_f64 v[139:140], v[139:140], v[181:182]
	v_fma_f64 v[181:182], v[129:130], v[191:192], v[210:211]
	v_add_f64 v[131:132], v[131:132], v[175:176]
	s_clause 0x4
	buffer_load_dword v176, off, s[0:3], 0 offset:700
	buffer_load_dword v191, off, s[0:3], 0 offset:712
	;; [unrolled: 1-line block ×5, first 2 shown]
	ds_read_b128 v[127:130], v188 offset:1408
	s_waitcnt vmcnt(57) lgkmcnt(1)
	v_mul_f64 v[210:211], v[1:2], v[151:152]
	v_mul_f64 v[151:152], v[3:4], v[151:152]
	s_waitcnt vmcnt(56)
	v_fma_f64 v[199:200], v[5:6], v[206:207], -v[199:200]
	v_add_f64 v[133:134], v[139:140], v[133:134]
	v_fma_f64 v[139:140], v[7:8], v[206:207], v[195:196]
	v_add_f64 v[131:132], v[131:132], v[181:182]
	s_clause 0x2
	buffer_load_dword v192, off, s[0:3], 0 offset:716
	buffer_load_dword v182, off, s[0:3], 0 offset:692
	;; [unrolled: 1-line block ×3, first 2 shown]
	ds_read_b128 v[5:8], v188 offset:1424
	s_waitcnt vmcnt(58) lgkmcnt(1)
	v_mul_f64 v[195:196], v[127:128], v[193:194]
	v_mul_f64 v[193:194], v[129:130], v[193:194]
	s_waitcnt vmcnt(56)
	v_fma_f64 v[151:152], v[1:2], v[145:146], -v[151:152]
	v_fma_f64 v[145:146], v[3:4], v[145:146], v[210:211]
	v_add_f64 v[133:134], v[133:134], v[199:200]
	v_add_f64 v[131:132], v[131:132], v[139:140]
	s_clause 0x4
	buffer_load_dword v140, off, s[0:3], 0 offset:732
	buffer_load_dword v199, off, s[0:3], 0 offset:744
	buffer_load_dword v205, off, s[0:3], 0 offset:736
	buffer_load_dword v139, off, s[0:3], 0 offset:728
	buffer_load_dword v202, off, s[0:3], 0 offset:708
	ds_read_b128 v[1:4], v188 offset:1440
	s_waitcnt vmcnt(57) lgkmcnt(1)
	v_mul_f64 v[206:207], v[5:6], v[137:138]
	v_mul_f64 v[137:138], v[7:8], v[137:138]
	s_waitcnt vmcnt(56)
	v_fma_f64 v[193:194], v[127:128], v[208:209], -v[193:194]
	v_add_f64 v[133:134], v[133:134], v[151:152]
	v_fma_f64 v[151:152], v[129:130], v[208:209], v[195:196]
	v_add_f64 v[131:132], v[131:132], v[145:146]
	s_clause 0x2
	buffer_load_dword v200, off, s[0:3], 0 offset:748
	buffer_load_dword v146, off, s[0:3], 0 offset:724
	;; [unrolled: 1-line block ×3, first 2 shown]
	ds_read_b128 v[127:130], v188 offset:1456
	s_waitcnt vmcnt(58) lgkmcnt(1)
	v_mul_f64 v[195:196], v[1:2], v[155:156]
	v_mul_f64 v[155:156], v[3:4], v[155:156]
	s_waitcnt vmcnt(56)
	v_fma_f64 v[137:138], v[5:6], v[143:144], -v[137:138]
	v_fma_f64 v[143:144], v[7:8], v[143:144], v[206:207]
	v_add_f64 v[133:134], v[133:134], v[193:194]
	v_add_f64 v[131:132], v[131:132], v[151:152]
	s_clause 0x4
	buffer_load_dword v152, off, s[0:3], 0 offset:764
	buffer_load_dword v193, off, s[0:3], 0 offset:776
	;; [unrolled: 1-line block ×5, first 2 shown]
	ds_read_b128 v[5:8], v188 offset:1472
	s_waitcnt vmcnt(57) lgkmcnt(1)
	v_mul_f64 v[208:209], v[127:128], v[141:142]
	v_mul_f64 v[141:142], v[129:130], v[141:142]
	s_waitcnt vmcnt(56)
	v_fma_f64 v[155:156], v[1:2], v[203:204], -v[155:156]
	v_add_f64 v[133:134], v[133:134], v[137:138]
	v_fma_f64 v[137:138], v[3:4], v[203:204], v[195:196]
	v_add_f64 v[131:132], v[131:132], v[143:144]
	s_clause 0x2
	buffer_load_dword v194, off, s[0:3], 0 offset:780
	buffer_load_dword v144, off, s[0:3], 0 offset:756
	;; [unrolled: 1-line block ×3, first 2 shown]
	s_waitcnt vmcnt(58) lgkmcnt(0)
	v_mul_f64 v[195:196], v[5:6], v[163:164]
	v_mul_f64 v[163:164], v[7:8], v[163:164]
	ds_read_b128 v[1:4], v188 offset:1488
	s_waitcnt vmcnt(56)
	v_fma_f64 v[141:142], v[127:128], v[149:150], -v[141:142]
	v_fma_f64 v[149:150], v[129:130], v[149:150], v[208:209]
	v_add_f64 v[133:134], v[133:134], v[155:156]
	v_add_f64 v[131:132], v[131:132], v[137:138]
	s_clause 0x4
	buffer_load_dword v138, off, s[0:3], 0 offset:796
	buffer_load_dword v155, off, s[0:3], 0 offset:808
	;; [unrolled: 1-line block ×5, first 2 shown]
	ds_read_b128 v[127:130], v188 offset:1504
	s_waitcnt vmcnt(57) lgkmcnt(1)
	v_mul_f64 v[209:210], v[1:2], v[147:148]
	v_mul_f64 v[147:148], v[3:4], v[147:148]
	s_waitcnt vmcnt(56)
	v_fma_f64 v[163:164], v[5:6], v[189:190], -v[163:164]
	v_add_f64 v[133:134], v[133:134], v[141:142]
	v_fma_f64 v[141:142], v[7:8], v[189:190], v[195:196]
	v_add_f64 v[131:132], v[131:132], v[149:150]
	s_clause 0x2
	buffer_load_dword v156, off, s[0:3], 0 offset:812
	buffer_load_dword v150, off, s[0:3], 0 offset:788
	;; [unrolled: 1-line block ×3, first 2 shown]
	s_waitcnt vmcnt(58) lgkmcnt(0)
	v_mul_f64 v[189:190], v[127:128], v[169:170]
	v_mul_f64 v[169:170], v[129:130], v[169:170]
	ds_read_b128 v[5:8], v188 offset:1520
	s_waitcnt vmcnt(56)
	v_fma_f64 v[147:148], v[1:2], v[159:160], -v[147:148]
	v_fma_f64 v[159:160], v[3:4], v[159:160], v[209:210]
	v_add_f64 v[133:134], v[133:134], v[163:164]
	v_add_f64 v[131:132], v[131:132], v[141:142]
	s_clause 0x4
	buffer_load_dword v142, off, s[0:3], 0 offset:828
	buffer_load_dword v163, off, s[0:3], 0 offset:840
	buffer_load_dword v195, off, s[0:3], 0 offset:832
	buffer_load_dword v141, off, s[0:3], 0 offset:824
	buffer_load_dword v204, off, s[0:3], 0 offset:804
	ds_read_b128 v[1:4], v188 offset:1536
	s_waitcnt vmcnt(57) lgkmcnt(1)
	v_mul_f64 v[209:210], v[5:6], v[153:154]
	v_mul_f64 v[153:154], v[7:8], v[153:154]
	s_waitcnt vmcnt(56)
	v_fma_f64 v[169:170], v[127:128], v[171:172], -v[169:170]
	v_add_f64 v[133:134], v[133:134], v[147:148]
	v_fma_f64 v[147:148], v[129:130], v[171:172], v[189:190]
	v_add_f64 v[131:132], v[131:132], v[159:160]
	s_clause 0x2
	buffer_load_dword v164, off, s[0:3], 0 offset:844
	buffer_load_dword v160, off, s[0:3], 0 offset:820
	buffer_load_dword v159, off, s[0:3], 0 offset:816
	ds_read_b128 v[127:130], v188 offset:1552
	s_waitcnt vmcnt(58) lgkmcnt(1)
	v_mul_f64 v[171:172], v[1:2], v[177:178]
	v_mul_f64 v[177:178], v[3:4], v[177:178]
	s_waitcnt vmcnt(56)
	v_fma_f64 v[153:154], v[5:6], v[157:158], -v[153:154]
	v_fma_f64 v[157:158], v[7:8], v[157:158], v[209:210]
	v_add_f64 v[133:134], v[133:134], v[169:170]
	v_add_f64 v[131:132], v[131:132], v[147:148]
	s_clause 0x4
	buffer_load_dword v148, off, s[0:3], 0 offset:860
	buffer_load_dword v169, off, s[0:3], 0 offset:872
	buffer_load_dword v189, off, s[0:3], 0 offset:864
	buffer_load_dword v147, off, s[0:3], 0 offset:856
	buffer_load_dword v196, off, s[0:3], 0 offset:836
	ds_read_b128 v[5:8], v188 offset:1568
	s_waitcnt vmcnt(57) lgkmcnt(1)
	v_mul_f64 v[209:210], v[127:128], v[161:162]
	v_mul_f64 v[161:162], v[129:130], v[161:162]
	s_waitcnt vmcnt(56)
	v_fma_f64 v[177:178], v[1:2], v[179:180], -v[177:178]
	v_add_f64 v[133:134], v[133:134], v[153:154]
	v_fma_f64 v[153:154], v[3:4], v[179:180], v[171:172]
	v_add_f64 v[131:132], v[131:132], v[157:158]
	s_clause 0x2
	buffer_load_dword v170, off, s[0:3], 0 offset:876
	buffer_load_dword v158, off, s[0:3], 0 offset:852
	buffer_load_dword v157, off, s[0:3], 0 offset:848
	ds_read_b128 v[1:4], v188 offset:1584
	s_waitcnt vmcnt(58) lgkmcnt(1)
	v_mul_f64 v[179:180], v[7:8], v[183:184]
	v_mul_f64 v[171:172], v[5:6], v[183:184]
	;; [unrolled: 28-line block ×4, first 2 shown]
	s_waitcnt vmcnt(56)
	v_fma_f64 v[175:176], v[5:6], v[181:182], -v[175:176]
	v_add_f64 v[133:134], v[133:134], v[173:174]
	v_fma_f64 v[173:174], v[7:8], v[181:182], v[209:210]
	v_add_f64 v[131:132], v[131:132], v[167:168]
	s_clause 0x2
	buffer_load_dword v168, off, s[0:3], 0 offset:956
	buffer_load_dword v167, off, s[0:3], 0 offset:952
	buffer_load_dword v186, off, s[0:3], 0 offset:932
	ds_read_b128 v[5:8], v188 offset:1664
	s_waitcnt vmcnt(55) lgkmcnt(1)
	v_mul_f64 v[181:182], v[127:128], v[139:140]
	v_mul_f64 v[139:140], v[129:130], v[139:140]
	s_waitcnt vmcnt(54)
	v_fma_f64 v[191:192], v[1:2], v[201:202], -v[191:192]
	v_fma_f64 v[171:172], v[3:4], v[201:202], v[171:172]
	v_add_f64 v[133:134], v[133:134], v[175:176]
	v_add_f64 v[131:132], v[131:132], v[173:174]
	s_clause 0x1
	buffer_load_dword v174, off, s[0:3], 0 offset:948
	buffer_load_dword v173, off, s[0:3], 0 offset:944
	ds_read_b128 v[1:4], v188 offset:1680
	s_waitcnt vmcnt(55) lgkmcnt(1)
	v_mul_f64 v[197:198], v[7:8], v[199:200]
	v_mul_f64 v[175:176], v[5:6], v[199:200]
	s_waitcnt vmcnt(53)
	v_fma_f64 v[139:140], v[127:128], v[145:146], -v[139:140]
	v_fma_f64 v[145:146], v[129:130], v[145:146], v[181:182]
	ds_read_b128 v[127:130], v188 offset:1696
	v_add_f64 v[133:134], v[133:134], v[191:192]
	v_add_f64 v[131:132], v[131:132], v[171:172]
	s_waitcnt vmcnt(49) lgkmcnt(1)
	v_mul_f64 v[171:172], v[1:2], v[151:152]
	v_mul_f64 v[151:152], v[3:4], v[151:152]
	s_waitcnt vmcnt(48)
	v_fma_f64 v[181:182], v[5:6], v[205:206], -v[197:198]
	v_add_f64 v[133:134], v[133:134], v[139:140]
	v_fma_f64 v[139:140], v[7:8], v[205:206], v[175:176]
	v_add_f64 v[131:132], v[131:132], v[145:146]
	s_clause 0x3
	buffer_load_dword v145, off, s[0:3], 0 offset:144
	buffer_load_dword v146, off, s[0:3], 0 offset:148
	;; [unrolled: 1-line block ×4, first 2 shown]
	ds_read_b128 v[5:8], v188 offset:1712
	s_waitcnt vmcnt(51) lgkmcnt(1)
	v_mul_f64 v[191:192], v[127:128], v[193:194]
	v_mul_f64 v[193:194], v[129:130], v[193:194]
	s_waitcnt vmcnt(49)
	v_fma_f64 v[151:152], v[1:2], v[143:144], -v[151:152]
	v_fma_f64 v[143:144], v[3:4], v[143:144], v[171:172]
	ds_read_b128 v[1:4], v188 offset:1728
	v_add_f64 v[133:134], v[133:134], v[181:182]
	v_add_f64 v[131:132], v[131:132], v[139:140]
	s_waitcnt vmcnt(45) lgkmcnt(1)
	v_mul_f64 v[139:140], v[5:6], v[137:138]
	v_mul_f64 v[137:138], v[7:8], v[137:138]
	s_waitcnt vmcnt(44)
	v_fma_f64 v[171:172], v[127:128], v[207:208], -v[193:194]
	v_add_f64 v[133:134], v[133:134], v[151:152]
	v_fma_f64 v[151:152], v[129:130], v[207:208], v[191:192]
	v_add_f64 v[131:132], v[131:132], v[143:144]
	ds_read_b128 v[127:130], v188 offset:1744
	s_waitcnt vmcnt(43) lgkmcnt(1)
	v_mul_f64 v[143:144], v[1:2], v[155:156]
	v_mul_f64 v[155:156], v[3:4], v[155:156]
	s_waitcnt vmcnt(41)
	v_fma_f64 v[137:138], v[5:6], v[149:150], -v[137:138]
	v_fma_f64 v[139:140], v[7:8], v[149:150], v[139:140]
	ds_read_b128 v[5:8], v188 offset:1760
	v_add_f64 v[133:134], v[133:134], v[171:172]
	v_add_f64 v[131:132], v[131:132], v[151:152]
	s_waitcnt vmcnt(37) lgkmcnt(1)
	v_mul_f64 v[149:150], v[127:128], v[141:142]
	v_mul_f64 v[141:142], v[129:130], v[141:142]
	s_waitcnt vmcnt(36)
	v_fma_f64 v[151:152], v[1:2], v[203:204], -v[155:156]
	v_add_f64 v[133:134], v[133:134], v[137:138]
	v_fma_f64 v[137:138], v[3:4], v[203:204], v[143:144]
	v_add_f64 v[131:132], v[131:132], v[139:140]
	ds_read_b128 v[1:4], v188 offset:1776
	s_waitcnt vmcnt(35) lgkmcnt(1)
	v_mul_f64 v[143:144], v[7:8], v[163:164]
	v_mul_f64 v[139:140], v[5:6], v[163:164]
	s_waitcnt vmcnt(33)
	v_fma_f64 v[141:142], v[127:128], v[159:160], -v[141:142]
	v_fma_f64 v[149:150], v[129:130], v[159:160], v[149:150]
	ds_read_b128 v[127:130], v188 offset:1792
	v_add_f64 v[133:134], v[133:134], v[151:152]
	v_add_f64 v[131:132], v[131:132], v[137:138]
	s_waitcnt vmcnt(29) lgkmcnt(1)
	v_mul_f64 v[137:138], v[1:2], v[147:148]
	v_mul_f64 v[147:148], v[3:4], v[147:148]
	s_waitcnt vmcnt(28)
	v_fma_f64 v[143:144], v[5:6], v[195:196], -v[143:144]
	v_fma_f64 v[139:140], v[7:8], v[195:196], v[139:140]
	ds_read_b128 v[5:8], v188 offset:1808
	v_add_f64 v[133:134], v[133:134], v[141:142]
	v_add_f64 v[131:132], v[131:132], v[149:150]
	;; [unrolled: 9-line block ×3, first 2 shown]
	s_waitcnt vmcnt(21) lgkmcnt(1)
	v_mul_f64 v[143:144], v[7:8], v[153:154]
	s_waitcnt vmcnt(20)
	v_fma_f64 v[149:150], v[127:128], v[189:190], -v[149:150]
	v_mul_f64 v[139:140], v[5:6], v[153:154]
	v_fma_f64 v[141:142], v[129:130], v[189:190], v[141:142]
	ds_read_b128 v[127:130], v188 offset:1840
	v_add_f64 v[133:134], v[133:134], v[147:148]
	v_add_f64 v[131:132], v[131:132], v[137:138]
	s_waitcnt vmcnt(19) lgkmcnt(1)
	v_mul_f64 v[147:148], v[3:4], v[177:178]
	v_mul_f64 v[137:138], v[1:2], v[177:178]
	s_waitcnt vmcnt(17)
	v_fma_f64 v[143:144], v[5:6], v[165:166], -v[143:144]
	v_fma_f64 v[139:140], v[7:8], v[165:166], v[139:140]
	ds_read_b128 v[5:8], v188 offset:1856
	v_add_f64 v[133:134], v[133:134], v[149:150]
	v_add_f64 v[131:132], v[131:132], v[141:142]
	s_waitcnt vmcnt(13) lgkmcnt(1)
	v_mul_f64 v[149:150], v[129:130], v[161:162]
	s_waitcnt vmcnt(12)
	v_fma_f64 v[147:148], v[1:2], v[183:184], -v[147:148]
	v_mul_f64 v[141:142], v[127:128], v[161:162]
	v_fma_f64 v[137:138], v[3:4], v[183:184], v[137:138]
	ds_read_b128 v[1:4], v188 offset:1872
	v_add_f64 v[133:134], v[133:134], v[143:144]
	v_add_f64 v[131:132], v[131:132], v[139:140]
	s_waitcnt vmcnt(11) lgkmcnt(1)
	v_mul_f64 v[143:144], v[7:8], v[179:180]
	v_mul_f64 v[139:140], v[5:6], v[179:180]
	s_waitcnt vmcnt(9)
	v_fma_f64 v[127:128], v[127:128], v[135:136], -v[149:150]
	v_fma_f64 v[129:130], v[129:130], v[135:136], v[141:142]
	v_add_f64 v[133:134], v[133:134], v[147:148]
	v_add_f64 v[131:132], v[131:132], v[137:138]
	s_waitcnt vmcnt(7) lgkmcnt(0)
	v_mul_f64 v[137:138], v[3:4], v[167:168]
	s_waitcnt vmcnt(6)
	v_fma_f64 v[5:6], v[5:6], v[185:186], -v[143:144]
	v_mul_f64 v[135:136], v[1:2], v[167:168]
	v_fma_f64 v[7:8], v[7:8], v[185:186], v[139:140]
	v_add_f64 v[127:128], v[133:134], v[127:128]
	v_add_f64 v[129:130], v[131:132], v[129:130]
	s_waitcnt vmcnt(4)
	v_fma_f64 v[1:2], v[1:2], v[173:174], -v[137:138]
	v_fma_f64 v[3:4], v[3:4], v[173:174], v[135:136]
	v_add_f64 v[5:6], v[127:128], v[5:6]
	v_add_f64 v[7:8], v[129:130], v[7:8]
	;; [unrolled: 1-line block ×4, first 2 shown]
	s_waitcnt vmcnt(2)
	v_add_f64 v[1:2], v[145:146], -v[1:2]
	s_waitcnt vmcnt(0)
	v_add_f64 v[3:4], v[175:176], -v[3:4]
	buffer_store_dword v2, off, s[0:3], 0 offset:148
	buffer_store_dword v1, off, s[0:3], 0 offset:144
	;; [unrolled: 1-line block ×4, first 2 shown]
	v_cmpx_lt_u32_e32 7, v0
	s_cbranch_execz .LBB122_353
; %bb.352:
	v_mov_b32_e32 v4, s64
	v_mov_b32_e32 v5, 0
	s_clause 0x3
	buffer_load_dword v1, v4, s[0:3], 0 offen
	buffer_load_dword v2, v4, s[0:3], 0 offen offset:4
	buffer_load_dword v3, v4, s[0:3], 0 offen offset:8
	;; [unrolled: 1-line block ×3, first 2 shown]
	buffer_store_dword v5, off, s[0:3], 0 offset:128
	buffer_store_dword v5, off, s[0:3], 0 offset:132
	;; [unrolled: 1-line block ×4, first 2 shown]
	s_waitcnt vmcnt(0)
	ds_write_b128 v187, v[1:4]
.LBB122_353:
	s_or_b32 exec_lo, exec_lo, s4
	s_waitcnt lgkmcnt(0)
	s_waitcnt_vscnt null, 0x0
	s_barrier
	buffer_gl0_inv
	s_clause 0x37
	buffer_load_dword v135, off, s[0:3], 0 offset:152
	buffer_load_dword v136, off, s[0:3], 0 offset:156
	buffer_load_dword v131, off, s[0:3], 0 offset:168
	buffer_load_dword v132, off, s[0:3], 0 offset:172
	buffer_load_dword v133, off, s[0:3], 0 offset:144
	buffer_load_dword v134, off, s[0:3], 0 offset:148
	buffer_load_dword v129, off, s[0:3], 0 offset:184
	buffer_load_dword v130, off, s[0:3], 0 offset:188
	buffer_load_dword v127, off, s[0:3], 0 offset:160
	buffer_load_dword v128, off, s[0:3], 0 offset:164
	buffer_load_dword v140, off, s[0:3], 0 offset:204
	buffer_load_dword v143, off, s[0:3], 0 offset:216
	buffer_load_dword v137, off, s[0:3], 0 offset:208
	buffer_load_dword v139, off, s[0:3], 0 offset:200
	buffer_load_dword v151, off, s[0:3], 0 offset:176
	buffer_load_dword v152, off, s[0:3], 0 offset:180
	buffer_load_dword v144, off, s[0:3], 0 offset:220
	buffer_load_dword v146, off, s[0:3], 0 offset:196
	buffer_load_dword v145, off, s[0:3], 0 offset:192
	buffer_load_dword v148, off, s[0:3], 0 offset:236
	buffer_load_dword v153, off, s[0:3], 0 offset:248
	buffer_load_dword v141, off, s[0:3], 0 offset:240
	buffer_load_dword v147, off, s[0:3], 0 offset:232
	buffer_load_dword v138, off, s[0:3], 0 offset:212
	buffer_load_dword v154, off, s[0:3], 0 offset:252
	buffer_load_dword v156, off, s[0:3], 0 offset:228
	buffer_load_dword v155, off, s[0:3], 0 offset:224
	buffer_load_dword v158, off, s[0:3], 0 offset:268
	buffer_load_dword v161, off, s[0:3], 0 offset:280
	buffer_load_dword v149, off, s[0:3], 0 offset:272
	buffer_load_dword v157, off, s[0:3], 0 offset:264
	buffer_load_dword v142, off, s[0:3], 0 offset:244
	buffer_load_dword v162, off, s[0:3], 0 offset:284
	buffer_load_dword v164, off, s[0:3], 0 offset:260
	buffer_load_dword v163, off, s[0:3], 0 offset:256
	buffer_load_dword v166, off, s[0:3], 0 offset:300
	buffer_load_dword v169, off, s[0:3], 0 offset:312
	buffer_load_dword v159, off, s[0:3], 0 offset:304
	buffer_load_dword v165, off, s[0:3], 0 offset:296
	buffer_load_dword v150, off, s[0:3], 0 offset:276
	buffer_load_dword v170, off, s[0:3], 0 offset:316
	buffer_load_dword v172, off, s[0:3], 0 offset:292
	buffer_load_dword v171, off, s[0:3], 0 offset:288
	buffer_load_dword v174, off, s[0:3], 0 offset:332
	buffer_load_dword v177, off, s[0:3], 0 offset:344
	buffer_load_dword v167, off, s[0:3], 0 offset:336
	buffer_load_dword v173, off, s[0:3], 0 offset:328
	buffer_load_dword v160, off, s[0:3], 0 offset:308
	buffer_load_dword v178, off, s[0:3], 0 offset:348
	buffer_load_dword v180, off, s[0:3], 0 offset:324
	buffer_load_dword v179, off, s[0:3], 0 offset:320
	buffer_load_dword v182, off, s[0:3], 0 offset:364
	buffer_load_dword v183, off, s[0:3], 0 offset:376
	buffer_load_dword v175, off, s[0:3], 0 offset:368
	buffer_load_dword v181, off, s[0:3], 0 offset:360
	buffer_load_dword v168, off, s[0:3], 0 offset:340
	v_mov_b32_e32 v188, 0
	s_mov_b32 s4, exec_lo
	ds_read_b128 v[5:8], v188 offset:1072
	s_clause 0x2
	buffer_load_dword v184, off, s[0:3], 0 offset:380
	buffer_load_dword v186, off, s[0:3], 0 offset:356
	;; [unrolled: 1-line block ×3, first 2 shown]
	ds_read_b128 v[1:4], v188 offset:1088
	s_clause 0x4
	buffer_load_dword v196, off, s[0:3], 0 offset:396
	buffer_load_dword v197, off, s[0:3], 0 offset:408
	;; [unrolled: 1-line block ×5, first 2 shown]
	ds_read_b128 v[189:192], v188 offset:1104
	s_waitcnt vmcnt(62) lgkmcnt(2)
	v_mul_f64 v[193:194], v[7:8], v[135:136]
	v_mul_f64 v[135:136], v[5:6], v[135:136]
	s_waitcnt vmcnt(60) lgkmcnt(1)
	v_mul_f64 v[200:201], v[3:4], v[131:132]
	v_mul_f64 v[131:132], v[1:2], v[131:132]
	;; [unrolled: 3-line block ×3, first 2 shown]
	v_fma_f64 v[193:194], v[5:6], v[133:134], -v[193:194]
	v_fma_f64 v[133:134], v[7:8], v[133:134], v[135:136]
	s_clause 0x2
	buffer_load_dword v198, off, s[0:3], 0 offset:412
	buffer_load_dword v136, off, s[0:3], 0 offset:388
	;; [unrolled: 1-line block ×3, first 2 shown]
	s_waitcnt vmcnt(57)
	v_fma_f64 v[204:205], v[1:2], v[127:128], -v[200:201]
	ds_read_b128 v[5:8], v188 offset:1120
	v_fma_f64 v[127:128], v[3:4], v[127:128], v[131:132]
	s_waitcnt vmcnt(51)
	v_fma_f64 v[189:190], v[189:190], v[151:152], -v[129:130]
	v_fma_f64 v[151:152], v[191:192], v[151:152], v[202:203]
	v_add_f64 v[193:194], v[193:194], 0
	v_add_f64 v[131:132], v[133:134], 0
	s_clause 0x4
	buffer_load_dword v134, off, s[0:3], 0 offset:428
	buffer_load_dword v201, off, s[0:3], 0 offset:440
	;; [unrolled: 1-line block ×5, first 2 shown]
	s_waitcnt lgkmcnt(0)
	v_mul_f64 v[207:208], v[5:6], v[139:140]
	v_mul_f64 v[139:140], v[7:8], v[139:140]
	ds_read_b128 v[1:4], v188 offset:1136
	s_clause 0x2
	buffer_load_dword v202, off, s[0:3], 0 offset:444
	buffer_load_dword v192, off, s[0:3], 0 offset:420
	;; [unrolled: 1-line block ×3, first 2 shown]
	v_add_f64 v[193:194], v[193:194], v[204:205]
	v_add_f64 v[131:132], v[131:132], v[127:128]
	ds_read_b128 v[127:130], v188 offset:1152
	s_waitcnt vmcnt(58) lgkmcnt(1)
	v_mul_f64 v[203:204], v[1:2], v[143:144]
	v_mul_f64 v[143:144], v[3:4], v[143:144]
	s_waitcnt vmcnt(56)
	v_fma_f64 v[139:140], v[5:6], v[145:146], -v[139:140]
	v_fma_f64 v[145:146], v[7:8], v[145:146], v[207:208]
	s_waitcnt vmcnt(52) lgkmcnt(0)
	v_mul_f64 v[209:210], v[127:128], v[147:148]
	v_add_f64 v[189:190], v[193:194], v[189:190]
	v_add_f64 v[131:132], v[131:132], v[151:152]
	s_clause 0x4
	buffer_load_dword v152, off, s[0:3], 0 offset:460
	buffer_load_dword v193, off, s[0:3], 0 offset:472
	;; [unrolled: 1-line block ×5, first 2 shown]
	v_mul_f64 v[147:148], v[129:130], v[147:148]
	s_waitcnt vmcnt(56)
	v_fma_f64 v[143:144], v[1:2], v[137:138], -v[143:144]
	ds_read_b128 v[5:8], v188 offset:1168
	v_fma_f64 v[137:138], v[3:4], v[137:138], v[203:204]
	v_add_f64 v[139:140], v[189:190], v[139:140]
	v_add_f64 v[131:132], v[131:132], v[145:146]
	s_clause 0x2
	buffer_load_dword v194, off, s[0:3], 0 offset:476
	buffer_load_dword v146, off, s[0:3], 0 offset:452
	;; [unrolled: 1-line block ×3, first 2 shown]
	s_waitcnt vmcnt(58) lgkmcnt(0)
	v_mul_f64 v[189:190], v[5:6], v[153:154]
	v_mul_f64 v[153:154], v[7:8], v[153:154]
	s_waitcnt vmcnt(56)
	v_fma_f64 v[147:148], v[127:128], v[155:156], -v[147:148]
	ds_read_b128 v[1:4], v188 offset:1184
	v_add_f64 v[139:140], v[139:140], v[143:144]
	v_fma_f64 v[143:144], v[129:130], v[155:156], v[209:210]
	v_add_f64 v[131:132], v[131:132], v[137:138]
	s_clause 0x4
	buffer_load_dword v138, off, s[0:3], 0 offset:492
	buffer_load_dword v155, off, s[0:3], 0 offset:504
	;; [unrolled: 1-line block ×5, first 2 shown]
	s_waitcnt vmcnt(57) lgkmcnt(0)
	v_mul_f64 v[204:205], v[1:2], v[157:158]
	v_mul_f64 v[157:158], v[3:4], v[157:158]
	s_waitcnt vmcnt(56)
	v_fma_f64 v[153:154], v[5:6], v[141:142], -v[153:154]
	ds_read_b128 v[127:130], v188 offset:1200
	v_fma_f64 v[141:142], v[7:8], v[141:142], v[189:190]
	v_add_f64 v[139:140], v[139:140], v[147:148]
	v_add_f64 v[131:132], v[131:132], v[143:144]
	s_clause 0x2
	buffer_load_dword v156, off, s[0:3], 0 offset:508
	buffer_load_dword v144, off, s[0:3], 0 offset:484
	;; [unrolled: 1-line block ×3, first 2 shown]
	ds_read_b128 v[5:8], v188 offset:1216
	s_waitcnt vmcnt(58) lgkmcnt(1)
	v_mul_f64 v[147:148], v[127:128], v[161:162]
	v_mul_f64 v[161:162], v[129:130], v[161:162]
	s_waitcnt vmcnt(56)
	v_fma_f64 v[157:158], v[1:2], v[163:164], -v[157:158]
	v_add_f64 v[139:140], v[139:140], v[153:154]
	v_fma_f64 v[153:154], v[3:4], v[163:164], v[204:205]
	v_add_f64 v[131:132], v[131:132], v[141:142]
	s_clause 0x4
	buffer_load_dword v142, off, s[0:3], 0 offset:524
	buffer_load_dword v163, off, s[0:3], 0 offset:536
	;; [unrolled: 1-line block ×5, first 2 shown]
	s_waitcnt vmcnt(57) lgkmcnt(0)
	v_mul_f64 v[210:211], v[5:6], v[165:166]
	v_mul_f64 v[165:166], v[7:8], v[165:166]
	s_waitcnt vmcnt(56)
	v_fma_f64 v[161:162], v[127:128], v[149:150], -v[161:162]
	ds_read_b128 v[1:4], v188 offset:1232
	v_fma_f64 v[147:148], v[129:130], v[149:150], v[147:148]
	s_clause 0x2
	buffer_load_dword v164, off, s[0:3], 0 offset:540
	buffer_load_dword v150, off, s[0:3], 0 offset:516
	;; [unrolled: 1-line block ×3, first 2 shown]
	ds_read_b128 v[127:130], v188 offset:1248
	v_add_f64 v[139:140], v[139:140], v[157:158]
	v_add_f64 v[131:132], v[131:132], v[153:154]
	s_waitcnt vmcnt(58) lgkmcnt(1)
	v_mul_f64 v[157:158], v[3:4], v[169:170]
	s_waitcnt vmcnt(56)
	v_fma_f64 v[165:166], v[5:6], v[171:172], -v[165:166]
	v_mul_f64 v[153:154], v[1:2], v[169:170]
	v_add_f64 v[139:140], v[139:140], v[161:162]
	v_fma_f64 v[161:162], v[7:8], v[171:172], v[210:211]
	v_add_f64 v[131:132], v[131:132], v[147:148]
	s_clause 0x4
	buffer_load_dword v148, off, s[0:3], 0 offset:556
	buffer_load_dword v169, off, s[0:3], 0 offset:568
	;; [unrolled: 1-line block ×5, first 2 shown]
	s_waitcnt vmcnt(57) lgkmcnt(0)
	v_mul_f64 v[210:211], v[127:128], v[173:174]
	v_mul_f64 v[172:173], v[129:130], v[173:174]
	s_waitcnt vmcnt(56)
	v_fma_f64 v[157:158], v[1:2], v[159:160], -v[157:158]
	ds_read_b128 v[5:8], v188 offset:1264
	v_fma_f64 v[153:154], v[3:4], v[159:160], v[153:154]
	s_clause 0x2
	buffer_load_dword v170, off, s[0:3], 0 offset:572
	buffer_load_dword v160, off, s[0:3], 0 offset:548
	;; [unrolled: 1-line block ×3, first 2 shown]
	ds_read_b128 v[1:4], v188 offset:1280
	v_add_f64 v[139:140], v[139:140], v[165:166]
	v_add_f64 v[131:132], v[131:132], v[161:162]
	s_waitcnt vmcnt(58) lgkmcnt(1)
	v_mul_f64 v[165:166], v[7:8], v[177:178]
	s_waitcnt vmcnt(56)
	v_fma_f64 v[173:174], v[127:128], v[179:180], -v[172:173]
	v_mul_f64 v[161:162], v[5:6], v[177:178]
	v_add_f64 v[139:140], v[139:140], v[157:158]
	v_fma_f64 v[157:158], v[129:130], v[179:180], v[210:211]
	v_add_f64 v[131:132], v[131:132], v[153:154]
	s_clause 0x4
	buffer_load_dword v154, off, s[0:3], 0 offset:588
	buffer_load_dword v177, off, s[0:3], 0 offset:600
	buffer_load_dword v179, off, s[0:3], 0 offset:592
	buffer_load_dword v153, off, s[0:3], 0 offset:584
	buffer_load_dword v172, off, s[0:3], 0 offset:564
	s_waitcnt vmcnt(57) lgkmcnt(0)
	v_mul_f64 v[210:211], v[1:2], v[181:182]
	v_mul_f64 v[180:181], v[3:4], v[181:182]
	s_waitcnt vmcnt(56)
	v_fma_f64 v[165:166], v[5:6], v[167:168], -v[165:166]
	ds_read_b128 v[127:130], v188 offset:1296
	v_fma_f64 v[161:162], v[7:8], v[167:168], v[161:162]
	v_add_f64 v[139:140], v[139:140], v[173:174]
	v_add_f64 v[131:132], v[131:132], v[157:158]
	s_clause 0x2
	buffer_load_dword v178, off, s[0:3], 0 offset:604
	buffer_load_dword v158, off, s[0:3], 0 offset:580
	;; [unrolled: 1-line block ×3, first 2 shown]
	ds_read_b128 v[5:8], v188 offset:1312
	s_waitcnt vmcnt(58) lgkmcnt(1)
	v_mul_f64 v[173:174], v[129:130], v[183:184]
	s_waitcnt vmcnt(56)
	v_fma_f64 v[181:182], v[1:2], v[185:186], -v[180:181]
	v_mul_f64 v[167:168], v[127:128], v[183:184]
	v_add_f64 v[139:140], v[139:140], v[165:166]
	v_fma_f64 v[165:166], v[3:4], v[185:186], v[210:211]
	v_add_f64 v[131:132], v[131:132], v[161:162]
	s_clause 0x4
	buffer_load_dword v162, off, s[0:3], 0 offset:620
	buffer_load_dword v183, off, s[0:3], 0 offset:632
	;; [unrolled: 1-line block ×5, first 2 shown]
	s_waitcnt vmcnt(57) lgkmcnt(0)
	v_mul_f64 v[210:211], v[5:6], v[195:196]
	v_mul_f64 v[195:196], v[7:8], v[195:196]
	s_waitcnt vmcnt(56)
	v_fma_f64 v[173:174], v[127:128], v[175:176], -v[173:174]
	ds_read_b128 v[1:4], v188 offset:1328
	v_fma_f64 v[167:168], v[129:130], v[175:176], v[167:168]
	v_add_f64 v[139:140], v[139:140], v[181:182]
	v_add_f64 v[131:132], v[131:132], v[165:166]
	s_clause 0x2
	buffer_load_dword v184, off, s[0:3], 0 offset:636
	buffer_load_dword v166, off, s[0:3], 0 offset:612
	;; [unrolled: 1-line block ×3, first 2 shown]
	ds_read_b128 v[127:130], v188 offset:1344
	s_waitcnt vmcnt(58) lgkmcnt(1)
	v_mul_f64 v[181:182], v[3:4], v[197:198]
	v_mul_f64 v[175:176], v[1:2], v[197:198]
	s_waitcnt vmcnt(56)
	v_fma_f64 v[195:196], v[5:6], v[135:136], -v[195:196]
	v_fma_f64 v[135:136], v[7:8], v[135:136], v[210:211]
	v_add_f64 v[139:140], v[139:140], v[173:174]
	v_add_f64 v[131:132], v[131:132], v[167:168]
	s_clause 0x4
	buffer_load_dword v168, off, s[0:3], 0 offset:652
	buffer_load_dword v173, off, s[0:3], 0 offset:664
	;; [unrolled: 1-line block ×5, first 2 shown]
	ds_read_b128 v[5:8], v188 offset:1360
	s_waitcnt vmcnt(57) lgkmcnt(1)
	v_mul_f64 v[210:211], v[127:128], v[133:134]
	v_mul_f64 v[133:134], v[129:130], v[133:134]
	s_waitcnt vmcnt(56)
	v_fma_f64 v[181:182], v[1:2], v[199:200], -v[181:182]
	v_fma_f64 v[175:176], v[3:4], v[199:200], v[175:176]
	v_add_f64 v[139:140], v[139:140], v[195:196]
	v_add_f64 v[131:132], v[131:132], v[135:136]
	s_clause 0x2
	buffer_load_dword v174, off, s[0:3], 0 offset:668
	buffer_load_dword v136, off, s[0:3], 0 offset:644
	;; [unrolled: 1-line block ×3, first 2 shown]
	s_waitcnt vmcnt(58) lgkmcnt(0)
	v_mul_f64 v[199:200], v[7:8], v[201:202]
	ds_read_b128 v[1:4], v188 offset:1376
	v_mul_f64 v[195:196], v[5:6], v[201:202]
	s_waitcnt vmcnt(56)
	v_fma_f64 v[133:134], v[127:128], v[191:192], -v[133:134]
	v_add_f64 v[139:140], v[139:140], v[181:182]
	v_fma_f64 v[181:182], v[129:130], v[191:192], v[210:211]
	v_add_f64 v[131:132], v[131:132], v[175:176]
	s_clause 0x4
	buffer_load_dword v176, off, s[0:3], 0 offset:684
	buffer_load_dword v191, off, s[0:3], 0 offset:696
	;; [unrolled: 1-line block ×5, first 2 shown]
	ds_read_b128 v[127:130], v188 offset:1392
	s_waitcnt vmcnt(57) lgkmcnt(1)
	v_mul_f64 v[210:211], v[1:2], v[151:152]
	v_mul_f64 v[151:152], v[3:4], v[151:152]
	s_waitcnt vmcnt(56)
	v_fma_f64 v[199:200], v[5:6], v[206:207], -v[199:200]
	v_add_f64 v[133:134], v[139:140], v[133:134]
	v_fma_f64 v[139:140], v[7:8], v[206:207], v[195:196]
	v_add_f64 v[131:132], v[131:132], v[181:182]
	s_clause 0x2
	buffer_load_dword v192, off, s[0:3], 0 offset:700
	buffer_load_dword v182, off, s[0:3], 0 offset:676
	;; [unrolled: 1-line block ×3, first 2 shown]
	ds_read_b128 v[5:8], v188 offset:1408
	s_waitcnt vmcnt(58) lgkmcnt(1)
	v_mul_f64 v[195:196], v[127:128], v[193:194]
	v_mul_f64 v[193:194], v[129:130], v[193:194]
	s_waitcnt vmcnt(56)
	v_fma_f64 v[151:152], v[1:2], v[145:146], -v[151:152]
	v_fma_f64 v[145:146], v[3:4], v[145:146], v[210:211]
	v_add_f64 v[133:134], v[133:134], v[199:200]
	v_add_f64 v[131:132], v[131:132], v[139:140]
	s_clause 0x4
	buffer_load_dword v140, off, s[0:3], 0 offset:716
	buffer_load_dword v199, off, s[0:3], 0 offset:728
	;; [unrolled: 1-line block ×5, first 2 shown]
	ds_read_b128 v[1:4], v188 offset:1424
	s_waitcnt vmcnt(57) lgkmcnt(1)
	v_mul_f64 v[206:207], v[5:6], v[137:138]
	v_mul_f64 v[137:138], v[7:8], v[137:138]
	s_waitcnt vmcnt(56)
	v_fma_f64 v[193:194], v[127:128], v[208:209], -v[193:194]
	v_add_f64 v[133:134], v[133:134], v[151:152]
	v_fma_f64 v[151:152], v[129:130], v[208:209], v[195:196]
	v_add_f64 v[131:132], v[131:132], v[145:146]
	s_clause 0x2
	buffer_load_dword v200, off, s[0:3], 0 offset:732
	buffer_load_dword v146, off, s[0:3], 0 offset:708
	;; [unrolled: 1-line block ×3, first 2 shown]
	ds_read_b128 v[127:130], v188 offset:1440
	s_waitcnt vmcnt(58) lgkmcnt(1)
	v_mul_f64 v[195:196], v[1:2], v[155:156]
	v_mul_f64 v[155:156], v[3:4], v[155:156]
	s_waitcnt vmcnt(56)
	v_fma_f64 v[137:138], v[5:6], v[143:144], -v[137:138]
	v_fma_f64 v[143:144], v[7:8], v[143:144], v[206:207]
	v_add_f64 v[133:134], v[133:134], v[193:194]
	v_add_f64 v[131:132], v[131:132], v[151:152]
	s_clause 0x4
	buffer_load_dword v152, off, s[0:3], 0 offset:748
	buffer_load_dword v193, off, s[0:3], 0 offset:760
	;; [unrolled: 1-line block ×5, first 2 shown]
	ds_read_b128 v[5:8], v188 offset:1456
	s_waitcnt vmcnt(57) lgkmcnt(1)
	v_mul_f64 v[208:209], v[127:128], v[141:142]
	v_mul_f64 v[141:142], v[129:130], v[141:142]
	s_waitcnt vmcnt(56)
	v_fma_f64 v[155:156], v[1:2], v[203:204], -v[155:156]
	v_add_f64 v[133:134], v[133:134], v[137:138]
	v_fma_f64 v[137:138], v[3:4], v[203:204], v[195:196]
	v_add_f64 v[131:132], v[131:132], v[143:144]
	s_clause 0x2
	buffer_load_dword v194, off, s[0:3], 0 offset:764
	buffer_load_dword v144, off, s[0:3], 0 offset:740
	;; [unrolled: 1-line block ×3, first 2 shown]
	s_waitcnt vmcnt(58) lgkmcnt(0)
	v_mul_f64 v[195:196], v[5:6], v[163:164]
	v_mul_f64 v[163:164], v[7:8], v[163:164]
	ds_read_b128 v[1:4], v188 offset:1472
	s_waitcnt vmcnt(56)
	v_fma_f64 v[141:142], v[127:128], v[149:150], -v[141:142]
	v_fma_f64 v[149:150], v[129:130], v[149:150], v[208:209]
	v_add_f64 v[133:134], v[133:134], v[155:156]
	v_add_f64 v[131:132], v[131:132], v[137:138]
	s_clause 0x4
	buffer_load_dword v138, off, s[0:3], 0 offset:780
	buffer_load_dword v155, off, s[0:3], 0 offset:792
	;; [unrolled: 1-line block ×5, first 2 shown]
	ds_read_b128 v[127:130], v188 offset:1488
	s_waitcnt vmcnt(57) lgkmcnt(1)
	v_mul_f64 v[209:210], v[1:2], v[147:148]
	v_mul_f64 v[147:148], v[3:4], v[147:148]
	s_waitcnt vmcnt(56)
	v_fma_f64 v[163:164], v[5:6], v[189:190], -v[163:164]
	v_add_f64 v[133:134], v[133:134], v[141:142]
	v_fma_f64 v[141:142], v[7:8], v[189:190], v[195:196]
	v_add_f64 v[131:132], v[131:132], v[149:150]
	s_clause 0x2
	buffer_load_dword v156, off, s[0:3], 0 offset:796
	buffer_load_dword v150, off, s[0:3], 0 offset:772
	;; [unrolled: 1-line block ×3, first 2 shown]
	s_waitcnt vmcnt(58) lgkmcnt(0)
	v_mul_f64 v[189:190], v[127:128], v[169:170]
	v_mul_f64 v[169:170], v[129:130], v[169:170]
	ds_read_b128 v[5:8], v188 offset:1504
	s_waitcnt vmcnt(56)
	v_fma_f64 v[147:148], v[1:2], v[159:160], -v[147:148]
	v_fma_f64 v[159:160], v[3:4], v[159:160], v[209:210]
	v_add_f64 v[133:134], v[133:134], v[163:164]
	v_add_f64 v[131:132], v[131:132], v[141:142]
	s_clause 0x4
	buffer_load_dword v142, off, s[0:3], 0 offset:812
	buffer_load_dword v163, off, s[0:3], 0 offset:824
	buffer_load_dword v195, off, s[0:3], 0 offset:816
	buffer_load_dword v141, off, s[0:3], 0 offset:808
	buffer_load_dword v204, off, s[0:3], 0 offset:788
	ds_read_b128 v[1:4], v188 offset:1520
	s_waitcnt vmcnt(57) lgkmcnt(1)
	v_mul_f64 v[209:210], v[5:6], v[153:154]
	v_mul_f64 v[153:154], v[7:8], v[153:154]
	s_waitcnt vmcnt(56)
	v_fma_f64 v[169:170], v[127:128], v[171:172], -v[169:170]
	v_add_f64 v[133:134], v[133:134], v[147:148]
	v_fma_f64 v[147:148], v[129:130], v[171:172], v[189:190]
	v_add_f64 v[131:132], v[131:132], v[159:160]
	s_clause 0x2
	buffer_load_dword v164, off, s[0:3], 0 offset:828
	buffer_load_dword v160, off, s[0:3], 0 offset:804
	buffer_load_dword v159, off, s[0:3], 0 offset:800
	ds_read_b128 v[127:130], v188 offset:1536
	s_waitcnt vmcnt(58) lgkmcnt(1)
	v_mul_f64 v[171:172], v[1:2], v[177:178]
	v_mul_f64 v[177:178], v[3:4], v[177:178]
	s_waitcnt vmcnt(56)
	v_fma_f64 v[153:154], v[5:6], v[157:158], -v[153:154]
	v_fma_f64 v[157:158], v[7:8], v[157:158], v[209:210]
	v_add_f64 v[133:134], v[133:134], v[169:170]
	v_add_f64 v[131:132], v[131:132], v[147:148]
	s_clause 0x4
	buffer_load_dword v148, off, s[0:3], 0 offset:844
	buffer_load_dword v169, off, s[0:3], 0 offset:856
	buffer_load_dword v189, off, s[0:3], 0 offset:848
	buffer_load_dword v147, off, s[0:3], 0 offset:840
	buffer_load_dword v196, off, s[0:3], 0 offset:820
	ds_read_b128 v[5:8], v188 offset:1552
	s_waitcnt vmcnt(57) lgkmcnt(1)
	v_mul_f64 v[209:210], v[127:128], v[161:162]
	v_mul_f64 v[161:162], v[129:130], v[161:162]
	s_waitcnt vmcnt(56)
	v_fma_f64 v[177:178], v[1:2], v[179:180], -v[177:178]
	v_add_f64 v[133:134], v[133:134], v[153:154]
	v_fma_f64 v[153:154], v[3:4], v[179:180], v[171:172]
	v_add_f64 v[131:132], v[131:132], v[157:158]
	s_clause 0x2
	buffer_load_dword v170, off, s[0:3], 0 offset:860
	buffer_load_dword v158, off, s[0:3], 0 offset:836
	buffer_load_dword v157, off, s[0:3], 0 offset:832
	ds_read_b128 v[1:4], v188 offset:1568
	s_waitcnt vmcnt(58) lgkmcnt(1)
	v_mul_f64 v[179:180], v[7:8], v[183:184]
	v_mul_f64 v[171:172], v[5:6], v[183:184]
	;; [unrolled: 28-line block ×4, first 2 shown]
	s_waitcnt vmcnt(56)
	v_fma_f64 v[175:176], v[5:6], v[181:182], -v[175:176]
	v_add_f64 v[133:134], v[133:134], v[173:174]
	v_fma_f64 v[173:174], v[7:8], v[181:182], v[209:210]
	v_add_f64 v[131:132], v[131:132], v[167:168]
	s_clause 0x4
	buffer_load_dword v168, off, s[0:3], 0 offset:940
	buffer_load_dword v181, off, s[0:3], 0 offset:952
	;; [unrolled: 1-line block ×5, first 2 shown]
	ds_read_b128 v[5:8], v188 offset:1648
	s_waitcnt vmcnt(57) lgkmcnt(1)
	v_mul_f64 v[209:210], v[127:128], v[139:140]
	v_mul_f64 v[139:140], v[129:130], v[139:140]
	s_waitcnt vmcnt(56)
	v_fma_f64 v[191:192], v[1:2], v[201:202], -v[191:192]
	v_fma_f64 v[171:172], v[3:4], v[201:202], v[171:172]
	v_add_f64 v[133:134], v[133:134], v[175:176]
	v_add_f64 v[131:132], v[131:132], v[173:174]
	s_clause 0x2
	buffer_load_dword v182, off, s[0:3], 0 offset:956
	buffer_load_dword v174, off, s[0:3], 0 offset:932
	;; [unrolled: 1-line block ×3, first 2 shown]
	ds_read_b128 v[1:4], v188 offset:1664
	buffer_load_dword v198, off, s[0:3], 0 offset:948
	s_waitcnt vmcnt(59) lgkmcnt(1)
	v_mul_f64 v[175:176], v[5:6], v[199:200]
	v_mul_f64 v[199:200], v[7:8], v[199:200]
	s_waitcnt vmcnt(57)
	v_fma_f64 v[139:140], v[127:128], v[145:146], -v[139:140]
	v_fma_f64 v[145:146], v[129:130], v[145:146], v[209:210]
	ds_read_b128 v[127:130], v188 offset:1680
	v_add_f64 v[133:134], v[133:134], v[191:192]
	v_add_f64 v[131:132], v[131:132], v[171:172]
	s_waitcnt vmcnt(53) lgkmcnt(1)
	v_mul_f64 v[171:172], v[1:2], v[151:152]
	v_mul_f64 v[151:152], v[3:4], v[151:152]
	s_waitcnt vmcnt(52)
	v_fma_f64 v[191:192], v[5:6], v[205:206], -v[199:200]
	v_add_f64 v[133:134], v[133:134], v[139:140]
	v_fma_f64 v[139:140], v[7:8], v[205:206], v[175:176]
	v_add_f64 v[131:132], v[131:132], v[145:146]
	ds_read_b128 v[5:8], v188 offset:1696
	s_waitcnt vmcnt(51) lgkmcnt(1)
	v_mul_f64 v[175:176], v[129:130], v[193:194]
	v_mul_f64 v[145:146], v[127:128], v[193:194]
	s_waitcnt vmcnt(49)
	v_fma_f64 v[151:152], v[1:2], v[143:144], -v[151:152]
	v_fma_f64 v[143:144], v[3:4], v[143:144], v[171:172]
	v_add_f64 v[133:134], v[133:134], v[191:192]
	v_add_f64 v[131:132], v[131:132], v[139:140]
	s_clause 0x3
	buffer_load_dword v139, off, s[0:3], 0 offset:128
	buffer_load_dword v140, off, s[0:3], 0 offset:132
	;; [unrolled: 1-line block ×4, first 2 shown]
	ds_read_b128 v[1:4], v188 offset:1712
	s_waitcnt vmcnt(49) lgkmcnt(1)
	v_mul_f64 v[191:192], v[5:6], v[137:138]
	v_mul_f64 v[137:138], v[7:8], v[137:138]
	s_waitcnt vmcnt(48)
	v_fma_f64 v[175:176], v[127:128], v[207:208], -v[175:176]
	v_fma_f64 v[145:146], v[129:130], v[207:208], v[145:146]
	ds_read_b128 v[127:130], v188 offset:1728
	v_add_f64 v[133:134], v[133:134], v[151:152]
	v_add_f64 v[131:132], v[131:132], v[143:144]
	s_waitcnt vmcnt(47) lgkmcnt(1)
	v_mul_f64 v[151:152], v[3:4], v[155:156]
	v_mul_f64 v[143:144], v[1:2], v[155:156]
	s_waitcnt vmcnt(45)
	v_fma_f64 v[137:138], v[5:6], v[149:150], -v[137:138]
	v_fma_f64 v[149:150], v[7:8], v[149:150], v[191:192]
	ds_read_b128 v[5:8], v188 offset:1744
	v_add_f64 v[133:134], v[133:134], v[175:176]
	v_add_f64 v[131:132], v[131:132], v[145:146]
	s_waitcnt vmcnt(41) lgkmcnt(1)
	v_mul_f64 v[145:146], v[127:128], v[141:142]
	v_mul_f64 v[141:142], v[129:130], v[141:142]
	s_waitcnt vmcnt(40)
	v_fma_f64 v[151:152], v[1:2], v[203:204], -v[151:152]
	v_add_f64 v[133:134], v[133:134], v[137:138]
	v_fma_f64 v[137:138], v[3:4], v[203:204], v[143:144]
	v_add_f64 v[131:132], v[131:132], v[149:150]
	ds_read_b128 v[1:4], v188 offset:1760
	s_waitcnt vmcnt(39) lgkmcnt(1)
	v_mul_f64 v[149:150], v[7:8], v[163:164]
	v_mul_f64 v[143:144], v[5:6], v[163:164]
	s_waitcnt vmcnt(37)
	v_fma_f64 v[141:142], v[127:128], v[159:160], -v[141:142]
	v_fma_f64 v[145:146], v[129:130], v[159:160], v[145:146]
	ds_read_b128 v[127:130], v188 offset:1776
	v_add_f64 v[133:134], v[133:134], v[151:152]
	v_add_f64 v[131:132], v[131:132], v[137:138]
	s_waitcnt vmcnt(33) lgkmcnt(1)
	v_mul_f64 v[137:138], v[1:2], v[147:148]
	v_mul_f64 v[147:148], v[3:4], v[147:148]
	s_waitcnt vmcnt(32)
	v_fma_f64 v[149:150], v[5:6], v[195:196], -v[149:150]
	v_add_f64 v[133:134], v[133:134], v[141:142]
	v_fma_f64 v[141:142], v[7:8], v[195:196], v[143:144]
	v_add_f64 v[131:132], v[131:132], v[145:146]
	ds_read_b128 v[5:8], v188 offset:1792
	s_waitcnt vmcnt(31) lgkmcnt(1)
	v_mul_f64 v[145:146], v[129:130], v[169:170]
	v_mul_f64 v[143:144], v[127:128], v[169:170]
	s_waitcnt vmcnt(29)
	v_fma_f64 v[147:148], v[1:2], v[157:158], -v[147:148]
	v_fma_f64 v[137:138], v[3:4], v[157:158], v[137:138]
	ds_read_b128 v[1:4], v188 offset:1808
	v_add_f64 v[133:134], v[133:134], v[149:150]
	v_add_f64 v[131:132], v[131:132], v[141:142]
	s_waitcnt vmcnt(25) lgkmcnt(1)
	v_mul_f64 v[149:150], v[7:8], v[153:154]
	s_waitcnt vmcnt(24)
	v_fma_f64 v[145:146], v[127:128], v[189:190], -v[145:146]
	v_mul_f64 v[141:142], v[5:6], v[153:154]
	v_fma_f64 v[143:144], v[129:130], v[189:190], v[143:144]
	ds_read_b128 v[127:130], v188 offset:1824
	v_add_f64 v[133:134], v[133:134], v[147:148]
	v_add_f64 v[131:132], v[131:132], v[137:138]
	s_waitcnt vmcnt(23) lgkmcnt(1)
	v_mul_f64 v[147:148], v[3:4], v[177:178]
	v_mul_f64 v[137:138], v[1:2], v[177:178]
	s_waitcnt vmcnt(21)
	v_fma_f64 v[149:150], v[5:6], v[165:166], -v[149:150]
	v_fma_f64 v[141:142], v[7:8], v[165:166], v[141:142]
	ds_read_b128 v[5:8], v188 offset:1840
	v_add_f64 v[133:134], v[133:134], v[145:146]
	v_add_f64 v[131:132], v[131:132], v[143:144]
	s_waitcnt vmcnt(17) lgkmcnt(1)
	v_mul_f64 v[145:146], v[129:130], v[161:162]
	s_waitcnt vmcnt(16)
	v_fma_f64 v[147:148], v[1:2], v[183:184], -v[147:148]
	v_mul_f64 v[143:144], v[127:128], v[161:162]
	v_fma_f64 v[137:138], v[3:4], v[183:184], v[137:138]
	ds_read_b128 v[1:4], v188 offset:1856
	v_add_f64 v[133:134], v[133:134], v[149:150]
	v_add_f64 v[131:132], v[131:132], v[141:142]
	s_waitcnt vmcnt(15) lgkmcnt(1)
	v_mul_f64 v[149:150], v[7:8], v[179:180]
	v_mul_f64 v[141:142], v[5:6], v[179:180]
	s_waitcnt vmcnt(13)
	v_fma_f64 v[145:146], v[127:128], v[135:136], -v[145:146]
	v_fma_f64 v[135:136], v[129:130], v[135:136], v[143:144]
	ds_read_b128 v[127:130], v188 offset:1872
	v_add_f64 v[133:134], v[133:134], v[147:148]
	v_add_f64 v[131:132], v[131:132], v[137:138]
	s_waitcnt vmcnt(9) lgkmcnt(1)
	v_mul_f64 v[143:144], v[3:4], v[167:168]
	s_waitcnt vmcnt(8)
	v_fma_f64 v[5:6], v[5:6], v[185:186], -v[149:150]
	v_mul_f64 v[137:138], v[1:2], v[167:168]
	v_fma_f64 v[7:8], v[7:8], v[185:186], v[141:142]
	v_add_f64 v[133:134], v[133:134], v[145:146]
	v_add_f64 v[131:132], v[131:132], v[135:136]
	s_waitcnt vmcnt(7) lgkmcnt(0)
	v_mul_f64 v[141:142], v[129:130], v[181:182]
	v_mul_f64 v[135:136], v[127:128], v[181:182]
	s_waitcnt vmcnt(5)
	v_fma_f64 v[1:2], v[1:2], v[173:174], -v[143:144]
	v_fma_f64 v[3:4], v[3:4], v[173:174], v[137:138]
	v_add_f64 v[5:6], v[133:134], v[5:6]
	v_add_f64 v[7:8], v[131:132], v[7:8]
	s_waitcnt vmcnt(4)
	v_fma_f64 v[127:128], v[127:128], v[197:198], -v[141:142]
	v_add_f64 v[1:2], v[5:6], v[1:2]
	v_fma_f64 v[5:6], v[129:130], v[197:198], v[135:136]
	v_add_f64 v[3:4], v[7:8], v[3:4]
	v_add_f64 v[1:2], v[1:2], v[127:128]
	v_add_f64 v[3:4], v[3:4], v[5:6]
	s_waitcnt vmcnt(2)
	v_add_f64 v[1:2], v[139:140], -v[1:2]
	s_waitcnt vmcnt(0)
	v_add_f64 v[3:4], v[171:172], -v[3:4]
	buffer_store_dword v2, off, s[0:3], 0 offset:132
	buffer_store_dword v1, off, s[0:3], 0 offset:128
	;; [unrolled: 1-line block ×4, first 2 shown]
	v_cmpx_lt_u32_e32 6, v0
	s_cbranch_execz .LBB122_355
; %bb.354:
	v_mov_b32_e32 v4, s65
	s_clause 0x3
	buffer_load_dword v1, v4, s[0:3], 0 offen
	buffer_load_dword v2, v4, s[0:3], 0 offen offset:4
	buffer_load_dword v3, v4, s[0:3], 0 offen offset:8
	;; [unrolled: 1-line block ×3, first 2 shown]
	buffer_store_dword v188, off, s[0:3], 0 offset:112
	buffer_store_dword v188, off, s[0:3], 0 offset:116
	;; [unrolled: 1-line block ×4, first 2 shown]
	s_waitcnt vmcnt(0)
	ds_write_b128 v187, v[1:4]
.LBB122_355:
	s_or_b32 exec_lo, exec_lo, s4
	s_waitcnt lgkmcnt(0)
	s_waitcnt_vscnt null, 0x0
	s_barrier
	buffer_gl0_inv
	s_clause 0x37
	buffer_load_dword v135, off, s[0:3], 0 offset:136
	buffer_load_dword v136, off, s[0:3], 0 offset:140
	buffer_load_dword v131, off, s[0:3], 0 offset:152
	buffer_load_dword v132, off, s[0:3], 0 offset:156
	buffer_load_dword v133, off, s[0:3], 0 offset:128
	buffer_load_dword v134, off, s[0:3], 0 offset:132
	buffer_load_dword v129, off, s[0:3], 0 offset:168
	buffer_load_dword v130, off, s[0:3], 0 offset:172
	buffer_load_dword v127, off, s[0:3], 0 offset:144
	buffer_load_dword v128, off, s[0:3], 0 offset:148
	buffer_load_dword v140, off, s[0:3], 0 offset:188
	buffer_load_dword v143, off, s[0:3], 0 offset:200
	buffer_load_dword v137, off, s[0:3], 0 offset:192
	buffer_load_dword v139, off, s[0:3], 0 offset:184
	buffer_load_dword v151, off, s[0:3], 0 offset:160
	buffer_load_dword v152, off, s[0:3], 0 offset:164
	buffer_load_dword v144, off, s[0:3], 0 offset:204
	buffer_load_dword v146, off, s[0:3], 0 offset:180
	buffer_load_dword v145, off, s[0:3], 0 offset:176
	buffer_load_dword v148, off, s[0:3], 0 offset:220
	buffer_load_dword v153, off, s[0:3], 0 offset:232
	buffer_load_dword v141, off, s[0:3], 0 offset:224
	buffer_load_dword v147, off, s[0:3], 0 offset:216
	buffer_load_dword v138, off, s[0:3], 0 offset:196
	buffer_load_dword v154, off, s[0:3], 0 offset:236
	buffer_load_dword v156, off, s[0:3], 0 offset:212
	buffer_load_dword v155, off, s[0:3], 0 offset:208
	buffer_load_dword v158, off, s[0:3], 0 offset:252
	buffer_load_dword v161, off, s[0:3], 0 offset:264
	buffer_load_dword v149, off, s[0:3], 0 offset:256
	buffer_load_dword v157, off, s[0:3], 0 offset:248
	buffer_load_dword v142, off, s[0:3], 0 offset:228
	buffer_load_dword v162, off, s[0:3], 0 offset:268
	buffer_load_dword v164, off, s[0:3], 0 offset:244
	buffer_load_dword v163, off, s[0:3], 0 offset:240
	buffer_load_dword v166, off, s[0:3], 0 offset:284
	buffer_load_dword v169, off, s[0:3], 0 offset:296
	buffer_load_dword v159, off, s[0:3], 0 offset:288
	buffer_load_dword v165, off, s[0:3], 0 offset:280
	buffer_load_dword v150, off, s[0:3], 0 offset:260
	buffer_load_dword v170, off, s[0:3], 0 offset:300
	buffer_load_dword v172, off, s[0:3], 0 offset:276
	buffer_load_dword v171, off, s[0:3], 0 offset:272
	buffer_load_dword v174, off, s[0:3], 0 offset:316
	buffer_load_dword v177, off, s[0:3], 0 offset:328
	buffer_load_dword v167, off, s[0:3], 0 offset:320
	buffer_load_dword v173, off, s[0:3], 0 offset:312
	buffer_load_dword v160, off, s[0:3], 0 offset:292
	buffer_load_dword v178, off, s[0:3], 0 offset:332
	buffer_load_dword v180, off, s[0:3], 0 offset:308
	buffer_load_dword v179, off, s[0:3], 0 offset:304
	buffer_load_dword v182, off, s[0:3], 0 offset:348
	buffer_load_dword v183, off, s[0:3], 0 offset:360
	buffer_load_dword v175, off, s[0:3], 0 offset:352
	buffer_load_dword v181, off, s[0:3], 0 offset:344
	buffer_load_dword v168, off, s[0:3], 0 offset:324
	ds_read_b128 v[5:8], v188 offset:1056
	s_clause 0x2
	buffer_load_dword v184, off, s[0:3], 0 offset:364
	buffer_load_dword v186, off, s[0:3], 0 offset:340
	;; [unrolled: 1-line block ×3, first 2 shown]
	ds_read_b128 v[1:4], v188 offset:1072
	s_clause 0x4
	buffer_load_dword v196, off, s[0:3], 0 offset:380
	buffer_load_dword v197, off, s[0:3], 0 offset:392
	;; [unrolled: 1-line block ×5, first 2 shown]
	ds_read_b128 v[189:192], v188 offset:1088
	s_mov_b32 s4, exec_lo
	s_waitcnt vmcnt(62) lgkmcnt(2)
	v_mul_f64 v[193:194], v[7:8], v[135:136]
	v_mul_f64 v[135:136], v[5:6], v[135:136]
	s_waitcnt vmcnt(60) lgkmcnt(1)
	v_mul_f64 v[200:201], v[3:4], v[131:132]
	v_mul_f64 v[131:132], v[1:2], v[131:132]
	;; [unrolled: 3-line block ×3, first 2 shown]
	v_fma_f64 v[193:194], v[5:6], v[133:134], -v[193:194]
	v_fma_f64 v[133:134], v[7:8], v[133:134], v[135:136]
	s_clause 0x2
	buffer_load_dword v198, off, s[0:3], 0 offset:396
	buffer_load_dword v136, off, s[0:3], 0 offset:372
	;; [unrolled: 1-line block ×3, first 2 shown]
	s_waitcnt vmcnt(57)
	v_fma_f64 v[204:205], v[1:2], v[127:128], -v[200:201]
	ds_read_b128 v[5:8], v188 offset:1104
	v_fma_f64 v[127:128], v[3:4], v[127:128], v[131:132]
	s_waitcnt vmcnt(51)
	v_fma_f64 v[189:190], v[189:190], v[151:152], -v[129:130]
	v_fma_f64 v[151:152], v[191:192], v[151:152], v[202:203]
	v_add_f64 v[193:194], v[193:194], 0
	v_add_f64 v[131:132], v[133:134], 0
	s_clause 0x4
	buffer_load_dword v134, off, s[0:3], 0 offset:412
	buffer_load_dword v201, off, s[0:3], 0 offset:424
	;; [unrolled: 1-line block ×5, first 2 shown]
	s_waitcnt lgkmcnt(0)
	v_mul_f64 v[207:208], v[5:6], v[139:140]
	v_mul_f64 v[139:140], v[7:8], v[139:140]
	ds_read_b128 v[1:4], v188 offset:1120
	s_clause 0x2
	buffer_load_dword v202, off, s[0:3], 0 offset:428
	buffer_load_dword v192, off, s[0:3], 0 offset:404
	;; [unrolled: 1-line block ×3, first 2 shown]
	v_add_f64 v[193:194], v[193:194], v[204:205]
	v_add_f64 v[131:132], v[131:132], v[127:128]
	ds_read_b128 v[127:130], v188 offset:1136
	s_waitcnt vmcnt(58) lgkmcnt(1)
	v_mul_f64 v[203:204], v[1:2], v[143:144]
	v_mul_f64 v[143:144], v[3:4], v[143:144]
	s_waitcnt vmcnt(56)
	v_fma_f64 v[139:140], v[5:6], v[145:146], -v[139:140]
	v_fma_f64 v[145:146], v[7:8], v[145:146], v[207:208]
	s_waitcnt vmcnt(52) lgkmcnt(0)
	v_mul_f64 v[209:210], v[127:128], v[147:148]
	v_add_f64 v[189:190], v[193:194], v[189:190]
	v_add_f64 v[131:132], v[131:132], v[151:152]
	s_clause 0x4
	buffer_load_dword v152, off, s[0:3], 0 offset:444
	buffer_load_dword v193, off, s[0:3], 0 offset:456
	;; [unrolled: 1-line block ×5, first 2 shown]
	v_mul_f64 v[147:148], v[129:130], v[147:148]
	s_waitcnt vmcnt(56)
	v_fma_f64 v[143:144], v[1:2], v[137:138], -v[143:144]
	ds_read_b128 v[5:8], v188 offset:1152
	v_fma_f64 v[137:138], v[3:4], v[137:138], v[203:204]
	v_add_f64 v[139:140], v[189:190], v[139:140]
	v_add_f64 v[131:132], v[131:132], v[145:146]
	s_clause 0x2
	buffer_load_dword v194, off, s[0:3], 0 offset:460
	buffer_load_dword v146, off, s[0:3], 0 offset:436
	;; [unrolled: 1-line block ×3, first 2 shown]
	s_waitcnt vmcnt(58) lgkmcnt(0)
	v_mul_f64 v[189:190], v[5:6], v[153:154]
	v_mul_f64 v[153:154], v[7:8], v[153:154]
	s_waitcnt vmcnt(56)
	v_fma_f64 v[147:148], v[127:128], v[155:156], -v[147:148]
	ds_read_b128 v[1:4], v188 offset:1168
	v_add_f64 v[139:140], v[139:140], v[143:144]
	v_fma_f64 v[143:144], v[129:130], v[155:156], v[209:210]
	v_add_f64 v[131:132], v[131:132], v[137:138]
	s_clause 0x4
	buffer_load_dword v138, off, s[0:3], 0 offset:476
	buffer_load_dword v155, off, s[0:3], 0 offset:488
	;; [unrolled: 1-line block ×5, first 2 shown]
	s_waitcnt vmcnt(57) lgkmcnt(0)
	v_mul_f64 v[204:205], v[1:2], v[157:158]
	v_mul_f64 v[157:158], v[3:4], v[157:158]
	s_waitcnt vmcnt(56)
	v_fma_f64 v[153:154], v[5:6], v[141:142], -v[153:154]
	ds_read_b128 v[127:130], v188 offset:1184
	v_fma_f64 v[141:142], v[7:8], v[141:142], v[189:190]
	v_add_f64 v[139:140], v[139:140], v[147:148]
	v_add_f64 v[131:132], v[131:132], v[143:144]
	s_clause 0x2
	buffer_load_dword v156, off, s[0:3], 0 offset:492
	buffer_load_dword v144, off, s[0:3], 0 offset:468
	buffer_load_dword v143, off, s[0:3], 0 offset:464
	ds_read_b128 v[5:8], v188 offset:1200
	s_waitcnt vmcnt(58) lgkmcnt(1)
	v_mul_f64 v[147:148], v[127:128], v[161:162]
	v_mul_f64 v[161:162], v[129:130], v[161:162]
	s_waitcnt vmcnt(56)
	v_fma_f64 v[157:158], v[1:2], v[163:164], -v[157:158]
	v_add_f64 v[139:140], v[139:140], v[153:154]
	v_fma_f64 v[153:154], v[3:4], v[163:164], v[204:205]
	v_add_f64 v[131:132], v[131:132], v[141:142]
	s_clause 0x4
	buffer_load_dword v142, off, s[0:3], 0 offset:508
	buffer_load_dword v163, off, s[0:3], 0 offset:520
	;; [unrolled: 1-line block ×5, first 2 shown]
	s_waitcnt vmcnt(57) lgkmcnt(0)
	v_mul_f64 v[210:211], v[5:6], v[165:166]
	v_mul_f64 v[165:166], v[7:8], v[165:166]
	s_waitcnt vmcnt(56)
	v_fma_f64 v[161:162], v[127:128], v[149:150], -v[161:162]
	ds_read_b128 v[1:4], v188 offset:1216
	v_fma_f64 v[147:148], v[129:130], v[149:150], v[147:148]
	s_clause 0x2
	buffer_load_dword v164, off, s[0:3], 0 offset:524
	buffer_load_dword v150, off, s[0:3], 0 offset:500
	;; [unrolled: 1-line block ×3, first 2 shown]
	ds_read_b128 v[127:130], v188 offset:1232
	v_add_f64 v[139:140], v[139:140], v[157:158]
	v_add_f64 v[131:132], v[131:132], v[153:154]
	s_waitcnt vmcnt(58) lgkmcnt(1)
	v_mul_f64 v[157:158], v[3:4], v[169:170]
	s_waitcnt vmcnt(56)
	v_fma_f64 v[165:166], v[5:6], v[171:172], -v[165:166]
	v_mul_f64 v[153:154], v[1:2], v[169:170]
	v_add_f64 v[139:140], v[139:140], v[161:162]
	v_fma_f64 v[161:162], v[7:8], v[171:172], v[210:211]
	v_add_f64 v[131:132], v[131:132], v[147:148]
	s_clause 0x4
	buffer_load_dword v148, off, s[0:3], 0 offset:540
	buffer_load_dword v169, off, s[0:3], 0 offset:552
	;; [unrolled: 1-line block ×5, first 2 shown]
	s_waitcnt vmcnt(57) lgkmcnt(0)
	v_mul_f64 v[210:211], v[127:128], v[173:174]
	v_mul_f64 v[172:173], v[129:130], v[173:174]
	s_waitcnt vmcnt(56)
	v_fma_f64 v[157:158], v[1:2], v[159:160], -v[157:158]
	ds_read_b128 v[5:8], v188 offset:1248
	v_fma_f64 v[153:154], v[3:4], v[159:160], v[153:154]
	s_clause 0x2
	buffer_load_dword v170, off, s[0:3], 0 offset:556
	buffer_load_dword v160, off, s[0:3], 0 offset:532
	;; [unrolled: 1-line block ×3, first 2 shown]
	ds_read_b128 v[1:4], v188 offset:1264
	v_add_f64 v[139:140], v[139:140], v[165:166]
	v_add_f64 v[131:132], v[131:132], v[161:162]
	s_waitcnt vmcnt(58) lgkmcnt(1)
	v_mul_f64 v[165:166], v[7:8], v[177:178]
	s_waitcnt vmcnt(56)
	v_fma_f64 v[173:174], v[127:128], v[179:180], -v[172:173]
	v_mul_f64 v[161:162], v[5:6], v[177:178]
	v_add_f64 v[139:140], v[139:140], v[157:158]
	v_fma_f64 v[157:158], v[129:130], v[179:180], v[210:211]
	v_add_f64 v[131:132], v[131:132], v[153:154]
	s_clause 0x4
	buffer_load_dword v154, off, s[0:3], 0 offset:572
	buffer_load_dword v177, off, s[0:3], 0 offset:584
	;; [unrolled: 1-line block ×5, first 2 shown]
	s_waitcnt vmcnt(57) lgkmcnt(0)
	v_mul_f64 v[210:211], v[1:2], v[181:182]
	v_mul_f64 v[180:181], v[3:4], v[181:182]
	s_waitcnt vmcnt(56)
	v_fma_f64 v[165:166], v[5:6], v[167:168], -v[165:166]
	ds_read_b128 v[127:130], v188 offset:1280
	v_fma_f64 v[161:162], v[7:8], v[167:168], v[161:162]
	v_add_f64 v[139:140], v[139:140], v[173:174]
	v_add_f64 v[131:132], v[131:132], v[157:158]
	s_clause 0x2
	buffer_load_dword v178, off, s[0:3], 0 offset:588
	buffer_load_dword v158, off, s[0:3], 0 offset:564
	buffer_load_dword v157, off, s[0:3], 0 offset:560
	ds_read_b128 v[5:8], v188 offset:1296
	s_waitcnt vmcnt(58) lgkmcnt(1)
	v_mul_f64 v[173:174], v[129:130], v[183:184]
	s_waitcnt vmcnt(56)
	v_fma_f64 v[181:182], v[1:2], v[185:186], -v[180:181]
	v_mul_f64 v[167:168], v[127:128], v[183:184]
	v_add_f64 v[139:140], v[139:140], v[165:166]
	v_fma_f64 v[165:166], v[3:4], v[185:186], v[210:211]
	v_add_f64 v[131:132], v[131:132], v[161:162]
	s_clause 0x4
	buffer_load_dword v162, off, s[0:3], 0 offset:604
	buffer_load_dword v183, off, s[0:3], 0 offset:616
	;; [unrolled: 1-line block ×5, first 2 shown]
	s_waitcnt vmcnt(57) lgkmcnt(0)
	v_mul_f64 v[210:211], v[5:6], v[195:196]
	v_mul_f64 v[195:196], v[7:8], v[195:196]
	s_waitcnt vmcnt(56)
	v_fma_f64 v[173:174], v[127:128], v[175:176], -v[173:174]
	ds_read_b128 v[1:4], v188 offset:1312
	v_fma_f64 v[167:168], v[129:130], v[175:176], v[167:168]
	v_add_f64 v[139:140], v[139:140], v[181:182]
	v_add_f64 v[131:132], v[131:132], v[165:166]
	s_clause 0x2
	buffer_load_dword v184, off, s[0:3], 0 offset:620
	buffer_load_dword v166, off, s[0:3], 0 offset:596
	;; [unrolled: 1-line block ×3, first 2 shown]
	ds_read_b128 v[127:130], v188 offset:1328
	s_waitcnt vmcnt(58) lgkmcnt(1)
	v_mul_f64 v[181:182], v[3:4], v[197:198]
	v_mul_f64 v[175:176], v[1:2], v[197:198]
	s_waitcnt vmcnt(56)
	v_fma_f64 v[195:196], v[5:6], v[135:136], -v[195:196]
	v_fma_f64 v[135:136], v[7:8], v[135:136], v[210:211]
	v_add_f64 v[139:140], v[139:140], v[173:174]
	v_add_f64 v[131:132], v[131:132], v[167:168]
	s_clause 0x4
	buffer_load_dword v168, off, s[0:3], 0 offset:636
	buffer_load_dword v173, off, s[0:3], 0 offset:648
	;; [unrolled: 1-line block ×5, first 2 shown]
	ds_read_b128 v[5:8], v188 offset:1344
	s_waitcnt vmcnt(57) lgkmcnt(1)
	v_mul_f64 v[210:211], v[127:128], v[133:134]
	v_mul_f64 v[133:134], v[129:130], v[133:134]
	s_waitcnt vmcnt(56)
	v_fma_f64 v[181:182], v[1:2], v[199:200], -v[181:182]
	v_fma_f64 v[175:176], v[3:4], v[199:200], v[175:176]
	v_add_f64 v[139:140], v[139:140], v[195:196]
	v_add_f64 v[131:132], v[131:132], v[135:136]
	s_clause 0x2
	buffer_load_dword v174, off, s[0:3], 0 offset:652
	buffer_load_dword v136, off, s[0:3], 0 offset:628
	;; [unrolled: 1-line block ×3, first 2 shown]
	s_waitcnt vmcnt(58) lgkmcnt(0)
	v_mul_f64 v[199:200], v[7:8], v[201:202]
	ds_read_b128 v[1:4], v188 offset:1360
	v_mul_f64 v[195:196], v[5:6], v[201:202]
	s_waitcnt vmcnt(56)
	v_fma_f64 v[133:134], v[127:128], v[191:192], -v[133:134]
	v_add_f64 v[139:140], v[139:140], v[181:182]
	v_fma_f64 v[181:182], v[129:130], v[191:192], v[210:211]
	v_add_f64 v[131:132], v[131:132], v[175:176]
	s_clause 0x4
	buffer_load_dword v176, off, s[0:3], 0 offset:668
	buffer_load_dword v191, off, s[0:3], 0 offset:680
	;; [unrolled: 1-line block ×5, first 2 shown]
	ds_read_b128 v[127:130], v188 offset:1376
	s_waitcnt vmcnt(57) lgkmcnt(1)
	v_mul_f64 v[210:211], v[1:2], v[151:152]
	v_mul_f64 v[151:152], v[3:4], v[151:152]
	s_waitcnt vmcnt(56)
	v_fma_f64 v[199:200], v[5:6], v[206:207], -v[199:200]
	v_add_f64 v[133:134], v[139:140], v[133:134]
	v_fma_f64 v[139:140], v[7:8], v[206:207], v[195:196]
	v_add_f64 v[131:132], v[131:132], v[181:182]
	s_clause 0x2
	buffer_load_dword v192, off, s[0:3], 0 offset:684
	buffer_load_dword v182, off, s[0:3], 0 offset:660
	;; [unrolled: 1-line block ×3, first 2 shown]
	ds_read_b128 v[5:8], v188 offset:1392
	s_waitcnt vmcnt(58) lgkmcnt(1)
	v_mul_f64 v[195:196], v[127:128], v[193:194]
	v_mul_f64 v[193:194], v[129:130], v[193:194]
	s_waitcnt vmcnt(56)
	v_fma_f64 v[151:152], v[1:2], v[145:146], -v[151:152]
	v_fma_f64 v[145:146], v[3:4], v[145:146], v[210:211]
	v_add_f64 v[133:134], v[133:134], v[199:200]
	v_add_f64 v[131:132], v[131:132], v[139:140]
	s_clause 0x4
	buffer_load_dword v140, off, s[0:3], 0 offset:700
	buffer_load_dword v199, off, s[0:3], 0 offset:712
	;; [unrolled: 1-line block ×5, first 2 shown]
	ds_read_b128 v[1:4], v188 offset:1408
	s_waitcnt vmcnt(57) lgkmcnt(1)
	v_mul_f64 v[206:207], v[5:6], v[137:138]
	v_mul_f64 v[137:138], v[7:8], v[137:138]
	s_waitcnt vmcnt(56)
	v_fma_f64 v[193:194], v[127:128], v[208:209], -v[193:194]
	v_add_f64 v[133:134], v[133:134], v[151:152]
	v_fma_f64 v[151:152], v[129:130], v[208:209], v[195:196]
	v_add_f64 v[131:132], v[131:132], v[145:146]
	s_clause 0x2
	buffer_load_dword v200, off, s[0:3], 0 offset:716
	buffer_load_dword v146, off, s[0:3], 0 offset:692
	;; [unrolled: 1-line block ×3, first 2 shown]
	ds_read_b128 v[127:130], v188 offset:1424
	s_waitcnt vmcnt(58) lgkmcnt(1)
	v_mul_f64 v[195:196], v[1:2], v[155:156]
	v_mul_f64 v[155:156], v[3:4], v[155:156]
	s_waitcnt vmcnt(56)
	v_fma_f64 v[137:138], v[5:6], v[143:144], -v[137:138]
	v_fma_f64 v[143:144], v[7:8], v[143:144], v[206:207]
	v_add_f64 v[133:134], v[133:134], v[193:194]
	v_add_f64 v[131:132], v[131:132], v[151:152]
	s_clause 0x4
	buffer_load_dword v152, off, s[0:3], 0 offset:732
	buffer_load_dword v193, off, s[0:3], 0 offset:744
	;; [unrolled: 1-line block ×5, first 2 shown]
	ds_read_b128 v[5:8], v188 offset:1440
	s_waitcnt vmcnt(57) lgkmcnt(1)
	v_mul_f64 v[208:209], v[127:128], v[141:142]
	v_mul_f64 v[141:142], v[129:130], v[141:142]
	s_waitcnt vmcnt(56)
	v_fma_f64 v[155:156], v[1:2], v[203:204], -v[155:156]
	v_add_f64 v[133:134], v[133:134], v[137:138]
	v_fma_f64 v[137:138], v[3:4], v[203:204], v[195:196]
	v_add_f64 v[131:132], v[131:132], v[143:144]
	s_clause 0x2
	buffer_load_dword v194, off, s[0:3], 0 offset:748
	buffer_load_dword v144, off, s[0:3], 0 offset:724
	;; [unrolled: 1-line block ×3, first 2 shown]
	s_waitcnt vmcnt(58) lgkmcnt(0)
	v_mul_f64 v[195:196], v[5:6], v[163:164]
	v_mul_f64 v[163:164], v[7:8], v[163:164]
	ds_read_b128 v[1:4], v188 offset:1456
	s_waitcnt vmcnt(56)
	v_fma_f64 v[141:142], v[127:128], v[149:150], -v[141:142]
	v_fma_f64 v[149:150], v[129:130], v[149:150], v[208:209]
	v_add_f64 v[133:134], v[133:134], v[155:156]
	v_add_f64 v[131:132], v[131:132], v[137:138]
	s_clause 0x4
	buffer_load_dword v138, off, s[0:3], 0 offset:764
	buffer_load_dword v155, off, s[0:3], 0 offset:776
	;; [unrolled: 1-line block ×5, first 2 shown]
	ds_read_b128 v[127:130], v188 offset:1472
	s_waitcnt vmcnt(57) lgkmcnt(1)
	v_mul_f64 v[209:210], v[1:2], v[147:148]
	v_mul_f64 v[147:148], v[3:4], v[147:148]
	s_waitcnt vmcnt(56)
	v_fma_f64 v[163:164], v[5:6], v[189:190], -v[163:164]
	v_add_f64 v[133:134], v[133:134], v[141:142]
	v_fma_f64 v[141:142], v[7:8], v[189:190], v[195:196]
	v_add_f64 v[131:132], v[131:132], v[149:150]
	s_clause 0x2
	buffer_load_dword v156, off, s[0:3], 0 offset:780
	buffer_load_dword v150, off, s[0:3], 0 offset:756
	;; [unrolled: 1-line block ×3, first 2 shown]
	s_waitcnt vmcnt(58) lgkmcnt(0)
	v_mul_f64 v[189:190], v[127:128], v[169:170]
	v_mul_f64 v[169:170], v[129:130], v[169:170]
	ds_read_b128 v[5:8], v188 offset:1488
	s_waitcnt vmcnt(56)
	v_fma_f64 v[147:148], v[1:2], v[159:160], -v[147:148]
	v_fma_f64 v[159:160], v[3:4], v[159:160], v[209:210]
	v_add_f64 v[133:134], v[133:134], v[163:164]
	v_add_f64 v[131:132], v[131:132], v[141:142]
	s_clause 0x4
	buffer_load_dword v142, off, s[0:3], 0 offset:796
	buffer_load_dword v163, off, s[0:3], 0 offset:808
	buffer_load_dword v195, off, s[0:3], 0 offset:800
	buffer_load_dword v141, off, s[0:3], 0 offset:792
	buffer_load_dword v204, off, s[0:3], 0 offset:772
	ds_read_b128 v[1:4], v188 offset:1504
	s_waitcnt vmcnt(57) lgkmcnt(1)
	v_mul_f64 v[209:210], v[5:6], v[153:154]
	v_mul_f64 v[153:154], v[7:8], v[153:154]
	s_waitcnt vmcnt(56)
	v_fma_f64 v[169:170], v[127:128], v[171:172], -v[169:170]
	v_add_f64 v[133:134], v[133:134], v[147:148]
	v_fma_f64 v[147:148], v[129:130], v[171:172], v[189:190]
	v_add_f64 v[131:132], v[131:132], v[159:160]
	s_clause 0x2
	buffer_load_dword v164, off, s[0:3], 0 offset:812
	buffer_load_dword v160, off, s[0:3], 0 offset:788
	buffer_load_dword v159, off, s[0:3], 0 offset:784
	ds_read_b128 v[127:130], v188 offset:1520
	s_waitcnt vmcnt(58) lgkmcnt(1)
	v_mul_f64 v[171:172], v[1:2], v[177:178]
	v_mul_f64 v[177:178], v[3:4], v[177:178]
	s_waitcnt vmcnt(56)
	v_fma_f64 v[153:154], v[5:6], v[157:158], -v[153:154]
	v_fma_f64 v[157:158], v[7:8], v[157:158], v[209:210]
	v_add_f64 v[133:134], v[133:134], v[169:170]
	v_add_f64 v[131:132], v[131:132], v[147:148]
	s_clause 0x4
	buffer_load_dword v148, off, s[0:3], 0 offset:828
	buffer_load_dword v169, off, s[0:3], 0 offset:840
	buffer_load_dword v189, off, s[0:3], 0 offset:832
	buffer_load_dword v147, off, s[0:3], 0 offset:824
	buffer_load_dword v196, off, s[0:3], 0 offset:804
	ds_read_b128 v[5:8], v188 offset:1536
	s_waitcnt vmcnt(57) lgkmcnt(1)
	v_mul_f64 v[209:210], v[127:128], v[161:162]
	v_mul_f64 v[161:162], v[129:130], v[161:162]
	s_waitcnt vmcnt(56)
	v_fma_f64 v[177:178], v[1:2], v[179:180], -v[177:178]
	v_add_f64 v[133:134], v[133:134], v[153:154]
	v_fma_f64 v[153:154], v[3:4], v[179:180], v[171:172]
	v_add_f64 v[131:132], v[131:132], v[157:158]
	s_clause 0x2
	buffer_load_dword v170, off, s[0:3], 0 offset:844
	buffer_load_dword v158, off, s[0:3], 0 offset:820
	buffer_load_dword v157, off, s[0:3], 0 offset:816
	ds_read_b128 v[1:4], v188 offset:1552
	s_waitcnt vmcnt(58) lgkmcnt(1)
	v_mul_f64 v[179:180], v[7:8], v[183:184]
	v_mul_f64 v[171:172], v[5:6], v[183:184]
	;; [unrolled: 28-line block ×4, first 2 shown]
	s_waitcnt vmcnt(56)
	v_fma_f64 v[175:176], v[5:6], v[181:182], -v[175:176]
	v_add_f64 v[133:134], v[133:134], v[173:174]
	v_fma_f64 v[173:174], v[7:8], v[181:182], v[209:210]
	v_add_f64 v[131:132], v[131:132], v[167:168]
	s_clause 0x4
	buffer_load_dword v168, off, s[0:3], 0 offset:924
	buffer_load_dword v181, off, s[0:3], 0 offset:936
	;; [unrolled: 1-line block ×5, first 2 shown]
	ds_read_b128 v[5:8], v188 offset:1632
	s_waitcnt vmcnt(57) lgkmcnt(1)
	v_mul_f64 v[209:210], v[127:128], v[139:140]
	v_mul_f64 v[139:140], v[129:130], v[139:140]
	s_waitcnt vmcnt(56)
	v_fma_f64 v[191:192], v[1:2], v[201:202], -v[191:192]
	v_fma_f64 v[171:172], v[3:4], v[201:202], v[171:172]
	v_add_f64 v[133:134], v[133:134], v[175:176]
	v_add_f64 v[131:132], v[131:132], v[173:174]
	s_clause 0x2
	buffer_load_dword v182, off, s[0:3], 0 offset:940
	buffer_load_dword v174, off, s[0:3], 0 offset:916
	;; [unrolled: 1-line block ×3, first 2 shown]
	ds_read_b128 v[1:4], v188 offset:1648
	s_waitcnt vmcnt(58) lgkmcnt(1)
	v_mul_f64 v[175:176], v[5:6], v[199:200]
	v_mul_f64 v[199:200], v[7:8], v[199:200]
	s_waitcnt vmcnt(56)
	v_fma_f64 v[139:140], v[127:128], v[145:146], -v[139:140]
	v_fma_f64 v[145:146], v[129:130], v[145:146], v[209:210]
	v_add_f64 v[133:134], v[133:134], v[191:192]
	v_add_f64 v[131:132], v[131:132], v[171:172]
	s_clause 0x2
	buffer_load_dword v172, off, s[0:3], 0 offset:956
	buffer_load_dword v171, off, s[0:3], 0 offset:952
	;; [unrolled: 1-line block ×3, first 2 shown]
	ds_read_b128 v[127:130], v188 offset:1664
	s_waitcnt vmcnt(55) lgkmcnt(1)
	v_mul_f64 v[191:192], v[1:2], v[151:152]
	v_mul_f64 v[151:152], v[3:4], v[151:152]
	s_waitcnt vmcnt(54)
	v_fma_f64 v[199:200], v[5:6], v[205:206], -v[199:200]
	v_add_f64 v[133:134], v[133:134], v[139:140]
	v_fma_f64 v[139:140], v[7:8], v[205:206], v[175:176]
	v_add_f64 v[131:132], v[131:132], v[145:146]
	s_clause 0x1
	buffer_load_dword v146, off, s[0:3], 0 offset:948
	buffer_load_dword v145, off, s[0:3], 0 offset:944
	ds_read_b128 v[5:8], v188 offset:1680
	s_waitcnt vmcnt(55) lgkmcnt(1)
	v_mul_f64 v[175:176], v[127:128], v[193:194]
	v_mul_f64 v[193:194], v[129:130], v[193:194]
	s_waitcnt vmcnt(53)
	v_fma_f64 v[151:152], v[1:2], v[143:144], -v[151:152]
	v_fma_f64 v[143:144], v[3:4], v[143:144], v[191:192]
	ds_read_b128 v[1:4], v188 offset:1696
	v_add_f64 v[133:134], v[133:134], v[199:200]
	v_add_f64 v[131:132], v[131:132], v[139:140]
	s_waitcnt vmcnt(49) lgkmcnt(1)
	v_mul_f64 v[139:140], v[5:6], v[137:138]
	v_mul_f64 v[137:138], v[7:8], v[137:138]
	s_waitcnt vmcnt(48)
	v_fma_f64 v[191:192], v[127:128], v[207:208], -v[193:194]
	v_add_f64 v[133:134], v[133:134], v[151:152]
	v_fma_f64 v[151:152], v[129:130], v[207:208], v[175:176]
	v_add_f64 v[131:132], v[131:132], v[143:144]
	s_clause 0x3
	buffer_load_dword v143, off, s[0:3], 0 offset:112
	buffer_load_dword v144, off, s[0:3], 0 offset:116
	;; [unrolled: 1-line block ×4, first 2 shown]
	ds_read_b128 v[127:130], v188 offset:1712
	s_waitcnt vmcnt(51) lgkmcnt(1)
	v_mul_f64 v[193:194], v[1:2], v[155:156]
	v_mul_f64 v[155:156], v[3:4], v[155:156]
	s_waitcnt vmcnt(49)
	v_fma_f64 v[137:138], v[5:6], v[149:150], -v[137:138]
	v_fma_f64 v[139:140], v[7:8], v[149:150], v[139:140]
	ds_read_b128 v[5:8], v188 offset:1728
	v_add_f64 v[133:134], v[133:134], v[191:192]
	v_add_f64 v[131:132], v[131:132], v[151:152]
	s_waitcnt vmcnt(45) lgkmcnt(1)
	v_mul_f64 v[149:150], v[127:128], v[141:142]
	v_mul_f64 v[141:142], v[129:130], v[141:142]
	s_waitcnt vmcnt(44)
	v_fma_f64 v[151:152], v[1:2], v[203:204], -v[155:156]
	v_add_f64 v[133:134], v[133:134], v[137:138]
	v_fma_f64 v[137:138], v[3:4], v[203:204], v[193:194]
	v_add_f64 v[131:132], v[131:132], v[139:140]
	ds_read_b128 v[1:4], v188 offset:1744
	s_waitcnt vmcnt(43) lgkmcnt(1)
	v_mul_f64 v[155:156], v[7:8], v[163:164]
	v_mul_f64 v[139:140], v[5:6], v[163:164]
	s_waitcnt vmcnt(41)
	v_fma_f64 v[141:142], v[127:128], v[159:160], -v[141:142]
	v_fma_f64 v[149:150], v[129:130], v[159:160], v[149:150]
	ds_read_b128 v[127:130], v188 offset:1760
	v_add_f64 v[133:134], v[133:134], v[151:152]
	v_add_f64 v[131:132], v[131:132], v[137:138]
	s_waitcnt vmcnt(37) lgkmcnt(1)
	v_mul_f64 v[137:138], v[1:2], v[147:148]
	v_mul_f64 v[147:148], v[3:4], v[147:148]
	s_waitcnt vmcnt(36)
	v_fma_f64 v[151:152], v[5:6], v[195:196], -v[155:156]
	v_fma_f64 v[139:140], v[7:8], v[195:196], v[139:140]
	ds_read_b128 v[5:8], v188 offset:1776
	v_add_f64 v[133:134], v[133:134], v[141:142]
	v_add_f64 v[131:132], v[131:132], v[149:150]
	;; [unrolled: 9-line block ×3, first 2 shown]
	s_waitcnt vmcnt(29) lgkmcnt(1)
	v_mul_f64 v[151:152], v[7:8], v[153:154]
	s_waitcnt vmcnt(28)
	v_fma_f64 v[149:150], v[127:128], v[189:190], -v[149:150]
	v_mul_f64 v[139:140], v[5:6], v[153:154]
	v_fma_f64 v[141:142], v[129:130], v[189:190], v[141:142]
	ds_read_b128 v[127:130], v188 offset:1808
	v_add_f64 v[133:134], v[133:134], v[147:148]
	v_add_f64 v[131:132], v[131:132], v[137:138]
	s_waitcnt vmcnt(27) lgkmcnt(1)
	v_mul_f64 v[147:148], v[3:4], v[177:178]
	v_mul_f64 v[137:138], v[1:2], v[177:178]
	s_waitcnt vmcnt(25)
	v_fma_f64 v[151:152], v[5:6], v[165:166], -v[151:152]
	v_fma_f64 v[139:140], v[7:8], v[165:166], v[139:140]
	ds_read_b128 v[5:8], v188 offset:1824
	v_add_f64 v[133:134], v[133:134], v[149:150]
	v_add_f64 v[131:132], v[131:132], v[141:142]
	s_waitcnt vmcnt(21) lgkmcnt(1)
	v_mul_f64 v[149:150], v[129:130], v[161:162]
	s_waitcnt vmcnt(20)
	v_fma_f64 v[147:148], v[1:2], v[183:184], -v[147:148]
	v_mul_f64 v[141:142], v[127:128], v[161:162]
	v_fma_f64 v[137:138], v[3:4], v[183:184], v[137:138]
	ds_read_b128 v[1:4], v188 offset:1840
	v_add_f64 v[133:134], v[133:134], v[151:152]
	v_add_f64 v[131:132], v[131:132], v[139:140]
	s_waitcnt vmcnt(19) lgkmcnt(1)
	v_mul_f64 v[151:152], v[7:8], v[179:180]
	v_mul_f64 v[139:140], v[5:6], v[179:180]
	s_waitcnt vmcnt(17)
	v_fma_f64 v[149:150], v[127:128], v[135:136], -v[149:150]
	v_fma_f64 v[135:136], v[129:130], v[135:136], v[141:142]
	ds_read_b128 v[127:130], v188 offset:1856
	v_add_f64 v[133:134], v[133:134], v[147:148]
	v_add_f64 v[131:132], v[131:132], v[137:138]
	s_waitcnt vmcnt(13) lgkmcnt(1)
	v_mul_f64 v[141:142], v[3:4], v[167:168]
	s_waitcnt vmcnt(12)
	v_fma_f64 v[147:148], v[5:6], v[185:186], -v[151:152]
	v_mul_f64 v[137:138], v[1:2], v[167:168]
	v_fma_f64 v[139:140], v[7:8], v[185:186], v[139:140]
	ds_read_b128 v[5:8], v188 offset:1872
	v_add_f64 v[133:134], v[133:134], v[149:150]
	v_add_f64 v[131:132], v[131:132], v[135:136]
	s_waitcnt vmcnt(11) lgkmcnt(1)
	v_mul_f64 v[149:150], v[129:130], v[181:182]
	v_mul_f64 v[135:136], v[127:128], v[181:182]
	s_waitcnt vmcnt(9)
	v_fma_f64 v[1:2], v[1:2], v[173:174], -v[141:142]
	v_fma_f64 v[3:4], v[3:4], v[173:174], v[137:138]
	v_add_f64 v[133:134], v[133:134], v[147:148]
	v_add_f64 v[131:132], v[131:132], v[139:140]
	s_waitcnt vmcnt(7) lgkmcnt(0)
	v_mul_f64 v[139:140], v[7:8], v[171:172]
	s_waitcnt vmcnt(6)
	v_fma_f64 v[127:128], v[127:128], v[197:198], -v[149:150]
	v_mul_f64 v[137:138], v[5:6], v[171:172]
	v_fma_f64 v[129:130], v[129:130], v[197:198], v[135:136]
	v_add_f64 v[1:2], v[133:134], v[1:2]
	v_add_f64 v[3:4], v[131:132], v[3:4]
	s_waitcnt vmcnt(4)
	v_fma_f64 v[5:6], v[5:6], v[145:146], -v[139:140]
	v_fma_f64 v[7:8], v[7:8], v[145:146], v[137:138]
	v_add_f64 v[1:2], v[1:2], v[127:128]
	v_add_f64 v[3:4], v[3:4], v[129:130]
	;; [unrolled: 1-line block ×4, first 2 shown]
	s_waitcnt vmcnt(2)
	v_add_f64 v[1:2], v[143:144], -v[1:2]
	s_waitcnt vmcnt(0)
	v_add_f64 v[3:4], v[175:176], -v[3:4]
	buffer_store_dword v2, off, s[0:3], 0 offset:116
	buffer_store_dword v1, off, s[0:3], 0 offset:112
	;; [unrolled: 1-line block ×4, first 2 shown]
	v_cmpx_lt_u32_e32 5, v0
	s_cbranch_execz .LBB122_357
; %bb.356:
	v_mov_b32_e32 v4, s66
	v_mov_b32_e32 v5, 0
	s_clause 0x3
	buffer_load_dword v1, v4, s[0:3], 0 offen
	buffer_load_dword v2, v4, s[0:3], 0 offen offset:4
	buffer_load_dword v3, v4, s[0:3], 0 offen offset:8
	;; [unrolled: 1-line block ×3, first 2 shown]
	buffer_store_dword v5, off, s[0:3], 0 offset:96
	buffer_store_dword v5, off, s[0:3], 0 offset:100
	;; [unrolled: 1-line block ×4, first 2 shown]
	s_waitcnt vmcnt(0)
	ds_write_b128 v187, v[1:4]
.LBB122_357:
	s_or_b32 exec_lo, exec_lo, s4
	s_waitcnt lgkmcnt(0)
	s_waitcnt_vscnt null, 0x0
	s_barrier
	buffer_gl0_inv
	s_clause 0x37
	buffer_load_dword v135, off, s[0:3], 0 offset:120
	buffer_load_dword v136, off, s[0:3], 0 offset:124
	;; [unrolled: 1-line block ×56, first 2 shown]
	v_mov_b32_e32 v188, 0
	s_mov_b32 s4, exec_lo
	ds_read_b128 v[5:8], v188 offset:1040
	s_clause 0x2
	buffer_load_dword v184, off, s[0:3], 0 offset:348
	buffer_load_dword v186, off, s[0:3], 0 offset:324
	;; [unrolled: 1-line block ×3, first 2 shown]
	ds_read_b128 v[1:4], v188 offset:1056
	s_clause 0x4
	buffer_load_dword v196, off, s[0:3], 0 offset:364
	buffer_load_dword v197, off, s[0:3], 0 offset:376
	;; [unrolled: 1-line block ×5, first 2 shown]
	ds_read_b128 v[189:192], v188 offset:1072
	s_waitcnt vmcnt(62) lgkmcnt(2)
	v_mul_f64 v[193:194], v[7:8], v[135:136]
	v_mul_f64 v[135:136], v[5:6], v[135:136]
	s_waitcnt vmcnt(60) lgkmcnt(1)
	v_mul_f64 v[200:201], v[3:4], v[131:132]
	v_mul_f64 v[131:132], v[1:2], v[131:132]
	;; [unrolled: 3-line block ×3, first 2 shown]
	v_fma_f64 v[193:194], v[5:6], v[133:134], -v[193:194]
	v_fma_f64 v[133:134], v[7:8], v[133:134], v[135:136]
	s_clause 0x2
	buffer_load_dword v198, off, s[0:3], 0 offset:380
	buffer_load_dword v136, off, s[0:3], 0 offset:356
	;; [unrolled: 1-line block ×3, first 2 shown]
	s_waitcnt vmcnt(57)
	v_fma_f64 v[204:205], v[1:2], v[127:128], -v[200:201]
	ds_read_b128 v[5:8], v188 offset:1088
	v_fma_f64 v[127:128], v[3:4], v[127:128], v[131:132]
	s_waitcnt vmcnt(51)
	v_fma_f64 v[189:190], v[189:190], v[151:152], -v[129:130]
	v_fma_f64 v[151:152], v[191:192], v[151:152], v[202:203]
	v_add_f64 v[193:194], v[193:194], 0
	v_add_f64 v[131:132], v[133:134], 0
	s_clause 0x4
	buffer_load_dword v134, off, s[0:3], 0 offset:396
	buffer_load_dword v201, off, s[0:3], 0 offset:408
	;; [unrolled: 1-line block ×5, first 2 shown]
	s_waitcnt lgkmcnt(0)
	v_mul_f64 v[207:208], v[5:6], v[139:140]
	v_mul_f64 v[139:140], v[7:8], v[139:140]
	ds_read_b128 v[1:4], v188 offset:1104
	s_clause 0x2
	buffer_load_dword v202, off, s[0:3], 0 offset:412
	buffer_load_dword v192, off, s[0:3], 0 offset:388
	;; [unrolled: 1-line block ×3, first 2 shown]
	v_add_f64 v[193:194], v[193:194], v[204:205]
	v_add_f64 v[131:132], v[131:132], v[127:128]
	ds_read_b128 v[127:130], v188 offset:1120
	s_waitcnt vmcnt(58) lgkmcnt(1)
	v_mul_f64 v[203:204], v[1:2], v[143:144]
	v_mul_f64 v[143:144], v[3:4], v[143:144]
	s_waitcnt vmcnt(56)
	v_fma_f64 v[139:140], v[5:6], v[145:146], -v[139:140]
	v_fma_f64 v[145:146], v[7:8], v[145:146], v[207:208]
	s_waitcnt vmcnt(52) lgkmcnt(0)
	v_mul_f64 v[209:210], v[127:128], v[147:148]
	v_add_f64 v[189:190], v[193:194], v[189:190]
	v_add_f64 v[131:132], v[131:132], v[151:152]
	s_clause 0x4
	buffer_load_dword v152, off, s[0:3], 0 offset:428
	buffer_load_dword v193, off, s[0:3], 0 offset:440
	;; [unrolled: 1-line block ×5, first 2 shown]
	v_mul_f64 v[147:148], v[129:130], v[147:148]
	s_waitcnt vmcnt(56)
	v_fma_f64 v[143:144], v[1:2], v[137:138], -v[143:144]
	ds_read_b128 v[5:8], v188 offset:1136
	v_fma_f64 v[137:138], v[3:4], v[137:138], v[203:204]
	v_add_f64 v[139:140], v[189:190], v[139:140]
	v_add_f64 v[131:132], v[131:132], v[145:146]
	s_clause 0x2
	buffer_load_dword v194, off, s[0:3], 0 offset:444
	buffer_load_dword v146, off, s[0:3], 0 offset:420
	;; [unrolled: 1-line block ×3, first 2 shown]
	s_waitcnt vmcnt(58) lgkmcnt(0)
	v_mul_f64 v[189:190], v[5:6], v[153:154]
	v_mul_f64 v[153:154], v[7:8], v[153:154]
	s_waitcnt vmcnt(56)
	v_fma_f64 v[147:148], v[127:128], v[155:156], -v[147:148]
	ds_read_b128 v[1:4], v188 offset:1152
	v_add_f64 v[139:140], v[139:140], v[143:144]
	v_fma_f64 v[143:144], v[129:130], v[155:156], v[209:210]
	v_add_f64 v[131:132], v[131:132], v[137:138]
	s_clause 0x4
	buffer_load_dword v138, off, s[0:3], 0 offset:460
	buffer_load_dword v155, off, s[0:3], 0 offset:472
	;; [unrolled: 1-line block ×5, first 2 shown]
	s_waitcnt vmcnt(57) lgkmcnt(0)
	v_mul_f64 v[204:205], v[1:2], v[157:158]
	v_mul_f64 v[157:158], v[3:4], v[157:158]
	s_waitcnt vmcnt(56)
	v_fma_f64 v[153:154], v[5:6], v[141:142], -v[153:154]
	ds_read_b128 v[127:130], v188 offset:1168
	v_fma_f64 v[141:142], v[7:8], v[141:142], v[189:190]
	v_add_f64 v[139:140], v[139:140], v[147:148]
	v_add_f64 v[131:132], v[131:132], v[143:144]
	s_clause 0x2
	buffer_load_dword v156, off, s[0:3], 0 offset:476
	buffer_load_dword v144, off, s[0:3], 0 offset:452
	;; [unrolled: 1-line block ×3, first 2 shown]
	ds_read_b128 v[5:8], v188 offset:1184
	s_waitcnt vmcnt(58) lgkmcnt(1)
	v_mul_f64 v[147:148], v[127:128], v[161:162]
	v_mul_f64 v[161:162], v[129:130], v[161:162]
	s_waitcnt vmcnt(56)
	v_fma_f64 v[157:158], v[1:2], v[163:164], -v[157:158]
	v_add_f64 v[139:140], v[139:140], v[153:154]
	v_fma_f64 v[153:154], v[3:4], v[163:164], v[204:205]
	v_add_f64 v[131:132], v[131:132], v[141:142]
	s_clause 0x4
	buffer_load_dword v142, off, s[0:3], 0 offset:492
	buffer_load_dword v163, off, s[0:3], 0 offset:504
	;; [unrolled: 1-line block ×5, first 2 shown]
	s_waitcnt vmcnt(57) lgkmcnt(0)
	v_mul_f64 v[210:211], v[5:6], v[165:166]
	v_mul_f64 v[165:166], v[7:8], v[165:166]
	s_waitcnt vmcnt(56)
	v_fma_f64 v[161:162], v[127:128], v[149:150], -v[161:162]
	ds_read_b128 v[1:4], v188 offset:1200
	v_fma_f64 v[147:148], v[129:130], v[149:150], v[147:148]
	s_clause 0x2
	buffer_load_dword v164, off, s[0:3], 0 offset:508
	buffer_load_dword v150, off, s[0:3], 0 offset:484
	;; [unrolled: 1-line block ×3, first 2 shown]
	ds_read_b128 v[127:130], v188 offset:1216
	v_add_f64 v[139:140], v[139:140], v[157:158]
	v_add_f64 v[131:132], v[131:132], v[153:154]
	s_waitcnt vmcnt(58) lgkmcnt(1)
	v_mul_f64 v[157:158], v[3:4], v[169:170]
	s_waitcnt vmcnt(56)
	v_fma_f64 v[165:166], v[5:6], v[171:172], -v[165:166]
	v_mul_f64 v[153:154], v[1:2], v[169:170]
	v_add_f64 v[139:140], v[139:140], v[161:162]
	v_fma_f64 v[161:162], v[7:8], v[171:172], v[210:211]
	v_add_f64 v[131:132], v[131:132], v[147:148]
	s_clause 0x4
	buffer_load_dword v148, off, s[0:3], 0 offset:524
	buffer_load_dword v169, off, s[0:3], 0 offset:536
	;; [unrolled: 1-line block ×5, first 2 shown]
	s_waitcnt vmcnt(57) lgkmcnt(0)
	v_mul_f64 v[210:211], v[127:128], v[173:174]
	v_mul_f64 v[172:173], v[129:130], v[173:174]
	s_waitcnt vmcnt(56)
	v_fma_f64 v[157:158], v[1:2], v[159:160], -v[157:158]
	ds_read_b128 v[5:8], v188 offset:1232
	v_fma_f64 v[153:154], v[3:4], v[159:160], v[153:154]
	s_clause 0x2
	buffer_load_dword v170, off, s[0:3], 0 offset:540
	buffer_load_dword v160, off, s[0:3], 0 offset:516
	;; [unrolled: 1-line block ×3, first 2 shown]
	ds_read_b128 v[1:4], v188 offset:1248
	v_add_f64 v[139:140], v[139:140], v[165:166]
	v_add_f64 v[131:132], v[131:132], v[161:162]
	s_waitcnt vmcnt(58) lgkmcnt(1)
	v_mul_f64 v[165:166], v[7:8], v[177:178]
	s_waitcnt vmcnt(56)
	v_fma_f64 v[173:174], v[127:128], v[179:180], -v[172:173]
	v_mul_f64 v[161:162], v[5:6], v[177:178]
	v_add_f64 v[139:140], v[139:140], v[157:158]
	v_fma_f64 v[157:158], v[129:130], v[179:180], v[210:211]
	v_add_f64 v[131:132], v[131:132], v[153:154]
	s_clause 0x4
	buffer_load_dword v154, off, s[0:3], 0 offset:556
	buffer_load_dword v177, off, s[0:3], 0 offset:568
	;; [unrolled: 1-line block ×5, first 2 shown]
	s_waitcnt vmcnt(57) lgkmcnt(0)
	v_mul_f64 v[210:211], v[1:2], v[181:182]
	v_mul_f64 v[180:181], v[3:4], v[181:182]
	s_waitcnt vmcnt(56)
	v_fma_f64 v[165:166], v[5:6], v[167:168], -v[165:166]
	ds_read_b128 v[127:130], v188 offset:1264
	v_fma_f64 v[161:162], v[7:8], v[167:168], v[161:162]
	v_add_f64 v[139:140], v[139:140], v[173:174]
	v_add_f64 v[131:132], v[131:132], v[157:158]
	s_clause 0x2
	buffer_load_dword v178, off, s[0:3], 0 offset:572
	buffer_load_dword v158, off, s[0:3], 0 offset:548
	;; [unrolled: 1-line block ×3, first 2 shown]
	ds_read_b128 v[5:8], v188 offset:1280
	s_waitcnt vmcnt(58) lgkmcnt(1)
	v_mul_f64 v[173:174], v[129:130], v[183:184]
	s_waitcnt vmcnt(56)
	v_fma_f64 v[181:182], v[1:2], v[185:186], -v[180:181]
	v_mul_f64 v[167:168], v[127:128], v[183:184]
	v_add_f64 v[139:140], v[139:140], v[165:166]
	v_fma_f64 v[165:166], v[3:4], v[185:186], v[210:211]
	v_add_f64 v[131:132], v[131:132], v[161:162]
	s_clause 0x4
	buffer_load_dword v162, off, s[0:3], 0 offset:588
	buffer_load_dword v183, off, s[0:3], 0 offset:600
	;; [unrolled: 1-line block ×5, first 2 shown]
	s_waitcnt vmcnt(57) lgkmcnt(0)
	v_mul_f64 v[210:211], v[5:6], v[195:196]
	v_mul_f64 v[195:196], v[7:8], v[195:196]
	s_waitcnt vmcnt(56)
	v_fma_f64 v[173:174], v[127:128], v[175:176], -v[173:174]
	ds_read_b128 v[1:4], v188 offset:1296
	v_fma_f64 v[167:168], v[129:130], v[175:176], v[167:168]
	v_add_f64 v[139:140], v[139:140], v[181:182]
	v_add_f64 v[131:132], v[131:132], v[165:166]
	s_clause 0x2
	buffer_load_dword v184, off, s[0:3], 0 offset:604
	buffer_load_dword v166, off, s[0:3], 0 offset:580
	;; [unrolled: 1-line block ×3, first 2 shown]
	ds_read_b128 v[127:130], v188 offset:1312
	s_waitcnt vmcnt(58) lgkmcnt(1)
	v_mul_f64 v[181:182], v[3:4], v[197:198]
	v_mul_f64 v[175:176], v[1:2], v[197:198]
	s_waitcnt vmcnt(56)
	v_fma_f64 v[195:196], v[5:6], v[135:136], -v[195:196]
	v_fma_f64 v[135:136], v[7:8], v[135:136], v[210:211]
	v_add_f64 v[139:140], v[139:140], v[173:174]
	v_add_f64 v[131:132], v[131:132], v[167:168]
	s_clause 0x4
	buffer_load_dword v168, off, s[0:3], 0 offset:620
	buffer_load_dword v173, off, s[0:3], 0 offset:632
	;; [unrolled: 1-line block ×5, first 2 shown]
	ds_read_b128 v[5:8], v188 offset:1328
	s_waitcnt vmcnt(57) lgkmcnt(1)
	v_mul_f64 v[210:211], v[127:128], v[133:134]
	v_mul_f64 v[133:134], v[129:130], v[133:134]
	s_waitcnt vmcnt(56)
	v_fma_f64 v[181:182], v[1:2], v[199:200], -v[181:182]
	v_fma_f64 v[175:176], v[3:4], v[199:200], v[175:176]
	v_add_f64 v[139:140], v[139:140], v[195:196]
	v_add_f64 v[131:132], v[131:132], v[135:136]
	s_clause 0x2
	buffer_load_dword v174, off, s[0:3], 0 offset:636
	buffer_load_dword v136, off, s[0:3], 0 offset:612
	;; [unrolled: 1-line block ×3, first 2 shown]
	s_waitcnt vmcnt(58) lgkmcnt(0)
	v_mul_f64 v[199:200], v[7:8], v[201:202]
	ds_read_b128 v[1:4], v188 offset:1344
	v_mul_f64 v[195:196], v[5:6], v[201:202]
	s_waitcnt vmcnt(56)
	v_fma_f64 v[133:134], v[127:128], v[191:192], -v[133:134]
	v_add_f64 v[139:140], v[139:140], v[181:182]
	v_fma_f64 v[181:182], v[129:130], v[191:192], v[210:211]
	v_add_f64 v[131:132], v[131:132], v[175:176]
	s_clause 0x4
	buffer_load_dword v176, off, s[0:3], 0 offset:652
	buffer_load_dword v191, off, s[0:3], 0 offset:664
	;; [unrolled: 1-line block ×5, first 2 shown]
	ds_read_b128 v[127:130], v188 offset:1360
	s_waitcnt vmcnt(57) lgkmcnt(1)
	v_mul_f64 v[210:211], v[1:2], v[151:152]
	v_mul_f64 v[151:152], v[3:4], v[151:152]
	s_waitcnt vmcnt(56)
	v_fma_f64 v[199:200], v[5:6], v[206:207], -v[199:200]
	v_add_f64 v[133:134], v[139:140], v[133:134]
	v_fma_f64 v[139:140], v[7:8], v[206:207], v[195:196]
	v_add_f64 v[131:132], v[131:132], v[181:182]
	s_clause 0x2
	buffer_load_dword v192, off, s[0:3], 0 offset:668
	buffer_load_dword v182, off, s[0:3], 0 offset:644
	;; [unrolled: 1-line block ×3, first 2 shown]
	ds_read_b128 v[5:8], v188 offset:1376
	s_waitcnt vmcnt(58) lgkmcnt(1)
	v_mul_f64 v[195:196], v[127:128], v[193:194]
	v_mul_f64 v[193:194], v[129:130], v[193:194]
	s_waitcnt vmcnt(56)
	v_fma_f64 v[151:152], v[1:2], v[145:146], -v[151:152]
	v_fma_f64 v[145:146], v[3:4], v[145:146], v[210:211]
	v_add_f64 v[133:134], v[133:134], v[199:200]
	v_add_f64 v[131:132], v[131:132], v[139:140]
	s_clause 0x4
	buffer_load_dword v140, off, s[0:3], 0 offset:684
	buffer_load_dword v199, off, s[0:3], 0 offset:696
	;; [unrolled: 1-line block ×5, first 2 shown]
	ds_read_b128 v[1:4], v188 offset:1392
	s_waitcnt vmcnt(57) lgkmcnt(1)
	v_mul_f64 v[206:207], v[5:6], v[137:138]
	v_mul_f64 v[137:138], v[7:8], v[137:138]
	s_waitcnt vmcnt(56)
	v_fma_f64 v[193:194], v[127:128], v[208:209], -v[193:194]
	v_add_f64 v[133:134], v[133:134], v[151:152]
	v_fma_f64 v[151:152], v[129:130], v[208:209], v[195:196]
	v_add_f64 v[131:132], v[131:132], v[145:146]
	s_clause 0x2
	buffer_load_dword v200, off, s[0:3], 0 offset:700
	buffer_load_dword v146, off, s[0:3], 0 offset:676
	;; [unrolled: 1-line block ×3, first 2 shown]
	ds_read_b128 v[127:130], v188 offset:1408
	s_waitcnt vmcnt(58) lgkmcnt(1)
	v_mul_f64 v[195:196], v[1:2], v[155:156]
	v_mul_f64 v[155:156], v[3:4], v[155:156]
	s_waitcnt vmcnt(56)
	v_fma_f64 v[137:138], v[5:6], v[143:144], -v[137:138]
	v_fma_f64 v[143:144], v[7:8], v[143:144], v[206:207]
	v_add_f64 v[133:134], v[133:134], v[193:194]
	v_add_f64 v[131:132], v[131:132], v[151:152]
	s_clause 0x4
	buffer_load_dword v152, off, s[0:3], 0 offset:716
	buffer_load_dword v193, off, s[0:3], 0 offset:728
	;; [unrolled: 1-line block ×5, first 2 shown]
	ds_read_b128 v[5:8], v188 offset:1424
	s_waitcnt vmcnt(57) lgkmcnt(1)
	v_mul_f64 v[208:209], v[127:128], v[141:142]
	v_mul_f64 v[141:142], v[129:130], v[141:142]
	s_waitcnt vmcnt(56)
	v_fma_f64 v[155:156], v[1:2], v[203:204], -v[155:156]
	v_add_f64 v[133:134], v[133:134], v[137:138]
	v_fma_f64 v[137:138], v[3:4], v[203:204], v[195:196]
	v_add_f64 v[131:132], v[131:132], v[143:144]
	s_clause 0x2
	buffer_load_dword v194, off, s[0:3], 0 offset:732
	buffer_load_dword v144, off, s[0:3], 0 offset:708
	;; [unrolled: 1-line block ×3, first 2 shown]
	s_waitcnt vmcnt(58) lgkmcnt(0)
	v_mul_f64 v[195:196], v[5:6], v[163:164]
	v_mul_f64 v[163:164], v[7:8], v[163:164]
	ds_read_b128 v[1:4], v188 offset:1440
	s_waitcnt vmcnt(56)
	v_fma_f64 v[141:142], v[127:128], v[149:150], -v[141:142]
	v_fma_f64 v[149:150], v[129:130], v[149:150], v[208:209]
	v_add_f64 v[133:134], v[133:134], v[155:156]
	v_add_f64 v[131:132], v[131:132], v[137:138]
	s_clause 0x4
	buffer_load_dword v138, off, s[0:3], 0 offset:748
	buffer_load_dword v155, off, s[0:3], 0 offset:760
	;; [unrolled: 1-line block ×5, first 2 shown]
	ds_read_b128 v[127:130], v188 offset:1456
	s_waitcnt vmcnt(57) lgkmcnt(1)
	v_mul_f64 v[209:210], v[1:2], v[147:148]
	v_mul_f64 v[147:148], v[3:4], v[147:148]
	s_waitcnt vmcnt(56)
	v_fma_f64 v[163:164], v[5:6], v[189:190], -v[163:164]
	v_add_f64 v[133:134], v[133:134], v[141:142]
	v_fma_f64 v[141:142], v[7:8], v[189:190], v[195:196]
	v_add_f64 v[131:132], v[131:132], v[149:150]
	s_clause 0x2
	buffer_load_dword v156, off, s[0:3], 0 offset:764
	buffer_load_dword v150, off, s[0:3], 0 offset:740
	;; [unrolled: 1-line block ×3, first 2 shown]
	s_waitcnt vmcnt(58) lgkmcnt(0)
	v_mul_f64 v[189:190], v[127:128], v[169:170]
	v_mul_f64 v[169:170], v[129:130], v[169:170]
	ds_read_b128 v[5:8], v188 offset:1472
	s_waitcnt vmcnt(56)
	v_fma_f64 v[147:148], v[1:2], v[159:160], -v[147:148]
	v_fma_f64 v[159:160], v[3:4], v[159:160], v[209:210]
	v_add_f64 v[133:134], v[133:134], v[163:164]
	v_add_f64 v[131:132], v[131:132], v[141:142]
	s_clause 0x4
	buffer_load_dword v142, off, s[0:3], 0 offset:780
	buffer_load_dword v163, off, s[0:3], 0 offset:792
	buffer_load_dword v195, off, s[0:3], 0 offset:784
	buffer_load_dword v141, off, s[0:3], 0 offset:776
	buffer_load_dword v204, off, s[0:3], 0 offset:756
	ds_read_b128 v[1:4], v188 offset:1488
	s_waitcnt vmcnt(57) lgkmcnt(1)
	v_mul_f64 v[209:210], v[5:6], v[153:154]
	v_mul_f64 v[153:154], v[7:8], v[153:154]
	s_waitcnt vmcnt(56)
	v_fma_f64 v[169:170], v[127:128], v[171:172], -v[169:170]
	v_add_f64 v[133:134], v[133:134], v[147:148]
	v_fma_f64 v[147:148], v[129:130], v[171:172], v[189:190]
	v_add_f64 v[131:132], v[131:132], v[159:160]
	s_clause 0x2
	buffer_load_dword v164, off, s[0:3], 0 offset:796
	buffer_load_dword v160, off, s[0:3], 0 offset:772
	buffer_load_dword v159, off, s[0:3], 0 offset:768
	ds_read_b128 v[127:130], v188 offset:1504
	s_waitcnt vmcnt(58) lgkmcnt(1)
	v_mul_f64 v[171:172], v[1:2], v[177:178]
	v_mul_f64 v[177:178], v[3:4], v[177:178]
	s_waitcnt vmcnt(56)
	v_fma_f64 v[153:154], v[5:6], v[157:158], -v[153:154]
	v_fma_f64 v[157:158], v[7:8], v[157:158], v[209:210]
	v_add_f64 v[133:134], v[133:134], v[169:170]
	v_add_f64 v[131:132], v[131:132], v[147:148]
	s_clause 0x4
	buffer_load_dword v148, off, s[0:3], 0 offset:812
	buffer_load_dword v169, off, s[0:3], 0 offset:824
	buffer_load_dword v189, off, s[0:3], 0 offset:816
	buffer_load_dword v147, off, s[0:3], 0 offset:808
	buffer_load_dword v196, off, s[0:3], 0 offset:788
	ds_read_b128 v[5:8], v188 offset:1520
	s_waitcnt vmcnt(57) lgkmcnt(1)
	v_mul_f64 v[209:210], v[127:128], v[161:162]
	v_mul_f64 v[161:162], v[129:130], v[161:162]
	s_waitcnt vmcnt(56)
	v_fma_f64 v[177:178], v[1:2], v[179:180], -v[177:178]
	v_add_f64 v[133:134], v[133:134], v[153:154]
	v_fma_f64 v[153:154], v[3:4], v[179:180], v[171:172]
	v_add_f64 v[131:132], v[131:132], v[157:158]
	s_clause 0x2
	buffer_load_dword v170, off, s[0:3], 0 offset:828
	buffer_load_dword v158, off, s[0:3], 0 offset:804
	buffer_load_dword v157, off, s[0:3], 0 offset:800
	ds_read_b128 v[1:4], v188 offset:1536
	s_waitcnt vmcnt(58) lgkmcnt(1)
	v_mul_f64 v[179:180], v[7:8], v[183:184]
	v_mul_f64 v[171:172], v[5:6], v[183:184]
	;; [unrolled: 28-line block ×4, first 2 shown]
	s_waitcnt vmcnt(56)
	v_fma_f64 v[175:176], v[5:6], v[181:182], -v[175:176]
	v_add_f64 v[133:134], v[133:134], v[173:174]
	v_fma_f64 v[173:174], v[7:8], v[181:182], v[209:210]
	v_add_f64 v[131:132], v[131:132], v[167:168]
	s_clause 0x4
	buffer_load_dword v168, off, s[0:3], 0 offset:908
	buffer_load_dword v181, off, s[0:3], 0 offset:920
	;; [unrolled: 1-line block ×5, first 2 shown]
	ds_read_b128 v[5:8], v188 offset:1616
	s_waitcnt vmcnt(57) lgkmcnt(1)
	v_mul_f64 v[209:210], v[127:128], v[139:140]
	v_mul_f64 v[139:140], v[129:130], v[139:140]
	s_waitcnt vmcnt(56)
	v_fma_f64 v[191:192], v[1:2], v[201:202], -v[191:192]
	v_fma_f64 v[171:172], v[3:4], v[201:202], v[171:172]
	v_add_f64 v[133:134], v[133:134], v[175:176]
	v_add_f64 v[131:132], v[131:132], v[173:174]
	s_clause 0x2
	buffer_load_dword v182, off, s[0:3], 0 offset:924
	buffer_load_dword v174, off, s[0:3], 0 offset:900
	;; [unrolled: 1-line block ×3, first 2 shown]
	ds_read_b128 v[1:4], v188 offset:1632
	s_waitcnt vmcnt(58) lgkmcnt(1)
	v_mul_f64 v[175:176], v[5:6], v[199:200]
	v_mul_f64 v[199:200], v[7:8], v[199:200]
	s_waitcnt vmcnt(56)
	v_fma_f64 v[139:140], v[127:128], v[145:146], -v[139:140]
	v_fma_f64 v[145:146], v[129:130], v[145:146], v[209:210]
	v_add_f64 v[133:134], v[133:134], v[191:192]
	v_add_f64 v[131:132], v[131:132], v[171:172]
	s_clause 0x4
	buffer_load_dword v172, off, s[0:3], 0 offset:940
	buffer_load_dword v191, off, s[0:3], 0 offset:952
	buffer_load_dword v201, off, s[0:3], 0 offset:944
	buffer_load_dword v171, off, s[0:3], 0 offset:936
	buffer_load_dword v198, off, s[0:3], 0 offset:916
	ds_read_b128 v[127:130], v188 offset:1648
	s_waitcnt vmcnt(57) lgkmcnt(1)
	v_mul_f64 v[209:210], v[1:2], v[151:152]
	v_mul_f64 v[151:152], v[3:4], v[151:152]
	s_waitcnt vmcnt(56)
	v_fma_f64 v[199:200], v[5:6], v[205:206], -v[199:200]
	v_add_f64 v[133:134], v[133:134], v[139:140]
	v_fma_f64 v[139:140], v[7:8], v[205:206], v[175:176]
	v_add_f64 v[131:132], v[131:132], v[145:146]
	s_clause 0x2
	buffer_load_dword v192, off, s[0:3], 0 offset:956
	buffer_load_dword v146, off, s[0:3], 0 offset:932
	;; [unrolled: 1-line block ×3, first 2 shown]
	ds_read_b128 v[5:8], v188 offset:1664
	buffer_load_dword v202, off, s[0:3], 0 offset:948
	s_waitcnt vmcnt(59) lgkmcnt(1)
	v_mul_f64 v[175:176], v[127:128], v[193:194]
	v_mul_f64 v[193:194], v[129:130], v[193:194]
	s_waitcnt vmcnt(57)
	v_fma_f64 v[151:152], v[1:2], v[143:144], -v[151:152]
	v_fma_f64 v[143:144], v[3:4], v[143:144], v[209:210]
	ds_read_b128 v[1:4], v188 offset:1680
	v_add_f64 v[133:134], v[133:134], v[199:200]
	v_add_f64 v[131:132], v[131:132], v[139:140]
	s_waitcnt vmcnt(53) lgkmcnt(1)
	v_mul_f64 v[139:140], v[5:6], v[137:138]
	v_mul_f64 v[137:138], v[7:8], v[137:138]
	s_waitcnt vmcnt(52)
	v_fma_f64 v[193:194], v[127:128], v[207:208], -v[193:194]
	v_add_f64 v[133:134], v[133:134], v[151:152]
	v_fma_f64 v[151:152], v[129:130], v[207:208], v[175:176]
	v_add_f64 v[131:132], v[131:132], v[143:144]
	ds_read_b128 v[127:130], v188 offset:1696
	s_waitcnt vmcnt(51) lgkmcnt(1)
	v_mul_f64 v[143:144], v[1:2], v[155:156]
	v_mul_f64 v[155:156], v[3:4], v[155:156]
	s_waitcnt vmcnt(49)
	v_fma_f64 v[137:138], v[5:6], v[149:150], -v[137:138]
	v_fma_f64 v[139:140], v[7:8], v[149:150], v[139:140]
	v_add_f64 v[133:134], v[133:134], v[193:194]
	v_add_f64 v[131:132], v[131:132], v[151:152]
	s_clause 0x3
	buffer_load_dword v149, off, s[0:3], 0 offset:96
	buffer_load_dword v150, off, s[0:3], 0 offset:100
	;; [unrolled: 1-line block ×4, first 2 shown]
	ds_read_b128 v[5:8], v188 offset:1712
	s_waitcnt vmcnt(49) lgkmcnt(1)
	v_mul_f64 v[175:176], v[127:128], v[141:142]
	v_mul_f64 v[141:142], v[129:130], v[141:142]
	s_waitcnt vmcnt(48)
	v_fma_f64 v[155:156], v[1:2], v[203:204], -v[155:156]
	v_add_f64 v[133:134], v[133:134], v[137:138]
	v_fma_f64 v[137:138], v[3:4], v[203:204], v[143:144]
	v_add_f64 v[131:132], v[131:132], v[139:140]
	ds_read_b128 v[1:4], v188 offset:1728
	s_waitcnt vmcnt(47) lgkmcnt(1)
	v_mul_f64 v[143:144], v[7:8], v[163:164]
	v_mul_f64 v[139:140], v[5:6], v[163:164]
	s_waitcnt vmcnt(45)
	v_fma_f64 v[141:142], v[127:128], v[159:160], -v[141:142]
	v_add_f64 v[133:134], v[133:134], v[155:156]
	v_fma_f64 v[155:156], v[129:130], v[159:160], v[175:176]
	v_add_f64 v[131:132], v[131:132], v[137:138]
	ds_read_b128 v[127:130], v188 offset:1744
	s_waitcnt vmcnt(41) lgkmcnt(1)
	v_mul_f64 v[137:138], v[1:2], v[147:148]
	v_mul_f64 v[147:148], v[3:4], v[147:148]
	s_waitcnt vmcnt(40)
	v_fma_f64 v[143:144], v[5:6], v[195:196], -v[143:144]
	v_fma_f64 v[139:140], v[7:8], v[195:196], v[139:140]
	ds_read_b128 v[5:8], v188 offset:1760
	v_add_f64 v[133:134], v[133:134], v[141:142]
	v_add_f64 v[131:132], v[131:132], v[155:156]
	s_waitcnt vmcnt(39) lgkmcnt(1)
	v_mul_f64 v[155:156], v[129:130], v[169:170]
	v_mul_f64 v[141:142], v[127:128], v[169:170]
	s_waitcnt vmcnt(37)
	v_fma_f64 v[147:148], v[1:2], v[157:158], -v[147:148]
	v_fma_f64 v[137:138], v[3:4], v[157:158], v[137:138]
	ds_read_b128 v[1:4], v188 offset:1776
	v_add_f64 v[133:134], v[133:134], v[143:144]
	v_add_f64 v[131:132], v[131:132], v[139:140]
	s_waitcnt vmcnt(33) lgkmcnt(1)
	v_mul_f64 v[139:140], v[5:6], v[153:154]
	v_mul_f64 v[143:144], v[7:8], v[153:154]
	s_waitcnt vmcnt(32)
	v_fma_f64 v[153:154], v[127:128], v[189:190], -v[155:156]
	v_fma_f64 v[141:142], v[129:130], v[189:190], v[141:142]
	ds_read_b128 v[127:130], v188 offset:1792
	v_add_f64 v[133:134], v[133:134], v[147:148]
	v_add_f64 v[131:132], v[131:132], v[137:138]
	s_waitcnt vmcnt(31) lgkmcnt(1)
	v_mul_f64 v[147:148], v[3:4], v[177:178]
	v_mul_f64 v[137:138], v[1:2], v[177:178]
	s_waitcnt vmcnt(29)
	v_fma_f64 v[143:144], v[5:6], v[165:166], -v[143:144]
	v_fma_f64 v[139:140], v[7:8], v[165:166], v[139:140]
	ds_read_b128 v[5:8], v188 offset:1808
	v_add_f64 v[133:134], v[133:134], v[153:154]
	v_add_f64 v[131:132], v[131:132], v[141:142]
	s_waitcnt vmcnt(25) lgkmcnt(1)
	v_mul_f64 v[153:154], v[129:130], v[161:162]
	s_waitcnt vmcnt(24)
	v_fma_f64 v[147:148], v[1:2], v[183:184], -v[147:148]
	v_mul_f64 v[141:142], v[127:128], v[161:162]
	v_fma_f64 v[137:138], v[3:4], v[183:184], v[137:138]
	ds_read_b128 v[1:4], v188 offset:1824
	v_add_f64 v[133:134], v[133:134], v[143:144]
	v_add_f64 v[131:132], v[131:132], v[139:140]
	s_waitcnt vmcnt(23) lgkmcnt(1)
	v_mul_f64 v[143:144], v[7:8], v[179:180]
	v_mul_f64 v[139:140], v[5:6], v[179:180]
	s_waitcnt vmcnt(21)
	v_fma_f64 v[153:154], v[127:128], v[135:136], -v[153:154]
	v_fma_f64 v[135:136], v[129:130], v[135:136], v[141:142]
	ds_read_b128 v[127:130], v188 offset:1840
	v_add_f64 v[133:134], v[133:134], v[147:148]
	v_add_f64 v[131:132], v[131:132], v[137:138]
	s_waitcnt vmcnt(17) lgkmcnt(1)
	v_mul_f64 v[141:142], v[3:4], v[167:168]
	s_waitcnt vmcnt(16)
	v_fma_f64 v[143:144], v[5:6], v[185:186], -v[143:144]
	v_mul_f64 v[137:138], v[1:2], v[167:168]
	v_fma_f64 v[139:140], v[7:8], v[185:186], v[139:140]
	ds_read_b128 v[5:8], v188 offset:1856
	v_add_f64 v[133:134], v[133:134], v[153:154]
	v_add_f64 v[131:132], v[131:132], v[135:136]
	s_waitcnt vmcnt(15) lgkmcnt(1)
	v_mul_f64 v[147:148], v[129:130], v[181:182]
	v_mul_f64 v[135:136], v[127:128], v[181:182]
	s_waitcnt vmcnt(13)
	v_fma_f64 v[141:142], v[1:2], v[173:174], -v[141:142]
	v_fma_f64 v[137:138], v[3:4], v[173:174], v[137:138]
	ds_read_b128 v[1:4], v188 offset:1872
	v_add_f64 v[133:134], v[133:134], v[143:144]
	v_add_f64 v[131:132], v[131:132], v[139:140]
	s_waitcnt vmcnt(9) lgkmcnt(1)
	v_mul_f64 v[143:144], v[7:8], v[171:172]
	s_waitcnt vmcnt(8)
	v_fma_f64 v[127:128], v[127:128], v[197:198], -v[147:148]
	v_mul_f64 v[139:140], v[5:6], v[171:172]
	v_fma_f64 v[129:130], v[129:130], v[197:198], v[135:136]
	v_add_f64 v[133:134], v[133:134], v[141:142]
	v_add_f64 v[131:132], v[131:132], v[137:138]
	s_waitcnt vmcnt(7) lgkmcnt(0)
	v_mul_f64 v[137:138], v[3:4], v[191:192]
	v_mul_f64 v[135:136], v[1:2], v[191:192]
	s_waitcnt vmcnt(5)
	v_fma_f64 v[5:6], v[5:6], v[145:146], -v[143:144]
	v_fma_f64 v[7:8], v[7:8], v[145:146], v[139:140]
	v_add_f64 v[127:128], v[133:134], v[127:128]
	v_add_f64 v[129:130], v[131:132], v[129:130]
	s_waitcnt vmcnt(4)
	v_fma_f64 v[1:2], v[1:2], v[201:202], -v[137:138]
	v_fma_f64 v[3:4], v[3:4], v[201:202], v[135:136]
	v_add_f64 v[5:6], v[127:128], v[5:6]
	v_add_f64 v[7:8], v[129:130], v[7:8]
	;; [unrolled: 1-line block ×4, first 2 shown]
	s_waitcnt vmcnt(2)
	v_add_f64 v[1:2], v[149:150], -v[1:2]
	s_waitcnt vmcnt(0)
	v_add_f64 v[3:4], v[151:152], -v[3:4]
	buffer_store_dword v2, off, s[0:3], 0 offset:100
	buffer_store_dword v1, off, s[0:3], 0 offset:96
	;; [unrolled: 1-line block ×4, first 2 shown]
	v_cmpx_lt_u32_e32 4, v0
	s_cbranch_execz .LBB122_359
; %bb.358:
	v_mov_b32_e32 v4, s67
	s_clause 0x3
	buffer_load_dword v1, v4, s[0:3], 0 offen
	buffer_load_dword v2, v4, s[0:3], 0 offen offset:4
	buffer_load_dword v3, v4, s[0:3], 0 offen offset:8
	;; [unrolled: 1-line block ×3, first 2 shown]
	buffer_store_dword v188, off, s[0:3], 0 offset:80
	buffer_store_dword v188, off, s[0:3], 0 offset:84
	;; [unrolled: 1-line block ×4, first 2 shown]
	s_waitcnt vmcnt(0)
	ds_write_b128 v187, v[1:4]
.LBB122_359:
	s_or_b32 exec_lo, exec_lo, s4
	s_waitcnt lgkmcnt(0)
	s_waitcnt_vscnt null, 0x0
	s_barrier
	buffer_gl0_inv
	s_clause 0x37
	buffer_load_dword v135, off, s[0:3], 0 offset:104
	buffer_load_dword v136, off, s[0:3], 0 offset:108
	buffer_load_dword v131, off, s[0:3], 0 offset:120
	buffer_load_dword v132, off, s[0:3], 0 offset:124
	buffer_load_dword v133, off, s[0:3], 0 offset:96
	buffer_load_dword v134, off, s[0:3], 0 offset:100
	buffer_load_dword v129, off, s[0:3], 0 offset:136
	buffer_load_dword v130, off, s[0:3], 0 offset:140
	buffer_load_dword v127, off, s[0:3], 0 offset:112
	buffer_load_dword v128, off, s[0:3], 0 offset:116
	buffer_load_dword v140, off, s[0:3], 0 offset:156
	buffer_load_dword v143, off, s[0:3], 0 offset:168
	buffer_load_dword v137, off, s[0:3], 0 offset:160
	buffer_load_dword v139, off, s[0:3], 0 offset:152
	buffer_load_dword v151, off, s[0:3], 0 offset:128
	buffer_load_dword v152, off, s[0:3], 0 offset:132
	buffer_load_dword v144, off, s[0:3], 0 offset:172
	buffer_load_dword v146, off, s[0:3], 0 offset:148
	buffer_load_dword v145, off, s[0:3], 0 offset:144
	buffer_load_dword v148, off, s[0:3], 0 offset:188
	buffer_load_dword v153, off, s[0:3], 0 offset:200
	buffer_load_dword v141, off, s[0:3], 0 offset:192
	buffer_load_dword v147, off, s[0:3], 0 offset:184
	buffer_load_dword v138, off, s[0:3], 0 offset:164
	buffer_load_dword v154, off, s[0:3], 0 offset:204
	buffer_load_dword v156, off, s[0:3], 0 offset:180
	buffer_load_dword v155, off, s[0:3], 0 offset:176
	buffer_load_dword v158, off, s[0:3], 0 offset:220
	buffer_load_dword v161, off, s[0:3], 0 offset:232
	buffer_load_dword v149, off, s[0:3], 0 offset:224
	buffer_load_dword v157, off, s[0:3], 0 offset:216
	buffer_load_dword v142, off, s[0:3], 0 offset:196
	buffer_load_dword v162, off, s[0:3], 0 offset:236
	buffer_load_dword v164, off, s[0:3], 0 offset:212
	buffer_load_dword v163, off, s[0:3], 0 offset:208
	buffer_load_dword v166, off, s[0:3], 0 offset:252
	buffer_load_dword v169, off, s[0:3], 0 offset:264
	buffer_load_dword v159, off, s[0:3], 0 offset:256
	buffer_load_dword v165, off, s[0:3], 0 offset:248
	buffer_load_dword v150, off, s[0:3], 0 offset:228
	buffer_load_dword v170, off, s[0:3], 0 offset:268
	buffer_load_dword v172, off, s[0:3], 0 offset:244
	buffer_load_dword v171, off, s[0:3], 0 offset:240
	buffer_load_dword v174, off, s[0:3], 0 offset:284
	buffer_load_dword v177, off, s[0:3], 0 offset:296
	buffer_load_dword v167, off, s[0:3], 0 offset:288
	buffer_load_dword v173, off, s[0:3], 0 offset:280
	buffer_load_dword v160, off, s[0:3], 0 offset:260
	buffer_load_dword v178, off, s[0:3], 0 offset:300
	buffer_load_dword v180, off, s[0:3], 0 offset:276
	buffer_load_dword v179, off, s[0:3], 0 offset:272
	buffer_load_dword v182, off, s[0:3], 0 offset:316
	buffer_load_dword v183, off, s[0:3], 0 offset:328
	buffer_load_dword v175, off, s[0:3], 0 offset:320
	buffer_load_dword v181, off, s[0:3], 0 offset:312
	buffer_load_dword v168, off, s[0:3], 0 offset:292
	ds_read_b128 v[5:8], v188 offset:1024
	s_clause 0x2
	buffer_load_dword v184, off, s[0:3], 0 offset:332
	buffer_load_dword v186, off, s[0:3], 0 offset:308
	;; [unrolled: 1-line block ×3, first 2 shown]
	ds_read_b128 v[1:4], v188 offset:1040
	s_clause 0x4
	buffer_load_dword v196, off, s[0:3], 0 offset:348
	buffer_load_dword v197, off, s[0:3], 0 offset:360
	;; [unrolled: 1-line block ×5, first 2 shown]
	ds_read_b128 v[189:192], v188 offset:1056
	s_mov_b32 s4, exec_lo
	s_waitcnt vmcnt(62) lgkmcnt(2)
	v_mul_f64 v[193:194], v[7:8], v[135:136]
	v_mul_f64 v[135:136], v[5:6], v[135:136]
	s_waitcnt vmcnt(60) lgkmcnt(1)
	v_mul_f64 v[200:201], v[3:4], v[131:132]
	v_mul_f64 v[131:132], v[1:2], v[131:132]
	;; [unrolled: 3-line block ×3, first 2 shown]
	v_fma_f64 v[193:194], v[5:6], v[133:134], -v[193:194]
	v_fma_f64 v[133:134], v[7:8], v[133:134], v[135:136]
	s_clause 0x2
	buffer_load_dword v198, off, s[0:3], 0 offset:364
	buffer_load_dword v136, off, s[0:3], 0 offset:340
	;; [unrolled: 1-line block ×3, first 2 shown]
	s_waitcnt vmcnt(57)
	v_fma_f64 v[204:205], v[1:2], v[127:128], -v[200:201]
	ds_read_b128 v[5:8], v188 offset:1072
	v_fma_f64 v[127:128], v[3:4], v[127:128], v[131:132]
	s_waitcnt vmcnt(51)
	v_fma_f64 v[189:190], v[189:190], v[151:152], -v[129:130]
	v_fma_f64 v[151:152], v[191:192], v[151:152], v[202:203]
	v_add_f64 v[193:194], v[193:194], 0
	v_add_f64 v[131:132], v[133:134], 0
	s_clause 0x4
	buffer_load_dword v134, off, s[0:3], 0 offset:380
	buffer_load_dword v201, off, s[0:3], 0 offset:392
	buffer_load_dword v206, off, s[0:3], 0 offset:384
	buffer_load_dword v133, off, s[0:3], 0 offset:376
	buffer_load_dword v200, off, s[0:3], 0 offset:356
	s_waitcnt lgkmcnt(0)
	v_mul_f64 v[207:208], v[5:6], v[139:140]
	v_mul_f64 v[139:140], v[7:8], v[139:140]
	ds_read_b128 v[1:4], v188 offset:1088
	s_clause 0x2
	buffer_load_dword v202, off, s[0:3], 0 offset:396
	buffer_load_dword v192, off, s[0:3], 0 offset:372
	;; [unrolled: 1-line block ×3, first 2 shown]
	v_add_f64 v[193:194], v[193:194], v[204:205]
	v_add_f64 v[131:132], v[131:132], v[127:128]
	ds_read_b128 v[127:130], v188 offset:1104
	s_waitcnt vmcnt(58) lgkmcnt(1)
	v_mul_f64 v[203:204], v[1:2], v[143:144]
	v_mul_f64 v[143:144], v[3:4], v[143:144]
	s_waitcnt vmcnt(56)
	v_fma_f64 v[139:140], v[5:6], v[145:146], -v[139:140]
	v_fma_f64 v[145:146], v[7:8], v[145:146], v[207:208]
	s_waitcnt vmcnt(52) lgkmcnt(0)
	v_mul_f64 v[209:210], v[127:128], v[147:148]
	v_add_f64 v[189:190], v[193:194], v[189:190]
	v_add_f64 v[131:132], v[131:132], v[151:152]
	s_clause 0x4
	buffer_load_dword v152, off, s[0:3], 0 offset:412
	buffer_load_dword v193, off, s[0:3], 0 offset:424
	;; [unrolled: 1-line block ×5, first 2 shown]
	v_mul_f64 v[147:148], v[129:130], v[147:148]
	s_waitcnt vmcnt(56)
	v_fma_f64 v[143:144], v[1:2], v[137:138], -v[143:144]
	ds_read_b128 v[5:8], v188 offset:1120
	v_fma_f64 v[137:138], v[3:4], v[137:138], v[203:204]
	v_add_f64 v[139:140], v[189:190], v[139:140]
	v_add_f64 v[131:132], v[131:132], v[145:146]
	s_clause 0x2
	buffer_load_dword v194, off, s[0:3], 0 offset:428
	buffer_load_dword v146, off, s[0:3], 0 offset:404
	;; [unrolled: 1-line block ×3, first 2 shown]
	s_waitcnt vmcnt(58) lgkmcnt(0)
	v_mul_f64 v[189:190], v[5:6], v[153:154]
	v_mul_f64 v[153:154], v[7:8], v[153:154]
	s_waitcnt vmcnt(56)
	v_fma_f64 v[147:148], v[127:128], v[155:156], -v[147:148]
	ds_read_b128 v[1:4], v188 offset:1136
	v_add_f64 v[139:140], v[139:140], v[143:144]
	v_fma_f64 v[143:144], v[129:130], v[155:156], v[209:210]
	v_add_f64 v[131:132], v[131:132], v[137:138]
	s_clause 0x4
	buffer_load_dword v138, off, s[0:3], 0 offset:444
	buffer_load_dword v155, off, s[0:3], 0 offset:456
	;; [unrolled: 1-line block ×5, first 2 shown]
	s_waitcnt vmcnt(57) lgkmcnt(0)
	v_mul_f64 v[204:205], v[1:2], v[157:158]
	v_mul_f64 v[157:158], v[3:4], v[157:158]
	s_waitcnt vmcnt(56)
	v_fma_f64 v[153:154], v[5:6], v[141:142], -v[153:154]
	ds_read_b128 v[127:130], v188 offset:1152
	v_fma_f64 v[141:142], v[7:8], v[141:142], v[189:190]
	v_add_f64 v[139:140], v[139:140], v[147:148]
	v_add_f64 v[131:132], v[131:132], v[143:144]
	s_clause 0x2
	buffer_load_dword v156, off, s[0:3], 0 offset:460
	buffer_load_dword v144, off, s[0:3], 0 offset:436
	;; [unrolled: 1-line block ×3, first 2 shown]
	ds_read_b128 v[5:8], v188 offset:1168
	s_waitcnt vmcnt(58) lgkmcnt(1)
	v_mul_f64 v[147:148], v[127:128], v[161:162]
	v_mul_f64 v[161:162], v[129:130], v[161:162]
	s_waitcnt vmcnt(56)
	v_fma_f64 v[157:158], v[1:2], v[163:164], -v[157:158]
	v_add_f64 v[139:140], v[139:140], v[153:154]
	v_fma_f64 v[153:154], v[3:4], v[163:164], v[204:205]
	v_add_f64 v[131:132], v[131:132], v[141:142]
	s_clause 0x4
	buffer_load_dword v142, off, s[0:3], 0 offset:476
	buffer_load_dword v163, off, s[0:3], 0 offset:488
	;; [unrolled: 1-line block ×5, first 2 shown]
	s_waitcnt vmcnt(57) lgkmcnt(0)
	v_mul_f64 v[210:211], v[5:6], v[165:166]
	v_mul_f64 v[165:166], v[7:8], v[165:166]
	s_waitcnt vmcnt(56)
	v_fma_f64 v[161:162], v[127:128], v[149:150], -v[161:162]
	ds_read_b128 v[1:4], v188 offset:1184
	v_fma_f64 v[147:148], v[129:130], v[149:150], v[147:148]
	s_clause 0x2
	buffer_load_dword v164, off, s[0:3], 0 offset:492
	buffer_load_dword v150, off, s[0:3], 0 offset:468
	;; [unrolled: 1-line block ×3, first 2 shown]
	ds_read_b128 v[127:130], v188 offset:1200
	v_add_f64 v[139:140], v[139:140], v[157:158]
	v_add_f64 v[131:132], v[131:132], v[153:154]
	s_waitcnt vmcnt(58) lgkmcnt(1)
	v_mul_f64 v[157:158], v[3:4], v[169:170]
	s_waitcnt vmcnt(56)
	v_fma_f64 v[165:166], v[5:6], v[171:172], -v[165:166]
	v_mul_f64 v[153:154], v[1:2], v[169:170]
	v_add_f64 v[139:140], v[139:140], v[161:162]
	v_fma_f64 v[161:162], v[7:8], v[171:172], v[210:211]
	v_add_f64 v[131:132], v[131:132], v[147:148]
	s_clause 0x4
	buffer_load_dword v148, off, s[0:3], 0 offset:508
	buffer_load_dword v169, off, s[0:3], 0 offset:520
	;; [unrolled: 1-line block ×5, first 2 shown]
	s_waitcnt vmcnt(57) lgkmcnt(0)
	v_mul_f64 v[210:211], v[127:128], v[173:174]
	v_mul_f64 v[172:173], v[129:130], v[173:174]
	s_waitcnt vmcnt(56)
	v_fma_f64 v[157:158], v[1:2], v[159:160], -v[157:158]
	ds_read_b128 v[5:8], v188 offset:1216
	v_fma_f64 v[153:154], v[3:4], v[159:160], v[153:154]
	s_clause 0x2
	buffer_load_dword v170, off, s[0:3], 0 offset:524
	buffer_load_dword v160, off, s[0:3], 0 offset:500
	;; [unrolled: 1-line block ×3, first 2 shown]
	ds_read_b128 v[1:4], v188 offset:1232
	v_add_f64 v[139:140], v[139:140], v[165:166]
	v_add_f64 v[131:132], v[131:132], v[161:162]
	s_waitcnt vmcnt(58) lgkmcnt(1)
	v_mul_f64 v[165:166], v[7:8], v[177:178]
	s_waitcnt vmcnt(56)
	v_fma_f64 v[173:174], v[127:128], v[179:180], -v[172:173]
	v_mul_f64 v[161:162], v[5:6], v[177:178]
	v_add_f64 v[139:140], v[139:140], v[157:158]
	v_fma_f64 v[157:158], v[129:130], v[179:180], v[210:211]
	v_add_f64 v[131:132], v[131:132], v[153:154]
	s_clause 0x4
	buffer_load_dword v154, off, s[0:3], 0 offset:540
	buffer_load_dword v177, off, s[0:3], 0 offset:552
	;; [unrolled: 1-line block ×5, first 2 shown]
	s_waitcnt vmcnt(57) lgkmcnt(0)
	v_mul_f64 v[210:211], v[1:2], v[181:182]
	v_mul_f64 v[180:181], v[3:4], v[181:182]
	s_waitcnt vmcnt(56)
	v_fma_f64 v[165:166], v[5:6], v[167:168], -v[165:166]
	ds_read_b128 v[127:130], v188 offset:1248
	v_fma_f64 v[161:162], v[7:8], v[167:168], v[161:162]
	v_add_f64 v[139:140], v[139:140], v[173:174]
	v_add_f64 v[131:132], v[131:132], v[157:158]
	s_clause 0x2
	buffer_load_dword v178, off, s[0:3], 0 offset:556
	buffer_load_dword v158, off, s[0:3], 0 offset:532
	;; [unrolled: 1-line block ×3, first 2 shown]
	ds_read_b128 v[5:8], v188 offset:1264
	s_waitcnt vmcnt(58) lgkmcnt(1)
	v_mul_f64 v[173:174], v[129:130], v[183:184]
	s_waitcnt vmcnt(56)
	v_fma_f64 v[181:182], v[1:2], v[185:186], -v[180:181]
	v_mul_f64 v[167:168], v[127:128], v[183:184]
	v_add_f64 v[139:140], v[139:140], v[165:166]
	v_fma_f64 v[165:166], v[3:4], v[185:186], v[210:211]
	v_add_f64 v[131:132], v[131:132], v[161:162]
	s_clause 0x4
	buffer_load_dword v162, off, s[0:3], 0 offset:572
	buffer_load_dword v183, off, s[0:3], 0 offset:584
	;; [unrolled: 1-line block ×5, first 2 shown]
	s_waitcnt vmcnt(57) lgkmcnt(0)
	v_mul_f64 v[210:211], v[5:6], v[195:196]
	v_mul_f64 v[195:196], v[7:8], v[195:196]
	s_waitcnt vmcnt(56)
	v_fma_f64 v[173:174], v[127:128], v[175:176], -v[173:174]
	ds_read_b128 v[1:4], v188 offset:1280
	v_fma_f64 v[167:168], v[129:130], v[175:176], v[167:168]
	v_add_f64 v[139:140], v[139:140], v[181:182]
	v_add_f64 v[131:132], v[131:132], v[165:166]
	s_clause 0x2
	buffer_load_dword v184, off, s[0:3], 0 offset:588
	buffer_load_dword v166, off, s[0:3], 0 offset:564
	;; [unrolled: 1-line block ×3, first 2 shown]
	ds_read_b128 v[127:130], v188 offset:1296
	s_waitcnt vmcnt(58) lgkmcnt(1)
	v_mul_f64 v[181:182], v[3:4], v[197:198]
	v_mul_f64 v[175:176], v[1:2], v[197:198]
	s_waitcnt vmcnt(56)
	v_fma_f64 v[195:196], v[5:6], v[135:136], -v[195:196]
	v_fma_f64 v[135:136], v[7:8], v[135:136], v[210:211]
	v_add_f64 v[139:140], v[139:140], v[173:174]
	v_add_f64 v[131:132], v[131:132], v[167:168]
	s_clause 0x4
	buffer_load_dword v168, off, s[0:3], 0 offset:604
	buffer_load_dword v173, off, s[0:3], 0 offset:616
	;; [unrolled: 1-line block ×5, first 2 shown]
	ds_read_b128 v[5:8], v188 offset:1312
	s_waitcnt vmcnt(57) lgkmcnt(1)
	v_mul_f64 v[210:211], v[127:128], v[133:134]
	v_mul_f64 v[133:134], v[129:130], v[133:134]
	s_waitcnt vmcnt(56)
	v_fma_f64 v[181:182], v[1:2], v[199:200], -v[181:182]
	v_fma_f64 v[175:176], v[3:4], v[199:200], v[175:176]
	v_add_f64 v[139:140], v[139:140], v[195:196]
	v_add_f64 v[131:132], v[131:132], v[135:136]
	s_clause 0x2
	buffer_load_dword v174, off, s[0:3], 0 offset:620
	buffer_load_dword v136, off, s[0:3], 0 offset:596
	;; [unrolled: 1-line block ×3, first 2 shown]
	s_waitcnt vmcnt(58) lgkmcnt(0)
	v_mul_f64 v[199:200], v[7:8], v[201:202]
	ds_read_b128 v[1:4], v188 offset:1328
	v_mul_f64 v[195:196], v[5:6], v[201:202]
	s_waitcnt vmcnt(56)
	v_fma_f64 v[133:134], v[127:128], v[191:192], -v[133:134]
	v_add_f64 v[139:140], v[139:140], v[181:182]
	v_fma_f64 v[181:182], v[129:130], v[191:192], v[210:211]
	v_add_f64 v[131:132], v[131:132], v[175:176]
	s_clause 0x4
	buffer_load_dword v176, off, s[0:3], 0 offset:636
	buffer_load_dword v191, off, s[0:3], 0 offset:648
	;; [unrolled: 1-line block ×5, first 2 shown]
	ds_read_b128 v[127:130], v188 offset:1344
	s_waitcnt vmcnt(57) lgkmcnt(1)
	v_mul_f64 v[210:211], v[1:2], v[151:152]
	v_mul_f64 v[151:152], v[3:4], v[151:152]
	s_waitcnt vmcnt(56)
	v_fma_f64 v[199:200], v[5:6], v[206:207], -v[199:200]
	v_add_f64 v[133:134], v[139:140], v[133:134]
	v_fma_f64 v[139:140], v[7:8], v[206:207], v[195:196]
	v_add_f64 v[131:132], v[131:132], v[181:182]
	s_clause 0x2
	buffer_load_dword v192, off, s[0:3], 0 offset:652
	buffer_load_dword v182, off, s[0:3], 0 offset:628
	;; [unrolled: 1-line block ×3, first 2 shown]
	ds_read_b128 v[5:8], v188 offset:1360
	s_waitcnt vmcnt(58) lgkmcnt(1)
	v_mul_f64 v[195:196], v[127:128], v[193:194]
	v_mul_f64 v[193:194], v[129:130], v[193:194]
	s_waitcnt vmcnt(56)
	v_fma_f64 v[151:152], v[1:2], v[145:146], -v[151:152]
	v_fma_f64 v[145:146], v[3:4], v[145:146], v[210:211]
	v_add_f64 v[133:134], v[133:134], v[199:200]
	v_add_f64 v[131:132], v[131:132], v[139:140]
	s_clause 0x4
	buffer_load_dword v140, off, s[0:3], 0 offset:668
	buffer_load_dword v199, off, s[0:3], 0 offset:680
	;; [unrolled: 1-line block ×5, first 2 shown]
	ds_read_b128 v[1:4], v188 offset:1376
	s_waitcnt vmcnt(57) lgkmcnt(1)
	v_mul_f64 v[206:207], v[5:6], v[137:138]
	v_mul_f64 v[137:138], v[7:8], v[137:138]
	s_waitcnt vmcnt(56)
	v_fma_f64 v[193:194], v[127:128], v[208:209], -v[193:194]
	v_add_f64 v[133:134], v[133:134], v[151:152]
	v_fma_f64 v[151:152], v[129:130], v[208:209], v[195:196]
	v_add_f64 v[131:132], v[131:132], v[145:146]
	s_clause 0x2
	buffer_load_dword v200, off, s[0:3], 0 offset:684
	buffer_load_dword v146, off, s[0:3], 0 offset:660
	;; [unrolled: 1-line block ×3, first 2 shown]
	ds_read_b128 v[127:130], v188 offset:1392
	s_waitcnt vmcnt(58) lgkmcnt(1)
	v_mul_f64 v[195:196], v[1:2], v[155:156]
	v_mul_f64 v[155:156], v[3:4], v[155:156]
	s_waitcnt vmcnt(56)
	v_fma_f64 v[137:138], v[5:6], v[143:144], -v[137:138]
	v_fma_f64 v[143:144], v[7:8], v[143:144], v[206:207]
	v_add_f64 v[133:134], v[133:134], v[193:194]
	v_add_f64 v[131:132], v[131:132], v[151:152]
	s_clause 0x4
	buffer_load_dword v152, off, s[0:3], 0 offset:700
	buffer_load_dword v193, off, s[0:3], 0 offset:712
	;; [unrolled: 1-line block ×5, first 2 shown]
	ds_read_b128 v[5:8], v188 offset:1408
	s_waitcnt vmcnt(57) lgkmcnt(1)
	v_mul_f64 v[208:209], v[127:128], v[141:142]
	v_mul_f64 v[141:142], v[129:130], v[141:142]
	s_waitcnt vmcnt(56)
	v_fma_f64 v[155:156], v[1:2], v[203:204], -v[155:156]
	v_add_f64 v[133:134], v[133:134], v[137:138]
	v_fma_f64 v[137:138], v[3:4], v[203:204], v[195:196]
	v_add_f64 v[131:132], v[131:132], v[143:144]
	s_clause 0x2
	buffer_load_dword v194, off, s[0:3], 0 offset:716
	buffer_load_dword v144, off, s[0:3], 0 offset:692
	;; [unrolled: 1-line block ×3, first 2 shown]
	s_waitcnt vmcnt(58) lgkmcnt(0)
	v_mul_f64 v[195:196], v[5:6], v[163:164]
	v_mul_f64 v[163:164], v[7:8], v[163:164]
	ds_read_b128 v[1:4], v188 offset:1424
	s_waitcnt vmcnt(56)
	v_fma_f64 v[141:142], v[127:128], v[149:150], -v[141:142]
	v_fma_f64 v[149:150], v[129:130], v[149:150], v[208:209]
	v_add_f64 v[133:134], v[133:134], v[155:156]
	v_add_f64 v[131:132], v[131:132], v[137:138]
	s_clause 0x4
	buffer_load_dword v138, off, s[0:3], 0 offset:732
	buffer_load_dword v155, off, s[0:3], 0 offset:744
	;; [unrolled: 1-line block ×5, first 2 shown]
	ds_read_b128 v[127:130], v188 offset:1440
	s_waitcnt vmcnt(57) lgkmcnt(1)
	v_mul_f64 v[209:210], v[1:2], v[147:148]
	v_mul_f64 v[147:148], v[3:4], v[147:148]
	s_waitcnt vmcnt(56)
	v_fma_f64 v[163:164], v[5:6], v[189:190], -v[163:164]
	v_add_f64 v[133:134], v[133:134], v[141:142]
	v_fma_f64 v[141:142], v[7:8], v[189:190], v[195:196]
	v_add_f64 v[131:132], v[131:132], v[149:150]
	s_clause 0x2
	buffer_load_dword v156, off, s[0:3], 0 offset:748
	buffer_load_dword v150, off, s[0:3], 0 offset:724
	;; [unrolled: 1-line block ×3, first 2 shown]
	s_waitcnt vmcnt(58) lgkmcnt(0)
	v_mul_f64 v[189:190], v[127:128], v[169:170]
	v_mul_f64 v[169:170], v[129:130], v[169:170]
	ds_read_b128 v[5:8], v188 offset:1456
	s_waitcnt vmcnt(56)
	v_fma_f64 v[147:148], v[1:2], v[159:160], -v[147:148]
	v_fma_f64 v[159:160], v[3:4], v[159:160], v[209:210]
	v_add_f64 v[133:134], v[133:134], v[163:164]
	v_add_f64 v[131:132], v[131:132], v[141:142]
	s_clause 0x4
	buffer_load_dword v142, off, s[0:3], 0 offset:764
	buffer_load_dword v163, off, s[0:3], 0 offset:776
	buffer_load_dword v195, off, s[0:3], 0 offset:768
	buffer_load_dword v141, off, s[0:3], 0 offset:760
	buffer_load_dword v204, off, s[0:3], 0 offset:740
	ds_read_b128 v[1:4], v188 offset:1472
	s_waitcnt vmcnt(57) lgkmcnt(1)
	v_mul_f64 v[209:210], v[5:6], v[153:154]
	v_mul_f64 v[153:154], v[7:8], v[153:154]
	s_waitcnt vmcnt(56)
	v_fma_f64 v[169:170], v[127:128], v[171:172], -v[169:170]
	v_add_f64 v[133:134], v[133:134], v[147:148]
	v_fma_f64 v[147:148], v[129:130], v[171:172], v[189:190]
	v_add_f64 v[131:132], v[131:132], v[159:160]
	s_clause 0x2
	buffer_load_dword v164, off, s[0:3], 0 offset:780
	buffer_load_dword v160, off, s[0:3], 0 offset:756
	buffer_load_dword v159, off, s[0:3], 0 offset:752
	ds_read_b128 v[127:130], v188 offset:1488
	s_waitcnt vmcnt(58) lgkmcnt(1)
	v_mul_f64 v[171:172], v[1:2], v[177:178]
	v_mul_f64 v[177:178], v[3:4], v[177:178]
	s_waitcnt vmcnt(56)
	v_fma_f64 v[153:154], v[5:6], v[157:158], -v[153:154]
	v_fma_f64 v[157:158], v[7:8], v[157:158], v[209:210]
	v_add_f64 v[133:134], v[133:134], v[169:170]
	v_add_f64 v[131:132], v[131:132], v[147:148]
	s_clause 0x4
	buffer_load_dword v148, off, s[0:3], 0 offset:796
	buffer_load_dword v169, off, s[0:3], 0 offset:808
	buffer_load_dword v189, off, s[0:3], 0 offset:800
	buffer_load_dword v147, off, s[0:3], 0 offset:792
	buffer_load_dword v196, off, s[0:3], 0 offset:772
	ds_read_b128 v[5:8], v188 offset:1504
	s_waitcnt vmcnt(57) lgkmcnt(1)
	v_mul_f64 v[209:210], v[127:128], v[161:162]
	v_mul_f64 v[161:162], v[129:130], v[161:162]
	s_waitcnt vmcnt(56)
	v_fma_f64 v[177:178], v[1:2], v[179:180], -v[177:178]
	v_add_f64 v[133:134], v[133:134], v[153:154]
	v_fma_f64 v[153:154], v[3:4], v[179:180], v[171:172]
	v_add_f64 v[131:132], v[131:132], v[157:158]
	s_clause 0x2
	buffer_load_dword v170, off, s[0:3], 0 offset:812
	buffer_load_dword v158, off, s[0:3], 0 offset:788
	buffer_load_dword v157, off, s[0:3], 0 offset:784
	ds_read_b128 v[1:4], v188 offset:1520
	s_waitcnt vmcnt(58) lgkmcnt(1)
	v_mul_f64 v[179:180], v[7:8], v[183:184]
	v_mul_f64 v[171:172], v[5:6], v[183:184]
	;; [unrolled: 28-line block ×4, first 2 shown]
	s_waitcnt vmcnt(56)
	v_fma_f64 v[175:176], v[5:6], v[181:182], -v[175:176]
	v_add_f64 v[133:134], v[133:134], v[173:174]
	v_fma_f64 v[173:174], v[7:8], v[181:182], v[209:210]
	v_add_f64 v[131:132], v[131:132], v[167:168]
	s_clause 0x4
	buffer_load_dword v168, off, s[0:3], 0 offset:892
	buffer_load_dword v181, off, s[0:3], 0 offset:904
	;; [unrolled: 1-line block ×5, first 2 shown]
	ds_read_b128 v[5:8], v188 offset:1600
	s_waitcnt vmcnt(57) lgkmcnt(1)
	v_mul_f64 v[209:210], v[127:128], v[139:140]
	v_mul_f64 v[139:140], v[129:130], v[139:140]
	s_waitcnt vmcnt(56)
	v_fma_f64 v[191:192], v[1:2], v[201:202], -v[191:192]
	v_fma_f64 v[171:172], v[3:4], v[201:202], v[171:172]
	v_add_f64 v[133:134], v[133:134], v[175:176]
	v_add_f64 v[131:132], v[131:132], v[173:174]
	s_clause 0x2
	buffer_load_dword v182, off, s[0:3], 0 offset:908
	buffer_load_dword v174, off, s[0:3], 0 offset:884
	;; [unrolled: 1-line block ×3, first 2 shown]
	ds_read_b128 v[1:4], v188 offset:1616
	s_waitcnt vmcnt(58) lgkmcnt(1)
	v_mul_f64 v[175:176], v[5:6], v[199:200]
	v_mul_f64 v[199:200], v[7:8], v[199:200]
	s_waitcnt vmcnt(56)
	v_fma_f64 v[139:140], v[127:128], v[145:146], -v[139:140]
	v_fma_f64 v[145:146], v[129:130], v[145:146], v[209:210]
	v_add_f64 v[133:134], v[133:134], v[191:192]
	v_add_f64 v[131:132], v[131:132], v[171:172]
	s_clause 0x4
	buffer_load_dword v172, off, s[0:3], 0 offset:924
	buffer_load_dword v191, off, s[0:3], 0 offset:936
	;; [unrolled: 1-line block ×5, first 2 shown]
	ds_read_b128 v[127:130], v188 offset:1632
	s_waitcnt vmcnt(57) lgkmcnt(1)
	v_mul_f64 v[209:210], v[1:2], v[151:152]
	v_mul_f64 v[151:152], v[3:4], v[151:152]
	s_waitcnt vmcnt(56)
	v_fma_f64 v[199:200], v[5:6], v[205:206], -v[199:200]
	v_add_f64 v[133:134], v[133:134], v[139:140]
	v_fma_f64 v[139:140], v[7:8], v[205:206], v[175:176]
	v_add_f64 v[131:132], v[131:132], v[145:146]
	s_clause 0x2
	buffer_load_dword v192, off, s[0:3], 0 offset:940
	buffer_load_dword v146, off, s[0:3], 0 offset:916
	;; [unrolled: 1-line block ×3, first 2 shown]
	ds_read_b128 v[5:8], v188 offset:1648
	s_waitcnt vmcnt(58) lgkmcnt(1)
	v_mul_f64 v[175:176], v[127:128], v[193:194]
	v_mul_f64 v[193:194], v[129:130], v[193:194]
	s_waitcnt vmcnt(56)
	v_fma_f64 v[151:152], v[1:2], v[143:144], -v[151:152]
	v_fma_f64 v[143:144], v[3:4], v[143:144], v[209:210]
	v_add_f64 v[133:134], v[133:134], v[199:200]
	v_add_f64 v[131:132], v[131:132], v[139:140]
	s_clause 0x2
	buffer_load_dword v140, off, s[0:3], 0 offset:956
	buffer_load_dword v139, off, s[0:3], 0 offset:952
	;; [unrolled: 1-line block ×3, first 2 shown]
	ds_read_b128 v[1:4], v188 offset:1664
	s_waitcnt vmcnt(55) lgkmcnt(1)
	v_mul_f64 v[199:200], v[5:6], v[137:138]
	v_mul_f64 v[137:138], v[7:8], v[137:138]
	s_waitcnt vmcnt(54)
	v_fma_f64 v[193:194], v[127:128], v[207:208], -v[193:194]
	v_add_f64 v[133:134], v[133:134], v[151:152]
	v_fma_f64 v[151:152], v[129:130], v[207:208], v[175:176]
	v_add_f64 v[131:132], v[131:132], v[143:144]
	s_clause 0x1
	buffer_load_dword v144, off, s[0:3], 0 offset:948
	buffer_load_dword v143, off, s[0:3], 0 offset:944
	ds_read_b128 v[127:130], v188 offset:1680
	s_waitcnt vmcnt(55) lgkmcnt(1)
	v_mul_f64 v[175:176], v[1:2], v[155:156]
	v_mul_f64 v[155:156], v[3:4], v[155:156]
	s_waitcnt vmcnt(53)
	v_fma_f64 v[137:138], v[5:6], v[149:150], -v[137:138]
	v_fma_f64 v[149:150], v[7:8], v[149:150], v[199:200]
	ds_read_b128 v[5:8], v188 offset:1696
	v_add_f64 v[133:134], v[133:134], v[193:194]
	v_add_f64 v[131:132], v[131:132], v[151:152]
	s_waitcnt vmcnt(49) lgkmcnt(1)
	v_mul_f64 v[151:152], v[127:128], v[141:142]
	v_mul_f64 v[141:142], v[129:130], v[141:142]
	s_waitcnt vmcnt(48)
	v_fma_f64 v[155:156], v[1:2], v[203:204], -v[155:156]
	v_add_f64 v[133:134], v[133:134], v[137:138]
	v_fma_f64 v[137:138], v[3:4], v[203:204], v[175:176]
	v_add_f64 v[131:132], v[131:132], v[149:150]
	s_clause 0x3
	buffer_load_dword v149, off, s[0:3], 0 offset:80
	buffer_load_dword v150, off, s[0:3], 0 offset:84
	;; [unrolled: 1-line block ×4, first 2 shown]
	ds_read_b128 v[1:4], v188 offset:1712
	s_waitcnt vmcnt(51) lgkmcnt(1)
	v_mul_f64 v[193:194], v[5:6], v[163:164]
	v_mul_f64 v[163:164], v[7:8], v[163:164]
	s_waitcnt vmcnt(49)
	v_fma_f64 v[141:142], v[127:128], v[159:160], -v[141:142]
	v_fma_f64 v[151:152], v[129:130], v[159:160], v[151:152]
	ds_read_b128 v[127:130], v188 offset:1728
	v_add_f64 v[133:134], v[133:134], v[155:156]
	v_add_f64 v[131:132], v[131:132], v[137:138]
	s_waitcnt vmcnt(45) lgkmcnt(1)
	v_mul_f64 v[137:138], v[1:2], v[147:148]
	v_mul_f64 v[147:148], v[3:4], v[147:148]
	s_waitcnt vmcnt(44)
	v_fma_f64 v[155:156], v[5:6], v[195:196], -v[163:164]
	v_add_f64 v[133:134], v[133:134], v[141:142]
	v_fma_f64 v[141:142], v[7:8], v[195:196], v[193:194]
	v_add_f64 v[131:132], v[131:132], v[151:152]
	ds_read_b128 v[5:8], v188 offset:1744
	s_waitcnt vmcnt(43) lgkmcnt(1)
	v_mul_f64 v[159:160], v[129:130], v[169:170]
	v_mul_f64 v[151:152], v[127:128], v[169:170]
	s_waitcnt vmcnt(41)
	v_fma_f64 v[147:148], v[1:2], v[157:158], -v[147:148]
	v_fma_f64 v[137:138], v[3:4], v[157:158], v[137:138]
	ds_read_b128 v[1:4], v188 offset:1760
	v_add_f64 v[133:134], v[133:134], v[155:156]
	v_add_f64 v[131:132], v[131:132], v[141:142]
	s_waitcnt vmcnt(37) lgkmcnt(1)
	v_mul_f64 v[141:142], v[5:6], v[153:154]
	v_mul_f64 v[153:154], v[7:8], v[153:154]
	s_waitcnt vmcnt(36)
	v_fma_f64 v[155:156], v[127:128], v[189:190], -v[159:160]
	v_add_f64 v[133:134], v[133:134], v[147:148]
	v_fma_f64 v[147:148], v[129:130], v[189:190], v[151:152]
	v_add_f64 v[131:132], v[131:132], v[137:138]
	ds_read_b128 v[127:130], v188 offset:1776
	s_waitcnt vmcnt(35) lgkmcnt(1)
	v_mul_f64 v[151:152], v[3:4], v[177:178]
	v_mul_f64 v[137:138], v[1:2], v[177:178]
	s_waitcnt vmcnt(33)
	v_fma_f64 v[153:154], v[5:6], v[165:166], -v[153:154]
	v_fma_f64 v[141:142], v[7:8], v[165:166], v[141:142]
	ds_read_b128 v[5:8], v188 offset:1792
	v_add_f64 v[133:134], v[133:134], v[155:156]
	v_add_f64 v[131:132], v[131:132], v[147:148]
	s_waitcnt vmcnt(29) lgkmcnt(1)
	v_mul_f64 v[155:156], v[129:130], v[161:162]
	s_waitcnt vmcnt(28)
	v_fma_f64 v[151:152], v[1:2], v[183:184], -v[151:152]
	v_mul_f64 v[147:148], v[127:128], v[161:162]
	v_fma_f64 v[137:138], v[3:4], v[183:184], v[137:138]
	ds_read_b128 v[1:4], v188 offset:1808
	v_add_f64 v[133:134], v[133:134], v[153:154]
	v_add_f64 v[131:132], v[131:132], v[141:142]
	s_waitcnt vmcnt(27) lgkmcnt(1)
	v_mul_f64 v[153:154], v[7:8], v[179:180]
	v_mul_f64 v[141:142], v[5:6], v[179:180]
	s_waitcnt vmcnt(25)
	v_fma_f64 v[155:156], v[127:128], v[135:136], -v[155:156]
	v_fma_f64 v[135:136], v[129:130], v[135:136], v[147:148]
	ds_read_b128 v[127:130], v188 offset:1824
	v_add_f64 v[133:134], v[133:134], v[151:152]
	v_add_f64 v[131:132], v[131:132], v[137:138]
	s_waitcnt vmcnt(21) lgkmcnt(1)
	v_mul_f64 v[147:148], v[3:4], v[167:168]
	s_waitcnt vmcnt(20)
	v_fma_f64 v[151:152], v[5:6], v[185:186], -v[153:154]
	v_mul_f64 v[137:138], v[1:2], v[167:168]
	v_fma_f64 v[141:142], v[7:8], v[185:186], v[141:142]
	ds_read_b128 v[5:8], v188 offset:1840
	v_add_f64 v[133:134], v[133:134], v[155:156]
	v_add_f64 v[131:132], v[131:132], v[135:136]
	;; [unrolled: 18-line block ×3, first 2 shown]
	s_waitcnt vmcnt(11) lgkmcnt(1)
	v_mul_f64 v[147:148], v[3:4], v[191:192]
	v_mul_f64 v[137:138], v[1:2], v[191:192]
	s_waitcnt vmcnt(9)
	v_fma_f64 v[5:6], v[5:6], v[145:146], -v[151:152]
	v_fma_f64 v[7:8], v[7:8], v[145:146], v[141:142]
	v_add_f64 v[133:134], v[133:134], v[153:154]
	v_add_f64 v[131:132], v[131:132], v[135:136]
	s_waitcnt vmcnt(7) lgkmcnt(0)
	v_mul_f64 v[135:136], v[127:128], v[139:140]
	v_mul_f64 v[139:140], v[129:130], v[139:140]
	s_waitcnt vmcnt(6)
	v_fma_f64 v[1:2], v[1:2], v[201:202], -v[147:148]
	v_fma_f64 v[3:4], v[3:4], v[201:202], v[137:138]
	v_add_f64 v[5:6], v[133:134], v[5:6]
	v_add_f64 v[7:8], v[131:132], v[7:8]
	s_waitcnt vmcnt(4)
	v_fma_f64 v[127:128], v[127:128], v[143:144], -v[139:140]
	v_add_f64 v[1:2], v[5:6], v[1:2]
	v_fma_f64 v[5:6], v[129:130], v[143:144], v[135:136]
	v_add_f64 v[3:4], v[7:8], v[3:4]
	v_add_f64 v[1:2], v[1:2], v[127:128]
	;; [unrolled: 1-line block ×3, first 2 shown]
	s_waitcnt vmcnt(2)
	v_add_f64 v[1:2], v[149:150], -v[1:2]
	s_waitcnt vmcnt(0)
	v_add_f64 v[3:4], v[175:176], -v[3:4]
	buffer_store_dword v2, off, s[0:3], 0 offset:84
	buffer_store_dword v1, off, s[0:3], 0 offset:80
	;; [unrolled: 1-line block ×4, first 2 shown]
	v_cmpx_lt_u32_e32 3, v0
	s_cbranch_execz .LBB122_361
; %bb.360:
	v_mov_b32_e32 v4, s68
	v_mov_b32_e32 v5, 0
	s_clause 0x3
	buffer_load_dword v1, v4, s[0:3], 0 offen
	buffer_load_dword v2, v4, s[0:3], 0 offen offset:4
	buffer_load_dword v3, v4, s[0:3], 0 offen offset:8
	;; [unrolled: 1-line block ×3, first 2 shown]
	buffer_store_dword v5, off, s[0:3], 0 offset:64
	buffer_store_dword v5, off, s[0:3], 0 offset:68
	buffer_store_dword v5, off, s[0:3], 0 offset:72
	buffer_store_dword v5, off, s[0:3], 0 offset:76
	s_waitcnt vmcnt(0)
	ds_write_b128 v187, v[1:4]
.LBB122_361:
	s_or_b32 exec_lo, exec_lo, s4
	s_waitcnt lgkmcnt(0)
	s_waitcnt_vscnt null, 0x0
	s_barrier
	buffer_gl0_inv
	s_clause 0x37
	buffer_load_dword v135, off, s[0:3], 0 offset:88
	buffer_load_dword v136, off, s[0:3], 0 offset:92
	;; [unrolled: 1-line block ×56, first 2 shown]
	v_mov_b32_e32 v188, 0
	s_mov_b32 s4, exec_lo
	ds_read_b128 v[5:8], v188 offset:1008
	s_clause 0x2
	buffer_load_dword v184, off, s[0:3], 0 offset:316
	buffer_load_dword v186, off, s[0:3], 0 offset:292
	;; [unrolled: 1-line block ×3, first 2 shown]
	ds_read_b128 v[1:4], v188 offset:1024
	s_clause 0x4
	buffer_load_dword v196, off, s[0:3], 0 offset:332
	buffer_load_dword v197, off, s[0:3], 0 offset:344
	;; [unrolled: 1-line block ×5, first 2 shown]
	ds_read_b128 v[189:192], v188 offset:1040
	s_waitcnt vmcnt(62) lgkmcnt(2)
	v_mul_f64 v[193:194], v[7:8], v[135:136]
	v_mul_f64 v[135:136], v[5:6], v[135:136]
	s_waitcnt vmcnt(60) lgkmcnt(1)
	v_mul_f64 v[200:201], v[3:4], v[131:132]
	v_mul_f64 v[131:132], v[1:2], v[131:132]
	;; [unrolled: 3-line block ×3, first 2 shown]
	v_fma_f64 v[193:194], v[5:6], v[133:134], -v[193:194]
	v_fma_f64 v[133:134], v[7:8], v[133:134], v[135:136]
	s_clause 0x2
	buffer_load_dword v198, off, s[0:3], 0 offset:348
	buffer_load_dword v136, off, s[0:3], 0 offset:324
	buffer_load_dword v135, off, s[0:3], 0 offset:320
	s_waitcnt vmcnt(57)
	v_fma_f64 v[204:205], v[1:2], v[127:128], -v[200:201]
	ds_read_b128 v[5:8], v188 offset:1056
	v_fma_f64 v[127:128], v[3:4], v[127:128], v[131:132]
	s_waitcnt vmcnt(51)
	v_fma_f64 v[189:190], v[189:190], v[151:152], -v[129:130]
	v_fma_f64 v[151:152], v[191:192], v[151:152], v[202:203]
	v_add_f64 v[193:194], v[193:194], 0
	v_add_f64 v[131:132], v[133:134], 0
	s_clause 0x4
	buffer_load_dword v134, off, s[0:3], 0 offset:364
	buffer_load_dword v201, off, s[0:3], 0 offset:376
	;; [unrolled: 1-line block ×5, first 2 shown]
	s_waitcnt lgkmcnt(0)
	v_mul_f64 v[207:208], v[5:6], v[139:140]
	v_mul_f64 v[139:140], v[7:8], v[139:140]
	ds_read_b128 v[1:4], v188 offset:1072
	s_clause 0x2
	buffer_load_dword v202, off, s[0:3], 0 offset:380
	buffer_load_dword v192, off, s[0:3], 0 offset:356
	;; [unrolled: 1-line block ×3, first 2 shown]
	v_add_f64 v[193:194], v[193:194], v[204:205]
	v_add_f64 v[131:132], v[131:132], v[127:128]
	ds_read_b128 v[127:130], v188 offset:1088
	s_waitcnt vmcnt(58) lgkmcnt(1)
	v_mul_f64 v[203:204], v[1:2], v[143:144]
	v_mul_f64 v[143:144], v[3:4], v[143:144]
	s_waitcnt vmcnt(56)
	v_fma_f64 v[139:140], v[5:6], v[145:146], -v[139:140]
	v_fma_f64 v[145:146], v[7:8], v[145:146], v[207:208]
	s_waitcnt vmcnt(52) lgkmcnt(0)
	v_mul_f64 v[209:210], v[127:128], v[147:148]
	v_add_f64 v[189:190], v[193:194], v[189:190]
	v_add_f64 v[131:132], v[131:132], v[151:152]
	s_clause 0x4
	buffer_load_dword v152, off, s[0:3], 0 offset:396
	buffer_load_dword v193, off, s[0:3], 0 offset:408
	;; [unrolled: 1-line block ×5, first 2 shown]
	v_mul_f64 v[147:148], v[129:130], v[147:148]
	s_waitcnt vmcnt(56)
	v_fma_f64 v[143:144], v[1:2], v[137:138], -v[143:144]
	ds_read_b128 v[5:8], v188 offset:1104
	v_fma_f64 v[137:138], v[3:4], v[137:138], v[203:204]
	v_add_f64 v[139:140], v[189:190], v[139:140]
	v_add_f64 v[131:132], v[131:132], v[145:146]
	s_clause 0x2
	buffer_load_dword v194, off, s[0:3], 0 offset:412
	buffer_load_dword v146, off, s[0:3], 0 offset:388
	;; [unrolled: 1-line block ×3, first 2 shown]
	s_waitcnt vmcnt(58) lgkmcnt(0)
	v_mul_f64 v[189:190], v[5:6], v[153:154]
	v_mul_f64 v[153:154], v[7:8], v[153:154]
	s_waitcnt vmcnt(56)
	v_fma_f64 v[147:148], v[127:128], v[155:156], -v[147:148]
	ds_read_b128 v[1:4], v188 offset:1120
	v_add_f64 v[139:140], v[139:140], v[143:144]
	v_fma_f64 v[143:144], v[129:130], v[155:156], v[209:210]
	v_add_f64 v[131:132], v[131:132], v[137:138]
	s_clause 0x4
	buffer_load_dword v138, off, s[0:3], 0 offset:428
	buffer_load_dword v155, off, s[0:3], 0 offset:440
	;; [unrolled: 1-line block ×5, first 2 shown]
	s_waitcnt vmcnt(57) lgkmcnt(0)
	v_mul_f64 v[204:205], v[1:2], v[157:158]
	v_mul_f64 v[157:158], v[3:4], v[157:158]
	s_waitcnt vmcnt(56)
	v_fma_f64 v[153:154], v[5:6], v[141:142], -v[153:154]
	ds_read_b128 v[127:130], v188 offset:1136
	v_fma_f64 v[141:142], v[7:8], v[141:142], v[189:190]
	v_add_f64 v[139:140], v[139:140], v[147:148]
	v_add_f64 v[131:132], v[131:132], v[143:144]
	s_clause 0x2
	buffer_load_dword v156, off, s[0:3], 0 offset:444
	buffer_load_dword v144, off, s[0:3], 0 offset:420
	;; [unrolled: 1-line block ×3, first 2 shown]
	ds_read_b128 v[5:8], v188 offset:1152
	s_waitcnt vmcnt(58) lgkmcnt(1)
	v_mul_f64 v[147:148], v[127:128], v[161:162]
	v_mul_f64 v[161:162], v[129:130], v[161:162]
	s_waitcnt vmcnt(56)
	v_fma_f64 v[157:158], v[1:2], v[163:164], -v[157:158]
	v_add_f64 v[139:140], v[139:140], v[153:154]
	v_fma_f64 v[153:154], v[3:4], v[163:164], v[204:205]
	v_add_f64 v[131:132], v[131:132], v[141:142]
	s_clause 0x4
	buffer_load_dword v142, off, s[0:3], 0 offset:460
	buffer_load_dword v163, off, s[0:3], 0 offset:472
	;; [unrolled: 1-line block ×5, first 2 shown]
	s_waitcnt vmcnt(57) lgkmcnt(0)
	v_mul_f64 v[210:211], v[5:6], v[165:166]
	v_mul_f64 v[165:166], v[7:8], v[165:166]
	s_waitcnt vmcnt(56)
	v_fma_f64 v[161:162], v[127:128], v[149:150], -v[161:162]
	ds_read_b128 v[1:4], v188 offset:1168
	v_fma_f64 v[147:148], v[129:130], v[149:150], v[147:148]
	s_clause 0x2
	buffer_load_dword v164, off, s[0:3], 0 offset:476
	buffer_load_dword v150, off, s[0:3], 0 offset:452
	;; [unrolled: 1-line block ×3, first 2 shown]
	ds_read_b128 v[127:130], v188 offset:1184
	v_add_f64 v[139:140], v[139:140], v[157:158]
	v_add_f64 v[131:132], v[131:132], v[153:154]
	s_waitcnt vmcnt(58) lgkmcnt(1)
	v_mul_f64 v[157:158], v[3:4], v[169:170]
	s_waitcnt vmcnt(56)
	v_fma_f64 v[165:166], v[5:6], v[171:172], -v[165:166]
	v_mul_f64 v[153:154], v[1:2], v[169:170]
	v_add_f64 v[139:140], v[139:140], v[161:162]
	v_fma_f64 v[161:162], v[7:8], v[171:172], v[210:211]
	v_add_f64 v[131:132], v[131:132], v[147:148]
	s_clause 0x4
	buffer_load_dword v148, off, s[0:3], 0 offset:492
	buffer_load_dword v169, off, s[0:3], 0 offset:504
	;; [unrolled: 1-line block ×5, first 2 shown]
	s_waitcnt vmcnt(57) lgkmcnt(0)
	v_mul_f64 v[210:211], v[127:128], v[173:174]
	v_mul_f64 v[172:173], v[129:130], v[173:174]
	s_waitcnt vmcnt(56)
	v_fma_f64 v[157:158], v[1:2], v[159:160], -v[157:158]
	ds_read_b128 v[5:8], v188 offset:1200
	v_fma_f64 v[153:154], v[3:4], v[159:160], v[153:154]
	s_clause 0x2
	buffer_load_dword v170, off, s[0:3], 0 offset:508
	buffer_load_dword v160, off, s[0:3], 0 offset:484
	;; [unrolled: 1-line block ×3, first 2 shown]
	ds_read_b128 v[1:4], v188 offset:1216
	v_add_f64 v[139:140], v[139:140], v[165:166]
	v_add_f64 v[131:132], v[131:132], v[161:162]
	s_waitcnt vmcnt(58) lgkmcnt(1)
	v_mul_f64 v[165:166], v[7:8], v[177:178]
	s_waitcnt vmcnt(56)
	v_fma_f64 v[173:174], v[127:128], v[179:180], -v[172:173]
	v_mul_f64 v[161:162], v[5:6], v[177:178]
	v_add_f64 v[139:140], v[139:140], v[157:158]
	v_fma_f64 v[157:158], v[129:130], v[179:180], v[210:211]
	v_add_f64 v[131:132], v[131:132], v[153:154]
	s_clause 0x4
	buffer_load_dword v154, off, s[0:3], 0 offset:524
	buffer_load_dword v177, off, s[0:3], 0 offset:536
	;; [unrolled: 1-line block ×5, first 2 shown]
	s_waitcnt vmcnt(57) lgkmcnt(0)
	v_mul_f64 v[210:211], v[1:2], v[181:182]
	v_mul_f64 v[180:181], v[3:4], v[181:182]
	s_waitcnt vmcnt(56)
	v_fma_f64 v[165:166], v[5:6], v[167:168], -v[165:166]
	ds_read_b128 v[127:130], v188 offset:1232
	v_fma_f64 v[161:162], v[7:8], v[167:168], v[161:162]
	v_add_f64 v[139:140], v[139:140], v[173:174]
	v_add_f64 v[131:132], v[131:132], v[157:158]
	s_clause 0x2
	buffer_load_dword v178, off, s[0:3], 0 offset:540
	buffer_load_dword v158, off, s[0:3], 0 offset:516
	;; [unrolled: 1-line block ×3, first 2 shown]
	ds_read_b128 v[5:8], v188 offset:1248
	s_waitcnt vmcnt(58) lgkmcnt(1)
	v_mul_f64 v[173:174], v[129:130], v[183:184]
	s_waitcnt vmcnt(56)
	v_fma_f64 v[181:182], v[1:2], v[185:186], -v[180:181]
	v_mul_f64 v[167:168], v[127:128], v[183:184]
	v_add_f64 v[139:140], v[139:140], v[165:166]
	v_fma_f64 v[165:166], v[3:4], v[185:186], v[210:211]
	v_add_f64 v[131:132], v[131:132], v[161:162]
	s_clause 0x4
	buffer_load_dword v162, off, s[0:3], 0 offset:556
	buffer_load_dword v183, off, s[0:3], 0 offset:568
	buffer_load_dword v185, off, s[0:3], 0 offset:560
	buffer_load_dword v161, off, s[0:3], 0 offset:552
	buffer_load_dword v180, off, s[0:3], 0 offset:532
	s_waitcnt vmcnt(57) lgkmcnt(0)
	v_mul_f64 v[210:211], v[5:6], v[195:196]
	v_mul_f64 v[195:196], v[7:8], v[195:196]
	s_waitcnt vmcnt(56)
	v_fma_f64 v[173:174], v[127:128], v[175:176], -v[173:174]
	ds_read_b128 v[1:4], v188 offset:1264
	v_fma_f64 v[167:168], v[129:130], v[175:176], v[167:168]
	v_add_f64 v[139:140], v[139:140], v[181:182]
	v_add_f64 v[131:132], v[131:132], v[165:166]
	s_clause 0x2
	buffer_load_dword v184, off, s[0:3], 0 offset:572
	buffer_load_dword v166, off, s[0:3], 0 offset:548
	;; [unrolled: 1-line block ×3, first 2 shown]
	ds_read_b128 v[127:130], v188 offset:1280
	s_waitcnt vmcnt(58) lgkmcnt(1)
	v_mul_f64 v[181:182], v[3:4], v[197:198]
	v_mul_f64 v[175:176], v[1:2], v[197:198]
	s_waitcnt vmcnt(56)
	v_fma_f64 v[195:196], v[5:6], v[135:136], -v[195:196]
	v_fma_f64 v[135:136], v[7:8], v[135:136], v[210:211]
	v_add_f64 v[139:140], v[139:140], v[173:174]
	v_add_f64 v[131:132], v[131:132], v[167:168]
	s_clause 0x4
	buffer_load_dword v168, off, s[0:3], 0 offset:588
	buffer_load_dword v173, off, s[0:3], 0 offset:600
	;; [unrolled: 1-line block ×5, first 2 shown]
	ds_read_b128 v[5:8], v188 offset:1296
	s_waitcnt vmcnt(57) lgkmcnt(1)
	v_mul_f64 v[210:211], v[127:128], v[133:134]
	v_mul_f64 v[133:134], v[129:130], v[133:134]
	s_waitcnt vmcnt(56)
	v_fma_f64 v[181:182], v[1:2], v[199:200], -v[181:182]
	v_fma_f64 v[175:176], v[3:4], v[199:200], v[175:176]
	v_add_f64 v[139:140], v[139:140], v[195:196]
	v_add_f64 v[131:132], v[131:132], v[135:136]
	s_clause 0x2
	buffer_load_dword v174, off, s[0:3], 0 offset:604
	buffer_load_dword v136, off, s[0:3], 0 offset:580
	buffer_load_dword v135, off, s[0:3], 0 offset:576
	s_waitcnt vmcnt(58) lgkmcnt(0)
	v_mul_f64 v[199:200], v[7:8], v[201:202]
	ds_read_b128 v[1:4], v188 offset:1312
	v_mul_f64 v[195:196], v[5:6], v[201:202]
	s_waitcnt vmcnt(56)
	v_fma_f64 v[133:134], v[127:128], v[191:192], -v[133:134]
	v_add_f64 v[139:140], v[139:140], v[181:182]
	v_fma_f64 v[181:182], v[129:130], v[191:192], v[210:211]
	v_add_f64 v[131:132], v[131:132], v[175:176]
	s_clause 0x4
	buffer_load_dword v176, off, s[0:3], 0 offset:620
	buffer_load_dword v191, off, s[0:3], 0 offset:632
	;; [unrolled: 1-line block ×5, first 2 shown]
	ds_read_b128 v[127:130], v188 offset:1328
	s_waitcnt vmcnt(57) lgkmcnt(1)
	v_mul_f64 v[210:211], v[1:2], v[151:152]
	v_mul_f64 v[151:152], v[3:4], v[151:152]
	s_waitcnt vmcnt(56)
	v_fma_f64 v[199:200], v[5:6], v[206:207], -v[199:200]
	v_add_f64 v[133:134], v[139:140], v[133:134]
	v_fma_f64 v[139:140], v[7:8], v[206:207], v[195:196]
	v_add_f64 v[131:132], v[131:132], v[181:182]
	s_clause 0x2
	buffer_load_dword v192, off, s[0:3], 0 offset:636
	buffer_load_dword v182, off, s[0:3], 0 offset:612
	;; [unrolled: 1-line block ×3, first 2 shown]
	ds_read_b128 v[5:8], v188 offset:1344
	s_waitcnt vmcnt(58) lgkmcnt(1)
	v_mul_f64 v[195:196], v[127:128], v[193:194]
	v_mul_f64 v[193:194], v[129:130], v[193:194]
	s_waitcnt vmcnt(56)
	v_fma_f64 v[151:152], v[1:2], v[145:146], -v[151:152]
	v_fma_f64 v[145:146], v[3:4], v[145:146], v[210:211]
	v_add_f64 v[133:134], v[133:134], v[199:200]
	v_add_f64 v[131:132], v[131:132], v[139:140]
	s_clause 0x4
	buffer_load_dword v140, off, s[0:3], 0 offset:652
	buffer_load_dword v199, off, s[0:3], 0 offset:664
	;; [unrolled: 1-line block ×5, first 2 shown]
	ds_read_b128 v[1:4], v188 offset:1360
	s_waitcnt vmcnt(57) lgkmcnt(1)
	v_mul_f64 v[206:207], v[5:6], v[137:138]
	v_mul_f64 v[137:138], v[7:8], v[137:138]
	s_waitcnt vmcnt(56)
	v_fma_f64 v[193:194], v[127:128], v[208:209], -v[193:194]
	v_add_f64 v[133:134], v[133:134], v[151:152]
	v_fma_f64 v[151:152], v[129:130], v[208:209], v[195:196]
	v_add_f64 v[131:132], v[131:132], v[145:146]
	s_clause 0x2
	buffer_load_dword v200, off, s[0:3], 0 offset:668
	buffer_load_dword v146, off, s[0:3], 0 offset:644
	;; [unrolled: 1-line block ×3, first 2 shown]
	ds_read_b128 v[127:130], v188 offset:1376
	s_waitcnt vmcnt(58) lgkmcnt(1)
	v_mul_f64 v[195:196], v[1:2], v[155:156]
	v_mul_f64 v[155:156], v[3:4], v[155:156]
	s_waitcnt vmcnt(56)
	v_fma_f64 v[137:138], v[5:6], v[143:144], -v[137:138]
	v_fma_f64 v[143:144], v[7:8], v[143:144], v[206:207]
	v_add_f64 v[133:134], v[133:134], v[193:194]
	v_add_f64 v[131:132], v[131:132], v[151:152]
	s_clause 0x4
	buffer_load_dword v152, off, s[0:3], 0 offset:684
	buffer_load_dword v193, off, s[0:3], 0 offset:696
	;; [unrolled: 1-line block ×5, first 2 shown]
	ds_read_b128 v[5:8], v188 offset:1392
	s_waitcnt vmcnt(57) lgkmcnt(1)
	v_mul_f64 v[208:209], v[127:128], v[141:142]
	v_mul_f64 v[141:142], v[129:130], v[141:142]
	s_waitcnt vmcnt(56)
	v_fma_f64 v[155:156], v[1:2], v[203:204], -v[155:156]
	v_add_f64 v[133:134], v[133:134], v[137:138]
	v_fma_f64 v[137:138], v[3:4], v[203:204], v[195:196]
	v_add_f64 v[131:132], v[131:132], v[143:144]
	s_clause 0x2
	buffer_load_dword v194, off, s[0:3], 0 offset:700
	buffer_load_dword v144, off, s[0:3], 0 offset:676
	;; [unrolled: 1-line block ×3, first 2 shown]
	s_waitcnt vmcnt(58) lgkmcnt(0)
	v_mul_f64 v[195:196], v[5:6], v[163:164]
	v_mul_f64 v[163:164], v[7:8], v[163:164]
	ds_read_b128 v[1:4], v188 offset:1408
	s_waitcnt vmcnt(56)
	v_fma_f64 v[141:142], v[127:128], v[149:150], -v[141:142]
	v_fma_f64 v[149:150], v[129:130], v[149:150], v[208:209]
	v_add_f64 v[133:134], v[133:134], v[155:156]
	v_add_f64 v[131:132], v[131:132], v[137:138]
	s_clause 0x4
	buffer_load_dword v138, off, s[0:3], 0 offset:716
	buffer_load_dword v155, off, s[0:3], 0 offset:728
	;; [unrolled: 1-line block ×5, first 2 shown]
	ds_read_b128 v[127:130], v188 offset:1424
	s_waitcnt vmcnt(57) lgkmcnt(1)
	v_mul_f64 v[209:210], v[1:2], v[147:148]
	v_mul_f64 v[147:148], v[3:4], v[147:148]
	s_waitcnt vmcnt(56)
	v_fma_f64 v[163:164], v[5:6], v[189:190], -v[163:164]
	v_add_f64 v[133:134], v[133:134], v[141:142]
	v_fma_f64 v[141:142], v[7:8], v[189:190], v[195:196]
	v_add_f64 v[131:132], v[131:132], v[149:150]
	s_clause 0x2
	buffer_load_dword v156, off, s[0:3], 0 offset:732
	buffer_load_dword v150, off, s[0:3], 0 offset:708
	;; [unrolled: 1-line block ×3, first 2 shown]
	s_waitcnt vmcnt(58) lgkmcnt(0)
	v_mul_f64 v[189:190], v[127:128], v[169:170]
	v_mul_f64 v[169:170], v[129:130], v[169:170]
	ds_read_b128 v[5:8], v188 offset:1440
	s_waitcnt vmcnt(56)
	v_fma_f64 v[147:148], v[1:2], v[159:160], -v[147:148]
	v_fma_f64 v[159:160], v[3:4], v[159:160], v[209:210]
	v_add_f64 v[133:134], v[133:134], v[163:164]
	v_add_f64 v[131:132], v[131:132], v[141:142]
	s_clause 0x4
	buffer_load_dword v142, off, s[0:3], 0 offset:748
	buffer_load_dword v163, off, s[0:3], 0 offset:760
	buffer_load_dword v195, off, s[0:3], 0 offset:752
	buffer_load_dword v141, off, s[0:3], 0 offset:744
	buffer_load_dword v204, off, s[0:3], 0 offset:724
	ds_read_b128 v[1:4], v188 offset:1456
	s_waitcnt vmcnt(57) lgkmcnt(1)
	v_mul_f64 v[209:210], v[5:6], v[153:154]
	v_mul_f64 v[153:154], v[7:8], v[153:154]
	s_waitcnt vmcnt(56)
	v_fma_f64 v[169:170], v[127:128], v[171:172], -v[169:170]
	v_add_f64 v[133:134], v[133:134], v[147:148]
	v_fma_f64 v[147:148], v[129:130], v[171:172], v[189:190]
	v_add_f64 v[131:132], v[131:132], v[159:160]
	s_clause 0x2
	buffer_load_dword v164, off, s[0:3], 0 offset:764
	buffer_load_dword v160, off, s[0:3], 0 offset:740
	buffer_load_dword v159, off, s[0:3], 0 offset:736
	ds_read_b128 v[127:130], v188 offset:1472
	s_waitcnt vmcnt(58) lgkmcnt(1)
	v_mul_f64 v[171:172], v[1:2], v[177:178]
	v_mul_f64 v[177:178], v[3:4], v[177:178]
	s_waitcnt vmcnt(56)
	v_fma_f64 v[153:154], v[5:6], v[157:158], -v[153:154]
	v_fma_f64 v[157:158], v[7:8], v[157:158], v[209:210]
	v_add_f64 v[133:134], v[133:134], v[169:170]
	v_add_f64 v[131:132], v[131:132], v[147:148]
	s_clause 0x4
	buffer_load_dword v148, off, s[0:3], 0 offset:780
	buffer_load_dword v169, off, s[0:3], 0 offset:792
	buffer_load_dword v189, off, s[0:3], 0 offset:784
	buffer_load_dword v147, off, s[0:3], 0 offset:776
	buffer_load_dword v196, off, s[0:3], 0 offset:756
	ds_read_b128 v[5:8], v188 offset:1488
	s_waitcnt vmcnt(57) lgkmcnt(1)
	v_mul_f64 v[209:210], v[127:128], v[161:162]
	v_mul_f64 v[161:162], v[129:130], v[161:162]
	s_waitcnt vmcnt(56)
	v_fma_f64 v[177:178], v[1:2], v[179:180], -v[177:178]
	v_add_f64 v[133:134], v[133:134], v[153:154]
	v_fma_f64 v[153:154], v[3:4], v[179:180], v[171:172]
	v_add_f64 v[131:132], v[131:132], v[157:158]
	s_clause 0x2
	buffer_load_dword v170, off, s[0:3], 0 offset:796
	buffer_load_dword v158, off, s[0:3], 0 offset:772
	buffer_load_dword v157, off, s[0:3], 0 offset:768
	ds_read_b128 v[1:4], v188 offset:1504
	s_waitcnt vmcnt(58) lgkmcnt(1)
	v_mul_f64 v[179:180], v[7:8], v[183:184]
	v_mul_f64 v[171:172], v[5:6], v[183:184]
	;; [unrolled: 28-line block ×4, first 2 shown]
	s_waitcnt vmcnt(56)
	v_fma_f64 v[175:176], v[5:6], v[181:182], -v[175:176]
	v_add_f64 v[133:134], v[133:134], v[173:174]
	v_fma_f64 v[173:174], v[7:8], v[181:182], v[209:210]
	v_add_f64 v[131:132], v[131:132], v[167:168]
	s_clause 0x4
	buffer_load_dword v168, off, s[0:3], 0 offset:876
	buffer_load_dword v181, off, s[0:3], 0 offset:888
	;; [unrolled: 1-line block ×5, first 2 shown]
	ds_read_b128 v[5:8], v188 offset:1584
	s_waitcnt vmcnt(57) lgkmcnt(1)
	v_mul_f64 v[209:210], v[127:128], v[139:140]
	v_mul_f64 v[139:140], v[129:130], v[139:140]
	s_waitcnt vmcnt(56)
	v_fma_f64 v[191:192], v[1:2], v[201:202], -v[191:192]
	v_fma_f64 v[171:172], v[3:4], v[201:202], v[171:172]
	v_add_f64 v[133:134], v[133:134], v[175:176]
	v_add_f64 v[131:132], v[131:132], v[173:174]
	s_clause 0x2
	buffer_load_dword v182, off, s[0:3], 0 offset:892
	buffer_load_dword v174, off, s[0:3], 0 offset:868
	;; [unrolled: 1-line block ×3, first 2 shown]
	ds_read_b128 v[1:4], v188 offset:1600
	s_waitcnt vmcnt(58) lgkmcnt(1)
	v_mul_f64 v[175:176], v[5:6], v[199:200]
	v_mul_f64 v[199:200], v[7:8], v[199:200]
	s_waitcnt vmcnt(56)
	v_fma_f64 v[139:140], v[127:128], v[145:146], -v[139:140]
	v_fma_f64 v[145:146], v[129:130], v[145:146], v[209:210]
	v_add_f64 v[133:134], v[133:134], v[191:192]
	v_add_f64 v[131:132], v[131:132], v[171:172]
	s_clause 0x4
	buffer_load_dword v172, off, s[0:3], 0 offset:908
	buffer_load_dword v191, off, s[0:3], 0 offset:920
	;; [unrolled: 1-line block ×5, first 2 shown]
	ds_read_b128 v[127:130], v188 offset:1616
	s_waitcnt vmcnt(57) lgkmcnt(1)
	v_mul_f64 v[209:210], v[1:2], v[151:152]
	v_mul_f64 v[151:152], v[3:4], v[151:152]
	s_waitcnt vmcnt(56)
	v_fma_f64 v[199:200], v[5:6], v[205:206], -v[199:200]
	v_add_f64 v[133:134], v[133:134], v[139:140]
	v_fma_f64 v[139:140], v[7:8], v[205:206], v[175:176]
	v_add_f64 v[131:132], v[131:132], v[145:146]
	s_clause 0x2
	buffer_load_dword v192, off, s[0:3], 0 offset:924
	buffer_load_dword v146, off, s[0:3], 0 offset:900
	;; [unrolled: 1-line block ×3, first 2 shown]
	ds_read_b128 v[5:8], v188 offset:1632
	s_waitcnt vmcnt(58) lgkmcnt(1)
	v_mul_f64 v[175:176], v[127:128], v[193:194]
	v_mul_f64 v[193:194], v[129:130], v[193:194]
	s_waitcnt vmcnt(56)
	v_fma_f64 v[151:152], v[1:2], v[143:144], -v[151:152]
	v_fma_f64 v[143:144], v[3:4], v[143:144], v[209:210]
	v_add_f64 v[133:134], v[133:134], v[199:200]
	v_add_f64 v[131:132], v[131:132], v[139:140]
	s_clause 0x4
	buffer_load_dword v140, off, s[0:3], 0 offset:940
	buffer_load_dword v199, off, s[0:3], 0 offset:952
	;; [unrolled: 1-line block ×5, first 2 shown]
	ds_read_b128 v[1:4], v188 offset:1648
	s_waitcnt vmcnt(57) lgkmcnt(1)
	v_mul_f64 v[209:210], v[5:6], v[137:138]
	v_mul_f64 v[137:138], v[7:8], v[137:138]
	s_waitcnt vmcnt(56)
	v_fma_f64 v[193:194], v[127:128], v[207:208], -v[193:194]
	v_add_f64 v[133:134], v[133:134], v[151:152]
	v_fma_f64 v[151:152], v[129:130], v[207:208], v[175:176]
	v_add_f64 v[131:132], v[131:132], v[143:144]
	s_clause 0x2
	buffer_load_dword v200, off, s[0:3], 0 offset:956
	buffer_load_dword v144, off, s[0:3], 0 offset:932
	;; [unrolled: 1-line block ×3, first 2 shown]
	ds_read_b128 v[127:130], v188 offset:1664
	buffer_load_dword v206, off, s[0:3], 0 offset:948
	s_waitcnt vmcnt(59) lgkmcnt(1)
	v_mul_f64 v[175:176], v[1:2], v[155:156]
	v_mul_f64 v[155:156], v[3:4], v[155:156]
	s_waitcnt vmcnt(57)
	v_fma_f64 v[137:138], v[5:6], v[149:150], -v[137:138]
	v_fma_f64 v[149:150], v[7:8], v[149:150], v[209:210]
	ds_read_b128 v[5:8], v188 offset:1680
	v_add_f64 v[133:134], v[133:134], v[193:194]
	v_add_f64 v[131:132], v[131:132], v[151:152]
	s_waitcnt vmcnt(53) lgkmcnt(1)
	v_mul_f64 v[151:152], v[127:128], v[141:142]
	v_mul_f64 v[141:142], v[129:130], v[141:142]
	s_waitcnt vmcnt(52)
	v_fma_f64 v[155:156], v[1:2], v[203:204], -v[155:156]
	v_add_f64 v[133:134], v[133:134], v[137:138]
	v_fma_f64 v[137:138], v[3:4], v[203:204], v[175:176]
	v_add_f64 v[131:132], v[131:132], v[149:150]
	ds_read_b128 v[1:4], v188 offset:1696
	s_waitcnt vmcnt(51) lgkmcnt(1)
	v_mul_f64 v[149:150], v[5:6], v[163:164]
	v_mul_f64 v[163:164], v[7:8], v[163:164]
	s_waitcnt vmcnt(49)
	v_fma_f64 v[141:142], v[127:128], v[159:160], -v[141:142]
	v_fma_f64 v[151:152], v[129:130], v[159:160], v[151:152]
	v_add_f64 v[133:134], v[133:134], v[155:156]
	v_add_f64 v[131:132], v[131:132], v[137:138]
	s_clause 0x3
	buffer_load_dword v137, off, s[0:3], 0 offset:64
	buffer_load_dword v138, off, s[0:3], 0 offset:68
	;; [unrolled: 1-line block ×4, first 2 shown]
	ds_read_b128 v[127:130], v188 offset:1712
	s_waitcnt vmcnt(49) lgkmcnt(1)
	v_mul_f64 v[159:160], v[1:2], v[147:148]
	v_mul_f64 v[147:148], v[3:4], v[147:148]
	s_waitcnt vmcnt(48)
	v_fma_f64 v[163:164], v[5:6], v[195:196], -v[163:164]
	v_add_f64 v[133:134], v[133:134], v[141:142]
	v_fma_f64 v[141:142], v[7:8], v[195:196], v[149:150]
	v_add_f64 v[131:132], v[131:132], v[151:152]
	ds_read_b128 v[5:8], v188 offset:1728
	s_waitcnt vmcnt(47) lgkmcnt(1)
	v_mul_f64 v[151:152], v[129:130], v[169:170]
	v_mul_f64 v[149:150], v[127:128], v[169:170]
	s_waitcnt vmcnt(45)
	v_fma_f64 v[147:148], v[1:2], v[157:158], -v[147:148]
	v_fma_f64 v[157:158], v[3:4], v[157:158], v[159:160]
	ds_read_b128 v[1:4], v188 offset:1744
	v_add_f64 v[133:134], v[133:134], v[163:164]
	v_add_f64 v[131:132], v[131:132], v[141:142]
	s_waitcnt vmcnt(41) lgkmcnt(1)
	v_mul_f64 v[141:142], v[5:6], v[153:154]
	v_mul_f64 v[153:154], v[7:8], v[153:154]
	s_waitcnt vmcnt(40)
	v_fma_f64 v[151:152], v[127:128], v[189:190], -v[151:152]
	v_add_f64 v[133:134], v[133:134], v[147:148]
	v_fma_f64 v[147:148], v[129:130], v[189:190], v[149:150]
	v_add_f64 v[131:132], v[131:132], v[157:158]
	ds_read_b128 v[127:130], v188 offset:1760
	s_waitcnt vmcnt(39) lgkmcnt(1)
	v_mul_f64 v[157:158], v[3:4], v[177:178]
	v_mul_f64 v[149:150], v[1:2], v[177:178]
	s_waitcnt vmcnt(37)
	v_fma_f64 v[153:154], v[5:6], v[165:166], -v[153:154]
	v_fma_f64 v[141:142], v[7:8], v[165:166], v[141:142]
	ds_read_b128 v[5:8], v188 offset:1776
	v_add_f64 v[133:134], v[133:134], v[151:152]
	v_add_f64 v[131:132], v[131:132], v[147:148]
	s_waitcnt vmcnt(33) lgkmcnt(1)
	v_mul_f64 v[151:152], v[129:130], v[161:162]
	s_waitcnt vmcnt(32)
	v_fma_f64 v[157:158], v[1:2], v[183:184], -v[157:158]
	v_mul_f64 v[147:148], v[127:128], v[161:162]
	v_fma_f64 v[149:150], v[3:4], v[183:184], v[149:150]
	ds_read_b128 v[1:4], v188 offset:1792
	v_add_f64 v[133:134], v[133:134], v[153:154]
	v_add_f64 v[131:132], v[131:132], v[141:142]
	s_waitcnt vmcnt(31) lgkmcnt(1)
	v_mul_f64 v[153:154], v[7:8], v[179:180]
	v_mul_f64 v[141:142], v[5:6], v[179:180]
	s_waitcnt vmcnt(29)
	v_fma_f64 v[151:152], v[127:128], v[135:136], -v[151:152]
	v_fma_f64 v[135:136], v[129:130], v[135:136], v[147:148]
	ds_read_b128 v[127:130], v188 offset:1808
	v_add_f64 v[133:134], v[133:134], v[157:158]
	v_add_f64 v[131:132], v[131:132], v[149:150]
	s_waitcnt vmcnt(25) lgkmcnt(1)
	v_mul_f64 v[149:150], v[3:4], v[167:168]
	s_waitcnt vmcnt(24)
	v_fma_f64 v[153:154], v[5:6], v[185:186], -v[153:154]
	v_mul_f64 v[147:148], v[1:2], v[167:168]
	v_fma_f64 v[141:142], v[7:8], v[185:186], v[141:142]
	ds_read_b128 v[5:8], v188 offset:1824
	v_add_f64 v[133:134], v[133:134], v[151:152]
	v_add_f64 v[131:132], v[131:132], v[135:136]
	;; [unrolled: 18-line block ×3, first 2 shown]
	s_waitcnt vmcnt(15) lgkmcnt(1)
	v_mul_f64 v[149:150], v[3:4], v[191:192]
	v_mul_f64 v[147:148], v[1:2], v[191:192]
	s_waitcnt vmcnt(13)
	v_fma_f64 v[153:154], v[5:6], v[145:146], -v[153:154]
	v_fma_f64 v[141:142], v[7:8], v[145:146], v[141:142]
	ds_read_b128 v[5:8], v188 offset:1872
	v_add_f64 v[133:134], v[133:134], v[151:152]
	v_add_f64 v[131:132], v[131:132], v[135:136]
	s_waitcnt vmcnt(9) lgkmcnt(1)
	v_mul_f64 v[135:136], v[127:128], v[139:140]
	v_mul_f64 v[139:140], v[129:130], v[139:140]
	s_waitcnt vmcnt(8)
	v_fma_f64 v[1:2], v[1:2], v[201:202], -v[149:150]
	v_fma_f64 v[3:4], v[3:4], v[201:202], v[147:148]
	v_add_f64 v[133:134], v[133:134], v[153:154]
	v_add_f64 v[131:132], v[131:132], v[141:142]
	s_waitcnt vmcnt(7) lgkmcnt(0)
	v_mul_f64 v[145:146], v[7:8], v[199:200]
	v_mul_f64 v[141:142], v[5:6], v[199:200]
	s_waitcnt vmcnt(5)
	v_fma_f64 v[127:128], v[127:128], v[143:144], -v[139:140]
	v_fma_f64 v[129:130], v[129:130], v[143:144], v[135:136]
	v_add_f64 v[1:2], v[133:134], v[1:2]
	v_add_f64 v[3:4], v[131:132], v[3:4]
	s_waitcnt vmcnt(4)
	v_fma_f64 v[5:6], v[5:6], v[205:206], -v[145:146]
	v_fma_f64 v[7:8], v[7:8], v[205:206], v[141:142]
	v_add_f64 v[1:2], v[1:2], v[127:128]
	v_add_f64 v[3:4], v[3:4], v[129:130]
	;; [unrolled: 1-line block ×4, first 2 shown]
	s_waitcnt vmcnt(2)
	v_add_f64 v[1:2], v[137:138], -v[1:2]
	s_waitcnt vmcnt(0)
	v_add_f64 v[3:4], v[155:156], -v[3:4]
	buffer_store_dword v2, off, s[0:3], 0 offset:68
	buffer_store_dword v1, off, s[0:3], 0 offset:64
	;; [unrolled: 1-line block ×4, first 2 shown]
	v_cmpx_lt_u32_e32 2, v0
	s_cbranch_execz .LBB122_363
; %bb.362:
	v_mov_b32_e32 v4, s69
	s_clause 0x3
	buffer_load_dword v1, v4, s[0:3], 0 offen
	buffer_load_dword v2, v4, s[0:3], 0 offen offset:4
	buffer_load_dword v3, v4, s[0:3], 0 offen offset:8
	buffer_load_dword v4, v4, s[0:3], 0 offen offset:12
	buffer_store_dword v188, off, s[0:3], 0 offset:48
	buffer_store_dword v188, off, s[0:3], 0 offset:52
	;; [unrolled: 1-line block ×4, first 2 shown]
	s_waitcnt vmcnt(0)
	ds_write_b128 v187, v[1:4]
.LBB122_363:
	s_or_b32 exec_lo, exec_lo, s4
	s_waitcnt lgkmcnt(0)
	s_waitcnt_vscnt null, 0x0
	s_barrier
	buffer_gl0_inv
	s_clause 0x37
	buffer_load_dword v135, off, s[0:3], 0 offset:72
	buffer_load_dword v136, off, s[0:3], 0 offset:76
	;; [unrolled: 1-line block ×56, first 2 shown]
	ds_read_b128 v[5:8], v188 offset:992
	s_clause 0x2
	buffer_load_dword v184, off, s[0:3], 0 offset:300
	buffer_load_dword v186, off, s[0:3], 0 offset:276
	;; [unrolled: 1-line block ×3, first 2 shown]
	ds_read_b128 v[1:4], v188 offset:1008
	s_clause 0x4
	buffer_load_dword v196, off, s[0:3], 0 offset:316
	buffer_load_dword v197, off, s[0:3], 0 offset:328
	;; [unrolled: 1-line block ×5, first 2 shown]
	ds_read_b128 v[189:192], v188 offset:1024
	s_mov_b32 s4, exec_lo
	s_waitcnt vmcnt(62) lgkmcnt(2)
	v_mul_f64 v[193:194], v[7:8], v[135:136]
	v_mul_f64 v[135:136], v[5:6], v[135:136]
	s_waitcnt vmcnt(60) lgkmcnt(1)
	v_mul_f64 v[200:201], v[3:4], v[131:132]
	v_mul_f64 v[131:132], v[1:2], v[131:132]
	;; [unrolled: 3-line block ×3, first 2 shown]
	v_fma_f64 v[193:194], v[5:6], v[133:134], -v[193:194]
	v_fma_f64 v[133:134], v[7:8], v[133:134], v[135:136]
	s_clause 0x2
	buffer_load_dword v198, off, s[0:3], 0 offset:332
	buffer_load_dword v136, off, s[0:3], 0 offset:308
	;; [unrolled: 1-line block ×3, first 2 shown]
	s_waitcnt vmcnt(57)
	v_fma_f64 v[204:205], v[1:2], v[127:128], -v[200:201]
	ds_read_b128 v[5:8], v188 offset:1040
	v_fma_f64 v[127:128], v[3:4], v[127:128], v[131:132]
	s_waitcnt vmcnt(51)
	v_fma_f64 v[189:190], v[189:190], v[151:152], -v[129:130]
	v_fma_f64 v[151:152], v[191:192], v[151:152], v[202:203]
	v_add_f64 v[193:194], v[193:194], 0
	v_add_f64 v[131:132], v[133:134], 0
	s_clause 0x4
	buffer_load_dword v134, off, s[0:3], 0 offset:348
	buffer_load_dword v201, off, s[0:3], 0 offset:360
	;; [unrolled: 1-line block ×5, first 2 shown]
	s_waitcnt lgkmcnt(0)
	v_mul_f64 v[207:208], v[5:6], v[139:140]
	v_mul_f64 v[139:140], v[7:8], v[139:140]
	ds_read_b128 v[1:4], v188 offset:1056
	s_clause 0x2
	buffer_load_dword v202, off, s[0:3], 0 offset:364
	buffer_load_dword v192, off, s[0:3], 0 offset:340
	;; [unrolled: 1-line block ×3, first 2 shown]
	v_add_f64 v[193:194], v[193:194], v[204:205]
	v_add_f64 v[131:132], v[131:132], v[127:128]
	ds_read_b128 v[127:130], v188 offset:1072
	s_waitcnt vmcnt(58) lgkmcnt(1)
	v_mul_f64 v[203:204], v[1:2], v[143:144]
	v_mul_f64 v[143:144], v[3:4], v[143:144]
	s_waitcnt vmcnt(56)
	v_fma_f64 v[139:140], v[5:6], v[145:146], -v[139:140]
	v_fma_f64 v[145:146], v[7:8], v[145:146], v[207:208]
	s_waitcnt vmcnt(52) lgkmcnt(0)
	v_mul_f64 v[209:210], v[127:128], v[147:148]
	v_add_f64 v[189:190], v[193:194], v[189:190]
	v_add_f64 v[131:132], v[131:132], v[151:152]
	s_clause 0x4
	buffer_load_dword v152, off, s[0:3], 0 offset:380
	buffer_load_dword v193, off, s[0:3], 0 offset:392
	;; [unrolled: 1-line block ×5, first 2 shown]
	v_mul_f64 v[147:148], v[129:130], v[147:148]
	s_waitcnt vmcnt(56)
	v_fma_f64 v[143:144], v[1:2], v[137:138], -v[143:144]
	ds_read_b128 v[5:8], v188 offset:1088
	v_fma_f64 v[137:138], v[3:4], v[137:138], v[203:204]
	v_add_f64 v[139:140], v[189:190], v[139:140]
	v_add_f64 v[131:132], v[131:132], v[145:146]
	s_clause 0x2
	buffer_load_dword v194, off, s[0:3], 0 offset:396
	buffer_load_dword v146, off, s[0:3], 0 offset:372
	;; [unrolled: 1-line block ×3, first 2 shown]
	s_waitcnt vmcnt(58) lgkmcnt(0)
	v_mul_f64 v[189:190], v[5:6], v[153:154]
	v_mul_f64 v[153:154], v[7:8], v[153:154]
	s_waitcnt vmcnt(56)
	v_fma_f64 v[147:148], v[127:128], v[155:156], -v[147:148]
	ds_read_b128 v[1:4], v188 offset:1104
	v_add_f64 v[139:140], v[139:140], v[143:144]
	v_fma_f64 v[143:144], v[129:130], v[155:156], v[209:210]
	v_add_f64 v[131:132], v[131:132], v[137:138]
	s_clause 0x4
	buffer_load_dword v138, off, s[0:3], 0 offset:412
	buffer_load_dword v155, off, s[0:3], 0 offset:424
	;; [unrolled: 1-line block ×5, first 2 shown]
	s_waitcnt vmcnt(57) lgkmcnt(0)
	v_mul_f64 v[204:205], v[1:2], v[157:158]
	v_mul_f64 v[157:158], v[3:4], v[157:158]
	s_waitcnt vmcnt(56)
	v_fma_f64 v[153:154], v[5:6], v[141:142], -v[153:154]
	ds_read_b128 v[127:130], v188 offset:1120
	v_fma_f64 v[141:142], v[7:8], v[141:142], v[189:190]
	v_add_f64 v[139:140], v[139:140], v[147:148]
	v_add_f64 v[131:132], v[131:132], v[143:144]
	s_clause 0x2
	buffer_load_dword v156, off, s[0:3], 0 offset:428
	buffer_load_dword v144, off, s[0:3], 0 offset:404
	;; [unrolled: 1-line block ×3, first 2 shown]
	ds_read_b128 v[5:8], v188 offset:1136
	s_waitcnt vmcnt(58) lgkmcnt(1)
	v_mul_f64 v[147:148], v[127:128], v[161:162]
	v_mul_f64 v[161:162], v[129:130], v[161:162]
	s_waitcnt vmcnt(56)
	v_fma_f64 v[157:158], v[1:2], v[163:164], -v[157:158]
	v_add_f64 v[139:140], v[139:140], v[153:154]
	v_fma_f64 v[153:154], v[3:4], v[163:164], v[204:205]
	v_add_f64 v[131:132], v[131:132], v[141:142]
	s_clause 0x4
	buffer_load_dword v142, off, s[0:3], 0 offset:444
	buffer_load_dword v163, off, s[0:3], 0 offset:456
	buffer_load_dword v189, off, s[0:3], 0 offset:448
	buffer_load_dword v141, off, s[0:3], 0 offset:440
	buffer_load_dword v204, off, s[0:3], 0 offset:420
	s_waitcnt vmcnt(57) lgkmcnt(0)
	v_mul_f64 v[210:211], v[5:6], v[165:166]
	v_mul_f64 v[165:166], v[7:8], v[165:166]
	s_waitcnt vmcnt(56)
	v_fma_f64 v[161:162], v[127:128], v[149:150], -v[161:162]
	ds_read_b128 v[1:4], v188 offset:1152
	v_fma_f64 v[147:148], v[129:130], v[149:150], v[147:148]
	s_clause 0x2
	buffer_load_dword v164, off, s[0:3], 0 offset:460
	buffer_load_dword v150, off, s[0:3], 0 offset:436
	;; [unrolled: 1-line block ×3, first 2 shown]
	ds_read_b128 v[127:130], v188 offset:1168
	v_add_f64 v[139:140], v[139:140], v[157:158]
	v_add_f64 v[131:132], v[131:132], v[153:154]
	s_waitcnt vmcnt(58) lgkmcnt(1)
	v_mul_f64 v[157:158], v[3:4], v[169:170]
	s_waitcnt vmcnt(56)
	v_fma_f64 v[165:166], v[5:6], v[171:172], -v[165:166]
	v_mul_f64 v[153:154], v[1:2], v[169:170]
	v_add_f64 v[139:140], v[139:140], v[161:162]
	v_fma_f64 v[161:162], v[7:8], v[171:172], v[210:211]
	v_add_f64 v[131:132], v[131:132], v[147:148]
	s_clause 0x4
	buffer_load_dword v148, off, s[0:3], 0 offset:476
	buffer_load_dword v169, off, s[0:3], 0 offset:488
	;; [unrolled: 1-line block ×5, first 2 shown]
	s_waitcnt vmcnt(57) lgkmcnt(0)
	v_mul_f64 v[210:211], v[127:128], v[173:174]
	v_mul_f64 v[172:173], v[129:130], v[173:174]
	s_waitcnt vmcnt(56)
	v_fma_f64 v[157:158], v[1:2], v[159:160], -v[157:158]
	ds_read_b128 v[5:8], v188 offset:1184
	v_fma_f64 v[153:154], v[3:4], v[159:160], v[153:154]
	s_clause 0x2
	buffer_load_dword v170, off, s[0:3], 0 offset:492
	buffer_load_dword v160, off, s[0:3], 0 offset:468
	;; [unrolled: 1-line block ×3, first 2 shown]
	ds_read_b128 v[1:4], v188 offset:1200
	v_add_f64 v[139:140], v[139:140], v[165:166]
	v_add_f64 v[131:132], v[131:132], v[161:162]
	s_waitcnt vmcnt(58) lgkmcnt(1)
	v_mul_f64 v[165:166], v[7:8], v[177:178]
	s_waitcnt vmcnt(56)
	v_fma_f64 v[173:174], v[127:128], v[179:180], -v[172:173]
	v_mul_f64 v[161:162], v[5:6], v[177:178]
	v_add_f64 v[139:140], v[139:140], v[157:158]
	v_fma_f64 v[157:158], v[129:130], v[179:180], v[210:211]
	v_add_f64 v[131:132], v[131:132], v[153:154]
	s_clause 0x4
	buffer_load_dword v154, off, s[0:3], 0 offset:508
	buffer_load_dword v177, off, s[0:3], 0 offset:520
	;; [unrolled: 1-line block ×5, first 2 shown]
	s_waitcnt vmcnt(57) lgkmcnt(0)
	v_mul_f64 v[210:211], v[1:2], v[181:182]
	v_mul_f64 v[180:181], v[3:4], v[181:182]
	s_waitcnt vmcnt(56)
	v_fma_f64 v[165:166], v[5:6], v[167:168], -v[165:166]
	ds_read_b128 v[127:130], v188 offset:1216
	v_fma_f64 v[161:162], v[7:8], v[167:168], v[161:162]
	v_add_f64 v[139:140], v[139:140], v[173:174]
	v_add_f64 v[131:132], v[131:132], v[157:158]
	s_clause 0x2
	buffer_load_dword v178, off, s[0:3], 0 offset:524
	buffer_load_dword v158, off, s[0:3], 0 offset:500
	;; [unrolled: 1-line block ×3, first 2 shown]
	ds_read_b128 v[5:8], v188 offset:1232
	s_waitcnt vmcnt(58) lgkmcnt(1)
	v_mul_f64 v[173:174], v[129:130], v[183:184]
	s_waitcnt vmcnt(56)
	v_fma_f64 v[181:182], v[1:2], v[185:186], -v[180:181]
	v_mul_f64 v[167:168], v[127:128], v[183:184]
	v_add_f64 v[139:140], v[139:140], v[165:166]
	v_fma_f64 v[165:166], v[3:4], v[185:186], v[210:211]
	v_add_f64 v[131:132], v[131:132], v[161:162]
	s_clause 0x4
	buffer_load_dword v162, off, s[0:3], 0 offset:540
	buffer_load_dword v183, off, s[0:3], 0 offset:552
	;; [unrolled: 1-line block ×5, first 2 shown]
	s_waitcnt vmcnt(57) lgkmcnt(0)
	v_mul_f64 v[210:211], v[5:6], v[195:196]
	v_mul_f64 v[195:196], v[7:8], v[195:196]
	s_waitcnt vmcnt(56)
	v_fma_f64 v[173:174], v[127:128], v[175:176], -v[173:174]
	ds_read_b128 v[1:4], v188 offset:1248
	v_fma_f64 v[167:168], v[129:130], v[175:176], v[167:168]
	v_add_f64 v[139:140], v[139:140], v[181:182]
	v_add_f64 v[131:132], v[131:132], v[165:166]
	s_clause 0x2
	buffer_load_dword v184, off, s[0:3], 0 offset:556
	buffer_load_dword v166, off, s[0:3], 0 offset:532
	;; [unrolled: 1-line block ×3, first 2 shown]
	ds_read_b128 v[127:130], v188 offset:1264
	s_waitcnt vmcnt(58) lgkmcnt(1)
	v_mul_f64 v[181:182], v[3:4], v[197:198]
	v_mul_f64 v[175:176], v[1:2], v[197:198]
	s_waitcnt vmcnt(56)
	v_fma_f64 v[195:196], v[5:6], v[135:136], -v[195:196]
	v_fma_f64 v[135:136], v[7:8], v[135:136], v[210:211]
	v_add_f64 v[139:140], v[139:140], v[173:174]
	v_add_f64 v[131:132], v[131:132], v[167:168]
	s_clause 0x4
	buffer_load_dword v168, off, s[0:3], 0 offset:572
	buffer_load_dword v173, off, s[0:3], 0 offset:584
	;; [unrolled: 1-line block ×5, first 2 shown]
	ds_read_b128 v[5:8], v188 offset:1280
	s_waitcnt vmcnt(57) lgkmcnt(1)
	v_mul_f64 v[210:211], v[127:128], v[133:134]
	v_mul_f64 v[133:134], v[129:130], v[133:134]
	s_waitcnt vmcnt(56)
	v_fma_f64 v[181:182], v[1:2], v[199:200], -v[181:182]
	v_fma_f64 v[175:176], v[3:4], v[199:200], v[175:176]
	v_add_f64 v[139:140], v[139:140], v[195:196]
	v_add_f64 v[131:132], v[131:132], v[135:136]
	s_clause 0x2
	buffer_load_dword v174, off, s[0:3], 0 offset:588
	buffer_load_dword v136, off, s[0:3], 0 offset:564
	;; [unrolled: 1-line block ×3, first 2 shown]
	s_waitcnt vmcnt(58) lgkmcnt(0)
	v_mul_f64 v[199:200], v[7:8], v[201:202]
	ds_read_b128 v[1:4], v188 offset:1296
	v_mul_f64 v[195:196], v[5:6], v[201:202]
	s_waitcnt vmcnt(56)
	v_fma_f64 v[133:134], v[127:128], v[191:192], -v[133:134]
	v_add_f64 v[139:140], v[139:140], v[181:182]
	v_fma_f64 v[181:182], v[129:130], v[191:192], v[210:211]
	v_add_f64 v[131:132], v[131:132], v[175:176]
	s_clause 0x4
	buffer_load_dword v176, off, s[0:3], 0 offset:604
	buffer_load_dword v191, off, s[0:3], 0 offset:616
	;; [unrolled: 1-line block ×5, first 2 shown]
	ds_read_b128 v[127:130], v188 offset:1312
	s_waitcnt vmcnt(57) lgkmcnt(1)
	v_mul_f64 v[210:211], v[1:2], v[151:152]
	v_mul_f64 v[151:152], v[3:4], v[151:152]
	s_waitcnt vmcnt(56)
	v_fma_f64 v[199:200], v[5:6], v[206:207], -v[199:200]
	v_add_f64 v[133:134], v[139:140], v[133:134]
	v_fma_f64 v[139:140], v[7:8], v[206:207], v[195:196]
	v_add_f64 v[131:132], v[131:132], v[181:182]
	s_clause 0x2
	buffer_load_dword v192, off, s[0:3], 0 offset:620
	buffer_load_dword v182, off, s[0:3], 0 offset:596
	buffer_load_dword v181, off, s[0:3], 0 offset:592
	ds_read_b128 v[5:8], v188 offset:1328
	s_waitcnt vmcnt(58) lgkmcnt(1)
	v_mul_f64 v[195:196], v[127:128], v[193:194]
	v_mul_f64 v[193:194], v[129:130], v[193:194]
	s_waitcnt vmcnt(56)
	v_fma_f64 v[151:152], v[1:2], v[145:146], -v[151:152]
	v_fma_f64 v[145:146], v[3:4], v[145:146], v[210:211]
	v_add_f64 v[133:134], v[133:134], v[199:200]
	v_add_f64 v[131:132], v[131:132], v[139:140]
	s_clause 0x4
	buffer_load_dword v140, off, s[0:3], 0 offset:636
	buffer_load_dword v199, off, s[0:3], 0 offset:648
	;; [unrolled: 1-line block ×5, first 2 shown]
	ds_read_b128 v[1:4], v188 offset:1344
	s_waitcnt vmcnt(57) lgkmcnt(1)
	v_mul_f64 v[206:207], v[5:6], v[137:138]
	v_mul_f64 v[137:138], v[7:8], v[137:138]
	s_waitcnt vmcnt(56)
	v_fma_f64 v[193:194], v[127:128], v[208:209], -v[193:194]
	v_add_f64 v[133:134], v[133:134], v[151:152]
	v_fma_f64 v[151:152], v[129:130], v[208:209], v[195:196]
	v_add_f64 v[131:132], v[131:132], v[145:146]
	s_clause 0x2
	buffer_load_dword v200, off, s[0:3], 0 offset:652
	buffer_load_dword v146, off, s[0:3], 0 offset:628
	;; [unrolled: 1-line block ×3, first 2 shown]
	ds_read_b128 v[127:130], v188 offset:1360
	s_waitcnt vmcnt(58) lgkmcnt(1)
	v_mul_f64 v[195:196], v[1:2], v[155:156]
	v_mul_f64 v[155:156], v[3:4], v[155:156]
	s_waitcnt vmcnt(56)
	v_fma_f64 v[137:138], v[5:6], v[143:144], -v[137:138]
	v_fma_f64 v[143:144], v[7:8], v[143:144], v[206:207]
	v_add_f64 v[133:134], v[133:134], v[193:194]
	v_add_f64 v[131:132], v[131:132], v[151:152]
	s_clause 0x4
	buffer_load_dword v152, off, s[0:3], 0 offset:668
	buffer_load_dword v193, off, s[0:3], 0 offset:680
	;; [unrolled: 1-line block ×5, first 2 shown]
	ds_read_b128 v[5:8], v188 offset:1376
	s_waitcnt vmcnt(57) lgkmcnt(1)
	v_mul_f64 v[208:209], v[127:128], v[141:142]
	v_mul_f64 v[141:142], v[129:130], v[141:142]
	s_waitcnt vmcnt(56)
	v_fma_f64 v[155:156], v[1:2], v[203:204], -v[155:156]
	v_add_f64 v[133:134], v[133:134], v[137:138]
	v_fma_f64 v[137:138], v[3:4], v[203:204], v[195:196]
	v_add_f64 v[131:132], v[131:132], v[143:144]
	s_clause 0x2
	buffer_load_dword v194, off, s[0:3], 0 offset:684
	buffer_load_dword v144, off, s[0:3], 0 offset:660
	buffer_load_dword v143, off, s[0:3], 0 offset:656
	s_waitcnt vmcnt(58) lgkmcnt(0)
	v_mul_f64 v[195:196], v[5:6], v[163:164]
	v_mul_f64 v[163:164], v[7:8], v[163:164]
	ds_read_b128 v[1:4], v188 offset:1392
	s_waitcnt vmcnt(56)
	v_fma_f64 v[141:142], v[127:128], v[149:150], -v[141:142]
	v_fma_f64 v[149:150], v[129:130], v[149:150], v[208:209]
	v_add_f64 v[133:134], v[133:134], v[155:156]
	v_add_f64 v[131:132], v[131:132], v[137:138]
	s_clause 0x4
	buffer_load_dword v138, off, s[0:3], 0 offset:700
	buffer_load_dword v155, off, s[0:3], 0 offset:712
	;; [unrolled: 1-line block ×5, first 2 shown]
	ds_read_b128 v[127:130], v188 offset:1408
	s_waitcnt vmcnt(57) lgkmcnt(1)
	v_mul_f64 v[209:210], v[1:2], v[147:148]
	v_mul_f64 v[147:148], v[3:4], v[147:148]
	s_waitcnt vmcnt(56)
	v_fma_f64 v[163:164], v[5:6], v[189:190], -v[163:164]
	v_add_f64 v[133:134], v[133:134], v[141:142]
	v_fma_f64 v[141:142], v[7:8], v[189:190], v[195:196]
	v_add_f64 v[131:132], v[131:132], v[149:150]
	s_clause 0x2
	buffer_load_dword v156, off, s[0:3], 0 offset:716
	buffer_load_dword v150, off, s[0:3], 0 offset:692
	;; [unrolled: 1-line block ×3, first 2 shown]
	s_waitcnt vmcnt(58) lgkmcnt(0)
	v_mul_f64 v[189:190], v[127:128], v[169:170]
	v_mul_f64 v[169:170], v[129:130], v[169:170]
	ds_read_b128 v[5:8], v188 offset:1424
	s_waitcnt vmcnt(56)
	v_fma_f64 v[147:148], v[1:2], v[159:160], -v[147:148]
	v_fma_f64 v[159:160], v[3:4], v[159:160], v[209:210]
	v_add_f64 v[133:134], v[133:134], v[163:164]
	v_add_f64 v[131:132], v[131:132], v[141:142]
	s_clause 0x4
	buffer_load_dword v142, off, s[0:3], 0 offset:732
	buffer_load_dword v163, off, s[0:3], 0 offset:744
	buffer_load_dword v195, off, s[0:3], 0 offset:736
	buffer_load_dword v141, off, s[0:3], 0 offset:728
	buffer_load_dword v204, off, s[0:3], 0 offset:708
	ds_read_b128 v[1:4], v188 offset:1440
	s_waitcnt vmcnt(57) lgkmcnt(1)
	v_mul_f64 v[209:210], v[5:6], v[153:154]
	v_mul_f64 v[153:154], v[7:8], v[153:154]
	s_waitcnt vmcnt(56)
	v_fma_f64 v[169:170], v[127:128], v[171:172], -v[169:170]
	v_add_f64 v[133:134], v[133:134], v[147:148]
	v_fma_f64 v[147:148], v[129:130], v[171:172], v[189:190]
	v_add_f64 v[131:132], v[131:132], v[159:160]
	s_clause 0x2
	buffer_load_dword v164, off, s[0:3], 0 offset:748
	buffer_load_dword v160, off, s[0:3], 0 offset:724
	buffer_load_dword v159, off, s[0:3], 0 offset:720
	ds_read_b128 v[127:130], v188 offset:1456
	s_waitcnt vmcnt(58) lgkmcnt(1)
	v_mul_f64 v[171:172], v[1:2], v[177:178]
	v_mul_f64 v[177:178], v[3:4], v[177:178]
	s_waitcnt vmcnt(56)
	v_fma_f64 v[153:154], v[5:6], v[157:158], -v[153:154]
	v_fma_f64 v[157:158], v[7:8], v[157:158], v[209:210]
	v_add_f64 v[133:134], v[133:134], v[169:170]
	v_add_f64 v[131:132], v[131:132], v[147:148]
	s_clause 0x4
	buffer_load_dword v148, off, s[0:3], 0 offset:764
	buffer_load_dword v169, off, s[0:3], 0 offset:776
	buffer_load_dword v189, off, s[0:3], 0 offset:768
	buffer_load_dword v147, off, s[0:3], 0 offset:760
	buffer_load_dword v196, off, s[0:3], 0 offset:740
	ds_read_b128 v[5:8], v188 offset:1472
	s_waitcnt vmcnt(57) lgkmcnt(1)
	v_mul_f64 v[209:210], v[127:128], v[161:162]
	v_mul_f64 v[161:162], v[129:130], v[161:162]
	s_waitcnt vmcnt(56)
	v_fma_f64 v[177:178], v[1:2], v[179:180], -v[177:178]
	v_add_f64 v[133:134], v[133:134], v[153:154]
	v_fma_f64 v[153:154], v[3:4], v[179:180], v[171:172]
	v_add_f64 v[131:132], v[131:132], v[157:158]
	s_clause 0x2
	buffer_load_dword v170, off, s[0:3], 0 offset:780
	buffer_load_dword v158, off, s[0:3], 0 offset:756
	buffer_load_dword v157, off, s[0:3], 0 offset:752
	ds_read_b128 v[1:4], v188 offset:1488
	s_waitcnt vmcnt(58) lgkmcnt(1)
	v_mul_f64 v[179:180], v[7:8], v[183:184]
	v_mul_f64 v[171:172], v[5:6], v[183:184]
	;; [unrolled: 28-line block ×4, first 2 shown]
	s_waitcnt vmcnt(56)
	v_fma_f64 v[175:176], v[5:6], v[181:182], -v[175:176]
	v_add_f64 v[133:134], v[133:134], v[173:174]
	v_fma_f64 v[173:174], v[7:8], v[181:182], v[209:210]
	v_add_f64 v[131:132], v[131:132], v[167:168]
	s_clause 0x4
	buffer_load_dword v168, off, s[0:3], 0 offset:860
	buffer_load_dword v181, off, s[0:3], 0 offset:872
	;; [unrolled: 1-line block ×5, first 2 shown]
	ds_read_b128 v[5:8], v188 offset:1568
	s_waitcnt vmcnt(57) lgkmcnt(1)
	v_mul_f64 v[209:210], v[127:128], v[139:140]
	v_mul_f64 v[139:140], v[129:130], v[139:140]
	s_waitcnt vmcnt(56)
	v_fma_f64 v[191:192], v[1:2], v[201:202], -v[191:192]
	v_fma_f64 v[171:172], v[3:4], v[201:202], v[171:172]
	v_add_f64 v[133:134], v[133:134], v[175:176]
	v_add_f64 v[131:132], v[131:132], v[173:174]
	s_clause 0x2
	buffer_load_dword v182, off, s[0:3], 0 offset:876
	buffer_load_dword v174, off, s[0:3], 0 offset:852
	;; [unrolled: 1-line block ×3, first 2 shown]
	ds_read_b128 v[1:4], v188 offset:1584
	s_waitcnt vmcnt(58) lgkmcnt(1)
	v_mul_f64 v[175:176], v[5:6], v[199:200]
	v_mul_f64 v[199:200], v[7:8], v[199:200]
	s_waitcnt vmcnt(56)
	v_fma_f64 v[139:140], v[127:128], v[145:146], -v[139:140]
	v_fma_f64 v[145:146], v[129:130], v[145:146], v[209:210]
	v_add_f64 v[133:134], v[133:134], v[191:192]
	v_add_f64 v[131:132], v[131:132], v[171:172]
	s_clause 0x4
	buffer_load_dword v172, off, s[0:3], 0 offset:892
	buffer_load_dword v191, off, s[0:3], 0 offset:904
	;; [unrolled: 1-line block ×5, first 2 shown]
	ds_read_b128 v[127:130], v188 offset:1600
	s_waitcnt vmcnt(57) lgkmcnt(1)
	v_mul_f64 v[209:210], v[1:2], v[151:152]
	v_mul_f64 v[151:152], v[3:4], v[151:152]
	s_waitcnt vmcnt(56)
	v_fma_f64 v[199:200], v[5:6], v[205:206], -v[199:200]
	v_add_f64 v[133:134], v[133:134], v[139:140]
	v_fma_f64 v[139:140], v[7:8], v[205:206], v[175:176]
	v_add_f64 v[131:132], v[131:132], v[145:146]
	s_clause 0x2
	buffer_load_dword v192, off, s[0:3], 0 offset:908
	buffer_load_dword v146, off, s[0:3], 0 offset:884
	;; [unrolled: 1-line block ×3, first 2 shown]
	ds_read_b128 v[5:8], v188 offset:1616
	s_waitcnt vmcnt(58) lgkmcnt(1)
	v_mul_f64 v[175:176], v[127:128], v[193:194]
	v_mul_f64 v[193:194], v[129:130], v[193:194]
	s_waitcnt vmcnt(56)
	v_fma_f64 v[151:152], v[1:2], v[143:144], -v[151:152]
	v_fma_f64 v[143:144], v[3:4], v[143:144], v[209:210]
	v_add_f64 v[133:134], v[133:134], v[199:200]
	v_add_f64 v[131:132], v[131:132], v[139:140]
	s_clause 0x4
	buffer_load_dword v140, off, s[0:3], 0 offset:924
	buffer_load_dword v199, off, s[0:3], 0 offset:936
	;; [unrolled: 1-line block ×5, first 2 shown]
	ds_read_b128 v[1:4], v188 offset:1632
	s_waitcnt vmcnt(57) lgkmcnt(1)
	v_mul_f64 v[209:210], v[5:6], v[137:138]
	v_mul_f64 v[137:138], v[7:8], v[137:138]
	s_waitcnt vmcnt(56)
	v_fma_f64 v[193:194], v[127:128], v[207:208], -v[193:194]
	v_add_f64 v[133:134], v[133:134], v[151:152]
	v_fma_f64 v[151:152], v[129:130], v[207:208], v[175:176]
	v_add_f64 v[131:132], v[131:132], v[143:144]
	s_clause 0x2
	buffer_load_dword v200, off, s[0:3], 0 offset:940
	buffer_load_dword v144, off, s[0:3], 0 offset:916
	;; [unrolled: 1-line block ×3, first 2 shown]
	ds_read_b128 v[127:130], v188 offset:1648
	s_waitcnt vmcnt(58) lgkmcnt(1)
	v_mul_f64 v[175:176], v[1:2], v[155:156]
	v_mul_f64 v[155:156], v[3:4], v[155:156]
	s_waitcnt vmcnt(56)
	v_fma_f64 v[137:138], v[5:6], v[149:150], -v[137:138]
	v_fma_f64 v[149:150], v[7:8], v[149:150], v[209:210]
	v_add_f64 v[133:134], v[133:134], v[193:194]
	v_add_f64 v[131:132], v[131:132], v[151:152]
	s_clause 0x2
	buffer_load_dword v152, off, s[0:3], 0 offset:956
	buffer_load_dword v151, off, s[0:3], 0 offset:952
	;; [unrolled: 1-line block ×3, first 2 shown]
	ds_read_b128 v[5:8], v188 offset:1664
	s_waitcnt vmcnt(55) lgkmcnt(1)
	v_mul_f64 v[193:194], v[127:128], v[141:142]
	v_mul_f64 v[141:142], v[129:130], v[141:142]
	s_waitcnt vmcnt(54)
	v_fma_f64 v[155:156], v[1:2], v[203:204], -v[155:156]
	v_add_f64 v[133:134], v[133:134], v[137:138]
	v_fma_f64 v[137:138], v[3:4], v[203:204], v[175:176]
	v_add_f64 v[131:132], v[131:132], v[149:150]
	s_clause 0x1
	buffer_load_dword v150, off, s[0:3], 0 offset:948
	buffer_load_dword v149, off, s[0:3], 0 offset:944
	ds_read_b128 v[1:4], v188 offset:1680
	s_waitcnt vmcnt(55) lgkmcnt(1)
	v_mul_f64 v[175:176], v[5:6], v[163:164]
	v_mul_f64 v[163:164], v[7:8], v[163:164]
	s_waitcnt vmcnt(53)
	v_fma_f64 v[141:142], v[127:128], v[159:160], -v[141:142]
	v_add_f64 v[133:134], v[133:134], v[155:156]
	v_fma_f64 v[155:156], v[129:130], v[159:160], v[193:194]
	v_add_f64 v[131:132], v[131:132], v[137:138]
	ds_read_b128 v[127:130], v188 offset:1696
	s_waitcnt vmcnt(49) lgkmcnt(1)
	v_mul_f64 v[137:138], v[1:2], v[147:148]
	v_mul_f64 v[147:148], v[3:4], v[147:148]
	s_waitcnt vmcnt(48)
	v_fma_f64 v[159:160], v[5:6], v[195:196], -v[163:164]
	v_add_f64 v[133:134], v[133:134], v[141:142]
	v_fma_f64 v[141:142], v[7:8], v[195:196], v[175:176]
	v_add_f64 v[131:132], v[131:132], v[155:156]
	s_clause 0x3
	buffer_load_dword v155, off, s[0:3], 0 offset:48
	buffer_load_dword v156, off, s[0:3], 0 offset:52
	;; [unrolled: 1-line block ×4, first 2 shown]
	ds_read_b128 v[5:8], v188 offset:1712
	s_waitcnt vmcnt(51) lgkmcnt(1)
	v_mul_f64 v[175:176], v[127:128], v[169:170]
	v_mul_f64 v[169:170], v[129:130], v[169:170]
	s_waitcnt vmcnt(49)
	v_fma_f64 v[147:148], v[1:2], v[157:158], -v[147:148]
	v_fma_f64 v[137:138], v[3:4], v[157:158], v[137:138]
	ds_read_b128 v[1:4], v188 offset:1728
	v_add_f64 v[133:134], v[133:134], v[159:160]
	v_add_f64 v[131:132], v[131:132], v[141:142]
	s_waitcnt vmcnt(45) lgkmcnt(1)
	v_mul_f64 v[141:142], v[5:6], v[153:154]
	v_mul_f64 v[153:154], v[7:8], v[153:154]
	s_waitcnt vmcnt(44)
	v_fma_f64 v[157:158], v[127:128], v[189:190], -v[169:170]
	v_add_f64 v[133:134], v[133:134], v[147:148]
	v_fma_f64 v[147:148], v[129:130], v[189:190], v[175:176]
	v_add_f64 v[131:132], v[131:132], v[137:138]
	ds_read_b128 v[127:130], v188 offset:1744
	s_waitcnt vmcnt(43) lgkmcnt(1)
	v_mul_f64 v[159:160], v[3:4], v[177:178]
	v_mul_f64 v[137:138], v[1:2], v[177:178]
	s_waitcnt vmcnt(41)
	v_fma_f64 v[153:154], v[5:6], v[165:166], -v[153:154]
	v_fma_f64 v[141:142], v[7:8], v[165:166], v[141:142]
	ds_read_b128 v[5:8], v188 offset:1760
	v_add_f64 v[133:134], v[133:134], v[157:158]
	v_add_f64 v[131:132], v[131:132], v[147:148]
	s_waitcnt vmcnt(37) lgkmcnt(1)
	v_mul_f64 v[157:158], v[129:130], v[161:162]
	s_waitcnt vmcnt(36)
	v_fma_f64 v[159:160], v[1:2], v[183:184], -v[159:160]
	v_mul_f64 v[147:148], v[127:128], v[161:162]
	v_fma_f64 v[137:138], v[3:4], v[183:184], v[137:138]
	ds_read_b128 v[1:4], v188 offset:1776
	v_add_f64 v[133:134], v[133:134], v[153:154]
	v_add_f64 v[131:132], v[131:132], v[141:142]
	s_waitcnt vmcnt(35) lgkmcnt(1)
	v_mul_f64 v[153:154], v[7:8], v[179:180]
	v_mul_f64 v[141:142], v[5:6], v[179:180]
	s_waitcnt vmcnt(33)
	v_fma_f64 v[157:158], v[127:128], v[135:136], -v[157:158]
	v_fma_f64 v[135:136], v[129:130], v[135:136], v[147:148]
	ds_read_b128 v[127:130], v188 offset:1792
	v_add_f64 v[133:134], v[133:134], v[159:160]
	v_add_f64 v[131:132], v[131:132], v[137:138]
	s_waitcnt vmcnt(29) lgkmcnt(1)
	v_mul_f64 v[147:148], v[3:4], v[167:168]
	s_waitcnt vmcnt(28)
	v_fma_f64 v[153:154], v[5:6], v[185:186], -v[153:154]
	v_mul_f64 v[137:138], v[1:2], v[167:168]
	v_fma_f64 v[141:142], v[7:8], v[185:186], v[141:142]
	ds_read_b128 v[5:8], v188 offset:1808
	v_add_f64 v[133:134], v[133:134], v[157:158]
	v_add_f64 v[131:132], v[131:132], v[135:136]
	;; [unrolled: 18-line block ×3, first 2 shown]
	s_waitcnt vmcnt(19) lgkmcnt(1)
	v_mul_f64 v[147:148], v[3:4], v[191:192]
	v_mul_f64 v[137:138], v[1:2], v[191:192]
	s_waitcnt vmcnt(17)
	v_fma_f64 v[153:154], v[5:6], v[145:146], -v[153:154]
	v_fma_f64 v[141:142], v[7:8], v[145:146], v[141:142]
	ds_read_b128 v[5:8], v188 offset:1856
	v_add_f64 v[133:134], v[133:134], v[157:158]
	v_add_f64 v[131:132], v[131:132], v[135:136]
	s_waitcnt vmcnt(13) lgkmcnt(1)
	v_mul_f64 v[135:136], v[127:128], v[139:140]
	v_mul_f64 v[139:140], v[129:130], v[139:140]
	s_waitcnt vmcnt(12)
	v_fma_f64 v[145:146], v[1:2], v[201:202], -v[147:148]
	v_fma_f64 v[137:138], v[3:4], v[201:202], v[137:138]
	ds_read_b128 v[1:4], v188 offset:1872
	v_add_f64 v[133:134], v[133:134], v[153:154]
	v_add_f64 v[131:132], v[131:132], v[141:142]
	s_waitcnt vmcnt(11) lgkmcnt(1)
	v_mul_f64 v[147:148], v[7:8], v[199:200]
	v_mul_f64 v[141:142], v[5:6], v[199:200]
	s_waitcnt vmcnt(9)
	v_fma_f64 v[127:128], v[127:128], v[143:144], -v[139:140]
	v_fma_f64 v[129:130], v[129:130], v[143:144], v[135:136]
	v_add_f64 v[133:134], v[133:134], v[145:146]
	v_add_f64 v[131:132], v[131:132], v[137:138]
	s_waitcnt vmcnt(7) lgkmcnt(0)
	v_mul_f64 v[137:138], v[3:4], v[151:152]
	s_waitcnt vmcnt(6)
	v_fma_f64 v[5:6], v[5:6], v[205:206], -v[147:148]
	v_mul_f64 v[135:136], v[1:2], v[151:152]
	v_fma_f64 v[7:8], v[7:8], v[205:206], v[141:142]
	v_add_f64 v[127:128], v[133:134], v[127:128]
	v_add_f64 v[129:130], v[131:132], v[129:130]
	s_waitcnt vmcnt(4)
	v_fma_f64 v[1:2], v[1:2], v[149:150], -v[137:138]
	v_fma_f64 v[3:4], v[3:4], v[149:150], v[135:136]
	v_add_f64 v[5:6], v[127:128], v[5:6]
	v_add_f64 v[7:8], v[129:130], v[7:8]
	;; [unrolled: 1-line block ×4, first 2 shown]
	s_waitcnt vmcnt(2)
	v_add_f64 v[1:2], v[155:156], -v[1:2]
	s_waitcnt vmcnt(0)
	v_add_f64 v[3:4], v[163:164], -v[3:4]
	buffer_store_dword v2, off, s[0:3], 0 offset:52
	buffer_store_dword v1, off, s[0:3], 0 offset:48
	;; [unrolled: 1-line block ×4, first 2 shown]
	v_cmpx_lt_u32_e32 1, v0
	s_cbranch_execz .LBB122_365
; %bb.364:
	v_mov_b32_e32 v4, s70
	v_mov_b32_e32 v5, 0
	s_clause 0x3
	buffer_load_dword v1, v4, s[0:3], 0 offen
	buffer_load_dword v2, v4, s[0:3], 0 offen offset:4
	buffer_load_dword v3, v4, s[0:3], 0 offen offset:8
	;; [unrolled: 1-line block ×3, first 2 shown]
	buffer_store_dword v5, off, s[0:3], 0 offset:32
	buffer_store_dword v5, off, s[0:3], 0 offset:36
	;; [unrolled: 1-line block ×4, first 2 shown]
	s_waitcnt vmcnt(0)
	ds_write_b128 v187, v[1:4]
.LBB122_365:
	s_or_b32 exec_lo, exec_lo, s4
	s_waitcnt lgkmcnt(0)
	s_waitcnt_vscnt null, 0x0
	s_barrier
	buffer_gl0_inv
	s_clause 0x37
	buffer_load_dword v135, off, s[0:3], 0 offset:56
	buffer_load_dword v136, off, s[0:3], 0 offset:60
	;; [unrolled: 1-line block ×56, first 2 shown]
	v_mov_b32_e32 v188, 0
	s_mov_b32 s4, exec_lo
	ds_read_b128 v[5:8], v188 offset:976
	s_clause 0x2
	buffer_load_dword v184, off, s[0:3], 0 offset:284
	buffer_load_dword v186, off, s[0:3], 0 offset:260
	;; [unrolled: 1-line block ×3, first 2 shown]
	ds_read_b128 v[1:4], v188 offset:992
	s_clause 0x4
	buffer_load_dword v196, off, s[0:3], 0 offset:300
	buffer_load_dword v197, off, s[0:3], 0 offset:312
	;; [unrolled: 1-line block ×5, first 2 shown]
	ds_read_b128 v[189:192], v188 offset:1008
	s_waitcnt vmcnt(62) lgkmcnt(2)
	v_mul_f64 v[193:194], v[7:8], v[135:136]
	v_mul_f64 v[135:136], v[5:6], v[135:136]
	s_waitcnt vmcnt(60) lgkmcnt(1)
	v_mul_f64 v[200:201], v[3:4], v[131:132]
	v_mul_f64 v[131:132], v[1:2], v[131:132]
	s_waitcnt vmcnt(56) lgkmcnt(0)
	v_mul_f64 v[202:203], v[189:190], v[129:130]
	v_mul_f64 v[129:130], v[191:192], v[129:130]
	v_fma_f64 v[193:194], v[5:6], v[133:134], -v[193:194]
	v_fma_f64 v[133:134], v[7:8], v[133:134], v[135:136]
	s_clause 0x2
	buffer_load_dword v198, off, s[0:3], 0 offset:316
	buffer_load_dword v136, off, s[0:3], 0 offset:292
	;; [unrolled: 1-line block ×3, first 2 shown]
	s_waitcnt vmcnt(57)
	v_fma_f64 v[204:205], v[1:2], v[127:128], -v[200:201]
	ds_read_b128 v[5:8], v188 offset:1024
	v_fma_f64 v[127:128], v[3:4], v[127:128], v[131:132]
	s_waitcnt vmcnt(51)
	v_fma_f64 v[189:190], v[189:190], v[151:152], -v[129:130]
	v_fma_f64 v[151:152], v[191:192], v[151:152], v[202:203]
	v_add_f64 v[193:194], v[193:194], 0
	v_add_f64 v[131:132], v[133:134], 0
	s_clause 0x4
	buffer_load_dword v134, off, s[0:3], 0 offset:332
	buffer_load_dword v201, off, s[0:3], 0 offset:344
	;; [unrolled: 1-line block ×5, first 2 shown]
	s_waitcnt lgkmcnt(0)
	v_mul_f64 v[207:208], v[5:6], v[139:140]
	v_mul_f64 v[139:140], v[7:8], v[139:140]
	ds_read_b128 v[1:4], v188 offset:1040
	s_clause 0x2
	buffer_load_dword v202, off, s[0:3], 0 offset:348
	buffer_load_dword v192, off, s[0:3], 0 offset:324
	;; [unrolled: 1-line block ×3, first 2 shown]
	v_add_f64 v[193:194], v[193:194], v[204:205]
	v_add_f64 v[131:132], v[131:132], v[127:128]
	ds_read_b128 v[127:130], v188 offset:1056
	s_waitcnt vmcnt(58) lgkmcnt(1)
	v_mul_f64 v[203:204], v[1:2], v[143:144]
	v_mul_f64 v[143:144], v[3:4], v[143:144]
	s_waitcnt vmcnt(56)
	v_fma_f64 v[139:140], v[5:6], v[145:146], -v[139:140]
	v_fma_f64 v[145:146], v[7:8], v[145:146], v[207:208]
	s_waitcnt vmcnt(52) lgkmcnt(0)
	v_mul_f64 v[209:210], v[127:128], v[147:148]
	v_add_f64 v[189:190], v[193:194], v[189:190]
	v_add_f64 v[131:132], v[131:132], v[151:152]
	s_clause 0x4
	buffer_load_dword v152, off, s[0:3], 0 offset:364
	buffer_load_dword v193, off, s[0:3], 0 offset:376
	;; [unrolled: 1-line block ×5, first 2 shown]
	v_mul_f64 v[147:148], v[129:130], v[147:148]
	s_waitcnt vmcnt(56)
	v_fma_f64 v[143:144], v[1:2], v[137:138], -v[143:144]
	ds_read_b128 v[5:8], v188 offset:1072
	v_fma_f64 v[137:138], v[3:4], v[137:138], v[203:204]
	v_add_f64 v[139:140], v[189:190], v[139:140]
	v_add_f64 v[131:132], v[131:132], v[145:146]
	s_clause 0x2
	buffer_load_dword v194, off, s[0:3], 0 offset:380
	buffer_load_dword v146, off, s[0:3], 0 offset:356
	;; [unrolled: 1-line block ×3, first 2 shown]
	s_waitcnt vmcnt(58) lgkmcnt(0)
	v_mul_f64 v[189:190], v[5:6], v[153:154]
	v_mul_f64 v[153:154], v[7:8], v[153:154]
	s_waitcnt vmcnt(56)
	v_fma_f64 v[147:148], v[127:128], v[155:156], -v[147:148]
	ds_read_b128 v[1:4], v188 offset:1088
	v_add_f64 v[139:140], v[139:140], v[143:144]
	v_fma_f64 v[143:144], v[129:130], v[155:156], v[209:210]
	v_add_f64 v[131:132], v[131:132], v[137:138]
	s_clause 0x4
	buffer_load_dword v138, off, s[0:3], 0 offset:396
	buffer_load_dword v155, off, s[0:3], 0 offset:408
	;; [unrolled: 1-line block ×5, first 2 shown]
	s_waitcnt vmcnt(57) lgkmcnt(0)
	v_mul_f64 v[204:205], v[1:2], v[157:158]
	v_mul_f64 v[157:158], v[3:4], v[157:158]
	s_waitcnt vmcnt(56)
	v_fma_f64 v[153:154], v[5:6], v[141:142], -v[153:154]
	ds_read_b128 v[127:130], v188 offset:1104
	v_fma_f64 v[141:142], v[7:8], v[141:142], v[189:190]
	v_add_f64 v[139:140], v[139:140], v[147:148]
	v_add_f64 v[131:132], v[131:132], v[143:144]
	s_clause 0x2
	buffer_load_dword v156, off, s[0:3], 0 offset:412
	buffer_load_dword v144, off, s[0:3], 0 offset:388
	;; [unrolled: 1-line block ×3, first 2 shown]
	ds_read_b128 v[5:8], v188 offset:1120
	s_waitcnt vmcnt(58) lgkmcnt(1)
	v_mul_f64 v[147:148], v[127:128], v[161:162]
	v_mul_f64 v[161:162], v[129:130], v[161:162]
	s_waitcnt vmcnt(56)
	v_fma_f64 v[157:158], v[1:2], v[163:164], -v[157:158]
	v_add_f64 v[139:140], v[139:140], v[153:154]
	v_fma_f64 v[153:154], v[3:4], v[163:164], v[204:205]
	v_add_f64 v[131:132], v[131:132], v[141:142]
	s_clause 0x4
	buffer_load_dword v142, off, s[0:3], 0 offset:428
	buffer_load_dword v163, off, s[0:3], 0 offset:440
	;; [unrolled: 1-line block ×5, first 2 shown]
	s_waitcnt vmcnt(57) lgkmcnt(0)
	v_mul_f64 v[210:211], v[5:6], v[165:166]
	v_mul_f64 v[165:166], v[7:8], v[165:166]
	s_waitcnt vmcnt(56)
	v_fma_f64 v[161:162], v[127:128], v[149:150], -v[161:162]
	ds_read_b128 v[1:4], v188 offset:1136
	v_fma_f64 v[147:148], v[129:130], v[149:150], v[147:148]
	s_clause 0x2
	buffer_load_dword v164, off, s[0:3], 0 offset:444
	buffer_load_dword v150, off, s[0:3], 0 offset:420
	buffer_load_dword v149, off, s[0:3], 0 offset:416
	ds_read_b128 v[127:130], v188 offset:1152
	v_add_f64 v[139:140], v[139:140], v[157:158]
	v_add_f64 v[131:132], v[131:132], v[153:154]
	s_waitcnt vmcnt(58) lgkmcnt(1)
	v_mul_f64 v[157:158], v[3:4], v[169:170]
	s_waitcnt vmcnt(56)
	v_fma_f64 v[165:166], v[5:6], v[171:172], -v[165:166]
	v_mul_f64 v[153:154], v[1:2], v[169:170]
	v_add_f64 v[139:140], v[139:140], v[161:162]
	v_fma_f64 v[161:162], v[7:8], v[171:172], v[210:211]
	v_add_f64 v[131:132], v[131:132], v[147:148]
	s_clause 0x4
	buffer_load_dword v148, off, s[0:3], 0 offset:460
	buffer_load_dword v169, off, s[0:3], 0 offset:472
	;; [unrolled: 1-line block ×5, first 2 shown]
	s_waitcnt vmcnt(57) lgkmcnt(0)
	v_mul_f64 v[210:211], v[127:128], v[173:174]
	v_mul_f64 v[172:173], v[129:130], v[173:174]
	s_waitcnt vmcnt(56)
	v_fma_f64 v[157:158], v[1:2], v[159:160], -v[157:158]
	ds_read_b128 v[5:8], v188 offset:1168
	v_fma_f64 v[153:154], v[3:4], v[159:160], v[153:154]
	s_clause 0x2
	buffer_load_dword v170, off, s[0:3], 0 offset:476
	buffer_load_dword v160, off, s[0:3], 0 offset:452
	;; [unrolled: 1-line block ×3, first 2 shown]
	ds_read_b128 v[1:4], v188 offset:1184
	v_add_f64 v[139:140], v[139:140], v[165:166]
	v_add_f64 v[131:132], v[131:132], v[161:162]
	s_waitcnt vmcnt(58) lgkmcnt(1)
	v_mul_f64 v[165:166], v[7:8], v[177:178]
	s_waitcnt vmcnt(56)
	v_fma_f64 v[173:174], v[127:128], v[179:180], -v[172:173]
	v_mul_f64 v[161:162], v[5:6], v[177:178]
	v_add_f64 v[139:140], v[139:140], v[157:158]
	v_fma_f64 v[157:158], v[129:130], v[179:180], v[210:211]
	v_add_f64 v[131:132], v[131:132], v[153:154]
	s_clause 0x4
	buffer_load_dword v154, off, s[0:3], 0 offset:492
	buffer_load_dword v177, off, s[0:3], 0 offset:504
	;; [unrolled: 1-line block ×5, first 2 shown]
	s_waitcnt vmcnt(57) lgkmcnt(0)
	v_mul_f64 v[210:211], v[1:2], v[181:182]
	v_mul_f64 v[180:181], v[3:4], v[181:182]
	s_waitcnt vmcnt(56)
	v_fma_f64 v[165:166], v[5:6], v[167:168], -v[165:166]
	ds_read_b128 v[127:130], v188 offset:1200
	v_fma_f64 v[161:162], v[7:8], v[167:168], v[161:162]
	v_add_f64 v[139:140], v[139:140], v[173:174]
	v_add_f64 v[131:132], v[131:132], v[157:158]
	s_clause 0x2
	buffer_load_dword v178, off, s[0:3], 0 offset:508
	buffer_load_dword v158, off, s[0:3], 0 offset:484
	;; [unrolled: 1-line block ×3, first 2 shown]
	ds_read_b128 v[5:8], v188 offset:1216
	s_waitcnt vmcnt(58) lgkmcnt(1)
	v_mul_f64 v[173:174], v[129:130], v[183:184]
	s_waitcnt vmcnt(56)
	v_fma_f64 v[181:182], v[1:2], v[185:186], -v[180:181]
	v_mul_f64 v[167:168], v[127:128], v[183:184]
	v_add_f64 v[139:140], v[139:140], v[165:166]
	v_fma_f64 v[165:166], v[3:4], v[185:186], v[210:211]
	v_add_f64 v[131:132], v[131:132], v[161:162]
	s_clause 0x4
	buffer_load_dword v162, off, s[0:3], 0 offset:524
	buffer_load_dword v183, off, s[0:3], 0 offset:536
	;; [unrolled: 1-line block ×5, first 2 shown]
	s_waitcnt vmcnt(57) lgkmcnt(0)
	v_mul_f64 v[210:211], v[5:6], v[195:196]
	v_mul_f64 v[195:196], v[7:8], v[195:196]
	s_waitcnt vmcnt(56)
	v_fma_f64 v[173:174], v[127:128], v[175:176], -v[173:174]
	ds_read_b128 v[1:4], v188 offset:1232
	v_fma_f64 v[167:168], v[129:130], v[175:176], v[167:168]
	v_add_f64 v[139:140], v[139:140], v[181:182]
	v_add_f64 v[131:132], v[131:132], v[165:166]
	s_clause 0x2
	buffer_load_dword v184, off, s[0:3], 0 offset:540
	buffer_load_dword v166, off, s[0:3], 0 offset:516
	;; [unrolled: 1-line block ×3, first 2 shown]
	ds_read_b128 v[127:130], v188 offset:1248
	s_waitcnt vmcnt(58) lgkmcnt(1)
	v_mul_f64 v[181:182], v[3:4], v[197:198]
	v_mul_f64 v[175:176], v[1:2], v[197:198]
	s_waitcnt vmcnt(56)
	v_fma_f64 v[195:196], v[5:6], v[135:136], -v[195:196]
	v_fma_f64 v[135:136], v[7:8], v[135:136], v[210:211]
	v_add_f64 v[139:140], v[139:140], v[173:174]
	v_add_f64 v[131:132], v[131:132], v[167:168]
	s_clause 0x4
	buffer_load_dword v168, off, s[0:3], 0 offset:556
	buffer_load_dword v173, off, s[0:3], 0 offset:568
	;; [unrolled: 1-line block ×5, first 2 shown]
	ds_read_b128 v[5:8], v188 offset:1264
	s_waitcnt vmcnt(57) lgkmcnt(1)
	v_mul_f64 v[210:211], v[127:128], v[133:134]
	v_mul_f64 v[133:134], v[129:130], v[133:134]
	s_waitcnt vmcnt(56)
	v_fma_f64 v[181:182], v[1:2], v[199:200], -v[181:182]
	v_fma_f64 v[175:176], v[3:4], v[199:200], v[175:176]
	v_add_f64 v[139:140], v[139:140], v[195:196]
	v_add_f64 v[131:132], v[131:132], v[135:136]
	s_clause 0x2
	buffer_load_dword v174, off, s[0:3], 0 offset:572
	buffer_load_dword v136, off, s[0:3], 0 offset:548
	;; [unrolled: 1-line block ×3, first 2 shown]
	s_waitcnt vmcnt(58) lgkmcnt(0)
	v_mul_f64 v[199:200], v[7:8], v[201:202]
	ds_read_b128 v[1:4], v188 offset:1280
	v_mul_f64 v[195:196], v[5:6], v[201:202]
	s_waitcnt vmcnt(56)
	v_fma_f64 v[133:134], v[127:128], v[191:192], -v[133:134]
	v_add_f64 v[139:140], v[139:140], v[181:182]
	v_fma_f64 v[181:182], v[129:130], v[191:192], v[210:211]
	v_add_f64 v[131:132], v[131:132], v[175:176]
	s_clause 0x4
	buffer_load_dword v176, off, s[0:3], 0 offset:588
	buffer_load_dword v191, off, s[0:3], 0 offset:600
	;; [unrolled: 1-line block ×5, first 2 shown]
	ds_read_b128 v[127:130], v188 offset:1296
	s_waitcnt vmcnt(57) lgkmcnt(1)
	v_mul_f64 v[210:211], v[1:2], v[151:152]
	v_mul_f64 v[151:152], v[3:4], v[151:152]
	s_waitcnt vmcnt(56)
	v_fma_f64 v[199:200], v[5:6], v[206:207], -v[199:200]
	v_add_f64 v[133:134], v[139:140], v[133:134]
	v_fma_f64 v[139:140], v[7:8], v[206:207], v[195:196]
	v_add_f64 v[131:132], v[131:132], v[181:182]
	s_clause 0x2
	buffer_load_dword v192, off, s[0:3], 0 offset:604
	buffer_load_dword v182, off, s[0:3], 0 offset:580
	;; [unrolled: 1-line block ×3, first 2 shown]
	ds_read_b128 v[5:8], v188 offset:1312
	s_waitcnt vmcnt(58) lgkmcnt(1)
	v_mul_f64 v[195:196], v[127:128], v[193:194]
	v_mul_f64 v[193:194], v[129:130], v[193:194]
	s_waitcnt vmcnt(56)
	v_fma_f64 v[151:152], v[1:2], v[145:146], -v[151:152]
	v_fma_f64 v[145:146], v[3:4], v[145:146], v[210:211]
	v_add_f64 v[133:134], v[133:134], v[199:200]
	v_add_f64 v[131:132], v[131:132], v[139:140]
	s_clause 0x4
	buffer_load_dword v140, off, s[0:3], 0 offset:620
	buffer_load_dword v199, off, s[0:3], 0 offset:632
	;; [unrolled: 1-line block ×5, first 2 shown]
	ds_read_b128 v[1:4], v188 offset:1328
	s_waitcnt vmcnt(57) lgkmcnt(1)
	v_mul_f64 v[206:207], v[5:6], v[137:138]
	v_mul_f64 v[137:138], v[7:8], v[137:138]
	s_waitcnt vmcnt(56)
	v_fma_f64 v[193:194], v[127:128], v[208:209], -v[193:194]
	v_add_f64 v[133:134], v[133:134], v[151:152]
	v_fma_f64 v[151:152], v[129:130], v[208:209], v[195:196]
	v_add_f64 v[131:132], v[131:132], v[145:146]
	s_clause 0x2
	buffer_load_dword v200, off, s[0:3], 0 offset:636
	buffer_load_dword v146, off, s[0:3], 0 offset:612
	;; [unrolled: 1-line block ×3, first 2 shown]
	ds_read_b128 v[127:130], v188 offset:1344
	s_waitcnt vmcnt(58) lgkmcnt(1)
	v_mul_f64 v[195:196], v[1:2], v[155:156]
	v_mul_f64 v[155:156], v[3:4], v[155:156]
	s_waitcnt vmcnt(56)
	v_fma_f64 v[137:138], v[5:6], v[143:144], -v[137:138]
	v_fma_f64 v[143:144], v[7:8], v[143:144], v[206:207]
	v_add_f64 v[133:134], v[133:134], v[193:194]
	v_add_f64 v[131:132], v[131:132], v[151:152]
	s_clause 0x4
	buffer_load_dword v152, off, s[0:3], 0 offset:652
	buffer_load_dword v193, off, s[0:3], 0 offset:664
	;; [unrolled: 1-line block ×5, first 2 shown]
	ds_read_b128 v[5:8], v188 offset:1360
	s_waitcnt vmcnt(57) lgkmcnt(1)
	v_mul_f64 v[208:209], v[127:128], v[141:142]
	v_mul_f64 v[141:142], v[129:130], v[141:142]
	s_waitcnt vmcnt(56)
	v_fma_f64 v[155:156], v[1:2], v[203:204], -v[155:156]
	v_add_f64 v[133:134], v[133:134], v[137:138]
	v_fma_f64 v[137:138], v[3:4], v[203:204], v[195:196]
	v_add_f64 v[131:132], v[131:132], v[143:144]
	s_clause 0x2
	buffer_load_dword v194, off, s[0:3], 0 offset:668
	buffer_load_dword v144, off, s[0:3], 0 offset:644
	;; [unrolled: 1-line block ×3, first 2 shown]
	s_waitcnt vmcnt(58) lgkmcnt(0)
	v_mul_f64 v[195:196], v[5:6], v[163:164]
	v_mul_f64 v[163:164], v[7:8], v[163:164]
	ds_read_b128 v[1:4], v188 offset:1376
	s_waitcnt vmcnt(56)
	v_fma_f64 v[141:142], v[127:128], v[149:150], -v[141:142]
	v_fma_f64 v[149:150], v[129:130], v[149:150], v[208:209]
	v_add_f64 v[133:134], v[133:134], v[155:156]
	v_add_f64 v[131:132], v[131:132], v[137:138]
	s_clause 0x4
	buffer_load_dword v138, off, s[0:3], 0 offset:684
	buffer_load_dword v155, off, s[0:3], 0 offset:696
	;; [unrolled: 1-line block ×5, first 2 shown]
	ds_read_b128 v[127:130], v188 offset:1392
	s_waitcnt vmcnt(57) lgkmcnt(1)
	v_mul_f64 v[209:210], v[1:2], v[147:148]
	v_mul_f64 v[147:148], v[3:4], v[147:148]
	s_waitcnt vmcnt(56)
	v_fma_f64 v[163:164], v[5:6], v[189:190], -v[163:164]
	v_add_f64 v[133:134], v[133:134], v[141:142]
	v_fma_f64 v[141:142], v[7:8], v[189:190], v[195:196]
	v_add_f64 v[131:132], v[131:132], v[149:150]
	s_clause 0x2
	buffer_load_dword v156, off, s[0:3], 0 offset:700
	buffer_load_dword v150, off, s[0:3], 0 offset:676
	;; [unrolled: 1-line block ×3, first 2 shown]
	s_waitcnt vmcnt(58) lgkmcnt(0)
	v_mul_f64 v[189:190], v[127:128], v[169:170]
	v_mul_f64 v[169:170], v[129:130], v[169:170]
	ds_read_b128 v[5:8], v188 offset:1408
	s_waitcnt vmcnt(56)
	v_fma_f64 v[147:148], v[1:2], v[159:160], -v[147:148]
	v_fma_f64 v[159:160], v[3:4], v[159:160], v[209:210]
	v_add_f64 v[133:134], v[133:134], v[163:164]
	v_add_f64 v[131:132], v[131:132], v[141:142]
	s_clause 0x4
	buffer_load_dword v142, off, s[0:3], 0 offset:716
	buffer_load_dword v163, off, s[0:3], 0 offset:728
	buffer_load_dword v195, off, s[0:3], 0 offset:720
	buffer_load_dword v141, off, s[0:3], 0 offset:712
	buffer_load_dword v204, off, s[0:3], 0 offset:692
	ds_read_b128 v[1:4], v188 offset:1424
	s_waitcnt vmcnt(57) lgkmcnt(1)
	v_mul_f64 v[209:210], v[5:6], v[153:154]
	v_mul_f64 v[153:154], v[7:8], v[153:154]
	s_waitcnt vmcnt(56)
	v_fma_f64 v[169:170], v[127:128], v[171:172], -v[169:170]
	v_add_f64 v[133:134], v[133:134], v[147:148]
	v_fma_f64 v[147:148], v[129:130], v[171:172], v[189:190]
	v_add_f64 v[131:132], v[131:132], v[159:160]
	s_clause 0x2
	buffer_load_dword v164, off, s[0:3], 0 offset:732
	buffer_load_dword v160, off, s[0:3], 0 offset:708
	buffer_load_dword v159, off, s[0:3], 0 offset:704
	ds_read_b128 v[127:130], v188 offset:1440
	s_waitcnt vmcnt(58) lgkmcnt(1)
	v_mul_f64 v[171:172], v[1:2], v[177:178]
	v_mul_f64 v[177:178], v[3:4], v[177:178]
	s_waitcnt vmcnt(56)
	v_fma_f64 v[153:154], v[5:6], v[157:158], -v[153:154]
	v_fma_f64 v[157:158], v[7:8], v[157:158], v[209:210]
	v_add_f64 v[133:134], v[133:134], v[169:170]
	v_add_f64 v[131:132], v[131:132], v[147:148]
	s_clause 0x4
	buffer_load_dword v148, off, s[0:3], 0 offset:748
	buffer_load_dword v169, off, s[0:3], 0 offset:760
	buffer_load_dword v189, off, s[0:3], 0 offset:752
	buffer_load_dword v147, off, s[0:3], 0 offset:744
	buffer_load_dword v196, off, s[0:3], 0 offset:724
	ds_read_b128 v[5:8], v188 offset:1456
	s_waitcnt vmcnt(57) lgkmcnt(1)
	v_mul_f64 v[209:210], v[127:128], v[161:162]
	v_mul_f64 v[161:162], v[129:130], v[161:162]
	s_waitcnt vmcnt(56)
	v_fma_f64 v[177:178], v[1:2], v[179:180], -v[177:178]
	v_add_f64 v[133:134], v[133:134], v[153:154]
	v_fma_f64 v[153:154], v[3:4], v[179:180], v[171:172]
	v_add_f64 v[131:132], v[131:132], v[157:158]
	s_clause 0x2
	buffer_load_dword v170, off, s[0:3], 0 offset:764
	buffer_load_dword v158, off, s[0:3], 0 offset:740
	buffer_load_dword v157, off, s[0:3], 0 offset:736
	ds_read_b128 v[1:4], v188 offset:1472
	s_waitcnt vmcnt(58) lgkmcnt(1)
	v_mul_f64 v[179:180], v[7:8], v[183:184]
	v_mul_f64 v[171:172], v[5:6], v[183:184]
	;; [unrolled: 28-line block ×4, first 2 shown]
	s_waitcnt vmcnt(56)
	v_fma_f64 v[175:176], v[5:6], v[181:182], -v[175:176]
	v_add_f64 v[133:134], v[133:134], v[173:174]
	v_fma_f64 v[173:174], v[7:8], v[181:182], v[209:210]
	v_add_f64 v[131:132], v[131:132], v[167:168]
	s_clause 0x4
	buffer_load_dword v168, off, s[0:3], 0 offset:844
	buffer_load_dword v181, off, s[0:3], 0 offset:856
	;; [unrolled: 1-line block ×5, first 2 shown]
	ds_read_b128 v[5:8], v188 offset:1552
	s_waitcnt vmcnt(57) lgkmcnt(1)
	v_mul_f64 v[209:210], v[127:128], v[139:140]
	v_mul_f64 v[139:140], v[129:130], v[139:140]
	s_waitcnt vmcnt(56)
	v_fma_f64 v[191:192], v[1:2], v[201:202], -v[191:192]
	v_fma_f64 v[171:172], v[3:4], v[201:202], v[171:172]
	v_add_f64 v[133:134], v[133:134], v[175:176]
	v_add_f64 v[131:132], v[131:132], v[173:174]
	s_clause 0x2
	buffer_load_dword v182, off, s[0:3], 0 offset:860
	buffer_load_dword v174, off, s[0:3], 0 offset:836
	buffer_load_dword v173, off, s[0:3], 0 offset:832
	ds_read_b128 v[1:4], v188 offset:1568
	s_waitcnt vmcnt(58) lgkmcnt(1)
	v_mul_f64 v[175:176], v[5:6], v[199:200]
	v_mul_f64 v[199:200], v[7:8], v[199:200]
	s_waitcnt vmcnt(56)
	v_fma_f64 v[139:140], v[127:128], v[145:146], -v[139:140]
	v_fma_f64 v[145:146], v[129:130], v[145:146], v[209:210]
	v_add_f64 v[133:134], v[133:134], v[191:192]
	v_add_f64 v[131:132], v[131:132], v[171:172]
	s_clause 0x4
	buffer_load_dword v172, off, s[0:3], 0 offset:876
	buffer_load_dword v191, off, s[0:3], 0 offset:888
	buffer_load_dword v201, off, s[0:3], 0 offset:880
	buffer_load_dword v171, off, s[0:3], 0 offset:872
	buffer_load_dword v198, off, s[0:3], 0 offset:852
	ds_read_b128 v[127:130], v188 offset:1584
	s_waitcnt vmcnt(57) lgkmcnt(1)
	v_mul_f64 v[209:210], v[1:2], v[151:152]
	v_mul_f64 v[151:152], v[3:4], v[151:152]
	s_waitcnt vmcnt(56)
	v_fma_f64 v[199:200], v[5:6], v[205:206], -v[199:200]
	v_add_f64 v[133:134], v[133:134], v[139:140]
	v_fma_f64 v[139:140], v[7:8], v[205:206], v[175:176]
	v_add_f64 v[131:132], v[131:132], v[145:146]
	s_clause 0x2
	buffer_load_dword v192, off, s[0:3], 0 offset:892
	buffer_load_dword v146, off, s[0:3], 0 offset:868
	buffer_load_dword v145, off, s[0:3], 0 offset:864
	ds_read_b128 v[5:8], v188 offset:1600
	s_waitcnt vmcnt(58) lgkmcnt(1)
	v_mul_f64 v[175:176], v[127:128], v[193:194]
	v_mul_f64 v[193:194], v[129:130], v[193:194]
	s_waitcnt vmcnt(56)
	v_fma_f64 v[151:152], v[1:2], v[143:144], -v[151:152]
	v_fma_f64 v[143:144], v[3:4], v[143:144], v[209:210]
	v_add_f64 v[133:134], v[133:134], v[199:200]
	v_add_f64 v[131:132], v[131:132], v[139:140]
	s_clause 0x4
	buffer_load_dword v140, off, s[0:3], 0 offset:908
	buffer_load_dword v199, off, s[0:3], 0 offset:920
	buffer_load_dword v205, off, s[0:3], 0 offset:912
	buffer_load_dword v139, off, s[0:3], 0 offset:904
	buffer_load_dword v202, off, s[0:3], 0 offset:884
	ds_read_b128 v[1:4], v188 offset:1616
	s_waitcnt vmcnt(57) lgkmcnt(1)
	v_mul_f64 v[209:210], v[5:6], v[137:138]
	v_mul_f64 v[137:138], v[7:8], v[137:138]
	s_waitcnt vmcnt(56)
	v_fma_f64 v[193:194], v[127:128], v[207:208], -v[193:194]
	v_add_f64 v[133:134], v[133:134], v[151:152]
	v_fma_f64 v[151:152], v[129:130], v[207:208], v[175:176]
	;; [unrolled: 28-line block ×3, first 2 shown]
	v_add_f64 v[131:132], v[131:132], v[149:150]
	s_clause 0x2
	buffer_load_dword v194, off, s[0:3], 0 offset:956
	buffer_load_dword v150, off, s[0:3], 0 offset:932
	;; [unrolled: 1-line block ×3, first 2 shown]
	ds_read_b128 v[1:4], v188 offset:1664
	s_waitcnt vmcnt(58) lgkmcnt(1)
	v_mul_f64 v[175:176], v[5:6], v[163:164]
	v_mul_f64 v[163:164], v[7:8], v[163:164]
	s_waitcnt vmcnt(56)
	v_fma_f64 v[141:142], v[127:128], v[159:160], -v[141:142]
	v_add_f64 v[133:134], v[133:134], v[155:156]
	v_fma_f64 v[155:156], v[129:130], v[159:160], v[208:209]
	v_add_f64 v[131:132], v[131:132], v[137:138]
	buffer_load_dword v208, off, s[0:3], 0 offset:948
	ds_read_b128 v[127:130], v188 offset:1680
	s_waitcnt vmcnt(53) lgkmcnt(1)
	v_mul_f64 v[137:138], v[1:2], v[147:148]
	v_mul_f64 v[147:148], v[3:4], v[147:148]
	s_waitcnt vmcnt(52)
	v_fma_f64 v[159:160], v[5:6], v[195:196], -v[163:164]
	v_add_f64 v[133:134], v[133:134], v[141:142]
	v_fma_f64 v[141:142], v[7:8], v[195:196], v[175:176]
	v_add_f64 v[131:132], v[131:132], v[155:156]
	ds_read_b128 v[5:8], v188 offset:1696
	s_waitcnt vmcnt(51) lgkmcnt(1)
	v_mul_f64 v[163:164], v[129:130], v[169:170]
	v_mul_f64 v[155:156], v[127:128], v[169:170]
	s_waitcnt vmcnt(49)
	v_fma_f64 v[147:148], v[1:2], v[157:158], -v[147:148]
	v_fma_f64 v[137:138], v[3:4], v[157:158], v[137:138]
	v_add_f64 v[133:134], v[133:134], v[159:160]
	v_add_f64 v[131:132], v[131:132], v[141:142]
	s_clause 0x3
	buffer_load_dword v141, off, s[0:3], 0 offset:32
	buffer_load_dword v142, off, s[0:3], 0 offset:36
	;; [unrolled: 1-line block ×4, first 2 shown]
	ds_read_b128 v[1:4], v188 offset:1712
	s_waitcnt vmcnt(49) lgkmcnt(1)
	v_mul_f64 v[159:160], v[5:6], v[153:154]
	v_mul_f64 v[153:154], v[7:8], v[153:154]
	s_waitcnt vmcnt(48)
	v_fma_f64 v[163:164], v[127:128], v[189:190], -v[163:164]
	v_add_f64 v[133:134], v[133:134], v[147:148]
	v_fma_f64 v[147:148], v[129:130], v[189:190], v[155:156]
	v_add_f64 v[131:132], v[131:132], v[137:138]
	ds_read_b128 v[127:130], v188 offset:1728
	s_waitcnt vmcnt(47) lgkmcnt(1)
	v_mul_f64 v[155:156], v[3:4], v[177:178]
	v_mul_f64 v[137:138], v[1:2], v[177:178]
	s_waitcnt vmcnt(45)
	v_fma_f64 v[153:154], v[5:6], v[165:166], -v[153:154]
	v_fma_f64 v[159:160], v[7:8], v[165:166], v[159:160]
	ds_read_b128 v[5:8], v188 offset:1744
	v_add_f64 v[133:134], v[133:134], v[163:164]
	v_add_f64 v[131:132], v[131:132], v[147:148]
	s_waitcnt vmcnt(41) lgkmcnt(1)
	v_mul_f64 v[147:148], v[127:128], v[161:162]
	v_mul_f64 v[161:162], v[129:130], v[161:162]
	s_waitcnt vmcnt(40)
	v_fma_f64 v[155:156], v[1:2], v[183:184], -v[155:156]
	v_fma_f64 v[137:138], v[3:4], v[183:184], v[137:138]
	ds_read_b128 v[1:4], v188 offset:1760
	v_add_f64 v[133:134], v[133:134], v[153:154]
	v_add_f64 v[131:132], v[131:132], v[159:160]
	;; [unrolled: 9-line block ×3, first 2 shown]
	s_waitcnt vmcnt(33) lgkmcnt(1)
	v_mul_f64 v[147:148], v[3:4], v[167:168]
	s_waitcnt vmcnt(32)
	v_fma_f64 v[155:156], v[5:6], v[185:186], -v[159:160]
	v_mul_f64 v[137:138], v[1:2], v[167:168]
	v_fma_f64 v[153:154], v[7:8], v[185:186], v[153:154]
	ds_read_b128 v[5:8], v188 offset:1792
	v_add_f64 v[133:134], v[133:134], v[161:162]
	v_add_f64 v[131:132], v[131:132], v[135:136]
	s_waitcnt vmcnt(31) lgkmcnt(1)
	v_mul_f64 v[159:160], v[129:130], v[181:182]
	v_mul_f64 v[135:136], v[127:128], v[181:182]
	s_waitcnt vmcnt(29)
	v_fma_f64 v[147:148], v[1:2], v[173:174], -v[147:148]
	v_fma_f64 v[137:138], v[3:4], v[173:174], v[137:138]
	ds_read_b128 v[1:4], v188 offset:1808
	v_add_f64 v[133:134], v[133:134], v[155:156]
	v_add_f64 v[131:132], v[131:132], v[153:154]
	s_waitcnt vmcnt(25) lgkmcnt(1)
	v_mul_f64 v[155:156], v[7:8], v[171:172]
	s_waitcnt vmcnt(24)
	v_fma_f64 v[159:160], v[127:128], v[197:198], -v[159:160]
	v_mul_f64 v[153:154], v[5:6], v[171:172]
	v_fma_f64 v[135:136], v[129:130], v[197:198], v[135:136]
	ds_read_b128 v[127:130], v188 offset:1824
	v_add_f64 v[133:134], v[133:134], v[147:148]
	v_add_f64 v[131:132], v[131:132], v[137:138]
	s_waitcnt vmcnt(23) lgkmcnt(1)
	v_mul_f64 v[147:148], v[3:4], v[191:192]
	v_mul_f64 v[137:138], v[1:2], v[191:192]
	s_waitcnt vmcnt(21)
	v_fma_f64 v[155:156], v[5:6], v[145:146], -v[155:156]
	v_fma_f64 v[145:146], v[7:8], v[145:146], v[153:154]
	ds_read_b128 v[5:8], v188 offset:1840
	v_add_f64 v[133:134], v[133:134], v[159:160]
	v_add_f64 v[131:132], v[131:132], v[135:136]
	s_waitcnt vmcnt(17) lgkmcnt(1)
	v_mul_f64 v[135:136], v[127:128], v[139:140]
	v_mul_f64 v[139:140], v[129:130], v[139:140]
	s_waitcnt vmcnt(16)
	v_fma_f64 v[147:148], v[1:2], v[201:202], -v[147:148]
	;; [unrolled: 9-line block ×3, first 2 shown]
	v_fma_f64 v[135:136], v[129:130], v[143:144], v[135:136]
	ds_read_b128 v[127:130], v188 offset:1872
	v_add_f64 v[133:134], v[133:134], v[147:148]
	v_add_f64 v[131:132], v[131:132], v[137:138]
	s_waitcnt vmcnt(9) lgkmcnt(1)
	v_mul_f64 v[143:144], v[3:4], v[151:152]
	s_waitcnt vmcnt(8)
	v_fma_f64 v[5:6], v[5:6], v[205:206], -v[153:154]
	v_mul_f64 v[137:138], v[1:2], v[151:152]
	v_fma_f64 v[7:8], v[7:8], v[205:206], v[145:146]
	v_add_f64 v[133:134], v[133:134], v[139:140]
	v_add_f64 v[131:132], v[131:132], v[135:136]
	s_waitcnt vmcnt(7) lgkmcnt(0)
	v_mul_f64 v[139:140], v[129:130], v[193:194]
	v_mul_f64 v[135:136], v[127:128], v[193:194]
	s_waitcnt vmcnt(5)
	v_fma_f64 v[1:2], v[1:2], v[149:150], -v[143:144]
	v_fma_f64 v[3:4], v[3:4], v[149:150], v[137:138]
	v_add_f64 v[5:6], v[133:134], v[5:6]
	v_add_f64 v[7:8], v[131:132], v[7:8]
	s_waitcnt vmcnt(4)
	v_fma_f64 v[127:128], v[127:128], v[207:208], -v[139:140]
	v_add_f64 v[1:2], v[5:6], v[1:2]
	v_fma_f64 v[5:6], v[129:130], v[207:208], v[135:136]
	v_add_f64 v[3:4], v[7:8], v[3:4]
	v_add_f64 v[1:2], v[1:2], v[127:128]
	;; [unrolled: 1-line block ×3, first 2 shown]
	s_waitcnt vmcnt(2)
	v_add_f64 v[1:2], v[141:142], -v[1:2]
	s_waitcnt vmcnt(0)
	v_add_f64 v[3:4], v[157:158], -v[3:4]
	buffer_store_dword v2, off, s[0:3], 0 offset:36
	buffer_store_dword v1, off, s[0:3], 0 offset:32
	;; [unrolled: 1-line block ×4, first 2 shown]
	v_cmpx_ne_u32_e32 0, v0
	s_cbranch_execz .LBB122_367
; %bb.366:
	s_clause 0x3
	buffer_load_dword v0, off, s[0:3], 0 offset:16
	buffer_load_dword v1, off, s[0:3], 0 offset:20
	buffer_load_dword v2, off, s[0:3], 0 offset:24
	buffer_load_dword v3, off, s[0:3], 0 offset:28
	buffer_store_dword v188, off, s[0:3], 0 offset:16
	buffer_store_dword v188, off, s[0:3], 0 offset:20
	buffer_store_dword v188, off, s[0:3], 0 offset:24
	buffer_store_dword v188, off, s[0:3], 0 offset:28
	s_waitcnt vmcnt(0)
	ds_write_b128 v187, v[0:3]
.LBB122_367:
	s_or_b32 exec_lo, exec_lo, s4
	s_waitcnt lgkmcnt(0)
	s_waitcnt_vscnt null, 0x0
	s_barrier
	buffer_gl0_inv
	s_clause 0x37
	buffer_load_dword v135, off, s[0:3], 0 offset:40
	buffer_load_dword v136, off, s[0:3], 0 offset:44
	;; [unrolled: 1-line block ×56, first 2 shown]
	ds_read_b128 v[4:7], v188 offset:960
	s_clause 0x2
	buffer_load_dword v184, off, s[0:3], 0 offset:268
	buffer_load_dword v186, off, s[0:3], 0 offset:244
	;; [unrolled: 1-line block ×3, first 2 shown]
	ds_read_b128 v[0:3], v188 offset:976
	s_clause 0x4
	buffer_load_dword v196, off, s[0:3], 0 offset:284
	buffer_load_dword v197, off, s[0:3], 0 offset:296
	buffer_load_dword v199, off, s[0:3], 0 offset:288
	buffer_load_dword v195, off, s[0:3], 0 offset:280
	buffer_load_dword v176, off, s[0:3], 0 offset:260
	ds_read_b128 v[189:192], v188 offset:992
	s_and_b32 vcc_lo, exec_lo, s71
	s_waitcnt vmcnt(62) lgkmcnt(2)
	v_mul_f64 v[193:194], v[6:7], v[135:136]
	v_mul_f64 v[135:136], v[4:5], v[135:136]
	s_waitcnt vmcnt(60) lgkmcnt(1)
	v_mul_f64 v[200:201], v[2:3], v[131:132]
	v_mul_f64 v[131:132], v[0:1], v[131:132]
	;; [unrolled: 3-line block ×3, first 2 shown]
	v_fma_f64 v[193:194], v[4:5], v[133:134], -v[193:194]
	v_fma_f64 v[133:134], v[6:7], v[133:134], v[135:136]
	s_clause 0x2
	buffer_load_dword v198, off, s[0:3], 0 offset:300
	buffer_load_dword v136, off, s[0:3], 0 offset:276
	;; [unrolled: 1-line block ×3, first 2 shown]
	s_waitcnt vmcnt(57)
	v_fma_f64 v[204:205], v[0:1], v[127:128], -v[200:201]
	ds_read_b128 v[4:7], v188 offset:1008
	v_fma_f64 v[127:128], v[2:3], v[127:128], v[131:132]
	s_waitcnt vmcnt(51)
	v_fma_f64 v[189:190], v[189:190], v[151:152], -v[129:130]
	v_fma_f64 v[151:152], v[191:192], v[151:152], v[202:203]
	v_add_f64 v[193:194], v[193:194], 0
	v_add_f64 v[131:132], v[133:134], 0
	s_clause 0x4
	buffer_load_dword v134, off, s[0:3], 0 offset:316
	buffer_load_dword v201, off, s[0:3], 0 offset:328
	;; [unrolled: 1-line block ×5, first 2 shown]
	s_waitcnt lgkmcnt(0)
	v_mul_f64 v[207:208], v[4:5], v[139:140]
	v_mul_f64 v[139:140], v[6:7], v[139:140]
	ds_read_b128 v[0:3], v188 offset:1024
	s_clause 0x2
	buffer_load_dword v202, off, s[0:3], 0 offset:332
	buffer_load_dword v192, off, s[0:3], 0 offset:308
	;; [unrolled: 1-line block ×3, first 2 shown]
	v_add_f64 v[193:194], v[193:194], v[204:205]
	v_add_f64 v[131:132], v[131:132], v[127:128]
	ds_read_b128 v[127:130], v188 offset:1040
	s_waitcnt vmcnt(58) lgkmcnt(1)
	v_mul_f64 v[203:204], v[0:1], v[143:144]
	v_mul_f64 v[143:144], v[2:3], v[143:144]
	s_waitcnt vmcnt(56)
	v_fma_f64 v[139:140], v[4:5], v[145:146], -v[139:140]
	v_fma_f64 v[145:146], v[6:7], v[145:146], v[207:208]
	s_waitcnt vmcnt(52) lgkmcnt(0)
	v_mul_f64 v[209:210], v[127:128], v[147:148]
	v_add_f64 v[189:190], v[193:194], v[189:190]
	v_add_f64 v[131:132], v[131:132], v[151:152]
	s_clause 0x4
	buffer_load_dword v152, off, s[0:3], 0 offset:348
	buffer_load_dword v193, off, s[0:3], 0 offset:360
	;; [unrolled: 1-line block ×5, first 2 shown]
	v_mul_f64 v[147:148], v[129:130], v[147:148]
	s_waitcnt vmcnt(56)
	v_fma_f64 v[143:144], v[0:1], v[137:138], -v[143:144]
	ds_read_b128 v[4:7], v188 offset:1056
	v_fma_f64 v[137:138], v[2:3], v[137:138], v[203:204]
	v_add_f64 v[139:140], v[189:190], v[139:140]
	v_add_f64 v[131:132], v[131:132], v[145:146]
	s_clause 0x2
	buffer_load_dword v194, off, s[0:3], 0 offset:364
	buffer_load_dword v146, off, s[0:3], 0 offset:340
	;; [unrolled: 1-line block ×3, first 2 shown]
	s_waitcnt vmcnt(58) lgkmcnt(0)
	v_mul_f64 v[189:190], v[4:5], v[153:154]
	v_mul_f64 v[153:154], v[6:7], v[153:154]
	s_waitcnt vmcnt(56)
	v_fma_f64 v[147:148], v[127:128], v[155:156], -v[147:148]
	ds_read_b128 v[0:3], v188 offset:1072
	v_add_f64 v[139:140], v[139:140], v[143:144]
	v_fma_f64 v[143:144], v[129:130], v[155:156], v[209:210]
	v_add_f64 v[131:132], v[131:132], v[137:138]
	s_clause 0x4
	buffer_load_dword v138, off, s[0:3], 0 offset:380
	buffer_load_dword v155, off, s[0:3], 0 offset:392
	;; [unrolled: 1-line block ×5, first 2 shown]
	s_waitcnt vmcnt(57) lgkmcnt(0)
	v_mul_f64 v[204:205], v[0:1], v[157:158]
	v_mul_f64 v[157:158], v[2:3], v[157:158]
	s_waitcnt vmcnt(56)
	v_fma_f64 v[153:154], v[4:5], v[141:142], -v[153:154]
	ds_read_b128 v[127:130], v188 offset:1088
	v_fma_f64 v[141:142], v[6:7], v[141:142], v[189:190]
	v_add_f64 v[139:140], v[139:140], v[147:148]
	v_add_f64 v[131:132], v[131:132], v[143:144]
	s_clause 0x2
	buffer_load_dword v156, off, s[0:3], 0 offset:396
	buffer_load_dword v144, off, s[0:3], 0 offset:372
	buffer_load_dword v143, off, s[0:3], 0 offset:368
	ds_read_b128 v[4:7], v188 offset:1104
	s_waitcnt vmcnt(58) lgkmcnt(1)
	v_mul_f64 v[147:148], v[127:128], v[161:162]
	v_mul_f64 v[161:162], v[129:130], v[161:162]
	s_waitcnt vmcnt(56)
	v_fma_f64 v[157:158], v[0:1], v[163:164], -v[157:158]
	v_add_f64 v[139:140], v[139:140], v[153:154]
	v_fma_f64 v[153:154], v[2:3], v[163:164], v[204:205]
	v_add_f64 v[131:132], v[131:132], v[141:142]
	s_clause 0x4
	buffer_load_dword v142, off, s[0:3], 0 offset:412
	buffer_load_dword v163, off, s[0:3], 0 offset:424
	;; [unrolled: 1-line block ×5, first 2 shown]
	s_waitcnt vmcnt(57) lgkmcnt(0)
	v_mul_f64 v[210:211], v[4:5], v[165:166]
	v_mul_f64 v[165:166], v[6:7], v[165:166]
	s_waitcnt vmcnt(56)
	v_fma_f64 v[161:162], v[127:128], v[149:150], -v[161:162]
	ds_read_b128 v[0:3], v188 offset:1120
	v_fma_f64 v[147:148], v[129:130], v[149:150], v[147:148]
	s_clause 0x2
	buffer_load_dword v164, off, s[0:3], 0 offset:428
	buffer_load_dword v150, off, s[0:3], 0 offset:404
	buffer_load_dword v149, off, s[0:3], 0 offset:400
	ds_read_b128 v[127:130], v188 offset:1136
	v_add_f64 v[139:140], v[139:140], v[157:158]
	v_add_f64 v[131:132], v[131:132], v[153:154]
	s_waitcnt vmcnt(58) lgkmcnt(1)
	v_mul_f64 v[157:158], v[2:3], v[169:170]
	s_waitcnt vmcnt(56)
	v_fma_f64 v[165:166], v[4:5], v[171:172], -v[165:166]
	v_mul_f64 v[153:154], v[0:1], v[169:170]
	v_add_f64 v[139:140], v[139:140], v[161:162]
	v_fma_f64 v[161:162], v[6:7], v[171:172], v[210:211]
	v_add_f64 v[131:132], v[131:132], v[147:148]
	s_clause 0x4
	buffer_load_dword v148, off, s[0:3], 0 offset:444
	buffer_load_dword v169, off, s[0:3], 0 offset:456
	;; [unrolled: 1-line block ×5, first 2 shown]
	s_waitcnt vmcnt(57) lgkmcnt(0)
	v_mul_f64 v[210:211], v[127:128], v[173:174]
	v_mul_f64 v[172:173], v[129:130], v[173:174]
	s_waitcnt vmcnt(56)
	v_fma_f64 v[157:158], v[0:1], v[159:160], -v[157:158]
	ds_read_b128 v[4:7], v188 offset:1152
	v_fma_f64 v[153:154], v[2:3], v[159:160], v[153:154]
	s_clause 0x2
	buffer_load_dword v170, off, s[0:3], 0 offset:460
	buffer_load_dword v160, off, s[0:3], 0 offset:436
	;; [unrolled: 1-line block ×3, first 2 shown]
	ds_read_b128 v[0:3], v188 offset:1168
	v_add_f64 v[139:140], v[139:140], v[165:166]
	v_add_f64 v[131:132], v[131:132], v[161:162]
	s_waitcnt vmcnt(58) lgkmcnt(1)
	v_mul_f64 v[165:166], v[6:7], v[177:178]
	s_waitcnt vmcnt(56)
	v_fma_f64 v[173:174], v[127:128], v[179:180], -v[172:173]
	v_mul_f64 v[161:162], v[4:5], v[177:178]
	v_add_f64 v[139:140], v[139:140], v[157:158]
	v_fma_f64 v[157:158], v[129:130], v[179:180], v[210:211]
	v_add_f64 v[131:132], v[131:132], v[153:154]
	s_clause 0x4
	buffer_load_dword v154, off, s[0:3], 0 offset:476
	buffer_load_dword v177, off, s[0:3], 0 offset:488
	;; [unrolled: 1-line block ×5, first 2 shown]
	s_waitcnt vmcnt(57) lgkmcnt(0)
	v_mul_f64 v[210:211], v[0:1], v[181:182]
	v_mul_f64 v[180:181], v[2:3], v[181:182]
	s_waitcnt vmcnt(56)
	v_fma_f64 v[165:166], v[4:5], v[167:168], -v[165:166]
	ds_read_b128 v[127:130], v188 offset:1184
	v_fma_f64 v[161:162], v[6:7], v[167:168], v[161:162]
	v_add_f64 v[139:140], v[139:140], v[173:174]
	v_add_f64 v[131:132], v[131:132], v[157:158]
	s_clause 0x2
	buffer_load_dword v178, off, s[0:3], 0 offset:492
	buffer_load_dword v158, off, s[0:3], 0 offset:468
	;; [unrolled: 1-line block ×3, first 2 shown]
	ds_read_b128 v[4:7], v188 offset:1200
	s_waitcnt vmcnt(58) lgkmcnt(1)
	v_mul_f64 v[173:174], v[129:130], v[183:184]
	s_waitcnt vmcnt(56)
	v_fma_f64 v[181:182], v[0:1], v[185:186], -v[180:181]
	v_mul_f64 v[167:168], v[127:128], v[183:184]
	v_add_f64 v[139:140], v[139:140], v[165:166]
	v_fma_f64 v[165:166], v[2:3], v[185:186], v[210:211]
	v_add_f64 v[131:132], v[131:132], v[161:162]
	s_clause 0x4
	buffer_load_dword v162, off, s[0:3], 0 offset:508
	buffer_load_dword v183, off, s[0:3], 0 offset:520
	;; [unrolled: 1-line block ×5, first 2 shown]
	s_waitcnt vmcnt(57) lgkmcnt(0)
	v_mul_f64 v[186:187], v[4:5], v[195:196]
	v_mul_f64 v[195:196], v[6:7], v[195:196]
	s_waitcnt vmcnt(56)
	v_fma_f64 v[173:174], v[127:128], v[175:176], -v[173:174]
	ds_read_b128 v[0:3], v188 offset:1216
	v_fma_f64 v[167:168], v[129:130], v[175:176], v[167:168]
	v_add_f64 v[139:140], v[139:140], v[181:182]
	v_add_f64 v[131:132], v[131:132], v[165:166]
	s_clause 0x2
	buffer_load_dword v184, off, s[0:3], 0 offset:524
	buffer_load_dword v166, off, s[0:3], 0 offset:500
	;; [unrolled: 1-line block ×3, first 2 shown]
	ds_read_b128 v[127:130], v188 offset:1232
	s_waitcnt vmcnt(58) lgkmcnt(1)
	v_mul_f64 v[181:182], v[2:3], v[197:198]
	v_mul_f64 v[175:176], v[0:1], v[197:198]
	s_waitcnt vmcnt(56)
	v_fma_f64 v[195:196], v[4:5], v[135:136], -v[195:196]
	v_fma_f64 v[135:136], v[6:7], v[135:136], v[186:187]
	v_add_f64 v[139:140], v[139:140], v[173:174]
	v_add_f64 v[131:132], v[131:132], v[167:168]
	s_clause 0x4
	buffer_load_dword v168, off, s[0:3], 0 offset:540
	buffer_load_dword v173, off, s[0:3], 0 offset:552
	;; [unrolled: 1-line block ×5, first 2 shown]
	ds_read_b128 v[4:7], v188 offset:1248
	s_waitcnt vmcnt(57) lgkmcnt(1)
	v_mul_f64 v[210:211], v[127:128], v[133:134]
	v_mul_f64 v[133:134], v[129:130], v[133:134]
	s_waitcnt vmcnt(56)
	v_fma_f64 v[181:182], v[0:1], v[199:200], -v[181:182]
	v_fma_f64 v[175:176], v[2:3], v[199:200], v[175:176]
	v_add_f64 v[139:140], v[139:140], v[195:196]
	v_add_f64 v[131:132], v[131:132], v[135:136]
	s_clause 0x2
	buffer_load_dword v174, off, s[0:3], 0 offset:556
	buffer_load_dword v136, off, s[0:3], 0 offset:532
	;; [unrolled: 1-line block ×3, first 2 shown]
	s_waitcnt vmcnt(58) lgkmcnt(0)
	v_mul_f64 v[199:200], v[6:7], v[201:202]
	ds_read_b128 v[0:3], v188 offset:1264
	v_mul_f64 v[195:196], v[4:5], v[201:202]
	s_waitcnt vmcnt(56)
	v_fma_f64 v[133:134], v[127:128], v[191:192], -v[133:134]
	v_add_f64 v[139:140], v[139:140], v[181:182]
	v_fma_f64 v[181:182], v[129:130], v[191:192], v[210:211]
	v_add_f64 v[131:132], v[131:132], v[175:176]
	s_clause 0x4
	buffer_load_dword v176, off, s[0:3], 0 offset:572
	buffer_load_dword v191, off, s[0:3], 0 offset:584
	;; [unrolled: 1-line block ×5, first 2 shown]
	ds_read_b128 v[127:130], v188 offset:1280
	s_waitcnt vmcnt(57) lgkmcnt(1)
	v_mul_f64 v[210:211], v[0:1], v[151:152]
	v_mul_f64 v[151:152], v[2:3], v[151:152]
	s_waitcnt vmcnt(56)
	v_fma_f64 v[199:200], v[4:5], v[206:207], -v[199:200]
	v_add_f64 v[133:134], v[139:140], v[133:134]
	v_fma_f64 v[139:140], v[6:7], v[206:207], v[195:196]
	v_add_f64 v[131:132], v[131:132], v[181:182]
	s_clause 0x2
	buffer_load_dword v192, off, s[0:3], 0 offset:588
	buffer_load_dword v182, off, s[0:3], 0 offset:564
	;; [unrolled: 1-line block ×3, first 2 shown]
	ds_read_b128 v[4:7], v188 offset:1296
	s_waitcnt vmcnt(58) lgkmcnt(1)
	v_mul_f64 v[195:196], v[127:128], v[193:194]
	v_mul_f64 v[193:194], v[129:130], v[193:194]
	s_waitcnt vmcnt(56)
	v_fma_f64 v[151:152], v[0:1], v[145:146], -v[151:152]
	v_fma_f64 v[145:146], v[2:3], v[145:146], v[210:211]
	v_add_f64 v[133:134], v[133:134], v[199:200]
	v_add_f64 v[131:132], v[131:132], v[139:140]
	s_clause 0x4
	buffer_load_dword v140, off, s[0:3], 0 offset:604
	buffer_load_dword v199, off, s[0:3], 0 offset:616
	;; [unrolled: 1-line block ×5, first 2 shown]
	ds_read_b128 v[0:3], v188 offset:1312
	s_waitcnt vmcnt(57) lgkmcnt(1)
	v_mul_f64 v[206:207], v[4:5], v[137:138]
	v_mul_f64 v[137:138], v[6:7], v[137:138]
	s_waitcnt vmcnt(56)
	v_fma_f64 v[193:194], v[127:128], v[208:209], -v[193:194]
	v_add_f64 v[133:134], v[133:134], v[151:152]
	v_fma_f64 v[151:152], v[129:130], v[208:209], v[195:196]
	v_add_f64 v[131:132], v[131:132], v[145:146]
	s_clause 0x2
	buffer_load_dword v200, off, s[0:3], 0 offset:620
	buffer_load_dword v146, off, s[0:3], 0 offset:596
	;; [unrolled: 1-line block ×3, first 2 shown]
	ds_read_b128 v[127:130], v188 offset:1328
	s_waitcnt vmcnt(58) lgkmcnt(1)
	v_mul_f64 v[195:196], v[0:1], v[155:156]
	v_mul_f64 v[155:156], v[2:3], v[155:156]
	s_waitcnt vmcnt(56)
	v_fma_f64 v[137:138], v[4:5], v[143:144], -v[137:138]
	v_fma_f64 v[143:144], v[6:7], v[143:144], v[206:207]
	v_add_f64 v[133:134], v[133:134], v[193:194]
	v_add_f64 v[131:132], v[131:132], v[151:152]
	s_clause 0x4
	buffer_load_dword v152, off, s[0:3], 0 offset:636
	buffer_load_dword v193, off, s[0:3], 0 offset:648
	;; [unrolled: 1-line block ×5, first 2 shown]
	ds_read_b128 v[4:7], v188 offset:1344
	s_waitcnt vmcnt(57) lgkmcnt(1)
	v_mul_f64 v[208:209], v[127:128], v[141:142]
	v_mul_f64 v[141:142], v[129:130], v[141:142]
	s_waitcnt vmcnt(56)
	v_fma_f64 v[155:156], v[0:1], v[203:204], -v[155:156]
	v_add_f64 v[133:134], v[133:134], v[137:138]
	v_fma_f64 v[137:138], v[2:3], v[203:204], v[195:196]
	v_add_f64 v[131:132], v[131:132], v[143:144]
	s_clause 0x2
	buffer_load_dword v194, off, s[0:3], 0 offset:652
	buffer_load_dword v144, off, s[0:3], 0 offset:628
	;; [unrolled: 1-line block ×3, first 2 shown]
	s_waitcnt vmcnt(58) lgkmcnt(0)
	v_mul_f64 v[195:196], v[4:5], v[163:164]
	v_mul_f64 v[163:164], v[6:7], v[163:164]
	ds_read_b128 v[0:3], v188 offset:1360
	s_waitcnt vmcnt(56)
	v_fma_f64 v[141:142], v[127:128], v[149:150], -v[141:142]
	v_fma_f64 v[149:150], v[129:130], v[149:150], v[208:209]
	v_add_f64 v[133:134], v[133:134], v[155:156]
	v_add_f64 v[131:132], v[131:132], v[137:138]
	s_clause 0x4
	buffer_load_dword v138, off, s[0:3], 0 offset:668
	buffer_load_dword v155, off, s[0:3], 0 offset:680
	;; [unrolled: 1-line block ×5, first 2 shown]
	ds_read_b128 v[127:130], v188 offset:1376
	s_waitcnt vmcnt(57) lgkmcnt(1)
	v_mul_f64 v[209:210], v[0:1], v[147:148]
	v_mul_f64 v[147:148], v[2:3], v[147:148]
	s_waitcnt vmcnt(56)
	v_fma_f64 v[163:164], v[4:5], v[189:190], -v[163:164]
	v_add_f64 v[133:134], v[133:134], v[141:142]
	v_fma_f64 v[141:142], v[6:7], v[189:190], v[195:196]
	v_add_f64 v[131:132], v[131:132], v[149:150]
	s_clause 0x2
	buffer_load_dword v156, off, s[0:3], 0 offset:684
	buffer_load_dword v150, off, s[0:3], 0 offset:660
	;; [unrolled: 1-line block ×3, first 2 shown]
	s_waitcnt vmcnt(58) lgkmcnt(0)
	v_mul_f64 v[189:190], v[127:128], v[169:170]
	v_mul_f64 v[169:170], v[129:130], v[169:170]
	ds_read_b128 v[4:7], v188 offset:1392
	s_waitcnt vmcnt(56)
	v_fma_f64 v[147:148], v[0:1], v[159:160], -v[147:148]
	v_fma_f64 v[159:160], v[2:3], v[159:160], v[209:210]
	v_add_f64 v[133:134], v[133:134], v[163:164]
	v_add_f64 v[131:132], v[131:132], v[141:142]
	s_clause 0x4
	buffer_load_dword v142, off, s[0:3], 0 offset:700
	buffer_load_dword v163, off, s[0:3], 0 offset:712
	buffer_load_dword v195, off, s[0:3], 0 offset:704
	buffer_load_dword v141, off, s[0:3], 0 offset:696
	buffer_load_dword v204, off, s[0:3], 0 offset:676
	ds_read_b128 v[0:3], v188 offset:1408
	s_waitcnt vmcnt(57) lgkmcnt(1)
	v_mul_f64 v[209:210], v[4:5], v[153:154]
	v_mul_f64 v[153:154], v[6:7], v[153:154]
	s_waitcnt vmcnt(56)
	v_fma_f64 v[169:170], v[127:128], v[171:172], -v[169:170]
	v_add_f64 v[133:134], v[133:134], v[147:148]
	v_fma_f64 v[147:148], v[129:130], v[171:172], v[189:190]
	v_add_f64 v[131:132], v[131:132], v[159:160]
	s_clause 0x2
	buffer_load_dword v164, off, s[0:3], 0 offset:716
	buffer_load_dword v160, off, s[0:3], 0 offset:692
	buffer_load_dword v159, off, s[0:3], 0 offset:688
	ds_read_b128 v[127:130], v188 offset:1424
	s_waitcnt vmcnt(58) lgkmcnt(1)
	v_mul_f64 v[171:172], v[0:1], v[177:178]
	v_mul_f64 v[177:178], v[2:3], v[177:178]
	s_waitcnt vmcnt(56)
	v_fma_f64 v[153:154], v[4:5], v[157:158], -v[153:154]
	v_fma_f64 v[157:158], v[6:7], v[157:158], v[209:210]
	v_add_f64 v[133:134], v[133:134], v[169:170]
	v_add_f64 v[131:132], v[131:132], v[147:148]
	s_clause 0x4
	buffer_load_dword v148, off, s[0:3], 0 offset:732
	buffer_load_dword v169, off, s[0:3], 0 offset:744
	buffer_load_dword v189, off, s[0:3], 0 offset:736
	buffer_load_dword v147, off, s[0:3], 0 offset:728
	buffer_load_dword v196, off, s[0:3], 0 offset:708
	ds_read_b128 v[4:7], v188 offset:1440
	s_waitcnt vmcnt(57) lgkmcnt(1)
	v_mul_f64 v[209:210], v[127:128], v[161:162]
	v_mul_f64 v[161:162], v[129:130], v[161:162]
	s_waitcnt vmcnt(56)
	v_fma_f64 v[177:178], v[0:1], v[179:180], -v[177:178]
	v_add_f64 v[133:134], v[133:134], v[153:154]
	v_fma_f64 v[153:154], v[2:3], v[179:180], v[171:172]
	v_add_f64 v[131:132], v[131:132], v[157:158]
	s_clause 0x2
	buffer_load_dword v170, off, s[0:3], 0 offset:748
	buffer_load_dword v158, off, s[0:3], 0 offset:724
	buffer_load_dword v157, off, s[0:3], 0 offset:720
	ds_read_b128 v[0:3], v188 offset:1456
	s_waitcnt vmcnt(58) lgkmcnt(1)
	v_mul_f64 v[179:180], v[6:7], v[183:184]
	v_mul_f64 v[171:172], v[4:5], v[183:184]
	;; [unrolled: 28-line block ×4, first 2 shown]
	s_waitcnt vmcnt(56)
	v_fma_f64 v[175:176], v[4:5], v[181:182], -v[175:176]
	v_add_f64 v[133:134], v[133:134], v[173:174]
	v_fma_f64 v[173:174], v[6:7], v[181:182], v[186:187]
	v_add_f64 v[131:132], v[131:132], v[167:168]
	s_clause 0x4
	buffer_load_dword v168, off, s[0:3], 0 offset:828
	buffer_load_dword v181, off, s[0:3], 0 offset:840
	;; [unrolled: 1-line block ×5, first 2 shown]
	ds_read_b128 v[4:7], v188 offset:1536
	s_waitcnt vmcnt(57) lgkmcnt(1)
	v_mul_f64 v[209:210], v[127:128], v[139:140]
	v_mul_f64 v[139:140], v[129:130], v[139:140]
	s_waitcnt vmcnt(56)
	v_fma_f64 v[191:192], v[0:1], v[201:202], -v[191:192]
	v_fma_f64 v[171:172], v[2:3], v[201:202], v[171:172]
	v_add_f64 v[133:134], v[133:134], v[175:176]
	v_add_f64 v[131:132], v[131:132], v[173:174]
	s_clause 0x2
	buffer_load_dword v182, off, s[0:3], 0 offset:844
	buffer_load_dword v174, off, s[0:3], 0 offset:820
	buffer_load_dword v173, off, s[0:3], 0 offset:816
	ds_read_b128 v[0:3], v188 offset:1552
	s_waitcnt vmcnt(58) lgkmcnt(1)
	v_mul_f64 v[175:176], v[4:5], v[199:200]
	v_mul_f64 v[199:200], v[6:7], v[199:200]
	s_waitcnt vmcnt(56)
	v_fma_f64 v[139:140], v[127:128], v[145:146], -v[139:140]
	v_fma_f64 v[145:146], v[129:130], v[145:146], v[209:210]
	v_add_f64 v[133:134], v[133:134], v[191:192]
	v_add_f64 v[131:132], v[131:132], v[171:172]
	s_clause 0x4
	buffer_load_dword v172, off, s[0:3], 0 offset:860
	buffer_load_dword v191, off, s[0:3], 0 offset:872
	buffer_load_dword v201, off, s[0:3], 0 offset:864
	buffer_load_dword v171, off, s[0:3], 0 offset:856
	buffer_load_dword v198, off, s[0:3], 0 offset:836
	ds_read_b128 v[127:130], v188 offset:1568
	s_waitcnt vmcnt(57) lgkmcnt(1)
	v_mul_f64 v[209:210], v[0:1], v[151:152]
	v_mul_f64 v[151:152], v[2:3], v[151:152]
	s_waitcnt vmcnt(56)
	v_fma_f64 v[199:200], v[4:5], v[205:206], -v[199:200]
	v_add_f64 v[133:134], v[133:134], v[139:140]
	v_fma_f64 v[139:140], v[6:7], v[205:206], v[175:176]
	v_add_f64 v[131:132], v[131:132], v[145:146]
	s_clause 0x2
	buffer_load_dword v192, off, s[0:3], 0 offset:876
	buffer_load_dword v146, off, s[0:3], 0 offset:852
	buffer_load_dword v145, off, s[0:3], 0 offset:848
	ds_read_b128 v[4:7], v188 offset:1584
	s_waitcnt vmcnt(58) lgkmcnt(1)
	v_mul_f64 v[175:176], v[127:128], v[193:194]
	v_mul_f64 v[193:194], v[129:130], v[193:194]
	s_waitcnt vmcnt(56)
	v_fma_f64 v[151:152], v[0:1], v[143:144], -v[151:152]
	v_fma_f64 v[143:144], v[2:3], v[143:144], v[209:210]
	v_add_f64 v[133:134], v[133:134], v[199:200]
	v_add_f64 v[131:132], v[131:132], v[139:140]
	s_clause 0x4
	buffer_load_dword v140, off, s[0:3], 0 offset:892
	buffer_load_dword v199, off, s[0:3], 0 offset:904
	buffer_load_dword v205, off, s[0:3], 0 offset:896
	buffer_load_dword v139, off, s[0:3], 0 offset:888
	buffer_load_dword v202, off, s[0:3], 0 offset:868
	ds_read_b128 v[0:3], v188 offset:1600
	s_waitcnt vmcnt(57) lgkmcnt(1)
	v_mul_f64 v[209:210], v[4:5], v[137:138]
	v_mul_f64 v[137:138], v[6:7], v[137:138]
	s_waitcnt vmcnt(56)
	v_fma_f64 v[193:194], v[127:128], v[207:208], -v[193:194]
	v_add_f64 v[133:134], v[133:134], v[151:152]
	v_fma_f64 v[151:152], v[129:130], v[207:208], v[175:176]
	;; [unrolled: 28-line block ×3, first 2 shown]
	v_add_f64 v[131:132], v[131:132], v[149:150]
	s_clause 0x2
	buffer_load_dword v194, off, s[0:3], 0 offset:940
	buffer_load_dword v150, off, s[0:3], 0 offset:916
	;; [unrolled: 1-line block ×3, first 2 shown]
	ds_read_b128 v[0:3], v188 offset:1648
	s_waitcnt vmcnt(58) lgkmcnt(1)
	v_mul_f64 v[175:176], v[4:5], v[163:164]
	v_mul_f64 v[163:164], v[6:7], v[163:164]
	s_waitcnt vmcnt(56)
	v_fma_f64 v[141:142], v[127:128], v[159:160], -v[141:142]
	v_add_f64 v[133:134], v[133:134], v[155:156]
	v_fma_f64 v[155:156], v[129:130], v[159:160], v[208:209]
	v_add_f64 v[131:132], v[131:132], v[137:138]
	s_clause 0x2
	buffer_load_dword v138, off, s[0:3], 0 offset:956
	buffer_load_dword v137, off, s[0:3], 0 offset:952
	;; [unrolled: 1-line block ×3, first 2 shown]
	ds_read_b128 v[127:130], v188 offset:1664
	s_waitcnt vmcnt(55) lgkmcnt(1)
	v_mul_f64 v[159:160], v[0:1], v[147:148]
	v_mul_f64 v[147:148], v[2:3], v[147:148]
	s_waitcnt vmcnt(54)
	v_fma_f64 v[163:164], v[4:5], v[195:196], -v[163:164]
	v_add_f64 v[133:134], v[133:134], v[141:142]
	v_fma_f64 v[141:142], v[6:7], v[195:196], v[175:176]
	v_add_f64 v[131:132], v[131:132], v[155:156]
	s_clause 0x1
	buffer_load_dword v156, off, s[0:3], 0 offset:948
	buffer_load_dword v155, off, s[0:3], 0 offset:944
	ds_read_b128 v[4:7], v188 offset:1680
	s_waitcnt vmcnt(55) lgkmcnt(1)
	v_mul_f64 v[175:176], v[127:128], v[169:170]
	v_mul_f64 v[169:170], v[129:130], v[169:170]
	s_waitcnt vmcnt(53)
	v_fma_f64 v[147:148], v[0:1], v[157:158], -v[147:148]
	v_fma_f64 v[157:158], v[2:3], v[157:158], v[159:160]
	ds_read_b128 v[0:3], v188 offset:1696
	v_add_f64 v[133:134], v[133:134], v[163:164]
	v_add_f64 v[131:132], v[131:132], v[141:142]
	s_waitcnt vmcnt(49) lgkmcnt(1)
	v_mul_f64 v[141:142], v[4:5], v[153:154]
	v_mul_f64 v[153:154], v[6:7], v[153:154]
	s_waitcnt vmcnt(48)
	v_fma_f64 v[159:160], v[127:128], v[189:190], -v[169:170]
	v_add_f64 v[133:134], v[133:134], v[147:148]
	v_fma_f64 v[147:148], v[129:130], v[189:190], v[175:176]
	v_add_f64 v[131:132], v[131:132], v[157:158]
	s_clause 0x3
	buffer_load_dword v157, off, s[0:3], 0 offset:16
	buffer_load_dword v158, off, s[0:3], 0 offset:20
	;; [unrolled: 1-line block ×4, first 2 shown]
	ds_read_b128 v[127:130], v188 offset:1712
	s_waitcnt vmcnt(51) lgkmcnt(1)
	v_mul_f64 v[175:176], v[2:3], v[177:178]
	v_mul_f64 v[169:170], v[0:1], v[177:178]
	s_waitcnt vmcnt(49)
	v_fma_f64 v[153:154], v[4:5], v[165:166], -v[153:154]
	v_fma_f64 v[141:142], v[6:7], v[165:166], v[141:142]
	ds_read_b128 v[4:7], v188 offset:1728
	v_add_f64 v[133:134], v[133:134], v[159:160]
	v_add_f64 v[131:132], v[131:132], v[147:148]
	s_waitcnt vmcnt(45) lgkmcnt(1)
	v_mul_f64 v[147:148], v[127:128], v[161:162]
	v_mul_f64 v[159:160], v[129:130], v[161:162]
	s_waitcnt vmcnt(44)
	v_fma_f64 v[161:162], v[0:1], v[183:184], -v[175:176]
	v_add_f64 v[133:134], v[133:134], v[153:154]
	v_fma_f64 v[153:154], v[2:3], v[183:184], v[169:170]
	v_add_f64 v[131:132], v[131:132], v[141:142]
	ds_read_b128 v[0:3], v188 offset:1744
	s_waitcnt vmcnt(43) lgkmcnt(1)
	v_mul_f64 v[165:166], v[6:7], v[179:180]
	v_mul_f64 v[141:142], v[4:5], v[179:180]
	s_waitcnt vmcnt(41)
	v_fma_f64 v[159:160], v[127:128], v[135:136], -v[159:160]
	v_fma_f64 v[135:136], v[129:130], v[135:136], v[147:148]
	ds_read_b128 v[127:130], v188 offset:1760
	v_add_f64 v[133:134], v[133:134], v[161:162]
	v_add_f64 v[131:132], v[131:132], v[153:154]
	s_waitcnt vmcnt(37) lgkmcnt(1)
	v_mul_f64 v[153:154], v[2:3], v[167:168]
	s_waitcnt vmcnt(36)
	v_fma_f64 v[161:162], v[4:5], v[185:186], -v[165:166]
	v_mul_f64 v[147:148], v[0:1], v[167:168]
	v_fma_f64 v[141:142], v[6:7], v[185:186], v[141:142]
	ds_read_b128 v[4:7], v188 offset:1776
	v_add_f64 v[133:134], v[133:134], v[159:160]
	v_add_f64 v[131:132], v[131:132], v[135:136]
	s_waitcnt vmcnt(35) lgkmcnt(1)
	v_mul_f64 v[159:160], v[129:130], v[181:182]
	v_mul_f64 v[135:136], v[127:128], v[181:182]
	s_waitcnt vmcnt(33)
	v_fma_f64 v[153:154], v[0:1], v[173:174], -v[153:154]
	v_fma_f64 v[147:148], v[2:3], v[173:174], v[147:148]
	ds_read_b128 v[0:3], v188 offset:1792
	v_add_f64 v[133:134], v[133:134], v[161:162]
	v_add_f64 v[131:132], v[131:132], v[141:142]
	s_waitcnt vmcnt(29) lgkmcnt(1)
	v_mul_f64 v[161:162], v[6:7], v[171:172]
	s_waitcnt vmcnt(28)
	v_fma_f64 v[159:160], v[127:128], v[197:198], -v[159:160]
	v_mul_f64 v[141:142], v[4:5], v[171:172]
	v_fma_f64 v[135:136], v[129:130], v[197:198], v[135:136]
	ds_read_b128 v[127:130], v188 offset:1808
	v_add_f64 v[133:134], v[133:134], v[153:154]
	v_add_f64 v[131:132], v[131:132], v[147:148]
	s_waitcnt vmcnt(27) lgkmcnt(1)
	v_mul_f64 v[153:154], v[2:3], v[191:192]
	v_mul_f64 v[147:148], v[0:1], v[191:192]
	s_waitcnt vmcnt(25)
	v_fma_f64 v[161:162], v[4:5], v[145:146], -v[161:162]
	v_fma_f64 v[141:142], v[6:7], v[145:146], v[141:142]
	ds_read_b128 v[4:7], v188 offset:1824
	v_add_f64 v[133:134], v[133:134], v[159:160]
	v_add_f64 v[131:132], v[131:132], v[135:136]
	s_waitcnt vmcnt(21) lgkmcnt(1)
	v_mul_f64 v[135:136], v[127:128], v[139:140]
	v_mul_f64 v[139:140], v[129:130], v[139:140]
	s_waitcnt vmcnt(20)
	v_fma_f64 v[145:146], v[0:1], v[201:202], -v[153:154]
	;; [unrolled: 9-line block ×3, first 2 shown]
	v_fma_f64 v[135:136], v[129:130], v[143:144], v[135:136]
	ds_read_b128 v[127:130], v188 offset:1856
	v_add_f64 v[133:134], v[133:134], v[145:146]
	v_add_f64 v[131:132], v[131:132], v[147:148]
	s_waitcnt vmcnt(13) lgkmcnt(1)
	v_mul_f64 v[145:146], v[2:3], v[151:152]
	s_waitcnt vmcnt(12)
	v_fma_f64 v[147:148], v[4:5], v[205:206], -v[153:154]
	v_mul_f64 v[143:144], v[0:1], v[151:152]
	v_add_f64 v[133:134], v[133:134], v[139:140]
	v_fma_f64 v[139:140], v[6:7], v[205:206], v[141:142]
	v_add_f64 v[131:132], v[131:132], v[135:136]
	ds_read_b128 v[4:7], v188 offset:1872
	s_waitcnt vmcnt(11) lgkmcnt(1)
	v_mul_f64 v[141:142], v[129:130], v[193:194]
	v_mul_f64 v[135:136], v[127:128], v[193:194]
	s_waitcnt vmcnt(9)
	v_fma_f64 v[0:1], v[0:1], v[149:150], -v[145:146]
	v_fma_f64 v[2:3], v[2:3], v[149:150], v[143:144]
	v_add_f64 v[133:134], v[133:134], v[147:148]
	v_add_f64 v[131:132], v[131:132], v[139:140]
	s_waitcnt vmcnt(7) lgkmcnt(0)
	v_mul_f64 v[139:140], v[4:5], v[137:138]
	v_mul_f64 v[137:138], v[6:7], v[137:138]
	s_waitcnt vmcnt(6)
	v_fma_f64 v[127:128], v[127:128], v[207:208], -v[141:142]
	v_fma_f64 v[129:130], v[129:130], v[207:208], v[135:136]
	v_add_f64 v[0:1], v[133:134], v[0:1]
	v_add_f64 v[2:3], v[131:132], v[2:3]
	s_waitcnt vmcnt(4)
	v_fma_f64 v[4:5], v[4:5], v[155:156], -v[137:138]
	v_fma_f64 v[6:7], v[6:7], v[155:156], v[139:140]
	v_add_f64 v[0:1], v[0:1], v[127:128]
	v_add_f64 v[2:3], v[2:3], v[129:130]
	;; [unrolled: 1-line block ×4, first 2 shown]
	s_waitcnt vmcnt(2)
	v_add_f64 v[0:1], v[157:158], -v[0:1]
	s_waitcnt vmcnt(0)
	v_add_f64 v[2:3], v[163:164], -v[2:3]
	buffer_store_dword v1, off, s[0:3], 0 offset:20
	buffer_store_dword v0, off, s[0:3], 0 offset:16
	;; [unrolled: 1-line block ×4, first 2 shown]
	s_cbranch_vccz .LBB122_484
; %bb.368:
	v_mov_b32_e32 v0, 0
	global_load_dword v1, v0, s[12:13] offset:228
	s_waitcnt vmcnt(0)
	v_add_nc_u32_e32 v1, -1, v1
	v_cmp_ne_u32_e32 vcc_lo, 57, v1
	s_cbranch_vccz .LBB122_370
; %bb.369:
	v_lshlrev_b32_e32 v1, 4, v1
	v_mov_b32_e32 v2, s9
	v_add_nc_u32_e32 v1, 16, v1
	s_clause 0x7
	buffer_load_dword v3, v1, s[0:3], 0 offen
	buffer_load_dword v4, v1, s[0:3], 0 offen offset:4
	buffer_load_dword v5, v1, s[0:3], 0 offen offset:8
	;; [unrolled: 1-line block ×6, first 2 shown]
	buffer_load_dword v128, v2, s[0:3], 0 offen
	s_waitcnt vmcnt(7)
	buffer_store_dword v3, v2, s[0:3], 0 offen
	s_waitcnt vmcnt(6)
	buffer_store_dword v4, v2, s[0:3], 0 offen offset:4
	s_waitcnt vmcnt(5)
	buffer_store_dword v5, v2, s[0:3], 0 offen offset:8
	;; [unrolled: 2-line block ×6, first 2 shown]
	s_waitcnt vmcnt(0)
	buffer_store_dword v128, v1, s[0:3], 0 offen
.LBB122_370:
	global_load_dword v0, v0, s[12:13] offset:224
	s_waitcnt vmcnt(0)
	v_add_nc_u32_e32 v0, -1, v0
	v_cmp_eq_u32_e32 vcc_lo, 56, v0
	s_cbranch_vccnz .LBB122_372
; %bb.371:
	v_lshlrev_b32_e32 v0, 4, v0
	v_mov_b32_e32 v1, s14
	v_add_nc_u32_e32 v0, 16, v0
	s_clause 0x7
	buffer_load_dword v2, v0, s[0:3], 0 offen
	buffer_load_dword v3, v0, s[0:3], 0 offen offset:4
	buffer_load_dword v4, v0, s[0:3], 0 offen offset:8
	;; [unrolled: 1-line block ×6, first 2 shown]
	buffer_load_dword v127, v1, s[0:3], 0 offen
	s_waitcnt vmcnt(7)
	buffer_store_dword v2, v1, s[0:3], 0 offen
	s_waitcnt vmcnt(6)
	buffer_store_dword v3, v1, s[0:3], 0 offen offset:4
	s_waitcnt vmcnt(5)
	buffer_store_dword v4, v1, s[0:3], 0 offen offset:8
	;; [unrolled: 2-line block ×6, first 2 shown]
	s_waitcnt vmcnt(0)
	buffer_store_dword v127, v0, s[0:3], 0 offen
.LBB122_372:
	v_mov_b32_e32 v0, 0
	global_load_dword v1, v0, s[12:13] offset:220
	s_waitcnt vmcnt(0)
	v_add_nc_u32_e32 v1, -1, v1
	v_cmp_eq_u32_e32 vcc_lo, 55, v1
	s_cbranch_vccnz .LBB122_374
; %bb.373:
	v_lshlrev_b32_e32 v1, 4, v1
	v_mov_b32_e32 v2, s15
	v_add_nc_u32_e32 v1, 16, v1
	s_clause 0x7
	buffer_load_dword v3, v1, s[0:3], 0 offen
	buffer_load_dword v4, v1, s[0:3], 0 offen offset:4
	buffer_load_dword v5, v1, s[0:3], 0 offen offset:8
	;; [unrolled: 1-line block ×6, first 2 shown]
	buffer_load_dword v128, v2, s[0:3], 0 offen
	s_waitcnt vmcnt(7)
	buffer_store_dword v3, v2, s[0:3], 0 offen
	s_waitcnt vmcnt(6)
	buffer_store_dword v4, v2, s[0:3], 0 offen offset:4
	s_waitcnt vmcnt(5)
	buffer_store_dword v5, v2, s[0:3], 0 offen offset:8
	;; [unrolled: 2-line block ×6, first 2 shown]
	s_waitcnt vmcnt(0)
	buffer_store_dword v128, v1, s[0:3], 0 offen
.LBB122_374:
	global_load_dword v0, v0, s[12:13] offset:216
	s_waitcnt vmcnt(0)
	v_add_nc_u32_e32 v0, -1, v0
	v_cmp_eq_u32_e32 vcc_lo, 54, v0
	s_cbranch_vccnz .LBB122_376
; %bb.375:
	v_lshlrev_b32_e32 v0, 4, v0
	v_mov_b32_e32 v1, s16
	v_add_nc_u32_e32 v0, 16, v0
	s_clause 0x7
	buffer_load_dword v2, v0, s[0:3], 0 offen
	buffer_load_dword v3, v0, s[0:3], 0 offen offset:4
	buffer_load_dword v4, v0, s[0:3], 0 offen offset:8
	;; [unrolled: 1-line block ×6, first 2 shown]
	buffer_load_dword v127, v1, s[0:3], 0 offen
	s_waitcnt vmcnt(7)
	buffer_store_dword v2, v1, s[0:3], 0 offen
	s_waitcnt vmcnt(6)
	buffer_store_dword v3, v1, s[0:3], 0 offen offset:4
	s_waitcnt vmcnt(5)
	buffer_store_dword v4, v1, s[0:3], 0 offen offset:8
	;; [unrolled: 2-line block ×6, first 2 shown]
	s_waitcnt vmcnt(0)
	buffer_store_dword v127, v0, s[0:3], 0 offen
.LBB122_376:
	v_mov_b32_e32 v0, 0
	global_load_dword v1, v0, s[12:13] offset:212
	s_waitcnt vmcnt(0)
	v_add_nc_u32_e32 v1, -1, v1
	v_cmp_eq_u32_e32 vcc_lo, 53, v1
	s_cbranch_vccnz .LBB122_378
; %bb.377:
	v_lshlrev_b32_e32 v1, 4, v1
	v_mov_b32_e32 v2, s17
	v_add_nc_u32_e32 v1, 16, v1
	s_clause 0x7
	buffer_load_dword v3, v1, s[0:3], 0 offen
	buffer_load_dword v4, v1, s[0:3], 0 offen offset:4
	buffer_load_dword v5, v1, s[0:3], 0 offen offset:8
	;; [unrolled: 1-line block ×6, first 2 shown]
	buffer_load_dword v128, v2, s[0:3], 0 offen
	s_waitcnt vmcnt(7)
	buffer_store_dword v3, v2, s[0:3], 0 offen
	s_waitcnt vmcnt(6)
	buffer_store_dword v4, v2, s[0:3], 0 offen offset:4
	s_waitcnt vmcnt(5)
	buffer_store_dword v5, v2, s[0:3], 0 offen offset:8
	;; [unrolled: 2-line block ×6, first 2 shown]
	s_waitcnt vmcnt(0)
	buffer_store_dword v128, v1, s[0:3], 0 offen
.LBB122_378:
	global_load_dword v0, v0, s[12:13] offset:208
	s_waitcnt vmcnt(0)
	v_add_nc_u32_e32 v0, -1, v0
	v_cmp_eq_u32_e32 vcc_lo, 52, v0
	s_cbranch_vccnz .LBB122_380
; %bb.379:
	v_lshlrev_b32_e32 v0, 4, v0
	v_mov_b32_e32 v1, s18
	v_add_nc_u32_e32 v0, 16, v0
	s_clause 0x7
	buffer_load_dword v2, v0, s[0:3], 0 offen
	buffer_load_dword v3, v0, s[0:3], 0 offen offset:4
	buffer_load_dword v4, v0, s[0:3], 0 offen offset:8
	;; [unrolled: 1-line block ×6, first 2 shown]
	buffer_load_dword v127, v1, s[0:3], 0 offen
	s_waitcnt vmcnt(7)
	buffer_store_dword v2, v1, s[0:3], 0 offen
	s_waitcnt vmcnt(6)
	buffer_store_dword v3, v1, s[0:3], 0 offen offset:4
	s_waitcnt vmcnt(5)
	buffer_store_dword v4, v1, s[0:3], 0 offen offset:8
	;; [unrolled: 2-line block ×6, first 2 shown]
	s_waitcnt vmcnt(0)
	buffer_store_dword v127, v0, s[0:3], 0 offen
.LBB122_380:
	v_mov_b32_e32 v0, 0
	global_load_dword v1, v0, s[12:13] offset:204
	s_waitcnt vmcnt(0)
	v_add_nc_u32_e32 v1, -1, v1
	v_cmp_eq_u32_e32 vcc_lo, 51, v1
	s_cbranch_vccnz .LBB122_382
; %bb.381:
	v_lshlrev_b32_e32 v1, 4, v1
	v_mov_b32_e32 v2, s19
	v_add_nc_u32_e32 v1, 16, v1
	s_clause 0x7
	buffer_load_dword v3, v1, s[0:3], 0 offen
	buffer_load_dword v4, v1, s[0:3], 0 offen offset:4
	buffer_load_dword v5, v1, s[0:3], 0 offen offset:8
	;; [unrolled: 1-line block ×6, first 2 shown]
	buffer_load_dword v128, v2, s[0:3], 0 offen
	s_waitcnt vmcnt(7)
	buffer_store_dword v3, v2, s[0:3], 0 offen
	s_waitcnt vmcnt(6)
	buffer_store_dword v4, v2, s[0:3], 0 offen offset:4
	s_waitcnt vmcnt(5)
	buffer_store_dword v5, v2, s[0:3], 0 offen offset:8
	;; [unrolled: 2-line block ×6, first 2 shown]
	s_waitcnt vmcnt(0)
	buffer_store_dword v128, v1, s[0:3], 0 offen
.LBB122_382:
	global_load_dword v0, v0, s[12:13] offset:200
	s_waitcnt vmcnt(0)
	v_add_nc_u32_e32 v0, -1, v0
	v_cmp_eq_u32_e32 vcc_lo, 50, v0
	s_cbranch_vccnz .LBB122_384
; %bb.383:
	v_lshlrev_b32_e32 v0, 4, v0
	v_mov_b32_e32 v1, s20
	v_add_nc_u32_e32 v0, 16, v0
	s_clause 0x7
	buffer_load_dword v2, v0, s[0:3], 0 offen
	buffer_load_dword v3, v0, s[0:3], 0 offen offset:4
	buffer_load_dword v4, v0, s[0:3], 0 offen offset:8
	;; [unrolled: 1-line block ×6, first 2 shown]
	buffer_load_dword v127, v1, s[0:3], 0 offen
	s_waitcnt vmcnt(7)
	buffer_store_dword v2, v1, s[0:3], 0 offen
	s_waitcnt vmcnt(6)
	buffer_store_dword v3, v1, s[0:3], 0 offen offset:4
	s_waitcnt vmcnt(5)
	buffer_store_dword v4, v1, s[0:3], 0 offen offset:8
	;; [unrolled: 2-line block ×6, first 2 shown]
	s_waitcnt vmcnt(0)
	buffer_store_dword v127, v0, s[0:3], 0 offen
.LBB122_384:
	v_mov_b32_e32 v0, 0
	global_load_dword v1, v0, s[12:13] offset:196
	s_waitcnt vmcnt(0)
	v_add_nc_u32_e32 v1, -1, v1
	v_cmp_eq_u32_e32 vcc_lo, 49, v1
	s_cbranch_vccnz .LBB122_386
; %bb.385:
	v_lshlrev_b32_e32 v1, 4, v1
	v_mov_b32_e32 v2, s21
	v_add_nc_u32_e32 v1, 16, v1
	s_clause 0x7
	buffer_load_dword v3, v1, s[0:3], 0 offen
	buffer_load_dword v4, v1, s[0:3], 0 offen offset:4
	buffer_load_dword v5, v1, s[0:3], 0 offen offset:8
	;; [unrolled: 1-line block ×6, first 2 shown]
	buffer_load_dword v128, v2, s[0:3], 0 offen
	s_waitcnt vmcnt(7)
	buffer_store_dword v3, v2, s[0:3], 0 offen
	s_waitcnt vmcnt(6)
	buffer_store_dword v4, v2, s[0:3], 0 offen offset:4
	s_waitcnt vmcnt(5)
	buffer_store_dword v5, v2, s[0:3], 0 offen offset:8
	;; [unrolled: 2-line block ×6, first 2 shown]
	s_waitcnt vmcnt(0)
	buffer_store_dword v128, v1, s[0:3], 0 offen
.LBB122_386:
	global_load_dword v0, v0, s[12:13] offset:192
	s_waitcnt vmcnt(0)
	v_add_nc_u32_e32 v0, -1, v0
	v_cmp_eq_u32_e32 vcc_lo, 48, v0
	s_cbranch_vccnz .LBB122_388
; %bb.387:
	v_lshlrev_b32_e32 v0, 4, v0
	v_mov_b32_e32 v1, s22
	v_add_nc_u32_e32 v0, 16, v0
	s_clause 0x7
	buffer_load_dword v2, v0, s[0:3], 0 offen
	buffer_load_dword v3, v0, s[0:3], 0 offen offset:4
	buffer_load_dword v4, v0, s[0:3], 0 offen offset:8
	;; [unrolled: 1-line block ×6, first 2 shown]
	buffer_load_dword v127, v1, s[0:3], 0 offen
	s_waitcnt vmcnt(7)
	buffer_store_dword v2, v1, s[0:3], 0 offen
	s_waitcnt vmcnt(6)
	buffer_store_dword v3, v1, s[0:3], 0 offen offset:4
	s_waitcnt vmcnt(5)
	buffer_store_dword v4, v1, s[0:3], 0 offen offset:8
	;; [unrolled: 2-line block ×6, first 2 shown]
	s_waitcnt vmcnt(0)
	buffer_store_dword v127, v0, s[0:3], 0 offen
.LBB122_388:
	v_mov_b32_e32 v0, 0
	global_load_dword v1, v0, s[12:13] offset:188
	s_waitcnt vmcnt(0)
	v_add_nc_u32_e32 v1, -1, v1
	v_cmp_eq_u32_e32 vcc_lo, 47, v1
	s_cbranch_vccnz .LBB122_390
; %bb.389:
	v_lshlrev_b32_e32 v1, 4, v1
	v_mov_b32_e32 v2, s23
	v_add_nc_u32_e32 v1, 16, v1
	s_clause 0x7
	buffer_load_dword v3, v1, s[0:3], 0 offen
	buffer_load_dword v4, v1, s[0:3], 0 offen offset:4
	buffer_load_dword v5, v1, s[0:3], 0 offen offset:8
	;; [unrolled: 1-line block ×6, first 2 shown]
	buffer_load_dword v128, v2, s[0:3], 0 offen
	s_waitcnt vmcnt(7)
	buffer_store_dword v3, v2, s[0:3], 0 offen
	s_waitcnt vmcnt(6)
	buffer_store_dword v4, v2, s[0:3], 0 offen offset:4
	s_waitcnt vmcnt(5)
	buffer_store_dword v5, v2, s[0:3], 0 offen offset:8
	;; [unrolled: 2-line block ×6, first 2 shown]
	s_waitcnt vmcnt(0)
	buffer_store_dword v128, v1, s[0:3], 0 offen
.LBB122_390:
	global_load_dword v0, v0, s[12:13] offset:184
	s_waitcnt vmcnt(0)
	v_add_nc_u32_e32 v0, -1, v0
	v_cmp_eq_u32_e32 vcc_lo, 46, v0
	s_cbranch_vccnz .LBB122_392
; %bb.391:
	v_lshlrev_b32_e32 v0, 4, v0
	v_mov_b32_e32 v1, s24
	v_add_nc_u32_e32 v0, 16, v0
	s_clause 0x7
	buffer_load_dword v2, v0, s[0:3], 0 offen
	buffer_load_dword v3, v0, s[0:3], 0 offen offset:4
	buffer_load_dword v4, v0, s[0:3], 0 offen offset:8
	;; [unrolled: 1-line block ×6, first 2 shown]
	buffer_load_dword v127, v1, s[0:3], 0 offen
	s_waitcnt vmcnt(7)
	buffer_store_dword v2, v1, s[0:3], 0 offen
	s_waitcnt vmcnt(6)
	buffer_store_dword v3, v1, s[0:3], 0 offen offset:4
	s_waitcnt vmcnt(5)
	buffer_store_dword v4, v1, s[0:3], 0 offen offset:8
	;; [unrolled: 2-line block ×6, first 2 shown]
	s_waitcnt vmcnt(0)
	buffer_store_dword v127, v0, s[0:3], 0 offen
.LBB122_392:
	v_mov_b32_e32 v0, 0
	global_load_dword v1, v0, s[12:13] offset:180
	s_waitcnt vmcnt(0)
	v_add_nc_u32_e32 v1, -1, v1
	v_cmp_eq_u32_e32 vcc_lo, 45, v1
	s_cbranch_vccnz .LBB122_394
; %bb.393:
	v_lshlrev_b32_e32 v1, 4, v1
	v_mov_b32_e32 v2, s25
	v_add_nc_u32_e32 v1, 16, v1
	s_clause 0x7
	buffer_load_dword v3, v1, s[0:3], 0 offen
	buffer_load_dword v4, v1, s[0:3], 0 offen offset:4
	buffer_load_dword v5, v1, s[0:3], 0 offen offset:8
	;; [unrolled: 1-line block ×6, first 2 shown]
	buffer_load_dword v128, v2, s[0:3], 0 offen
	s_waitcnt vmcnt(7)
	buffer_store_dword v3, v2, s[0:3], 0 offen
	s_waitcnt vmcnt(6)
	buffer_store_dword v4, v2, s[0:3], 0 offen offset:4
	s_waitcnt vmcnt(5)
	buffer_store_dword v5, v2, s[0:3], 0 offen offset:8
	;; [unrolled: 2-line block ×6, first 2 shown]
	s_waitcnt vmcnt(0)
	buffer_store_dword v128, v1, s[0:3], 0 offen
.LBB122_394:
	global_load_dword v0, v0, s[12:13] offset:176
	s_waitcnt vmcnt(0)
	v_add_nc_u32_e32 v0, -1, v0
	v_cmp_eq_u32_e32 vcc_lo, 44, v0
	s_cbranch_vccnz .LBB122_396
; %bb.395:
	v_lshlrev_b32_e32 v0, 4, v0
	v_mov_b32_e32 v1, s26
	v_add_nc_u32_e32 v0, 16, v0
	s_clause 0x7
	buffer_load_dword v2, v0, s[0:3], 0 offen
	buffer_load_dword v3, v0, s[0:3], 0 offen offset:4
	buffer_load_dword v4, v0, s[0:3], 0 offen offset:8
	;; [unrolled: 1-line block ×6, first 2 shown]
	buffer_load_dword v127, v1, s[0:3], 0 offen
	s_waitcnt vmcnt(7)
	buffer_store_dword v2, v1, s[0:3], 0 offen
	s_waitcnt vmcnt(6)
	buffer_store_dword v3, v1, s[0:3], 0 offen offset:4
	s_waitcnt vmcnt(5)
	buffer_store_dword v4, v1, s[0:3], 0 offen offset:8
	;; [unrolled: 2-line block ×6, first 2 shown]
	s_waitcnt vmcnt(0)
	buffer_store_dword v127, v0, s[0:3], 0 offen
.LBB122_396:
	v_mov_b32_e32 v0, 0
	global_load_dword v1, v0, s[12:13] offset:172
	s_waitcnt vmcnt(0)
	v_add_nc_u32_e32 v1, -1, v1
	v_cmp_eq_u32_e32 vcc_lo, 43, v1
	s_cbranch_vccnz .LBB122_398
; %bb.397:
	v_lshlrev_b32_e32 v1, 4, v1
	v_mov_b32_e32 v2, s27
	v_add_nc_u32_e32 v1, 16, v1
	s_clause 0x7
	buffer_load_dword v3, v1, s[0:3], 0 offen
	buffer_load_dword v4, v1, s[0:3], 0 offen offset:4
	buffer_load_dword v5, v1, s[0:3], 0 offen offset:8
	;; [unrolled: 1-line block ×6, first 2 shown]
	buffer_load_dword v128, v2, s[0:3], 0 offen
	s_waitcnt vmcnt(7)
	buffer_store_dword v3, v2, s[0:3], 0 offen
	s_waitcnt vmcnt(6)
	buffer_store_dword v4, v2, s[0:3], 0 offen offset:4
	s_waitcnt vmcnt(5)
	buffer_store_dword v5, v2, s[0:3], 0 offen offset:8
	s_waitcnt vmcnt(4)
	buffer_store_dword v6, v2, s[0:3], 0 offen offset:12
	s_waitcnt vmcnt(3)
	buffer_store_dword v7, v1, s[0:3], 0 offen offset:12
	s_waitcnt vmcnt(2)
	buffer_store_dword v8, v1, s[0:3], 0 offen offset:8
	s_waitcnt vmcnt(1)
	buffer_store_dword v127, v1, s[0:3], 0 offen offset:4
	s_waitcnt vmcnt(0)
	buffer_store_dword v128, v1, s[0:3], 0 offen
.LBB122_398:
	global_load_dword v0, v0, s[12:13] offset:168
	s_waitcnt vmcnt(0)
	v_add_nc_u32_e32 v0, -1, v0
	v_cmp_eq_u32_e32 vcc_lo, 42, v0
	s_cbranch_vccnz .LBB122_400
; %bb.399:
	v_lshlrev_b32_e32 v0, 4, v0
	v_mov_b32_e32 v1, s28
	v_add_nc_u32_e32 v0, 16, v0
	s_clause 0x7
	buffer_load_dword v2, v0, s[0:3], 0 offen
	buffer_load_dword v3, v0, s[0:3], 0 offen offset:4
	buffer_load_dword v4, v0, s[0:3], 0 offen offset:8
	;; [unrolled: 1-line block ×6, first 2 shown]
	buffer_load_dword v127, v1, s[0:3], 0 offen
	s_waitcnt vmcnt(7)
	buffer_store_dword v2, v1, s[0:3], 0 offen
	s_waitcnt vmcnt(6)
	buffer_store_dword v3, v1, s[0:3], 0 offen offset:4
	s_waitcnt vmcnt(5)
	buffer_store_dword v4, v1, s[0:3], 0 offen offset:8
	;; [unrolled: 2-line block ×6, first 2 shown]
	s_waitcnt vmcnt(0)
	buffer_store_dword v127, v0, s[0:3], 0 offen
.LBB122_400:
	v_mov_b32_e32 v0, 0
	global_load_dword v1, v0, s[12:13] offset:164
	s_waitcnt vmcnt(0)
	v_add_nc_u32_e32 v1, -1, v1
	v_cmp_eq_u32_e32 vcc_lo, 41, v1
	s_cbranch_vccnz .LBB122_402
; %bb.401:
	v_lshlrev_b32_e32 v1, 4, v1
	v_mov_b32_e32 v2, s29
	v_add_nc_u32_e32 v1, 16, v1
	s_clause 0x7
	buffer_load_dword v3, v1, s[0:3], 0 offen
	buffer_load_dword v4, v1, s[0:3], 0 offen offset:4
	buffer_load_dword v5, v1, s[0:3], 0 offen offset:8
	;; [unrolled: 1-line block ×6, first 2 shown]
	buffer_load_dword v128, v2, s[0:3], 0 offen
	s_waitcnt vmcnt(7)
	buffer_store_dword v3, v2, s[0:3], 0 offen
	s_waitcnt vmcnt(6)
	buffer_store_dword v4, v2, s[0:3], 0 offen offset:4
	s_waitcnt vmcnt(5)
	buffer_store_dword v5, v2, s[0:3], 0 offen offset:8
	;; [unrolled: 2-line block ×6, first 2 shown]
	s_waitcnt vmcnt(0)
	buffer_store_dword v128, v1, s[0:3], 0 offen
.LBB122_402:
	global_load_dword v0, v0, s[12:13] offset:160
	s_waitcnt vmcnt(0)
	v_add_nc_u32_e32 v0, -1, v0
	v_cmp_eq_u32_e32 vcc_lo, 40, v0
	s_cbranch_vccnz .LBB122_404
; %bb.403:
	v_lshlrev_b32_e32 v0, 4, v0
	v_mov_b32_e32 v1, s30
	v_add_nc_u32_e32 v0, 16, v0
	s_clause 0x7
	buffer_load_dword v2, v0, s[0:3], 0 offen
	buffer_load_dword v3, v0, s[0:3], 0 offen offset:4
	buffer_load_dword v4, v0, s[0:3], 0 offen offset:8
	;; [unrolled: 1-line block ×6, first 2 shown]
	buffer_load_dword v127, v1, s[0:3], 0 offen
	s_waitcnt vmcnt(7)
	buffer_store_dword v2, v1, s[0:3], 0 offen
	s_waitcnt vmcnt(6)
	buffer_store_dword v3, v1, s[0:3], 0 offen offset:4
	s_waitcnt vmcnt(5)
	buffer_store_dword v4, v1, s[0:3], 0 offen offset:8
	;; [unrolled: 2-line block ×6, first 2 shown]
	s_waitcnt vmcnt(0)
	buffer_store_dword v127, v0, s[0:3], 0 offen
.LBB122_404:
	v_mov_b32_e32 v0, 0
	global_load_dword v1, v0, s[12:13] offset:156
	s_waitcnt vmcnt(0)
	v_add_nc_u32_e32 v1, -1, v1
	v_cmp_eq_u32_e32 vcc_lo, 39, v1
	s_cbranch_vccnz .LBB122_406
; %bb.405:
	v_lshlrev_b32_e32 v1, 4, v1
	v_mov_b32_e32 v2, s31
	v_add_nc_u32_e32 v1, 16, v1
	s_clause 0x7
	buffer_load_dword v3, v1, s[0:3], 0 offen
	buffer_load_dword v4, v1, s[0:3], 0 offen offset:4
	buffer_load_dword v5, v1, s[0:3], 0 offen offset:8
	buffer_load_dword v6, v1, s[0:3], 0 offen offset:12
	buffer_load_dword v7, v2, s[0:3], 0 offen offset:12
	buffer_load_dword v8, v2, s[0:3], 0 offen offset:8
	buffer_load_dword v127, v2, s[0:3], 0 offen offset:4
	buffer_load_dword v128, v2, s[0:3], 0 offen
	s_waitcnt vmcnt(7)
	buffer_store_dword v3, v2, s[0:3], 0 offen
	s_waitcnt vmcnt(6)
	buffer_store_dword v4, v2, s[0:3], 0 offen offset:4
	s_waitcnt vmcnt(5)
	buffer_store_dword v5, v2, s[0:3], 0 offen offset:8
	;; [unrolled: 2-line block ×6, first 2 shown]
	s_waitcnt vmcnt(0)
	buffer_store_dword v128, v1, s[0:3], 0 offen
.LBB122_406:
	global_load_dword v0, v0, s[12:13] offset:152
	s_waitcnt vmcnt(0)
	v_add_nc_u32_e32 v0, -1, v0
	v_cmp_eq_u32_e32 vcc_lo, 38, v0
	s_cbranch_vccnz .LBB122_408
; %bb.407:
	v_lshlrev_b32_e32 v0, 4, v0
	v_mov_b32_e32 v1, s33
	v_add_nc_u32_e32 v0, 16, v0
	s_clause 0x7
	buffer_load_dword v2, v0, s[0:3], 0 offen
	buffer_load_dword v3, v0, s[0:3], 0 offen offset:4
	buffer_load_dword v4, v0, s[0:3], 0 offen offset:8
	;; [unrolled: 1-line block ×6, first 2 shown]
	buffer_load_dword v127, v1, s[0:3], 0 offen
	s_waitcnt vmcnt(7)
	buffer_store_dword v2, v1, s[0:3], 0 offen
	s_waitcnt vmcnt(6)
	buffer_store_dword v3, v1, s[0:3], 0 offen offset:4
	s_waitcnt vmcnt(5)
	buffer_store_dword v4, v1, s[0:3], 0 offen offset:8
	;; [unrolled: 2-line block ×6, first 2 shown]
	s_waitcnt vmcnt(0)
	buffer_store_dword v127, v0, s[0:3], 0 offen
.LBB122_408:
	v_mov_b32_e32 v0, 0
	global_load_dword v1, v0, s[12:13] offset:148
	s_waitcnt vmcnt(0)
	v_add_nc_u32_e32 v1, -1, v1
	v_cmp_eq_u32_e32 vcc_lo, 37, v1
	s_cbranch_vccnz .LBB122_410
; %bb.409:
	v_lshlrev_b32_e32 v1, 4, v1
	v_mov_b32_e32 v2, s34
	v_add_nc_u32_e32 v1, 16, v1
	s_clause 0x7
	buffer_load_dword v3, v1, s[0:3], 0 offen
	buffer_load_dword v4, v1, s[0:3], 0 offen offset:4
	buffer_load_dword v5, v1, s[0:3], 0 offen offset:8
	;; [unrolled: 1-line block ×6, first 2 shown]
	buffer_load_dword v128, v2, s[0:3], 0 offen
	s_waitcnt vmcnt(7)
	buffer_store_dword v3, v2, s[0:3], 0 offen
	s_waitcnt vmcnt(6)
	buffer_store_dword v4, v2, s[0:3], 0 offen offset:4
	s_waitcnt vmcnt(5)
	buffer_store_dword v5, v2, s[0:3], 0 offen offset:8
	;; [unrolled: 2-line block ×6, first 2 shown]
	s_waitcnt vmcnt(0)
	buffer_store_dword v128, v1, s[0:3], 0 offen
.LBB122_410:
	global_load_dword v0, v0, s[12:13] offset:144
	s_waitcnt vmcnt(0)
	v_add_nc_u32_e32 v0, -1, v0
	v_cmp_eq_u32_e32 vcc_lo, 36, v0
	s_cbranch_vccnz .LBB122_412
; %bb.411:
	v_lshlrev_b32_e32 v0, 4, v0
	v_mov_b32_e32 v1, s35
	v_add_nc_u32_e32 v0, 16, v0
	s_clause 0x7
	buffer_load_dword v2, v0, s[0:3], 0 offen
	buffer_load_dword v3, v0, s[0:3], 0 offen offset:4
	buffer_load_dword v4, v0, s[0:3], 0 offen offset:8
	;; [unrolled: 1-line block ×6, first 2 shown]
	buffer_load_dword v127, v1, s[0:3], 0 offen
	s_waitcnt vmcnt(7)
	buffer_store_dword v2, v1, s[0:3], 0 offen
	s_waitcnt vmcnt(6)
	buffer_store_dword v3, v1, s[0:3], 0 offen offset:4
	s_waitcnt vmcnt(5)
	buffer_store_dword v4, v1, s[0:3], 0 offen offset:8
	;; [unrolled: 2-line block ×6, first 2 shown]
	s_waitcnt vmcnt(0)
	buffer_store_dword v127, v0, s[0:3], 0 offen
.LBB122_412:
	v_mov_b32_e32 v0, 0
	global_load_dword v1, v0, s[12:13] offset:140
	s_waitcnt vmcnt(0)
	v_add_nc_u32_e32 v1, -1, v1
	v_cmp_eq_u32_e32 vcc_lo, 35, v1
	s_cbranch_vccnz .LBB122_414
; %bb.413:
	v_lshlrev_b32_e32 v1, 4, v1
	v_mov_b32_e32 v2, s36
	v_add_nc_u32_e32 v1, 16, v1
	s_clause 0x7
	buffer_load_dword v3, v1, s[0:3], 0 offen
	buffer_load_dword v4, v1, s[0:3], 0 offen offset:4
	buffer_load_dword v5, v1, s[0:3], 0 offen offset:8
	;; [unrolled: 1-line block ×6, first 2 shown]
	buffer_load_dword v128, v2, s[0:3], 0 offen
	s_waitcnt vmcnt(7)
	buffer_store_dword v3, v2, s[0:3], 0 offen
	s_waitcnt vmcnt(6)
	buffer_store_dword v4, v2, s[0:3], 0 offen offset:4
	s_waitcnt vmcnt(5)
	buffer_store_dword v5, v2, s[0:3], 0 offen offset:8
	;; [unrolled: 2-line block ×6, first 2 shown]
	s_waitcnt vmcnt(0)
	buffer_store_dword v128, v1, s[0:3], 0 offen
.LBB122_414:
	global_load_dword v0, v0, s[12:13] offset:136
	s_waitcnt vmcnt(0)
	v_add_nc_u32_e32 v0, -1, v0
	v_cmp_eq_u32_e32 vcc_lo, 34, v0
	s_cbranch_vccnz .LBB122_416
; %bb.415:
	v_lshlrev_b32_e32 v0, 4, v0
	v_mov_b32_e32 v1, s37
	v_add_nc_u32_e32 v0, 16, v0
	s_clause 0x7
	buffer_load_dword v2, v0, s[0:3], 0 offen
	buffer_load_dword v3, v0, s[0:3], 0 offen offset:4
	buffer_load_dword v4, v0, s[0:3], 0 offen offset:8
	;; [unrolled: 1-line block ×6, first 2 shown]
	buffer_load_dword v127, v1, s[0:3], 0 offen
	s_waitcnt vmcnt(7)
	buffer_store_dword v2, v1, s[0:3], 0 offen
	s_waitcnt vmcnt(6)
	buffer_store_dword v3, v1, s[0:3], 0 offen offset:4
	s_waitcnt vmcnt(5)
	buffer_store_dword v4, v1, s[0:3], 0 offen offset:8
	;; [unrolled: 2-line block ×6, first 2 shown]
	s_waitcnt vmcnt(0)
	buffer_store_dword v127, v0, s[0:3], 0 offen
.LBB122_416:
	v_mov_b32_e32 v0, 0
	global_load_dword v1, v0, s[12:13] offset:132
	s_waitcnt vmcnt(0)
	v_add_nc_u32_e32 v1, -1, v1
	v_cmp_eq_u32_e32 vcc_lo, 33, v1
	s_cbranch_vccnz .LBB122_418
; %bb.417:
	v_lshlrev_b32_e32 v1, 4, v1
	v_mov_b32_e32 v2, s38
	v_add_nc_u32_e32 v1, 16, v1
	s_clause 0x7
	buffer_load_dword v3, v1, s[0:3], 0 offen
	buffer_load_dword v4, v1, s[0:3], 0 offen offset:4
	buffer_load_dword v5, v1, s[0:3], 0 offen offset:8
	;; [unrolled: 1-line block ×6, first 2 shown]
	buffer_load_dword v128, v2, s[0:3], 0 offen
	s_waitcnt vmcnt(7)
	buffer_store_dword v3, v2, s[0:3], 0 offen
	s_waitcnt vmcnt(6)
	buffer_store_dword v4, v2, s[0:3], 0 offen offset:4
	s_waitcnt vmcnt(5)
	buffer_store_dword v5, v2, s[0:3], 0 offen offset:8
	;; [unrolled: 2-line block ×6, first 2 shown]
	s_waitcnt vmcnt(0)
	buffer_store_dword v128, v1, s[0:3], 0 offen
.LBB122_418:
	global_load_dword v0, v0, s[12:13] offset:128
	s_waitcnt vmcnt(0)
	v_add_nc_u32_e32 v0, -1, v0
	v_cmp_eq_u32_e32 vcc_lo, 32, v0
	s_cbranch_vccnz .LBB122_420
; %bb.419:
	v_lshlrev_b32_e32 v0, 4, v0
	v_mov_b32_e32 v1, s39
	v_add_nc_u32_e32 v0, 16, v0
	s_clause 0x7
	buffer_load_dword v2, v0, s[0:3], 0 offen
	buffer_load_dword v3, v0, s[0:3], 0 offen offset:4
	buffer_load_dword v4, v0, s[0:3], 0 offen offset:8
	;; [unrolled: 1-line block ×6, first 2 shown]
	buffer_load_dword v127, v1, s[0:3], 0 offen
	s_waitcnt vmcnt(7)
	buffer_store_dword v2, v1, s[0:3], 0 offen
	s_waitcnt vmcnt(6)
	buffer_store_dword v3, v1, s[0:3], 0 offen offset:4
	s_waitcnt vmcnt(5)
	buffer_store_dword v4, v1, s[0:3], 0 offen offset:8
	;; [unrolled: 2-line block ×6, first 2 shown]
	s_waitcnt vmcnt(0)
	buffer_store_dword v127, v0, s[0:3], 0 offen
.LBB122_420:
	v_mov_b32_e32 v0, 0
	global_load_dword v1, v0, s[12:13] offset:124
	s_waitcnt vmcnt(0)
	v_add_nc_u32_e32 v1, -1, v1
	v_cmp_eq_u32_e32 vcc_lo, 31, v1
	s_cbranch_vccnz .LBB122_422
; %bb.421:
	v_lshlrev_b32_e32 v1, 4, v1
	v_mov_b32_e32 v2, s40
	v_add_nc_u32_e32 v1, 16, v1
	s_clause 0x7
	buffer_load_dword v3, v1, s[0:3], 0 offen
	buffer_load_dword v4, v1, s[0:3], 0 offen offset:4
	buffer_load_dword v5, v1, s[0:3], 0 offen offset:8
	;; [unrolled: 1-line block ×6, first 2 shown]
	buffer_load_dword v128, v2, s[0:3], 0 offen
	s_waitcnt vmcnt(7)
	buffer_store_dword v3, v2, s[0:3], 0 offen
	s_waitcnt vmcnt(6)
	buffer_store_dword v4, v2, s[0:3], 0 offen offset:4
	s_waitcnt vmcnt(5)
	buffer_store_dword v5, v2, s[0:3], 0 offen offset:8
	;; [unrolled: 2-line block ×6, first 2 shown]
	s_waitcnt vmcnt(0)
	buffer_store_dword v128, v1, s[0:3], 0 offen
.LBB122_422:
	global_load_dword v0, v0, s[12:13] offset:120
	s_waitcnt vmcnt(0)
	v_add_nc_u32_e32 v0, -1, v0
	v_cmp_eq_u32_e32 vcc_lo, 30, v0
	s_cbranch_vccnz .LBB122_424
; %bb.423:
	v_lshlrev_b32_e32 v0, 4, v0
	v_mov_b32_e32 v1, s41
	v_add_nc_u32_e32 v0, 16, v0
	s_clause 0x7
	buffer_load_dword v2, v0, s[0:3], 0 offen
	buffer_load_dword v3, v0, s[0:3], 0 offen offset:4
	buffer_load_dword v4, v0, s[0:3], 0 offen offset:8
	;; [unrolled: 1-line block ×6, first 2 shown]
	buffer_load_dword v127, v1, s[0:3], 0 offen
	s_waitcnt vmcnt(7)
	buffer_store_dword v2, v1, s[0:3], 0 offen
	s_waitcnt vmcnt(6)
	buffer_store_dword v3, v1, s[0:3], 0 offen offset:4
	s_waitcnt vmcnt(5)
	buffer_store_dword v4, v1, s[0:3], 0 offen offset:8
	;; [unrolled: 2-line block ×6, first 2 shown]
	s_waitcnt vmcnt(0)
	buffer_store_dword v127, v0, s[0:3], 0 offen
.LBB122_424:
	v_mov_b32_e32 v0, 0
	global_load_dword v1, v0, s[12:13] offset:116
	s_waitcnt vmcnt(0)
	v_add_nc_u32_e32 v1, -1, v1
	v_cmp_eq_u32_e32 vcc_lo, 29, v1
	s_cbranch_vccnz .LBB122_426
; %bb.425:
	v_lshlrev_b32_e32 v1, 4, v1
	v_mov_b32_e32 v2, s42
	v_add_nc_u32_e32 v1, 16, v1
	s_clause 0x7
	buffer_load_dword v3, v1, s[0:3], 0 offen
	buffer_load_dword v4, v1, s[0:3], 0 offen offset:4
	buffer_load_dword v5, v1, s[0:3], 0 offen offset:8
	;; [unrolled: 1-line block ×6, first 2 shown]
	buffer_load_dword v128, v2, s[0:3], 0 offen
	s_waitcnt vmcnt(7)
	buffer_store_dword v3, v2, s[0:3], 0 offen
	s_waitcnt vmcnt(6)
	buffer_store_dword v4, v2, s[0:3], 0 offen offset:4
	s_waitcnt vmcnt(5)
	buffer_store_dword v5, v2, s[0:3], 0 offen offset:8
	s_waitcnt vmcnt(4)
	buffer_store_dword v6, v2, s[0:3], 0 offen offset:12
	s_waitcnt vmcnt(3)
	buffer_store_dword v7, v1, s[0:3], 0 offen offset:12
	s_waitcnt vmcnt(2)
	buffer_store_dword v8, v1, s[0:3], 0 offen offset:8
	s_waitcnt vmcnt(1)
	buffer_store_dword v127, v1, s[0:3], 0 offen offset:4
	s_waitcnt vmcnt(0)
	buffer_store_dword v128, v1, s[0:3], 0 offen
.LBB122_426:
	global_load_dword v0, v0, s[12:13] offset:112
	s_waitcnt vmcnt(0)
	v_add_nc_u32_e32 v0, -1, v0
	v_cmp_eq_u32_e32 vcc_lo, 28, v0
	s_cbranch_vccnz .LBB122_428
; %bb.427:
	v_lshlrev_b32_e32 v0, 4, v0
	v_mov_b32_e32 v1, s43
	v_add_nc_u32_e32 v0, 16, v0
	s_clause 0x7
	buffer_load_dword v2, v0, s[0:3], 0 offen
	buffer_load_dword v3, v0, s[0:3], 0 offen offset:4
	buffer_load_dword v4, v0, s[0:3], 0 offen offset:8
	;; [unrolled: 1-line block ×6, first 2 shown]
	buffer_load_dword v127, v1, s[0:3], 0 offen
	s_waitcnt vmcnt(7)
	buffer_store_dword v2, v1, s[0:3], 0 offen
	s_waitcnt vmcnt(6)
	buffer_store_dword v3, v1, s[0:3], 0 offen offset:4
	s_waitcnt vmcnt(5)
	buffer_store_dword v4, v1, s[0:3], 0 offen offset:8
	;; [unrolled: 2-line block ×6, first 2 shown]
	s_waitcnt vmcnt(0)
	buffer_store_dword v127, v0, s[0:3], 0 offen
.LBB122_428:
	v_mov_b32_e32 v0, 0
	global_load_dword v1, v0, s[12:13] offset:108
	s_waitcnt vmcnt(0)
	v_add_nc_u32_e32 v1, -1, v1
	v_cmp_eq_u32_e32 vcc_lo, 27, v1
	s_cbranch_vccnz .LBB122_430
; %bb.429:
	v_lshlrev_b32_e32 v1, 4, v1
	v_mov_b32_e32 v2, s44
	v_add_nc_u32_e32 v1, 16, v1
	s_clause 0x7
	buffer_load_dword v3, v1, s[0:3], 0 offen
	buffer_load_dword v4, v1, s[0:3], 0 offen offset:4
	buffer_load_dword v5, v1, s[0:3], 0 offen offset:8
	;; [unrolled: 1-line block ×6, first 2 shown]
	buffer_load_dword v128, v2, s[0:3], 0 offen
	s_waitcnt vmcnt(7)
	buffer_store_dword v3, v2, s[0:3], 0 offen
	s_waitcnt vmcnt(6)
	buffer_store_dword v4, v2, s[0:3], 0 offen offset:4
	s_waitcnt vmcnt(5)
	buffer_store_dword v5, v2, s[0:3], 0 offen offset:8
	;; [unrolled: 2-line block ×6, first 2 shown]
	s_waitcnt vmcnt(0)
	buffer_store_dword v128, v1, s[0:3], 0 offen
.LBB122_430:
	global_load_dword v0, v0, s[12:13] offset:104
	s_waitcnt vmcnt(0)
	v_add_nc_u32_e32 v0, -1, v0
	v_cmp_eq_u32_e32 vcc_lo, 26, v0
	s_cbranch_vccnz .LBB122_432
; %bb.431:
	v_lshlrev_b32_e32 v0, 4, v0
	v_mov_b32_e32 v1, s45
	v_add_nc_u32_e32 v0, 16, v0
	s_clause 0x7
	buffer_load_dword v2, v0, s[0:3], 0 offen
	buffer_load_dword v3, v0, s[0:3], 0 offen offset:4
	buffer_load_dword v4, v0, s[0:3], 0 offen offset:8
	;; [unrolled: 1-line block ×6, first 2 shown]
	buffer_load_dword v127, v1, s[0:3], 0 offen
	s_waitcnt vmcnt(7)
	buffer_store_dword v2, v1, s[0:3], 0 offen
	s_waitcnt vmcnt(6)
	buffer_store_dword v3, v1, s[0:3], 0 offen offset:4
	s_waitcnt vmcnt(5)
	buffer_store_dword v4, v1, s[0:3], 0 offen offset:8
	;; [unrolled: 2-line block ×6, first 2 shown]
	s_waitcnt vmcnt(0)
	buffer_store_dword v127, v0, s[0:3], 0 offen
.LBB122_432:
	v_mov_b32_e32 v0, 0
	global_load_dword v1, v0, s[12:13] offset:100
	s_waitcnt vmcnt(0)
	v_add_nc_u32_e32 v1, -1, v1
	v_cmp_eq_u32_e32 vcc_lo, 25, v1
	s_cbranch_vccnz .LBB122_434
; %bb.433:
	v_lshlrev_b32_e32 v1, 4, v1
	v_mov_b32_e32 v2, s46
	v_add_nc_u32_e32 v1, 16, v1
	s_clause 0x7
	buffer_load_dword v3, v1, s[0:3], 0 offen
	buffer_load_dword v4, v1, s[0:3], 0 offen offset:4
	buffer_load_dword v5, v1, s[0:3], 0 offen offset:8
	;; [unrolled: 1-line block ×6, first 2 shown]
	buffer_load_dword v128, v2, s[0:3], 0 offen
	s_waitcnt vmcnt(7)
	buffer_store_dword v3, v2, s[0:3], 0 offen
	s_waitcnt vmcnt(6)
	buffer_store_dword v4, v2, s[0:3], 0 offen offset:4
	s_waitcnt vmcnt(5)
	buffer_store_dword v5, v2, s[0:3], 0 offen offset:8
	;; [unrolled: 2-line block ×6, first 2 shown]
	s_waitcnt vmcnt(0)
	buffer_store_dword v128, v1, s[0:3], 0 offen
.LBB122_434:
	global_load_dword v0, v0, s[12:13] offset:96
	s_waitcnt vmcnt(0)
	v_add_nc_u32_e32 v0, -1, v0
	v_cmp_eq_u32_e32 vcc_lo, 24, v0
	s_cbranch_vccnz .LBB122_436
; %bb.435:
	v_lshlrev_b32_e32 v0, 4, v0
	v_mov_b32_e32 v1, s47
	v_add_nc_u32_e32 v0, 16, v0
	s_clause 0x7
	buffer_load_dword v2, v0, s[0:3], 0 offen
	buffer_load_dword v3, v0, s[0:3], 0 offen offset:4
	buffer_load_dword v4, v0, s[0:3], 0 offen offset:8
	;; [unrolled: 1-line block ×6, first 2 shown]
	buffer_load_dword v127, v1, s[0:3], 0 offen
	s_waitcnt vmcnt(7)
	buffer_store_dword v2, v1, s[0:3], 0 offen
	s_waitcnt vmcnt(6)
	buffer_store_dword v3, v1, s[0:3], 0 offen offset:4
	s_waitcnt vmcnt(5)
	buffer_store_dword v4, v1, s[0:3], 0 offen offset:8
	;; [unrolled: 2-line block ×6, first 2 shown]
	s_waitcnt vmcnt(0)
	buffer_store_dword v127, v0, s[0:3], 0 offen
.LBB122_436:
	v_mov_b32_e32 v0, 0
	global_load_dword v1, v0, s[12:13] offset:92
	s_waitcnt vmcnt(0)
	v_add_nc_u32_e32 v1, -1, v1
	v_cmp_eq_u32_e32 vcc_lo, 23, v1
	s_cbranch_vccnz .LBB122_438
; %bb.437:
	v_lshlrev_b32_e32 v1, 4, v1
	v_mov_b32_e32 v2, s48
	v_add_nc_u32_e32 v1, 16, v1
	s_clause 0x7
	buffer_load_dword v3, v1, s[0:3], 0 offen
	buffer_load_dword v4, v1, s[0:3], 0 offen offset:4
	buffer_load_dword v5, v1, s[0:3], 0 offen offset:8
	;; [unrolled: 1-line block ×6, first 2 shown]
	buffer_load_dword v128, v2, s[0:3], 0 offen
	s_waitcnt vmcnt(7)
	buffer_store_dword v3, v2, s[0:3], 0 offen
	s_waitcnt vmcnt(6)
	buffer_store_dword v4, v2, s[0:3], 0 offen offset:4
	s_waitcnt vmcnt(5)
	buffer_store_dword v5, v2, s[0:3], 0 offen offset:8
	;; [unrolled: 2-line block ×6, first 2 shown]
	s_waitcnt vmcnt(0)
	buffer_store_dword v128, v1, s[0:3], 0 offen
.LBB122_438:
	global_load_dword v0, v0, s[12:13] offset:88
	s_waitcnt vmcnt(0)
	v_add_nc_u32_e32 v0, -1, v0
	v_cmp_eq_u32_e32 vcc_lo, 22, v0
	s_cbranch_vccnz .LBB122_440
; %bb.439:
	v_lshlrev_b32_e32 v0, 4, v0
	v_mov_b32_e32 v1, s49
	v_add_nc_u32_e32 v0, 16, v0
	s_clause 0x7
	buffer_load_dword v2, v0, s[0:3], 0 offen
	buffer_load_dword v3, v0, s[0:3], 0 offen offset:4
	buffer_load_dword v4, v0, s[0:3], 0 offen offset:8
	;; [unrolled: 1-line block ×6, first 2 shown]
	buffer_load_dword v127, v1, s[0:3], 0 offen
	s_waitcnt vmcnt(7)
	buffer_store_dword v2, v1, s[0:3], 0 offen
	s_waitcnt vmcnt(6)
	buffer_store_dword v3, v1, s[0:3], 0 offen offset:4
	s_waitcnt vmcnt(5)
	buffer_store_dword v4, v1, s[0:3], 0 offen offset:8
	;; [unrolled: 2-line block ×6, first 2 shown]
	s_waitcnt vmcnt(0)
	buffer_store_dword v127, v0, s[0:3], 0 offen
.LBB122_440:
	v_mov_b32_e32 v0, 0
	global_load_dword v1, v0, s[12:13] offset:84
	s_waitcnt vmcnt(0)
	v_add_nc_u32_e32 v1, -1, v1
	v_cmp_eq_u32_e32 vcc_lo, 21, v1
	s_cbranch_vccnz .LBB122_442
; %bb.441:
	v_lshlrev_b32_e32 v1, 4, v1
	v_mov_b32_e32 v2, s50
	v_add_nc_u32_e32 v1, 16, v1
	s_clause 0x7
	buffer_load_dword v3, v1, s[0:3], 0 offen
	buffer_load_dword v4, v1, s[0:3], 0 offen offset:4
	buffer_load_dword v5, v1, s[0:3], 0 offen offset:8
	;; [unrolled: 1-line block ×6, first 2 shown]
	buffer_load_dword v128, v2, s[0:3], 0 offen
	s_waitcnt vmcnt(7)
	buffer_store_dword v3, v2, s[0:3], 0 offen
	s_waitcnt vmcnt(6)
	buffer_store_dword v4, v2, s[0:3], 0 offen offset:4
	s_waitcnt vmcnt(5)
	buffer_store_dword v5, v2, s[0:3], 0 offen offset:8
	;; [unrolled: 2-line block ×6, first 2 shown]
	s_waitcnt vmcnt(0)
	buffer_store_dword v128, v1, s[0:3], 0 offen
.LBB122_442:
	global_load_dword v0, v0, s[12:13] offset:80
	s_waitcnt vmcnt(0)
	v_add_nc_u32_e32 v0, -1, v0
	v_cmp_eq_u32_e32 vcc_lo, 20, v0
	s_cbranch_vccnz .LBB122_444
; %bb.443:
	v_lshlrev_b32_e32 v0, 4, v0
	v_mov_b32_e32 v1, s51
	v_add_nc_u32_e32 v0, 16, v0
	s_clause 0x7
	buffer_load_dword v2, v0, s[0:3], 0 offen
	buffer_load_dword v3, v0, s[0:3], 0 offen offset:4
	buffer_load_dword v4, v0, s[0:3], 0 offen offset:8
	;; [unrolled: 1-line block ×6, first 2 shown]
	buffer_load_dword v127, v1, s[0:3], 0 offen
	s_waitcnt vmcnt(7)
	buffer_store_dword v2, v1, s[0:3], 0 offen
	s_waitcnt vmcnt(6)
	buffer_store_dword v3, v1, s[0:3], 0 offen offset:4
	s_waitcnt vmcnt(5)
	buffer_store_dword v4, v1, s[0:3], 0 offen offset:8
	;; [unrolled: 2-line block ×6, first 2 shown]
	s_waitcnt vmcnt(0)
	buffer_store_dword v127, v0, s[0:3], 0 offen
.LBB122_444:
	v_mov_b32_e32 v0, 0
	global_load_dword v1, v0, s[12:13] offset:76
	s_waitcnt vmcnt(0)
	v_add_nc_u32_e32 v1, -1, v1
	v_cmp_eq_u32_e32 vcc_lo, 19, v1
	s_cbranch_vccnz .LBB122_446
; %bb.445:
	v_lshlrev_b32_e32 v1, 4, v1
	v_mov_b32_e32 v2, s52
	v_add_nc_u32_e32 v1, 16, v1
	s_clause 0x7
	buffer_load_dword v3, v1, s[0:3], 0 offen
	buffer_load_dword v4, v1, s[0:3], 0 offen offset:4
	buffer_load_dword v5, v1, s[0:3], 0 offen offset:8
	;; [unrolled: 1-line block ×6, first 2 shown]
	buffer_load_dword v128, v2, s[0:3], 0 offen
	s_waitcnt vmcnt(7)
	buffer_store_dword v3, v2, s[0:3], 0 offen
	s_waitcnt vmcnt(6)
	buffer_store_dword v4, v2, s[0:3], 0 offen offset:4
	s_waitcnt vmcnt(5)
	buffer_store_dword v5, v2, s[0:3], 0 offen offset:8
	s_waitcnt vmcnt(4)
	buffer_store_dword v6, v2, s[0:3], 0 offen offset:12
	s_waitcnt vmcnt(3)
	buffer_store_dword v7, v1, s[0:3], 0 offen offset:12
	s_waitcnt vmcnt(2)
	buffer_store_dword v8, v1, s[0:3], 0 offen offset:8
	s_waitcnt vmcnt(1)
	buffer_store_dword v127, v1, s[0:3], 0 offen offset:4
	s_waitcnt vmcnt(0)
	buffer_store_dword v128, v1, s[0:3], 0 offen
.LBB122_446:
	global_load_dword v0, v0, s[12:13] offset:72
	s_waitcnt vmcnt(0)
	v_add_nc_u32_e32 v0, -1, v0
	v_cmp_eq_u32_e32 vcc_lo, 18, v0
	s_cbranch_vccnz .LBB122_448
; %bb.447:
	v_lshlrev_b32_e32 v0, 4, v0
	v_mov_b32_e32 v1, s53
	v_add_nc_u32_e32 v0, 16, v0
	s_clause 0x7
	buffer_load_dword v2, v0, s[0:3], 0 offen
	buffer_load_dword v3, v0, s[0:3], 0 offen offset:4
	buffer_load_dword v4, v0, s[0:3], 0 offen offset:8
	;; [unrolled: 1-line block ×6, first 2 shown]
	buffer_load_dword v127, v1, s[0:3], 0 offen
	s_waitcnt vmcnt(7)
	buffer_store_dword v2, v1, s[0:3], 0 offen
	s_waitcnt vmcnt(6)
	buffer_store_dword v3, v1, s[0:3], 0 offen offset:4
	s_waitcnt vmcnt(5)
	buffer_store_dword v4, v1, s[0:3], 0 offen offset:8
	;; [unrolled: 2-line block ×6, first 2 shown]
	s_waitcnt vmcnt(0)
	buffer_store_dword v127, v0, s[0:3], 0 offen
.LBB122_448:
	v_mov_b32_e32 v0, 0
	global_load_dword v1, v0, s[12:13] offset:68
	s_waitcnt vmcnt(0)
	v_add_nc_u32_e32 v1, -1, v1
	v_cmp_eq_u32_e32 vcc_lo, 17, v1
	s_cbranch_vccnz .LBB122_450
; %bb.449:
	v_lshlrev_b32_e32 v1, 4, v1
	v_mov_b32_e32 v2, s54
	v_add_nc_u32_e32 v1, 16, v1
	s_clause 0x7
	buffer_load_dword v3, v1, s[0:3], 0 offen
	buffer_load_dword v4, v1, s[0:3], 0 offen offset:4
	buffer_load_dword v5, v1, s[0:3], 0 offen offset:8
	;; [unrolled: 1-line block ×6, first 2 shown]
	buffer_load_dword v128, v2, s[0:3], 0 offen
	s_waitcnt vmcnt(7)
	buffer_store_dword v3, v2, s[0:3], 0 offen
	s_waitcnt vmcnt(6)
	buffer_store_dword v4, v2, s[0:3], 0 offen offset:4
	s_waitcnt vmcnt(5)
	buffer_store_dword v5, v2, s[0:3], 0 offen offset:8
	;; [unrolled: 2-line block ×6, first 2 shown]
	s_waitcnt vmcnt(0)
	buffer_store_dword v128, v1, s[0:3], 0 offen
.LBB122_450:
	global_load_dword v0, v0, s[12:13] offset:64
	s_waitcnt vmcnt(0)
	v_add_nc_u32_e32 v0, -1, v0
	v_cmp_eq_u32_e32 vcc_lo, 16, v0
	s_cbranch_vccnz .LBB122_452
; %bb.451:
	v_lshlrev_b32_e32 v0, 4, v0
	v_mov_b32_e32 v1, s55
	v_add_nc_u32_e32 v0, 16, v0
	s_clause 0x7
	buffer_load_dword v2, v0, s[0:3], 0 offen
	buffer_load_dword v3, v0, s[0:3], 0 offen offset:4
	buffer_load_dword v4, v0, s[0:3], 0 offen offset:8
	;; [unrolled: 1-line block ×6, first 2 shown]
	buffer_load_dword v127, v1, s[0:3], 0 offen
	s_waitcnt vmcnt(7)
	buffer_store_dword v2, v1, s[0:3], 0 offen
	s_waitcnt vmcnt(6)
	buffer_store_dword v3, v1, s[0:3], 0 offen offset:4
	s_waitcnt vmcnt(5)
	buffer_store_dword v4, v1, s[0:3], 0 offen offset:8
	;; [unrolled: 2-line block ×6, first 2 shown]
	s_waitcnt vmcnt(0)
	buffer_store_dword v127, v0, s[0:3], 0 offen
.LBB122_452:
	v_mov_b32_e32 v0, 0
	global_load_dword v1, v0, s[12:13] offset:60
	s_waitcnt vmcnt(0)
	v_add_nc_u32_e32 v1, -1, v1
	v_cmp_eq_u32_e32 vcc_lo, 15, v1
	s_cbranch_vccnz .LBB122_454
; %bb.453:
	v_lshlrev_b32_e32 v1, 4, v1
	v_mov_b32_e32 v2, s56
	v_add_nc_u32_e32 v1, 16, v1
	s_clause 0x7
	buffer_load_dword v3, v1, s[0:3], 0 offen
	buffer_load_dword v4, v1, s[0:3], 0 offen offset:4
	buffer_load_dword v5, v1, s[0:3], 0 offen offset:8
	buffer_load_dword v6, v1, s[0:3], 0 offen offset:12
	buffer_load_dword v7, v2, s[0:3], 0 offen offset:12
	buffer_load_dword v8, v2, s[0:3], 0 offen offset:8
	buffer_load_dword v127, v2, s[0:3], 0 offen offset:4
	buffer_load_dword v128, v2, s[0:3], 0 offen
	s_waitcnt vmcnt(7)
	buffer_store_dword v3, v2, s[0:3], 0 offen
	s_waitcnt vmcnt(6)
	buffer_store_dword v4, v2, s[0:3], 0 offen offset:4
	s_waitcnt vmcnt(5)
	buffer_store_dword v5, v2, s[0:3], 0 offen offset:8
	;; [unrolled: 2-line block ×6, first 2 shown]
	s_waitcnt vmcnt(0)
	buffer_store_dword v128, v1, s[0:3], 0 offen
.LBB122_454:
	global_load_dword v0, v0, s[12:13] offset:56
	s_waitcnt vmcnt(0)
	v_add_nc_u32_e32 v0, -1, v0
	v_cmp_eq_u32_e32 vcc_lo, 14, v0
	s_cbranch_vccnz .LBB122_456
; %bb.455:
	v_lshlrev_b32_e32 v0, 4, v0
	v_mov_b32_e32 v1, s57
	v_add_nc_u32_e32 v0, 16, v0
	s_clause 0x7
	buffer_load_dword v2, v0, s[0:3], 0 offen
	buffer_load_dword v3, v0, s[0:3], 0 offen offset:4
	buffer_load_dword v4, v0, s[0:3], 0 offen offset:8
	;; [unrolled: 1-line block ×6, first 2 shown]
	buffer_load_dword v127, v1, s[0:3], 0 offen
	s_waitcnt vmcnt(7)
	buffer_store_dword v2, v1, s[0:3], 0 offen
	s_waitcnt vmcnt(6)
	buffer_store_dword v3, v1, s[0:3], 0 offen offset:4
	s_waitcnt vmcnt(5)
	buffer_store_dword v4, v1, s[0:3], 0 offen offset:8
	;; [unrolled: 2-line block ×6, first 2 shown]
	s_waitcnt vmcnt(0)
	buffer_store_dword v127, v0, s[0:3], 0 offen
.LBB122_456:
	v_mov_b32_e32 v0, 0
	global_load_dword v1, v0, s[12:13] offset:52
	s_waitcnt vmcnt(0)
	v_add_nc_u32_e32 v1, -1, v1
	v_cmp_eq_u32_e32 vcc_lo, 13, v1
	s_cbranch_vccnz .LBB122_458
; %bb.457:
	v_lshlrev_b32_e32 v1, 4, v1
	v_mov_b32_e32 v2, s58
	v_add_nc_u32_e32 v1, 16, v1
	s_clause 0x7
	buffer_load_dword v3, v1, s[0:3], 0 offen
	buffer_load_dword v4, v1, s[0:3], 0 offen offset:4
	buffer_load_dword v5, v1, s[0:3], 0 offen offset:8
	;; [unrolled: 1-line block ×6, first 2 shown]
	buffer_load_dword v128, v2, s[0:3], 0 offen
	s_waitcnt vmcnt(7)
	buffer_store_dword v3, v2, s[0:3], 0 offen
	s_waitcnt vmcnt(6)
	buffer_store_dword v4, v2, s[0:3], 0 offen offset:4
	s_waitcnt vmcnt(5)
	buffer_store_dword v5, v2, s[0:3], 0 offen offset:8
	;; [unrolled: 2-line block ×6, first 2 shown]
	s_waitcnt vmcnt(0)
	buffer_store_dword v128, v1, s[0:3], 0 offen
.LBB122_458:
	global_load_dword v0, v0, s[12:13] offset:48
	s_waitcnt vmcnt(0)
	v_add_nc_u32_e32 v0, -1, v0
	v_cmp_eq_u32_e32 vcc_lo, 12, v0
	s_cbranch_vccnz .LBB122_460
; %bb.459:
	v_lshlrev_b32_e32 v0, 4, v0
	v_mov_b32_e32 v1, s59
	v_add_nc_u32_e32 v0, 16, v0
	s_clause 0x7
	buffer_load_dword v2, v0, s[0:3], 0 offen
	buffer_load_dword v3, v0, s[0:3], 0 offen offset:4
	buffer_load_dword v4, v0, s[0:3], 0 offen offset:8
	;; [unrolled: 1-line block ×6, first 2 shown]
	buffer_load_dword v127, v1, s[0:3], 0 offen
	s_waitcnt vmcnt(7)
	buffer_store_dword v2, v1, s[0:3], 0 offen
	s_waitcnt vmcnt(6)
	buffer_store_dword v3, v1, s[0:3], 0 offen offset:4
	s_waitcnt vmcnt(5)
	buffer_store_dword v4, v1, s[0:3], 0 offen offset:8
	;; [unrolled: 2-line block ×6, first 2 shown]
	s_waitcnt vmcnt(0)
	buffer_store_dword v127, v0, s[0:3], 0 offen
.LBB122_460:
	v_mov_b32_e32 v0, 0
	global_load_dword v1, v0, s[12:13] offset:44
	s_waitcnt vmcnt(0)
	v_add_nc_u32_e32 v1, -1, v1
	v_cmp_eq_u32_e32 vcc_lo, 11, v1
	s_cbranch_vccnz .LBB122_462
; %bb.461:
	v_lshlrev_b32_e32 v1, 4, v1
	v_mov_b32_e32 v2, s60
	v_add_nc_u32_e32 v1, 16, v1
	s_clause 0x7
	buffer_load_dword v3, v1, s[0:3], 0 offen
	buffer_load_dword v4, v1, s[0:3], 0 offen offset:4
	buffer_load_dword v5, v1, s[0:3], 0 offen offset:8
	;; [unrolled: 1-line block ×6, first 2 shown]
	buffer_load_dword v128, v2, s[0:3], 0 offen
	s_waitcnt vmcnt(7)
	buffer_store_dword v3, v2, s[0:3], 0 offen
	s_waitcnt vmcnt(6)
	buffer_store_dword v4, v2, s[0:3], 0 offen offset:4
	s_waitcnt vmcnt(5)
	buffer_store_dword v5, v2, s[0:3], 0 offen offset:8
	;; [unrolled: 2-line block ×6, first 2 shown]
	s_waitcnt vmcnt(0)
	buffer_store_dword v128, v1, s[0:3], 0 offen
.LBB122_462:
	global_load_dword v0, v0, s[12:13] offset:40
	s_waitcnt vmcnt(0)
	v_add_nc_u32_e32 v0, -1, v0
	v_cmp_eq_u32_e32 vcc_lo, 10, v0
	s_cbranch_vccnz .LBB122_464
; %bb.463:
	v_lshlrev_b32_e32 v0, 4, v0
	v_mov_b32_e32 v1, s61
	v_add_nc_u32_e32 v0, 16, v0
	s_clause 0x7
	buffer_load_dword v2, v0, s[0:3], 0 offen
	buffer_load_dword v3, v0, s[0:3], 0 offen offset:4
	buffer_load_dword v4, v0, s[0:3], 0 offen offset:8
	;; [unrolled: 1-line block ×6, first 2 shown]
	buffer_load_dword v127, v1, s[0:3], 0 offen
	s_waitcnt vmcnt(7)
	buffer_store_dword v2, v1, s[0:3], 0 offen
	s_waitcnt vmcnt(6)
	buffer_store_dword v3, v1, s[0:3], 0 offen offset:4
	s_waitcnt vmcnt(5)
	buffer_store_dword v4, v1, s[0:3], 0 offen offset:8
	;; [unrolled: 2-line block ×6, first 2 shown]
	s_waitcnt vmcnt(0)
	buffer_store_dword v127, v0, s[0:3], 0 offen
.LBB122_464:
	v_mov_b32_e32 v0, 0
	global_load_dword v1, v0, s[12:13] offset:36
	s_waitcnt vmcnt(0)
	v_add_nc_u32_e32 v1, -1, v1
	v_cmp_eq_u32_e32 vcc_lo, 9, v1
	s_cbranch_vccnz .LBB122_466
; %bb.465:
	v_lshlrev_b32_e32 v1, 4, v1
	v_mov_b32_e32 v2, s62
	v_add_nc_u32_e32 v1, 16, v1
	s_clause 0x7
	buffer_load_dword v3, v1, s[0:3], 0 offen
	buffer_load_dword v4, v1, s[0:3], 0 offen offset:4
	buffer_load_dword v5, v1, s[0:3], 0 offen offset:8
	;; [unrolled: 1-line block ×6, first 2 shown]
	buffer_load_dword v128, v2, s[0:3], 0 offen
	s_waitcnt vmcnt(7)
	buffer_store_dword v3, v2, s[0:3], 0 offen
	s_waitcnt vmcnt(6)
	buffer_store_dword v4, v2, s[0:3], 0 offen offset:4
	s_waitcnt vmcnt(5)
	buffer_store_dword v5, v2, s[0:3], 0 offen offset:8
	;; [unrolled: 2-line block ×6, first 2 shown]
	s_waitcnt vmcnt(0)
	buffer_store_dword v128, v1, s[0:3], 0 offen
.LBB122_466:
	global_load_dword v0, v0, s[12:13] offset:32
	s_waitcnt vmcnt(0)
	v_add_nc_u32_e32 v0, -1, v0
	v_cmp_eq_u32_e32 vcc_lo, 8, v0
	s_cbranch_vccnz .LBB122_468
; %bb.467:
	v_lshlrev_b32_e32 v0, 4, v0
	v_mov_b32_e32 v1, s63
	v_add_nc_u32_e32 v0, 16, v0
	s_clause 0x7
	buffer_load_dword v2, v0, s[0:3], 0 offen
	buffer_load_dword v3, v0, s[0:3], 0 offen offset:4
	buffer_load_dword v4, v0, s[0:3], 0 offen offset:8
	;; [unrolled: 1-line block ×6, first 2 shown]
	buffer_load_dword v127, v1, s[0:3], 0 offen
	s_waitcnt vmcnt(7)
	buffer_store_dword v2, v1, s[0:3], 0 offen
	s_waitcnt vmcnt(6)
	buffer_store_dword v3, v1, s[0:3], 0 offen offset:4
	s_waitcnt vmcnt(5)
	buffer_store_dword v4, v1, s[0:3], 0 offen offset:8
	;; [unrolled: 2-line block ×6, first 2 shown]
	s_waitcnt vmcnt(0)
	buffer_store_dword v127, v0, s[0:3], 0 offen
.LBB122_468:
	v_mov_b32_e32 v0, 0
	global_load_dword v1, v0, s[12:13] offset:28
	s_waitcnt vmcnt(0)
	v_add_nc_u32_e32 v1, -1, v1
	v_cmp_eq_u32_e32 vcc_lo, 7, v1
	s_cbranch_vccnz .LBB122_470
; %bb.469:
	v_lshlrev_b32_e32 v1, 4, v1
	v_mov_b32_e32 v2, s64
	v_add_nc_u32_e32 v1, 16, v1
	s_clause 0x7
	buffer_load_dword v3, v1, s[0:3], 0 offen
	buffer_load_dword v4, v1, s[0:3], 0 offen offset:4
	buffer_load_dword v5, v1, s[0:3], 0 offen offset:8
	;; [unrolled: 1-line block ×6, first 2 shown]
	buffer_load_dword v128, v2, s[0:3], 0 offen
	s_waitcnt vmcnt(7)
	buffer_store_dword v3, v2, s[0:3], 0 offen
	s_waitcnt vmcnt(6)
	buffer_store_dword v4, v2, s[0:3], 0 offen offset:4
	s_waitcnt vmcnt(5)
	buffer_store_dword v5, v2, s[0:3], 0 offen offset:8
	;; [unrolled: 2-line block ×6, first 2 shown]
	s_waitcnt vmcnt(0)
	buffer_store_dword v128, v1, s[0:3], 0 offen
.LBB122_470:
	global_load_dword v0, v0, s[12:13] offset:24
	s_waitcnt vmcnt(0)
	v_add_nc_u32_e32 v0, -1, v0
	v_cmp_eq_u32_e32 vcc_lo, 6, v0
	s_cbranch_vccnz .LBB122_472
; %bb.471:
	v_lshlrev_b32_e32 v0, 4, v0
	v_mov_b32_e32 v1, s65
	v_add_nc_u32_e32 v0, 16, v0
	s_clause 0x7
	buffer_load_dword v2, v0, s[0:3], 0 offen
	buffer_load_dword v3, v0, s[0:3], 0 offen offset:4
	buffer_load_dword v4, v0, s[0:3], 0 offen offset:8
	;; [unrolled: 1-line block ×6, first 2 shown]
	buffer_load_dword v127, v1, s[0:3], 0 offen
	s_waitcnt vmcnt(7)
	buffer_store_dword v2, v1, s[0:3], 0 offen
	s_waitcnt vmcnt(6)
	buffer_store_dword v3, v1, s[0:3], 0 offen offset:4
	s_waitcnt vmcnt(5)
	buffer_store_dword v4, v1, s[0:3], 0 offen offset:8
	;; [unrolled: 2-line block ×6, first 2 shown]
	s_waitcnt vmcnt(0)
	buffer_store_dword v127, v0, s[0:3], 0 offen
.LBB122_472:
	v_mov_b32_e32 v0, 0
	global_load_dword v1, v0, s[12:13] offset:20
	s_waitcnt vmcnt(0)
	v_add_nc_u32_e32 v1, -1, v1
	v_cmp_eq_u32_e32 vcc_lo, 5, v1
	s_cbranch_vccnz .LBB122_474
; %bb.473:
	v_lshlrev_b32_e32 v1, 4, v1
	v_mov_b32_e32 v2, s66
	v_add_nc_u32_e32 v1, 16, v1
	s_clause 0x7
	buffer_load_dword v3, v1, s[0:3], 0 offen
	buffer_load_dword v4, v1, s[0:3], 0 offen offset:4
	buffer_load_dword v5, v1, s[0:3], 0 offen offset:8
	buffer_load_dword v6, v1, s[0:3], 0 offen offset:12
	buffer_load_dword v7, v2, s[0:3], 0 offen offset:12
	buffer_load_dword v8, v2, s[0:3], 0 offen offset:8
	buffer_load_dword v127, v2, s[0:3], 0 offen offset:4
	buffer_load_dword v128, v2, s[0:3], 0 offen
	s_waitcnt vmcnt(7)
	buffer_store_dword v3, v2, s[0:3], 0 offen
	s_waitcnt vmcnt(6)
	buffer_store_dword v4, v2, s[0:3], 0 offen offset:4
	s_waitcnt vmcnt(5)
	buffer_store_dword v5, v2, s[0:3], 0 offen offset:8
	;; [unrolled: 2-line block ×6, first 2 shown]
	s_waitcnt vmcnt(0)
	buffer_store_dword v128, v1, s[0:3], 0 offen
.LBB122_474:
	global_load_dword v0, v0, s[12:13] offset:16
	s_waitcnt vmcnt(0)
	v_add_nc_u32_e32 v0, -1, v0
	v_cmp_eq_u32_e32 vcc_lo, 4, v0
	s_cbranch_vccnz .LBB122_476
; %bb.475:
	v_lshlrev_b32_e32 v0, 4, v0
	v_mov_b32_e32 v1, s67
	v_add_nc_u32_e32 v0, 16, v0
	s_clause 0x7
	buffer_load_dword v2, v0, s[0:3], 0 offen
	buffer_load_dword v3, v0, s[0:3], 0 offen offset:4
	buffer_load_dword v4, v0, s[0:3], 0 offen offset:8
	;; [unrolled: 1-line block ×6, first 2 shown]
	buffer_load_dword v127, v1, s[0:3], 0 offen
	s_waitcnt vmcnt(7)
	buffer_store_dword v2, v1, s[0:3], 0 offen
	s_waitcnt vmcnt(6)
	buffer_store_dword v3, v1, s[0:3], 0 offen offset:4
	s_waitcnt vmcnt(5)
	buffer_store_dword v4, v1, s[0:3], 0 offen offset:8
	;; [unrolled: 2-line block ×6, first 2 shown]
	s_waitcnt vmcnt(0)
	buffer_store_dword v127, v0, s[0:3], 0 offen
.LBB122_476:
	v_mov_b32_e32 v0, 0
	global_load_dword v1, v0, s[12:13] offset:12
	s_waitcnt vmcnt(0)
	v_add_nc_u32_e32 v1, -1, v1
	v_cmp_eq_u32_e32 vcc_lo, 3, v1
	s_cbranch_vccnz .LBB122_478
; %bb.477:
	v_lshlrev_b32_e32 v1, 4, v1
	v_mov_b32_e32 v2, s68
	v_add_nc_u32_e32 v1, 16, v1
	s_clause 0x7
	buffer_load_dword v3, v1, s[0:3], 0 offen
	buffer_load_dword v4, v1, s[0:3], 0 offen offset:4
	buffer_load_dword v5, v1, s[0:3], 0 offen offset:8
	;; [unrolled: 1-line block ×6, first 2 shown]
	buffer_load_dword v128, v2, s[0:3], 0 offen
	s_waitcnt vmcnt(7)
	buffer_store_dword v3, v2, s[0:3], 0 offen
	s_waitcnt vmcnt(6)
	buffer_store_dword v4, v2, s[0:3], 0 offen offset:4
	s_waitcnt vmcnt(5)
	buffer_store_dword v5, v2, s[0:3], 0 offen offset:8
	;; [unrolled: 2-line block ×6, first 2 shown]
	s_waitcnt vmcnt(0)
	buffer_store_dword v128, v1, s[0:3], 0 offen
.LBB122_478:
	global_load_dword v0, v0, s[12:13] offset:8
	s_waitcnt vmcnt(0)
	v_add_nc_u32_e32 v0, -1, v0
	v_cmp_eq_u32_e32 vcc_lo, 2, v0
	s_cbranch_vccnz .LBB122_480
; %bb.479:
	v_lshlrev_b32_e32 v0, 4, v0
	v_mov_b32_e32 v1, s69
	v_add_nc_u32_e32 v0, 16, v0
	s_clause 0x7
	buffer_load_dword v2, v0, s[0:3], 0 offen
	buffer_load_dword v3, v0, s[0:3], 0 offen offset:4
	buffer_load_dword v4, v0, s[0:3], 0 offen offset:8
	;; [unrolled: 1-line block ×6, first 2 shown]
	buffer_load_dword v127, v1, s[0:3], 0 offen
	s_waitcnt vmcnt(7)
	buffer_store_dword v2, v1, s[0:3], 0 offen
	s_waitcnt vmcnt(6)
	buffer_store_dword v3, v1, s[0:3], 0 offen offset:4
	s_waitcnt vmcnt(5)
	buffer_store_dword v4, v1, s[0:3], 0 offen offset:8
	;; [unrolled: 2-line block ×6, first 2 shown]
	s_waitcnt vmcnt(0)
	buffer_store_dword v127, v0, s[0:3], 0 offen
.LBB122_480:
	v_mov_b32_e32 v0, 0
	global_load_dword v1, v0, s[12:13] offset:4
	s_waitcnt vmcnt(0)
	v_add_nc_u32_e32 v1, -1, v1
	v_cmp_eq_u32_e32 vcc_lo, 1, v1
	s_cbranch_vccnz .LBB122_482
; %bb.481:
	v_lshlrev_b32_e32 v1, 4, v1
	v_mov_b32_e32 v2, s70
	v_add_nc_u32_e32 v1, 16, v1
	s_clause 0x7
	buffer_load_dword v3, v1, s[0:3], 0 offen
	buffer_load_dword v4, v1, s[0:3], 0 offen offset:4
	buffer_load_dword v5, v1, s[0:3], 0 offen offset:8
	;; [unrolled: 1-line block ×6, first 2 shown]
	buffer_load_dword v128, v2, s[0:3], 0 offen
	s_waitcnt vmcnt(7)
	buffer_store_dword v3, v2, s[0:3], 0 offen
	s_waitcnt vmcnt(6)
	buffer_store_dword v4, v2, s[0:3], 0 offen offset:4
	s_waitcnt vmcnt(5)
	buffer_store_dword v5, v2, s[0:3], 0 offen offset:8
	;; [unrolled: 2-line block ×6, first 2 shown]
	s_waitcnt vmcnt(0)
	buffer_store_dword v128, v1, s[0:3], 0 offen
.LBB122_482:
	global_load_dword v0, v0, s[12:13]
	s_waitcnt vmcnt(0)
	v_add_nc_u32_e32 v0, -1, v0
	v_cmp_eq_u32_e32 vcc_lo, 0, v0
	s_cbranch_vccnz .LBB122_484
; %bb.483:
	v_lshlrev_b32_e32 v0, 4, v0
	v_add_nc_u32_e32 v0, 16, v0
	s_clause 0x7
	buffer_load_dword v1, v0, s[0:3], 0 offen
	buffer_load_dword v2, v0, s[0:3], 0 offen offset:4
	buffer_load_dword v3, v0, s[0:3], 0 offen offset:8
	;; [unrolled: 1-line block ×3, first 2 shown]
	buffer_load_dword v5, off, s[0:3], 0 offset:28
	buffer_load_dword v6, off, s[0:3], 0 offset:24
	buffer_load_dword v7, off, s[0:3], 0 offset:20
	buffer_load_dword v8, off, s[0:3], 0 offset:16
	s_waitcnt vmcnt(7)
	buffer_store_dword v1, off, s[0:3], 0 offset:16
	s_waitcnt vmcnt(6)
	buffer_store_dword v2, off, s[0:3], 0 offset:20
	;; [unrolled: 2-line block ×4, first 2 shown]
	s_waitcnt vmcnt(3)
	buffer_store_dword v5, v0, s[0:3], 0 offen offset:12
	s_waitcnt vmcnt(2)
	buffer_store_dword v6, v0, s[0:3], 0 offen offset:8
	;; [unrolled: 2-line block ×3, first 2 shown]
	s_waitcnt vmcnt(0)
	buffer_store_dword v8, v0, s[0:3], 0 offen
.LBB122_484:
	s_clause 0x3
	buffer_load_dword v0, off, s[0:3], 0 offset:16
	buffer_load_dword v1, off, s[0:3], 0 offset:20
	;; [unrolled: 1-line block ×4, first 2 shown]
	v_mov_b32_e32 v4, s70
	s_waitcnt vmcnt(0)
	flat_store_dwordx4 v[9:10], v[0:3]
	s_clause 0x3
	buffer_load_dword v0, v4, s[0:3], 0 offen
	buffer_load_dword v1, v4, s[0:3], 0 offen offset:4
	buffer_load_dword v2, v4, s[0:3], 0 offen offset:8
	buffer_load_dword v3, v4, s[0:3], 0 offen offset:12
	v_mov_b32_e32 v4, s69
	s_waitcnt vmcnt(0)
	flat_store_dwordx4 v[63:64], v[0:3]
	s_clause 0x3
	buffer_load_dword v0, v4, s[0:3], 0 offen
	buffer_load_dword v1, v4, s[0:3], 0 offen offset:4
	buffer_load_dword v2, v4, s[0:3], 0 offen offset:8
	buffer_load_dword v3, v4, s[0:3], 0 offen offset:12
	;; [unrolled: 8-line block ×58, first 2 shown]
	s_waitcnt vmcnt(0)
	flat_store_dwordx4 v[125:126], v[0:3]
	s_endpgm
	.section	.rodata,"a",@progbits
	.p2align	6, 0x0
	.amdhsa_kernel _ZN9rocsolver6v33100L18getri_kernel_smallILi59E19rocblas_complex_numIdEPKPS3_EEvT1_iilPiilS8_bb
		.amdhsa_group_segment_fixed_size 1896
		.amdhsa_private_segment_fixed_size 976
		.amdhsa_kernarg_size 60
		.amdhsa_user_sgpr_count 6
		.amdhsa_user_sgpr_private_segment_buffer 1
		.amdhsa_user_sgpr_dispatch_ptr 0
		.amdhsa_user_sgpr_queue_ptr 0
		.amdhsa_user_sgpr_kernarg_segment_ptr 1
		.amdhsa_user_sgpr_dispatch_id 0
		.amdhsa_user_sgpr_flat_scratch_init 0
		.amdhsa_user_sgpr_private_segment_size 0
		.amdhsa_wavefront_size32 1
		.amdhsa_uses_dynamic_stack 0
		.amdhsa_system_sgpr_private_segment_wavefront_offset 1
		.amdhsa_system_sgpr_workgroup_id_x 1
		.amdhsa_system_sgpr_workgroup_id_y 0
		.amdhsa_system_sgpr_workgroup_id_z 0
		.amdhsa_system_sgpr_workgroup_info 0
		.amdhsa_system_vgpr_workitem_id 0
		.amdhsa_next_free_vgpr 213
		.amdhsa_next_free_sgpr 99
		.amdhsa_reserve_vcc 1
		.amdhsa_reserve_flat_scratch 0
		.amdhsa_float_round_mode_32 0
		.amdhsa_float_round_mode_16_64 0
		.amdhsa_float_denorm_mode_32 3
		.amdhsa_float_denorm_mode_16_64 3
		.amdhsa_dx10_clamp 1
		.amdhsa_ieee_mode 1
		.amdhsa_fp16_overflow 0
		.amdhsa_workgroup_processor_mode 1
		.amdhsa_memory_ordered 1
		.amdhsa_forward_progress 1
		.amdhsa_shared_vgpr_count 0
		.amdhsa_exception_fp_ieee_invalid_op 0
		.amdhsa_exception_fp_denorm_src 0
		.amdhsa_exception_fp_ieee_div_zero 0
		.amdhsa_exception_fp_ieee_overflow 0
		.amdhsa_exception_fp_ieee_underflow 0
		.amdhsa_exception_fp_ieee_inexact 0
		.amdhsa_exception_int_div_zero 0
	.end_amdhsa_kernel
	.section	.text._ZN9rocsolver6v33100L18getri_kernel_smallILi59E19rocblas_complex_numIdEPKPS3_EEvT1_iilPiilS8_bb,"axG",@progbits,_ZN9rocsolver6v33100L18getri_kernel_smallILi59E19rocblas_complex_numIdEPKPS3_EEvT1_iilPiilS8_bb,comdat
.Lfunc_end122:
	.size	_ZN9rocsolver6v33100L18getri_kernel_smallILi59E19rocblas_complex_numIdEPKPS3_EEvT1_iilPiilS8_bb, .Lfunc_end122-_ZN9rocsolver6v33100L18getri_kernel_smallILi59E19rocblas_complex_numIdEPKPS3_EEvT1_iilPiilS8_bb
                                        ; -- End function
	.set _ZN9rocsolver6v33100L18getri_kernel_smallILi59E19rocblas_complex_numIdEPKPS3_EEvT1_iilPiilS8_bb.num_vgpr, 213
	.set _ZN9rocsolver6v33100L18getri_kernel_smallILi59E19rocblas_complex_numIdEPKPS3_EEvT1_iilPiilS8_bb.num_agpr, 0
	.set _ZN9rocsolver6v33100L18getri_kernel_smallILi59E19rocblas_complex_numIdEPKPS3_EEvT1_iilPiilS8_bb.numbered_sgpr, 99
	.set _ZN9rocsolver6v33100L18getri_kernel_smallILi59E19rocblas_complex_numIdEPKPS3_EEvT1_iilPiilS8_bb.num_named_barrier, 0
	.set _ZN9rocsolver6v33100L18getri_kernel_smallILi59E19rocblas_complex_numIdEPKPS3_EEvT1_iilPiilS8_bb.private_seg_size, 976
	.set _ZN9rocsolver6v33100L18getri_kernel_smallILi59E19rocblas_complex_numIdEPKPS3_EEvT1_iilPiilS8_bb.uses_vcc, 1
	.set _ZN9rocsolver6v33100L18getri_kernel_smallILi59E19rocblas_complex_numIdEPKPS3_EEvT1_iilPiilS8_bb.uses_flat_scratch, 0
	.set _ZN9rocsolver6v33100L18getri_kernel_smallILi59E19rocblas_complex_numIdEPKPS3_EEvT1_iilPiilS8_bb.has_dyn_sized_stack, 0
	.set _ZN9rocsolver6v33100L18getri_kernel_smallILi59E19rocblas_complex_numIdEPKPS3_EEvT1_iilPiilS8_bb.has_recursion, 0
	.set _ZN9rocsolver6v33100L18getri_kernel_smallILi59E19rocblas_complex_numIdEPKPS3_EEvT1_iilPiilS8_bb.has_indirect_call, 0
	.section	.AMDGPU.csdata,"",@progbits
; Kernel info:
; codeLenInByte = 223832
; TotalNumSgprs: 101
; NumVgprs: 213
; ScratchSize: 976
; MemoryBound: 0
; FloatMode: 240
; IeeeMode: 1
; LDSByteSize: 1896 bytes/workgroup (compile time only)
; SGPRBlocks: 0
; VGPRBlocks: 26
; NumSGPRsForWavesPerEU: 101
; NumVGPRsForWavesPerEU: 213
; Occupancy: 4
; WaveLimiterHint : 1
; COMPUTE_PGM_RSRC2:SCRATCH_EN: 1
; COMPUTE_PGM_RSRC2:USER_SGPR: 6
; COMPUTE_PGM_RSRC2:TRAP_HANDLER: 0
; COMPUTE_PGM_RSRC2:TGID_X_EN: 1
; COMPUTE_PGM_RSRC2:TGID_Y_EN: 0
; COMPUTE_PGM_RSRC2:TGID_Z_EN: 0
; COMPUTE_PGM_RSRC2:TIDIG_COMP_CNT: 0
	.section	.text._ZN9rocsolver6v33100L18getri_kernel_smallILi60E19rocblas_complex_numIdEPKPS3_EEvT1_iilPiilS8_bb,"axG",@progbits,_ZN9rocsolver6v33100L18getri_kernel_smallILi60E19rocblas_complex_numIdEPKPS3_EEvT1_iilPiilS8_bb,comdat
	.globl	_ZN9rocsolver6v33100L18getri_kernel_smallILi60E19rocblas_complex_numIdEPKPS3_EEvT1_iilPiilS8_bb ; -- Begin function _ZN9rocsolver6v33100L18getri_kernel_smallILi60E19rocblas_complex_numIdEPKPS3_EEvT1_iilPiilS8_bb
	.p2align	8
	.type	_ZN9rocsolver6v33100L18getri_kernel_smallILi60E19rocblas_complex_numIdEPKPS3_EEvT1_iilPiilS8_bb,@function
_ZN9rocsolver6v33100L18getri_kernel_smallILi60E19rocblas_complex_numIdEPKPS3_EEvT1_iilPiilS8_bb: ; @_ZN9rocsolver6v33100L18getri_kernel_smallILi60E19rocblas_complex_numIdEPKPS3_EEvT1_iilPiilS8_bb
; %bb.0:
	s_add_u32 s0, s0, s7
	s_addc_u32 s1, s1, 0
	s_mov_b32 s7, exec_lo
	v_cmpx_gt_u32_e32 60, v0
	s_cbranch_execz .LBB123_254
; %bb.1:
	s_clause 0x2
	s_load_dword s16, s[4:5], 0x38
	s_load_dwordx2 s[12:13], s[4:5], 0x0
	s_load_dwordx4 s[8:11], s[4:5], 0x28
	s_waitcnt lgkmcnt(0)
	s_bitcmp1_b32 s16, 8
	s_cselect_b32 s72, -1, 0
	s_ashr_i32 s7, s6, 31
	s_lshl_b64 s[14:15], s[6:7], 3
	s_add_u32 s12, s12, s14
	s_addc_u32 s13, s13, s15
	s_load_dwordx2 s[14:15], s[12:13], 0x0
	s_bfe_u32 s12, s16, 0x10008
	s_cmp_eq_u32 s12, 0
                                        ; implicit-def: $sgpr12_sgpr13
	s_cbranch_scc1 .LBB123_3
; %bb.2:
	s_clause 0x1
	s_load_dword s12, s[4:5], 0x20
	s_load_dwordx2 s[16:17], s[4:5], 0x18
	s_mul_i32 s13, s8, s7
	s_mul_hi_u32 s18, s8, s6
	s_mul_i32 s9, s9, s6
	s_add_i32 s13, s18, s13
	s_mul_i32 s8, s8, s6
	s_add_i32 s9, s13, s9
	s_lshl_b64 s[8:9], s[8:9], 2
	s_waitcnt lgkmcnt(0)
	s_ashr_i32 s13, s12, 31
	s_add_u32 s16, s16, s8
	s_addc_u32 s17, s17, s9
	s_lshl_b64 s[8:9], s[12:13], 2
	s_add_u32 s12, s16, s8
	s_addc_u32 s13, s17, s9
.LBB123_3:
	s_clause 0x1
	s_load_dwordx2 s[8:9], s[4:5], 0x8
	s_load_dword s73, s[4:5], 0x38
	v_lshlrev_b32_e32 v131, 4, v0
	s_movk_i32 s16, 0xa0
	s_movk_i32 s17, 0xb0
	;; [unrolled: 1-line block ×17, first 2 shown]
	s_waitcnt lgkmcnt(0)
	s_ashr_i32 s5, s8, 31
	s_mov_b32 s4, s8
	v_add3_u32 v5, s9, s9, v0
	s_lshl_b64 s[4:5], s[4:5], 4
	s_movk_i32 s34, 0x1b0
	s_add_u32 s8, s14, s4
	s_addc_u32 s14, s15, s5
	v_add_co_u32 v9, s4, s8, v131
	v_add_co_ci_u32_e64 v10, null, s14, 0, s4
	s_mov_b32 s4, s9
	s_ashr_i32 s5, s9, 31
	v_ashrrev_i32_e32 v6, 31, v5
	flat_load_dwordx4 v[1:4], v[9:10]
	s_lshl_b64 s[4:5], s[4:5], 4
	s_movk_i32 s15, 0x90
	v_add_co_u32 v63, vcc_lo, v9, s4
	v_add_co_ci_u32_e64 v64, null, s5, v10, vcc_lo
	v_lshlrev_b64 v[6:7], 4, v[5:6]
	v_add_nc_u32_e32 v5, s9, v5
	s_movk_i32 s4, 0x50
	s_movk_i32 s35, 0x1c0
	s_movk_i32 s36, 0x1d0
	s_movk_i32 s37, 0x1e0
	v_add_co_u32 v61, vcc_lo, s8, v6
	v_add_co_ci_u32_e64 v62, null, s14, v7, vcc_lo
	v_ashrrev_i32_e32 v6, 31, v5
	s_movk_i32 s38, 0x1f0
	s_movk_i32 s39, 0x200
	s_movk_i32 s74, 0x210
	s_movk_i32 s75, 0x220
	v_lshlrev_b64 v[6:7], 4, v[5:6]
	v_add_nc_u32_e32 v5, s9, v5
	s_movk_i32 s76, 0x230
	s_movk_i32 s77, 0x240
	s_movk_i32 s78, 0x250
	s_movk_i32 s79, 0x260
	v_add_co_u32 v57, vcc_lo, s8, v6
	v_add_co_ci_u32_e64 v58, null, s14, v7, vcc_lo
	v_ashrrev_i32_e32 v6, 31, v5
	s_movk_i32 s80, 0x270
	s_movk_i32 s81, 0x280
	s_movk_i32 s82, 0x290
	s_movk_i32 s83, 0x2a0
	;; [unrolled: 13-line block ×4, first 2 shown]
	v_lshlrev_b64 v[6:7], 4, v[5:6]
	v_add_nc_u32_e32 v5, s9, v5
	s_movk_i32 s100, 0x3b0
	s_add_i32 s67, s4, 16
	s_add_i32 s63, s15, 16
	s_add_i32 s62, s16, 16
	v_add_co_u32 v51, vcc_lo, s8, v6
	v_add_co_ci_u32_e64 v52, null, s14, v7, vcc_lo
	v_ashrrev_i32_e32 v6, 31, v5
	s_add_i32 s61, s17, 16
	s_add_i32 s60, s18, 16
	s_add_i32 s59, s19, 16
	s_add_i32 s58, s20, 16
	v_lshlrev_b64 v[6:7], 4, v[5:6]
	v_add_nc_u32_e32 v5, s9, v5
	s_add_i32 s57, s21, 16
	s_add_i32 s56, s22, 16
	s_add_i32 s55, s23, 16
	s_add_i32 s54, s24, 16
	v_add_co_u32 v49, vcc_lo, s8, v6
	v_add_co_ci_u32_e64 v50, null, s14, v7, vcc_lo
	v_ashrrev_i32_e32 v6, 31, v5
	s_add_i32 s53, s25, 16
	s_add_i32 s52, s26, 16
	s_add_i32 s51, s27, 16
	s_add_i32 s50, s28, 16
	v_lshlrev_b64 v[6:7], 4, v[5:6]
	v_add_nc_u32_e32 v5, s9, v5
	s_add_i32 s49, s29, 16
	;; [unrolled: 13-line block ×6, first 2 shown]
	s_add_i32 s15, s97, 16
	s_mov_b32 s5, -1
	s_mov_b32 s71, 32
	v_add_co_u32 v37, vcc_lo, s8, v6
	v_add_co_ci_u32_e64 v38, null, s14, v7, vcc_lo
	v_ashrrev_i32_e32 v6, 31, v5
	s_mov_b32 s70, 48
	s_mov_b32 s69, 64
	s_movk_i32 s68, 0x50
	s_waitcnt vmcnt(0) lgkmcnt(0)
	buffer_store_dword v4, off, s[0:3], 0 offset:28
	buffer_store_dword v3, off, s[0:3], 0 offset:24
	buffer_store_dword v2, off, s[0:3], 0 offset:20
	buffer_store_dword v1, off, s[0:3], 0 offset:16
	flat_load_dwordx4 v[1:4], v[63:64]
	v_lshlrev_b64 v[6:7], 4, v[5:6]
	v_add_nc_u32_e32 v5, s9, v5
	s_waitcnt vmcnt(0) lgkmcnt(0)
	buffer_store_dword v4, off, s[0:3], 0 offset:44
	buffer_store_dword v3, off, s[0:3], 0 offset:40
	buffer_store_dword v2, off, s[0:3], 0 offset:36
	buffer_store_dword v1, off, s[0:3], 0 offset:32
	flat_load_dwordx4 v[1:4], v[61:62]
	v_add_co_u32 v35, vcc_lo, s8, v6
	v_add_co_ci_u32_e64 v36, null, s14, v7, vcc_lo
	v_ashrrev_i32_e32 v6, 31, v5
	s_waitcnt vmcnt(0) lgkmcnt(0)
	buffer_store_dword v4, off, s[0:3], 0 offset:60
	buffer_store_dword v3, off, s[0:3], 0 offset:56
	buffer_store_dword v2, off, s[0:3], 0 offset:52
	buffer_store_dword v1, off, s[0:3], 0 offset:48
	flat_load_dwordx4 v[1:4], v[57:58]
	v_lshlrev_b64 v[6:7], 4, v[5:6]
	v_add_nc_u32_e32 v5, s9, v5
	s_waitcnt vmcnt(0) lgkmcnt(0)
	buffer_store_dword v4, off, s[0:3], 0 offset:76
	buffer_store_dword v3, off, s[0:3], 0 offset:72
	buffer_store_dword v2, off, s[0:3], 0 offset:68
	buffer_store_dword v1, off, s[0:3], 0 offset:64
	flat_load_dwordx4 v[1:4], v[55:56]
	v_add_co_u32 v33, vcc_lo, s8, v6
	v_add_co_ci_u32_e64 v34, null, s14, v7, vcc_lo
	v_ashrrev_i32_e32 v6, 31, v5
	;; [unrolled: 17-line block ×11, first 2 shown]
	s_waitcnt vmcnt(0) lgkmcnt(0)
	buffer_store_dword v4, off, s[0:3], 0 offset:380
	buffer_store_dword v3, off, s[0:3], 0 offset:376
	;; [unrolled: 1-line block ×4, first 2 shown]
	flat_load_dwordx4 v[1:4], v[15:16]
	v_lshlrev_b64 v[6:7], 4, v[5:6]
	v_add_nc_u32_e32 v5, s9, v5
	s_waitcnt vmcnt(0) lgkmcnt(0)
	buffer_store_dword v4, off, s[0:3], 0 offset:396
	buffer_store_dword v3, off, s[0:3], 0 offset:392
	;; [unrolled: 1-line block ×4, first 2 shown]
	v_add_co_u32 v13, vcc_lo, s8, v6
	v_add_co_ci_u32_e64 v14, null, s14, v7, vcc_lo
	v_ashrrev_i32_e32 v6, 31, v5
	flat_load_dwordx4 v[1:4], v[13:14]
	s_waitcnt vmcnt(0) lgkmcnt(0)
	buffer_store_dword v4, off, s[0:3], 0 offset:412
	buffer_store_dword v3, off, s[0:3], 0 offset:408
	buffer_store_dword v2, off, s[0:3], 0 offset:404
	buffer_store_dword v1, off, s[0:3], 0 offset:400
	v_lshlrev_b64 v[6:7], 4, v[5:6]
	v_add_nc_u32_e32 v5, s9, v5
	v_add_co_u32 v11, vcc_lo, s8, v6
	v_add_co_ci_u32_e64 v12, null, s14, v7, vcc_lo
	v_ashrrev_i32_e32 v6, 31, v5
	flat_load_dwordx4 v[1:4], v[11:12]
	s_waitcnt vmcnt(0) lgkmcnt(0)
	buffer_store_dword v4, off, s[0:3], 0 offset:428
	buffer_store_dword v3, off, s[0:3], 0 offset:424
	buffer_store_dword v2, off, s[0:3], 0 offset:420
	buffer_store_dword v1, off, s[0:3], 0 offset:416
	v_lshlrev_b64 v[6:7], 4, v[5:6]
	v_add_nc_u32_e32 v5, s9, v5
	;; [unrolled: 11-line block ×34, first 2 shown]
	s_movk_i32 s9, 0x70
	s_add_i32 s65, s9, 16
	s_add_i32 s9, s99, 16
	v_add_co_u32 v125, vcc_lo, s8, v6
	v_add_co_ci_u32_e64 v126, null, s14, v7, vcc_lo
	v_ashrrev_i32_e32 v6, 31, v5
	flat_load_dwordx4 v[1:4], v[125:126]
	s_waitcnt vmcnt(0) lgkmcnt(0)
	buffer_store_dword v4, off, s[0:3], 0 offset:956
	buffer_store_dword v3, off, s[0:3], 0 offset:952
	;; [unrolled: 1-line block ×4, first 2 shown]
	v_lshlrev_b64 v[5:6], 4, v[5:6]
	v_add_co_u32 v127, vcc_lo, s8, v5
	v_add_co_ci_u32_e64 v128, null, s14, v6, vcc_lo
	s_movk_i32 s8, 0x60
	s_movk_i32 s14, 0x80
	s_add_i32 s66, s8, 16
	flat_load_dwordx4 v[1:4], v[127:128]
	s_add_i32 s64, s14, 16
	s_add_i32 s14, s98, 16
	;; [unrolled: 1-line block ×3, first 2 shown]
	s_bitcmp0_b32 s73, 0
	s_waitcnt vmcnt(0) lgkmcnt(0)
	buffer_store_dword v4, off, s[0:3], 0 offset:972
	buffer_store_dword v3, off, s[0:3], 0 offset:968
	;; [unrolled: 1-line block ×4, first 2 shown]
	s_cbranch_scc1 .LBB123_252
; %bb.4:
	v_cmp_eq_u32_e64 s4, 0, v0
	s_and_saveexec_b32 s5, s4
; %bb.5:
	v_mov_b32_e32 v1, 0
	ds_write_b32 v1, v1 offset:1920
; %bb.6:
	s_or_b32 exec_lo, exec_lo, s5
	v_lshl_add_u32 v132, v0, 4, 16
	s_waitcnt lgkmcnt(0)
	s_waitcnt_vscnt null, 0x0
	s_barrier
	buffer_gl0_inv
	s_clause 0x3
	buffer_load_dword v1, v132, s[0:3], 0 offen
	buffer_load_dword v2, v132, s[0:3], 0 offen offset:4
	buffer_load_dword v3, v132, s[0:3], 0 offen offset:8
	;; [unrolled: 1-line block ×3, first 2 shown]
	s_waitcnt vmcnt(2)
	v_cmp_eq_f64_e32 vcc_lo, 0, v[1:2]
	s_waitcnt vmcnt(0)
	v_cmp_eq_f64_e64 s5, 0, v[3:4]
	s_and_b32 s5, vcc_lo, s5
	s_and_saveexec_b32 s73, s5
	s_cbranch_execz .LBB123_10
; %bb.7:
	v_mov_b32_e32 v1, 0
	s_mov_b32 s74, 0
	ds_read_b32 v2, v1 offset:1920
	s_waitcnt lgkmcnt(0)
	v_readfirstlane_b32 s5, v2
	v_add_nc_u32_e32 v2, 1, v0
	s_cmp_eq_u32 s5, 0
	v_cmp_gt_i32_e32 vcc_lo, s5, v2
	s_cselect_b32 s75, -1, 0
	s_or_b32 s75, s75, vcc_lo
	s_and_b32 exec_lo, exec_lo, s75
	s_cbranch_execz .LBB123_10
; %bb.8:
	v_mov_b32_e32 v3, s5
.LBB123_9:                              ; =>This Inner Loop Header: Depth=1
	ds_cmpst_rtn_b32 v3, v1, v3, v2 offset:1920
	s_waitcnt lgkmcnt(0)
	v_cmp_ne_u32_e32 vcc_lo, 0, v3
	v_cmp_le_i32_e64 s5, v3, v2
	s_and_b32 s5, vcc_lo, s5
	s_and_b32 s5, exec_lo, s5
	s_or_b32 s74, s5, s74
	s_andn2_b32 exec_lo, exec_lo, s74
	s_cbranch_execnz .LBB123_9
.LBB123_10:
	s_or_b32 exec_lo, exec_lo, s73
	v_mov_b32_e32 v1, 0
	s_barrier
	buffer_gl0_inv
	ds_read_b32 v2, v1 offset:1920
	s_and_saveexec_b32 s5, s4
	s_cbranch_execz .LBB123_12
; %bb.11:
	s_lshl_b64 s[74:75], s[6:7], 2
	s_add_u32 s74, s10, s74
	s_addc_u32 s75, s11, s75
	s_waitcnt lgkmcnt(0)
	global_store_dword v1, v2, s[74:75]
.LBB123_12:
	s_or_b32 exec_lo, exec_lo, s5
	s_waitcnt lgkmcnt(0)
	v_cmp_ne_u32_e32 vcc_lo, 0, v2
	s_mov_b32 s5, 0
	s_cbranch_vccnz .LBB123_252
; %bb.13:
	s_clause 0x3
	buffer_load_dword v7, v132, s[0:3], 0 offen
	buffer_load_dword v8, v132, s[0:3], 0 offen offset:4
	buffer_load_dword v129, v132, s[0:3], 0 offen offset:8
	;; [unrolled: 1-line block ×3, first 2 shown]
                                        ; implicit-def: $vgpr5_vgpr6
                                        ; implicit-def: $vgpr3_vgpr4
	s_waitcnt vmcnt(0)
	v_cmp_ngt_f64_e64 s5, |v[7:8]|, |v[129:130]|
	s_and_saveexec_b32 s73, s5
	s_xor_b32 s5, exec_lo, s73
	s_cbranch_execz .LBB123_15
; %bb.14:
	v_div_scale_f64 v[1:2], null, v[129:130], v[129:130], v[7:8]
	v_div_scale_f64 v[133:134], vcc_lo, v[7:8], v[129:130], v[7:8]
	v_rcp_f64_e32 v[3:4], v[1:2]
	v_fma_f64 v[5:6], -v[1:2], v[3:4], 1.0
	v_fma_f64 v[3:4], v[3:4], v[5:6], v[3:4]
	v_fma_f64 v[5:6], -v[1:2], v[3:4], 1.0
	v_fma_f64 v[3:4], v[3:4], v[5:6], v[3:4]
	v_mul_f64 v[5:6], v[133:134], v[3:4]
	v_fma_f64 v[1:2], -v[1:2], v[5:6], v[133:134]
	v_div_fmas_f64 v[1:2], v[1:2], v[3:4], v[5:6]
	v_div_fixup_f64 v[1:2], v[1:2], v[129:130], v[7:8]
	v_fma_f64 v[3:4], v[7:8], v[1:2], v[129:130]
	v_div_scale_f64 v[5:6], null, v[3:4], v[3:4], 1.0
	v_div_scale_f64 v[133:134], vcc_lo, 1.0, v[3:4], 1.0
	v_rcp_f64_e32 v[7:8], v[5:6]
	v_fma_f64 v[129:130], -v[5:6], v[7:8], 1.0
	v_fma_f64 v[7:8], v[7:8], v[129:130], v[7:8]
	v_fma_f64 v[129:130], -v[5:6], v[7:8], 1.0
	v_fma_f64 v[7:8], v[7:8], v[129:130], v[7:8]
	v_mul_f64 v[129:130], v[133:134], v[7:8]
	v_fma_f64 v[5:6], -v[5:6], v[129:130], v[133:134]
	v_div_fmas_f64 v[5:6], v[5:6], v[7:8], v[129:130]
                                        ; implicit-def: $vgpr7_vgpr8
                                        ; implicit-def: $vgpr129_vgpr130
	v_div_fixup_f64 v[3:4], v[5:6], v[3:4], 1.0
	v_mul_f64 v[5:6], v[1:2], v[3:4]
	v_xor_b32_e32 v4, 0x80000000, v4
	v_xor_b32_e32 v2, 0x80000000, v6
	v_mov_b32_e32 v1, v5
.LBB123_15:
	s_andn2_saveexec_b32 s5, s5
	s_cbranch_execz .LBB123_17
; %bb.16:
	v_div_scale_f64 v[1:2], null, v[7:8], v[7:8], v[129:130]
	v_div_scale_f64 v[133:134], vcc_lo, v[129:130], v[7:8], v[129:130]
	v_rcp_f64_e32 v[3:4], v[1:2]
	v_fma_f64 v[5:6], -v[1:2], v[3:4], 1.0
	v_fma_f64 v[3:4], v[3:4], v[5:6], v[3:4]
	v_fma_f64 v[5:6], -v[1:2], v[3:4], 1.0
	v_fma_f64 v[3:4], v[3:4], v[5:6], v[3:4]
	v_mul_f64 v[5:6], v[133:134], v[3:4]
	v_fma_f64 v[1:2], -v[1:2], v[5:6], v[133:134]
	v_div_fmas_f64 v[1:2], v[1:2], v[3:4], v[5:6]
	v_div_fixup_f64 v[1:2], v[1:2], v[7:8], v[129:130]
	v_fma_f64 v[3:4], v[129:130], v[1:2], v[7:8]
	v_div_scale_f64 v[5:6], null, v[3:4], v[3:4], 1.0
	v_rcp_f64_e32 v[7:8], v[5:6]
	v_fma_f64 v[129:130], -v[5:6], v[7:8], 1.0
	v_fma_f64 v[7:8], v[7:8], v[129:130], v[7:8]
	v_fma_f64 v[129:130], -v[5:6], v[7:8], 1.0
	v_fma_f64 v[7:8], v[7:8], v[129:130], v[7:8]
	v_div_scale_f64 v[129:130], vcc_lo, 1.0, v[3:4], 1.0
	v_mul_f64 v[133:134], v[129:130], v[7:8]
	v_fma_f64 v[5:6], -v[5:6], v[133:134], v[129:130]
	v_div_fmas_f64 v[5:6], v[5:6], v[7:8], v[133:134]
	v_div_fixup_f64 v[5:6], v[5:6], v[3:4], 1.0
	v_mul_f64 v[3:4], v[1:2], -v[5:6]
	v_xor_b32_e32 v2, 0x80000000, v6
	v_mov_b32_e32 v1, v5
.LBB123_17:
	s_or_b32 exec_lo, exec_lo, s5
	v_mov_b32_e32 v7, s71
	buffer_store_dword v6, v132, s[0:3], 0 offen offset:4
	buffer_store_dword v5, v132, s[0:3], 0 offen
	buffer_store_dword v4, v132, s[0:3], 0 offen offset:12
	buffer_store_dword v3, v132, s[0:3], 0 offen offset:8
	v_xor_b32_e32 v4, 0x80000000, v4
	v_add_nc_u32_e32 v5, 0x3c0, v131
	s_clause 0x3
	buffer_load_dword v136, v7, s[0:3], 0 offen offset:12
	buffer_load_dword v135, v7, s[0:3], 0 offen offset:8
	;; [unrolled: 1-line block ×3, first 2 shown]
	buffer_load_dword v133, v7, s[0:3], 0 offen
	ds_write_b128 v131, v[1:4]
	s_waitcnt vmcnt(0)
	ds_write_b128 v131, v[133:136] offset:960
	s_waitcnt lgkmcnt(0)
	s_waitcnt_vscnt null, 0x0
	s_barrier
	buffer_gl0_inv
	s_and_saveexec_b32 s5, s4
	s_cbranch_execz .LBB123_19
; %bb.18:
	s_clause 0x3
	buffer_load_dword v6, v132, s[0:3], 0 offen offset:8
	buffer_load_dword v7, v132, s[0:3], 0 offen offset:12
	buffer_load_dword v129, v132, s[0:3], 0 offen
	buffer_load_dword v130, v132, s[0:3], 0 offen offset:4
	ds_read_b128 v[1:4], v5
	v_mov_b32_e32 v8, 0
	ds_read_b128 v[133:136], v8 offset:16
	s_waitcnt vmcnt(2) lgkmcnt(1)
	v_mul_f64 v[137:138], v[1:2], v[6:7]
	v_mul_f64 v[6:7], v[3:4], v[6:7]
	s_waitcnt vmcnt(0)
	v_fma_f64 v[3:4], v[3:4], v[129:130], v[137:138]
	v_fma_f64 v[1:2], v[1:2], v[129:130], -v[6:7]
	v_add_f64 v[3:4], v[3:4], 0
	v_add_f64 v[1:2], v[1:2], 0
	s_waitcnt lgkmcnt(0)
	v_mul_f64 v[6:7], v[3:4], v[135:136]
	v_mul_f64 v[129:130], v[1:2], v[135:136]
	v_fma_f64 v[1:2], v[1:2], v[133:134], -v[6:7]
	v_fma_f64 v[3:4], v[3:4], v[133:134], v[129:130]
	buffer_store_dword v1, off, s[0:3], 0 offset:32
	buffer_store_dword v2, off, s[0:3], 0 offset:36
	;; [unrolled: 1-line block ×4, first 2 shown]
.LBB123_19:
	s_or_b32 exec_lo, exec_lo, s5
	v_mov_b32_e32 v4, s70
	s_waitcnt_vscnt null, 0x0
	s_barrier
	buffer_gl0_inv
	s_mov_b32 s5, exec_lo
	s_clause 0x3
	buffer_load_dword v1, v4, s[0:3], 0 offen
	buffer_load_dword v2, v4, s[0:3], 0 offen offset:4
	buffer_load_dword v3, v4, s[0:3], 0 offen offset:8
	;; [unrolled: 1-line block ×3, first 2 shown]
	s_waitcnt vmcnt(0)
	ds_write_b128 v5, v[1:4]
	s_waitcnt lgkmcnt(0)
	s_barrier
	buffer_gl0_inv
	v_cmpx_gt_u32_e32 2, v0
	s_cbranch_execz .LBB123_23
; %bb.20:
	s_clause 0x3
	buffer_load_dword v6, v132, s[0:3], 0 offen offset:8
	buffer_load_dword v7, v132, s[0:3], 0 offen offset:12
	buffer_load_dword v129, v132, s[0:3], 0 offen
	buffer_load_dword v130, v132, s[0:3], 0 offen offset:4
	ds_read_b128 v[1:4], v5
	s_waitcnt vmcnt(2) lgkmcnt(0)
	v_mul_f64 v[132:133], v[3:4], v[6:7]
	v_mul_f64 v[6:7], v[1:2], v[6:7]
	s_waitcnt vmcnt(0)
	v_fma_f64 v[1:2], v[1:2], v[129:130], -v[132:133]
	v_fma_f64 v[3:4], v[3:4], v[129:130], v[6:7]
	v_add_f64 v[1:2], v[1:2], 0
	v_add_f64 v[3:4], v[3:4], 0
	s_and_saveexec_b32 s73, s4
	s_cbranch_execz .LBB123_22
; %bb.21:
	s_clause 0x3
	buffer_load_dword v6, off, s[0:3], 0 offset:40
	buffer_load_dword v7, off, s[0:3], 0 offset:44
	;; [unrolled: 1-line block ×4, first 2 shown]
	v_mov_b32_e32 v8, 0
	ds_read_b128 v[132:135], v8 offset:976
	s_waitcnt vmcnt(2) lgkmcnt(0)
	v_mul_f64 v[136:137], v[132:133], v[6:7]
	v_mul_f64 v[6:7], v[134:135], v[6:7]
	s_waitcnt vmcnt(0)
	v_fma_f64 v[134:135], v[134:135], v[129:130], v[136:137]
	v_fma_f64 v[6:7], v[132:133], v[129:130], -v[6:7]
	v_add_f64 v[3:4], v[3:4], v[134:135]
	v_add_f64 v[1:2], v[1:2], v[6:7]
.LBB123_22:
	s_or_b32 exec_lo, exec_lo, s73
	v_mov_b32_e32 v6, 0
	ds_read_b128 v[132:135], v6 offset:32
	s_waitcnt lgkmcnt(0)
	v_mul_f64 v[6:7], v[3:4], v[134:135]
	v_mul_f64 v[129:130], v[1:2], v[134:135]
	v_fma_f64 v[1:2], v[1:2], v[132:133], -v[6:7]
	v_fma_f64 v[3:4], v[3:4], v[132:133], v[129:130]
	buffer_store_dword v2, off, s[0:3], 0 offset:52
	buffer_store_dword v1, off, s[0:3], 0 offset:48
	;; [unrolled: 1-line block ×4, first 2 shown]
.LBB123_23:
	s_or_b32 exec_lo, exec_lo, s5
	v_mov_b32_e32 v4, s69
	s_waitcnt_vscnt null, 0x0
	s_barrier
	buffer_gl0_inv
	v_add_nc_u32_e32 v6, -1, v0
	s_clause 0x3
	buffer_load_dword v1, v4, s[0:3], 0 offen
	buffer_load_dword v2, v4, s[0:3], 0 offen offset:4
	buffer_load_dword v3, v4, s[0:3], 0 offen offset:8
	;; [unrolled: 1-line block ×3, first 2 shown]
	s_mov_b32 s4, exec_lo
	s_waitcnt vmcnt(0)
	ds_write_b128 v5, v[1:4]
	s_waitcnt lgkmcnt(0)
	s_barrier
	buffer_gl0_inv
	v_cmpx_gt_u32_e32 3, v0
	s_cbranch_execz .LBB123_27
; %bb.24:
	v_mov_b32_e32 v1, 0
	v_mov_b32_e32 v3, 0
	v_add_nc_u32_e32 v7, -1, v0
	v_add_nc_u32_e32 v8, 0x3c0, v131
	v_mov_b32_e32 v2, 0
	v_mov_b32_e32 v4, 0
	v_add_nc_u32_e32 v129, 16, v131
	s_mov_b32 s5, 0
	.p2align	6
.LBB123_25:                             ; =>This Inner Loop Header: Depth=1
	s_clause 0x3
	buffer_load_dword v136, v129, s[0:3], 0 offen offset:8
	buffer_load_dword v137, v129, s[0:3], 0 offen offset:12
	buffer_load_dword v138, v129, s[0:3], 0 offen
	buffer_load_dword v139, v129, s[0:3], 0 offen offset:4
	ds_read_b128 v[132:135], v8
	v_add_nc_u32_e32 v7, 1, v7
	v_add_nc_u32_e32 v8, 16, v8
	v_add_nc_u32_e32 v129, 16, v129
	v_cmp_lt_u32_e32 vcc_lo, 1, v7
	s_or_b32 s5, vcc_lo, s5
	s_waitcnt vmcnt(2) lgkmcnt(0)
	v_mul_f64 v[140:141], v[134:135], v[136:137]
	v_mul_f64 v[136:137], v[132:133], v[136:137]
	s_waitcnt vmcnt(0)
	v_fma_f64 v[132:133], v[132:133], v[138:139], -v[140:141]
	v_fma_f64 v[134:135], v[134:135], v[138:139], v[136:137]
	v_add_f64 v[3:4], v[3:4], v[132:133]
	v_add_f64 v[1:2], v[1:2], v[134:135]
	s_andn2_b32 exec_lo, exec_lo, s5
	s_cbranch_execnz .LBB123_25
; %bb.26:
	s_or_b32 exec_lo, exec_lo, s5
	v_mov_b32_e32 v7, 0
	ds_read_b128 v[132:135], v7 offset:48
	s_waitcnt lgkmcnt(0)
	v_mul_f64 v[7:8], v[1:2], v[134:135]
	v_mul_f64 v[129:130], v[3:4], v[134:135]
	v_fma_f64 v[3:4], v[3:4], v[132:133], -v[7:8]
	v_fma_f64 v[1:2], v[1:2], v[132:133], v[129:130]
	buffer_store_dword v4, off, s[0:3], 0 offset:68
	buffer_store_dword v3, off, s[0:3], 0 offset:64
	;; [unrolled: 1-line block ×4, first 2 shown]
.LBB123_27:
	s_or_b32 exec_lo, exec_lo, s4
	v_mov_b32_e32 v4, s68
	s_waitcnt_vscnt null, 0x0
	s_barrier
	buffer_gl0_inv
	s_mov_b32 s4, exec_lo
	s_clause 0x3
	buffer_load_dword v1, v4, s[0:3], 0 offen
	buffer_load_dword v2, v4, s[0:3], 0 offen offset:4
	buffer_load_dword v3, v4, s[0:3], 0 offen offset:8
	;; [unrolled: 1-line block ×3, first 2 shown]
	s_waitcnt vmcnt(0)
	ds_write_b128 v5, v[1:4]
	s_waitcnt lgkmcnt(0)
	s_barrier
	buffer_gl0_inv
	v_cmpx_gt_u32_e32 4, v0
	s_cbranch_execz .LBB123_31
; %bb.28:
	v_mov_b32_e32 v1, 0
	v_mov_b32_e32 v3, 0
	v_add_nc_u32_e32 v7, -1, v0
	v_add_nc_u32_e32 v8, 0x3c0, v131
	v_mov_b32_e32 v2, 0
	v_mov_b32_e32 v4, 0
	v_add_nc_u32_e32 v129, 16, v131
	s_mov_b32 s5, 0
	.p2align	6
.LBB123_29:                             ; =>This Inner Loop Header: Depth=1
	s_clause 0x3
	buffer_load_dword v136, v129, s[0:3], 0 offen offset:8
	buffer_load_dword v137, v129, s[0:3], 0 offen offset:12
	buffer_load_dword v138, v129, s[0:3], 0 offen
	buffer_load_dword v139, v129, s[0:3], 0 offen offset:4
	ds_read_b128 v[132:135], v8
	v_add_nc_u32_e32 v7, 1, v7
	v_add_nc_u32_e32 v8, 16, v8
	;; [unrolled: 1-line block ×3, first 2 shown]
	v_cmp_lt_u32_e32 vcc_lo, 2, v7
	s_or_b32 s5, vcc_lo, s5
	s_waitcnt vmcnt(2) lgkmcnt(0)
	v_mul_f64 v[140:141], v[134:135], v[136:137]
	v_mul_f64 v[136:137], v[132:133], v[136:137]
	s_waitcnt vmcnt(0)
	v_fma_f64 v[132:133], v[132:133], v[138:139], -v[140:141]
	v_fma_f64 v[134:135], v[134:135], v[138:139], v[136:137]
	v_add_f64 v[3:4], v[3:4], v[132:133]
	v_add_f64 v[1:2], v[1:2], v[134:135]
	s_andn2_b32 exec_lo, exec_lo, s5
	s_cbranch_execnz .LBB123_29
; %bb.30:
	s_or_b32 exec_lo, exec_lo, s5
	v_mov_b32_e32 v7, 0
	ds_read_b128 v[132:135], v7 offset:64
	s_waitcnt lgkmcnt(0)
	v_mul_f64 v[7:8], v[1:2], v[134:135]
	v_mul_f64 v[129:130], v[3:4], v[134:135]
	v_fma_f64 v[3:4], v[3:4], v[132:133], -v[7:8]
	v_fma_f64 v[1:2], v[1:2], v[132:133], v[129:130]
	buffer_store_dword v4, off, s[0:3], 0 offset:84
	buffer_store_dword v3, off, s[0:3], 0 offset:80
	;; [unrolled: 1-line block ×4, first 2 shown]
.LBB123_31:
	s_or_b32 exec_lo, exec_lo, s4
	v_mov_b32_e32 v4, s67
	s_waitcnt_vscnt null, 0x0
	s_barrier
	buffer_gl0_inv
	s_mov_b32 s4, exec_lo
	s_clause 0x3
	buffer_load_dword v1, v4, s[0:3], 0 offen
	buffer_load_dword v2, v4, s[0:3], 0 offen offset:4
	buffer_load_dword v3, v4, s[0:3], 0 offen offset:8
	;; [unrolled: 1-line block ×3, first 2 shown]
	s_waitcnt vmcnt(0)
	ds_write_b128 v5, v[1:4]
	s_waitcnt lgkmcnt(0)
	s_barrier
	buffer_gl0_inv
	v_cmpx_gt_u32_e32 5, v0
	s_cbranch_execz .LBB123_35
; %bb.32:
	v_mov_b32_e32 v1, 0
	v_mov_b32_e32 v3, 0
	v_add_nc_u32_e32 v7, -1, v0
	v_add_nc_u32_e32 v8, 0x3c0, v131
	v_mov_b32_e32 v2, 0
	v_mov_b32_e32 v4, 0
	v_add_nc_u32_e32 v129, 16, v131
	s_mov_b32 s5, 0
	.p2align	6
.LBB123_33:                             ; =>This Inner Loop Header: Depth=1
	s_clause 0x3
	buffer_load_dword v136, v129, s[0:3], 0 offen offset:8
	buffer_load_dword v137, v129, s[0:3], 0 offen offset:12
	buffer_load_dword v138, v129, s[0:3], 0 offen
	buffer_load_dword v139, v129, s[0:3], 0 offen offset:4
	ds_read_b128 v[132:135], v8
	v_add_nc_u32_e32 v7, 1, v7
	v_add_nc_u32_e32 v8, 16, v8
	v_add_nc_u32_e32 v129, 16, v129
	v_cmp_lt_u32_e32 vcc_lo, 3, v7
	s_or_b32 s5, vcc_lo, s5
	s_waitcnt vmcnt(2) lgkmcnt(0)
	v_mul_f64 v[140:141], v[134:135], v[136:137]
	v_mul_f64 v[136:137], v[132:133], v[136:137]
	s_waitcnt vmcnt(0)
	v_fma_f64 v[132:133], v[132:133], v[138:139], -v[140:141]
	v_fma_f64 v[134:135], v[134:135], v[138:139], v[136:137]
	v_add_f64 v[3:4], v[3:4], v[132:133]
	v_add_f64 v[1:2], v[1:2], v[134:135]
	s_andn2_b32 exec_lo, exec_lo, s5
	s_cbranch_execnz .LBB123_33
; %bb.34:
	s_or_b32 exec_lo, exec_lo, s5
	v_mov_b32_e32 v7, 0
	ds_read_b128 v[132:135], v7 offset:80
	s_waitcnt lgkmcnt(0)
	v_mul_f64 v[7:8], v[1:2], v[134:135]
	v_mul_f64 v[129:130], v[3:4], v[134:135]
	v_fma_f64 v[3:4], v[3:4], v[132:133], -v[7:8]
	v_fma_f64 v[1:2], v[1:2], v[132:133], v[129:130]
	buffer_store_dword v4, off, s[0:3], 0 offset:100
	buffer_store_dword v3, off, s[0:3], 0 offset:96
	;; [unrolled: 1-line block ×4, first 2 shown]
.LBB123_35:
	s_or_b32 exec_lo, exec_lo, s4
	v_mov_b32_e32 v4, s66
	s_waitcnt_vscnt null, 0x0
	s_barrier
	buffer_gl0_inv
	s_mov_b32 s4, exec_lo
	s_clause 0x3
	buffer_load_dword v1, v4, s[0:3], 0 offen
	buffer_load_dword v2, v4, s[0:3], 0 offen offset:4
	buffer_load_dword v3, v4, s[0:3], 0 offen offset:8
	;; [unrolled: 1-line block ×3, first 2 shown]
	s_waitcnt vmcnt(0)
	ds_write_b128 v5, v[1:4]
	s_waitcnt lgkmcnt(0)
	s_barrier
	buffer_gl0_inv
	v_cmpx_gt_u32_e32 6, v0
	s_cbranch_execz .LBB123_39
; %bb.36:
	v_mov_b32_e32 v1, 0
	v_mov_b32_e32 v3, 0
	v_add_nc_u32_e32 v7, -1, v0
	v_add_nc_u32_e32 v8, 0x3c0, v131
	v_mov_b32_e32 v2, 0
	v_mov_b32_e32 v4, 0
	v_add_nc_u32_e32 v129, 16, v131
	s_mov_b32 s5, 0
	.p2align	6
.LBB123_37:                             ; =>This Inner Loop Header: Depth=1
	s_clause 0x3
	buffer_load_dword v136, v129, s[0:3], 0 offen offset:8
	buffer_load_dword v137, v129, s[0:3], 0 offen offset:12
	buffer_load_dword v138, v129, s[0:3], 0 offen
	buffer_load_dword v139, v129, s[0:3], 0 offen offset:4
	ds_read_b128 v[132:135], v8
	v_add_nc_u32_e32 v7, 1, v7
	v_add_nc_u32_e32 v8, 16, v8
	;; [unrolled: 1-line block ×3, first 2 shown]
	v_cmp_lt_u32_e32 vcc_lo, 4, v7
	s_or_b32 s5, vcc_lo, s5
	s_waitcnt vmcnt(2) lgkmcnt(0)
	v_mul_f64 v[140:141], v[134:135], v[136:137]
	v_mul_f64 v[136:137], v[132:133], v[136:137]
	s_waitcnt vmcnt(0)
	v_fma_f64 v[132:133], v[132:133], v[138:139], -v[140:141]
	v_fma_f64 v[134:135], v[134:135], v[138:139], v[136:137]
	v_add_f64 v[3:4], v[3:4], v[132:133]
	v_add_f64 v[1:2], v[1:2], v[134:135]
	s_andn2_b32 exec_lo, exec_lo, s5
	s_cbranch_execnz .LBB123_37
; %bb.38:
	s_or_b32 exec_lo, exec_lo, s5
	v_mov_b32_e32 v7, 0
	ds_read_b128 v[132:135], v7 offset:96
	s_waitcnt lgkmcnt(0)
	v_mul_f64 v[7:8], v[1:2], v[134:135]
	v_mul_f64 v[129:130], v[3:4], v[134:135]
	v_fma_f64 v[3:4], v[3:4], v[132:133], -v[7:8]
	v_fma_f64 v[1:2], v[1:2], v[132:133], v[129:130]
	buffer_store_dword v4, off, s[0:3], 0 offset:116
	buffer_store_dword v3, off, s[0:3], 0 offset:112
	;; [unrolled: 1-line block ×4, first 2 shown]
.LBB123_39:
	s_or_b32 exec_lo, exec_lo, s4
	v_mov_b32_e32 v4, s65
	s_waitcnt_vscnt null, 0x0
	s_barrier
	buffer_gl0_inv
	s_mov_b32 s4, exec_lo
	s_clause 0x3
	buffer_load_dword v1, v4, s[0:3], 0 offen
	buffer_load_dword v2, v4, s[0:3], 0 offen offset:4
	buffer_load_dword v3, v4, s[0:3], 0 offen offset:8
	;; [unrolled: 1-line block ×3, first 2 shown]
	s_waitcnt vmcnt(0)
	ds_write_b128 v5, v[1:4]
	s_waitcnt lgkmcnt(0)
	s_barrier
	buffer_gl0_inv
	v_cmpx_gt_u32_e32 7, v0
	s_cbranch_execz .LBB123_43
; %bb.40:
	v_mov_b32_e32 v1, 0
	v_mov_b32_e32 v3, 0
	v_add_nc_u32_e32 v7, -1, v0
	v_add_nc_u32_e32 v8, 0x3c0, v131
	v_mov_b32_e32 v2, 0
	v_mov_b32_e32 v4, 0
	v_add_nc_u32_e32 v129, 16, v131
	s_mov_b32 s5, 0
	.p2align	6
.LBB123_41:                             ; =>This Inner Loop Header: Depth=1
	s_clause 0x3
	buffer_load_dword v136, v129, s[0:3], 0 offen offset:8
	buffer_load_dword v137, v129, s[0:3], 0 offen offset:12
	buffer_load_dword v138, v129, s[0:3], 0 offen
	buffer_load_dword v139, v129, s[0:3], 0 offen offset:4
	ds_read_b128 v[132:135], v8
	v_add_nc_u32_e32 v7, 1, v7
	v_add_nc_u32_e32 v8, 16, v8
	;; [unrolled: 1-line block ×3, first 2 shown]
	v_cmp_lt_u32_e32 vcc_lo, 5, v7
	s_or_b32 s5, vcc_lo, s5
	s_waitcnt vmcnt(2) lgkmcnt(0)
	v_mul_f64 v[140:141], v[134:135], v[136:137]
	v_mul_f64 v[136:137], v[132:133], v[136:137]
	s_waitcnt vmcnt(0)
	v_fma_f64 v[132:133], v[132:133], v[138:139], -v[140:141]
	v_fma_f64 v[134:135], v[134:135], v[138:139], v[136:137]
	v_add_f64 v[3:4], v[3:4], v[132:133]
	v_add_f64 v[1:2], v[1:2], v[134:135]
	s_andn2_b32 exec_lo, exec_lo, s5
	s_cbranch_execnz .LBB123_41
; %bb.42:
	s_or_b32 exec_lo, exec_lo, s5
	v_mov_b32_e32 v7, 0
	ds_read_b128 v[132:135], v7 offset:112
	s_waitcnt lgkmcnt(0)
	v_mul_f64 v[7:8], v[1:2], v[134:135]
	v_mul_f64 v[129:130], v[3:4], v[134:135]
	v_fma_f64 v[3:4], v[3:4], v[132:133], -v[7:8]
	v_fma_f64 v[1:2], v[1:2], v[132:133], v[129:130]
	buffer_store_dword v4, off, s[0:3], 0 offset:132
	buffer_store_dword v3, off, s[0:3], 0 offset:128
	;; [unrolled: 1-line block ×4, first 2 shown]
.LBB123_43:
	s_or_b32 exec_lo, exec_lo, s4
	v_mov_b32_e32 v4, s64
	s_waitcnt_vscnt null, 0x0
	s_barrier
	buffer_gl0_inv
	s_mov_b32 s4, exec_lo
	s_clause 0x3
	buffer_load_dword v1, v4, s[0:3], 0 offen
	buffer_load_dword v2, v4, s[0:3], 0 offen offset:4
	buffer_load_dword v3, v4, s[0:3], 0 offen offset:8
	;; [unrolled: 1-line block ×3, first 2 shown]
	s_waitcnt vmcnt(0)
	ds_write_b128 v5, v[1:4]
	s_waitcnt lgkmcnt(0)
	s_barrier
	buffer_gl0_inv
	v_cmpx_gt_u32_e32 8, v0
	s_cbranch_execz .LBB123_47
; %bb.44:
	v_mov_b32_e32 v1, 0
	v_mov_b32_e32 v3, 0
	v_add_nc_u32_e32 v7, -1, v0
	v_add_nc_u32_e32 v8, 0x3c0, v131
	v_mov_b32_e32 v2, 0
	v_mov_b32_e32 v4, 0
	v_add_nc_u32_e32 v129, 16, v131
	s_mov_b32 s5, 0
	.p2align	6
.LBB123_45:                             ; =>This Inner Loop Header: Depth=1
	s_clause 0x3
	buffer_load_dword v136, v129, s[0:3], 0 offen offset:8
	buffer_load_dword v137, v129, s[0:3], 0 offen offset:12
	buffer_load_dword v138, v129, s[0:3], 0 offen
	buffer_load_dword v139, v129, s[0:3], 0 offen offset:4
	ds_read_b128 v[132:135], v8
	v_add_nc_u32_e32 v7, 1, v7
	v_add_nc_u32_e32 v8, 16, v8
	;; [unrolled: 1-line block ×3, first 2 shown]
	v_cmp_lt_u32_e32 vcc_lo, 6, v7
	s_or_b32 s5, vcc_lo, s5
	s_waitcnt vmcnt(2) lgkmcnt(0)
	v_mul_f64 v[140:141], v[134:135], v[136:137]
	v_mul_f64 v[136:137], v[132:133], v[136:137]
	s_waitcnt vmcnt(0)
	v_fma_f64 v[132:133], v[132:133], v[138:139], -v[140:141]
	v_fma_f64 v[134:135], v[134:135], v[138:139], v[136:137]
	v_add_f64 v[3:4], v[3:4], v[132:133]
	v_add_f64 v[1:2], v[1:2], v[134:135]
	s_andn2_b32 exec_lo, exec_lo, s5
	s_cbranch_execnz .LBB123_45
; %bb.46:
	s_or_b32 exec_lo, exec_lo, s5
	v_mov_b32_e32 v7, 0
	ds_read_b128 v[132:135], v7 offset:128
	s_waitcnt lgkmcnt(0)
	v_mul_f64 v[7:8], v[1:2], v[134:135]
	v_mul_f64 v[129:130], v[3:4], v[134:135]
	v_fma_f64 v[3:4], v[3:4], v[132:133], -v[7:8]
	v_fma_f64 v[1:2], v[1:2], v[132:133], v[129:130]
	buffer_store_dword v4, off, s[0:3], 0 offset:148
	buffer_store_dword v3, off, s[0:3], 0 offset:144
	;; [unrolled: 1-line block ×4, first 2 shown]
.LBB123_47:
	s_or_b32 exec_lo, exec_lo, s4
	v_mov_b32_e32 v4, s63
	s_waitcnt_vscnt null, 0x0
	s_barrier
	buffer_gl0_inv
	s_mov_b32 s4, exec_lo
	s_clause 0x3
	buffer_load_dword v1, v4, s[0:3], 0 offen
	buffer_load_dword v2, v4, s[0:3], 0 offen offset:4
	buffer_load_dword v3, v4, s[0:3], 0 offen offset:8
	;; [unrolled: 1-line block ×3, first 2 shown]
	s_waitcnt vmcnt(0)
	ds_write_b128 v5, v[1:4]
	s_waitcnt lgkmcnt(0)
	s_barrier
	buffer_gl0_inv
	v_cmpx_gt_u32_e32 9, v0
	s_cbranch_execz .LBB123_51
; %bb.48:
	v_mov_b32_e32 v1, 0
	v_mov_b32_e32 v3, 0
	v_add_nc_u32_e32 v7, -1, v0
	v_add_nc_u32_e32 v8, 0x3c0, v131
	v_mov_b32_e32 v2, 0
	v_mov_b32_e32 v4, 0
	v_add_nc_u32_e32 v129, 16, v131
	s_mov_b32 s5, 0
	.p2align	6
.LBB123_49:                             ; =>This Inner Loop Header: Depth=1
	s_clause 0x3
	buffer_load_dword v136, v129, s[0:3], 0 offen offset:8
	buffer_load_dword v137, v129, s[0:3], 0 offen offset:12
	buffer_load_dword v138, v129, s[0:3], 0 offen
	buffer_load_dword v139, v129, s[0:3], 0 offen offset:4
	ds_read_b128 v[132:135], v8
	v_add_nc_u32_e32 v7, 1, v7
	v_add_nc_u32_e32 v8, 16, v8
	;; [unrolled: 1-line block ×3, first 2 shown]
	v_cmp_lt_u32_e32 vcc_lo, 7, v7
	s_or_b32 s5, vcc_lo, s5
	s_waitcnt vmcnt(2) lgkmcnt(0)
	v_mul_f64 v[140:141], v[134:135], v[136:137]
	v_mul_f64 v[136:137], v[132:133], v[136:137]
	s_waitcnt vmcnt(0)
	v_fma_f64 v[132:133], v[132:133], v[138:139], -v[140:141]
	v_fma_f64 v[134:135], v[134:135], v[138:139], v[136:137]
	v_add_f64 v[3:4], v[3:4], v[132:133]
	v_add_f64 v[1:2], v[1:2], v[134:135]
	s_andn2_b32 exec_lo, exec_lo, s5
	s_cbranch_execnz .LBB123_49
; %bb.50:
	s_or_b32 exec_lo, exec_lo, s5
	v_mov_b32_e32 v7, 0
	ds_read_b128 v[132:135], v7 offset:144
	s_waitcnt lgkmcnt(0)
	v_mul_f64 v[7:8], v[1:2], v[134:135]
	v_mul_f64 v[129:130], v[3:4], v[134:135]
	v_fma_f64 v[3:4], v[3:4], v[132:133], -v[7:8]
	v_fma_f64 v[1:2], v[1:2], v[132:133], v[129:130]
	buffer_store_dword v4, off, s[0:3], 0 offset:164
	buffer_store_dword v3, off, s[0:3], 0 offset:160
	;; [unrolled: 1-line block ×4, first 2 shown]
.LBB123_51:
	s_or_b32 exec_lo, exec_lo, s4
	v_mov_b32_e32 v4, s62
	s_waitcnt_vscnt null, 0x0
	s_barrier
	buffer_gl0_inv
	s_mov_b32 s4, exec_lo
	s_clause 0x3
	buffer_load_dword v1, v4, s[0:3], 0 offen
	buffer_load_dword v2, v4, s[0:3], 0 offen offset:4
	buffer_load_dword v3, v4, s[0:3], 0 offen offset:8
	;; [unrolled: 1-line block ×3, first 2 shown]
	s_waitcnt vmcnt(0)
	ds_write_b128 v5, v[1:4]
	s_waitcnt lgkmcnt(0)
	s_barrier
	buffer_gl0_inv
	v_cmpx_gt_u32_e32 10, v0
	s_cbranch_execz .LBB123_55
; %bb.52:
	v_mov_b32_e32 v1, 0
	v_mov_b32_e32 v3, 0
	v_add_nc_u32_e32 v7, -1, v0
	v_add_nc_u32_e32 v8, 0x3c0, v131
	v_mov_b32_e32 v2, 0
	v_mov_b32_e32 v4, 0
	v_add_nc_u32_e32 v129, 16, v131
	s_mov_b32 s5, 0
	.p2align	6
.LBB123_53:                             ; =>This Inner Loop Header: Depth=1
	s_clause 0x3
	buffer_load_dword v136, v129, s[0:3], 0 offen offset:8
	buffer_load_dword v137, v129, s[0:3], 0 offen offset:12
	buffer_load_dword v138, v129, s[0:3], 0 offen
	buffer_load_dword v139, v129, s[0:3], 0 offen offset:4
	ds_read_b128 v[132:135], v8
	v_add_nc_u32_e32 v7, 1, v7
	v_add_nc_u32_e32 v8, 16, v8
	;; [unrolled: 1-line block ×3, first 2 shown]
	v_cmp_lt_u32_e32 vcc_lo, 8, v7
	s_or_b32 s5, vcc_lo, s5
	s_waitcnt vmcnt(2) lgkmcnt(0)
	v_mul_f64 v[140:141], v[134:135], v[136:137]
	v_mul_f64 v[136:137], v[132:133], v[136:137]
	s_waitcnt vmcnt(0)
	v_fma_f64 v[132:133], v[132:133], v[138:139], -v[140:141]
	v_fma_f64 v[134:135], v[134:135], v[138:139], v[136:137]
	v_add_f64 v[3:4], v[3:4], v[132:133]
	v_add_f64 v[1:2], v[1:2], v[134:135]
	s_andn2_b32 exec_lo, exec_lo, s5
	s_cbranch_execnz .LBB123_53
; %bb.54:
	s_or_b32 exec_lo, exec_lo, s5
	v_mov_b32_e32 v7, 0
	ds_read_b128 v[132:135], v7 offset:160
	s_waitcnt lgkmcnt(0)
	v_mul_f64 v[7:8], v[1:2], v[134:135]
	v_mul_f64 v[129:130], v[3:4], v[134:135]
	v_fma_f64 v[3:4], v[3:4], v[132:133], -v[7:8]
	v_fma_f64 v[1:2], v[1:2], v[132:133], v[129:130]
	buffer_store_dword v4, off, s[0:3], 0 offset:180
	buffer_store_dword v3, off, s[0:3], 0 offset:176
	;; [unrolled: 1-line block ×4, first 2 shown]
.LBB123_55:
	s_or_b32 exec_lo, exec_lo, s4
	v_mov_b32_e32 v4, s61
	s_waitcnt_vscnt null, 0x0
	s_barrier
	buffer_gl0_inv
	s_mov_b32 s4, exec_lo
	s_clause 0x3
	buffer_load_dword v1, v4, s[0:3], 0 offen
	buffer_load_dword v2, v4, s[0:3], 0 offen offset:4
	buffer_load_dword v3, v4, s[0:3], 0 offen offset:8
	;; [unrolled: 1-line block ×3, first 2 shown]
	s_waitcnt vmcnt(0)
	ds_write_b128 v5, v[1:4]
	s_waitcnt lgkmcnt(0)
	s_barrier
	buffer_gl0_inv
	v_cmpx_gt_u32_e32 11, v0
	s_cbranch_execz .LBB123_59
; %bb.56:
	v_mov_b32_e32 v1, 0
	v_mov_b32_e32 v3, 0
	v_add_nc_u32_e32 v7, -1, v0
	v_add_nc_u32_e32 v8, 0x3c0, v131
	v_mov_b32_e32 v2, 0
	v_mov_b32_e32 v4, 0
	v_add_nc_u32_e32 v129, 16, v131
	s_mov_b32 s5, 0
	.p2align	6
.LBB123_57:                             ; =>This Inner Loop Header: Depth=1
	s_clause 0x3
	buffer_load_dword v136, v129, s[0:3], 0 offen offset:8
	buffer_load_dword v137, v129, s[0:3], 0 offen offset:12
	buffer_load_dword v138, v129, s[0:3], 0 offen
	buffer_load_dword v139, v129, s[0:3], 0 offen offset:4
	ds_read_b128 v[132:135], v8
	v_add_nc_u32_e32 v7, 1, v7
	v_add_nc_u32_e32 v8, 16, v8
	;; [unrolled: 1-line block ×3, first 2 shown]
	v_cmp_lt_u32_e32 vcc_lo, 9, v7
	s_or_b32 s5, vcc_lo, s5
	s_waitcnt vmcnt(2) lgkmcnt(0)
	v_mul_f64 v[140:141], v[134:135], v[136:137]
	v_mul_f64 v[136:137], v[132:133], v[136:137]
	s_waitcnt vmcnt(0)
	v_fma_f64 v[132:133], v[132:133], v[138:139], -v[140:141]
	v_fma_f64 v[134:135], v[134:135], v[138:139], v[136:137]
	v_add_f64 v[3:4], v[3:4], v[132:133]
	v_add_f64 v[1:2], v[1:2], v[134:135]
	s_andn2_b32 exec_lo, exec_lo, s5
	s_cbranch_execnz .LBB123_57
; %bb.58:
	s_or_b32 exec_lo, exec_lo, s5
	v_mov_b32_e32 v7, 0
	ds_read_b128 v[132:135], v7 offset:176
	s_waitcnt lgkmcnt(0)
	v_mul_f64 v[7:8], v[1:2], v[134:135]
	v_mul_f64 v[129:130], v[3:4], v[134:135]
	v_fma_f64 v[3:4], v[3:4], v[132:133], -v[7:8]
	v_fma_f64 v[1:2], v[1:2], v[132:133], v[129:130]
	buffer_store_dword v4, off, s[0:3], 0 offset:196
	buffer_store_dword v3, off, s[0:3], 0 offset:192
	;; [unrolled: 1-line block ×4, first 2 shown]
.LBB123_59:
	s_or_b32 exec_lo, exec_lo, s4
	v_mov_b32_e32 v4, s60
	s_waitcnt_vscnt null, 0x0
	s_barrier
	buffer_gl0_inv
	s_mov_b32 s4, exec_lo
	s_clause 0x3
	buffer_load_dword v1, v4, s[0:3], 0 offen
	buffer_load_dword v2, v4, s[0:3], 0 offen offset:4
	buffer_load_dword v3, v4, s[0:3], 0 offen offset:8
	;; [unrolled: 1-line block ×3, first 2 shown]
	s_waitcnt vmcnt(0)
	ds_write_b128 v5, v[1:4]
	s_waitcnt lgkmcnt(0)
	s_barrier
	buffer_gl0_inv
	v_cmpx_gt_u32_e32 12, v0
	s_cbranch_execz .LBB123_63
; %bb.60:
	v_mov_b32_e32 v1, 0
	v_mov_b32_e32 v3, 0
	v_add_nc_u32_e32 v7, -1, v0
	v_add_nc_u32_e32 v8, 0x3c0, v131
	v_mov_b32_e32 v2, 0
	v_mov_b32_e32 v4, 0
	v_add_nc_u32_e32 v129, 16, v131
	s_mov_b32 s5, 0
	.p2align	6
.LBB123_61:                             ; =>This Inner Loop Header: Depth=1
	s_clause 0x3
	buffer_load_dword v136, v129, s[0:3], 0 offen offset:8
	buffer_load_dword v137, v129, s[0:3], 0 offen offset:12
	buffer_load_dword v138, v129, s[0:3], 0 offen
	buffer_load_dword v139, v129, s[0:3], 0 offen offset:4
	ds_read_b128 v[132:135], v8
	v_add_nc_u32_e32 v7, 1, v7
	v_add_nc_u32_e32 v8, 16, v8
	;; [unrolled: 1-line block ×3, first 2 shown]
	v_cmp_lt_u32_e32 vcc_lo, 10, v7
	s_or_b32 s5, vcc_lo, s5
	s_waitcnt vmcnt(2) lgkmcnt(0)
	v_mul_f64 v[140:141], v[134:135], v[136:137]
	v_mul_f64 v[136:137], v[132:133], v[136:137]
	s_waitcnt vmcnt(0)
	v_fma_f64 v[132:133], v[132:133], v[138:139], -v[140:141]
	v_fma_f64 v[134:135], v[134:135], v[138:139], v[136:137]
	v_add_f64 v[3:4], v[3:4], v[132:133]
	v_add_f64 v[1:2], v[1:2], v[134:135]
	s_andn2_b32 exec_lo, exec_lo, s5
	s_cbranch_execnz .LBB123_61
; %bb.62:
	s_or_b32 exec_lo, exec_lo, s5
	v_mov_b32_e32 v7, 0
	ds_read_b128 v[132:135], v7 offset:192
	s_waitcnt lgkmcnt(0)
	v_mul_f64 v[7:8], v[1:2], v[134:135]
	v_mul_f64 v[129:130], v[3:4], v[134:135]
	v_fma_f64 v[3:4], v[3:4], v[132:133], -v[7:8]
	v_fma_f64 v[1:2], v[1:2], v[132:133], v[129:130]
	buffer_store_dword v4, off, s[0:3], 0 offset:212
	buffer_store_dword v3, off, s[0:3], 0 offset:208
	;; [unrolled: 1-line block ×4, first 2 shown]
.LBB123_63:
	s_or_b32 exec_lo, exec_lo, s4
	v_mov_b32_e32 v4, s59
	s_waitcnt_vscnt null, 0x0
	s_barrier
	buffer_gl0_inv
	s_mov_b32 s4, exec_lo
	s_clause 0x3
	buffer_load_dword v1, v4, s[0:3], 0 offen
	buffer_load_dword v2, v4, s[0:3], 0 offen offset:4
	buffer_load_dword v3, v4, s[0:3], 0 offen offset:8
	buffer_load_dword v4, v4, s[0:3], 0 offen offset:12
	s_waitcnt vmcnt(0)
	ds_write_b128 v5, v[1:4]
	s_waitcnt lgkmcnt(0)
	s_barrier
	buffer_gl0_inv
	v_cmpx_gt_u32_e32 13, v0
	s_cbranch_execz .LBB123_67
; %bb.64:
	v_mov_b32_e32 v1, 0
	v_mov_b32_e32 v3, 0
	v_add_nc_u32_e32 v7, -1, v0
	v_add_nc_u32_e32 v8, 0x3c0, v131
	v_mov_b32_e32 v2, 0
	v_mov_b32_e32 v4, 0
	v_add_nc_u32_e32 v129, 16, v131
	s_mov_b32 s5, 0
	.p2align	6
.LBB123_65:                             ; =>This Inner Loop Header: Depth=1
	s_clause 0x3
	buffer_load_dword v136, v129, s[0:3], 0 offen offset:8
	buffer_load_dword v137, v129, s[0:3], 0 offen offset:12
	buffer_load_dword v138, v129, s[0:3], 0 offen
	buffer_load_dword v139, v129, s[0:3], 0 offen offset:4
	ds_read_b128 v[132:135], v8
	v_add_nc_u32_e32 v7, 1, v7
	v_add_nc_u32_e32 v8, 16, v8
	;; [unrolled: 1-line block ×3, first 2 shown]
	v_cmp_lt_u32_e32 vcc_lo, 11, v7
	s_or_b32 s5, vcc_lo, s5
	s_waitcnt vmcnt(2) lgkmcnt(0)
	v_mul_f64 v[140:141], v[134:135], v[136:137]
	v_mul_f64 v[136:137], v[132:133], v[136:137]
	s_waitcnt vmcnt(0)
	v_fma_f64 v[132:133], v[132:133], v[138:139], -v[140:141]
	v_fma_f64 v[134:135], v[134:135], v[138:139], v[136:137]
	v_add_f64 v[3:4], v[3:4], v[132:133]
	v_add_f64 v[1:2], v[1:2], v[134:135]
	s_andn2_b32 exec_lo, exec_lo, s5
	s_cbranch_execnz .LBB123_65
; %bb.66:
	s_or_b32 exec_lo, exec_lo, s5
	v_mov_b32_e32 v7, 0
	ds_read_b128 v[132:135], v7 offset:208
	s_waitcnt lgkmcnt(0)
	v_mul_f64 v[7:8], v[1:2], v[134:135]
	v_mul_f64 v[129:130], v[3:4], v[134:135]
	v_fma_f64 v[3:4], v[3:4], v[132:133], -v[7:8]
	v_fma_f64 v[1:2], v[1:2], v[132:133], v[129:130]
	buffer_store_dword v4, off, s[0:3], 0 offset:228
	buffer_store_dword v3, off, s[0:3], 0 offset:224
	;; [unrolled: 1-line block ×4, first 2 shown]
.LBB123_67:
	s_or_b32 exec_lo, exec_lo, s4
	v_mov_b32_e32 v4, s58
	s_waitcnt_vscnt null, 0x0
	s_barrier
	buffer_gl0_inv
	s_mov_b32 s4, exec_lo
	s_clause 0x3
	buffer_load_dword v1, v4, s[0:3], 0 offen
	buffer_load_dword v2, v4, s[0:3], 0 offen offset:4
	buffer_load_dword v3, v4, s[0:3], 0 offen offset:8
	;; [unrolled: 1-line block ×3, first 2 shown]
	s_waitcnt vmcnt(0)
	ds_write_b128 v5, v[1:4]
	s_waitcnt lgkmcnt(0)
	s_barrier
	buffer_gl0_inv
	v_cmpx_gt_u32_e32 14, v0
	s_cbranch_execz .LBB123_71
; %bb.68:
	v_mov_b32_e32 v1, 0
	v_mov_b32_e32 v3, 0
	v_add_nc_u32_e32 v7, -1, v0
	v_add_nc_u32_e32 v8, 0x3c0, v131
	v_mov_b32_e32 v2, 0
	v_mov_b32_e32 v4, 0
	v_add_nc_u32_e32 v129, 16, v131
	s_mov_b32 s5, 0
	.p2align	6
.LBB123_69:                             ; =>This Inner Loop Header: Depth=1
	s_clause 0x3
	buffer_load_dword v136, v129, s[0:3], 0 offen offset:8
	buffer_load_dword v137, v129, s[0:3], 0 offen offset:12
	buffer_load_dword v138, v129, s[0:3], 0 offen
	buffer_load_dword v139, v129, s[0:3], 0 offen offset:4
	ds_read_b128 v[132:135], v8
	v_add_nc_u32_e32 v7, 1, v7
	v_add_nc_u32_e32 v8, 16, v8
	;; [unrolled: 1-line block ×3, first 2 shown]
	v_cmp_lt_u32_e32 vcc_lo, 12, v7
	s_or_b32 s5, vcc_lo, s5
	s_waitcnt vmcnt(2) lgkmcnt(0)
	v_mul_f64 v[140:141], v[134:135], v[136:137]
	v_mul_f64 v[136:137], v[132:133], v[136:137]
	s_waitcnt vmcnt(0)
	v_fma_f64 v[132:133], v[132:133], v[138:139], -v[140:141]
	v_fma_f64 v[134:135], v[134:135], v[138:139], v[136:137]
	v_add_f64 v[3:4], v[3:4], v[132:133]
	v_add_f64 v[1:2], v[1:2], v[134:135]
	s_andn2_b32 exec_lo, exec_lo, s5
	s_cbranch_execnz .LBB123_69
; %bb.70:
	s_or_b32 exec_lo, exec_lo, s5
	v_mov_b32_e32 v7, 0
	ds_read_b128 v[132:135], v7 offset:224
	s_waitcnt lgkmcnt(0)
	v_mul_f64 v[7:8], v[1:2], v[134:135]
	v_mul_f64 v[129:130], v[3:4], v[134:135]
	v_fma_f64 v[3:4], v[3:4], v[132:133], -v[7:8]
	v_fma_f64 v[1:2], v[1:2], v[132:133], v[129:130]
	buffer_store_dword v4, off, s[0:3], 0 offset:244
	buffer_store_dword v3, off, s[0:3], 0 offset:240
	;; [unrolled: 1-line block ×4, first 2 shown]
.LBB123_71:
	s_or_b32 exec_lo, exec_lo, s4
	v_mov_b32_e32 v4, s57
	s_waitcnt_vscnt null, 0x0
	s_barrier
	buffer_gl0_inv
	s_mov_b32 s4, exec_lo
	s_clause 0x3
	buffer_load_dword v1, v4, s[0:3], 0 offen
	buffer_load_dword v2, v4, s[0:3], 0 offen offset:4
	buffer_load_dword v3, v4, s[0:3], 0 offen offset:8
	;; [unrolled: 1-line block ×3, first 2 shown]
	s_waitcnt vmcnt(0)
	ds_write_b128 v5, v[1:4]
	s_waitcnt lgkmcnt(0)
	s_barrier
	buffer_gl0_inv
	v_cmpx_gt_u32_e32 15, v0
	s_cbranch_execz .LBB123_75
; %bb.72:
	v_mov_b32_e32 v1, 0
	v_mov_b32_e32 v3, 0
	v_add_nc_u32_e32 v7, -1, v0
	v_add_nc_u32_e32 v8, 0x3c0, v131
	v_mov_b32_e32 v2, 0
	v_mov_b32_e32 v4, 0
	v_add_nc_u32_e32 v129, 16, v131
	s_mov_b32 s5, 0
	.p2align	6
.LBB123_73:                             ; =>This Inner Loop Header: Depth=1
	s_clause 0x3
	buffer_load_dword v136, v129, s[0:3], 0 offen offset:8
	buffer_load_dword v137, v129, s[0:3], 0 offen offset:12
	buffer_load_dword v138, v129, s[0:3], 0 offen
	buffer_load_dword v139, v129, s[0:3], 0 offen offset:4
	ds_read_b128 v[132:135], v8
	v_add_nc_u32_e32 v7, 1, v7
	v_add_nc_u32_e32 v8, 16, v8
	;; [unrolled: 1-line block ×3, first 2 shown]
	v_cmp_lt_u32_e32 vcc_lo, 13, v7
	s_or_b32 s5, vcc_lo, s5
	s_waitcnt vmcnt(2) lgkmcnt(0)
	v_mul_f64 v[140:141], v[134:135], v[136:137]
	v_mul_f64 v[136:137], v[132:133], v[136:137]
	s_waitcnt vmcnt(0)
	v_fma_f64 v[132:133], v[132:133], v[138:139], -v[140:141]
	v_fma_f64 v[134:135], v[134:135], v[138:139], v[136:137]
	v_add_f64 v[3:4], v[3:4], v[132:133]
	v_add_f64 v[1:2], v[1:2], v[134:135]
	s_andn2_b32 exec_lo, exec_lo, s5
	s_cbranch_execnz .LBB123_73
; %bb.74:
	s_or_b32 exec_lo, exec_lo, s5
	v_mov_b32_e32 v7, 0
	ds_read_b128 v[132:135], v7 offset:240
	s_waitcnt lgkmcnt(0)
	v_mul_f64 v[7:8], v[1:2], v[134:135]
	v_mul_f64 v[129:130], v[3:4], v[134:135]
	v_fma_f64 v[3:4], v[3:4], v[132:133], -v[7:8]
	v_fma_f64 v[1:2], v[1:2], v[132:133], v[129:130]
	buffer_store_dword v4, off, s[0:3], 0 offset:260
	buffer_store_dword v3, off, s[0:3], 0 offset:256
	;; [unrolled: 1-line block ×4, first 2 shown]
.LBB123_75:
	s_or_b32 exec_lo, exec_lo, s4
	v_mov_b32_e32 v4, s56
	s_waitcnt_vscnt null, 0x0
	s_barrier
	buffer_gl0_inv
	s_mov_b32 s4, exec_lo
	s_clause 0x3
	buffer_load_dword v1, v4, s[0:3], 0 offen
	buffer_load_dword v2, v4, s[0:3], 0 offen offset:4
	buffer_load_dword v3, v4, s[0:3], 0 offen offset:8
	;; [unrolled: 1-line block ×3, first 2 shown]
	s_waitcnt vmcnt(0)
	ds_write_b128 v5, v[1:4]
	s_waitcnt lgkmcnt(0)
	s_barrier
	buffer_gl0_inv
	v_cmpx_gt_u32_e32 16, v0
	s_cbranch_execz .LBB123_79
; %bb.76:
	v_mov_b32_e32 v1, 0
	v_mov_b32_e32 v3, 0
	v_add_nc_u32_e32 v7, -1, v0
	v_add_nc_u32_e32 v8, 0x3c0, v131
	v_mov_b32_e32 v2, 0
	v_mov_b32_e32 v4, 0
	v_add_nc_u32_e32 v129, 16, v131
	s_mov_b32 s5, 0
	.p2align	6
.LBB123_77:                             ; =>This Inner Loop Header: Depth=1
	s_clause 0x3
	buffer_load_dword v136, v129, s[0:3], 0 offen offset:8
	buffer_load_dword v137, v129, s[0:3], 0 offen offset:12
	buffer_load_dword v138, v129, s[0:3], 0 offen
	buffer_load_dword v139, v129, s[0:3], 0 offen offset:4
	ds_read_b128 v[132:135], v8
	v_add_nc_u32_e32 v7, 1, v7
	v_add_nc_u32_e32 v8, 16, v8
	;; [unrolled: 1-line block ×3, first 2 shown]
	v_cmp_lt_u32_e32 vcc_lo, 14, v7
	s_or_b32 s5, vcc_lo, s5
	s_waitcnt vmcnt(2) lgkmcnt(0)
	v_mul_f64 v[140:141], v[134:135], v[136:137]
	v_mul_f64 v[136:137], v[132:133], v[136:137]
	s_waitcnt vmcnt(0)
	v_fma_f64 v[132:133], v[132:133], v[138:139], -v[140:141]
	v_fma_f64 v[134:135], v[134:135], v[138:139], v[136:137]
	v_add_f64 v[3:4], v[3:4], v[132:133]
	v_add_f64 v[1:2], v[1:2], v[134:135]
	s_andn2_b32 exec_lo, exec_lo, s5
	s_cbranch_execnz .LBB123_77
; %bb.78:
	s_or_b32 exec_lo, exec_lo, s5
	v_mov_b32_e32 v7, 0
	ds_read_b128 v[132:135], v7 offset:256
	s_waitcnt lgkmcnt(0)
	v_mul_f64 v[7:8], v[1:2], v[134:135]
	v_mul_f64 v[129:130], v[3:4], v[134:135]
	v_fma_f64 v[3:4], v[3:4], v[132:133], -v[7:8]
	v_fma_f64 v[1:2], v[1:2], v[132:133], v[129:130]
	buffer_store_dword v4, off, s[0:3], 0 offset:276
	buffer_store_dword v3, off, s[0:3], 0 offset:272
	;; [unrolled: 1-line block ×4, first 2 shown]
.LBB123_79:
	s_or_b32 exec_lo, exec_lo, s4
	v_mov_b32_e32 v4, s55
	s_waitcnt_vscnt null, 0x0
	s_barrier
	buffer_gl0_inv
	s_mov_b32 s4, exec_lo
	s_clause 0x3
	buffer_load_dword v1, v4, s[0:3], 0 offen
	buffer_load_dword v2, v4, s[0:3], 0 offen offset:4
	buffer_load_dword v3, v4, s[0:3], 0 offen offset:8
	;; [unrolled: 1-line block ×3, first 2 shown]
	s_waitcnt vmcnt(0)
	ds_write_b128 v5, v[1:4]
	s_waitcnt lgkmcnt(0)
	s_barrier
	buffer_gl0_inv
	v_cmpx_gt_u32_e32 17, v0
	s_cbranch_execz .LBB123_83
; %bb.80:
	v_mov_b32_e32 v1, 0
	v_mov_b32_e32 v3, 0
	v_add_nc_u32_e32 v7, -1, v0
	v_add_nc_u32_e32 v8, 0x3c0, v131
	v_mov_b32_e32 v2, 0
	v_mov_b32_e32 v4, 0
	v_add_nc_u32_e32 v129, 16, v131
	s_mov_b32 s5, 0
	.p2align	6
.LBB123_81:                             ; =>This Inner Loop Header: Depth=1
	s_clause 0x3
	buffer_load_dword v136, v129, s[0:3], 0 offen offset:8
	buffer_load_dword v137, v129, s[0:3], 0 offen offset:12
	buffer_load_dword v138, v129, s[0:3], 0 offen
	buffer_load_dword v139, v129, s[0:3], 0 offen offset:4
	ds_read_b128 v[132:135], v8
	v_add_nc_u32_e32 v7, 1, v7
	v_add_nc_u32_e32 v8, 16, v8
	;; [unrolled: 1-line block ×3, first 2 shown]
	v_cmp_lt_u32_e32 vcc_lo, 15, v7
	s_or_b32 s5, vcc_lo, s5
	s_waitcnt vmcnt(2) lgkmcnt(0)
	v_mul_f64 v[140:141], v[134:135], v[136:137]
	v_mul_f64 v[136:137], v[132:133], v[136:137]
	s_waitcnt vmcnt(0)
	v_fma_f64 v[132:133], v[132:133], v[138:139], -v[140:141]
	v_fma_f64 v[134:135], v[134:135], v[138:139], v[136:137]
	v_add_f64 v[3:4], v[3:4], v[132:133]
	v_add_f64 v[1:2], v[1:2], v[134:135]
	s_andn2_b32 exec_lo, exec_lo, s5
	s_cbranch_execnz .LBB123_81
; %bb.82:
	s_or_b32 exec_lo, exec_lo, s5
	v_mov_b32_e32 v7, 0
	ds_read_b128 v[132:135], v7 offset:272
	s_waitcnt lgkmcnt(0)
	v_mul_f64 v[7:8], v[1:2], v[134:135]
	v_mul_f64 v[129:130], v[3:4], v[134:135]
	v_fma_f64 v[3:4], v[3:4], v[132:133], -v[7:8]
	v_fma_f64 v[1:2], v[1:2], v[132:133], v[129:130]
	buffer_store_dword v4, off, s[0:3], 0 offset:292
	buffer_store_dword v3, off, s[0:3], 0 offset:288
	;; [unrolled: 1-line block ×4, first 2 shown]
.LBB123_83:
	s_or_b32 exec_lo, exec_lo, s4
	v_mov_b32_e32 v4, s54
	s_waitcnt_vscnt null, 0x0
	s_barrier
	buffer_gl0_inv
	s_mov_b32 s4, exec_lo
	s_clause 0x3
	buffer_load_dword v1, v4, s[0:3], 0 offen
	buffer_load_dword v2, v4, s[0:3], 0 offen offset:4
	buffer_load_dword v3, v4, s[0:3], 0 offen offset:8
	;; [unrolled: 1-line block ×3, first 2 shown]
	s_waitcnt vmcnt(0)
	ds_write_b128 v5, v[1:4]
	s_waitcnt lgkmcnt(0)
	s_barrier
	buffer_gl0_inv
	v_cmpx_gt_u32_e32 18, v0
	s_cbranch_execz .LBB123_87
; %bb.84:
	v_mov_b32_e32 v1, 0
	v_mov_b32_e32 v3, 0
	v_add_nc_u32_e32 v7, -1, v0
	v_add_nc_u32_e32 v8, 0x3c0, v131
	v_mov_b32_e32 v2, 0
	v_mov_b32_e32 v4, 0
	v_add_nc_u32_e32 v129, 16, v131
	s_mov_b32 s5, 0
	.p2align	6
.LBB123_85:                             ; =>This Inner Loop Header: Depth=1
	s_clause 0x3
	buffer_load_dword v136, v129, s[0:3], 0 offen offset:8
	buffer_load_dword v137, v129, s[0:3], 0 offen offset:12
	buffer_load_dword v138, v129, s[0:3], 0 offen
	buffer_load_dword v139, v129, s[0:3], 0 offen offset:4
	ds_read_b128 v[132:135], v8
	v_add_nc_u32_e32 v7, 1, v7
	v_add_nc_u32_e32 v8, 16, v8
	;; [unrolled: 1-line block ×3, first 2 shown]
	v_cmp_lt_u32_e32 vcc_lo, 16, v7
	s_or_b32 s5, vcc_lo, s5
	s_waitcnt vmcnt(2) lgkmcnt(0)
	v_mul_f64 v[140:141], v[134:135], v[136:137]
	v_mul_f64 v[136:137], v[132:133], v[136:137]
	s_waitcnt vmcnt(0)
	v_fma_f64 v[132:133], v[132:133], v[138:139], -v[140:141]
	v_fma_f64 v[134:135], v[134:135], v[138:139], v[136:137]
	v_add_f64 v[3:4], v[3:4], v[132:133]
	v_add_f64 v[1:2], v[1:2], v[134:135]
	s_andn2_b32 exec_lo, exec_lo, s5
	s_cbranch_execnz .LBB123_85
; %bb.86:
	s_or_b32 exec_lo, exec_lo, s5
	v_mov_b32_e32 v7, 0
	ds_read_b128 v[132:135], v7 offset:288
	s_waitcnt lgkmcnt(0)
	v_mul_f64 v[7:8], v[1:2], v[134:135]
	v_mul_f64 v[129:130], v[3:4], v[134:135]
	v_fma_f64 v[3:4], v[3:4], v[132:133], -v[7:8]
	v_fma_f64 v[1:2], v[1:2], v[132:133], v[129:130]
	buffer_store_dword v4, off, s[0:3], 0 offset:308
	buffer_store_dword v3, off, s[0:3], 0 offset:304
	;; [unrolled: 1-line block ×4, first 2 shown]
.LBB123_87:
	s_or_b32 exec_lo, exec_lo, s4
	v_mov_b32_e32 v4, s53
	s_waitcnt_vscnt null, 0x0
	s_barrier
	buffer_gl0_inv
	s_mov_b32 s4, exec_lo
	s_clause 0x3
	buffer_load_dword v1, v4, s[0:3], 0 offen
	buffer_load_dword v2, v4, s[0:3], 0 offen offset:4
	buffer_load_dword v3, v4, s[0:3], 0 offen offset:8
	;; [unrolled: 1-line block ×3, first 2 shown]
	s_waitcnt vmcnt(0)
	ds_write_b128 v5, v[1:4]
	s_waitcnt lgkmcnt(0)
	s_barrier
	buffer_gl0_inv
	v_cmpx_gt_u32_e32 19, v0
	s_cbranch_execz .LBB123_91
; %bb.88:
	v_mov_b32_e32 v1, 0
	v_mov_b32_e32 v3, 0
	v_add_nc_u32_e32 v7, -1, v0
	v_add_nc_u32_e32 v8, 0x3c0, v131
	v_mov_b32_e32 v2, 0
	v_mov_b32_e32 v4, 0
	v_add_nc_u32_e32 v129, 16, v131
	s_mov_b32 s5, 0
	.p2align	6
.LBB123_89:                             ; =>This Inner Loop Header: Depth=1
	s_clause 0x3
	buffer_load_dword v136, v129, s[0:3], 0 offen offset:8
	buffer_load_dword v137, v129, s[0:3], 0 offen offset:12
	buffer_load_dword v138, v129, s[0:3], 0 offen
	buffer_load_dword v139, v129, s[0:3], 0 offen offset:4
	ds_read_b128 v[132:135], v8
	v_add_nc_u32_e32 v7, 1, v7
	v_add_nc_u32_e32 v8, 16, v8
	;; [unrolled: 1-line block ×3, first 2 shown]
	v_cmp_lt_u32_e32 vcc_lo, 17, v7
	s_or_b32 s5, vcc_lo, s5
	s_waitcnt vmcnt(2) lgkmcnt(0)
	v_mul_f64 v[140:141], v[134:135], v[136:137]
	v_mul_f64 v[136:137], v[132:133], v[136:137]
	s_waitcnt vmcnt(0)
	v_fma_f64 v[132:133], v[132:133], v[138:139], -v[140:141]
	v_fma_f64 v[134:135], v[134:135], v[138:139], v[136:137]
	v_add_f64 v[3:4], v[3:4], v[132:133]
	v_add_f64 v[1:2], v[1:2], v[134:135]
	s_andn2_b32 exec_lo, exec_lo, s5
	s_cbranch_execnz .LBB123_89
; %bb.90:
	s_or_b32 exec_lo, exec_lo, s5
	v_mov_b32_e32 v7, 0
	ds_read_b128 v[132:135], v7 offset:304
	s_waitcnt lgkmcnt(0)
	v_mul_f64 v[7:8], v[1:2], v[134:135]
	v_mul_f64 v[129:130], v[3:4], v[134:135]
	v_fma_f64 v[3:4], v[3:4], v[132:133], -v[7:8]
	v_fma_f64 v[1:2], v[1:2], v[132:133], v[129:130]
	buffer_store_dword v4, off, s[0:3], 0 offset:324
	buffer_store_dword v3, off, s[0:3], 0 offset:320
	;; [unrolled: 1-line block ×4, first 2 shown]
.LBB123_91:
	s_or_b32 exec_lo, exec_lo, s4
	v_mov_b32_e32 v4, s52
	s_waitcnt_vscnt null, 0x0
	s_barrier
	buffer_gl0_inv
	s_mov_b32 s4, exec_lo
	s_clause 0x3
	buffer_load_dword v1, v4, s[0:3], 0 offen
	buffer_load_dword v2, v4, s[0:3], 0 offen offset:4
	buffer_load_dword v3, v4, s[0:3], 0 offen offset:8
	;; [unrolled: 1-line block ×3, first 2 shown]
	s_waitcnt vmcnt(0)
	ds_write_b128 v5, v[1:4]
	s_waitcnt lgkmcnt(0)
	s_barrier
	buffer_gl0_inv
	v_cmpx_gt_u32_e32 20, v0
	s_cbranch_execz .LBB123_95
; %bb.92:
	v_mov_b32_e32 v1, 0
	v_mov_b32_e32 v3, 0
	v_add_nc_u32_e32 v7, -1, v0
	v_add_nc_u32_e32 v8, 0x3c0, v131
	v_mov_b32_e32 v2, 0
	v_mov_b32_e32 v4, 0
	v_add_nc_u32_e32 v129, 16, v131
	s_mov_b32 s5, 0
	.p2align	6
.LBB123_93:                             ; =>This Inner Loop Header: Depth=1
	s_clause 0x3
	buffer_load_dword v136, v129, s[0:3], 0 offen offset:8
	buffer_load_dword v137, v129, s[0:3], 0 offen offset:12
	buffer_load_dword v138, v129, s[0:3], 0 offen
	buffer_load_dword v139, v129, s[0:3], 0 offen offset:4
	ds_read_b128 v[132:135], v8
	v_add_nc_u32_e32 v7, 1, v7
	v_add_nc_u32_e32 v8, 16, v8
	;; [unrolled: 1-line block ×3, first 2 shown]
	v_cmp_lt_u32_e32 vcc_lo, 18, v7
	s_or_b32 s5, vcc_lo, s5
	s_waitcnt vmcnt(2) lgkmcnt(0)
	v_mul_f64 v[140:141], v[134:135], v[136:137]
	v_mul_f64 v[136:137], v[132:133], v[136:137]
	s_waitcnt vmcnt(0)
	v_fma_f64 v[132:133], v[132:133], v[138:139], -v[140:141]
	v_fma_f64 v[134:135], v[134:135], v[138:139], v[136:137]
	v_add_f64 v[3:4], v[3:4], v[132:133]
	v_add_f64 v[1:2], v[1:2], v[134:135]
	s_andn2_b32 exec_lo, exec_lo, s5
	s_cbranch_execnz .LBB123_93
; %bb.94:
	s_or_b32 exec_lo, exec_lo, s5
	v_mov_b32_e32 v7, 0
	ds_read_b128 v[132:135], v7 offset:320
	s_waitcnt lgkmcnt(0)
	v_mul_f64 v[7:8], v[1:2], v[134:135]
	v_mul_f64 v[129:130], v[3:4], v[134:135]
	v_fma_f64 v[3:4], v[3:4], v[132:133], -v[7:8]
	v_fma_f64 v[1:2], v[1:2], v[132:133], v[129:130]
	buffer_store_dword v4, off, s[0:3], 0 offset:340
	buffer_store_dword v3, off, s[0:3], 0 offset:336
	;; [unrolled: 1-line block ×4, first 2 shown]
.LBB123_95:
	s_or_b32 exec_lo, exec_lo, s4
	v_mov_b32_e32 v4, s51
	s_waitcnt_vscnt null, 0x0
	s_barrier
	buffer_gl0_inv
	s_mov_b32 s4, exec_lo
	s_clause 0x3
	buffer_load_dword v1, v4, s[0:3], 0 offen
	buffer_load_dword v2, v4, s[0:3], 0 offen offset:4
	buffer_load_dword v3, v4, s[0:3], 0 offen offset:8
	;; [unrolled: 1-line block ×3, first 2 shown]
	s_waitcnt vmcnt(0)
	ds_write_b128 v5, v[1:4]
	s_waitcnt lgkmcnt(0)
	s_barrier
	buffer_gl0_inv
	v_cmpx_gt_u32_e32 21, v0
	s_cbranch_execz .LBB123_99
; %bb.96:
	v_mov_b32_e32 v1, 0
	v_mov_b32_e32 v3, 0
	v_add_nc_u32_e32 v7, -1, v0
	v_add_nc_u32_e32 v8, 0x3c0, v131
	v_mov_b32_e32 v2, 0
	v_mov_b32_e32 v4, 0
	v_add_nc_u32_e32 v129, 16, v131
	s_mov_b32 s5, 0
	.p2align	6
.LBB123_97:                             ; =>This Inner Loop Header: Depth=1
	s_clause 0x3
	buffer_load_dword v136, v129, s[0:3], 0 offen offset:8
	buffer_load_dword v137, v129, s[0:3], 0 offen offset:12
	buffer_load_dword v138, v129, s[0:3], 0 offen
	buffer_load_dword v139, v129, s[0:3], 0 offen offset:4
	ds_read_b128 v[132:135], v8
	v_add_nc_u32_e32 v7, 1, v7
	v_add_nc_u32_e32 v8, 16, v8
	;; [unrolled: 1-line block ×3, first 2 shown]
	v_cmp_lt_u32_e32 vcc_lo, 19, v7
	s_or_b32 s5, vcc_lo, s5
	s_waitcnt vmcnt(2) lgkmcnt(0)
	v_mul_f64 v[140:141], v[134:135], v[136:137]
	v_mul_f64 v[136:137], v[132:133], v[136:137]
	s_waitcnt vmcnt(0)
	v_fma_f64 v[132:133], v[132:133], v[138:139], -v[140:141]
	v_fma_f64 v[134:135], v[134:135], v[138:139], v[136:137]
	v_add_f64 v[3:4], v[3:4], v[132:133]
	v_add_f64 v[1:2], v[1:2], v[134:135]
	s_andn2_b32 exec_lo, exec_lo, s5
	s_cbranch_execnz .LBB123_97
; %bb.98:
	s_or_b32 exec_lo, exec_lo, s5
	v_mov_b32_e32 v7, 0
	ds_read_b128 v[132:135], v7 offset:336
	s_waitcnt lgkmcnt(0)
	v_mul_f64 v[7:8], v[1:2], v[134:135]
	v_mul_f64 v[129:130], v[3:4], v[134:135]
	v_fma_f64 v[3:4], v[3:4], v[132:133], -v[7:8]
	v_fma_f64 v[1:2], v[1:2], v[132:133], v[129:130]
	buffer_store_dword v4, off, s[0:3], 0 offset:356
	buffer_store_dword v3, off, s[0:3], 0 offset:352
	;; [unrolled: 1-line block ×4, first 2 shown]
.LBB123_99:
	s_or_b32 exec_lo, exec_lo, s4
	v_mov_b32_e32 v4, s50
	s_waitcnt_vscnt null, 0x0
	s_barrier
	buffer_gl0_inv
	s_mov_b32 s4, exec_lo
	s_clause 0x3
	buffer_load_dword v1, v4, s[0:3], 0 offen
	buffer_load_dword v2, v4, s[0:3], 0 offen offset:4
	buffer_load_dword v3, v4, s[0:3], 0 offen offset:8
	;; [unrolled: 1-line block ×3, first 2 shown]
	s_waitcnt vmcnt(0)
	ds_write_b128 v5, v[1:4]
	s_waitcnt lgkmcnt(0)
	s_barrier
	buffer_gl0_inv
	v_cmpx_gt_u32_e32 22, v0
	s_cbranch_execz .LBB123_103
; %bb.100:
	v_mov_b32_e32 v1, 0
	v_mov_b32_e32 v3, 0
	v_add_nc_u32_e32 v7, -1, v0
	v_add_nc_u32_e32 v8, 0x3c0, v131
	v_mov_b32_e32 v2, 0
	v_mov_b32_e32 v4, 0
	v_add_nc_u32_e32 v129, 16, v131
	s_mov_b32 s5, 0
	.p2align	6
.LBB123_101:                            ; =>This Inner Loop Header: Depth=1
	s_clause 0x3
	buffer_load_dword v136, v129, s[0:3], 0 offen offset:8
	buffer_load_dword v137, v129, s[0:3], 0 offen offset:12
	buffer_load_dword v138, v129, s[0:3], 0 offen
	buffer_load_dword v139, v129, s[0:3], 0 offen offset:4
	ds_read_b128 v[132:135], v8
	v_add_nc_u32_e32 v7, 1, v7
	v_add_nc_u32_e32 v8, 16, v8
	;; [unrolled: 1-line block ×3, first 2 shown]
	v_cmp_lt_u32_e32 vcc_lo, 20, v7
	s_or_b32 s5, vcc_lo, s5
	s_waitcnt vmcnt(2) lgkmcnt(0)
	v_mul_f64 v[140:141], v[134:135], v[136:137]
	v_mul_f64 v[136:137], v[132:133], v[136:137]
	s_waitcnt vmcnt(0)
	v_fma_f64 v[132:133], v[132:133], v[138:139], -v[140:141]
	v_fma_f64 v[134:135], v[134:135], v[138:139], v[136:137]
	v_add_f64 v[3:4], v[3:4], v[132:133]
	v_add_f64 v[1:2], v[1:2], v[134:135]
	s_andn2_b32 exec_lo, exec_lo, s5
	s_cbranch_execnz .LBB123_101
; %bb.102:
	s_or_b32 exec_lo, exec_lo, s5
	v_mov_b32_e32 v7, 0
	ds_read_b128 v[132:135], v7 offset:352
	s_waitcnt lgkmcnt(0)
	v_mul_f64 v[7:8], v[1:2], v[134:135]
	v_mul_f64 v[129:130], v[3:4], v[134:135]
	v_fma_f64 v[3:4], v[3:4], v[132:133], -v[7:8]
	v_fma_f64 v[1:2], v[1:2], v[132:133], v[129:130]
	buffer_store_dword v4, off, s[0:3], 0 offset:372
	buffer_store_dword v3, off, s[0:3], 0 offset:368
	;; [unrolled: 1-line block ×4, first 2 shown]
.LBB123_103:
	s_or_b32 exec_lo, exec_lo, s4
	v_mov_b32_e32 v4, s49
	s_waitcnt_vscnt null, 0x0
	s_barrier
	buffer_gl0_inv
	s_mov_b32 s4, exec_lo
	s_clause 0x3
	buffer_load_dword v1, v4, s[0:3], 0 offen
	buffer_load_dword v2, v4, s[0:3], 0 offen offset:4
	buffer_load_dword v3, v4, s[0:3], 0 offen offset:8
	;; [unrolled: 1-line block ×3, first 2 shown]
	s_waitcnt vmcnt(0)
	ds_write_b128 v5, v[1:4]
	s_waitcnt lgkmcnt(0)
	s_barrier
	buffer_gl0_inv
	v_cmpx_gt_u32_e32 23, v0
	s_cbranch_execz .LBB123_107
; %bb.104:
	v_mov_b32_e32 v1, 0
	v_mov_b32_e32 v3, 0
	v_add_nc_u32_e32 v7, -1, v0
	v_add_nc_u32_e32 v8, 0x3c0, v131
	v_mov_b32_e32 v2, 0
	v_mov_b32_e32 v4, 0
	v_add_nc_u32_e32 v129, 16, v131
	s_mov_b32 s5, 0
	.p2align	6
.LBB123_105:                            ; =>This Inner Loop Header: Depth=1
	s_clause 0x3
	buffer_load_dword v136, v129, s[0:3], 0 offen offset:8
	buffer_load_dword v137, v129, s[0:3], 0 offen offset:12
	buffer_load_dword v138, v129, s[0:3], 0 offen
	buffer_load_dword v139, v129, s[0:3], 0 offen offset:4
	ds_read_b128 v[132:135], v8
	v_add_nc_u32_e32 v7, 1, v7
	v_add_nc_u32_e32 v8, 16, v8
	;; [unrolled: 1-line block ×3, first 2 shown]
	v_cmp_lt_u32_e32 vcc_lo, 21, v7
	s_or_b32 s5, vcc_lo, s5
	s_waitcnt vmcnt(2) lgkmcnt(0)
	v_mul_f64 v[140:141], v[134:135], v[136:137]
	v_mul_f64 v[136:137], v[132:133], v[136:137]
	s_waitcnt vmcnt(0)
	v_fma_f64 v[132:133], v[132:133], v[138:139], -v[140:141]
	v_fma_f64 v[134:135], v[134:135], v[138:139], v[136:137]
	v_add_f64 v[3:4], v[3:4], v[132:133]
	v_add_f64 v[1:2], v[1:2], v[134:135]
	s_andn2_b32 exec_lo, exec_lo, s5
	s_cbranch_execnz .LBB123_105
; %bb.106:
	s_or_b32 exec_lo, exec_lo, s5
	v_mov_b32_e32 v7, 0
	ds_read_b128 v[132:135], v7 offset:368
	s_waitcnt lgkmcnt(0)
	v_mul_f64 v[7:8], v[1:2], v[134:135]
	v_mul_f64 v[129:130], v[3:4], v[134:135]
	v_fma_f64 v[3:4], v[3:4], v[132:133], -v[7:8]
	v_fma_f64 v[1:2], v[1:2], v[132:133], v[129:130]
	buffer_store_dword v4, off, s[0:3], 0 offset:388
	buffer_store_dword v3, off, s[0:3], 0 offset:384
	;; [unrolled: 1-line block ×4, first 2 shown]
.LBB123_107:
	s_or_b32 exec_lo, exec_lo, s4
	v_mov_b32_e32 v4, s48
	s_waitcnt_vscnt null, 0x0
	s_barrier
	buffer_gl0_inv
	s_mov_b32 s4, exec_lo
	s_clause 0x3
	buffer_load_dword v1, v4, s[0:3], 0 offen
	buffer_load_dword v2, v4, s[0:3], 0 offen offset:4
	buffer_load_dword v3, v4, s[0:3], 0 offen offset:8
	;; [unrolled: 1-line block ×3, first 2 shown]
	s_waitcnt vmcnt(0)
	ds_write_b128 v5, v[1:4]
	s_waitcnt lgkmcnt(0)
	s_barrier
	buffer_gl0_inv
	v_cmpx_gt_u32_e32 24, v0
	s_cbranch_execz .LBB123_111
; %bb.108:
	v_mov_b32_e32 v1, 0
	v_mov_b32_e32 v3, 0
	v_add_nc_u32_e32 v7, -1, v0
	v_add_nc_u32_e32 v8, 0x3c0, v131
	v_mov_b32_e32 v2, 0
	v_mov_b32_e32 v4, 0
	v_add_nc_u32_e32 v129, 16, v131
	s_mov_b32 s5, 0
	.p2align	6
.LBB123_109:                            ; =>This Inner Loop Header: Depth=1
	s_clause 0x3
	buffer_load_dword v136, v129, s[0:3], 0 offen offset:8
	buffer_load_dword v137, v129, s[0:3], 0 offen offset:12
	buffer_load_dword v138, v129, s[0:3], 0 offen
	buffer_load_dword v139, v129, s[0:3], 0 offen offset:4
	ds_read_b128 v[132:135], v8
	v_add_nc_u32_e32 v7, 1, v7
	v_add_nc_u32_e32 v8, 16, v8
	;; [unrolled: 1-line block ×3, first 2 shown]
	v_cmp_lt_u32_e32 vcc_lo, 22, v7
	s_or_b32 s5, vcc_lo, s5
	s_waitcnt vmcnt(2) lgkmcnt(0)
	v_mul_f64 v[140:141], v[134:135], v[136:137]
	v_mul_f64 v[136:137], v[132:133], v[136:137]
	s_waitcnt vmcnt(0)
	v_fma_f64 v[132:133], v[132:133], v[138:139], -v[140:141]
	v_fma_f64 v[134:135], v[134:135], v[138:139], v[136:137]
	v_add_f64 v[3:4], v[3:4], v[132:133]
	v_add_f64 v[1:2], v[1:2], v[134:135]
	s_andn2_b32 exec_lo, exec_lo, s5
	s_cbranch_execnz .LBB123_109
; %bb.110:
	s_or_b32 exec_lo, exec_lo, s5
	v_mov_b32_e32 v7, 0
	ds_read_b128 v[132:135], v7 offset:384
	s_waitcnt lgkmcnt(0)
	v_mul_f64 v[7:8], v[1:2], v[134:135]
	v_mul_f64 v[129:130], v[3:4], v[134:135]
	v_fma_f64 v[3:4], v[3:4], v[132:133], -v[7:8]
	v_fma_f64 v[1:2], v[1:2], v[132:133], v[129:130]
	buffer_store_dword v4, off, s[0:3], 0 offset:404
	buffer_store_dword v3, off, s[0:3], 0 offset:400
	;; [unrolled: 1-line block ×4, first 2 shown]
.LBB123_111:
	s_or_b32 exec_lo, exec_lo, s4
	v_mov_b32_e32 v4, s47
	s_waitcnt_vscnt null, 0x0
	s_barrier
	buffer_gl0_inv
	s_mov_b32 s4, exec_lo
	s_clause 0x3
	buffer_load_dword v1, v4, s[0:3], 0 offen
	buffer_load_dword v2, v4, s[0:3], 0 offen offset:4
	buffer_load_dword v3, v4, s[0:3], 0 offen offset:8
	;; [unrolled: 1-line block ×3, first 2 shown]
	s_waitcnt vmcnt(0)
	ds_write_b128 v5, v[1:4]
	s_waitcnt lgkmcnt(0)
	s_barrier
	buffer_gl0_inv
	v_cmpx_gt_u32_e32 25, v0
	s_cbranch_execz .LBB123_115
; %bb.112:
	v_mov_b32_e32 v1, 0
	v_mov_b32_e32 v3, 0
	v_add_nc_u32_e32 v7, -1, v0
	v_add_nc_u32_e32 v8, 0x3c0, v131
	v_mov_b32_e32 v2, 0
	v_mov_b32_e32 v4, 0
	v_add_nc_u32_e32 v129, 16, v131
	s_mov_b32 s5, 0
	.p2align	6
.LBB123_113:                            ; =>This Inner Loop Header: Depth=1
	s_clause 0x3
	buffer_load_dword v136, v129, s[0:3], 0 offen offset:8
	buffer_load_dword v137, v129, s[0:3], 0 offen offset:12
	buffer_load_dword v138, v129, s[0:3], 0 offen
	buffer_load_dword v139, v129, s[0:3], 0 offen offset:4
	ds_read_b128 v[132:135], v8
	v_add_nc_u32_e32 v7, 1, v7
	v_add_nc_u32_e32 v8, 16, v8
	;; [unrolled: 1-line block ×3, first 2 shown]
	v_cmp_lt_u32_e32 vcc_lo, 23, v7
	s_or_b32 s5, vcc_lo, s5
	s_waitcnt vmcnt(2) lgkmcnt(0)
	v_mul_f64 v[140:141], v[134:135], v[136:137]
	v_mul_f64 v[136:137], v[132:133], v[136:137]
	s_waitcnt vmcnt(0)
	v_fma_f64 v[132:133], v[132:133], v[138:139], -v[140:141]
	v_fma_f64 v[134:135], v[134:135], v[138:139], v[136:137]
	v_add_f64 v[3:4], v[3:4], v[132:133]
	v_add_f64 v[1:2], v[1:2], v[134:135]
	s_andn2_b32 exec_lo, exec_lo, s5
	s_cbranch_execnz .LBB123_113
; %bb.114:
	s_or_b32 exec_lo, exec_lo, s5
	v_mov_b32_e32 v7, 0
	ds_read_b128 v[132:135], v7 offset:400
	s_waitcnt lgkmcnt(0)
	v_mul_f64 v[7:8], v[1:2], v[134:135]
	v_mul_f64 v[129:130], v[3:4], v[134:135]
	v_fma_f64 v[3:4], v[3:4], v[132:133], -v[7:8]
	v_fma_f64 v[1:2], v[1:2], v[132:133], v[129:130]
	buffer_store_dword v4, off, s[0:3], 0 offset:420
	buffer_store_dword v3, off, s[0:3], 0 offset:416
	;; [unrolled: 1-line block ×4, first 2 shown]
.LBB123_115:
	s_or_b32 exec_lo, exec_lo, s4
	v_mov_b32_e32 v4, s46
	s_waitcnt_vscnt null, 0x0
	s_barrier
	buffer_gl0_inv
	s_mov_b32 s4, exec_lo
	s_clause 0x3
	buffer_load_dword v1, v4, s[0:3], 0 offen
	buffer_load_dword v2, v4, s[0:3], 0 offen offset:4
	buffer_load_dword v3, v4, s[0:3], 0 offen offset:8
	;; [unrolled: 1-line block ×3, first 2 shown]
	s_waitcnt vmcnt(0)
	ds_write_b128 v5, v[1:4]
	s_waitcnt lgkmcnt(0)
	s_barrier
	buffer_gl0_inv
	v_cmpx_gt_u32_e32 26, v0
	s_cbranch_execz .LBB123_119
; %bb.116:
	v_mov_b32_e32 v1, 0
	v_mov_b32_e32 v3, 0
	v_add_nc_u32_e32 v7, -1, v0
	v_add_nc_u32_e32 v8, 0x3c0, v131
	v_mov_b32_e32 v2, 0
	v_mov_b32_e32 v4, 0
	v_add_nc_u32_e32 v129, 16, v131
	s_mov_b32 s5, 0
	.p2align	6
.LBB123_117:                            ; =>This Inner Loop Header: Depth=1
	s_clause 0x3
	buffer_load_dword v136, v129, s[0:3], 0 offen offset:8
	buffer_load_dword v137, v129, s[0:3], 0 offen offset:12
	buffer_load_dword v138, v129, s[0:3], 0 offen
	buffer_load_dword v139, v129, s[0:3], 0 offen offset:4
	ds_read_b128 v[132:135], v8
	v_add_nc_u32_e32 v7, 1, v7
	v_add_nc_u32_e32 v8, 16, v8
	v_add_nc_u32_e32 v129, 16, v129
	v_cmp_lt_u32_e32 vcc_lo, 24, v7
	s_or_b32 s5, vcc_lo, s5
	s_waitcnt vmcnt(2) lgkmcnt(0)
	v_mul_f64 v[140:141], v[134:135], v[136:137]
	v_mul_f64 v[136:137], v[132:133], v[136:137]
	s_waitcnt vmcnt(0)
	v_fma_f64 v[132:133], v[132:133], v[138:139], -v[140:141]
	v_fma_f64 v[134:135], v[134:135], v[138:139], v[136:137]
	v_add_f64 v[3:4], v[3:4], v[132:133]
	v_add_f64 v[1:2], v[1:2], v[134:135]
	s_andn2_b32 exec_lo, exec_lo, s5
	s_cbranch_execnz .LBB123_117
; %bb.118:
	s_or_b32 exec_lo, exec_lo, s5
	v_mov_b32_e32 v7, 0
	ds_read_b128 v[132:135], v7 offset:416
	s_waitcnt lgkmcnt(0)
	v_mul_f64 v[7:8], v[1:2], v[134:135]
	v_mul_f64 v[129:130], v[3:4], v[134:135]
	v_fma_f64 v[3:4], v[3:4], v[132:133], -v[7:8]
	v_fma_f64 v[1:2], v[1:2], v[132:133], v[129:130]
	buffer_store_dword v4, off, s[0:3], 0 offset:436
	buffer_store_dword v3, off, s[0:3], 0 offset:432
	;; [unrolled: 1-line block ×4, first 2 shown]
.LBB123_119:
	s_or_b32 exec_lo, exec_lo, s4
	v_mov_b32_e32 v4, s45
	s_waitcnt_vscnt null, 0x0
	s_barrier
	buffer_gl0_inv
	s_mov_b32 s4, exec_lo
	s_clause 0x3
	buffer_load_dword v1, v4, s[0:3], 0 offen
	buffer_load_dword v2, v4, s[0:3], 0 offen offset:4
	buffer_load_dword v3, v4, s[0:3], 0 offen offset:8
	;; [unrolled: 1-line block ×3, first 2 shown]
	s_waitcnt vmcnt(0)
	ds_write_b128 v5, v[1:4]
	s_waitcnt lgkmcnt(0)
	s_barrier
	buffer_gl0_inv
	v_cmpx_gt_u32_e32 27, v0
	s_cbranch_execz .LBB123_123
; %bb.120:
	v_mov_b32_e32 v1, 0
	v_mov_b32_e32 v3, 0
	v_add_nc_u32_e32 v7, -1, v0
	v_add_nc_u32_e32 v8, 0x3c0, v131
	v_mov_b32_e32 v2, 0
	v_mov_b32_e32 v4, 0
	v_add_nc_u32_e32 v129, 16, v131
	s_mov_b32 s5, 0
	.p2align	6
.LBB123_121:                            ; =>This Inner Loop Header: Depth=1
	s_clause 0x3
	buffer_load_dword v136, v129, s[0:3], 0 offen offset:8
	buffer_load_dword v137, v129, s[0:3], 0 offen offset:12
	buffer_load_dword v138, v129, s[0:3], 0 offen
	buffer_load_dword v139, v129, s[0:3], 0 offen offset:4
	ds_read_b128 v[132:135], v8
	v_add_nc_u32_e32 v7, 1, v7
	v_add_nc_u32_e32 v8, 16, v8
	;; [unrolled: 1-line block ×3, first 2 shown]
	v_cmp_lt_u32_e32 vcc_lo, 25, v7
	s_or_b32 s5, vcc_lo, s5
	s_waitcnt vmcnt(2) lgkmcnt(0)
	v_mul_f64 v[140:141], v[134:135], v[136:137]
	v_mul_f64 v[136:137], v[132:133], v[136:137]
	s_waitcnt vmcnt(0)
	v_fma_f64 v[132:133], v[132:133], v[138:139], -v[140:141]
	v_fma_f64 v[134:135], v[134:135], v[138:139], v[136:137]
	v_add_f64 v[3:4], v[3:4], v[132:133]
	v_add_f64 v[1:2], v[1:2], v[134:135]
	s_andn2_b32 exec_lo, exec_lo, s5
	s_cbranch_execnz .LBB123_121
; %bb.122:
	s_or_b32 exec_lo, exec_lo, s5
	v_mov_b32_e32 v7, 0
	ds_read_b128 v[132:135], v7 offset:432
	s_waitcnt lgkmcnt(0)
	v_mul_f64 v[7:8], v[1:2], v[134:135]
	v_mul_f64 v[129:130], v[3:4], v[134:135]
	v_fma_f64 v[3:4], v[3:4], v[132:133], -v[7:8]
	v_fma_f64 v[1:2], v[1:2], v[132:133], v[129:130]
	buffer_store_dword v4, off, s[0:3], 0 offset:452
	buffer_store_dword v3, off, s[0:3], 0 offset:448
	;; [unrolled: 1-line block ×4, first 2 shown]
.LBB123_123:
	s_or_b32 exec_lo, exec_lo, s4
	v_mov_b32_e32 v4, s44
	s_waitcnt_vscnt null, 0x0
	s_barrier
	buffer_gl0_inv
	s_mov_b32 s4, exec_lo
	s_clause 0x3
	buffer_load_dword v1, v4, s[0:3], 0 offen
	buffer_load_dword v2, v4, s[0:3], 0 offen offset:4
	buffer_load_dword v3, v4, s[0:3], 0 offen offset:8
	;; [unrolled: 1-line block ×3, first 2 shown]
	s_waitcnt vmcnt(0)
	ds_write_b128 v5, v[1:4]
	s_waitcnt lgkmcnt(0)
	s_barrier
	buffer_gl0_inv
	v_cmpx_gt_u32_e32 28, v0
	s_cbranch_execz .LBB123_127
; %bb.124:
	v_mov_b32_e32 v1, 0
	v_mov_b32_e32 v3, 0
	v_add_nc_u32_e32 v7, -1, v0
	v_add_nc_u32_e32 v8, 0x3c0, v131
	v_mov_b32_e32 v2, 0
	v_mov_b32_e32 v4, 0
	v_add_nc_u32_e32 v129, 16, v131
	s_mov_b32 s5, 0
	.p2align	6
.LBB123_125:                            ; =>This Inner Loop Header: Depth=1
	s_clause 0x3
	buffer_load_dword v136, v129, s[0:3], 0 offen offset:8
	buffer_load_dword v137, v129, s[0:3], 0 offen offset:12
	buffer_load_dword v138, v129, s[0:3], 0 offen
	buffer_load_dword v139, v129, s[0:3], 0 offen offset:4
	ds_read_b128 v[132:135], v8
	v_add_nc_u32_e32 v7, 1, v7
	v_add_nc_u32_e32 v8, 16, v8
	;; [unrolled: 1-line block ×3, first 2 shown]
	v_cmp_lt_u32_e32 vcc_lo, 26, v7
	s_or_b32 s5, vcc_lo, s5
	s_waitcnt vmcnt(2) lgkmcnt(0)
	v_mul_f64 v[140:141], v[134:135], v[136:137]
	v_mul_f64 v[136:137], v[132:133], v[136:137]
	s_waitcnt vmcnt(0)
	v_fma_f64 v[132:133], v[132:133], v[138:139], -v[140:141]
	v_fma_f64 v[134:135], v[134:135], v[138:139], v[136:137]
	v_add_f64 v[3:4], v[3:4], v[132:133]
	v_add_f64 v[1:2], v[1:2], v[134:135]
	s_andn2_b32 exec_lo, exec_lo, s5
	s_cbranch_execnz .LBB123_125
; %bb.126:
	s_or_b32 exec_lo, exec_lo, s5
	v_mov_b32_e32 v7, 0
	ds_read_b128 v[132:135], v7 offset:448
	s_waitcnt lgkmcnt(0)
	v_mul_f64 v[7:8], v[1:2], v[134:135]
	v_mul_f64 v[129:130], v[3:4], v[134:135]
	v_fma_f64 v[3:4], v[3:4], v[132:133], -v[7:8]
	v_fma_f64 v[1:2], v[1:2], v[132:133], v[129:130]
	buffer_store_dword v4, off, s[0:3], 0 offset:468
	buffer_store_dword v3, off, s[0:3], 0 offset:464
	;; [unrolled: 1-line block ×4, first 2 shown]
.LBB123_127:
	s_or_b32 exec_lo, exec_lo, s4
	v_mov_b32_e32 v4, s43
	s_waitcnt_vscnt null, 0x0
	s_barrier
	buffer_gl0_inv
	s_mov_b32 s4, exec_lo
	s_clause 0x3
	buffer_load_dword v1, v4, s[0:3], 0 offen
	buffer_load_dword v2, v4, s[0:3], 0 offen offset:4
	buffer_load_dword v3, v4, s[0:3], 0 offen offset:8
	buffer_load_dword v4, v4, s[0:3], 0 offen offset:12
	s_waitcnt vmcnt(0)
	ds_write_b128 v5, v[1:4]
	s_waitcnt lgkmcnt(0)
	s_barrier
	buffer_gl0_inv
	v_cmpx_gt_u32_e32 29, v0
	s_cbranch_execz .LBB123_131
; %bb.128:
	v_mov_b32_e32 v1, 0
	v_mov_b32_e32 v3, 0
	v_add_nc_u32_e32 v7, -1, v0
	v_add_nc_u32_e32 v8, 0x3c0, v131
	v_mov_b32_e32 v2, 0
	v_mov_b32_e32 v4, 0
	v_add_nc_u32_e32 v129, 16, v131
	s_mov_b32 s5, 0
	.p2align	6
.LBB123_129:                            ; =>This Inner Loop Header: Depth=1
	s_clause 0x3
	buffer_load_dword v136, v129, s[0:3], 0 offen offset:8
	buffer_load_dword v137, v129, s[0:3], 0 offen offset:12
	buffer_load_dword v138, v129, s[0:3], 0 offen
	buffer_load_dword v139, v129, s[0:3], 0 offen offset:4
	ds_read_b128 v[132:135], v8
	v_add_nc_u32_e32 v7, 1, v7
	v_add_nc_u32_e32 v8, 16, v8
	v_add_nc_u32_e32 v129, 16, v129
	v_cmp_lt_u32_e32 vcc_lo, 27, v7
	s_or_b32 s5, vcc_lo, s5
	s_waitcnt vmcnt(2) lgkmcnt(0)
	v_mul_f64 v[140:141], v[134:135], v[136:137]
	v_mul_f64 v[136:137], v[132:133], v[136:137]
	s_waitcnt vmcnt(0)
	v_fma_f64 v[132:133], v[132:133], v[138:139], -v[140:141]
	v_fma_f64 v[134:135], v[134:135], v[138:139], v[136:137]
	v_add_f64 v[3:4], v[3:4], v[132:133]
	v_add_f64 v[1:2], v[1:2], v[134:135]
	s_andn2_b32 exec_lo, exec_lo, s5
	s_cbranch_execnz .LBB123_129
; %bb.130:
	s_or_b32 exec_lo, exec_lo, s5
	v_mov_b32_e32 v7, 0
	ds_read_b128 v[132:135], v7 offset:464
	s_waitcnt lgkmcnt(0)
	v_mul_f64 v[7:8], v[1:2], v[134:135]
	v_mul_f64 v[129:130], v[3:4], v[134:135]
	v_fma_f64 v[3:4], v[3:4], v[132:133], -v[7:8]
	v_fma_f64 v[1:2], v[1:2], v[132:133], v[129:130]
	buffer_store_dword v4, off, s[0:3], 0 offset:484
	buffer_store_dword v3, off, s[0:3], 0 offset:480
	;; [unrolled: 1-line block ×4, first 2 shown]
.LBB123_131:
	s_or_b32 exec_lo, exec_lo, s4
	v_mov_b32_e32 v4, s42
	s_waitcnt_vscnt null, 0x0
	s_barrier
	buffer_gl0_inv
	s_mov_b32 s4, exec_lo
	s_clause 0x3
	buffer_load_dword v1, v4, s[0:3], 0 offen
	buffer_load_dword v2, v4, s[0:3], 0 offen offset:4
	buffer_load_dword v3, v4, s[0:3], 0 offen offset:8
	;; [unrolled: 1-line block ×3, first 2 shown]
	s_waitcnt vmcnt(0)
	ds_write_b128 v5, v[1:4]
	s_waitcnt lgkmcnt(0)
	s_barrier
	buffer_gl0_inv
	v_cmpx_gt_u32_e32 30, v0
	s_cbranch_execz .LBB123_135
; %bb.132:
	v_mov_b32_e32 v1, 0
	v_mov_b32_e32 v3, 0
	v_add_nc_u32_e32 v7, -1, v0
	v_add_nc_u32_e32 v8, 0x3c0, v131
	v_mov_b32_e32 v2, 0
	v_mov_b32_e32 v4, 0
	v_add_nc_u32_e32 v129, 16, v131
	s_mov_b32 s5, 0
	.p2align	6
.LBB123_133:                            ; =>This Inner Loop Header: Depth=1
	s_clause 0x3
	buffer_load_dword v136, v129, s[0:3], 0 offen offset:8
	buffer_load_dword v137, v129, s[0:3], 0 offen offset:12
	buffer_load_dword v138, v129, s[0:3], 0 offen
	buffer_load_dword v139, v129, s[0:3], 0 offen offset:4
	ds_read_b128 v[132:135], v8
	v_add_nc_u32_e32 v7, 1, v7
	v_add_nc_u32_e32 v8, 16, v8
	;; [unrolled: 1-line block ×3, first 2 shown]
	v_cmp_lt_u32_e32 vcc_lo, 28, v7
	s_or_b32 s5, vcc_lo, s5
	s_waitcnt vmcnt(2) lgkmcnt(0)
	v_mul_f64 v[140:141], v[134:135], v[136:137]
	v_mul_f64 v[136:137], v[132:133], v[136:137]
	s_waitcnt vmcnt(0)
	v_fma_f64 v[132:133], v[132:133], v[138:139], -v[140:141]
	v_fma_f64 v[134:135], v[134:135], v[138:139], v[136:137]
	v_add_f64 v[3:4], v[3:4], v[132:133]
	v_add_f64 v[1:2], v[1:2], v[134:135]
	s_andn2_b32 exec_lo, exec_lo, s5
	s_cbranch_execnz .LBB123_133
; %bb.134:
	s_or_b32 exec_lo, exec_lo, s5
	v_mov_b32_e32 v7, 0
	ds_read_b128 v[132:135], v7 offset:480
	s_waitcnt lgkmcnt(0)
	v_mul_f64 v[7:8], v[1:2], v[134:135]
	v_mul_f64 v[129:130], v[3:4], v[134:135]
	v_fma_f64 v[3:4], v[3:4], v[132:133], -v[7:8]
	v_fma_f64 v[1:2], v[1:2], v[132:133], v[129:130]
	buffer_store_dword v4, off, s[0:3], 0 offset:500
	buffer_store_dword v3, off, s[0:3], 0 offset:496
	;; [unrolled: 1-line block ×4, first 2 shown]
.LBB123_135:
	s_or_b32 exec_lo, exec_lo, s4
	v_mov_b32_e32 v4, s41
	s_waitcnt_vscnt null, 0x0
	s_barrier
	buffer_gl0_inv
	s_mov_b32 s4, exec_lo
	s_clause 0x3
	buffer_load_dword v1, v4, s[0:3], 0 offen
	buffer_load_dword v2, v4, s[0:3], 0 offen offset:4
	buffer_load_dword v3, v4, s[0:3], 0 offen offset:8
	;; [unrolled: 1-line block ×3, first 2 shown]
	s_waitcnt vmcnt(0)
	ds_write_b128 v5, v[1:4]
	s_waitcnt lgkmcnt(0)
	s_barrier
	buffer_gl0_inv
	v_cmpx_gt_u32_e32 31, v0
	s_cbranch_execz .LBB123_139
; %bb.136:
	v_mov_b32_e32 v1, 0
	v_mov_b32_e32 v3, 0
	v_add_nc_u32_e32 v7, -1, v0
	v_add_nc_u32_e32 v8, 0x3c0, v131
	v_mov_b32_e32 v2, 0
	v_mov_b32_e32 v4, 0
	v_add_nc_u32_e32 v129, 16, v131
	s_mov_b32 s5, 0
	.p2align	6
.LBB123_137:                            ; =>This Inner Loop Header: Depth=1
	s_clause 0x3
	buffer_load_dword v136, v129, s[0:3], 0 offen offset:8
	buffer_load_dword v137, v129, s[0:3], 0 offen offset:12
	buffer_load_dword v138, v129, s[0:3], 0 offen
	buffer_load_dword v139, v129, s[0:3], 0 offen offset:4
	ds_read_b128 v[132:135], v8
	v_add_nc_u32_e32 v7, 1, v7
	v_add_nc_u32_e32 v8, 16, v8
	;; [unrolled: 1-line block ×3, first 2 shown]
	v_cmp_lt_u32_e32 vcc_lo, 29, v7
	s_or_b32 s5, vcc_lo, s5
	s_waitcnt vmcnt(2) lgkmcnt(0)
	v_mul_f64 v[140:141], v[134:135], v[136:137]
	v_mul_f64 v[136:137], v[132:133], v[136:137]
	s_waitcnt vmcnt(0)
	v_fma_f64 v[132:133], v[132:133], v[138:139], -v[140:141]
	v_fma_f64 v[134:135], v[134:135], v[138:139], v[136:137]
	v_add_f64 v[3:4], v[3:4], v[132:133]
	v_add_f64 v[1:2], v[1:2], v[134:135]
	s_andn2_b32 exec_lo, exec_lo, s5
	s_cbranch_execnz .LBB123_137
; %bb.138:
	s_or_b32 exec_lo, exec_lo, s5
	v_mov_b32_e32 v7, 0
	ds_read_b128 v[132:135], v7 offset:496
	s_waitcnt lgkmcnt(0)
	v_mul_f64 v[7:8], v[1:2], v[134:135]
	v_mul_f64 v[129:130], v[3:4], v[134:135]
	v_fma_f64 v[3:4], v[3:4], v[132:133], -v[7:8]
	v_fma_f64 v[1:2], v[1:2], v[132:133], v[129:130]
	buffer_store_dword v4, off, s[0:3], 0 offset:516
	buffer_store_dword v3, off, s[0:3], 0 offset:512
	;; [unrolled: 1-line block ×4, first 2 shown]
.LBB123_139:
	s_or_b32 exec_lo, exec_lo, s4
	v_mov_b32_e32 v4, s40
	s_waitcnt_vscnt null, 0x0
	s_barrier
	buffer_gl0_inv
	s_mov_b32 s4, exec_lo
	s_clause 0x3
	buffer_load_dword v1, v4, s[0:3], 0 offen
	buffer_load_dword v2, v4, s[0:3], 0 offen offset:4
	buffer_load_dword v3, v4, s[0:3], 0 offen offset:8
	;; [unrolled: 1-line block ×3, first 2 shown]
	s_waitcnt vmcnt(0)
	ds_write_b128 v5, v[1:4]
	s_waitcnt lgkmcnt(0)
	s_barrier
	buffer_gl0_inv
	v_cmpx_gt_u32_e32 32, v0
	s_cbranch_execz .LBB123_143
; %bb.140:
	v_mov_b32_e32 v1, 0
	v_mov_b32_e32 v3, 0
	v_add_nc_u32_e32 v7, -1, v0
	v_add_nc_u32_e32 v8, 0x3c0, v131
	v_mov_b32_e32 v2, 0
	v_mov_b32_e32 v4, 0
	v_add_nc_u32_e32 v129, 16, v131
	s_mov_b32 s5, 0
	.p2align	6
.LBB123_141:                            ; =>This Inner Loop Header: Depth=1
	s_clause 0x3
	buffer_load_dword v136, v129, s[0:3], 0 offen offset:8
	buffer_load_dword v137, v129, s[0:3], 0 offen offset:12
	buffer_load_dword v138, v129, s[0:3], 0 offen
	buffer_load_dword v139, v129, s[0:3], 0 offen offset:4
	ds_read_b128 v[132:135], v8
	v_add_nc_u32_e32 v7, 1, v7
	v_add_nc_u32_e32 v8, 16, v8
	;; [unrolled: 1-line block ×3, first 2 shown]
	v_cmp_lt_u32_e32 vcc_lo, 30, v7
	s_or_b32 s5, vcc_lo, s5
	s_waitcnt vmcnt(2) lgkmcnt(0)
	v_mul_f64 v[140:141], v[134:135], v[136:137]
	v_mul_f64 v[136:137], v[132:133], v[136:137]
	s_waitcnt vmcnt(0)
	v_fma_f64 v[132:133], v[132:133], v[138:139], -v[140:141]
	v_fma_f64 v[134:135], v[134:135], v[138:139], v[136:137]
	v_add_f64 v[3:4], v[3:4], v[132:133]
	v_add_f64 v[1:2], v[1:2], v[134:135]
	s_andn2_b32 exec_lo, exec_lo, s5
	s_cbranch_execnz .LBB123_141
; %bb.142:
	s_or_b32 exec_lo, exec_lo, s5
	v_mov_b32_e32 v7, 0
	ds_read_b128 v[132:135], v7 offset:512
	s_waitcnt lgkmcnt(0)
	v_mul_f64 v[7:8], v[1:2], v[134:135]
	v_mul_f64 v[129:130], v[3:4], v[134:135]
	v_fma_f64 v[3:4], v[3:4], v[132:133], -v[7:8]
	v_fma_f64 v[1:2], v[1:2], v[132:133], v[129:130]
	buffer_store_dword v4, off, s[0:3], 0 offset:532
	buffer_store_dword v3, off, s[0:3], 0 offset:528
	;; [unrolled: 1-line block ×4, first 2 shown]
.LBB123_143:
	s_or_b32 exec_lo, exec_lo, s4
	v_mov_b32_e32 v4, s39
	s_waitcnt_vscnt null, 0x0
	s_barrier
	buffer_gl0_inv
	s_mov_b32 s4, exec_lo
	s_clause 0x3
	buffer_load_dword v1, v4, s[0:3], 0 offen
	buffer_load_dword v2, v4, s[0:3], 0 offen offset:4
	buffer_load_dword v3, v4, s[0:3], 0 offen offset:8
	;; [unrolled: 1-line block ×3, first 2 shown]
	s_waitcnt vmcnt(0)
	ds_write_b128 v5, v[1:4]
	s_waitcnt lgkmcnt(0)
	s_barrier
	buffer_gl0_inv
	v_cmpx_gt_u32_e32 33, v0
	s_cbranch_execz .LBB123_147
; %bb.144:
	v_mov_b32_e32 v1, 0
	v_mov_b32_e32 v3, 0
	v_add_nc_u32_e32 v7, -1, v0
	v_add_nc_u32_e32 v8, 0x3c0, v131
	v_mov_b32_e32 v2, 0
	v_mov_b32_e32 v4, 0
	v_add_nc_u32_e32 v129, 16, v131
	s_mov_b32 s5, 0
	.p2align	6
.LBB123_145:                            ; =>This Inner Loop Header: Depth=1
	s_clause 0x3
	buffer_load_dword v136, v129, s[0:3], 0 offen offset:8
	buffer_load_dword v137, v129, s[0:3], 0 offen offset:12
	buffer_load_dword v138, v129, s[0:3], 0 offen
	buffer_load_dword v139, v129, s[0:3], 0 offen offset:4
	ds_read_b128 v[132:135], v8
	v_add_nc_u32_e32 v7, 1, v7
	v_add_nc_u32_e32 v8, 16, v8
	;; [unrolled: 1-line block ×3, first 2 shown]
	v_cmp_lt_u32_e32 vcc_lo, 31, v7
	s_or_b32 s5, vcc_lo, s5
	s_waitcnt vmcnt(2) lgkmcnt(0)
	v_mul_f64 v[140:141], v[134:135], v[136:137]
	v_mul_f64 v[136:137], v[132:133], v[136:137]
	s_waitcnt vmcnt(0)
	v_fma_f64 v[132:133], v[132:133], v[138:139], -v[140:141]
	v_fma_f64 v[134:135], v[134:135], v[138:139], v[136:137]
	v_add_f64 v[3:4], v[3:4], v[132:133]
	v_add_f64 v[1:2], v[1:2], v[134:135]
	s_andn2_b32 exec_lo, exec_lo, s5
	s_cbranch_execnz .LBB123_145
; %bb.146:
	s_or_b32 exec_lo, exec_lo, s5
	v_mov_b32_e32 v7, 0
	ds_read_b128 v[132:135], v7 offset:528
	s_waitcnt lgkmcnt(0)
	v_mul_f64 v[7:8], v[1:2], v[134:135]
	v_mul_f64 v[129:130], v[3:4], v[134:135]
	v_fma_f64 v[3:4], v[3:4], v[132:133], -v[7:8]
	v_fma_f64 v[1:2], v[1:2], v[132:133], v[129:130]
	buffer_store_dword v4, off, s[0:3], 0 offset:548
	buffer_store_dword v3, off, s[0:3], 0 offset:544
	;; [unrolled: 1-line block ×4, first 2 shown]
.LBB123_147:
	s_or_b32 exec_lo, exec_lo, s4
	v_mov_b32_e32 v4, s38
	s_waitcnt_vscnt null, 0x0
	s_barrier
	buffer_gl0_inv
	s_mov_b32 s4, exec_lo
	s_clause 0x3
	buffer_load_dword v1, v4, s[0:3], 0 offen
	buffer_load_dword v2, v4, s[0:3], 0 offen offset:4
	buffer_load_dword v3, v4, s[0:3], 0 offen offset:8
	;; [unrolled: 1-line block ×3, first 2 shown]
	s_waitcnt vmcnt(0)
	ds_write_b128 v5, v[1:4]
	s_waitcnt lgkmcnt(0)
	s_barrier
	buffer_gl0_inv
	v_cmpx_gt_u32_e32 34, v0
	s_cbranch_execz .LBB123_151
; %bb.148:
	v_mov_b32_e32 v1, 0
	v_mov_b32_e32 v3, 0
	v_add_nc_u32_e32 v7, -1, v0
	v_add_nc_u32_e32 v8, 0x3c0, v131
	v_mov_b32_e32 v2, 0
	v_mov_b32_e32 v4, 0
	v_add_nc_u32_e32 v129, 16, v131
	s_mov_b32 s5, 0
	.p2align	6
.LBB123_149:                            ; =>This Inner Loop Header: Depth=1
	s_clause 0x3
	buffer_load_dword v136, v129, s[0:3], 0 offen offset:8
	buffer_load_dword v137, v129, s[0:3], 0 offen offset:12
	buffer_load_dword v138, v129, s[0:3], 0 offen
	buffer_load_dword v139, v129, s[0:3], 0 offen offset:4
	ds_read_b128 v[132:135], v8
	v_add_nc_u32_e32 v7, 1, v7
	v_add_nc_u32_e32 v8, 16, v8
	;; [unrolled: 1-line block ×3, first 2 shown]
	v_cmp_lt_u32_e32 vcc_lo, 32, v7
	s_or_b32 s5, vcc_lo, s5
	s_waitcnt vmcnt(2) lgkmcnt(0)
	v_mul_f64 v[140:141], v[134:135], v[136:137]
	v_mul_f64 v[136:137], v[132:133], v[136:137]
	s_waitcnt vmcnt(0)
	v_fma_f64 v[132:133], v[132:133], v[138:139], -v[140:141]
	v_fma_f64 v[134:135], v[134:135], v[138:139], v[136:137]
	v_add_f64 v[3:4], v[3:4], v[132:133]
	v_add_f64 v[1:2], v[1:2], v[134:135]
	s_andn2_b32 exec_lo, exec_lo, s5
	s_cbranch_execnz .LBB123_149
; %bb.150:
	s_or_b32 exec_lo, exec_lo, s5
	v_mov_b32_e32 v7, 0
	ds_read_b128 v[132:135], v7 offset:544
	s_waitcnt lgkmcnt(0)
	v_mul_f64 v[7:8], v[1:2], v[134:135]
	v_mul_f64 v[129:130], v[3:4], v[134:135]
	v_fma_f64 v[3:4], v[3:4], v[132:133], -v[7:8]
	v_fma_f64 v[1:2], v[1:2], v[132:133], v[129:130]
	buffer_store_dword v4, off, s[0:3], 0 offset:564
	buffer_store_dword v3, off, s[0:3], 0 offset:560
	;; [unrolled: 1-line block ×4, first 2 shown]
.LBB123_151:
	s_or_b32 exec_lo, exec_lo, s4
	v_mov_b32_e32 v4, s37
	s_waitcnt_vscnt null, 0x0
	s_barrier
	buffer_gl0_inv
	s_mov_b32 s4, exec_lo
	s_clause 0x3
	buffer_load_dword v1, v4, s[0:3], 0 offen
	buffer_load_dword v2, v4, s[0:3], 0 offen offset:4
	buffer_load_dword v3, v4, s[0:3], 0 offen offset:8
	buffer_load_dword v4, v4, s[0:3], 0 offen offset:12
	s_waitcnt vmcnt(0)
	ds_write_b128 v5, v[1:4]
	s_waitcnt lgkmcnt(0)
	s_barrier
	buffer_gl0_inv
	v_cmpx_gt_u32_e32 35, v0
	s_cbranch_execz .LBB123_155
; %bb.152:
	v_mov_b32_e32 v1, 0
	v_mov_b32_e32 v3, 0
	v_add_nc_u32_e32 v7, -1, v0
	v_add_nc_u32_e32 v8, 0x3c0, v131
	v_mov_b32_e32 v2, 0
	v_mov_b32_e32 v4, 0
	v_add_nc_u32_e32 v129, 16, v131
	s_mov_b32 s5, 0
	.p2align	6
.LBB123_153:                            ; =>This Inner Loop Header: Depth=1
	s_clause 0x3
	buffer_load_dword v136, v129, s[0:3], 0 offen offset:8
	buffer_load_dword v137, v129, s[0:3], 0 offen offset:12
	buffer_load_dword v138, v129, s[0:3], 0 offen
	buffer_load_dword v139, v129, s[0:3], 0 offen offset:4
	ds_read_b128 v[132:135], v8
	v_add_nc_u32_e32 v7, 1, v7
	v_add_nc_u32_e32 v8, 16, v8
	;; [unrolled: 1-line block ×3, first 2 shown]
	v_cmp_lt_u32_e32 vcc_lo, 33, v7
	s_or_b32 s5, vcc_lo, s5
	s_waitcnt vmcnt(2) lgkmcnt(0)
	v_mul_f64 v[140:141], v[134:135], v[136:137]
	v_mul_f64 v[136:137], v[132:133], v[136:137]
	s_waitcnt vmcnt(0)
	v_fma_f64 v[132:133], v[132:133], v[138:139], -v[140:141]
	v_fma_f64 v[134:135], v[134:135], v[138:139], v[136:137]
	v_add_f64 v[3:4], v[3:4], v[132:133]
	v_add_f64 v[1:2], v[1:2], v[134:135]
	s_andn2_b32 exec_lo, exec_lo, s5
	s_cbranch_execnz .LBB123_153
; %bb.154:
	s_or_b32 exec_lo, exec_lo, s5
	v_mov_b32_e32 v7, 0
	ds_read_b128 v[132:135], v7 offset:560
	s_waitcnt lgkmcnt(0)
	v_mul_f64 v[7:8], v[1:2], v[134:135]
	v_mul_f64 v[129:130], v[3:4], v[134:135]
	v_fma_f64 v[3:4], v[3:4], v[132:133], -v[7:8]
	v_fma_f64 v[1:2], v[1:2], v[132:133], v[129:130]
	buffer_store_dword v4, off, s[0:3], 0 offset:580
	buffer_store_dword v3, off, s[0:3], 0 offset:576
	;; [unrolled: 1-line block ×4, first 2 shown]
.LBB123_155:
	s_or_b32 exec_lo, exec_lo, s4
	v_mov_b32_e32 v4, s36
	s_waitcnt_vscnt null, 0x0
	s_barrier
	buffer_gl0_inv
	s_mov_b32 s4, exec_lo
	s_clause 0x3
	buffer_load_dword v1, v4, s[0:3], 0 offen
	buffer_load_dword v2, v4, s[0:3], 0 offen offset:4
	buffer_load_dword v3, v4, s[0:3], 0 offen offset:8
	;; [unrolled: 1-line block ×3, first 2 shown]
	s_waitcnt vmcnt(0)
	ds_write_b128 v5, v[1:4]
	s_waitcnt lgkmcnt(0)
	s_barrier
	buffer_gl0_inv
	v_cmpx_gt_u32_e32 36, v0
	s_cbranch_execz .LBB123_159
; %bb.156:
	v_mov_b32_e32 v1, 0
	v_mov_b32_e32 v3, 0
	v_add_nc_u32_e32 v7, -1, v0
	v_add_nc_u32_e32 v8, 0x3c0, v131
	v_mov_b32_e32 v2, 0
	v_mov_b32_e32 v4, 0
	v_add_nc_u32_e32 v129, 16, v131
	s_mov_b32 s5, 0
	.p2align	6
.LBB123_157:                            ; =>This Inner Loop Header: Depth=1
	s_clause 0x3
	buffer_load_dword v136, v129, s[0:3], 0 offen offset:8
	buffer_load_dword v137, v129, s[0:3], 0 offen offset:12
	buffer_load_dword v138, v129, s[0:3], 0 offen
	buffer_load_dword v139, v129, s[0:3], 0 offen offset:4
	ds_read_b128 v[132:135], v8
	v_add_nc_u32_e32 v7, 1, v7
	v_add_nc_u32_e32 v8, 16, v8
	v_add_nc_u32_e32 v129, 16, v129
	v_cmp_lt_u32_e32 vcc_lo, 34, v7
	s_or_b32 s5, vcc_lo, s5
	s_waitcnt vmcnt(2) lgkmcnt(0)
	v_mul_f64 v[140:141], v[134:135], v[136:137]
	v_mul_f64 v[136:137], v[132:133], v[136:137]
	s_waitcnt vmcnt(0)
	v_fma_f64 v[132:133], v[132:133], v[138:139], -v[140:141]
	v_fma_f64 v[134:135], v[134:135], v[138:139], v[136:137]
	v_add_f64 v[3:4], v[3:4], v[132:133]
	v_add_f64 v[1:2], v[1:2], v[134:135]
	s_andn2_b32 exec_lo, exec_lo, s5
	s_cbranch_execnz .LBB123_157
; %bb.158:
	s_or_b32 exec_lo, exec_lo, s5
	v_mov_b32_e32 v7, 0
	ds_read_b128 v[132:135], v7 offset:576
	s_waitcnt lgkmcnt(0)
	v_mul_f64 v[7:8], v[1:2], v[134:135]
	v_mul_f64 v[129:130], v[3:4], v[134:135]
	v_fma_f64 v[3:4], v[3:4], v[132:133], -v[7:8]
	v_fma_f64 v[1:2], v[1:2], v[132:133], v[129:130]
	buffer_store_dword v4, off, s[0:3], 0 offset:596
	buffer_store_dword v3, off, s[0:3], 0 offset:592
	;; [unrolled: 1-line block ×4, first 2 shown]
.LBB123_159:
	s_or_b32 exec_lo, exec_lo, s4
	v_mov_b32_e32 v4, s35
	s_waitcnt_vscnt null, 0x0
	s_barrier
	buffer_gl0_inv
	s_mov_b32 s4, exec_lo
	s_clause 0x3
	buffer_load_dword v1, v4, s[0:3], 0 offen
	buffer_load_dword v2, v4, s[0:3], 0 offen offset:4
	buffer_load_dword v3, v4, s[0:3], 0 offen offset:8
	buffer_load_dword v4, v4, s[0:3], 0 offen offset:12
	s_waitcnt vmcnt(0)
	ds_write_b128 v5, v[1:4]
	s_waitcnt lgkmcnt(0)
	s_barrier
	buffer_gl0_inv
	v_cmpx_gt_u32_e32 37, v0
	s_cbranch_execz .LBB123_163
; %bb.160:
	v_mov_b32_e32 v1, 0
	v_mov_b32_e32 v3, 0
	v_add_nc_u32_e32 v7, -1, v0
	v_add_nc_u32_e32 v8, 0x3c0, v131
	v_mov_b32_e32 v2, 0
	v_mov_b32_e32 v4, 0
	v_add_nc_u32_e32 v129, 16, v131
	s_mov_b32 s5, 0
	.p2align	6
.LBB123_161:                            ; =>This Inner Loop Header: Depth=1
	s_clause 0x3
	buffer_load_dword v136, v129, s[0:3], 0 offen offset:8
	buffer_load_dword v137, v129, s[0:3], 0 offen offset:12
	buffer_load_dword v138, v129, s[0:3], 0 offen
	buffer_load_dword v139, v129, s[0:3], 0 offen offset:4
	ds_read_b128 v[132:135], v8
	v_add_nc_u32_e32 v7, 1, v7
	v_add_nc_u32_e32 v8, 16, v8
	v_add_nc_u32_e32 v129, 16, v129
	v_cmp_lt_u32_e32 vcc_lo, 35, v7
	s_or_b32 s5, vcc_lo, s5
	s_waitcnt vmcnt(2) lgkmcnt(0)
	v_mul_f64 v[140:141], v[134:135], v[136:137]
	v_mul_f64 v[136:137], v[132:133], v[136:137]
	s_waitcnt vmcnt(0)
	v_fma_f64 v[132:133], v[132:133], v[138:139], -v[140:141]
	v_fma_f64 v[134:135], v[134:135], v[138:139], v[136:137]
	v_add_f64 v[3:4], v[3:4], v[132:133]
	v_add_f64 v[1:2], v[1:2], v[134:135]
	s_andn2_b32 exec_lo, exec_lo, s5
	s_cbranch_execnz .LBB123_161
; %bb.162:
	s_or_b32 exec_lo, exec_lo, s5
	v_mov_b32_e32 v7, 0
	ds_read_b128 v[132:135], v7 offset:592
	s_waitcnt lgkmcnt(0)
	v_mul_f64 v[7:8], v[1:2], v[134:135]
	v_mul_f64 v[129:130], v[3:4], v[134:135]
	v_fma_f64 v[3:4], v[3:4], v[132:133], -v[7:8]
	v_fma_f64 v[1:2], v[1:2], v[132:133], v[129:130]
	buffer_store_dword v4, off, s[0:3], 0 offset:612
	buffer_store_dword v3, off, s[0:3], 0 offset:608
	buffer_store_dword v2, off, s[0:3], 0 offset:620
	buffer_store_dword v1, off, s[0:3], 0 offset:616
.LBB123_163:
	s_or_b32 exec_lo, exec_lo, s4
	v_mov_b32_e32 v4, s34
	s_waitcnt_vscnt null, 0x0
	s_barrier
	buffer_gl0_inv
	s_mov_b32 s4, exec_lo
	s_clause 0x3
	buffer_load_dword v1, v4, s[0:3], 0 offen
	buffer_load_dword v2, v4, s[0:3], 0 offen offset:4
	buffer_load_dword v3, v4, s[0:3], 0 offen offset:8
	;; [unrolled: 1-line block ×3, first 2 shown]
	s_waitcnt vmcnt(0)
	ds_write_b128 v5, v[1:4]
	s_waitcnt lgkmcnt(0)
	s_barrier
	buffer_gl0_inv
	v_cmpx_gt_u32_e32 38, v0
	s_cbranch_execz .LBB123_167
; %bb.164:
	v_mov_b32_e32 v1, 0
	v_mov_b32_e32 v3, 0
	v_add_nc_u32_e32 v7, -1, v0
	v_add_nc_u32_e32 v8, 0x3c0, v131
	v_mov_b32_e32 v2, 0
	v_mov_b32_e32 v4, 0
	v_add_nc_u32_e32 v129, 16, v131
	s_mov_b32 s5, 0
	.p2align	6
.LBB123_165:                            ; =>This Inner Loop Header: Depth=1
	s_clause 0x3
	buffer_load_dword v136, v129, s[0:3], 0 offen offset:8
	buffer_load_dword v137, v129, s[0:3], 0 offen offset:12
	buffer_load_dword v138, v129, s[0:3], 0 offen
	buffer_load_dword v139, v129, s[0:3], 0 offen offset:4
	ds_read_b128 v[132:135], v8
	v_add_nc_u32_e32 v7, 1, v7
	v_add_nc_u32_e32 v8, 16, v8
	;; [unrolled: 1-line block ×3, first 2 shown]
	v_cmp_lt_u32_e32 vcc_lo, 36, v7
	s_or_b32 s5, vcc_lo, s5
	s_waitcnt vmcnt(2) lgkmcnt(0)
	v_mul_f64 v[140:141], v[134:135], v[136:137]
	v_mul_f64 v[136:137], v[132:133], v[136:137]
	s_waitcnt vmcnt(0)
	v_fma_f64 v[132:133], v[132:133], v[138:139], -v[140:141]
	v_fma_f64 v[134:135], v[134:135], v[138:139], v[136:137]
	v_add_f64 v[3:4], v[3:4], v[132:133]
	v_add_f64 v[1:2], v[1:2], v[134:135]
	s_andn2_b32 exec_lo, exec_lo, s5
	s_cbranch_execnz .LBB123_165
; %bb.166:
	s_or_b32 exec_lo, exec_lo, s5
	v_mov_b32_e32 v7, 0
	ds_read_b128 v[132:135], v7 offset:608
	s_waitcnt lgkmcnt(0)
	v_mul_f64 v[7:8], v[1:2], v[134:135]
	v_mul_f64 v[129:130], v[3:4], v[134:135]
	v_fma_f64 v[3:4], v[3:4], v[132:133], -v[7:8]
	v_fma_f64 v[1:2], v[1:2], v[132:133], v[129:130]
	buffer_store_dword v4, off, s[0:3], 0 offset:628
	buffer_store_dword v3, off, s[0:3], 0 offset:624
	buffer_store_dword v2, off, s[0:3], 0 offset:636
	buffer_store_dword v1, off, s[0:3], 0 offset:632
.LBB123_167:
	s_or_b32 exec_lo, exec_lo, s4
	v_mov_b32_e32 v4, s33
	s_waitcnt_vscnt null, 0x0
	s_barrier
	buffer_gl0_inv
	s_mov_b32 s4, exec_lo
	s_clause 0x3
	buffer_load_dword v1, v4, s[0:3], 0 offen
	buffer_load_dword v2, v4, s[0:3], 0 offen offset:4
	buffer_load_dword v3, v4, s[0:3], 0 offen offset:8
	;; [unrolled: 1-line block ×3, first 2 shown]
	s_waitcnt vmcnt(0)
	ds_write_b128 v5, v[1:4]
	s_waitcnt lgkmcnt(0)
	s_barrier
	buffer_gl0_inv
	v_cmpx_gt_u32_e32 39, v0
	s_cbranch_execz .LBB123_171
; %bb.168:
	v_mov_b32_e32 v1, 0
	v_mov_b32_e32 v3, 0
	v_add_nc_u32_e32 v7, -1, v0
	v_add_nc_u32_e32 v8, 0x3c0, v131
	v_mov_b32_e32 v2, 0
	v_mov_b32_e32 v4, 0
	v_add_nc_u32_e32 v129, 16, v131
	s_mov_b32 s5, 0
	.p2align	6
.LBB123_169:                            ; =>This Inner Loop Header: Depth=1
	s_clause 0x3
	buffer_load_dword v136, v129, s[0:3], 0 offen offset:8
	buffer_load_dword v137, v129, s[0:3], 0 offen offset:12
	buffer_load_dword v138, v129, s[0:3], 0 offen
	buffer_load_dword v139, v129, s[0:3], 0 offen offset:4
	ds_read_b128 v[132:135], v8
	v_add_nc_u32_e32 v7, 1, v7
	v_add_nc_u32_e32 v8, 16, v8
	;; [unrolled: 1-line block ×3, first 2 shown]
	v_cmp_lt_u32_e32 vcc_lo, 37, v7
	s_or_b32 s5, vcc_lo, s5
	s_waitcnt vmcnt(2) lgkmcnt(0)
	v_mul_f64 v[140:141], v[134:135], v[136:137]
	v_mul_f64 v[136:137], v[132:133], v[136:137]
	s_waitcnt vmcnt(0)
	v_fma_f64 v[132:133], v[132:133], v[138:139], -v[140:141]
	v_fma_f64 v[134:135], v[134:135], v[138:139], v[136:137]
	v_add_f64 v[3:4], v[3:4], v[132:133]
	v_add_f64 v[1:2], v[1:2], v[134:135]
	s_andn2_b32 exec_lo, exec_lo, s5
	s_cbranch_execnz .LBB123_169
; %bb.170:
	s_or_b32 exec_lo, exec_lo, s5
	v_mov_b32_e32 v7, 0
	ds_read_b128 v[132:135], v7 offset:624
	s_waitcnt lgkmcnt(0)
	v_mul_f64 v[7:8], v[1:2], v[134:135]
	v_mul_f64 v[129:130], v[3:4], v[134:135]
	v_fma_f64 v[3:4], v[3:4], v[132:133], -v[7:8]
	v_fma_f64 v[1:2], v[1:2], v[132:133], v[129:130]
	buffer_store_dword v4, off, s[0:3], 0 offset:644
	buffer_store_dword v3, off, s[0:3], 0 offset:640
	;; [unrolled: 1-line block ×4, first 2 shown]
.LBB123_171:
	s_or_b32 exec_lo, exec_lo, s4
	v_mov_b32_e32 v4, s31
	s_waitcnt_vscnt null, 0x0
	s_barrier
	buffer_gl0_inv
	s_mov_b32 s4, exec_lo
	s_clause 0x3
	buffer_load_dword v1, v4, s[0:3], 0 offen
	buffer_load_dword v2, v4, s[0:3], 0 offen offset:4
	buffer_load_dword v3, v4, s[0:3], 0 offen offset:8
	buffer_load_dword v4, v4, s[0:3], 0 offen offset:12
	s_waitcnt vmcnt(0)
	ds_write_b128 v5, v[1:4]
	s_waitcnt lgkmcnt(0)
	s_barrier
	buffer_gl0_inv
	v_cmpx_gt_u32_e32 40, v0
	s_cbranch_execz .LBB123_175
; %bb.172:
	v_mov_b32_e32 v1, 0
	v_mov_b32_e32 v3, 0
	v_add_nc_u32_e32 v7, -1, v0
	v_add_nc_u32_e32 v8, 0x3c0, v131
	v_mov_b32_e32 v2, 0
	v_mov_b32_e32 v4, 0
	v_add_nc_u32_e32 v129, 16, v131
	s_mov_b32 s5, 0
	.p2align	6
.LBB123_173:                            ; =>This Inner Loop Header: Depth=1
	s_clause 0x3
	buffer_load_dword v136, v129, s[0:3], 0 offen offset:8
	buffer_load_dword v137, v129, s[0:3], 0 offen offset:12
	buffer_load_dword v138, v129, s[0:3], 0 offen
	buffer_load_dword v139, v129, s[0:3], 0 offen offset:4
	ds_read_b128 v[132:135], v8
	v_add_nc_u32_e32 v7, 1, v7
	v_add_nc_u32_e32 v8, 16, v8
	;; [unrolled: 1-line block ×3, first 2 shown]
	v_cmp_lt_u32_e32 vcc_lo, 38, v7
	s_or_b32 s5, vcc_lo, s5
	s_waitcnt vmcnt(2) lgkmcnt(0)
	v_mul_f64 v[140:141], v[134:135], v[136:137]
	v_mul_f64 v[136:137], v[132:133], v[136:137]
	s_waitcnt vmcnt(0)
	v_fma_f64 v[132:133], v[132:133], v[138:139], -v[140:141]
	v_fma_f64 v[134:135], v[134:135], v[138:139], v[136:137]
	v_add_f64 v[3:4], v[3:4], v[132:133]
	v_add_f64 v[1:2], v[1:2], v[134:135]
	s_andn2_b32 exec_lo, exec_lo, s5
	s_cbranch_execnz .LBB123_173
; %bb.174:
	s_or_b32 exec_lo, exec_lo, s5
	v_mov_b32_e32 v7, 0
	ds_read_b128 v[132:135], v7 offset:640
	s_waitcnt lgkmcnt(0)
	v_mul_f64 v[7:8], v[1:2], v[134:135]
	v_mul_f64 v[129:130], v[3:4], v[134:135]
	v_fma_f64 v[3:4], v[3:4], v[132:133], -v[7:8]
	v_fma_f64 v[1:2], v[1:2], v[132:133], v[129:130]
	buffer_store_dword v4, off, s[0:3], 0 offset:660
	buffer_store_dword v3, off, s[0:3], 0 offset:656
	;; [unrolled: 1-line block ×4, first 2 shown]
.LBB123_175:
	s_or_b32 exec_lo, exec_lo, s4
	v_mov_b32_e32 v4, s30
	s_waitcnt_vscnt null, 0x0
	s_barrier
	buffer_gl0_inv
	s_mov_b32 s4, exec_lo
	s_clause 0x3
	buffer_load_dword v1, v4, s[0:3], 0 offen
	buffer_load_dword v2, v4, s[0:3], 0 offen offset:4
	buffer_load_dword v3, v4, s[0:3], 0 offen offset:8
	;; [unrolled: 1-line block ×3, first 2 shown]
	s_waitcnt vmcnt(0)
	ds_write_b128 v5, v[1:4]
	s_waitcnt lgkmcnt(0)
	s_barrier
	buffer_gl0_inv
	v_cmpx_gt_u32_e32 41, v0
	s_cbranch_execz .LBB123_179
; %bb.176:
	v_mov_b32_e32 v1, 0
	v_mov_b32_e32 v3, 0
	v_add_nc_u32_e32 v7, -1, v0
	v_add_nc_u32_e32 v8, 0x3c0, v131
	v_mov_b32_e32 v2, 0
	v_mov_b32_e32 v4, 0
	v_add_nc_u32_e32 v129, 16, v131
	s_mov_b32 s5, 0
	.p2align	6
.LBB123_177:                            ; =>This Inner Loop Header: Depth=1
	s_clause 0x3
	buffer_load_dword v136, v129, s[0:3], 0 offen offset:8
	buffer_load_dword v137, v129, s[0:3], 0 offen offset:12
	buffer_load_dword v138, v129, s[0:3], 0 offen
	buffer_load_dword v139, v129, s[0:3], 0 offen offset:4
	ds_read_b128 v[132:135], v8
	v_add_nc_u32_e32 v7, 1, v7
	v_add_nc_u32_e32 v8, 16, v8
	;; [unrolled: 1-line block ×3, first 2 shown]
	v_cmp_lt_u32_e32 vcc_lo, 39, v7
	s_or_b32 s5, vcc_lo, s5
	s_waitcnt vmcnt(2) lgkmcnt(0)
	v_mul_f64 v[140:141], v[134:135], v[136:137]
	v_mul_f64 v[136:137], v[132:133], v[136:137]
	s_waitcnt vmcnt(0)
	v_fma_f64 v[132:133], v[132:133], v[138:139], -v[140:141]
	v_fma_f64 v[134:135], v[134:135], v[138:139], v[136:137]
	v_add_f64 v[3:4], v[3:4], v[132:133]
	v_add_f64 v[1:2], v[1:2], v[134:135]
	s_andn2_b32 exec_lo, exec_lo, s5
	s_cbranch_execnz .LBB123_177
; %bb.178:
	s_or_b32 exec_lo, exec_lo, s5
	v_mov_b32_e32 v7, 0
	ds_read_b128 v[132:135], v7 offset:656
	s_waitcnt lgkmcnt(0)
	v_mul_f64 v[7:8], v[1:2], v[134:135]
	v_mul_f64 v[129:130], v[3:4], v[134:135]
	v_fma_f64 v[3:4], v[3:4], v[132:133], -v[7:8]
	v_fma_f64 v[1:2], v[1:2], v[132:133], v[129:130]
	buffer_store_dword v4, off, s[0:3], 0 offset:676
	buffer_store_dword v3, off, s[0:3], 0 offset:672
	;; [unrolled: 1-line block ×4, first 2 shown]
.LBB123_179:
	s_or_b32 exec_lo, exec_lo, s4
	v_mov_b32_e32 v4, s29
	s_waitcnt_vscnt null, 0x0
	s_barrier
	buffer_gl0_inv
	s_mov_b32 s4, exec_lo
	s_clause 0x3
	buffer_load_dword v1, v4, s[0:3], 0 offen
	buffer_load_dword v2, v4, s[0:3], 0 offen offset:4
	buffer_load_dword v3, v4, s[0:3], 0 offen offset:8
	;; [unrolled: 1-line block ×3, first 2 shown]
	s_waitcnt vmcnt(0)
	ds_write_b128 v5, v[1:4]
	s_waitcnt lgkmcnt(0)
	s_barrier
	buffer_gl0_inv
	v_cmpx_gt_u32_e32 42, v0
	s_cbranch_execz .LBB123_183
; %bb.180:
	v_mov_b32_e32 v1, 0
	v_mov_b32_e32 v3, 0
	v_add_nc_u32_e32 v7, -1, v0
	v_add_nc_u32_e32 v8, 0x3c0, v131
	v_mov_b32_e32 v2, 0
	v_mov_b32_e32 v4, 0
	v_add_nc_u32_e32 v129, 16, v131
	s_mov_b32 s5, 0
	.p2align	6
.LBB123_181:                            ; =>This Inner Loop Header: Depth=1
	s_clause 0x3
	buffer_load_dword v136, v129, s[0:3], 0 offen offset:8
	buffer_load_dword v137, v129, s[0:3], 0 offen offset:12
	buffer_load_dword v138, v129, s[0:3], 0 offen
	buffer_load_dword v139, v129, s[0:3], 0 offen offset:4
	ds_read_b128 v[132:135], v8
	v_add_nc_u32_e32 v7, 1, v7
	v_add_nc_u32_e32 v8, 16, v8
	;; [unrolled: 1-line block ×3, first 2 shown]
	v_cmp_lt_u32_e32 vcc_lo, 40, v7
	s_or_b32 s5, vcc_lo, s5
	s_waitcnt vmcnt(2) lgkmcnt(0)
	v_mul_f64 v[140:141], v[134:135], v[136:137]
	v_mul_f64 v[136:137], v[132:133], v[136:137]
	s_waitcnt vmcnt(0)
	v_fma_f64 v[132:133], v[132:133], v[138:139], -v[140:141]
	v_fma_f64 v[134:135], v[134:135], v[138:139], v[136:137]
	v_add_f64 v[3:4], v[3:4], v[132:133]
	v_add_f64 v[1:2], v[1:2], v[134:135]
	s_andn2_b32 exec_lo, exec_lo, s5
	s_cbranch_execnz .LBB123_181
; %bb.182:
	s_or_b32 exec_lo, exec_lo, s5
	v_mov_b32_e32 v7, 0
	ds_read_b128 v[132:135], v7 offset:672
	s_waitcnt lgkmcnt(0)
	v_mul_f64 v[7:8], v[1:2], v[134:135]
	v_mul_f64 v[129:130], v[3:4], v[134:135]
	v_fma_f64 v[3:4], v[3:4], v[132:133], -v[7:8]
	v_fma_f64 v[1:2], v[1:2], v[132:133], v[129:130]
	buffer_store_dword v4, off, s[0:3], 0 offset:692
	buffer_store_dword v3, off, s[0:3], 0 offset:688
	;; [unrolled: 1-line block ×4, first 2 shown]
.LBB123_183:
	s_or_b32 exec_lo, exec_lo, s4
	v_mov_b32_e32 v4, s28
	s_waitcnt_vscnt null, 0x0
	s_barrier
	buffer_gl0_inv
	s_mov_b32 s4, exec_lo
	s_clause 0x3
	buffer_load_dword v1, v4, s[0:3], 0 offen
	buffer_load_dword v2, v4, s[0:3], 0 offen offset:4
	buffer_load_dword v3, v4, s[0:3], 0 offen offset:8
	;; [unrolled: 1-line block ×3, first 2 shown]
	s_waitcnt vmcnt(0)
	ds_write_b128 v5, v[1:4]
	s_waitcnt lgkmcnt(0)
	s_barrier
	buffer_gl0_inv
	v_cmpx_gt_u32_e32 43, v0
	s_cbranch_execz .LBB123_187
; %bb.184:
	v_mov_b32_e32 v1, 0
	v_mov_b32_e32 v3, 0
	v_add_nc_u32_e32 v7, -1, v0
	v_add_nc_u32_e32 v8, 0x3c0, v131
	v_mov_b32_e32 v2, 0
	v_mov_b32_e32 v4, 0
	v_add_nc_u32_e32 v129, 16, v131
	s_mov_b32 s5, 0
	.p2align	6
.LBB123_185:                            ; =>This Inner Loop Header: Depth=1
	s_clause 0x3
	buffer_load_dword v136, v129, s[0:3], 0 offen offset:8
	buffer_load_dword v137, v129, s[0:3], 0 offen offset:12
	buffer_load_dword v138, v129, s[0:3], 0 offen
	buffer_load_dword v139, v129, s[0:3], 0 offen offset:4
	ds_read_b128 v[132:135], v8
	v_add_nc_u32_e32 v7, 1, v7
	v_add_nc_u32_e32 v8, 16, v8
	;; [unrolled: 1-line block ×3, first 2 shown]
	v_cmp_lt_u32_e32 vcc_lo, 41, v7
	s_or_b32 s5, vcc_lo, s5
	s_waitcnt vmcnt(2) lgkmcnt(0)
	v_mul_f64 v[140:141], v[134:135], v[136:137]
	v_mul_f64 v[136:137], v[132:133], v[136:137]
	s_waitcnt vmcnt(0)
	v_fma_f64 v[132:133], v[132:133], v[138:139], -v[140:141]
	v_fma_f64 v[134:135], v[134:135], v[138:139], v[136:137]
	v_add_f64 v[3:4], v[3:4], v[132:133]
	v_add_f64 v[1:2], v[1:2], v[134:135]
	s_andn2_b32 exec_lo, exec_lo, s5
	s_cbranch_execnz .LBB123_185
; %bb.186:
	s_or_b32 exec_lo, exec_lo, s5
	v_mov_b32_e32 v7, 0
	ds_read_b128 v[132:135], v7 offset:688
	s_waitcnt lgkmcnt(0)
	v_mul_f64 v[7:8], v[1:2], v[134:135]
	v_mul_f64 v[129:130], v[3:4], v[134:135]
	v_fma_f64 v[3:4], v[3:4], v[132:133], -v[7:8]
	v_fma_f64 v[1:2], v[1:2], v[132:133], v[129:130]
	buffer_store_dword v4, off, s[0:3], 0 offset:708
	buffer_store_dword v3, off, s[0:3], 0 offset:704
	;; [unrolled: 1-line block ×4, first 2 shown]
.LBB123_187:
	s_or_b32 exec_lo, exec_lo, s4
	v_mov_b32_e32 v4, s27
	s_waitcnt_vscnt null, 0x0
	s_barrier
	buffer_gl0_inv
	s_mov_b32 s4, exec_lo
	s_clause 0x3
	buffer_load_dword v1, v4, s[0:3], 0 offen
	buffer_load_dword v2, v4, s[0:3], 0 offen offset:4
	buffer_load_dword v3, v4, s[0:3], 0 offen offset:8
	buffer_load_dword v4, v4, s[0:3], 0 offen offset:12
	s_waitcnt vmcnt(0)
	ds_write_b128 v5, v[1:4]
	s_waitcnt lgkmcnt(0)
	s_barrier
	buffer_gl0_inv
	v_cmpx_gt_u32_e32 44, v0
	s_cbranch_execz .LBB123_191
; %bb.188:
	v_mov_b32_e32 v1, 0
	v_mov_b32_e32 v3, 0
	v_add_nc_u32_e32 v7, -1, v0
	v_add_nc_u32_e32 v8, 0x3c0, v131
	v_mov_b32_e32 v2, 0
	v_mov_b32_e32 v4, 0
	v_add_nc_u32_e32 v129, 16, v131
	s_mov_b32 s5, 0
	.p2align	6
.LBB123_189:                            ; =>This Inner Loop Header: Depth=1
	s_clause 0x3
	buffer_load_dword v136, v129, s[0:3], 0 offen offset:8
	buffer_load_dword v137, v129, s[0:3], 0 offen offset:12
	buffer_load_dword v138, v129, s[0:3], 0 offen
	buffer_load_dword v139, v129, s[0:3], 0 offen offset:4
	ds_read_b128 v[132:135], v8
	v_add_nc_u32_e32 v7, 1, v7
	v_add_nc_u32_e32 v8, 16, v8
	v_add_nc_u32_e32 v129, 16, v129
	v_cmp_lt_u32_e32 vcc_lo, 42, v7
	s_or_b32 s5, vcc_lo, s5
	s_waitcnt vmcnt(2) lgkmcnt(0)
	v_mul_f64 v[140:141], v[134:135], v[136:137]
	v_mul_f64 v[136:137], v[132:133], v[136:137]
	s_waitcnt vmcnt(0)
	v_fma_f64 v[132:133], v[132:133], v[138:139], -v[140:141]
	v_fma_f64 v[134:135], v[134:135], v[138:139], v[136:137]
	v_add_f64 v[3:4], v[3:4], v[132:133]
	v_add_f64 v[1:2], v[1:2], v[134:135]
	s_andn2_b32 exec_lo, exec_lo, s5
	s_cbranch_execnz .LBB123_189
; %bb.190:
	s_or_b32 exec_lo, exec_lo, s5
	v_mov_b32_e32 v7, 0
	ds_read_b128 v[132:135], v7 offset:704
	s_waitcnt lgkmcnt(0)
	v_mul_f64 v[7:8], v[1:2], v[134:135]
	v_mul_f64 v[129:130], v[3:4], v[134:135]
	v_fma_f64 v[3:4], v[3:4], v[132:133], -v[7:8]
	v_fma_f64 v[1:2], v[1:2], v[132:133], v[129:130]
	buffer_store_dword v4, off, s[0:3], 0 offset:724
	buffer_store_dword v3, off, s[0:3], 0 offset:720
	buffer_store_dword v2, off, s[0:3], 0 offset:732
	buffer_store_dword v1, off, s[0:3], 0 offset:728
.LBB123_191:
	s_or_b32 exec_lo, exec_lo, s4
	v_mov_b32_e32 v4, s26
	s_waitcnt_vscnt null, 0x0
	s_barrier
	buffer_gl0_inv
	s_mov_b32 s4, exec_lo
	s_clause 0x3
	buffer_load_dword v1, v4, s[0:3], 0 offen
	buffer_load_dword v2, v4, s[0:3], 0 offen offset:4
	buffer_load_dword v3, v4, s[0:3], 0 offen offset:8
	buffer_load_dword v4, v4, s[0:3], 0 offen offset:12
	s_waitcnt vmcnt(0)
	ds_write_b128 v5, v[1:4]
	s_waitcnt lgkmcnt(0)
	s_barrier
	buffer_gl0_inv
	v_cmpx_gt_u32_e32 45, v0
	s_cbranch_execz .LBB123_195
; %bb.192:
	v_mov_b32_e32 v1, 0
	v_mov_b32_e32 v3, 0
	v_add_nc_u32_e32 v7, -1, v0
	v_add_nc_u32_e32 v8, 0x3c0, v131
	v_mov_b32_e32 v2, 0
	v_mov_b32_e32 v4, 0
	v_add_nc_u32_e32 v129, 16, v131
	s_mov_b32 s5, 0
	.p2align	6
.LBB123_193:                            ; =>This Inner Loop Header: Depth=1
	s_clause 0x3
	buffer_load_dword v136, v129, s[0:3], 0 offen offset:8
	buffer_load_dword v137, v129, s[0:3], 0 offen offset:12
	buffer_load_dword v138, v129, s[0:3], 0 offen
	buffer_load_dword v139, v129, s[0:3], 0 offen offset:4
	ds_read_b128 v[132:135], v8
	v_add_nc_u32_e32 v7, 1, v7
	v_add_nc_u32_e32 v8, 16, v8
	;; [unrolled: 1-line block ×3, first 2 shown]
	v_cmp_lt_u32_e32 vcc_lo, 43, v7
	s_or_b32 s5, vcc_lo, s5
	s_waitcnt vmcnt(2) lgkmcnt(0)
	v_mul_f64 v[140:141], v[134:135], v[136:137]
	v_mul_f64 v[136:137], v[132:133], v[136:137]
	s_waitcnt vmcnt(0)
	v_fma_f64 v[132:133], v[132:133], v[138:139], -v[140:141]
	v_fma_f64 v[134:135], v[134:135], v[138:139], v[136:137]
	v_add_f64 v[3:4], v[3:4], v[132:133]
	v_add_f64 v[1:2], v[1:2], v[134:135]
	s_andn2_b32 exec_lo, exec_lo, s5
	s_cbranch_execnz .LBB123_193
; %bb.194:
	s_or_b32 exec_lo, exec_lo, s5
	v_mov_b32_e32 v7, 0
	ds_read_b128 v[132:135], v7 offset:720
	s_waitcnt lgkmcnt(0)
	v_mul_f64 v[7:8], v[1:2], v[134:135]
	v_mul_f64 v[129:130], v[3:4], v[134:135]
	v_fma_f64 v[3:4], v[3:4], v[132:133], -v[7:8]
	v_fma_f64 v[1:2], v[1:2], v[132:133], v[129:130]
	buffer_store_dword v4, off, s[0:3], 0 offset:740
	buffer_store_dword v3, off, s[0:3], 0 offset:736
	;; [unrolled: 1-line block ×4, first 2 shown]
.LBB123_195:
	s_or_b32 exec_lo, exec_lo, s4
	v_mov_b32_e32 v4, s25
	s_waitcnt_vscnt null, 0x0
	s_barrier
	buffer_gl0_inv
	s_mov_b32 s4, exec_lo
	s_clause 0x3
	buffer_load_dword v1, v4, s[0:3], 0 offen
	buffer_load_dword v2, v4, s[0:3], 0 offen offset:4
	buffer_load_dword v3, v4, s[0:3], 0 offen offset:8
	;; [unrolled: 1-line block ×3, first 2 shown]
	s_waitcnt vmcnt(0)
	ds_write_b128 v5, v[1:4]
	s_waitcnt lgkmcnt(0)
	s_barrier
	buffer_gl0_inv
	v_cmpx_gt_u32_e32 46, v0
	s_cbranch_execz .LBB123_199
; %bb.196:
	v_mov_b32_e32 v1, 0
	v_mov_b32_e32 v3, 0
	v_add_nc_u32_e32 v7, -1, v0
	v_add_nc_u32_e32 v8, 0x3c0, v131
	v_mov_b32_e32 v2, 0
	v_mov_b32_e32 v4, 0
	v_add_nc_u32_e32 v129, 16, v131
	s_mov_b32 s5, 0
	.p2align	6
.LBB123_197:                            ; =>This Inner Loop Header: Depth=1
	s_clause 0x3
	buffer_load_dword v136, v129, s[0:3], 0 offen offset:8
	buffer_load_dword v137, v129, s[0:3], 0 offen offset:12
	buffer_load_dword v138, v129, s[0:3], 0 offen
	buffer_load_dword v139, v129, s[0:3], 0 offen offset:4
	ds_read_b128 v[132:135], v8
	v_add_nc_u32_e32 v7, 1, v7
	v_add_nc_u32_e32 v8, 16, v8
	;; [unrolled: 1-line block ×3, first 2 shown]
	v_cmp_lt_u32_e32 vcc_lo, 44, v7
	s_or_b32 s5, vcc_lo, s5
	s_waitcnt vmcnt(2) lgkmcnt(0)
	v_mul_f64 v[140:141], v[134:135], v[136:137]
	v_mul_f64 v[136:137], v[132:133], v[136:137]
	s_waitcnt vmcnt(0)
	v_fma_f64 v[132:133], v[132:133], v[138:139], -v[140:141]
	v_fma_f64 v[134:135], v[134:135], v[138:139], v[136:137]
	v_add_f64 v[3:4], v[3:4], v[132:133]
	v_add_f64 v[1:2], v[1:2], v[134:135]
	s_andn2_b32 exec_lo, exec_lo, s5
	s_cbranch_execnz .LBB123_197
; %bb.198:
	s_or_b32 exec_lo, exec_lo, s5
	v_mov_b32_e32 v7, 0
	ds_read_b128 v[132:135], v7 offset:736
	s_waitcnt lgkmcnt(0)
	v_mul_f64 v[7:8], v[1:2], v[134:135]
	v_mul_f64 v[129:130], v[3:4], v[134:135]
	v_fma_f64 v[3:4], v[3:4], v[132:133], -v[7:8]
	v_fma_f64 v[1:2], v[1:2], v[132:133], v[129:130]
	buffer_store_dword v4, off, s[0:3], 0 offset:756
	buffer_store_dword v3, off, s[0:3], 0 offset:752
	;; [unrolled: 1-line block ×4, first 2 shown]
.LBB123_199:
	s_or_b32 exec_lo, exec_lo, s4
	v_mov_b32_e32 v4, s24
	s_waitcnt_vscnt null, 0x0
	s_barrier
	buffer_gl0_inv
	s_mov_b32 s4, exec_lo
	s_clause 0x3
	buffer_load_dword v1, v4, s[0:3], 0 offen
	buffer_load_dword v2, v4, s[0:3], 0 offen offset:4
	buffer_load_dword v3, v4, s[0:3], 0 offen offset:8
	;; [unrolled: 1-line block ×3, first 2 shown]
	s_waitcnt vmcnt(0)
	ds_write_b128 v5, v[1:4]
	s_waitcnt lgkmcnt(0)
	s_barrier
	buffer_gl0_inv
	v_cmpx_gt_u32_e32 47, v0
	s_cbranch_execz .LBB123_203
; %bb.200:
	v_mov_b32_e32 v1, 0
	v_mov_b32_e32 v3, 0
	v_add_nc_u32_e32 v7, -1, v0
	v_add_nc_u32_e32 v8, 0x3c0, v131
	v_mov_b32_e32 v2, 0
	v_mov_b32_e32 v4, 0
	v_add_nc_u32_e32 v129, 16, v131
	s_mov_b32 s5, 0
	.p2align	6
.LBB123_201:                            ; =>This Inner Loop Header: Depth=1
	s_clause 0x3
	buffer_load_dword v136, v129, s[0:3], 0 offen offset:8
	buffer_load_dword v137, v129, s[0:3], 0 offen offset:12
	buffer_load_dword v138, v129, s[0:3], 0 offen
	buffer_load_dword v139, v129, s[0:3], 0 offen offset:4
	ds_read_b128 v[132:135], v8
	v_add_nc_u32_e32 v7, 1, v7
	v_add_nc_u32_e32 v8, 16, v8
	;; [unrolled: 1-line block ×3, first 2 shown]
	v_cmp_lt_u32_e32 vcc_lo, 45, v7
	s_or_b32 s5, vcc_lo, s5
	s_waitcnt vmcnt(2) lgkmcnt(0)
	v_mul_f64 v[140:141], v[134:135], v[136:137]
	v_mul_f64 v[136:137], v[132:133], v[136:137]
	s_waitcnt vmcnt(0)
	v_fma_f64 v[132:133], v[132:133], v[138:139], -v[140:141]
	v_fma_f64 v[134:135], v[134:135], v[138:139], v[136:137]
	v_add_f64 v[3:4], v[3:4], v[132:133]
	v_add_f64 v[1:2], v[1:2], v[134:135]
	s_andn2_b32 exec_lo, exec_lo, s5
	s_cbranch_execnz .LBB123_201
; %bb.202:
	s_or_b32 exec_lo, exec_lo, s5
	v_mov_b32_e32 v7, 0
	ds_read_b128 v[132:135], v7 offset:752
	s_waitcnt lgkmcnt(0)
	v_mul_f64 v[7:8], v[1:2], v[134:135]
	v_mul_f64 v[129:130], v[3:4], v[134:135]
	v_fma_f64 v[3:4], v[3:4], v[132:133], -v[7:8]
	v_fma_f64 v[1:2], v[1:2], v[132:133], v[129:130]
	buffer_store_dword v4, off, s[0:3], 0 offset:772
	buffer_store_dword v3, off, s[0:3], 0 offset:768
	;; [unrolled: 1-line block ×4, first 2 shown]
.LBB123_203:
	s_or_b32 exec_lo, exec_lo, s4
	v_mov_b32_e32 v4, s23
	s_waitcnt_vscnt null, 0x0
	s_barrier
	buffer_gl0_inv
	s_mov_b32 s4, exec_lo
	s_clause 0x3
	buffer_load_dword v1, v4, s[0:3], 0 offen
	buffer_load_dword v2, v4, s[0:3], 0 offen offset:4
	buffer_load_dword v3, v4, s[0:3], 0 offen offset:8
	;; [unrolled: 1-line block ×3, first 2 shown]
	s_waitcnt vmcnt(0)
	ds_write_b128 v5, v[1:4]
	s_waitcnt lgkmcnt(0)
	s_barrier
	buffer_gl0_inv
	v_cmpx_gt_u32_e32 48, v0
	s_cbranch_execz .LBB123_207
; %bb.204:
	v_mov_b32_e32 v1, 0
	v_mov_b32_e32 v3, 0
	v_add_nc_u32_e32 v7, -1, v0
	v_add_nc_u32_e32 v8, 0x3c0, v131
	v_mov_b32_e32 v2, 0
	v_mov_b32_e32 v4, 0
	v_add_nc_u32_e32 v129, 16, v131
	s_mov_b32 s5, 0
	.p2align	6
.LBB123_205:                            ; =>This Inner Loop Header: Depth=1
	s_clause 0x3
	buffer_load_dword v136, v129, s[0:3], 0 offen offset:8
	buffer_load_dword v137, v129, s[0:3], 0 offen offset:12
	buffer_load_dword v138, v129, s[0:3], 0 offen
	buffer_load_dword v139, v129, s[0:3], 0 offen offset:4
	ds_read_b128 v[132:135], v8
	v_add_nc_u32_e32 v7, 1, v7
	v_add_nc_u32_e32 v8, 16, v8
	;; [unrolled: 1-line block ×3, first 2 shown]
	v_cmp_lt_u32_e32 vcc_lo, 46, v7
	s_or_b32 s5, vcc_lo, s5
	s_waitcnt vmcnt(2) lgkmcnt(0)
	v_mul_f64 v[140:141], v[134:135], v[136:137]
	v_mul_f64 v[136:137], v[132:133], v[136:137]
	s_waitcnt vmcnt(0)
	v_fma_f64 v[132:133], v[132:133], v[138:139], -v[140:141]
	v_fma_f64 v[134:135], v[134:135], v[138:139], v[136:137]
	v_add_f64 v[3:4], v[3:4], v[132:133]
	v_add_f64 v[1:2], v[1:2], v[134:135]
	s_andn2_b32 exec_lo, exec_lo, s5
	s_cbranch_execnz .LBB123_205
; %bb.206:
	s_or_b32 exec_lo, exec_lo, s5
	v_mov_b32_e32 v7, 0
	ds_read_b128 v[132:135], v7 offset:768
	s_waitcnt lgkmcnt(0)
	v_mul_f64 v[7:8], v[1:2], v[134:135]
	v_mul_f64 v[129:130], v[3:4], v[134:135]
	v_fma_f64 v[3:4], v[3:4], v[132:133], -v[7:8]
	v_fma_f64 v[1:2], v[1:2], v[132:133], v[129:130]
	buffer_store_dword v4, off, s[0:3], 0 offset:788
	buffer_store_dword v3, off, s[0:3], 0 offset:784
	;; [unrolled: 1-line block ×4, first 2 shown]
.LBB123_207:
	s_or_b32 exec_lo, exec_lo, s4
	v_mov_b32_e32 v4, s22
	s_waitcnt_vscnt null, 0x0
	s_barrier
	buffer_gl0_inv
	s_mov_b32 s4, exec_lo
	s_clause 0x3
	buffer_load_dword v1, v4, s[0:3], 0 offen
	buffer_load_dword v2, v4, s[0:3], 0 offen offset:4
	buffer_load_dword v3, v4, s[0:3], 0 offen offset:8
	;; [unrolled: 1-line block ×3, first 2 shown]
	s_waitcnt vmcnt(0)
	ds_write_b128 v5, v[1:4]
	s_waitcnt lgkmcnt(0)
	s_barrier
	buffer_gl0_inv
	v_cmpx_gt_u32_e32 49, v0
	s_cbranch_execz .LBB123_211
; %bb.208:
	v_mov_b32_e32 v1, 0
	v_mov_b32_e32 v3, 0
	v_add_nc_u32_e32 v7, -1, v0
	v_add_nc_u32_e32 v8, 0x3c0, v131
	v_mov_b32_e32 v2, 0
	v_mov_b32_e32 v4, 0
	v_add_nc_u32_e32 v129, 16, v131
	s_mov_b32 s5, 0
	.p2align	6
.LBB123_209:                            ; =>This Inner Loop Header: Depth=1
	s_clause 0x3
	buffer_load_dword v136, v129, s[0:3], 0 offen offset:8
	buffer_load_dword v137, v129, s[0:3], 0 offen offset:12
	buffer_load_dword v138, v129, s[0:3], 0 offen
	buffer_load_dword v139, v129, s[0:3], 0 offen offset:4
	ds_read_b128 v[132:135], v8
	v_add_nc_u32_e32 v7, 1, v7
	v_add_nc_u32_e32 v8, 16, v8
	v_add_nc_u32_e32 v129, 16, v129
	v_cmp_lt_u32_e32 vcc_lo, 47, v7
	s_or_b32 s5, vcc_lo, s5
	s_waitcnt vmcnt(2) lgkmcnt(0)
	v_mul_f64 v[140:141], v[134:135], v[136:137]
	v_mul_f64 v[136:137], v[132:133], v[136:137]
	s_waitcnt vmcnt(0)
	v_fma_f64 v[132:133], v[132:133], v[138:139], -v[140:141]
	v_fma_f64 v[134:135], v[134:135], v[138:139], v[136:137]
	v_add_f64 v[3:4], v[3:4], v[132:133]
	v_add_f64 v[1:2], v[1:2], v[134:135]
	s_andn2_b32 exec_lo, exec_lo, s5
	s_cbranch_execnz .LBB123_209
; %bb.210:
	s_or_b32 exec_lo, exec_lo, s5
	v_mov_b32_e32 v7, 0
	ds_read_b128 v[132:135], v7 offset:784
	s_waitcnt lgkmcnt(0)
	v_mul_f64 v[7:8], v[1:2], v[134:135]
	v_mul_f64 v[129:130], v[3:4], v[134:135]
	v_fma_f64 v[3:4], v[3:4], v[132:133], -v[7:8]
	v_fma_f64 v[1:2], v[1:2], v[132:133], v[129:130]
	buffer_store_dword v4, off, s[0:3], 0 offset:804
	buffer_store_dword v3, off, s[0:3], 0 offset:800
	;; [unrolled: 1-line block ×4, first 2 shown]
.LBB123_211:
	s_or_b32 exec_lo, exec_lo, s4
	v_mov_b32_e32 v4, s21
	s_waitcnt_vscnt null, 0x0
	s_barrier
	buffer_gl0_inv
	s_mov_b32 s4, exec_lo
	s_clause 0x3
	buffer_load_dword v1, v4, s[0:3], 0 offen
	buffer_load_dword v2, v4, s[0:3], 0 offen offset:4
	buffer_load_dword v3, v4, s[0:3], 0 offen offset:8
	;; [unrolled: 1-line block ×3, first 2 shown]
	s_waitcnt vmcnt(0)
	ds_write_b128 v5, v[1:4]
	s_waitcnt lgkmcnt(0)
	s_barrier
	buffer_gl0_inv
	v_cmpx_gt_u32_e32 50, v0
	s_cbranch_execz .LBB123_215
; %bb.212:
	v_mov_b32_e32 v1, 0
	v_mov_b32_e32 v3, 0
	v_add_nc_u32_e32 v7, -1, v0
	v_add_nc_u32_e32 v8, 0x3c0, v131
	v_mov_b32_e32 v2, 0
	v_mov_b32_e32 v4, 0
	v_add_nc_u32_e32 v129, 16, v131
	s_mov_b32 s5, 0
	.p2align	6
.LBB123_213:                            ; =>This Inner Loop Header: Depth=1
	s_clause 0x3
	buffer_load_dword v136, v129, s[0:3], 0 offen offset:8
	buffer_load_dword v137, v129, s[0:3], 0 offen offset:12
	buffer_load_dword v138, v129, s[0:3], 0 offen
	buffer_load_dword v139, v129, s[0:3], 0 offen offset:4
	ds_read_b128 v[132:135], v8
	v_add_nc_u32_e32 v7, 1, v7
	v_add_nc_u32_e32 v8, 16, v8
	v_add_nc_u32_e32 v129, 16, v129
	v_cmp_lt_u32_e32 vcc_lo, 48, v7
	s_or_b32 s5, vcc_lo, s5
	s_waitcnt vmcnt(2) lgkmcnt(0)
	v_mul_f64 v[140:141], v[134:135], v[136:137]
	v_mul_f64 v[136:137], v[132:133], v[136:137]
	s_waitcnt vmcnt(0)
	v_fma_f64 v[132:133], v[132:133], v[138:139], -v[140:141]
	v_fma_f64 v[134:135], v[134:135], v[138:139], v[136:137]
	v_add_f64 v[3:4], v[3:4], v[132:133]
	v_add_f64 v[1:2], v[1:2], v[134:135]
	s_andn2_b32 exec_lo, exec_lo, s5
	s_cbranch_execnz .LBB123_213
; %bb.214:
	s_or_b32 exec_lo, exec_lo, s5
	v_mov_b32_e32 v7, 0
	ds_read_b128 v[132:135], v7 offset:800
	s_waitcnt lgkmcnt(0)
	v_mul_f64 v[7:8], v[1:2], v[134:135]
	v_mul_f64 v[129:130], v[3:4], v[134:135]
	v_fma_f64 v[3:4], v[3:4], v[132:133], -v[7:8]
	v_fma_f64 v[1:2], v[1:2], v[132:133], v[129:130]
	buffer_store_dword v4, off, s[0:3], 0 offset:820
	buffer_store_dword v3, off, s[0:3], 0 offset:816
	buffer_store_dword v2, off, s[0:3], 0 offset:828
	buffer_store_dword v1, off, s[0:3], 0 offset:824
.LBB123_215:
	s_or_b32 exec_lo, exec_lo, s4
	v_mov_b32_e32 v4, s20
	s_waitcnt_vscnt null, 0x0
	s_barrier
	buffer_gl0_inv
	s_mov_b32 s4, exec_lo
	s_clause 0x3
	buffer_load_dword v1, v4, s[0:3], 0 offen
	buffer_load_dword v2, v4, s[0:3], 0 offen offset:4
	buffer_load_dword v3, v4, s[0:3], 0 offen offset:8
	;; [unrolled: 1-line block ×3, first 2 shown]
	s_waitcnt vmcnt(0)
	ds_write_b128 v5, v[1:4]
	s_waitcnt lgkmcnt(0)
	s_barrier
	buffer_gl0_inv
	v_cmpx_gt_u32_e32 51, v0
	s_cbranch_execz .LBB123_219
; %bb.216:
	v_mov_b32_e32 v1, 0
	v_mov_b32_e32 v3, 0
	v_add_nc_u32_e32 v7, -1, v0
	v_add_nc_u32_e32 v8, 0x3c0, v131
	v_mov_b32_e32 v2, 0
	v_mov_b32_e32 v4, 0
	v_add_nc_u32_e32 v129, 16, v131
	s_mov_b32 s5, 0
	.p2align	6
.LBB123_217:                            ; =>This Inner Loop Header: Depth=1
	s_clause 0x3
	buffer_load_dword v136, v129, s[0:3], 0 offen offset:8
	buffer_load_dword v137, v129, s[0:3], 0 offen offset:12
	buffer_load_dword v138, v129, s[0:3], 0 offen
	buffer_load_dword v139, v129, s[0:3], 0 offen offset:4
	ds_read_b128 v[132:135], v8
	v_add_nc_u32_e32 v7, 1, v7
	v_add_nc_u32_e32 v8, 16, v8
	;; [unrolled: 1-line block ×3, first 2 shown]
	v_cmp_lt_u32_e32 vcc_lo, 49, v7
	s_or_b32 s5, vcc_lo, s5
	s_waitcnt vmcnt(2) lgkmcnt(0)
	v_mul_f64 v[140:141], v[134:135], v[136:137]
	v_mul_f64 v[136:137], v[132:133], v[136:137]
	s_waitcnt vmcnt(0)
	v_fma_f64 v[132:133], v[132:133], v[138:139], -v[140:141]
	v_fma_f64 v[134:135], v[134:135], v[138:139], v[136:137]
	v_add_f64 v[3:4], v[3:4], v[132:133]
	v_add_f64 v[1:2], v[1:2], v[134:135]
	s_andn2_b32 exec_lo, exec_lo, s5
	s_cbranch_execnz .LBB123_217
; %bb.218:
	s_or_b32 exec_lo, exec_lo, s5
	v_mov_b32_e32 v7, 0
	ds_read_b128 v[132:135], v7 offset:816
	s_waitcnt lgkmcnt(0)
	v_mul_f64 v[7:8], v[1:2], v[134:135]
	v_mul_f64 v[129:130], v[3:4], v[134:135]
	v_fma_f64 v[3:4], v[3:4], v[132:133], -v[7:8]
	v_fma_f64 v[1:2], v[1:2], v[132:133], v[129:130]
	buffer_store_dword v4, off, s[0:3], 0 offset:836
	buffer_store_dword v3, off, s[0:3], 0 offset:832
	;; [unrolled: 1-line block ×4, first 2 shown]
.LBB123_219:
	s_or_b32 exec_lo, exec_lo, s4
	v_mov_b32_e32 v4, s19
	s_waitcnt_vscnt null, 0x0
	s_barrier
	buffer_gl0_inv
	s_mov_b32 s4, exec_lo
	s_clause 0x3
	buffer_load_dword v1, v4, s[0:3], 0 offen
	buffer_load_dword v2, v4, s[0:3], 0 offen offset:4
	buffer_load_dword v3, v4, s[0:3], 0 offen offset:8
	;; [unrolled: 1-line block ×3, first 2 shown]
	s_waitcnt vmcnt(0)
	ds_write_b128 v5, v[1:4]
	s_waitcnt lgkmcnt(0)
	s_barrier
	buffer_gl0_inv
	v_cmpx_gt_u32_e32 52, v0
	s_cbranch_execz .LBB123_223
; %bb.220:
	v_mov_b32_e32 v1, 0
	v_mov_b32_e32 v3, 0
	v_add_nc_u32_e32 v7, -1, v0
	v_add_nc_u32_e32 v8, 0x3c0, v131
	v_mov_b32_e32 v2, 0
	v_mov_b32_e32 v4, 0
	v_add_nc_u32_e32 v129, 16, v131
	s_mov_b32 s5, 0
	.p2align	6
.LBB123_221:                            ; =>This Inner Loop Header: Depth=1
	s_clause 0x3
	buffer_load_dword v136, v129, s[0:3], 0 offen offset:8
	buffer_load_dword v137, v129, s[0:3], 0 offen offset:12
	buffer_load_dword v138, v129, s[0:3], 0 offen
	buffer_load_dword v139, v129, s[0:3], 0 offen offset:4
	ds_read_b128 v[132:135], v8
	v_add_nc_u32_e32 v7, 1, v7
	v_add_nc_u32_e32 v8, 16, v8
	;; [unrolled: 1-line block ×3, first 2 shown]
	v_cmp_lt_u32_e32 vcc_lo, 50, v7
	s_or_b32 s5, vcc_lo, s5
	s_waitcnt vmcnt(2) lgkmcnt(0)
	v_mul_f64 v[140:141], v[134:135], v[136:137]
	v_mul_f64 v[136:137], v[132:133], v[136:137]
	s_waitcnt vmcnt(0)
	v_fma_f64 v[132:133], v[132:133], v[138:139], -v[140:141]
	v_fma_f64 v[134:135], v[134:135], v[138:139], v[136:137]
	v_add_f64 v[3:4], v[3:4], v[132:133]
	v_add_f64 v[1:2], v[1:2], v[134:135]
	s_andn2_b32 exec_lo, exec_lo, s5
	s_cbranch_execnz .LBB123_221
; %bb.222:
	s_or_b32 exec_lo, exec_lo, s5
	v_mov_b32_e32 v7, 0
	ds_read_b128 v[132:135], v7 offset:832
	s_waitcnt lgkmcnt(0)
	v_mul_f64 v[7:8], v[1:2], v[134:135]
	v_mul_f64 v[129:130], v[3:4], v[134:135]
	v_fma_f64 v[3:4], v[3:4], v[132:133], -v[7:8]
	v_fma_f64 v[1:2], v[1:2], v[132:133], v[129:130]
	buffer_store_dword v4, off, s[0:3], 0 offset:852
	buffer_store_dword v3, off, s[0:3], 0 offset:848
	;; [unrolled: 1-line block ×4, first 2 shown]
.LBB123_223:
	s_or_b32 exec_lo, exec_lo, s4
	v_mov_b32_e32 v4, s18
	s_waitcnt_vscnt null, 0x0
	s_barrier
	buffer_gl0_inv
	s_mov_b32 s4, exec_lo
	s_clause 0x3
	buffer_load_dword v1, v4, s[0:3], 0 offen
	buffer_load_dword v2, v4, s[0:3], 0 offen offset:4
	buffer_load_dword v3, v4, s[0:3], 0 offen offset:8
	;; [unrolled: 1-line block ×3, first 2 shown]
	s_waitcnt vmcnt(0)
	ds_write_b128 v5, v[1:4]
	s_waitcnt lgkmcnt(0)
	s_barrier
	buffer_gl0_inv
	v_cmpx_gt_u32_e32 53, v0
	s_cbranch_execz .LBB123_227
; %bb.224:
	v_mov_b32_e32 v1, 0
	v_mov_b32_e32 v3, 0
	v_add_nc_u32_e32 v7, -1, v0
	v_add_nc_u32_e32 v8, 0x3c0, v131
	v_mov_b32_e32 v2, 0
	v_mov_b32_e32 v4, 0
	v_add_nc_u32_e32 v129, 16, v131
	s_mov_b32 s5, 0
	.p2align	6
.LBB123_225:                            ; =>This Inner Loop Header: Depth=1
	s_clause 0x3
	buffer_load_dword v136, v129, s[0:3], 0 offen offset:8
	buffer_load_dword v137, v129, s[0:3], 0 offen offset:12
	buffer_load_dword v138, v129, s[0:3], 0 offen
	buffer_load_dword v139, v129, s[0:3], 0 offen offset:4
	ds_read_b128 v[132:135], v8
	v_add_nc_u32_e32 v7, 1, v7
	v_add_nc_u32_e32 v8, 16, v8
	;; [unrolled: 1-line block ×3, first 2 shown]
	v_cmp_lt_u32_e32 vcc_lo, 51, v7
	s_or_b32 s5, vcc_lo, s5
	s_waitcnt vmcnt(2) lgkmcnt(0)
	v_mul_f64 v[140:141], v[134:135], v[136:137]
	v_mul_f64 v[136:137], v[132:133], v[136:137]
	s_waitcnt vmcnt(0)
	v_fma_f64 v[132:133], v[132:133], v[138:139], -v[140:141]
	v_fma_f64 v[134:135], v[134:135], v[138:139], v[136:137]
	v_add_f64 v[3:4], v[3:4], v[132:133]
	v_add_f64 v[1:2], v[1:2], v[134:135]
	s_andn2_b32 exec_lo, exec_lo, s5
	s_cbranch_execnz .LBB123_225
; %bb.226:
	s_or_b32 exec_lo, exec_lo, s5
	v_mov_b32_e32 v7, 0
	ds_read_b128 v[132:135], v7 offset:848
	s_waitcnt lgkmcnt(0)
	v_mul_f64 v[7:8], v[1:2], v[134:135]
	v_mul_f64 v[129:130], v[3:4], v[134:135]
	v_fma_f64 v[3:4], v[3:4], v[132:133], -v[7:8]
	v_fma_f64 v[1:2], v[1:2], v[132:133], v[129:130]
	buffer_store_dword v4, off, s[0:3], 0 offset:868
	buffer_store_dword v3, off, s[0:3], 0 offset:864
	buffer_store_dword v2, off, s[0:3], 0 offset:876
	buffer_store_dword v1, off, s[0:3], 0 offset:872
.LBB123_227:
	s_or_b32 exec_lo, exec_lo, s4
	v_mov_b32_e32 v4, s17
	s_waitcnt_vscnt null, 0x0
	s_barrier
	buffer_gl0_inv
	s_mov_b32 s4, exec_lo
	s_clause 0x3
	buffer_load_dword v1, v4, s[0:3], 0 offen
	buffer_load_dword v2, v4, s[0:3], 0 offen offset:4
	buffer_load_dword v3, v4, s[0:3], 0 offen offset:8
	;; [unrolled: 1-line block ×3, first 2 shown]
	s_waitcnt vmcnt(0)
	ds_write_b128 v5, v[1:4]
	s_waitcnt lgkmcnt(0)
	s_barrier
	buffer_gl0_inv
	v_cmpx_gt_u32_e32 54, v0
	s_cbranch_execz .LBB123_231
; %bb.228:
	v_mov_b32_e32 v1, 0
	v_mov_b32_e32 v3, 0
	v_add_nc_u32_e32 v7, -1, v0
	v_add_nc_u32_e32 v8, 0x3c0, v131
	v_mov_b32_e32 v2, 0
	v_mov_b32_e32 v4, 0
	v_add_nc_u32_e32 v129, 16, v131
	s_mov_b32 s5, 0
	.p2align	6
.LBB123_229:                            ; =>This Inner Loop Header: Depth=1
	s_clause 0x3
	buffer_load_dword v136, v129, s[0:3], 0 offen offset:8
	buffer_load_dword v137, v129, s[0:3], 0 offen offset:12
	buffer_load_dword v138, v129, s[0:3], 0 offen
	buffer_load_dword v139, v129, s[0:3], 0 offen offset:4
	ds_read_b128 v[132:135], v8
	v_add_nc_u32_e32 v7, 1, v7
	v_add_nc_u32_e32 v8, 16, v8
	;; [unrolled: 1-line block ×3, first 2 shown]
	v_cmp_lt_u32_e32 vcc_lo, 52, v7
	s_or_b32 s5, vcc_lo, s5
	s_waitcnt vmcnt(2) lgkmcnt(0)
	v_mul_f64 v[140:141], v[134:135], v[136:137]
	v_mul_f64 v[136:137], v[132:133], v[136:137]
	s_waitcnt vmcnt(0)
	v_fma_f64 v[132:133], v[132:133], v[138:139], -v[140:141]
	v_fma_f64 v[134:135], v[134:135], v[138:139], v[136:137]
	v_add_f64 v[3:4], v[3:4], v[132:133]
	v_add_f64 v[1:2], v[1:2], v[134:135]
	s_andn2_b32 exec_lo, exec_lo, s5
	s_cbranch_execnz .LBB123_229
; %bb.230:
	s_or_b32 exec_lo, exec_lo, s5
	v_mov_b32_e32 v7, 0
	ds_read_b128 v[132:135], v7 offset:864
	s_waitcnt lgkmcnt(0)
	v_mul_f64 v[7:8], v[1:2], v[134:135]
	v_mul_f64 v[129:130], v[3:4], v[134:135]
	v_fma_f64 v[3:4], v[3:4], v[132:133], -v[7:8]
	v_fma_f64 v[1:2], v[1:2], v[132:133], v[129:130]
	buffer_store_dword v4, off, s[0:3], 0 offset:884
	buffer_store_dword v3, off, s[0:3], 0 offset:880
	;; [unrolled: 1-line block ×4, first 2 shown]
.LBB123_231:
	s_or_b32 exec_lo, exec_lo, s4
	v_mov_b32_e32 v4, s16
	s_waitcnt_vscnt null, 0x0
	s_barrier
	buffer_gl0_inv
	s_mov_b32 s4, exec_lo
	s_clause 0x3
	buffer_load_dword v1, v4, s[0:3], 0 offen
	buffer_load_dword v2, v4, s[0:3], 0 offen offset:4
	buffer_load_dword v3, v4, s[0:3], 0 offen offset:8
	buffer_load_dword v4, v4, s[0:3], 0 offen offset:12
	s_waitcnt vmcnt(0)
	ds_write_b128 v5, v[1:4]
	s_waitcnt lgkmcnt(0)
	s_barrier
	buffer_gl0_inv
	v_cmpx_gt_u32_e32 55, v0
	s_cbranch_execz .LBB123_235
; %bb.232:
	v_mov_b32_e32 v1, 0
	v_mov_b32_e32 v3, 0
	v_add_nc_u32_e32 v7, -1, v0
	v_add_nc_u32_e32 v8, 0x3c0, v131
	v_mov_b32_e32 v2, 0
	v_mov_b32_e32 v4, 0
	v_add_nc_u32_e32 v129, 16, v131
	s_mov_b32 s5, 0
	.p2align	6
.LBB123_233:                            ; =>This Inner Loop Header: Depth=1
	s_clause 0x3
	buffer_load_dword v136, v129, s[0:3], 0 offen offset:8
	buffer_load_dword v137, v129, s[0:3], 0 offen offset:12
	buffer_load_dword v138, v129, s[0:3], 0 offen
	buffer_load_dword v139, v129, s[0:3], 0 offen offset:4
	ds_read_b128 v[132:135], v8
	v_add_nc_u32_e32 v7, 1, v7
	v_add_nc_u32_e32 v8, 16, v8
	;; [unrolled: 1-line block ×3, first 2 shown]
	v_cmp_lt_u32_e32 vcc_lo, 53, v7
	s_or_b32 s5, vcc_lo, s5
	s_waitcnt vmcnt(2) lgkmcnt(0)
	v_mul_f64 v[140:141], v[134:135], v[136:137]
	v_mul_f64 v[136:137], v[132:133], v[136:137]
	s_waitcnt vmcnt(0)
	v_fma_f64 v[132:133], v[132:133], v[138:139], -v[140:141]
	v_fma_f64 v[134:135], v[134:135], v[138:139], v[136:137]
	v_add_f64 v[3:4], v[3:4], v[132:133]
	v_add_f64 v[1:2], v[1:2], v[134:135]
	s_andn2_b32 exec_lo, exec_lo, s5
	s_cbranch_execnz .LBB123_233
; %bb.234:
	s_or_b32 exec_lo, exec_lo, s5
	v_mov_b32_e32 v7, 0
	ds_read_b128 v[132:135], v7 offset:880
	s_waitcnt lgkmcnt(0)
	v_mul_f64 v[7:8], v[1:2], v[134:135]
	v_mul_f64 v[129:130], v[3:4], v[134:135]
	v_fma_f64 v[3:4], v[3:4], v[132:133], -v[7:8]
	v_fma_f64 v[1:2], v[1:2], v[132:133], v[129:130]
	buffer_store_dword v4, off, s[0:3], 0 offset:900
	buffer_store_dword v3, off, s[0:3], 0 offset:896
	;; [unrolled: 1-line block ×4, first 2 shown]
.LBB123_235:
	s_or_b32 exec_lo, exec_lo, s4
	v_mov_b32_e32 v4, s15
	s_waitcnt_vscnt null, 0x0
	s_barrier
	buffer_gl0_inv
	s_mov_b32 s4, exec_lo
	s_clause 0x3
	buffer_load_dword v1, v4, s[0:3], 0 offen
	buffer_load_dword v2, v4, s[0:3], 0 offen offset:4
	buffer_load_dword v3, v4, s[0:3], 0 offen offset:8
	;; [unrolled: 1-line block ×3, first 2 shown]
	s_waitcnt vmcnt(0)
	ds_write_b128 v5, v[1:4]
	s_waitcnt lgkmcnt(0)
	s_barrier
	buffer_gl0_inv
	v_cmpx_gt_u32_e32 56, v0
	s_cbranch_execz .LBB123_239
; %bb.236:
	v_mov_b32_e32 v1, 0
	v_mov_b32_e32 v3, 0
	v_add_nc_u32_e32 v7, -1, v0
	v_add_nc_u32_e32 v8, 0x3c0, v131
	v_mov_b32_e32 v2, 0
	v_mov_b32_e32 v4, 0
	v_add_nc_u32_e32 v129, 16, v131
	s_mov_b32 s5, 0
	.p2align	6
.LBB123_237:                            ; =>This Inner Loop Header: Depth=1
	s_clause 0x3
	buffer_load_dword v136, v129, s[0:3], 0 offen offset:8
	buffer_load_dword v137, v129, s[0:3], 0 offen offset:12
	buffer_load_dword v138, v129, s[0:3], 0 offen
	buffer_load_dword v139, v129, s[0:3], 0 offen offset:4
	ds_read_b128 v[132:135], v8
	v_add_nc_u32_e32 v7, 1, v7
	v_add_nc_u32_e32 v8, 16, v8
	;; [unrolled: 1-line block ×3, first 2 shown]
	v_cmp_lt_u32_e32 vcc_lo, 54, v7
	s_or_b32 s5, vcc_lo, s5
	s_waitcnt vmcnt(2) lgkmcnt(0)
	v_mul_f64 v[140:141], v[134:135], v[136:137]
	v_mul_f64 v[136:137], v[132:133], v[136:137]
	s_waitcnt vmcnt(0)
	v_fma_f64 v[132:133], v[132:133], v[138:139], -v[140:141]
	v_fma_f64 v[134:135], v[134:135], v[138:139], v[136:137]
	v_add_f64 v[3:4], v[3:4], v[132:133]
	v_add_f64 v[1:2], v[1:2], v[134:135]
	s_andn2_b32 exec_lo, exec_lo, s5
	s_cbranch_execnz .LBB123_237
; %bb.238:
	s_or_b32 exec_lo, exec_lo, s5
	v_mov_b32_e32 v7, 0
	ds_read_b128 v[132:135], v7 offset:896
	s_waitcnt lgkmcnt(0)
	v_mul_f64 v[7:8], v[1:2], v[134:135]
	v_mul_f64 v[129:130], v[3:4], v[134:135]
	v_fma_f64 v[3:4], v[3:4], v[132:133], -v[7:8]
	v_fma_f64 v[1:2], v[1:2], v[132:133], v[129:130]
	buffer_store_dword v4, off, s[0:3], 0 offset:916
	buffer_store_dword v3, off, s[0:3], 0 offset:912
	;; [unrolled: 1-line block ×4, first 2 shown]
.LBB123_239:
	s_or_b32 exec_lo, exec_lo, s4
	v_mov_b32_e32 v4, s14
	s_waitcnt_vscnt null, 0x0
	s_barrier
	buffer_gl0_inv
	s_mov_b32 s4, exec_lo
	s_clause 0x3
	buffer_load_dword v1, v4, s[0:3], 0 offen
	buffer_load_dword v2, v4, s[0:3], 0 offen offset:4
	buffer_load_dword v3, v4, s[0:3], 0 offen offset:8
	;; [unrolled: 1-line block ×3, first 2 shown]
	s_waitcnt vmcnt(0)
	ds_write_b128 v5, v[1:4]
	s_waitcnt lgkmcnt(0)
	s_barrier
	buffer_gl0_inv
	v_cmpx_gt_u32_e32 57, v0
	s_cbranch_execz .LBB123_243
; %bb.240:
	v_mov_b32_e32 v1, 0
	v_mov_b32_e32 v3, 0
	v_add_nc_u32_e32 v7, -1, v0
	v_add_nc_u32_e32 v8, 0x3c0, v131
	v_mov_b32_e32 v2, 0
	v_mov_b32_e32 v4, 0
	v_add_nc_u32_e32 v129, 16, v131
	s_mov_b32 s5, 0
	.p2align	6
.LBB123_241:                            ; =>This Inner Loop Header: Depth=1
	s_clause 0x3
	buffer_load_dword v136, v129, s[0:3], 0 offen offset:8
	buffer_load_dword v137, v129, s[0:3], 0 offen offset:12
	buffer_load_dword v138, v129, s[0:3], 0 offen
	buffer_load_dword v139, v129, s[0:3], 0 offen offset:4
	ds_read_b128 v[132:135], v8
	v_add_nc_u32_e32 v7, 1, v7
	v_add_nc_u32_e32 v8, 16, v8
	;; [unrolled: 1-line block ×3, first 2 shown]
	v_cmp_lt_u32_e32 vcc_lo, 55, v7
	s_or_b32 s5, vcc_lo, s5
	s_waitcnt vmcnt(2) lgkmcnt(0)
	v_mul_f64 v[140:141], v[134:135], v[136:137]
	v_mul_f64 v[136:137], v[132:133], v[136:137]
	s_waitcnt vmcnt(0)
	v_fma_f64 v[132:133], v[132:133], v[138:139], -v[140:141]
	v_fma_f64 v[134:135], v[134:135], v[138:139], v[136:137]
	v_add_f64 v[3:4], v[3:4], v[132:133]
	v_add_f64 v[1:2], v[1:2], v[134:135]
	s_andn2_b32 exec_lo, exec_lo, s5
	s_cbranch_execnz .LBB123_241
; %bb.242:
	s_or_b32 exec_lo, exec_lo, s5
	v_mov_b32_e32 v7, 0
	ds_read_b128 v[132:135], v7 offset:912
	s_waitcnt lgkmcnt(0)
	v_mul_f64 v[7:8], v[1:2], v[134:135]
	v_mul_f64 v[129:130], v[3:4], v[134:135]
	v_fma_f64 v[3:4], v[3:4], v[132:133], -v[7:8]
	v_fma_f64 v[1:2], v[1:2], v[132:133], v[129:130]
	buffer_store_dword v4, off, s[0:3], 0 offset:932
	buffer_store_dword v3, off, s[0:3], 0 offset:928
	;; [unrolled: 1-line block ×4, first 2 shown]
.LBB123_243:
	s_or_b32 exec_lo, exec_lo, s4
	v_mov_b32_e32 v4, s9
	s_waitcnt_vscnt null, 0x0
	s_barrier
	buffer_gl0_inv
	s_mov_b32 s4, exec_lo
	s_clause 0x3
	buffer_load_dword v1, v4, s[0:3], 0 offen
	buffer_load_dword v2, v4, s[0:3], 0 offen offset:4
	buffer_load_dword v3, v4, s[0:3], 0 offen offset:8
	;; [unrolled: 1-line block ×3, first 2 shown]
	s_waitcnt vmcnt(0)
	ds_write_b128 v5, v[1:4]
	s_waitcnt lgkmcnt(0)
	s_barrier
	buffer_gl0_inv
	v_cmpx_gt_u32_e32 58, v0
	s_cbranch_execz .LBB123_247
; %bb.244:
	v_mov_b32_e32 v1, 0
	v_mov_b32_e32 v3, 0
	v_add_nc_u32_e32 v7, -1, v0
	v_add_nc_u32_e32 v8, 0x3c0, v131
	v_mov_b32_e32 v2, 0
	v_mov_b32_e32 v4, 0
	v_add_nc_u32_e32 v129, 16, v131
	s_mov_b32 s5, 0
	.p2align	6
.LBB123_245:                            ; =>This Inner Loop Header: Depth=1
	s_clause 0x3
	buffer_load_dword v136, v129, s[0:3], 0 offen offset:8
	buffer_load_dword v137, v129, s[0:3], 0 offen offset:12
	buffer_load_dword v138, v129, s[0:3], 0 offen
	buffer_load_dword v139, v129, s[0:3], 0 offen offset:4
	ds_read_b128 v[132:135], v8
	v_add_nc_u32_e32 v7, 1, v7
	v_add_nc_u32_e32 v8, 16, v8
	;; [unrolled: 1-line block ×3, first 2 shown]
	v_cmp_lt_u32_e32 vcc_lo, 56, v7
	s_or_b32 s5, vcc_lo, s5
	s_waitcnt vmcnt(2) lgkmcnt(0)
	v_mul_f64 v[140:141], v[134:135], v[136:137]
	v_mul_f64 v[136:137], v[132:133], v[136:137]
	s_waitcnt vmcnt(0)
	v_fma_f64 v[132:133], v[132:133], v[138:139], -v[140:141]
	v_fma_f64 v[134:135], v[134:135], v[138:139], v[136:137]
	v_add_f64 v[3:4], v[3:4], v[132:133]
	v_add_f64 v[1:2], v[1:2], v[134:135]
	s_andn2_b32 exec_lo, exec_lo, s5
	s_cbranch_execnz .LBB123_245
; %bb.246:
	s_or_b32 exec_lo, exec_lo, s5
	v_mov_b32_e32 v7, 0
	ds_read_b128 v[132:135], v7 offset:928
	s_waitcnt lgkmcnt(0)
	v_mul_f64 v[7:8], v[1:2], v[134:135]
	v_mul_f64 v[129:130], v[3:4], v[134:135]
	v_fma_f64 v[3:4], v[3:4], v[132:133], -v[7:8]
	v_fma_f64 v[1:2], v[1:2], v[132:133], v[129:130]
	buffer_store_dword v4, off, s[0:3], 0 offset:948
	buffer_store_dword v3, off, s[0:3], 0 offset:944
	;; [unrolled: 1-line block ×4, first 2 shown]
.LBB123_247:
	s_or_b32 exec_lo, exec_lo, s4
	v_mov_b32_e32 v4, s8
	s_waitcnt_vscnt null, 0x0
	s_barrier
	buffer_gl0_inv
	s_mov_b32 s4, exec_lo
	s_clause 0x3
	buffer_load_dword v1, v4, s[0:3], 0 offen
	buffer_load_dword v2, v4, s[0:3], 0 offen offset:4
	buffer_load_dword v3, v4, s[0:3], 0 offen offset:8
	;; [unrolled: 1-line block ×3, first 2 shown]
	s_waitcnt vmcnt(0)
	ds_write_b128 v5, v[1:4]
	s_waitcnt lgkmcnt(0)
	s_barrier
	buffer_gl0_inv
	v_cmpx_ne_u32_e32 59, v0
	s_cbranch_execz .LBB123_251
; %bb.248:
	v_mov_b32_e32 v1, 0
	v_mov_b32_e32 v3, 0
	;; [unrolled: 1-line block ×4, first 2 shown]
	v_add_nc_u32_e32 v7, 16, v131
	s_mov_b32 s5, 0
	.p2align	6
.LBB123_249:                            ; =>This Inner Loop Header: Depth=1
	s_clause 0x3
	buffer_load_dword v133, v7, s[0:3], 0 offen offset:8
	buffer_load_dword v134, v7, s[0:3], 0 offen offset:12
	buffer_load_dword v135, v7, s[0:3], 0 offen
	buffer_load_dword v136, v7, s[0:3], 0 offen offset:4
	ds_read_b128 v[129:132], v5
	v_add_nc_u32_e32 v6, 1, v6
	v_add_nc_u32_e32 v5, 16, v5
	v_add_nc_u32_e32 v7, 16, v7
	v_cmp_lt_u32_e32 vcc_lo, 57, v6
	s_or_b32 s5, vcc_lo, s5
	s_waitcnt vmcnt(2) lgkmcnt(0)
	v_mul_f64 v[137:138], v[131:132], v[133:134]
	v_mul_f64 v[133:134], v[129:130], v[133:134]
	s_waitcnt vmcnt(0)
	v_fma_f64 v[129:130], v[129:130], v[135:136], -v[137:138]
	v_fma_f64 v[131:132], v[131:132], v[135:136], v[133:134]
	v_add_f64 v[3:4], v[3:4], v[129:130]
	v_add_f64 v[1:2], v[1:2], v[131:132]
	s_andn2_b32 exec_lo, exec_lo, s5
	s_cbranch_execnz .LBB123_249
; %bb.250:
	s_or_b32 exec_lo, exec_lo, s5
	v_mov_b32_e32 v5, 0
	ds_read_b128 v[5:8], v5 offset:944
	s_waitcnt lgkmcnt(0)
	v_mul_f64 v[129:130], v[1:2], v[7:8]
	v_mul_f64 v[7:8], v[3:4], v[7:8]
	v_fma_f64 v[3:4], v[3:4], v[5:6], -v[129:130]
	v_fma_f64 v[1:2], v[1:2], v[5:6], v[7:8]
	buffer_store_dword v4, off, s[0:3], 0 offset:964
	buffer_store_dword v3, off, s[0:3], 0 offset:960
	;; [unrolled: 1-line block ×4, first 2 shown]
.LBB123_251:
	s_or_b32 exec_lo, exec_lo, s4
	s_mov_b32 s5, -1
	s_waitcnt_vscnt null, 0x0
	s_barrier
	buffer_gl0_inv
.LBB123_252:
	s_and_b32 vcc_lo, exec_lo, s5
	s_cbranch_vccz .LBB123_254
; %bb.253:
	s_lshl_b64 s[4:5], s[6:7], 2
	v_mov_b32_e32 v1, 0
	s_add_u32 s4, s10, s4
	s_addc_u32 s5, s11, s5
	global_load_dword v1, v1, s[4:5]
	s_waitcnt vmcnt(0)
	v_cmp_ne_u32_e32 vcc_lo, 0, v1
	s_cbranch_vccz .LBB123_255
.LBB123_254:
	s_endpgm
.LBB123_255:
	v_lshl_add_u32 v189, v0, 4, 0x3c0
	s_mov_b32 s4, exec_lo
	v_cmpx_eq_u32_e32 59, v0
	s_cbranch_execz .LBB123_257
; %bb.256:
	v_mov_b32_e32 v4, s9
	v_mov_b32_e32 v5, 0
	s_clause 0x3
	buffer_load_dword v1, v4, s[0:3], 0 offen
	buffer_load_dword v2, v4, s[0:3], 0 offen offset:4
	buffer_load_dword v3, v4, s[0:3], 0 offen offset:8
	buffer_load_dword v4, v4, s[0:3], 0 offen offset:12
	buffer_store_dword v5, off, s[0:3], 0 offset:944
	buffer_store_dword v5, off, s[0:3], 0 offset:948
	;; [unrolled: 1-line block ×4, first 2 shown]
	s_waitcnt vmcnt(0)
	ds_write_b128 v189, v[1:4]
.LBB123_257:
	s_or_b32 exec_lo, exec_lo, s4
	s_waitcnt lgkmcnt(0)
	s_waitcnt_vscnt null, 0x0
	s_barrier
	buffer_gl0_inv
	s_clause 0x7
	buffer_load_dword v6, off, s[0:3], 0 offset:968
	buffer_load_dword v7, off, s[0:3], 0 offset:972
	;; [unrolled: 1-line block ×8, first 2 shown]
	v_mov_b32_e32 v1, 0
	s_mov_b32 s4, exec_lo
	ds_read_b128 v[2:5], v1 offset:1904
	s_waitcnt vmcnt(6) lgkmcnt(0)
	v_mul_f64 v[135:136], v[4:5], v[6:7]
	v_mul_f64 v[6:7], v[2:3], v[6:7]
	s_waitcnt vmcnt(4)
	v_fma_f64 v[2:3], v[2:3], v[129:130], -v[135:136]
	v_fma_f64 v[4:5], v[4:5], v[129:130], v[6:7]
	v_add_f64 v[2:3], v[2:3], 0
	v_add_f64 v[4:5], v[4:5], 0
	s_waitcnt vmcnt(2)
	v_add_f64 v[2:3], v[131:132], -v[2:3]
	s_waitcnt vmcnt(0)
	v_add_f64 v[4:5], v[133:134], -v[4:5]
	buffer_store_dword v2, off, s[0:3], 0 offset:944
	buffer_store_dword v3, off, s[0:3], 0 offset:948
	;; [unrolled: 1-line block ×4, first 2 shown]
	v_cmpx_lt_u32_e32 57, v0
	s_cbranch_execz .LBB123_259
; %bb.258:
	v_mov_b32_e32 v5, s14
	s_clause 0x3
	buffer_load_dword v2, v5, s[0:3], 0 offen
	buffer_load_dword v3, v5, s[0:3], 0 offen offset:4
	buffer_load_dword v4, v5, s[0:3], 0 offen offset:8
	;; [unrolled: 1-line block ×3, first 2 shown]
	buffer_store_dword v1, off, s[0:3], 0 offset:928
	buffer_store_dword v1, off, s[0:3], 0 offset:932
	;; [unrolled: 1-line block ×4, first 2 shown]
	s_waitcnt vmcnt(0)
	ds_write_b128 v189, v[2:5]
.LBB123_259:
	s_or_b32 exec_lo, exec_lo, s4
	s_waitcnt lgkmcnt(0)
	s_waitcnt_vscnt null, 0x0
	s_barrier
	buffer_gl0_inv
	s_clause 0xb
	buffer_load_dword v6, off, s[0:3], 0 offset:952
	buffer_load_dword v7, off, s[0:3], 0 offset:956
	;; [unrolled: 1-line block ×12, first 2 shown]
	ds_read_b128 v[2:5], v1 offset:1888
	ds_read_b128 v[129:132], v1 offset:1904
	s_mov_b32 s4, exec_lo
	s_waitcnt vmcnt(10) lgkmcnt(1)
	v_mul_f64 v[143:144], v[4:5], v[6:7]
	v_mul_f64 v[6:7], v[2:3], v[6:7]
	s_waitcnt vmcnt(8) lgkmcnt(0)
	v_mul_f64 v[145:146], v[131:132], v[133:134]
	v_mul_f64 v[133:134], v[129:130], v[133:134]
	s_waitcnt vmcnt(6)
	v_fma_f64 v[1:2], v[2:3], v[135:136], -v[143:144]
	v_fma_f64 v[3:4], v[4:5], v[135:136], v[6:7]
	s_waitcnt vmcnt(4)
	v_fma_f64 v[5:6], v[129:130], v[137:138], -v[145:146]
	v_fma_f64 v[7:8], v[131:132], v[137:138], v[133:134]
	v_add_f64 v[1:2], v[1:2], 0
	v_add_f64 v[3:4], v[3:4], 0
	;; [unrolled: 1-line block ×4, first 2 shown]
	s_waitcnt vmcnt(2)
	v_add_f64 v[1:2], v[139:140], -v[1:2]
	s_waitcnt vmcnt(0)
	v_add_f64 v[3:4], v[141:142], -v[3:4]
	buffer_store_dword v1, off, s[0:3], 0 offset:928
	buffer_store_dword v2, off, s[0:3], 0 offset:932
	;; [unrolled: 1-line block ×4, first 2 shown]
	v_cmpx_lt_u32_e32 56, v0
	s_cbranch_execz .LBB123_261
; %bb.260:
	v_mov_b32_e32 v4, s15
	v_mov_b32_e32 v5, 0
	s_clause 0x3
	buffer_load_dword v1, v4, s[0:3], 0 offen
	buffer_load_dword v2, v4, s[0:3], 0 offen offset:4
	buffer_load_dword v3, v4, s[0:3], 0 offen offset:8
	;; [unrolled: 1-line block ×3, first 2 shown]
	buffer_store_dword v5, off, s[0:3], 0 offset:912
	buffer_store_dword v5, off, s[0:3], 0 offset:916
	;; [unrolled: 1-line block ×4, first 2 shown]
	s_waitcnt vmcnt(0)
	ds_write_b128 v189, v[1:4]
.LBB123_261:
	s_or_b32 exec_lo, exec_lo, s4
	s_waitcnt lgkmcnt(0)
	s_waitcnt_vscnt null, 0x0
	s_barrier
	buffer_gl0_inv
	s_clause 0xf
	buffer_load_dword v6, off, s[0:3], 0 offset:936
	buffer_load_dword v7, off, s[0:3], 0 offset:940
	;; [unrolled: 1-line block ×16, first 2 shown]
	v_mov_b32_e32 v1, 0
	ds_read_b128 v[2:5], v1 offset:1872
	ds_read_b128 v[129:132], v1 offset:1888
	;; [unrolled: 1-line block ×3, first 2 shown]
	s_mov_b32 s4, exec_lo
	s_waitcnt vmcnt(14) lgkmcnt(2)
	v_mul_f64 v[151:152], v[4:5], v[6:7]
	v_mul_f64 v[6:7], v[2:3], v[6:7]
	s_waitcnt vmcnt(12) lgkmcnt(1)
	v_mul_f64 v[153:154], v[131:132], v[137:138]
	v_mul_f64 v[137:138], v[129:130], v[137:138]
	s_waitcnt vmcnt(10)
	v_fma_f64 v[2:3], v[2:3], v[139:140], -v[151:152]
	v_fma_f64 v[4:5], v[4:5], v[139:140], v[6:7]
	s_waitcnt vmcnt(8) lgkmcnt(0)
	v_mul_f64 v[139:140], v[135:136], v[141:142]
	s_waitcnt vmcnt(6)
	v_fma_f64 v[129:130], v[129:130], v[143:144], -v[153:154]
	v_mul_f64 v[6:7], v[133:134], v[141:142]
	v_fma_f64 v[131:132], v[131:132], v[143:144], v[137:138]
	v_add_f64 v[2:3], v[2:3], 0
	v_add_f64 v[4:5], v[4:5], 0
	s_waitcnt vmcnt(4)
	v_fma_f64 v[133:134], v[133:134], v[145:146], -v[139:140]
	v_fma_f64 v[6:7], v[135:136], v[145:146], v[6:7]
	v_add_f64 v[2:3], v[2:3], v[129:130]
	v_add_f64 v[4:5], v[4:5], v[131:132]
	;; [unrolled: 1-line block ×4, first 2 shown]
	s_waitcnt vmcnt(2)
	v_add_f64 v[2:3], v[147:148], -v[2:3]
	s_waitcnt vmcnt(0)
	v_add_f64 v[4:5], v[149:150], -v[4:5]
	buffer_store_dword v2, off, s[0:3], 0 offset:912
	buffer_store_dword v3, off, s[0:3], 0 offset:916
	;; [unrolled: 1-line block ×4, first 2 shown]
	v_cmpx_lt_u32_e32 55, v0
	s_cbranch_execz .LBB123_263
; %bb.262:
	v_mov_b32_e32 v5, s16
	s_clause 0x3
	buffer_load_dword v2, v5, s[0:3], 0 offen
	buffer_load_dword v3, v5, s[0:3], 0 offen offset:4
	buffer_load_dword v4, v5, s[0:3], 0 offen offset:8
	;; [unrolled: 1-line block ×3, first 2 shown]
	buffer_store_dword v1, off, s[0:3], 0 offset:896
	buffer_store_dword v1, off, s[0:3], 0 offset:900
	;; [unrolled: 1-line block ×4, first 2 shown]
	s_waitcnt vmcnt(0)
	ds_write_b128 v189, v[2:5]
.LBB123_263:
	s_or_b32 exec_lo, exec_lo, s4
	s_waitcnt lgkmcnt(0)
	s_waitcnt_vscnt null, 0x0
	s_barrier
	buffer_gl0_inv
	s_clause 0x13
	buffer_load_dword v6, off, s[0:3], 0 offset:920
	buffer_load_dword v7, off, s[0:3], 0 offset:924
	;; [unrolled: 1-line block ×20, first 2 shown]
	ds_read_b128 v[2:5], v1 offset:1856
	ds_read_b128 v[129:132], v1 offset:1872
	;; [unrolled: 1-line block ×3, first 2 shown]
	s_mov_b32 s4, exec_lo
	s_waitcnt vmcnt(18) lgkmcnt(2)
	v_mul_f64 v[155:156], v[4:5], v[6:7]
	v_mul_f64 v[6:7], v[2:3], v[6:7]
	s_waitcnt vmcnt(16) lgkmcnt(1)
	v_mul_f64 v[157:158], v[131:132], v[137:138]
	v_mul_f64 v[137:138], v[129:130], v[137:138]
	s_waitcnt vmcnt(14)
	v_fma_f64 v[155:156], v[2:3], v[139:140], -v[155:156]
	v_fma_f64 v[5:6], v[4:5], v[139:140], v[6:7]
	s_waitcnt vmcnt(12) lgkmcnt(0)
	v_mul_f64 v[7:8], v[133:134], v[141:142]
	v_mul_f64 v[139:140], v[135:136], v[141:142]
	s_waitcnt vmcnt(10)
	v_fma_f64 v[129:130], v[129:130], v[143:144], -v[157:158]
	ds_read_b128 v[1:4], v1 offset:1904
	v_fma_f64 v[131:132], v[131:132], v[143:144], v[137:138]
	v_add_f64 v[141:142], v[155:156], 0
	v_add_f64 v[5:6], v[5:6], 0
	s_waitcnt vmcnt(6)
	v_fma_f64 v[7:8], v[135:136], v[147:148], v[7:8]
	s_waitcnt lgkmcnt(0)
	v_mul_f64 v[143:144], v[3:4], v[145:146]
	v_fma_f64 v[133:134], v[133:134], v[147:148], -v[139:140]
	v_mul_f64 v[137:138], v[1:2], v[145:146]
	v_add_f64 v[129:130], v[141:142], v[129:130]
	v_add_f64 v[5:6], v[5:6], v[131:132]
	s_waitcnt vmcnt(4)
	v_fma_f64 v[1:2], v[1:2], v[149:150], -v[143:144]
	v_fma_f64 v[3:4], v[3:4], v[149:150], v[137:138]
	v_add_f64 v[129:130], v[129:130], v[133:134]
	v_add_f64 v[5:6], v[5:6], v[7:8]
	;; [unrolled: 1-line block ×4, first 2 shown]
	s_waitcnt vmcnt(2)
	v_add_f64 v[1:2], v[151:152], -v[1:2]
	s_waitcnt vmcnt(0)
	v_add_f64 v[3:4], v[153:154], -v[3:4]
	buffer_store_dword v1, off, s[0:3], 0 offset:896
	buffer_store_dword v2, off, s[0:3], 0 offset:900
	;; [unrolled: 1-line block ×4, first 2 shown]
	v_cmpx_lt_u32_e32 54, v0
	s_cbranch_execz .LBB123_265
; %bb.264:
	v_mov_b32_e32 v4, s17
	v_mov_b32_e32 v5, 0
	s_clause 0x3
	buffer_load_dword v1, v4, s[0:3], 0 offen
	buffer_load_dword v2, v4, s[0:3], 0 offen offset:4
	buffer_load_dword v3, v4, s[0:3], 0 offen offset:8
	;; [unrolled: 1-line block ×3, first 2 shown]
	buffer_store_dword v5, off, s[0:3], 0 offset:880
	buffer_store_dword v5, off, s[0:3], 0 offset:884
	;; [unrolled: 1-line block ×4, first 2 shown]
	s_waitcnt vmcnt(0)
	ds_write_b128 v189, v[1:4]
.LBB123_265:
	s_or_b32 exec_lo, exec_lo, s4
	s_waitcnt lgkmcnt(0)
	s_waitcnt_vscnt null, 0x0
	s_barrier
	buffer_gl0_inv
	s_clause 0x17
	buffer_load_dword v6, off, s[0:3], 0 offset:904
	buffer_load_dword v7, off, s[0:3], 0 offset:908
	;; [unrolled: 1-line block ×24, first 2 shown]
	v_mov_b32_e32 v1, 0
	ds_read_b128 v[2:5], v1 offset:1840
	ds_read_b128 v[129:132], v1 offset:1856
	;; [unrolled: 1-line block ×3, first 2 shown]
	s_mov_b32 s4, exec_lo
	s_waitcnt vmcnt(22) lgkmcnt(2)
	v_mul_f64 v[159:160], v[4:5], v[6:7]
	v_mul_f64 v[6:7], v[2:3], v[6:7]
	s_waitcnt vmcnt(20) lgkmcnt(1)
	v_mul_f64 v[161:162], v[131:132], v[137:138]
	v_mul_f64 v[137:138], v[129:130], v[137:138]
	s_waitcnt vmcnt(18)
	v_fma_f64 v[159:160], v[2:3], v[139:140], -v[159:160]
	v_fma_f64 v[6:7], v[4:5], v[139:140], v[6:7]
	ds_read_b128 v[2:5], v1 offset:1888
	s_waitcnt vmcnt(16) lgkmcnt(1)
	v_mul_f64 v[139:140], v[133:134], v[141:142]
	v_mul_f64 v[141:142], v[135:136], v[141:142]
	s_waitcnt vmcnt(14)
	v_fma_f64 v[161:162], v[129:130], v[143:144], -v[161:162]
	v_fma_f64 v[137:138], v[131:132], v[143:144], v[137:138]
	ds_read_b128 v[129:132], v1 offset:1904
	s_waitcnt vmcnt(10) lgkmcnt(1)
	v_mul_f64 v[143:144], v[2:3], v[145:146]
	v_add_f64 v[159:160], v[159:160], 0
	v_add_f64 v[6:7], v[6:7], 0
	v_mul_f64 v[145:146], v[4:5], v[145:146]
	s_waitcnt vmcnt(8)
	v_fma_f64 v[133:134], v[133:134], v[151:152], -v[141:142]
	v_fma_f64 v[135:136], v[135:136], v[151:152], v[139:140]
	s_waitcnt vmcnt(7) lgkmcnt(0)
	v_mul_f64 v[139:140], v[131:132], v[147:148]
	s_waitcnt vmcnt(5)
	v_fma_f64 v[4:5], v[4:5], v[153:154], v[143:144]
	v_add_f64 v[141:142], v[159:160], v[161:162]
	v_add_f64 v[6:7], v[6:7], v[137:138]
	v_fma_f64 v[2:3], v[2:3], v[153:154], -v[145:146]
	v_mul_f64 v[137:138], v[129:130], v[147:148]
	s_waitcnt vmcnt(4)
	v_fma_f64 v[129:130], v[129:130], v[149:150], -v[139:140]
	v_add_f64 v[133:134], v[141:142], v[133:134]
	v_add_f64 v[6:7], v[6:7], v[135:136]
	v_fma_f64 v[131:132], v[131:132], v[149:150], v[137:138]
	v_add_f64 v[2:3], v[133:134], v[2:3]
	v_add_f64 v[4:5], v[6:7], v[4:5]
	;; [unrolled: 1-line block ×4, first 2 shown]
	s_waitcnt vmcnt(2)
	v_add_f64 v[2:3], v[155:156], -v[2:3]
	s_waitcnt vmcnt(0)
	v_add_f64 v[4:5], v[157:158], -v[4:5]
	buffer_store_dword v3, off, s[0:3], 0 offset:884
	buffer_store_dword v2, off, s[0:3], 0 offset:880
	;; [unrolled: 1-line block ×4, first 2 shown]
	v_cmpx_lt_u32_e32 53, v0
	s_cbranch_execz .LBB123_267
; %bb.266:
	v_mov_b32_e32 v5, s18
	s_clause 0x3
	buffer_load_dword v2, v5, s[0:3], 0 offen
	buffer_load_dword v3, v5, s[0:3], 0 offen offset:4
	buffer_load_dword v4, v5, s[0:3], 0 offen offset:8
	;; [unrolled: 1-line block ×3, first 2 shown]
	buffer_store_dword v1, off, s[0:3], 0 offset:864
	buffer_store_dword v1, off, s[0:3], 0 offset:868
	buffer_store_dword v1, off, s[0:3], 0 offset:872
	buffer_store_dword v1, off, s[0:3], 0 offset:876
	s_waitcnt vmcnt(0)
	ds_write_b128 v189, v[2:5]
.LBB123_267:
	s_or_b32 exec_lo, exec_lo, s4
	s_waitcnt lgkmcnt(0)
	s_waitcnt_vscnt null, 0x0
	s_barrier
	buffer_gl0_inv
	s_clause 0x1b
	buffer_load_dword v6, off, s[0:3], 0 offset:888
	buffer_load_dword v7, off, s[0:3], 0 offset:892
	;; [unrolled: 1-line block ×28, first 2 shown]
	ds_read_b128 v[2:5], v1 offset:1824
	ds_read_b128 v[129:132], v1 offset:1840
	;; [unrolled: 1-line block ×3, first 2 shown]
	s_mov_b32 s4, exec_lo
	s_waitcnt vmcnt(26) lgkmcnt(2)
	v_mul_f64 v[163:164], v[4:5], v[6:7]
	v_mul_f64 v[6:7], v[2:3], v[6:7]
	s_waitcnt vmcnt(24) lgkmcnt(1)
	v_mul_f64 v[165:166], v[131:132], v[137:138]
	v_mul_f64 v[137:138], v[129:130], v[137:138]
	s_waitcnt vmcnt(22)
	v_fma_f64 v[163:164], v[2:3], v[139:140], -v[163:164]
	v_fma_f64 v[6:7], v[4:5], v[139:140], v[6:7]
	ds_read_b128 v[2:5], v1 offset:1872
	s_waitcnt vmcnt(20) lgkmcnt(1)
	v_mul_f64 v[139:140], v[133:134], v[141:142]
	v_mul_f64 v[141:142], v[135:136], v[141:142]
	s_waitcnt vmcnt(18)
	v_fma_f64 v[165:166], v[129:130], v[143:144], -v[165:166]
	v_fma_f64 v[137:138], v[131:132], v[143:144], v[137:138]
	ds_read_b128 v[129:132], v1 offset:1888
	s_waitcnt vmcnt(14) lgkmcnt(1)
	v_mul_f64 v[143:144], v[2:3], v[145:146]
	v_add_f64 v[163:164], v[163:164], 0
	v_add_f64 v[6:7], v[6:7], 0
	v_mul_f64 v[145:146], v[4:5], v[145:146]
	s_waitcnt vmcnt(12)
	v_fma_f64 v[141:142], v[133:134], v[151:152], -v[141:142]
	v_fma_f64 v[139:140], v[135:136], v[151:152], v[139:140]
	ds_read_b128 v[133:136], v1 offset:1904
	v_add_f64 v[163:164], v[163:164], v[165:166]
	v_add_f64 v[6:7], v[6:7], v[137:138]
	s_waitcnt vmcnt(11) lgkmcnt(1)
	v_mul_f64 v[137:138], v[129:130], v[147:148]
	v_mul_f64 v[147:148], v[131:132], v[147:148]
	s_waitcnt vmcnt(9)
	v_fma_f64 v[1:2], v[2:3], v[153:154], -v[145:146]
	v_fma_f64 v[3:4], v[4:5], v[153:154], v[143:144]
	v_add_f64 v[141:142], v[163:164], v[141:142]
	v_add_f64 v[5:6], v[6:7], v[139:140]
	s_waitcnt vmcnt(7) lgkmcnt(0)
	v_mul_f64 v[139:140], v[135:136], v[155:156]
	s_waitcnt vmcnt(6)
	v_fma_f64 v[129:130], v[129:130], v[149:150], -v[147:148]
	v_mul_f64 v[7:8], v[133:134], v[155:156]
	v_fma_f64 v[131:132], v[131:132], v[149:150], v[137:138]
	v_add_f64 v[1:2], v[141:142], v[1:2]
	v_add_f64 v[3:4], v[5:6], v[3:4]
	s_waitcnt vmcnt(4)
	v_fma_f64 v[5:6], v[133:134], v[157:158], -v[139:140]
	v_fma_f64 v[7:8], v[135:136], v[157:158], v[7:8]
	v_add_f64 v[1:2], v[1:2], v[129:130]
	v_add_f64 v[3:4], v[3:4], v[131:132]
	;; [unrolled: 1-line block ×4, first 2 shown]
	s_waitcnt vmcnt(2)
	v_add_f64 v[1:2], v[159:160], -v[1:2]
	s_waitcnt vmcnt(0)
	v_add_f64 v[3:4], v[161:162], -v[3:4]
	buffer_store_dword v2, off, s[0:3], 0 offset:868
	buffer_store_dword v1, off, s[0:3], 0 offset:864
	;; [unrolled: 1-line block ×4, first 2 shown]
	v_cmpx_lt_u32_e32 52, v0
	s_cbranch_execz .LBB123_269
; %bb.268:
	v_mov_b32_e32 v4, s19
	v_mov_b32_e32 v5, 0
	s_clause 0x3
	buffer_load_dword v1, v4, s[0:3], 0 offen
	buffer_load_dword v2, v4, s[0:3], 0 offen offset:4
	buffer_load_dword v3, v4, s[0:3], 0 offen offset:8
	buffer_load_dword v4, v4, s[0:3], 0 offen offset:12
	buffer_store_dword v5, off, s[0:3], 0 offset:848
	buffer_store_dword v5, off, s[0:3], 0 offset:852
	;; [unrolled: 1-line block ×4, first 2 shown]
	s_waitcnt vmcnt(0)
	ds_write_b128 v189, v[1:4]
.LBB123_269:
	s_or_b32 exec_lo, exec_lo, s4
	s_waitcnt lgkmcnt(0)
	s_waitcnt_vscnt null, 0x0
	s_barrier
	buffer_gl0_inv
	s_clause 0x1f
	buffer_load_dword v6, off, s[0:3], 0 offset:872
	buffer_load_dword v7, off, s[0:3], 0 offset:876
	;; [unrolled: 1-line block ×32, first 2 shown]
	v_mov_b32_e32 v1, 0
	ds_read_b128 v[2:5], v1 offset:1808
	ds_read_b128 v[129:132], v1 offset:1824
	;; [unrolled: 1-line block ×3, first 2 shown]
	s_mov_b32 s4, exec_lo
	s_waitcnt vmcnt(30) lgkmcnt(2)
	v_mul_f64 v[167:168], v[4:5], v[6:7]
	v_mul_f64 v[6:7], v[2:3], v[6:7]
	s_waitcnt vmcnt(28) lgkmcnt(1)
	v_mul_f64 v[169:170], v[131:132], v[137:138]
	v_mul_f64 v[137:138], v[129:130], v[137:138]
	s_waitcnt vmcnt(26)
	v_fma_f64 v[167:168], v[2:3], v[139:140], -v[167:168]
	v_fma_f64 v[6:7], v[4:5], v[139:140], v[6:7]
	ds_read_b128 v[2:5], v1 offset:1856
	s_waitcnt vmcnt(24) lgkmcnt(1)
	v_mul_f64 v[139:140], v[133:134], v[141:142]
	v_mul_f64 v[141:142], v[135:136], v[141:142]
	s_waitcnt vmcnt(22)
	v_fma_f64 v[169:170], v[129:130], v[143:144], -v[169:170]
	v_fma_f64 v[137:138], v[131:132], v[143:144], v[137:138]
	ds_read_b128 v[129:132], v1 offset:1872
	s_waitcnt vmcnt(18) lgkmcnt(1)
	v_mul_f64 v[143:144], v[2:3], v[145:146]
	v_add_f64 v[167:168], v[167:168], 0
	v_add_f64 v[6:7], v[6:7], 0
	v_mul_f64 v[145:146], v[4:5], v[145:146]
	s_waitcnt vmcnt(16)
	v_fma_f64 v[141:142], v[133:134], v[151:152], -v[141:142]
	v_fma_f64 v[139:140], v[135:136], v[151:152], v[139:140]
	ds_read_b128 v[133:136], v1 offset:1888
	s_waitcnt vmcnt(13)
	v_fma_f64 v[143:144], v[4:5], v[153:154], v[143:144]
	v_add_f64 v[167:168], v[167:168], v[169:170]
	v_add_f64 v[6:7], v[6:7], v[137:138]
	s_waitcnt lgkmcnt(1)
	v_mul_f64 v[137:138], v[129:130], v[147:148]
	v_mul_f64 v[147:148], v[131:132], v[147:148]
	v_fma_f64 v[145:146], v[2:3], v[153:154], -v[145:146]
	s_waitcnt vmcnt(9) lgkmcnt(0)
	v_mul_f64 v[151:152], v[135:136], v[155:156]
	ds_read_b128 v[2:5], v1 offset:1904
	v_add_f64 v[141:142], v[167:168], v[141:142]
	v_add_f64 v[6:7], v[6:7], v[139:140]
	v_mul_f64 v[139:140], v[133:134], v[155:156]
	s_waitcnt vmcnt(8)
	v_fma_f64 v[129:130], v[129:130], v[149:150], -v[147:148]
	v_fma_f64 v[131:132], v[131:132], v[149:150], v[137:138]
	s_waitcnt vmcnt(5)
	v_fma_f64 v[133:134], v[133:134], v[161:162], -v[151:152]
	s_waitcnt lgkmcnt(0)
	v_mul_f64 v[137:138], v[2:3], v[157:158]
	v_add_f64 v[141:142], v[141:142], v[145:146]
	v_add_f64 v[6:7], v[6:7], v[143:144]
	v_mul_f64 v[143:144], v[4:5], v[157:158]
	v_fma_f64 v[135:136], v[135:136], v[161:162], v[139:140]
	s_waitcnt vmcnt(4)
	v_fma_f64 v[4:5], v[4:5], v[159:160], v[137:138]
	v_add_f64 v[129:130], v[141:142], v[129:130]
	v_add_f64 v[6:7], v[6:7], v[131:132]
	v_fma_f64 v[2:3], v[2:3], v[159:160], -v[143:144]
	v_add_f64 v[129:130], v[129:130], v[133:134]
	v_add_f64 v[6:7], v[6:7], v[135:136]
	;; [unrolled: 1-line block ×4, first 2 shown]
	s_waitcnt vmcnt(2)
	v_add_f64 v[2:3], v[163:164], -v[2:3]
	s_waitcnt vmcnt(0)
	v_add_f64 v[4:5], v[165:166], -v[4:5]
	buffer_store_dword v3, off, s[0:3], 0 offset:852
	buffer_store_dword v2, off, s[0:3], 0 offset:848
	;; [unrolled: 1-line block ×4, first 2 shown]
	v_cmpx_lt_u32_e32 51, v0
	s_cbranch_execz .LBB123_271
; %bb.270:
	v_mov_b32_e32 v5, s20
	s_clause 0x3
	buffer_load_dword v2, v5, s[0:3], 0 offen
	buffer_load_dword v3, v5, s[0:3], 0 offen offset:4
	buffer_load_dword v4, v5, s[0:3], 0 offen offset:8
	;; [unrolled: 1-line block ×3, first 2 shown]
	buffer_store_dword v1, off, s[0:3], 0 offset:832
	buffer_store_dword v1, off, s[0:3], 0 offset:836
	;; [unrolled: 1-line block ×4, first 2 shown]
	s_waitcnt vmcnt(0)
	ds_write_b128 v189, v[2:5]
.LBB123_271:
	s_or_b32 exec_lo, exec_lo, s4
	s_waitcnt lgkmcnt(0)
	s_waitcnt_vscnt null, 0x0
	s_barrier
	buffer_gl0_inv
	s_clause 0x23
	buffer_load_dword v6, off, s[0:3], 0 offset:856
	buffer_load_dword v7, off, s[0:3], 0 offset:860
	;; [unrolled: 1-line block ×36, first 2 shown]
	ds_read_b128 v[2:5], v1 offset:1792
	ds_read_b128 v[129:132], v1 offset:1808
	;; [unrolled: 1-line block ×3, first 2 shown]
	s_mov_b32 s4, exec_lo
	s_waitcnt vmcnt(34) lgkmcnt(2)
	v_mul_f64 v[171:172], v[4:5], v[6:7]
	v_mul_f64 v[6:7], v[2:3], v[6:7]
	s_waitcnt vmcnt(32) lgkmcnt(1)
	v_mul_f64 v[173:174], v[131:132], v[137:138]
	v_mul_f64 v[137:138], v[129:130], v[137:138]
	s_waitcnt vmcnt(30)
	v_fma_f64 v[171:172], v[2:3], v[139:140], -v[171:172]
	v_fma_f64 v[6:7], v[4:5], v[139:140], v[6:7]
	ds_read_b128 v[2:5], v1 offset:1840
	s_waitcnt vmcnt(28) lgkmcnt(1)
	v_mul_f64 v[139:140], v[133:134], v[141:142]
	v_mul_f64 v[141:142], v[135:136], v[141:142]
	s_waitcnt vmcnt(26)
	v_fma_f64 v[173:174], v[129:130], v[143:144], -v[173:174]
	v_fma_f64 v[137:138], v[131:132], v[143:144], v[137:138]
	ds_read_b128 v[129:132], v1 offset:1856
	s_waitcnt vmcnt(22) lgkmcnt(1)
	v_mul_f64 v[143:144], v[2:3], v[145:146]
	v_add_f64 v[171:172], v[171:172], 0
	v_add_f64 v[6:7], v[6:7], 0
	v_mul_f64 v[145:146], v[4:5], v[145:146]
	s_waitcnt vmcnt(20)
	v_fma_f64 v[141:142], v[133:134], v[151:152], -v[141:142]
	v_fma_f64 v[139:140], v[135:136], v[151:152], v[139:140]
	ds_read_b128 v[133:136], v1 offset:1872
	s_waitcnt vmcnt(17)
	v_fma_f64 v[143:144], v[4:5], v[153:154], v[143:144]
	v_add_f64 v[171:172], v[171:172], v[173:174]
	v_add_f64 v[6:7], v[6:7], v[137:138]
	s_waitcnt lgkmcnt(1)
	v_mul_f64 v[137:138], v[129:130], v[147:148]
	v_mul_f64 v[147:148], v[131:132], v[147:148]
	v_fma_f64 v[145:146], v[2:3], v[153:154], -v[145:146]
	s_waitcnt vmcnt(13) lgkmcnt(0)
	v_mul_f64 v[151:152], v[135:136], v[155:156]
	ds_read_b128 v[2:5], v1 offset:1888
	v_add_f64 v[141:142], v[171:172], v[141:142]
	v_add_f64 v[6:7], v[6:7], v[139:140]
	v_mul_f64 v[139:140], v[133:134], v[155:156]
	s_waitcnt vmcnt(12)
	v_fma_f64 v[147:148], v[129:130], v[149:150], -v[147:148]
	v_fma_f64 v[137:138], v[131:132], v[149:150], v[137:138]
	ds_read_b128 v[129:132], v1 offset:1904
	s_waitcnt vmcnt(9)
	v_fma_f64 v[133:134], v[133:134], v[161:162], -v[151:152]
	v_add_f64 v[141:142], v[141:142], v[145:146]
	v_add_f64 v[6:7], v[6:7], v[143:144]
	s_waitcnt lgkmcnt(1)
	v_mul_f64 v[145:146], v[4:5], v[157:158]
	v_mul_f64 v[143:144], v[2:3], v[157:158]
	v_fma_f64 v[135:136], v[135:136], v[161:162], v[139:140]
	s_waitcnt vmcnt(7) lgkmcnt(0)
	v_mul_f64 v[139:140], v[131:132], v[163:164]
	v_add_f64 v[141:142], v[141:142], v[147:148]
	v_add_f64 v[6:7], v[6:7], v[137:138]
	s_waitcnt vmcnt(6)
	v_fma_f64 v[1:2], v[2:3], v[159:160], -v[145:146]
	v_mul_f64 v[137:138], v[129:130], v[163:164]
	v_fma_f64 v[3:4], v[4:5], v[159:160], v[143:144]
	v_add_f64 v[133:134], v[141:142], v[133:134]
	v_add_f64 v[5:6], v[6:7], v[135:136]
	s_waitcnt vmcnt(4)
	v_fma_f64 v[7:8], v[129:130], v[165:166], -v[139:140]
	v_fma_f64 v[129:130], v[131:132], v[165:166], v[137:138]
	v_add_f64 v[1:2], v[133:134], v[1:2]
	v_add_f64 v[3:4], v[5:6], v[3:4]
	;; [unrolled: 1-line block ×4, first 2 shown]
	s_waitcnt vmcnt(2)
	v_add_f64 v[1:2], v[167:168], -v[1:2]
	s_waitcnt vmcnt(0)
	v_add_f64 v[3:4], v[169:170], -v[3:4]
	buffer_store_dword v2, off, s[0:3], 0 offset:836
	buffer_store_dword v1, off, s[0:3], 0 offset:832
	;; [unrolled: 1-line block ×4, first 2 shown]
	v_cmpx_lt_u32_e32 50, v0
	s_cbranch_execz .LBB123_273
; %bb.272:
	v_mov_b32_e32 v4, s21
	v_mov_b32_e32 v5, 0
	s_clause 0x3
	buffer_load_dword v1, v4, s[0:3], 0 offen
	buffer_load_dword v2, v4, s[0:3], 0 offen offset:4
	buffer_load_dword v3, v4, s[0:3], 0 offen offset:8
	;; [unrolled: 1-line block ×3, first 2 shown]
	buffer_store_dword v5, off, s[0:3], 0 offset:816
	buffer_store_dword v5, off, s[0:3], 0 offset:820
	;; [unrolled: 1-line block ×4, first 2 shown]
	s_waitcnt vmcnt(0)
	ds_write_b128 v189, v[1:4]
.LBB123_273:
	s_or_b32 exec_lo, exec_lo, s4
	s_waitcnt lgkmcnt(0)
	s_waitcnt_vscnt null, 0x0
	s_barrier
	buffer_gl0_inv
	s_clause 0x27
	buffer_load_dword v6, off, s[0:3], 0 offset:840
	buffer_load_dword v7, off, s[0:3], 0 offset:844
	;; [unrolled: 1-line block ×40, first 2 shown]
	v_mov_b32_e32 v1, 0
	ds_read_b128 v[2:5], v1 offset:1776
	ds_read_b128 v[129:132], v1 offset:1792
	;; [unrolled: 1-line block ×3, first 2 shown]
	s_mov_b32 s4, exec_lo
	s_waitcnt vmcnt(38) lgkmcnt(2)
	v_mul_f64 v[175:176], v[4:5], v[6:7]
	v_mul_f64 v[6:7], v[2:3], v[6:7]
	s_waitcnt vmcnt(36) lgkmcnt(1)
	v_mul_f64 v[177:178], v[131:132], v[137:138]
	v_mul_f64 v[137:138], v[129:130], v[137:138]
	s_waitcnt vmcnt(34)
	v_fma_f64 v[175:176], v[2:3], v[139:140], -v[175:176]
	v_fma_f64 v[6:7], v[4:5], v[139:140], v[6:7]
	ds_read_b128 v[2:5], v1 offset:1824
	s_waitcnt vmcnt(32) lgkmcnt(1)
	v_mul_f64 v[139:140], v[133:134], v[141:142]
	v_mul_f64 v[141:142], v[135:136], v[141:142]
	s_waitcnt vmcnt(30)
	v_fma_f64 v[177:178], v[129:130], v[143:144], -v[177:178]
	v_fma_f64 v[137:138], v[131:132], v[143:144], v[137:138]
	ds_read_b128 v[129:132], v1 offset:1840
	s_waitcnt vmcnt(26) lgkmcnt(1)
	v_mul_f64 v[143:144], v[2:3], v[145:146]
	v_add_f64 v[175:176], v[175:176], 0
	v_add_f64 v[6:7], v[6:7], 0
	v_mul_f64 v[145:146], v[4:5], v[145:146]
	s_waitcnt vmcnt(24)
	v_fma_f64 v[141:142], v[133:134], v[151:152], -v[141:142]
	v_fma_f64 v[139:140], v[135:136], v[151:152], v[139:140]
	ds_read_b128 v[133:136], v1 offset:1856
	s_waitcnt vmcnt(21)
	v_fma_f64 v[143:144], v[4:5], v[153:154], v[143:144]
	v_add_f64 v[175:176], v[175:176], v[177:178]
	v_add_f64 v[6:7], v[6:7], v[137:138]
	s_waitcnt lgkmcnt(1)
	v_mul_f64 v[137:138], v[129:130], v[147:148]
	v_mul_f64 v[147:148], v[131:132], v[147:148]
	v_fma_f64 v[145:146], v[2:3], v[153:154], -v[145:146]
	s_waitcnt vmcnt(17) lgkmcnt(0)
	v_mul_f64 v[151:152], v[135:136], v[155:156]
	ds_read_b128 v[2:5], v1 offset:1872
	v_add_f64 v[141:142], v[175:176], v[141:142]
	v_add_f64 v[6:7], v[6:7], v[139:140]
	v_mul_f64 v[139:140], v[133:134], v[155:156]
	s_waitcnt vmcnt(16)
	v_fma_f64 v[147:148], v[129:130], v[149:150], -v[147:148]
	v_fma_f64 v[137:138], v[131:132], v[149:150], v[137:138]
	ds_read_b128 v[129:132], v1 offset:1888
	s_waitcnt vmcnt(13)
	v_fma_f64 v[149:150], v[133:134], v[161:162], -v[151:152]
	v_add_f64 v[141:142], v[141:142], v[145:146]
	v_add_f64 v[6:7], v[6:7], v[143:144]
	s_waitcnt lgkmcnt(1)
	v_mul_f64 v[145:146], v[4:5], v[157:158]
	v_mul_f64 v[143:144], v[2:3], v[157:158]
	v_fma_f64 v[139:140], v[135:136], v[161:162], v[139:140]
	ds_read_b128 v[133:136], v1 offset:1904
	v_add_f64 v[141:142], v[141:142], v[147:148]
	v_add_f64 v[6:7], v[6:7], v[137:138]
	s_waitcnt vmcnt(9) lgkmcnt(1)
	v_mul_f64 v[147:148], v[131:132], v[163:164]
	s_waitcnt vmcnt(8)
	v_fma_f64 v[2:3], v[2:3], v[159:160], -v[145:146]
	v_mul_f64 v[137:138], v[129:130], v[163:164]
	v_fma_f64 v[4:5], v[4:5], v[159:160], v[143:144]
	s_waitcnt vmcnt(7) lgkmcnt(0)
	v_mul_f64 v[143:144], v[135:136], v[165:166]
	v_add_f64 v[141:142], v[141:142], v[149:150]
	v_add_f64 v[6:7], v[6:7], v[139:140]
	s_waitcnt vmcnt(5)
	v_fma_f64 v[129:130], v[129:130], v[169:170], -v[147:148]
	v_mul_f64 v[139:140], v[133:134], v[165:166]
	v_fma_f64 v[131:132], v[131:132], v[169:170], v[137:138]
	v_add_f64 v[2:3], v[141:142], v[2:3]
	v_add_f64 v[4:5], v[6:7], v[4:5]
	s_waitcnt vmcnt(4)
	v_fma_f64 v[6:7], v[133:134], v[167:168], -v[143:144]
	v_add_f64 v[2:3], v[2:3], v[129:130]
	v_fma_f64 v[129:130], v[135:136], v[167:168], v[139:140]
	v_add_f64 v[4:5], v[4:5], v[131:132]
	v_add_f64 v[2:3], v[2:3], v[6:7]
	;; [unrolled: 1-line block ×3, first 2 shown]
	s_waitcnt vmcnt(2)
	v_add_f64 v[2:3], v[171:172], -v[2:3]
	s_waitcnt vmcnt(0)
	v_add_f64 v[4:5], v[173:174], -v[4:5]
	buffer_store_dword v3, off, s[0:3], 0 offset:820
	buffer_store_dword v2, off, s[0:3], 0 offset:816
	;; [unrolled: 1-line block ×4, first 2 shown]
	v_cmpx_lt_u32_e32 49, v0
	s_cbranch_execz .LBB123_275
; %bb.274:
	v_mov_b32_e32 v5, s22
	s_clause 0x3
	buffer_load_dword v2, v5, s[0:3], 0 offen
	buffer_load_dword v3, v5, s[0:3], 0 offen offset:4
	buffer_load_dword v4, v5, s[0:3], 0 offen offset:8
	;; [unrolled: 1-line block ×3, first 2 shown]
	buffer_store_dword v1, off, s[0:3], 0 offset:800
	buffer_store_dword v1, off, s[0:3], 0 offset:804
	;; [unrolled: 1-line block ×4, first 2 shown]
	s_waitcnt vmcnt(0)
	ds_write_b128 v189, v[2:5]
.LBB123_275:
	s_or_b32 exec_lo, exec_lo, s4
	s_waitcnt lgkmcnt(0)
	s_waitcnt_vscnt null, 0x0
	s_barrier
	buffer_gl0_inv
	s_clause 0x2b
	buffer_load_dword v6, off, s[0:3], 0 offset:824
	buffer_load_dword v7, off, s[0:3], 0 offset:828
	;; [unrolled: 1-line block ×44, first 2 shown]
	ds_read_b128 v[2:5], v1 offset:1760
	ds_read_b128 v[129:132], v1 offset:1776
	;; [unrolled: 1-line block ×3, first 2 shown]
	s_mov_b32 s4, exec_lo
	s_waitcnt vmcnt(42) lgkmcnt(2)
	v_mul_f64 v[179:180], v[4:5], v[6:7]
	v_mul_f64 v[6:7], v[2:3], v[6:7]
	s_waitcnt vmcnt(40) lgkmcnt(1)
	v_mul_f64 v[181:182], v[131:132], v[137:138]
	v_mul_f64 v[137:138], v[129:130], v[137:138]
	s_waitcnt vmcnt(38)
	v_fma_f64 v[179:180], v[2:3], v[139:140], -v[179:180]
	v_fma_f64 v[6:7], v[4:5], v[139:140], v[6:7]
	ds_read_b128 v[2:5], v1 offset:1808
	s_waitcnt vmcnt(36) lgkmcnt(1)
	v_mul_f64 v[139:140], v[133:134], v[141:142]
	v_mul_f64 v[141:142], v[135:136], v[141:142]
	s_waitcnt vmcnt(34)
	v_fma_f64 v[181:182], v[129:130], v[143:144], -v[181:182]
	v_fma_f64 v[137:138], v[131:132], v[143:144], v[137:138]
	ds_read_b128 v[129:132], v1 offset:1824
	s_waitcnt vmcnt(30) lgkmcnt(1)
	v_mul_f64 v[143:144], v[2:3], v[145:146]
	v_add_f64 v[179:180], v[179:180], 0
	v_add_f64 v[6:7], v[6:7], 0
	v_mul_f64 v[145:146], v[4:5], v[145:146]
	s_waitcnt vmcnt(28)
	v_fma_f64 v[141:142], v[133:134], v[151:152], -v[141:142]
	v_fma_f64 v[139:140], v[135:136], v[151:152], v[139:140]
	ds_read_b128 v[133:136], v1 offset:1840
	s_waitcnt vmcnt(25)
	v_fma_f64 v[143:144], v[4:5], v[153:154], v[143:144]
	v_add_f64 v[179:180], v[179:180], v[181:182]
	v_add_f64 v[6:7], v[6:7], v[137:138]
	s_waitcnt lgkmcnt(1)
	v_mul_f64 v[137:138], v[129:130], v[147:148]
	v_mul_f64 v[147:148], v[131:132], v[147:148]
	v_fma_f64 v[145:146], v[2:3], v[153:154], -v[145:146]
	s_waitcnt vmcnt(21) lgkmcnt(0)
	v_mul_f64 v[151:152], v[135:136], v[155:156]
	ds_read_b128 v[2:5], v1 offset:1856
	v_add_f64 v[141:142], v[179:180], v[141:142]
	v_add_f64 v[6:7], v[6:7], v[139:140]
	v_mul_f64 v[139:140], v[133:134], v[155:156]
	s_waitcnt vmcnt(20)
	v_fma_f64 v[147:148], v[129:130], v[149:150], -v[147:148]
	v_fma_f64 v[137:138], v[131:132], v[149:150], v[137:138]
	ds_read_b128 v[129:132], v1 offset:1872
	s_waitcnt vmcnt(17)
	v_fma_f64 v[149:150], v[133:134], v[161:162], -v[151:152]
	v_add_f64 v[141:142], v[141:142], v[145:146]
	v_add_f64 v[6:7], v[6:7], v[143:144]
	s_waitcnt lgkmcnt(1)
	v_mul_f64 v[145:146], v[4:5], v[157:158]
	v_mul_f64 v[143:144], v[2:3], v[157:158]
	v_fma_f64 v[139:140], v[135:136], v[161:162], v[139:140]
	ds_read_b128 v[133:136], v1 offset:1888
	v_add_f64 v[141:142], v[141:142], v[147:148]
	v_add_f64 v[6:7], v[6:7], v[137:138]
	s_waitcnt vmcnt(13) lgkmcnt(1)
	v_mul_f64 v[147:148], v[131:132], v[163:164]
	s_waitcnt vmcnt(12)
	v_fma_f64 v[145:146], v[2:3], v[159:160], -v[145:146]
	v_mul_f64 v[137:138], v[129:130], v[163:164]
	v_fma_f64 v[143:144], v[4:5], v[159:160], v[143:144]
	ds_read_b128 v[1:4], v1 offset:1904
	v_add_f64 v[141:142], v[141:142], v[149:150]
	v_add_f64 v[5:6], v[6:7], v[139:140]
	s_waitcnt vmcnt(11) lgkmcnt(1)
	v_mul_f64 v[139:140], v[135:136], v[165:166]
	s_waitcnt vmcnt(9)
	v_fma_f64 v[129:130], v[129:130], v[169:170], -v[147:148]
	v_mul_f64 v[7:8], v[133:134], v[165:166]
	v_fma_f64 v[131:132], v[131:132], v[169:170], v[137:138]
	s_waitcnt vmcnt(7) lgkmcnt(0)
	v_mul_f64 v[137:138], v[1:2], v[171:172]
	v_add_f64 v[141:142], v[141:142], v[145:146]
	v_add_f64 v[5:6], v[5:6], v[143:144]
	v_mul_f64 v[143:144], v[3:4], v[171:172]
	s_waitcnt vmcnt(6)
	v_fma_f64 v[133:134], v[133:134], v[167:168], -v[139:140]
	v_fma_f64 v[7:8], v[135:136], v[167:168], v[7:8]
	s_waitcnt vmcnt(4)
	v_fma_f64 v[3:4], v[3:4], v[173:174], v[137:138]
	v_add_f64 v[129:130], v[141:142], v[129:130]
	v_add_f64 v[5:6], v[5:6], v[131:132]
	v_fma_f64 v[1:2], v[1:2], v[173:174], -v[143:144]
	v_add_f64 v[129:130], v[129:130], v[133:134]
	v_add_f64 v[5:6], v[5:6], v[7:8]
	;; [unrolled: 1-line block ×4, first 2 shown]
	s_waitcnt vmcnt(2)
	v_add_f64 v[1:2], v[175:176], -v[1:2]
	s_waitcnt vmcnt(0)
	v_add_f64 v[3:4], v[177:178], -v[3:4]
	buffer_store_dword v2, off, s[0:3], 0 offset:804
	buffer_store_dword v1, off, s[0:3], 0 offset:800
	;; [unrolled: 1-line block ×4, first 2 shown]
	v_cmpx_lt_u32_e32 48, v0
	s_cbranch_execz .LBB123_277
; %bb.276:
	v_mov_b32_e32 v4, s23
	v_mov_b32_e32 v5, 0
	s_clause 0x3
	buffer_load_dword v1, v4, s[0:3], 0 offen
	buffer_load_dword v2, v4, s[0:3], 0 offen offset:4
	buffer_load_dword v3, v4, s[0:3], 0 offen offset:8
	;; [unrolled: 1-line block ×3, first 2 shown]
	buffer_store_dword v5, off, s[0:3], 0 offset:784
	buffer_store_dword v5, off, s[0:3], 0 offset:788
	;; [unrolled: 1-line block ×4, first 2 shown]
	s_waitcnt vmcnt(0)
	ds_write_b128 v189, v[1:4]
.LBB123_277:
	s_or_b32 exec_lo, exec_lo, s4
	s_waitcnt lgkmcnt(0)
	s_waitcnt_vscnt null, 0x0
	s_barrier
	buffer_gl0_inv
	s_clause 0x2f
	buffer_load_dword v6, off, s[0:3], 0 offset:808
	buffer_load_dword v7, off, s[0:3], 0 offset:812
	;; [unrolled: 1-line block ×48, first 2 shown]
	v_mov_b32_e32 v1, 0
	ds_read_b128 v[2:5], v1 offset:1744
	ds_read_b128 v[129:132], v1 offset:1760
	;; [unrolled: 1-line block ×3, first 2 shown]
	s_mov_b32 s4, exec_lo
	s_waitcnt vmcnt(46) lgkmcnt(2)
	v_mul_f64 v[183:184], v[4:5], v[6:7]
	v_mul_f64 v[6:7], v[2:3], v[6:7]
	s_waitcnt vmcnt(44) lgkmcnt(1)
	v_mul_f64 v[185:186], v[131:132], v[137:138]
	v_mul_f64 v[137:138], v[129:130], v[137:138]
	s_waitcnt vmcnt(42)
	v_fma_f64 v[183:184], v[2:3], v[139:140], -v[183:184]
	v_fma_f64 v[6:7], v[4:5], v[139:140], v[6:7]
	ds_read_b128 v[2:5], v1 offset:1792
	s_waitcnt vmcnt(40) lgkmcnt(1)
	v_mul_f64 v[139:140], v[133:134], v[141:142]
	v_mul_f64 v[141:142], v[135:136], v[141:142]
	s_waitcnt vmcnt(38)
	v_fma_f64 v[185:186], v[129:130], v[143:144], -v[185:186]
	v_fma_f64 v[137:138], v[131:132], v[143:144], v[137:138]
	ds_read_b128 v[129:132], v1 offset:1808
	s_waitcnt vmcnt(34) lgkmcnt(1)
	v_mul_f64 v[143:144], v[2:3], v[145:146]
	v_add_f64 v[183:184], v[183:184], 0
	v_add_f64 v[6:7], v[6:7], 0
	v_mul_f64 v[145:146], v[4:5], v[145:146]
	s_waitcnt vmcnt(32)
	v_fma_f64 v[141:142], v[133:134], v[151:152], -v[141:142]
	v_fma_f64 v[139:140], v[135:136], v[151:152], v[139:140]
	ds_read_b128 v[133:136], v1 offset:1824
	s_waitcnt vmcnt(29)
	v_fma_f64 v[143:144], v[4:5], v[153:154], v[143:144]
	v_add_f64 v[183:184], v[183:184], v[185:186]
	v_add_f64 v[6:7], v[6:7], v[137:138]
	s_waitcnt lgkmcnt(1)
	v_mul_f64 v[137:138], v[129:130], v[147:148]
	v_mul_f64 v[147:148], v[131:132], v[147:148]
	v_fma_f64 v[145:146], v[2:3], v[153:154], -v[145:146]
	s_waitcnt vmcnt(25) lgkmcnt(0)
	v_mul_f64 v[151:152], v[135:136], v[155:156]
	ds_read_b128 v[2:5], v1 offset:1840
	v_add_f64 v[141:142], v[183:184], v[141:142]
	v_add_f64 v[6:7], v[6:7], v[139:140]
	v_mul_f64 v[139:140], v[133:134], v[155:156]
	s_waitcnt vmcnt(24)
	v_fma_f64 v[147:148], v[129:130], v[149:150], -v[147:148]
	v_fma_f64 v[137:138], v[131:132], v[149:150], v[137:138]
	ds_read_b128 v[129:132], v1 offset:1856
	s_waitcnt vmcnt(21)
	v_fma_f64 v[149:150], v[133:134], v[161:162], -v[151:152]
	v_add_f64 v[141:142], v[141:142], v[145:146]
	v_add_f64 v[6:7], v[6:7], v[143:144]
	s_waitcnt lgkmcnt(1)
	v_mul_f64 v[145:146], v[4:5], v[157:158]
	v_mul_f64 v[143:144], v[2:3], v[157:158]
	v_fma_f64 v[139:140], v[135:136], v[161:162], v[139:140]
	ds_read_b128 v[133:136], v1 offset:1872
	v_add_f64 v[141:142], v[141:142], v[147:148]
	v_add_f64 v[6:7], v[6:7], v[137:138]
	s_waitcnt vmcnt(17) lgkmcnt(1)
	v_mul_f64 v[147:148], v[131:132], v[163:164]
	s_waitcnt vmcnt(16)
	v_fma_f64 v[145:146], v[2:3], v[159:160], -v[145:146]
	v_mul_f64 v[137:138], v[129:130], v[163:164]
	v_fma_f64 v[143:144], v[4:5], v[159:160], v[143:144]
	ds_read_b128 v[2:5], v1 offset:1888
	v_add_f64 v[141:142], v[141:142], v[149:150]
	v_add_f64 v[6:7], v[6:7], v[139:140]
	s_waitcnt vmcnt(15) lgkmcnt(1)
	v_mul_f64 v[149:150], v[135:136], v[165:166]
	s_waitcnt vmcnt(13)
	v_fma_f64 v[147:148], v[129:130], v[169:170], -v[147:148]
	;; [unrolled: 9-line block ×3, first 2 shown]
	v_mul_f64 v[143:144], v[2:3], v[171:172]
	v_fma_f64 v[135:136], v[135:136], v[167:168], v[139:140]
	s_waitcnt vmcnt(7) lgkmcnt(0)
	v_mul_f64 v[139:140], v[131:132], v[173:174]
	v_add_f64 v[141:142], v[141:142], v[147:148]
	v_add_f64 v[6:7], v[6:7], v[137:138]
	s_waitcnt vmcnt(5)
	v_fma_f64 v[2:3], v[2:3], v[177:178], -v[145:146]
	v_mul_f64 v[137:138], v[129:130], v[173:174]
	v_fma_f64 v[4:5], v[4:5], v[177:178], v[143:144]
	s_waitcnt vmcnt(4)
	v_fma_f64 v[129:130], v[129:130], v[175:176], -v[139:140]
	v_add_f64 v[133:134], v[141:142], v[133:134]
	v_add_f64 v[6:7], v[6:7], v[135:136]
	v_fma_f64 v[131:132], v[131:132], v[175:176], v[137:138]
	v_add_f64 v[2:3], v[133:134], v[2:3]
	v_add_f64 v[4:5], v[6:7], v[4:5]
	;; [unrolled: 1-line block ×4, first 2 shown]
	s_waitcnt vmcnt(2)
	v_add_f64 v[2:3], v[179:180], -v[2:3]
	s_waitcnt vmcnt(0)
	v_add_f64 v[4:5], v[181:182], -v[4:5]
	buffer_store_dword v3, off, s[0:3], 0 offset:788
	buffer_store_dword v2, off, s[0:3], 0 offset:784
	;; [unrolled: 1-line block ×4, first 2 shown]
	v_cmpx_lt_u32_e32 47, v0
	s_cbranch_execz .LBB123_279
; %bb.278:
	v_mov_b32_e32 v5, s24
	s_clause 0x3
	buffer_load_dword v2, v5, s[0:3], 0 offen
	buffer_load_dword v3, v5, s[0:3], 0 offen offset:4
	buffer_load_dword v4, v5, s[0:3], 0 offen offset:8
	;; [unrolled: 1-line block ×3, first 2 shown]
	buffer_store_dword v1, off, s[0:3], 0 offset:768
	buffer_store_dword v1, off, s[0:3], 0 offset:772
	;; [unrolled: 1-line block ×4, first 2 shown]
	s_waitcnt vmcnt(0)
	ds_write_b128 v189, v[2:5]
.LBB123_279:
	s_or_b32 exec_lo, exec_lo, s4
	s_waitcnt lgkmcnt(0)
	s_waitcnt_vscnt null, 0x0
	s_barrier
	buffer_gl0_inv
	s_clause 0x2f
	buffer_load_dword v6, off, s[0:3], 0 offset:792
	buffer_load_dword v7, off, s[0:3], 0 offset:796
	;; [unrolled: 1-line block ×48, first 2 shown]
	ds_read_b128 v[2:5], v1 offset:1728
	s_clause 0x3
	buffer_load_dword v183, off, s[0:3], 0 offset:768
	buffer_load_dword v184, off, s[0:3], 0 offset:772
	;; [unrolled: 1-line block ×4, first 2 shown]
	ds_read_b128 v[129:132], v1 offset:1744
	ds_read_b128 v[133:136], v1 offset:1760
	s_mov_b32 s4, exec_lo
	s_waitcnt vmcnt(50) lgkmcnt(2)
	v_mul_f64 v[187:188], v[4:5], v[6:7]
	v_mul_f64 v[6:7], v[2:3], v[6:7]
	s_waitcnt vmcnt(48) lgkmcnt(1)
	v_mul_f64 v[190:191], v[131:132], v[137:138]
	v_mul_f64 v[137:138], v[129:130], v[137:138]
	s_waitcnt vmcnt(46)
	v_fma_f64 v[187:188], v[2:3], v[139:140], -v[187:188]
	v_fma_f64 v[6:7], v[4:5], v[139:140], v[6:7]
	s_waitcnt vmcnt(44) lgkmcnt(0)
	v_mul_f64 v[139:140], v[133:134], v[141:142]
	v_mul_f64 v[141:142], v[135:136], v[141:142]
	s_waitcnt vmcnt(42)
	v_fma_f64 v[190:191], v[129:130], v[143:144], -v[190:191]
	ds_read_b128 v[2:5], v1 offset:1776
	v_fma_f64 v[137:138], v[131:132], v[143:144], v[137:138]
	ds_read_b128 v[129:132], v1 offset:1792
	v_add_f64 v[187:188], v[187:188], 0
	v_add_f64 v[6:7], v[6:7], 0
	s_waitcnt vmcnt(38)
	v_fma_f64 v[139:140], v[135:136], v[147:148], v[139:140]
	s_waitcnt lgkmcnt(1)
	v_mul_f64 v[143:144], v[2:3], v[145:146]
	v_mul_f64 v[145:146], v[4:5], v[145:146]
	v_fma_f64 v[141:142], v[133:134], v[147:148], -v[141:142]
	s_waitcnt vmcnt(36) lgkmcnt(0)
	v_mul_f64 v[147:148], v[131:132], v[149:150]
	ds_read_b128 v[133:136], v1 offset:1808
	v_add_f64 v[187:188], v[187:188], v[190:191]
	v_add_f64 v[6:7], v[6:7], v[137:138]
	v_mul_f64 v[137:138], v[129:130], v[149:150]
	s_waitcnt vmcnt(34)
	v_fma_f64 v[143:144], v[4:5], v[151:152], v[143:144]
	v_fma_f64 v[145:146], v[2:3], v[151:152], -v[145:146]
	ds_read_b128 v[2:5], v1 offset:1824
	s_waitcnt vmcnt(32) lgkmcnt(1)
	v_mul_f64 v[149:150], v[135:136], v[153:154]
	s_waitcnt vmcnt(30)
	v_fma_f64 v[147:148], v[129:130], v[155:156], -v[147:148]
	v_add_f64 v[141:142], v[187:188], v[141:142]
	v_add_f64 v[6:7], v[6:7], v[139:140]
	v_mul_f64 v[139:140], v[133:134], v[153:154]
	v_fma_f64 v[137:138], v[131:132], v[155:156], v[137:138]
	ds_read_b128 v[129:132], v1 offset:1840
	s_waitcnt vmcnt(26)
	v_fma_f64 v[149:150], v[133:134], v[159:160], -v[149:150]
	v_add_f64 v[141:142], v[141:142], v[145:146]
	v_add_f64 v[6:7], v[6:7], v[143:144]
	s_waitcnt lgkmcnt(1)
	v_mul_f64 v[145:146], v[4:5], v[157:158]
	v_mul_f64 v[143:144], v[2:3], v[157:158]
	v_fma_f64 v[139:140], v[135:136], v[159:160], v[139:140]
	ds_read_b128 v[133:136], v1 offset:1856
	v_add_f64 v[141:142], v[141:142], v[147:148]
	v_add_f64 v[6:7], v[6:7], v[137:138]
	s_waitcnt vmcnt(24) lgkmcnt(1)
	v_mul_f64 v[147:148], v[131:132], v[161:162]
	s_waitcnt vmcnt(22)
	v_fma_f64 v[145:146], v[2:3], v[163:164], -v[145:146]
	v_mul_f64 v[137:138], v[129:130], v[161:162]
	v_fma_f64 v[143:144], v[4:5], v[163:164], v[143:144]
	ds_read_b128 v[2:5], v1 offset:1872
	v_add_f64 v[141:142], v[141:142], v[149:150]
	v_add_f64 v[6:7], v[6:7], v[139:140]
	s_waitcnt vmcnt(20) lgkmcnt(1)
	v_mul_f64 v[149:150], v[135:136], v[165:166]
	s_waitcnt vmcnt(18)
	v_fma_f64 v[147:148], v[129:130], v[167:168], -v[147:148]
	;; [unrolled: 9-line block ×4, first 2 shown]
	v_mul_f64 v[137:138], v[129:130], v[173:174]
	v_fma_f64 v[3:4], v[4:5], v[175:176], v[143:144]
	v_add_f64 v[141:142], v[141:142], v[149:150]
	v_add_f64 v[5:6], v[6:7], v[139:140]
	s_waitcnt vmcnt(8) lgkmcnt(0)
	v_mul_f64 v[139:140], v[135:136], v[177:178]
	s_waitcnt vmcnt(6)
	v_fma_f64 v[129:130], v[129:130], v[179:180], -v[147:148]
	v_mul_f64 v[7:8], v[133:134], v[177:178]
	v_fma_f64 v[131:132], v[131:132], v[179:180], v[137:138]
	v_add_f64 v[1:2], v[141:142], v[1:2]
	v_add_f64 v[3:4], v[5:6], v[3:4]
	s_waitcnt vmcnt(4)
	v_fma_f64 v[5:6], v[133:134], v[181:182], -v[139:140]
	v_fma_f64 v[7:8], v[135:136], v[181:182], v[7:8]
	v_add_f64 v[1:2], v[1:2], v[129:130]
	v_add_f64 v[3:4], v[3:4], v[131:132]
	;; [unrolled: 1-line block ×4, first 2 shown]
	s_waitcnt vmcnt(2)
	v_add_f64 v[1:2], v[183:184], -v[1:2]
	s_waitcnt vmcnt(0)
	v_add_f64 v[3:4], v[185:186], -v[3:4]
	buffer_store_dword v2, off, s[0:3], 0 offset:772
	buffer_store_dword v1, off, s[0:3], 0 offset:768
	;; [unrolled: 1-line block ×4, first 2 shown]
	v_cmpx_lt_u32_e32 46, v0
	s_cbranch_execz .LBB123_281
; %bb.280:
	v_mov_b32_e32 v4, s25
	v_mov_b32_e32 v5, 0
	s_clause 0x3
	buffer_load_dword v1, v4, s[0:3], 0 offen
	buffer_load_dword v2, v4, s[0:3], 0 offen offset:4
	buffer_load_dword v3, v4, s[0:3], 0 offen offset:8
	;; [unrolled: 1-line block ×3, first 2 shown]
	buffer_store_dword v5, off, s[0:3], 0 offset:752
	buffer_store_dword v5, off, s[0:3], 0 offset:756
	;; [unrolled: 1-line block ×4, first 2 shown]
	s_waitcnt vmcnt(0)
	ds_write_b128 v189, v[1:4]
.LBB123_281:
	s_or_b32 exec_lo, exec_lo, s4
	s_waitcnt lgkmcnt(0)
	s_waitcnt_vscnt null, 0x0
	s_barrier
	buffer_gl0_inv
	s_clause 0x33
	buffer_load_dword v6, off, s[0:3], 0 offset:776
	buffer_load_dword v7, off, s[0:3], 0 offset:780
	;; [unrolled: 1-line block ×52, first 2 shown]
	v_mov_b32_e32 v1, 0
	ds_read_b128 v[2:5], v1 offset:1712
	ds_read_b128 v[129:132], v1 offset:1728
	s_clause 0x3
	buffer_load_dword v190, off, s[0:3], 0 offset:752
	buffer_load_dword v191, off, s[0:3], 0 offset:756
	;; [unrolled: 1-line block ×4, first 2 shown]
	ds_read_b128 v[133:136], v1 offset:1744
	s_mov_b32 s4, exec_lo
	s_waitcnt vmcnt(54) lgkmcnt(2)
	v_mul_f64 v[187:188], v[4:5], v[6:7]
	v_mul_f64 v[6:7], v[2:3], v[6:7]
	s_waitcnt vmcnt(52) lgkmcnt(1)
	v_mul_f64 v[194:195], v[131:132], v[137:138]
	v_mul_f64 v[137:138], v[129:130], v[137:138]
	s_waitcnt vmcnt(50)
	v_fma_f64 v[187:188], v[2:3], v[139:140], -v[187:188]
	v_fma_f64 v[6:7], v[4:5], v[139:140], v[6:7]
	ds_read_b128 v[2:5], v1 offset:1760
	s_waitcnt vmcnt(48) lgkmcnt(1)
	v_mul_f64 v[139:140], v[133:134], v[141:142]
	v_mul_f64 v[141:142], v[135:136], v[141:142]
	s_waitcnt vmcnt(46)
	v_fma_f64 v[194:195], v[129:130], v[143:144], -v[194:195]
	v_fma_f64 v[137:138], v[131:132], v[143:144], v[137:138]
	ds_read_b128 v[129:132], v1 offset:1776
	s_waitcnt vmcnt(42) lgkmcnt(1)
	v_mul_f64 v[143:144], v[2:3], v[145:146]
	v_add_f64 v[187:188], v[187:188], 0
	v_add_f64 v[6:7], v[6:7], 0
	v_mul_f64 v[145:146], v[4:5], v[145:146]
	s_waitcnt vmcnt(40)
	v_fma_f64 v[141:142], v[133:134], v[151:152], -v[141:142]
	v_fma_f64 v[139:140], v[135:136], v[151:152], v[139:140]
	ds_read_b128 v[133:136], v1 offset:1792
	s_waitcnt vmcnt(37)
	v_fma_f64 v[143:144], v[4:5], v[153:154], v[143:144]
	v_add_f64 v[187:188], v[187:188], v[194:195]
	v_add_f64 v[6:7], v[6:7], v[137:138]
	s_waitcnt lgkmcnt(1)
	v_mul_f64 v[137:138], v[129:130], v[147:148]
	v_mul_f64 v[147:148], v[131:132], v[147:148]
	v_fma_f64 v[145:146], v[2:3], v[153:154], -v[145:146]
	s_waitcnt vmcnt(33) lgkmcnt(0)
	v_mul_f64 v[151:152], v[135:136], v[155:156]
	ds_read_b128 v[2:5], v1 offset:1808
	v_add_f64 v[141:142], v[187:188], v[141:142]
	v_add_f64 v[6:7], v[6:7], v[139:140]
	v_mul_f64 v[139:140], v[133:134], v[155:156]
	s_waitcnt vmcnt(32)
	v_fma_f64 v[147:148], v[129:130], v[149:150], -v[147:148]
	v_fma_f64 v[137:138], v[131:132], v[149:150], v[137:138]
	ds_read_b128 v[129:132], v1 offset:1824
	s_waitcnt vmcnt(29)
	v_fma_f64 v[149:150], v[133:134], v[161:162], -v[151:152]
	v_add_f64 v[141:142], v[141:142], v[145:146]
	v_add_f64 v[6:7], v[6:7], v[143:144]
	s_waitcnt lgkmcnt(1)
	v_mul_f64 v[145:146], v[4:5], v[157:158]
	v_mul_f64 v[143:144], v[2:3], v[157:158]
	v_fma_f64 v[139:140], v[135:136], v[161:162], v[139:140]
	ds_read_b128 v[133:136], v1 offset:1840
	v_add_f64 v[141:142], v[141:142], v[147:148]
	v_add_f64 v[6:7], v[6:7], v[137:138]
	s_waitcnt vmcnt(25) lgkmcnt(1)
	v_mul_f64 v[147:148], v[131:132], v[163:164]
	s_waitcnt vmcnt(24)
	v_fma_f64 v[145:146], v[2:3], v[159:160], -v[145:146]
	v_mul_f64 v[137:138], v[129:130], v[163:164]
	v_fma_f64 v[143:144], v[4:5], v[159:160], v[143:144]
	ds_read_b128 v[2:5], v1 offset:1856
	v_add_f64 v[141:142], v[141:142], v[149:150]
	v_add_f64 v[6:7], v[6:7], v[139:140]
	s_waitcnt vmcnt(23) lgkmcnt(1)
	v_mul_f64 v[149:150], v[135:136], v[165:166]
	s_waitcnt vmcnt(21)
	v_fma_f64 v[147:148], v[129:130], v[169:170], -v[147:148]
	;; [unrolled: 9-line block ×5, first 2 shown]
	v_mul_f64 v[139:140], v[133:134], v[179:180]
	v_fma_f64 v[131:132], v[131:132], v[175:176], v[137:138]
	s_waitcnt vmcnt(7) lgkmcnt(0)
	v_mul_f64 v[137:138], v[2:3], v[181:182]
	v_add_f64 v[141:142], v[141:142], v[145:146]
	v_add_f64 v[6:7], v[6:7], v[143:144]
	v_mul_f64 v[143:144], v[4:5], v[181:182]
	s_waitcnt vmcnt(5)
	v_fma_f64 v[133:134], v[133:134], v[185:186], -v[149:150]
	v_fma_f64 v[135:136], v[135:136], v[185:186], v[139:140]
	s_waitcnt vmcnt(4)
	v_fma_f64 v[4:5], v[4:5], v[183:184], v[137:138]
	v_add_f64 v[129:130], v[141:142], v[129:130]
	v_add_f64 v[6:7], v[6:7], v[131:132]
	v_fma_f64 v[2:3], v[2:3], v[183:184], -v[143:144]
	v_add_f64 v[129:130], v[129:130], v[133:134]
	v_add_f64 v[6:7], v[6:7], v[135:136]
	;; [unrolled: 1-line block ×4, first 2 shown]
	s_waitcnt vmcnt(2)
	v_add_f64 v[2:3], v[190:191], -v[2:3]
	s_waitcnt vmcnt(0)
	v_add_f64 v[4:5], v[192:193], -v[4:5]
	buffer_store_dword v3, off, s[0:3], 0 offset:756
	buffer_store_dword v2, off, s[0:3], 0 offset:752
	;; [unrolled: 1-line block ×4, first 2 shown]
	v_cmpx_lt_u32_e32 45, v0
	s_cbranch_execz .LBB123_283
; %bb.282:
	v_mov_b32_e32 v5, s26
	s_clause 0x3
	buffer_load_dword v2, v5, s[0:3], 0 offen
	buffer_load_dword v3, v5, s[0:3], 0 offen offset:4
	buffer_load_dword v4, v5, s[0:3], 0 offen offset:8
	;; [unrolled: 1-line block ×3, first 2 shown]
	buffer_store_dword v1, off, s[0:3], 0 offset:736
	buffer_store_dword v1, off, s[0:3], 0 offset:740
	;; [unrolled: 1-line block ×4, first 2 shown]
	s_waitcnt vmcnt(0)
	ds_write_b128 v189, v[2:5]
.LBB123_283:
	s_or_b32 exec_lo, exec_lo, s4
	s_waitcnt lgkmcnt(0)
	s_waitcnt_vscnt null, 0x0
	s_barrier
	buffer_gl0_inv
	s_clause 0x35
	buffer_load_dword v6, off, s[0:3], 0 offset:760
	buffer_load_dword v7, off, s[0:3], 0 offset:764
	;; [unrolled: 1-line block ×54, first 2 shown]
	ds_read_b128 v[2:5], v1 offset:1696
	s_clause 0x1
	buffer_load_dword v191, off, s[0:3], 0 offset:964
	buffer_load_dword v190, off, s[0:3], 0 offset:960
	ds_read_b128 v[129:132], v1 offset:1712
	ds_read_b128 v[133:136], v1 offset:1728
	s_mov_b32 s4, exec_lo
	s_waitcnt vmcnt(54) lgkmcnt(2)
	v_mul_f64 v[192:193], v[4:5], v[6:7]
	v_mul_f64 v[6:7], v[2:3], v[6:7]
	s_waitcnt vmcnt(52) lgkmcnt(1)
	v_mul_f64 v[194:195], v[131:132], v[137:138]
	v_mul_f64 v[137:138], v[129:130], v[137:138]
	;; [unrolled: 3-line block ×3, first 2 shown]
	v_fma_f64 v[192:193], v[2:3], v[139:140], -v[192:193]
	v_fma_f64 v[6:7], v[4:5], v[139:140], v[6:7]
	s_clause 0x3
	buffer_load_dword v139, off, s[0:3], 0 offset:736
	buffer_load_dword v140, off, s[0:3], 0 offset:740
	;; [unrolled: 1-line block ×4, first 2 shown]
	s_waitcnt vmcnt(50)
	v_fma_f64 v[194:195], v[129:130], v[143:144], -v[194:195]
	ds_read_b128 v[2:5], v1 offset:1744
	v_fma_f64 v[137:138], v[131:132], v[143:144], v[137:138]
	ds_read_b128 v[129:132], v1 offset:1760
	s_waitcnt vmcnt(44)
	v_fma_f64 v[141:142], v[133:134], v[151:152], -v[141:142]
	v_fma_f64 v[151:152], v[135:136], v[151:152], v[198:199]
	ds_read_b128 v[133:136], v1 offset:1776
	v_add_f64 v[192:193], v[192:193], 0
	v_add_f64 v[6:7], v[6:7], 0
	s_waitcnt lgkmcnt(2)
	v_mul_f64 v[143:144], v[2:3], v[145:146]
	v_mul_f64 v[145:146], v[4:5], v[145:146]
	v_add_f64 v[192:193], v[192:193], v[194:195]
	v_add_f64 v[6:7], v[6:7], v[137:138]
	s_waitcnt vmcnt(43) lgkmcnt(1)
	v_mul_f64 v[137:138], v[129:130], v[147:148]
	v_mul_f64 v[147:148], v[131:132], v[147:148]
	s_waitcnt vmcnt(41)
	v_fma_f64 v[145:146], v[2:3], v[153:154], -v[145:146]
	v_fma_f64 v[143:144], v[4:5], v[153:154], v[143:144]
	ds_read_b128 v[2:5], v1 offset:1792
	s_waitcnt vmcnt(37) lgkmcnt(1)
	v_mul_f64 v[153:154], v[135:136], v[155:156]
	v_add_f64 v[141:142], v[192:193], v[141:142]
	v_add_f64 v[6:7], v[6:7], v[151:152]
	v_mul_f64 v[151:152], v[133:134], v[155:156]
	s_waitcnt vmcnt(36)
	v_fma_f64 v[147:148], v[129:130], v[149:150], -v[147:148]
	v_fma_f64 v[137:138], v[131:132], v[149:150], v[137:138]
	ds_read_b128 v[129:132], v1 offset:1808
	s_waitcnt vmcnt(33)
	v_fma_f64 v[149:150], v[133:134], v[161:162], -v[153:154]
	v_add_f64 v[141:142], v[141:142], v[145:146]
	v_add_f64 v[6:7], v[6:7], v[143:144]
	s_waitcnt lgkmcnt(1)
	v_mul_f64 v[145:146], v[4:5], v[157:158]
	v_mul_f64 v[143:144], v[2:3], v[157:158]
	v_add_f64 v[141:142], v[141:142], v[147:148]
	v_fma_f64 v[147:148], v[135:136], v[161:162], v[151:152]
	v_add_f64 v[6:7], v[6:7], v[137:138]
	ds_read_b128 v[133:136], v1 offset:1824
	s_waitcnt vmcnt(29) lgkmcnt(1)
	v_mul_f64 v[151:152], v[131:132], v[163:164]
	s_waitcnt vmcnt(28)
	v_fma_f64 v[145:146], v[2:3], v[159:160], -v[145:146]
	v_mul_f64 v[137:138], v[129:130], v[163:164]
	v_fma_f64 v[143:144], v[4:5], v[159:160], v[143:144]
	ds_read_b128 v[2:5], v1 offset:1840
	v_add_f64 v[141:142], v[141:142], v[149:150]
	s_waitcnt vmcnt(27) lgkmcnt(1)
	v_mul_f64 v[149:150], v[135:136], v[165:166]
	v_add_f64 v[6:7], v[6:7], v[147:148]
	v_mul_f64 v[147:148], v[133:134], v[165:166]
	s_waitcnt vmcnt(25)
	v_fma_f64 v[151:152], v[129:130], v[169:170], -v[151:152]
	v_fma_f64 v[137:138], v[131:132], v[169:170], v[137:138]
	ds_read_b128 v[129:132], v1 offset:1856
	v_add_f64 v[141:142], v[141:142], v[145:146]
	s_waitcnt vmcnt(21) lgkmcnt(1)
	v_mul_f64 v[145:146], v[4:5], v[171:172]
	v_add_f64 v[6:7], v[6:7], v[143:144]
	s_waitcnt vmcnt(20)
	v_fma_f64 v[149:150], v[133:134], v[167:168], -v[149:150]
	v_mul_f64 v[143:144], v[2:3], v[171:172]
	v_fma_f64 v[147:148], v[135:136], v[167:168], v[147:148]
	ds_read_b128 v[133:136], v1 offset:1872
	v_add_f64 v[141:142], v[141:142], v[151:152]
	s_waitcnt vmcnt(19) lgkmcnt(1)
	v_mul_f64 v[151:152], v[131:132], v[173:174]
	v_add_f64 v[6:7], v[6:7], v[137:138]
	s_waitcnt vmcnt(17)
	v_fma_f64 v[145:146], v[2:3], v[177:178], -v[145:146]
	v_mul_f64 v[137:138], v[129:130], v[173:174]
	;; [unrolled: 9-line block ×4, first 2 shown]
	v_fma_f64 v[135:136], v[135:136], v[185:186], v[147:148]
	s_waitcnt vmcnt(7) lgkmcnt(0)
	v_mul_f64 v[147:148], v[131:132], v[187:188]
	v_add_f64 v[141:142], v[141:142], v[151:152]
	s_waitcnt vmcnt(6)
	v_fma_f64 v[1:2], v[2:3], v[183:184], -v[145:146]
	v_add_f64 v[6:7], v[6:7], v[137:138]
	v_mul_f64 v[137:138], v[129:130], v[187:188]
	v_fma_f64 v[3:4], v[4:5], v[183:184], v[143:144]
	v_add_f64 v[133:134], v[141:142], v[133:134]
	v_add_f64 v[5:6], v[6:7], v[135:136]
	s_waitcnt vmcnt(4)
	v_fma_f64 v[7:8], v[129:130], v[190:191], -v[147:148]
	v_fma_f64 v[129:130], v[131:132], v[190:191], v[137:138]
	v_add_f64 v[1:2], v[133:134], v[1:2]
	v_add_f64 v[3:4], v[5:6], v[3:4]
	;; [unrolled: 1-line block ×4, first 2 shown]
	s_waitcnt vmcnt(2)
	v_add_f64 v[1:2], v[139:140], -v[1:2]
	s_waitcnt vmcnt(0)
	v_add_f64 v[3:4], v[196:197], -v[3:4]
	buffer_store_dword v2, off, s[0:3], 0 offset:740
	buffer_store_dword v1, off, s[0:3], 0 offset:736
	;; [unrolled: 1-line block ×4, first 2 shown]
	v_cmpx_lt_u32_e32 44, v0
	s_cbranch_execz .LBB123_285
; %bb.284:
	v_mov_b32_e32 v4, s27
	v_mov_b32_e32 v5, 0
	s_clause 0x3
	buffer_load_dword v1, v4, s[0:3], 0 offen
	buffer_load_dword v2, v4, s[0:3], 0 offen offset:4
	buffer_load_dword v3, v4, s[0:3], 0 offen offset:8
	;; [unrolled: 1-line block ×3, first 2 shown]
	buffer_store_dword v5, off, s[0:3], 0 offset:720
	buffer_store_dword v5, off, s[0:3], 0 offset:724
	;; [unrolled: 1-line block ×4, first 2 shown]
	s_waitcnt vmcnt(0)
	ds_write_b128 v189, v[1:4]
.LBB123_285:
	s_or_b32 exec_lo, exec_lo, s4
	s_waitcnt lgkmcnt(0)
	s_waitcnt_vscnt null, 0x0
	s_barrier
	buffer_gl0_inv
	s_clause 0x37
	buffer_load_dword v6, off, s[0:3], 0 offset:744
	buffer_load_dword v7, off, s[0:3], 0 offset:748
	buffer_load_dword v137, off, s[0:3], 0 offset:760
	buffer_load_dword v138, off, s[0:3], 0 offset:764
	buffer_load_dword v139, off, s[0:3], 0 offset:736
	buffer_load_dword v140, off, s[0:3], 0 offset:740
	buffer_load_dword v141, off, s[0:3], 0 offset:776
	buffer_load_dword v142, off, s[0:3], 0 offset:780
	buffer_load_dword v143, off, s[0:3], 0 offset:752
	buffer_load_dword v144, off, s[0:3], 0 offset:756
	buffer_load_dword v146, off, s[0:3], 0 offset:796
	buffer_load_dword v147, off, s[0:3], 0 offset:808
	buffer_load_dword v149, off, s[0:3], 0 offset:800
	buffer_load_dword v145, off, s[0:3], 0 offset:792
	buffer_load_dword v151, off, s[0:3], 0 offset:768
	buffer_load_dword v152, off, s[0:3], 0 offset:772
	buffer_load_dword v148, off, s[0:3], 0 offset:812
	buffer_load_dword v154, off, s[0:3], 0 offset:788
	buffer_load_dword v153, off, s[0:3], 0 offset:784
	buffer_load_dword v156, off, s[0:3], 0 offset:828
	buffer_load_dword v157, off, s[0:3], 0 offset:840
	buffer_load_dword v159, off, s[0:3], 0 offset:832
	buffer_load_dword v155, off, s[0:3], 0 offset:824
	buffer_load_dword v150, off, s[0:3], 0 offset:804
	buffer_load_dword v158, off, s[0:3], 0 offset:844
	buffer_load_dword v162, off, s[0:3], 0 offset:820
	buffer_load_dword v161, off, s[0:3], 0 offset:816
	buffer_load_dword v164, off, s[0:3], 0 offset:860
	buffer_load_dword v165, off, s[0:3], 0 offset:872
	buffer_load_dword v167, off, s[0:3], 0 offset:864
	buffer_load_dword v163, off, s[0:3], 0 offset:856
	buffer_load_dword v160, off, s[0:3], 0 offset:836
	buffer_load_dword v166, off, s[0:3], 0 offset:876
	buffer_load_dword v170, off, s[0:3], 0 offset:852
	buffer_load_dword v169, off, s[0:3], 0 offset:848
	buffer_load_dword v172, off, s[0:3], 0 offset:892
	buffer_load_dword v173, off, s[0:3], 0 offset:904
	buffer_load_dword v175, off, s[0:3], 0 offset:896
	buffer_load_dword v171, off, s[0:3], 0 offset:888
	buffer_load_dword v168, off, s[0:3], 0 offset:868
	buffer_load_dword v174, off, s[0:3], 0 offset:908
	buffer_load_dword v178, off, s[0:3], 0 offset:884
	buffer_load_dword v177, off, s[0:3], 0 offset:880
	buffer_load_dword v180, off, s[0:3], 0 offset:924
	buffer_load_dword v181, off, s[0:3], 0 offset:936
	buffer_load_dword v183, off, s[0:3], 0 offset:928
	buffer_load_dword v179, off, s[0:3], 0 offset:920
	buffer_load_dword v176, off, s[0:3], 0 offset:900
	buffer_load_dword v182, off, s[0:3], 0 offset:940
	buffer_load_dword v186, off, s[0:3], 0 offset:916
	buffer_load_dword v185, off, s[0:3], 0 offset:912
	buffer_load_dword v188, off, s[0:3], 0 offset:956
	buffer_load_dword v190, off, s[0:3], 0 offset:968
	buffer_load_dword v192, off, s[0:3], 0 offset:960
	buffer_load_dword v187, off, s[0:3], 0 offset:952
	buffer_load_dword v184, off, s[0:3], 0 offset:932
	v_mov_b32_e32 v1, 0
	s_mov_b32 s4, exec_lo
	ds_read_b128 v[2:5], v1 offset:1680
	s_clause 0x2
	buffer_load_dword v191, off, s[0:3], 0 offset:972
	buffer_load_dword v195, off, s[0:3], 0 offset:948
	;; [unrolled: 1-line block ×3, first 2 shown]
	ds_read_b128 v[129:132], v1 offset:1696
	ds_read_b128 v[133:136], v1 offset:1712
	buffer_load_dword v193, off, s[0:3], 0 offset:964
	s_waitcnt vmcnt(58) lgkmcnt(2)
	v_mul_f64 v[196:197], v[4:5], v[6:7]
	v_mul_f64 v[6:7], v[2:3], v[6:7]
	s_waitcnt vmcnt(56) lgkmcnt(1)
	v_mul_f64 v[198:199], v[131:132], v[137:138]
	v_mul_f64 v[137:138], v[129:130], v[137:138]
	s_waitcnt vmcnt(54)
	v_fma_f64 v[196:197], v[2:3], v[139:140], -v[196:197]
	v_fma_f64 v[6:7], v[4:5], v[139:140], v[6:7]
	s_waitcnt vmcnt(52) lgkmcnt(0)
	v_mul_f64 v[139:140], v[133:134], v[141:142]
	v_mul_f64 v[141:142], v[135:136], v[141:142]
	s_waitcnt vmcnt(50)
	v_fma_f64 v[198:199], v[129:130], v[143:144], -v[198:199]
	ds_read_b128 v[2:5], v1 offset:1728
	v_fma_f64 v[137:138], v[131:132], v[143:144], v[137:138]
	s_clause 0x3
	buffer_load_dword v143, off, s[0:3], 0 offset:720
	buffer_load_dword v144, off, s[0:3], 0 offset:724
	;; [unrolled: 1-line block ×4, first 2 shown]
	ds_read_b128 v[129:132], v1 offset:1744
	v_add_f64 v[196:197], v[196:197], 0
	v_add_f64 v[6:7], v[6:7], 0
	s_waitcnt vmcnt(48)
	v_fma_f64 v[139:140], v[135:136], v[151:152], v[139:140]
	s_waitcnt lgkmcnt(1)
	v_mul_f64 v[202:203], v[2:3], v[145:146]
	v_mul_f64 v[145:146], v[4:5], v[145:146]
	v_fma_f64 v[141:142], v[133:134], v[151:152], -v[141:142]
	ds_read_b128 v[133:136], v1 offset:1760
	v_add_f64 v[196:197], v[196:197], v[198:199]
	v_add_f64 v[6:7], v[6:7], v[137:138]
	s_waitcnt vmcnt(47) lgkmcnt(1)
	v_mul_f64 v[137:138], v[129:130], v[147:148]
	v_mul_f64 v[147:148], v[131:132], v[147:148]
	s_waitcnt vmcnt(45)
	v_fma_f64 v[145:146], v[2:3], v[153:154], -v[145:146]
	v_fma_f64 v[151:152], v[4:5], v[153:154], v[202:203]
	s_waitcnt vmcnt(41) lgkmcnt(0)
	v_mul_f64 v[153:154], v[135:136], v[155:156]
	ds_read_b128 v[2:5], v1 offset:1776
	v_add_f64 v[141:142], v[196:197], v[141:142]
	v_add_f64 v[6:7], v[6:7], v[139:140]
	v_mul_f64 v[139:140], v[133:134], v[155:156]
	s_waitcnt vmcnt(40)
	v_fma_f64 v[147:148], v[129:130], v[149:150], -v[147:148]
	v_fma_f64 v[137:138], v[131:132], v[149:150], v[137:138]
	ds_read_b128 v[129:132], v1 offset:1792
	s_waitcnt vmcnt(39) lgkmcnt(1)
	v_mul_f64 v[149:150], v[4:5], v[157:158]
	v_add_f64 v[141:142], v[141:142], v[145:146]
	v_add_f64 v[6:7], v[6:7], v[151:152]
	s_waitcnt vmcnt(37)
	v_fma_f64 v[151:152], v[133:134], v[161:162], -v[153:154]
	v_mul_f64 v[145:146], v[2:3], v[157:158]
	v_fma_f64 v[139:140], v[135:136], v[161:162], v[139:140]
	ds_read_b128 v[133:136], v1 offset:1808
	s_waitcnt vmcnt(32)
	v_fma_f64 v[149:150], v[2:3], v[159:160], -v[149:150]
	v_add_f64 v[141:142], v[141:142], v[147:148]
	v_add_f64 v[6:7], v[6:7], v[137:138]
	s_waitcnt lgkmcnt(1)
	v_mul_f64 v[147:148], v[131:132], v[163:164]
	v_mul_f64 v[137:138], v[129:130], v[163:164]
	v_fma_f64 v[145:146], v[4:5], v[159:160], v[145:146]
	ds_read_b128 v[2:5], v1 offset:1824
	v_add_f64 v[141:142], v[141:142], v[151:152]
	v_add_f64 v[6:7], v[6:7], v[139:140]
	s_waitcnt vmcnt(31) lgkmcnt(1)
	v_mul_f64 v[151:152], v[135:136], v[165:166]
	s_waitcnt vmcnt(29)
	v_fma_f64 v[147:148], v[129:130], v[169:170], -v[147:148]
	v_mul_f64 v[139:140], v[133:134], v[165:166]
	v_fma_f64 v[137:138], v[131:132], v[169:170], v[137:138]
	ds_read_b128 v[129:132], v1 offset:1840
	v_add_f64 v[141:142], v[141:142], v[149:150]
	v_add_f64 v[6:7], v[6:7], v[145:146]
	s_waitcnt vmcnt(25) lgkmcnt(1)
	v_mul_f64 v[149:150], v[4:5], v[171:172]
	s_waitcnt vmcnt(24)
	v_fma_f64 v[151:152], v[133:134], v[167:168], -v[151:152]
	;; [unrolled: 9-line block ×6, first 2 shown]
	v_mul_f64 v[137:138], v[129:130], v[187:188]
	v_fma_f64 v[4:5], v[4:5], v[183:184], v[145:146]
	s_waitcnt vmcnt(7) lgkmcnt(0)
	v_mul_f64 v[145:146], v[135:136], v[190:191]
	v_add_f64 v[141:142], v[141:142], v[151:152]
	v_add_f64 v[6:7], v[6:7], v[139:140]
	s_waitcnt vmcnt(5)
	v_fma_f64 v[129:130], v[129:130], v[194:195], -v[147:148]
	v_mul_f64 v[139:140], v[133:134], v[190:191]
	v_fma_f64 v[131:132], v[131:132], v[194:195], v[137:138]
	v_add_f64 v[2:3], v[141:142], v[2:3]
	v_add_f64 v[4:5], v[6:7], v[4:5]
	s_waitcnt vmcnt(4)
	v_fma_f64 v[6:7], v[133:134], v[192:193], -v[145:146]
	v_add_f64 v[2:3], v[2:3], v[129:130]
	v_fma_f64 v[129:130], v[135:136], v[192:193], v[139:140]
	v_add_f64 v[4:5], v[4:5], v[131:132]
	v_add_f64 v[2:3], v[2:3], v[6:7]
	;; [unrolled: 1-line block ×3, first 2 shown]
	s_waitcnt vmcnt(2)
	v_add_f64 v[2:3], v[143:144], -v[2:3]
	s_waitcnt vmcnt(0)
	v_add_f64 v[4:5], v[200:201], -v[4:5]
	buffer_store_dword v3, off, s[0:3], 0 offset:724
	buffer_store_dword v2, off, s[0:3], 0 offset:720
	;; [unrolled: 1-line block ×4, first 2 shown]
	v_cmpx_lt_u32_e32 43, v0
	s_cbranch_execz .LBB123_287
; %bb.286:
	v_mov_b32_e32 v5, s28
	s_clause 0x3
	buffer_load_dword v2, v5, s[0:3], 0 offen
	buffer_load_dword v3, v5, s[0:3], 0 offen offset:4
	buffer_load_dword v4, v5, s[0:3], 0 offen offset:8
	;; [unrolled: 1-line block ×3, first 2 shown]
	buffer_store_dword v1, off, s[0:3], 0 offset:704
	buffer_store_dword v1, off, s[0:3], 0 offset:708
	;; [unrolled: 1-line block ×4, first 2 shown]
	s_waitcnt vmcnt(0)
	ds_write_b128 v189, v[2:5]
.LBB123_287:
	s_or_b32 exec_lo, exec_lo, s4
	s_waitcnt lgkmcnt(0)
	s_waitcnt_vscnt null, 0x0
	s_barrier
	buffer_gl0_inv
	s_clause 0x37
	buffer_load_dword v6, off, s[0:3], 0 offset:728
	buffer_load_dword v7, off, s[0:3], 0 offset:732
	;; [unrolled: 1-line block ×56, first 2 shown]
	ds_read_b128 v[2:5], v1 offset:1664
	s_clause 0x2
	buffer_load_dword v191, off, s[0:3], 0 offset:956
	buffer_load_dword v195, off, s[0:3], 0 offset:932
	;; [unrolled: 1-line block ×3, first 2 shown]
	ds_read_b128 v[129:132], v1 offset:1680
	s_clause 0x2
	buffer_load_dword v199, off, s[0:3], 0 offset:972
	buffer_load_dword v198, off, s[0:3], 0 offset:968
	;; [unrolled: 1-line block ×3, first 2 shown]
	ds_read_b128 v[133:136], v1 offset:1696
	s_mov_b32 s4, exec_lo
	s_waitcnt vmcnt(60) lgkmcnt(2)
	v_mul_f64 v[196:197], v[4:5], v[6:7]
	v_mul_f64 v[6:7], v[2:3], v[6:7]
	s_waitcnt vmcnt(58) lgkmcnt(1)
	v_mul_f64 v[200:201], v[131:132], v[137:138]
	v_mul_f64 v[137:138], v[129:130], v[137:138]
	;; [unrolled: 3-line block ×3, first 2 shown]
	v_fma_f64 v[196:197], v[2:3], v[139:140], -v[196:197]
	v_fma_f64 v[6:7], v[4:5], v[139:140], v[6:7]
	s_clause 0x1
	buffer_load_dword v140, off, s[0:3], 0 offset:964
	buffer_load_dword v139, off, s[0:3], 0 offset:960
	s_waitcnt vmcnt(54)
	v_fma_f64 v[200:201], v[129:130], v[143:144], -v[200:201]
	ds_read_b128 v[2:5], v1 offset:1712
	v_fma_f64 v[137:138], v[131:132], v[143:144], v[137:138]
	ds_read_b128 v[129:132], v1 offset:1728
	s_waitcnt vmcnt(48)
	v_fma_f64 v[141:142], v[133:134], v[151:152], -v[141:142]
	v_fma_f64 v[151:152], v[135:136], v[151:152], v[202:203]
	v_add_f64 v[196:197], v[196:197], 0
	v_add_f64 v[6:7], v[6:7], 0
	s_waitcnt lgkmcnt(1)
	v_mul_f64 v[143:144], v[2:3], v[145:146]
	v_mul_f64 v[145:146], v[4:5], v[145:146]
	s_waitcnt vmcnt(47) lgkmcnt(0)
	v_mul_f64 v[202:203], v[129:130], v[147:148]
	v_mul_f64 v[147:148], v[131:132], v[147:148]
	v_add_f64 v[196:197], v[196:197], v[200:201]
	v_add_f64 v[6:7], v[6:7], v[137:138]
	s_clause 0x3
	buffer_load_dword v137, off, s[0:3], 0 offset:704
	buffer_load_dword v138, off, s[0:3], 0 offset:708
	;; [unrolled: 1-line block ×4, first 2 shown]
	s_waitcnt vmcnt(49)
	v_fma_f64 v[145:146], v[2:3], v[153:154], -v[145:146]
	ds_read_b128 v[133:136], v1 offset:1744
	v_fma_f64 v[143:144], v[4:5], v[153:154], v[143:144]
	ds_read_b128 v[2:5], v1 offset:1760
	s_waitcnt vmcnt(44)
	v_fma_f64 v[147:148], v[129:130], v[149:150], -v[147:148]
	v_add_f64 v[141:142], v[196:197], v[141:142]
	v_add_f64 v[6:7], v[6:7], v[151:152]
	s_waitcnt lgkmcnt(1)
	v_mul_f64 v[153:154], v[135:136], v[155:156]
	v_mul_f64 v[151:152], v[133:134], v[155:156]
	v_add_f64 v[141:142], v[141:142], v[145:146]
	v_fma_f64 v[145:146], v[131:132], v[149:150], v[202:203]
	v_add_f64 v[6:7], v[6:7], v[143:144]
	s_waitcnt vmcnt(43) lgkmcnt(0)
	v_mul_f64 v[149:150], v[4:5], v[157:158]
	s_waitcnt vmcnt(41)
	v_fma_f64 v[153:154], v[133:134], v[161:162], -v[153:154]
	ds_read_b128 v[129:132], v1 offset:1776
	v_mul_f64 v[143:144], v[2:3], v[157:158]
	v_add_f64 v[141:142], v[141:142], v[147:148]
	v_fma_f64 v[147:148], v[135:136], v[161:162], v[151:152]
	v_add_f64 v[6:7], v[6:7], v[145:146]
	ds_read_b128 v[133:136], v1 offset:1792
	s_waitcnt vmcnt(37) lgkmcnt(1)
	v_mul_f64 v[151:152], v[131:132], v[163:164]
	s_waitcnt vmcnt(36)
	v_fma_f64 v[149:150], v[2:3], v[159:160], -v[149:150]
	v_mul_f64 v[145:146], v[129:130], v[163:164]
	v_fma_f64 v[143:144], v[4:5], v[159:160], v[143:144]
	ds_read_b128 v[2:5], v1 offset:1808
	v_add_f64 v[141:142], v[141:142], v[153:154]
	s_waitcnt vmcnt(35) lgkmcnt(1)
	v_mul_f64 v[153:154], v[135:136], v[165:166]
	v_add_f64 v[6:7], v[6:7], v[147:148]
	v_mul_f64 v[147:148], v[133:134], v[165:166]
	s_waitcnt vmcnt(33)
	v_fma_f64 v[151:152], v[129:130], v[169:170], -v[151:152]
	v_fma_f64 v[145:146], v[131:132], v[169:170], v[145:146]
	ds_read_b128 v[129:132], v1 offset:1824
	v_add_f64 v[141:142], v[141:142], v[149:150]
	s_waitcnt vmcnt(29) lgkmcnt(1)
	v_mul_f64 v[149:150], v[4:5], v[171:172]
	v_add_f64 v[6:7], v[6:7], v[143:144]
	s_waitcnt vmcnt(28)
	v_fma_f64 v[153:154], v[133:134], v[167:168], -v[153:154]
	v_mul_f64 v[143:144], v[2:3], v[171:172]
	v_fma_f64 v[147:148], v[135:136], v[167:168], v[147:148]
	ds_read_b128 v[133:136], v1 offset:1840
	v_add_f64 v[141:142], v[141:142], v[151:152]
	s_waitcnt vmcnt(27) lgkmcnt(1)
	v_mul_f64 v[151:152], v[131:132], v[173:174]
	v_add_f64 v[6:7], v[6:7], v[145:146]
	s_waitcnt vmcnt(25)
	v_fma_f64 v[149:150], v[2:3], v[177:178], -v[149:150]
	v_mul_f64 v[145:146], v[129:130], v[173:174]
	;; [unrolled: 9-line block ×5, first 2 shown]
	v_fma_f64 v[143:144], v[4:5], v[183:184], v[143:144]
	ds_read_b128 v[1:4], v1 offset:1904
	v_add_f64 v[141:142], v[141:142], v[153:154]
	s_waitcnt vmcnt(9)
	v_fma_f64 v[129:130], v[129:130], v[194:195], -v[151:152]
	v_add_f64 v[5:6], v[6:7], v[147:148]
	s_waitcnt lgkmcnt(1)
	v_mul_f64 v[147:148], v[135:136], v[190:191]
	v_mul_f64 v[7:8], v[133:134], v[190:191]
	v_fma_f64 v[131:132], v[131:132], v[194:195], v[145:146]
	s_waitcnt vmcnt(7) lgkmcnt(0)
	v_mul_f64 v[145:146], v[3:4], v[198:199]
	v_add_f64 v[141:142], v[141:142], v[149:150]
	v_add_f64 v[5:6], v[5:6], v[143:144]
	s_waitcnt vmcnt(6)
	v_fma_f64 v[133:134], v[133:134], v[192:193], -v[147:148]
	v_mul_f64 v[143:144], v[1:2], v[198:199]
	v_fma_f64 v[7:8], v[135:136], v[192:193], v[7:8]
	v_add_f64 v[129:130], v[141:142], v[129:130]
	v_add_f64 v[5:6], v[5:6], v[131:132]
	s_waitcnt vmcnt(4)
	v_fma_f64 v[1:2], v[1:2], v[139:140], -v[145:146]
	v_fma_f64 v[3:4], v[3:4], v[139:140], v[143:144]
	v_add_f64 v[129:130], v[129:130], v[133:134]
	v_add_f64 v[5:6], v[5:6], v[7:8]
	;; [unrolled: 1-line block ×4, first 2 shown]
	s_waitcnt vmcnt(2)
	v_add_f64 v[1:2], v[137:138], -v[1:2]
	s_waitcnt vmcnt(0)
	v_add_f64 v[3:4], v[200:201], -v[3:4]
	buffer_store_dword v2, off, s[0:3], 0 offset:708
	buffer_store_dword v1, off, s[0:3], 0 offset:704
	;; [unrolled: 1-line block ×4, first 2 shown]
	v_cmpx_lt_u32_e32 42, v0
	s_cbranch_execz .LBB123_289
; %bb.288:
	v_mov_b32_e32 v4, s29
	v_mov_b32_e32 v5, 0
	s_clause 0x3
	buffer_load_dword v1, v4, s[0:3], 0 offen
	buffer_load_dword v2, v4, s[0:3], 0 offen offset:4
	buffer_load_dword v3, v4, s[0:3], 0 offen offset:8
	;; [unrolled: 1-line block ×3, first 2 shown]
	buffer_store_dword v5, off, s[0:3], 0 offset:688
	buffer_store_dword v5, off, s[0:3], 0 offset:692
	;; [unrolled: 1-line block ×4, first 2 shown]
	s_waitcnt vmcnt(0)
	ds_write_b128 v189, v[1:4]
.LBB123_289:
	s_or_b32 exec_lo, exec_lo, s4
	s_waitcnt lgkmcnt(0)
	s_waitcnt_vscnt null, 0x0
	s_barrier
	buffer_gl0_inv
	s_clause 0x37
	buffer_load_dword v6, off, s[0:3], 0 offset:712
	buffer_load_dword v7, off, s[0:3], 0 offset:716
	;; [unrolled: 1-line block ×56, first 2 shown]
	v_mov_b32_e32 v1, 0
	s_mov_b32 s4, exec_lo
	ds_read_b128 v[2:5], v1 offset:1648
	s_clause 0x2
	buffer_load_dword v191, off, s[0:3], 0 offset:940
	buffer_load_dword v195, off, s[0:3], 0 offset:916
	;; [unrolled: 1-line block ×3, first 2 shown]
	ds_read_b128 v[129:132], v1 offset:1664
	s_clause 0x4
	buffer_load_dword v199, off, s[0:3], 0 offset:956
	buffer_load_dword v200, off, s[0:3], 0 offset:968
	;; [unrolled: 1-line block ×5, first 2 shown]
	ds_read_b128 v[133:136], v1 offset:1680
	s_waitcnt vmcnt(62) lgkmcnt(2)
	v_mul_f64 v[196:197], v[4:5], v[6:7]
	v_mul_f64 v[6:7], v[2:3], v[6:7]
	s_waitcnt vmcnt(60) lgkmcnt(1)
	v_mul_f64 v[203:204], v[131:132], v[137:138]
	v_mul_f64 v[137:138], v[129:130], v[137:138]
	;; [unrolled: 3-line block ×3, first 2 shown]
	v_fma_f64 v[196:197], v[2:3], v[139:140], -v[196:197]
	v_fma_f64 v[6:7], v[4:5], v[139:140], v[6:7]
	s_clause 0x2
	buffer_load_dword v201, off, s[0:3], 0 offset:972
	buffer_load_dword v140, off, s[0:3], 0 offset:948
	;; [unrolled: 1-line block ×3, first 2 shown]
	s_waitcnt vmcnt(57)
	v_fma_f64 v[207:208], v[129:130], v[143:144], -v[203:204]
	ds_read_b128 v[2:5], v1 offset:1696
	v_fma_f64 v[137:138], v[131:132], v[143:144], v[137:138]
	buffer_load_dword v203, off, s[0:3], 0 offset:964
	ds_read_b128 v[129:132], v1 offset:1712
	s_waitcnt vmcnt(52)
	v_fma_f64 v[141:142], v[133:134], v[151:152], -v[141:142]
	v_fma_f64 v[151:152], v[135:136], v[151:152], v[205:206]
	ds_read_b128 v[133:136], v1 offset:1728
	v_add_f64 v[196:197], v[196:197], 0
	v_add_f64 v[6:7], v[6:7], 0
	s_waitcnt lgkmcnt(2)
	v_mul_f64 v[143:144], v[2:3], v[145:146]
	v_mul_f64 v[145:146], v[4:5], v[145:146]
	v_add_f64 v[196:197], v[196:197], v[207:208]
	v_add_f64 v[6:7], v[6:7], v[137:138]
	s_waitcnt vmcnt(51) lgkmcnt(1)
	v_mul_f64 v[137:138], v[129:130], v[147:148]
	v_mul_f64 v[147:148], v[131:132], v[147:148]
	s_waitcnt vmcnt(49)
	v_fma_f64 v[145:146], v[2:3], v[153:154], -v[145:146]
	v_fma_f64 v[143:144], v[4:5], v[153:154], v[143:144]
	v_add_f64 v[141:142], v[196:197], v[141:142]
	v_add_f64 v[6:7], v[6:7], v[151:152]
	s_clause 0x3
	buffer_load_dword v151, off, s[0:3], 0 offset:688
	buffer_load_dword v152, off, s[0:3], 0 offset:692
	;; [unrolled: 1-line block ×4, first 2 shown]
	s_waitcnt vmcnt(49) lgkmcnt(0)
	v_mul_f64 v[196:197], v[133:134], v[155:156]
	v_mul_f64 v[155:156], v[135:136], v[155:156]
	s_waitcnt vmcnt(48)
	v_fma_f64 v[147:148], v[129:130], v[149:150], -v[147:148]
	ds_read_b128 v[2:5], v1 offset:1744
	v_fma_f64 v[137:138], v[131:132], v[149:150], v[137:138]
	ds_read_b128 v[129:132], v1 offset:1760
	v_add_f64 v[141:142], v[141:142], v[145:146]
	v_add_f64 v[6:7], v[6:7], v[143:144]
	s_waitcnt vmcnt(47) lgkmcnt(1)
	v_mul_f64 v[145:146], v[4:5], v[157:158]
	s_waitcnt vmcnt(45)
	v_fma_f64 v[149:150], v[133:134], v[161:162], -v[155:156]
	v_mul_f64 v[143:144], v[2:3], v[157:158]
	s_waitcnt vmcnt(41) lgkmcnt(0)
	v_mul_f64 v[155:156], v[131:132], v[163:164]
	v_add_f64 v[141:142], v[141:142], v[147:148]
	v_fma_f64 v[147:148], v[135:136], v[161:162], v[196:197]
	v_add_f64 v[6:7], v[6:7], v[137:138]
	ds_read_b128 v[133:136], v1 offset:1776
	s_waitcnt vmcnt(40)
	v_fma_f64 v[145:146], v[2:3], v[159:160], -v[145:146]
	v_mul_f64 v[137:138], v[129:130], v[163:164]
	v_fma_f64 v[143:144], v[4:5], v[159:160], v[143:144]
	ds_read_b128 v[2:5], v1 offset:1792
	s_waitcnt vmcnt(37)
	v_fma_f64 v[155:156], v[129:130], v[169:170], -v[155:156]
	v_add_f64 v[141:142], v[141:142], v[149:150]
	s_waitcnt lgkmcnt(1)
	v_mul_f64 v[149:150], v[135:136], v[165:166]
	v_add_f64 v[6:7], v[6:7], v[147:148]
	v_mul_f64 v[147:148], v[133:134], v[165:166]
	v_fma_f64 v[137:138], v[131:132], v[169:170], v[137:138]
	ds_read_b128 v[129:132], v1 offset:1808
	v_add_f64 v[141:142], v[141:142], v[145:146]
	s_waitcnt vmcnt(33) lgkmcnt(1)
	v_mul_f64 v[145:146], v[4:5], v[171:172]
	v_add_f64 v[6:7], v[6:7], v[143:144]
	s_waitcnt vmcnt(32)
	v_fma_f64 v[149:150], v[133:134], v[167:168], -v[149:150]
	v_mul_f64 v[143:144], v[2:3], v[171:172]
	v_fma_f64 v[147:148], v[135:136], v[167:168], v[147:148]
	ds_read_b128 v[133:136], v1 offset:1824
	v_add_f64 v[141:142], v[141:142], v[155:156]
	s_waitcnt vmcnt(31) lgkmcnt(1)
	v_mul_f64 v[155:156], v[131:132], v[173:174]
	v_add_f64 v[6:7], v[6:7], v[137:138]
	s_waitcnt vmcnt(29)
	v_fma_f64 v[145:146], v[2:3], v[177:178], -v[145:146]
	v_mul_f64 v[137:138], v[129:130], v[173:174]
	v_fma_f64 v[143:144], v[4:5], v[177:178], v[143:144]
	ds_read_b128 v[2:5], v1 offset:1840
	v_add_f64 v[141:142], v[141:142], v[149:150]
	s_waitcnt vmcnt(25) lgkmcnt(1)
	v_mul_f64 v[149:150], v[135:136], v[179:180]
	v_add_f64 v[6:7], v[6:7], v[147:148]
	s_waitcnt vmcnt(24)
	v_fma_f64 v[155:156], v[129:130], v[175:176], -v[155:156]
	v_mul_f64 v[147:148], v[133:134], v[179:180]
	v_fma_f64 v[137:138], v[131:132], v[175:176], v[137:138]
	ds_read_b128 v[129:132], v1 offset:1856
	v_add_f64 v[141:142], v[141:142], v[145:146]
	s_waitcnt vmcnt(23) lgkmcnt(1)
	v_mul_f64 v[145:146], v[4:5], v[181:182]
	v_add_f64 v[6:7], v[6:7], v[143:144]
	s_waitcnt vmcnt(21)
	v_fma_f64 v[149:150], v[133:134], v[185:186], -v[149:150]
	v_mul_f64 v[143:144], v[2:3], v[181:182]
	v_fma_f64 v[147:148], v[135:136], v[185:186], v[147:148]
	ds_read_b128 v[133:136], v1 offset:1872
	v_add_f64 v[141:142], v[141:142], v[155:156]
	s_waitcnt vmcnt(17) lgkmcnt(1)
	v_mul_f64 v[155:156], v[131:132], v[187:188]
	v_add_f64 v[6:7], v[6:7], v[137:138]
	s_waitcnt vmcnt(16)
	v_fma_f64 v[145:146], v[2:3], v[183:184], -v[145:146]
	v_mul_f64 v[137:138], v[129:130], v[187:188]
	v_fma_f64 v[143:144], v[4:5], v[183:184], v[143:144]
	ds_read_b128 v[2:5], v1 offset:1888
	v_add_f64 v[141:142], v[141:142], v[149:150]
	s_waitcnt vmcnt(15) lgkmcnt(1)
	v_mul_f64 v[149:150], v[135:136], v[190:191]
	v_add_f64 v[6:7], v[6:7], v[147:148]
	s_waitcnt vmcnt(13)
	v_fma_f64 v[155:156], v[129:130], v[194:195], -v[155:156]
	v_mul_f64 v[147:148], v[133:134], v[190:191]
	v_fma_f64 v[137:138], v[131:132], v[194:195], v[137:138]
	ds_read_b128 v[129:132], v1 offset:1904
	v_add_f64 v[141:142], v[141:142], v[145:146]
	s_waitcnt vmcnt(9) lgkmcnt(1)
	v_mul_f64 v[145:146], v[4:5], v[198:199]
	v_add_f64 v[6:7], v[6:7], v[143:144]
	s_waitcnt vmcnt(8)
	v_fma_f64 v[133:134], v[133:134], v[192:193], -v[149:150]
	v_mul_f64 v[143:144], v[2:3], v[198:199]
	v_fma_f64 v[135:136], v[135:136], v[192:193], v[147:148]
	v_add_f64 v[141:142], v[141:142], v[155:156]
	v_add_f64 v[6:7], v[6:7], v[137:138]
	s_waitcnt vmcnt(7) lgkmcnt(0)
	v_mul_f64 v[147:148], v[131:132], v[200:201]
	v_mul_f64 v[137:138], v[129:130], v[200:201]
	s_waitcnt vmcnt(5)
	v_fma_f64 v[2:3], v[2:3], v[139:140], -v[145:146]
	v_fma_f64 v[4:5], v[4:5], v[139:140], v[143:144]
	v_add_f64 v[133:134], v[141:142], v[133:134]
	v_add_f64 v[6:7], v[6:7], v[135:136]
	s_waitcnt vmcnt(4)
	v_fma_f64 v[129:130], v[129:130], v[202:203], -v[147:148]
	v_fma_f64 v[131:132], v[131:132], v[202:203], v[137:138]
	v_add_f64 v[2:3], v[133:134], v[2:3]
	v_add_f64 v[4:5], v[6:7], v[4:5]
	;; [unrolled: 1-line block ×4, first 2 shown]
	s_waitcnt vmcnt(2)
	v_add_f64 v[2:3], v[151:152], -v[2:3]
	s_waitcnt vmcnt(0)
	v_add_f64 v[4:5], v[153:154], -v[4:5]
	buffer_store_dword v3, off, s[0:3], 0 offset:692
	buffer_store_dword v2, off, s[0:3], 0 offset:688
	buffer_store_dword v5, off, s[0:3], 0 offset:700
	buffer_store_dword v4, off, s[0:3], 0 offset:696
	v_cmpx_lt_u32_e32 41, v0
	s_cbranch_execz .LBB123_291
; %bb.290:
	v_mov_b32_e32 v5, s30
	s_clause 0x3
	buffer_load_dword v2, v5, s[0:3], 0 offen
	buffer_load_dword v3, v5, s[0:3], 0 offen offset:4
	buffer_load_dword v4, v5, s[0:3], 0 offen offset:8
	;; [unrolled: 1-line block ×3, first 2 shown]
	buffer_store_dword v1, off, s[0:3], 0 offset:672
	buffer_store_dword v1, off, s[0:3], 0 offset:676
	buffer_store_dword v1, off, s[0:3], 0 offset:680
	buffer_store_dword v1, off, s[0:3], 0 offset:684
	s_waitcnt vmcnt(0)
	ds_write_b128 v189, v[2:5]
.LBB123_291:
	s_or_b32 exec_lo, exec_lo, s4
	s_waitcnt lgkmcnt(0)
	s_waitcnt_vscnt null, 0x0
	s_barrier
	buffer_gl0_inv
	s_clause 0x37
	buffer_load_dword v6, off, s[0:3], 0 offset:696
	buffer_load_dword v7, off, s[0:3], 0 offset:700
	;; [unrolled: 1-line block ×56, first 2 shown]
	ds_read_b128 v[2:5], v1 offset:1632
	s_clause 0x2
	buffer_load_dword v191, off, s[0:3], 0 offset:924
	buffer_load_dword v195, off, s[0:3], 0 offset:900
	buffer_load_dword v194, off, s[0:3], 0 offset:896
	ds_read_b128 v[129:132], v1 offset:1648
	s_clause 0x4
	buffer_load_dword v199, off, s[0:3], 0 offset:940
	buffer_load_dword v200, off, s[0:3], 0 offset:952
	;; [unrolled: 1-line block ×5, first 2 shown]
	ds_read_b128 v[133:136], v1 offset:1664
	s_mov_b32 s4, exec_lo
	s_waitcnt vmcnt(62) lgkmcnt(2)
	v_mul_f64 v[196:197], v[4:5], v[6:7]
	v_mul_f64 v[6:7], v[2:3], v[6:7]
	s_waitcnt vmcnt(60) lgkmcnt(1)
	v_mul_f64 v[203:204], v[131:132], v[137:138]
	v_mul_f64 v[137:138], v[129:130], v[137:138]
	;; [unrolled: 3-line block ×3, first 2 shown]
	v_fma_f64 v[196:197], v[2:3], v[139:140], -v[196:197]
	v_fma_f64 v[6:7], v[4:5], v[139:140], v[6:7]
	s_clause 0x2
	buffer_load_dword v201, off, s[0:3], 0 offset:956
	buffer_load_dword v140, off, s[0:3], 0 offset:932
	;; [unrolled: 1-line block ×3, first 2 shown]
	s_waitcnt vmcnt(57)
	v_fma_f64 v[207:208], v[129:130], v[143:144], -v[203:204]
	ds_read_b128 v[2:5], v1 offset:1680
	v_fma_f64 v[137:138], v[131:132], v[143:144], v[137:138]
	s_clause 0x2
	buffer_load_dword v144, off, s[0:3], 0 offset:972
	buffer_load_dword v143, off, s[0:3], 0 offset:968
	;; [unrolled: 1-line block ×3, first 2 shown]
	s_waitcnt vmcnt(54)
	v_fma_f64 v[141:142], v[133:134], v[151:152], -v[141:142]
	ds_read_b128 v[129:132], v1 offset:1696
	v_fma_f64 v[151:152], v[135:136], v[151:152], v[205:206]
	v_add_f64 v[196:197], v[196:197], 0
	v_add_f64 v[6:7], v[6:7], 0
	s_waitcnt lgkmcnt(1)
	v_mul_f64 v[209:210], v[2:3], v[145:146]
	v_mul_f64 v[145:146], v[4:5], v[145:146]
	s_waitcnt vmcnt(53) lgkmcnt(0)
	v_mul_f64 v[204:205], v[129:130], v[147:148]
	v_mul_f64 v[147:148], v[131:132], v[147:148]
	v_add_f64 v[196:197], v[196:197], v[207:208]
	v_add_f64 v[6:7], v[6:7], v[137:138]
	s_clause 0x1
	buffer_load_dword v138, off, s[0:3], 0 offset:964
	buffer_load_dword v137, off, s[0:3], 0 offset:960
	s_waitcnt vmcnt(53)
	v_fma_f64 v[145:146], v[2:3], v[153:154], -v[145:146]
	ds_read_b128 v[133:136], v1 offset:1712
	v_fma_f64 v[153:154], v[4:5], v[153:154], v[209:210]
	ds_read_b128 v[2:5], v1 offset:1728
	s_waitcnt vmcnt(48)
	v_fma_f64 v[147:148], v[129:130], v[149:150], -v[147:148]
	v_add_f64 v[141:142], v[196:197], v[141:142]
	v_add_f64 v[6:7], v[6:7], v[151:152]
	s_waitcnt lgkmcnt(1)
	v_mul_f64 v[151:152], v[133:134], v[155:156]
	v_mul_f64 v[155:156], v[135:136], v[155:156]
	s_waitcnt vmcnt(47) lgkmcnt(0)
	v_mul_f64 v[196:197], v[2:3], v[157:158]
	v_mul_f64 v[157:158], v[4:5], v[157:158]
	v_add_f64 v[141:142], v[141:142], v[145:146]
	v_fma_f64 v[145:146], v[131:132], v[149:150], v[204:205]
	v_add_f64 v[6:7], v[6:7], v[153:154]
	s_clause 0x3
	buffer_load_dword v149, off, s[0:3], 0 offset:672
	buffer_load_dword v150, off, s[0:3], 0 offset:676
	;; [unrolled: 1-line block ×4, first 2 shown]
	s_waitcnt vmcnt(49)
	v_fma_f64 v[155:156], v[133:134], v[161:162], -v[155:156]
	ds_read_b128 v[129:132], v1 offset:1744
	s_waitcnt vmcnt(44)
	v_fma_f64 v[157:158], v[2:3], v[159:160], -v[157:158]
	v_add_f64 v[141:142], v[141:142], v[147:148]
	v_fma_f64 v[147:148], v[135:136], v[161:162], v[151:152]
	v_add_f64 v[6:7], v[6:7], v[145:146]
	ds_read_b128 v[133:136], v1 offset:1760
	s_waitcnt lgkmcnt(1)
	v_mul_f64 v[151:152], v[131:132], v[163:164]
	v_mul_f64 v[145:146], v[129:130], v[163:164]
	v_add_f64 v[141:142], v[141:142], v[155:156]
	v_fma_f64 v[155:156], v[4:5], v[159:160], v[196:197]
	v_add_f64 v[6:7], v[6:7], v[147:148]
	s_waitcnt vmcnt(43) lgkmcnt(0)
	v_mul_f64 v[159:160], v[135:136], v[165:166]
	s_waitcnt vmcnt(41)
	v_fma_f64 v[151:152], v[129:130], v[169:170], -v[151:152]
	ds_read_b128 v[2:5], v1 offset:1776
	v_mul_f64 v[147:148], v[133:134], v[165:166]
	v_fma_f64 v[145:146], v[131:132], v[169:170], v[145:146]
	ds_read_b128 v[129:132], v1 offset:1792
	v_add_f64 v[141:142], v[141:142], v[157:158]
	v_add_f64 v[6:7], v[6:7], v[155:156]
	s_waitcnt vmcnt(37) lgkmcnt(1)
	v_mul_f64 v[157:158], v[4:5], v[171:172]
	s_waitcnt vmcnt(36)
	v_fma_f64 v[159:160], v[133:134], v[167:168], -v[159:160]
	v_mul_f64 v[155:156], v[2:3], v[171:172]
	v_fma_f64 v[147:148], v[135:136], v[167:168], v[147:148]
	ds_read_b128 v[133:136], v1 offset:1808
	v_add_f64 v[141:142], v[141:142], v[151:152]
	s_waitcnt vmcnt(35) lgkmcnt(1)
	v_mul_f64 v[151:152], v[131:132], v[173:174]
	v_add_f64 v[6:7], v[6:7], v[145:146]
	s_waitcnt vmcnt(33)
	v_fma_f64 v[157:158], v[2:3], v[177:178], -v[157:158]
	v_mul_f64 v[145:146], v[129:130], v[173:174]
	v_fma_f64 v[155:156], v[4:5], v[177:178], v[155:156]
	ds_read_b128 v[2:5], v1 offset:1824
	v_add_f64 v[141:142], v[141:142], v[159:160]
	s_waitcnt vmcnt(29) lgkmcnt(1)
	v_mul_f64 v[159:160], v[135:136], v[179:180]
	v_add_f64 v[6:7], v[6:7], v[147:148]
	;; [unrolled: 9-line block ×6, first 2 shown]
	s_waitcnt vmcnt(12)
	v_fma_f64 v[159:160], v[133:134], v[192:193], -v[159:160]
	v_mul_f64 v[155:156], v[2:3], v[198:199]
	v_fma_f64 v[147:148], v[135:136], v[192:193], v[147:148]
	ds_read_b128 v[133:136], v1 offset:1904
	v_add_f64 v[141:142], v[141:142], v[151:152]
	v_add_f64 v[6:7], v[6:7], v[145:146]
	s_waitcnt vmcnt(11) lgkmcnt(1)
	v_mul_f64 v[151:152], v[131:132], v[200:201]
	v_mul_f64 v[145:146], v[129:130], v[200:201]
	s_waitcnt vmcnt(9)
	v_fma_f64 v[1:2], v[2:3], v[139:140], -v[157:158]
	v_fma_f64 v[3:4], v[4:5], v[139:140], v[155:156]
	s_waitcnt vmcnt(7) lgkmcnt(0)
	v_mul_f64 v[139:140], v[135:136], v[143:144]
	v_add_f64 v[141:142], v[141:142], v[159:160]
	v_add_f64 v[5:6], v[6:7], v[147:148]
	v_mul_f64 v[7:8], v[133:134], v[143:144]
	s_waitcnt vmcnt(6)
	v_fma_f64 v[129:130], v[129:130], v[202:203], -v[151:152]
	v_fma_f64 v[131:132], v[131:132], v[202:203], v[145:146]
	v_add_f64 v[1:2], v[141:142], v[1:2]
	v_add_f64 v[3:4], v[5:6], v[3:4]
	s_waitcnt vmcnt(4)
	v_fma_f64 v[5:6], v[133:134], v[137:138], -v[139:140]
	v_fma_f64 v[7:8], v[135:136], v[137:138], v[7:8]
	v_add_f64 v[1:2], v[1:2], v[129:130]
	v_add_f64 v[3:4], v[3:4], v[131:132]
	;; [unrolled: 1-line block ×4, first 2 shown]
	s_waitcnt vmcnt(2)
	v_add_f64 v[1:2], v[149:150], -v[1:2]
	s_waitcnt vmcnt(0)
	v_add_f64 v[3:4], v[153:154], -v[3:4]
	buffer_store_dword v2, off, s[0:3], 0 offset:676
	buffer_store_dword v1, off, s[0:3], 0 offset:672
	;; [unrolled: 1-line block ×4, first 2 shown]
	v_cmpx_lt_u32_e32 40, v0
	s_cbranch_execz .LBB123_293
; %bb.292:
	v_mov_b32_e32 v4, s31
	v_mov_b32_e32 v5, 0
	s_clause 0x3
	buffer_load_dword v1, v4, s[0:3], 0 offen
	buffer_load_dword v2, v4, s[0:3], 0 offen offset:4
	buffer_load_dword v3, v4, s[0:3], 0 offen offset:8
	;; [unrolled: 1-line block ×3, first 2 shown]
	buffer_store_dword v5, off, s[0:3], 0 offset:656
	buffer_store_dword v5, off, s[0:3], 0 offset:660
	;; [unrolled: 1-line block ×4, first 2 shown]
	s_waitcnt vmcnt(0)
	ds_write_b128 v189, v[1:4]
.LBB123_293:
	s_or_b32 exec_lo, exec_lo, s4
	s_waitcnt lgkmcnt(0)
	s_waitcnt_vscnt null, 0x0
	s_barrier
	buffer_gl0_inv
	s_clause 0x37
	buffer_load_dword v6, off, s[0:3], 0 offset:680
	buffer_load_dword v7, off, s[0:3], 0 offset:684
	;; [unrolled: 1-line block ×56, first 2 shown]
	v_mov_b32_e32 v1, 0
	s_mov_b32 s4, exec_lo
	ds_read_b128 v[2:5], v1 offset:1616
	s_clause 0x2
	buffer_load_dword v191, off, s[0:3], 0 offset:908
	buffer_load_dword v195, off, s[0:3], 0 offset:884
	;; [unrolled: 1-line block ×3, first 2 shown]
	ds_read_b128 v[129:132], v1 offset:1632
	s_clause 0x4
	buffer_load_dword v199, off, s[0:3], 0 offset:924
	buffer_load_dword v200, off, s[0:3], 0 offset:936
	;; [unrolled: 1-line block ×5, first 2 shown]
	ds_read_b128 v[133:136], v1 offset:1648
	s_waitcnt vmcnt(62) lgkmcnt(2)
	v_mul_f64 v[196:197], v[4:5], v[6:7]
	v_mul_f64 v[6:7], v[2:3], v[6:7]
	s_waitcnt vmcnt(60) lgkmcnt(1)
	v_mul_f64 v[203:204], v[131:132], v[137:138]
	v_mul_f64 v[137:138], v[129:130], v[137:138]
	;; [unrolled: 3-line block ×3, first 2 shown]
	v_fma_f64 v[196:197], v[2:3], v[139:140], -v[196:197]
	v_fma_f64 v[6:7], v[4:5], v[139:140], v[6:7]
	s_clause 0x2
	buffer_load_dword v201, off, s[0:3], 0 offset:940
	buffer_load_dword v140, off, s[0:3], 0 offset:916
	buffer_load_dword v139, off, s[0:3], 0 offset:912
	s_waitcnt vmcnt(57)
	v_fma_f64 v[207:208], v[129:130], v[143:144], -v[203:204]
	ds_read_b128 v[2:5], v1 offset:1664
	v_fma_f64 v[137:138], v[131:132], v[143:144], v[137:138]
	s_clause 0x4
	buffer_load_dword v144, off, s[0:3], 0 offset:956
	buffer_load_dword v204, off, s[0:3], 0 offset:968
	;; [unrolled: 1-line block ×5, first 2 shown]
	s_waitcnt vmcnt(56)
	v_fma_f64 v[141:142], v[133:134], v[151:152], -v[141:142]
	ds_read_b128 v[129:132], v1 offset:1680
	v_fma_f64 v[151:152], v[135:136], v[151:152], v[205:206]
	v_add_f64 v[196:197], v[196:197], 0
	v_add_f64 v[6:7], v[6:7], 0
	s_waitcnt lgkmcnt(1)
	v_mul_f64 v[210:211], v[2:3], v[145:146]
	v_mul_f64 v[145:146], v[4:5], v[145:146]
	v_add_f64 v[196:197], v[196:197], v[207:208]
	v_add_f64 v[6:7], v[6:7], v[137:138]
	s_clause 0x2
	buffer_load_dword v205, off, s[0:3], 0 offset:972
	buffer_load_dword v138, off, s[0:3], 0 offset:948
	buffer_load_dword v137, off, s[0:3], 0 offset:944
	s_waitcnt vmcnt(58) lgkmcnt(0)
	v_mul_f64 v[206:207], v[129:130], v[147:148]
	v_mul_f64 v[147:148], v[131:132], v[147:148]
	s_waitcnt vmcnt(56)
	v_fma_f64 v[145:146], v[2:3], v[153:154], -v[145:146]
	ds_read_b128 v[133:136], v1 offset:1696
	v_fma_f64 v[153:154], v[4:5], v[153:154], v[210:211]
	buffer_load_dword v210, off, s[0:3], 0 offset:964
	ds_read_b128 v[2:5], v1 offset:1712
	v_add_f64 v[141:142], v[196:197], v[141:142]
	v_add_f64 v[6:7], v[6:7], v[151:152]
	s_waitcnt vmcnt(53) lgkmcnt(1)
	v_mul_f64 v[151:152], v[133:134], v[155:156]
	v_mul_f64 v[155:156], v[135:136], v[155:156]
	s_waitcnt vmcnt(52)
	v_fma_f64 v[147:148], v[129:130], v[149:150], -v[147:148]
	v_add_f64 v[141:142], v[141:142], v[145:146]
	v_fma_f64 v[145:146], v[131:132], v[149:150], v[206:207]
	v_add_f64 v[6:7], v[6:7], v[153:154]
	s_waitcnt vmcnt(51) lgkmcnt(0)
	v_mul_f64 v[153:154], v[4:5], v[157:158]
	ds_read_b128 v[129:132], v1 offset:1728
	s_waitcnt vmcnt(49)
	v_fma_f64 v[155:156], v[133:134], v[161:162], -v[155:156]
	v_mul_f64 v[149:150], v[2:3], v[157:158]
	v_add_f64 v[141:142], v[141:142], v[147:148]
	v_fma_f64 v[147:148], v[135:136], v[161:162], v[151:152]
	v_add_f64 v[6:7], v[6:7], v[145:146]
	s_clause 0x3
	buffer_load_dword v145, off, s[0:3], 0 offset:656
	buffer_load_dword v146, off, s[0:3], 0 offset:660
	;; [unrolled: 1-line block ×4, first 2 shown]
	s_waitcnt vmcnt(49) lgkmcnt(0)
	v_mul_f64 v[161:162], v[131:132], v[163:164]
	s_waitcnt vmcnt(48)
	v_fma_f64 v[153:154], v[2:3], v[159:160], -v[153:154]
	ds_read_b128 v[133:136], v1 offset:1744
	v_mul_f64 v[157:158], v[129:130], v[163:164]
	v_fma_f64 v[149:150], v[4:5], v[159:160], v[149:150]
	ds_read_b128 v[2:5], v1 offset:1760
	v_add_f64 v[141:142], v[141:142], v[155:156]
	v_add_f64 v[6:7], v[6:7], v[147:148]
	s_waitcnt vmcnt(47) lgkmcnt(1)
	v_mul_f64 v[155:156], v[135:136], v[165:166]
	s_waitcnt vmcnt(45)
	v_fma_f64 v[159:160], v[129:130], v[169:170], -v[161:162]
	v_mul_f64 v[147:148], v[133:134], v[165:166]
	v_add_f64 v[141:142], v[141:142], v[153:154]
	v_fma_f64 v[153:154], v[131:132], v[169:170], v[157:158]
	v_add_f64 v[6:7], v[6:7], v[149:150]
	s_waitcnt vmcnt(41) lgkmcnt(0)
	v_mul_f64 v[157:158], v[4:5], v[171:172]
	s_waitcnt vmcnt(40)
	v_fma_f64 v[155:156], v[133:134], v[167:168], -v[155:156]
	ds_read_b128 v[129:132], v1 offset:1776
	v_mul_f64 v[149:150], v[2:3], v[171:172]
	v_fma_f64 v[147:148], v[135:136], v[167:168], v[147:148]
	ds_read_b128 v[133:136], v1 offset:1792
	v_add_f64 v[141:142], v[141:142], v[159:160]
	v_add_f64 v[6:7], v[6:7], v[153:154]
	s_waitcnt vmcnt(39) lgkmcnt(1)
	v_mul_f64 v[159:160], v[131:132], v[173:174]
	s_waitcnt vmcnt(37)
	v_fma_f64 v[157:158], v[2:3], v[177:178], -v[157:158]
	v_mul_f64 v[153:154], v[129:130], v[173:174]
	v_fma_f64 v[149:150], v[4:5], v[177:178], v[149:150]
	ds_read_b128 v[2:5], v1 offset:1808
	v_add_f64 v[141:142], v[141:142], v[155:156]
	s_waitcnt vmcnt(33) lgkmcnt(1)
	v_mul_f64 v[155:156], v[135:136], v[179:180]
	v_add_f64 v[6:7], v[6:7], v[147:148]
	s_waitcnt vmcnt(32)
	v_fma_f64 v[159:160], v[129:130], v[175:176], -v[159:160]
	v_mul_f64 v[147:148], v[133:134], v[179:180]
	v_fma_f64 v[153:154], v[131:132], v[175:176], v[153:154]
	ds_read_b128 v[129:132], v1 offset:1824
	v_add_f64 v[141:142], v[141:142], v[157:158]
	s_waitcnt vmcnt(31) lgkmcnt(1)
	v_mul_f64 v[157:158], v[4:5], v[181:182]
	v_add_f64 v[6:7], v[6:7], v[149:150]
	;; [unrolled: 9-line block ×5, first 2 shown]
	s_waitcnt vmcnt(16)
	v_fma_f64 v[155:156], v[133:134], v[192:193], -v[155:156]
	v_mul_f64 v[149:150], v[2:3], v[198:199]
	v_fma_f64 v[147:148], v[135:136], v[192:193], v[147:148]
	ds_read_b128 v[133:136], v1 offset:1888
	v_add_f64 v[141:142], v[141:142], v[159:160]
	v_add_f64 v[6:7], v[6:7], v[153:154]
	s_waitcnt vmcnt(15) lgkmcnt(1)
	v_mul_f64 v[159:160], v[131:132], v[200:201]
	v_mul_f64 v[153:154], v[129:130], v[200:201]
	s_waitcnt vmcnt(13)
	v_fma_f64 v[157:158], v[2:3], v[139:140], -v[157:158]
	v_fma_f64 v[139:140], v[4:5], v[139:140], v[149:150]
	ds_read_b128 v[2:5], v1 offset:1904
	v_add_f64 v[141:142], v[141:142], v[155:156]
	v_add_f64 v[6:7], v[6:7], v[147:148]
	s_waitcnt vmcnt(9) lgkmcnt(1)
	v_mul_f64 v[147:148], v[133:134], v[143:144]
	v_mul_f64 v[143:144], v[135:136], v[143:144]
	s_waitcnt vmcnt(8)
	v_fma_f64 v[129:130], v[129:130], v[202:203], -v[159:160]
	v_fma_f64 v[131:132], v[131:132], v[202:203], v[153:154]
	v_add_f64 v[141:142], v[141:142], v[157:158]
	v_add_f64 v[6:7], v[6:7], v[139:140]
	s_waitcnt vmcnt(7) lgkmcnt(0)
	v_mul_f64 v[149:150], v[4:5], v[204:205]
	v_mul_f64 v[139:140], v[2:3], v[204:205]
	s_waitcnt vmcnt(5)
	v_fma_f64 v[133:134], v[133:134], v[137:138], -v[143:144]
	v_fma_f64 v[135:136], v[135:136], v[137:138], v[147:148]
	v_add_f64 v[129:130], v[141:142], v[129:130]
	v_add_f64 v[6:7], v[6:7], v[131:132]
	s_waitcnt vmcnt(4)
	v_fma_f64 v[2:3], v[2:3], v[209:210], -v[149:150]
	v_fma_f64 v[4:5], v[4:5], v[209:210], v[139:140]
	v_add_f64 v[129:130], v[129:130], v[133:134]
	v_add_f64 v[6:7], v[6:7], v[135:136]
	;; [unrolled: 1-line block ×4, first 2 shown]
	s_waitcnt vmcnt(2)
	v_add_f64 v[2:3], v[145:146], -v[2:3]
	s_waitcnt vmcnt(0)
	v_add_f64 v[4:5], v[151:152], -v[4:5]
	buffer_store_dword v3, off, s[0:3], 0 offset:660
	buffer_store_dword v2, off, s[0:3], 0 offset:656
	;; [unrolled: 1-line block ×4, first 2 shown]
	v_cmpx_lt_u32_e32 39, v0
	s_cbranch_execz .LBB123_295
; %bb.294:
	v_mov_b32_e32 v5, s33
	s_clause 0x3
	buffer_load_dword v2, v5, s[0:3], 0 offen
	buffer_load_dword v3, v5, s[0:3], 0 offen offset:4
	buffer_load_dword v4, v5, s[0:3], 0 offen offset:8
	;; [unrolled: 1-line block ×3, first 2 shown]
	buffer_store_dword v1, off, s[0:3], 0 offset:640
	buffer_store_dword v1, off, s[0:3], 0 offset:644
	;; [unrolled: 1-line block ×4, first 2 shown]
	s_waitcnt vmcnt(0)
	ds_write_b128 v189, v[2:5]
.LBB123_295:
	s_or_b32 exec_lo, exec_lo, s4
	s_waitcnt lgkmcnt(0)
	s_waitcnt_vscnt null, 0x0
	s_barrier
	buffer_gl0_inv
	s_clause 0x37
	buffer_load_dword v6, off, s[0:3], 0 offset:664
	buffer_load_dword v7, off, s[0:3], 0 offset:668
	;; [unrolled: 1-line block ×56, first 2 shown]
	ds_read_b128 v[2:5], v1 offset:1600
	s_clause 0x2
	buffer_load_dword v191, off, s[0:3], 0 offset:892
	buffer_load_dword v195, off, s[0:3], 0 offset:868
	;; [unrolled: 1-line block ×3, first 2 shown]
	ds_read_b128 v[129:132], v1 offset:1616
	s_clause 0x4
	buffer_load_dword v199, off, s[0:3], 0 offset:908
	buffer_load_dword v200, off, s[0:3], 0 offset:920
	;; [unrolled: 1-line block ×5, first 2 shown]
	ds_read_b128 v[133:136], v1 offset:1632
	s_mov_b32 s4, exec_lo
	s_waitcnt vmcnt(62) lgkmcnt(2)
	v_mul_f64 v[196:197], v[4:5], v[6:7]
	v_mul_f64 v[6:7], v[2:3], v[6:7]
	s_waitcnt vmcnt(60) lgkmcnt(1)
	v_mul_f64 v[203:204], v[131:132], v[137:138]
	v_mul_f64 v[137:138], v[129:130], v[137:138]
	;; [unrolled: 3-line block ×3, first 2 shown]
	v_fma_f64 v[196:197], v[2:3], v[139:140], -v[196:197]
	v_fma_f64 v[6:7], v[4:5], v[139:140], v[6:7]
	s_clause 0x2
	buffer_load_dword v201, off, s[0:3], 0 offset:924
	buffer_load_dword v140, off, s[0:3], 0 offset:900
	;; [unrolled: 1-line block ×3, first 2 shown]
	s_waitcnt vmcnt(57)
	v_fma_f64 v[207:208], v[129:130], v[143:144], -v[203:204]
	ds_read_b128 v[2:5], v1 offset:1648
	v_fma_f64 v[137:138], v[131:132], v[143:144], v[137:138]
	s_clause 0x4
	buffer_load_dword v144, off, s[0:3], 0 offset:940
	buffer_load_dword v204, off, s[0:3], 0 offset:952
	;; [unrolled: 1-line block ×5, first 2 shown]
	s_waitcnt vmcnt(56)
	v_fma_f64 v[141:142], v[133:134], v[151:152], -v[141:142]
	ds_read_b128 v[129:132], v1 offset:1664
	v_fma_f64 v[151:152], v[135:136], v[151:152], v[205:206]
	v_add_f64 v[196:197], v[196:197], 0
	v_add_f64 v[6:7], v[6:7], 0
	s_waitcnt lgkmcnt(1)
	v_mul_f64 v[210:211], v[2:3], v[145:146]
	v_mul_f64 v[145:146], v[4:5], v[145:146]
	v_add_f64 v[196:197], v[196:197], v[207:208]
	v_add_f64 v[6:7], v[6:7], v[137:138]
	s_clause 0x2
	buffer_load_dword v205, off, s[0:3], 0 offset:956
	buffer_load_dword v138, off, s[0:3], 0 offset:932
	buffer_load_dword v137, off, s[0:3], 0 offset:928
	s_waitcnt vmcnt(58) lgkmcnt(0)
	v_mul_f64 v[206:207], v[129:130], v[147:148]
	v_mul_f64 v[147:148], v[131:132], v[147:148]
	s_waitcnt vmcnt(56)
	v_fma_f64 v[145:146], v[2:3], v[153:154], -v[145:146]
	ds_read_b128 v[133:136], v1 offset:1680
	v_fma_f64 v[153:154], v[4:5], v[153:154], v[210:211]
	v_add_f64 v[141:142], v[196:197], v[141:142]
	v_add_f64 v[6:7], v[6:7], v[151:152]
	s_clause 0x2
	buffer_load_dword v152, off, s[0:3], 0 offset:972
	buffer_load_dword v151, off, s[0:3], 0 offset:968
	;; [unrolled: 1-line block ×3, first 2 shown]
	ds_read_b128 v[2:5], v1 offset:1696
	s_waitcnt vmcnt(55) lgkmcnt(1)
	v_mul_f64 v[196:197], v[133:134], v[155:156]
	v_mul_f64 v[155:156], v[135:136], v[155:156]
	s_waitcnt vmcnt(54)
	v_fma_f64 v[147:148], v[129:130], v[149:150], -v[147:148]
	v_add_f64 v[141:142], v[141:142], v[145:146]
	v_fma_f64 v[145:146], v[131:132], v[149:150], v[206:207]
	v_add_f64 v[6:7], v[6:7], v[153:154]
	s_clause 0x1
	buffer_load_dword v150, off, s[0:3], 0 offset:964
	buffer_load_dword v149, off, s[0:3], 0 offset:960
	s_waitcnt vmcnt(55) lgkmcnt(0)
	v_mul_f64 v[153:154], v[2:3], v[157:158]
	v_mul_f64 v[157:158], v[4:5], v[157:158]
	s_waitcnt vmcnt(53)
	v_fma_f64 v[155:156], v[133:134], v[161:162], -v[155:156]
	ds_read_b128 v[129:132], v1 offset:1712
	v_add_f64 v[141:142], v[141:142], v[147:148]
	v_fma_f64 v[147:148], v[135:136], v[161:162], v[196:197]
	v_add_f64 v[6:7], v[6:7], v[145:146]
	ds_read_b128 v[133:136], v1 offset:1728
	s_waitcnt vmcnt(48)
	v_fma_f64 v[153:154], v[4:5], v[159:160], v[153:154]
	s_waitcnt lgkmcnt(1)
	v_mul_f64 v[161:162], v[131:132], v[163:164]
	v_fma_f64 v[157:158], v[2:3], v[159:160], -v[157:158]
	v_mul_f64 v[145:146], v[129:130], v[163:164]
	v_add_f64 v[141:142], v[141:142], v[155:156]
	s_waitcnt vmcnt(47) lgkmcnt(0)
	v_mul_f64 v[163:164], v[135:136], v[165:166]
	v_add_f64 v[6:7], v[6:7], v[147:148]
	s_clause 0x3
	buffer_load_dword v147, off, s[0:3], 0 offset:640
	buffer_load_dword v148, off, s[0:3], 0 offset:644
	;; [unrolled: 1-line block ×4, first 2 shown]
	ds_read_b128 v[2:5], v1 offset:1744
	s_waitcnt vmcnt(49)
	v_fma_f64 v[161:162], v[129:130], v[169:170], -v[161:162]
	v_mul_f64 v[159:160], v[133:134], v[165:166]
	v_fma_f64 v[145:146], v[131:132], v[169:170], v[145:146]
	ds_read_b128 v[129:132], v1 offset:1760
	v_add_f64 v[141:142], v[141:142], v[157:158]
	s_waitcnt vmcnt(44)
	v_fma_f64 v[163:164], v[133:134], v[167:168], -v[163:164]
	v_add_f64 v[6:7], v[6:7], v[153:154]
	s_waitcnt lgkmcnt(1)
	v_mul_f64 v[157:158], v[4:5], v[171:172]
	v_mul_f64 v[153:154], v[2:3], v[171:172]
	v_fma_f64 v[159:160], v[135:136], v[167:168], v[159:160]
	ds_read_b128 v[133:136], v1 offset:1776
	v_add_f64 v[141:142], v[141:142], v[161:162]
	s_waitcnt vmcnt(43) lgkmcnt(1)
	v_mul_f64 v[161:162], v[131:132], v[173:174]
	v_add_f64 v[6:7], v[6:7], v[145:146]
	s_waitcnt vmcnt(41)
	v_fma_f64 v[157:158], v[2:3], v[177:178], -v[157:158]
	v_mul_f64 v[145:146], v[129:130], v[173:174]
	v_fma_f64 v[153:154], v[4:5], v[177:178], v[153:154]
	ds_read_b128 v[2:5], v1 offset:1792
	v_add_f64 v[141:142], v[141:142], v[163:164]
	s_waitcnt vmcnt(37) lgkmcnt(1)
	v_mul_f64 v[163:164], v[135:136], v[179:180]
	v_add_f64 v[6:7], v[6:7], v[159:160]
	s_waitcnt vmcnt(36)
	v_fma_f64 v[161:162], v[129:130], v[175:176], -v[161:162]
	;; [unrolled: 9-line block ×6, first 2 shown]
	v_mul_f64 v[153:154], v[2:3], v[198:199]
	v_fma_f64 v[159:160], v[135:136], v[192:193], v[159:160]
	ds_read_b128 v[133:136], v1 offset:1872
	v_add_f64 v[141:142], v[141:142], v[161:162]
	v_add_f64 v[6:7], v[6:7], v[145:146]
	s_waitcnt vmcnt(19) lgkmcnt(1)
	v_mul_f64 v[161:162], v[131:132], v[200:201]
	v_mul_f64 v[145:146], v[129:130], v[200:201]
	s_waitcnt vmcnt(17)
	v_fma_f64 v[157:158], v[2:3], v[139:140], -v[157:158]
	v_fma_f64 v[139:140], v[4:5], v[139:140], v[153:154]
	ds_read_b128 v[2:5], v1 offset:1888
	s_waitcnt vmcnt(13) lgkmcnt(1)
	v_mul_f64 v[153:154], v[133:134], v[143:144]
	v_mul_f64 v[143:144], v[135:136], v[143:144]
	v_add_f64 v[141:142], v[141:142], v[163:164]
	v_add_f64 v[6:7], v[6:7], v[159:160]
	s_waitcnt vmcnt(12)
	v_fma_f64 v[159:160], v[129:130], v[202:203], -v[161:162]
	v_fma_f64 v[145:146], v[131:132], v[202:203], v[145:146]
	ds_read_b128 v[129:132], v1 offset:1904
	v_add_f64 v[141:142], v[141:142], v[157:158]
	v_add_f64 v[6:7], v[6:7], v[139:140]
	s_waitcnt vmcnt(11) lgkmcnt(1)
	v_mul_f64 v[157:158], v[4:5], v[204:205]
	v_mul_f64 v[139:140], v[2:3], v[204:205]
	s_waitcnt vmcnt(9)
	v_fma_f64 v[133:134], v[133:134], v[137:138], -v[143:144]
	v_fma_f64 v[135:136], v[135:136], v[137:138], v[153:154]
	v_add_f64 v[141:142], v[141:142], v[159:160]
	v_add_f64 v[6:7], v[6:7], v[145:146]
	s_waitcnt vmcnt(7) lgkmcnt(0)
	v_mul_f64 v[143:144], v[131:132], v[151:152]
	s_waitcnt vmcnt(6)
	v_fma_f64 v[1:2], v[2:3], v[209:210], -v[157:158]
	v_mul_f64 v[137:138], v[129:130], v[151:152]
	v_fma_f64 v[3:4], v[4:5], v[209:210], v[139:140]
	v_add_f64 v[133:134], v[141:142], v[133:134]
	v_add_f64 v[5:6], v[6:7], v[135:136]
	s_waitcnt vmcnt(4)
	v_fma_f64 v[7:8], v[129:130], v[149:150], -v[143:144]
	v_fma_f64 v[129:130], v[131:132], v[149:150], v[137:138]
	v_add_f64 v[1:2], v[133:134], v[1:2]
	v_add_f64 v[3:4], v[5:6], v[3:4]
	v_add_f64 v[1:2], v[1:2], v[7:8]
	v_add_f64 v[3:4], v[3:4], v[129:130]
	s_waitcnt vmcnt(2)
	v_add_f64 v[1:2], v[147:148], -v[1:2]
	s_waitcnt vmcnt(0)
	v_add_f64 v[3:4], v[155:156], -v[3:4]
	buffer_store_dword v2, off, s[0:3], 0 offset:644
	buffer_store_dword v1, off, s[0:3], 0 offset:640
	;; [unrolled: 1-line block ×4, first 2 shown]
	v_cmpx_lt_u32_e32 38, v0
	s_cbranch_execz .LBB123_297
; %bb.296:
	v_mov_b32_e32 v4, s34
	v_mov_b32_e32 v5, 0
	s_clause 0x3
	buffer_load_dword v1, v4, s[0:3], 0 offen
	buffer_load_dword v2, v4, s[0:3], 0 offen offset:4
	buffer_load_dword v3, v4, s[0:3], 0 offen offset:8
	buffer_load_dword v4, v4, s[0:3], 0 offen offset:12
	buffer_store_dword v5, off, s[0:3], 0 offset:624
	buffer_store_dword v5, off, s[0:3], 0 offset:628
	;; [unrolled: 1-line block ×4, first 2 shown]
	s_waitcnt vmcnt(0)
	ds_write_b128 v189, v[1:4]
.LBB123_297:
	s_or_b32 exec_lo, exec_lo, s4
	s_waitcnt lgkmcnt(0)
	s_waitcnt_vscnt null, 0x0
	s_barrier
	buffer_gl0_inv
	s_clause 0x37
	buffer_load_dword v6, off, s[0:3], 0 offset:648
	buffer_load_dword v7, off, s[0:3], 0 offset:652
	;; [unrolled: 1-line block ×56, first 2 shown]
	v_mov_b32_e32 v1, 0
	s_mov_b32 s4, exec_lo
	ds_read_b128 v[2:5], v1 offset:1584
	s_clause 0x2
	buffer_load_dword v191, off, s[0:3], 0 offset:876
	buffer_load_dword v195, off, s[0:3], 0 offset:852
	;; [unrolled: 1-line block ×3, first 2 shown]
	ds_read_b128 v[129:132], v1 offset:1600
	s_clause 0x4
	buffer_load_dword v199, off, s[0:3], 0 offset:892
	buffer_load_dword v200, off, s[0:3], 0 offset:904
	;; [unrolled: 1-line block ×5, first 2 shown]
	ds_read_b128 v[133:136], v1 offset:1616
	s_waitcnt vmcnt(62) lgkmcnt(2)
	v_mul_f64 v[196:197], v[4:5], v[6:7]
	v_mul_f64 v[6:7], v[2:3], v[6:7]
	s_waitcnt vmcnt(60) lgkmcnt(1)
	v_mul_f64 v[203:204], v[131:132], v[137:138]
	v_mul_f64 v[137:138], v[129:130], v[137:138]
	;; [unrolled: 3-line block ×3, first 2 shown]
	v_fma_f64 v[196:197], v[2:3], v[139:140], -v[196:197]
	v_fma_f64 v[6:7], v[4:5], v[139:140], v[6:7]
	s_clause 0x2
	buffer_load_dword v201, off, s[0:3], 0 offset:908
	buffer_load_dword v140, off, s[0:3], 0 offset:884
	buffer_load_dword v139, off, s[0:3], 0 offset:880
	s_waitcnt vmcnt(57)
	v_fma_f64 v[207:208], v[129:130], v[143:144], -v[203:204]
	ds_read_b128 v[2:5], v1 offset:1632
	v_fma_f64 v[137:138], v[131:132], v[143:144], v[137:138]
	s_clause 0x4
	buffer_load_dword v144, off, s[0:3], 0 offset:924
	buffer_load_dword v204, off, s[0:3], 0 offset:936
	;; [unrolled: 1-line block ×5, first 2 shown]
	s_waitcnt vmcnt(56)
	v_fma_f64 v[141:142], v[133:134], v[151:152], -v[141:142]
	ds_read_b128 v[129:132], v1 offset:1648
	v_fma_f64 v[151:152], v[135:136], v[151:152], v[205:206]
	v_add_f64 v[196:197], v[196:197], 0
	v_add_f64 v[6:7], v[6:7], 0
	s_waitcnt lgkmcnt(1)
	v_mul_f64 v[210:211], v[2:3], v[145:146]
	v_mul_f64 v[145:146], v[4:5], v[145:146]
	v_add_f64 v[196:197], v[196:197], v[207:208]
	v_add_f64 v[6:7], v[6:7], v[137:138]
	s_clause 0x2
	buffer_load_dword v205, off, s[0:3], 0 offset:940
	buffer_load_dword v138, off, s[0:3], 0 offset:916
	;; [unrolled: 1-line block ×3, first 2 shown]
	s_waitcnt vmcnt(58) lgkmcnt(0)
	v_mul_f64 v[206:207], v[129:130], v[147:148]
	v_mul_f64 v[147:148], v[131:132], v[147:148]
	s_waitcnt vmcnt(56)
	v_fma_f64 v[145:146], v[2:3], v[153:154], -v[145:146]
	ds_read_b128 v[133:136], v1 offset:1664
	v_fma_f64 v[153:154], v[4:5], v[153:154], v[210:211]
	v_add_f64 v[141:142], v[196:197], v[141:142]
	v_add_f64 v[6:7], v[6:7], v[151:152]
	s_clause 0x4
	buffer_load_dword v152, off, s[0:3], 0 offset:956
	buffer_load_dword v196, off, s[0:3], 0 offset:968
	;; [unrolled: 1-line block ×5, first 2 shown]
	ds_read_b128 v[2:5], v1 offset:1680
	s_waitcnt vmcnt(57) lgkmcnt(1)
	v_mul_f64 v[212:213], v[133:134], v[155:156]
	v_mul_f64 v[155:156], v[135:136], v[155:156]
	s_waitcnt vmcnt(56)
	v_fma_f64 v[147:148], v[129:130], v[149:150], -v[147:148]
	v_add_f64 v[141:142], v[141:142], v[145:146]
	v_fma_f64 v[145:146], v[131:132], v[149:150], v[206:207]
	v_add_f64 v[6:7], v[6:7], v[153:154]
	s_clause 0x2
	buffer_load_dword v197, off, s[0:3], 0 offset:972
	buffer_load_dword v150, off, s[0:3], 0 offset:948
	;; [unrolled: 1-line block ×3, first 2 shown]
	s_waitcnt vmcnt(58) lgkmcnt(0)
	v_mul_f64 v[153:154], v[2:3], v[157:158]
	v_mul_f64 v[157:158], v[4:5], v[157:158]
	s_waitcnt vmcnt(56)
	v_fma_f64 v[155:156], v[133:134], v[161:162], -v[155:156]
	ds_read_b128 v[129:132], v1 offset:1696
	v_add_f64 v[141:142], v[141:142], v[147:148]
	v_fma_f64 v[147:148], v[135:136], v[161:162], v[212:213]
	v_add_f64 v[6:7], v[6:7], v[145:146]
	buffer_load_dword v212, off, s[0:3], 0 offset:964
	ds_read_b128 v[133:136], v1 offset:1712
	s_waitcnt vmcnt(53) lgkmcnt(1)
	v_mul_f64 v[161:162], v[131:132], v[163:164]
	s_waitcnt vmcnt(52)
	v_fma_f64 v[157:158], v[2:3], v[159:160], -v[157:158]
	v_mul_f64 v[145:146], v[129:130], v[163:164]
	v_fma_f64 v[153:154], v[4:5], v[159:160], v[153:154]
	ds_read_b128 v[2:5], v1 offset:1728
	v_add_f64 v[141:142], v[141:142], v[155:156]
	v_add_f64 v[6:7], v[6:7], v[147:148]
	s_waitcnt vmcnt(51) lgkmcnt(1)
	v_mul_f64 v[155:156], v[135:136], v[165:166]
	v_mul_f64 v[147:148], v[133:134], v[165:166]
	s_waitcnt vmcnt(49)
	v_fma_f64 v[159:160], v[129:130], v[169:170], -v[161:162]
	v_fma_f64 v[145:146], v[131:132], v[169:170], v[145:146]
	s_waitcnt vmcnt(45) lgkmcnt(0)
	v_mul_f64 v[163:164], v[4:5], v[171:172]
	v_mul_f64 v[161:162], v[2:3], v[171:172]
	v_add_f64 v[141:142], v[141:142], v[157:158]
	v_add_f64 v[6:7], v[6:7], v[153:154]
	s_clause 0x3
	buffer_load_dword v153, off, s[0:3], 0 offset:624
	buffer_load_dword v154, off, s[0:3], 0 offset:628
	buffer_load_dword v157, off, s[0:3], 0 offset:632
	buffer_load_dword v158, off, s[0:3], 0 offset:636
	s_waitcnt vmcnt(48)
	v_fma_f64 v[155:156], v[133:134], v[167:168], -v[155:156]
	ds_read_b128 v[129:132], v1 offset:1744
	v_fma_f64 v[147:148], v[135:136], v[167:168], v[147:148]
	ds_read_b128 v[133:136], v1 offset:1760
	s_waitcnt vmcnt(45)
	v_fma_f64 v[163:164], v[2:3], v[177:178], -v[163:164]
	v_add_f64 v[141:142], v[141:142], v[159:160]
	v_add_f64 v[6:7], v[6:7], v[145:146]
	s_waitcnt lgkmcnt(1)
	v_mul_f64 v[159:160], v[131:132], v[173:174]
	v_mul_f64 v[145:146], v[129:130], v[173:174]
	v_add_f64 v[141:142], v[141:142], v[155:156]
	v_fma_f64 v[155:156], v[4:5], v[177:178], v[161:162]
	v_add_f64 v[6:7], v[6:7], v[147:148]
	s_waitcnt vmcnt(41) lgkmcnt(0)
	v_mul_f64 v[161:162], v[135:136], v[179:180]
	s_waitcnt vmcnt(40)
	v_fma_f64 v[159:160], v[129:130], v[175:176], -v[159:160]
	ds_read_b128 v[2:5], v1 offset:1776
	v_mul_f64 v[147:148], v[133:134], v[179:180]
	v_fma_f64 v[145:146], v[131:132], v[175:176], v[145:146]
	ds_read_b128 v[129:132], v1 offset:1792
	v_add_f64 v[141:142], v[141:142], v[163:164]
	v_add_f64 v[6:7], v[6:7], v[155:156]
	s_waitcnt vmcnt(39) lgkmcnt(1)
	v_mul_f64 v[163:164], v[4:5], v[181:182]
	s_waitcnt vmcnt(37)
	v_fma_f64 v[161:162], v[133:134], v[185:186], -v[161:162]
	v_mul_f64 v[155:156], v[2:3], v[181:182]
	v_fma_f64 v[147:148], v[135:136], v[185:186], v[147:148]
	ds_read_b128 v[133:136], v1 offset:1808
	v_add_f64 v[141:142], v[141:142], v[159:160]
	s_waitcnt vmcnt(33) lgkmcnt(1)
	v_mul_f64 v[159:160], v[131:132], v[187:188]
	v_add_f64 v[6:7], v[6:7], v[145:146]
	s_waitcnt vmcnt(32)
	v_fma_f64 v[163:164], v[2:3], v[183:184], -v[163:164]
	v_mul_f64 v[145:146], v[129:130], v[187:188]
	v_fma_f64 v[155:156], v[4:5], v[183:184], v[155:156]
	ds_read_b128 v[2:5], v1 offset:1824
	v_add_f64 v[141:142], v[141:142], v[161:162]
	s_waitcnt vmcnt(31) lgkmcnt(1)
	v_mul_f64 v[161:162], v[135:136], v[190:191]
	v_add_f64 v[6:7], v[6:7], v[147:148]
	;; [unrolled: 9-line block ×3, first 2 shown]
	s_waitcnt vmcnt(24)
	v_fma_f64 v[161:162], v[133:134], v[192:193], -v[161:162]
	v_mul_f64 v[155:156], v[2:3], v[198:199]
	v_fma_f64 v[147:148], v[135:136], v[192:193], v[147:148]
	ds_read_b128 v[133:136], v1 offset:1856
	v_add_f64 v[141:142], v[141:142], v[159:160]
	v_add_f64 v[6:7], v[6:7], v[145:146]
	s_waitcnt vmcnt(23) lgkmcnt(1)
	v_mul_f64 v[159:160], v[131:132], v[200:201]
	v_mul_f64 v[145:146], v[129:130], v[200:201]
	s_waitcnt vmcnt(21)
	v_fma_f64 v[163:164], v[2:3], v[139:140], -v[163:164]
	v_fma_f64 v[139:140], v[4:5], v[139:140], v[155:156]
	ds_read_b128 v[2:5], v1 offset:1872
	v_add_f64 v[141:142], v[141:142], v[161:162]
	v_add_f64 v[6:7], v[6:7], v[147:148]
	s_waitcnt vmcnt(17) lgkmcnt(1)
	v_mul_f64 v[147:148], v[133:134], v[143:144]
	v_mul_f64 v[143:144], v[135:136], v[143:144]
	s_waitcnt vmcnt(16)
	v_fma_f64 v[155:156], v[129:130], v[202:203], -v[159:160]
	v_fma_f64 v[145:146], v[131:132], v[202:203], v[145:146]
	ds_read_b128 v[129:132], v1 offset:1888
	v_add_f64 v[141:142], v[141:142], v[163:164]
	v_add_f64 v[6:7], v[6:7], v[139:140]
	s_waitcnt vmcnt(15) lgkmcnt(1)
	v_mul_f64 v[159:160], v[4:5], v[204:205]
	v_mul_f64 v[139:140], v[2:3], v[204:205]
	s_waitcnt vmcnt(13)
	v_fma_f64 v[143:144], v[133:134], v[137:138], -v[143:144]
	v_fma_f64 v[137:138], v[135:136], v[137:138], v[147:148]
	ds_read_b128 v[133:136], v1 offset:1904
	v_add_f64 v[141:142], v[141:142], v[155:156]
	v_add_f64 v[6:7], v[6:7], v[145:146]
	s_waitcnt vmcnt(9) lgkmcnt(1)
	v_mul_f64 v[147:148], v[131:132], v[151:152]
	s_waitcnt vmcnt(8)
	v_fma_f64 v[2:3], v[2:3], v[209:210], -v[159:160]
	v_mul_f64 v[145:146], v[129:130], v[151:152]
	v_fma_f64 v[4:5], v[4:5], v[209:210], v[139:140]
	v_add_f64 v[141:142], v[141:142], v[143:144]
	v_add_f64 v[6:7], v[6:7], v[137:138]
	s_waitcnt vmcnt(7) lgkmcnt(0)
	v_mul_f64 v[139:140], v[135:136], v[196:197]
	v_mul_f64 v[137:138], v[133:134], v[196:197]
	s_waitcnt vmcnt(5)
	v_fma_f64 v[129:130], v[129:130], v[149:150], -v[147:148]
	v_fma_f64 v[131:132], v[131:132], v[149:150], v[145:146]
	v_add_f64 v[2:3], v[141:142], v[2:3]
	v_add_f64 v[4:5], v[6:7], v[4:5]
	s_waitcnt vmcnt(4)
	v_fma_f64 v[6:7], v[133:134], v[211:212], -v[139:140]
	v_add_f64 v[2:3], v[2:3], v[129:130]
	v_fma_f64 v[129:130], v[135:136], v[211:212], v[137:138]
	v_add_f64 v[4:5], v[4:5], v[131:132]
	v_add_f64 v[2:3], v[2:3], v[6:7]
	;; [unrolled: 1-line block ×3, first 2 shown]
	s_waitcnt vmcnt(2)
	v_add_f64 v[2:3], v[153:154], -v[2:3]
	s_waitcnt vmcnt(0)
	v_add_f64 v[4:5], v[157:158], -v[4:5]
	buffer_store_dword v3, off, s[0:3], 0 offset:628
	buffer_store_dword v2, off, s[0:3], 0 offset:624
	;; [unrolled: 1-line block ×4, first 2 shown]
	v_cmpx_lt_u32_e32 37, v0
	s_cbranch_execz .LBB123_299
; %bb.298:
	v_mov_b32_e32 v5, s35
	s_clause 0x3
	buffer_load_dword v2, v5, s[0:3], 0 offen
	buffer_load_dword v3, v5, s[0:3], 0 offen offset:4
	buffer_load_dword v4, v5, s[0:3], 0 offen offset:8
	;; [unrolled: 1-line block ×3, first 2 shown]
	buffer_store_dword v1, off, s[0:3], 0 offset:608
	buffer_store_dword v1, off, s[0:3], 0 offset:612
	;; [unrolled: 1-line block ×4, first 2 shown]
	s_waitcnt vmcnt(0)
	ds_write_b128 v189, v[2:5]
.LBB123_299:
	s_or_b32 exec_lo, exec_lo, s4
	s_waitcnt lgkmcnt(0)
	s_waitcnt_vscnt null, 0x0
	s_barrier
	buffer_gl0_inv
	s_clause 0x37
	buffer_load_dword v6, off, s[0:3], 0 offset:632
	buffer_load_dword v7, off, s[0:3], 0 offset:636
	;; [unrolled: 1-line block ×56, first 2 shown]
	ds_read_b128 v[2:5], v1 offset:1568
	s_clause 0x2
	buffer_load_dword v191, off, s[0:3], 0 offset:860
	buffer_load_dword v195, off, s[0:3], 0 offset:836
	buffer_load_dword v194, off, s[0:3], 0 offset:832
	ds_read_b128 v[129:132], v1 offset:1584
	s_clause 0x4
	buffer_load_dword v199, off, s[0:3], 0 offset:876
	buffer_load_dword v200, off, s[0:3], 0 offset:888
	;; [unrolled: 1-line block ×5, first 2 shown]
	ds_read_b128 v[133:136], v1 offset:1600
	s_mov_b32 s4, exec_lo
	s_waitcnt vmcnt(62) lgkmcnt(2)
	v_mul_f64 v[196:197], v[4:5], v[6:7]
	v_mul_f64 v[6:7], v[2:3], v[6:7]
	s_waitcnt vmcnt(60) lgkmcnt(1)
	v_mul_f64 v[203:204], v[131:132], v[137:138]
	v_mul_f64 v[137:138], v[129:130], v[137:138]
	;; [unrolled: 3-line block ×3, first 2 shown]
	v_fma_f64 v[196:197], v[2:3], v[139:140], -v[196:197]
	v_fma_f64 v[6:7], v[4:5], v[139:140], v[6:7]
	s_clause 0x2
	buffer_load_dword v201, off, s[0:3], 0 offset:892
	buffer_load_dword v140, off, s[0:3], 0 offset:868
	;; [unrolled: 1-line block ×3, first 2 shown]
	s_waitcnt vmcnt(57)
	v_fma_f64 v[207:208], v[129:130], v[143:144], -v[203:204]
	ds_read_b128 v[2:5], v1 offset:1616
	v_fma_f64 v[137:138], v[131:132], v[143:144], v[137:138]
	s_clause 0x4
	buffer_load_dword v144, off, s[0:3], 0 offset:908
	buffer_load_dword v204, off, s[0:3], 0 offset:920
	;; [unrolled: 1-line block ×5, first 2 shown]
	s_waitcnt vmcnt(56)
	v_fma_f64 v[141:142], v[133:134], v[151:152], -v[141:142]
	ds_read_b128 v[129:132], v1 offset:1632
	v_fma_f64 v[151:152], v[135:136], v[151:152], v[205:206]
	v_add_f64 v[196:197], v[196:197], 0
	v_add_f64 v[6:7], v[6:7], 0
	s_waitcnt lgkmcnt(1)
	v_mul_f64 v[210:211], v[2:3], v[145:146]
	v_mul_f64 v[145:146], v[4:5], v[145:146]
	v_add_f64 v[196:197], v[196:197], v[207:208]
	v_add_f64 v[6:7], v[6:7], v[137:138]
	s_clause 0x2
	buffer_load_dword v205, off, s[0:3], 0 offset:924
	buffer_load_dword v138, off, s[0:3], 0 offset:900
	buffer_load_dword v137, off, s[0:3], 0 offset:896
	s_waitcnt vmcnt(58) lgkmcnt(0)
	v_mul_f64 v[206:207], v[129:130], v[147:148]
	v_mul_f64 v[147:148], v[131:132], v[147:148]
	s_waitcnt vmcnt(56)
	v_fma_f64 v[145:146], v[2:3], v[153:154], -v[145:146]
	ds_read_b128 v[133:136], v1 offset:1648
	v_fma_f64 v[153:154], v[4:5], v[153:154], v[210:211]
	v_add_f64 v[141:142], v[196:197], v[141:142]
	v_add_f64 v[6:7], v[6:7], v[151:152]
	s_clause 0x4
	buffer_load_dword v152, off, s[0:3], 0 offset:940
	buffer_load_dword v196, off, s[0:3], 0 offset:952
	;; [unrolled: 1-line block ×5, first 2 shown]
	ds_read_b128 v[2:5], v1 offset:1664
	s_waitcnt vmcnt(57) lgkmcnt(1)
	v_mul_f64 v[212:213], v[133:134], v[155:156]
	v_mul_f64 v[155:156], v[135:136], v[155:156]
	s_waitcnt vmcnt(56)
	v_fma_f64 v[147:148], v[129:130], v[149:150], -v[147:148]
	v_add_f64 v[141:142], v[141:142], v[145:146]
	v_fma_f64 v[145:146], v[131:132], v[149:150], v[206:207]
	v_add_f64 v[6:7], v[6:7], v[153:154]
	s_clause 0x2
	buffer_load_dword v197, off, s[0:3], 0 offset:956
	buffer_load_dword v150, off, s[0:3], 0 offset:932
	;; [unrolled: 1-line block ×3, first 2 shown]
	s_waitcnt vmcnt(58) lgkmcnt(0)
	v_mul_f64 v[153:154], v[2:3], v[157:158]
	v_mul_f64 v[157:158], v[4:5], v[157:158]
	s_waitcnt vmcnt(56)
	v_fma_f64 v[155:156], v[133:134], v[161:162], -v[155:156]
	ds_read_b128 v[129:132], v1 offset:1680
	v_add_f64 v[141:142], v[141:142], v[147:148]
	v_fma_f64 v[147:148], v[135:136], v[161:162], v[212:213]
	v_add_f64 v[6:7], v[6:7], v[145:146]
	s_clause 0x2
	buffer_load_dword v146, off, s[0:3], 0 offset:972
	buffer_load_dword v145, off, s[0:3], 0 offset:968
	;; [unrolled: 1-line block ×3, first 2 shown]
	ds_read_b128 v[133:136], v1 offset:1696
	s_waitcnt vmcnt(55) lgkmcnt(1)
	v_mul_f64 v[161:162], v[129:130], v[163:164]
	v_mul_f64 v[163:164], v[131:132], v[163:164]
	s_waitcnt vmcnt(54)
	v_fma_f64 v[157:158], v[2:3], v[159:160], -v[157:158]
	v_fma_f64 v[153:154], v[4:5], v[159:160], v[153:154]
	v_add_f64 v[141:142], v[141:142], v[155:156]
	v_add_f64 v[6:7], v[6:7], v[147:148]
	s_clause 0x1
	buffer_load_dword v148, off, s[0:3], 0 offset:964
	buffer_load_dword v147, off, s[0:3], 0 offset:960
	s_waitcnt vmcnt(55) lgkmcnt(0)
	v_mul_f64 v[159:160], v[135:136], v[165:166]
	ds_read_b128 v[2:5], v1 offset:1712
	s_waitcnt vmcnt(53)
	v_fma_f64 v[163:164], v[129:130], v[169:170], -v[163:164]
	v_mul_f64 v[155:156], v[133:134], v[165:166]
	v_add_f64 v[141:142], v[141:142], v[157:158]
	v_fma_f64 v[157:158], v[131:132], v[169:170], v[161:162]
	v_add_f64 v[6:7], v[6:7], v[153:154]
	ds_read_b128 v[129:132], v1 offset:1728
	s_waitcnt vmcnt(49) lgkmcnt(1)
	v_mul_f64 v[161:162], v[4:5], v[171:172]
	s_waitcnt vmcnt(48)
	v_fma_f64 v[159:160], v[133:134], v[167:168], -v[159:160]
	v_mul_f64 v[153:154], v[2:3], v[171:172]
	v_fma_f64 v[155:156], v[135:136], v[167:168], v[155:156]
	v_add_f64 v[141:142], v[141:142], v[163:164]
	s_waitcnt vmcnt(47) lgkmcnt(0)
	v_mul_f64 v[167:168], v[131:132], v[173:174]
	v_add_f64 v[6:7], v[6:7], v[157:158]
	s_clause 0x3
	buffer_load_dword v157, off, s[0:3], 0 offset:608
	buffer_load_dword v158, off, s[0:3], 0 offset:612
	;; [unrolled: 1-line block ×4, first 2 shown]
	s_waitcnt vmcnt(49)
	v_fma_f64 v[161:162], v[2:3], v[177:178], -v[161:162]
	ds_read_b128 v[133:136], v1 offset:1744
	v_mul_f64 v[165:166], v[129:130], v[173:174]
	v_fma_f64 v[153:154], v[4:5], v[177:178], v[153:154]
	ds_read_b128 v[2:5], v1 offset:1760
	v_add_f64 v[141:142], v[141:142], v[159:160]
	s_waitcnt vmcnt(44)
	v_fma_f64 v[167:168], v[129:130], v[175:176], -v[167:168]
	v_add_f64 v[6:7], v[6:7], v[155:156]
	s_waitcnt lgkmcnt(1)
	v_mul_f64 v[159:160], v[135:136], v[179:180]
	v_mul_f64 v[155:156], v[133:134], v[179:180]
	v_add_f64 v[141:142], v[141:142], v[161:162]
	v_fma_f64 v[161:162], v[131:132], v[175:176], v[165:166]
	v_add_f64 v[6:7], v[6:7], v[153:154]
	s_waitcnt vmcnt(43) lgkmcnt(0)
	v_mul_f64 v[165:166], v[4:5], v[181:182]
	s_waitcnt vmcnt(41)
	v_fma_f64 v[159:160], v[133:134], v[185:186], -v[159:160]
	ds_read_b128 v[129:132], v1 offset:1776
	v_mul_f64 v[153:154], v[2:3], v[181:182]
	v_fma_f64 v[155:156], v[135:136], v[185:186], v[155:156]
	ds_read_b128 v[133:136], v1 offset:1792
	v_add_f64 v[141:142], v[141:142], v[167:168]
	v_add_f64 v[6:7], v[6:7], v[161:162]
	s_waitcnt vmcnt(37) lgkmcnt(1)
	v_mul_f64 v[167:168], v[131:132], v[187:188]
	s_waitcnt vmcnt(36)
	v_fma_f64 v[165:166], v[2:3], v[183:184], -v[165:166]
	v_mul_f64 v[161:162], v[129:130], v[187:188]
	v_fma_f64 v[153:154], v[4:5], v[183:184], v[153:154]
	ds_read_b128 v[2:5], v1 offset:1808
	v_add_f64 v[141:142], v[141:142], v[159:160]
	s_waitcnt vmcnt(35) lgkmcnt(1)
	v_mul_f64 v[159:160], v[135:136], v[190:191]
	v_add_f64 v[6:7], v[6:7], v[155:156]
	s_waitcnt vmcnt(33)
	v_fma_f64 v[167:168], v[129:130], v[194:195], -v[167:168]
	v_mul_f64 v[155:156], v[133:134], v[190:191]
	v_fma_f64 v[161:162], v[131:132], v[194:195], v[161:162]
	ds_read_b128 v[129:132], v1 offset:1824
	v_add_f64 v[141:142], v[141:142], v[165:166]
	s_waitcnt vmcnt(29) lgkmcnt(1)
	v_mul_f64 v[165:166], v[4:5], v[198:199]
	v_add_f64 v[6:7], v[6:7], v[153:154]
	s_waitcnt vmcnt(28)
	v_fma_f64 v[159:160], v[133:134], v[192:193], -v[159:160]
	v_mul_f64 v[153:154], v[2:3], v[198:199]
	v_fma_f64 v[155:156], v[135:136], v[192:193], v[155:156]
	ds_read_b128 v[133:136], v1 offset:1840
	v_add_f64 v[141:142], v[141:142], v[167:168]
	v_add_f64 v[6:7], v[6:7], v[161:162]
	s_waitcnt vmcnt(27) lgkmcnt(1)
	v_mul_f64 v[167:168], v[131:132], v[200:201]
	v_mul_f64 v[161:162], v[129:130], v[200:201]
	s_waitcnt vmcnt(25)
	v_fma_f64 v[165:166], v[2:3], v[139:140], -v[165:166]
	v_fma_f64 v[139:140], v[4:5], v[139:140], v[153:154]
	ds_read_b128 v[2:5], v1 offset:1856
	s_waitcnt vmcnt(21) lgkmcnt(1)
	v_mul_f64 v[153:154], v[133:134], v[143:144]
	v_mul_f64 v[143:144], v[135:136], v[143:144]
	v_add_f64 v[141:142], v[141:142], v[159:160]
	v_add_f64 v[6:7], v[6:7], v[155:156]
	s_waitcnt vmcnt(20)
	v_fma_f64 v[155:156], v[129:130], v[202:203], -v[167:168]
	v_fma_f64 v[159:160], v[131:132], v[202:203], v[161:162]
	ds_read_b128 v[129:132], v1 offset:1872
	v_add_f64 v[141:142], v[141:142], v[165:166]
	v_add_f64 v[6:7], v[6:7], v[139:140]
	s_waitcnt vmcnt(19) lgkmcnt(1)
	v_mul_f64 v[161:162], v[4:5], v[204:205]
	v_mul_f64 v[139:140], v[2:3], v[204:205]
	s_waitcnt vmcnt(17)
	v_fma_f64 v[143:144], v[133:134], v[137:138], -v[143:144]
	v_fma_f64 v[137:138], v[135:136], v[137:138], v[153:154]
	ds_read_b128 v[133:136], v1 offset:1888
	v_add_f64 v[141:142], v[141:142], v[155:156]
	v_add_f64 v[6:7], v[6:7], v[159:160]
	s_waitcnt vmcnt(13) lgkmcnt(1)
	v_mul_f64 v[153:154], v[129:130], v[151:152]
	v_mul_f64 v[151:152], v[131:132], v[151:152]
	;; [unrolled: 9-line block ×3, first 2 shown]
	s_waitcnt vmcnt(9)
	v_fma_f64 v[129:130], v[129:130], v[149:150], -v[151:152]
	v_fma_f64 v[131:132], v[131:132], v[149:150], v[153:154]
	v_add_f64 v[141:142], v[141:142], v[155:156]
	v_add_f64 v[5:6], v[5:6], v[139:140]
	s_waitcnt vmcnt(7) lgkmcnt(0)
	v_mul_f64 v[143:144], v[3:4], v[145:146]
	s_waitcnt vmcnt(6)
	v_fma_f64 v[133:134], v[133:134], v[211:212], -v[137:138]
	v_mul_f64 v[139:140], v[1:2], v[145:146]
	v_fma_f64 v[7:8], v[135:136], v[211:212], v[7:8]
	v_add_f64 v[129:130], v[141:142], v[129:130]
	v_add_f64 v[5:6], v[5:6], v[131:132]
	s_waitcnt vmcnt(4)
	v_fma_f64 v[1:2], v[1:2], v[147:148], -v[143:144]
	v_fma_f64 v[3:4], v[3:4], v[147:148], v[139:140]
	v_add_f64 v[129:130], v[129:130], v[133:134]
	v_add_f64 v[5:6], v[5:6], v[7:8]
	;; [unrolled: 1-line block ×4, first 2 shown]
	s_waitcnt vmcnt(2)
	v_add_f64 v[1:2], v[157:158], -v[1:2]
	s_waitcnt vmcnt(0)
	v_add_f64 v[3:4], v[163:164], -v[3:4]
	buffer_store_dword v2, off, s[0:3], 0 offset:612
	buffer_store_dword v1, off, s[0:3], 0 offset:608
	;; [unrolled: 1-line block ×4, first 2 shown]
	v_cmpx_lt_u32_e32 36, v0
	s_cbranch_execz .LBB123_301
; %bb.300:
	v_mov_b32_e32 v4, s36
	v_mov_b32_e32 v5, 0
	s_clause 0x3
	buffer_load_dword v1, v4, s[0:3], 0 offen
	buffer_load_dword v2, v4, s[0:3], 0 offen offset:4
	buffer_load_dword v3, v4, s[0:3], 0 offen offset:8
	;; [unrolled: 1-line block ×3, first 2 shown]
	buffer_store_dword v5, off, s[0:3], 0 offset:592
	buffer_store_dword v5, off, s[0:3], 0 offset:596
	;; [unrolled: 1-line block ×4, first 2 shown]
	s_waitcnt vmcnt(0)
	ds_write_b128 v189, v[1:4]
.LBB123_301:
	s_or_b32 exec_lo, exec_lo, s4
	s_waitcnt lgkmcnt(0)
	s_waitcnt_vscnt null, 0x0
	s_barrier
	buffer_gl0_inv
	s_clause 0x37
	buffer_load_dword v6, off, s[0:3], 0 offset:616
	buffer_load_dword v7, off, s[0:3], 0 offset:620
	;; [unrolled: 1-line block ×56, first 2 shown]
	v_mov_b32_e32 v1, 0
	s_mov_b32 s4, exec_lo
	ds_read_b128 v[2:5], v1 offset:1552
	s_clause 0x2
	buffer_load_dword v191, off, s[0:3], 0 offset:844
	buffer_load_dword v195, off, s[0:3], 0 offset:820
	;; [unrolled: 1-line block ×3, first 2 shown]
	ds_read_b128 v[129:132], v1 offset:1568
	s_clause 0x4
	buffer_load_dword v199, off, s[0:3], 0 offset:860
	buffer_load_dword v200, off, s[0:3], 0 offset:872
	buffer_load_dword v202, off, s[0:3], 0 offset:864
	buffer_load_dword v198, off, s[0:3], 0 offset:856
	buffer_load_dword v193, off, s[0:3], 0 offset:836
	ds_read_b128 v[133:136], v1 offset:1584
	s_waitcnt vmcnt(62) lgkmcnt(2)
	v_mul_f64 v[196:197], v[4:5], v[6:7]
	v_mul_f64 v[6:7], v[2:3], v[6:7]
	s_waitcnt vmcnt(60) lgkmcnt(1)
	v_mul_f64 v[203:204], v[131:132], v[137:138]
	v_mul_f64 v[137:138], v[129:130], v[137:138]
	;; [unrolled: 3-line block ×3, first 2 shown]
	v_fma_f64 v[196:197], v[2:3], v[139:140], -v[196:197]
	v_fma_f64 v[6:7], v[4:5], v[139:140], v[6:7]
	s_clause 0x2
	buffer_load_dword v201, off, s[0:3], 0 offset:876
	buffer_load_dword v140, off, s[0:3], 0 offset:852
	;; [unrolled: 1-line block ×3, first 2 shown]
	s_waitcnt vmcnt(57)
	v_fma_f64 v[207:208], v[129:130], v[143:144], -v[203:204]
	ds_read_b128 v[2:5], v1 offset:1600
	v_fma_f64 v[137:138], v[131:132], v[143:144], v[137:138]
	s_clause 0x4
	buffer_load_dword v144, off, s[0:3], 0 offset:892
	buffer_load_dword v204, off, s[0:3], 0 offset:904
	;; [unrolled: 1-line block ×5, first 2 shown]
	s_waitcnt vmcnt(56)
	v_fma_f64 v[141:142], v[133:134], v[151:152], -v[141:142]
	ds_read_b128 v[129:132], v1 offset:1616
	v_fma_f64 v[151:152], v[135:136], v[151:152], v[205:206]
	v_add_f64 v[196:197], v[196:197], 0
	v_add_f64 v[6:7], v[6:7], 0
	s_waitcnt lgkmcnt(1)
	v_mul_f64 v[210:211], v[2:3], v[145:146]
	v_mul_f64 v[145:146], v[4:5], v[145:146]
	v_add_f64 v[196:197], v[196:197], v[207:208]
	v_add_f64 v[6:7], v[6:7], v[137:138]
	s_clause 0x2
	buffer_load_dword v205, off, s[0:3], 0 offset:908
	buffer_load_dword v138, off, s[0:3], 0 offset:884
	;; [unrolled: 1-line block ×3, first 2 shown]
	s_waitcnt vmcnt(58) lgkmcnt(0)
	v_mul_f64 v[206:207], v[129:130], v[147:148]
	v_mul_f64 v[147:148], v[131:132], v[147:148]
	s_waitcnt vmcnt(56)
	v_fma_f64 v[145:146], v[2:3], v[153:154], -v[145:146]
	ds_read_b128 v[133:136], v1 offset:1632
	v_fma_f64 v[153:154], v[4:5], v[153:154], v[210:211]
	v_add_f64 v[141:142], v[196:197], v[141:142]
	v_add_f64 v[6:7], v[6:7], v[151:152]
	s_clause 0x4
	buffer_load_dword v152, off, s[0:3], 0 offset:924
	buffer_load_dword v196, off, s[0:3], 0 offset:936
	;; [unrolled: 1-line block ×5, first 2 shown]
	ds_read_b128 v[2:5], v1 offset:1648
	s_waitcnt vmcnt(57) lgkmcnt(1)
	v_mul_f64 v[212:213], v[133:134], v[155:156]
	v_mul_f64 v[155:156], v[135:136], v[155:156]
	s_waitcnt vmcnt(56)
	v_fma_f64 v[147:148], v[129:130], v[149:150], -v[147:148]
	v_add_f64 v[141:142], v[141:142], v[145:146]
	v_fma_f64 v[145:146], v[131:132], v[149:150], v[206:207]
	v_add_f64 v[6:7], v[6:7], v[153:154]
	s_clause 0x2
	buffer_load_dword v197, off, s[0:3], 0 offset:940
	buffer_load_dword v150, off, s[0:3], 0 offset:916
	;; [unrolled: 1-line block ×3, first 2 shown]
	s_waitcnt vmcnt(58) lgkmcnt(0)
	v_mul_f64 v[153:154], v[2:3], v[157:158]
	v_mul_f64 v[157:158], v[4:5], v[157:158]
	s_waitcnt vmcnt(56)
	v_fma_f64 v[155:156], v[133:134], v[161:162], -v[155:156]
	ds_read_b128 v[129:132], v1 offset:1664
	v_add_f64 v[141:142], v[141:142], v[147:148]
	v_fma_f64 v[147:148], v[135:136], v[161:162], v[212:213]
	v_add_f64 v[6:7], v[6:7], v[145:146]
	s_clause 0x4
	buffer_load_dword v146, off, s[0:3], 0 offset:956
	buffer_load_dword v161, off, s[0:3], 0 offset:968
	;; [unrolled: 1-line block ×5, first 2 shown]
	ds_read_b128 v[133:136], v1 offset:1680
	s_waitcnt vmcnt(57) lgkmcnt(1)
	v_mul_f64 v[207:208], v[129:130], v[163:164]
	v_mul_f64 v[163:164], v[131:132], v[163:164]
	s_waitcnt vmcnt(56)
	v_fma_f64 v[157:158], v[2:3], v[159:160], -v[157:158]
	v_fma_f64 v[153:154], v[4:5], v[159:160], v[153:154]
	v_add_f64 v[141:142], v[141:142], v[155:156]
	v_add_f64 v[6:7], v[6:7], v[147:148]
	s_clause 0x2
	buffer_load_dword v162, off, s[0:3], 0 offset:972
	buffer_load_dword v148, off, s[0:3], 0 offset:948
	;; [unrolled: 1-line block ×3, first 2 shown]
	s_waitcnt vmcnt(58) lgkmcnt(0)
	v_mul_f64 v[159:160], v[135:136], v[165:166]
	ds_read_b128 v[2:5], v1 offset:1696
	s_waitcnt vmcnt(56)
	v_fma_f64 v[163:164], v[129:130], v[169:170], -v[163:164]
	v_mul_f64 v[155:156], v[133:134], v[165:166]
	v_add_f64 v[141:142], v[141:142], v[157:158]
	v_fma_f64 v[157:158], v[131:132], v[169:170], v[207:208]
	v_add_f64 v[6:7], v[6:7], v[153:154]
	buffer_load_dword v207, off, s[0:3], 0 offset:964
	ds_read_b128 v[129:132], v1 offset:1712
	s_waitcnt vmcnt(53) lgkmcnt(1)
	v_mul_f64 v[165:166], v[4:5], v[171:172]
	s_waitcnt vmcnt(52)
	v_fma_f64 v[159:160], v[133:134], v[167:168], -v[159:160]
	v_mul_f64 v[153:154], v[2:3], v[171:172]
	v_fma_f64 v[155:156], v[135:136], v[167:168], v[155:156]
	ds_read_b128 v[133:136], v1 offset:1728
	v_add_f64 v[141:142], v[141:142], v[163:164]
	v_add_f64 v[6:7], v[6:7], v[157:158]
	s_waitcnt vmcnt(51) lgkmcnt(1)
	v_mul_f64 v[163:164], v[131:132], v[173:174]
	v_mul_f64 v[157:158], v[129:130], v[173:174]
	s_waitcnt vmcnt(49)
	v_fma_f64 v[165:166], v[2:3], v[177:178], -v[165:166]
	v_fma_f64 v[153:154], v[4:5], v[177:178], v[153:154]
	s_waitcnt vmcnt(45) lgkmcnt(0)
	v_mul_f64 v[169:170], v[135:136], v[179:180]
	v_mul_f64 v[167:168], v[133:134], v[179:180]
	v_add_f64 v[141:142], v[141:142], v[159:160]
	v_add_f64 v[6:7], v[6:7], v[155:156]
	s_clause 0x3
	buffer_load_dword v155, off, s[0:3], 0 offset:592
	buffer_load_dword v156, off, s[0:3], 0 offset:596
	;; [unrolled: 1-line block ×4, first 2 shown]
	s_waitcnt vmcnt(48)
	v_fma_f64 v[163:164], v[129:130], v[175:176], -v[163:164]
	ds_read_b128 v[2:5], v1 offset:1744
	v_fma_f64 v[157:158], v[131:132], v[175:176], v[157:158]
	ds_read_b128 v[129:132], v1 offset:1760
	s_waitcnt vmcnt(45)
	v_fma_f64 v[169:170], v[133:134], v[185:186], -v[169:170]
	v_add_f64 v[141:142], v[141:142], v[165:166]
	v_add_f64 v[6:7], v[6:7], v[153:154]
	s_waitcnt lgkmcnt(1)
	v_mul_f64 v[165:166], v[4:5], v[181:182]
	v_mul_f64 v[153:154], v[2:3], v[181:182]
	v_add_f64 v[141:142], v[141:142], v[163:164]
	v_fma_f64 v[163:164], v[135:136], v[185:186], v[167:168]
	v_add_f64 v[6:7], v[6:7], v[157:158]
	s_waitcnt vmcnt(41) lgkmcnt(0)
	v_mul_f64 v[167:168], v[131:132], v[187:188]
	s_waitcnt vmcnt(40)
	v_fma_f64 v[165:166], v[2:3], v[183:184], -v[165:166]
	ds_read_b128 v[133:136], v1 offset:1776
	v_mul_f64 v[157:158], v[129:130], v[187:188]
	v_fma_f64 v[153:154], v[4:5], v[183:184], v[153:154]
	ds_read_b128 v[2:5], v1 offset:1792
	v_add_f64 v[141:142], v[141:142], v[169:170]
	v_add_f64 v[6:7], v[6:7], v[163:164]
	s_waitcnt vmcnt(39) lgkmcnt(1)
	v_mul_f64 v[169:170], v[135:136], v[190:191]
	s_waitcnt vmcnt(37)
	v_fma_f64 v[167:168], v[129:130], v[194:195], -v[167:168]
	v_mul_f64 v[163:164], v[133:134], v[190:191]
	v_fma_f64 v[157:158], v[131:132], v[194:195], v[157:158]
	ds_read_b128 v[129:132], v1 offset:1808
	v_add_f64 v[141:142], v[141:142], v[165:166]
	s_waitcnt vmcnt(33) lgkmcnt(1)
	v_mul_f64 v[165:166], v[4:5], v[198:199]
	v_add_f64 v[6:7], v[6:7], v[153:154]
	s_waitcnt vmcnt(32)
	v_fma_f64 v[169:170], v[133:134], v[192:193], -v[169:170]
	v_mul_f64 v[153:154], v[2:3], v[198:199]
	v_fma_f64 v[163:164], v[135:136], v[192:193], v[163:164]
	ds_read_b128 v[133:136], v1 offset:1824
	v_add_f64 v[141:142], v[141:142], v[167:168]
	v_add_f64 v[6:7], v[6:7], v[157:158]
	s_waitcnt vmcnt(31) lgkmcnt(1)
	v_mul_f64 v[167:168], v[131:132], v[200:201]
	v_mul_f64 v[157:158], v[129:130], v[200:201]
	s_waitcnt vmcnt(29)
	v_fma_f64 v[165:166], v[2:3], v[139:140], -v[165:166]
	v_fma_f64 v[139:140], v[4:5], v[139:140], v[153:154]
	ds_read_b128 v[2:5], v1 offset:1840
	s_waitcnt vmcnt(25) lgkmcnt(1)
	v_mul_f64 v[153:154], v[133:134], v[143:144]
	v_mul_f64 v[143:144], v[135:136], v[143:144]
	v_add_f64 v[141:142], v[141:142], v[169:170]
	v_add_f64 v[6:7], v[6:7], v[163:164]
	s_waitcnt vmcnt(24)
	v_fma_f64 v[163:164], v[129:130], v[202:203], -v[167:168]
	v_fma_f64 v[157:158], v[131:132], v[202:203], v[157:158]
	ds_read_b128 v[129:132], v1 offset:1856
	v_add_f64 v[141:142], v[141:142], v[165:166]
	v_add_f64 v[6:7], v[6:7], v[139:140]
	s_waitcnt vmcnt(23) lgkmcnt(1)
	v_mul_f64 v[165:166], v[4:5], v[204:205]
	v_mul_f64 v[139:140], v[2:3], v[204:205]
	s_waitcnt vmcnt(21)
	v_fma_f64 v[143:144], v[133:134], v[137:138], -v[143:144]
	v_fma_f64 v[137:138], v[135:136], v[137:138], v[153:154]
	ds_read_b128 v[133:136], v1 offset:1872
	v_add_f64 v[141:142], v[141:142], v[163:164]
	v_add_f64 v[6:7], v[6:7], v[157:158]
	s_waitcnt vmcnt(17) lgkmcnt(1)
	v_mul_f64 v[153:154], v[129:130], v[151:152]
	v_mul_f64 v[151:152], v[131:132], v[151:152]
	;; [unrolled: 9-line block ×4, first 2 shown]
	s_waitcnt vmcnt(8)
	v_fma_f64 v[133:134], v[133:134], v[211:212], -v[143:144]
	v_fma_f64 v[135:136], v[135:136], v[211:212], v[137:138]
	v_add_f64 v[141:142], v[141:142], v[151:152]
	v_add_f64 v[6:7], v[6:7], v[149:150]
	s_waitcnt vmcnt(7) lgkmcnt(0)
	v_mul_f64 v[143:144], v[131:132], v[161:162]
	v_mul_f64 v[137:138], v[129:130], v[161:162]
	s_waitcnt vmcnt(5)
	v_fma_f64 v[2:3], v[2:3], v[147:148], -v[145:146]
	v_fma_f64 v[4:5], v[4:5], v[147:148], v[139:140]
	v_add_f64 v[133:134], v[141:142], v[133:134]
	v_add_f64 v[6:7], v[6:7], v[135:136]
	s_waitcnt vmcnt(4)
	v_fma_f64 v[129:130], v[129:130], v[206:207], -v[143:144]
	v_fma_f64 v[131:132], v[131:132], v[206:207], v[137:138]
	v_add_f64 v[2:3], v[133:134], v[2:3]
	v_add_f64 v[4:5], v[6:7], v[4:5]
	;; [unrolled: 1-line block ×4, first 2 shown]
	s_waitcnt vmcnt(2)
	v_add_f64 v[2:3], v[155:156], -v[2:3]
	s_waitcnt vmcnt(0)
	v_add_f64 v[4:5], v[159:160], -v[4:5]
	buffer_store_dword v3, off, s[0:3], 0 offset:596
	buffer_store_dword v2, off, s[0:3], 0 offset:592
	;; [unrolled: 1-line block ×4, first 2 shown]
	v_cmpx_lt_u32_e32 35, v0
	s_cbranch_execz .LBB123_303
; %bb.302:
	v_mov_b32_e32 v5, s37
	s_clause 0x3
	buffer_load_dword v2, v5, s[0:3], 0 offen
	buffer_load_dword v3, v5, s[0:3], 0 offen offset:4
	buffer_load_dword v4, v5, s[0:3], 0 offen offset:8
	;; [unrolled: 1-line block ×3, first 2 shown]
	buffer_store_dword v1, off, s[0:3], 0 offset:576
	buffer_store_dword v1, off, s[0:3], 0 offset:580
	;; [unrolled: 1-line block ×4, first 2 shown]
	s_waitcnt vmcnt(0)
	ds_write_b128 v189, v[2:5]
.LBB123_303:
	s_or_b32 exec_lo, exec_lo, s4
	s_waitcnt lgkmcnt(0)
	s_waitcnt_vscnt null, 0x0
	s_barrier
	buffer_gl0_inv
	s_clause 0x37
	buffer_load_dword v6, off, s[0:3], 0 offset:600
	buffer_load_dword v7, off, s[0:3], 0 offset:604
	;; [unrolled: 1-line block ×56, first 2 shown]
	ds_read_b128 v[2:5], v1 offset:1536
	s_clause 0x2
	buffer_load_dword v191, off, s[0:3], 0 offset:828
	buffer_load_dword v195, off, s[0:3], 0 offset:804
	;; [unrolled: 1-line block ×3, first 2 shown]
	ds_read_b128 v[129:132], v1 offset:1552
	s_clause 0x4
	buffer_load_dword v199, off, s[0:3], 0 offset:844
	buffer_load_dword v200, off, s[0:3], 0 offset:856
	buffer_load_dword v202, off, s[0:3], 0 offset:848
	buffer_load_dword v198, off, s[0:3], 0 offset:840
	buffer_load_dword v193, off, s[0:3], 0 offset:820
	ds_read_b128 v[133:136], v1 offset:1568
	s_mov_b32 s4, exec_lo
	s_waitcnt vmcnt(62) lgkmcnt(2)
	v_mul_f64 v[196:197], v[4:5], v[6:7]
	v_mul_f64 v[6:7], v[2:3], v[6:7]
	s_waitcnt vmcnt(60) lgkmcnt(1)
	v_mul_f64 v[203:204], v[131:132], v[137:138]
	v_mul_f64 v[137:138], v[129:130], v[137:138]
	;; [unrolled: 3-line block ×3, first 2 shown]
	v_fma_f64 v[196:197], v[2:3], v[139:140], -v[196:197]
	v_fma_f64 v[6:7], v[4:5], v[139:140], v[6:7]
	s_clause 0x2
	buffer_load_dword v201, off, s[0:3], 0 offset:860
	buffer_load_dword v140, off, s[0:3], 0 offset:836
	;; [unrolled: 1-line block ×3, first 2 shown]
	s_waitcnt vmcnt(57)
	v_fma_f64 v[207:208], v[129:130], v[143:144], -v[203:204]
	ds_read_b128 v[2:5], v1 offset:1584
	v_fma_f64 v[137:138], v[131:132], v[143:144], v[137:138]
	s_clause 0x4
	buffer_load_dword v144, off, s[0:3], 0 offset:876
	buffer_load_dword v204, off, s[0:3], 0 offset:888
	;; [unrolled: 1-line block ×5, first 2 shown]
	s_waitcnt vmcnt(56)
	v_fma_f64 v[141:142], v[133:134], v[151:152], -v[141:142]
	ds_read_b128 v[129:132], v1 offset:1600
	v_fma_f64 v[151:152], v[135:136], v[151:152], v[205:206]
	v_add_f64 v[196:197], v[196:197], 0
	v_add_f64 v[6:7], v[6:7], 0
	s_waitcnt lgkmcnt(1)
	v_mul_f64 v[210:211], v[2:3], v[145:146]
	v_mul_f64 v[145:146], v[4:5], v[145:146]
	v_add_f64 v[196:197], v[196:197], v[207:208]
	v_add_f64 v[6:7], v[6:7], v[137:138]
	s_clause 0x2
	buffer_load_dword v205, off, s[0:3], 0 offset:892
	buffer_load_dword v138, off, s[0:3], 0 offset:868
	;; [unrolled: 1-line block ×3, first 2 shown]
	s_waitcnt vmcnt(58) lgkmcnt(0)
	v_mul_f64 v[206:207], v[129:130], v[147:148]
	v_mul_f64 v[147:148], v[131:132], v[147:148]
	s_waitcnt vmcnt(56)
	v_fma_f64 v[145:146], v[2:3], v[153:154], -v[145:146]
	ds_read_b128 v[133:136], v1 offset:1616
	v_fma_f64 v[153:154], v[4:5], v[153:154], v[210:211]
	v_add_f64 v[141:142], v[196:197], v[141:142]
	v_add_f64 v[6:7], v[6:7], v[151:152]
	s_clause 0x4
	buffer_load_dword v152, off, s[0:3], 0 offset:908
	buffer_load_dword v196, off, s[0:3], 0 offset:920
	;; [unrolled: 1-line block ×5, first 2 shown]
	ds_read_b128 v[2:5], v1 offset:1632
	s_waitcnt vmcnt(57) lgkmcnt(1)
	v_mul_f64 v[212:213], v[133:134], v[155:156]
	v_mul_f64 v[155:156], v[135:136], v[155:156]
	s_waitcnt vmcnt(56)
	v_fma_f64 v[147:148], v[129:130], v[149:150], -v[147:148]
	v_add_f64 v[141:142], v[141:142], v[145:146]
	v_fma_f64 v[145:146], v[131:132], v[149:150], v[206:207]
	v_add_f64 v[6:7], v[6:7], v[153:154]
	s_clause 0x2
	buffer_load_dword v197, off, s[0:3], 0 offset:924
	buffer_load_dword v150, off, s[0:3], 0 offset:900
	;; [unrolled: 1-line block ×3, first 2 shown]
	s_waitcnt vmcnt(58) lgkmcnt(0)
	v_mul_f64 v[153:154], v[2:3], v[157:158]
	v_mul_f64 v[157:158], v[4:5], v[157:158]
	s_waitcnt vmcnt(56)
	v_fma_f64 v[155:156], v[133:134], v[161:162], -v[155:156]
	ds_read_b128 v[129:132], v1 offset:1648
	v_add_f64 v[141:142], v[141:142], v[147:148]
	v_fma_f64 v[147:148], v[135:136], v[161:162], v[212:213]
	v_add_f64 v[6:7], v[6:7], v[145:146]
	s_clause 0x4
	buffer_load_dword v146, off, s[0:3], 0 offset:940
	buffer_load_dword v161, off, s[0:3], 0 offset:952
	;; [unrolled: 1-line block ×5, first 2 shown]
	ds_read_b128 v[133:136], v1 offset:1664
	s_waitcnt vmcnt(57) lgkmcnt(1)
	v_mul_f64 v[207:208], v[129:130], v[163:164]
	v_mul_f64 v[163:164], v[131:132], v[163:164]
	s_waitcnt vmcnt(56)
	v_fma_f64 v[157:158], v[2:3], v[159:160], -v[157:158]
	v_fma_f64 v[153:154], v[4:5], v[159:160], v[153:154]
	v_add_f64 v[141:142], v[141:142], v[155:156]
	v_add_f64 v[6:7], v[6:7], v[147:148]
	s_clause 0x2
	buffer_load_dword v162, off, s[0:3], 0 offset:956
	buffer_load_dword v148, off, s[0:3], 0 offset:932
	;; [unrolled: 1-line block ×3, first 2 shown]
	s_waitcnt vmcnt(58) lgkmcnt(0)
	v_mul_f64 v[159:160], v[135:136], v[165:166]
	ds_read_b128 v[2:5], v1 offset:1680
	s_waitcnt vmcnt(56)
	v_fma_f64 v[163:164], v[129:130], v[169:170], -v[163:164]
	v_mul_f64 v[155:156], v[133:134], v[165:166]
	v_add_f64 v[141:142], v[141:142], v[157:158]
	v_fma_f64 v[157:158], v[131:132], v[169:170], v[207:208]
	v_add_f64 v[6:7], v[6:7], v[153:154]
	s_clause 0x2
	buffer_load_dword v154, off, s[0:3], 0 offset:972
	buffer_load_dword v153, off, s[0:3], 0 offset:968
	;; [unrolled: 1-line block ×3, first 2 shown]
	s_waitcnt vmcnt(55) lgkmcnt(0)
	v_mul_f64 v[169:170], v[4:5], v[171:172]
	s_waitcnt vmcnt(54)
	v_fma_f64 v[159:160], v[133:134], v[167:168], -v[159:160]
	ds_read_b128 v[129:132], v1 offset:1696
	v_mul_f64 v[165:166], v[2:3], v[171:172]
	v_fma_f64 v[155:156], v[135:136], v[167:168], v[155:156]
	v_add_f64 v[141:142], v[141:142], v[163:164]
	v_add_f64 v[6:7], v[6:7], v[157:158]
	s_clause 0x1
	buffer_load_dword v158, off, s[0:3], 0 offset:964
	buffer_load_dword v157, off, s[0:3], 0 offset:960
	s_waitcnt vmcnt(55) lgkmcnt(0)
	v_mul_f64 v[167:168], v[131:132], v[173:174]
	s_waitcnt vmcnt(53)
	v_fma_f64 v[169:170], v[2:3], v[177:178], -v[169:170]
	ds_read_b128 v[133:136], v1 offset:1712
	v_mul_f64 v[163:164], v[129:130], v[173:174]
	v_add_f64 v[141:142], v[141:142], v[159:160]
	v_fma_f64 v[159:160], v[4:5], v[177:178], v[165:166]
	v_add_f64 v[6:7], v[6:7], v[155:156]
	ds_read_b128 v[2:5], v1 offset:1728
	s_waitcnt vmcnt(49) lgkmcnt(1)
	v_mul_f64 v[165:166], v[135:136], v[179:180]
	s_waitcnt vmcnt(48)
	v_fma_f64 v[167:168], v[129:130], v[175:176], -v[167:168]
	v_mul_f64 v[155:156], v[133:134], v[179:180]
	v_fma_f64 v[163:164], v[131:132], v[175:176], v[163:164]
	v_add_f64 v[141:142], v[141:142], v[169:170]
	s_waitcnt vmcnt(47) lgkmcnt(0)
	v_mul_f64 v[173:174], v[4:5], v[181:182]
	v_add_f64 v[6:7], v[6:7], v[159:160]
	s_clause 0x3
	buffer_load_dword v159, off, s[0:3], 0 offset:576
	buffer_load_dword v160, off, s[0:3], 0 offset:580
	;; [unrolled: 1-line block ×4, first 2 shown]
	s_waitcnt vmcnt(49)
	v_fma_f64 v[165:166], v[133:134], v[185:186], -v[165:166]
	ds_read_b128 v[129:132], v1 offset:1744
	v_mul_f64 v[171:172], v[2:3], v[181:182]
	v_fma_f64 v[155:156], v[135:136], v[185:186], v[155:156]
	ds_read_b128 v[133:136], v1 offset:1760
	v_add_f64 v[141:142], v[141:142], v[167:168]
	s_waitcnt vmcnt(44)
	v_fma_f64 v[173:174], v[2:3], v[183:184], -v[173:174]
	v_add_f64 v[6:7], v[6:7], v[163:164]
	s_waitcnt lgkmcnt(1)
	v_mul_f64 v[167:168], v[131:132], v[187:188]
	v_mul_f64 v[163:164], v[129:130], v[187:188]
	v_add_f64 v[141:142], v[141:142], v[165:166]
	v_fma_f64 v[165:166], v[4:5], v[183:184], v[171:172]
	v_add_f64 v[6:7], v[6:7], v[155:156]
	s_waitcnt vmcnt(43) lgkmcnt(0)
	v_mul_f64 v[171:172], v[135:136], v[190:191]
	s_waitcnt vmcnt(41)
	v_fma_f64 v[167:168], v[129:130], v[194:195], -v[167:168]
	ds_read_b128 v[2:5], v1 offset:1776
	v_mul_f64 v[155:156], v[133:134], v[190:191]
	v_fma_f64 v[163:164], v[131:132], v[194:195], v[163:164]
	ds_read_b128 v[129:132], v1 offset:1792
	v_add_f64 v[141:142], v[141:142], v[173:174]
	v_add_f64 v[6:7], v[6:7], v[165:166]
	s_waitcnt vmcnt(37) lgkmcnt(1)
	v_mul_f64 v[173:174], v[4:5], v[198:199]
	s_waitcnt vmcnt(36)
	v_fma_f64 v[171:172], v[133:134], v[192:193], -v[171:172]
	v_mul_f64 v[165:166], v[2:3], v[198:199]
	v_fma_f64 v[155:156], v[135:136], v[192:193], v[155:156]
	ds_read_b128 v[133:136], v1 offset:1808
	v_add_f64 v[141:142], v[141:142], v[167:168]
	v_add_f64 v[6:7], v[6:7], v[163:164]
	s_waitcnt vmcnt(35) lgkmcnt(1)
	v_mul_f64 v[167:168], v[131:132], v[200:201]
	v_mul_f64 v[163:164], v[129:130], v[200:201]
	s_waitcnt vmcnt(33)
	v_fma_f64 v[173:174], v[2:3], v[139:140], -v[173:174]
	v_fma_f64 v[139:140], v[4:5], v[139:140], v[165:166]
	ds_read_b128 v[2:5], v1 offset:1824
	v_add_f64 v[141:142], v[141:142], v[171:172]
	v_add_f64 v[6:7], v[6:7], v[155:156]
	s_waitcnt vmcnt(29) lgkmcnt(1)
	v_mul_f64 v[155:156], v[133:134], v[143:144]
	v_mul_f64 v[143:144], v[135:136], v[143:144]
	s_waitcnt vmcnt(28)
	v_fma_f64 v[165:166], v[129:130], v[202:203], -v[167:168]
	;; [unrolled: 9-line block ×7, first 2 shown]
	v_fma_f64 v[3:4], v[4:5], v[147:148], v[139:140]
	v_add_f64 v[141:142], v[141:142], v[143:144]
	v_add_f64 v[5:6], v[6:7], v[137:138]
	s_waitcnt vmcnt(7) lgkmcnt(0)
	v_mul_f64 v[137:138], v[135:136], v[153:154]
	s_waitcnt vmcnt(6)
	v_fma_f64 v[129:130], v[129:130], v[206:207], -v[151:152]
	v_mul_f64 v[7:8], v[133:134], v[153:154]
	v_fma_f64 v[131:132], v[131:132], v[206:207], v[149:150]
	v_add_f64 v[1:2], v[141:142], v[1:2]
	v_add_f64 v[3:4], v[5:6], v[3:4]
	s_waitcnt vmcnt(4)
	v_fma_f64 v[5:6], v[133:134], v[157:158], -v[137:138]
	v_fma_f64 v[7:8], v[135:136], v[157:158], v[7:8]
	v_add_f64 v[1:2], v[1:2], v[129:130]
	v_add_f64 v[3:4], v[3:4], v[131:132]
	;; [unrolled: 1-line block ×4, first 2 shown]
	s_waitcnt vmcnt(2)
	v_add_f64 v[1:2], v[159:160], -v[1:2]
	s_waitcnt vmcnt(0)
	v_add_f64 v[3:4], v[169:170], -v[3:4]
	buffer_store_dword v2, off, s[0:3], 0 offset:580
	buffer_store_dword v1, off, s[0:3], 0 offset:576
	;; [unrolled: 1-line block ×4, first 2 shown]
	v_cmpx_lt_u32_e32 34, v0
	s_cbranch_execz .LBB123_305
; %bb.304:
	v_mov_b32_e32 v4, s38
	v_mov_b32_e32 v5, 0
	s_clause 0x3
	buffer_load_dword v1, v4, s[0:3], 0 offen
	buffer_load_dword v2, v4, s[0:3], 0 offen offset:4
	buffer_load_dword v3, v4, s[0:3], 0 offen offset:8
	;; [unrolled: 1-line block ×3, first 2 shown]
	buffer_store_dword v5, off, s[0:3], 0 offset:560
	buffer_store_dword v5, off, s[0:3], 0 offset:564
	;; [unrolled: 1-line block ×4, first 2 shown]
	s_waitcnt vmcnt(0)
	ds_write_b128 v189, v[1:4]
.LBB123_305:
	s_or_b32 exec_lo, exec_lo, s4
	s_waitcnt lgkmcnt(0)
	s_waitcnt_vscnt null, 0x0
	s_barrier
	buffer_gl0_inv
	s_clause 0x37
	buffer_load_dword v6, off, s[0:3], 0 offset:584
	buffer_load_dword v7, off, s[0:3], 0 offset:588
	;; [unrolled: 1-line block ×56, first 2 shown]
	v_mov_b32_e32 v1, 0
	s_mov_b32 s4, exec_lo
	ds_read_b128 v[2:5], v1 offset:1520
	s_clause 0x2
	buffer_load_dword v191, off, s[0:3], 0 offset:812
	buffer_load_dword v195, off, s[0:3], 0 offset:788
	;; [unrolled: 1-line block ×3, first 2 shown]
	ds_read_b128 v[129:132], v1 offset:1536
	s_clause 0x4
	buffer_load_dword v199, off, s[0:3], 0 offset:828
	buffer_load_dword v200, off, s[0:3], 0 offset:840
	;; [unrolled: 1-line block ×5, first 2 shown]
	ds_read_b128 v[133:136], v1 offset:1552
	s_waitcnt vmcnt(62) lgkmcnt(2)
	v_mul_f64 v[196:197], v[4:5], v[6:7]
	v_mul_f64 v[6:7], v[2:3], v[6:7]
	s_waitcnt vmcnt(60) lgkmcnt(1)
	v_mul_f64 v[203:204], v[131:132], v[137:138]
	v_mul_f64 v[137:138], v[129:130], v[137:138]
	s_waitcnt vmcnt(56) lgkmcnt(0)
	v_mul_f64 v[205:206], v[133:134], v[141:142]
	v_mul_f64 v[141:142], v[135:136], v[141:142]
	v_fma_f64 v[196:197], v[2:3], v[139:140], -v[196:197]
	v_fma_f64 v[6:7], v[4:5], v[139:140], v[6:7]
	s_clause 0x2
	buffer_load_dword v201, off, s[0:3], 0 offset:844
	buffer_load_dword v140, off, s[0:3], 0 offset:820
	;; [unrolled: 1-line block ×3, first 2 shown]
	s_waitcnt vmcnt(57)
	v_fma_f64 v[207:208], v[129:130], v[143:144], -v[203:204]
	ds_read_b128 v[2:5], v1 offset:1568
	v_fma_f64 v[137:138], v[131:132], v[143:144], v[137:138]
	s_clause 0x4
	buffer_load_dword v144, off, s[0:3], 0 offset:860
	buffer_load_dword v204, off, s[0:3], 0 offset:872
	;; [unrolled: 1-line block ×5, first 2 shown]
	s_waitcnt vmcnt(56)
	v_fma_f64 v[141:142], v[133:134], v[151:152], -v[141:142]
	ds_read_b128 v[129:132], v1 offset:1584
	v_fma_f64 v[151:152], v[135:136], v[151:152], v[205:206]
	v_add_f64 v[196:197], v[196:197], 0
	v_add_f64 v[6:7], v[6:7], 0
	s_waitcnt lgkmcnt(1)
	v_mul_f64 v[210:211], v[2:3], v[145:146]
	v_mul_f64 v[145:146], v[4:5], v[145:146]
	v_add_f64 v[196:197], v[196:197], v[207:208]
	v_add_f64 v[6:7], v[6:7], v[137:138]
	s_clause 0x2
	buffer_load_dword v205, off, s[0:3], 0 offset:876
	buffer_load_dword v138, off, s[0:3], 0 offset:852
	;; [unrolled: 1-line block ×3, first 2 shown]
	s_waitcnt vmcnt(58) lgkmcnt(0)
	v_mul_f64 v[206:207], v[129:130], v[147:148]
	v_mul_f64 v[147:148], v[131:132], v[147:148]
	s_waitcnt vmcnt(56)
	v_fma_f64 v[145:146], v[2:3], v[153:154], -v[145:146]
	ds_read_b128 v[133:136], v1 offset:1600
	v_fma_f64 v[153:154], v[4:5], v[153:154], v[210:211]
	v_add_f64 v[141:142], v[196:197], v[141:142]
	v_add_f64 v[6:7], v[6:7], v[151:152]
	s_clause 0x4
	buffer_load_dword v152, off, s[0:3], 0 offset:892
	buffer_load_dword v196, off, s[0:3], 0 offset:904
	;; [unrolled: 1-line block ×5, first 2 shown]
	ds_read_b128 v[2:5], v1 offset:1616
	s_waitcnt vmcnt(57) lgkmcnt(1)
	v_mul_f64 v[212:213], v[133:134], v[155:156]
	v_mul_f64 v[155:156], v[135:136], v[155:156]
	s_waitcnt vmcnt(56)
	v_fma_f64 v[147:148], v[129:130], v[149:150], -v[147:148]
	v_add_f64 v[141:142], v[141:142], v[145:146]
	v_fma_f64 v[145:146], v[131:132], v[149:150], v[206:207]
	v_add_f64 v[6:7], v[6:7], v[153:154]
	s_clause 0x2
	buffer_load_dword v197, off, s[0:3], 0 offset:908
	buffer_load_dword v150, off, s[0:3], 0 offset:884
	;; [unrolled: 1-line block ×3, first 2 shown]
	s_waitcnt vmcnt(58) lgkmcnt(0)
	v_mul_f64 v[153:154], v[2:3], v[157:158]
	v_mul_f64 v[157:158], v[4:5], v[157:158]
	s_waitcnt vmcnt(56)
	v_fma_f64 v[155:156], v[133:134], v[161:162], -v[155:156]
	ds_read_b128 v[129:132], v1 offset:1632
	v_add_f64 v[141:142], v[141:142], v[147:148]
	v_fma_f64 v[147:148], v[135:136], v[161:162], v[212:213]
	v_add_f64 v[6:7], v[6:7], v[145:146]
	s_clause 0x4
	buffer_load_dword v146, off, s[0:3], 0 offset:924
	buffer_load_dword v161, off, s[0:3], 0 offset:936
	;; [unrolled: 1-line block ×5, first 2 shown]
	ds_read_b128 v[133:136], v1 offset:1648
	s_waitcnt vmcnt(57) lgkmcnt(1)
	v_mul_f64 v[207:208], v[129:130], v[163:164]
	v_mul_f64 v[163:164], v[131:132], v[163:164]
	s_waitcnt vmcnt(56)
	v_fma_f64 v[157:158], v[2:3], v[159:160], -v[157:158]
	v_fma_f64 v[153:154], v[4:5], v[159:160], v[153:154]
	v_add_f64 v[141:142], v[141:142], v[155:156]
	v_add_f64 v[6:7], v[6:7], v[147:148]
	s_clause 0x2
	buffer_load_dword v162, off, s[0:3], 0 offset:940
	buffer_load_dword v148, off, s[0:3], 0 offset:916
	;; [unrolled: 1-line block ×3, first 2 shown]
	s_waitcnt vmcnt(58) lgkmcnt(0)
	v_mul_f64 v[159:160], v[135:136], v[165:166]
	ds_read_b128 v[2:5], v1 offset:1664
	s_waitcnt vmcnt(56)
	v_fma_f64 v[163:164], v[129:130], v[169:170], -v[163:164]
	v_mul_f64 v[155:156], v[133:134], v[165:166]
	v_add_f64 v[141:142], v[141:142], v[157:158]
	v_fma_f64 v[157:158], v[131:132], v[169:170], v[207:208]
	v_add_f64 v[6:7], v[6:7], v[153:154]
	s_clause 0x4
	buffer_load_dword v154, off, s[0:3], 0 offset:956
	buffer_load_dword v165, off, s[0:3], 0 offset:968
	;; [unrolled: 1-line block ×5, first 2 shown]
	s_waitcnt vmcnt(57) lgkmcnt(0)
	v_mul_f64 v[213:214], v[2:3], v[171:172]
	v_mul_f64 v[170:171], v[4:5], v[171:172]
	s_waitcnt vmcnt(56)
	v_fma_f64 v[159:160], v[133:134], v[167:168], -v[159:160]
	ds_read_b128 v[129:132], v1 offset:1680
	v_fma_f64 v[155:156], v[135:136], v[167:168], v[155:156]
	v_add_f64 v[141:142], v[141:142], v[163:164]
	v_add_f64 v[6:7], v[6:7], v[157:158]
	s_clause 0x2
	buffer_load_dword v166, off, s[0:3], 0 offset:972
	buffer_load_dword v158, off, s[0:3], 0 offset:948
	;; [unrolled: 1-line block ×3, first 2 shown]
	ds_read_b128 v[133:136], v1 offset:1696
	s_waitcnt vmcnt(58) lgkmcnt(1)
	v_mul_f64 v[167:168], v[131:132], v[173:174]
	s_waitcnt vmcnt(56)
	v_fma_f64 v[171:172], v[2:3], v[177:178], -v[170:171]
	v_mul_f64 v[163:164], v[129:130], v[173:174]
	buffer_load_dword v170, off, s[0:3], 0 offset:964
	v_add_f64 v[141:142], v[141:142], v[159:160]
	v_fma_f64 v[159:160], v[4:5], v[177:178], v[213:214]
	v_add_f64 v[6:7], v[6:7], v[155:156]
	ds_read_b128 v[2:5], v1 offset:1712
	s_waitcnt vmcnt(53) lgkmcnt(1)
	v_mul_f64 v[173:174], v[135:136], v[179:180]
	s_waitcnt vmcnt(52)
	v_fma_f64 v[167:168], v[129:130], v[175:176], -v[167:168]
	v_mul_f64 v[155:156], v[133:134], v[179:180]
	v_fma_f64 v[163:164], v[131:132], v[175:176], v[163:164]
	ds_read_b128 v[129:132], v1 offset:1728
	v_add_f64 v[141:142], v[141:142], v[171:172]
	s_waitcnt vmcnt(51) lgkmcnt(1)
	v_mul_f64 v[171:172], v[4:5], v[181:182]
	v_add_f64 v[6:7], v[6:7], v[159:160]
	v_mul_f64 v[159:160], v[2:3], v[181:182]
	s_waitcnt vmcnt(49)
	v_fma_f64 v[173:174], v[133:134], v[185:186], -v[173:174]
	v_fma_f64 v[155:156], v[135:136], v[185:186], v[155:156]
	s_waitcnt vmcnt(45) lgkmcnt(0)
	v_mul_f64 v[177:178], v[131:132], v[187:188]
	v_mul_f64 v[175:176], v[129:130], v[187:188]
	v_add_f64 v[141:142], v[141:142], v[167:168]
	s_waitcnt vmcnt(44)
	v_fma_f64 v[171:172], v[2:3], v[183:184], -v[171:172]
	v_add_f64 v[6:7], v[6:7], v[163:164]
	s_clause 0x3
	buffer_load_dword v163, off, s[0:3], 0 offset:560
	buffer_load_dword v164, off, s[0:3], 0 offset:564
	;; [unrolled: 1-line block ×4, first 2 shown]
	ds_read_b128 v[133:136], v1 offset:1744
	v_fma_f64 v[159:160], v[4:5], v[183:184], v[159:160]
	ds_read_b128 v[2:5], v1 offset:1760
	s_waitcnt vmcnt(45)
	v_fma_f64 v[177:178], v[129:130], v[194:195], -v[177:178]
	v_add_f64 v[141:142], v[141:142], v[173:174]
	v_add_f64 v[6:7], v[6:7], v[155:156]
	s_waitcnt lgkmcnt(1)
	v_mul_f64 v[173:174], v[135:136], v[190:191]
	v_mul_f64 v[155:156], v[133:134], v[190:191]
	v_add_f64 v[141:142], v[141:142], v[171:172]
	v_fma_f64 v[171:172], v[131:132], v[194:195], v[175:176]
	v_add_f64 v[6:7], v[6:7], v[159:160]
	s_waitcnt vmcnt(41) lgkmcnt(0)
	v_mul_f64 v[175:176], v[4:5], v[198:199]
	s_waitcnt vmcnt(40)
	v_fma_f64 v[173:174], v[133:134], v[192:193], -v[173:174]
	ds_read_b128 v[129:132], v1 offset:1776
	v_mul_f64 v[159:160], v[2:3], v[198:199]
	v_fma_f64 v[155:156], v[135:136], v[192:193], v[155:156]
	ds_read_b128 v[133:136], v1 offset:1792
	v_add_f64 v[141:142], v[141:142], v[177:178]
	v_add_f64 v[6:7], v[6:7], v[171:172]
	s_waitcnt vmcnt(39) lgkmcnt(1)
	v_mul_f64 v[177:178], v[131:132], v[200:201]
	v_mul_f64 v[171:172], v[129:130], v[200:201]
	s_waitcnt vmcnt(37)
	v_fma_f64 v[175:176], v[2:3], v[139:140], -v[175:176]
	v_fma_f64 v[139:140], v[4:5], v[139:140], v[159:160]
	ds_read_b128 v[2:5], v1 offset:1808
	v_add_f64 v[141:142], v[141:142], v[173:174]
	v_add_f64 v[6:7], v[6:7], v[155:156]
	s_waitcnt vmcnt(33) lgkmcnt(1)
	v_mul_f64 v[155:156], v[133:134], v[143:144]
	v_mul_f64 v[143:144], v[135:136], v[143:144]
	s_waitcnt vmcnt(32)
	v_fma_f64 v[159:160], v[129:130], v[202:203], -v[177:178]
	;; [unrolled: 9-line block ×7, first 2 shown]
	v_fma_f64 v[139:140], v[4:5], v[147:148], v[139:140]
	ds_read_b128 v[2:5], v1 offset:1904
	v_add_f64 v[141:142], v[141:142], v[143:144]
	v_add_f64 v[6:7], v[6:7], v[137:138]
	s_waitcnt vmcnt(9) lgkmcnt(1)
	v_mul_f64 v[143:144], v[135:136], v[153:154]
	s_waitcnt vmcnt(8)
	v_fma_f64 v[129:130], v[129:130], v[206:207], -v[151:152]
	v_mul_f64 v[137:138], v[133:134], v[153:154]
	v_fma_f64 v[131:132], v[131:132], v[206:207], v[149:150]
	v_add_f64 v[141:142], v[141:142], v[145:146]
	v_add_f64 v[6:7], v[6:7], v[139:140]
	s_waitcnt vmcnt(7) lgkmcnt(0)
	v_mul_f64 v[145:146], v[4:5], v[165:166]
	v_mul_f64 v[139:140], v[2:3], v[165:166]
	s_waitcnt vmcnt(5)
	v_fma_f64 v[133:134], v[133:134], v[157:158], -v[143:144]
	v_fma_f64 v[135:136], v[135:136], v[157:158], v[137:138]
	v_add_f64 v[129:130], v[141:142], v[129:130]
	v_add_f64 v[6:7], v[6:7], v[131:132]
	s_waitcnt vmcnt(4)
	v_fma_f64 v[2:3], v[2:3], v[169:170], -v[145:146]
	v_fma_f64 v[4:5], v[4:5], v[169:170], v[139:140]
	v_add_f64 v[129:130], v[129:130], v[133:134]
	v_add_f64 v[6:7], v[6:7], v[135:136]
	;; [unrolled: 1-line block ×4, first 2 shown]
	s_waitcnt vmcnt(2)
	v_add_f64 v[2:3], v[163:164], -v[2:3]
	s_waitcnt vmcnt(0)
	v_add_f64 v[4:5], v[167:168], -v[4:5]
	buffer_store_dword v3, off, s[0:3], 0 offset:564
	buffer_store_dword v2, off, s[0:3], 0 offset:560
	buffer_store_dword v5, off, s[0:3], 0 offset:572
	buffer_store_dword v4, off, s[0:3], 0 offset:568
	v_cmpx_lt_u32_e32 33, v0
	s_cbranch_execz .LBB123_307
; %bb.306:
	v_mov_b32_e32 v5, s39
	s_clause 0x3
	buffer_load_dword v2, v5, s[0:3], 0 offen
	buffer_load_dword v3, v5, s[0:3], 0 offen offset:4
	buffer_load_dword v4, v5, s[0:3], 0 offen offset:8
	;; [unrolled: 1-line block ×3, first 2 shown]
	buffer_store_dword v1, off, s[0:3], 0 offset:544
	buffer_store_dword v1, off, s[0:3], 0 offset:548
	;; [unrolled: 1-line block ×4, first 2 shown]
	s_waitcnt vmcnt(0)
	ds_write_b128 v189, v[2:5]
.LBB123_307:
	s_or_b32 exec_lo, exec_lo, s4
	s_waitcnt lgkmcnt(0)
	s_waitcnt_vscnt null, 0x0
	s_barrier
	buffer_gl0_inv
	s_clause 0x37
	buffer_load_dword v6, off, s[0:3], 0 offset:568
	buffer_load_dword v7, off, s[0:3], 0 offset:572
	;; [unrolled: 1-line block ×56, first 2 shown]
	ds_read_b128 v[2:5], v1 offset:1504
	s_clause 0x2
	buffer_load_dword v191, off, s[0:3], 0 offset:796
	buffer_load_dword v195, off, s[0:3], 0 offset:772
	;; [unrolled: 1-line block ×3, first 2 shown]
	ds_read_b128 v[129:132], v1 offset:1520
	s_clause 0x4
	buffer_load_dword v199, off, s[0:3], 0 offset:812
	buffer_load_dword v200, off, s[0:3], 0 offset:824
	;; [unrolled: 1-line block ×5, first 2 shown]
	ds_read_b128 v[133:136], v1 offset:1536
	s_mov_b32 s4, exec_lo
	s_waitcnt vmcnt(62) lgkmcnt(2)
	v_mul_f64 v[196:197], v[4:5], v[6:7]
	v_mul_f64 v[6:7], v[2:3], v[6:7]
	s_waitcnt vmcnt(60) lgkmcnt(1)
	v_mul_f64 v[203:204], v[131:132], v[137:138]
	v_mul_f64 v[137:138], v[129:130], v[137:138]
	s_waitcnt vmcnt(56) lgkmcnt(0)
	v_mul_f64 v[205:206], v[133:134], v[141:142]
	v_mul_f64 v[141:142], v[135:136], v[141:142]
	v_fma_f64 v[196:197], v[2:3], v[139:140], -v[196:197]
	v_fma_f64 v[6:7], v[4:5], v[139:140], v[6:7]
	s_clause 0x2
	buffer_load_dword v201, off, s[0:3], 0 offset:828
	buffer_load_dword v140, off, s[0:3], 0 offset:804
	;; [unrolled: 1-line block ×3, first 2 shown]
	s_waitcnt vmcnt(57)
	v_fma_f64 v[207:208], v[129:130], v[143:144], -v[203:204]
	ds_read_b128 v[2:5], v1 offset:1552
	v_fma_f64 v[137:138], v[131:132], v[143:144], v[137:138]
	s_clause 0x4
	buffer_load_dword v144, off, s[0:3], 0 offset:844
	buffer_load_dword v204, off, s[0:3], 0 offset:856
	;; [unrolled: 1-line block ×5, first 2 shown]
	s_waitcnt vmcnt(56)
	v_fma_f64 v[141:142], v[133:134], v[151:152], -v[141:142]
	ds_read_b128 v[129:132], v1 offset:1568
	v_fma_f64 v[151:152], v[135:136], v[151:152], v[205:206]
	v_add_f64 v[196:197], v[196:197], 0
	v_add_f64 v[6:7], v[6:7], 0
	s_waitcnt lgkmcnt(1)
	v_mul_f64 v[210:211], v[2:3], v[145:146]
	v_mul_f64 v[145:146], v[4:5], v[145:146]
	v_add_f64 v[196:197], v[196:197], v[207:208]
	v_add_f64 v[6:7], v[6:7], v[137:138]
	s_clause 0x2
	buffer_load_dword v205, off, s[0:3], 0 offset:860
	buffer_load_dword v138, off, s[0:3], 0 offset:836
	;; [unrolled: 1-line block ×3, first 2 shown]
	s_waitcnt vmcnt(58) lgkmcnt(0)
	v_mul_f64 v[206:207], v[129:130], v[147:148]
	v_mul_f64 v[147:148], v[131:132], v[147:148]
	s_waitcnt vmcnt(56)
	v_fma_f64 v[145:146], v[2:3], v[153:154], -v[145:146]
	ds_read_b128 v[133:136], v1 offset:1584
	v_fma_f64 v[153:154], v[4:5], v[153:154], v[210:211]
	v_add_f64 v[141:142], v[196:197], v[141:142]
	v_add_f64 v[6:7], v[6:7], v[151:152]
	s_clause 0x4
	buffer_load_dword v152, off, s[0:3], 0 offset:876
	buffer_load_dword v196, off, s[0:3], 0 offset:888
	;; [unrolled: 1-line block ×5, first 2 shown]
	ds_read_b128 v[2:5], v1 offset:1600
	s_waitcnt vmcnt(57) lgkmcnt(1)
	v_mul_f64 v[212:213], v[133:134], v[155:156]
	v_mul_f64 v[155:156], v[135:136], v[155:156]
	s_waitcnt vmcnt(56)
	v_fma_f64 v[147:148], v[129:130], v[149:150], -v[147:148]
	v_add_f64 v[141:142], v[141:142], v[145:146]
	v_fma_f64 v[145:146], v[131:132], v[149:150], v[206:207]
	v_add_f64 v[6:7], v[6:7], v[153:154]
	s_clause 0x2
	buffer_load_dword v197, off, s[0:3], 0 offset:892
	buffer_load_dword v150, off, s[0:3], 0 offset:868
	;; [unrolled: 1-line block ×3, first 2 shown]
	s_waitcnt vmcnt(58) lgkmcnt(0)
	v_mul_f64 v[153:154], v[2:3], v[157:158]
	v_mul_f64 v[157:158], v[4:5], v[157:158]
	s_waitcnt vmcnt(56)
	v_fma_f64 v[155:156], v[133:134], v[161:162], -v[155:156]
	ds_read_b128 v[129:132], v1 offset:1616
	v_add_f64 v[141:142], v[141:142], v[147:148]
	v_fma_f64 v[147:148], v[135:136], v[161:162], v[212:213]
	v_add_f64 v[6:7], v[6:7], v[145:146]
	s_clause 0x4
	buffer_load_dword v146, off, s[0:3], 0 offset:908
	buffer_load_dword v161, off, s[0:3], 0 offset:920
	;; [unrolled: 1-line block ×5, first 2 shown]
	ds_read_b128 v[133:136], v1 offset:1632
	s_waitcnt vmcnt(57) lgkmcnt(1)
	v_mul_f64 v[207:208], v[129:130], v[163:164]
	v_mul_f64 v[163:164], v[131:132], v[163:164]
	s_waitcnt vmcnt(56)
	v_fma_f64 v[157:158], v[2:3], v[159:160], -v[157:158]
	v_fma_f64 v[153:154], v[4:5], v[159:160], v[153:154]
	v_add_f64 v[141:142], v[141:142], v[155:156]
	v_add_f64 v[6:7], v[6:7], v[147:148]
	s_clause 0x2
	buffer_load_dword v162, off, s[0:3], 0 offset:924
	buffer_load_dword v148, off, s[0:3], 0 offset:900
	;; [unrolled: 1-line block ×3, first 2 shown]
	s_waitcnt vmcnt(58) lgkmcnt(0)
	v_mul_f64 v[159:160], v[135:136], v[165:166]
	ds_read_b128 v[2:5], v1 offset:1648
	s_waitcnt vmcnt(56)
	v_fma_f64 v[163:164], v[129:130], v[169:170], -v[163:164]
	v_mul_f64 v[155:156], v[133:134], v[165:166]
	v_add_f64 v[141:142], v[141:142], v[157:158]
	v_fma_f64 v[157:158], v[131:132], v[169:170], v[207:208]
	v_add_f64 v[6:7], v[6:7], v[153:154]
	s_clause 0x4
	buffer_load_dword v154, off, s[0:3], 0 offset:940
	buffer_load_dword v165, off, s[0:3], 0 offset:952
	;; [unrolled: 1-line block ×5, first 2 shown]
	s_waitcnt vmcnt(57) lgkmcnt(0)
	v_mul_f64 v[213:214], v[2:3], v[171:172]
	v_mul_f64 v[170:171], v[4:5], v[171:172]
	s_waitcnt vmcnt(56)
	v_fma_f64 v[159:160], v[133:134], v[167:168], -v[159:160]
	ds_read_b128 v[129:132], v1 offset:1664
	v_fma_f64 v[155:156], v[135:136], v[167:168], v[155:156]
	v_add_f64 v[141:142], v[141:142], v[163:164]
	v_add_f64 v[6:7], v[6:7], v[157:158]
	s_clause 0x2
	buffer_load_dword v166, off, s[0:3], 0 offset:956
	buffer_load_dword v158, off, s[0:3], 0 offset:932
	;; [unrolled: 1-line block ×3, first 2 shown]
	ds_read_b128 v[133:136], v1 offset:1680
	s_waitcnt vmcnt(58) lgkmcnt(1)
	v_mul_f64 v[167:168], v[131:132], v[173:174]
	s_waitcnt vmcnt(56)
	v_fma_f64 v[171:172], v[2:3], v[177:178], -v[170:171]
	v_mul_f64 v[163:164], v[129:130], v[173:174]
	v_add_f64 v[141:142], v[141:142], v[159:160]
	v_fma_f64 v[159:160], v[4:5], v[177:178], v[213:214]
	v_add_f64 v[6:7], v[6:7], v[155:156]
	s_clause 0x2
	buffer_load_dword v156, off, s[0:3], 0 offset:972
	buffer_load_dword v155, off, s[0:3], 0 offset:968
	;; [unrolled: 1-line block ×3, first 2 shown]
	s_waitcnt vmcnt(55) lgkmcnt(0)
	v_mul_f64 v[177:178], v[135:136], v[179:180]
	s_waitcnt vmcnt(54)
	v_fma_f64 v[167:168], v[129:130], v[175:176], -v[167:168]
	ds_read_b128 v[2:5], v1 offset:1696
	v_mul_f64 v[173:174], v[133:134], v[179:180]
	v_fma_f64 v[163:164], v[131:132], v[175:176], v[163:164]
	v_add_f64 v[141:142], v[141:142], v[171:172]
	v_add_f64 v[6:7], v[6:7], v[159:160]
	s_clause 0x1
	buffer_load_dword v160, off, s[0:3], 0 offset:964
	buffer_load_dword v159, off, s[0:3], 0 offset:960
	s_waitcnt vmcnt(55) lgkmcnt(0)
	v_mul_f64 v[175:176], v[4:5], v[181:182]
	s_waitcnt vmcnt(53)
	v_fma_f64 v[177:178], v[133:134], v[185:186], -v[177:178]
	ds_read_b128 v[129:132], v1 offset:1712
	v_mul_f64 v[171:172], v[2:3], v[181:182]
	v_add_f64 v[141:142], v[141:142], v[167:168]
	v_fma_f64 v[167:168], v[135:136], v[185:186], v[173:174]
	v_add_f64 v[6:7], v[6:7], v[163:164]
	ds_read_b128 v[133:136], v1 offset:1728
	s_waitcnt vmcnt(49) lgkmcnt(1)
	v_mul_f64 v[173:174], v[131:132], v[187:188]
	s_waitcnt vmcnt(48)
	v_fma_f64 v[175:176], v[2:3], v[183:184], -v[175:176]
	v_mul_f64 v[163:164], v[129:130], v[187:188]
	v_fma_f64 v[171:172], v[4:5], v[183:184], v[171:172]
	v_add_f64 v[141:142], v[141:142], v[177:178]
	s_waitcnt vmcnt(47) lgkmcnt(0)
	v_mul_f64 v[181:182], v[135:136], v[190:191]
	v_add_f64 v[6:7], v[6:7], v[167:168]
	s_clause 0x3
	buffer_load_dword v167, off, s[0:3], 0 offset:544
	buffer_load_dword v168, off, s[0:3], 0 offset:548
	;; [unrolled: 1-line block ×4, first 2 shown]
	s_waitcnt vmcnt(49)
	v_fma_f64 v[173:174], v[129:130], v[194:195], -v[173:174]
	ds_read_b128 v[2:5], v1 offset:1744
	v_mul_f64 v[179:180], v[133:134], v[190:191]
	v_fma_f64 v[163:164], v[131:132], v[194:195], v[163:164]
	ds_read_b128 v[129:132], v1 offset:1760
	v_add_f64 v[141:142], v[141:142], v[175:176]
	s_waitcnt vmcnt(44)
	v_fma_f64 v[181:182], v[133:134], v[192:193], -v[181:182]
	v_add_f64 v[6:7], v[6:7], v[171:172]
	s_waitcnt lgkmcnt(1)
	v_mul_f64 v[175:176], v[4:5], v[198:199]
	v_mul_f64 v[171:172], v[2:3], v[198:199]
	v_add_f64 v[141:142], v[141:142], v[173:174]
	v_fma_f64 v[173:174], v[135:136], v[192:193], v[179:180]
	v_add_f64 v[6:7], v[6:7], v[163:164]
	ds_read_b128 v[133:136], v1 offset:1776
	s_waitcnt vmcnt(43) lgkmcnt(1)
	v_mul_f64 v[179:180], v[131:132], v[200:201]
	v_mul_f64 v[163:164], v[129:130], v[200:201]
	s_waitcnt vmcnt(41)
	v_fma_f64 v[175:176], v[2:3], v[139:140], -v[175:176]
	v_fma_f64 v[139:140], v[4:5], v[139:140], v[171:172]
	ds_read_b128 v[2:5], v1 offset:1792
	v_add_f64 v[141:142], v[141:142], v[181:182]
	s_waitcnt vmcnt(37) lgkmcnt(1)
	v_mul_f64 v[171:172], v[133:134], v[143:144]
	v_add_f64 v[6:7], v[6:7], v[173:174]
	v_mul_f64 v[143:144], v[135:136], v[143:144]
	s_waitcnt vmcnt(36)
	v_fma_f64 v[173:174], v[129:130], v[202:203], -v[179:180]
	v_fma_f64 v[163:164], v[131:132], v[202:203], v[163:164]
	ds_read_b128 v[129:132], v1 offset:1808
	v_add_f64 v[141:142], v[141:142], v[175:176]
	v_add_f64 v[6:7], v[6:7], v[139:140]
	s_waitcnt vmcnt(35) lgkmcnt(1)
	v_mul_f64 v[175:176], v[4:5], v[204:205]
	v_mul_f64 v[139:140], v[2:3], v[204:205]
	s_waitcnt vmcnt(33)
	v_fma_f64 v[143:144], v[133:134], v[137:138], -v[143:144]
	v_fma_f64 v[137:138], v[135:136], v[137:138], v[171:172]
	ds_read_b128 v[133:136], v1 offset:1824
	v_add_f64 v[141:142], v[141:142], v[173:174]
	v_add_f64 v[6:7], v[6:7], v[163:164]
	s_waitcnt vmcnt(29) lgkmcnt(1)
	v_mul_f64 v[163:164], v[129:130], v[151:152]
	;; [unrolled: 9-line block ×6, first 2 shown]
	s_waitcnt vmcnt(12)
	v_fma_f64 v[147:148], v[129:130], v[206:207], -v[151:152]
	v_mul_f64 v[137:138], v[133:134], v[153:154]
	v_add_f64 v[141:142], v[141:142], v[145:146]
	v_fma_f64 v[145:146], v[131:132], v[206:207], v[149:150]
	v_add_f64 v[6:7], v[6:7], v[139:140]
	ds_read_b128 v[129:132], v1 offset:1904
	s_waitcnt vmcnt(11) lgkmcnt(1)
	v_mul_f64 v[149:150], v[4:5], v[165:166]
	v_mul_f64 v[139:140], v[2:3], v[165:166]
	s_waitcnt vmcnt(9)
	v_fma_f64 v[133:134], v[133:134], v[157:158], -v[143:144]
	v_fma_f64 v[135:136], v[135:136], v[157:158], v[137:138]
	v_add_f64 v[141:142], v[141:142], v[147:148]
	v_add_f64 v[6:7], v[6:7], v[145:146]
	s_waitcnt vmcnt(7) lgkmcnt(0)
	v_mul_f64 v[143:144], v[131:132], v[155:156]
	s_waitcnt vmcnt(6)
	v_fma_f64 v[1:2], v[2:3], v[169:170], -v[149:150]
	v_mul_f64 v[137:138], v[129:130], v[155:156]
	v_fma_f64 v[3:4], v[4:5], v[169:170], v[139:140]
	v_add_f64 v[133:134], v[141:142], v[133:134]
	v_add_f64 v[5:6], v[6:7], v[135:136]
	s_waitcnt vmcnt(4)
	v_fma_f64 v[7:8], v[129:130], v[159:160], -v[143:144]
	v_fma_f64 v[129:130], v[131:132], v[159:160], v[137:138]
	v_add_f64 v[1:2], v[133:134], v[1:2]
	v_add_f64 v[3:4], v[5:6], v[3:4]
	;; [unrolled: 1-line block ×4, first 2 shown]
	s_waitcnt vmcnt(2)
	v_add_f64 v[1:2], v[167:168], -v[1:2]
	s_waitcnt vmcnt(0)
	v_add_f64 v[3:4], v[177:178], -v[3:4]
	buffer_store_dword v2, off, s[0:3], 0 offset:548
	buffer_store_dword v1, off, s[0:3], 0 offset:544
	;; [unrolled: 1-line block ×4, first 2 shown]
	v_cmpx_lt_u32_e32 32, v0
	s_cbranch_execz .LBB123_309
; %bb.308:
	v_mov_b32_e32 v4, s40
	v_mov_b32_e32 v5, 0
	s_clause 0x3
	buffer_load_dword v1, v4, s[0:3], 0 offen
	buffer_load_dword v2, v4, s[0:3], 0 offen offset:4
	buffer_load_dword v3, v4, s[0:3], 0 offen offset:8
	;; [unrolled: 1-line block ×3, first 2 shown]
	buffer_store_dword v5, off, s[0:3], 0 offset:528
	buffer_store_dword v5, off, s[0:3], 0 offset:532
	;; [unrolled: 1-line block ×4, first 2 shown]
	s_waitcnt vmcnt(0)
	ds_write_b128 v189, v[1:4]
.LBB123_309:
	s_or_b32 exec_lo, exec_lo, s4
	s_waitcnt lgkmcnt(0)
	s_waitcnt_vscnt null, 0x0
	s_barrier
	buffer_gl0_inv
	s_clause 0x37
	buffer_load_dword v6, off, s[0:3], 0 offset:552
	buffer_load_dword v7, off, s[0:3], 0 offset:556
	;; [unrolled: 1-line block ×56, first 2 shown]
	v_mov_b32_e32 v1, 0
	s_mov_b32 s4, exec_lo
	ds_read_b128 v[2:5], v1 offset:1488
	s_clause 0x2
	buffer_load_dword v191, off, s[0:3], 0 offset:780
	buffer_load_dword v195, off, s[0:3], 0 offset:756
	buffer_load_dword v194, off, s[0:3], 0 offset:752
	ds_read_b128 v[129:132], v1 offset:1504
	s_clause 0x4
	buffer_load_dword v199, off, s[0:3], 0 offset:796
	buffer_load_dword v200, off, s[0:3], 0 offset:808
	;; [unrolled: 1-line block ×5, first 2 shown]
	ds_read_b128 v[133:136], v1 offset:1520
	s_waitcnt vmcnt(62) lgkmcnt(2)
	v_mul_f64 v[196:197], v[4:5], v[6:7]
	v_mul_f64 v[6:7], v[2:3], v[6:7]
	s_waitcnt vmcnt(60) lgkmcnt(1)
	v_mul_f64 v[203:204], v[131:132], v[137:138]
	v_mul_f64 v[137:138], v[129:130], v[137:138]
	;; [unrolled: 3-line block ×3, first 2 shown]
	v_fma_f64 v[196:197], v[2:3], v[139:140], -v[196:197]
	v_fma_f64 v[6:7], v[4:5], v[139:140], v[6:7]
	s_clause 0x2
	buffer_load_dword v201, off, s[0:3], 0 offset:812
	buffer_load_dword v140, off, s[0:3], 0 offset:788
	;; [unrolled: 1-line block ×3, first 2 shown]
	s_waitcnt vmcnt(57)
	v_fma_f64 v[207:208], v[129:130], v[143:144], -v[203:204]
	ds_read_b128 v[2:5], v1 offset:1536
	v_fma_f64 v[137:138], v[131:132], v[143:144], v[137:138]
	s_clause 0x4
	buffer_load_dword v144, off, s[0:3], 0 offset:828
	buffer_load_dword v204, off, s[0:3], 0 offset:840
	;; [unrolled: 1-line block ×5, first 2 shown]
	s_waitcnt vmcnt(56)
	v_fma_f64 v[141:142], v[133:134], v[151:152], -v[141:142]
	ds_read_b128 v[129:132], v1 offset:1552
	v_fma_f64 v[151:152], v[135:136], v[151:152], v[205:206]
	v_add_f64 v[196:197], v[196:197], 0
	v_add_f64 v[6:7], v[6:7], 0
	s_waitcnt lgkmcnt(1)
	v_mul_f64 v[210:211], v[2:3], v[145:146]
	v_mul_f64 v[145:146], v[4:5], v[145:146]
	v_add_f64 v[196:197], v[196:197], v[207:208]
	v_add_f64 v[6:7], v[6:7], v[137:138]
	s_clause 0x2
	buffer_load_dword v205, off, s[0:3], 0 offset:844
	buffer_load_dword v138, off, s[0:3], 0 offset:820
	;; [unrolled: 1-line block ×3, first 2 shown]
	s_waitcnt vmcnt(58) lgkmcnt(0)
	v_mul_f64 v[206:207], v[129:130], v[147:148]
	v_mul_f64 v[147:148], v[131:132], v[147:148]
	s_waitcnt vmcnt(56)
	v_fma_f64 v[145:146], v[2:3], v[153:154], -v[145:146]
	ds_read_b128 v[133:136], v1 offset:1568
	v_fma_f64 v[153:154], v[4:5], v[153:154], v[210:211]
	v_add_f64 v[141:142], v[196:197], v[141:142]
	v_add_f64 v[6:7], v[6:7], v[151:152]
	s_clause 0x4
	buffer_load_dword v152, off, s[0:3], 0 offset:860
	buffer_load_dword v196, off, s[0:3], 0 offset:872
	buffer_load_dword v211, off, s[0:3], 0 offset:864
	buffer_load_dword v151, off, s[0:3], 0 offset:856
	buffer_load_dword v210, off, s[0:3], 0 offset:836
	ds_read_b128 v[2:5], v1 offset:1584
	s_waitcnt vmcnt(57) lgkmcnt(1)
	v_mul_f64 v[212:213], v[133:134], v[155:156]
	v_mul_f64 v[155:156], v[135:136], v[155:156]
	s_waitcnt vmcnt(56)
	v_fma_f64 v[147:148], v[129:130], v[149:150], -v[147:148]
	v_add_f64 v[141:142], v[141:142], v[145:146]
	v_fma_f64 v[145:146], v[131:132], v[149:150], v[206:207]
	v_add_f64 v[6:7], v[6:7], v[153:154]
	s_clause 0x2
	buffer_load_dword v197, off, s[0:3], 0 offset:876
	buffer_load_dword v150, off, s[0:3], 0 offset:852
	;; [unrolled: 1-line block ×3, first 2 shown]
	s_waitcnt vmcnt(58) lgkmcnt(0)
	v_mul_f64 v[153:154], v[2:3], v[157:158]
	v_mul_f64 v[157:158], v[4:5], v[157:158]
	s_waitcnt vmcnt(56)
	v_fma_f64 v[155:156], v[133:134], v[161:162], -v[155:156]
	ds_read_b128 v[129:132], v1 offset:1600
	v_add_f64 v[141:142], v[141:142], v[147:148]
	v_fma_f64 v[147:148], v[135:136], v[161:162], v[212:213]
	v_add_f64 v[6:7], v[6:7], v[145:146]
	s_clause 0x4
	buffer_load_dword v146, off, s[0:3], 0 offset:892
	buffer_load_dword v161, off, s[0:3], 0 offset:904
	;; [unrolled: 1-line block ×5, first 2 shown]
	ds_read_b128 v[133:136], v1 offset:1616
	s_waitcnt vmcnt(57) lgkmcnt(1)
	v_mul_f64 v[207:208], v[129:130], v[163:164]
	v_mul_f64 v[163:164], v[131:132], v[163:164]
	s_waitcnt vmcnt(56)
	v_fma_f64 v[157:158], v[2:3], v[159:160], -v[157:158]
	v_fma_f64 v[153:154], v[4:5], v[159:160], v[153:154]
	v_add_f64 v[141:142], v[141:142], v[155:156]
	v_add_f64 v[6:7], v[6:7], v[147:148]
	s_clause 0x2
	buffer_load_dword v162, off, s[0:3], 0 offset:908
	buffer_load_dword v148, off, s[0:3], 0 offset:884
	;; [unrolled: 1-line block ×3, first 2 shown]
	s_waitcnt vmcnt(58) lgkmcnt(0)
	v_mul_f64 v[159:160], v[135:136], v[165:166]
	ds_read_b128 v[2:5], v1 offset:1632
	s_waitcnt vmcnt(56)
	v_fma_f64 v[163:164], v[129:130], v[169:170], -v[163:164]
	v_mul_f64 v[155:156], v[133:134], v[165:166]
	v_add_f64 v[141:142], v[141:142], v[157:158]
	v_fma_f64 v[157:158], v[131:132], v[169:170], v[207:208]
	v_add_f64 v[6:7], v[6:7], v[153:154]
	s_clause 0x4
	buffer_load_dword v154, off, s[0:3], 0 offset:924
	buffer_load_dword v165, off, s[0:3], 0 offset:936
	;; [unrolled: 1-line block ×5, first 2 shown]
	s_waitcnt vmcnt(57) lgkmcnt(0)
	v_mul_f64 v[213:214], v[2:3], v[171:172]
	v_mul_f64 v[170:171], v[4:5], v[171:172]
	s_waitcnt vmcnt(56)
	v_fma_f64 v[159:160], v[133:134], v[167:168], -v[159:160]
	ds_read_b128 v[129:132], v1 offset:1648
	v_fma_f64 v[155:156], v[135:136], v[167:168], v[155:156]
	v_add_f64 v[141:142], v[141:142], v[163:164]
	v_add_f64 v[6:7], v[6:7], v[157:158]
	s_clause 0x2
	buffer_load_dword v166, off, s[0:3], 0 offset:940
	buffer_load_dword v158, off, s[0:3], 0 offset:916
	;; [unrolled: 1-line block ×3, first 2 shown]
	ds_read_b128 v[133:136], v1 offset:1664
	s_waitcnt vmcnt(58) lgkmcnt(1)
	v_mul_f64 v[167:168], v[131:132], v[173:174]
	s_waitcnt vmcnt(56)
	v_fma_f64 v[171:172], v[2:3], v[177:178], -v[170:171]
	v_mul_f64 v[163:164], v[129:130], v[173:174]
	v_add_f64 v[141:142], v[141:142], v[159:160]
	v_fma_f64 v[159:160], v[4:5], v[177:178], v[213:214]
	v_add_f64 v[6:7], v[6:7], v[155:156]
	s_clause 0x4
	buffer_load_dword v156, off, s[0:3], 0 offset:956
	buffer_load_dword v173, off, s[0:3], 0 offset:968
	;; [unrolled: 1-line block ×5, first 2 shown]
	s_waitcnt vmcnt(57) lgkmcnt(0)
	v_mul_f64 v[213:214], v[133:134], v[179:180]
	v_mul_f64 v[178:179], v[135:136], v[179:180]
	s_waitcnt vmcnt(56)
	v_fma_f64 v[167:168], v[129:130], v[175:176], -v[167:168]
	ds_read_b128 v[2:5], v1 offset:1680
	v_fma_f64 v[163:164], v[131:132], v[175:176], v[163:164]
	v_add_f64 v[141:142], v[141:142], v[171:172]
	v_add_f64 v[6:7], v[6:7], v[159:160]
	s_clause 0x2
	buffer_load_dword v174, off, s[0:3], 0 offset:972
	buffer_load_dword v160, off, s[0:3], 0 offset:948
	;; [unrolled: 1-line block ×3, first 2 shown]
	ds_read_b128 v[129:132], v1 offset:1696
	s_waitcnt vmcnt(58) lgkmcnt(1)
	v_mul_f64 v[175:176], v[4:5], v[181:182]
	s_waitcnt vmcnt(56)
	v_fma_f64 v[179:180], v[133:134], v[185:186], -v[178:179]
	v_mul_f64 v[171:172], v[2:3], v[181:182]
	buffer_load_dword v178, off, s[0:3], 0 offset:964
	v_add_f64 v[141:142], v[141:142], v[167:168]
	v_fma_f64 v[167:168], v[135:136], v[185:186], v[213:214]
	v_add_f64 v[6:7], v[6:7], v[163:164]
	ds_read_b128 v[133:136], v1 offset:1712
	s_waitcnt vmcnt(53) lgkmcnt(1)
	v_mul_f64 v[181:182], v[131:132], v[187:188]
	s_waitcnt vmcnt(52)
	v_fma_f64 v[175:176], v[2:3], v[183:184], -v[175:176]
	v_mul_f64 v[163:164], v[129:130], v[187:188]
	v_fma_f64 v[171:172], v[4:5], v[183:184], v[171:172]
	ds_read_b128 v[2:5], v1 offset:1728
	v_add_f64 v[141:142], v[141:142], v[179:180]
	s_waitcnt vmcnt(51) lgkmcnt(1)
	v_mul_f64 v[179:180], v[135:136], v[190:191]
	v_add_f64 v[6:7], v[6:7], v[167:168]
	v_mul_f64 v[167:168], v[133:134], v[190:191]
	s_waitcnt vmcnt(49)
	v_fma_f64 v[181:182], v[129:130], v[194:195], -v[181:182]
	v_fma_f64 v[163:164], v[131:132], v[194:195], v[163:164]
	s_waitcnt vmcnt(45) lgkmcnt(0)
	v_mul_f64 v[185:186], v[4:5], v[198:199]
	v_mul_f64 v[183:184], v[2:3], v[198:199]
	v_add_f64 v[141:142], v[141:142], v[175:176]
	s_waitcnt vmcnt(44)
	v_fma_f64 v[179:180], v[133:134], v[192:193], -v[179:180]
	v_add_f64 v[6:7], v[6:7], v[171:172]
	s_clause 0x3
	buffer_load_dword v171, off, s[0:3], 0 offset:528
	buffer_load_dword v172, off, s[0:3], 0 offset:532
	;; [unrolled: 1-line block ×4, first 2 shown]
	ds_read_b128 v[129:132], v1 offset:1744
	v_fma_f64 v[167:168], v[135:136], v[192:193], v[167:168]
	ds_read_b128 v[133:136], v1 offset:1760
	v_add_f64 v[141:142], v[141:142], v[181:182]
	v_add_f64 v[6:7], v[6:7], v[163:164]
	s_waitcnt vmcnt(47) lgkmcnt(1)
	v_mul_f64 v[181:182], v[131:132], v[200:201]
	v_mul_f64 v[163:164], v[129:130], v[200:201]
	s_waitcnt vmcnt(45)
	v_fma_f64 v[185:186], v[2:3], v[139:140], -v[185:186]
	v_fma_f64 v[139:140], v[4:5], v[139:140], v[183:184]
	ds_read_b128 v[2:5], v1 offset:1776
	v_add_f64 v[141:142], v[141:142], v[179:180]
	v_add_f64 v[6:7], v[6:7], v[167:168]
	s_waitcnt vmcnt(41) lgkmcnt(1)
	v_mul_f64 v[167:168], v[133:134], v[143:144]
	v_mul_f64 v[143:144], v[135:136], v[143:144]
	s_waitcnt vmcnt(40)
	v_fma_f64 v[179:180], v[129:130], v[202:203], -v[181:182]
	;; [unrolled: 9-line block ×7, first 2 shown]
	v_fma_f64 v[139:140], v[4:5], v[147:148], v[139:140]
	ds_read_b128 v[2:5], v1 offset:1872
	v_add_f64 v[141:142], v[141:142], v[143:144]
	v_add_f64 v[6:7], v[6:7], v[137:138]
	s_waitcnt vmcnt(17) lgkmcnt(1)
	v_mul_f64 v[143:144], v[135:136], v[153:154]
	s_waitcnt vmcnt(16)
	v_fma_f64 v[147:148], v[129:130], v[206:207], -v[151:152]
	v_mul_f64 v[137:138], v[133:134], v[153:154]
	v_add_f64 v[141:142], v[141:142], v[145:146]
	v_fma_f64 v[145:146], v[131:132], v[206:207], v[149:150]
	v_add_f64 v[6:7], v[6:7], v[139:140]
	ds_read_b128 v[129:132], v1 offset:1888
	s_waitcnt vmcnt(15) lgkmcnt(1)
	v_mul_f64 v[149:150], v[4:5], v[165:166]
	v_mul_f64 v[139:140], v[2:3], v[165:166]
	s_waitcnt vmcnt(13)
	v_fma_f64 v[143:144], v[133:134], v[157:158], -v[143:144]
	v_fma_f64 v[137:138], v[135:136], v[157:158], v[137:138]
	ds_read_b128 v[133:136], v1 offset:1904
	v_add_f64 v[141:142], v[141:142], v[147:148]
	v_add_f64 v[6:7], v[6:7], v[145:146]
	s_waitcnt vmcnt(9) lgkmcnt(1)
	v_mul_f64 v[147:148], v[131:132], v[155:156]
	s_waitcnt vmcnt(8)
	v_fma_f64 v[2:3], v[2:3], v[169:170], -v[149:150]
	v_mul_f64 v[145:146], v[129:130], v[155:156]
	v_fma_f64 v[4:5], v[4:5], v[169:170], v[139:140]
	v_add_f64 v[141:142], v[141:142], v[143:144]
	v_add_f64 v[6:7], v[6:7], v[137:138]
	s_waitcnt vmcnt(7) lgkmcnt(0)
	v_mul_f64 v[139:140], v[135:136], v[173:174]
	v_mul_f64 v[137:138], v[133:134], v[173:174]
	s_waitcnt vmcnt(5)
	v_fma_f64 v[129:130], v[129:130], v[159:160], -v[147:148]
	v_fma_f64 v[131:132], v[131:132], v[159:160], v[145:146]
	v_add_f64 v[2:3], v[141:142], v[2:3]
	v_add_f64 v[4:5], v[6:7], v[4:5]
	s_waitcnt vmcnt(4)
	v_fma_f64 v[6:7], v[133:134], v[177:178], -v[139:140]
	v_add_f64 v[2:3], v[2:3], v[129:130]
	v_fma_f64 v[129:130], v[135:136], v[177:178], v[137:138]
	v_add_f64 v[4:5], v[4:5], v[131:132]
	v_add_f64 v[2:3], v[2:3], v[6:7]
	;; [unrolled: 1-line block ×3, first 2 shown]
	s_waitcnt vmcnt(2)
	v_add_f64 v[2:3], v[171:172], -v[2:3]
	s_waitcnt vmcnt(0)
	v_add_f64 v[4:5], v[175:176], -v[4:5]
	buffer_store_dword v3, off, s[0:3], 0 offset:532
	buffer_store_dword v2, off, s[0:3], 0 offset:528
	;; [unrolled: 1-line block ×4, first 2 shown]
	v_cmpx_lt_u32_e32 31, v0
	s_cbranch_execz .LBB123_311
; %bb.310:
	v_mov_b32_e32 v5, s41
	s_clause 0x3
	buffer_load_dword v2, v5, s[0:3], 0 offen
	buffer_load_dword v3, v5, s[0:3], 0 offen offset:4
	buffer_load_dword v4, v5, s[0:3], 0 offen offset:8
	;; [unrolled: 1-line block ×3, first 2 shown]
	buffer_store_dword v1, off, s[0:3], 0 offset:512
	buffer_store_dword v1, off, s[0:3], 0 offset:516
	;; [unrolled: 1-line block ×4, first 2 shown]
	s_waitcnt vmcnt(0)
	ds_write_b128 v189, v[2:5]
.LBB123_311:
	s_or_b32 exec_lo, exec_lo, s4
	s_waitcnt lgkmcnt(0)
	s_waitcnt_vscnt null, 0x0
	s_barrier
	buffer_gl0_inv
	s_clause 0x37
	buffer_load_dword v6, off, s[0:3], 0 offset:536
	buffer_load_dword v7, off, s[0:3], 0 offset:540
	;; [unrolled: 1-line block ×56, first 2 shown]
	ds_read_b128 v[2:5], v1 offset:1472
	s_clause 0x2
	buffer_load_dword v191, off, s[0:3], 0 offset:764
	buffer_load_dword v195, off, s[0:3], 0 offset:740
	;; [unrolled: 1-line block ×3, first 2 shown]
	ds_read_b128 v[129:132], v1 offset:1488
	s_clause 0x4
	buffer_load_dword v199, off, s[0:3], 0 offset:780
	buffer_load_dword v200, off, s[0:3], 0 offset:792
	;; [unrolled: 1-line block ×5, first 2 shown]
	ds_read_b128 v[133:136], v1 offset:1504
	s_mov_b32 s4, exec_lo
	s_waitcnt vmcnt(62) lgkmcnt(2)
	v_mul_f64 v[196:197], v[4:5], v[6:7]
	v_mul_f64 v[6:7], v[2:3], v[6:7]
	s_waitcnt vmcnt(60) lgkmcnt(1)
	v_mul_f64 v[203:204], v[131:132], v[137:138]
	v_mul_f64 v[137:138], v[129:130], v[137:138]
	;; [unrolled: 3-line block ×3, first 2 shown]
	v_fma_f64 v[196:197], v[2:3], v[139:140], -v[196:197]
	v_fma_f64 v[6:7], v[4:5], v[139:140], v[6:7]
	s_clause 0x2
	buffer_load_dword v201, off, s[0:3], 0 offset:796
	buffer_load_dword v140, off, s[0:3], 0 offset:772
	;; [unrolled: 1-line block ×3, first 2 shown]
	s_waitcnt vmcnt(57)
	v_fma_f64 v[207:208], v[129:130], v[143:144], -v[203:204]
	ds_read_b128 v[2:5], v1 offset:1520
	v_fma_f64 v[137:138], v[131:132], v[143:144], v[137:138]
	s_clause 0x4
	buffer_load_dword v144, off, s[0:3], 0 offset:812
	buffer_load_dword v204, off, s[0:3], 0 offset:824
	;; [unrolled: 1-line block ×5, first 2 shown]
	s_waitcnt vmcnt(56)
	v_fma_f64 v[141:142], v[133:134], v[151:152], -v[141:142]
	ds_read_b128 v[129:132], v1 offset:1536
	v_fma_f64 v[151:152], v[135:136], v[151:152], v[205:206]
	v_add_f64 v[196:197], v[196:197], 0
	v_add_f64 v[6:7], v[6:7], 0
	s_waitcnt lgkmcnt(1)
	v_mul_f64 v[210:211], v[2:3], v[145:146]
	v_mul_f64 v[145:146], v[4:5], v[145:146]
	v_add_f64 v[196:197], v[196:197], v[207:208]
	v_add_f64 v[6:7], v[6:7], v[137:138]
	s_clause 0x2
	buffer_load_dword v205, off, s[0:3], 0 offset:828
	buffer_load_dword v138, off, s[0:3], 0 offset:804
	;; [unrolled: 1-line block ×3, first 2 shown]
	s_waitcnt vmcnt(58) lgkmcnt(0)
	v_mul_f64 v[206:207], v[129:130], v[147:148]
	v_mul_f64 v[147:148], v[131:132], v[147:148]
	s_waitcnt vmcnt(56)
	v_fma_f64 v[145:146], v[2:3], v[153:154], -v[145:146]
	ds_read_b128 v[133:136], v1 offset:1552
	v_fma_f64 v[153:154], v[4:5], v[153:154], v[210:211]
	v_add_f64 v[141:142], v[196:197], v[141:142]
	v_add_f64 v[6:7], v[6:7], v[151:152]
	s_clause 0x4
	buffer_load_dword v152, off, s[0:3], 0 offset:844
	buffer_load_dword v196, off, s[0:3], 0 offset:856
	;; [unrolled: 1-line block ×5, first 2 shown]
	ds_read_b128 v[2:5], v1 offset:1568
	s_waitcnt vmcnt(57) lgkmcnt(1)
	v_mul_f64 v[212:213], v[133:134], v[155:156]
	v_mul_f64 v[155:156], v[135:136], v[155:156]
	s_waitcnt vmcnt(56)
	v_fma_f64 v[147:148], v[129:130], v[149:150], -v[147:148]
	v_add_f64 v[141:142], v[141:142], v[145:146]
	v_fma_f64 v[145:146], v[131:132], v[149:150], v[206:207]
	v_add_f64 v[6:7], v[6:7], v[153:154]
	s_clause 0x2
	buffer_load_dword v197, off, s[0:3], 0 offset:860
	buffer_load_dword v150, off, s[0:3], 0 offset:836
	;; [unrolled: 1-line block ×3, first 2 shown]
	s_waitcnt vmcnt(58) lgkmcnt(0)
	v_mul_f64 v[153:154], v[2:3], v[157:158]
	v_mul_f64 v[157:158], v[4:5], v[157:158]
	s_waitcnt vmcnt(56)
	v_fma_f64 v[155:156], v[133:134], v[161:162], -v[155:156]
	ds_read_b128 v[129:132], v1 offset:1584
	v_add_f64 v[141:142], v[141:142], v[147:148]
	v_fma_f64 v[147:148], v[135:136], v[161:162], v[212:213]
	v_add_f64 v[6:7], v[6:7], v[145:146]
	s_clause 0x4
	buffer_load_dword v146, off, s[0:3], 0 offset:876
	buffer_load_dword v161, off, s[0:3], 0 offset:888
	;; [unrolled: 1-line block ×5, first 2 shown]
	ds_read_b128 v[133:136], v1 offset:1600
	s_waitcnt vmcnt(57) lgkmcnt(1)
	v_mul_f64 v[207:208], v[129:130], v[163:164]
	v_mul_f64 v[163:164], v[131:132], v[163:164]
	s_waitcnt vmcnt(56)
	v_fma_f64 v[157:158], v[2:3], v[159:160], -v[157:158]
	v_fma_f64 v[153:154], v[4:5], v[159:160], v[153:154]
	v_add_f64 v[141:142], v[141:142], v[155:156]
	v_add_f64 v[6:7], v[6:7], v[147:148]
	s_clause 0x2
	buffer_load_dword v162, off, s[0:3], 0 offset:892
	buffer_load_dword v148, off, s[0:3], 0 offset:868
	;; [unrolled: 1-line block ×3, first 2 shown]
	s_waitcnt vmcnt(58) lgkmcnt(0)
	v_mul_f64 v[159:160], v[135:136], v[165:166]
	ds_read_b128 v[2:5], v1 offset:1616
	s_waitcnt vmcnt(56)
	v_fma_f64 v[163:164], v[129:130], v[169:170], -v[163:164]
	v_mul_f64 v[155:156], v[133:134], v[165:166]
	v_add_f64 v[141:142], v[141:142], v[157:158]
	v_fma_f64 v[157:158], v[131:132], v[169:170], v[207:208]
	v_add_f64 v[6:7], v[6:7], v[153:154]
	s_clause 0x4
	buffer_load_dword v154, off, s[0:3], 0 offset:908
	buffer_load_dword v165, off, s[0:3], 0 offset:920
	;; [unrolled: 1-line block ×5, first 2 shown]
	s_waitcnt vmcnt(57) lgkmcnt(0)
	v_mul_f64 v[213:214], v[2:3], v[171:172]
	v_mul_f64 v[170:171], v[4:5], v[171:172]
	s_waitcnt vmcnt(56)
	v_fma_f64 v[159:160], v[133:134], v[167:168], -v[159:160]
	ds_read_b128 v[129:132], v1 offset:1632
	v_fma_f64 v[155:156], v[135:136], v[167:168], v[155:156]
	v_add_f64 v[141:142], v[141:142], v[163:164]
	v_add_f64 v[6:7], v[6:7], v[157:158]
	s_clause 0x2
	buffer_load_dword v166, off, s[0:3], 0 offset:924
	buffer_load_dword v158, off, s[0:3], 0 offset:900
	;; [unrolled: 1-line block ×3, first 2 shown]
	ds_read_b128 v[133:136], v1 offset:1648
	s_waitcnt vmcnt(58) lgkmcnt(1)
	v_mul_f64 v[167:168], v[131:132], v[173:174]
	s_waitcnt vmcnt(56)
	v_fma_f64 v[171:172], v[2:3], v[177:178], -v[170:171]
	v_mul_f64 v[163:164], v[129:130], v[173:174]
	v_add_f64 v[141:142], v[141:142], v[159:160]
	v_fma_f64 v[159:160], v[4:5], v[177:178], v[213:214]
	v_add_f64 v[6:7], v[6:7], v[155:156]
	s_clause 0x4
	buffer_load_dword v156, off, s[0:3], 0 offset:940
	buffer_load_dword v173, off, s[0:3], 0 offset:952
	;; [unrolled: 1-line block ×5, first 2 shown]
	s_waitcnt vmcnt(57) lgkmcnt(0)
	v_mul_f64 v[213:214], v[133:134], v[179:180]
	v_mul_f64 v[178:179], v[135:136], v[179:180]
	s_waitcnt vmcnt(56)
	v_fma_f64 v[167:168], v[129:130], v[175:176], -v[167:168]
	ds_read_b128 v[2:5], v1 offset:1664
	v_fma_f64 v[163:164], v[131:132], v[175:176], v[163:164]
	v_add_f64 v[141:142], v[141:142], v[171:172]
	v_add_f64 v[6:7], v[6:7], v[159:160]
	s_clause 0x2
	buffer_load_dword v174, off, s[0:3], 0 offset:956
	buffer_load_dword v160, off, s[0:3], 0 offset:932
	buffer_load_dword v159, off, s[0:3], 0 offset:928
	ds_read_b128 v[129:132], v1 offset:1680
	s_waitcnt vmcnt(58) lgkmcnt(1)
	v_mul_f64 v[175:176], v[4:5], v[181:182]
	s_waitcnt vmcnt(56)
	v_fma_f64 v[179:180], v[133:134], v[185:186], -v[178:179]
	v_mul_f64 v[171:172], v[2:3], v[181:182]
	v_add_f64 v[141:142], v[141:142], v[167:168]
	v_fma_f64 v[167:168], v[135:136], v[185:186], v[213:214]
	v_add_f64 v[6:7], v[6:7], v[163:164]
	s_clause 0x2
	buffer_load_dword v164, off, s[0:3], 0 offset:972
	buffer_load_dword v163, off, s[0:3], 0 offset:968
	;; [unrolled: 1-line block ×3, first 2 shown]
	s_waitcnt vmcnt(55) lgkmcnt(0)
	v_mul_f64 v[185:186], v[131:132], v[187:188]
	s_waitcnt vmcnt(54)
	v_fma_f64 v[175:176], v[2:3], v[183:184], -v[175:176]
	ds_read_b128 v[133:136], v1 offset:1696
	v_mul_f64 v[181:182], v[129:130], v[187:188]
	v_fma_f64 v[171:172], v[4:5], v[183:184], v[171:172]
	v_add_f64 v[141:142], v[141:142], v[179:180]
	v_add_f64 v[6:7], v[6:7], v[167:168]
	s_clause 0x1
	buffer_load_dword v168, off, s[0:3], 0 offset:964
	buffer_load_dword v167, off, s[0:3], 0 offset:960
	s_waitcnt vmcnt(55) lgkmcnt(0)
	v_mul_f64 v[183:184], v[135:136], v[190:191]
	s_waitcnt vmcnt(53)
	v_fma_f64 v[185:186], v[129:130], v[194:195], -v[185:186]
	ds_read_b128 v[2:5], v1 offset:1712
	v_mul_f64 v[179:180], v[133:134], v[190:191]
	v_add_f64 v[141:142], v[141:142], v[175:176]
	v_fma_f64 v[175:176], v[131:132], v[194:195], v[181:182]
	v_add_f64 v[6:7], v[6:7], v[171:172]
	ds_read_b128 v[129:132], v1 offset:1728
	s_waitcnt vmcnt(49) lgkmcnt(1)
	v_mul_f64 v[181:182], v[4:5], v[198:199]
	s_waitcnt vmcnt(48)
	v_fma_f64 v[183:184], v[133:134], v[192:193], -v[183:184]
	v_mul_f64 v[171:172], v[2:3], v[198:199]
	v_fma_f64 v[179:180], v[135:136], v[192:193], v[179:180]
	v_add_f64 v[141:142], v[141:142], v[185:186]
	v_add_f64 v[6:7], v[6:7], v[175:176]
	s_clause 0x3
	buffer_load_dword v175, off, s[0:3], 0 offset:512
	buffer_load_dword v176, off, s[0:3], 0 offset:516
	;; [unrolled: 1-line block ×4, first 2 shown]
	ds_read_b128 v[133:136], v1 offset:1744
	s_waitcnt vmcnt(51) lgkmcnt(1)
	v_mul_f64 v[190:191], v[131:132], v[200:201]
	v_mul_f64 v[187:188], v[129:130], v[200:201]
	s_waitcnt vmcnt(49)
	v_fma_f64 v[181:182], v[2:3], v[139:140], -v[181:182]
	v_fma_f64 v[139:140], v[4:5], v[139:140], v[171:172]
	ds_read_b128 v[2:5], v1 offset:1760
	v_add_f64 v[141:142], v[141:142], v[183:184]
	v_add_f64 v[6:7], v[6:7], v[179:180]
	s_waitcnt vmcnt(45) lgkmcnt(1)
	v_mul_f64 v[171:172], v[133:134], v[143:144]
	v_mul_f64 v[143:144], v[135:136], v[143:144]
	s_waitcnt vmcnt(44)
	v_fma_f64 v[179:180], v[129:130], v[202:203], -v[190:191]
	v_add_f64 v[141:142], v[141:142], v[181:182]
	v_fma_f64 v[181:182], v[131:132], v[202:203], v[187:188]
	v_add_f64 v[6:7], v[6:7], v[139:140]
	ds_read_b128 v[129:132], v1 offset:1776
	s_waitcnt vmcnt(43) lgkmcnt(1)
	v_mul_f64 v[183:184], v[4:5], v[204:205]
	v_mul_f64 v[139:140], v[2:3], v[204:205]
	s_waitcnt vmcnt(41)
	v_fma_f64 v[143:144], v[133:134], v[137:138], -v[143:144]
	v_fma_f64 v[137:138], v[135:136], v[137:138], v[171:172]
	ds_read_b128 v[133:136], v1 offset:1792
	v_add_f64 v[141:142], v[141:142], v[179:180]
	v_add_f64 v[6:7], v[6:7], v[181:182]
	s_waitcnt vmcnt(37) lgkmcnt(1)
	v_mul_f64 v[171:172], v[129:130], v[151:152]
	v_mul_f64 v[151:152], v[131:132], v[151:152]
	s_waitcnt vmcnt(36)
	v_fma_f64 v[179:180], v[2:3], v[209:210], -v[183:184]
	v_fma_f64 v[139:140], v[4:5], v[209:210], v[139:140]
	ds_read_b128 v[2:5], v1 offset:1808
	v_add_f64 v[141:142], v[141:142], v[143:144]
	v_add_f64 v[6:7], v[6:7], v[137:138]
	;; [unrolled: 9-line block ×5, first 2 shown]
	s_waitcnt vmcnt(21) lgkmcnt(1)
	v_mul_f64 v[143:144], v[135:136], v[153:154]
	s_waitcnt vmcnt(20)
	v_fma_f64 v[147:148], v[129:130], v[206:207], -v[151:152]
	v_mul_f64 v[137:138], v[133:134], v[153:154]
	v_add_f64 v[141:142], v[141:142], v[145:146]
	v_fma_f64 v[145:146], v[131:132], v[206:207], v[149:150]
	v_add_f64 v[6:7], v[6:7], v[139:140]
	ds_read_b128 v[129:132], v1 offset:1872
	s_waitcnt vmcnt(19) lgkmcnt(1)
	v_mul_f64 v[149:150], v[4:5], v[165:166]
	v_mul_f64 v[139:140], v[2:3], v[165:166]
	s_waitcnt vmcnt(17)
	v_fma_f64 v[143:144], v[133:134], v[157:158], -v[143:144]
	v_fma_f64 v[137:138], v[135:136], v[157:158], v[137:138]
	ds_read_b128 v[133:136], v1 offset:1888
	v_add_f64 v[141:142], v[141:142], v[147:148]
	v_add_f64 v[6:7], v[6:7], v[145:146]
	s_waitcnt vmcnt(13) lgkmcnt(1)
	v_mul_f64 v[147:148], v[131:132], v[155:156]
	s_waitcnt vmcnt(12)
	v_fma_f64 v[149:150], v[2:3], v[169:170], -v[149:150]
	v_mul_f64 v[145:146], v[129:130], v[155:156]
	v_fma_f64 v[139:140], v[4:5], v[169:170], v[139:140]
	ds_read_b128 v[1:4], v1 offset:1904
	v_add_f64 v[141:142], v[141:142], v[143:144]
	v_add_f64 v[5:6], v[6:7], v[137:138]
	s_waitcnt vmcnt(11) lgkmcnt(1)
	v_mul_f64 v[137:138], v[135:136], v[173:174]
	v_mul_f64 v[7:8], v[133:134], v[173:174]
	s_waitcnt vmcnt(9)
	v_fma_f64 v[129:130], v[129:130], v[159:160], -v[147:148]
	v_fma_f64 v[131:132], v[131:132], v[159:160], v[145:146]
	v_add_f64 v[141:142], v[141:142], v[149:150]
	v_add_f64 v[5:6], v[5:6], v[139:140]
	s_waitcnt vmcnt(7) lgkmcnt(0)
	v_mul_f64 v[143:144], v[3:4], v[163:164]
	s_waitcnt vmcnt(6)
	v_fma_f64 v[133:134], v[133:134], v[177:178], -v[137:138]
	v_mul_f64 v[139:140], v[1:2], v[163:164]
	v_fma_f64 v[7:8], v[135:136], v[177:178], v[7:8]
	v_add_f64 v[129:130], v[141:142], v[129:130]
	v_add_f64 v[5:6], v[5:6], v[131:132]
	s_waitcnt vmcnt(4)
	v_fma_f64 v[1:2], v[1:2], v[167:168], -v[143:144]
	v_fma_f64 v[3:4], v[3:4], v[167:168], v[139:140]
	v_add_f64 v[129:130], v[129:130], v[133:134]
	v_add_f64 v[5:6], v[5:6], v[7:8]
	;; [unrolled: 1-line block ×4, first 2 shown]
	s_waitcnt vmcnt(2)
	v_add_f64 v[1:2], v[175:176], -v[1:2]
	s_waitcnt vmcnt(0)
	v_add_f64 v[3:4], v[185:186], -v[3:4]
	buffer_store_dword v2, off, s[0:3], 0 offset:516
	buffer_store_dword v1, off, s[0:3], 0 offset:512
	;; [unrolled: 1-line block ×4, first 2 shown]
	v_cmpx_lt_u32_e32 30, v0
	s_cbranch_execz .LBB123_313
; %bb.312:
	v_mov_b32_e32 v4, s42
	v_mov_b32_e32 v5, 0
	s_clause 0x3
	buffer_load_dword v1, v4, s[0:3], 0 offen
	buffer_load_dword v2, v4, s[0:3], 0 offen offset:4
	buffer_load_dword v3, v4, s[0:3], 0 offen offset:8
	;; [unrolled: 1-line block ×3, first 2 shown]
	buffer_store_dword v5, off, s[0:3], 0 offset:496
	buffer_store_dword v5, off, s[0:3], 0 offset:500
	;; [unrolled: 1-line block ×4, first 2 shown]
	s_waitcnt vmcnt(0)
	ds_write_b128 v189, v[1:4]
.LBB123_313:
	s_or_b32 exec_lo, exec_lo, s4
	s_waitcnt lgkmcnt(0)
	s_waitcnt_vscnt null, 0x0
	s_barrier
	buffer_gl0_inv
	s_clause 0x37
	buffer_load_dword v129, off, s[0:3], 0 offset:520
	buffer_load_dword v130, off, s[0:3], 0 offset:524
	;; [unrolled: 1-line block ×56, first 2 shown]
	v_mov_b32_e32 v131, 0
	s_mov_b32 s4, exec_lo
	ds_read_b128 v[5:8], v131 offset:1456
	s_clause 0x2
	buffer_load_dword v191, off, s[0:3], 0 offset:748
	buffer_load_dword v195, off, s[0:3], 0 offset:724
	;; [unrolled: 1-line block ×3, first 2 shown]
	ds_read_b128 v[132:135], v131 offset:1472
	s_clause 0x4
	buffer_load_dword v199, off, s[0:3], 0 offset:764
	buffer_load_dword v200, off, s[0:3], 0 offset:776
	;; [unrolled: 1-line block ×5, first 2 shown]
	ds_read_b128 v[136:139], v131 offset:1488
	s_waitcnt vmcnt(62) lgkmcnt(2)
	v_mul_f64 v[196:197], v[7:8], v[129:130]
	v_mul_f64 v[129:130], v[5:6], v[129:130]
	s_waitcnt vmcnt(60) lgkmcnt(1)
	v_mul_f64 v[203:204], v[134:135], v[140:141]
	v_mul_f64 v[140:141], v[132:133], v[140:141]
	;; [unrolled: 3-line block ×3, first 2 shown]
	v_fma_f64 v[196:197], v[5:6], v[142:143], -v[196:197]
	v_fma_f64 v[129:130], v[7:8], v[142:143], v[129:130]
	s_clause 0x2
	buffer_load_dword v201, off, s[0:3], 0 offset:780
	buffer_load_dword v143, off, s[0:3], 0 offset:756
	;; [unrolled: 1-line block ×3, first 2 shown]
	s_waitcnt vmcnt(57)
	v_fma_f64 v[132:133], v[132:133], v[1:2], -v[203:204]
	ds_read_b128 v[5:8], v131 offset:1504
	v_fma_f64 v[134:135], v[134:135], v[1:2], v[140:141]
	s_clause 0x4
	buffer_load_dword v141, off, s[0:3], 0 offset:796
	buffer_load_dword v204, off, s[0:3], 0 offset:808
	;; [unrolled: 1-line block ×5, first 2 shown]
	s_waitcnt vmcnt(56)
	v_fma_f64 v[136:137], v[136:137], v[150:151], -v[207:208]
	ds_read_b128 v[1:4], v131 offset:1520
	v_fma_f64 v[138:139], v[138:139], v[150:151], v[205:206]
	s_clause 0x2
	buffer_load_dword v205, off, s[0:3], 0 offset:812
	buffer_load_dword v151, off, s[0:3], 0 offset:788
	;; [unrolled: 1-line block ×3, first 2 shown]
	v_add_f64 v[196:197], v[196:197], 0
	v_add_f64 v[129:130], v[129:130], 0
	s_waitcnt lgkmcnt(1)
	v_mul_f64 v[210:211], v[5:6], v[144:145]
	v_mul_f64 v[144:145], v[7:8], v[144:145]
	s_waitcnt vmcnt(58) lgkmcnt(0)
	v_mul_f64 v[206:207], v[1:2], v[146:147]
	v_mul_f64 v[146:147], v[3:4], v[146:147]
	v_add_f64 v[196:197], v[196:197], v[132:133]
	v_add_f64 v[129:130], v[129:130], v[134:135]
	ds_read_b128 v[132:135], v131 offset:1536
	s_waitcnt vmcnt(56)
	v_fma_f64 v[144:145], v[5:6], v[152:153], -v[144:145]
	v_fma_f64 v[152:153], v[7:8], v[152:153], v[210:211]
	s_waitcnt vmcnt(51)
	v_fma_f64 v[146:147], v[1:2], v[148:149], -v[146:147]
	s_waitcnt lgkmcnt(0)
	v_mul_f64 v[212:213], v[132:133], v[154:155]
	v_add_f64 v[136:137], v[196:197], v[136:137]
	v_add_f64 v[129:130], v[129:130], v[138:139]
	s_clause 0x4
	buffer_load_dword v139, off, s[0:3], 0 offset:828
	buffer_load_dword v196, off, s[0:3], 0 offset:840
	;; [unrolled: 1-line block ×5, first 2 shown]
	v_mul_f64 v[154:155], v[134:135], v[154:155]
	ds_read_b128 v[5:8], v131 offset:1552
	v_add_f64 v[136:137], v[136:137], v[144:145]
	v_fma_f64 v[144:145], v[3:4], v[148:149], v[206:207]
	v_add_f64 v[129:130], v[129:130], v[152:153]
	s_clause 0x2
	buffer_load_dword v197, off, s[0:3], 0 offset:844
	buffer_load_dword v149, off, s[0:3], 0 offset:820
	;; [unrolled: 1-line block ×3, first 2 shown]
	s_waitcnt vmcnt(58) lgkmcnt(0)
	v_mul_f64 v[152:153], v[5:6], v[156:157]
	v_mul_f64 v[156:157], v[7:8], v[156:157]
	s_waitcnt vmcnt(56)
	v_fma_f64 v[154:155], v[132:133], v[160:161], -v[154:155]
	ds_read_b128 v[1:4], v131 offset:1568
	v_add_f64 v[136:137], v[136:137], v[146:147]
	v_fma_f64 v[146:147], v[134:135], v[160:161], v[212:213]
	v_add_f64 v[129:130], v[129:130], v[144:145]
	s_clause 0x4
	buffer_load_dword v145, off, s[0:3], 0 offset:860
	buffer_load_dword v160, off, s[0:3], 0 offset:872
	;; [unrolled: 1-line block ×5, first 2 shown]
	ds_read_b128 v[132:135], v131 offset:1584
	s_waitcnt vmcnt(57) lgkmcnt(1)
	v_mul_f64 v[207:208], v[1:2], v[162:163]
	v_mul_f64 v[162:163], v[3:4], v[162:163]
	s_waitcnt vmcnt(56)
	v_fma_f64 v[156:157], v[5:6], v[158:159], -v[156:157]
	v_fma_f64 v[152:153], v[7:8], v[158:159], v[152:153]
	v_add_f64 v[136:137], v[136:137], v[154:155]
	v_add_f64 v[129:130], v[129:130], v[146:147]
	s_clause 0x2
	buffer_load_dword v161, off, s[0:3], 0 offset:876
	buffer_load_dword v147, off, s[0:3], 0 offset:852
	;; [unrolled: 1-line block ×3, first 2 shown]
	s_waitcnt vmcnt(58) lgkmcnt(0)
	v_mul_f64 v[158:159], v[134:135], v[164:165]
	ds_read_b128 v[5:8], v131 offset:1600
	s_waitcnt vmcnt(56)
	v_fma_f64 v[162:163], v[1:2], v[168:169], -v[162:163]
	v_mul_f64 v[154:155], v[132:133], v[164:165]
	v_add_f64 v[136:137], v[136:137], v[156:157]
	v_fma_f64 v[156:157], v[3:4], v[168:169], v[207:208]
	v_add_f64 v[129:130], v[129:130], v[152:153]
	s_clause 0x4
	buffer_load_dword v153, off, s[0:3], 0 offset:892
	buffer_load_dword v164, off, s[0:3], 0 offset:904
	buffer_load_dword v168, off, s[0:3], 0 offset:896
	buffer_load_dword v152, off, s[0:3], 0 offset:888
	buffer_load_dword v207, off, s[0:3], 0 offset:868
	s_waitcnt vmcnt(57) lgkmcnt(0)
	v_mul_f64 v[213:214], v[5:6], v[170:171]
	v_mul_f64 v[169:170], v[7:8], v[170:171]
	s_waitcnt vmcnt(56)
	v_fma_f64 v[158:159], v[132:133], v[166:167], -v[158:159]
	ds_read_b128 v[1:4], v131 offset:1616
	v_fma_f64 v[154:155], v[134:135], v[166:167], v[154:155]
	v_add_f64 v[136:137], v[136:137], v[162:163]
	v_add_f64 v[129:130], v[129:130], v[156:157]
	s_clause 0x2
	buffer_load_dword v165, off, s[0:3], 0 offset:908
	buffer_load_dword v157, off, s[0:3], 0 offset:884
	buffer_load_dword v156, off, s[0:3], 0 offset:880
	ds_read_b128 v[132:135], v131 offset:1632
	s_waitcnt vmcnt(58) lgkmcnt(1)
	v_mul_f64 v[166:167], v[3:4], v[172:173]
	s_waitcnt vmcnt(56)
	v_fma_f64 v[170:171], v[5:6], v[176:177], -v[169:170]
	v_mul_f64 v[162:163], v[1:2], v[172:173]
	v_add_f64 v[136:137], v[136:137], v[158:159]
	v_fma_f64 v[158:159], v[7:8], v[176:177], v[213:214]
	v_add_f64 v[129:130], v[129:130], v[154:155]
	s_clause 0x4
	buffer_load_dword v155, off, s[0:3], 0 offset:924
	buffer_load_dword v172, off, s[0:3], 0 offset:936
	buffer_load_dword v176, off, s[0:3], 0 offset:928
	buffer_load_dword v154, off, s[0:3], 0 offset:920
	buffer_load_dword v169, off, s[0:3], 0 offset:900
	s_waitcnt vmcnt(57) lgkmcnt(0)
	v_mul_f64 v[213:214], v[132:133], v[178:179]
	v_mul_f64 v[177:178], v[134:135], v[178:179]
	s_waitcnt vmcnt(56)
	v_fma_f64 v[166:167], v[1:2], v[174:175], -v[166:167]
	ds_read_b128 v[5:8], v131 offset:1648
	v_fma_f64 v[162:163], v[3:4], v[174:175], v[162:163]
	v_add_f64 v[136:137], v[136:137], v[170:171]
	v_add_f64 v[129:130], v[129:130], v[158:159]
	s_clause 0x2
	buffer_load_dword v173, off, s[0:3], 0 offset:940
	buffer_load_dword v159, off, s[0:3], 0 offset:916
	buffer_load_dword v158, off, s[0:3], 0 offset:912
	ds_read_b128 v[1:4], v131 offset:1664
	s_waitcnt vmcnt(58) lgkmcnt(1)
	v_mul_f64 v[174:175], v[7:8], v[180:181]
	;; [unrolled: 28-line block ×3, first 2 shown]
	s_waitcnt vmcnt(56)
	v_fma_f64 v[186:187], v[1:2], v[194:195], -v[185:186]
	v_mul_f64 v[178:179], v[132:133], v[190:191]
	buffer_load_dword v185, off, s[0:3], 0 offset:964
	v_add_f64 v[136:137], v[136:137], v[174:175]
	v_fma_f64 v[174:175], v[3:4], v[194:195], v[213:214]
	v_add_f64 v[129:130], v[129:130], v[170:171]
	ds_read_b128 v[1:4], v131 offset:1712
	s_waitcnt vmcnt(53) lgkmcnt(1)
	v_mul_f64 v[190:191], v[7:8], v[198:199]
	s_waitcnt vmcnt(52)
	v_fma_f64 v[182:183], v[132:133], v[192:193], -v[182:183]
	v_mul_f64 v[170:171], v[5:6], v[198:199]
	v_fma_f64 v[178:179], v[134:135], v[192:193], v[178:179]
	ds_read_b128 v[132:135], v131 offset:1728
	v_add_f64 v[136:137], v[136:137], v[186:187]
	v_add_f64 v[129:130], v[129:130], v[174:175]
	s_waitcnt vmcnt(51) lgkmcnt(1)
	v_mul_f64 v[186:187], v[3:4], v[200:201]
	v_mul_f64 v[174:175], v[1:2], v[200:201]
	s_waitcnt vmcnt(49)
	v_fma_f64 v[190:191], v[5:6], v[142:143], -v[190:191]
	v_fma_f64 v[142:143], v[7:8], v[142:143], v[170:171]
	v_add_f64 v[136:137], v[136:137], v[182:183]
	s_waitcnt vmcnt(45) lgkmcnt(0)
	v_mul_f64 v[182:183], v[132:133], v[140:141]
	v_add_f64 v[129:130], v[129:130], v[178:179]
	s_clause 0x3
	buffer_load_dword v170, off, s[0:3], 0 offset:496
	buffer_load_dword v171, off, s[0:3], 0 offset:500
	;; [unrolled: 1-line block ×4, first 2 shown]
	v_mul_f64 v[140:141], v[134:135], v[140:141]
	ds_read_b128 v[5:8], v131 offset:1744
	s_waitcnt vmcnt(48)
	v_fma_f64 v[186:187], v[1:2], v[202:203], -v[186:187]
	v_fma_f64 v[174:175], v[3:4], v[202:203], v[174:175]
	ds_read_b128 v[1:4], v131 offset:1760
	v_add_f64 v[136:137], v[136:137], v[190:191]
	v_add_f64 v[129:130], v[129:130], v[142:143]
	s_waitcnt vmcnt(47) lgkmcnt(1)
	v_mul_f64 v[190:191], v[7:8], v[204:205]
	s_waitcnt vmcnt(45)
	v_fma_f64 v[140:141], v[132:133], v[150:151], -v[140:141]
	v_mul_f64 v[142:143], v[5:6], v[204:205]
	v_fma_f64 v[150:151], v[134:135], v[150:151], v[182:183]
	ds_read_b128 v[132:135], v131 offset:1776
	v_add_f64 v[136:137], v[136:137], v[186:187]
	v_add_f64 v[129:130], v[129:130], v[174:175]
	s_waitcnt vmcnt(41) lgkmcnt(1)
	v_mul_f64 v[174:175], v[1:2], v[138:139]
	v_mul_f64 v[138:139], v[3:4], v[138:139]
	s_waitcnt vmcnt(40)
	v_fma_f64 v[182:183], v[5:6], v[209:210], -v[190:191]
	v_add_f64 v[136:137], v[136:137], v[140:141]
	v_fma_f64 v[140:141], v[7:8], v[209:210], v[142:143]
	v_add_f64 v[129:130], v[129:130], v[150:151]
	ds_read_b128 v[5:8], v131 offset:1792
	s_waitcnt vmcnt(39) lgkmcnt(1)
	v_mul_f64 v[150:151], v[134:135], v[196:197]
	v_mul_f64 v[142:143], v[132:133], v[196:197]
	s_waitcnt vmcnt(37)
	v_fma_f64 v[138:139], v[1:2], v[148:149], -v[138:139]
	v_fma_f64 v[148:149], v[3:4], v[148:149], v[174:175]
	ds_read_b128 v[1:4], v131 offset:1808
	v_add_f64 v[136:137], v[136:137], v[182:183]
	v_add_f64 v[129:130], v[129:130], v[140:141]
	s_waitcnt vmcnt(33) lgkmcnt(1)
	v_mul_f64 v[140:141], v[5:6], v[144:145]
	v_mul_f64 v[144:145], v[7:8], v[144:145]
	s_waitcnt vmcnt(32)
	v_fma_f64 v[150:151], v[132:133], v[211:212], -v[150:151]
	v_add_f64 v[136:137], v[136:137], v[138:139]
	v_fma_f64 v[138:139], v[134:135], v[211:212], v[142:143]
	v_add_f64 v[129:130], v[129:130], v[148:149]
	ds_read_b128 v[132:135], v131 offset:1824
	s_waitcnt vmcnt(31) lgkmcnt(1)
	v_mul_f64 v[148:149], v[3:4], v[160:161]
	v_mul_f64 v[142:143], v[1:2], v[160:161]
	s_waitcnt vmcnt(29)
	v_fma_f64 v[144:145], v[5:6], v[146:147], -v[144:145]
	v_fma_f64 v[140:141], v[7:8], v[146:147], v[140:141]
	ds_read_b128 v[5:8], v131 offset:1840
	v_add_f64 v[136:137], v[136:137], v[150:151]
	v_add_f64 v[129:130], v[129:130], v[138:139]
	s_waitcnt vmcnt(25) lgkmcnt(1)
	v_mul_f64 v[146:147], v[134:135], v[152:153]
	s_waitcnt vmcnt(24)
	v_fma_f64 v[148:149], v[1:2], v[206:207], -v[148:149]
	v_mul_f64 v[138:139], v[132:133], v[152:153]
	v_fma_f64 v[142:143], v[3:4], v[206:207], v[142:143]
	ds_read_b128 v[1:4], v131 offset:1856
	v_add_f64 v[136:137], v[136:137], v[144:145]
	v_add_f64 v[129:130], v[129:130], v[140:141]
	s_waitcnt vmcnt(23) lgkmcnt(1)
	v_mul_f64 v[144:145], v[7:8], v[164:165]
	v_mul_f64 v[140:141], v[5:6], v[164:165]
	s_waitcnt vmcnt(21)
	v_fma_f64 v[146:147], v[132:133], v[156:157], -v[146:147]
	v_fma_f64 v[138:139], v[134:135], v[156:157], v[138:139]
	ds_read_b128 v[132:135], v131 offset:1872
	v_add_f64 v[136:137], v[136:137], v[148:149]
	v_add_f64 v[129:130], v[129:130], v[142:143]
	s_waitcnt vmcnt(17) lgkmcnt(1)
	v_mul_f64 v[148:149], v[3:4], v[154:155]
	s_waitcnt vmcnt(16)
	v_fma_f64 v[144:145], v[5:6], v[168:169], -v[144:145]
	v_mul_f64 v[142:143], v[1:2], v[154:155]
	v_fma_f64 v[140:141], v[7:8], v[168:169], v[140:141]
	ds_read_b128 v[5:8], v131 offset:1888
	v_add_f64 v[136:137], v[136:137], v[146:147]
	v_add_f64 v[129:130], v[129:130], v[138:139]
	s_waitcnt vmcnt(15) lgkmcnt(1)
	v_mul_f64 v[146:147], v[134:135], v[172:173]
	v_mul_f64 v[138:139], v[132:133], v[172:173]
	s_waitcnt vmcnt(13)
	v_fma_f64 v[148:149], v[1:2], v[158:159], -v[148:149]
	v_fma_f64 v[142:143], v[3:4], v[158:159], v[142:143]
	ds_read_b128 v[1:4], v131 offset:1904
	v_add_f64 v[136:137], v[136:137], v[144:145]
	v_add_f64 v[129:130], v[129:130], v[140:141]
	s_waitcnt vmcnt(9) lgkmcnt(1)
	v_mul_f64 v[144:145], v[7:8], v[162:163]
	s_waitcnt vmcnt(8)
	v_fma_f64 v[132:133], v[132:133], v[176:177], -v[146:147]
	v_mul_f64 v[140:141], v[5:6], v[162:163]
	v_fma_f64 v[134:135], v[134:135], v[176:177], v[138:139]
	v_add_f64 v[136:137], v[136:137], v[148:149]
	v_add_f64 v[129:130], v[129:130], v[142:143]
	s_waitcnt vmcnt(7) lgkmcnt(0)
	v_mul_f64 v[142:143], v[3:4], v[180:181]
	v_mul_f64 v[138:139], v[1:2], v[180:181]
	s_waitcnt vmcnt(5)
	v_fma_f64 v[5:6], v[5:6], v[166:167], -v[144:145]
	v_fma_f64 v[7:8], v[7:8], v[166:167], v[140:141]
	v_add_f64 v[132:133], v[136:137], v[132:133]
	v_add_f64 v[129:130], v[129:130], v[134:135]
	s_waitcnt vmcnt(4)
	v_fma_f64 v[1:2], v[1:2], v[184:185], -v[142:143]
	v_fma_f64 v[3:4], v[3:4], v[184:185], v[138:139]
	v_add_f64 v[5:6], v[132:133], v[5:6]
	v_add_f64 v[7:8], v[129:130], v[7:8]
	;; [unrolled: 1-line block ×4, first 2 shown]
	s_waitcnt vmcnt(2)
	v_add_f64 v[1:2], v[170:171], -v[1:2]
	s_waitcnt vmcnt(0)
	v_add_f64 v[3:4], v[178:179], -v[3:4]
	buffer_store_dword v2, off, s[0:3], 0 offset:500
	buffer_store_dword v1, off, s[0:3], 0 offset:496
	;; [unrolled: 1-line block ×4, first 2 shown]
	v_cmpx_lt_u32_e32 29, v0
	s_cbranch_execz .LBB123_315
; %bb.314:
	v_mov_b32_e32 v4, s43
	s_clause 0x3
	buffer_load_dword v1, v4, s[0:3], 0 offen
	buffer_load_dword v2, v4, s[0:3], 0 offen offset:4
	buffer_load_dword v3, v4, s[0:3], 0 offen offset:8
	;; [unrolled: 1-line block ×3, first 2 shown]
	buffer_store_dword v131, off, s[0:3], 0 offset:480
	buffer_store_dword v131, off, s[0:3], 0 offset:484
	;; [unrolled: 1-line block ×4, first 2 shown]
	s_waitcnt vmcnt(0)
	ds_write_b128 v189, v[1:4]
.LBB123_315:
	s_or_b32 exec_lo, exec_lo, s4
	s_waitcnt lgkmcnt(0)
	s_waitcnt_vscnt null, 0x0
	s_barrier
	buffer_gl0_inv
	s_clause 0x37
	buffer_load_dword v129, off, s[0:3], 0 offset:504
	buffer_load_dword v130, off, s[0:3], 0 offset:508
	;; [unrolled: 1-line block ×56, first 2 shown]
	ds_read_b128 v[132:135], v131 offset:1440
	s_clause 0x2
	buffer_load_dword v191, off, s[0:3], 0 offset:732
	buffer_load_dword v195, off, s[0:3], 0 offset:708
	buffer_load_dword v194, off, s[0:3], 0 offset:704
	ds_read_b128 v[136:139], v131 offset:1456
	s_clause 0x4
	buffer_load_dword v199, off, s[0:3], 0 offset:748
	buffer_load_dword v200, off, s[0:3], 0 offset:760
	;; [unrolled: 1-line block ×5, first 2 shown]
	ds_read_b128 v[140:143], v131 offset:1472
	s_clause 0x2
	buffer_load_dword v201, off, s[0:3], 0 offset:764
	buffer_load_dword v206, off, s[0:3], 0 offset:740
	;; [unrolled: 1-line block ×3, first 2 shown]
	s_mov_b32 s4, exec_lo
	s_waitcnt vmcnt(62) lgkmcnt(2)
	v_mul_f64 v[196:197], v[134:135], v[129:130]
	v_mul_f64 v[129:130], v[132:133], v[129:130]
	s_waitcnt lgkmcnt(1)
	v_mul_f64 v[203:204], v[138:139], v[5:6]
	s_waitcnt vmcnt(59) lgkmcnt(0)
	v_mul_f64 v[207:208], v[142:143], v[3:4]
	v_fma_f64 v[132:133], v[132:133], v[7:8], -v[196:197]
	v_mul_f64 v[196:197], v[136:137], v[5:6]
	v_fma_f64 v[129:130], v[134:135], v[7:8], v[129:130]
	s_waitcnt vmcnt(57)
	v_fma_f64 v[136:137], v[136:137], v[1:2], -v[203:204]
	ds_read_b128 v[5:8], v131 offset:1488
	v_mul_f64 v[134:135], v[140:141], v[3:4]
	s_waitcnt vmcnt(51)
	v_fma_f64 v[140:141], v[140:141], v[150:151], -v[207:208]
	v_add_f64 v[132:133], v[132:133], 0
	v_fma_f64 v[138:139], v[138:139], v[1:2], v[196:197]
	v_add_f64 v[129:130], v[129:130], 0
	s_clause 0x4
	buffer_load_dword v197, off, s[0:3], 0 offset:780
	buffer_load_dword v209, off, s[0:3], 0 offset:792
	buffer_load_dword v211, off, s[0:3], 0 offset:784
	buffer_load_dword v196, off, s[0:3], 0 offset:776
	buffer_load_dword v203, off, s[0:3], 0 offset:756
	s_waitcnt lgkmcnt(0)
	v_mul_f64 v[212:213], v[5:6], v[144:145]
	v_mul_f64 v[144:145], v[7:8], v[144:145]
	ds_read_b128 v[1:4], v131 offset:1504
	v_fma_f64 v[142:143], v[142:143], v[150:151], v[134:135]
	v_add_f64 v[136:137], v[132:133], v[136:137]
	v_add_f64 v[129:130], v[129:130], v[138:139]
	s_clause 0x2
	buffer_load_dword v210, off, s[0:3], 0 offset:796
	buffer_load_dword v139, off, s[0:3], 0 offset:772
	;; [unrolled: 1-line block ×3, first 2 shown]
	s_waitcnt vmcnt(58) lgkmcnt(0)
	v_mul_f64 v[150:151], v[1:2], v[146:147]
	v_mul_f64 v[146:147], v[3:4], v[146:147]
	s_waitcnt vmcnt(56)
	v_fma_f64 v[144:145], v[5:6], v[152:153], -v[144:145]
	ds_read_b128 v[132:135], v131 offset:1520
	v_add_f64 v[136:137], v[136:137], v[140:141]
	v_fma_f64 v[140:141], v[7:8], v[152:153], v[212:213]
	v_add_f64 v[129:130], v[129:130], v[142:143]
	s_clause 0x4
	buffer_load_dword v143, off, s[0:3], 0 offset:812
	buffer_load_dword v152, off, s[0:3], 0 offset:824
	;; [unrolled: 1-line block ×5, first 2 shown]
	ds_read_b128 v[5:8], v131 offset:1536
	s_waitcnt vmcnt(57) lgkmcnt(1)
	v_mul_f64 v[213:214], v[132:133], v[154:155]
	v_mul_f64 v[154:155], v[134:135], v[154:155]
	s_waitcnt vmcnt(56)
	v_fma_f64 v[146:147], v[1:2], v[148:149], -v[146:147]
	v_add_f64 v[136:137], v[136:137], v[144:145]
	v_fma_f64 v[144:145], v[3:4], v[148:149], v[150:151]
	v_add_f64 v[129:130], v[129:130], v[140:141]
	s_clause 0x2
	buffer_load_dword v153, off, s[0:3], 0 offset:828
	buffer_load_dword v141, off, s[0:3], 0 offset:804
	;; [unrolled: 1-line block ×3, first 2 shown]
	s_waitcnt vmcnt(58) lgkmcnt(0)
	v_mul_f64 v[150:151], v[7:8], v[156:157]
	ds_read_b128 v[1:4], v131 offset:1552
	s_waitcnt vmcnt(56)
	v_fma_f64 v[154:155], v[132:133], v[160:161], -v[154:155]
	v_mul_f64 v[148:149], v[5:6], v[156:157]
	v_add_f64 v[136:137], v[136:137], v[146:147]
	v_fma_f64 v[146:147], v[134:135], v[160:161], v[213:214]
	v_add_f64 v[129:130], v[129:130], v[144:145]
	s_clause 0x4
	buffer_load_dword v145, off, s[0:3], 0 offset:844
	buffer_load_dword v156, off, s[0:3], 0 offset:856
	buffer_load_dword v160, off, s[0:3], 0 offset:848
	buffer_load_dword v144, off, s[0:3], 0 offset:840
	buffer_load_dword v208, off, s[0:3], 0 offset:820
	s_waitcnt vmcnt(57) lgkmcnt(0)
	v_mul_f64 v[213:214], v[1:2], v[162:163]
	v_mul_f64 v[161:162], v[3:4], v[162:163]
	s_waitcnt vmcnt(56)
	v_fma_f64 v[150:151], v[5:6], v[158:159], -v[150:151]
	ds_read_b128 v[132:135], v131 offset:1568
	v_fma_f64 v[148:149], v[7:8], v[158:159], v[148:149]
	v_add_f64 v[136:137], v[136:137], v[154:155]
	v_add_f64 v[129:130], v[129:130], v[146:147]
	s_clause 0x2
	buffer_load_dword v157, off, s[0:3], 0 offset:860
	buffer_load_dword v147, off, s[0:3], 0 offset:836
	buffer_load_dword v146, off, s[0:3], 0 offset:832
	ds_read_b128 v[5:8], v131 offset:1584
	s_waitcnt vmcnt(58) lgkmcnt(1)
	v_mul_f64 v[158:159], v[134:135], v[164:165]
	s_waitcnt vmcnt(56)
	v_fma_f64 v[162:163], v[1:2], v[168:169], -v[161:162]
	v_mul_f64 v[154:155], v[132:133], v[164:165]
	v_add_f64 v[136:137], v[136:137], v[150:151]
	v_fma_f64 v[150:151], v[3:4], v[168:169], v[213:214]
	v_add_f64 v[129:130], v[129:130], v[148:149]
	s_clause 0x4
	buffer_load_dword v149, off, s[0:3], 0 offset:876
	buffer_load_dword v164, off, s[0:3], 0 offset:888
	buffer_load_dword v168, off, s[0:3], 0 offset:880
	buffer_load_dword v148, off, s[0:3], 0 offset:872
	buffer_load_dword v161, off, s[0:3], 0 offset:852
	s_waitcnt vmcnt(57) lgkmcnt(0)
	v_mul_f64 v[213:214], v[5:6], v[170:171]
	v_mul_f64 v[169:170], v[7:8], v[170:171]
	s_waitcnt vmcnt(56)
	v_fma_f64 v[158:159], v[132:133], v[166:167], -v[158:159]
	ds_read_b128 v[1:4], v131 offset:1600
	v_fma_f64 v[154:155], v[134:135], v[166:167], v[154:155]
	v_add_f64 v[136:137], v[136:137], v[162:163]
	v_add_f64 v[129:130], v[129:130], v[150:151]
	s_clause 0x2
	buffer_load_dword v165, off, s[0:3], 0 offset:892
	buffer_load_dword v151, off, s[0:3], 0 offset:868
	buffer_load_dword v150, off, s[0:3], 0 offset:864
	ds_read_b128 v[132:135], v131 offset:1616
	s_waitcnt vmcnt(58) lgkmcnt(1)
	v_mul_f64 v[166:167], v[3:4], v[172:173]
	;; [unrolled: 28-line block ×4, first 2 shown]
	s_waitcnt vmcnt(56)
	v_fma_f64 v[186:187], v[1:2], v[194:195], -v[185:186]
	v_mul_f64 v[178:179], v[132:133], v[190:191]
	v_add_f64 v[136:137], v[136:137], v[174:175]
	v_fma_f64 v[174:175], v[3:4], v[194:195], v[213:214]
	v_add_f64 v[129:130], v[129:130], v[170:171]
	s_clause 0x2
	buffer_load_dword v171, off, s[0:3], 0 offset:972
	buffer_load_dword v170, off, s[0:3], 0 offset:968
	;; [unrolled: 1-line block ×3, first 2 shown]
	s_waitcnt vmcnt(55) lgkmcnt(0)
	v_mul_f64 v[194:195], v[7:8], v[198:199]
	s_waitcnt vmcnt(54)
	v_fma_f64 v[182:183], v[132:133], v[192:193], -v[182:183]
	ds_read_b128 v[1:4], v131 offset:1696
	v_mul_f64 v[190:191], v[5:6], v[198:199]
	v_fma_f64 v[178:179], v[134:135], v[192:193], v[178:179]
	v_add_f64 v[136:137], v[136:137], v[186:187]
	v_add_f64 v[129:130], v[129:130], v[174:175]
	s_clause 0x1
	buffer_load_dword v175, off, s[0:3], 0 offset:964
	buffer_load_dword v174, off, s[0:3], 0 offset:960
	s_waitcnt vmcnt(55) lgkmcnt(0)
	v_mul_f64 v[192:193], v[3:4], v[200:201]
	s_waitcnt vmcnt(53)
	v_fma_f64 v[194:195], v[5:6], v[205:206], -v[194:195]
	ds_read_b128 v[132:135], v131 offset:1712
	v_mul_f64 v[186:187], v[1:2], v[200:201]
	v_add_f64 v[136:137], v[136:137], v[182:183]
	v_fma_f64 v[182:183], v[7:8], v[205:206], v[190:191]
	v_add_f64 v[129:130], v[129:130], v[178:179]
	ds_read_b128 v[5:8], v131 offset:1728
	s_waitcnt vmcnt(49) lgkmcnt(1)
	v_mul_f64 v[190:191], v[134:135], v[196:197]
	s_waitcnt vmcnt(48)
	v_fma_f64 v[192:193], v[1:2], v[202:203], -v[192:193]
	v_mul_f64 v[178:179], v[132:133], v[196:197]
	v_fma_f64 v[186:187], v[3:4], v[202:203], v[186:187]
	v_add_f64 v[136:137], v[136:137], v[194:195]
	v_add_f64 v[129:130], v[129:130], v[182:183]
	s_clause 0x3
	buffer_load_dword v182, off, s[0:3], 0 offset:480
	buffer_load_dword v183, off, s[0:3], 0 offset:484
	;; [unrolled: 1-line block ×4, first 2 shown]
	ds_read_b128 v[1:4], v131 offset:1744
	s_waitcnt vmcnt(51) lgkmcnt(1)
	v_mul_f64 v[198:199], v[7:8], v[209:210]
	v_mul_f64 v[196:197], v[5:6], v[209:210]
	s_waitcnt vmcnt(49)
	v_fma_f64 v[190:191], v[132:133], v[138:139], -v[190:191]
	v_fma_f64 v[138:139], v[134:135], v[138:139], v[178:179]
	ds_read_b128 v[132:135], v131 offset:1760
	v_add_f64 v[136:137], v[136:137], v[192:193]
	v_add_f64 v[129:130], v[129:130], v[186:187]
	s_waitcnt vmcnt(45) lgkmcnt(1)
	v_mul_f64 v[178:179], v[1:2], v[142:143]
	v_mul_f64 v[142:143], v[3:4], v[142:143]
	s_waitcnt vmcnt(44)
	v_fma_f64 v[186:187], v[5:6], v[211:212], -v[198:199]
	v_add_f64 v[136:137], v[136:137], v[190:191]
	v_fma_f64 v[190:191], v[7:8], v[211:212], v[196:197]
	v_add_f64 v[129:130], v[129:130], v[138:139]
	ds_read_b128 v[5:8], v131 offset:1776
	s_waitcnt vmcnt(43) lgkmcnt(1)
	v_mul_f64 v[138:139], v[132:133], v[152:153]
	v_mul_f64 v[152:153], v[134:135], v[152:153]
	s_waitcnt vmcnt(41)
	v_fma_f64 v[142:143], v[1:2], v[140:141], -v[142:143]
	v_fma_f64 v[140:141], v[3:4], v[140:141], v[178:179]
	ds_read_b128 v[1:4], v131 offset:1792
	v_add_f64 v[136:137], v[136:137], v[186:187]
	v_add_f64 v[129:130], v[129:130], v[190:191]
	s_waitcnt vmcnt(37) lgkmcnt(1)
	v_mul_f64 v[178:179], v[5:6], v[144:145]
	v_mul_f64 v[144:145], v[7:8], v[144:145]
	s_waitcnt vmcnt(36)
	v_fma_f64 v[152:153], v[132:133], v[207:208], -v[152:153]
	v_fma_f64 v[138:139], v[134:135], v[207:208], v[138:139]
	ds_read_b128 v[132:135], v131 offset:1808
	v_add_f64 v[136:137], v[136:137], v[142:143]
	v_add_f64 v[129:130], v[129:130], v[140:141]
	;; [unrolled: 9-line block ×5, first 2 shown]
	s_waitcnt vmcnt(21) lgkmcnt(1)
	v_mul_f64 v[142:143], v[3:4], v[154:155]
	s_waitcnt vmcnt(20)
	v_fma_f64 v[146:147], v[5:6], v[168:169], -v[146:147]
	v_mul_f64 v[140:141], v[1:2], v[154:155]
	v_fma_f64 v[144:145], v[7:8], v[168:169], v[144:145]
	ds_read_b128 v[5:8], v131 offset:1872
	v_add_f64 v[136:137], v[136:137], v[148:149]
	v_add_f64 v[129:130], v[129:130], v[138:139]
	s_waitcnt vmcnt(19) lgkmcnt(1)
	v_mul_f64 v[148:149], v[134:135], v[172:173]
	v_mul_f64 v[138:139], v[132:133], v[172:173]
	s_waitcnt vmcnt(17)
	v_fma_f64 v[142:143], v[1:2], v[158:159], -v[142:143]
	v_fma_f64 v[140:141], v[3:4], v[158:159], v[140:141]
	ds_read_b128 v[1:4], v131 offset:1888
	v_add_f64 v[136:137], v[136:137], v[146:147]
	v_add_f64 v[129:130], v[129:130], v[144:145]
	s_waitcnt vmcnt(13) lgkmcnt(1)
	v_mul_f64 v[146:147], v[7:8], v[162:163]
	s_waitcnt vmcnt(12)
	v_fma_f64 v[148:149], v[132:133], v[176:177], -v[148:149]
	v_mul_f64 v[144:145], v[5:6], v[162:163]
	v_fma_f64 v[133:134], v[134:135], v[176:177], v[138:139]
	v_add_f64 v[136:137], v[136:137], v[142:143]
	v_add_f64 v[138:139], v[129:130], v[140:141]
	ds_read_b128 v[129:132], v131 offset:1904
	s_waitcnt vmcnt(11) lgkmcnt(1)
	v_mul_f64 v[142:143], v[3:4], v[180:181]
	v_mul_f64 v[140:141], v[1:2], v[180:181]
	s_waitcnt vmcnt(9)
	v_fma_f64 v[5:6], v[5:6], v[166:167], -v[146:147]
	v_fma_f64 v[7:8], v[7:8], v[166:167], v[144:145]
	v_add_f64 v[135:136], v[136:137], v[148:149]
	v_add_f64 v[133:134], v[138:139], v[133:134]
	s_waitcnt vmcnt(7) lgkmcnt(0)
	v_mul_f64 v[144:145], v[131:132], v[170:171]
	s_waitcnt vmcnt(6)
	v_fma_f64 v[1:2], v[1:2], v[184:185], -v[142:143]
	v_mul_f64 v[137:138], v[129:130], v[170:171]
	v_fma_f64 v[3:4], v[3:4], v[184:185], v[140:141]
	v_add_f64 v[5:6], v[135:136], v[5:6]
	v_add_f64 v[7:8], v[133:134], v[7:8]
	s_waitcnt vmcnt(4)
	v_fma_f64 v[129:130], v[129:130], v[174:175], -v[144:145]
	v_add_f64 v[1:2], v[5:6], v[1:2]
	v_fma_f64 v[5:6], v[131:132], v[174:175], v[137:138]
	v_add_f64 v[3:4], v[7:8], v[3:4]
	v_add_f64 v[1:2], v[1:2], v[129:130]
	;; [unrolled: 1-line block ×3, first 2 shown]
	s_waitcnt vmcnt(2)
	v_add_f64 v[1:2], v[182:183], -v[1:2]
	s_waitcnt vmcnt(0)
	v_add_f64 v[3:4], v[194:195], -v[3:4]
	buffer_store_dword v2, off, s[0:3], 0 offset:484
	buffer_store_dword v1, off, s[0:3], 0 offset:480
	;; [unrolled: 1-line block ×4, first 2 shown]
	v_cmpx_lt_u32_e32 28, v0
	s_cbranch_execz .LBB123_317
; %bb.316:
	v_mov_b32_e32 v4, s44
	v_mov_b32_e32 v5, 0
	s_clause 0x3
	buffer_load_dword v1, v4, s[0:3], 0 offen
	buffer_load_dword v2, v4, s[0:3], 0 offen offset:4
	buffer_load_dword v3, v4, s[0:3], 0 offen offset:8
	;; [unrolled: 1-line block ×3, first 2 shown]
	buffer_store_dword v5, off, s[0:3], 0 offset:464
	buffer_store_dword v5, off, s[0:3], 0 offset:468
	;; [unrolled: 1-line block ×4, first 2 shown]
	s_waitcnt vmcnt(0)
	ds_write_b128 v189, v[1:4]
.LBB123_317:
	s_or_b32 exec_lo, exec_lo, s4
	s_waitcnt lgkmcnt(0)
	s_waitcnt_vscnt null, 0x0
	s_barrier
	buffer_gl0_inv
	s_clause 0x37
	buffer_load_dword v129, off, s[0:3], 0 offset:488
	buffer_load_dword v130, off, s[0:3], 0 offset:492
	;; [unrolled: 1-line block ×56, first 2 shown]
	v_mov_b32_e32 v149, 0
	s_mov_b32 s4, exec_lo
	ds_read_b128 v[137:140], v149 offset:1424
	s_clause 0x2
	buffer_load_dword v191, off, s[0:3], 0 offset:716
	buffer_load_dword v195, off, s[0:3], 0 offset:692
	;; [unrolled: 1-line block ×3, first 2 shown]
	ds_read_b128 v[141:144], v149 offset:1440
	s_clause 0x4
	buffer_load_dword v199, off, s[0:3], 0 offset:732
	buffer_load_dword v200, off, s[0:3], 0 offset:744
	buffer_load_dword v202, off, s[0:3], 0 offset:736
	buffer_load_dword v198, off, s[0:3], 0 offset:728
	buffer_load_dword v193, off, s[0:3], 0 offset:708
	ds_read_b128 v[145:148], v149 offset:1456
	s_clause 0x2
	buffer_load_dword v201, off, s[0:3], 0 offset:748
	buffer_load_dword v206, off, s[0:3], 0 offset:724
	buffer_load_dword v205, off, s[0:3], 0 offset:720
	s_waitcnt vmcnt(62) lgkmcnt(2)
	v_mul_f64 v[196:197], v[139:140], v[129:130]
	v_mul_f64 v[129:130], v[137:138], v[129:130]
	s_waitcnt lgkmcnt(1)
	v_mul_f64 v[203:204], v[143:144], v[5:6]
	s_waitcnt vmcnt(59) lgkmcnt(0)
	v_mul_f64 v[207:208], v[147:148], v[3:4]
	v_fma_f64 v[137:138], v[137:138], v[7:8], -v[196:197]
	v_mul_f64 v[196:197], v[141:142], v[5:6]
	v_fma_f64 v[129:130], v[139:140], v[7:8], v[129:130]
	s_waitcnt vmcnt(57)
	v_fma_f64 v[141:142], v[141:142], v[1:2], -v[203:204]
	ds_read_b128 v[5:8], v149 offset:1472
	v_mul_f64 v[139:140], v[145:146], v[3:4]
	s_waitcnt vmcnt(51)
	v_fma_f64 v[145:146], v[145:146], v[152:153], -v[207:208]
	v_add_f64 v[137:138], v[137:138], 0
	v_fma_f64 v[143:144], v[143:144], v[1:2], v[196:197]
	v_add_f64 v[129:130], v[129:130], 0
	s_clause 0x4
	buffer_load_dword v197, off, s[0:3], 0 offset:764
	buffer_load_dword v209, off, s[0:3], 0 offset:776
	;; [unrolled: 1-line block ×5, first 2 shown]
	s_waitcnt lgkmcnt(0)
	v_mul_f64 v[212:213], v[5:6], v[133:134]
	v_mul_f64 v[133:134], v[7:8], v[133:134]
	ds_read_b128 v[1:4], v149 offset:1488
	v_fma_f64 v[147:148], v[147:148], v[152:153], v[139:140]
	v_add_f64 v[141:142], v[137:138], v[141:142]
	v_add_f64 v[129:130], v[129:130], v[143:144]
	s_clause 0x2
	buffer_load_dword v210, off, s[0:3], 0 offset:780
	buffer_load_dword v144, off, s[0:3], 0 offset:756
	;; [unrolled: 1-line block ×3, first 2 shown]
	s_waitcnt vmcnt(58) lgkmcnt(0)
	v_mul_f64 v[152:153], v[1:2], v[150:151]
	v_mul_f64 v[150:151], v[3:4], v[150:151]
	s_waitcnt vmcnt(56)
	v_fma_f64 v[133:134], v[5:6], v[154:155], -v[133:134]
	ds_read_b128 v[137:140], v149 offset:1504
	v_add_f64 v[141:142], v[141:142], v[145:146]
	v_fma_f64 v[145:146], v[7:8], v[154:155], v[212:213]
	v_add_f64 v[129:130], v[129:130], v[147:148]
	s_clause 0x4
	buffer_load_dword v148, off, s[0:3], 0 offset:796
	buffer_load_dword v154, off, s[0:3], 0 offset:808
	;; [unrolled: 1-line block ×5, first 2 shown]
	ds_read_b128 v[5:8], v149 offset:1520
	s_waitcnt vmcnt(57) lgkmcnt(1)
	v_mul_f64 v[213:214], v[137:138], v[156:157]
	v_mul_f64 v[156:157], v[139:140], v[156:157]
	s_waitcnt vmcnt(56)
	v_fma_f64 v[150:151], v[1:2], v[131:132], -v[150:151]
	v_fma_f64 v[131:132], v[3:4], v[131:132], v[152:153]
	v_add_f64 v[133:134], v[141:142], v[133:134]
	s_clause 0x2
	buffer_load_dword v155, off, s[0:3], 0 offset:812
	buffer_load_dword v142, off, s[0:3], 0 offset:788
	;; [unrolled: 1-line block ×3, first 2 shown]
	v_add_f64 v[129:130], v[129:130], v[145:146]
	s_waitcnt vmcnt(58) lgkmcnt(0)
	v_mul_f64 v[152:153], v[7:8], v[158:159]
	ds_read_b128 v[1:4], v149 offset:1536
	v_mul_f64 v[145:146], v[5:6], v[158:159]
	s_waitcnt vmcnt(56)
	v_fma_f64 v[137:138], v[137:138], v[160:161], -v[156:157]
	v_fma_f64 v[139:140], v[139:140], v[160:161], v[213:214]
	s_clause 0x4
	buffer_load_dword v157, off, s[0:3], 0 offset:828
	buffer_load_dword v158, off, s[0:3], 0 offset:840
	;; [unrolled: 1-line block ×5, first 2 shown]
	v_add_f64 v[133:134], v[133:134], v[150:151]
	v_add_f64 v[150:151], v[129:130], v[131:132]
	s_waitcnt vmcnt(57) lgkmcnt(0)
	v_mul_f64 v[213:214], v[1:2], v[162:163]
	v_mul_f64 v[161:162], v[3:4], v[162:163]
	s_waitcnt vmcnt(56)
	v_fma_f64 v[152:153], v[5:6], v[135:136], -v[152:153]
	ds_read_b128 v[129:132], v149 offset:1552
	v_fma_f64 v[135:136], v[7:8], v[135:136], v[145:146]
	v_add_f64 v[133:134], v[133:134], v[137:138]
	v_add_f64 v[137:138], v[150:151], v[139:140]
	s_clause 0x2
	buffer_load_dword v159, off, s[0:3], 0 offset:844
	buffer_load_dword v140, off, s[0:3], 0 offset:820
	buffer_load_dword v139, off, s[0:3], 0 offset:816
	s_waitcnt vmcnt(58) lgkmcnt(0)
	v_mul_f64 v[150:151], v[131:132], v[164:165]
	s_waitcnt vmcnt(56)
	v_fma_f64 v[162:163], v[1:2], v[168:169], -v[161:162]
	ds_read_b128 v[5:8], v149 offset:1568
	v_mul_f64 v[145:146], v[129:130], v[164:165]
	v_add_f64 v[133:134], v[133:134], v[152:153]
	v_fma_f64 v[152:153], v[3:4], v[168:169], v[213:214]
	v_add_f64 v[135:136], v[137:138], v[135:136]
	s_clause 0x4
	buffer_load_dword v138, off, s[0:3], 0 offset:860
	buffer_load_dword v164, off, s[0:3], 0 offset:872
	buffer_load_dword v168, off, s[0:3], 0 offset:864
	buffer_load_dword v137, off, s[0:3], 0 offset:856
	buffer_load_dword v161, off, s[0:3], 0 offset:836
	s_waitcnt vmcnt(57) lgkmcnt(0)
	v_mul_f64 v[213:214], v[5:6], v[170:171]
	v_mul_f64 v[169:170], v[7:8], v[170:171]
	s_waitcnt vmcnt(56)
	v_fma_f64 v[150:151], v[129:130], v[166:167], -v[150:151]
	ds_read_b128 v[1:4], v149 offset:1584
	v_fma_f64 v[145:146], v[131:132], v[166:167], v[145:146]
	v_add_f64 v[133:134], v[133:134], v[162:163]
	v_add_f64 v[135:136], v[135:136], v[152:153]
	s_clause 0x2
	buffer_load_dword v165, off, s[0:3], 0 offset:876
	buffer_load_dword v153, off, s[0:3], 0 offset:852
	buffer_load_dword v152, off, s[0:3], 0 offset:848
	ds_read_b128 v[129:132], v149 offset:1600
	s_waitcnt vmcnt(58) lgkmcnt(1)
	v_mul_f64 v[166:167], v[3:4], v[172:173]
	s_waitcnt vmcnt(56)
	v_fma_f64 v[170:171], v[5:6], v[176:177], -v[169:170]
	v_mul_f64 v[162:163], v[1:2], v[172:173]
	v_add_f64 v[133:134], v[133:134], v[150:151]
	v_fma_f64 v[150:151], v[7:8], v[176:177], v[213:214]
	v_add_f64 v[135:136], v[135:136], v[145:146]
	s_clause 0x4
	buffer_load_dword v146, off, s[0:3], 0 offset:892
	buffer_load_dword v172, off, s[0:3], 0 offset:904
	buffer_load_dword v176, off, s[0:3], 0 offset:896
	buffer_load_dword v145, off, s[0:3], 0 offset:888
	buffer_load_dword v169, off, s[0:3], 0 offset:868
	s_waitcnt vmcnt(57) lgkmcnt(0)
	v_mul_f64 v[213:214], v[129:130], v[178:179]
	v_mul_f64 v[177:178], v[131:132], v[178:179]
	s_waitcnt vmcnt(56)
	v_fma_f64 v[166:167], v[1:2], v[174:175], -v[166:167]
	ds_read_b128 v[5:8], v149 offset:1616
	v_fma_f64 v[162:163], v[3:4], v[174:175], v[162:163]
	v_add_f64 v[133:134], v[133:134], v[170:171]
	v_add_f64 v[135:136], v[135:136], v[150:151]
	s_clause 0x2
	buffer_load_dword v173, off, s[0:3], 0 offset:908
	buffer_load_dword v151, off, s[0:3], 0 offset:884
	buffer_load_dword v150, off, s[0:3], 0 offset:880
	ds_read_b128 v[1:4], v149 offset:1632
	s_waitcnt vmcnt(58) lgkmcnt(1)
	v_mul_f64 v[174:175], v[7:8], v[180:181]
	s_waitcnt vmcnt(56)
	v_fma_f64 v[178:179], v[129:130], v[184:185], -v[177:178]
	;; [unrolled: 28-line block ×4, first 2 shown]
	v_mul_f64 v[186:187], v[1:2], v[200:201]
	buffer_load_dword v195, off, s[0:3], 0 offset:964
	v_add_f64 v[133:134], v[133:134], v[182:183]
	v_fma_f64 v[182:183], v[7:8], v[205:206], v[213:214]
	v_add_f64 v[135:136], v[135:136], v[178:179]
	ds_read_b128 v[5:8], v149 offset:1712
	s_waitcnt vmcnt(53) lgkmcnt(1)
	v_mul_f64 v[178:179], v[129:130], v[196:197]
	v_mul_f64 v[196:197], v[131:132], v[196:197]
	s_waitcnt vmcnt(52)
	v_fma_f64 v[192:193], v[1:2], v[202:203], -v[192:193]
	v_fma_f64 v[186:187], v[3:4], v[202:203], v[186:187]
	ds_read_b128 v[1:4], v149 offset:1728
	v_add_f64 v[133:134], v[133:134], v[198:199]
	v_add_f64 v[135:136], v[135:136], v[182:183]
	s_waitcnt vmcnt(51) lgkmcnt(1)
	v_mul_f64 v[198:199], v[7:8], v[209:210]
	v_mul_f64 v[182:183], v[5:6], v[209:210]
	s_waitcnt vmcnt(49)
	v_fma_f64 v[196:197], v[129:130], v[143:144], -v[196:197]
	v_fma_f64 v[143:144], v[131:132], v[143:144], v[178:179]
	v_add_f64 v[133:134], v[133:134], v[192:193]
	v_add_f64 v[135:136], v[135:136], v[186:187]
	s_clause 0x3
	buffer_load_dword v178, off, s[0:3], 0 offset:464
	buffer_load_dword v179, off, s[0:3], 0 offset:468
	;; [unrolled: 1-line block ×4, first 2 shown]
	ds_read_b128 v[129:132], v149 offset:1744
	s_waitcnt vmcnt(49) lgkmcnt(1)
	v_mul_f64 v[192:193], v[1:2], v[147:148]
	v_mul_f64 v[147:148], v[3:4], v[147:148]
	s_waitcnt vmcnt(48)
	v_fma_f64 v[198:199], v[5:6], v[211:212], -v[198:199]
	v_fma_f64 v[182:183], v[7:8], v[211:212], v[182:183]
	ds_read_b128 v[5:8], v149 offset:1760
	v_add_f64 v[133:134], v[133:134], v[196:197]
	v_add_f64 v[135:136], v[135:136], v[143:144]
	s_waitcnt vmcnt(47) lgkmcnt(1)
	v_mul_f64 v[143:144], v[129:130], v[154:155]
	v_mul_f64 v[154:155], v[131:132], v[154:155]
	s_waitcnt vmcnt(45)
	v_fma_f64 v[147:148], v[1:2], v[141:142], -v[147:148]
	v_fma_f64 v[141:142], v[3:4], v[141:142], v[192:193]
	ds_read_b128 v[1:4], v149 offset:1776
	v_add_f64 v[133:134], v[133:134], v[198:199]
	v_add_f64 v[135:136], v[135:136], v[182:183]
	s_waitcnt vmcnt(41) lgkmcnt(1)
	v_mul_f64 v[182:183], v[5:6], v[156:157]
	v_mul_f64 v[156:157], v[7:8], v[156:157]
	s_waitcnt vmcnt(40)
	v_fma_f64 v[143:144], v[131:132], v[207:208], v[143:144]
	v_fma_f64 v[154:155], v[129:130], v[207:208], -v[154:155]
	ds_read_b128 v[129:132], v149 offset:1792
	v_add_f64 v[133:134], v[133:134], v[147:148]
	v_add_f64 v[135:136], v[135:136], v[141:142]
	s_waitcnt vmcnt(39) lgkmcnt(1)
	v_mul_f64 v[147:148], v[3:4], v[158:159]
	v_mul_f64 v[141:142], v[1:2], v[158:159]
	s_waitcnt vmcnt(37)
	v_fma_f64 v[156:157], v[5:6], v[139:140], -v[156:157]
	v_fma_f64 v[139:140], v[7:8], v[139:140], v[182:183]
	ds_read_b128 v[5:8], v149 offset:1808
	v_add_f64 v[133:134], v[133:134], v[154:155]
	v_add_f64 v[135:136], v[135:136], v[143:144]
	s_waitcnt vmcnt(33) lgkmcnt(1)
	v_mul_f64 v[143:144], v[129:130], v[137:138]
	v_mul_f64 v[137:138], v[131:132], v[137:138]
	s_waitcnt vmcnt(32)
	v_fma_f64 v[147:148], v[1:2], v[160:161], -v[147:148]
	v_fma_f64 v[141:142], v[3:4], v[160:161], v[141:142]
	;; [unrolled: 9-line block ×3, first 2 shown]
	ds_read_b128 v[129:132], v149 offset:1840
	v_add_f64 v[133:134], v[133:134], v[147:148]
	v_add_f64 v[135:136], v[135:136], v[141:142]
	s_waitcnt vmcnt(25) lgkmcnt(1)
	v_mul_f64 v[141:142], v[1:2], v[145:146]
	v_mul_f64 v[145:146], v[3:4], v[145:146]
	s_waitcnt vmcnt(24)
	v_fma_f64 v[147:148], v[5:6], v[168:169], -v[154:155]
	v_add_f64 v[133:134], v[133:134], v[137:138]
	v_fma_f64 v[137:138], v[7:8], v[168:169], v[139:140]
	v_add_f64 v[135:136], v[135:136], v[143:144]
	ds_read_b128 v[5:8], v149 offset:1856
	s_waitcnt vmcnt(23) lgkmcnt(1)
	v_mul_f64 v[143:144], v[131:132], v[172:173]
	v_mul_f64 v[139:140], v[129:130], v[172:173]
	s_waitcnt vmcnt(21)
	v_fma_f64 v[145:146], v[1:2], v[150:151], -v[145:146]
	v_fma_f64 v[141:142], v[3:4], v[150:151], v[141:142]
	ds_read_b128 v[1:4], v149 offset:1872
	v_add_f64 v[133:134], v[133:134], v[147:148]
	v_add_f64 v[135:136], v[135:136], v[137:138]
	s_waitcnt vmcnt(17) lgkmcnt(1)
	v_mul_f64 v[147:148], v[7:8], v[162:163]
	s_waitcnt vmcnt(16)
	v_fma_f64 v[143:144], v[129:130], v[176:177], -v[143:144]
	v_mul_f64 v[137:138], v[5:6], v[162:163]
	v_fma_f64 v[139:140], v[131:132], v[176:177], v[139:140]
	ds_read_b128 v[129:132], v149 offset:1888
	v_add_f64 v[133:134], v[133:134], v[145:146]
	v_add_f64 v[135:136], v[135:136], v[141:142]
	s_waitcnt vmcnt(15) lgkmcnt(1)
	v_mul_f64 v[145:146], v[3:4], v[180:181]
	v_mul_f64 v[141:142], v[1:2], v[180:181]
	s_waitcnt vmcnt(13)
	v_fma_f64 v[147:148], v[5:6], v[166:167], -v[147:148]
	v_fma_f64 v[137:138], v[7:8], v[166:167], v[137:138]
	ds_read_b128 v[5:8], v149 offset:1904
	v_add_f64 v[133:134], v[133:134], v[143:144]
	v_add_f64 v[135:136], v[135:136], v[139:140]
	s_waitcnt vmcnt(9) lgkmcnt(1)
	v_mul_f64 v[143:144], v[131:132], v[170:171]
	s_waitcnt vmcnt(8)
	v_fma_f64 v[1:2], v[1:2], v[184:185], -v[145:146]
	v_mul_f64 v[139:140], v[129:130], v[170:171]
	v_fma_f64 v[3:4], v[3:4], v[184:185], v[141:142]
	v_add_f64 v[133:134], v[133:134], v[147:148]
	v_add_f64 v[135:136], v[135:136], v[137:138]
	s_waitcnt vmcnt(7) lgkmcnt(0)
	v_mul_f64 v[141:142], v[7:8], v[190:191]
	v_mul_f64 v[137:138], v[5:6], v[190:191]
	s_waitcnt vmcnt(5)
	v_fma_f64 v[129:130], v[129:130], v[174:175], -v[143:144]
	v_fma_f64 v[131:132], v[131:132], v[174:175], v[139:140]
	v_add_f64 v[1:2], v[133:134], v[1:2]
	v_add_f64 v[3:4], v[135:136], v[3:4]
	s_waitcnt vmcnt(4)
	v_fma_f64 v[5:6], v[5:6], v[194:195], -v[141:142]
	v_fma_f64 v[7:8], v[7:8], v[194:195], v[137:138]
	v_add_f64 v[1:2], v[1:2], v[129:130]
	v_add_f64 v[3:4], v[3:4], v[131:132]
	;; [unrolled: 1-line block ×4, first 2 shown]
	s_waitcnt vmcnt(2)
	v_add_f64 v[1:2], v[178:179], -v[1:2]
	s_waitcnt vmcnt(0)
	v_add_f64 v[3:4], v[186:187], -v[3:4]
	buffer_store_dword v2, off, s[0:3], 0 offset:468
	buffer_store_dword v1, off, s[0:3], 0 offset:464
	;; [unrolled: 1-line block ×4, first 2 shown]
	v_cmpx_lt_u32_e32 27, v0
	s_cbranch_execz .LBB123_319
; %bb.318:
	v_mov_b32_e32 v4, s45
	s_clause 0x3
	buffer_load_dword v1, v4, s[0:3], 0 offen
	buffer_load_dword v2, v4, s[0:3], 0 offen offset:4
	buffer_load_dword v3, v4, s[0:3], 0 offen offset:8
	buffer_load_dword v4, v4, s[0:3], 0 offen offset:12
	buffer_store_dword v149, off, s[0:3], 0 offset:448
	buffer_store_dword v149, off, s[0:3], 0 offset:452
	;; [unrolled: 1-line block ×4, first 2 shown]
	s_waitcnt vmcnt(0)
	ds_write_b128 v189, v[1:4]
.LBB123_319:
	s_or_b32 exec_lo, exec_lo, s4
	s_waitcnt lgkmcnt(0)
	s_waitcnt_vscnt null, 0x0
	s_barrier
	buffer_gl0_inv
	s_clause 0x37
	buffer_load_dword v129, off, s[0:3], 0 offset:472
	buffer_load_dword v130, off, s[0:3], 0 offset:476
	;; [unrolled: 1-line block ×56, first 2 shown]
	ds_read_b128 v[150:153], v149 offset:1408
	s_clause 0x2
	buffer_load_dword v191, off, s[0:3], 0 offset:700
	buffer_load_dword v195, off, s[0:3], 0 offset:676
	;; [unrolled: 1-line block ×3, first 2 shown]
	ds_read_b128 v[154:157], v149 offset:1424
	s_clause 0x4
	buffer_load_dword v199, off, s[0:3], 0 offset:716
	buffer_load_dword v200, off, s[0:3], 0 offset:728
	;; [unrolled: 1-line block ×5, first 2 shown]
	ds_read_b128 v[158:161], v149 offset:1440
	s_clause 0x2
	buffer_load_dword v201, off, s[0:3], 0 offset:732
	buffer_load_dword v206, off, s[0:3], 0 offset:708
	;; [unrolled: 1-line block ×3, first 2 shown]
	s_mov_b32 s4, exec_lo
	s_waitcnt vmcnt(62) lgkmcnt(2)
	v_mul_f64 v[196:197], v[152:153], v[129:130]
	v_mul_f64 v[129:130], v[150:151], v[129:130]
	s_waitcnt lgkmcnt(1)
	v_mul_f64 v[203:204], v[156:157], v[5:6]
	s_waitcnt vmcnt(59) lgkmcnt(0)
	v_mul_f64 v[207:208], v[160:161], v[3:4]
	v_fma_f64 v[150:151], v[150:151], v[7:8], -v[196:197]
	v_mul_f64 v[196:197], v[154:155], v[5:6]
	v_fma_f64 v[129:130], v[152:153], v[7:8], v[129:130]
	s_waitcnt vmcnt(57)
	v_fma_f64 v[154:155], v[154:155], v[1:2], -v[203:204]
	ds_read_b128 v[5:8], v149 offset:1456
	v_mul_f64 v[152:153], v[158:159], v[3:4]
	s_waitcnt vmcnt(51)
	v_fma_f64 v[158:159], v[158:159], v[145:146], -v[207:208]
	v_add_f64 v[150:151], v[150:151], 0
	v_fma_f64 v[156:157], v[156:157], v[1:2], v[196:197]
	v_add_f64 v[129:130], v[129:130], 0
	s_clause 0x4
	buffer_load_dword v197, off, s[0:3], 0 offset:748
	buffer_load_dword v209, off, s[0:3], 0 offset:760
	;; [unrolled: 1-line block ×5, first 2 shown]
	s_waitcnt lgkmcnt(0)
	v_mul_f64 v[212:213], v[5:6], v[133:134]
	v_mul_f64 v[133:134], v[7:8], v[133:134]
	ds_read_b128 v[1:4], v149 offset:1472
	v_fma_f64 v[145:146], v[160:161], v[145:146], v[152:153]
	v_add_f64 v[154:155], v[150:151], v[154:155]
	v_add_f64 v[129:130], v[129:130], v[156:157]
	s_clause 0x2
	buffer_load_dword v210, off, s[0:3], 0 offset:764
	buffer_load_dword v157, off, s[0:3], 0 offset:740
	;; [unrolled: 1-line block ×3, first 2 shown]
	s_waitcnt vmcnt(58) lgkmcnt(0)
	v_mul_f64 v[160:161], v[1:2], v[137:138]
	v_mul_f64 v[137:138], v[3:4], v[137:138]
	s_waitcnt vmcnt(56)
	v_fma_f64 v[133:134], v[5:6], v[139:140], -v[133:134]
	ds_read_b128 v[150:153], v149 offset:1488
	v_fma_f64 v[139:140], v[7:8], v[139:140], v[212:213]
	v_add_f64 v[154:155], v[154:155], v[158:159]
	v_add_f64 v[129:130], v[129:130], v[145:146]
	s_clause 0x4
	buffer_load_dword v146, off, s[0:3], 0 offset:780
	buffer_load_dword v158, off, s[0:3], 0 offset:792
	;; [unrolled: 1-line block ×5, first 2 shown]
	ds_read_b128 v[5:8], v149 offset:1504
	s_waitcnt vmcnt(57) lgkmcnt(1)
	v_mul_f64 v[213:214], v[150:151], v[141:142]
	v_mul_f64 v[141:142], v[152:153], v[141:142]
	s_waitcnt vmcnt(56)
	v_fma_f64 v[137:138], v[1:2], v[131:132], -v[137:138]
	v_fma_f64 v[131:132], v[3:4], v[131:132], v[160:161]
	v_add_f64 v[133:134], v[154:155], v[133:134]
	v_add_f64 v[129:130], v[129:130], v[139:140]
	s_clause 0x2
	buffer_load_dword v159, off, s[0:3], 0 offset:796
	buffer_load_dword v140, off, s[0:3], 0 offset:772
	;; [unrolled: 1-line block ×3, first 2 shown]
	s_waitcnt vmcnt(58) lgkmcnt(0)
	v_mul_f64 v[154:155], v[5:6], v[147:148]
	v_mul_f64 v[147:148], v[7:8], v[147:148]
	s_waitcnt vmcnt(56)
	v_fma_f64 v[141:142], v[150:151], v[162:163], -v[141:142]
	ds_read_b128 v[1:4], v149 offset:1520
	v_add_f64 v[133:134], v[133:134], v[137:138]
	v_fma_f64 v[137:138], v[152:153], v[162:163], v[213:214]
	v_add_f64 v[150:151], v[129:130], v[131:132]
	s_clause 0x4
	buffer_load_dword v153, off, s[0:3], 0 offset:812
	buffer_load_dword v160, off, s[0:3], 0 offset:824
	;; [unrolled: 1-line block ×5, first 2 shown]
	ds_read_b128 v[129:132], v149 offset:1536
	s_waitcnt vmcnt(57) lgkmcnt(1)
	v_mul_f64 v[213:214], v[1:2], v[164:165]
	v_mul_f64 v[163:164], v[3:4], v[164:165]
	s_waitcnt vmcnt(56)
	v_fma_f64 v[147:148], v[5:6], v[135:136], -v[147:148]
	v_fma_f64 v[135:136], v[7:8], v[135:136], v[154:155]
	v_add_f64 v[133:134], v[133:134], v[141:142]
	s_clause 0x2
	buffer_load_dword v161, off, s[0:3], 0 offset:828
	buffer_load_dword v142, off, s[0:3], 0 offset:804
	;; [unrolled: 1-line block ×3, first 2 shown]
	v_add_f64 v[137:138], v[150:151], v[137:138]
	s_waitcnt vmcnt(58) lgkmcnt(0)
	v_mul_f64 v[154:155], v[131:132], v[166:167]
	ds_read_b128 v[5:8], v149 offset:1552
	v_mul_f64 v[150:151], v[129:130], v[166:167]
	s_waitcnt vmcnt(56)
	v_fma_f64 v[164:165], v[1:2], v[168:169], -v[163:164]
	v_add_f64 v[133:134], v[133:134], v[147:148]
	v_fma_f64 v[147:148], v[3:4], v[168:169], v[213:214]
	v_add_f64 v[135:136], v[137:138], v[135:136]
	s_clause 0x4
	buffer_load_dword v138, off, s[0:3], 0 offset:844
	buffer_load_dword v166, off, s[0:3], 0 offset:856
	buffer_load_dword v168, off, s[0:3], 0 offset:848
	buffer_load_dword v137, off, s[0:3], 0 offset:840
	buffer_load_dword v163, off, s[0:3], 0 offset:820
	s_waitcnt vmcnt(57) lgkmcnt(0)
	v_mul_f64 v[213:214], v[5:6], v[170:171]
	v_mul_f64 v[169:170], v[7:8], v[170:171]
	s_waitcnt vmcnt(56)
	v_fma_f64 v[154:155], v[129:130], v[143:144], -v[154:155]
	ds_read_b128 v[1:4], v149 offset:1568
	v_fma_f64 v[143:144], v[131:132], v[143:144], v[150:151]
	v_add_f64 v[133:134], v[133:134], v[164:165]
	v_add_f64 v[135:136], v[135:136], v[147:148]
	s_clause 0x2
	buffer_load_dword v167, off, s[0:3], 0 offset:860
	buffer_load_dword v148, off, s[0:3], 0 offset:836
	buffer_load_dword v147, off, s[0:3], 0 offset:832
	ds_read_b128 v[129:132], v149 offset:1584
	s_waitcnt vmcnt(58) lgkmcnt(1)
	v_mul_f64 v[164:165], v[3:4], v[172:173]
	s_waitcnt vmcnt(56)
	v_fma_f64 v[170:171], v[5:6], v[176:177], -v[169:170]
	v_mul_f64 v[150:151], v[1:2], v[172:173]
	v_add_f64 v[133:134], v[133:134], v[154:155]
	v_fma_f64 v[154:155], v[7:8], v[176:177], v[213:214]
	v_add_f64 v[135:136], v[135:136], v[143:144]
	s_clause 0x4
	buffer_load_dword v144, off, s[0:3], 0 offset:876
	buffer_load_dword v172, off, s[0:3], 0 offset:888
	buffer_load_dword v176, off, s[0:3], 0 offset:880
	buffer_load_dword v143, off, s[0:3], 0 offset:872
	buffer_load_dword v169, off, s[0:3], 0 offset:852
	s_waitcnt vmcnt(57) lgkmcnt(0)
	v_mul_f64 v[213:214], v[129:130], v[178:179]
	v_mul_f64 v[177:178], v[131:132], v[178:179]
	s_waitcnt vmcnt(56)
	v_fma_f64 v[164:165], v[1:2], v[174:175], -v[164:165]
	ds_read_b128 v[5:8], v149 offset:1600
	v_fma_f64 v[150:151], v[3:4], v[174:175], v[150:151]
	v_add_f64 v[133:134], v[133:134], v[170:171]
	v_add_f64 v[135:136], v[135:136], v[154:155]
	s_clause 0x2
	buffer_load_dword v173, off, s[0:3], 0 offset:892
	buffer_load_dword v155, off, s[0:3], 0 offset:868
	buffer_load_dword v154, off, s[0:3], 0 offset:864
	ds_read_b128 v[1:4], v149 offset:1616
	s_waitcnt vmcnt(58) lgkmcnt(1)
	v_mul_f64 v[174:175], v[7:8], v[180:181]
	s_waitcnt vmcnt(56)
	v_fma_f64 v[178:179], v[129:130], v[184:185], -v[177:178]
	v_mul_f64 v[170:171], v[5:6], v[180:181]
	;; [unrolled: 28-line block ×4, first 2 shown]
	v_add_f64 v[133:134], v[133:134], v[182:183]
	v_fma_f64 v[182:183], v[7:8], v[205:206], v[213:214]
	v_add_f64 v[135:136], v[135:136], v[178:179]
	s_clause 0x2
	buffer_load_dword v179, off, s[0:3], 0 offset:972
	buffer_load_dword v178, off, s[0:3], 0 offset:968
	;; [unrolled: 1-line block ×3, first 2 shown]
	ds_read_b128 v[5:8], v149 offset:1696
	s_waitcnt vmcnt(55) lgkmcnt(1)
	v_mul_f64 v[200:201], v[129:130], v[196:197]
	v_mul_f64 v[196:197], v[131:132], v[196:197]
	s_waitcnt vmcnt(54)
	v_fma_f64 v[192:193], v[1:2], v[202:203], -v[192:193]
	v_fma_f64 v[186:187], v[3:4], v[202:203], v[186:187]
	v_add_f64 v[133:134], v[133:134], v[198:199]
	v_add_f64 v[135:136], v[135:136], v[182:183]
	s_clause 0x1
	buffer_load_dword v183, off, s[0:3], 0 offset:964
	buffer_load_dword v182, off, s[0:3], 0 offset:960
	ds_read_b128 v[1:4], v149 offset:1712
	s_waitcnt vmcnt(55) lgkmcnt(1)
	v_mul_f64 v[202:203], v[7:8], v[209:210]
	v_mul_f64 v[198:199], v[5:6], v[209:210]
	s_waitcnt vmcnt(53)
	v_fma_f64 v[196:197], v[129:130], v[156:157], -v[196:197]
	v_fma_f64 v[156:157], v[131:132], v[156:157], v[200:201]
	ds_read_b128 v[129:132], v149 offset:1728
	v_add_f64 v[133:134], v[133:134], v[192:193]
	v_add_f64 v[135:136], v[135:136], v[186:187]
	s_waitcnt vmcnt(49) lgkmcnt(1)
	v_mul_f64 v[186:187], v[1:2], v[145:146]
	v_mul_f64 v[145:146], v[3:4], v[145:146]
	s_waitcnt vmcnt(48)
	v_fma_f64 v[192:193], v[5:6], v[211:212], -v[202:203]
	v_add_f64 v[133:134], v[133:134], v[196:197]
	v_fma_f64 v[196:197], v[7:8], v[211:212], v[198:199]
	v_add_f64 v[135:136], v[135:136], v[156:157]
	s_clause 0x3
	buffer_load_dword v156, off, s[0:3], 0 offset:448
	buffer_load_dword v157, off, s[0:3], 0 offset:452
	;; [unrolled: 1-line block ×4, first 2 shown]
	ds_read_b128 v[5:8], v149 offset:1744
	s_waitcnt vmcnt(51) lgkmcnt(1)
	v_mul_f64 v[200:201], v[129:130], v[158:159]
	v_mul_f64 v[158:159], v[131:132], v[158:159]
	s_waitcnt vmcnt(49)
	v_fma_f64 v[145:146], v[1:2], v[139:140], -v[145:146]
	v_fma_f64 v[139:140], v[3:4], v[139:140], v[186:187]
	ds_read_b128 v[1:4], v149 offset:1760
	v_add_f64 v[133:134], v[133:134], v[192:193]
	v_add_f64 v[135:136], v[135:136], v[196:197]
	s_waitcnt vmcnt(45) lgkmcnt(1)
	v_mul_f64 v[186:187], v[5:6], v[152:153]
	v_mul_f64 v[152:153], v[7:8], v[152:153]
	s_waitcnt vmcnt(44)
	v_fma_f64 v[158:159], v[129:130], v[207:208], -v[158:159]
	v_add_f64 v[133:134], v[133:134], v[145:146]
	v_fma_f64 v[145:146], v[131:132], v[207:208], v[200:201]
	v_add_f64 v[135:136], v[135:136], v[139:140]
	ds_read_b128 v[129:132], v149 offset:1776
	s_waitcnt vmcnt(43) lgkmcnt(1)
	v_mul_f64 v[139:140], v[1:2], v[160:161]
	v_mul_f64 v[160:161], v[3:4], v[160:161]
	s_waitcnt vmcnt(41)
	v_fma_f64 v[152:153], v[5:6], v[141:142], -v[152:153]
	v_fma_f64 v[141:142], v[7:8], v[141:142], v[186:187]
	ds_read_b128 v[5:8], v149 offset:1792
	v_add_f64 v[133:134], v[133:134], v[158:159]
	v_add_f64 v[135:136], v[135:136], v[145:146]
	s_waitcnt vmcnt(37) lgkmcnt(1)
	v_mul_f64 v[145:146], v[129:130], v[137:138]
	v_mul_f64 v[137:138], v[131:132], v[137:138]
	s_waitcnt vmcnt(36)
	v_fma_f64 v[158:159], v[1:2], v[162:163], -v[160:161]
	v_fma_f64 v[139:140], v[3:4], v[162:163], v[139:140]
	ds_read_b128 v[1:4], v149 offset:1808
	v_add_f64 v[133:134], v[133:134], v[152:153]
	v_add_f64 v[135:136], v[135:136], v[141:142]
	;; [unrolled: 9-line block ×3, first 2 shown]
	s_waitcnt vmcnt(29) lgkmcnt(1)
	v_mul_f64 v[139:140], v[1:2], v[143:144]
	v_mul_f64 v[143:144], v[3:4], v[143:144]
	s_waitcnt vmcnt(28)
	v_fma_f64 v[147:148], v[5:6], v[168:169], -v[152:153]
	v_add_f64 v[133:134], v[133:134], v[137:138]
	v_fma_f64 v[137:138], v[7:8], v[168:169], v[141:142]
	v_add_f64 v[135:136], v[135:136], v[145:146]
	ds_read_b128 v[5:8], v149 offset:1840
	s_waitcnt vmcnt(27) lgkmcnt(1)
	v_mul_f64 v[145:146], v[131:132], v[172:173]
	v_mul_f64 v[141:142], v[129:130], v[172:173]
	s_waitcnt vmcnt(25)
	v_fma_f64 v[143:144], v[1:2], v[154:155], -v[143:144]
	v_fma_f64 v[139:140], v[3:4], v[154:155], v[139:140]
	ds_read_b128 v[1:4], v149 offset:1856
	v_add_f64 v[133:134], v[133:134], v[147:148]
	v_add_f64 v[135:136], v[135:136], v[137:138]
	s_waitcnt vmcnt(21) lgkmcnt(1)
	v_mul_f64 v[147:148], v[7:8], v[150:151]
	s_waitcnt vmcnt(20)
	v_fma_f64 v[145:146], v[129:130], v[176:177], -v[145:146]
	v_mul_f64 v[137:138], v[5:6], v[150:151]
	v_fma_f64 v[141:142], v[131:132], v[176:177], v[141:142]
	ds_read_b128 v[129:132], v149 offset:1872
	v_add_f64 v[133:134], v[133:134], v[143:144]
	v_add_f64 v[135:136], v[135:136], v[139:140]
	s_waitcnt vmcnt(19) lgkmcnt(1)
	v_mul_f64 v[143:144], v[3:4], v[180:181]
	v_mul_f64 v[139:140], v[1:2], v[180:181]
	s_waitcnt vmcnt(17)
	v_fma_f64 v[147:148], v[5:6], v[164:165], -v[147:148]
	v_fma_f64 v[137:138], v[7:8], v[164:165], v[137:138]
	ds_read_b128 v[5:8], v149 offset:1888
	v_add_f64 v[133:134], v[133:134], v[145:146]
	v_add_f64 v[135:136], v[135:136], v[141:142]
	s_waitcnt vmcnt(13) lgkmcnt(1)
	v_mul_f64 v[145:146], v[131:132], v[170:171]
	s_waitcnt vmcnt(12)
	v_fma_f64 v[143:144], v[1:2], v[184:185], -v[143:144]
	v_mul_f64 v[141:142], v[129:130], v[170:171]
	v_fma_f64 v[139:140], v[3:4], v[184:185], v[139:140]
	ds_read_b128 v[1:4], v149 offset:1904
	v_add_f64 v[133:134], v[133:134], v[147:148]
	v_add_f64 v[135:136], v[135:136], v[137:138]
	s_waitcnt vmcnt(11) lgkmcnt(1)
	v_mul_f64 v[147:148], v[7:8], v[190:191]
	v_mul_f64 v[137:138], v[5:6], v[190:191]
	s_waitcnt vmcnt(9)
	v_fma_f64 v[129:130], v[129:130], v[174:175], -v[145:146]
	v_fma_f64 v[131:132], v[131:132], v[174:175], v[141:142]
	v_add_f64 v[133:134], v[133:134], v[143:144]
	v_add_f64 v[135:136], v[135:136], v[139:140]
	s_waitcnt vmcnt(7) lgkmcnt(0)
	v_mul_f64 v[141:142], v[3:4], v[178:179]
	s_waitcnt vmcnt(6)
	v_fma_f64 v[5:6], v[5:6], v[194:195], -v[147:148]
	v_mul_f64 v[139:140], v[1:2], v[178:179]
	v_fma_f64 v[7:8], v[7:8], v[194:195], v[137:138]
	v_add_f64 v[129:130], v[133:134], v[129:130]
	v_add_f64 v[131:132], v[135:136], v[131:132]
	s_waitcnt vmcnt(4)
	v_fma_f64 v[1:2], v[1:2], v[182:183], -v[141:142]
	v_fma_f64 v[3:4], v[3:4], v[182:183], v[139:140]
	v_add_f64 v[5:6], v[129:130], v[5:6]
	v_add_f64 v[7:8], v[131:132], v[7:8]
	v_add_f64 v[1:2], v[5:6], v[1:2]
	v_add_f64 v[3:4], v[7:8], v[3:4]
	s_waitcnt vmcnt(2)
	v_add_f64 v[1:2], v[156:157], -v[1:2]
	s_waitcnt vmcnt(0)
	v_add_f64 v[3:4], v[198:199], -v[3:4]
	buffer_store_dword v2, off, s[0:3], 0 offset:452
	buffer_store_dword v1, off, s[0:3], 0 offset:448
	;; [unrolled: 1-line block ×4, first 2 shown]
	v_cmpx_lt_u32_e32 26, v0
	s_cbranch_execz .LBB123_321
; %bb.320:
	v_mov_b32_e32 v4, s46
	v_mov_b32_e32 v5, 0
	s_clause 0x3
	buffer_load_dword v1, v4, s[0:3], 0 offen
	buffer_load_dword v2, v4, s[0:3], 0 offen offset:4
	buffer_load_dword v3, v4, s[0:3], 0 offen offset:8
	;; [unrolled: 1-line block ×3, first 2 shown]
	buffer_store_dword v5, off, s[0:3], 0 offset:432
	buffer_store_dword v5, off, s[0:3], 0 offset:436
	;; [unrolled: 1-line block ×4, first 2 shown]
	s_waitcnt vmcnt(0)
	ds_write_b128 v189, v[1:4]
.LBB123_321:
	s_or_b32 exec_lo, exec_lo, s4
	s_waitcnt lgkmcnt(0)
	s_waitcnt_vscnt null, 0x0
	s_barrier
	buffer_gl0_inv
	s_clause 0x37
	buffer_load_dword v129, off, s[0:3], 0 offset:456
	buffer_load_dword v130, off, s[0:3], 0 offset:460
	;; [unrolled: 1-line block ×56, first 2 shown]
	v_mov_b32_e32 v171, 0
	s_mov_b32 s4, exec_lo
	ds_read_b128 v[159:162], v171 offset:1392
	s_clause 0x2
	buffer_load_dword v191, off, s[0:3], 0 offset:684
	buffer_load_dword v195, off, s[0:3], 0 offset:660
	;; [unrolled: 1-line block ×3, first 2 shown]
	ds_read_b128 v[163:166], v171 offset:1408
	s_clause 0x4
	buffer_load_dword v199, off, s[0:3], 0 offset:700
	buffer_load_dword v200, off, s[0:3], 0 offset:712
	;; [unrolled: 1-line block ×5, first 2 shown]
	ds_read_b128 v[167:170], v171 offset:1424
	s_clause 0x2
	buffer_load_dword v201, off, s[0:3], 0 offset:716
	buffer_load_dword v206, off, s[0:3], 0 offset:692
	;; [unrolled: 1-line block ×3, first 2 shown]
	s_waitcnt vmcnt(62) lgkmcnt(2)
	v_mul_f64 v[196:197], v[161:162], v[129:130]
	v_mul_f64 v[129:130], v[159:160], v[129:130]
	s_waitcnt lgkmcnt(1)
	v_mul_f64 v[203:204], v[165:166], v[5:6]
	s_waitcnt vmcnt(59) lgkmcnt(0)
	v_mul_f64 v[207:208], v[169:170], v[3:4]
	v_fma_f64 v[159:160], v[159:160], v[7:8], -v[196:197]
	v_mul_f64 v[196:197], v[163:164], v[5:6]
	v_fma_f64 v[129:130], v[161:162], v[7:8], v[129:130]
	s_waitcnt vmcnt(57)
	v_fma_f64 v[163:164], v[163:164], v[1:2], -v[203:204]
	ds_read_b128 v[5:8], v171 offset:1440
	v_mul_f64 v[161:162], v[167:168], v[3:4]
	s_waitcnt vmcnt(51)
	v_fma_f64 v[167:168], v[167:168], v[145:146], -v[207:208]
	v_add_f64 v[159:160], v[159:160], 0
	v_fma_f64 v[165:166], v[165:166], v[1:2], v[196:197]
	v_add_f64 v[129:130], v[129:130], 0
	s_clause 0x4
	buffer_load_dword v197, off, s[0:3], 0 offset:732
	buffer_load_dword v209, off, s[0:3], 0 offset:744
	;; [unrolled: 1-line block ×5, first 2 shown]
	s_waitcnt lgkmcnt(0)
	v_mul_f64 v[212:213], v[5:6], v[133:134]
	v_mul_f64 v[133:134], v[7:8], v[133:134]
	ds_read_b128 v[1:4], v171 offset:1456
	v_fma_f64 v[145:146], v[169:170], v[145:146], v[161:162]
	v_add_f64 v[163:164], v[159:160], v[163:164]
	v_add_f64 v[129:130], v[129:130], v[165:166]
	s_clause 0x2
	buffer_load_dword v210, off, s[0:3], 0 offset:748
	buffer_load_dword v166, off, s[0:3], 0 offset:724
	;; [unrolled: 1-line block ×3, first 2 shown]
	s_waitcnt vmcnt(58) lgkmcnt(0)
	v_mul_f64 v[169:170], v[1:2], v[137:138]
	v_mul_f64 v[137:138], v[3:4], v[137:138]
	s_waitcnt vmcnt(56)
	v_fma_f64 v[133:134], v[5:6], v[139:140], -v[133:134]
	ds_read_b128 v[159:162], v171 offset:1472
	v_fma_f64 v[139:140], v[7:8], v[139:140], v[212:213]
	v_add_f64 v[163:164], v[163:164], v[167:168]
	v_add_f64 v[129:130], v[129:130], v[145:146]
	s_clause 0x4
	buffer_load_dword v146, off, s[0:3], 0 offset:764
	buffer_load_dword v167, off, s[0:3], 0 offset:776
	buffer_load_dword v207, off, s[0:3], 0 offset:768
	buffer_load_dword v145, off, s[0:3], 0 offset:760
	buffer_load_dword v212, off, s[0:3], 0 offset:740
	ds_read_b128 v[5:8], v171 offset:1488
	s_waitcnt vmcnt(57) lgkmcnt(1)
	v_mul_f64 v[213:214], v[159:160], v[141:142]
	v_mul_f64 v[141:142], v[161:162], v[141:142]
	s_waitcnt vmcnt(56)
	v_fma_f64 v[137:138], v[1:2], v[131:132], -v[137:138]
	v_fma_f64 v[131:132], v[3:4], v[131:132], v[169:170]
	v_add_f64 v[133:134], v[163:164], v[133:134]
	v_add_f64 v[129:130], v[129:130], v[139:140]
	s_clause 0x2
	buffer_load_dword v168, off, s[0:3], 0 offset:780
	buffer_load_dword v140, off, s[0:3], 0 offset:756
	;; [unrolled: 1-line block ×3, first 2 shown]
	s_waitcnt vmcnt(58) lgkmcnt(0)
	v_mul_f64 v[163:164], v[5:6], v[147:148]
	v_mul_f64 v[147:148], v[7:8], v[147:148]
	s_waitcnt vmcnt(56)
	v_fma_f64 v[141:142], v[159:160], v[149:150], -v[141:142]
	ds_read_b128 v[1:4], v171 offset:1504
	v_add_f64 v[133:134], v[133:134], v[137:138]
	v_fma_f64 v[137:138], v[161:162], v[149:150], v[213:214]
	v_add_f64 v[149:150], v[129:130], v[131:132]
	s_clause 0x4
	buffer_load_dword v160, off, s[0:3], 0 offset:796
	buffer_load_dword v161, off, s[0:3], 0 offset:808
	;; [unrolled: 1-line block ×5, first 2 shown]
	ds_read_b128 v[129:132], v171 offset:1520
	s_waitcnt vmcnt(57) lgkmcnt(1)
	v_mul_f64 v[213:214], v[1:2], v[151:152]
	v_mul_f64 v[151:152], v[3:4], v[151:152]
	s_waitcnt vmcnt(56)
	v_fma_f64 v[147:148], v[5:6], v[135:136], -v[147:148]
	v_fma_f64 v[135:136], v[7:8], v[135:136], v[163:164]
	v_add_f64 v[133:134], v[133:134], v[141:142]
	s_clause 0x2
	buffer_load_dword v162, off, s[0:3], 0 offset:812
	buffer_load_dword v142, off, s[0:3], 0 offset:788
	;; [unrolled: 1-line block ×3, first 2 shown]
	v_add_f64 v[137:138], v[149:150], v[137:138]
	s_waitcnt vmcnt(58) lgkmcnt(0)
	v_mul_f64 v[149:150], v[129:130], v[155:156]
	v_mul_f64 v[155:156], v[131:132], v[155:156]
	ds_read_b128 v[5:8], v171 offset:1536
	s_waitcnt vmcnt(56)
	v_fma_f64 v[151:152], v[1:2], v[157:158], -v[151:152]
	v_add_f64 v[133:134], v[133:134], v[147:148]
	v_fma_f64 v[147:148], v[3:4], v[157:158], v[213:214]
	v_add_f64 v[135:136], v[137:138], v[135:136]
	s_clause 0x4
	buffer_load_dword v138, off, s[0:3], 0 offset:828
	buffer_load_dword v157, off, s[0:3], 0 offset:840
	;; [unrolled: 1-line block ×5, first 2 shown]
	s_waitcnt vmcnt(57) lgkmcnt(0)
	v_mul_f64 v[213:214], v[5:6], v[172:173]
	v_mul_f64 v[172:173], v[7:8], v[172:173]
	s_waitcnt vmcnt(56)
	v_fma_f64 v[155:156], v[129:130], v[143:144], -v[155:156]
	ds_read_b128 v[1:4], v171 offset:1552
	v_fma_f64 v[143:144], v[131:132], v[143:144], v[149:150]
	v_add_f64 v[133:134], v[133:134], v[151:152]
	v_add_f64 v[135:136], v[135:136], v[147:148]
	s_clause 0x2
	buffer_load_dword v158, off, s[0:3], 0 offset:844
	buffer_load_dword v148, off, s[0:3], 0 offset:820
	;; [unrolled: 1-line block ×3, first 2 shown]
	ds_read_b128 v[129:132], v171 offset:1568
	s_waitcnt vmcnt(58) lgkmcnt(1)
	v_mul_f64 v[151:152], v[3:4], v[174:175]
	s_waitcnt vmcnt(56)
	v_fma_f64 v[172:173], v[5:6], v[176:177], -v[172:173]
	v_mul_f64 v[149:150], v[1:2], v[174:175]
	v_add_f64 v[133:134], v[133:134], v[155:156]
	v_fma_f64 v[155:156], v[7:8], v[176:177], v[213:214]
	v_add_f64 v[135:136], v[135:136], v[143:144]
	s_clause 0x4
	buffer_load_dword v144, off, s[0:3], 0 offset:860
	buffer_load_dword v174, off, s[0:3], 0 offset:872
	;; [unrolled: 1-line block ×5, first 2 shown]
	s_waitcnt vmcnt(57) lgkmcnt(0)
	v_mul_f64 v[213:214], v[129:130], v[178:179]
	v_mul_f64 v[177:178], v[131:132], v[178:179]
	s_waitcnt vmcnt(56)
	v_fma_f64 v[151:152], v[1:2], v[153:154], -v[151:152]
	ds_read_b128 v[5:8], v171 offset:1584
	v_fma_f64 v[149:150], v[3:4], v[153:154], v[149:150]
	s_clause 0x2
	buffer_load_dword v175, off, s[0:3], 0 offset:876
	buffer_load_dword v154, off, s[0:3], 0 offset:852
	;; [unrolled: 1-line block ×3, first 2 shown]
	ds_read_b128 v[1:4], v171 offset:1600
	v_add_f64 v[133:134], v[133:134], v[172:173]
	v_add_f64 v[135:136], v[135:136], v[155:156]
	s_waitcnt vmcnt(58) lgkmcnt(1)
	v_mul_f64 v[172:173], v[7:8], v[180:181]
	s_waitcnt vmcnt(56)
	v_fma_f64 v[178:179], v[129:130], v[184:185], -v[177:178]
	v_mul_f64 v[155:156], v[5:6], v[180:181]
	v_add_f64 v[133:134], v[133:134], v[151:152]
	v_fma_f64 v[151:152], v[131:132], v[184:185], v[213:214]
	v_add_f64 v[135:136], v[135:136], v[149:150]
	s_clause 0x4
	buffer_load_dword v150, off, s[0:3], 0 offset:892
	buffer_load_dword v180, off, s[0:3], 0 offset:904
	;; [unrolled: 1-line block ×5, first 2 shown]
	s_waitcnt vmcnt(57) lgkmcnt(0)
	v_mul_f64 v[213:214], v[1:2], v[186:187]
	v_mul_f64 v[185:186], v[3:4], v[186:187]
	s_waitcnt vmcnt(56)
	v_fma_f64 v[172:173], v[5:6], v[182:183], -v[172:173]
	ds_read_b128 v[129:132], v171 offset:1616
	v_fma_f64 v[155:156], v[7:8], v[182:183], v[155:156]
	v_add_f64 v[133:134], v[133:134], v[178:179]
	v_add_f64 v[135:136], v[135:136], v[151:152]
	s_clause 0x2
	buffer_load_dword v181, off, s[0:3], 0 offset:908
	buffer_load_dword v152, off, s[0:3], 0 offset:884
	;; [unrolled: 1-line block ×3, first 2 shown]
	ds_read_b128 v[5:8], v171 offset:1632
	s_waitcnt vmcnt(58) lgkmcnt(1)
	v_mul_f64 v[182:183], v[131:132], v[190:191]
	s_waitcnt vmcnt(56)
	v_fma_f64 v[186:187], v[1:2], v[194:195], -v[185:186]
	v_mul_f64 v[178:179], v[129:130], v[190:191]
	v_add_f64 v[133:134], v[133:134], v[172:173]
	v_fma_f64 v[172:173], v[3:4], v[194:195], v[213:214]
	v_add_f64 v[135:136], v[135:136], v[155:156]
	s_clause 0x4
	buffer_load_dword v156, off, s[0:3], 0 offset:924
	buffer_load_dword v190, off, s[0:3], 0 offset:936
	;; [unrolled: 1-line block ×5, first 2 shown]
	s_waitcnt vmcnt(57) lgkmcnt(0)
	v_mul_f64 v[213:214], v[5:6], v[198:199]
	v_mul_f64 v[198:199], v[7:8], v[198:199]
	s_waitcnt vmcnt(56)
	v_fma_f64 v[182:183], v[129:130], v[192:193], -v[182:183]
	ds_read_b128 v[1:4], v171 offset:1648
	v_fma_f64 v[178:179], v[131:132], v[192:193], v[178:179]
	v_add_f64 v[133:134], v[133:134], v[186:187]
	v_add_f64 v[135:136], v[135:136], v[172:173]
	s_clause 0x2
	buffer_load_dword v191, off, s[0:3], 0 offset:940
	buffer_load_dword v173, off, s[0:3], 0 offset:916
	buffer_load_dword v172, off, s[0:3], 0 offset:912
	ds_read_b128 v[129:132], v171 offset:1664
	s_waitcnt vmcnt(58) lgkmcnt(1)
	v_mul_f64 v[192:193], v[3:4], v[200:201]
	s_waitcnt vmcnt(56)
	v_fma_f64 v[198:199], v[5:6], v[205:206], -v[198:199]
	v_mul_f64 v[186:187], v[1:2], v[200:201]
	v_add_f64 v[133:134], v[133:134], v[182:183]
	v_fma_f64 v[182:183], v[7:8], v[205:206], v[213:214]
	v_add_f64 v[135:136], v[135:136], v[178:179]
	s_clause 0x4
	buffer_load_dword v179, off, s[0:3], 0 offset:956
	buffer_load_dword v200, off, s[0:3], 0 offset:968
	;; [unrolled: 1-line block ×5, first 2 shown]
	ds_read_b128 v[5:8], v171 offset:1680
	s_waitcnt vmcnt(57) lgkmcnt(1)
	v_mul_f64 v[205:206], v[129:130], v[196:197]
	v_mul_f64 v[196:197], v[131:132], v[196:197]
	s_waitcnt vmcnt(56)
	v_fma_f64 v[192:193], v[1:2], v[202:203], -v[192:193]
	v_fma_f64 v[186:187], v[3:4], v[202:203], v[186:187]
	v_add_f64 v[133:134], v[133:134], v[198:199]
	v_add_f64 v[135:136], v[135:136], v[182:183]
	s_clause 0x2
	buffer_load_dword v201, off, s[0:3], 0 offset:972
	buffer_load_dword v183, off, s[0:3], 0 offset:948
	;; [unrolled: 1-line block ×3, first 2 shown]
	ds_read_b128 v[1:4], v171 offset:1696
	s_waitcnt vmcnt(58) lgkmcnt(1)
	v_mul_f64 v[202:203], v[7:8], v[209:210]
	v_mul_f64 v[198:199], v[5:6], v[209:210]
	s_waitcnt vmcnt(56)
	v_fma_f64 v[196:197], v[129:130], v[165:166], -v[196:197]
	v_fma_f64 v[165:166], v[131:132], v[165:166], v[205:206]
	buffer_load_dword v205, off, s[0:3], 0 offset:964
	ds_read_b128 v[129:132], v171 offset:1712
	v_add_f64 v[133:134], v[133:134], v[192:193]
	v_add_f64 v[135:136], v[135:136], v[186:187]
	s_waitcnt vmcnt(53) lgkmcnt(1)
	v_mul_f64 v[186:187], v[1:2], v[145:146]
	v_mul_f64 v[145:146], v[3:4], v[145:146]
	s_waitcnt vmcnt(52)
	v_fma_f64 v[192:193], v[5:6], v[211:212], -v[202:203]
	v_add_f64 v[133:134], v[133:134], v[196:197]
	v_fma_f64 v[196:197], v[7:8], v[211:212], v[198:199]
	v_add_f64 v[135:136], v[135:136], v[165:166]
	ds_read_b128 v[5:8], v171 offset:1728
	s_waitcnt vmcnt(51) lgkmcnt(1)
	v_mul_f64 v[165:166], v[129:130], v[167:168]
	v_mul_f64 v[167:168], v[131:132], v[167:168]
	s_waitcnt vmcnt(49)
	v_fma_f64 v[145:146], v[1:2], v[139:140], -v[145:146]
	v_fma_f64 v[139:140], v[3:4], v[139:140], v[186:187]
	v_add_f64 v[133:134], v[133:134], v[192:193]
	s_clause 0x3
	buffer_load_dword v186, off, s[0:3], 0 offset:432
	buffer_load_dword v187, off, s[0:3], 0 offset:436
	;; [unrolled: 1-line block ×4, first 2 shown]
	v_add_f64 v[135:136], v[135:136], v[196:197]
	ds_read_b128 v[1:4], v171 offset:1744
	s_waitcnt vmcnt(49) lgkmcnt(1)
	v_mul_f64 v[196:197], v[5:6], v[159:160]
	v_mul_f64 v[159:160], v[7:8], v[159:160]
	s_waitcnt vmcnt(48)
	v_fma_f64 v[167:168], v[129:130], v[207:208], -v[167:168]
	v_add_f64 v[133:134], v[133:134], v[145:146]
	v_fma_f64 v[145:146], v[131:132], v[207:208], v[165:166]
	v_add_f64 v[135:136], v[135:136], v[139:140]
	ds_read_b128 v[129:132], v171 offset:1760
	s_waitcnt vmcnt(47) lgkmcnt(1)
	v_mul_f64 v[139:140], v[1:2], v[161:162]
	v_mul_f64 v[161:162], v[3:4], v[161:162]
	s_waitcnt vmcnt(45)
	v_fma_f64 v[159:160], v[5:6], v[141:142], -v[159:160]
	v_fma_f64 v[141:142], v[7:8], v[141:142], v[196:197]
	ds_read_b128 v[5:8], v171 offset:1776
	v_add_f64 v[133:134], v[133:134], v[167:168]
	v_add_f64 v[135:136], v[135:136], v[145:146]
	s_waitcnt vmcnt(41) lgkmcnt(1)
	v_mul_f64 v[145:146], v[129:130], v[137:138]
	v_mul_f64 v[137:138], v[131:132], v[137:138]
	s_waitcnt vmcnt(40)
	v_fma_f64 v[161:162], v[1:2], v[169:170], -v[161:162]
	v_fma_f64 v[139:140], v[3:4], v[169:170], v[139:140]
	ds_read_b128 v[1:4], v171 offset:1792
	v_add_f64 v[133:134], v[133:134], v[159:160]
	v_add_f64 v[135:136], v[135:136], v[141:142]
	;; [unrolled: 9-line block ×3, first 2 shown]
	s_waitcnt vmcnt(33) lgkmcnt(1)
	v_mul_f64 v[139:140], v[1:2], v[143:144]
	v_mul_f64 v[143:144], v[3:4], v[143:144]
	s_waitcnt vmcnt(32)
	v_fma_f64 v[147:148], v[5:6], v[163:164], -v[157:158]
	v_add_f64 v[133:134], v[133:134], v[137:138]
	v_fma_f64 v[137:138], v[7:8], v[163:164], v[141:142]
	v_add_f64 v[135:136], v[135:136], v[145:146]
	ds_read_b128 v[5:8], v171 offset:1824
	s_waitcnt vmcnt(31) lgkmcnt(1)
	v_mul_f64 v[145:146], v[131:132], v[174:175]
	v_mul_f64 v[141:142], v[129:130], v[174:175]
	s_waitcnt vmcnt(29)
	v_fma_f64 v[139:140], v[3:4], v[153:154], v[139:140]
	v_fma_f64 v[143:144], v[1:2], v[153:154], -v[143:144]
	ds_read_b128 v[1:4], v171 offset:1840
	v_add_f64 v[133:134], v[133:134], v[147:148]
	v_add_f64 v[135:136], v[135:136], v[137:138]
	s_waitcnt vmcnt(25) lgkmcnt(1)
	v_mul_f64 v[147:148], v[7:8], v[149:150]
	s_waitcnt vmcnt(24)
	v_fma_f64 v[145:146], v[129:130], v[176:177], -v[145:146]
	v_mul_f64 v[137:138], v[5:6], v[149:150]
	v_fma_f64 v[141:142], v[131:132], v[176:177], v[141:142]
	ds_read_b128 v[129:132], v171 offset:1856
	v_add_f64 v[133:134], v[133:134], v[143:144]
	v_add_f64 v[135:136], v[135:136], v[139:140]
	s_waitcnt vmcnt(23) lgkmcnt(1)
	v_mul_f64 v[143:144], v[3:4], v[180:181]
	v_mul_f64 v[139:140], v[1:2], v[180:181]
	s_waitcnt vmcnt(21)
	v_fma_f64 v[147:148], v[5:6], v[151:152], -v[147:148]
	v_fma_f64 v[137:138], v[7:8], v[151:152], v[137:138]
	ds_read_b128 v[5:8], v171 offset:1872
	v_add_f64 v[133:134], v[133:134], v[145:146]
	v_add_f64 v[135:136], v[135:136], v[141:142]
	s_waitcnt vmcnt(17) lgkmcnt(1)
	v_mul_f64 v[145:146], v[131:132], v[155:156]
	s_waitcnt vmcnt(16)
	v_fma_f64 v[143:144], v[1:2], v[184:185], -v[143:144]
	v_mul_f64 v[141:142], v[129:130], v[155:156]
	v_fma_f64 v[139:140], v[3:4], v[184:185], v[139:140]
	ds_read_b128 v[1:4], v171 offset:1888
	v_add_f64 v[133:134], v[133:134], v[147:148]
	v_add_f64 v[135:136], v[135:136], v[137:138]
	s_waitcnt vmcnt(15) lgkmcnt(1)
	v_mul_f64 v[147:148], v[7:8], v[190:191]
	v_mul_f64 v[137:138], v[5:6], v[190:191]
	s_waitcnt vmcnt(13)
	v_fma_f64 v[145:146], v[129:130], v[172:173], -v[145:146]
	v_fma_f64 v[141:142], v[131:132], v[172:173], v[141:142]
	ds_read_b128 v[129:132], v171 offset:1904
	v_add_f64 v[133:134], v[133:134], v[143:144]
	v_add_f64 v[135:136], v[135:136], v[139:140]
	s_waitcnt vmcnt(9) lgkmcnt(1)
	v_mul_f64 v[143:144], v[3:4], v[178:179]
	s_waitcnt vmcnt(8)
	v_fma_f64 v[5:6], v[5:6], v[194:195], -v[147:148]
	v_mul_f64 v[139:140], v[1:2], v[178:179]
	v_fma_f64 v[7:8], v[7:8], v[194:195], v[137:138]
	v_add_f64 v[133:134], v[133:134], v[145:146]
	v_add_f64 v[135:136], v[135:136], v[141:142]
	s_waitcnt vmcnt(7) lgkmcnt(0)
	v_mul_f64 v[141:142], v[131:132], v[200:201]
	v_mul_f64 v[137:138], v[129:130], v[200:201]
	s_waitcnt vmcnt(5)
	v_fma_f64 v[1:2], v[1:2], v[182:183], -v[143:144]
	v_fma_f64 v[3:4], v[3:4], v[182:183], v[139:140]
	v_add_f64 v[5:6], v[133:134], v[5:6]
	v_add_f64 v[7:8], v[135:136], v[7:8]
	s_waitcnt vmcnt(4)
	v_fma_f64 v[129:130], v[129:130], v[204:205], -v[141:142]
	v_add_f64 v[1:2], v[5:6], v[1:2]
	v_fma_f64 v[5:6], v[131:132], v[204:205], v[137:138]
	v_add_f64 v[3:4], v[7:8], v[3:4]
	v_add_f64 v[1:2], v[1:2], v[129:130]
	;; [unrolled: 1-line block ×3, first 2 shown]
	s_waitcnt vmcnt(2)
	v_add_f64 v[1:2], v[186:187], -v[1:2]
	s_waitcnt vmcnt(0)
	v_add_f64 v[3:4], v[192:193], -v[3:4]
	buffer_store_dword v2, off, s[0:3], 0 offset:436
	buffer_store_dword v1, off, s[0:3], 0 offset:432
	buffer_store_dword v4, off, s[0:3], 0 offset:444
	buffer_store_dword v3, off, s[0:3], 0 offset:440
	v_cmpx_lt_u32_e32 25, v0
	s_cbranch_execz .LBB123_323
; %bb.322:
	v_mov_b32_e32 v4, s47
	s_clause 0x3
	buffer_load_dword v1, v4, s[0:3], 0 offen
	buffer_load_dword v2, v4, s[0:3], 0 offen offset:4
	buffer_load_dword v3, v4, s[0:3], 0 offen offset:8
	;; [unrolled: 1-line block ×3, first 2 shown]
	buffer_store_dword v171, off, s[0:3], 0 offset:416
	buffer_store_dword v171, off, s[0:3], 0 offset:420
	;; [unrolled: 1-line block ×4, first 2 shown]
	s_waitcnt vmcnt(0)
	ds_write_b128 v189, v[1:4]
.LBB123_323:
	s_or_b32 exec_lo, exec_lo, s4
	s_waitcnt lgkmcnt(0)
	s_waitcnt_vscnt null, 0x0
	s_barrier
	buffer_gl0_inv
	s_clause 0x37
	buffer_load_dword v129, off, s[0:3], 0 offset:440
	buffer_load_dword v130, off, s[0:3], 0 offset:444
	;; [unrolled: 1-line block ×56, first 2 shown]
	ds_read_b128 v[172:175], v171 offset:1376
	s_clause 0x2
	buffer_load_dword v193, off, s[0:3], 0 offset:668
	buffer_load_dword v195, off, s[0:3], 0 offset:644
	;; [unrolled: 1-line block ×3, first 2 shown]
	ds_read_b128 v[176:179], v171 offset:1392
	s_clause 0x4
	buffer_load_dword v199, off, s[0:3], 0 offset:684
	buffer_load_dword v200, off, s[0:3], 0 offset:696
	;; [unrolled: 1-line block ×5, first 2 shown]
	ds_read_b128 v[180:183], v171 offset:1408
	s_clause 0x2
	buffer_load_dword v201, off, s[0:3], 0 offset:700
	buffer_load_dword v206, off, s[0:3], 0 offset:676
	;; [unrolled: 1-line block ×3, first 2 shown]
	s_mov_b32 s4, exec_lo
	s_waitcnt vmcnt(62) lgkmcnt(2)
	v_mul_f64 v[196:197], v[174:175], v[129:130]
	v_mul_f64 v[129:130], v[172:173], v[129:130]
	s_waitcnt lgkmcnt(1)
	v_mul_f64 v[203:204], v[178:179], v[5:6]
	s_waitcnt vmcnt(59) lgkmcnt(0)
	v_mul_f64 v[207:208], v[182:183], v[3:4]
	v_fma_f64 v[172:173], v[172:173], v[7:8], -v[196:197]
	v_mul_f64 v[196:197], v[176:177], v[5:6]
	v_fma_f64 v[129:130], v[174:175], v[7:8], v[129:130]
	s_waitcnt vmcnt(57)
	v_fma_f64 v[176:177], v[176:177], v[1:2], -v[203:204]
	ds_read_b128 v[5:8], v171 offset:1424
	v_mul_f64 v[174:175], v[180:181], v[3:4]
	s_waitcnt vmcnt(51)
	v_fma_f64 v[180:181], v[180:181], v[145:146], -v[207:208]
	v_add_f64 v[172:173], v[172:173], 0
	v_fma_f64 v[178:179], v[178:179], v[1:2], v[196:197]
	v_add_f64 v[129:130], v[129:130], 0
	s_clause 0x4
	buffer_load_dword v197, off, s[0:3], 0 offset:716
	buffer_load_dword v209, off, s[0:3], 0 offset:728
	;; [unrolled: 1-line block ×5, first 2 shown]
	s_waitcnt lgkmcnt(0)
	v_mul_f64 v[212:213], v[5:6], v[133:134]
	v_mul_f64 v[133:134], v[7:8], v[133:134]
	ds_read_b128 v[1:4], v171 offset:1440
	v_fma_f64 v[145:146], v[182:183], v[145:146], v[174:175]
	v_add_f64 v[176:177], v[172:173], v[176:177]
	v_add_f64 v[129:130], v[129:130], v[178:179]
	s_clause 0x2
	buffer_load_dword v210, off, s[0:3], 0 offset:732
	buffer_load_dword v179, off, s[0:3], 0 offset:708
	;; [unrolled: 1-line block ×3, first 2 shown]
	s_waitcnt vmcnt(58) lgkmcnt(0)
	v_mul_f64 v[182:183], v[1:2], v[137:138]
	v_mul_f64 v[137:138], v[3:4], v[137:138]
	s_waitcnt vmcnt(56)
	v_fma_f64 v[133:134], v[5:6], v[139:140], -v[133:134]
	ds_read_b128 v[172:175], v171 offset:1456
	v_fma_f64 v[139:140], v[7:8], v[139:140], v[212:213]
	v_add_f64 v[176:177], v[176:177], v[180:181]
	v_add_f64 v[129:130], v[129:130], v[145:146]
	s_clause 0x4
	buffer_load_dword v146, off, s[0:3], 0 offset:748
	buffer_load_dword v180, off, s[0:3], 0 offset:760
	;; [unrolled: 1-line block ×5, first 2 shown]
	ds_read_b128 v[5:8], v171 offset:1472
	s_waitcnt vmcnt(57) lgkmcnt(1)
	v_mul_f64 v[213:214], v[172:173], v[141:142]
	v_mul_f64 v[141:142], v[174:175], v[141:142]
	s_waitcnt vmcnt(56)
	v_fma_f64 v[137:138], v[1:2], v[131:132], -v[137:138]
	v_fma_f64 v[131:132], v[3:4], v[131:132], v[182:183]
	v_add_f64 v[133:134], v[176:177], v[133:134]
	v_add_f64 v[129:130], v[129:130], v[139:140]
	s_clause 0x2
	buffer_load_dword v181, off, s[0:3], 0 offset:764
	buffer_load_dword v140, off, s[0:3], 0 offset:740
	;; [unrolled: 1-line block ×3, first 2 shown]
	s_waitcnt vmcnt(58) lgkmcnt(0)
	v_mul_f64 v[176:177], v[5:6], v[147:148]
	v_mul_f64 v[147:148], v[7:8], v[147:148]
	s_waitcnt vmcnt(56)
	v_fma_f64 v[141:142], v[172:173], v[149:150], -v[141:142]
	ds_read_b128 v[1:4], v171 offset:1488
	v_add_f64 v[133:134], v[133:134], v[137:138]
	v_fma_f64 v[137:138], v[174:175], v[149:150], v[213:214]
	v_add_f64 v[149:150], v[129:130], v[131:132]
	s_clause 0x4
	buffer_load_dword v173, off, s[0:3], 0 offset:780
	buffer_load_dword v174, off, s[0:3], 0 offset:792
	;; [unrolled: 1-line block ×5, first 2 shown]
	ds_read_b128 v[129:132], v171 offset:1504
	s_waitcnt vmcnt(57) lgkmcnt(1)
	v_mul_f64 v[213:214], v[1:2], v[151:152]
	v_mul_f64 v[151:152], v[3:4], v[151:152]
	s_waitcnt vmcnt(56)
	v_fma_f64 v[147:148], v[5:6], v[135:136], -v[147:148]
	v_fma_f64 v[135:136], v[7:8], v[135:136], v[176:177]
	v_add_f64 v[133:134], v[133:134], v[141:142]
	s_clause 0x2
	buffer_load_dword v175, off, s[0:3], 0 offset:796
	buffer_load_dword v142, off, s[0:3], 0 offset:772
	;; [unrolled: 1-line block ×3, first 2 shown]
	v_add_f64 v[137:138], v[149:150], v[137:138]
	s_waitcnt vmcnt(58) lgkmcnt(0)
	v_mul_f64 v[149:150], v[129:130], v[155:156]
	v_mul_f64 v[155:156], v[131:132], v[155:156]
	ds_read_b128 v[5:8], v171 offset:1520
	s_waitcnt vmcnt(56)
	v_fma_f64 v[151:152], v[1:2], v[157:158], -v[151:152]
	v_add_f64 v[133:134], v[133:134], v[147:148]
	v_fma_f64 v[147:148], v[3:4], v[157:158], v[213:214]
	v_add_f64 v[135:136], v[137:138], v[135:136]
	s_clause 0x4
	buffer_load_dword v138, off, s[0:3], 0 offset:812
	buffer_load_dword v157, off, s[0:3], 0 offset:824
	buffer_load_dword v176, off, s[0:3], 0 offset:816
	buffer_load_dword v137, off, s[0:3], 0 offset:808
	buffer_load_dword v183, off, s[0:3], 0 offset:788
	s_waitcnt vmcnt(57) lgkmcnt(0)
	v_mul_f64 v[213:214], v[5:6], v[159:160]
	v_mul_f64 v[159:160], v[7:8], v[159:160]
	s_waitcnt vmcnt(56)
	v_fma_f64 v[155:156], v[129:130], v[143:144], -v[155:156]
	ds_read_b128 v[1:4], v171 offset:1536
	v_fma_f64 v[143:144], v[131:132], v[143:144], v[149:150]
	v_add_f64 v[133:134], v[133:134], v[151:152]
	v_add_f64 v[135:136], v[135:136], v[147:148]
	s_clause 0x2
	buffer_load_dword v158, off, s[0:3], 0 offset:828
	buffer_load_dword v148, off, s[0:3], 0 offset:804
	;; [unrolled: 1-line block ×3, first 2 shown]
	ds_read_b128 v[129:132], v171 offset:1552
	s_waitcnt vmcnt(58) lgkmcnt(1)
	v_mul_f64 v[151:152], v[3:4], v[163:164]
	s_waitcnt vmcnt(56)
	v_fma_f64 v[159:160], v[5:6], v[165:166], -v[159:160]
	v_mul_f64 v[149:150], v[1:2], v[163:164]
	v_add_f64 v[133:134], v[133:134], v[155:156]
	v_fma_f64 v[155:156], v[7:8], v[165:166], v[213:214]
	v_add_f64 v[135:136], v[135:136], v[143:144]
	s_clause 0x4
	buffer_load_dword v144, off, s[0:3], 0 offset:844
	buffer_load_dword v163, off, s[0:3], 0 offset:856
	buffer_load_dword v165, off, s[0:3], 0 offset:848
	buffer_load_dword v143, off, s[0:3], 0 offset:840
	buffer_load_dword v177, off, s[0:3], 0 offset:820
	s_waitcnt vmcnt(57) lgkmcnt(0)
	v_mul_f64 v[213:214], v[129:130], v[167:168]
	v_mul_f64 v[166:167], v[131:132], v[167:168]
	s_waitcnt vmcnt(56)
	v_fma_f64 v[151:152], v[1:2], v[153:154], -v[151:152]
	ds_read_b128 v[5:8], v171 offset:1568
	v_fma_f64 v[149:150], v[3:4], v[153:154], v[149:150]
	s_clause 0x2
	buffer_load_dword v164, off, s[0:3], 0 offset:860
	buffer_load_dword v154, off, s[0:3], 0 offset:836
	;; [unrolled: 1-line block ×3, first 2 shown]
	ds_read_b128 v[1:4], v171 offset:1584
	v_add_f64 v[133:134], v[133:134], v[159:160]
	v_add_f64 v[135:136], v[135:136], v[155:156]
	s_waitcnt vmcnt(58) lgkmcnt(1)
	v_mul_f64 v[159:160], v[7:8], v[184:185]
	s_waitcnt vmcnt(56)
	v_fma_f64 v[167:168], v[129:130], v[186:187], -v[166:167]
	v_mul_f64 v[155:156], v[5:6], v[184:185]
	v_add_f64 v[133:134], v[133:134], v[151:152]
	v_fma_f64 v[151:152], v[131:132], v[186:187], v[213:214]
	v_add_f64 v[135:136], v[135:136], v[149:150]
	s_clause 0x4
	buffer_load_dword v150, off, s[0:3], 0 offset:876
	buffer_load_dword v184, off, s[0:3], 0 offset:888
	buffer_load_dword v186, off, s[0:3], 0 offset:880
	buffer_load_dword v149, off, s[0:3], 0 offset:872
	buffer_load_dword v166, off, s[0:3], 0 offset:852
	s_waitcnt vmcnt(57) lgkmcnt(0)
	v_mul_f64 v[187:188], v[1:2], v[190:191]
	v_mul_f64 v[190:191], v[3:4], v[190:191]
	s_waitcnt vmcnt(56)
	v_fma_f64 v[159:160], v[5:6], v[161:162], -v[159:160]
	ds_read_b128 v[129:132], v171 offset:1600
	v_fma_f64 v[155:156], v[7:8], v[161:162], v[155:156]
	v_add_f64 v[133:134], v[133:134], v[167:168]
	v_add_f64 v[135:136], v[135:136], v[151:152]
	s_clause 0x2
	buffer_load_dword v185, off, s[0:3], 0 offset:892
	buffer_load_dword v152, off, s[0:3], 0 offset:868
	;; [unrolled: 1-line block ×3, first 2 shown]
	ds_read_b128 v[5:8], v171 offset:1616
	s_waitcnt vmcnt(58) lgkmcnt(1)
	v_mul_f64 v[167:168], v[131:132], v[192:193]
	s_waitcnt vmcnt(56)
	v_fma_f64 v[190:191], v[1:2], v[194:195], -v[190:191]
	v_mul_f64 v[161:162], v[129:130], v[192:193]
	v_add_f64 v[133:134], v[133:134], v[159:160]
	v_fma_f64 v[159:160], v[3:4], v[194:195], v[187:188]
	v_add_f64 v[135:136], v[135:136], v[155:156]
	s_clause 0x4
	buffer_load_dword v156, off, s[0:3], 0 offset:908
	buffer_load_dword v192, off, s[0:3], 0 offset:920
	buffer_load_dword v194, off, s[0:3], 0 offset:912
	buffer_load_dword v155, off, s[0:3], 0 offset:904
	buffer_load_dword v187, off, s[0:3], 0 offset:884
	s_waitcnt vmcnt(57) lgkmcnt(0)
	v_mul_f64 v[213:214], v[5:6], v[198:199]
	v_mul_f64 v[198:199], v[7:8], v[198:199]
	s_waitcnt vmcnt(56)
	v_fma_f64 v[167:168], v[129:130], v[169:170], -v[167:168]
	ds_read_b128 v[1:4], v171 offset:1632
	v_fma_f64 v[161:162], v[131:132], v[169:170], v[161:162]
	v_add_f64 v[133:134], v[133:134], v[190:191]
	v_add_f64 v[135:136], v[135:136], v[159:160]
	s_clause 0x2
	buffer_load_dword v193, off, s[0:3], 0 offset:924
	buffer_load_dword v160, off, s[0:3], 0 offset:900
	;; [unrolled: 1-line block ×3, first 2 shown]
	ds_read_b128 v[129:132], v171 offset:1648
	s_waitcnt vmcnt(58) lgkmcnt(1)
	v_mul_f64 v[190:191], v[3:4], v[200:201]
	s_waitcnt vmcnt(56)
	v_fma_f64 v[198:199], v[5:6], v[205:206], -v[198:199]
	v_mul_f64 v[169:170], v[1:2], v[200:201]
	v_add_f64 v[133:134], v[133:134], v[167:168]
	v_fma_f64 v[167:168], v[7:8], v[205:206], v[213:214]
	v_add_f64 v[135:136], v[135:136], v[161:162]
	s_clause 0x4
	buffer_load_dword v162, off, s[0:3], 0 offset:940
	buffer_load_dword v200, off, s[0:3], 0 offset:952
	;; [unrolled: 1-line block ×5, first 2 shown]
	ds_read_b128 v[5:8], v171 offset:1664
	s_waitcnt vmcnt(57) lgkmcnt(1)
	v_mul_f64 v[205:206], v[129:130], v[196:197]
	v_mul_f64 v[196:197], v[131:132], v[196:197]
	s_waitcnt vmcnt(56)
	v_fma_f64 v[190:191], v[1:2], v[202:203], -v[190:191]
	v_fma_f64 v[169:170], v[3:4], v[202:203], v[169:170]
	v_add_f64 v[133:134], v[133:134], v[198:199]
	v_add_f64 v[135:136], v[135:136], v[167:168]
	s_clause 0x2
	buffer_load_dword v201, off, s[0:3], 0 offset:956
	buffer_load_dword v168, off, s[0:3], 0 offset:932
	;; [unrolled: 1-line block ×3, first 2 shown]
	ds_read_b128 v[1:4], v171 offset:1680
	s_waitcnt vmcnt(58) lgkmcnt(1)
	v_mul_f64 v[202:203], v[7:8], v[209:210]
	v_mul_f64 v[198:199], v[5:6], v[209:210]
	s_waitcnt vmcnt(56)
	v_fma_f64 v[196:197], v[129:130], v[178:179], -v[196:197]
	v_fma_f64 v[178:179], v[131:132], v[178:179], v[205:206]
	v_add_f64 v[133:134], v[133:134], v[190:191]
	v_add_f64 v[135:136], v[135:136], v[169:170]
	s_clause 0x2
	buffer_load_dword v170, off, s[0:3], 0 offset:972
	buffer_load_dword v169, off, s[0:3], 0 offset:968
	;; [unrolled: 1-line block ×3, first 2 shown]
	ds_read_b128 v[129:132], v171 offset:1696
	s_waitcnt vmcnt(55) lgkmcnt(1)
	v_mul_f64 v[190:191], v[1:2], v[145:146]
	v_mul_f64 v[145:146], v[3:4], v[145:146]
	s_waitcnt vmcnt(54)
	v_fma_f64 v[202:203], v[5:6], v[211:212], -v[202:203]
	v_add_f64 v[133:134], v[133:134], v[196:197]
	v_fma_f64 v[196:197], v[7:8], v[211:212], v[198:199]
	v_add_f64 v[135:136], v[135:136], v[178:179]
	s_clause 0x1
	buffer_load_dword v179, off, s[0:3], 0 offset:964
	buffer_load_dword v178, off, s[0:3], 0 offset:960
	ds_read_b128 v[5:8], v171 offset:1712
	s_waitcnt vmcnt(55) lgkmcnt(1)
	v_mul_f64 v[198:199], v[129:130], v[180:181]
	v_mul_f64 v[180:181], v[131:132], v[180:181]
	s_waitcnt vmcnt(53)
	v_fma_f64 v[145:146], v[1:2], v[139:140], -v[145:146]
	v_fma_f64 v[139:140], v[3:4], v[139:140], v[190:191]
	ds_read_b128 v[1:4], v171 offset:1728
	v_add_f64 v[133:134], v[133:134], v[202:203]
	v_add_f64 v[135:136], v[135:136], v[196:197]
	s_waitcnt vmcnt(49) lgkmcnt(1)
	v_mul_f64 v[190:191], v[5:6], v[172:173]
	v_mul_f64 v[172:173], v[7:8], v[172:173]
	s_waitcnt vmcnt(48)
	v_fma_f64 v[180:181], v[129:130], v[207:208], -v[180:181]
	v_add_f64 v[133:134], v[133:134], v[145:146]
	v_fma_f64 v[145:146], v[131:132], v[207:208], v[198:199]
	v_add_f64 v[135:136], v[135:136], v[139:140]
	s_clause 0x3
	buffer_load_dword v139, off, s[0:3], 0 offset:416
	buffer_load_dword v140, off, s[0:3], 0 offset:420
	;; [unrolled: 1-line block ×4, first 2 shown]
	ds_read_b128 v[129:132], v171 offset:1744
	s_waitcnt vmcnt(51) lgkmcnt(1)
	v_mul_f64 v[198:199], v[1:2], v[174:175]
	v_mul_f64 v[174:175], v[3:4], v[174:175]
	s_waitcnt vmcnt(49)
	v_fma_f64 v[172:173], v[5:6], v[141:142], -v[172:173]
	v_fma_f64 v[141:142], v[7:8], v[141:142], v[190:191]
	ds_read_b128 v[5:8], v171 offset:1760
	v_add_f64 v[133:134], v[133:134], v[180:181]
	v_add_f64 v[135:136], v[135:136], v[145:146]
	s_waitcnt vmcnt(45) lgkmcnt(1)
	v_mul_f64 v[145:146], v[129:130], v[137:138]
	v_mul_f64 v[137:138], v[131:132], v[137:138]
	s_waitcnt vmcnt(44)
	v_fma_f64 v[174:175], v[1:2], v[182:183], -v[174:175]
	v_add_f64 v[133:134], v[133:134], v[172:173]
	v_fma_f64 v[172:173], v[3:4], v[182:183], v[198:199]
	v_add_f64 v[135:136], v[135:136], v[141:142]
	ds_read_b128 v[1:4], v171 offset:1776
	s_waitcnt vmcnt(43) lgkmcnt(1)
	v_mul_f64 v[141:142], v[5:6], v[157:158]
	v_mul_f64 v[157:158], v[7:8], v[157:158]
	s_waitcnt vmcnt(41)
	v_fma_f64 v[137:138], v[129:130], v[147:148], -v[137:138]
	v_fma_f64 v[145:146], v[131:132], v[147:148], v[145:146]
	ds_read_b128 v[129:132], v171 offset:1792
	v_add_f64 v[133:134], v[133:134], v[174:175]
	v_add_f64 v[135:136], v[135:136], v[172:173]
	s_waitcnt vmcnt(37) lgkmcnt(1)
	v_mul_f64 v[147:148], v[1:2], v[143:144]
	v_mul_f64 v[143:144], v[3:4], v[143:144]
	s_waitcnt vmcnt(36)
	v_fma_f64 v[157:158], v[5:6], v[176:177], -v[157:158]
	v_add_f64 v[133:134], v[133:134], v[137:138]
	v_fma_f64 v[137:138], v[7:8], v[176:177], v[141:142]
	v_add_f64 v[135:136], v[135:136], v[145:146]
	s_waitcnt vmcnt(35) lgkmcnt(0)
	v_mul_f64 v[145:146], v[131:132], v[163:164]
	ds_read_b128 v[5:8], v171 offset:1808
	v_mul_f64 v[141:142], v[129:130], v[163:164]
	s_waitcnt vmcnt(33)
	v_fma_f64 v[147:148], v[3:4], v[153:154], v[147:148]
	v_fma_f64 v[143:144], v[1:2], v[153:154], -v[143:144]
	ds_read_b128 v[1:4], v171 offset:1824
	v_add_f64 v[133:134], v[133:134], v[157:158]
	v_add_f64 v[135:136], v[135:136], v[137:138]
	s_waitcnt vmcnt(29) lgkmcnt(1)
	v_mul_f64 v[137:138], v[5:6], v[149:150]
	v_mul_f64 v[149:150], v[7:8], v[149:150]
	s_waitcnt vmcnt(28)
	v_fma_f64 v[145:146], v[129:130], v[165:166], -v[145:146]
	v_fma_f64 v[141:142], v[131:132], v[165:166], v[141:142]
	ds_read_b128 v[129:132], v171 offset:1840
	v_add_f64 v[133:134], v[133:134], v[143:144]
	v_add_f64 v[135:136], v[135:136], v[147:148]
	s_waitcnt vmcnt(27) lgkmcnt(1)
	v_mul_f64 v[147:148], v[3:4], v[184:185]
	v_mul_f64 v[143:144], v[1:2], v[184:185]
	s_waitcnt vmcnt(25)
	v_fma_f64 v[149:150], v[5:6], v[151:152], -v[149:150]
	v_fma_f64 v[137:138], v[7:8], v[151:152], v[137:138]
	ds_read_b128 v[5:8], v171 offset:1856
	v_add_f64 v[133:134], v[133:134], v[145:146]
	v_add_f64 v[135:136], v[135:136], v[141:142]
	s_waitcnt vmcnt(21) lgkmcnt(1)
	v_mul_f64 v[145:146], v[131:132], v[155:156]
	s_waitcnt vmcnt(20)
	v_fma_f64 v[147:148], v[1:2], v[186:187], -v[147:148]
	v_mul_f64 v[141:142], v[129:130], v[155:156]
	v_fma_f64 v[143:144], v[3:4], v[186:187], v[143:144]
	ds_read_b128 v[1:4], v171 offset:1872
	v_add_f64 v[133:134], v[133:134], v[149:150]
	v_add_f64 v[135:136], v[135:136], v[137:138]
	s_waitcnt vmcnt(19) lgkmcnt(1)
	v_mul_f64 v[149:150], v[7:8], v[192:193]
	v_mul_f64 v[137:138], v[5:6], v[192:193]
	s_waitcnt vmcnt(17)
	v_fma_f64 v[145:146], v[129:130], v[159:160], -v[145:146]
	v_fma_f64 v[141:142], v[131:132], v[159:160], v[141:142]
	ds_read_b128 v[129:132], v171 offset:1888
	v_add_f64 v[133:134], v[133:134], v[147:148]
	v_add_f64 v[135:136], v[135:136], v[143:144]
	s_waitcnt vmcnt(13) lgkmcnt(1)
	v_mul_f64 v[147:148], v[3:4], v[161:162]
	s_waitcnt vmcnt(12)
	v_fma_f64 v[149:150], v[5:6], v[194:195], -v[149:150]
	v_mul_f64 v[143:144], v[1:2], v[161:162]
	v_fma_f64 v[137:138], v[7:8], v[194:195], v[137:138]
	ds_read_b128 v[5:8], v171 offset:1904
	v_add_f64 v[133:134], v[133:134], v[145:146]
	v_add_f64 v[135:136], v[135:136], v[141:142]
	s_waitcnt vmcnt(11) lgkmcnt(1)
	v_mul_f64 v[145:146], v[131:132], v[200:201]
	v_mul_f64 v[141:142], v[129:130], v[200:201]
	s_waitcnt vmcnt(9)
	v_fma_f64 v[1:2], v[1:2], v[167:168], -v[147:148]
	v_fma_f64 v[3:4], v[3:4], v[167:168], v[143:144]
	v_add_f64 v[133:134], v[133:134], v[149:150]
	v_add_f64 v[135:136], v[135:136], v[137:138]
	s_waitcnt vmcnt(7) lgkmcnt(0)
	v_mul_f64 v[143:144], v[7:8], v[169:170]
	s_waitcnt vmcnt(6)
	v_fma_f64 v[129:130], v[129:130], v[204:205], -v[145:146]
	v_mul_f64 v[137:138], v[5:6], v[169:170]
	v_fma_f64 v[131:132], v[131:132], v[204:205], v[141:142]
	v_add_f64 v[1:2], v[133:134], v[1:2]
	v_add_f64 v[3:4], v[135:136], v[3:4]
	s_waitcnt vmcnt(4)
	v_fma_f64 v[5:6], v[5:6], v[178:179], -v[143:144]
	v_fma_f64 v[7:8], v[7:8], v[178:179], v[137:138]
	v_add_f64 v[1:2], v[1:2], v[129:130]
	v_add_f64 v[3:4], v[3:4], v[131:132]
	;; [unrolled: 1-line block ×4, first 2 shown]
	s_waitcnt vmcnt(2)
	v_add_f64 v[1:2], v[139:140], -v[1:2]
	s_waitcnt vmcnt(0)
	v_add_f64 v[3:4], v[196:197], -v[3:4]
	buffer_store_dword v2, off, s[0:3], 0 offset:420
	buffer_store_dword v1, off, s[0:3], 0 offset:416
	buffer_store_dword v4, off, s[0:3], 0 offset:428
	buffer_store_dword v3, off, s[0:3], 0 offset:424
	v_cmpx_lt_u32_e32 24, v0
	s_cbranch_execz .LBB123_325
; %bb.324:
	v_mov_b32_e32 v4, s48
	v_mov_b32_e32 v5, 0
	s_clause 0x3
	buffer_load_dword v1, v4, s[0:3], 0 offen
	buffer_load_dword v2, v4, s[0:3], 0 offen offset:4
	buffer_load_dword v3, v4, s[0:3], 0 offen offset:8
	;; [unrolled: 1-line block ×3, first 2 shown]
	buffer_store_dword v5, off, s[0:3], 0 offset:400
	buffer_store_dword v5, off, s[0:3], 0 offset:404
	;; [unrolled: 1-line block ×4, first 2 shown]
	s_waitcnt vmcnt(0)
	ds_write_b128 v189, v[1:4]
.LBB123_325:
	s_or_b32 exec_lo, exec_lo, s4
	s_waitcnt lgkmcnt(0)
	s_waitcnt_vscnt null, 0x0
	s_barrier
	buffer_gl0_inv
	s_clause 0x37
	buffer_load_dword v129, off, s[0:3], 0 offset:424
	buffer_load_dword v130, off, s[0:3], 0 offset:428
	;; [unrolled: 1-line block ×56, first 2 shown]
	v_mov_b32_e32 v181, 0
	s_mov_b32 s4, exec_lo
	ds_read_b128 v[182:185], v181 offset:1360
	s_clause 0x2
	buffer_load_dword v178, off, s[0:3], 0 offset:652
	buffer_load_dword v180, off, s[0:3], 0 offset:628
	;; [unrolled: 1-line block ×3, first 2 shown]
	ds_read_b128 v[190:193], v181 offset:1376
	s_clause 0x4
	buffer_load_dword v199, off, s[0:3], 0 offset:668
	buffer_load_dword v200, off, s[0:3], 0 offset:680
	;; [unrolled: 1-line block ×5, first 2 shown]
	ds_read_b128 v[194:197], v181 offset:1392
	s_clause 0x2
	buffer_load_dword v201, off, s[0:3], 0 offset:684
	buffer_load_dword v206, off, s[0:3], 0 offset:660
	;; [unrolled: 1-line block ×3, first 2 shown]
	s_waitcnt vmcnt(62) lgkmcnt(2)
	v_mul_f64 v[186:187], v[184:185], v[129:130]
	v_mul_f64 v[129:130], v[182:183], v[129:130]
	s_waitcnt lgkmcnt(1)
	v_mul_f64 v[203:204], v[192:193], v[5:6]
	s_waitcnt vmcnt(59) lgkmcnt(0)
	v_mul_f64 v[207:208], v[196:197], v[3:4]
	v_fma_f64 v[182:183], v[182:183], v[7:8], -v[186:187]
	v_mul_f64 v[186:187], v[190:191], v[5:6]
	v_fma_f64 v[129:130], v[184:185], v[7:8], v[129:130]
	s_waitcnt vmcnt(57)
	v_fma_f64 v[190:191], v[190:191], v[1:2], -v[203:204]
	ds_read_b128 v[5:8], v181 offset:1408
	v_mul_f64 v[184:185], v[194:195], v[3:4]
	s_waitcnt vmcnt(51)
	v_fma_f64 v[194:195], v[194:195], v[145:146], -v[207:208]
	v_add_f64 v[182:183], v[182:183], 0
	v_fma_f64 v[186:187], v[192:193], v[1:2], v[186:187]
	v_add_f64 v[129:130], v[129:130], 0
	s_clause 0x4
	buffer_load_dword v193, off, s[0:3], 0 offset:700
	buffer_load_dword v209, off, s[0:3], 0 offset:712
	;; [unrolled: 1-line block ×5, first 2 shown]
	s_waitcnt lgkmcnt(0)
	v_mul_f64 v[212:213], v[5:6], v[133:134]
	v_mul_f64 v[133:134], v[7:8], v[133:134]
	ds_read_b128 v[1:4], v181 offset:1424
	v_fma_f64 v[145:146], v[196:197], v[145:146], v[184:185]
	v_add_f64 v[190:191], v[182:183], v[190:191]
	v_add_f64 v[129:130], v[129:130], v[186:187]
	s_clause 0x2
	buffer_load_dword v210, off, s[0:3], 0 offset:716
	buffer_load_dword v187, off, s[0:3], 0 offset:692
	;; [unrolled: 1-line block ×3, first 2 shown]
	s_waitcnt vmcnt(58) lgkmcnt(0)
	v_mul_f64 v[196:197], v[1:2], v[137:138]
	v_mul_f64 v[137:138], v[3:4], v[137:138]
	s_waitcnt vmcnt(56)
	v_fma_f64 v[133:134], v[5:6], v[139:140], -v[133:134]
	ds_read_b128 v[182:185], v181 offset:1440
	v_fma_f64 v[139:140], v[7:8], v[139:140], v[212:213]
	v_add_f64 v[190:191], v[190:191], v[194:195]
	v_add_f64 v[129:130], v[129:130], v[145:146]
	s_clause 0x4
	buffer_load_dword v146, off, s[0:3], 0 offset:732
	buffer_load_dword v194, off, s[0:3], 0 offset:744
	;; [unrolled: 1-line block ×5, first 2 shown]
	ds_read_b128 v[5:8], v181 offset:1456
	s_waitcnt vmcnt(57) lgkmcnt(1)
	v_mul_f64 v[213:214], v[182:183], v[141:142]
	v_mul_f64 v[141:142], v[184:185], v[141:142]
	s_waitcnt vmcnt(56)
	v_fma_f64 v[137:138], v[1:2], v[131:132], -v[137:138]
	v_fma_f64 v[131:132], v[3:4], v[131:132], v[196:197]
	v_add_f64 v[133:134], v[190:191], v[133:134]
	v_add_f64 v[129:130], v[129:130], v[139:140]
	s_clause 0x2
	buffer_load_dword v195, off, s[0:3], 0 offset:748
	buffer_load_dword v140, off, s[0:3], 0 offset:724
	;; [unrolled: 1-line block ×3, first 2 shown]
	s_waitcnt vmcnt(58) lgkmcnt(0)
	v_mul_f64 v[190:191], v[5:6], v[147:148]
	v_mul_f64 v[147:148], v[7:8], v[147:148]
	s_waitcnt vmcnt(56)
	v_fma_f64 v[141:142], v[182:183], v[149:150], -v[141:142]
	ds_read_b128 v[1:4], v181 offset:1472
	v_add_f64 v[133:134], v[133:134], v[137:138]
	v_fma_f64 v[137:138], v[184:185], v[149:150], v[213:214]
	v_add_f64 v[149:150], v[129:130], v[131:132]
	s_clause 0x4
	buffer_load_dword v183, off, s[0:3], 0 offset:764
	buffer_load_dword v184, off, s[0:3], 0 offset:776
	;; [unrolled: 1-line block ×5, first 2 shown]
	ds_read_b128 v[129:132], v181 offset:1488
	s_waitcnt vmcnt(57) lgkmcnt(1)
	v_mul_f64 v[213:214], v[1:2], v[151:152]
	v_mul_f64 v[151:152], v[3:4], v[151:152]
	s_waitcnt vmcnt(56)
	v_fma_f64 v[147:148], v[5:6], v[135:136], -v[147:148]
	v_fma_f64 v[135:136], v[7:8], v[135:136], v[190:191]
	v_add_f64 v[133:134], v[133:134], v[141:142]
	s_clause 0x2
	buffer_load_dword v185, off, s[0:3], 0 offset:780
	buffer_load_dword v142, off, s[0:3], 0 offset:756
	;; [unrolled: 1-line block ×3, first 2 shown]
	v_add_f64 v[137:138], v[149:150], v[137:138]
	s_waitcnt vmcnt(58) lgkmcnt(0)
	v_mul_f64 v[149:150], v[129:130], v[155:156]
	v_mul_f64 v[155:156], v[131:132], v[155:156]
	ds_read_b128 v[5:8], v181 offset:1504
	s_waitcnt vmcnt(56)
	v_fma_f64 v[151:152], v[1:2], v[157:158], -v[151:152]
	v_add_f64 v[133:134], v[133:134], v[147:148]
	v_fma_f64 v[147:148], v[3:4], v[157:158], v[213:214]
	v_add_f64 v[135:136], v[137:138], v[135:136]
	s_clause 0x4
	buffer_load_dword v138, off, s[0:3], 0 offset:796
	buffer_load_dword v157, off, s[0:3], 0 offset:808
	;; [unrolled: 1-line block ×5, first 2 shown]
	s_waitcnt vmcnt(57) lgkmcnt(0)
	v_mul_f64 v[213:214], v[5:6], v[159:160]
	v_mul_f64 v[159:160], v[7:8], v[159:160]
	s_waitcnt vmcnt(56)
	v_fma_f64 v[155:156], v[129:130], v[143:144], -v[155:156]
	ds_read_b128 v[1:4], v181 offset:1520
	v_fma_f64 v[143:144], v[131:132], v[143:144], v[149:150]
	v_add_f64 v[133:134], v[133:134], v[151:152]
	v_add_f64 v[135:136], v[135:136], v[147:148]
	s_clause 0x2
	buffer_load_dword v158, off, s[0:3], 0 offset:812
	buffer_load_dword v148, off, s[0:3], 0 offset:788
	;; [unrolled: 1-line block ×3, first 2 shown]
	ds_read_b128 v[129:132], v181 offset:1536
	s_waitcnt vmcnt(58) lgkmcnt(1)
	v_mul_f64 v[151:152], v[3:4], v[163:164]
	s_waitcnt vmcnt(56)
	v_fma_f64 v[159:160], v[5:6], v[165:166], -v[159:160]
	v_mul_f64 v[149:150], v[1:2], v[163:164]
	v_add_f64 v[133:134], v[133:134], v[155:156]
	v_fma_f64 v[155:156], v[7:8], v[165:166], v[213:214]
	v_add_f64 v[135:136], v[135:136], v[143:144]
	s_clause 0x4
	buffer_load_dword v144, off, s[0:3], 0 offset:828
	buffer_load_dword v163, off, s[0:3], 0 offset:840
	buffer_load_dword v165, off, s[0:3], 0 offset:832
	buffer_load_dword v143, off, s[0:3], 0 offset:824
	buffer_load_dword v191, off, s[0:3], 0 offset:804
	s_waitcnt vmcnt(57) lgkmcnt(0)
	v_mul_f64 v[213:214], v[129:130], v[167:168]
	v_mul_f64 v[166:167], v[131:132], v[167:168]
	s_waitcnt vmcnt(56)
	v_fma_f64 v[151:152], v[1:2], v[153:154], -v[151:152]
	ds_read_b128 v[5:8], v181 offset:1552
	v_fma_f64 v[149:150], v[3:4], v[153:154], v[149:150]
	s_clause 0x2
	buffer_load_dword v164, off, s[0:3], 0 offset:844
	buffer_load_dword v154, off, s[0:3], 0 offset:820
	;; [unrolled: 1-line block ×3, first 2 shown]
	ds_read_b128 v[1:4], v181 offset:1568
	v_add_f64 v[133:134], v[133:134], v[159:160]
	v_add_f64 v[135:136], v[135:136], v[155:156]
	s_waitcnt vmcnt(58) lgkmcnt(1)
	v_mul_f64 v[159:160], v[7:8], v[171:172]
	s_waitcnt vmcnt(56)
	v_fma_f64 v[167:168], v[129:130], v[173:174], -v[166:167]
	v_mul_f64 v[155:156], v[5:6], v[171:172]
	v_add_f64 v[133:134], v[133:134], v[151:152]
	v_fma_f64 v[151:152], v[131:132], v[173:174], v[213:214]
	v_add_f64 v[135:136], v[135:136], v[149:150]
	s_clause 0x4
	buffer_load_dword v150, off, s[0:3], 0 offset:860
	buffer_load_dword v171, off, s[0:3], 0 offset:872
	;; [unrolled: 1-line block ×5, first 2 shown]
	s_waitcnt vmcnt(57) lgkmcnt(0)
	v_mul_f64 v[213:214], v[1:2], v[175:176]
	v_mul_f64 v[174:175], v[3:4], v[175:176]
	s_waitcnt vmcnt(56)
	v_fma_f64 v[159:160], v[5:6], v[161:162], -v[159:160]
	ds_read_b128 v[129:132], v181 offset:1584
	v_fma_f64 v[155:156], v[7:8], v[161:162], v[155:156]
	v_add_f64 v[133:134], v[133:134], v[167:168]
	v_add_f64 v[135:136], v[135:136], v[151:152]
	s_clause 0x2
	buffer_load_dword v172, off, s[0:3], 0 offset:876
	buffer_load_dword v152, off, s[0:3], 0 offset:852
	;; [unrolled: 1-line block ×3, first 2 shown]
	ds_read_b128 v[5:8], v181 offset:1600
	s_waitcnt vmcnt(58) lgkmcnt(1)
	v_mul_f64 v[167:168], v[131:132], v[177:178]
	s_waitcnt vmcnt(56)
	v_fma_f64 v[175:176], v[1:2], v[179:180], -v[174:175]
	v_mul_f64 v[161:162], v[129:130], v[177:178]
	v_add_f64 v[133:134], v[133:134], v[159:160]
	v_fma_f64 v[159:160], v[3:4], v[179:180], v[213:214]
	v_add_f64 v[135:136], v[135:136], v[155:156]
	s_clause 0x4
	buffer_load_dword v156, off, s[0:3], 0 offset:892
	buffer_load_dword v177, off, s[0:3], 0 offset:904
	;; [unrolled: 1-line block ×5, first 2 shown]
	s_waitcnt vmcnt(57) lgkmcnt(0)
	v_mul_f64 v[213:214], v[5:6], v[198:199]
	v_mul_f64 v[198:199], v[7:8], v[198:199]
	s_waitcnt vmcnt(56)
	v_fma_f64 v[167:168], v[129:130], v[169:170], -v[167:168]
	ds_read_b128 v[1:4], v181 offset:1616
	v_fma_f64 v[161:162], v[131:132], v[169:170], v[161:162]
	v_add_f64 v[133:134], v[133:134], v[175:176]
	v_add_f64 v[135:136], v[135:136], v[159:160]
	s_clause 0x2
	buffer_load_dword v178, off, s[0:3], 0 offset:908
	buffer_load_dword v160, off, s[0:3], 0 offset:884
	;; [unrolled: 1-line block ×3, first 2 shown]
	ds_read_b128 v[129:132], v181 offset:1632
	s_waitcnt vmcnt(58) lgkmcnt(1)
	v_mul_f64 v[175:176], v[3:4], v[200:201]
	s_waitcnt vmcnt(56)
	v_fma_f64 v[198:199], v[5:6], v[205:206], -v[198:199]
	v_mul_f64 v[169:170], v[1:2], v[200:201]
	v_add_f64 v[133:134], v[133:134], v[167:168]
	v_fma_f64 v[167:168], v[7:8], v[205:206], v[213:214]
	v_add_f64 v[135:136], v[135:136], v[161:162]
	s_clause 0x4
	buffer_load_dword v162, off, s[0:3], 0 offset:924
	buffer_load_dword v200, off, s[0:3], 0 offset:936
	;; [unrolled: 1-line block ×5, first 2 shown]
	ds_read_b128 v[5:8], v181 offset:1648
	s_waitcnt vmcnt(57) lgkmcnt(1)
	v_mul_f64 v[205:206], v[129:130], v[192:193]
	v_mul_f64 v[192:193], v[131:132], v[192:193]
	s_waitcnt vmcnt(56)
	v_fma_f64 v[175:176], v[1:2], v[202:203], -v[175:176]
	v_fma_f64 v[169:170], v[3:4], v[202:203], v[169:170]
	v_add_f64 v[133:134], v[133:134], v[198:199]
	v_add_f64 v[135:136], v[135:136], v[167:168]
	s_clause 0x2
	buffer_load_dword v201, off, s[0:3], 0 offset:940
	buffer_load_dword v168, off, s[0:3], 0 offset:916
	;; [unrolled: 1-line block ×3, first 2 shown]
	ds_read_b128 v[1:4], v181 offset:1664
	s_waitcnt vmcnt(58) lgkmcnt(1)
	v_mul_f64 v[202:203], v[7:8], v[209:210]
	v_mul_f64 v[198:199], v[5:6], v[209:210]
	s_waitcnt vmcnt(56)
	v_fma_f64 v[192:193], v[129:130], v[186:187], -v[192:193]
	v_add_f64 v[133:134], v[133:134], v[175:176]
	v_fma_f64 v[175:176], v[131:132], v[186:187], v[205:206]
	v_add_f64 v[135:136], v[135:136], v[169:170]
	s_clause 0x4
	buffer_load_dword v170, off, s[0:3], 0 offset:956
	buffer_load_dword v186, off, s[0:3], 0 offset:968
	;; [unrolled: 1-line block ×5, first 2 shown]
	ds_read_b128 v[129:132], v181 offset:1680
	s_waitcnt vmcnt(57) lgkmcnt(1)
	v_mul_f64 v[213:214], v[1:2], v[145:146]
	v_mul_f64 v[145:146], v[3:4], v[145:146]
	s_waitcnt vmcnt(56)
	v_fma_f64 v[202:203], v[5:6], v[211:212], -v[202:203]
	v_add_f64 v[133:134], v[133:134], v[192:193]
	v_fma_f64 v[192:193], v[7:8], v[211:212], v[198:199]
	v_add_f64 v[135:136], v[135:136], v[175:176]
	s_clause 0x2
	buffer_load_dword v187, off, s[0:3], 0 offset:972
	buffer_load_dword v176, off, s[0:3], 0 offset:948
	;; [unrolled: 1-line block ×3, first 2 shown]
	ds_read_b128 v[5:8], v181 offset:1696
	buffer_load_dword v210, off, s[0:3], 0 offset:964
	s_waitcnt vmcnt(59) lgkmcnt(1)
	v_mul_f64 v[198:199], v[129:130], v[194:195]
	v_mul_f64 v[194:195], v[131:132], v[194:195]
	s_waitcnt vmcnt(57)
	v_fma_f64 v[145:146], v[1:2], v[139:140], -v[145:146]
	v_fma_f64 v[139:140], v[3:4], v[139:140], v[213:214]
	ds_read_b128 v[1:4], v181 offset:1712
	v_add_f64 v[133:134], v[133:134], v[202:203]
	v_add_f64 v[135:136], v[135:136], v[192:193]
	s_waitcnt vmcnt(53) lgkmcnt(1)
	v_mul_f64 v[192:193], v[5:6], v[182:183]
	v_mul_f64 v[182:183], v[7:8], v[182:183]
	s_waitcnt vmcnt(52)
	v_fma_f64 v[194:195], v[129:130], v[207:208], -v[194:195]
	v_add_f64 v[133:134], v[133:134], v[145:146]
	v_fma_f64 v[145:146], v[131:132], v[207:208], v[198:199]
	v_add_f64 v[135:136], v[135:136], v[139:140]
	ds_read_b128 v[129:132], v181 offset:1728
	s_waitcnt vmcnt(51) lgkmcnt(1)
	v_mul_f64 v[139:140], v[1:2], v[184:185]
	v_mul_f64 v[184:185], v[3:4], v[184:185]
	s_waitcnt vmcnt(49)
	v_fma_f64 v[182:183], v[5:6], v[141:142], -v[182:183]
	v_fma_f64 v[141:142], v[7:8], v[141:142], v[192:193]
	v_add_f64 v[133:134], v[133:134], v[194:195]
	v_add_f64 v[135:136], v[135:136], v[145:146]
	s_clause 0x3
	buffer_load_dword v145, off, s[0:3], 0 offset:400
	buffer_load_dword v146, off, s[0:3], 0 offset:404
	;; [unrolled: 1-line block ×4, first 2 shown]
	ds_read_b128 v[5:8], v181 offset:1744
	s_waitcnt vmcnt(49) lgkmcnt(1)
	v_mul_f64 v[194:195], v[129:130], v[137:138]
	v_mul_f64 v[137:138], v[131:132], v[137:138]
	s_waitcnt vmcnt(48)
	v_fma_f64 v[184:185], v[1:2], v[196:197], -v[184:185]
	v_fma_f64 v[139:140], v[3:4], v[196:197], v[139:140]
	ds_read_b128 v[1:4], v181 offset:1760
	v_add_f64 v[133:134], v[133:134], v[182:183]
	v_add_f64 v[135:136], v[135:136], v[141:142]
	s_waitcnt vmcnt(47) lgkmcnt(1)
	v_mul_f64 v[141:142], v[5:6], v[157:158]
	v_mul_f64 v[157:158], v[7:8], v[157:158]
	s_waitcnt vmcnt(45)
	v_fma_f64 v[137:138], v[129:130], v[147:148], -v[137:138]
	v_fma_f64 v[147:148], v[131:132], v[147:148], v[194:195]
	ds_read_b128 v[129:132], v181 offset:1776
	v_add_f64 v[133:134], v[133:134], v[184:185]
	v_add_f64 v[135:136], v[135:136], v[139:140]
	s_waitcnt vmcnt(41) lgkmcnt(1)
	v_mul_f64 v[139:140], v[1:2], v[143:144]
	v_mul_f64 v[143:144], v[3:4], v[143:144]
	s_waitcnt vmcnt(40)
	v_fma_f64 v[157:158], v[5:6], v[190:191], -v[157:158]
	v_add_f64 v[133:134], v[133:134], v[137:138]
	v_fma_f64 v[137:138], v[7:8], v[190:191], v[141:142]
	v_add_f64 v[135:136], v[135:136], v[147:148]
	ds_read_b128 v[5:8], v181 offset:1792
	s_waitcnt vmcnt(39) lgkmcnt(1)
	v_mul_f64 v[147:148], v[131:132], v[163:164]
	v_mul_f64 v[141:142], v[129:130], v[163:164]
	s_waitcnt vmcnt(37)
	v_fma_f64 v[139:140], v[3:4], v[153:154], v[139:140]
	v_fma_f64 v[143:144], v[1:2], v[153:154], -v[143:144]
	ds_read_b128 v[1:4], v181 offset:1808
	v_add_f64 v[133:134], v[133:134], v[157:158]
	v_add_f64 v[135:136], v[135:136], v[137:138]
	s_waitcnt vmcnt(33) lgkmcnt(1)
	v_mul_f64 v[137:138], v[5:6], v[149:150]
	v_mul_f64 v[149:150], v[7:8], v[149:150]
	s_waitcnt vmcnt(32)
	v_fma_f64 v[147:148], v[129:130], v[165:166], -v[147:148]
	v_fma_f64 v[141:142], v[131:132], v[165:166], v[141:142]
	ds_read_b128 v[129:132], v181 offset:1824
	v_add_f64 v[133:134], v[133:134], v[143:144]
	v_add_f64 v[135:136], v[135:136], v[139:140]
	s_waitcnt vmcnt(31) lgkmcnt(1)
	v_mul_f64 v[143:144], v[3:4], v[171:172]
	v_mul_f64 v[139:140], v[1:2], v[171:172]
	s_waitcnt vmcnt(29)
	v_fma_f64 v[149:150], v[5:6], v[151:152], -v[149:150]
	v_fma_f64 v[137:138], v[7:8], v[151:152], v[137:138]
	ds_read_b128 v[5:8], v181 offset:1840
	v_add_f64 v[133:134], v[133:134], v[147:148]
	v_add_f64 v[135:136], v[135:136], v[141:142]
	s_waitcnt vmcnt(25) lgkmcnt(1)
	v_mul_f64 v[147:148], v[131:132], v[155:156]
	s_waitcnt vmcnt(24)
	v_fma_f64 v[143:144], v[1:2], v[173:174], -v[143:144]
	v_mul_f64 v[141:142], v[129:130], v[155:156]
	v_fma_f64 v[139:140], v[3:4], v[173:174], v[139:140]
	ds_read_b128 v[1:4], v181 offset:1856
	v_add_f64 v[133:134], v[133:134], v[149:150]
	v_add_f64 v[135:136], v[135:136], v[137:138]
	s_waitcnt vmcnt(23) lgkmcnt(1)
	v_mul_f64 v[149:150], v[7:8], v[177:178]
	v_mul_f64 v[137:138], v[5:6], v[177:178]
	s_waitcnt vmcnt(21)
	v_fma_f64 v[147:148], v[129:130], v[159:160], -v[147:148]
	v_fma_f64 v[141:142], v[131:132], v[159:160], v[141:142]
	ds_read_b128 v[129:132], v181 offset:1872
	v_add_f64 v[133:134], v[133:134], v[143:144]
	v_add_f64 v[135:136], v[135:136], v[139:140]
	s_waitcnt vmcnt(17) lgkmcnt(1)
	v_mul_f64 v[143:144], v[3:4], v[161:162]
	s_waitcnt vmcnt(16)
	v_fma_f64 v[149:150], v[5:6], v[179:180], -v[149:150]
	v_mul_f64 v[139:140], v[1:2], v[161:162]
	;; [unrolled: 18-line block ×3, first 2 shown]
	v_fma_f64 v[131:132], v[131:132], v[204:205], v[141:142]
	v_add_f64 v[133:134], v[133:134], v[143:144]
	v_add_f64 v[135:136], v[135:136], v[139:140]
	s_waitcnt vmcnt(7) lgkmcnt(0)
	v_mul_f64 v[141:142], v[3:4], v[186:187]
	v_mul_f64 v[139:140], v[1:2], v[186:187]
	s_waitcnt vmcnt(5)
	v_fma_f64 v[5:6], v[5:6], v[175:176], -v[149:150]
	v_fma_f64 v[7:8], v[7:8], v[175:176], v[137:138]
	v_add_f64 v[129:130], v[133:134], v[129:130]
	v_add_f64 v[131:132], v[135:136], v[131:132]
	s_waitcnt vmcnt(4)
	v_fma_f64 v[1:2], v[1:2], v[209:210], -v[141:142]
	v_fma_f64 v[3:4], v[3:4], v[209:210], v[139:140]
	v_add_f64 v[5:6], v[129:130], v[5:6]
	v_add_f64 v[7:8], v[131:132], v[7:8]
	;; [unrolled: 1-line block ×4, first 2 shown]
	s_waitcnt vmcnt(2)
	v_add_f64 v[1:2], v[145:146], -v[1:2]
	s_waitcnt vmcnt(0)
	v_add_f64 v[3:4], v[192:193], -v[3:4]
	buffer_store_dword v2, off, s[0:3], 0 offset:404
	buffer_store_dword v1, off, s[0:3], 0 offset:400
	;; [unrolled: 1-line block ×4, first 2 shown]
	v_cmpx_lt_u32_e32 23, v0
	s_cbranch_execz .LBB123_327
; %bb.326:
	v_mov_b32_e32 v4, s49
	s_clause 0x3
	buffer_load_dword v1, v4, s[0:3], 0 offen
	buffer_load_dword v2, v4, s[0:3], 0 offen offset:4
	buffer_load_dword v3, v4, s[0:3], 0 offen offset:8
	buffer_load_dword v4, v4, s[0:3], 0 offen offset:12
	buffer_store_dword v181, off, s[0:3], 0 offset:384
	buffer_store_dword v181, off, s[0:3], 0 offset:388
	buffer_store_dword v181, off, s[0:3], 0 offset:392
	buffer_store_dword v181, off, s[0:3], 0 offset:396
	s_waitcnt vmcnt(0)
	ds_write_b128 v189, v[1:4]
.LBB123_327:
	s_or_b32 exec_lo, exec_lo, s4
	s_waitcnt lgkmcnt(0)
	s_waitcnt_vscnt null, 0x0
	s_barrier
	buffer_gl0_inv
	s_clause 0x37
	buffer_load_dword v129, off, s[0:3], 0 offset:408
	buffer_load_dword v130, off, s[0:3], 0 offset:412
	;; [unrolled: 1-line block ×56, first 2 shown]
	ds_read_b128 v[182:185], v181 offset:1344
	s_clause 0x2
	buffer_load_dword v178, off, s[0:3], 0 offset:636
	buffer_load_dword v180, off, s[0:3], 0 offset:612
	;; [unrolled: 1-line block ×3, first 2 shown]
	ds_read_b128 v[190:193], v181 offset:1360
	s_clause 0x4
	buffer_load_dword v199, off, s[0:3], 0 offset:652
	buffer_load_dword v200, off, s[0:3], 0 offset:664
	;; [unrolled: 1-line block ×5, first 2 shown]
	ds_read_b128 v[194:197], v181 offset:1376
	s_clause 0x2
	buffer_load_dword v201, off, s[0:3], 0 offset:668
	buffer_load_dword v206, off, s[0:3], 0 offset:644
	;; [unrolled: 1-line block ×3, first 2 shown]
	s_mov_b32 s4, exec_lo
	s_waitcnt vmcnt(62) lgkmcnt(2)
	v_mul_f64 v[186:187], v[184:185], v[129:130]
	v_mul_f64 v[129:130], v[182:183], v[129:130]
	s_waitcnt lgkmcnt(1)
	v_mul_f64 v[203:204], v[192:193], v[5:6]
	s_waitcnt vmcnt(59) lgkmcnt(0)
	v_mul_f64 v[207:208], v[196:197], v[3:4]
	v_fma_f64 v[182:183], v[182:183], v[7:8], -v[186:187]
	v_mul_f64 v[186:187], v[190:191], v[5:6]
	v_fma_f64 v[129:130], v[184:185], v[7:8], v[129:130]
	s_waitcnt vmcnt(57)
	v_fma_f64 v[190:191], v[190:191], v[1:2], -v[203:204]
	ds_read_b128 v[5:8], v181 offset:1392
	v_mul_f64 v[184:185], v[194:195], v[3:4]
	s_waitcnt vmcnt(51)
	v_fma_f64 v[194:195], v[194:195], v[145:146], -v[207:208]
	v_add_f64 v[182:183], v[182:183], 0
	v_fma_f64 v[186:187], v[192:193], v[1:2], v[186:187]
	v_add_f64 v[129:130], v[129:130], 0
	s_clause 0x4
	buffer_load_dword v193, off, s[0:3], 0 offset:684
	buffer_load_dword v209, off, s[0:3], 0 offset:696
	;; [unrolled: 1-line block ×5, first 2 shown]
	s_waitcnt lgkmcnt(0)
	v_mul_f64 v[212:213], v[5:6], v[133:134]
	v_mul_f64 v[133:134], v[7:8], v[133:134]
	ds_read_b128 v[1:4], v181 offset:1408
	v_fma_f64 v[145:146], v[196:197], v[145:146], v[184:185]
	v_add_f64 v[190:191], v[182:183], v[190:191]
	v_add_f64 v[129:130], v[129:130], v[186:187]
	s_clause 0x2
	buffer_load_dword v210, off, s[0:3], 0 offset:700
	buffer_load_dword v187, off, s[0:3], 0 offset:676
	;; [unrolled: 1-line block ×3, first 2 shown]
	s_waitcnt vmcnt(58) lgkmcnt(0)
	v_mul_f64 v[196:197], v[1:2], v[137:138]
	v_mul_f64 v[137:138], v[3:4], v[137:138]
	s_waitcnt vmcnt(56)
	v_fma_f64 v[133:134], v[5:6], v[139:140], -v[133:134]
	ds_read_b128 v[182:185], v181 offset:1424
	v_fma_f64 v[139:140], v[7:8], v[139:140], v[212:213]
	v_add_f64 v[190:191], v[190:191], v[194:195]
	v_add_f64 v[129:130], v[129:130], v[145:146]
	s_clause 0x4
	buffer_load_dword v146, off, s[0:3], 0 offset:716
	buffer_load_dword v194, off, s[0:3], 0 offset:728
	;; [unrolled: 1-line block ×5, first 2 shown]
	ds_read_b128 v[5:8], v181 offset:1440
	s_waitcnt vmcnt(57) lgkmcnt(1)
	v_mul_f64 v[213:214], v[182:183], v[141:142]
	v_mul_f64 v[141:142], v[184:185], v[141:142]
	s_waitcnt vmcnt(56)
	v_fma_f64 v[137:138], v[1:2], v[131:132], -v[137:138]
	v_fma_f64 v[131:132], v[3:4], v[131:132], v[196:197]
	v_add_f64 v[133:134], v[190:191], v[133:134]
	v_add_f64 v[129:130], v[129:130], v[139:140]
	s_clause 0x2
	buffer_load_dword v195, off, s[0:3], 0 offset:732
	buffer_load_dword v140, off, s[0:3], 0 offset:708
	;; [unrolled: 1-line block ×3, first 2 shown]
	s_waitcnt vmcnt(58) lgkmcnt(0)
	v_mul_f64 v[190:191], v[5:6], v[147:148]
	v_mul_f64 v[147:148], v[7:8], v[147:148]
	s_waitcnt vmcnt(56)
	v_fma_f64 v[141:142], v[182:183], v[149:150], -v[141:142]
	ds_read_b128 v[1:4], v181 offset:1456
	v_add_f64 v[133:134], v[133:134], v[137:138]
	v_fma_f64 v[137:138], v[184:185], v[149:150], v[213:214]
	v_add_f64 v[149:150], v[129:130], v[131:132]
	s_clause 0x4
	buffer_load_dword v183, off, s[0:3], 0 offset:748
	buffer_load_dword v184, off, s[0:3], 0 offset:760
	;; [unrolled: 1-line block ×5, first 2 shown]
	ds_read_b128 v[129:132], v181 offset:1472
	s_waitcnt vmcnt(57) lgkmcnt(1)
	v_mul_f64 v[213:214], v[1:2], v[151:152]
	v_mul_f64 v[151:152], v[3:4], v[151:152]
	s_waitcnt vmcnt(56)
	v_fma_f64 v[147:148], v[5:6], v[135:136], -v[147:148]
	v_fma_f64 v[135:136], v[7:8], v[135:136], v[190:191]
	v_add_f64 v[133:134], v[133:134], v[141:142]
	s_clause 0x2
	buffer_load_dword v185, off, s[0:3], 0 offset:764
	buffer_load_dword v142, off, s[0:3], 0 offset:740
	;; [unrolled: 1-line block ×3, first 2 shown]
	v_add_f64 v[137:138], v[149:150], v[137:138]
	s_waitcnt vmcnt(58) lgkmcnt(0)
	v_mul_f64 v[149:150], v[129:130], v[155:156]
	v_mul_f64 v[155:156], v[131:132], v[155:156]
	ds_read_b128 v[5:8], v181 offset:1488
	s_waitcnt vmcnt(56)
	v_fma_f64 v[151:152], v[1:2], v[157:158], -v[151:152]
	v_add_f64 v[133:134], v[133:134], v[147:148]
	v_fma_f64 v[147:148], v[3:4], v[157:158], v[213:214]
	v_add_f64 v[135:136], v[137:138], v[135:136]
	s_clause 0x4
	buffer_load_dword v138, off, s[0:3], 0 offset:780
	buffer_load_dword v157, off, s[0:3], 0 offset:792
	;; [unrolled: 1-line block ×5, first 2 shown]
	s_waitcnt vmcnt(57) lgkmcnt(0)
	v_mul_f64 v[213:214], v[5:6], v[159:160]
	v_mul_f64 v[159:160], v[7:8], v[159:160]
	s_waitcnt vmcnt(56)
	v_fma_f64 v[155:156], v[129:130], v[143:144], -v[155:156]
	ds_read_b128 v[1:4], v181 offset:1504
	v_fma_f64 v[143:144], v[131:132], v[143:144], v[149:150]
	v_add_f64 v[133:134], v[133:134], v[151:152]
	v_add_f64 v[135:136], v[135:136], v[147:148]
	s_clause 0x2
	buffer_load_dword v158, off, s[0:3], 0 offset:796
	buffer_load_dword v148, off, s[0:3], 0 offset:772
	;; [unrolled: 1-line block ×3, first 2 shown]
	ds_read_b128 v[129:132], v181 offset:1520
	s_waitcnt vmcnt(58) lgkmcnt(1)
	v_mul_f64 v[151:152], v[3:4], v[163:164]
	s_waitcnt vmcnt(56)
	v_fma_f64 v[159:160], v[5:6], v[165:166], -v[159:160]
	v_mul_f64 v[149:150], v[1:2], v[163:164]
	v_add_f64 v[133:134], v[133:134], v[155:156]
	v_fma_f64 v[155:156], v[7:8], v[165:166], v[213:214]
	v_add_f64 v[135:136], v[135:136], v[143:144]
	s_clause 0x4
	buffer_load_dword v144, off, s[0:3], 0 offset:812
	buffer_load_dword v163, off, s[0:3], 0 offset:824
	;; [unrolled: 1-line block ×5, first 2 shown]
	s_waitcnt vmcnt(57) lgkmcnt(0)
	v_mul_f64 v[213:214], v[129:130], v[167:168]
	v_mul_f64 v[166:167], v[131:132], v[167:168]
	s_waitcnt vmcnt(56)
	v_fma_f64 v[151:152], v[1:2], v[153:154], -v[151:152]
	ds_read_b128 v[5:8], v181 offset:1536
	v_fma_f64 v[149:150], v[3:4], v[153:154], v[149:150]
	s_clause 0x2
	buffer_load_dword v164, off, s[0:3], 0 offset:828
	buffer_load_dword v154, off, s[0:3], 0 offset:804
	;; [unrolled: 1-line block ×3, first 2 shown]
	ds_read_b128 v[1:4], v181 offset:1552
	v_add_f64 v[133:134], v[133:134], v[159:160]
	v_add_f64 v[135:136], v[135:136], v[155:156]
	s_waitcnt vmcnt(58) lgkmcnt(1)
	v_mul_f64 v[159:160], v[7:8], v[171:172]
	s_waitcnt vmcnt(56)
	v_fma_f64 v[167:168], v[129:130], v[173:174], -v[166:167]
	v_mul_f64 v[155:156], v[5:6], v[171:172]
	v_add_f64 v[133:134], v[133:134], v[151:152]
	v_fma_f64 v[151:152], v[131:132], v[173:174], v[213:214]
	v_add_f64 v[135:136], v[135:136], v[149:150]
	s_clause 0x4
	buffer_load_dword v150, off, s[0:3], 0 offset:844
	buffer_load_dword v171, off, s[0:3], 0 offset:856
	;; [unrolled: 1-line block ×5, first 2 shown]
	s_waitcnt vmcnt(57) lgkmcnt(0)
	v_mul_f64 v[213:214], v[1:2], v[175:176]
	v_mul_f64 v[174:175], v[3:4], v[175:176]
	s_waitcnt vmcnt(56)
	v_fma_f64 v[159:160], v[5:6], v[161:162], -v[159:160]
	ds_read_b128 v[129:132], v181 offset:1568
	v_fma_f64 v[155:156], v[7:8], v[161:162], v[155:156]
	v_add_f64 v[133:134], v[133:134], v[167:168]
	v_add_f64 v[135:136], v[135:136], v[151:152]
	s_clause 0x2
	buffer_load_dword v172, off, s[0:3], 0 offset:860
	buffer_load_dword v152, off, s[0:3], 0 offset:836
	;; [unrolled: 1-line block ×3, first 2 shown]
	ds_read_b128 v[5:8], v181 offset:1584
	s_waitcnt vmcnt(58) lgkmcnt(1)
	v_mul_f64 v[167:168], v[131:132], v[177:178]
	s_waitcnt vmcnt(56)
	v_fma_f64 v[175:176], v[1:2], v[179:180], -v[174:175]
	v_mul_f64 v[161:162], v[129:130], v[177:178]
	v_add_f64 v[133:134], v[133:134], v[159:160]
	v_fma_f64 v[159:160], v[3:4], v[179:180], v[213:214]
	v_add_f64 v[135:136], v[135:136], v[155:156]
	s_clause 0x4
	buffer_load_dword v156, off, s[0:3], 0 offset:876
	buffer_load_dword v177, off, s[0:3], 0 offset:888
	buffer_load_dword v179, off, s[0:3], 0 offset:880
	buffer_load_dword v155, off, s[0:3], 0 offset:872
	buffer_load_dword v174, off, s[0:3], 0 offset:852
	s_waitcnt vmcnt(57) lgkmcnt(0)
	v_mul_f64 v[213:214], v[5:6], v[198:199]
	v_mul_f64 v[198:199], v[7:8], v[198:199]
	s_waitcnt vmcnt(56)
	v_fma_f64 v[167:168], v[129:130], v[169:170], -v[167:168]
	ds_read_b128 v[1:4], v181 offset:1600
	v_fma_f64 v[161:162], v[131:132], v[169:170], v[161:162]
	v_add_f64 v[133:134], v[133:134], v[175:176]
	v_add_f64 v[135:136], v[135:136], v[159:160]
	s_clause 0x2
	buffer_load_dword v178, off, s[0:3], 0 offset:892
	buffer_load_dword v160, off, s[0:3], 0 offset:868
	;; [unrolled: 1-line block ×3, first 2 shown]
	ds_read_b128 v[129:132], v181 offset:1616
	s_waitcnt vmcnt(58) lgkmcnt(1)
	v_mul_f64 v[175:176], v[3:4], v[200:201]
	s_waitcnt vmcnt(56)
	v_fma_f64 v[198:199], v[5:6], v[205:206], -v[198:199]
	v_mul_f64 v[169:170], v[1:2], v[200:201]
	v_add_f64 v[133:134], v[133:134], v[167:168]
	v_fma_f64 v[167:168], v[7:8], v[205:206], v[213:214]
	v_add_f64 v[135:136], v[135:136], v[161:162]
	s_clause 0x4
	buffer_load_dword v162, off, s[0:3], 0 offset:908
	buffer_load_dword v200, off, s[0:3], 0 offset:920
	;; [unrolled: 1-line block ×5, first 2 shown]
	ds_read_b128 v[5:8], v181 offset:1632
	s_waitcnt vmcnt(57) lgkmcnt(1)
	v_mul_f64 v[205:206], v[129:130], v[192:193]
	v_mul_f64 v[192:193], v[131:132], v[192:193]
	s_waitcnt vmcnt(56)
	v_fma_f64 v[175:176], v[1:2], v[202:203], -v[175:176]
	v_fma_f64 v[169:170], v[3:4], v[202:203], v[169:170]
	v_add_f64 v[133:134], v[133:134], v[198:199]
	v_add_f64 v[135:136], v[135:136], v[167:168]
	s_clause 0x2
	buffer_load_dword v201, off, s[0:3], 0 offset:924
	buffer_load_dword v168, off, s[0:3], 0 offset:900
	;; [unrolled: 1-line block ×3, first 2 shown]
	ds_read_b128 v[1:4], v181 offset:1648
	s_waitcnt vmcnt(58) lgkmcnt(1)
	v_mul_f64 v[202:203], v[7:8], v[209:210]
	v_mul_f64 v[198:199], v[5:6], v[209:210]
	s_waitcnt vmcnt(56)
	v_fma_f64 v[192:193], v[129:130], v[186:187], -v[192:193]
	v_add_f64 v[133:134], v[133:134], v[175:176]
	v_fma_f64 v[175:176], v[131:132], v[186:187], v[205:206]
	v_add_f64 v[135:136], v[135:136], v[169:170]
	s_clause 0x4
	buffer_load_dword v170, off, s[0:3], 0 offset:940
	buffer_load_dword v186, off, s[0:3], 0 offset:952
	;; [unrolled: 1-line block ×5, first 2 shown]
	ds_read_b128 v[129:132], v181 offset:1664
	s_waitcnt vmcnt(57) lgkmcnt(1)
	v_mul_f64 v[213:214], v[1:2], v[145:146]
	v_mul_f64 v[145:146], v[3:4], v[145:146]
	s_waitcnt vmcnt(56)
	v_fma_f64 v[202:203], v[5:6], v[211:212], -v[202:203]
	v_add_f64 v[133:134], v[133:134], v[192:193]
	v_fma_f64 v[192:193], v[7:8], v[211:212], v[198:199]
	v_add_f64 v[135:136], v[135:136], v[175:176]
	s_clause 0x2
	buffer_load_dword v187, off, s[0:3], 0 offset:956
	buffer_load_dword v176, off, s[0:3], 0 offset:932
	;; [unrolled: 1-line block ×3, first 2 shown]
	ds_read_b128 v[5:8], v181 offset:1680
	s_waitcnt vmcnt(58) lgkmcnt(1)
	v_mul_f64 v[198:199], v[129:130], v[194:195]
	v_mul_f64 v[194:195], v[131:132], v[194:195]
	s_waitcnt vmcnt(56)
	v_fma_f64 v[145:146], v[1:2], v[139:140], -v[145:146]
	v_fma_f64 v[139:140], v[3:4], v[139:140], v[213:214]
	v_add_f64 v[133:134], v[133:134], v[202:203]
	v_add_f64 v[135:136], v[135:136], v[192:193]
	s_clause 0x2
	buffer_load_dword v193, off, s[0:3], 0 offset:972
	buffer_load_dword v192, off, s[0:3], 0 offset:968
	;; [unrolled: 1-line block ×3, first 2 shown]
	ds_read_b128 v[1:4], v181 offset:1696
	s_waitcnt vmcnt(55) lgkmcnt(1)
	v_mul_f64 v[202:203], v[5:6], v[182:183]
	v_mul_f64 v[182:183], v[7:8], v[182:183]
	s_waitcnt vmcnt(54)
	v_fma_f64 v[194:195], v[129:130], v[207:208], -v[194:195]
	v_add_f64 v[133:134], v[133:134], v[145:146]
	v_fma_f64 v[145:146], v[131:132], v[207:208], v[198:199]
	v_add_f64 v[135:136], v[135:136], v[139:140]
	s_clause 0x1
	buffer_load_dword v140, off, s[0:3], 0 offset:964
	buffer_load_dword v139, off, s[0:3], 0 offset:960
	ds_read_b128 v[129:132], v181 offset:1712
	s_waitcnt vmcnt(55) lgkmcnt(1)
	v_mul_f64 v[198:199], v[1:2], v[184:185]
	v_mul_f64 v[184:185], v[3:4], v[184:185]
	s_waitcnt vmcnt(53)
	v_fma_f64 v[182:183], v[5:6], v[141:142], -v[182:183]
	v_fma_f64 v[141:142], v[7:8], v[141:142], v[202:203]
	ds_read_b128 v[5:8], v181 offset:1728
	v_add_f64 v[133:134], v[133:134], v[194:195]
	v_add_f64 v[135:136], v[135:136], v[145:146]
	s_waitcnt vmcnt(49) lgkmcnt(1)
	v_mul_f64 v[145:146], v[129:130], v[137:138]
	v_mul_f64 v[137:138], v[131:132], v[137:138]
	s_waitcnt vmcnt(48)
	v_fma_f64 v[184:185], v[1:2], v[196:197], -v[184:185]
	v_add_f64 v[133:134], v[133:134], v[182:183]
	v_fma_f64 v[182:183], v[3:4], v[196:197], v[198:199]
	v_add_f64 v[135:136], v[135:136], v[141:142]
	s_clause 0x3
	buffer_load_dword v141, off, s[0:3], 0 offset:384
	buffer_load_dword v142, off, s[0:3], 0 offset:388
	;; [unrolled: 1-line block ×4, first 2 shown]
	ds_read_b128 v[1:4], v181 offset:1744
	s_waitcnt vmcnt(51) lgkmcnt(1)
	v_mul_f64 v[196:197], v[5:6], v[157:158]
	v_mul_f64 v[157:158], v[7:8], v[157:158]
	s_waitcnt vmcnt(49)
	v_fma_f64 v[137:138], v[129:130], v[147:148], -v[137:138]
	v_fma_f64 v[145:146], v[131:132], v[147:148], v[145:146]
	ds_read_b128 v[129:132], v181 offset:1760
	v_add_f64 v[133:134], v[133:134], v[184:185]
	v_add_f64 v[135:136], v[135:136], v[182:183]
	s_waitcnt vmcnt(45) lgkmcnt(1)
	v_mul_f64 v[147:148], v[1:2], v[143:144]
	v_mul_f64 v[143:144], v[3:4], v[143:144]
	s_waitcnt vmcnt(44)
	v_fma_f64 v[157:158], v[5:6], v[190:191], -v[157:158]
	v_add_f64 v[133:134], v[133:134], v[137:138]
	v_fma_f64 v[137:138], v[7:8], v[190:191], v[196:197]
	v_add_f64 v[135:136], v[135:136], v[145:146]
	s_waitcnt vmcnt(43) lgkmcnt(0)
	v_mul_f64 v[145:146], v[129:130], v[163:164]
	v_mul_f64 v[163:164], v[131:132], v[163:164]
	ds_read_b128 v[5:8], v181 offset:1776
	s_waitcnt vmcnt(41)
	v_fma_f64 v[147:148], v[3:4], v[153:154], v[147:148]
	v_fma_f64 v[143:144], v[1:2], v[153:154], -v[143:144]
	ds_read_b128 v[1:4], v181 offset:1792
	v_add_f64 v[133:134], v[133:134], v[157:158]
	v_add_f64 v[135:136], v[135:136], v[137:138]
	s_waitcnt vmcnt(37) lgkmcnt(1)
	v_mul_f64 v[137:138], v[5:6], v[149:150]
	v_mul_f64 v[149:150], v[7:8], v[149:150]
	s_waitcnt vmcnt(36)
	v_fma_f64 v[153:154], v[129:130], v[165:166], -v[163:164]
	v_add_f64 v[133:134], v[133:134], v[143:144]
	v_fma_f64 v[143:144], v[131:132], v[165:166], v[145:146]
	v_add_f64 v[135:136], v[135:136], v[147:148]
	ds_read_b128 v[129:132], v181 offset:1808
	s_waitcnt vmcnt(35) lgkmcnt(1)
	v_mul_f64 v[147:148], v[3:4], v[171:172]
	v_mul_f64 v[145:146], v[1:2], v[171:172]
	s_waitcnt vmcnt(33)
	v_fma_f64 v[149:150], v[5:6], v[151:152], -v[149:150]
	v_fma_f64 v[137:138], v[7:8], v[151:152], v[137:138]
	ds_read_b128 v[5:8], v181 offset:1824
	v_add_f64 v[133:134], v[133:134], v[153:154]
	v_add_f64 v[135:136], v[135:136], v[143:144]
	s_waitcnt vmcnt(29) lgkmcnt(1)
	v_mul_f64 v[151:152], v[131:132], v[155:156]
	s_waitcnt vmcnt(28)
	v_fma_f64 v[147:148], v[1:2], v[173:174], -v[147:148]
	v_mul_f64 v[143:144], v[129:130], v[155:156]
	v_fma_f64 v[145:146], v[3:4], v[173:174], v[145:146]
	ds_read_b128 v[1:4], v181 offset:1840
	v_add_f64 v[133:134], v[133:134], v[149:150]
	v_add_f64 v[135:136], v[135:136], v[137:138]
	s_waitcnt vmcnt(27) lgkmcnt(1)
	v_mul_f64 v[149:150], v[7:8], v[177:178]
	v_mul_f64 v[137:138], v[5:6], v[177:178]
	s_waitcnt vmcnt(25)
	v_fma_f64 v[151:152], v[129:130], v[159:160], -v[151:152]
	v_fma_f64 v[143:144], v[131:132], v[159:160], v[143:144]
	ds_read_b128 v[129:132], v181 offset:1856
	v_add_f64 v[133:134], v[133:134], v[147:148]
	v_add_f64 v[135:136], v[135:136], v[145:146]
	s_waitcnt vmcnt(21) lgkmcnt(1)
	v_mul_f64 v[147:148], v[3:4], v[161:162]
	s_waitcnt vmcnt(20)
	v_fma_f64 v[149:150], v[5:6], v[179:180], -v[149:150]
	v_mul_f64 v[145:146], v[1:2], v[161:162]
	v_fma_f64 v[137:138], v[7:8], v[179:180], v[137:138]
	ds_read_b128 v[5:8], v181 offset:1872
	v_add_f64 v[133:134], v[133:134], v[151:152]
	v_add_f64 v[135:136], v[135:136], v[143:144]
	;; [unrolled: 18-line block ×3, first 2 shown]
	s_waitcnt vmcnt(11) lgkmcnt(1)
	v_mul_f64 v[147:148], v[3:4], v[186:187]
	v_mul_f64 v[145:146], v[1:2], v[186:187]
	s_waitcnt vmcnt(9)
	v_fma_f64 v[5:6], v[5:6], v[175:176], -v[149:150]
	v_fma_f64 v[7:8], v[7:8], v[175:176], v[137:138]
	v_add_f64 v[133:134], v[133:134], v[151:152]
	v_add_f64 v[135:136], v[135:136], v[143:144]
	s_waitcnt vmcnt(7) lgkmcnt(0)
	v_mul_f64 v[143:144], v[131:132], v[192:193]
	s_waitcnt vmcnt(6)
	v_fma_f64 v[1:2], v[1:2], v[209:210], -v[147:148]
	v_mul_f64 v[137:138], v[129:130], v[192:193]
	v_fma_f64 v[3:4], v[3:4], v[209:210], v[145:146]
	v_add_f64 v[5:6], v[133:134], v[5:6]
	v_add_f64 v[7:8], v[135:136], v[7:8]
	s_waitcnt vmcnt(4)
	v_fma_f64 v[129:130], v[129:130], v[139:140], -v[143:144]
	v_add_f64 v[1:2], v[5:6], v[1:2]
	v_fma_f64 v[5:6], v[131:132], v[139:140], v[137:138]
	v_add_f64 v[3:4], v[7:8], v[3:4]
	v_add_f64 v[1:2], v[1:2], v[129:130]
	;; [unrolled: 1-line block ×3, first 2 shown]
	s_waitcnt vmcnt(2)
	v_add_f64 v[1:2], v[141:142], -v[1:2]
	s_waitcnt vmcnt(0)
	v_add_f64 v[3:4], v[194:195], -v[3:4]
	buffer_store_dword v2, off, s[0:3], 0 offset:388
	buffer_store_dword v1, off, s[0:3], 0 offset:384
	;; [unrolled: 1-line block ×4, first 2 shown]
	v_cmpx_lt_u32_e32 22, v0
	s_cbranch_execz .LBB123_329
; %bb.328:
	v_mov_b32_e32 v4, s50
	v_mov_b32_e32 v5, 0
	s_clause 0x3
	buffer_load_dword v1, v4, s[0:3], 0 offen
	buffer_load_dword v2, v4, s[0:3], 0 offen offset:4
	buffer_load_dword v3, v4, s[0:3], 0 offen offset:8
	;; [unrolled: 1-line block ×3, first 2 shown]
	buffer_store_dword v5, off, s[0:3], 0 offset:368
	buffer_store_dword v5, off, s[0:3], 0 offset:372
	;; [unrolled: 1-line block ×4, first 2 shown]
	s_waitcnt vmcnt(0)
	ds_write_b128 v189, v[1:4]
.LBB123_329:
	s_or_b32 exec_lo, exec_lo, s4
	s_waitcnt lgkmcnt(0)
	s_waitcnt_vscnt null, 0x0
	s_barrier
	buffer_gl0_inv
	s_clause 0x37
	buffer_load_dword v129, off, s[0:3], 0 offset:392
	buffer_load_dword v130, off, s[0:3], 0 offset:396
	;; [unrolled: 1-line block ×56, first 2 shown]
	v_mov_b32_e32 v181, 0
	s_mov_b32 s4, exec_lo
	ds_read_b128 v[182:185], v181 offset:1328
	s_clause 0x2
	buffer_load_dword v178, off, s[0:3], 0 offset:620
	buffer_load_dword v180, off, s[0:3], 0 offset:596
	;; [unrolled: 1-line block ×3, first 2 shown]
	ds_read_b128 v[190:193], v181 offset:1344
	s_clause 0x4
	buffer_load_dword v199, off, s[0:3], 0 offset:636
	buffer_load_dword v200, off, s[0:3], 0 offset:648
	;; [unrolled: 1-line block ×5, first 2 shown]
	ds_read_b128 v[194:197], v181 offset:1360
	s_clause 0x2
	buffer_load_dword v201, off, s[0:3], 0 offset:652
	buffer_load_dword v206, off, s[0:3], 0 offset:628
	;; [unrolled: 1-line block ×3, first 2 shown]
	s_waitcnt vmcnt(62) lgkmcnt(2)
	v_mul_f64 v[186:187], v[184:185], v[129:130]
	v_mul_f64 v[129:130], v[182:183], v[129:130]
	s_waitcnt lgkmcnt(1)
	v_mul_f64 v[203:204], v[192:193], v[5:6]
	s_waitcnt vmcnt(59) lgkmcnt(0)
	v_mul_f64 v[207:208], v[196:197], v[3:4]
	v_fma_f64 v[182:183], v[182:183], v[7:8], -v[186:187]
	v_mul_f64 v[186:187], v[190:191], v[5:6]
	v_fma_f64 v[129:130], v[184:185], v[7:8], v[129:130]
	s_waitcnt vmcnt(57)
	v_fma_f64 v[190:191], v[190:191], v[1:2], -v[203:204]
	ds_read_b128 v[5:8], v181 offset:1376
	v_mul_f64 v[184:185], v[194:195], v[3:4]
	s_waitcnt vmcnt(51)
	v_fma_f64 v[194:195], v[194:195], v[145:146], -v[207:208]
	v_add_f64 v[182:183], v[182:183], 0
	v_fma_f64 v[186:187], v[192:193], v[1:2], v[186:187]
	v_add_f64 v[129:130], v[129:130], 0
	s_clause 0x4
	buffer_load_dword v193, off, s[0:3], 0 offset:668
	buffer_load_dword v209, off, s[0:3], 0 offset:680
	;; [unrolled: 1-line block ×5, first 2 shown]
	s_waitcnt lgkmcnt(0)
	v_mul_f64 v[212:213], v[5:6], v[133:134]
	v_mul_f64 v[133:134], v[7:8], v[133:134]
	ds_read_b128 v[1:4], v181 offset:1392
	v_fma_f64 v[145:146], v[196:197], v[145:146], v[184:185]
	v_add_f64 v[190:191], v[182:183], v[190:191]
	v_add_f64 v[129:130], v[129:130], v[186:187]
	s_clause 0x2
	buffer_load_dword v210, off, s[0:3], 0 offset:684
	buffer_load_dword v187, off, s[0:3], 0 offset:660
	;; [unrolled: 1-line block ×3, first 2 shown]
	s_waitcnt vmcnt(58) lgkmcnt(0)
	v_mul_f64 v[196:197], v[1:2], v[137:138]
	v_mul_f64 v[137:138], v[3:4], v[137:138]
	s_waitcnt vmcnt(56)
	v_fma_f64 v[133:134], v[5:6], v[139:140], -v[133:134]
	ds_read_b128 v[182:185], v181 offset:1408
	v_fma_f64 v[139:140], v[7:8], v[139:140], v[212:213]
	v_add_f64 v[190:191], v[190:191], v[194:195]
	v_add_f64 v[129:130], v[129:130], v[145:146]
	s_clause 0x4
	buffer_load_dword v146, off, s[0:3], 0 offset:700
	buffer_load_dword v194, off, s[0:3], 0 offset:712
	;; [unrolled: 1-line block ×5, first 2 shown]
	ds_read_b128 v[5:8], v181 offset:1424
	s_waitcnt vmcnt(57) lgkmcnt(1)
	v_mul_f64 v[213:214], v[182:183], v[141:142]
	v_mul_f64 v[141:142], v[184:185], v[141:142]
	s_waitcnt vmcnt(56)
	v_fma_f64 v[137:138], v[1:2], v[131:132], -v[137:138]
	v_fma_f64 v[131:132], v[3:4], v[131:132], v[196:197]
	v_add_f64 v[133:134], v[190:191], v[133:134]
	v_add_f64 v[129:130], v[129:130], v[139:140]
	s_clause 0x2
	buffer_load_dword v195, off, s[0:3], 0 offset:716
	buffer_load_dword v140, off, s[0:3], 0 offset:692
	;; [unrolled: 1-line block ×3, first 2 shown]
	s_waitcnt vmcnt(58) lgkmcnt(0)
	v_mul_f64 v[190:191], v[5:6], v[147:148]
	v_mul_f64 v[147:148], v[7:8], v[147:148]
	s_waitcnt vmcnt(56)
	v_fma_f64 v[141:142], v[182:183], v[149:150], -v[141:142]
	ds_read_b128 v[1:4], v181 offset:1440
	v_add_f64 v[133:134], v[133:134], v[137:138]
	v_fma_f64 v[137:138], v[184:185], v[149:150], v[213:214]
	v_add_f64 v[149:150], v[129:130], v[131:132]
	s_clause 0x4
	buffer_load_dword v183, off, s[0:3], 0 offset:732
	buffer_load_dword v184, off, s[0:3], 0 offset:744
	;; [unrolled: 1-line block ×5, first 2 shown]
	ds_read_b128 v[129:132], v181 offset:1456
	s_waitcnt vmcnt(57) lgkmcnt(1)
	v_mul_f64 v[213:214], v[1:2], v[151:152]
	v_mul_f64 v[151:152], v[3:4], v[151:152]
	s_waitcnt vmcnt(56)
	v_fma_f64 v[147:148], v[5:6], v[135:136], -v[147:148]
	v_fma_f64 v[135:136], v[7:8], v[135:136], v[190:191]
	v_add_f64 v[133:134], v[133:134], v[141:142]
	s_clause 0x2
	buffer_load_dword v185, off, s[0:3], 0 offset:748
	buffer_load_dword v142, off, s[0:3], 0 offset:724
	;; [unrolled: 1-line block ×3, first 2 shown]
	v_add_f64 v[137:138], v[149:150], v[137:138]
	s_waitcnt vmcnt(58) lgkmcnt(0)
	v_mul_f64 v[149:150], v[129:130], v[155:156]
	v_mul_f64 v[155:156], v[131:132], v[155:156]
	ds_read_b128 v[5:8], v181 offset:1472
	s_waitcnt vmcnt(56)
	v_fma_f64 v[151:152], v[1:2], v[157:158], -v[151:152]
	v_add_f64 v[133:134], v[133:134], v[147:148]
	v_fma_f64 v[147:148], v[3:4], v[157:158], v[213:214]
	v_add_f64 v[135:136], v[137:138], v[135:136]
	s_clause 0x4
	buffer_load_dword v138, off, s[0:3], 0 offset:764
	buffer_load_dword v157, off, s[0:3], 0 offset:776
	;; [unrolled: 1-line block ×5, first 2 shown]
	s_waitcnt vmcnt(57) lgkmcnt(0)
	v_mul_f64 v[213:214], v[5:6], v[159:160]
	v_mul_f64 v[159:160], v[7:8], v[159:160]
	s_waitcnt vmcnt(56)
	v_fma_f64 v[155:156], v[129:130], v[143:144], -v[155:156]
	ds_read_b128 v[1:4], v181 offset:1488
	v_fma_f64 v[143:144], v[131:132], v[143:144], v[149:150]
	v_add_f64 v[133:134], v[133:134], v[151:152]
	v_add_f64 v[135:136], v[135:136], v[147:148]
	s_clause 0x2
	buffer_load_dword v158, off, s[0:3], 0 offset:780
	buffer_load_dword v148, off, s[0:3], 0 offset:756
	;; [unrolled: 1-line block ×3, first 2 shown]
	ds_read_b128 v[129:132], v181 offset:1504
	s_waitcnt vmcnt(58) lgkmcnt(1)
	v_mul_f64 v[151:152], v[3:4], v[163:164]
	s_waitcnt vmcnt(56)
	v_fma_f64 v[159:160], v[5:6], v[165:166], -v[159:160]
	v_mul_f64 v[149:150], v[1:2], v[163:164]
	v_add_f64 v[133:134], v[133:134], v[155:156]
	v_fma_f64 v[155:156], v[7:8], v[165:166], v[213:214]
	v_add_f64 v[135:136], v[135:136], v[143:144]
	s_clause 0x4
	buffer_load_dword v144, off, s[0:3], 0 offset:796
	buffer_load_dword v163, off, s[0:3], 0 offset:808
	;; [unrolled: 1-line block ×5, first 2 shown]
	s_waitcnt vmcnt(57) lgkmcnt(0)
	v_mul_f64 v[213:214], v[129:130], v[167:168]
	v_mul_f64 v[166:167], v[131:132], v[167:168]
	s_waitcnt vmcnt(56)
	v_fma_f64 v[151:152], v[1:2], v[153:154], -v[151:152]
	ds_read_b128 v[5:8], v181 offset:1520
	v_fma_f64 v[149:150], v[3:4], v[153:154], v[149:150]
	s_clause 0x2
	buffer_load_dword v164, off, s[0:3], 0 offset:812
	buffer_load_dword v154, off, s[0:3], 0 offset:788
	;; [unrolled: 1-line block ×3, first 2 shown]
	ds_read_b128 v[1:4], v181 offset:1536
	v_add_f64 v[133:134], v[133:134], v[159:160]
	v_add_f64 v[135:136], v[135:136], v[155:156]
	s_waitcnt vmcnt(58) lgkmcnt(1)
	v_mul_f64 v[159:160], v[7:8], v[171:172]
	s_waitcnt vmcnt(56)
	v_fma_f64 v[167:168], v[129:130], v[173:174], -v[166:167]
	v_mul_f64 v[155:156], v[5:6], v[171:172]
	v_add_f64 v[133:134], v[133:134], v[151:152]
	v_fma_f64 v[151:152], v[131:132], v[173:174], v[213:214]
	v_add_f64 v[135:136], v[135:136], v[149:150]
	s_clause 0x4
	buffer_load_dword v150, off, s[0:3], 0 offset:828
	buffer_load_dword v171, off, s[0:3], 0 offset:840
	buffer_load_dword v173, off, s[0:3], 0 offset:832
	buffer_load_dword v149, off, s[0:3], 0 offset:824
	buffer_load_dword v166, off, s[0:3], 0 offset:804
	s_waitcnt vmcnt(57) lgkmcnt(0)
	v_mul_f64 v[213:214], v[1:2], v[175:176]
	v_mul_f64 v[174:175], v[3:4], v[175:176]
	s_waitcnt vmcnt(56)
	v_fma_f64 v[159:160], v[5:6], v[161:162], -v[159:160]
	ds_read_b128 v[129:132], v181 offset:1552
	v_fma_f64 v[155:156], v[7:8], v[161:162], v[155:156]
	v_add_f64 v[133:134], v[133:134], v[167:168]
	v_add_f64 v[135:136], v[135:136], v[151:152]
	s_clause 0x2
	buffer_load_dword v172, off, s[0:3], 0 offset:844
	buffer_load_dword v152, off, s[0:3], 0 offset:820
	;; [unrolled: 1-line block ×3, first 2 shown]
	ds_read_b128 v[5:8], v181 offset:1568
	s_waitcnt vmcnt(58) lgkmcnt(1)
	v_mul_f64 v[167:168], v[131:132], v[177:178]
	s_waitcnt vmcnt(56)
	v_fma_f64 v[175:176], v[1:2], v[179:180], -v[174:175]
	v_mul_f64 v[161:162], v[129:130], v[177:178]
	v_add_f64 v[133:134], v[133:134], v[159:160]
	v_fma_f64 v[159:160], v[3:4], v[179:180], v[213:214]
	v_add_f64 v[135:136], v[135:136], v[155:156]
	s_clause 0x4
	buffer_load_dword v156, off, s[0:3], 0 offset:860
	buffer_load_dword v177, off, s[0:3], 0 offset:872
	;; [unrolled: 1-line block ×5, first 2 shown]
	s_waitcnt vmcnt(57) lgkmcnt(0)
	v_mul_f64 v[213:214], v[5:6], v[198:199]
	v_mul_f64 v[198:199], v[7:8], v[198:199]
	s_waitcnt vmcnt(56)
	v_fma_f64 v[167:168], v[129:130], v[169:170], -v[167:168]
	ds_read_b128 v[1:4], v181 offset:1584
	v_fma_f64 v[161:162], v[131:132], v[169:170], v[161:162]
	v_add_f64 v[133:134], v[133:134], v[175:176]
	v_add_f64 v[135:136], v[135:136], v[159:160]
	s_clause 0x2
	buffer_load_dword v178, off, s[0:3], 0 offset:876
	buffer_load_dword v160, off, s[0:3], 0 offset:852
	;; [unrolled: 1-line block ×3, first 2 shown]
	ds_read_b128 v[129:132], v181 offset:1600
	s_waitcnt vmcnt(58) lgkmcnt(1)
	v_mul_f64 v[175:176], v[3:4], v[200:201]
	s_waitcnt vmcnt(56)
	v_fma_f64 v[198:199], v[5:6], v[205:206], -v[198:199]
	v_mul_f64 v[169:170], v[1:2], v[200:201]
	v_add_f64 v[133:134], v[133:134], v[167:168]
	v_fma_f64 v[167:168], v[7:8], v[205:206], v[213:214]
	v_add_f64 v[135:136], v[135:136], v[161:162]
	s_clause 0x4
	buffer_load_dword v162, off, s[0:3], 0 offset:892
	buffer_load_dword v200, off, s[0:3], 0 offset:904
	;; [unrolled: 1-line block ×5, first 2 shown]
	ds_read_b128 v[5:8], v181 offset:1616
	s_waitcnt vmcnt(57) lgkmcnt(1)
	v_mul_f64 v[205:206], v[129:130], v[192:193]
	v_mul_f64 v[192:193], v[131:132], v[192:193]
	s_waitcnt vmcnt(56)
	v_fma_f64 v[175:176], v[1:2], v[202:203], -v[175:176]
	v_fma_f64 v[169:170], v[3:4], v[202:203], v[169:170]
	v_add_f64 v[133:134], v[133:134], v[198:199]
	v_add_f64 v[135:136], v[135:136], v[167:168]
	s_clause 0x2
	buffer_load_dword v201, off, s[0:3], 0 offset:908
	buffer_load_dword v168, off, s[0:3], 0 offset:884
	;; [unrolled: 1-line block ×3, first 2 shown]
	ds_read_b128 v[1:4], v181 offset:1632
	s_waitcnt vmcnt(58) lgkmcnt(1)
	v_mul_f64 v[202:203], v[7:8], v[209:210]
	v_mul_f64 v[198:199], v[5:6], v[209:210]
	s_waitcnt vmcnt(56)
	v_fma_f64 v[192:193], v[129:130], v[186:187], -v[192:193]
	v_add_f64 v[133:134], v[133:134], v[175:176]
	v_fma_f64 v[175:176], v[131:132], v[186:187], v[205:206]
	v_add_f64 v[135:136], v[135:136], v[169:170]
	s_clause 0x4
	buffer_load_dword v170, off, s[0:3], 0 offset:924
	buffer_load_dword v186, off, s[0:3], 0 offset:936
	;; [unrolled: 1-line block ×5, first 2 shown]
	ds_read_b128 v[129:132], v181 offset:1648
	s_waitcnt vmcnt(57) lgkmcnt(1)
	v_mul_f64 v[213:214], v[1:2], v[145:146]
	v_mul_f64 v[145:146], v[3:4], v[145:146]
	s_waitcnt vmcnt(56)
	v_fma_f64 v[202:203], v[5:6], v[211:212], -v[202:203]
	v_add_f64 v[133:134], v[133:134], v[192:193]
	v_fma_f64 v[192:193], v[7:8], v[211:212], v[198:199]
	v_add_f64 v[135:136], v[135:136], v[175:176]
	s_clause 0x2
	buffer_load_dword v187, off, s[0:3], 0 offset:940
	buffer_load_dword v176, off, s[0:3], 0 offset:916
	;; [unrolled: 1-line block ×3, first 2 shown]
	ds_read_b128 v[5:8], v181 offset:1664
	s_waitcnt vmcnt(58) lgkmcnt(1)
	v_mul_f64 v[198:199], v[129:130], v[194:195]
	v_mul_f64 v[194:195], v[131:132], v[194:195]
	s_waitcnt vmcnt(56)
	v_fma_f64 v[145:146], v[1:2], v[139:140], -v[145:146]
	v_fma_f64 v[139:140], v[3:4], v[139:140], v[213:214]
	v_add_f64 v[133:134], v[133:134], v[202:203]
	v_add_f64 v[135:136], v[135:136], v[192:193]
	s_clause 0x4
	buffer_load_dword v193, off, s[0:3], 0 offset:956
	buffer_load_dword v202, off, s[0:3], 0 offset:968
	;; [unrolled: 1-line block ×5, first 2 shown]
	ds_read_b128 v[1:4], v181 offset:1680
	s_waitcnt vmcnt(57) lgkmcnt(1)
	v_mul_f64 v[211:212], v[5:6], v[182:183]
	v_mul_f64 v[182:183], v[7:8], v[182:183]
	s_waitcnt vmcnt(56)
	v_fma_f64 v[194:195], v[129:130], v[207:208], -v[194:195]
	v_add_f64 v[133:134], v[133:134], v[145:146]
	v_fma_f64 v[145:146], v[131:132], v[207:208], v[198:199]
	v_add_f64 v[135:136], v[135:136], v[139:140]
	s_clause 0x2
	buffer_load_dword v203, off, s[0:3], 0 offset:972
	buffer_load_dword v140, off, s[0:3], 0 offset:948
	;; [unrolled: 1-line block ×3, first 2 shown]
	ds_read_b128 v[129:132], v181 offset:1696
	buffer_load_dword v207, off, s[0:3], 0 offset:964
	s_waitcnt vmcnt(59) lgkmcnt(1)
	v_mul_f64 v[198:199], v[1:2], v[184:185]
	v_mul_f64 v[184:185], v[3:4], v[184:185]
	s_waitcnt vmcnt(57)
	v_fma_f64 v[182:183], v[5:6], v[141:142], -v[182:183]
	v_fma_f64 v[141:142], v[7:8], v[141:142], v[211:212]
	ds_read_b128 v[5:8], v181 offset:1712
	v_add_f64 v[133:134], v[133:134], v[194:195]
	v_add_f64 v[135:136], v[135:136], v[145:146]
	s_waitcnt vmcnt(53) lgkmcnt(1)
	v_mul_f64 v[145:146], v[129:130], v[137:138]
	v_mul_f64 v[137:138], v[131:132], v[137:138]
	s_waitcnt vmcnt(52)
	v_fma_f64 v[184:185], v[1:2], v[196:197], -v[184:185]
	v_add_f64 v[133:134], v[133:134], v[182:183]
	v_fma_f64 v[182:183], v[3:4], v[196:197], v[198:199]
	v_add_f64 v[135:136], v[135:136], v[141:142]
	ds_read_b128 v[1:4], v181 offset:1728
	s_waitcnt vmcnt(51) lgkmcnt(1)
	v_mul_f64 v[141:142], v[5:6], v[157:158]
	v_mul_f64 v[157:158], v[7:8], v[157:158]
	s_waitcnt vmcnt(49)
	v_fma_f64 v[137:138], v[129:130], v[147:148], -v[137:138]
	v_fma_f64 v[145:146], v[131:132], v[147:148], v[145:146]
	v_add_f64 v[133:134], v[133:134], v[184:185]
	v_add_f64 v[135:136], v[135:136], v[182:183]
	s_clause 0x3
	buffer_load_dword v147, off, s[0:3], 0 offset:368
	buffer_load_dword v148, off, s[0:3], 0 offset:372
	;; [unrolled: 1-line block ×4, first 2 shown]
	ds_read_b128 v[129:132], v181 offset:1744
	s_waitcnt vmcnt(49) lgkmcnt(1)
	v_mul_f64 v[184:185], v[1:2], v[143:144]
	v_mul_f64 v[143:144], v[3:4], v[143:144]
	s_waitcnt vmcnt(48)
	v_fma_f64 v[157:158], v[5:6], v[190:191], -v[157:158]
	v_add_f64 v[133:134], v[133:134], v[137:138]
	v_fma_f64 v[137:138], v[7:8], v[190:191], v[141:142]
	v_add_f64 v[135:136], v[135:136], v[145:146]
	ds_read_b128 v[5:8], v181 offset:1760
	s_waitcnt vmcnt(47) lgkmcnt(1)
	v_mul_f64 v[145:146], v[131:132], v[163:164]
	v_mul_f64 v[141:142], v[129:130], v[163:164]
	s_waitcnt vmcnt(45)
	v_fma_f64 v[143:144], v[1:2], v[153:154], -v[143:144]
	v_fma_f64 v[153:154], v[3:4], v[153:154], v[184:185]
	ds_read_b128 v[1:4], v181 offset:1776
	v_add_f64 v[133:134], v[133:134], v[157:158]
	v_add_f64 v[135:136], v[135:136], v[137:138]
	s_waitcnt vmcnt(41) lgkmcnt(1)
	v_mul_f64 v[137:138], v[5:6], v[149:150]
	v_mul_f64 v[149:150], v[7:8], v[149:150]
	s_waitcnt vmcnt(40)
	v_fma_f64 v[145:146], v[129:130], v[165:166], -v[145:146]
	v_fma_f64 v[141:142], v[131:132], v[165:166], v[141:142]
	ds_read_b128 v[129:132], v181 offset:1792
	v_add_f64 v[133:134], v[133:134], v[143:144]
	v_add_f64 v[135:136], v[135:136], v[153:154]
	;; [unrolled: 9-line block ×3, first 2 shown]
	s_waitcnt vmcnt(33) lgkmcnt(1)
	v_mul_f64 v[145:146], v[131:132], v[155:156]
	s_waitcnt vmcnt(32)
	v_fma_f64 v[151:152], v[1:2], v[173:174], -v[153:154]
	v_mul_f64 v[141:142], v[129:130], v[155:156]
	v_fma_f64 v[143:144], v[3:4], v[173:174], v[143:144]
	ds_read_b128 v[1:4], v181 offset:1824
	v_add_f64 v[133:134], v[133:134], v[149:150]
	v_add_f64 v[135:136], v[135:136], v[137:138]
	s_waitcnt vmcnt(31) lgkmcnt(1)
	v_mul_f64 v[149:150], v[7:8], v[177:178]
	v_mul_f64 v[137:138], v[5:6], v[177:178]
	s_waitcnt vmcnt(29)
	v_fma_f64 v[145:146], v[129:130], v[159:160], -v[145:146]
	v_fma_f64 v[141:142], v[131:132], v[159:160], v[141:142]
	ds_read_b128 v[129:132], v181 offset:1840
	v_add_f64 v[133:134], v[133:134], v[151:152]
	v_add_f64 v[135:136], v[135:136], v[143:144]
	s_waitcnt vmcnt(25) lgkmcnt(1)
	v_mul_f64 v[151:152], v[3:4], v[161:162]
	s_waitcnt vmcnt(24)
	v_fma_f64 v[149:150], v[5:6], v[179:180], -v[149:150]
	v_mul_f64 v[143:144], v[1:2], v[161:162]
	v_fma_f64 v[137:138], v[7:8], v[179:180], v[137:138]
	ds_read_b128 v[5:8], v181 offset:1856
	v_add_f64 v[133:134], v[133:134], v[145:146]
	v_add_f64 v[135:136], v[135:136], v[141:142]
	s_waitcnt vmcnt(23) lgkmcnt(1)
	v_mul_f64 v[145:146], v[131:132], v[200:201]
	v_mul_f64 v[141:142], v[129:130], v[200:201]
	s_waitcnt vmcnt(21)
	v_fma_f64 v[151:152], v[1:2], v[167:168], -v[151:152]
	v_fma_f64 v[143:144], v[3:4], v[167:168], v[143:144]
	ds_read_b128 v[1:4], v181 offset:1872
	v_add_f64 v[133:134], v[133:134], v[149:150]
	v_add_f64 v[135:136], v[135:136], v[137:138]
	;; [unrolled: 18-line block ×3, first 2 shown]
	s_waitcnt vmcnt(9) lgkmcnt(1)
	v_mul_f64 v[145:146], v[131:132], v[192:193]
	s_waitcnt vmcnt(8)
	v_fma_f64 v[1:2], v[1:2], v[209:210], -v[151:152]
	v_mul_f64 v[141:142], v[129:130], v[192:193]
	v_fma_f64 v[3:4], v[3:4], v[209:210], v[143:144]
	v_add_f64 v[133:134], v[133:134], v[149:150]
	v_add_f64 v[135:136], v[135:136], v[137:138]
	s_waitcnt vmcnt(7) lgkmcnt(0)
	v_mul_f64 v[143:144], v[7:8], v[202:203]
	v_mul_f64 v[137:138], v[5:6], v[202:203]
	s_waitcnt vmcnt(5)
	v_fma_f64 v[129:130], v[129:130], v[139:140], -v[145:146]
	v_fma_f64 v[131:132], v[131:132], v[139:140], v[141:142]
	v_add_f64 v[1:2], v[133:134], v[1:2]
	v_add_f64 v[3:4], v[135:136], v[3:4]
	s_waitcnt vmcnt(4)
	v_fma_f64 v[5:6], v[5:6], v[206:207], -v[143:144]
	v_fma_f64 v[7:8], v[7:8], v[206:207], v[137:138]
	v_add_f64 v[1:2], v[1:2], v[129:130]
	v_add_f64 v[3:4], v[3:4], v[131:132]
	;; [unrolled: 1-line block ×4, first 2 shown]
	s_waitcnt vmcnt(2)
	v_add_f64 v[1:2], v[147:148], -v[1:2]
	s_waitcnt vmcnt(0)
	v_add_f64 v[3:4], v[182:183], -v[3:4]
	buffer_store_dword v2, off, s[0:3], 0 offset:372
	buffer_store_dword v1, off, s[0:3], 0 offset:368
	;; [unrolled: 1-line block ×4, first 2 shown]
	v_cmpx_lt_u32_e32 21, v0
	s_cbranch_execz .LBB123_331
; %bb.330:
	v_mov_b32_e32 v4, s51
	s_clause 0x3
	buffer_load_dword v1, v4, s[0:3], 0 offen
	buffer_load_dword v2, v4, s[0:3], 0 offen offset:4
	buffer_load_dword v3, v4, s[0:3], 0 offen offset:8
	;; [unrolled: 1-line block ×3, first 2 shown]
	buffer_store_dword v181, off, s[0:3], 0 offset:352
	buffer_store_dword v181, off, s[0:3], 0 offset:356
	;; [unrolled: 1-line block ×4, first 2 shown]
	s_waitcnt vmcnt(0)
	ds_write_b128 v189, v[1:4]
.LBB123_331:
	s_or_b32 exec_lo, exec_lo, s4
	s_waitcnt lgkmcnt(0)
	s_waitcnt_vscnt null, 0x0
	s_barrier
	buffer_gl0_inv
	s_clause 0x37
	buffer_load_dword v129, off, s[0:3], 0 offset:376
	buffer_load_dword v130, off, s[0:3], 0 offset:380
	;; [unrolled: 1-line block ×56, first 2 shown]
	ds_read_b128 v[182:185], v181 offset:1312
	s_clause 0x2
	buffer_load_dword v178, off, s[0:3], 0 offset:604
	buffer_load_dword v180, off, s[0:3], 0 offset:580
	;; [unrolled: 1-line block ×3, first 2 shown]
	ds_read_b128 v[190:193], v181 offset:1328
	s_clause 0x4
	buffer_load_dword v199, off, s[0:3], 0 offset:620
	buffer_load_dword v200, off, s[0:3], 0 offset:632
	;; [unrolled: 1-line block ×5, first 2 shown]
	ds_read_b128 v[194:197], v181 offset:1344
	s_clause 0x2
	buffer_load_dword v201, off, s[0:3], 0 offset:636
	buffer_load_dword v206, off, s[0:3], 0 offset:612
	;; [unrolled: 1-line block ×3, first 2 shown]
	s_mov_b32 s4, exec_lo
	s_waitcnt vmcnt(62) lgkmcnt(2)
	v_mul_f64 v[186:187], v[184:185], v[129:130]
	v_mul_f64 v[129:130], v[182:183], v[129:130]
	s_waitcnt lgkmcnt(1)
	v_mul_f64 v[203:204], v[192:193], v[5:6]
	s_waitcnt vmcnt(59) lgkmcnt(0)
	v_mul_f64 v[207:208], v[196:197], v[3:4]
	v_fma_f64 v[182:183], v[182:183], v[7:8], -v[186:187]
	v_mul_f64 v[186:187], v[190:191], v[5:6]
	v_fma_f64 v[129:130], v[184:185], v[7:8], v[129:130]
	s_waitcnt vmcnt(57)
	v_fma_f64 v[190:191], v[190:191], v[1:2], -v[203:204]
	ds_read_b128 v[5:8], v181 offset:1360
	v_mul_f64 v[184:185], v[194:195], v[3:4]
	s_waitcnt vmcnt(51)
	v_fma_f64 v[194:195], v[194:195], v[145:146], -v[207:208]
	v_add_f64 v[182:183], v[182:183], 0
	v_fma_f64 v[186:187], v[192:193], v[1:2], v[186:187]
	v_add_f64 v[129:130], v[129:130], 0
	s_clause 0x4
	buffer_load_dword v193, off, s[0:3], 0 offset:652
	buffer_load_dword v209, off, s[0:3], 0 offset:664
	;; [unrolled: 1-line block ×5, first 2 shown]
	s_waitcnt lgkmcnt(0)
	v_mul_f64 v[212:213], v[5:6], v[133:134]
	v_mul_f64 v[133:134], v[7:8], v[133:134]
	ds_read_b128 v[1:4], v181 offset:1376
	v_fma_f64 v[145:146], v[196:197], v[145:146], v[184:185]
	v_add_f64 v[190:191], v[182:183], v[190:191]
	v_add_f64 v[129:130], v[129:130], v[186:187]
	s_clause 0x2
	buffer_load_dword v210, off, s[0:3], 0 offset:668
	buffer_load_dword v187, off, s[0:3], 0 offset:644
	;; [unrolled: 1-line block ×3, first 2 shown]
	s_waitcnt vmcnt(58) lgkmcnt(0)
	v_mul_f64 v[196:197], v[1:2], v[137:138]
	v_mul_f64 v[137:138], v[3:4], v[137:138]
	s_waitcnt vmcnt(56)
	v_fma_f64 v[133:134], v[5:6], v[139:140], -v[133:134]
	ds_read_b128 v[182:185], v181 offset:1392
	v_fma_f64 v[139:140], v[7:8], v[139:140], v[212:213]
	v_add_f64 v[190:191], v[190:191], v[194:195]
	v_add_f64 v[129:130], v[129:130], v[145:146]
	s_clause 0x4
	buffer_load_dword v146, off, s[0:3], 0 offset:684
	buffer_load_dword v194, off, s[0:3], 0 offset:696
	;; [unrolled: 1-line block ×5, first 2 shown]
	ds_read_b128 v[5:8], v181 offset:1408
	s_waitcnt vmcnt(57) lgkmcnt(1)
	v_mul_f64 v[213:214], v[182:183], v[141:142]
	v_mul_f64 v[141:142], v[184:185], v[141:142]
	s_waitcnt vmcnt(56)
	v_fma_f64 v[137:138], v[1:2], v[131:132], -v[137:138]
	v_fma_f64 v[131:132], v[3:4], v[131:132], v[196:197]
	v_add_f64 v[133:134], v[190:191], v[133:134]
	v_add_f64 v[129:130], v[129:130], v[139:140]
	s_clause 0x2
	buffer_load_dword v195, off, s[0:3], 0 offset:700
	buffer_load_dword v140, off, s[0:3], 0 offset:676
	buffer_load_dword v139, off, s[0:3], 0 offset:672
	s_waitcnt vmcnt(58) lgkmcnt(0)
	v_mul_f64 v[190:191], v[5:6], v[147:148]
	v_mul_f64 v[147:148], v[7:8], v[147:148]
	s_waitcnt vmcnt(56)
	v_fma_f64 v[141:142], v[182:183], v[149:150], -v[141:142]
	ds_read_b128 v[1:4], v181 offset:1424
	v_add_f64 v[133:134], v[133:134], v[137:138]
	v_fma_f64 v[137:138], v[184:185], v[149:150], v[213:214]
	v_add_f64 v[149:150], v[129:130], v[131:132]
	s_clause 0x4
	buffer_load_dword v183, off, s[0:3], 0 offset:716
	buffer_load_dword v184, off, s[0:3], 0 offset:728
	;; [unrolled: 1-line block ×5, first 2 shown]
	ds_read_b128 v[129:132], v181 offset:1440
	s_waitcnt vmcnt(57) lgkmcnt(1)
	v_mul_f64 v[213:214], v[1:2], v[151:152]
	v_mul_f64 v[151:152], v[3:4], v[151:152]
	s_waitcnt vmcnt(56)
	v_fma_f64 v[147:148], v[5:6], v[135:136], -v[147:148]
	v_fma_f64 v[135:136], v[7:8], v[135:136], v[190:191]
	v_add_f64 v[133:134], v[133:134], v[141:142]
	s_clause 0x2
	buffer_load_dword v185, off, s[0:3], 0 offset:732
	buffer_load_dword v142, off, s[0:3], 0 offset:708
	;; [unrolled: 1-line block ×3, first 2 shown]
	v_add_f64 v[137:138], v[149:150], v[137:138]
	s_waitcnt vmcnt(58) lgkmcnt(0)
	v_mul_f64 v[149:150], v[129:130], v[155:156]
	v_mul_f64 v[155:156], v[131:132], v[155:156]
	ds_read_b128 v[5:8], v181 offset:1456
	s_waitcnt vmcnt(56)
	v_fma_f64 v[151:152], v[1:2], v[157:158], -v[151:152]
	v_add_f64 v[133:134], v[133:134], v[147:148]
	v_fma_f64 v[147:148], v[3:4], v[157:158], v[213:214]
	v_add_f64 v[135:136], v[137:138], v[135:136]
	s_clause 0x4
	buffer_load_dword v138, off, s[0:3], 0 offset:748
	buffer_load_dword v157, off, s[0:3], 0 offset:760
	;; [unrolled: 1-line block ×5, first 2 shown]
	s_waitcnt vmcnt(57) lgkmcnt(0)
	v_mul_f64 v[213:214], v[5:6], v[159:160]
	v_mul_f64 v[159:160], v[7:8], v[159:160]
	s_waitcnt vmcnt(56)
	v_fma_f64 v[155:156], v[129:130], v[143:144], -v[155:156]
	ds_read_b128 v[1:4], v181 offset:1472
	v_fma_f64 v[143:144], v[131:132], v[143:144], v[149:150]
	v_add_f64 v[133:134], v[133:134], v[151:152]
	v_add_f64 v[135:136], v[135:136], v[147:148]
	s_clause 0x2
	buffer_load_dword v158, off, s[0:3], 0 offset:764
	buffer_load_dword v148, off, s[0:3], 0 offset:740
	;; [unrolled: 1-line block ×3, first 2 shown]
	ds_read_b128 v[129:132], v181 offset:1488
	s_waitcnt vmcnt(58) lgkmcnt(1)
	v_mul_f64 v[151:152], v[3:4], v[163:164]
	s_waitcnt vmcnt(56)
	v_fma_f64 v[159:160], v[5:6], v[165:166], -v[159:160]
	v_mul_f64 v[149:150], v[1:2], v[163:164]
	v_add_f64 v[133:134], v[133:134], v[155:156]
	v_fma_f64 v[155:156], v[7:8], v[165:166], v[213:214]
	v_add_f64 v[135:136], v[135:136], v[143:144]
	s_clause 0x4
	buffer_load_dword v144, off, s[0:3], 0 offset:780
	buffer_load_dword v163, off, s[0:3], 0 offset:792
	;; [unrolled: 1-line block ×5, first 2 shown]
	s_waitcnt vmcnt(57) lgkmcnt(0)
	v_mul_f64 v[213:214], v[129:130], v[167:168]
	v_mul_f64 v[166:167], v[131:132], v[167:168]
	s_waitcnt vmcnt(56)
	v_fma_f64 v[151:152], v[1:2], v[153:154], -v[151:152]
	ds_read_b128 v[5:8], v181 offset:1504
	v_fma_f64 v[149:150], v[3:4], v[153:154], v[149:150]
	s_clause 0x2
	buffer_load_dword v164, off, s[0:3], 0 offset:796
	buffer_load_dword v154, off, s[0:3], 0 offset:772
	buffer_load_dword v153, off, s[0:3], 0 offset:768
	ds_read_b128 v[1:4], v181 offset:1520
	v_add_f64 v[133:134], v[133:134], v[159:160]
	v_add_f64 v[135:136], v[135:136], v[155:156]
	s_waitcnt vmcnt(58) lgkmcnt(1)
	v_mul_f64 v[159:160], v[7:8], v[171:172]
	s_waitcnt vmcnt(56)
	v_fma_f64 v[167:168], v[129:130], v[173:174], -v[166:167]
	v_mul_f64 v[155:156], v[5:6], v[171:172]
	v_add_f64 v[133:134], v[133:134], v[151:152]
	v_fma_f64 v[151:152], v[131:132], v[173:174], v[213:214]
	v_add_f64 v[135:136], v[135:136], v[149:150]
	s_clause 0x4
	buffer_load_dword v150, off, s[0:3], 0 offset:812
	buffer_load_dword v171, off, s[0:3], 0 offset:824
	;; [unrolled: 1-line block ×5, first 2 shown]
	s_waitcnt vmcnt(57) lgkmcnt(0)
	v_mul_f64 v[213:214], v[1:2], v[175:176]
	v_mul_f64 v[174:175], v[3:4], v[175:176]
	s_waitcnt vmcnt(56)
	v_fma_f64 v[159:160], v[5:6], v[161:162], -v[159:160]
	ds_read_b128 v[129:132], v181 offset:1536
	v_fma_f64 v[155:156], v[7:8], v[161:162], v[155:156]
	v_add_f64 v[133:134], v[133:134], v[167:168]
	v_add_f64 v[135:136], v[135:136], v[151:152]
	s_clause 0x2
	buffer_load_dword v172, off, s[0:3], 0 offset:828
	buffer_load_dword v152, off, s[0:3], 0 offset:804
	;; [unrolled: 1-line block ×3, first 2 shown]
	ds_read_b128 v[5:8], v181 offset:1552
	s_waitcnt vmcnt(58) lgkmcnt(1)
	v_mul_f64 v[167:168], v[131:132], v[177:178]
	s_waitcnt vmcnt(56)
	v_fma_f64 v[175:176], v[1:2], v[179:180], -v[174:175]
	v_mul_f64 v[161:162], v[129:130], v[177:178]
	v_add_f64 v[133:134], v[133:134], v[159:160]
	v_fma_f64 v[159:160], v[3:4], v[179:180], v[213:214]
	v_add_f64 v[135:136], v[135:136], v[155:156]
	s_clause 0x4
	buffer_load_dword v156, off, s[0:3], 0 offset:844
	buffer_load_dword v177, off, s[0:3], 0 offset:856
	;; [unrolled: 1-line block ×5, first 2 shown]
	s_waitcnt vmcnt(57) lgkmcnt(0)
	v_mul_f64 v[213:214], v[5:6], v[198:199]
	v_mul_f64 v[198:199], v[7:8], v[198:199]
	s_waitcnt vmcnt(56)
	v_fma_f64 v[167:168], v[129:130], v[169:170], -v[167:168]
	ds_read_b128 v[1:4], v181 offset:1568
	v_fma_f64 v[161:162], v[131:132], v[169:170], v[161:162]
	v_add_f64 v[133:134], v[133:134], v[175:176]
	v_add_f64 v[135:136], v[135:136], v[159:160]
	s_clause 0x2
	buffer_load_dword v178, off, s[0:3], 0 offset:860
	buffer_load_dword v160, off, s[0:3], 0 offset:836
	buffer_load_dword v159, off, s[0:3], 0 offset:832
	ds_read_b128 v[129:132], v181 offset:1584
	s_waitcnt vmcnt(58) lgkmcnt(1)
	v_mul_f64 v[175:176], v[3:4], v[200:201]
	s_waitcnt vmcnt(56)
	v_fma_f64 v[198:199], v[5:6], v[205:206], -v[198:199]
	v_mul_f64 v[169:170], v[1:2], v[200:201]
	v_add_f64 v[133:134], v[133:134], v[167:168]
	v_fma_f64 v[167:168], v[7:8], v[205:206], v[213:214]
	v_add_f64 v[135:136], v[135:136], v[161:162]
	s_clause 0x4
	buffer_load_dword v162, off, s[0:3], 0 offset:876
	buffer_load_dword v200, off, s[0:3], 0 offset:888
	;; [unrolled: 1-line block ×5, first 2 shown]
	ds_read_b128 v[5:8], v181 offset:1600
	s_waitcnt vmcnt(57) lgkmcnt(1)
	v_mul_f64 v[205:206], v[129:130], v[192:193]
	v_mul_f64 v[192:193], v[131:132], v[192:193]
	s_waitcnt vmcnt(56)
	v_fma_f64 v[175:176], v[1:2], v[202:203], -v[175:176]
	v_fma_f64 v[169:170], v[3:4], v[202:203], v[169:170]
	v_add_f64 v[133:134], v[133:134], v[198:199]
	v_add_f64 v[135:136], v[135:136], v[167:168]
	s_clause 0x2
	buffer_load_dword v201, off, s[0:3], 0 offset:892
	buffer_load_dword v168, off, s[0:3], 0 offset:868
	;; [unrolled: 1-line block ×3, first 2 shown]
	ds_read_b128 v[1:4], v181 offset:1616
	s_waitcnt vmcnt(58) lgkmcnt(1)
	v_mul_f64 v[202:203], v[7:8], v[209:210]
	v_mul_f64 v[198:199], v[5:6], v[209:210]
	s_waitcnt vmcnt(56)
	v_fma_f64 v[192:193], v[129:130], v[186:187], -v[192:193]
	v_add_f64 v[133:134], v[133:134], v[175:176]
	v_fma_f64 v[175:176], v[131:132], v[186:187], v[205:206]
	v_add_f64 v[135:136], v[135:136], v[169:170]
	s_clause 0x4
	buffer_load_dword v170, off, s[0:3], 0 offset:908
	buffer_load_dword v186, off, s[0:3], 0 offset:920
	;; [unrolled: 1-line block ×5, first 2 shown]
	ds_read_b128 v[129:132], v181 offset:1632
	s_waitcnt vmcnt(57) lgkmcnt(1)
	v_mul_f64 v[213:214], v[1:2], v[145:146]
	v_mul_f64 v[145:146], v[3:4], v[145:146]
	s_waitcnt vmcnt(56)
	v_fma_f64 v[202:203], v[5:6], v[211:212], -v[202:203]
	v_add_f64 v[133:134], v[133:134], v[192:193]
	v_fma_f64 v[192:193], v[7:8], v[211:212], v[198:199]
	v_add_f64 v[135:136], v[135:136], v[175:176]
	s_clause 0x2
	buffer_load_dword v187, off, s[0:3], 0 offset:924
	buffer_load_dword v176, off, s[0:3], 0 offset:900
	;; [unrolled: 1-line block ×3, first 2 shown]
	ds_read_b128 v[5:8], v181 offset:1648
	s_waitcnt vmcnt(58) lgkmcnt(1)
	v_mul_f64 v[198:199], v[129:130], v[194:195]
	v_mul_f64 v[194:195], v[131:132], v[194:195]
	s_waitcnt vmcnt(56)
	v_fma_f64 v[145:146], v[1:2], v[139:140], -v[145:146]
	v_fma_f64 v[139:140], v[3:4], v[139:140], v[213:214]
	v_add_f64 v[133:134], v[133:134], v[202:203]
	v_add_f64 v[135:136], v[135:136], v[192:193]
	s_clause 0x4
	buffer_load_dword v193, off, s[0:3], 0 offset:940
	buffer_load_dword v202, off, s[0:3], 0 offset:952
	;; [unrolled: 1-line block ×5, first 2 shown]
	ds_read_b128 v[1:4], v181 offset:1664
	s_waitcnt vmcnt(57) lgkmcnt(1)
	v_mul_f64 v[211:212], v[5:6], v[182:183]
	v_mul_f64 v[182:183], v[7:8], v[182:183]
	s_waitcnt vmcnt(56)
	v_fma_f64 v[194:195], v[129:130], v[207:208], -v[194:195]
	v_add_f64 v[133:134], v[133:134], v[145:146]
	v_fma_f64 v[145:146], v[131:132], v[207:208], v[198:199]
	v_add_f64 v[135:136], v[135:136], v[139:140]
	s_clause 0x2
	buffer_load_dword v203, off, s[0:3], 0 offset:956
	buffer_load_dword v140, off, s[0:3], 0 offset:932
	;; [unrolled: 1-line block ×3, first 2 shown]
	ds_read_b128 v[129:132], v181 offset:1680
	s_waitcnt vmcnt(58) lgkmcnt(1)
	v_mul_f64 v[198:199], v[1:2], v[184:185]
	v_mul_f64 v[184:185], v[3:4], v[184:185]
	s_waitcnt vmcnt(56)
	v_fma_f64 v[182:183], v[5:6], v[141:142], -v[182:183]
	v_fma_f64 v[141:142], v[7:8], v[141:142], v[211:212]
	v_add_f64 v[133:134], v[133:134], v[194:195]
	v_add_f64 v[135:136], v[135:136], v[145:146]
	s_clause 0x2
	buffer_load_dword v146, off, s[0:3], 0 offset:972
	buffer_load_dword v145, off, s[0:3], 0 offset:968
	;; [unrolled: 1-line block ×3, first 2 shown]
	ds_read_b128 v[5:8], v181 offset:1696
	s_waitcnt vmcnt(55) lgkmcnt(1)
	v_mul_f64 v[194:195], v[129:130], v[137:138]
	v_mul_f64 v[137:138], v[131:132], v[137:138]
	s_waitcnt vmcnt(54)
	v_fma_f64 v[184:185], v[1:2], v[196:197], -v[184:185]
	v_add_f64 v[133:134], v[133:134], v[182:183]
	v_fma_f64 v[182:183], v[3:4], v[196:197], v[198:199]
	v_add_f64 v[135:136], v[135:136], v[141:142]
	s_clause 0x1
	buffer_load_dword v142, off, s[0:3], 0 offset:964
	buffer_load_dword v141, off, s[0:3], 0 offset:960
	ds_read_b128 v[1:4], v181 offset:1712
	s_waitcnt vmcnt(55) lgkmcnt(1)
	v_mul_f64 v[196:197], v[5:6], v[157:158]
	v_mul_f64 v[157:158], v[7:8], v[157:158]
	s_waitcnt vmcnt(53)
	v_fma_f64 v[137:138], v[129:130], v[147:148], -v[137:138]
	v_fma_f64 v[147:148], v[131:132], v[147:148], v[194:195]
	ds_read_b128 v[129:132], v181 offset:1728
	v_add_f64 v[133:134], v[133:134], v[184:185]
	v_add_f64 v[135:136], v[135:136], v[182:183]
	s_waitcnt vmcnt(49) lgkmcnt(1)
	v_mul_f64 v[182:183], v[1:2], v[143:144]
	v_mul_f64 v[143:144], v[3:4], v[143:144]
	s_waitcnt vmcnt(48)
	v_fma_f64 v[157:158], v[5:6], v[190:191], -v[157:158]
	v_add_f64 v[133:134], v[133:134], v[137:138]
	v_fma_f64 v[137:138], v[7:8], v[190:191], v[196:197]
	v_add_f64 v[135:136], v[135:136], v[147:148]
	s_clause 0x3
	buffer_load_dword v147, off, s[0:3], 0 offset:352
	buffer_load_dword v148, off, s[0:3], 0 offset:356
	;; [unrolled: 1-line block ×4, first 2 shown]
	s_waitcnt vmcnt(51) lgkmcnt(0)
	v_mul_f64 v[190:191], v[129:130], v[163:164]
	v_mul_f64 v[163:164], v[131:132], v[163:164]
	ds_read_b128 v[5:8], v181 offset:1744
	s_waitcnt vmcnt(49)
	v_fma_f64 v[143:144], v[1:2], v[153:154], -v[143:144]
	v_fma_f64 v[153:154], v[3:4], v[153:154], v[182:183]
	ds_read_b128 v[1:4], v181 offset:1760
	v_add_f64 v[133:134], v[133:134], v[157:158]
	v_add_f64 v[135:136], v[135:136], v[137:138]
	s_waitcnt vmcnt(45) lgkmcnt(1)
	v_mul_f64 v[137:138], v[5:6], v[149:150]
	v_mul_f64 v[149:150], v[7:8], v[149:150]
	s_waitcnt vmcnt(44)
	v_fma_f64 v[157:158], v[129:130], v[165:166], -v[163:164]
	v_add_f64 v[133:134], v[133:134], v[143:144]
	v_fma_f64 v[143:144], v[131:132], v[165:166], v[190:191]
	v_add_f64 v[135:136], v[135:136], v[153:154]
	ds_read_b128 v[129:132], v181 offset:1776
	s_waitcnt vmcnt(43) lgkmcnt(1)
	v_mul_f64 v[163:164], v[3:4], v[171:172]
	v_mul_f64 v[153:154], v[1:2], v[171:172]
	s_waitcnt vmcnt(41)
	v_fma_f64 v[149:150], v[5:6], v[151:152], -v[149:150]
	v_fma_f64 v[137:138], v[7:8], v[151:152], v[137:138]
	ds_read_b128 v[5:8], v181 offset:1792
	v_add_f64 v[133:134], v[133:134], v[157:158]
	v_add_f64 v[135:136], v[135:136], v[143:144]
	s_waitcnt vmcnt(37) lgkmcnt(1)
	v_mul_f64 v[143:144], v[129:130], v[155:156]
	v_mul_f64 v[151:152], v[131:132], v[155:156]
	s_waitcnt vmcnt(36)
	v_fma_f64 v[155:156], v[1:2], v[173:174], -v[163:164]
	v_add_f64 v[133:134], v[133:134], v[149:150]
	v_fma_f64 v[149:150], v[3:4], v[173:174], v[153:154]
	v_add_f64 v[135:136], v[135:136], v[137:138]
	ds_read_b128 v[1:4], v181 offset:1808
	s_waitcnt vmcnt(35) lgkmcnt(1)
	v_mul_f64 v[153:154], v[7:8], v[177:178]
	v_mul_f64 v[137:138], v[5:6], v[177:178]
	s_waitcnt vmcnt(33)
	v_fma_f64 v[151:152], v[129:130], v[159:160], -v[151:152]
	v_fma_f64 v[143:144], v[131:132], v[159:160], v[143:144]
	ds_read_b128 v[129:132], v181 offset:1824
	v_add_f64 v[133:134], v[133:134], v[155:156]
	v_add_f64 v[135:136], v[135:136], v[149:150]
	s_waitcnt vmcnt(29) lgkmcnt(1)
	v_mul_f64 v[155:156], v[3:4], v[161:162]
	s_waitcnt vmcnt(28)
	v_fma_f64 v[153:154], v[5:6], v[179:180], -v[153:154]
	v_mul_f64 v[149:150], v[1:2], v[161:162]
	v_fma_f64 v[137:138], v[7:8], v[179:180], v[137:138]
	ds_read_b128 v[5:8], v181 offset:1840
	v_add_f64 v[133:134], v[133:134], v[151:152]
	v_add_f64 v[135:136], v[135:136], v[143:144]
	s_waitcnt vmcnt(27) lgkmcnt(1)
	v_mul_f64 v[151:152], v[131:132], v[200:201]
	v_mul_f64 v[143:144], v[129:130], v[200:201]
	s_waitcnt vmcnt(25)
	v_fma_f64 v[155:156], v[1:2], v[167:168], -v[155:156]
	v_fma_f64 v[149:150], v[3:4], v[167:168], v[149:150]
	ds_read_b128 v[1:4], v181 offset:1856
	v_add_f64 v[133:134], v[133:134], v[153:154]
	v_add_f64 v[135:136], v[135:136], v[137:138]
	s_waitcnt vmcnt(21) lgkmcnt(1)
	v_mul_f64 v[153:154], v[7:8], v[169:170]
	s_waitcnt vmcnt(20)
	v_fma_f64 v[151:152], v[129:130], v[204:205], -v[151:152]
	v_mul_f64 v[137:138], v[5:6], v[169:170]
	v_fma_f64 v[143:144], v[131:132], v[204:205], v[143:144]
	ds_read_b128 v[129:132], v181 offset:1872
	v_add_f64 v[133:134], v[133:134], v[155:156]
	v_add_f64 v[135:136], v[135:136], v[149:150]
	;; [unrolled: 18-line block ×3, first 2 shown]
	s_waitcnt vmcnt(11) lgkmcnt(1)
	v_mul_f64 v[153:154], v[7:8], v[202:203]
	v_mul_f64 v[137:138], v[5:6], v[202:203]
	s_waitcnt vmcnt(9)
	v_fma_f64 v[129:130], v[129:130], v[139:140], -v[151:152]
	v_fma_f64 v[131:132], v[131:132], v[139:140], v[143:144]
	v_add_f64 v[133:134], v[133:134], v[155:156]
	v_add_f64 v[135:136], v[135:136], v[149:150]
	s_waitcnt vmcnt(7) lgkmcnt(0)
	v_mul_f64 v[143:144], v[3:4], v[145:146]
	s_waitcnt vmcnt(6)
	v_fma_f64 v[5:6], v[5:6], v[206:207], -v[153:154]
	v_mul_f64 v[139:140], v[1:2], v[145:146]
	v_fma_f64 v[7:8], v[7:8], v[206:207], v[137:138]
	v_add_f64 v[129:130], v[133:134], v[129:130]
	v_add_f64 v[131:132], v[135:136], v[131:132]
	s_waitcnt vmcnt(4)
	v_fma_f64 v[1:2], v[1:2], v[141:142], -v[143:144]
	v_fma_f64 v[3:4], v[3:4], v[141:142], v[139:140]
	v_add_f64 v[5:6], v[129:130], v[5:6]
	v_add_f64 v[7:8], v[131:132], v[7:8]
	;; [unrolled: 1-line block ×4, first 2 shown]
	s_waitcnt vmcnt(2)
	v_add_f64 v[1:2], v[147:148], -v[1:2]
	s_waitcnt vmcnt(0)
	v_add_f64 v[3:4], v[184:185], -v[3:4]
	buffer_store_dword v2, off, s[0:3], 0 offset:356
	buffer_store_dword v1, off, s[0:3], 0 offset:352
	;; [unrolled: 1-line block ×4, first 2 shown]
	v_cmpx_lt_u32_e32 20, v0
	s_cbranch_execz .LBB123_333
; %bb.332:
	v_mov_b32_e32 v4, s52
	v_mov_b32_e32 v5, 0
	s_clause 0x3
	buffer_load_dword v1, v4, s[0:3], 0 offen
	buffer_load_dword v2, v4, s[0:3], 0 offen offset:4
	buffer_load_dword v3, v4, s[0:3], 0 offen offset:8
	;; [unrolled: 1-line block ×3, first 2 shown]
	buffer_store_dword v5, off, s[0:3], 0 offset:336
	buffer_store_dword v5, off, s[0:3], 0 offset:340
	;; [unrolled: 1-line block ×4, first 2 shown]
	s_waitcnt vmcnt(0)
	ds_write_b128 v189, v[1:4]
.LBB123_333:
	s_or_b32 exec_lo, exec_lo, s4
	s_waitcnt lgkmcnt(0)
	s_waitcnt_vscnt null, 0x0
	s_barrier
	buffer_gl0_inv
	s_clause 0x37
	buffer_load_dword v129, off, s[0:3], 0 offset:360
	buffer_load_dword v130, off, s[0:3], 0 offset:364
	;; [unrolled: 1-line block ×56, first 2 shown]
	v_mov_b32_e32 v181, 0
	s_mov_b32 s4, exec_lo
	ds_read_b128 v[182:185], v181 offset:1296
	s_clause 0x2
	buffer_load_dword v178, off, s[0:3], 0 offset:588
	buffer_load_dword v180, off, s[0:3], 0 offset:564
	;; [unrolled: 1-line block ×3, first 2 shown]
	ds_read_b128 v[190:193], v181 offset:1312
	s_clause 0x4
	buffer_load_dword v199, off, s[0:3], 0 offset:604
	buffer_load_dword v200, off, s[0:3], 0 offset:616
	;; [unrolled: 1-line block ×5, first 2 shown]
	ds_read_b128 v[194:197], v181 offset:1328
	s_clause 0x2
	buffer_load_dword v201, off, s[0:3], 0 offset:620
	buffer_load_dword v206, off, s[0:3], 0 offset:596
	;; [unrolled: 1-line block ×3, first 2 shown]
	s_waitcnt vmcnt(62) lgkmcnt(2)
	v_mul_f64 v[186:187], v[184:185], v[129:130]
	v_mul_f64 v[129:130], v[182:183], v[129:130]
	s_waitcnt lgkmcnt(1)
	v_mul_f64 v[203:204], v[192:193], v[5:6]
	s_waitcnt vmcnt(59) lgkmcnt(0)
	v_mul_f64 v[207:208], v[196:197], v[3:4]
	v_fma_f64 v[182:183], v[182:183], v[7:8], -v[186:187]
	v_mul_f64 v[186:187], v[190:191], v[5:6]
	v_fma_f64 v[129:130], v[184:185], v[7:8], v[129:130]
	s_waitcnt vmcnt(57)
	v_fma_f64 v[190:191], v[190:191], v[1:2], -v[203:204]
	ds_read_b128 v[5:8], v181 offset:1344
	v_mul_f64 v[184:185], v[194:195], v[3:4]
	s_waitcnt vmcnt(51)
	v_fma_f64 v[194:195], v[194:195], v[145:146], -v[207:208]
	v_add_f64 v[182:183], v[182:183], 0
	v_fma_f64 v[186:187], v[192:193], v[1:2], v[186:187]
	v_add_f64 v[129:130], v[129:130], 0
	s_clause 0x4
	buffer_load_dword v193, off, s[0:3], 0 offset:636
	buffer_load_dword v209, off, s[0:3], 0 offset:648
	;; [unrolled: 1-line block ×5, first 2 shown]
	s_waitcnt lgkmcnt(0)
	v_mul_f64 v[212:213], v[5:6], v[133:134]
	v_mul_f64 v[133:134], v[7:8], v[133:134]
	ds_read_b128 v[1:4], v181 offset:1360
	v_fma_f64 v[145:146], v[196:197], v[145:146], v[184:185]
	v_add_f64 v[190:191], v[182:183], v[190:191]
	v_add_f64 v[129:130], v[129:130], v[186:187]
	s_clause 0x2
	buffer_load_dword v210, off, s[0:3], 0 offset:652
	buffer_load_dword v187, off, s[0:3], 0 offset:628
	;; [unrolled: 1-line block ×3, first 2 shown]
	s_waitcnt vmcnt(58) lgkmcnt(0)
	v_mul_f64 v[196:197], v[1:2], v[137:138]
	v_mul_f64 v[137:138], v[3:4], v[137:138]
	s_waitcnt vmcnt(56)
	v_fma_f64 v[133:134], v[5:6], v[139:140], -v[133:134]
	ds_read_b128 v[182:185], v181 offset:1376
	v_fma_f64 v[139:140], v[7:8], v[139:140], v[212:213]
	v_add_f64 v[190:191], v[190:191], v[194:195]
	v_add_f64 v[129:130], v[129:130], v[145:146]
	s_clause 0x4
	buffer_load_dword v146, off, s[0:3], 0 offset:668
	buffer_load_dword v194, off, s[0:3], 0 offset:680
	;; [unrolled: 1-line block ×5, first 2 shown]
	ds_read_b128 v[5:8], v181 offset:1392
	s_waitcnt vmcnt(57) lgkmcnt(1)
	v_mul_f64 v[213:214], v[182:183], v[141:142]
	v_mul_f64 v[141:142], v[184:185], v[141:142]
	s_waitcnt vmcnt(56)
	v_fma_f64 v[137:138], v[1:2], v[131:132], -v[137:138]
	v_fma_f64 v[131:132], v[3:4], v[131:132], v[196:197]
	v_add_f64 v[133:134], v[190:191], v[133:134]
	v_add_f64 v[129:130], v[129:130], v[139:140]
	s_clause 0x2
	buffer_load_dword v195, off, s[0:3], 0 offset:684
	buffer_load_dword v140, off, s[0:3], 0 offset:660
	;; [unrolled: 1-line block ×3, first 2 shown]
	s_waitcnt vmcnt(58) lgkmcnt(0)
	v_mul_f64 v[190:191], v[5:6], v[147:148]
	v_mul_f64 v[147:148], v[7:8], v[147:148]
	s_waitcnt vmcnt(56)
	v_fma_f64 v[141:142], v[182:183], v[149:150], -v[141:142]
	ds_read_b128 v[1:4], v181 offset:1408
	v_add_f64 v[133:134], v[133:134], v[137:138]
	v_fma_f64 v[137:138], v[184:185], v[149:150], v[213:214]
	v_add_f64 v[149:150], v[129:130], v[131:132]
	s_clause 0x4
	buffer_load_dword v183, off, s[0:3], 0 offset:700
	buffer_load_dword v184, off, s[0:3], 0 offset:712
	;; [unrolled: 1-line block ×5, first 2 shown]
	ds_read_b128 v[129:132], v181 offset:1424
	s_waitcnt vmcnt(57) lgkmcnt(1)
	v_mul_f64 v[213:214], v[1:2], v[151:152]
	v_mul_f64 v[151:152], v[3:4], v[151:152]
	s_waitcnt vmcnt(56)
	v_fma_f64 v[147:148], v[5:6], v[135:136], -v[147:148]
	v_fma_f64 v[135:136], v[7:8], v[135:136], v[190:191]
	v_add_f64 v[133:134], v[133:134], v[141:142]
	s_clause 0x2
	buffer_load_dword v185, off, s[0:3], 0 offset:716
	buffer_load_dword v142, off, s[0:3], 0 offset:692
	;; [unrolled: 1-line block ×3, first 2 shown]
	v_add_f64 v[137:138], v[149:150], v[137:138]
	s_waitcnt vmcnt(58) lgkmcnt(0)
	v_mul_f64 v[149:150], v[129:130], v[155:156]
	v_mul_f64 v[155:156], v[131:132], v[155:156]
	ds_read_b128 v[5:8], v181 offset:1440
	s_waitcnt vmcnt(56)
	v_fma_f64 v[151:152], v[1:2], v[157:158], -v[151:152]
	v_add_f64 v[133:134], v[133:134], v[147:148]
	v_fma_f64 v[147:148], v[3:4], v[157:158], v[213:214]
	v_add_f64 v[135:136], v[137:138], v[135:136]
	s_clause 0x4
	buffer_load_dword v138, off, s[0:3], 0 offset:732
	buffer_load_dword v157, off, s[0:3], 0 offset:744
	;; [unrolled: 1-line block ×5, first 2 shown]
	s_waitcnt vmcnt(57) lgkmcnt(0)
	v_mul_f64 v[213:214], v[5:6], v[159:160]
	v_mul_f64 v[159:160], v[7:8], v[159:160]
	s_waitcnt vmcnt(56)
	v_fma_f64 v[155:156], v[129:130], v[143:144], -v[155:156]
	ds_read_b128 v[1:4], v181 offset:1456
	v_fma_f64 v[143:144], v[131:132], v[143:144], v[149:150]
	v_add_f64 v[133:134], v[133:134], v[151:152]
	v_add_f64 v[135:136], v[135:136], v[147:148]
	s_clause 0x2
	buffer_load_dword v158, off, s[0:3], 0 offset:748
	buffer_load_dword v148, off, s[0:3], 0 offset:724
	buffer_load_dword v147, off, s[0:3], 0 offset:720
	ds_read_b128 v[129:132], v181 offset:1472
	s_waitcnt vmcnt(58) lgkmcnt(1)
	v_mul_f64 v[151:152], v[3:4], v[163:164]
	s_waitcnt vmcnt(56)
	v_fma_f64 v[159:160], v[5:6], v[165:166], -v[159:160]
	v_mul_f64 v[149:150], v[1:2], v[163:164]
	v_add_f64 v[133:134], v[133:134], v[155:156]
	v_fma_f64 v[155:156], v[7:8], v[165:166], v[213:214]
	v_add_f64 v[135:136], v[135:136], v[143:144]
	s_clause 0x4
	buffer_load_dword v144, off, s[0:3], 0 offset:764
	buffer_load_dword v163, off, s[0:3], 0 offset:776
	;; [unrolled: 1-line block ×5, first 2 shown]
	s_waitcnt vmcnt(57) lgkmcnt(0)
	v_mul_f64 v[213:214], v[129:130], v[167:168]
	v_mul_f64 v[166:167], v[131:132], v[167:168]
	s_waitcnt vmcnt(56)
	v_fma_f64 v[151:152], v[1:2], v[153:154], -v[151:152]
	ds_read_b128 v[5:8], v181 offset:1488
	v_fma_f64 v[149:150], v[3:4], v[153:154], v[149:150]
	s_clause 0x2
	buffer_load_dword v164, off, s[0:3], 0 offset:780
	buffer_load_dword v154, off, s[0:3], 0 offset:756
	;; [unrolled: 1-line block ×3, first 2 shown]
	ds_read_b128 v[1:4], v181 offset:1504
	v_add_f64 v[133:134], v[133:134], v[159:160]
	v_add_f64 v[135:136], v[135:136], v[155:156]
	s_waitcnt vmcnt(58) lgkmcnt(1)
	v_mul_f64 v[159:160], v[7:8], v[171:172]
	s_waitcnt vmcnt(56)
	v_fma_f64 v[167:168], v[129:130], v[173:174], -v[166:167]
	v_mul_f64 v[155:156], v[5:6], v[171:172]
	v_add_f64 v[133:134], v[133:134], v[151:152]
	v_fma_f64 v[151:152], v[131:132], v[173:174], v[213:214]
	v_add_f64 v[135:136], v[135:136], v[149:150]
	s_clause 0x4
	buffer_load_dword v150, off, s[0:3], 0 offset:796
	buffer_load_dword v171, off, s[0:3], 0 offset:808
	;; [unrolled: 1-line block ×5, first 2 shown]
	s_waitcnt vmcnt(57) lgkmcnt(0)
	v_mul_f64 v[213:214], v[1:2], v[175:176]
	v_mul_f64 v[174:175], v[3:4], v[175:176]
	s_waitcnt vmcnt(56)
	v_fma_f64 v[159:160], v[5:6], v[161:162], -v[159:160]
	ds_read_b128 v[129:132], v181 offset:1520
	v_fma_f64 v[155:156], v[7:8], v[161:162], v[155:156]
	v_add_f64 v[133:134], v[133:134], v[167:168]
	v_add_f64 v[135:136], v[135:136], v[151:152]
	s_clause 0x2
	buffer_load_dword v172, off, s[0:3], 0 offset:812
	buffer_load_dword v152, off, s[0:3], 0 offset:788
	;; [unrolled: 1-line block ×3, first 2 shown]
	ds_read_b128 v[5:8], v181 offset:1536
	s_waitcnt vmcnt(58) lgkmcnt(1)
	v_mul_f64 v[167:168], v[131:132], v[177:178]
	s_waitcnt vmcnt(56)
	v_fma_f64 v[175:176], v[1:2], v[179:180], -v[174:175]
	v_mul_f64 v[161:162], v[129:130], v[177:178]
	v_add_f64 v[133:134], v[133:134], v[159:160]
	v_fma_f64 v[159:160], v[3:4], v[179:180], v[213:214]
	v_add_f64 v[135:136], v[135:136], v[155:156]
	s_clause 0x4
	buffer_load_dword v156, off, s[0:3], 0 offset:828
	buffer_load_dword v177, off, s[0:3], 0 offset:840
	;; [unrolled: 1-line block ×5, first 2 shown]
	s_waitcnt vmcnt(57) lgkmcnt(0)
	v_mul_f64 v[213:214], v[5:6], v[198:199]
	v_mul_f64 v[198:199], v[7:8], v[198:199]
	s_waitcnt vmcnt(56)
	v_fma_f64 v[167:168], v[129:130], v[169:170], -v[167:168]
	ds_read_b128 v[1:4], v181 offset:1552
	v_fma_f64 v[161:162], v[131:132], v[169:170], v[161:162]
	v_add_f64 v[133:134], v[133:134], v[175:176]
	v_add_f64 v[135:136], v[135:136], v[159:160]
	s_clause 0x2
	buffer_load_dword v178, off, s[0:3], 0 offset:844
	buffer_load_dword v160, off, s[0:3], 0 offset:820
	;; [unrolled: 1-line block ×3, first 2 shown]
	ds_read_b128 v[129:132], v181 offset:1568
	s_waitcnt vmcnt(58) lgkmcnt(1)
	v_mul_f64 v[175:176], v[3:4], v[200:201]
	s_waitcnt vmcnt(56)
	v_fma_f64 v[198:199], v[5:6], v[205:206], -v[198:199]
	v_mul_f64 v[169:170], v[1:2], v[200:201]
	v_add_f64 v[133:134], v[133:134], v[167:168]
	v_fma_f64 v[167:168], v[7:8], v[205:206], v[213:214]
	v_add_f64 v[135:136], v[135:136], v[161:162]
	s_clause 0x4
	buffer_load_dword v162, off, s[0:3], 0 offset:860
	buffer_load_dword v200, off, s[0:3], 0 offset:872
	;; [unrolled: 1-line block ×5, first 2 shown]
	ds_read_b128 v[5:8], v181 offset:1584
	s_waitcnt vmcnt(57) lgkmcnt(1)
	v_mul_f64 v[205:206], v[129:130], v[192:193]
	v_mul_f64 v[192:193], v[131:132], v[192:193]
	s_waitcnt vmcnt(56)
	v_fma_f64 v[175:176], v[1:2], v[202:203], -v[175:176]
	v_fma_f64 v[169:170], v[3:4], v[202:203], v[169:170]
	v_add_f64 v[133:134], v[133:134], v[198:199]
	v_add_f64 v[135:136], v[135:136], v[167:168]
	s_clause 0x2
	buffer_load_dword v201, off, s[0:3], 0 offset:876
	buffer_load_dword v168, off, s[0:3], 0 offset:852
	;; [unrolled: 1-line block ×3, first 2 shown]
	ds_read_b128 v[1:4], v181 offset:1600
	s_waitcnt vmcnt(58) lgkmcnt(1)
	v_mul_f64 v[202:203], v[7:8], v[209:210]
	v_mul_f64 v[198:199], v[5:6], v[209:210]
	s_waitcnt vmcnt(56)
	v_fma_f64 v[192:193], v[129:130], v[186:187], -v[192:193]
	v_add_f64 v[133:134], v[133:134], v[175:176]
	v_fma_f64 v[175:176], v[131:132], v[186:187], v[205:206]
	v_add_f64 v[135:136], v[135:136], v[169:170]
	s_clause 0x4
	buffer_load_dword v170, off, s[0:3], 0 offset:892
	buffer_load_dword v186, off, s[0:3], 0 offset:904
	;; [unrolled: 1-line block ×5, first 2 shown]
	ds_read_b128 v[129:132], v181 offset:1616
	s_waitcnt vmcnt(57) lgkmcnt(1)
	v_mul_f64 v[213:214], v[1:2], v[145:146]
	v_mul_f64 v[145:146], v[3:4], v[145:146]
	s_waitcnt vmcnt(56)
	v_fma_f64 v[202:203], v[5:6], v[211:212], -v[202:203]
	v_add_f64 v[133:134], v[133:134], v[192:193]
	v_fma_f64 v[192:193], v[7:8], v[211:212], v[198:199]
	v_add_f64 v[135:136], v[135:136], v[175:176]
	s_clause 0x2
	buffer_load_dword v187, off, s[0:3], 0 offset:908
	buffer_load_dword v176, off, s[0:3], 0 offset:884
	;; [unrolled: 1-line block ×3, first 2 shown]
	ds_read_b128 v[5:8], v181 offset:1632
	s_waitcnt vmcnt(58) lgkmcnt(1)
	v_mul_f64 v[198:199], v[129:130], v[194:195]
	v_mul_f64 v[194:195], v[131:132], v[194:195]
	s_waitcnt vmcnt(56)
	v_fma_f64 v[145:146], v[1:2], v[139:140], -v[145:146]
	v_fma_f64 v[139:140], v[3:4], v[139:140], v[213:214]
	v_add_f64 v[133:134], v[133:134], v[202:203]
	v_add_f64 v[135:136], v[135:136], v[192:193]
	s_clause 0x4
	buffer_load_dword v193, off, s[0:3], 0 offset:924
	buffer_load_dword v202, off, s[0:3], 0 offset:936
	;; [unrolled: 1-line block ×5, first 2 shown]
	ds_read_b128 v[1:4], v181 offset:1648
	s_waitcnt vmcnt(57) lgkmcnt(1)
	v_mul_f64 v[211:212], v[5:6], v[182:183]
	v_mul_f64 v[182:183], v[7:8], v[182:183]
	s_waitcnt vmcnt(56)
	v_fma_f64 v[194:195], v[129:130], v[207:208], -v[194:195]
	v_add_f64 v[133:134], v[133:134], v[145:146]
	v_fma_f64 v[145:146], v[131:132], v[207:208], v[198:199]
	v_add_f64 v[135:136], v[135:136], v[139:140]
	s_clause 0x2
	buffer_load_dword v203, off, s[0:3], 0 offset:940
	buffer_load_dword v140, off, s[0:3], 0 offset:916
	;; [unrolled: 1-line block ×3, first 2 shown]
	ds_read_b128 v[129:132], v181 offset:1664
	s_waitcnt vmcnt(58) lgkmcnt(1)
	v_mul_f64 v[198:199], v[1:2], v[184:185]
	v_mul_f64 v[184:185], v[3:4], v[184:185]
	s_waitcnt vmcnt(56)
	v_fma_f64 v[182:183], v[5:6], v[141:142], -v[182:183]
	v_fma_f64 v[141:142], v[7:8], v[141:142], v[211:212]
	v_add_f64 v[133:134], v[133:134], v[194:195]
	v_add_f64 v[135:136], v[135:136], v[145:146]
	s_clause 0x4
	buffer_load_dword v146, off, s[0:3], 0 offset:956
	buffer_load_dword v194, off, s[0:3], 0 offset:968
	;; [unrolled: 1-line block ×5, first 2 shown]
	ds_read_b128 v[5:8], v181 offset:1680
	s_waitcnt vmcnt(57) lgkmcnt(1)
	v_mul_f64 v[212:213], v[129:130], v[137:138]
	v_mul_f64 v[137:138], v[131:132], v[137:138]
	s_waitcnt vmcnt(56)
	v_fma_f64 v[184:185], v[1:2], v[196:197], -v[184:185]
	v_add_f64 v[133:134], v[133:134], v[182:183]
	v_fma_f64 v[182:183], v[3:4], v[196:197], v[198:199]
	v_add_f64 v[135:136], v[135:136], v[141:142]
	s_clause 0x2
	buffer_load_dword v195, off, s[0:3], 0 offset:972
	buffer_load_dword v142, off, s[0:3], 0 offset:948
	;; [unrolled: 1-line block ×3, first 2 shown]
	ds_read_b128 v[1:4], v181 offset:1696
	s_waitcnt vmcnt(58) lgkmcnt(1)
	v_mul_f64 v[196:197], v[5:6], v[157:158]
	v_mul_f64 v[157:158], v[7:8], v[157:158]
	s_waitcnt vmcnt(56)
	v_fma_f64 v[137:138], v[129:130], v[147:148], -v[137:138]
	v_fma_f64 v[147:148], v[131:132], v[147:148], v[212:213]
	buffer_load_dword v212, off, s[0:3], 0 offset:964
	ds_read_b128 v[129:132], v181 offset:1712
	v_add_f64 v[133:134], v[133:134], v[184:185]
	v_add_f64 v[135:136], v[135:136], v[182:183]
	s_waitcnt vmcnt(53) lgkmcnt(1)
	v_mul_f64 v[182:183], v[1:2], v[143:144]
	v_mul_f64 v[143:144], v[3:4], v[143:144]
	s_waitcnt vmcnt(52)
	v_fma_f64 v[157:158], v[5:6], v[190:191], -v[157:158]
	v_add_f64 v[133:134], v[133:134], v[137:138]
	v_fma_f64 v[137:138], v[7:8], v[190:191], v[196:197]
	v_add_f64 v[135:136], v[135:136], v[147:148]
	s_waitcnt vmcnt(51) lgkmcnt(0)
	v_mul_f64 v[147:148], v[129:130], v[163:164]
	v_mul_f64 v[163:164], v[131:132], v[163:164]
	ds_read_b128 v[5:8], v181 offset:1728
	s_waitcnt vmcnt(49)
	v_fma_f64 v[143:144], v[1:2], v[153:154], -v[143:144]
	v_fma_f64 v[153:154], v[3:4], v[153:154], v[182:183]
	v_add_f64 v[133:134], v[133:134], v[157:158]
	v_add_f64 v[135:136], v[135:136], v[137:138]
	s_clause 0x3
	buffer_load_dword v137, off, s[0:3], 0 offset:336
	buffer_load_dword v138, off, s[0:3], 0 offset:340
	buffer_load_dword v157, off, s[0:3], 0 offset:344
	buffer_load_dword v158, off, s[0:3], 0 offset:348
	ds_read_b128 v[1:4], v181 offset:1744
	s_waitcnt vmcnt(49) lgkmcnt(1)
	v_mul_f64 v[182:183], v[5:6], v[149:150]
	v_mul_f64 v[149:150], v[7:8], v[149:150]
	s_waitcnt vmcnt(48)
	v_fma_f64 v[163:164], v[129:130], v[165:166], -v[163:164]
	v_add_f64 v[133:134], v[133:134], v[143:144]
	v_fma_f64 v[143:144], v[131:132], v[165:166], v[147:148]
	v_add_f64 v[135:136], v[135:136], v[153:154]
	ds_read_b128 v[129:132], v181 offset:1760
	s_waitcnt vmcnt(47) lgkmcnt(1)
	v_mul_f64 v[153:154], v[3:4], v[171:172]
	v_mul_f64 v[147:148], v[1:2], v[171:172]
	s_waitcnt vmcnt(45)
	v_fma_f64 v[149:150], v[5:6], v[151:152], -v[149:150]
	v_fma_f64 v[151:152], v[7:8], v[151:152], v[182:183]
	ds_read_b128 v[5:8], v181 offset:1776
	v_add_f64 v[133:134], v[133:134], v[163:164]
	v_add_f64 v[135:136], v[135:136], v[143:144]
	s_waitcnt vmcnt(41) lgkmcnt(1)
	v_mul_f64 v[143:144], v[129:130], v[155:156]
	v_mul_f64 v[155:156], v[131:132], v[155:156]
	s_waitcnt vmcnt(40)
	v_fma_f64 v[153:154], v[1:2], v[173:174], -v[153:154]
	v_fma_f64 v[147:148], v[3:4], v[173:174], v[147:148]
	ds_read_b128 v[1:4], v181 offset:1792
	v_add_f64 v[133:134], v[133:134], v[149:150]
	v_add_f64 v[135:136], v[135:136], v[151:152]
	s_waitcnt vmcnt(39) lgkmcnt(1)
	v_mul_f64 v[151:152], v[7:8], v[177:178]
	v_mul_f64 v[149:150], v[5:6], v[177:178]
	s_waitcnt vmcnt(37)
	v_fma_f64 v[155:156], v[129:130], v[159:160], -v[155:156]
	v_fma_f64 v[143:144], v[131:132], v[159:160], v[143:144]
	ds_read_b128 v[129:132], v181 offset:1808
	v_add_f64 v[133:134], v[133:134], v[153:154]
	v_add_f64 v[135:136], v[135:136], v[147:148]
	s_waitcnt vmcnt(33) lgkmcnt(1)
	v_mul_f64 v[153:154], v[3:4], v[161:162]
	s_waitcnt vmcnt(32)
	v_fma_f64 v[151:152], v[5:6], v[179:180], -v[151:152]
	v_mul_f64 v[147:148], v[1:2], v[161:162]
	v_fma_f64 v[149:150], v[7:8], v[179:180], v[149:150]
	ds_read_b128 v[5:8], v181 offset:1824
	v_add_f64 v[133:134], v[133:134], v[155:156]
	v_add_f64 v[135:136], v[135:136], v[143:144]
	s_waitcnt vmcnt(31) lgkmcnt(1)
	v_mul_f64 v[155:156], v[131:132], v[200:201]
	v_mul_f64 v[143:144], v[129:130], v[200:201]
	s_waitcnt vmcnt(29)
	v_fma_f64 v[153:154], v[1:2], v[167:168], -v[153:154]
	v_fma_f64 v[147:148], v[3:4], v[167:168], v[147:148]
	ds_read_b128 v[1:4], v181 offset:1840
	v_add_f64 v[133:134], v[133:134], v[151:152]
	v_add_f64 v[135:136], v[135:136], v[149:150]
	s_waitcnt vmcnt(25) lgkmcnt(1)
	v_mul_f64 v[151:152], v[7:8], v[169:170]
	s_waitcnt vmcnt(24)
	v_fma_f64 v[155:156], v[129:130], v[204:205], -v[155:156]
	v_mul_f64 v[149:150], v[5:6], v[169:170]
	v_fma_f64 v[143:144], v[131:132], v[204:205], v[143:144]
	ds_read_b128 v[129:132], v181 offset:1856
	v_add_f64 v[133:134], v[133:134], v[153:154]
	v_add_f64 v[135:136], v[135:136], v[147:148]
	s_waitcnt vmcnt(23) lgkmcnt(1)
	v_mul_f64 v[153:154], v[3:4], v[186:187]
	v_mul_f64 v[147:148], v[1:2], v[186:187]
	s_waitcnt vmcnt(21)
	v_fma_f64 v[151:152], v[5:6], v[175:176], -v[151:152]
	v_fma_f64 v[149:150], v[7:8], v[175:176], v[149:150]
	ds_read_b128 v[5:8], v181 offset:1872
	v_add_f64 v[133:134], v[133:134], v[155:156]
	v_add_f64 v[135:136], v[135:136], v[143:144]
	;; [unrolled: 18-line block ×3, first 2 shown]
	s_waitcnt vmcnt(9) lgkmcnt(1)
	v_mul_f64 v[143:144], v[1:2], v[145:146]
	v_mul_f64 v[145:146], v[3:4], v[145:146]
	s_waitcnt vmcnt(8)
	v_fma_f64 v[5:6], v[5:6], v[206:207], -v[151:152]
	v_fma_f64 v[7:8], v[7:8], v[206:207], v[149:150]
	v_add_f64 v[133:134], v[133:134], v[155:156]
	v_add_f64 v[135:136], v[135:136], v[139:140]
	s_waitcnt vmcnt(7) lgkmcnt(0)
	v_mul_f64 v[147:148], v[131:132], v[194:195]
	v_mul_f64 v[139:140], v[129:130], v[194:195]
	s_waitcnt vmcnt(5)
	v_fma_f64 v[1:2], v[1:2], v[141:142], -v[145:146]
	v_fma_f64 v[3:4], v[3:4], v[141:142], v[143:144]
	v_add_f64 v[5:6], v[133:134], v[5:6]
	v_add_f64 v[7:8], v[135:136], v[7:8]
	s_waitcnt vmcnt(4)
	v_fma_f64 v[129:130], v[129:130], v[211:212], -v[147:148]
	v_add_f64 v[1:2], v[5:6], v[1:2]
	v_fma_f64 v[5:6], v[131:132], v[211:212], v[139:140]
	v_add_f64 v[3:4], v[7:8], v[3:4]
	v_add_f64 v[1:2], v[1:2], v[129:130]
	v_add_f64 v[3:4], v[3:4], v[5:6]
	s_waitcnt vmcnt(2)
	v_add_f64 v[1:2], v[137:138], -v[1:2]
	s_waitcnt vmcnt(0)
	v_add_f64 v[3:4], v[157:158], -v[3:4]
	buffer_store_dword v2, off, s[0:3], 0 offset:340
	buffer_store_dword v1, off, s[0:3], 0 offset:336
	;; [unrolled: 1-line block ×4, first 2 shown]
	v_cmpx_lt_u32_e32 19, v0
	s_cbranch_execz .LBB123_335
; %bb.334:
	v_mov_b32_e32 v4, s53
	s_clause 0x3
	buffer_load_dword v1, v4, s[0:3], 0 offen
	buffer_load_dword v2, v4, s[0:3], 0 offen offset:4
	buffer_load_dword v3, v4, s[0:3], 0 offen offset:8
	;; [unrolled: 1-line block ×3, first 2 shown]
	buffer_store_dword v181, off, s[0:3], 0 offset:320
	buffer_store_dword v181, off, s[0:3], 0 offset:324
	;; [unrolled: 1-line block ×4, first 2 shown]
	s_waitcnt vmcnt(0)
	ds_write_b128 v189, v[1:4]
.LBB123_335:
	s_or_b32 exec_lo, exec_lo, s4
	s_waitcnt lgkmcnt(0)
	s_waitcnt_vscnt null, 0x0
	s_barrier
	buffer_gl0_inv
	s_clause 0x37
	buffer_load_dword v129, off, s[0:3], 0 offset:344
	buffer_load_dword v130, off, s[0:3], 0 offset:348
	;; [unrolled: 1-line block ×56, first 2 shown]
	ds_read_b128 v[182:185], v181 offset:1280
	s_clause 0x2
	buffer_load_dword v178, off, s[0:3], 0 offset:572
	buffer_load_dword v180, off, s[0:3], 0 offset:548
	;; [unrolled: 1-line block ×3, first 2 shown]
	ds_read_b128 v[190:193], v181 offset:1296
	s_clause 0x4
	buffer_load_dword v199, off, s[0:3], 0 offset:588
	buffer_load_dword v200, off, s[0:3], 0 offset:600
	;; [unrolled: 1-line block ×5, first 2 shown]
	ds_read_b128 v[194:197], v181 offset:1312
	s_clause 0x2
	buffer_load_dword v201, off, s[0:3], 0 offset:604
	buffer_load_dword v206, off, s[0:3], 0 offset:580
	;; [unrolled: 1-line block ×3, first 2 shown]
	s_mov_b32 s4, exec_lo
	s_waitcnt vmcnt(62) lgkmcnt(2)
	v_mul_f64 v[186:187], v[184:185], v[129:130]
	v_mul_f64 v[129:130], v[182:183], v[129:130]
	s_waitcnt lgkmcnt(1)
	v_mul_f64 v[203:204], v[192:193], v[5:6]
	s_waitcnt vmcnt(59) lgkmcnt(0)
	v_mul_f64 v[207:208], v[196:197], v[3:4]
	v_fma_f64 v[182:183], v[182:183], v[7:8], -v[186:187]
	v_mul_f64 v[186:187], v[190:191], v[5:6]
	v_fma_f64 v[129:130], v[184:185], v[7:8], v[129:130]
	s_waitcnt vmcnt(57)
	v_fma_f64 v[190:191], v[190:191], v[1:2], -v[203:204]
	ds_read_b128 v[5:8], v181 offset:1328
	v_mul_f64 v[184:185], v[194:195], v[3:4]
	s_waitcnt vmcnt(51)
	v_fma_f64 v[194:195], v[194:195], v[145:146], -v[207:208]
	v_add_f64 v[182:183], v[182:183], 0
	v_fma_f64 v[186:187], v[192:193], v[1:2], v[186:187]
	v_add_f64 v[129:130], v[129:130], 0
	s_clause 0x4
	buffer_load_dword v193, off, s[0:3], 0 offset:620
	buffer_load_dword v209, off, s[0:3], 0 offset:632
	;; [unrolled: 1-line block ×5, first 2 shown]
	s_waitcnt lgkmcnt(0)
	v_mul_f64 v[212:213], v[5:6], v[133:134]
	v_mul_f64 v[133:134], v[7:8], v[133:134]
	ds_read_b128 v[1:4], v181 offset:1344
	v_fma_f64 v[145:146], v[196:197], v[145:146], v[184:185]
	v_add_f64 v[190:191], v[182:183], v[190:191]
	v_add_f64 v[129:130], v[129:130], v[186:187]
	s_clause 0x2
	buffer_load_dword v210, off, s[0:3], 0 offset:636
	buffer_load_dword v187, off, s[0:3], 0 offset:612
	;; [unrolled: 1-line block ×3, first 2 shown]
	s_waitcnt vmcnt(58) lgkmcnt(0)
	v_mul_f64 v[196:197], v[1:2], v[137:138]
	v_mul_f64 v[137:138], v[3:4], v[137:138]
	s_waitcnt vmcnt(56)
	v_fma_f64 v[133:134], v[5:6], v[139:140], -v[133:134]
	ds_read_b128 v[182:185], v181 offset:1360
	v_fma_f64 v[139:140], v[7:8], v[139:140], v[212:213]
	v_add_f64 v[190:191], v[190:191], v[194:195]
	v_add_f64 v[129:130], v[129:130], v[145:146]
	s_clause 0x4
	buffer_load_dword v146, off, s[0:3], 0 offset:652
	buffer_load_dword v194, off, s[0:3], 0 offset:664
	buffer_load_dword v207, off, s[0:3], 0 offset:656
	buffer_load_dword v145, off, s[0:3], 0 offset:648
	buffer_load_dword v212, off, s[0:3], 0 offset:628
	ds_read_b128 v[5:8], v181 offset:1376
	s_waitcnt vmcnt(57) lgkmcnt(1)
	v_mul_f64 v[213:214], v[182:183], v[141:142]
	v_mul_f64 v[141:142], v[184:185], v[141:142]
	s_waitcnt vmcnt(56)
	v_fma_f64 v[137:138], v[1:2], v[131:132], -v[137:138]
	v_fma_f64 v[131:132], v[3:4], v[131:132], v[196:197]
	v_add_f64 v[133:134], v[190:191], v[133:134]
	v_add_f64 v[129:130], v[129:130], v[139:140]
	s_clause 0x2
	buffer_load_dword v195, off, s[0:3], 0 offset:668
	buffer_load_dword v140, off, s[0:3], 0 offset:644
	;; [unrolled: 1-line block ×3, first 2 shown]
	s_waitcnt vmcnt(58) lgkmcnt(0)
	v_mul_f64 v[190:191], v[5:6], v[147:148]
	v_mul_f64 v[147:148], v[7:8], v[147:148]
	s_waitcnt vmcnt(56)
	v_fma_f64 v[141:142], v[182:183], v[149:150], -v[141:142]
	ds_read_b128 v[1:4], v181 offset:1392
	v_add_f64 v[133:134], v[133:134], v[137:138]
	v_fma_f64 v[137:138], v[184:185], v[149:150], v[213:214]
	v_add_f64 v[149:150], v[129:130], v[131:132]
	s_clause 0x4
	buffer_load_dword v183, off, s[0:3], 0 offset:684
	buffer_load_dword v184, off, s[0:3], 0 offset:696
	;; [unrolled: 1-line block ×5, first 2 shown]
	ds_read_b128 v[129:132], v181 offset:1408
	s_waitcnt vmcnt(57) lgkmcnt(1)
	v_mul_f64 v[213:214], v[1:2], v[151:152]
	v_mul_f64 v[151:152], v[3:4], v[151:152]
	s_waitcnt vmcnt(56)
	v_fma_f64 v[147:148], v[5:6], v[135:136], -v[147:148]
	v_fma_f64 v[135:136], v[7:8], v[135:136], v[190:191]
	v_add_f64 v[133:134], v[133:134], v[141:142]
	s_clause 0x2
	buffer_load_dword v185, off, s[0:3], 0 offset:700
	buffer_load_dword v142, off, s[0:3], 0 offset:676
	;; [unrolled: 1-line block ×3, first 2 shown]
	v_add_f64 v[137:138], v[149:150], v[137:138]
	s_waitcnt vmcnt(58) lgkmcnt(0)
	v_mul_f64 v[149:150], v[129:130], v[155:156]
	v_mul_f64 v[155:156], v[131:132], v[155:156]
	ds_read_b128 v[5:8], v181 offset:1424
	s_waitcnt vmcnt(56)
	v_fma_f64 v[151:152], v[1:2], v[157:158], -v[151:152]
	v_add_f64 v[133:134], v[133:134], v[147:148]
	v_fma_f64 v[147:148], v[3:4], v[157:158], v[213:214]
	v_add_f64 v[135:136], v[137:138], v[135:136]
	s_clause 0x4
	buffer_load_dword v138, off, s[0:3], 0 offset:716
	buffer_load_dword v157, off, s[0:3], 0 offset:728
	;; [unrolled: 1-line block ×5, first 2 shown]
	s_waitcnt vmcnt(57) lgkmcnt(0)
	v_mul_f64 v[213:214], v[5:6], v[159:160]
	v_mul_f64 v[159:160], v[7:8], v[159:160]
	s_waitcnt vmcnt(56)
	v_fma_f64 v[155:156], v[129:130], v[143:144], -v[155:156]
	ds_read_b128 v[1:4], v181 offset:1440
	v_fma_f64 v[143:144], v[131:132], v[143:144], v[149:150]
	v_add_f64 v[133:134], v[133:134], v[151:152]
	v_add_f64 v[135:136], v[135:136], v[147:148]
	s_clause 0x2
	buffer_load_dword v158, off, s[0:3], 0 offset:732
	buffer_load_dword v148, off, s[0:3], 0 offset:708
	;; [unrolled: 1-line block ×3, first 2 shown]
	ds_read_b128 v[129:132], v181 offset:1456
	s_waitcnt vmcnt(58) lgkmcnt(1)
	v_mul_f64 v[151:152], v[3:4], v[163:164]
	s_waitcnt vmcnt(56)
	v_fma_f64 v[159:160], v[5:6], v[165:166], -v[159:160]
	v_mul_f64 v[149:150], v[1:2], v[163:164]
	v_add_f64 v[133:134], v[133:134], v[155:156]
	v_fma_f64 v[155:156], v[7:8], v[165:166], v[213:214]
	v_add_f64 v[135:136], v[135:136], v[143:144]
	s_clause 0x4
	buffer_load_dword v144, off, s[0:3], 0 offset:748
	buffer_load_dword v163, off, s[0:3], 0 offset:760
	;; [unrolled: 1-line block ×5, first 2 shown]
	s_waitcnt vmcnt(57) lgkmcnt(0)
	v_mul_f64 v[213:214], v[129:130], v[167:168]
	v_mul_f64 v[166:167], v[131:132], v[167:168]
	s_waitcnt vmcnt(56)
	v_fma_f64 v[151:152], v[1:2], v[153:154], -v[151:152]
	ds_read_b128 v[5:8], v181 offset:1472
	v_fma_f64 v[149:150], v[3:4], v[153:154], v[149:150]
	s_clause 0x2
	buffer_load_dword v164, off, s[0:3], 0 offset:764
	buffer_load_dword v154, off, s[0:3], 0 offset:740
	;; [unrolled: 1-line block ×3, first 2 shown]
	ds_read_b128 v[1:4], v181 offset:1488
	v_add_f64 v[133:134], v[133:134], v[159:160]
	v_add_f64 v[135:136], v[135:136], v[155:156]
	s_waitcnt vmcnt(58) lgkmcnt(1)
	v_mul_f64 v[159:160], v[7:8], v[171:172]
	s_waitcnt vmcnt(56)
	v_fma_f64 v[167:168], v[129:130], v[173:174], -v[166:167]
	v_mul_f64 v[155:156], v[5:6], v[171:172]
	v_add_f64 v[133:134], v[133:134], v[151:152]
	v_fma_f64 v[151:152], v[131:132], v[173:174], v[213:214]
	v_add_f64 v[135:136], v[135:136], v[149:150]
	s_clause 0x4
	buffer_load_dword v150, off, s[0:3], 0 offset:780
	buffer_load_dword v171, off, s[0:3], 0 offset:792
	;; [unrolled: 1-line block ×5, first 2 shown]
	s_waitcnt vmcnt(57) lgkmcnt(0)
	v_mul_f64 v[213:214], v[1:2], v[175:176]
	v_mul_f64 v[174:175], v[3:4], v[175:176]
	s_waitcnt vmcnt(56)
	v_fma_f64 v[159:160], v[5:6], v[161:162], -v[159:160]
	ds_read_b128 v[129:132], v181 offset:1504
	v_fma_f64 v[155:156], v[7:8], v[161:162], v[155:156]
	v_add_f64 v[133:134], v[133:134], v[167:168]
	v_add_f64 v[135:136], v[135:136], v[151:152]
	s_clause 0x2
	buffer_load_dword v172, off, s[0:3], 0 offset:796
	buffer_load_dword v152, off, s[0:3], 0 offset:772
	;; [unrolled: 1-line block ×3, first 2 shown]
	ds_read_b128 v[5:8], v181 offset:1520
	s_waitcnt vmcnt(58) lgkmcnt(1)
	v_mul_f64 v[167:168], v[131:132], v[177:178]
	s_waitcnt vmcnt(56)
	v_fma_f64 v[175:176], v[1:2], v[179:180], -v[174:175]
	v_mul_f64 v[161:162], v[129:130], v[177:178]
	v_add_f64 v[133:134], v[133:134], v[159:160]
	v_fma_f64 v[159:160], v[3:4], v[179:180], v[213:214]
	v_add_f64 v[135:136], v[135:136], v[155:156]
	s_clause 0x4
	buffer_load_dword v156, off, s[0:3], 0 offset:812
	buffer_load_dword v177, off, s[0:3], 0 offset:824
	;; [unrolled: 1-line block ×5, first 2 shown]
	s_waitcnt vmcnt(57) lgkmcnt(0)
	v_mul_f64 v[213:214], v[5:6], v[198:199]
	v_mul_f64 v[198:199], v[7:8], v[198:199]
	s_waitcnt vmcnt(56)
	v_fma_f64 v[167:168], v[129:130], v[169:170], -v[167:168]
	ds_read_b128 v[1:4], v181 offset:1536
	v_fma_f64 v[161:162], v[131:132], v[169:170], v[161:162]
	v_add_f64 v[133:134], v[133:134], v[175:176]
	v_add_f64 v[135:136], v[135:136], v[159:160]
	s_clause 0x2
	buffer_load_dword v178, off, s[0:3], 0 offset:828
	buffer_load_dword v160, off, s[0:3], 0 offset:804
	;; [unrolled: 1-line block ×3, first 2 shown]
	ds_read_b128 v[129:132], v181 offset:1552
	s_waitcnt vmcnt(58) lgkmcnt(1)
	v_mul_f64 v[175:176], v[3:4], v[200:201]
	s_waitcnt vmcnt(56)
	v_fma_f64 v[198:199], v[5:6], v[205:206], -v[198:199]
	v_mul_f64 v[169:170], v[1:2], v[200:201]
	v_add_f64 v[133:134], v[133:134], v[167:168]
	v_fma_f64 v[167:168], v[7:8], v[205:206], v[213:214]
	v_add_f64 v[135:136], v[135:136], v[161:162]
	s_clause 0x4
	buffer_load_dword v162, off, s[0:3], 0 offset:844
	buffer_load_dword v200, off, s[0:3], 0 offset:856
	;; [unrolled: 1-line block ×5, first 2 shown]
	ds_read_b128 v[5:8], v181 offset:1568
	s_waitcnt vmcnt(57) lgkmcnt(1)
	v_mul_f64 v[205:206], v[129:130], v[192:193]
	v_mul_f64 v[192:193], v[131:132], v[192:193]
	s_waitcnt vmcnt(56)
	v_fma_f64 v[175:176], v[1:2], v[202:203], -v[175:176]
	v_fma_f64 v[169:170], v[3:4], v[202:203], v[169:170]
	v_add_f64 v[133:134], v[133:134], v[198:199]
	v_add_f64 v[135:136], v[135:136], v[167:168]
	s_clause 0x2
	buffer_load_dword v201, off, s[0:3], 0 offset:860
	buffer_load_dword v168, off, s[0:3], 0 offset:836
	;; [unrolled: 1-line block ×3, first 2 shown]
	ds_read_b128 v[1:4], v181 offset:1584
	s_waitcnt vmcnt(58) lgkmcnt(1)
	v_mul_f64 v[202:203], v[7:8], v[209:210]
	v_mul_f64 v[198:199], v[5:6], v[209:210]
	s_waitcnt vmcnt(56)
	v_fma_f64 v[192:193], v[129:130], v[186:187], -v[192:193]
	v_add_f64 v[133:134], v[133:134], v[175:176]
	v_fma_f64 v[175:176], v[131:132], v[186:187], v[205:206]
	v_add_f64 v[135:136], v[135:136], v[169:170]
	s_clause 0x4
	buffer_load_dword v170, off, s[0:3], 0 offset:876
	buffer_load_dword v186, off, s[0:3], 0 offset:888
	buffer_load_dword v209, off, s[0:3], 0 offset:880
	buffer_load_dword v169, off, s[0:3], 0 offset:872
	buffer_load_dword v205, off, s[0:3], 0 offset:852
	ds_read_b128 v[129:132], v181 offset:1600
	s_waitcnt vmcnt(57) lgkmcnt(1)
	v_mul_f64 v[213:214], v[1:2], v[145:146]
	v_mul_f64 v[145:146], v[3:4], v[145:146]
	s_waitcnt vmcnt(56)
	v_fma_f64 v[202:203], v[5:6], v[211:212], -v[202:203]
	v_add_f64 v[133:134], v[133:134], v[192:193]
	v_fma_f64 v[192:193], v[7:8], v[211:212], v[198:199]
	v_add_f64 v[135:136], v[135:136], v[175:176]
	s_clause 0x2
	buffer_load_dword v187, off, s[0:3], 0 offset:892
	buffer_load_dword v176, off, s[0:3], 0 offset:868
	buffer_load_dword v175, off, s[0:3], 0 offset:864
	ds_read_b128 v[5:8], v181 offset:1616
	s_waitcnt vmcnt(58) lgkmcnt(1)
	v_mul_f64 v[198:199], v[129:130], v[194:195]
	v_mul_f64 v[194:195], v[131:132], v[194:195]
	s_waitcnt vmcnt(56)
	v_fma_f64 v[145:146], v[1:2], v[139:140], -v[145:146]
	v_fma_f64 v[139:140], v[3:4], v[139:140], v[213:214]
	v_add_f64 v[133:134], v[133:134], v[202:203]
	v_add_f64 v[135:136], v[135:136], v[192:193]
	s_clause 0x4
	buffer_load_dword v193, off, s[0:3], 0 offset:908
	buffer_load_dword v202, off, s[0:3], 0 offset:920
	buffer_load_dword v206, off, s[0:3], 0 offset:912
	buffer_load_dword v192, off, s[0:3], 0 offset:904
	buffer_load_dword v210, off, s[0:3], 0 offset:884
	ds_read_b128 v[1:4], v181 offset:1632
	s_waitcnt vmcnt(57) lgkmcnt(1)
	v_mul_f64 v[211:212], v[5:6], v[182:183]
	v_mul_f64 v[182:183], v[7:8], v[182:183]
	s_waitcnt vmcnt(56)
	v_fma_f64 v[194:195], v[129:130], v[207:208], -v[194:195]
	v_add_f64 v[133:134], v[133:134], v[145:146]
	v_fma_f64 v[145:146], v[131:132], v[207:208], v[198:199]
	v_add_f64 v[135:136], v[135:136], v[139:140]
	s_clause 0x2
	buffer_load_dword v203, off, s[0:3], 0 offset:924
	buffer_load_dword v140, off, s[0:3], 0 offset:900
	buffer_load_dword v139, off, s[0:3], 0 offset:896
	ds_read_b128 v[129:132], v181 offset:1648
	s_waitcnt vmcnt(58) lgkmcnt(1)
	v_mul_f64 v[198:199], v[1:2], v[184:185]
	v_mul_f64 v[184:185], v[3:4], v[184:185]
	s_waitcnt vmcnt(56)
	v_fma_f64 v[182:183], v[5:6], v[141:142], -v[182:183]
	v_fma_f64 v[141:142], v[7:8], v[141:142], v[211:212]
	v_add_f64 v[133:134], v[133:134], v[194:195]
	;; [unrolled: 28-line block ×3, first 2 shown]
	v_add_f64 v[135:136], v[135:136], v[182:183]
	s_clause 0x2
	buffer_load_dword v183, off, s[0:3], 0 offset:972
	buffer_load_dword v182, off, s[0:3], 0 offset:968
	;; [unrolled: 1-line block ×3, first 2 shown]
	ds_read_b128 v[129:132], v181 offset:1696
	s_waitcnt vmcnt(55) lgkmcnt(1)
	v_mul_f64 v[184:185], v[1:2], v[143:144]
	v_mul_f64 v[143:144], v[3:4], v[143:144]
	s_waitcnt vmcnt(54)
	v_fma_f64 v[157:158], v[5:6], v[190:191], -v[157:158]
	v_add_f64 v[133:134], v[133:134], v[137:138]
	v_fma_f64 v[137:138], v[7:8], v[190:191], v[196:197]
	v_add_f64 v[135:136], v[135:136], v[147:148]
	s_clause 0x1
	buffer_load_dword v148, off, s[0:3], 0 offset:964
	buffer_load_dword v147, off, s[0:3], 0 offset:960
	s_waitcnt vmcnt(55) lgkmcnt(0)
	v_mul_f64 v[190:191], v[129:130], v[163:164]
	v_mul_f64 v[163:164], v[131:132], v[163:164]
	ds_read_b128 v[5:8], v181 offset:1712
	s_waitcnt vmcnt(53)
	v_fma_f64 v[143:144], v[1:2], v[153:154], -v[143:144]
	v_fma_f64 v[153:154], v[3:4], v[153:154], v[184:185]
	ds_read_b128 v[1:4], v181 offset:1728
	v_add_f64 v[133:134], v[133:134], v[157:158]
	v_add_f64 v[135:136], v[135:136], v[137:138]
	s_waitcnt vmcnt(49) lgkmcnt(1)
	v_mul_f64 v[137:138], v[5:6], v[149:150]
	v_mul_f64 v[149:150], v[7:8], v[149:150]
	s_waitcnt vmcnt(48)
	v_fma_f64 v[157:158], v[129:130], v[165:166], -v[163:164]
	v_add_f64 v[133:134], v[133:134], v[143:144]
	v_fma_f64 v[143:144], v[131:132], v[165:166], v[190:191]
	v_add_f64 v[135:136], v[135:136], v[153:154]
	s_clause 0x3
	buffer_load_dword v153, off, s[0:3], 0 offset:320
	buffer_load_dword v154, off, s[0:3], 0 offset:324
	;; [unrolled: 1-line block ×4, first 2 shown]
	ds_read_b128 v[129:132], v181 offset:1744
	s_waitcnt vmcnt(51) lgkmcnt(1)
	v_mul_f64 v[165:166], v[1:2], v[171:172]
	v_mul_f64 v[171:172], v[3:4], v[171:172]
	s_waitcnt vmcnt(49)
	v_fma_f64 v[149:150], v[5:6], v[151:152], -v[149:150]
	v_fma_f64 v[137:138], v[7:8], v[151:152], v[137:138]
	ds_read_b128 v[5:8], v181 offset:1760
	v_add_f64 v[133:134], v[133:134], v[157:158]
	v_add_f64 v[135:136], v[135:136], v[143:144]
	s_waitcnt vmcnt(45) lgkmcnt(1)
	v_mul_f64 v[143:144], v[129:130], v[155:156]
	v_mul_f64 v[151:152], v[131:132], v[155:156]
	s_waitcnt vmcnt(44)
	v_fma_f64 v[155:156], v[1:2], v[173:174], -v[171:172]
	v_add_f64 v[133:134], v[133:134], v[149:150]
	v_fma_f64 v[149:150], v[3:4], v[173:174], v[165:166]
	v_add_f64 v[135:136], v[135:136], v[137:138]
	ds_read_b128 v[1:4], v181 offset:1776
	s_waitcnt vmcnt(43) lgkmcnt(1)
	v_mul_f64 v[157:158], v[7:8], v[177:178]
	v_mul_f64 v[137:138], v[5:6], v[177:178]
	s_waitcnt vmcnt(41)
	v_fma_f64 v[151:152], v[129:130], v[159:160], -v[151:152]
	v_fma_f64 v[143:144], v[131:132], v[159:160], v[143:144]
	ds_read_b128 v[129:132], v181 offset:1792
	v_add_f64 v[133:134], v[133:134], v[155:156]
	v_add_f64 v[135:136], v[135:136], v[149:150]
	s_waitcnt vmcnt(37) lgkmcnt(1)
	v_mul_f64 v[155:156], v[3:4], v[161:162]
	s_waitcnt vmcnt(36)
	v_fma_f64 v[157:158], v[5:6], v[179:180], -v[157:158]
	v_mul_f64 v[149:150], v[1:2], v[161:162]
	v_fma_f64 v[137:138], v[7:8], v[179:180], v[137:138]
	ds_read_b128 v[5:8], v181 offset:1808
	v_add_f64 v[133:134], v[133:134], v[151:152]
	v_add_f64 v[135:136], v[135:136], v[143:144]
	s_waitcnt vmcnt(35) lgkmcnt(1)
	v_mul_f64 v[151:152], v[131:132], v[200:201]
	v_mul_f64 v[143:144], v[129:130], v[200:201]
	s_waitcnt vmcnt(33)
	v_fma_f64 v[155:156], v[1:2], v[167:168], -v[155:156]
	v_fma_f64 v[149:150], v[3:4], v[167:168], v[149:150]
	ds_read_b128 v[1:4], v181 offset:1824
	v_add_f64 v[133:134], v[133:134], v[157:158]
	v_add_f64 v[135:136], v[135:136], v[137:138]
	s_waitcnt vmcnt(29) lgkmcnt(1)
	v_mul_f64 v[157:158], v[7:8], v[169:170]
	s_waitcnt vmcnt(28)
	v_fma_f64 v[151:152], v[129:130], v[204:205], -v[151:152]
	v_mul_f64 v[137:138], v[5:6], v[169:170]
	v_fma_f64 v[143:144], v[131:132], v[204:205], v[143:144]
	ds_read_b128 v[129:132], v181 offset:1840
	v_add_f64 v[133:134], v[133:134], v[155:156]
	v_add_f64 v[135:136], v[135:136], v[149:150]
	;; [unrolled: 18-line block ×3, first 2 shown]
	s_waitcnt vmcnt(19) lgkmcnt(1)
	v_mul_f64 v[157:158], v[7:8], v[202:203]
	v_mul_f64 v[137:138], v[5:6], v[202:203]
	s_waitcnt vmcnt(17)
	v_fma_f64 v[151:152], v[129:130], v[139:140], -v[151:152]
	v_fma_f64 v[139:140], v[131:132], v[139:140], v[143:144]
	ds_read_b128 v[129:132], v181 offset:1888
	v_add_f64 v[133:134], v[133:134], v[155:156]
	v_add_f64 v[135:136], v[135:136], v[149:150]
	s_waitcnt vmcnt(13) lgkmcnt(1)
	v_mul_f64 v[143:144], v[1:2], v[145:146]
	v_mul_f64 v[145:146], v[3:4], v[145:146]
	s_waitcnt vmcnt(12)
	v_fma_f64 v[149:150], v[5:6], v[206:207], -v[157:158]
	v_fma_f64 v[137:138], v[7:8], v[206:207], v[137:138]
	ds_read_b128 v[5:8], v181 offset:1904
	v_add_f64 v[133:134], v[133:134], v[151:152]
	v_add_f64 v[135:136], v[135:136], v[139:140]
	s_waitcnt vmcnt(11) lgkmcnt(1)
	v_mul_f64 v[151:152], v[131:132], v[194:195]
	v_mul_f64 v[139:140], v[129:130], v[194:195]
	s_waitcnt vmcnt(9)
	v_fma_f64 v[1:2], v[1:2], v[141:142], -v[145:146]
	v_fma_f64 v[3:4], v[3:4], v[141:142], v[143:144]
	v_add_f64 v[133:134], v[133:134], v[149:150]
	v_add_f64 v[135:136], v[135:136], v[137:138]
	s_waitcnt vmcnt(7) lgkmcnt(0)
	v_mul_f64 v[141:142], v[7:8], v[182:183]
	s_waitcnt vmcnt(6)
	v_fma_f64 v[129:130], v[129:130], v[211:212], -v[151:152]
	v_mul_f64 v[137:138], v[5:6], v[182:183]
	v_fma_f64 v[131:132], v[131:132], v[211:212], v[139:140]
	v_add_f64 v[1:2], v[133:134], v[1:2]
	v_add_f64 v[3:4], v[135:136], v[3:4]
	s_waitcnt vmcnt(4)
	v_fma_f64 v[5:6], v[5:6], v[147:148], -v[141:142]
	v_fma_f64 v[7:8], v[7:8], v[147:148], v[137:138]
	v_add_f64 v[1:2], v[1:2], v[129:130]
	v_add_f64 v[3:4], v[3:4], v[131:132]
	;; [unrolled: 1-line block ×4, first 2 shown]
	s_waitcnt vmcnt(2)
	v_add_f64 v[1:2], v[153:154], -v[1:2]
	s_waitcnt vmcnt(0)
	v_add_f64 v[3:4], v[163:164], -v[3:4]
	buffer_store_dword v2, off, s[0:3], 0 offset:324
	buffer_store_dword v1, off, s[0:3], 0 offset:320
	buffer_store_dword v4, off, s[0:3], 0 offset:332
	buffer_store_dword v3, off, s[0:3], 0 offset:328
	v_cmpx_lt_u32_e32 18, v0
	s_cbranch_execz .LBB123_337
; %bb.336:
	v_mov_b32_e32 v4, s54
	v_mov_b32_e32 v5, 0
	s_clause 0x3
	buffer_load_dword v1, v4, s[0:3], 0 offen
	buffer_load_dword v2, v4, s[0:3], 0 offen offset:4
	buffer_load_dword v3, v4, s[0:3], 0 offen offset:8
	buffer_load_dword v4, v4, s[0:3], 0 offen offset:12
	buffer_store_dword v5, off, s[0:3], 0 offset:304
	buffer_store_dword v5, off, s[0:3], 0 offset:308
	;; [unrolled: 1-line block ×4, first 2 shown]
	s_waitcnt vmcnt(0)
	ds_write_b128 v189, v[1:4]
.LBB123_337:
	s_or_b32 exec_lo, exec_lo, s4
	s_waitcnt lgkmcnt(0)
	s_waitcnt_vscnt null, 0x0
	s_barrier
	buffer_gl0_inv
	s_clause 0x37
	buffer_load_dword v129, off, s[0:3], 0 offset:328
	buffer_load_dword v130, off, s[0:3], 0 offset:332
	;; [unrolled: 1-line block ×56, first 2 shown]
	v_mov_b32_e32 v181, 0
	s_mov_b32 s4, exec_lo
	ds_read_b128 v[182:185], v181 offset:1264
	s_clause 0x2
	buffer_load_dword v178, off, s[0:3], 0 offset:556
	buffer_load_dword v180, off, s[0:3], 0 offset:532
	;; [unrolled: 1-line block ×3, first 2 shown]
	ds_read_b128 v[190:193], v181 offset:1280
	s_clause 0x4
	buffer_load_dword v199, off, s[0:3], 0 offset:572
	buffer_load_dword v200, off, s[0:3], 0 offset:584
	;; [unrolled: 1-line block ×5, first 2 shown]
	ds_read_b128 v[194:197], v181 offset:1296
	s_clause 0x2
	buffer_load_dword v201, off, s[0:3], 0 offset:588
	buffer_load_dword v206, off, s[0:3], 0 offset:564
	buffer_load_dword v205, off, s[0:3], 0 offset:560
	s_waitcnt vmcnt(62) lgkmcnt(2)
	v_mul_f64 v[186:187], v[184:185], v[129:130]
	v_mul_f64 v[129:130], v[182:183], v[129:130]
	s_waitcnt lgkmcnt(1)
	v_mul_f64 v[203:204], v[192:193], v[5:6]
	s_waitcnt vmcnt(59) lgkmcnt(0)
	v_mul_f64 v[207:208], v[196:197], v[3:4]
	v_fma_f64 v[182:183], v[182:183], v[7:8], -v[186:187]
	v_mul_f64 v[186:187], v[190:191], v[5:6]
	v_fma_f64 v[129:130], v[184:185], v[7:8], v[129:130]
	s_waitcnt vmcnt(57)
	v_fma_f64 v[190:191], v[190:191], v[1:2], -v[203:204]
	ds_read_b128 v[5:8], v181 offset:1312
	v_mul_f64 v[184:185], v[194:195], v[3:4]
	s_waitcnt vmcnt(51)
	v_fma_f64 v[194:195], v[194:195], v[145:146], -v[207:208]
	v_add_f64 v[182:183], v[182:183], 0
	v_fma_f64 v[186:187], v[192:193], v[1:2], v[186:187]
	v_add_f64 v[129:130], v[129:130], 0
	s_clause 0x4
	buffer_load_dword v193, off, s[0:3], 0 offset:604
	buffer_load_dword v209, off, s[0:3], 0 offset:616
	;; [unrolled: 1-line block ×5, first 2 shown]
	s_waitcnt lgkmcnt(0)
	v_mul_f64 v[212:213], v[5:6], v[133:134]
	v_mul_f64 v[133:134], v[7:8], v[133:134]
	ds_read_b128 v[1:4], v181 offset:1328
	v_fma_f64 v[145:146], v[196:197], v[145:146], v[184:185]
	v_add_f64 v[190:191], v[182:183], v[190:191]
	v_add_f64 v[129:130], v[129:130], v[186:187]
	s_clause 0x2
	buffer_load_dword v210, off, s[0:3], 0 offset:620
	buffer_load_dword v187, off, s[0:3], 0 offset:596
	;; [unrolled: 1-line block ×3, first 2 shown]
	s_waitcnt vmcnt(58) lgkmcnt(0)
	v_mul_f64 v[196:197], v[1:2], v[137:138]
	v_mul_f64 v[137:138], v[3:4], v[137:138]
	s_waitcnt vmcnt(56)
	v_fma_f64 v[133:134], v[5:6], v[139:140], -v[133:134]
	ds_read_b128 v[182:185], v181 offset:1344
	v_fma_f64 v[139:140], v[7:8], v[139:140], v[212:213]
	v_add_f64 v[190:191], v[190:191], v[194:195]
	v_add_f64 v[129:130], v[129:130], v[145:146]
	s_clause 0x4
	buffer_load_dword v146, off, s[0:3], 0 offset:636
	buffer_load_dword v194, off, s[0:3], 0 offset:648
	;; [unrolled: 1-line block ×5, first 2 shown]
	ds_read_b128 v[5:8], v181 offset:1360
	s_waitcnt vmcnt(57) lgkmcnt(1)
	v_mul_f64 v[213:214], v[182:183], v[141:142]
	v_mul_f64 v[141:142], v[184:185], v[141:142]
	s_waitcnt vmcnt(56)
	v_fma_f64 v[137:138], v[1:2], v[131:132], -v[137:138]
	v_fma_f64 v[131:132], v[3:4], v[131:132], v[196:197]
	v_add_f64 v[133:134], v[190:191], v[133:134]
	v_add_f64 v[129:130], v[129:130], v[139:140]
	s_clause 0x2
	buffer_load_dword v195, off, s[0:3], 0 offset:652
	buffer_load_dword v140, off, s[0:3], 0 offset:628
	;; [unrolled: 1-line block ×3, first 2 shown]
	s_waitcnt vmcnt(58) lgkmcnt(0)
	v_mul_f64 v[190:191], v[5:6], v[147:148]
	v_mul_f64 v[147:148], v[7:8], v[147:148]
	s_waitcnt vmcnt(56)
	v_fma_f64 v[141:142], v[182:183], v[149:150], -v[141:142]
	ds_read_b128 v[1:4], v181 offset:1376
	v_add_f64 v[133:134], v[133:134], v[137:138]
	v_fma_f64 v[137:138], v[184:185], v[149:150], v[213:214]
	v_add_f64 v[149:150], v[129:130], v[131:132]
	s_clause 0x4
	buffer_load_dword v183, off, s[0:3], 0 offset:668
	buffer_load_dword v184, off, s[0:3], 0 offset:680
	buffer_load_dword v196, off, s[0:3], 0 offset:672
	buffer_load_dword v182, off, s[0:3], 0 offset:664
	buffer_load_dword v208, off, s[0:3], 0 offset:644
	ds_read_b128 v[129:132], v181 offset:1392
	s_waitcnt vmcnt(57) lgkmcnt(1)
	v_mul_f64 v[213:214], v[1:2], v[151:152]
	v_mul_f64 v[151:152], v[3:4], v[151:152]
	s_waitcnt vmcnt(56)
	v_fma_f64 v[147:148], v[5:6], v[135:136], -v[147:148]
	v_fma_f64 v[135:136], v[7:8], v[135:136], v[190:191]
	v_add_f64 v[133:134], v[133:134], v[141:142]
	s_clause 0x2
	buffer_load_dword v185, off, s[0:3], 0 offset:684
	buffer_load_dword v142, off, s[0:3], 0 offset:660
	;; [unrolled: 1-line block ×3, first 2 shown]
	v_add_f64 v[137:138], v[149:150], v[137:138]
	s_waitcnt vmcnt(58) lgkmcnt(0)
	v_mul_f64 v[149:150], v[129:130], v[155:156]
	v_mul_f64 v[155:156], v[131:132], v[155:156]
	ds_read_b128 v[5:8], v181 offset:1408
	s_waitcnt vmcnt(56)
	v_fma_f64 v[151:152], v[1:2], v[157:158], -v[151:152]
	v_add_f64 v[133:134], v[133:134], v[147:148]
	v_fma_f64 v[147:148], v[3:4], v[157:158], v[213:214]
	v_add_f64 v[135:136], v[137:138], v[135:136]
	s_clause 0x4
	buffer_load_dword v138, off, s[0:3], 0 offset:700
	buffer_load_dword v157, off, s[0:3], 0 offset:712
	;; [unrolled: 1-line block ×5, first 2 shown]
	s_waitcnt vmcnt(57) lgkmcnt(0)
	v_mul_f64 v[213:214], v[5:6], v[159:160]
	v_mul_f64 v[159:160], v[7:8], v[159:160]
	s_waitcnt vmcnt(56)
	v_fma_f64 v[155:156], v[129:130], v[143:144], -v[155:156]
	ds_read_b128 v[1:4], v181 offset:1424
	v_fma_f64 v[143:144], v[131:132], v[143:144], v[149:150]
	v_add_f64 v[133:134], v[133:134], v[151:152]
	v_add_f64 v[135:136], v[135:136], v[147:148]
	s_clause 0x2
	buffer_load_dword v158, off, s[0:3], 0 offset:716
	buffer_load_dword v148, off, s[0:3], 0 offset:692
	;; [unrolled: 1-line block ×3, first 2 shown]
	ds_read_b128 v[129:132], v181 offset:1440
	s_waitcnt vmcnt(58) lgkmcnt(1)
	v_mul_f64 v[151:152], v[3:4], v[163:164]
	s_waitcnt vmcnt(56)
	v_fma_f64 v[159:160], v[5:6], v[165:166], -v[159:160]
	v_mul_f64 v[149:150], v[1:2], v[163:164]
	v_add_f64 v[133:134], v[133:134], v[155:156]
	v_fma_f64 v[155:156], v[7:8], v[165:166], v[213:214]
	v_add_f64 v[135:136], v[135:136], v[143:144]
	s_clause 0x4
	buffer_load_dword v144, off, s[0:3], 0 offset:732
	buffer_load_dword v163, off, s[0:3], 0 offset:744
	;; [unrolled: 1-line block ×5, first 2 shown]
	s_waitcnt vmcnt(57) lgkmcnt(0)
	v_mul_f64 v[213:214], v[129:130], v[167:168]
	v_mul_f64 v[166:167], v[131:132], v[167:168]
	s_waitcnt vmcnt(56)
	v_fma_f64 v[151:152], v[1:2], v[153:154], -v[151:152]
	ds_read_b128 v[5:8], v181 offset:1456
	v_fma_f64 v[149:150], v[3:4], v[153:154], v[149:150]
	s_clause 0x2
	buffer_load_dword v164, off, s[0:3], 0 offset:748
	buffer_load_dword v154, off, s[0:3], 0 offset:724
	buffer_load_dword v153, off, s[0:3], 0 offset:720
	ds_read_b128 v[1:4], v181 offset:1472
	v_add_f64 v[133:134], v[133:134], v[159:160]
	v_add_f64 v[135:136], v[135:136], v[155:156]
	s_waitcnt vmcnt(58) lgkmcnt(1)
	v_mul_f64 v[159:160], v[7:8], v[171:172]
	s_waitcnt vmcnt(56)
	v_fma_f64 v[167:168], v[129:130], v[173:174], -v[166:167]
	v_mul_f64 v[155:156], v[5:6], v[171:172]
	v_add_f64 v[133:134], v[133:134], v[151:152]
	v_fma_f64 v[151:152], v[131:132], v[173:174], v[213:214]
	v_add_f64 v[135:136], v[135:136], v[149:150]
	s_clause 0x4
	buffer_load_dword v150, off, s[0:3], 0 offset:764
	buffer_load_dword v171, off, s[0:3], 0 offset:776
	;; [unrolled: 1-line block ×5, first 2 shown]
	s_waitcnt vmcnt(57) lgkmcnt(0)
	v_mul_f64 v[213:214], v[1:2], v[175:176]
	v_mul_f64 v[174:175], v[3:4], v[175:176]
	s_waitcnt vmcnt(56)
	v_fma_f64 v[159:160], v[5:6], v[161:162], -v[159:160]
	ds_read_b128 v[129:132], v181 offset:1488
	v_fma_f64 v[155:156], v[7:8], v[161:162], v[155:156]
	v_add_f64 v[133:134], v[133:134], v[167:168]
	v_add_f64 v[135:136], v[135:136], v[151:152]
	s_clause 0x2
	buffer_load_dword v172, off, s[0:3], 0 offset:780
	buffer_load_dword v152, off, s[0:3], 0 offset:756
	;; [unrolled: 1-line block ×3, first 2 shown]
	ds_read_b128 v[5:8], v181 offset:1504
	s_waitcnt vmcnt(58) lgkmcnt(1)
	v_mul_f64 v[167:168], v[131:132], v[177:178]
	s_waitcnt vmcnt(56)
	v_fma_f64 v[175:176], v[1:2], v[179:180], -v[174:175]
	v_mul_f64 v[161:162], v[129:130], v[177:178]
	v_add_f64 v[133:134], v[133:134], v[159:160]
	v_fma_f64 v[159:160], v[3:4], v[179:180], v[213:214]
	v_add_f64 v[135:136], v[135:136], v[155:156]
	s_clause 0x4
	buffer_load_dword v156, off, s[0:3], 0 offset:796
	buffer_load_dword v177, off, s[0:3], 0 offset:808
	;; [unrolled: 1-line block ×5, first 2 shown]
	s_waitcnt vmcnt(57) lgkmcnt(0)
	v_mul_f64 v[213:214], v[5:6], v[198:199]
	v_mul_f64 v[198:199], v[7:8], v[198:199]
	s_waitcnt vmcnt(56)
	v_fma_f64 v[167:168], v[129:130], v[169:170], -v[167:168]
	ds_read_b128 v[1:4], v181 offset:1520
	v_fma_f64 v[161:162], v[131:132], v[169:170], v[161:162]
	v_add_f64 v[133:134], v[133:134], v[175:176]
	v_add_f64 v[135:136], v[135:136], v[159:160]
	s_clause 0x2
	buffer_load_dword v178, off, s[0:3], 0 offset:812
	buffer_load_dword v160, off, s[0:3], 0 offset:788
	;; [unrolled: 1-line block ×3, first 2 shown]
	ds_read_b128 v[129:132], v181 offset:1536
	s_waitcnt vmcnt(58) lgkmcnt(1)
	v_mul_f64 v[175:176], v[3:4], v[200:201]
	s_waitcnt vmcnt(56)
	v_fma_f64 v[198:199], v[5:6], v[205:206], -v[198:199]
	v_mul_f64 v[169:170], v[1:2], v[200:201]
	v_add_f64 v[133:134], v[133:134], v[167:168]
	v_fma_f64 v[167:168], v[7:8], v[205:206], v[213:214]
	v_add_f64 v[135:136], v[135:136], v[161:162]
	s_clause 0x4
	buffer_load_dword v162, off, s[0:3], 0 offset:828
	buffer_load_dword v200, off, s[0:3], 0 offset:840
	;; [unrolled: 1-line block ×5, first 2 shown]
	ds_read_b128 v[5:8], v181 offset:1552
	s_waitcnt vmcnt(57) lgkmcnt(1)
	v_mul_f64 v[205:206], v[129:130], v[192:193]
	v_mul_f64 v[192:193], v[131:132], v[192:193]
	s_waitcnt vmcnt(56)
	v_fma_f64 v[175:176], v[1:2], v[202:203], -v[175:176]
	v_fma_f64 v[169:170], v[3:4], v[202:203], v[169:170]
	v_add_f64 v[133:134], v[133:134], v[198:199]
	v_add_f64 v[135:136], v[135:136], v[167:168]
	s_clause 0x2
	buffer_load_dword v201, off, s[0:3], 0 offset:844
	buffer_load_dword v168, off, s[0:3], 0 offset:820
	;; [unrolled: 1-line block ×3, first 2 shown]
	ds_read_b128 v[1:4], v181 offset:1568
	s_waitcnt vmcnt(58) lgkmcnt(1)
	v_mul_f64 v[202:203], v[7:8], v[209:210]
	v_mul_f64 v[198:199], v[5:6], v[209:210]
	s_waitcnt vmcnt(56)
	v_fma_f64 v[192:193], v[129:130], v[186:187], -v[192:193]
	v_add_f64 v[133:134], v[133:134], v[175:176]
	v_fma_f64 v[175:176], v[131:132], v[186:187], v[205:206]
	v_add_f64 v[135:136], v[135:136], v[169:170]
	s_clause 0x4
	buffer_load_dword v170, off, s[0:3], 0 offset:860
	buffer_load_dword v186, off, s[0:3], 0 offset:872
	buffer_load_dword v209, off, s[0:3], 0 offset:864
	buffer_load_dword v169, off, s[0:3], 0 offset:856
	buffer_load_dword v205, off, s[0:3], 0 offset:836
	ds_read_b128 v[129:132], v181 offset:1584
	s_waitcnt vmcnt(57) lgkmcnt(1)
	v_mul_f64 v[213:214], v[1:2], v[145:146]
	v_mul_f64 v[145:146], v[3:4], v[145:146]
	s_waitcnt vmcnt(56)
	v_fma_f64 v[202:203], v[5:6], v[211:212], -v[202:203]
	v_add_f64 v[133:134], v[133:134], v[192:193]
	v_fma_f64 v[192:193], v[7:8], v[211:212], v[198:199]
	v_add_f64 v[135:136], v[135:136], v[175:176]
	s_clause 0x2
	buffer_load_dword v187, off, s[0:3], 0 offset:876
	buffer_load_dword v176, off, s[0:3], 0 offset:852
	buffer_load_dword v175, off, s[0:3], 0 offset:848
	ds_read_b128 v[5:8], v181 offset:1600
	s_waitcnt vmcnt(58) lgkmcnt(1)
	v_mul_f64 v[198:199], v[129:130], v[194:195]
	v_mul_f64 v[194:195], v[131:132], v[194:195]
	s_waitcnt vmcnt(56)
	v_fma_f64 v[145:146], v[1:2], v[139:140], -v[145:146]
	v_fma_f64 v[139:140], v[3:4], v[139:140], v[213:214]
	v_add_f64 v[133:134], v[133:134], v[202:203]
	v_add_f64 v[135:136], v[135:136], v[192:193]
	s_clause 0x4
	buffer_load_dword v193, off, s[0:3], 0 offset:892
	buffer_load_dword v202, off, s[0:3], 0 offset:904
	buffer_load_dword v206, off, s[0:3], 0 offset:896
	buffer_load_dword v192, off, s[0:3], 0 offset:888
	buffer_load_dword v210, off, s[0:3], 0 offset:868
	ds_read_b128 v[1:4], v181 offset:1616
	s_waitcnt vmcnt(57) lgkmcnt(1)
	v_mul_f64 v[211:212], v[5:6], v[182:183]
	v_mul_f64 v[182:183], v[7:8], v[182:183]
	s_waitcnt vmcnt(56)
	v_fma_f64 v[194:195], v[129:130], v[207:208], -v[194:195]
	v_add_f64 v[133:134], v[133:134], v[145:146]
	v_fma_f64 v[145:146], v[131:132], v[207:208], v[198:199]
	v_add_f64 v[135:136], v[135:136], v[139:140]
	s_clause 0x2
	buffer_load_dword v203, off, s[0:3], 0 offset:908
	buffer_load_dword v140, off, s[0:3], 0 offset:884
	buffer_load_dword v139, off, s[0:3], 0 offset:880
	ds_read_b128 v[129:132], v181 offset:1632
	s_waitcnt vmcnt(58) lgkmcnt(1)
	v_mul_f64 v[198:199], v[1:2], v[184:185]
	v_mul_f64 v[184:185], v[3:4], v[184:185]
	s_waitcnt vmcnt(56)
	v_fma_f64 v[182:183], v[5:6], v[141:142], -v[182:183]
	v_fma_f64 v[141:142], v[7:8], v[141:142], v[211:212]
	v_add_f64 v[133:134], v[133:134], v[194:195]
	;; [unrolled: 28-line block ×3, first 2 shown]
	v_add_f64 v[135:136], v[135:136], v[182:183]
	s_clause 0x4
	buffer_load_dword v183, off, s[0:3], 0 offset:956
	buffer_load_dword v184, off, s[0:3], 0 offset:968
	;; [unrolled: 1-line block ×5, first 2 shown]
	ds_read_b128 v[129:132], v181 offset:1680
	s_waitcnt vmcnt(57) lgkmcnt(1)
	v_mul_f64 v[213:214], v[1:2], v[143:144]
	v_mul_f64 v[143:144], v[3:4], v[143:144]
	s_waitcnt vmcnt(56)
	v_fma_f64 v[157:158], v[5:6], v[190:191], -v[157:158]
	v_add_f64 v[133:134], v[133:134], v[137:138]
	v_fma_f64 v[137:138], v[7:8], v[190:191], v[196:197]
	v_add_f64 v[135:136], v[135:136], v[147:148]
	s_clause 0x2
	buffer_load_dword v185, off, s[0:3], 0 offset:972
	buffer_load_dword v148, off, s[0:3], 0 offset:948
	;; [unrolled: 1-line block ×3, first 2 shown]
	s_waitcnt vmcnt(58) lgkmcnt(0)
	v_mul_f64 v[190:191], v[129:130], v[163:164]
	v_mul_f64 v[163:164], v[131:132], v[163:164]
	ds_read_b128 v[5:8], v181 offset:1696
	buffer_load_dword v199, off, s[0:3], 0 offset:964
	s_waitcnt vmcnt(57)
	v_fma_f64 v[143:144], v[1:2], v[153:154], -v[143:144]
	v_fma_f64 v[153:154], v[3:4], v[153:154], v[213:214]
	ds_read_b128 v[1:4], v181 offset:1712
	v_add_f64 v[133:134], v[133:134], v[157:158]
	v_add_f64 v[135:136], v[135:136], v[137:138]
	s_waitcnt vmcnt(53) lgkmcnt(1)
	v_mul_f64 v[137:138], v[5:6], v[149:150]
	v_mul_f64 v[149:150], v[7:8], v[149:150]
	s_waitcnt vmcnt(52)
	v_fma_f64 v[157:158], v[129:130], v[165:166], -v[163:164]
	v_add_f64 v[133:134], v[133:134], v[143:144]
	v_fma_f64 v[143:144], v[131:132], v[165:166], v[190:191]
	v_add_f64 v[135:136], v[135:136], v[153:154]
	ds_read_b128 v[129:132], v181 offset:1728
	s_waitcnt vmcnt(51) lgkmcnt(1)
	v_mul_f64 v[163:164], v[3:4], v[171:172]
	v_mul_f64 v[153:154], v[1:2], v[171:172]
	s_waitcnt vmcnt(49)
	v_fma_f64 v[149:150], v[5:6], v[151:152], -v[149:150]
	v_fma_f64 v[137:138], v[7:8], v[151:152], v[137:138]
	v_add_f64 v[133:134], v[133:134], v[157:158]
	v_add_f64 v[135:136], v[135:136], v[143:144]
	s_clause 0x3
	buffer_load_dword v143, off, s[0:3], 0 offset:304
	buffer_load_dword v144, off, s[0:3], 0 offset:308
	;; [unrolled: 1-line block ×4, first 2 shown]
	ds_read_b128 v[5:8], v181 offset:1744
	s_waitcnt vmcnt(49) lgkmcnt(1)
	v_mul_f64 v[157:158], v[129:130], v[155:156]
	v_mul_f64 v[155:156], v[131:132], v[155:156]
	s_waitcnt vmcnt(48)
	v_fma_f64 v[163:164], v[1:2], v[173:174], -v[163:164]
	v_add_f64 v[133:134], v[133:134], v[149:150]
	v_fma_f64 v[149:150], v[3:4], v[173:174], v[153:154]
	v_add_f64 v[135:136], v[135:136], v[137:138]
	ds_read_b128 v[1:4], v181 offset:1760
	s_waitcnt vmcnt(47) lgkmcnt(1)
	v_mul_f64 v[153:154], v[7:8], v[177:178]
	v_mul_f64 v[137:138], v[5:6], v[177:178]
	s_waitcnt vmcnt(45)
	v_fma_f64 v[155:156], v[129:130], v[159:160], -v[155:156]
	v_fma_f64 v[157:158], v[131:132], v[159:160], v[157:158]
	ds_read_b128 v[129:132], v181 offset:1776
	v_add_f64 v[133:134], v[133:134], v[163:164]
	v_add_f64 v[135:136], v[135:136], v[149:150]
	s_waitcnt vmcnt(41) lgkmcnt(1)
	v_mul_f64 v[159:160], v[3:4], v[161:162]
	s_waitcnt vmcnt(40)
	v_fma_f64 v[153:154], v[5:6], v[179:180], -v[153:154]
	v_mul_f64 v[149:150], v[1:2], v[161:162]
	v_fma_f64 v[137:138], v[7:8], v[179:180], v[137:138]
	ds_read_b128 v[5:8], v181 offset:1792
	v_add_f64 v[133:134], v[133:134], v[155:156]
	v_add_f64 v[135:136], v[135:136], v[157:158]
	s_waitcnt vmcnt(39) lgkmcnt(1)
	v_mul_f64 v[157:158], v[131:132], v[200:201]
	v_mul_f64 v[155:156], v[129:130], v[200:201]
	s_waitcnt vmcnt(37)
	v_fma_f64 v[159:160], v[1:2], v[167:168], -v[159:160]
	v_fma_f64 v[149:150], v[3:4], v[167:168], v[149:150]
	ds_read_b128 v[1:4], v181 offset:1808
	v_add_f64 v[133:134], v[133:134], v[153:154]
	v_add_f64 v[135:136], v[135:136], v[137:138]
	s_waitcnt vmcnt(33) lgkmcnt(1)
	v_mul_f64 v[153:154], v[7:8], v[169:170]
	s_waitcnt vmcnt(32)
	v_fma_f64 v[157:158], v[129:130], v[204:205], -v[157:158]
	v_mul_f64 v[137:138], v[5:6], v[169:170]
	v_fma_f64 v[155:156], v[131:132], v[204:205], v[155:156]
	ds_read_b128 v[129:132], v181 offset:1824
	v_add_f64 v[133:134], v[133:134], v[159:160]
	v_add_f64 v[135:136], v[135:136], v[149:150]
	;; [unrolled: 18-line block ×3, first 2 shown]
	s_waitcnt vmcnt(23) lgkmcnt(1)
	v_mul_f64 v[153:154], v[7:8], v[202:203]
	v_mul_f64 v[137:138], v[5:6], v[202:203]
	s_waitcnt vmcnt(21)
	v_fma_f64 v[157:158], v[129:130], v[139:140], -v[157:158]
	v_fma_f64 v[139:140], v[131:132], v[139:140], v[155:156]
	ds_read_b128 v[129:132], v181 offset:1872
	v_add_f64 v[133:134], v[133:134], v[159:160]
	v_add_f64 v[135:136], v[135:136], v[149:150]
	s_waitcnt vmcnt(17) lgkmcnt(1)
	v_mul_f64 v[149:150], v[1:2], v[145:146]
	v_mul_f64 v[145:146], v[3:4], v[145:146]
	s_waitcnt vmcnt(16)
	v_fma_f64 v[153:154], v[5:6], v[206:207], -v[153:154]
	v_fma_f64 v[137:138], v[7:8], v[206:207], v[137:138]
	ds_read_b128 v[5:8], v181 offset:1888
	v_add_f64 v[133:134], v[133:134], v[157:158]
	v_add_f64 v[135:136], v[135:136], v[139:140]
	;; [unrolled: 9-line block ×3, first 2 shown]
	s_waitcnt vmcnt(9) lgkmcnt(1)
	v_mul_f64 v[149:150], v[7:8], v[182:183]
	s_waitcnt vmcnt(8)
	v_fma_f64 v[129:130], v[129:130], v[211:212], -v[155:156]
	v_mul_f64 v[137:138], v[5:6], v[182:183]
	v_fma_f64 v[131:132], v[131:132], v[211:212], v[139:140]
	v_add_f64 v[133:134], v[133:134], v[145:146]
	v_add_f64 v[135:136], v[135:136], v[141:142]
	s_waitcnt vmcnt(7) lgkmcnt(0)
	v_mul_f64 v[141:142], v[3:4], v[184:185]
	v_mul_f64 v[139:140], v[1:2], v[184:185]
	s_waitcnt vmcnt(5)
	v_fma_f64 v[5:6], v[5:6], v[147:148], -v[149:150]
	v_fma_f64 v[7:8], v[7:8], v[147:148], v[137:138]
	v_add_f64 v[129:130], v[133:134], v[129:130]
	v_add_f64 v[131:132], v[135:136], v[131:132]
	s_waitcnt vmcnt(4)
	v_fma_f64 v[1:2], v[1:2], v[198:199], -v[141:142]
	v_fma_f64 v[3:4], v[3:4], v[198:199], v[139:140]
	v_add_f64 v[5:6], v[129:130], v[5:6]
	v_add_f64 v[7:8], v[131:132], v[7:8]
	;; [unrolled: 1-line block ×4, first 2 shown]
	s_waitcnt vmcnt(2)
	v_add_f64 v[1:2], v[143:144], -v[1:2]
	s_waitcnt vmcnt(0)
	v_add_f64 v[3:4], v[151:152], -v[3:4]
	buffer_store_dword v2, off, s[0:3], 0 offset:308
	buffer_store_dword v1, off, s[0:3], 0 offset:304
	;; [unrolled: 1-line block ×4, first 2 shown]
	v_cmpx_lt_u32_e32 17, v0
	s_cbranch_execz .LBB123_339
; %bb.338:
	v_mov_b32_e32 v4, s55
	s_clause 0x3
	buffer_load_dword v1, v4, s[0:3], 0 offen
	buffer_load_dword v2, v4, s[0:3], 0 offen offset:4
	buffer_load_dword v3, v4, s[0:3], 0 offen offset:8
	;; [unrolled: 1-line block ×3, first 2 shown]
	buffer_store_dword v181, off, s[0:3], 0 offset:288
	buffer_store_dword v181, off, s[0:3], 0 offset:292
	;; [unrolled: 1-line block ×4, first 2 shown]
	s_waitcnt vmcnt(0)
	ds_write_b128 v189, v[1:4]
.LBB123_339:
	s_or_b32 exec_lo, exec_lo, s4
	s_waitcnt lgkmcnt(0)
	s_waitcnt_vscnt null, 0x0
	s_barrier
	buffer_gl0_inv
	s_clause 0x37
	buffer_load_dword v129, off, s[0:3], 0 offset:312
	buffer_load_dword v130, off, s[0:3], 0 offset:316
	;; [unrolled: 1-line block ×56, first 2 shown]
	ds_read_b128 v[182:185], v181 offset:1248
	s_clause 0x2
	buffer_load_dword v178, off, s[0:3], 0 offset:540
	buffer_load_dword v180, off, s[0:3], 0 offset:516
	;; [unrolled: 1-line block ×3, first 2 shown]
	ds_read_b128 v[190:193], v181 offset:1264
	s_clause 0x4
	buffer_load_dword v199, off, s[0:3], 0 offset:556
	buffer_load_dword v200, off, s[0:3], 0 offset:568
	;; [unrolled: 1-line block ×5, first 2 shown]
	ds_read_b128 v[194:197], v181 offset:1280
	s_clause 0x2
	buffer_load_dword v201, off, s[0:3], 0 offset:572
	buffer_load_dword v206, off, s[0:3], 0 offset:548
	;; [unrolled: 1-line block ×3, first 2 shown]
	s_mov_b32 s4, exec_lo
	s_waitcnt vmcnt(62) lgkmcnt(2)
	v_mul_f64 v[186:187], v[184:185], v[129:130]
	v_mul_f64 v[129:130], v[182:183], v[129:130]
	s_waitcnt lgkmcnt(1)
	v_mul_f64 v[203:204], v[192:193], v[5:6]
	s_waitcnt vmcnt(59) lgkmcnt(0)
	v_mul_f64 v[207:208], v[196:197], v[3:4]
	v_fma_f64 v[182:183], v[182:183], v[7:8], -v[186:187]
	v_mul_f64 v[186:187], v[190:191], v[5:6]
	v_fma_f64 v[129:130], v[184:185], v[7:8], v[129:130]
	s_waitcnt vmcnt(57)
	v_fma_f64 v[190:191], v[190:191], v[1:2], -v[203:204]
	ds_read_b128 v[5:8], v181 offset:1296
	v_mul_f64 v[184:185], v[194:195], v[3:4]
	s_waitcnt vmcnt(51)
	v_fma_f64 v[194:195], v[194:195], v[145:146], -v[207:208]
	v_add_f64 v[182:183], v[182:183], 0
	v_fma_f64 v[186:187], v[192:193], v[1:2], v[186:187]
	v_add_f64 v[129:130], v[129:130], 0
	s_clause 0x4
	buffer_load_dword v193, off, s[0:3], 0 offset:588
	buffer_load_dword v209, off, s[0:3], 0 offset:600
	;; [unrolled: 1-line block ×5, first 2 shown]
	s_waitcnt lgkmcnt(0)
	v_mul_f64 v[212:213], v[5:6], v[133:134]
	v_mul_f64 v[133:134], v[7:8], v[133:134]
	ds_read_b128 v[1:4], v181 offset:1312
	v_fma_f64 v[145:146], v[196:197], v[145:146], v[184:185]
	v_add_f64 v[190:191], v[182:183], v[190:191]
	v_add_f64 v[129:130], v[129:130], v[186:187]
	s_clause 0x2
	buffer_load_dword v210, off, s[0:3], 0 offset:604
	buffer_load_dword v187, off, s[0:3], 0 offset:580
	;; [unrolled: 1-line block ×3, first 2 shown]
	s_waitcnt vmcnt(58) lgkmcnt(0)
	v_mul_f64 v[196:197], v[1:2], v[137:138]
	v_mul_f64 v[137:138], v[3:4], v[137:138]
	s_waitcnt vmcnt(56)
	v_fma_f64 v[133:134], v[5:6], v[139:140], -v[133:134]
	ds_read_b128 v[182:185], v181 offset:1328
	v_fma_f64 v[139:140], v[7:8], v[139:140], v[212:213]
	v_add_f64 v[190:191], v[190:191], v[194:195]
	v_add_f64 v[129:130], v[129:130], v[145:146]
	s_clause 0x4
	buffer_load_dword v146, off, s[0:3], 0 offset:620
	buffer_load_dword v194, off, s[0:3], 0 offset:632
	;; [unrolled: 1-line block ×5, first 2 shown]
	ds_read_b128 v[5:8], v181 offset:1344
	s_waitcnt vmcnt(57) lgkmcnt(1)
	v_mul_f64 v[213:214], v[182:183], v[141:142]
	v_mul_f64 v[141:142], v[184:185], v[141:142]
	s_waitcnt vmcnt(56)
	v_fma_f64 v[137:138], v[1:2], v[131:132], -v[137:138]
	v_fma_f64 v[131:132], v[3:4], v[131:132], v[196:197]
	v_add_f64 v[133:134], v[190:191], v[133:134]
	v_add_f64 v[129:130], v[129:130], v[139:140]
	s_clause 0x2
	buffer_load_dword v195, off, s[0:3], 0 offset:636
	buffer_load_dword v140, off, s[0:3], 0 offset:612
	buffer_load_dword v139, off, s[0:3], 0 offset:608
	s_waitcnt vmcnt(58) lgkmcnt(0)
	v_mul_f64 v[190:191], v[5:6], v[147:148]
	v_mul_f64 v[147:148], v[7:8], v[147:148]
	s_waitcnt vmcnt(56)
	v_fma_f64 v[141:142], v[182:183], v[149:150], -v[141:142]
	ds_read_b128 v[1:4], v181 offset:1360
	v_add_f64 v[133:134], v[133:134], v[137:138]
	v_fma_f64 v[137:138], v[184:185], v[149:150], v[213:214]
	v_add_f64 v[149:150], v[129:130], v[131:132]
	s_clause 0x4
	buffer_load_dword v183, off, s[0:3], 0 offset:652
	buffer_load_dword v184, off, s[0:3], 0 offset:664
	;; [unrolled: 1-line block ×5, first 2 shown]
	ds_read_b128 v[129:132], v181 offset:1376
	s_waitcnt vmcnt(57) lgkmcnt(1)
	v_mul_f64 v[213:214], v[1:2], v[151:152]
	v_mul_f64 v[151:152], v[3:4], v[151:152]
	s_waitcnt vmcnt(56)
	v_fma_f64 v[147:148], v[5:6], v[135:136], -v[147:148]
	v_fma_f64 v[135:136], v[7:8], v[135:136], v[190:191]
	v_add_f64 v[133:134], v[133:134], v[141:142]
	s_clause 0x2
	buffer_load_dword v185, off, s[0:3], 0 offset:668
	buffer_load_dword v142, off, s[0:3], 0 offset:644
	;; [unrolled: 1-line block ×3, first 2 shown]
	v_add_f64 v[137:138], v[149:150], v[137:138]
	s_waitcnt vmcnt(58) lgkmcnt(0)
	v_mul_f64 v[149:150], v[129:130], v[155:156]
	v_mul_f64 v[155:156], v[131:132], v[155:156]
	ds_read_b128 v[5:8], v181 offset:1392
	s_waitcnt vmcnt(56)
	v_fma_f64 v[151:152], v[1:2], v[157:158], -v[151:152]
	v_add_f64 v[133:134], v[133:134], v[147:148]
	v_fma_f64 v[147:148], v[3:4], v[157:158], v[213:214]
	v_add_f64 v[135:136], v[137:138], v[135:136]
	s_clause 0x4
	buffer_load_dword v138, off, s[0:3], 0 offset:684
	buffer_load_dword v157, off, s[0:3], 0 offset:696
	;; [unrolled: 1-line block ×5, first 2 shown]
	s_waitcnt vmcnt(57) lgkmcnt(0)
	v_mul_f64 v[213:214], v[5:6], v[159:160]
	v_mul_f64 v[159:160], v[7:8], v[159:160]
	s_waitcnt vmcnt(56)
	v_fma_f64 v[155:156], v[129:130], v[143:144], -v[155:156]
	ds_read_b128 v[1:4], v181 offset:1408
	v_fma_f64 v[143:144], v[131:132], v[143:144], v[149:150]
	v_add_f64 v[133:134], v[133:134], v[151:152]
	v_add_f64 v[135:136], v[135:136], v[147:148]
	s_clause 0x2
	buffer_load_dword v158, off, s[0:3], 0 offset:700
	buffer_load_dword v148, off, s[0:3], 0 offset:676
	;; [unrolled: 1-line block ×3, first 2 shown]
	ds_read_b128 v[129:132], v181 offset:1424
	s_waitcnt vmcnt(58) lgkmcnt(1)
	v_mul_f64 v[151:152], v[3:4], v[163:164]
	s_waitcnt vmcnt(56)
	v_fma_f64 v[159:160], v[5:6], v[165:166], -v[159:160]
	v_mul_f64 v[149:150], v[1:2], v[163:164]
	v_add_f64 v[133:134], v[133:134], v[155:156]
	v_fma_f64 v[155:156], v[7:8], v[165:166], v[213:214]
	v_add_f64 v[135:136], v[135:136], v[143:144]
	s_clause 0x4
	buffer_load_dword v144, off, s[0:3], 0 offset:716
	buffer_load_dword v163, off, s[0:3], 0 offset:728
	;; [unrolled: 1-line block ×5, first 2 shown]
	s_waitcnt vmcnt(57) lgkmcnt(0)
	v_mul_f64 v[213:214], v[129:130], v[167:168]
	v_mul_f64 v[166:167], v[131:132], v[167:168]
	s_waitcnt vmcnt(56)
	v_fma_f64 v[151:152], v[1:2], v[153:154], -v[151:152]
	ds_read_b128 v[5:8], v181 offset:1440
	v_fma_f64 v[149:150], v[3:4], v[153:154], v[149:150]
	s_clause 0x2
	buffer_load_dword v164, off, s[0:3], 0 offset:732
	buffer_load_dword v154, off, s[0:3], 0 offset:708
	;; [unrolled: 1-line block ×3, first 2 shown]
	ds_read_b128 v[1:4], v181 offset:1456
	v_add_f64 v[133:134], v[133:134], v[159:160]
	v_add_f64 v[135:136], v[135:136], v[155:156]
	s_waitcnt vmcnt(58) lgkmcnt(1)
	v_mul_f64 v[159:160], v[7:8], v[171:172]
	s_waitcnt vmcnt(56)
	v_fma_f64 v[167:168], v[129:130], v[173:174], -v[166:167]
	v_mul_f64 v[155:156], v[5:6], v[171:172]
	v_add_f64 v[133:134], v[133:134], v[151:152]
	v_fma_f64 v[151:152], v[131:132], v[173:174], v[213:214]
	v_add_f64 v[135:136], v[135:136], v[149:150]
	s_clause 0x4
	buffer_load_dword v150, off, s[0:3], 0 offset:748
	buffer_load_dword v171, off, s[0:3], 0 offset:760
	;; [unrolled: 1-line block ×5, first 2 shown]
	s_waitcnt vmcnt(57) lgkmcnt(0)
	v_mul_f64 v[213:214], v[1:2], v[175:176]
	v_mul_f64 v[174:175], v[3:4], v[175:176]
	s_waitcnt vmcnt(56)
	v_fma_f64 v[159:160], v[5:6], v[161:162], -v[159:160]
	ds_read_b128 v[129:132], v181 offset:1472
	v_fma_f64 v[155:156], v[7:8], v[161:162], v[155:156]
	v_add_f64 v[133:134], v[133:134], v[167:168]
	v_add_f64 v[135:136], v[135:136], v[151:152]
	s_clause 0x2
	buffer_load_dword v172, off, s[0:3], 0 offset:764
	buffer_load_dword v152, off, s[0:3], 0 offset:740
	;; [unrolled: 1-line block ×3, first 2 shown]
	ds_read_b128 v[5:8], v181 offset:1488
	s_waitcnt vmcnt(58) lgkmcnt(1)
	v_mul_f64 v[167:168], v[131:132], v[177:178]
	s_waitcnt vmcnt(56)
	v_fma_f64 v[175:176], v[1:2], v[179:180], -v[174:175]
	v_mul_f64 v[161:162], v[129:130], v[177:178]
	v_add_f64 v[133:134], v[133:134], v[159:160]
	v_fma_f64 v[159:160], v[3:4], v[179:180], v[213:214]
	v_add_f64 v[135:136], v[135:136], v[155:156]
	s_clause 0x4
	buffer_load_dword v156, off, s[0:3], 0 offset:780
	buffer_load_dword v177, off, s[0:3], 0 offset:792
	;; [unrolled: 1-line block ×5, first 2 shown]
	s_waitcnt vmcnt(57) lgkmcnt(0)
	v_mul_f64 v[213:214], v[5:6], v[198:199]
	v_mul_f64 v[198:199], v[7:8], v[198:199]
	s_waitcnt vmcnt(56)
	v_fma_f64 v[167:168], v[129:130], v[169:170], -v[167:168]
	ds_read_b128 v[1:4], v181 offset:1504
	v_fma_f64 v[161:162], v[131:132], v[169:170], v[161:162]
	v_add_f64 v[133:134], v[133:134], v[175:176]
	v_add_f64 v[135:136], v[135:136], v[159:160]
	s_clause 0x2
	buffer_load_dword v178, off, s[0:3], 0 offset:796
	buffer_load_dword v160, off, s[0:3], 0 offset:772
	;; [unrolled: 1-line block ×3, first 2 shown]
	ds_read_b128 v[129:132], v181 offset:1520
	s_waitcnt vmcnt(58) lgkmcnt(1)
	v_mul_f64 v[175:176], v[3:4], v[200:201]
	s_waitcnt vmcnt(56)
	v_fma_f64 v[198:199], v[5:6], v[205:206], -v[198:199]
	v_mul_f64 v[169:170], v[1:2], v[200:201]
	v_add_f64 v[133:134], v[133:134], v[167:168]
	v_fma_f64 v[167:168], v[7:8], v[205:206], v[213:214]
	v_add_f64 v[135:136], v[135:136], v[161:162]
	s_clause 0x4
	buffer_load_dword v162, off, s[0:3], 0 offset:812
	buffer_load_dword v200, off, s[0:3], 0 offset:824
	;; [unrolled: 1-line block ×5, first 2 shown]
	ds_read_b128 v[5:8], v181 offset:1536
	s_waitcnt vmcnt(57) lgkmcnt(1)
	v_mul_f64 v[205:206], v[129:130], v[192:193]
	v_mul_f64 v[192:193], v[131:132], v[192:193]
	s_waitcnt vmcnt(56)
	v_fma_f64 v[175:176], v[1:2], v[202:203], -v[175:176]
	v_fma_f64 v[169:170], v[3:4], v[202:203], v[169:170]
	v_add_f64 v[133:134], v[133:134], v[198:199]
	v_add_f64 v[135:136], v[135:136], v[167:168]
	s_clause 0x2
	buffer_load_dword v201, off, s[0:3], 0 offset:828
	buffer_load_dword v168, off, s[0:3], 0 offset:804
	;; [unrolled: 1-line block ×3, first 2 shown]
	ds_read_b128 v[1:4], v181 offset:1552
	s_waitcnt vmcnt(58) lgkmcnt(1)
	v_mul_f64 v[202:203], v[7:8], v[209:210]
	v_mul_f64 v[198:199], v[5:6], v[209:210]
	s_waitcnt vmcnt(56)
	v_fma_f64 v[192:193], v[129:130], v[186:187], -v[192:193]
	v_add_f64 v[133:134], v[133:134], v[175:176]
	v_fma_f64 v[175:176], v[131:132], v[186:187], v[205:206]
	v_add_f64 v[135:136], v[135:136], v[169:170]
	s_clause 0x4
	buffer_load_dword v170, off, s[0:3], 0 offset:844
	buffer_load_dword v186, off, s[0:3], 0 offset:856
	buffer_load_dword v209, off, s[0:3], 0 offset:848
	buffer_load_dword v169, off, s[0:3], 0 offset:840
	buffer_load_dword v205, off, s[0:3], 0 offset:820
	ds_read_b128 v[129:132], v181 offset:1568
	s_waitcnt vmcnt(57) lgkmcnt(1)
	v_mul_f64 v[213:214], v[1:2], v[145:146]
	v_mul_f64 v[145:146], v[3:4], v[145:146]
	s_waitcnt vmcnt(56)
	v_fma_f64 v[202:203], v[5:6], v[211:212], -v[202:203]
	v_add_f64 v[133:134], v[133:134], v[192:193]
	v_fma_f64 v[192:193], v[7:8], v[211:212], v[198:199]
	v_add_f64 v[135:136], v[135:136], v[175:176]
	s_clause 0x2
	buffer_load_dword v187, off, s[0:3], 0 offset:860
	buffer_load_dword v176, off, s[0:3], 0 offset:836
	buffer_load_dword v175, off, s[0:3], 0 offset:832
	ds_read_b128 v[5:8], v181 offset:1584
	s_waitcnt vmcnt(58) lgkmcnt(1)
	v_mul_f64 v[198:199], v[129:130], v[194:195]
	v_mul_f64 v[194:195], v[131:132], v[194:195]
	s_waitcnt vmcnt(56)
	v_fma_f64 v[145:146], v[1:2], v[139:140], -v[145:146]
	v_fma_f64 v[139:140], v[3:4], v[139:140], v[213:214]
	v_add_f64 v[133:134], v[133:134], v[202:203]
	v_add_f64 v[135:136], v[135:136], v[192:193]
	s_clause 0x4
	buffer_load_dword v193, off, s[0:3], 0 offset:876
	buffer_load_dword v202, off, s[0:3], 0 offset:888
	buffer_load_dword v206, off, s[0:3], 0 offset:880
	buffer_load_dword v192, off, s[0:3], 0 offset:872
	buffer_load_dword v210, off, s[0:3], 0 offset:852
	ds_read_b128 v[1:4], v181 offset:1600
	s_waitcnt vmcnt(57) lgkmcnt(1)
	v_mul_f64 v[211:212], v[5:6], v[182:183]
	v_mul_f64 v[182:183], v[7:8], v[182:183]
	s_waitcnt vmcnt(56)
	v_fma_f64 v[194:195], v[129:130], v[207:208], -v[194:195]
	v_add_f64 v[133:134], v[133:134], v[145:146]
	v_fma_f64 v[145:146], v[131:132], v[207:208], v[198:199]
	v_add_f64 v[135:136], v[135:136], v[139:140]
	s_clause 0x2
	buffer_load_dword v203, off, s[0:3], 0 offset:892
	buffer_load_dword v140, off, s[0:3], 0 offset:868
	buffer_load_dword v139, off, s[0:3], 0 offset:864
	ds_read_b128 v[129:132], v181 offset:1616
	s_waitcnt vmcnt(58) lgkmcnt(1)
	v_mul_f64 v[198:199], v[1:2], v[184:185]
	v_mul_f64 v[184:185], v[3:4], v[184:185]
	s_waitcnt vmcnt(56)
	v_fma_f64 v[182:183], v[5:6], v[141:142], -v[182:183]
	v_fma_f64 v[141:142], v[7:8], v[141:142], v[211:212]
	v_add_f64 v[133:134], v[133:134], v[194:195]
	;; [unrolled: 28-line block ×3, first 2 shown]
	v_add_f64 v[135:136], v[135:136], v[182:183]
	s_clause 0x4
	buffer_load_dword v183, off, s[0:3], 0 offset:940
	buffer_load_dword v184, off, s[0:3], 0 offset:952
	;; [unrolled: 1-line block ×5, first 2 shown]
	ds_read_b128 v[129:132], v181 offset:1664
	s_waitcnt vmcnt(57) lgkmcnt(1)
	v_mul_f64 v[213:214], v[1:2], v[143:144]
	v_mul_f64 v[143:144], v[3:4], v[143:144]
	s_waitcnt vmcnt(56)
	v_fma_f64 v[157:158], v[5:6], v[190:191], -v[157:158]
	v_add_f64 v[133:134], v[133:134], v[137:138]
	v_fma_f64 v[137:138], v[7:8], v[190:191], v[196:197]
	v_add_f64 v[135:136], v[135:136], v[147:148]
	s_clause 0x2
	buffer_load_dword v185, off, s[0:3], 0 offset:956
	buffer_load_dword v148, off, s[0:3], 0 offset:932
	;; [unrolled: 1-line block ×3, first 2 shown]
	s_waitcnt vmcnt(58) lgkmcnt(0)
	v_mul_f64 v[190:191], v[129:130], v[163:164]
	v_mul_f64 v[163:164], v[131:132], v[163:164]
	ds_read_b128 v[5:8], v181 offset:1680
	s_waitcnt vmcnt(56)
	v_fma_f64 v[143:144], v[1:2], v[153:154], -v[143:144]
	v_fma_f64 v[153:154], v[3:4], v[153:154], v[213:214]
	v_add_f64 v[133:134], v[133:134], v[157:158]
	v_add_f64 v[135:136], v[135:136], v[137:138]
	s_clause 0x2
	buffer_load_dword v138, off, s[0:3], 0 offset:972
	buffer_load_dword v137, off, s[0:3], 0 offset:968
	;; [unrolled: 1-line block ×3, first 2 shown]
	ds_read_b128 v[1:4], v181 offset:1696
	s_waitcnt vmcnt(55) lgkmcnt(1)
	v_mul_f64 v[157:158], v[5:6], v[149:150]
	v_mul_f64 v[149:150], v[7:8], v[149:150]
	s_waitcnt vmcnt(54)
	v_fma_f64 v[163:164], v[129:130], v[165:166], -v[163:164]
	v_add_f64 v[133:134], v[133:134], v[143:144]
	v_fma_f64 v[143:144], v[131:132], v[165:166], v[190:191]
	v_add_f64 v[135:136], v[135:136], v[153:154]
	s_clause 0x1
	buffer_load_dword v154, off, s[0:3], 0 offset:964
	buffer_load_dword v153, off, s[0:3], 0 offset:960
	ds_read_b128 v[129:132], v181 offset:1712
	s_waitcnt vmcnt(55) lgkmcnt(1)
	v_mul_f64 v[165:166], v[1:2], v[171:172]
	v_mul_f64 v[171:172], v[3:4], v[171:172]
	s_waitcnt vmcnt(53)
	v_fma_f64 v[149:150], v[5:6], v[151:152], -v[149:150]
	v_fma_f64 v[151:152], v[7:8], v[151:152], v[157:158]
	ds_read_b128 v[5:8], v181 offset:1728
	v_add_f64 v[133:134], v[133:134], v[163:164]
	v_add_f64 v[135:136], v[135:136], v[143:144]
	s_waitcnt vmcnt(49) lgkmcnt(1)
	v_mul_f64 v[143:144], v[129:130], v[155:156]
	v_mul_f64 v[155:156], v[131:132], v[155:156]
	s_waitcnt vmcnt(48)
	v_fma_f64 v[157:158], v[1:2], v[173:174], -v[171:172]
	v_add_f64 v[133:134], v[133:134], v[149:150]
	v_fma_f64 v[149:150], v[3:4], v[173:174], v[165:166]
	v_add_f64 v[135:136], v[135:136], v[151:152]
	s_clause 0x3
	buffer_load_dword v151, off, s[0:3], 0 offset:288
	buffer_load_dword v152, off, s[0:3], 0 offset:292
	;; [unrolled: 1-line block ×4, first 2 shown]
	ds_read_b128 v[1:4], v181 offset:1744
	s_waitcnt vmcnt(51) lgkmcnt(1)
	v_mul_f64 v[171:172], v[7:8], v[177:178]
	v_mul_f64 v[165:166], v[5:6], v[177:178]
	s_waitcnt vmcnt(49)
	v_fma_f64 v[155:156], v[129:130], v[159:160], -v[155:156]
	v_fma_f64 v[143:144], v[131:132], v[159:160], v[143:144]
	ds_read_b128 v[129:132], v181 offset:1760
	v_add_f64 v[133:134], v[133:134], v[157:158]
	v_add_f64 v[135:136], v[135:136], v[149:150]
	s_waitcnt vmcnt(45) lgkmcnt(1)
	v_mul_f64 v[157:158], v[3:4], v[161:162]
	s_waitcnt vmcnt(44)
	v_fma_f64 v[159:160], v[5:6], v[179:180], -v[171:172]
	v_mul_f64 v[149:150], v[1:2], v[161:162]
	v_add_f64 v[133:134], v[133:134], v[155:156]
	v_fma_f64 v[155:156], v[7:8], v[179:180], v[165:166]
	v_add_f64 v[135:136], v[135:136], v[143:144]
	ds_read_b128 v[5:8], v181 offset:1776
	s_waitcnt vmcnt(43) lgkmcnt(1)
	v_mul_f64 v[161:162], v[131:132], v[200:201]
	v_mul_f64 v[143:144], v[129:130], v[200:201]
	s_waitcnt vmcnt(41)
	v_fma_f64 v[157:158], v[1:2], v[167:168], -v[157:158]
	v_fma_f64 v[149:150], v[3:4], v[167:168], v[149:150]
	ds_read_b128 v[1:4], v181 offset:1792
	v_add_f64 v[133:134], v[133:134], v[159:160]
	v_add_f64 v[135:136], v[135:136], v[155:156]
	s_waitcnt vmcnt(37) lgkmcnt(1)
	v_mul_f64 v[159:160], v[7:8], v[169:170]
	s_waitcnt vmcnt(36)
	v_fma_f64 v[161:162], v[129:130], v[204:205], -v[161:162]
	v_mul_f64 v[155:156], v[5:6], v[169:170]
	v_fma_f64 v[143:144], v[131:132], v[204:205], v[143:144]
	ds_read_b128 v[129:132], v181 offset:1808
	v_add_f64 v[133:134], v[133:134], v[157:158]
	v_add_f64 v[135:136], v[135:136], v[149:150]
	s_waitcnt vmcnt(35) lgkmcnt(1)
	v_mul_f64 v[157:158], v[3:4], v[186:187]
	v_mul_f64 v[149:150], v[1:2], v[186:187]
	s_waitcnt vmcnt(33)
	v_fma_f64 v[159:160], v[5:6], v[175:176], -v[159:160]
	v_fma_f64 v[155:156], v[7:8], v[175:176], v[155:156]
	ds_read_b128 v[5:8], v181 offset:1824
	v_add_f64 v[133:134], v[133:134], v[161:162]
	v_add_f64 v[135:136], v[135:136], v[143:144]
	s_waitcnt vmcnt(29) lgkmcnt(1)
	v_mul_f64 v[161:162], v[131:132], v[192:193]
	s_waitcnt vmcnt(28)
	v_fma_f64 v[157:158], v[1:2], v[209:210], -v[157:158]
	v_mul_f64 v[143:144], v[129:130], v[192:193]
	v_fma_f64 v[149:150], v[3:4], v[209:210], v[149:150]
	ds_read_b128 v[1:4], v181 offset:1840
	v_add_f64 v[133:134], v[133:134], v[159:160]
	v_add_f64 v[135:136], v[135:136], v[155:156]
	s_waitcnt vmcnt(27) lgkmcnt(1)
	v_mul_f64 v[159:160], v[7:8], v[202:203]
	v_mul_f64 v[155:156], v[5:6], v[202:203]
	s_waitcnt vmcnt(25)
	v_fma_f64 v[161:162], v[129:130], v[139:140], -v[161:162]
	v_fma_f64 v[139:140], v[131:132], v[139:140], v[143:144]
	ds_read_b128 v[129:132], v181 offset:1856
	v_add_f64 v[133:134], v[133:134], v[157:158]
	v_add_f64 v[135:136], v[135:136], v[149:150]
	s_waitcnt vmcnt(21) lgkmcnt(1)
	v_mul_f64 v[143:144], v[1:2], v[145:146]
	v_mul_f64 v[145:146], v[3:4], v[145:146]
	s_waitcnt vmcnt(20)
	v_fma_f64 v[149:150], v[5:6], v[206:207], -v[159:160]
	;; [unrolled: 9-line block ×3, first 2 shown]
	v_fma_f64 v[141:142], v[3:4], v[141:142], v[143:144]
	ds_read_b128 v[1:4], v181 offset:1888
	v_add_f64 v[133:134], v[133:134], v[149:150]
	v_add_f64 v[135:136], v[135:136], v[155:156]
	s_waitcnt vmcnt(13) lgkmcnt(1)
	v_mul_f64 v[149:150], v[7:8], v[182:183]
	s_waitcnt vmcnt(12)
	v_fma_f64 v[155:156], v[129:130], v[211:212], -v[157:158]
	v_mul_f64 v[143:144], v[5:6], v[182:183]
	v_fma_f64 v[139:140], v[131:132], v[211:212], v[139:140]
	ds_read_b128 v[129:132], v181 offset:1904
	v_add_f64 v[133:134], v[133:134], v[145:146]
	v_add_f64 v[135:136], v[135:136], v[141:142]
	s_waitcnt vmcnt(11) lgkmcnt(1)
	v_mul_f64 v[145:146], v[3:4], v[184:185]
	v_mul_f64 v[141:142], v[1:2], v[184:185]
	s_waitcnt vmcnt(9)
	v_fma_f64 v[5:6], v[5:6], v[147:148], -v[149:150]
	v_fma_f64 v[7:8], v[7:8], v[147:148], v[143:144]
	v_add_f64 v[133:134], v[133:134], v[155:156]
	v_add_f64 v[135:136], v[135:136], v[139:140]
	s_waitcnt vmcnt(7) lgkmcnt(0)
	v_mul_f64 v[139:140], v[129:130], v[137:138]
	v_mul_f64 v[137:138], v[131:132], v[137:138]
	s_waitcnt vmcnt(6)
	v_fma_f64 v[1:2], v[1:2], v[198:199], -v[145:146]
	v_fma_f64 v[3:4], v[3:4], v[198:199], v[141:142]
	v_add_f64 v[5:6], v[133:134], v[5:6]
	v_add_f64 v[7:8], v[135:136], v[7:8]
	s_waitcnt vmcnt(4)
	v_fma_f64 v[129:130], v[129:130], v[153:154], -v[137:138]
	v_add_f64 v[1:2], v[5:6], v[1:2]
	v_fma_f64 v[5:6], v[131:132], v[153:154], v[139:140]
	v_add_f64 v[3:4], v[7:8], v[3:4]
	v_add_f64 v[1:2], v[1:2], v[129:130]
	;; [unrolled: 1-line block ×3, first 2 shown]
	s_waitcnt vmcnt(2)
	v_add_f64 v[1:2], v[151:152], -v[1:2]
	s_waitcnt vmcnt(0)
	v_add_f64 v[3:4], v[163:164], -v[3:4]
	buffer_store_dword v2, off, s[0:3], 0 offset:292
	buffer_store_dword v1, off, s[0:3], 0 offset:288
	;; [unrolled: 1-line block ×4, first 2 shown]
	v_cmpx_lt_u32_e32 16, v0
	s_cbranch_execz .LBB123_341
; %bb.340:
	v_mov_b32_e32 v4, s56
	v_mov_b32_e32 v5, 0
	s_clause 0x3
	buffer_load_dword v1, v4, s[0:3], 0 offen
	buffer_load_dword v2, v4, s[0:3], 0 offen offset:4
	buffer_load_dword v3, v4, s[0:3], 0 offen offset:8
	;; [unrolled: 1-line block ×3, first 2 shown]
	buffer_store_dword v5, off, s[0:3], 0 offset:272
	buffer_store_dword v5, off, s[0:3], 0 offset:276
	;; [unrolled: 1-line block ×4, first 2 shown]
	s_waitcnt vmcnt(0)
	ds_write_b128 v189, v[1:4]
.LBB123_341:
	s_or_b32 exec_lo, exec_lo, s4
	s_waitcnt lgkmcnt(0)
	s_waitcnt_vscnt null, 0x0
	s_barrier
	buffer_gl0_inv
	s_clause 0x37
	buffer_load_dword v129, off, s[0:3], 0 offset:296
	buffer_load_dword v130, off, s[0:3], 0 offset:300
	buffer_load_dword v5, off, s[0:3], 0 offset:312
	buffer_load_dword v6, off, s[0:3], 0 offset:316
	buffer_load_dword v7, off, s[0:3], 0 offset:288
	buffer_load_dword v8, off, s[0:3], 0 offset:292
	buffer_load_dword v3, off, s[0:3], 0 offset:328
	buffer_load_dword v4, off, s[0:3], 0 offset:332
	buffer_load_dword v1, off, s[0:3], 0 offset:304
	buffer_load_dword v2, off, s[0:3], 0 offset:308
	buffer_load_dword v134, off, s[0:3], 0 offset:348
	buffer_load_dword v137, off, s[0:3], 0 offset:360
	buffer_load_dword v131, off, s[0:3], 0 offset:352
	buffer_load_dword v133, off, s[0:3], 0 offset:344
	buffer_load_dword v145, off, s[0:3], 0 offset:320
	buffer_load_dword v146, off, s[0:3], 0 offset:324
	buffer_load_dword v138, off, s[0:3], 0 offset:364
	buffer_load_dword v140, off, s[0:3], 0 offset:340
	buffer_load_dword v139, off, s[0:3], 0 offset:336
	buffer_load_dword v142, off, s[0:3], 0 offset:380
	buffer_load_dword v147, off, s[0:3], 0 offset:392
	buffer_load_dword v135, off, s[0:3], 0 offset:384
	buffer_load_dword v141, off, s[0:3], 0 offset:376
	buffer_load_dword v132, off, s[0:3], 0 offset:356
	buffer_load_dword v148, off, s[0:3], 0 offset:396
	buffer_load_dword v150, off, s[0:3], 0 offset:372
	buffer_load_dword v149, off, s[0:3], 0 offset:368
	buffer_load_dword v152, off, s[0:3], 0 offset:412
	buffer_load_dword v155, off, s[0:3], 0 offset:424
	buffer_load_dword v143, off, s[0:3], 0 offset:416
	buffer_load_dword v151, off, s[0:3], 0 offset:408
	buffer_load_dword v136, off, s[0:3], 0 offset:388
	buffer_load_dword v156, off, s[0:3], 0 offset:428
	buffer_load_dword v158, off, s[0:3], 0 offset:404
	buffer_load_dword v157, off, s[0:3], 0 offset:400
	buffer_load_dword v160, off, s[0:3], 0 offset:444
	buffer_load_dword v163, off, s[0:3], 0 offset:456
	buffer_load_dword v153, off, s[0:3], 0 offset:448
	buffer_load_dword v159, off, s[0:3], 0 offset:440
	buffer_load_dword v144, off, s[0:3], 0 offset:420
	buffer_load_dword v164, off, s[0:3], 0 offset:460
	buffer_load_dword v166, off, s[0:3], 0 offset:436
	buffer_load_dword v165, off, s[0:3], 0 offset:432
	buffer_load_dword v168, off, s[0:3], 0 offset:476
	buffer_load_dword v171, off, s[0:3], 0 offset:488
	buffer_load_dword v161, off, s[0:3], 0 offset:480
	buffer_load_dword v167, off, s[0:3], 0 offset:472
	buffer_load_dword v154, off, s[0:3], 0 offset:452
	buffer_load_dword v172, off, s[0:3], 0 offset:492
	buffer_load_dword v174, off, s[0:3], 0 offset:468
	buffer_load_dword v173, off, s[0:3], 0 offset:464
	buffer_load_dword v176, off, s[0:3], 0 offset:508
	buffer_load_dword v177, off, s[0:3], 0 offset:520
	buffer_load_dword v169, off, s[0:3], 0 offset:512
	buffer_load_dword v175, off, s[0:3], 0 offset:504
	buffer_load_dword v162, off, s[0:3], 0 offset:484
	v_mov_b32_e32 v181, 0
	s_mov_b32 s4, exec_lo
	ds_read_b128 v[182:185], v181 offset:1232
	s_clause 0x2
	buffer_load_dword v178, off, s[0:3], 0 offset:524
	buffer_load_dword v180, off, s[0:3], 0 offset:500
	buffer_load_dword v179, off, s[0:3], 0 offset:496
	ds_read_b128 v[190:193], v181 offset:1248
	s_clause 0x4
	buffer_load_dword v199, off, s[0:3], 0 offset:540
	buffer_load_dword v200, off, s[0:3], 0 offset:552
	buffer_load_dword v202, off, s[0:3], 0 offset:544
	buffer_load_dword v198, off, s[0:3], 0 offset:536
	buffer_load_dword v170, off, s[0:3], 0 offset:516
	ds_read_b128 v[194:197], v181 offset:1264
	s_clause 0x2
	buffer_load_dword v201, off, s[0:3], 0 offset:556
	buffer_load_dword v206, off, s[0:3], 0 offset:532
	;; [unrolled: 1-line block ×3, first 2 shown]
	s_waitcnt vmcnt(62) lgkmcnt(2)
	v_mul_f64 v[186:187], v[184:185], v[129:130]
	v_mul_f64 v[129:130], v[182:183], v[129:130]
	s_waitcnt lgkmcnt(1)
	v_mul_f64 v[203:204], v[192:193], v[5:6]
	s_waitcnt vmcnt(59) lgkmcnt(0)
	v_mul_f64 v[207:208], v[196:197], v[3:4]
	v_fma_f64 v[182:183], v[182:183], v[7:8], -v[186:187]
	v_mul_f64 v[186:187], v[190:191], v[5:6]
	v_fma_f64 v[129:130], v[184:185], v[7:8], v[129:130]
	s_waitcnt vmcnt(57)
	v_fma_f64 v[190:191], v[190:191], v[1:2], -v[203:204]
	ds_read_b128 v[5:8], v181 offset:1280
	v_mul_f64 v[184:185], v[194:195], v[3:4]
	s_waitcnt vmcnt(51)
	v_fma_f64 v[194:195], v[194:195], v[145:146], -v[207:208]
	v_add_f64 v[182:183], v[182:183], 0
	v_fma_f64 v[186:187], v[192:193], v[1:2], v[186:187]
	v_add_f64 v[129:130], v[129:130], 0
	s_clause 0x4
	buffer_load_dword v193, off, s[0:3], 0 offset:572
	buffer_load_dword v209, off, s[0:3], 0 offset:584
	;; [unrolled: 1-line block ×5, first 2 shown]
	s_waitcnt lgkmcnt(0)
	v_mul_f64 v[212:213], v[5:6], v[133:134]
	v_mul_f64 v[133:134], v[7:8], v[133:134]
	ds_read_b128 v[1:4], v181 offset:1296
	v_fma_f64 v[145:146], v[196:197], v[145:146], v[184:185]
	v_add_f64 v[190:191], v[182:183], v[190:191]
	v_add_f64 v[129:130], v[129:130], v[186:187]
	s_clause 0x2
	buffer_load_dword v210, off, s[0:3], 0 offset:588
	buffer_load_dword v187, off, s[0:3], 0 offset:564
	;; [unrolled: 1-line block ×3, first 2 shown]
	s_waitcnt vmcnt(58) lgkmcnt(0)
	v_mul_f64 v[196:197], v[1:2], v[137:138]
	v_mul_f64 v[137:138], v[3:4], v[137:138]
	s_waitcnt vmcnt(56)
	v_fma_f64 v[133:134], v[5:6], v[139:140], -v[133:134]
	ds_read_b128 v[182:185], v181 offset:1312
	v_fma_f64 v[139:140], v[7:8], v[139:140], v[212:213]
	v_add_f64 v[190:191], v[190:191], v[194:195]
	v_add_f64 v[129:130], v[129:130], v[145:146]
	s_clause 0x4
	buffer_load_dword v146, off, s[0:3], 0 offset:604
	buffer_load_dword v194, off, s[0:3], 0 offset:616
	;; [unrolled: 1-line block ×5, first 2 shown]
	ds_read_b128 v[5:8], v181 offset:1328
	s_waitcnt vmcnt(57) lgkmcnt(1)
	v_mul_f64 v[213:214], v[182:183], v[141:142]
	v_mul_f64 v[141:142], v[184:185], v[141:142]
	s_waitcnt vmcnt(56)
	v_fma_f64 v[137:138], v[1:2], v[131:132], -v[137:138]
	v_fma_f64 v[131:132], v[3:4], v[131:132], v[196:197]
	v_add_f64 v[133:134], v[190:191], v[133:134]
	v_add_f64 v[129:130], v[129:130], v[139:140]
	s_clause 0x2
	buffer_load_dword v195, off, s[0:3], 0 offset:620
	buffer_load_dword v140, off, s[0:3], 0 offset:596
	;; [unrolled: 1-line block ×3, first 2 shown]
	s_waitcnt vmcnt(58) lgkmcnt(0)
	v_mul_f64 v[190:191], v[5:6], v[147:148]
	v_mul_f64 v[147:148], v[7:8], v[147:148]
	s_waitcnt vmcnt(56)
	v_fma_f64 v[141:142], v[182:183], v[149:150], -v[141:142]
	ds_read_b128 v[1:4], v181 offset:1344
	v_add_f64 v[133:134], v[133:134], v[137:138]
	v_fma_f64 v[137:138], v[184:185], v[149:150], v[213:214]
	v_add_f64 v[149:150], v[129:130], v[131:132]
	s_clause 0x4
	buffer_load_dword v183, off, s[0:3], 0 offset:636
	buffer_load_dword v184, off, s[0:3], 0 offset:648
	;; [unrolled: 1-line block ×5, first 2 shown]
	ds_read_b128 v[129:132], v181 offset:1360
	s_waitcnt vmcnt(57) lgkmcnt(1)
	v_mul_f64 v[213:214], v[1:2], v[151:152]
	v_mul_f64 v[151:152], v[3:4], v[151:152]
	s_waitcnt vmcnt(56)
	v_fma_f64 v[147:148], v[5:6], v[135:136], -v[147:148]
	v_fma_f64 v[135:136], v[7:8], v[135:136], v[190:191]
	v_add_f64 v[133:134], v[133:134], v[141:142]
	s_clause 0x2
	buffer_load_dword v185, off, s[0:3], 0 offset:652
	buffer_load_dword v142, off, s[0:3], 0 offset:628
	;; [unrolled: 1-line block ×3, first 2 shown]
	v_add_f64 v[137:138], v[149:150], v[137:138]
	s_waitcnt vmcnt(58) lgkmcnt(0)
	v_mul_f64 v[149:150], v[129:130], v[155:156]
	v_mul_f64 v[155:156], v[131:132], v[155:156]
	ds_read_b128 v[5:8], v181 offset:1376
	s_waitcnt vmcnt(56)
	v_fma_f64 v[151:152], v[1:2], v[157:158], -v[151:152]
	v_add_f64 v[133:134], v[133:134], v[147:148]
	v_fma_f64 v[147:148], v[3:4], v[157:158], v[213:214]
	v_add_f64 v[135:136], v[137:138], v[135:136]
	s_clause 0x4
	buffer_load_dword v138, off, s[0:3], 0 offset:668
	buffer_load_dword v157, off, s[0:3], 0 offset:680
	buffer_load_dword v190, off, s[0:3], 0 offset:672
	buffer_load_dword v137, off, s[0:3], 0 offset:664
	buffer_load_dword v197, off, s[0:3], 0 offset:644
	s_waitcnt vmcnt(57) lgkmcnt(0)
	v_mul_f64 v[213:214], v[5:6], v[159:160]
	v_mul_f64 v[159:160], v[7:8], v[159:160]
	s_waitcnt vmcnt(56)
	v_fma_f64 v[155:156], v[129:130], v[143:144], -v[155:156]
	ds_read_b128 v[1:4], v181 offset:1392
	v_fma_f64 v[143:144], v[131:132], v[143:144], v[149:150]
	v_add_f64 v[133:134], v[133:134], v[151:152]
	v_add_f64 v[135:136], v[135:136], v[147:148]
	s_clause 0x2
	buffer_load_dword v158, off, s[0:3], 0 offset:684
	buffer_load_dword v148, off, s[0:3], 0 offset:660
	;; [unrolled: 1-line block ×3, first 2 shown]
	ds_read_b128 v[129:132], v181 offset:1408
	s_waitcnt vmcnt(58) lgkmcnt(1)
	v_mul_f64 v[151:152], v[3:4], v[163:164]
	s_waitcnt vmcnt(56)
	v_fma_f64 v[159:160], v[5:6], v[165:166], -v[159:160]
	v_mul_f64 v[149:150], v[1:2], v[163:164]
	v_add_f64 v[133:134], v[133:134], v[155:156]
	v_fma_f64 v[155:156], v[7:8], v[165:166], v[213:214]
	v_add_f64 v[135:136], v[135:136], v[143:144]
	s_clause 0x4
	buffer_load_dword v144, off, s[0:3], 0 offset:700
	buffer_load_dword v163, off, s[0:3], 0 offset:712
	buffer_load_dword v165, off, s[0:3], 0 offset:704
	buffer_load_dword v143, off, s[0:3], 0 offset:696
	buffer_load_dword v191, off, s[0:3], 0 offset:676
	s_waitcnt vmcnt(57) lgkmcnt(0)
	v_mul_f64 v[213:214], v[129:130], v[167:168]
	v_mul_f64 v[166:167], v[131:132], v[167:168]
	s_waitcnt vmcnt(56)
	v_fma_f64 v[151:152], v[1:2], v[153:154], -v[151:152]
	ds_read_b128 v[5:8], v181 offset:1424
	v_fma_f64 v[149:150], v[3:4], v[153:154], v[149:150]
	s_clause 0x2
	buffer_load_dword v164, off, s[0:3], 0 offset:716
	buffer_load_dword v154, off, s[0:3], 0 offset:692
	buffer_load_dword v153, off, s[0:3], 0 offset:688
	ds_read_b128 v[1:4], v181 offset:1440
	v_add_f64 v[133:134], v[133:134], v[159:160]
	v_add_f64 v[135:136], v[135:136], v[155:156]
	s_waitcnt vmcnt(58) lgkmcnt(1)
	v_mul_f64 v[159:160], v[7:8], v[171:172]
	s_waitcnt vmcnt(56)
	v_fma_f64 v[167:168], v[129:130], v[173:174], -v[166:167]
	v_mul_f64 v[155:156], v[5:6], v[171:172]
	v_add_f64 v[133:134], v[133:134], v[151:152]
	v_fma_f64 v[151:152], v[131:132], v[173:174], v[213:214]
	v_add_f64 v[135:136], v[135:136], v[149:150]
	s_clause 0x4
	buffer_load_dword v150, off, s[0:3], 0 offset:732
	buffer_load_dword v171, off, s[0:3], 0 offset:744
	;; [unrolled: 1-line block ×5, first 2 shown]
	s_waitcnt vmcnt(57) lgkmcnt(0)
	v_mul_f64 v[213:214], v[1:2], v[175:176]
	v_mul_f64 v[174:175], v[3:4], v[175:176]
	s_waitcnt vmcnt(56)
	v_fma_f64 v[159:160], v[5:6], v[161:162], -v[159:160]
	ds_read_b128 v[129:132], v181 offset:1456
	v_fma_f64 v[155:156], v[7:8], v[161:162], v[155:156]
	v_add_f64 v[133:134], v[133:134], v[167:168]
	v_add_f64 v[135:136], v[135:136], v[151:152]
	s_clause 0x2
	buffer_load_dword v172, off, s[0:3], 0 offset:748
	buffer_load_dword v152, off, s[0:3], 0 offset:724
	buffer_load_dword v151, off, s[0:3], 0 offset:720
	ds_read_b128 v[5:8], v181 offset:1472
	s_waitcnt vmcnt(58) lgkmcnt(1)
	v_mul_f64 v[167:168], v[131:132], v[177:178]
	s_waitcnt vmcnt(56)
	v_fma_f64 v[175:176], v[1:2], v[179:180], -v[174:175]
	v_mul_f64 v[161:162], v[129:130], v[177:178]
	v_add_f64 v[133:134], v[133:134], v[159:160]
	v_fma_f64 v[159:160], v[3:4], v[179:180], v[213:214]
	v_add_f64 v[135:136], v[135:136], v[155:156]
	s_clause 0x4
	buffer_load_dword v156, off, s[0:3], 0 offset:764
	buffer_load_dword v177, off, s[0:3], 0 offset:776
	;; [unrolled: 1-line block ×5, first 2 shown]
	s_waitcnt vmcnt(57) lgkmcnt(0)
	v_mul_f64 v[213:214], v[5:6], v[198:199]
	v_mul_f64 v[198:199], v[7:8], v[198:199]
	s_waitcnt vmcnt(56)
	v_fma_f64 v[167:168], v[129:130], v[169:170], -v[167:168]
	ds_read_b128 v[1:4], v181 offset:1488
	v_fma_f64 v[161:162], v[131:132], v[169:170], v[161:162]
	v_add_f64 v[133:134], v[133:134], v[175:176]
	v_add_f64 v[135:136], v[135:136], v[159:160]
	s_clause 0x2
	buffer_load_dword v178, off, s[0:3], 0 offset:780
	buffer_load_dword v160, off, s[0:3], 0 offset:756
	;; [unrolled: 1-line block ×3, first 2 shown]
	ds_read_b128 v[129:132], v181 offset:1504
	s_waitcnt vmcnt(58) lgkmcnt(1)
	v_mul_f64 v[175:176], v[3:4], v[200:201]
	s_waitcnt vmcnt(56)
	v_fma_f64 v[198:199], v[5:6], v[205:206], -v[198:199]
	v_mul_f64 v[169:170], v[1:2], v[200:201]
	v_add_f64 v[133:134], v[133:134], v[167:168]
	v_fma_f64 v[167:168], v[7:8], v[205:206], v[213:214]
	v_add_f64 v[135:136], v[135:136], v[161:162]
	s_clause 0x4
	buffer_load_dword v162, off, s[0:3], 0 offset:796
	buffer_load_dword v200, off, s[0:3], 0 offset:808
	;; [unrolled: 1-line block ×5, first 2 shown]
	ds_read_b128 v[5:8], v181 offset:1520
	s_waitcnt vmcnt(57) lgkmcnt(1)
	v_mul_f64 v[205:206], v[129:130], v[192:193]
	v_mul_f64 v[192:193], v[131:132], v[192:193]
	s_waitcnt vmcnt(56)
	v_fma_f64 v[175:176], v[1:2], v[202:203], -v[175:176]
	v_fma_f64 v[169:170], v[3:4], v[202:203], v[169:170]
	v_add_f64 v[133:134], v[133:134], v[198:199]
	v_add_f64 v[135:136], v[135:136], v[167:168]
	s_clause 0x2
	buffer_load_dword v201, off, s[0:3], 0 offset:812
	buffer_load_dword v168, off, s[0:3], 0 offset:788
	;; [unrolled: 1-line block ×3, first 2 shown]
	ds_read_b128 v[1:4], v181 offset:1536
	s_waitcnt vmcnt(58) lgkmcnt(1)
	v_mul_f64 v[202:203], v[7:8], v[209:210]
	v_mul_f64 v[198:199], v[5:6], v[209:210]
	s_waitcnt vmcnt(56)
	v_fma_f64 v[192:193], v[129:130], v[186:187], -v[192:193]
	v_add_f64 v[133:134], v[133:134], v[175:176]
	v_fma_f64 v[175:176], v[131:132], v[186:187], v[205:206]
	v_add_f64 v[135:136], v[135:136], v[169:170]
	s_clause 0x4
	buffer_load_dword v170, off, s[0:3], 0 offset:828
	buffer_load_dword v186, off, s[0:3], 0 offset:840
	buffer_load_dword v209, off, s[0:3], 0 offset:832
	buffer_load_dword v169, off, s[0:3], 0 offset:824
	buffer_load_dword v205, off, s[0:3], 0 offset:804
	ds_read_b128 v[129:132], v181 offset:1552
	s_waitcnt vmcnt(57) lgkmcnt(1)
	v_mul_f64 v[213:214], v[1:2], v[145:146]
	v_mul_f64 v[145:146], v[3:4], v[145:146]
	s_waitcnt vmcnt(56)
	v_fma_f64 v[202:203], v[5:6], v[211:212], -v[202:203]
	v_add_f64 v[133:134], v[133:134], v[192:193]
	v_fma_f64 v[192:193], v[7:8], v[211:212], v[198:199]
	v_add_f64 v[135:136], v[135:136], v[175:176]
	s_clause 0x2
	buffer_load_dword v187, off, s[0:3], 0 offset:844
	buffer_load_dword v176, off, s[0:3], 0 offset:820
	buffer_load_dword v175, off, s[0:3], 0 offset:816
	ds_read_b128 v[5:8], v181 offset:1568
	s_waitcnt vmcnt(58) lgkmcnt(1)
	v_mul_f64 v[198:199], v[129:130], v[194:195]
	v_mul_f64 v[194:195], v[131:132], v[194:195]
	s_waitcnt vmcnt(56)
	v_fma_f64 v[145:146], v[1:2], v[139:140], -v[145:146]
	v_fma_f64 v[139:140], v[3:4], v[139:140], v[213:214]
	v_add_f64 v[133:134], v[133:134], v[202:203]
	v_add_f64 v[135:136], v[135:136], v[192:193]
	s_clause 0x4
	buffer_load_dword v193, off, s[0:3], 0 offset:860
	buffer_load_dword v202, off, s[0:3], 0 offset:872
	buffer_load_dword v206, off, s[0:3], 0 offset:864
	buffer_load_dword v192, off, s[0:3], 0 offset:856
	buffer_load_dword v210, off, s[0:3], 0 offset:836
	ds_read_b128 v[1:4], v181 offset:1584
	s_waitcnt vmcnt(57) lgkmcnt(1)
	v_mul_f64 v[211:212], v[5:6], v[182:183]
	v_mul_f64 v[182:183], v[7:8], v[182:183]
	s_waitcnt vmcnt(56)
	v_fma_f64 v[194:195], v[129:130], v[207:208], -v[194:195]
	v_add_f64 v[133:134], v[133:134], v[145:146]
	v_fma_f64 v[145:146], v[131:132], v[207:208], v[198:199]
	v_add_f64 v[135:136], v[135:136], v[139:140]
	s_clause 0x2
	buffer_load_dword v203, off, s[0:3], 0 offset:876
	buffer_load_dword v140, off, s[0:3], 0 offset:852
	buffer_load_dword v139, off, s[0:3], 0 offset:848
	ds_read_b128 v[129:132], v181 offset:1600
	s_waitcnt vmcnt(58) lgkmcnt(1)
	v_mul_f64 v[198:199], v[1:2], v[184:185]
	v_mul_f64 v[184:185], v[3:4], v[184:185]
	s_waitcnt vmcnt(56)
	v_fma_f64 v[182:183], v[5:6], v[141:142], -v[182:183]
	v_fma_f64 v[141:142], v[7:8], v[141:142], v[211:212]
	v_add_f64 v[133:134], v[133:134], v[194:195]
	;; [unrolled: 28-line block ×3, first 2 shown]
	v_add_f64 v[135:136], v[135:136], v[182:183]
	s_clause 0x4
	buffer_load_dword v183, off, s[0:3], 0 offset:924
	buffer_load_dword v184, off, s[0:3], 0 offset:936
	;; [unrolled: 1-line block ×5, first 2 shown]
	ds_read_b128 v[129:132], v181 offset:1648
	s_waitcnt vmcnt(57) lgkmcnt(1)
	v_mul_f64 v[213:214], v[1:2], v[143:144]
	v_mul_f64 v[143:144], v[3:4], v[143:144]
	s_waitcnt vmcnt(56)
	v_fma_f64 v[157:158], v[5:6], v[190:191], -v[157:158]
	v_add_f64 v[133:134], v[133:134], v[137:138]
	v_fma_f64 v[137:138], v[7:8], v[190:191], v[196:197]
	v_add_f64 v[135:136], v[135:136], v[147:148]
	s_clause 0x2
	buffer_load_dword v185, off, s[0:3], 0 offset:940
	buffer_load_dword v148, off, s[0:3], 0 offset:916
	;; [unrolled: 1-line block ×3, first 2 shown]
	s_waitcnt vmcnt(58) lgkmcnt(0)
	v_mul_f64 v[190:191], v[129:130], v[163:164]
	v_mul_f64 v[163:164], v[131:132], v[163:164]
	ds_read_b128 v[5:8], v181 offset:1664
	s_waitcnt vmcnt(56)
	v_fma_f64 v[143:144], v[1:2], v[153:154], -v[143:144]
	v_fma_f64 v[153:154], v[3:4], v[153:154], v[213:214]
	v_add_f64 v[133:134], v[133:134], v[157:158]
	v_add_f64 v[135:136], v[135:136], v[137:138]
	s_clause 0x4
	buffer_load_dword v138, off, s[0:3], 0 offset:956
	buffer_load_dword v157, off, s[0:3], 0 offset:968
	;; [unrolled: 1-line block ×5, first 2 shown]
	ds_read_b128 v[1:4], v181 offset:1680
	s_waitcnt vmcnt(57) lgkmcnt(1)
	v_mul_f64 v[213:214], v[5:6], v[149:150]
	v_mul_f64 v[149:150], v[7:8], v[149:150]
	s_waitcnt vmcnt(56)
	v_fma_f64 v[163:164], v[129:130], v[165:166], -v[163:164]
	v_add_f64 v[133:134], v[133:134], v[143:144]
	v_fma_f64 v[143:144], v[131:132], v[165:166], v[190:191]
	v_add_f64 v[135:136], v[135:136], v[153:154]
	s_clause 0x2
	buffer_load_dword v158, off, s[0:3], 0 offset:972
	buffer_load_dword v154, off, s[0:3], 0 offset:948
	;; [unrolled: 1-line block ×3, first 2 shown]
	ds_read_b128 v[129:132], v181 offset:1696
	buffer_load_dword v197, off, s[0:3], 0 offset:964
	s_waitcnt vmcnt(59) lgkmcnt(1)
	v_mul_f64 v[165:166], v[1:2], v[171:172]
	v_mul_f64 v[171:172], v[3:4], v[171:172]
	s_waitcnt vmcnt(57)
	v_fma_f64 v[149:150], v[5:6], v[151:152], -v[149:150]
	v_fma_f64 v[151:152], v[7:8], v[151:152], v[213:214]
	ds_read_b128 v[5:8], v181 offset:1712
	v_add_f64 v[133:134], v[133:134], v[163:164]
	v_add_f64 v[135:136], v[135:136], v[143:144]
	s_waitcnt vmcnt(53) lgkmcnt(1)
	v_mul_f64 v[143:144], v[129:130], v[155:156]
	v_mul_f64 v[155:156], v[131:132], v[155:156]
	s_waitcnt vmcnt(52)
	v_fma_f64 v[163:164], v[1:2], v[173:174], -v[171:172]
	v_add_f64 v[133:134], v[133:134], v[149:150]
	v_fma_f64 v[149:150], v[3:4], v[173:174], v[165:166]
	v_add_f64 v[135:136], v[135:136], v[151:152]
	ds_read_b128 v[1:4], v181 offset:1728
	s_waitcnt vmcnt(51) lgkmcnt(1)
	v_mul_f64 v[165:166], v[7:8], v[177:178]
	v_mul_f64 v[151:152], v[5:6], v[177:178]
	s_waitcnt vmcnt(49)
	v_fma_f64 v[155:156], v[129:130], v[159:160], -v[155:156]
	v_fma_f64 v[143:144], v[131:132], v[159:160], v[143:144]
	v_add_f64 v[133:134], v[133:134], v[163:164]
	v_add_f64 v[135:136], v[135:136], v[149:150]
	s_clause 0x3
	buffer_load_dword v149, off, s[0:3], 0 offset:272
	buffer_load_dword v150, off, s[0:3], 0 offset:276
	;; [unrolled: 1-line block ×4, first 2 shown]
	ds_read_b128 v[129:132], v181 offset:1744
	s_waitcnt vmcnt(49) lgkmcnt(1)
	v_mul_f64 v[163:164], v[1:2], v[161:162]
	v_mul_f64 v[161:162], v[3:4], v[161:162]
	s_waitcnt vmcnt(48)
	v_fma_f64 v[165:166], v[5:6], v[179:180], -v[165:166]
	v_fma_f64 v[151:152], v[7:8], v[179:180], v[151:152]
	ds_read_b128 v[5:8], v181 offset:1760
	v_add_f64 v[133:134], v[133:134], v[155:156]
	v_add_f64 v[135:136], v[135:136], v[143:144]
	s_waitcnt vmcnt(47) lgkmcnt(1)
	v_mul_f64 v[155:156], v[131:132], v[200:201]
	v_mul_f64 v[143:144], v[129:130], v[200:201]
	s_waitcnt vmcnt(45)
	v_fma_f64 v[161:162], v[1:2], v[167:168], -v[161:162]
	v_fma_f64 v[163:164], v[3:4], v[167:168], v[163:164]
	ds_read_b128 v[1:4], v181 offset:1776
	v_add_f64 v[133:134], v[133:134], v[165:166]
	v_add_f64 v[135:136], v[135:136], v[151:152]
	s_waitcnt vmcnt(41) lgkmcnt(1)
	v_mul_f64 v[165:166], v[7:8], v[169:170]
	s_waitcnt vmcnt(40)
	v_fma_f64 v[155:156], v[129:130], v[204:205], -v[155:156]
	v_mul_f64 v[151:152], v[5:6], v[169:170]
	v_fma_f64 v[143:144], v[131:132], v[204:205], v[143:144]
	ds_read_b128 v[129:132], v181 offset:1792
	v_add_f64 v[133:134], v[133:134], v[161:162]
	v_add_f64 v[135:136], v[135:136], v[163:164]
	s_waitcnt vmcnt(39) lgkmcnt(1)
	v_mul_f64 v[163:164], v[3:4], v[186:187]
	v_mul_f64 v[161:162], v[1:2], v[186:187]
	s_waitcnt vmcnt(37)
	v_fma_f64 v[165:166], v[5:6], v[175:176], -v[165:166]
	v_fma_f64 v[151:152], v[7:8], v[175:176], v[151:152]
	ds_read_b128 v[5:8], v181 offset:1808
	v_add_f64 v[133:134], v[133:134], v[155:156]
	v_add_f64 v[135:136], v[135:136], v[143:144]
	s_waitcnt vmcnt(33) lgkmcnt(1)
	v_mul_f64 v[155:156], v[131:132], v[192:193]
	s_waitcnt vmcnt(32)
	v_fma_f64 v[163:164], v[1:2], v[209:210], -v[163:164]
	v_mul_f64 v[143:144], v[129:130], v[192:193]
	v_fma_f64 v[161:162], v[3:4], v[209:210], v[161:162]
	ds_read_b128 v[1:4], v181 offset:1824
	v_add_f64 v[133:134], v[133:134], v[165:166]
	v_add_f64 v[135:136], v[135:136], v[151:152]
	s_waitcnt vmcnt(31) lgkmcnt(1)
	v_mul_f64 v[165:166], v[7:8], v[202:203]
	v_mul_f64 v[151:152], v[5:6], v[202:203]
	s_waitcnt vmcnt(29)
	v_fma_f64 v[155:156], v[129:130], v[139:140], -v[155:156]
	v_fma_f64 v[139:140], v[131:132], v[139:140], v[143:144]
	ds_read_b128 v[129:132], v181 offset:1840
	v_add_f64 v[133:134], v[133:134], v[163:164]
	v_add_f64 v[135:136], v[135:136], v[161:162]
	s_waitcnt vmcnt(25) lgkmcnt(1)
	v_mul_f64 v[143:144], v[1:2], v[145:146]
	v_mul_f64 v[145:146], v[3:4], v[145:146]
	s_waitcnt vmcnt(24)
	v_fma_f64 v[161:162], v[5:6], v[206:207], -v[165:166]
	;; [unrolled: 9-line block ×3, first 2 shown]
	v_fma_f64 v[141:142], v[3:4], v[141:142], v[143:144]
	ds_read_b128 v[1:4], v181 offset:1872
	v_add_f64 v[133:134], v[133:134], v[161:162]
	v_add_f64 v[135:136], v[135:136], v[151:152]
	s_waitcnt vmcnt(17) lgkmcnt(1)
	v_mul_f64 v[151:152], v[7:8], v[182:183]
	s_waitcnt vmcnt(16)
	v_fma_f64 v[155:156], v[129:130], v[211:212], -v[155:156]
	v_mul_f64 v[143:144], v[5:6], v[182:183]
	v_fma_f64 v[139:140], v[131:132], v[211:212], v[139:140]
	ds_read_b128 v[129:132], v181 offset:1888
	v_add_f64 v[133:134], v[133:134], v[145:146]
	v_add_f64 v[135:136], v[135:136], v[141:142]
	s_waitcnt vmcnt(15) lgkmcnt(1)
	v_mul_f64 v[145:146], v[3:4], v[184:185]
	v_mul_f64 v[141:142], v[1:2], v[184:185]
	s_waitcnt vmcnt(13)
	v_fma_f64 v[151:152], v[5:6], v[147:148], -v[151:152]
	v_fma_f64 v[143:144], v[7:8], v[147:148], v[143:144]
	ds_read_b128 v[5:8], v181 offset:1904
	v_add_f64 v[133:134], v[133:134], v[155:156]
	v_add_f64 v[135:136], v[135:136], v[139:140]
	s_waitcnt vmcnt(9) lgkmcnt(1)
	v_mul_f64 v[139:140], v[129:130], v[137:138]
	v_mul_f64 v[137:138], v[131:132], v[137:138]
	s_waitcnt vmcnt(8)
	v_fma_f64 v[1:2], v[1:2], v[198:199], -v[145:146]
	v_fma_f64 v[3:4], v[3:4], v[198:199], v[141:142]
	v_add_f64 v[133:134], v[133:134], v[151:152]
	v_add_f64 v[135:136], v[135:136], v[143:144]
	s_waitcnt vmcnt(7) lgkmcnt(0)
	v_mul_f64 v[143:144], v[7:8], v[157:158]
	v_mul_f64 v[141:142], v[5:6], v[157:158]
	s_waitcnt vmcnt(5)
	v_fma_f64 v[129:130], v[129:130], v[153:154], -v[137:138]
	v_fma_f64 v[131:132], v[131:132], v[153:154], v[139:140]
	v_add_f64 v[1:2], v[133:134], v[1:2]
	v_add_f64 v[3:4], v[135:136], v[3:4]
	s_waitcnt vmcnt(4)
	v_fma_f64 v[5:6], v[5:6], v[196:197], -v[143:144]
	v_fma_f64 v[7:8], v[7:8], v[196:197], v[141:142]
	v_add_f64 v[1:2], v[1:2], v[129:130]
	v_add_f64 v[3:4], v[3:4], v[131:132]
	;; [unrolled: 1-line block ×4, first 2 shown]
	s_waitcnt vmcnt(2)
	v_add_f64 v[1:2], v[149:150], -v[1:2]
	s_waitcnt vmcnt(0)
	v_add_f64 v[3:4], v[159:160], -v[3:4]
	buffer_store_dword v2, off, s[0:3], 0 offset:276
	buffer_store_dword v1, off, s[0:3], 0 offset:272
	;; [unrolled: 1-line block ×4, first 2 shown]
	v_cmpx_lt_u32_e32 15, v0
	s_cbranch_execz .LBB123_343
; %bb.342:
	v_mov_b32_e32 v4, s57
	s_clause 0x3
	buffer_load_dword v1, v4, s[0:3], 0 offen
	buffer_load_dword v2, v4, s[0:3], 0 offen offset:4
	buffer_load_dword v3, v4, s[0:3], 0 offen offset:8
	;; [unrolled: 1-line block ×3, first 2 shown]
	buffer_store_dword v181, off, s[0:3], 0 offset:256
	buffer_store_dword v181, off, s[0:3], 0 offset:260
	;; [unrolled: 1-line block ×4, first 2 shown]
	s_waitcnt vmcnt(0)
	ds_write_b128 v189, v[1:4]
.LBB123_343:
	s_or_b32 exec_lo, exec_lo, s4
	s_waitcnt lgkmcnt(0)
	s_waitcnt_vscnt null, 0x0
	s_barrier
	buffer_gl0_inv
	s_clause 0x37
	buffer_load_dword v129, off, s[0:3], 0 offset:280
	buffer_load_dword v130, off, s[0:3], 0 offset:284
	;; [unrolled: 1-line block ×56, first 2 shown]
	ds_read_b128 v[182:185], v181 offset:1216
	s_clause 0x2
	buffer_load_dword v178, off, s[0:3], 0 offset:508
	buffer_load_dword v180, off, s[0:3], 0 offset:484
	;; [unrolled: 1-line block ×3, first 2 shown]
	ds_read_b128 v[190:193], v181 offset:1232
	s_clause 0x4
	buffer_load_dword v199, off, s[0:3], 0 offset:524
	buffer_load_dword v200, off, s[0:3], 0 offset:536
	;; [unrolled: 1-line block ×5, first 2 shown]
	ds_read_b128 v[194:197], v181 offset:1248
	s_clause 0x2
	buffer_load_dword v201, off, s[0:3], 0 offset:540
	buffer_load_dword v206, off, s[0:3], 0 offset:516
	;; [unrolled: 1-line block ×3, first 2 shown]
	s_mov_b32 s4, exec_lo
	s_waitcnt vmcnt(62) lgkmcnt(2)
	v_mul_f64 v[186:187], v[184:185], v[129:130]
	v_mul_f64 v[129:130], v[182:183], v[129:130]
	s_waitcnt lgkmcnt(1)
	v_mul_f64 v[203:204], v[192:193], v[5:6]
	s_waitcnt vmcnt(59) lgkmcnt(0)
	v_mul_f64 v[207:208], v[196:197], v[3:4]
	v_fma_f64 v[182:183], v[182:183], v[7:8], -v[186:187]
	v_mul_f64 v[186:187], v[190:191], v[5:6]
	v_fma_f64 v[129:130], v[184:185], v[7:8], v[129:130]
	s_waitcnt vmcnt(57)
	v_fma_f64 v[190:191], v[190:191], v[1:2], -v[203:204]
	ds_read_b128 v[5:8], v181 offset:1264
	v_mul_f64 v[184:185], v[194:195], v[3:4]
	s_waitcnt vmcnt(51)
	v_fma_f64 v[194:195], v[194:195], v[145:146], -v[207:208]
	v_add_f64 v[182:183], v[182:183], 0
	v_fma_f64 v[186:187], v[192:193], v[1:2], v[186:187]
	v_add_f64 v[129:130], v[129:130], 0
	s_clause 0x4
	buffer_load_dword v193, off, s[0:3], 0 offset:556
	buffer_load_dword v209, off, s[0:3], 0 offset:568
	;; [unrolled: 1-line block ×5, first 2 shown]
	s_waitcnt lgkmcnt(0)
	v_mul_f64 v[212:213], v[5:6], v[133:134]
	v_mul_f64 v[133:134], v[7:8], v[133:134]
	ds_read_b128 v[1:4], v181 offset:1280
	v_fma_f64 v[145:146], v[196:197], v[145:146], v[184:185]
	v_add_f64 v[190:191], v[182:183], v[190:191]
	v_add_f64 v[129:130], v[129:130], v[186:187]
	s_clause 0x2
	buffer_load_dword v210, off, s[0:3], 0 offset:572
	buffer_load_dword v187, off, s[0:3], 0 offset:548
	;; [unrolled: 1-line block ×3, first 2 shown]
	s_waitcnt vmcnt(58) lgkmcnt(0)
	v_mul_f64 v[196:197], v[1:2], v[137:138]
	v_mul_f64 v[137:138], v[3:4], v[137:138]
	s_waitcnt vmcnt(56)
	v_fma_f64 v[133:134], v[5:6], v[139:140], -v[133:134]
	ds_read_b128 v[182:185], v181 offset:1296
	v_fma_f64 v[139:140], v[7:8], v[139:140], v[212:213]
	v_add_f64 v[190:191], v[190:191], v[194:195]
	v_add_f64 v[129:130], v[129:130], v[145:146]
	s_clause 0x4
	buffer_load_dword v146, off, s[0:3], 0 offset:588
	buffer_load_dword v194, off, s[0:3], 0 offset:600
	;; [unrolled: 1-line block ×5, first 2 shown]
	ds_read_b128 v[5:8], v181 offset:1312
	s_waitcnt vmcnt(57) lgkmcnt(1)
	v_mul_f64 v[213:214], v[182:183], v[141:142]
	v_mul_f64 v[141:142], v[184:185], v[141:142]
	s_waitcnt vmcnt(56)
	v_fma_f64 v[137:138], v[1:2], v[131:132], -v[137:138]
	v_fma_f64 v[131:132], v[3:4], v[131:132], v[196:197]
	v_add_f64 v[133:134], v[190:191], v[133:134]
	v_add_f64 v[129:130], v[129:130], v[139:140]
	s_clause 0x2
	buffer_load_dword v195, off, s[0:3], 0 offset:604
	buffer_load_dword v140, off, s[0:3], 0 offset:580
	;; [unrolled: 1-line block ×3, first 2 shown]
	s_waitcnt vmcnt(58) lgkmcnt(0)
	v_mul_f64 v[190:191], v[5:6], v[147:148]
	v_mul_f64 v[147:148], v[7:8], v[147:148]
	s_waitcnt vmcnt(56)
	v_fma_f64 v[141:142], v[182:183], v[149:150], -v[141:142]
	ds_read_b128 v[1:4], v181 offset:1328
	v_add_f64 v[133:134], v[133:134], v[137:138]
	v_fma_f64 v[137:138], v[184:185], v[149:150], v[213:214]
	v_add_f64 v[149:150], v[129:130], v[131:132]
	s_clause 0x4
	buffer_load_dword v183, off, s[0:3], 0 offset:620
	buffer_load_dword v184, off, s[0:3], 0 offset:632
	;; [unrolled: 1-line block ×5, first 2 shown]
	ds_read_b128 v[129:132], v181 offset:1344
	s_waitcnt vmcnt(57) lgkmcnt(1)
	v_mul_f64 v[213:214], v[1:2], v[151:152]
	v_mul_f64 v[151:152], v[3:4], v[151:152]
	s_waitcnt vmcnt(56)
	v_fma_f64 v[147:148], v[5:6], v[135:136], -v[147:148]
	v_fma_f64 v[135:136], v[7:8], v[135:136], v[190:191]
	v_add_f64 v[133:134], v[133:134], v[141:142]
	s_clause 0x2
	buffer_load_dword v185, off, s[0:3], 0 offset:636
	buffer_load_dword v142, off, s[0:3], 0 offset:612
	;; [unrolled: 1-line block ×3, first 2 shown]
	v_add_f64 v[137:138], v[149:150], v[137:138]
	s_waitcnt vmcnt(58) lgkmcnt(0)
	v_mul_f64 v[149:150], v[129:130], v[155:156]
	v_mul_f64 v[155:156], v[131:132], v[155:156]
	ds_read_b128 v[5:8], v181 offset:1360
	s_waitcnt vmcnt(56)
	v_fma_f64 v[151:152], v[1:2], v[157:158], -v[151:152]
	v_add_f64 v[133:134], v[133:134], v[147:148]
	v_fma_f64 v[147:148], v[3:4], v[157:158], v[213:214]
	v_add_f64 v[135:136], v[137:138], v[135:136]
	s_clause 0x4
	buffer_load_dword v138, off, s[0:3], 0 offset:652
	buffer_load_dword v157, off, s[0:3], 0 offset:664
	;; [unrolled: 1-line block ×5, first 2 shown]
	s_waitcnt vmcnt(57) lgkmcnt(0)
	v_mul_f64 v[213:214], v[5:6], v[159:160]
	v_mul_f64 v[159:160], v[7:8], v[159:160]
	s_waitcnt vmcnt(56)
	v_fma_f64 v[155:156], v[129:130], v[143:144], -v[155:156]
	ds_read_b128 v[1:4], v181 offset:1376
	v_fma_f64 v[143:144], v[131:132], v[143:144], v[149:150]
	v_add_f64 v[133:134], v[133:134], v[151:152]
	v_add_f64 v[135:136], v[135:136], v[147:148]
	s_clause 0x2
	buffer_load_dword v158, off, s[0:3], 0 offset:668
	buffer_load_dword v148, off, s[0:3], 0 offset:644
	;; [unrolled: 1-line block ×3, first 2 shown]
	ds_read_b128 v[129:132], v181 offset:1392
	s_waitcnt vmcnt(58) lgkmcnt(1)
	v_mul_f64 v[151:152], v[3:4], v[163:164]
	s_waitcnt vmcnt(56)
	v_fma_f64 v[159:160], v[5:6], v[165:166], -v[159:160]
	v_mul_f64 v[149:150], v[1:2], v[163:164]
	v_add_f64 v[133:134], v[133:134], v[155:156]
	v_fma_f64 v[155:156], v[7:8], v[165:166], v[213:214]
	v_add_f64 v[135:136], v[135:136], v[143:144]
	s_clause 0x4
	buffer_load_dword v144, off, s[0:3], 0 offset:684
	buffer_load_dword v163, off, s[0:3], 0 offset:696
	buffer_load_dword v165, off, s[0:3], 0 offset:688
	buffer_load_dword v143, off, s[0:3], 0 offset:680
	buffer_load_dword v191, off, s[0:3], 0 offset:660
	s_waitcnt vmcnt(57) lgkmcnt(0)
	v_mul_f64 v[213:214], v[129:130], v[167:168]
	v_mul_f64 v[166:167], v[131:132], v[167:168]
	s_waitcnt vmcnt(56)
	v_fma_f64 v[151:152], v[1:2], v[153:154], -v[151:152]
	ds_read_b128 v[5:8], v181 offset:1408
	v_fma_f64 v[149:150], v[3:4], v[153:154], v[149:150]
	s_clause 0x2
	buffer_load_dword v164, off, s[0:3], 0 offset:700
	buffer_load_dword v154, off, s[0:3], 0 offset:676
	;; [unrolled: 1-line block ×3, first 2 shown]
	ds_read_b128 v[1:4], v181 offset:1424
	v_add_f64 v[133:134], v[133:134], v[159:160]
	v_add_f64 v[135:136], v[135:136], v[155:156]
	s_waitcnt vmcnt(58) lgkmcnt(1)
	v_mul_f64 v[159:160], v[7:8], v[171:172]
	s_waitcnt vmcnt(56)
	v_fma_f64 v[167:168], v[129:130], v[173:174], -v[166:167]
	v_mul_f64 v[155:156], v[5:6], v[171:172]
	v_add_f64 v[133:134], v[133:134], v[151:152]
	v_fma_f64 v[151:152], v[131:132], v[173:174], v[213:214]
	v_add_f64 v[135:136], v[135:136], v[149:150]
	s_clause 0x4
	buffer_load_dword v150, off, s[0:3], 0 offset:716
	buffer_load_dword v171, off, s[0:3], 0 offset:728
	;; [unrolled: 1-line block ×5, first 2 shown]
	s_waitcnt vmcnt(57) lgkmcnt(0)
	v_mul_f64 v[213:214], v[1:2], v[175:176]
	v_mul_f64 v[174:175], v[3:4], v[175:176]
	s_waitcnt vmcnt(56)
	v_fma_f64 v[159:160], v[5:6], v[161:162], -v[159:160]
	ds_read_b128 v[129:132], v181 offset:1440
	v_fma_f64 v[155:156], v[7:8], v[161:162], v[155:156]
	v_add_f64 v[133:134], v[133:134], v[167:168]
	v_add_f64 v[135:136], v[135:136], v[151:152]
	s_clause 0x2
	buffer_load_dword v172, off, s[0:3], 0 offset:732
	buffer_load_dword v152, off, s[0:3], 0 offset:708
	;; [unrolled: 1-line block ×3, first 2 shown]
	ds_read_b128 v[5:8], v181 offset:1456
	s_waitcnt vmcnt(58) lgkmcnt(1)
	v_mul_f64 v[167:168], v[131:132], v[177:178]
	s_waitcnt vmcnt(56)
	v_fma_f64 v[175:176], v[1:2], v[179:180], -v[174:175]
	v_mul_f64 v[161:162], v[129:130], v[177:178]
	v_add_f64 v[133:134], v[133:134], v[159:160]
	v_fma_f64 v[159:160], v[3:4], v[179:180], v[213:214]
	v_add_f64 v[135:136], v[135:136], v[155:156]
	s_clause 0x4
	buffer_load_dword v156, off, s[0:3], 0 offset:748
	buffer_load_dword v177, off, s[0:3], 0 offset:760
	;; [unrolled: 1-line block ×5, first 2 shown]
	s_waitcnt vmcnt(57) lgkmcnt(0)
	v_mul_f64 v[213:214], v[5:6], v[198:199]
	v_mul_f64 v[198:199], v[7:8], v[198:199]
	s_waitcnt vmcnt(56)
	v_fma_f64 v[167:168], v[129:130], v[169:170], -v[167:168]
	ds_read_b128 v[1:4], v181 offset:1472
	v_fma_f64 v[161:162], v[131:132], v[169:170], v[161:162]
	v_add_f64 v[133:134], v[133:134], v[175:176]
	v_add_f64 v[135:136], v[135:136], v[159:160]
	s_clause 0x2
	buffer_load_dword v178, off, s[0:3], 0 offset:764
	buffer_load_dword v160, off, s[0:3], 0 offset:740
	buffer_load_dword v159, off, s[0:3], 0 offset:736
	ds_read_b128 v[129:132], v181 offset:1488
	s_waitcnt vmcnt(58) lgkmcnt(1)
	v_mul_f64 v[175:176], v[3:4], v[200:201]
	s_waitcnt vmcnt(56)
	v_fma_f64 v[198:199], v[5:6], v[205:206], -v[198:199]
	v_mul_f64 v[169:170], v[1:2], v[200:201]
	v_add_f64 v[133:134], v[133:134], v[167:168]
	v_fma_f64 v[167:168], v[7:8], v[205:206], v[213:214]
	v_add_f64 v[135:136], v[135:136], v[161:162]
	s_clause 0x4
	buffer_load_dword v162, off, s[0:3], 0 offset:780
	buffer_load_dword v200, off, s[0:3], 0 offset:792
	buffer_load_dword v204, off, s[0:3], 0 offset:784
	buffer_load_dword v161, off, s[0:3], 0 offset:776
	buffer_load_dword v180, off, s[0:3], 0 offset:756
	ds_read_b128 v[5:8], v181 offset:1504
	s_waitcnt vmcnt(57) lgkmcnt(1)
	v_mul_f64 v[205:206], v[129:130], v[192:193]
	v_mul_f64 v[192:193], v[131:132], v[192:193]
	s_waitcnt vmcnt(56)
	v_fma_f64 v[175:176], v[1:2], v[202:203], -v[175:176]
	v_fma_f64 v[169:170], v[3:4], v[202:203], v[169:170]
	v_add_f64 v[133:134], v[133:134], v[198:199]
	v_add_f64 v[135:136], v[135:136], v[167:168]
	s_clause 0x2
	buffer_load_dword v201, off, s[0:3], 0 offset:796
	buffer_load_dword v168, off, s[0:3], 0 offset:772
	;; [unrolled: 1-line block ×3, first 2 shown]
	ds_read_b128 v[1:4], v181 offset:1520
	s_waitcnt vmcnt(58) lgkmcnt(1)
	v_mul_f64 v[202:203], v[7:8], v[209:210]
	v_mul_f64 v[198:199], v[5:6], v[209:210]
	s_waitcnt vmcnt(56)
	v_fma_f64 v[192:193], v[129:130], v[186:187], -v[192:193]
	v_add_f64 v[133:134], v[133:134], v[175:176]
	v_fma_f64 v[175:176], v[131:132], v[186:187], v[205:206]
	v_add_f64 v[135:136], v[135:136], v[169:170]
	s_clause 0x4
	buffer_load_dword v170, off, s[0:3], 0 offset:812
	buffer_load_dword v186, off, s[0:3], 0 offset:824
	buffer_load_dword v209, off, s[0:3], 0 offset:816
	buffer_load_dword v169, off, s[0:3], 0 offset:808
	buffer_load_dword v205, off, s[0:3], 0 offset:788
	ds_read_b128 v[129:132], v181 offset:1536
	s_waitcnt vmcnt(57) lgkmcnt(1)
	v_mul_f64 v[213:214], v[1:2], v[145:146]
	v_mul_f64 v[145:146], v[3:4], v[145:146]
	s_waitcnt vmcnt(56)
	v_fma_f64 v[202:203], v[5:6], v[211:212], -v[202:203]
	v_add_f64 v[133:134], v[133:134], v[192:193]
	v_fma_f64 v[192:193], v[7:8], v[211:212], v[198:199]
	v_add_f64 v[135:136], v[135:136], v[175:176]
	s_clause 0x2
	buffer_load_dword v187, off, s[0:3], 0 offset:828
	buffer_load_dword v176, off, s[0:3], 0 offset:804
	buffer_load_dword v175, off, s[0:3], 0 offset:800
	ds_read_b128 v[5:8], v181 offset:1552
	s_waitcnt vmcnt(58) lgkmcnt(1)
	v_mul_f64 v[198:199], v[129:130], v[194:195]
	v_mul_f64 v[194:195], v[131:132], v[194:195]
	s_waitcnt vmcnt(56)
	v_fma_f64 v[145:146], v[1:2], v[139:140], -v[145:146]
	v_fma_f64 v[139:140], v[3:4], v[139:140], v[213:214]
	v_add_f64 v[133:134], v[133:134], v[202:203]
	v_add_f64 v[135:136], v[135:136], v[192:193]
	s_clause 0x4
	buffer_load_dword v193, off, s[0:3], 0 offset:844
	buffer_load_dword v202, off, s[0:3], 0 offset:856
	buffer_load_dword v206, off, s[0:3], 0 offset:848
	buffer_load_dword v192, off, s[0:3], 0 offset:840
	buffer_load_dword v210, off, s[0:3], 0 offset:820
	ds_read_b128 v[1:4], v181 offset:1568
	s_waitcnt vmcnt(57) lgkmcnt(1)
	v_mul_f64 v[211:212], v[5:6], v[182:183]
	v_mul_f64 v[182:183], v[7:8], v[182:183]
	s_waitcnt vmcnt(56)
	v_fma_f64 v[194:195], v[129:130], v[207:208], -v[194:195]
	v_add_f64 v[133:134], v[133:134], v[145:146]
	v_fma_f64 v[145:146], v[131:132], v[207:208], v[198:199]
	v_add_f64 v[135:136], v[135:136], v[139:140]
	s_clause 0x2
	buffer_load_dword v203, off, s[0:3], 0 offset:860
	buffer_load_dword v140, off, s[0:3], 0 offset:836
	buffer_load_dword v139, off, s[0:3], 0 offset:832
	ds_read_b128 v[129:132], v181 offset:1584
	s_waitcnt vmcnt(58) lgkmcnt(1)
	v_mul_f64 v[198:199], v[1:2], v[184:185]
	v_mul_f64 v[184:185], v[3:4], v[184:185]
	s_waitcnt vmcnt(56)
	v_fma_f64 v[182:183], v[5:6], v[141:142], -v[182:183]
	v_fma_f64 v[141:142], v[7:8], v[141:142], v[211:212]
	v_add_f64 v[133:134], v[133:134], v[194:195]
	;; [unrolled: 28-line block ×3, first 2 shown]
	v_add_f64 v[135:136], v[135:136], v[182:183]
	s_clause 0x4
	buffer_load_dword v183, off, s[0:3], 0 offset:908
	buffer_load_dword v184, off, s[0:3], 0 offset:920
	;; [unrolled: 1-line block ×5, first 2 shown]
	ds_read_b128 v[129:132], v181 offset:1632
	s_waitcnt vmcnt(57) lgkmcnt(1)
	v_mul_f64 v[213:214], v[1:2], v[143:144]
	v_mul_f64 v[143:144], v[3:4], v[143:144]
	s_waitcnt vmcnt(56)
	v_fma_f64 v[157:158], v[5:6], v[190:191], -v[157:158]
	v_add_f64 v[133:134], v[133:134], v[137:138]
	v_fma_f64 v[137:138], v[7:8], v[190:191], v[196:197]
	v_add_f64 v[135:136], v[135:136], v[147:148]
	s_clause 0x2
	buffer_load_dword v185, off, s[0:3], 0 offset:924
	buffer_load_dword v148, off, s[0:3], 0 offset:900
	;; [unrolled: 1-line block ×3, first 2 shown]
	s_waitcnt vmcnt(58) lgkmcnt(0)
	v_mul_f64 v[190:191], v[129:130], v[163:164]
	v_mul_f64 v[163:164], v[131:132], v[163:164]
	ds_read_b128 v[5:8], v181 offset:1648
	s_waitcnt vmcnt(56)
	v_fma_f64 v[143:144], v[1:2], v[153:154], -v[143:144]
	v_fma_f64 v[153:154], v[3:4], v[153:154], v[213:214]
	v_add_f64 v[133:134], v[133:134], v[157:158]
	v_add_f64 v[135:136], v[135:136], v[137:138]
	s_clause 0x4
	buffer_load_dword v138, off, s[0:3], 0 offset:940
	buffer_load_dword v157, off, s[0:3], 0 offset:952
	;; [unrolled: 1-line block ×5, first 2 shown]
	ds_read_b128 v[1:4], v181 offset:1664
	s_waitcnt vmcnt(57) lgkmcnt(1)
	v_mul_f64 v[213:214], v[5:6], v[149:150]
	v_mul_f64 v[149:150], v[7:8], v[149:150]
	s_waitcnt vmcnt(56)
	v_fma_f64 v[163:164], v[129:130], v[165:166], -v[163:164]
	v_add_f64 v[133:134], v[133:134], v[143:144]
	v_fma_f64 v[143:144], v[131:132], v[165:166], v[190:191]
	v_add_f64 v[135:136], v[135:136], v[153:154]
	s_clause 0x2
	buffer_load_dword v158, off, s[0:3], 0 offset:956
	buffer_load_dword v154, off, s[0:3], 0 offset:932
	;; [unrolled: 1-line block ×3, first 2 shown]
	ds_read_b128 v[129:132], v181 offset:1680
	s_waitcnt vmcnt(58) lgkmcnt(1)
	v_mul_f64 v[165:166], v[1:2], v[171:172]
	v_mul_f64 v[171:172], v[3:4], v[171:172]
	s_waitcnt vmcnt(56)
	v_fma_f64 v[149:150], v[5:6], v[151:152], -v[149:150]
	v_fma_f64 v[151:152], v[7:8], v[151:152], v[213:214]
	v_add_f64 v[133:134], v[133:134], v[163:164]
	v_add_f64 v[135:136], v[135:136], v[143:144]
	s_clause 0x2
	buffer_load_dword v144, off, s[0:3], 0 offset:972
	buffer_load_dword v143, off, s[0:3], 0 offset:968
	;; [unrolled: 1-line block ×3, first 2 shown]
	ds_read_b128 v[5:8], v181 offset:1696
	s_waitcnt vmcnt(55) lgkmcnt(1)
	v_mul_f64 v[163:164], v[129:130], v[155:156]
	v_mul_f64 v[155:156], v[131:132], v[155:156]
	s_waitcnt vmcnt(54)
	v_fma_f64 v[171:172], v[1:2], v[173:174], -v[171:172]
	v_add_f64 v[133:134], v[133:134], v[149:150]
	v_fma_f64 v[149:150], v[3:4], v[173:174], v[165:166]
	v_add_f64 v[135:136], v[135:136], v[151:152]
	s_clause 0x1
	buffer_load_dword v152, off, s[0:3], 0 offset:964
	buffer_load_dword v151, off, s[0:3], 0 offset:960
	ds_read_b128 v[1:4], v181 offset:1712
	s_waitcnt vmcnt(55) lgkmcnt(1)
	v_mul_f64 v[173:174], v[7:8], v[177:178]
	v_mul_f64 v[165:166], v[5:6], v[177:178]
	s_waitcnt vmcnt(53)
	v_fma_f64 v[155:156], v[129:130], v[159:160], -v[155:156]
	v_fma_f64 v[159:160], v[131:132], v[159:160], v[163:164]
	ds_read_b128 v[129:132], v181 offset:1728
	v_add_f64 v[133:134], v[133:134], v[171:172]
	v_add_f64 v[135:136], v[135:136], v[149:150]
	s_waitcnt vmcnt(49) lgkmcnt(1)
	v_mul_f64 v[149:150], v[1:2], v[161:162]
	v_mul_f64 v[161:162], v[3:4], v[161:162]
	s_waitcnt vmcnt(48)
	v_fma_f64 v[163:164], v[5:6], v[179:180], -v[173:174]
	v_add_f64 v[133:134], v[133:134], v[155:156]
	v_fma_f64 v[155:156], v[7:8], v[179:180], v[165:166]
	v_add_f64 v[135:136], v[135:136], v[159:160]
	s_clause 0x3
	buffer_load_dword v159, off, s[0:3], 0 offset:256
	buffer_load_dword v160, off, s[0:3], 0 offset:260
	;; [unrolled: 1-line block ×4, first 2 shown]
	ds_read_b128 v[5:8], v181 offset:1744
	s_waitcnt vmcnt(51) lgkmcnt(1)
	v_mul_f64 v[173:174], v[131:132], v[200:201]
	v_mul_f64 v[171:172], v[129:130], v[200:201]
	s_waitcnt vmcnt(49)
	v_fma_f64 v[161:162], v[1:2], v[167:168], -v[161:162]
	v_fma_f64 v[149:150], v[3:4], v[167:168], v[149:150]
	ds_read_b128 v[1:4], v181 offset:1760
	v_add_f64 v[133:134], v[133:134], v[163:164]
	v_add_f64 v[135:136], v[135:136], v[155:156]
	s_waitcnt vmcnt(45) lgkmcnt(1)
	v_mul_f64 v[163:164], v[7:8], v[169:170]
	s_waitcnt vmcnt(44)
	v_fma_f64 v[167:168], v[129:130], v[204:205], -v[173:174]
	v_mul_f64 v[155:156], v[5:6], v[169:170]
	v_add_f64 v[133:134], v[133:134], v[161:162]
	v_fma_f64 v[161:162], v[131:132], v[204:205], v[171:172]
	v_add_f64 v[135:136], v[135:136], v[149:150]
	ds_read_b128 v[129:132], v181 offset:1776
	s_waitcnt vmcnt(43) lgkmcnt(1)
	v_mul_f64 v[169:170], v[3:4], v[186:187]
	v_mul_f64 v[149:150], v[1:2], v[186:187]
	s_waitcnt vmcnt(41)
	v_fma_f64 v[163:164], v[5:6], v[175:176], -v[163:164]
	v_fma_f64 v[155:156], v[7:8], v[175:176], v[155:156]
	ds_read_b128 v[5:8], v181 offset:1792
	v_add_f64 v[133:134], v[133:134], v[167:168]
	v_add_f64 v[135:136], v[135:136], v[161:162]
	s_waitcnt vmcnt(37) lgkmcnt(1)
	v_mul_f64 v[167:168], v[131:132], v[192:193]
	s_waitcnt vmcnt(36)
	v_fma_f64 v[169:170], v[1:2], v[209:210], -v[169:170]
	v_mul_f64 v[161:162], v[129:130], v[192:193]
	v_fma_f64 v[149:150], v[3:4], v[209:210], v[149:150]
	ds_read_b128 v[1:4], v181 offset:1808
	v_add_f64 v[133:134], v[133:134], v[163:164]
	v_add_f64 v[135:136], v[135:136], v[155:156]
	s_waitcnt vmcnt(35) lgkmcnt(1)
	v_mul_f64 v[163:164], v[7:8], v[202:203]
	v_mul_f64 v[155:156], v[5:6], v[202:203]
	s_waitcnt vmcnt(33)
	v_fma_f64 v[167:168], v[129:130], v[139:140], -v[167:168]
	v_fma_f64 v[139:140], v[131:132], v[139:140], v[161:162]
	ds_read_b128 v[129:132], v181 offset:1824
	v_add_f64 v[133:134], v[133:134], v[169:170]
	v_add_f64 v[135:136], v[135:136], v[149:150]
	s_waitcnt vmcnt(29) lgkmcnt(1)
	v_mul_f64 v[149:150], v[1:2], v[145:146]
	v_mul_f64 v[145:146], v[3:4], v[145:146]
	s_waitcnt vmcnt(28)
	v_fma_f64 v[161:162], v[5:6], v[206:207], -v[163:164]
	;; [unrolled: 9-line block ×3, first 2 shown]
	v_fma_f64 v[141:142], v[3:4], v[141:142], v[149:150]
	ds_read_b128 v[1:4], v181 offset:1856
	v_add_f64 v[133:134], v[133:134], v[161:162]
	v_add_f64 v[135:136], v[135:136], v[155:156]
	s_waitcnt vmcnt(21) lgkmcnt(1)
	v_mul_f64 v[155:156], v[7:8], v[182:183]
	s_waitcnt vmcnt(20)
	v_fma_f64 v[161:162], v[129:130], v[211:212], -v[163:164]
	v_mul_f64 v[149:150], v[5:6], v[182:183]
	v_fma_f64 v[139:140], v[131:132], v[211:212], v[139:140]
	ds_read_b128 v[129:132], v181 offset:1872
	v_add_f64 v[133:134], v[133:134], v[145:146]
	v_add_f64 v[135:136], v[135:136], v[141:142]
	s_waitcnt vmcnt(19) lgkmcnt(1)
	v_mul_f64 v[145:146], v[3:4], v[184:185]
	v_mul_f64 v[141:142], v[1:2], v[184:185]
	s_waitcnt vmcnt(17)
	v_fma_f64 v[155:156], v[5:6], v[147:148], -v[155:156]
	v_fma_f64 v[147:148], v[7:8], v[147:148], v[149:150]
	ds_read_b128 v[5:8], v181 offset:1888
	v_add_f64 v[133:134], v[133:134], v[161:162]
	v_add_f64 v[135:136], v[135:136], v[139:140]
	s_waitcnt vmcnt(13) lgkmcnt(1)
	v_mul_f64 v[139:140], v[129:130], v[137:138]
	v_mul_f64 v[137:138], v[131:132], v[137:138]
	s_waitcnt vmcnt(12)
	v_fma_f64 v[145:146], v[1:2], v[198:199], -v[145:146]
	;; [unrolled: 9-line block ×3, first 2 shown]
	v_fma_f64 v[131:132], v[131:132], v[153:154], v[139:140]
	v_add_f64 v[133:134], v[133:134], v[145:146]
	v_add_f64 v[135:136], v[135:136], v[141:142]
	s_waitcnt vmcnt(7) lgkmcnt(0)
	v_mul_f64 v[139:140], v[3:4], v[143:144]
	s_waitcnt vmcnt(6)
	v_fma_f64 v[5:6], v[5:6], v[196:197], -v[149:150]
	v_mul_f64 v[137:138], v[1:2], v[143:144]
	v_fma_f64 v[7:8], v[7:8], v[196:197], v[147:148]
	v_add_f64 v[129:130], v[133:134], v[129:130]
	v_add_f64 v[131:132], v[135:136], v[131:132]
	s_waitcnt vmcnt(4)
	v_fma_f64 v[1:2], v[1:2], v[151:152], -v[139:140]
	v_fma_f64 v[3:4], v[3:4], v[151:152], v[137:138]
	v_add_f64 v[5:6], v[129:130], v[5:6]
	v_add_f64 v[7:8], v[131:132], v[7:8]
	;; [unrolled: 1-line block ×4, first 2 shown]
	s_waitcnt vmcnt(2)
	v_add_f64 v[1:2], v[159:160], -v[1:2]
	s_waitcnt vmcnt(0)
	v_add_f64 v[3:4], v[165:166], -v[3:4]
	buffer_store_dword v2, off, s[0:3], 0 offset:260
	buffer_store_dword v1, off, s[0:3], 0 offset:256
	;; [unrolled: 1-line block ×4, first 2 shown]
	v_cmpx_lt_u32_e32 14, v0
	s_cbranch_execz .LBB123_345
; %bb.344:
	v_mov_b32_e32 v4, s58
	v_mov_b32_e32 v5, 0
	s_clause 0x3
	buffer_load_dword v1, v4, s[0:3], 0 offen
	buffer_load_dword v2, v4, s[0:3], 0 offen offset:4
	buffer_load_dword v3, v4, s[0:3], 0 offen offset:8
	;; [unrolled: 1-line block ×3, first 2 shown]
	buffer_store_dword v5, off, s[0:3], 0 offset:240
	buffer_store_dword v5, off, s[0:3], 0 offset:244
	;; [unrolled: 1-line block ×4, first 2 shown]
	s_waitcnt vmcnt(0)
	ds_write_b128 v189, v[1:4]
.LBB123_345:
	s_or_b32 exec_lo, exec_lo, s4
	s_waitcnt lgkmcnt(0)
	s_waitcnt_vscnt null, 0x0
	s_barrier
	buffer_gl0_inv
	s_clause 0x37
	buffer_load_dword v133, off, s[0:3], 0 offset:264
	buffer_load_dword v134, off, s[0:3], 0 offset:268
	;; [unrolled: 1-line block ×56, first 2 shown]
	v_mov_b32_e32 v190, 0
	s_mov_b32 s4, exec_lo
	ds_read_b128 v[185:188], v190 offset:1200
	s_clause 0x2
	buffer_load_dword v182, off, s[0:3], 0 offset:492
	buffer_load_dword v184, off, s[0:3], 0 offset:468
	buffer_load_dword v183, off, s[0:3], 0 offset:464
	ds_read_b128 v[1:4], v190 offset:1216
	s_clause 0x4
	buffer_load_dword v198, off, s[0:3], 0 offset:508
	buffer_load_dword v199, off, s[0:3], 0 offset:520
	;; [unrolled: 1-line block ×5, first 2 shown]
	ds_read_b128 v[191:194], v190 offset:1232
	s_waitcnt vmcnt(62) lgkmcnt(2)
	v_mul_f64 v[195:196], v[187:188], v[133:134]
	v_mul_f64 v[133:134], v[185:186], v[133:134]
	s_waitcnt vmcnt(60) lgkmcnt(1)
	v_mul_f64 v[202:203], v[3:4], v[129:130]
	s_waitcnt vmcnt(56) lgkmcnt(0)
	v_mul_f64 v[204:205], v[191:192], v[7:8]
	v_mul_f64 v[7:8], v[193:194], v[7:8]
	v_fma_f64 v[185:186], v[185:186], v[131:132], -v[195:196]
	v_mul_f64 v[195:196], v[1:2], v[129:130]
	v_fma_f64 v[133:134], v[187:188], v[131:132], v[133:134]
	s_clause 0x2
	buffer_load_dword v200, off, s[0:3], 0 offset:524
	buffer_load_dword v188, off, s[0:3], 0 offset:500
	;; [unrolled: 1-line block ×3, first 2 shown]
	s_waitcnt vmcnt(57)
	v_fma_f64 v[206:207], v[1:2], v[5:6], -v[202:203]
	ds_read_b128 v[129:132], v190 offset:1248
	s_waitcnt vmcnt(51)
	v_fma_f64 v[191:192], v[191:192], v[149:150], -v[7:8]
	v_fma_f64 v[149:150], v[193:194], v[149:150], v[204:205]
	v_add_f64 v[185:186], v[185:186], 0
	v_fma_f64 v[5:6], v[3:4], v[5:6], v[195:196]
	v_add_f64 v[133:134], v[133:134], 0
	s_clause 0x4
	buffer_load_dword v196, off, s[0:3], 0 offset:540
	buffer_load_dword v203, off, s[0:3], 0 offset:552
	;; [unrolled: 1-line block ×5, first 2 shown]
	s_waitcnt lgkmcnt(0)
	v_mul_f64 v[209:210], v[129:130], v[137:138]
	v_mul_f64 v[137:138], v[131:132], v[137:138]
	ds_read_b128 v[1:4], v190 offset:1264
	s_clause 0x2
	buffer_load_dword v204, off, s[0:3], 0 offset:556
	buffer_load_dword v194, off, s[0:3], 0 offset:532
	;; [unrolled: 1-line block ×3, first 2 shown]
	v_add_f64 v[185:186], v[185:186], v[206:207]
	v_add_f64 v[133:134], v[133:134], v[5:6]
	ds_read_b128 v[5:8], v190 offset:1280
	s_waitcnt vmcnt(58) lgkmcnt(1)
	v_mul_f64 v[205:206], v[1:2], v[141:142]
	v_mul_f64 v[141:142], v[3:4], v[141:142]
	s_waitcnt vmcnt(56)
	v_fma_f64 v[137:138], v[129:130], v[143:144], -v[137:138]
	v_fma_f64 v[143:144], v[131:132], v[143:144], v[209:210]
	v_add_f64 v[185:186], v[185:186], v[191:192]
	s_waitcnt vmcnt(52) lgkmcnt(0)
	v_mul_f64 v[211:212], v[5:6], v[145:146]
	v_add_f64 v[133:134], v[133:134], v[149:150]
	s_clause 0x4
	buffer_load_dword v150, off, s[0:3], 0 offset:572
	buffer_load_dword v191, off, s[0:3], 0 offset:584
	;; [unrolled: 1-line block ×5, first 2 shown]
	v_mul_f64 v[145:146], v[7:8], v[145:146]
	s_waitcnt vmcnt(56)
	v_fma_f64 v[141:142], v[1:2], v[135:136], -v[141:142]
	ds_read_b128 v[129:132], v190 offset:1296
	v_fma_f64 v[135:136], v[3:4], v[135:136], v[205:206]
	v_add_f64 v[137:138], v[185:186], v[137:138]
	v_add_f64 v[133:134], v[133:134], v[143:144]
	s_clause 0x2
	buffer_load_dword v192, off, s[0:3], 0 offset:588
	buffer_load_dword v144, off, s[0:3], 0 offset:564
	;; [unrolled: 1-line block ×3, first 2 shown]
	s_waitcnt vmcnt(58) lgkmcnt(0)
	v_mul_f64 v[185:186], v[129:130], v[151:152]
	v_mul_f64 v[151:152], v[131:132], v[151:152]
	s_waitcnt vmcnt(56)
	v_fma_f64 v[145:146], v[5:6], v[153:154], -v[145:146]
	ds_read_b128 v[1:4], v190 offset:1312
	v_add_f64 v[137:138], v[137:138], v[141:142]
	v_fma_f64 v[141:142], v[7:8], v[153:154], v[211:212]
	v_add_f64 v[133:134], v[133:134], v[135:136]
	s_clause 0x4
	buffer_load_dword v136, off, s[0:3], 0 offset:604
	buffer_load_dword v153, off, s[0:3], 0 offset:616
	;; [unrolled: 1-line block ×5, first 2 shown]
	ds_read_b128 v[5:8], v190 offset:1328
	s_waitcnt vmcnt(57) lgkmcnt(1)
	v_mul_f64 v[206:207], v[1:2], v[155:156]
	v_mul_f64 v[155:156], v[3:4], v[155:156]
	s_waitcnt vmcnt(56)
	v_fma_f64 v[151:152], v[129:130], v[139:140], -v[151:152]
	v_fma_f64 v[139:140], v[131:132], v[139:140], v[185:186]
	v_add_f64 v[137:138], v[137:138], v[145:146]
	v_add_f64 v[133:134], v[133:134], v[141:142]
	s_clause 0x2
	buffer_load_dword v154, off, s[0:3], 0 offset:620
	buffer_load_dword v142, off, s[0:3], 0 offset:596
	;; [unrolled: 1-line block ×3, first 2 shown]
	s_waitcnt vmcnt(58) lgkmcnt(0)
	v_mul_f64 v[145:146], v[5:6], v[159:160]
	v_mul_f64 v[159:160], v[7:8], v[159:160]
	s_waitcnt vmcnt(56)
	v_fma_f64 v[155:156], v[1:2], v[161:162], -v[155:156]
	ds_read_b128 v[129:132], v190 offset:1344
	v_add_f64 v[137:138], v[137:138], v[151:152]
	v_fma_f64 v[151:152], v[3:4], v[161:162], v[206:207]
	v_add_f64 v[133:134], v[133:134], v[139:140]
	s_clause 0x4
	buffer_load_dword v140, off, s[0:3], 0 offset:636
	buffer_load_dword v161, off, s[0:3], 0 offset:648
	buffer_load_dword v185, off, s[0:3], 0 offset:640
	buffer_load_dword v139, off, s[0:3], 0 offset:632
	buffer_load_dword v206, off, s[0:3], 0 offset:612
	ds_read_b128 v[1:4], v190 offset:1360
	s_waitcnt vmcnt(57) lgkmcnt(1)
	v_mul_f64 v[212:213], v[129:130], v[163:164]
	v_mul_f64 v[163:164], v[131:132], v[163:164]
	s_waitcnt vmcnt(56)
	v_fma_f64 v[159:160], v[5:6], v[147:148], -v[159:160]
	v_fma_f64 v[145:146], v[7:8], v[147:148], v[145:146]
	s_clause 0x2
	buffer_load_dword v162, off, s[0:3], 0 offset:652
	buffer_load_dword v148, off, s[0:3], 0 offset:628
	;; [unrolled: 1-line block ×3, first 2 shown]
	ds_read_b128 v[5:8], v190 offset:1376
	v_add_f64 v[137:138], v[137:138], v[155:156]
	v_add_f64 v[133:134], v[133:134], v[151:152]
	s_waitcnt vmcnt(58) lgkmcnt(1)
	v_mul_f64 v[155:156], v[3:4], v[167:168]
	v_mul_f64 v[151:152], v[1:2], v[167:168]
	s_waitcnt vmcnt(56)
	v_fma_f64 v[163:164], v[129:130], v[169:170], -v[163:164]
	v_add_f64 v[137:138], v[137:138], v[159:160]
	v_fma_f64 v[159:160], v[131:132], v[169:170], v[212:213]
	v_add_f64 v[133:134], v[133:134], v[145:146]
	s_clause 0x4
	buffer_load_dword v146, off, s[0:3], 0 offset:668
	buffer_load_dword v167, off, s[0:3], 0 offset:680
	;; [unrolled: 1-line block ×5, first 2 shown]
	s_waitcnt vmcnt(57) lgkmcnt(0)
	v_mul_f64 v[212:213], v[5:6], v[171:172]
	v_mul_f64 v[170:171], v[7:8], v[171:172]
	s_waitcnt vmcnt(56)
	v_fma_f64 v[155:156], v[1:2], v[157:158], -v[155:156]
	ds_read_b128 v[129:132], v190 offset:1392
	v_fma_f64 v[151:152], v[3:4], v[157:158], v[151:152]
	s_clause 0x2
	buffer_load_dword v168, off, s[0:3], 0 offset:684
	buffer_load_dword v158, off, s[0:3], 0 offset:660
	;; [unrolled: 1-line block ×3, first 2 shown]
	ds_read_b128 v[1:4], v190 offset:1408
	v_add_f64 v[137:138], v[137:138], v[163:164]
	v_add_f64 v[133:134], v[133:134], v[159:160]
	s_waitcnt vmcnt(58) lgkmcnt(1)
	v_mul_f64 v[163:164], v[131:132], v[175:176]
	s_waitcnt vmcnt(56)
	v_fma_f64 v[171:172], v[5:6], v[177:178], -v[170:171]
	v_mul_f64 v[159:160], v[129:130], v[175:176]
	v_add_f64 v[137:138], v[137:138], v[155:156]
	v_fma_f64 v[155:156], v[7:8], v[177:178], v[212:213]
	v_add_f64 v[133:134], v[133:134], v[151:152]
	s_clause 0x4
	buffer_load_dword v152, off, s[0:3], 0 offset:700
	buffer_load_dword v175, off, s[0:3], 0 offset:712
	;; [unrolled: 1-line block ×5, first 2 shown]
	s_waitcnt vmcnt(57) lgkmcnt(0)
	v_mul_f64 v[212:213], v[1:2], v[179:180]
	v_mul_f64 v[178:179], v[3:4], v[179:180]
	s_waitcnt vmcnt(56)
	v_fma_f64 v[163:164], v[129:130], v[165:166], -v[163:164]
	ds_read_b128 v[5:8], v190 offset:1424
	v_fma_f64 v[159:160], v[131:132], v[165:166], v[159:160]
	v_add_f64 v[137:138], v[137:138], v[171:172]
	v_add_f64 v[133:134], v[133:134], v[155:156]
	s_clause 0x2
	buffer_load_dword v176, off, s[0:3], 0 offset:716
	buffer_load_dword v156, off, s[0:3], 0 offset:692
	;; [unrolled: 1-line block ×3, first 2 shown]
	ds_read_b128 v[129:132], v190 offset:1440
	s_waitcnt vmcnt(58) lgkmcnt(1)
	v_mul_f64 v[171:172], v[7:8], v[181:182]
	s_waitcnt vmcnt(56)
	v_fma_f64 v[179:180], v[1:2], v[183:184], -v[178:179]
	v_mul_f64 v[165:166], v[5:6], v[181:182]
	v_add_f64 v[137:138], v[137:138], v[163:164]
	v_fma_f64 v[163:164], v[3:4], v[183:184], v[212:213]
	v_add_f64 v[133:134], v[133:134], v[159:160]
	s_clause 0x4
	buffer_load_dword v160, off, s[0:3], 0 offset:732
	buffer_load_dword v181, off, s[0:3], 0 offset:744
	;; [unrolled: 1-line block ×5, first 2 shown]
	s_waitcnt vmcnt(57) lgkmcnt(0)
	v_mul_f64 v[212:213], v[129:130], v[197:198]
	v_mul_f64 v[197:198], v[131:132], v[197:198]
	s_waitcnt vmcnt(56)
	v_fma_f64 v[171:172], v[5:6], v[173:174], -v[171:172]
	ds_read_b128 v[1:4], v190 offset:1456
	v_fma_f64 v[165:166], v[7:8], v[173:174], v[165:166]
	v_add_f64 v[137:138], v[137:138], v[179:180]
	v_add_f64 v[133:134], v[133:134], v[163:164]
	s_clause 0x2
	buffer_load_dword v182, off, s[0:3], 0 offset:748
	buffer_load_dword v164, off, s[0:3], 0 offset:724
	;; [unrolled: 1-line block ×3, first 2 shown]
	ds_read_b128 v[5:8], v190 offset:1472
	s_waitcnt vmcnt(58) lgkmcnt(1)
	v_mul_f64 v[179:180], v[3:4], v[199:200]
	v_mul_f64 v[173:174], v[1:2], v[199:200]
	s_waitcnt vmcnt(56)
	v_fma_f64 v[197:198], v[129:130], v[187:188], -v[197:198]
	v_add_f64 v[137:138], v[137:138], v[171:172]
	v_fma_f64 v[171:172], v[131:132], v[187:188], v[212:213]
	v_add_f64 v[133:134], v[133:134], v[165:166]
	s_clause 0x4
	buffer_load_dword v166, off, s[0:3], 0 offset:764
	buffer_load_dword v187, off, s[0:3], 0 offset:776
	;; [unrolled: 1-line block ×5, first 2 shown]
	ds_read_b128 v[129:132], v190 offset:1488
	s_waitcnt vmcnt(57) lgkmcnt(1)
	v_mul_f64 v[212:213], v[5:6], v[195:196]
	v_mul_f64 v[195:196], v[7:8], v[195:196]
	s_waitcnt vmcnt(56)
	v_fma_f64 v[179:180], v[1:2], v[201:202], -v[179:180]
	v_fma_f64 v[173:174], v[3:4], v[201:202], v[173:174]
	v_add_f64 v[137:138], v[137:138], v[197:198]
	v_add_f64 v[133:134], v[133:134], v[171:172]
	s_clause 0x2
	buffer_load_dword v188, off, s[0:3], 0 offset:780
	buffer_load_dword v172, off, s[0:3], 0 offset:756
	;; [unrolled: 1-line block ×3, first 2 shown]
	s_waitcnt vmcnt(58) lgkmcnt(0)
	v_mul_f64 v[201:202], v[131:132], v[203:204]
	ds_read_b128 v[1:4], v190 offset:1504
	v_mul_f64 v[197:198], v[129:130], v[203:204]
	s_waitcnt vmcnt(56)
	v_fma_f64 v[195:196], v[5:6], v[193:194], -v[195:196]
	v_add_f64 v[137:138], v[137:138], v[179:180]
	v_fma_f64 v[179:180], v[7:8], v[193:194], v[212:213]
	v_add_f64 v[133:134], v[133:134], v[173:174]
	s_clause 0x4
	buffer_load_dword v174, off, s[0:3], 0 offset:796
	buffer_load_dword v193, off, s[0:3], 0 offset:808
	;; [unrolled: 1-line block ×5, first 2 shown]
	ds_read_b128 v[5:8], v190 offset:1520
	s_waitcnt vmcnt(57) lgkmcnt(1)
	v_mul_f64 v[212:213], v[1:2], v[149:150]
	v_mul_f64 v[149:150], v[3:4], v[149:150]
	s_waitcnt vmcnt(56)
	v_fma_f64 v[201:202], v[129:130], v[208:209], -v[201:202]
	v_add_f64 v[137:138], v[137:138], v[195:196]
	v_fma_f64 v[195:196], v[131:132], v[208:209], v[197:198]
	v_add_f64 v[133:134], v[133:134], v[179:180]
	s_clause 0x2
	buffer_load_dword v194, off, s[0:3], 0 offset:812
	buffer_load_dword v180, off, s[0:3], 0 offset:788
	;; [unrolled: 1-line block ×3, first 2 shown]
	ds_read_b128 v[129:132], v190 offset:1536
	s_waitcnt vmcnt(58) lgkmcnt(1)
	v_mul_f64 v[197:198], v[5:6], v[191:192]
	v_mul_f64 v[191:192], v[7:8], v[191:192]
	s_waitcnt vmcnt(56)
	v_fma_f64 v[149:150], v[1:2], v[143:144], -v[149:150]
	v_fma_f64 v[143:144], v[3:4], v[143:144], v[212:213]
	v_add_f64 v[137:138], v[137:138], v[201:202]
	v_add_f64 v[133:134], v[133:134], v[195:196]
	s_clause 0x4
	buffer_load_dword v196, off, s[0:3], 0 offset:828
	buffer_load_dword v201, off, s[0:3], 0 offset:840
	;; [unrolled: 1-line block ×5, first 2 shown]
	ds_read_b128 v[1:4], v190 offset:1552
	s_waitcnt vmcnt(57) lgkmcnt(1)
	v_mul_f64 v[208:209], v[129:130], v[135:136]
	v_mul_f64 v[135:136], v[131:132], v[135:136]
	s_waitcnt vmcnt(56)
	v_fma_f64 v[191:192], v[5:6], v[210:211], -v[191:192]
	v_add_f64 v[137:138], v[137:138], v[149:150]
	v_fma_f64 v[149:150], v[7:8], v[210:211], v[197:198]
	v_add_f64 v[133:134], v[133:134], v[143:144]
	s_clause 0x2
	buffer_load_dword v202, off, s[0:3], 0 offset:844
	buffer_load_dword v144, off, s[0:3], 0 offset:820
	buffer_load_dword v143, off, s[0:3], 0 offset:816
	ds_read_b128 v[5:8], v190 offset:1568
	s_waitcnt vmcnt(58) lgkmcnt(1)
	v_mul_f64 v[197:198], v[1:2], v[153:154]
	v_mul_f64 v[153:154], v[3:4], v[153:154]
	s_waitcnt vmcnt(56)
	v_fma_f64 v[135:136], v[129:130], v[141:142], -v[135:136]
	v_fma_f64 v[141:142], v[131:132], v[141:142], v[208:209]
	v_add_f64 v[137:138], v[137:138], v[191:192]
	v_add_f64 v[133:134], v[133:134], v[149:150]
	s_clause 0x4
	buffer_load_dword v150, off, s[0:3], 0 offset:860
	buffer_load_dword v191, off, s[0:3], 0 offset:872
	buffer_load_dword v209, off, s[0:3], 0 offset:864
	buffer_load_dword v149, off, s[0:3], 0 offset:856
	buffer_load_dword v208, off, s[0:3], 0 offset:836
	ds_read_b128 v[129:132], v190 offset:1584
	s_waitcnt vmcnt(57) lgkmcnt(1)
	v_mul_f64 v[210:211], v[5:6], v[139:140]
	v_mul_f64 v[139:140], v[7:8], v[139:140]
	s_waitcnt vmcnt(56)
	v_fma_f64 v[153:154], v[1:2], v[205:206], -v[153:154]
	v_add_f64 v[135:136], v[137:138], v[135:136]
	v_fma_f64 v[137:138], v[3:4], v[205:206], v[197:198]
	v_add_f64 v[133:134], v[133:134], v[141:142]
	s_clause 0x2
	buffer_load_dword v192, off, s[0:3], 0 offset:876
	buffer_load_dword v142, off, s[0:3], 0 offset:852
	;; [unrolled: 1-line block ×3, first 2 shown]
	s_waitcnt vmcnt(58) lgkmcnt(0)
	v_mul_f64 v[197:198], v[129:130], v[161:162]
	v_mul_f64 v[161:162], v[131:132], v[161:162]
	ds_read_b128 v[1:4], v190 offset:1600
	s_waitcnt vmcnt(56)
	v_fma_f64 v[139:140], v[5:6], v[147:148], -v[139:140]
	v_fma_f64 v[147:148], v[7:8], v[147:148], v[210:211]
	v_add_f64 v[135:136], v[135:136], v[153:154]
	v_add_f64 v[133:134], v[133:134], v[137:138]
	s_clause 0x4
	buffer_load_dword v138, off, s[0:3], 0 offset:892
	buffer_load_dword v153, off, s[0:3], 0 offset:904
	;; [unrolled: 1-line block ×5, first 2 shown]
	ds_read_b128 v[5:8], v190 offset:1616
	s_waitcnt vmcnt(57) lgkmcnt(1)
	v_mul_f64 v[211:212], v[1:2], v[145:146]
	v_mul_f64 v[145:146], v[3:4], v[145:146]
	s_waitcnt vmcnt(56)
	v_fma_f64 v[161:162], v[129:130], v[185:186], -v[161:162]
	v_add_f64 v[135:136], v[135:136], v[139:140]
	v_fma_f64 v[139:140], v[131:132], v[185:186], v[197:198]
	v_add_f64 v[133:134], v[133:134], v[147:148]
	s_clause 0x2
	buffer_load_dword v154, off, s[0:3], 0 offset:908
	buffer_load_dword v148, off, s[0:3], 0 offset:884
	;; [unrolled: 1-line block ×3, first 2 shown]
	s_waitcnt vmcnt(58) lgkmcnt(0)
	v_mul_f64 v[185:186], v[5:6], v[167:168]
	v_mul_f64 v[167:168], v[7:8], v[167:168]
	ds_read_b128 v[129:132], v190 offset:1632
	s_waitcnt vmcnt(56)
	v_fma_f64 v[145:146], v[1:2], v[157:158], -v[145:146]
	v_fma_f64 v[157:158], v[3:4], v[157:158], v[211:212]
	v_add_f64 v[135:136], v[135:136], v[161:162]
	v_add_f64 v[133:134], v[133:134], v[139:140]
	s_clause 0x4
	buffer_load_dword v140, off, s[0:3], 0 offset:924
	buffer_load_dword v161, off, s[0:3], 0 offset:936
	;; [unrolled: 1-line block ×5, first 2 shown]
	ds_read_b128 v[1:4], v190 offset:1648
	s_waitcnt vmcnt(57) lgkmcnt(1)
	v_mul_f64 v[211:212], v[129:130], v[151:152]
	v_mul_f64 v[151:152], v[131:132], v[151:152]
	s_waitcnt vmcnt(56)
	v_fma_f64 v[167:168], v[5:6], v[169:170], -v[167:168]
	v_add_f64 v[135:136], v[135:136], v[145:146]
	v_fma_f64 v[145:146], v[7:8], v[169:170], v[185:186]
	v_add_f64 v[133:134], v[133:134], v[157:158]
	s_clause 0x2
	buffer_load_dword v162, off, s[0:3], 0 offset:940
	buffer_load_dword v158, off, s[0:3], 0 offset:916
	;; [unrolled: 1-line block ×3, first 2 shown]
	ds_read_b128 v[5:8], v190 offset:1664
	s_waitcnt vmcnt(58) lgkmcnt(1)
	v_mul_f64 v[169:170], v[1:2], v[175:176]
	v_mul_f64 v[175:176], v[3:4], v[175:176]
	s_waitcnt vmcnt(56)
	v_fma_f64 v[151:152], v[129:130], v[155:156], -v[151:152]
	v_fma_f64 v[155:156], v[131:132], v[155:156], v[211:212]
	v_add_f64 v[135:136], v[135:136], v[167:168]
	v_add_f64 v[133:134], v[133:134], v[145:146]
	s_clause 0x4
	buffer_load_dword v146, off, s[0:3], 0 offset:956
	buffer_load_dword v167, off, s[0:3], 0 offset:968
	;; [unrolled: 1-line block ×5, first 2 shown]
	ds_read_b128 v[129:132], v190 offset:1680
	s_waitcnt vmcnt(57) lgkmcnt(1)
	v_mul_f64 v[211:212], v[5:6], v[159:160]
	v_mul_f64 v[159:160], v[7:8], v[159:160]
	s_waitcnt vmcnt(56)
	v_fma_f64 v[175:176], v[1:2], v[177:178], -v[175:176]
	v_add_f64 v[135:136], v[135:136], v[151:152]
	v_fma_f64 v[151:152], v[3:4], v[177:178], v[169:170]
	v_add_f64 v[133:134], v[133:134], v[155:156]
	s_clause 0x2
	buffer_load_dword v168, off, s[0:3], 0 offset:972
	buffer_load_dword v156, off, s[0:3], 0 offset:948
	;; [unrolled: 1-line block ×3, first 2 shown]
	ds_read_b128 v[1:4], v190 offset:1696
	buffer_load_dword v186, off, s[0:3], 0 offset:964
	s_waitcnt vmcnt(59) lgkmcnt(1)
	v_mul_f64 v[177:178], v[131:132], v[181:182]
	v_mul_f64 v[169:170], v[129:130], v[181:182]
	s_waitcnt vmcnt(57)
	v_fma_f64 v[159:160], v[5:6], v[163:164], -v[159:160]
	v_fma_f64 v[163:164], v[7:8], v[163:164], v[211:212]
	ds_read_b128 v[5:8], v190 offset:1712
	v_add_f64 v[135:136], v[135:136], v[175:176]
	v_add_f64 v[133:134], v[133:134], v[151:152]
	s_waitcnt vmcnt(53) lgkmcnt(1)
	v_mul_f64 v[151:152], v[1:2], v[165:166]
	v_mul_f64 v[165:166], v[3:4], v[165:166]
	s_waitcnt vmcnt(52)
	v_fma_f64 v[175:176], v[129:130], v[183:184], -v[177:178]
	v_add_f64 v[135:136], v[135:136], v[159:160]
	v_fma_f64 v[159:160], v[131:132], v[183:184], v[169:170]
	v_add_f64 v[133:134], v[133:134], v[163:164]
	ds_read_b128 v[129:132], v190 offset:1728
	s_waitcnt vmcnt(51) lgkmcnt(1)
	v_mul_f64 v[169:170], v[7:8], v[187:188]
	v_mul_f64 v[163:164], v[5:6], v[187:188]
	s_waitcnt vmcnt(49)
	v_fma_f64 v[165:166], v[1:2], v[171:172], -v[165:166]
	v_fma_f64 v[151:152], v[3:4], v[171:172], v[151:152]
	v_add_f64 v[135:136], v[135:136], v[175:176]
	v_add_f64 v[133:134], v[133:134], v[159:160]
	s_clause 0x3
	buffer_load_dword v159, off, s[0:3], 0 offset:240
	buffer_load_dword v160, off, s[0:3], 0 offset:244
	;; [unrolled: 1-line block ×4, first 2 shown]
	ds_read_b128 v[1:4], v190 offset:1744
	s_waitcnt vmcnt(49) lgkmcnt(1)
	v_mul_f64 v[175:176], v[129:130], v[173:174]
	v_mul_f64 v[173:174], v[131:132], v[173:174]
	s_waitcnt vmcnt(48)
	v_fma_f64 v[169:170], v[5:6], v[199:200], -v[169:170]
	v_fma_f64 v[163:164], v[7:8], v[199:200], v[163:164]
	ds_read_b128 v[5:8], v190 offset:1760
	v_add_f64 v[135:136], v[135:136], v[165:166]
	v_add_f64 v[133:134], v[133:134], v[151:152]
	s_waitcnt vmcnt(47) lgkmcnt(1)
	v_mul_f64 v[165:166], v[3:4], v[193:194]
	v_mul_f64 v[151:152], v[1:2], v[193:194]
	s_waitcnt vmcnt(45)
	v_fma_f64 v[173:174], v[129:130], v[179:180], -v[173:174]
	v_add_f64 v[135:136], v[135:136], v[169:170]
	v_fma_f64 v[169:170], v[131:132], v[179:180], v[175:176]
	v_add_f64 v[133:134], v[133:134], v[163:164]
	ds_read_b128 v[129:132], v190 offset:1776
	s_waitcnt vmcnt(41) lgkmcnt(1)
	v_mul_f64 v[175:176], v[7:8], v[195:196]
	s_waitcnt vmcnt(40)
	v_fma_f64 v[165:166], v[1:2], v[203:204], -v[165:166]
	v_mul_f64 v[163:164], v[5:6], v[195:196]
	v_fma_f64 v[151:152], v[3:4], v[203:204], v[151:152]
	ds_read_b128 v[1:4], v190 offset:1792
	v_add_f64 v[135:136], v[135:136], v[173:174]
	v_add_f64 v[133:134], v[133:134], v[169:170]
	s_waitcnt vmcnt(39) lgkmcnt(1)
	v_mul_f64 v[173:174], v[131:132], v[201:202]
	v_mul_f64 v[169:170], v[129:130], v[201:202]
	s_waitcnt vmcnt(37)
	v_fma_f64 v[175:176], v[5:6], v[143:144], -v[175:176]
	v_fma_f64 v[143:144], v[7:8], v[143:144], v[163:164]
	ds_read_b128 v[5:8], v190 offset:1808
	v_add_f64 v[135:136], v[135:136], v[165:166]
	v_add_f64 v[133:134], v[133:134], v[151:152]
	s_waitcnt vmcnt(33) lgkmcnt(1)
	v_mul_f64 v[151:152], v[1:2], v[149:150]
	v_mul_f64 v[149:150], v[3:4], v[149:150]
	s_waitcnt vmcnt(32)
	v_fma_f64 v[163:164], v[129:130], v[207:208], -v[173:174]
	;; [unrolled: 9-line block ×6, first 2 shown]
	v_add_f64 v[135:136], v[135:136], v[137:138]
	v_fma_f64 v[137:138], v[3:4], v[205:206], v[141:142]
	v_add_f64 v[133:134], v[133:134], v[147:148]
	ds_read_b128 v[1:4], v190 offset:1888
	s_waitcnt vmcnt(15) lgkmcnt(1)
	v_mul_f64 v[147:148], v[131:132], v[161:162]
	v_mul_f64 v[141:142], v[129:130], v[161:162]
	s_waitcnt vmcnt(13)
	v_fma_f64 v[139:140], v[5:6], v[157:158], -v[139:140]
	v_fma_f64 v[143:144], v[7:8], v[157:158], v[143:144]
	ds_read_b128 v[5:8], v190 offset:1904
	v_add_f64 v[135:136], v[135:136], v[149:150]
	v_add_f64 v[133:134], v[133:134], v[137:138]
	s_waitcnt vmcnt(9) lgkmcnt(1)
	v_mul_f64 v[137:138], v[1:2], v[145:146]
	v_mul_f64 v[145:146], v[3:4], v[145:146]
	s_waitcnt vmcnt(8)
	v_fma_f64 v[129:130], v[129:130], v[197:198], -v[147:148]
	v_fma_f64 v[131:132], v[131:132], v[197:198], v[141:142]
	v_add_f64 v[135:136], v[135:136], v[139:140]
	v_add_f64 v[133:134], v[133:134], v[143:144]
	s_waitcnt vmcnt(7) lgkmcnt(0)
	v_mul_f64 v[141:142], v[7:8], v[167:168]
	v_mul_f64 v[139:140], v[5:6], v[167:168]
	s_waitcnt vmcnt(5)
	v_fma_f64 v[1:2], v[1:2], v[155:156], -v[145:146]
	v_fma_f64 v[3:4], v[3:4], v[155:156], v[137:138]
	v_add_f64 v[129:130], v[135:136], v[129:130]
	v_add_f64 v[131:132], v[133:134], v[131:132]
	s_waitcnt vmcnt(4)
	v_fma_f64 v[5:6], v[5:6], v[185:186], -v[141:142]
	v_fma_f64 v[7:8], v[7:8], v[185:186], v[139:140]
	v_add_f64 v[1:2], v[129:130], v[1:2]
	v_add_f64 v[3:4], v[131:132], v[3:4]
	;; [unrolled: 1-line block ×4, first 2 shown]
	s_waitcnt vmcnt(2)
	v_add_f64 v[1:2], v[159:160], -v[1:2]
	s_waitcnt vmcnt(0)
	v_add_f64 v[3:4], v[171:172], -v[3:4]
	buffer_store_dword v2, off, s[0:3], 0 offset:244
	buffer_store_dword v1, off, s[0:3], 0 offset:240
	;; [unrolled: 1-line block ×4, first 2 shown]
	v_cmpx_lt_u32_e32 13, v0
	s_cbranch_execz .LBB123_347
; %bb.346:
	v_mov_b32_e32 v4, s59
	s_clause 0x3
	buffer_load_dword v1, v4, s[0:3], 0 offen
	buffer_load_dword v2, v4, s[0:3], 0 offen offset:4
	buffer_load_dword v3, v4, s[0:3], 0 offen offset:8
	buffer_load_dword v4, v4, s[0:3], 0 offen offset:12
	buffer_store_dword v190, off, s[0:3], 0 offset:224
	buffer_store_dword v190, off, s[0:3], 0 offset:228
	;; [unrolled: 1-line block ×4, first 2 shown]
	s_waitcnt vmcnt(0)
	ds_write_b128 v189, v[1:4]
.LBB123_347:
	s_or_b32 exec_lo, exec_lo, s4
	s_waitcnt lgkmcnt(0)
	s_waitcnt_vscnt null, 0x0
	s_barrier
	buffer_gl0_inv
	s_clause 0x37
	buffer_load_dword v137, off, s[0:3], 0 offset:248
	buffer_load_dword v138, off, s[0:3], 0 offset:252
	;; [unrolled: 1-line block ×56, first 2 shown]
	ds_read_b128 v[5:8], v190 offset:1184
	s_clause 0x2
	buffer_load_dword v186, off, s[0:3], 0 offset:476
	buffer_load_dword v188, off, s[0:3], 0 offset:452
	buffer_load_dword v187, off, s[0:3], 0 offset:448
	ds_read_b128 v[1:4], v190 offset:1200
	s_clause 0x4
	buffer_load_dword v198, off, s[0:3], 0 offset:492
	buffer_load_dword v199, off, s[0:3], 0 offset:504
	;; [unrolled: 1-line block ×5, first 2 shown]
	ds_read_b128 v[191:194], v190 offset:1216
	s_mov_b32 s4, exec_lo
	s_waitcnt vmcnt(62) lgkmcnt(2)
	v_mul_f64 v[195:196], v[7:8], v[137:138]
	v_mul_f64 v[137:138], v[5:6], v[137:138]
	s_waitcnt vmcnt(60) lgkmcnt(1)
	v_mul_f64 v[202:203], v[3:4], v[133:134]
	v_mul_f64 v[133:134], v[1:2], v[133:134]
	;; [unrolled: 3-line block ×3, first 2 shown]
	v_fma_f64 v[195:196], v[5:6], v[135:136], -v[195:196]
	v_fma_f64 v[135:136], v[7:8], v[135:136], v[137:138]
	s_clause 0x2
	buffer_load_dword v200, off, s[0:3], 0 offset:508
	buffer_load_dword v138, off, s[0:3], 0 offset:484
	;; [unrolled: 1-line block ×3, first 2 shown]
	s_waitcnt vmcnt(57)
	v_fma_f64 v[206:207], v[1:2], v[129:130], -v[202:203]
	ds_read_b128 v[5:8], v190 offset:1232
	v_fma_f64 v[129:130], v[3:4], v[129:130], v[133:134]
	s_waitcnt vmcnt(51)
	v_fma_f64 v[191:192], v[191:192], v[153:154], -v[131:132]
	v_fma_f64 v[153:154], v[193:194], v[153:154], v[204:205]
	v_add_f64 v[195:196], v[195:196], 0
	v_add_f64 v[133:134], v[135:136], 0
	s_clause 0x4
	buffer_load_dword v136, off, s[0:3], 0 offset:524
	buffer_load_dword v203, off, s[0:3], 0 offset:536
	;; [unrolled: 1-line block ×5, first 2 shown]
	s_waitcnt lgkmcnt(0)
	v_mul_f64 v[209:210], v[5:6], v[141:142]
	v_mul_f64 v[141:142], v[7:8], v[141:142]
	ds_read_b128 v[1:4], v190 offset:1248
	s_clause 0x2
	buffer_load_dword v204, off, s[0:3], 0 offset:540
	buffer_load_dword v194, off, s[0:3], 0 offset:516
	;; [unrolled: 1-line block ×3, first 2 shown]
	v_add_f64 v[195:196], v[195:196], v[206:207]
	v_add_f64 v[133:134], v[133:134], v[129:130]
	ds_read_b128 v[129:132], v190 offset:1264
	s_waitcnt vmcnt(58) lgkmcnt(1)
	v_mul_f64 v[205:206], v[1:2], v[145:146]
	v_mul_f64 v[145:146], v[3:4], v[145:146]
	s_waitcnt vmcnt(56)
	v_fma_f64 v[141:142], v[5:6], v[147:148], -v[141:142]
	v_fma_f64 v[147:148], v[7:8], v[147:148], v[209:210]
	s_waitcnt vmcnt(52) lgkmcnt(0)
	v_mul_f64 v[211:212], v[129:130], v[149:150]
	v_add_f64 v[191:192], v[195:196], v[191:192]
	v_add_f64 v[133:134], v[133:134], v[153:154]
	s_clause 0x4
	buffer_load_dword v154, off, s[0:3], 0 offset:556
	buffer_load_dword v195, off, s[0:3], 0 offset:568
	;; [unrolled: 1-line block ×5, first 2 shown]
	v_mul_f64 v[149:150], v[131:132], v[149:150]
	s_waitcnt vmcnt(56)
	v_fma_f64 v[145:146], v[1:2], v[139:140], -v[145:146]
	ds_read_b128 v[5:8], v190 offset:1280
	v_fma_f64 v[139:140], v[3:4], v[139:140], v[205:206]
	v_add_f64 v[141:142], v[191:192], v[141:142]
	v_add_f64 v[133:134], v[133:134], v[147:148]
	s_clause 0x2
	buffer_load_dword v196, off, s[0:3], 0 offset:572
	buffer_load_dword v148, off, s[0:3], 0 offset:548
	;; [unrolled: 1-line block ×3, first 2 shown]
	s_waitcnt vmcnt(58) lgkmcnt(0)
	v_mul_f64 v[191:192], v[5:6], v[155:156]
	v_mul_f64 v[155:156], v[7:8], v[155:156]
	s_waitcnt vmcnt(56)
	v_fma_f64 v[149:150], v[129:130], v[157:158], -v[149:150]
	ds_read_b128 v[1:4], v190 offset:1296
	v_add_f64 v[141:142], v[141:142], v[145:146]
	v_fma_f64 v[145:146], v[131:132], v[157:158], v[211:212]
	v_add_f64 v[133:134], v[133:134], v[139:140]
	s_clause 0x4
	buffer_load_dword v140, off, s[0:3], 0 offset:588
	buffer_load_dword v157, off, s[0:3], 0 offset:600
	;; [unrolled: 1-line block ×5, first 2 shown]
	s_waitcnt vmcnt(57) lgkmcnt(0)
	v_mul_f64 v[206:207], v[1:2], v[159:160]
	v_mul_f64 v[159:160], v[3:4], v[159:160]
	s_waitcnt vmcnt(56)
	v_fma_f64 v[155:156], v[5:6], v[143:144], -v[155:156]
	ds_read_b128 v[129:132], v190 offset:1312
	v_fma_f64 v[143:144], v[7:8], v[143:144], v[191:192]
	v_add_f64 v[141:142], v[141:142], v[149:150]
	v_add_f64 v[133:134], v[133:134], v[145:146]
	s_clause 0x2
	buffer_load_dword v158, off, s[0:3], 0 offset:604
	buffer_load_dword v146, off, s[0:3], 0 offset:580
	;; [unrolled: 1-line block ×3, first 2 shown]
	ds_read_b128 v[5:8], v190 offset:1328
	s_waitcnt vmcnt(58) lgkmcnt(1)
	v_mul_f64 v[149:150], v[129:130], v[163:164]
	v_mul_f64 v[163:164], v[131:132], v[163:164]
	s_waitcnt vmcnt(56)
	v_fma_f64 v[159:160], v[1:2], v[165:166], -v[159:160]
	v_add_f64 v[141:142], v[141:142], v[155:156]
	v_fma_f64 v[155:156], v[3:4], v[165:166], v[206:207]
	v_add_f64 v[133:134], v[133:134], v[143:144]
	s_clause 0x4
	buffer_load_dword v144, off, s[0:3], 0 offset:620
	buffer_load_dword v165, off, s[0:3], 0 offset:632
	;; [unrolled: 1-line block ×5, first 2 shown]
	s_waitcnt vmcnt(57) lgkmcnt(0)
	v_mul_f64 v[212:213], v[5:6], v[167:168]
	v_mul_f64 v[167:168], v[7:8], v[167:168]
	s_waitcnt vmcnt(56)
	v_fma_f64 v[163:164], v[129:130], v[151:152], -v[163:164]
	ds_read_b128 v[1:4], v190 offset:1344
	v_fma_f64 v[149:150], v[131:132], v[151:152], v[149:150]
	s_clause 0x2
	buffer_load_dword v166, off, s[0:3], 0 offset:636
	buffer_load_dword v152, off, s[0:3], 0 offset:612
	;; [unrolled: 1-line block ×3, first 2 shown]
	ds_read_b128 v[129:132], v190 offset:1360
	v_add_f64 v[141:142], v[141:142], v[159:160]
	v_add_f64 v[133:134], v[133:134], v[155:156]
	s_waitcnt vmcnt(58) lgkmcnt(1)
	v_mul_f64 v[159:160], v[3:4], v[171:172]
	s_waitcnt vmcnt(56)
	v_fma_f64 v[167:168], v[5:6], v[173:174], -v[167:168]
	v_mul_f64 v[155:156], v[1:2], v[171:172]
	v_add_f64 v[141:142], v[141:142], v[163:164]
	v_fma_f64 v[163:164], v[7:8], v[173:174], v[212:213]
	v_add_f64 v[133:134], v[133:134], v[149:150]
	s_clause 0x4
	buffer_load_dword v150, off, s[0:3], 0 offset:652
	buffer_load_dword v171, off, s[0:3], 0 offset:664
	;; [unrolled: 1-line block ×5, first 2 shown]
	s_waitcnt vmcnt(57) lgkmcnt(0)
	v_mul_f64 v[212:213], v[129:130], v[175:176]
	v_mul_f64 v[174:175], v[131:132], v[175:176]
	s_waitcnt vmcnt(56)
	v_fma_f64 v[159:160], v[1:2], v[161:162], -v[159:160]
	ds_read_b128 v[5:8], v190 offset:1376
	v_fma_f64 v[155:156], v[3:4], v[161:162], v[155:156]
	s_clause 0x2
	buffer_load_dword v172, off, s[0:3], 0 offset:668
	buffer_load_dword v162, off, s[0:3], 0 offset:644
	;; [unrolled: 1-line block ×3, first 2 shown]
	ds_read_b128 v[1:4], v190 offset:1392
	v_add_f64 v[141:142], v[141:142], v[167:168]
	v_add_f64 v[133:134], v[133:134], v[163:164]
	s_waitcnt vmcnt(58) lgkmcnt(1)
	v_mul_f64 v[167:168], v[7:8], v[179:180]
	s_waitcnt vmcnt(56)
	v_fma_f64 v[175:176], v[129:130], v[181:182], -v[174:175]
	v_mul_f64 v[163:164], v[5:6], v[179:180]
	v_add_f64 v[141:142], v[141:142], v[159:160]
	v_fma_f64 v[159:160], v[131:132], v[181:182], v[212:213]
	v_add_f64 v[133:134], v[133:134], v[155:156]
	s_clause 0x4
	buffer_load_dword v156, off, s[0:3], 0 offset:684
	buffer_load_dword v179, off, s[0:3], 0 offset:696
	;; [unrolled: 1-line block ×5, first 2 shown]
	s_waitcnt vmcnt(57) lgkmcnt(0)
	v_mul_f64 v[212:213], v[1:2], v[183:184]
	v_mul_f64 v[182:183], v[3:4], v[183:184]
	s_waitcnt vmcnt(56)
	v_fma_f64 v[167:168], v[5:6], v[169:170], -v[167:168]
	ds_read_b128 v[129:132], v190 offset:1408
	v_fma_f64 v[163:164], v[7:8], v[169:170], v[163:164]
	v_add_f64 v[141:142], v[141:142], v[175:176]
	v_add_f64 v[133:134], v[133:134], v[159:160]
	s_clause 0x2
	buffer_load_dword v180, off, s[0:3], 0 offset:700
	buffer_load_dword v160, off, s[0:3], 0 offset:676
	;; [unrolled: 1-line block ×3, first 2 shown]
	ds_read_b128 v[5:8], v190 offset:1424
	s_waitcnt vmcnt(58) lgkmcnt(1)
	v_mul_f64 v[175:176], v[131:132], v[185:186]
	s_waitcnt vmcnt(56)
	v_fma_f64 v[183:184], v[1:2], v[187:188], -v[182:183]
	v_mul_f64 v[169:170], v[129:130], v[185:186]
	v_add_f64 v[141:142], v[141:142], v[167:168]
	v_fma_f64 v[167:168], v[3:4], v[187:188], v[212:213]
	v_add_f64 v[133:134], v[133:134], v[163:164]
	s_clause 0x4
	buffer_load_dword v164, off, s[0:3], 0 offset:716
	buffer_load_dword v185, off, s[0:3], 0 offset:728
	;; [unrolled: 1-line block ×5, first 2 shown]
	s_waitcnt vmcnt(57) lgkmcnt(0)
	v_mul_f64 v[212:213], v[5:6], v[197:198]
	v_mul_f64 v[197:198], v[7:8], v[197:198]
	s_waitcnt vmcnt(56)
	v_fma_f64 v[175:176], v[129:130], v[177:178], -v[175:176]
	ds_read_b128 v[1:4], v190 offset:1440
	v_fma_f64 v[169:170], v[131:132], v[177:178], v[169:170]
	v_add_f64 v[141:142], v[141:142], v[183:184]
	v_add_f64 v[133:134], v[133:134], v[167:168]
	s_clause 0x2
	buffer_load_dword v186, off, s[0:3], 0 offset:732
	buffer_load_dword v168, off, s[0:3], 0 offset:708
	;; [unrolled: 1-line block ×3, first 2 shown]
	ds_read_b128 v[129:132], v190 offset:1456
	s_waitcnt vmcnt(58) lgkmcnt(1)
	v_mul_f64 v[183:184], v[3:4], v[199:200]
	v_mul_f64 v[177:178], v[1:2], v[199:200]
	s_waitcnt vmcnt(56)
	v_fma_f64 v[197:198], v[5:6], v[137:138], -v[197:198]
	v_fma_f64 v[137:138], v[7:8], v[137:138], v[212:213]
	v_add_f64 v[141:142], v[141:142], v[175:176]
	v_add_f64 v[133:134], v[133:134], v[169:170]
	s_clause 0x4
	buffer_load_dword v170, off, s[0:3], 0 offset:748
	buffer_load_dword v175, off, s[0:3], 0 offset:760
	;; [unrolled: 1-line block ×5, first 2 shown]
	ds_read_b128 v[5:8], v190 offset:1472
	s_waitcnt vmcnt(57) lgkmcnt(1)
	v_mul_f64 v[212:213], v[129:130], v[135:136]
	v_mul_f64 v[135:136], v[131:132], v[135:136]
	s_waitcnt vmcnt(56)
	v_fma_f64 v[183:184], v[1:2], v[201:202], -v[183:184]
	v_fma_f64 v[177:178], v[3:4], v[201:202], v[177:178]
	v_add_f64 v[141:142], v[141:142], v[197:198]
	v_add_f64 v[133:134], v[133:134], v[137:138]
	s_clause 0x2
	buffer_load_dword v176, off, s[0:3], 0 offset:764
	buffer_load_dword v138, off, s[0:3], 0 offset:740
	;; [unrolled: 1-line block ×3, first 2 shown]
	s_waitcnt vmcnt(58) lgkmcnt(0)
	v_mul_f64 v[201:202], v[7:8], v[203:204]
	ds_read_b128 v[1:4], v190 offset:1488
	v_mul_f64 v[197:198], v[5:6], v[203:204]
	s_waitcnt vmcnt(56)
	v_fma_f64 v[135:136], v[129:130], v[193:194], -v[135:136]
	v_add_f64 v[141:142], v[141:142], v[183:184]
	v_fma_f64 v[183:184], v[131:132], v[193:194], v[212:213]
	v_add_f64 v[133:134], v[133:134], v[177:178]
	s_clause 0x4
	buffer_load_dword v178, off, s[0:3], 0 offset:780
	buffer_load_dword v193, off, s[0:3], 0 offset:792
	;; [unrolled: 1-line block ×5, first 2 shown]
	ds_read_b128 v[129:132], v190 offset:1504
	s_waitcnt vmcnt(57) lgkmcnt(1)
	v_mul_f64 v[212:213], v[1:2], v[153:154]
	v_mul_f64 v[153:154], v[3:4], v[153:154]
	s_waitcnt vmcnt(56)
	v_fma_f64 v[201:202], v[5:6], v[208:209], -v[201:202]
	v_add_f64 v[135:136], v[141:142], v[135:136]
	v_fma_f64 v[141:142], v[7:8], v[208:209], v[197:198]
	v_add_f64 v[133:134], v[133:134], v[183:184]
	s_clause 0x2
	buffer_load_dword v194, off, s[0:3], 0 offset:796
	buffer_load_dword v184, off, s[0:3], 0 offset:772
	;; [unrolled: 1-line block ×3, first 2 shown]
	ds_read_b128 v[5:8], v190 offset:1520
	s_waitcnt vmcnt(58) lgkmcnt(1)
	v_mul_f64 v[197:198], v[129:130], v[195:196]
	v_mul_f64 v[195:196], v[131:132], v[195:196]
	s_waitcnt vmcnt(56)
	v_fma_f64 v[153:154], v[1:2], v[147:148], -v[153:154]
	v_fma_f64 v[147:148], v[3:4], v[147:148], v[212:213]
	v_add_f64 v[135:136], v[135:136], v[201:202]
	v_add_f64 v[133:134], v[133:134], v[141:142]
	s_clause 0x4
	buffer_load_dword v142, off, s[0:3], 0 offset:812
	buffer_load_dword v201, off, s[0:3], 0 offset:824
	;; [unrolled: 1-line block ×5, first 2 shown]
	ds_read_b128 v[1:4], v190 offset:1536
	s_waitcnt vmcnt(57) lgkmcnt(1)
	v_mul_f64 v[208:209], v[5:6], v[139:140]
	v_mul_f64 v[139:140], v[7:8], v[139:140]
	s_waitcnt vmcnt(56)
	v_fma_f64 v[195:196], v[129:130], v[210:211], -v[195:196]
	v_add_f64 v[135:136], v[135:136], v[153:154]
	v_fma_f64 v[153:154], v[131:132], v[210:211], v[197:198]
	v_add_f64 v[133:134], v[133:134], v[147:148]
	s_clause 0x2
	buffer_load_dword v202, off, s[0:3], 0 offset:828
	buffer_load_dword v148, off, s[0:3], 0 offset:804
	;; [unrolled: 1-line block ×3, first 2 shown]
	ds_read_b128 v[129:132], v190 offset:1552
	s_waitcnt vmcnt(58) lgkmcnt(1)
	v_mul_f64 v[197:198], v[1:2], v[157:158]
	v_mul_f64 v[157:158], v[3:4], v[157:158]
	s_waitcnt vmcnt(56)
	v_fma_f64 v[139:140], v[5:6], v[145:146], -v[139:140]
	v_fma_f64 v[145:146], v[7:8], v[145:146], v[208:209]
	v_add_f64 v[135:136], v[135:136], v[195:196]
	v_add_f64 v[133:134], v[133:134], v[153:154]
	s_clause 0x4
	buffer_load_dword v154, off, s[0:3], 0 offset:844
	buffer_load_dword v195, off, s[0:3], 0 offset:856
	;; [unrolled: 1-line block ×5, first 2 shown]
	ds_read_b128 v[5:8], v190 offset:1568
	s_waitcnt vmcnt(57) lgkmcnt(1)
	v_mul_f64 v[210:211], v[129:130], v[143:144]
	v_mul_f64 v[143:144], v[131:132], v[143:144]
	s_waitcnt vmcnt(56)
	v_fma_f64 v[157:158], v[1:2], v[205:206], -v[157:158]
	v_add_f64 v[135:136], v[135:136], v[139:140]
	v_fma_f64 v[139:140], v[3:4], v[205:206], v[197:198]
	v_add_f64 v[133:134], v[133:134], v[145:146]
	s_clause 0x2
	buffer_load_dword v196, off, s[0:3], 0 offset:860
	buffer_load_dword v146, off, s[0:3], 0 offset:836
	;; [unrolled: 1-line block ×3, first 2 shown]
	s_waitcnt vmcnt(58) lgkmcnt(0)
	v_mul_f64 v[197:198], v[5:6], v[165:166]
	v_mul_f64 v[165:166], v[7:8], v[165:166]
	ds_read_b128 v[1:4], v190 offset:1584
	s_waitcnt vmcnt(56)
	v_fma_f64 v[143:144], v[129:130], v[151:152], -v[143:144]
	v_fma_f64 v[151:152], v[131:132], v[151:152], v[210:211]
	v_add_f64 v[135:136], v[135:136], v[157:158]
	v_add_f64 v[133:134], v[133:134], v[139:140]
	s_clause 0x4
	buffer_load_dword v140, off, s[0:3], 0 offset:876
	buffer_load_dword v157, off, s[0:3], 0 offset:888
	;; [unrolled: 1-line block ×5, first 2 shown]
	ds_read_b128 v[129:132], v190 offset:1600
	s_waitcnt vmcnt(57) lgkmcnt(1)
	v_mul_f64 v[211:212], v[1:2], v[149:150]
	v_mul_f64 v[149:150], v[3:4], v[149:150]
	s_waitcnt vmcnt(56)
	v_fma_f64 v[165:166], v[5:6], v[191:192], -v[165:166]
	v_add_f64 v[135:136], v[135:136], v[143:144]
	v_fma_f64 v[143:144], v[7:8], v[191:192], v[197:198]
	v_add_f64 v[133:134], v[133:134], v[151:152]
	s_clause 0x2
	buffer_load_dword v158, off, s[0:3], 0 offset:892
	buffer_load_dword v152, off, s[0:3], 0 offset:868
	;; [unrolled: 1-line block ×3, first 2 shown]
	s_waitcnt vmcnt(58) lgkmcnt(0)
	v_mul_f64 v[191:192], v[129:130], v[171:172]
	v_mul_f64 v[171:172], v[131:132], v[171:172]
	ds_read_b128 v[5:8], v190 offset:1616
	s_waitcnt vmcnt(56)
	v_fma_f64 v[149:150], v[1:2], v[161:162], -v[149:150]
	v_fma_f64 v[161:162], v[3:4], v[161:162], v[211:212]
	v_add_f64 v[135:136], v[135:136], v[165:166]
	v_add_f64 v[133:134], v[133:134], v[143:144]
	s_clause 0x4
	buffer_load_dword v144, off, s[0:3], 0 offset:908
	buffer_load_dword v165, off, s[0:3], 0 offset:920
	buffer_load_dword v197, off, s[0:3], 0 offset:912
	buffer_load_dword v143, off, s[0:3], 0 offset:904
	buffer_load_dword v206, off, s[0:3], 0 offset:884
	ds_read_b128 v[1:4], v190 offset:1632
	s_waitcnt vmcnt(57) lgkmcnt(1)
	v_mul_f64 v[211:212], v[5:6], v[155:156]
	v_mul_f64 v[155:156], v[7:8], v[155:156]
	s_waitcnt vmcnt(56)
	v_fma_f64 v[171:172], v[129:130], v[173:174], -v[171:172]
	v_add_f64 v[135:136], v[135:136], v[149:150]
	v_fma_f64 v[149:150], v[131:132], v[173:174], v[191:192]
	v_add_f64 v[133:134], v[133:134], v[161:162]
	s_clause 0x2
	buffer_load_dword v166, off, s[0:3], 0 offset:924
	buffer_load_dword v162, off, s[0:3], 0 offset:900
	;; [unrolled: 1-line block ×3, first 2 shown]
	ds_read_b128 v[129:132], v190 offset:1648
	s_waitcnt vmcnt(58) lgkmcnt(1)
	v_mul_f64 v[173:174], v[1:2], v[179:180]
	v_mul_f64 v[179:180], v[3:4], v[179:180]
	s_waitcnt vmcnt(56)
	v_fma_f64 v[155:156], v[5:6], v[159:160], -v[155:156]
	v_fma_f64 v[159:160], v[7:8], v[159:160], v[211:212]
	v_add_f64 v[135:136], v[135:136], v[171:172]
	v_add_f64 v[133:134], v[133:134], v[149:150]
	s_clause 0x4
	buffer_load_dword v150, off, s[0:3], 0 offset:940
	buffer_load_dword v171, off, s[0:3], 0 offset:952
	;; [unrolled: 1-line block ×5, first 2 shown]
	ds_read_b128 v[5:8], v190 offset:1664
	s_waitcnt vmcnt(57) lgkmcnt(1)
	v_mul_f64 v[211:212], v[129:130], v[163:164]
	v_mul_f64 v[163:164], v[131:132], v[163:164]
	s_waitcnt vmcnt(56)
	v_fma_f64 v[179:180], v[1:2], v[181:182], -v[179:180]
	v_add_f64 v[135:136], v[135:136], v[155:156]
	v_fma_f64 v[155:156], v[3:4], v[181:182], v[173:174]
	v_add_f64 v[133:134], v[133:134], v[159:160]
	s_clause 0x2
	buffer_load_dword v172, off, s[0:3], 0 offset:956
	buffer_load_dword v160, off, s[0:3], 0 offset:932
	;; [unrolled: 1-line block ×3, first 2 shown]
	ds_read_b128 v[1:4], v190 offset:1680
	s_waitcnt vmcnt(58) lgkmcnt(1)
	v_mul_f64 v[181:182], v[7:8], v[185:186]
	v_mul_f64 v[173:174], v[5:6], v[185:186]
	s_waitcnt vmcnt(56)
	v_fma_f64 v[163:164], v[129:130], v[167:168], -v[163:164]
	v_fma_f64 v[167:168], v[131:132], v[167:168], v[211:212]
	v_add_f64 v[135:136], v[135:136], v[179:180]
	v_add_f64 v[133:134], v[133:134], v[155:156]
	s_clause 0x2
	buffer_load_dword v156, off, s[0:3], 0 offset:972
	buffer_load_dword v155, off, s[0:3], 0 offset:968
	;; [unrolled: 1-line block ×3, first 2 shown]
	ds_read_b128 v[129:132], v190 offset:1696
	s_waitcnt vmcnt(55) lgkmcnt(1)
	v_mul_f64 v[179:180], v[1:2], v[169:170]
	v_mul_f64 v[169:170], v[3:4], v[169:170]
	s_waitcnt vmcnt(54)
	v_fma_f64 v[181:182], v[5:6], v[187:188], -v[181:182]
	v_add_f64 v[135:136], v[135:136], v[163:164]
	v_fma_f64 v[163:164], v[7:8], v[187:188], v[173:174]
	v_add_f64 v[133:134], v[133:134], v[167:168]
	s_clause 0x1
	buffer_load_dword v168, off, s[0:3], 0 offset:964
	buffer_load_dword v167, off, s[0:3], 0 offset:960
	ds_read_b128 v[5:8], v190 offset:1712
	s_waitcnt vmcnt(55) lgkmcnt(1)
	v_mul_f64 v[173:174], v[129:130], v[175:176]
	v_mul_f64 v[175:176], v[131:132], v[175:176]
	s_waitcnt vmcnt(53)
	v_fma_f64 v[169:170], v[1:2], v[137:138], -v[169:170]
	v_fma_f64 v[137:138], v[3:4], v[137:138], v[179:180]
	ds_read_b128 v[1:4], v190 offset:1728
	v_add_f64 v[135:136], v[135:136], v[181:182]
	v_add_f64 v[133:134], v[133:134], v[163:164]
	s_waitcnt vmcnt(49) lgkmcnt(1)
	v_mul_f64 v[163:164], v[5:6], v[177:178]
	v_mul_f64 v[177:178], v[7:8], v[177:178]
	s_waitcnt vmcnt(48)
	v_fma_f64 v[175:176], v[129:130], v[199:200], -v[175:176]
	v_add_f64 v[135:136], v[135:136], v[169:170]
	v_fma_f64 v[169:170], v[131:132], v[199:200], v[173:174]
	v_add_f64 v[133:134], v[133:134], v[137:138]
	s_clause 0x3
	buffer_load_dword v137, off, s[0:3], 0 offset:224
	buffer_load_dword v138, off, s[0:3], 0 offset:228
	;; [unrolled: 1-line block ×4, first 2 shown]
	ds_read_b128 v[129:132], v190 offset:1744
	s_waitcnt vmcnt(51) lgkmcnt(1)
	v_mul_f64 v[181:182], v[3:4], v[193:194]
	v_mul_f64 v[179:180], v[1:2], v[193:194]
	s_waitcnt vmcnt(49)
	v_fma_f64 v[177:178], v[5:6], v[183:184], -v[177:178]
	v_fma_f64 v[163:164], v[7:8], v[183:184], v[163:164]
	ds_read_b128 v[5:8], v190 offset:1760
	v_add_f64 v[135:136], v[135:136], v[175:176]
	v_add_f64 v[133:134], v[133:134], v[169:170]
	s_waitcnt vmcnt(45) lgkmcnt(1)
	v_mul_f64 v[169:170], v[129:130], v[141:142]
	v_mul_f64 v[141:142], v[131:132], v[141:142]
	s_waitcnt vmcnt(44)
	v_fma_f64 v[175:176], v[1:2], v[203:204], -v[181:182]
	v_add_f64 v[135:136], v[135:136], v[177:178]
	v_fma_f64 v[177:178], v[3:4], v[203:204], v[179:180]
	v_add_f64 v[133:134], v[133:134], v[163:164]
	ds_read_b128 v[1:4], v190 offset:1776
	s_waitcnt vmcnt(43) lgkmcnt(1)
	v_mul_f64 v[179:180], v[7:8], v[201:202]
	v_mul_f64 v[163:164], v[5:6], v[201:202]
	s_waitcnt vmcnt(41)
	v_fma_f64 v[141:142], v[129:130], v[147:148], -v[141:142]
	v_fma_f64 v[147:148], v[131:132], v[147:148], v[169:170]
	ds_read_b128 v[129:132], v190 offset:1792
	v_add_f64 v[135:136], v[135:136], v[175:176]
	v_add_f64 v[133:134], v[133:134], v[177:178]
	s_waitcnt vmcnt(37) lgkmcnt(1)
	v_mul_f64 v[169:170], v[1:2], v[153:154]
	v_mul_f64 v[153:154], v[3:4], v[153:154]
	s_waitcnt vmcnt(36)
	v_fma_f64 v[175:176], v[5:6], v[207:208], -v[179:180]
	v_add_f64 v[135:136], v[135:136], v[141:142]
	v_fma_f64 v[141:142], v[7:8], v[207:208], v[163:164]
	v_add_f64 v[133:134], v[133:134], v[147:148]
	ds_read_b128 v[5:8], v190 offset:1808
	s_waitcnt vmcnt(35) lgkmcnt(1)
	v_mul_f64 v[163:164], v[131:132], v[195:196]
	v_mul_f64 v[147:148], v[129:130], v[195:196]
	s_waitcnt vmcnt(33)
	v_fma_f64 v[153:154], v[1:2], v[145:146], -v[153:154]
	v_fma_f64 v[145:146], v[3:4], v[145:146], v[169:170]
	ds_read_b128 v[1:4], v190 offset:1824
	v_add_f64 v[135:136], v[135:136], v[175:176]
	v_add_f64 v[133:134], v[133:134], v[141:142]
	s_waitcnt vmcnt(29) lgkmcnt(1)
	v_mul_f64 v[141:142], v[5:6], v[139:140]
	v_mul_f64 v[139:140], v[7:8], v[139:140]
	s_waitcnt vmcnt(28)
	v_fma_f64 v[163:164], v[129:130], v[209:210], -v[163:164]
	v_fma_f64 v[147:148], v[131:132], v[209:210], v[147:148]
	ds_read_b128 v[129:132], v190 offset:1840
	v_add_f64 v[135:136], v[135:136], v[153:154]
	v_add_f64 v[133:134], v[133:134], v[145:146]
	s_waitcnt vmcnt(27) lgkmcnt(1)
	v_mul_f64 v[153:154], v[3:4], v[157:158]
	v_mul_f64 v[145:146], v[1:2], v[157:158]
	s_waitcnt vmcnt(25)
	v_fma_f64 v[139:140], v[5:6], v[151:152], -v[139:140]
	v_fma_f64 v[141:142], v[7:8], v[151:152], v[141:142]
	ds_read_b128 v[5:8], v190 offset:1856
	v_add_f64 v[135:136], v[135:136], v[163:164]
	v_add_f64 v[133:134], v[133:134], v[147:148]
	s_waitcnt vmcnt(21) lgkmcnt(1)
	v_mul_f64 v[147:148], v[129:130], v[143:144]
	v_mul_f64 v[143:144], v[131:132], v[143:144]
	s_waitcnt vmcnt(20)
	v_fma_f64 v[151:152], v[1:2], v[205:206], -v[153:154]
	v_add_f64 v[135:136], v[135:136], v[139:140]
	v_fma_f64 v[139:140], v[3:4], v[205:206], v[145:146]
	v_add_f64 v[133:134], v[133:134], v[141:142]
	ds_read_b128 v[1:4], v190 offset:1872
	s_waitcnt vmcnt(19) lgkmcnt(1)
	v_mul_f64 v[145:146], v[7:8], v[165:166]
	v_mul_f64 v[141:142], v[5:6], v[165:166]
	s_waitcnt vmcnt(17)
	v_fma_f64 v[143:144], v[129:130], v[161:162], -v[143:144]
	v_fma_f64 v[147:148], v[131:132], v[161:162], v[147:148]
	ds_read_b128 v[129:132], v190 offset:1888
	v_add_f64 v[135:136], v[135:136], v[151:152]
	v_add_f64 v[133:134], v[133:134], v[139:140]
	s_waitcnt vmcnt(13) lgkmcnt(1)
	v_mul_f64 v[139:140], v[1:2], v[149:150]
	v_mul_f64 v[149:150], v[3:4], v[149:150]
	s_waitcnt vmcnt(12)
	v_fma_f64 v[145:146], v[5:6], v[197:198], -v[145:146]
	v_fma_f64 v[141:142], v[7:8], v[197:198], v[141:142]
	ds_read_b128 v[5:8], v190 offset:1904
	v_add_f64 v[135:136], v[135:136], v[143:144]
	v_add_f64 v[133:134], v[133:134], v[147:148]
	s_waitcnt vmcnt(11) lgkmcnt(1)
	v_mul_f64 v[147:148], v[131:132], v[171:172]
	v_mul_f64 v[143:144], v[129:130], v[171:172]
	s_waitcnt vmcnt(9)
	v_fma_f64 v[1:2], v[1:2], v[159:160], -v[149:150]
	v_fma_f64 v[3:4], v[3:4], v[159:160], v[139:140]
	v_add_f64 v[135:136], v[135:136], v[145:146]
	v_add_f64 v[133:134], v[133:134], v[141:142]
	s_waitcnt vmcnt(7) lgkmcnt(0)
	v_mul_f64 v[141:142], v[7:8], v[155:156]
	s_waitcnt vmcnt(6)
	v_fma_f64 v[129:130], v[129:130], v[191:192], -v[147:148]
	v_mul_f64 v[139:140], v[5:6], v[155:156]
	v_fma_f64 v[131:132], v[131:132], v[191:192], v[143:144]
	v_add_f64 v[1:2], v[135:136], v[1:2]
	v_add_f64 v[3:4], v[133:134], v[3:4]
	s_waitcnt vmcnt(4)
	v_fma_f64 v[5:6], v[5:6], v[167:168], -v[141:142]
	v_fma_f64 v[7:8], v[7:8], v[167:168], v[139:140]
	v_add_f64 v[1:2], v[1:2], v[129:130]
	v_add_f64 v[3:4], v[3:4], v[131:132]
	;; [unrolled: 1-line block ×4, first 2 shown]
	s_waitcnt vmcnt(2)
	v_add_f64 v[1:2], v[137:138], -v[1:2]
	s_waitcnt vmcnt(0)
	v_add_f64 v[3:4], v[173:174], -v[3:4]
	buffer_store_dword v2, off, s[0:3], 0 offset:228
	buffer_store_dword v1, off, s[0:3], 0 offset:224
	;; [unrolled: 1-line block ×4, first 2 shown]
	v_cmpx_lt_u32_e32 12, v0
	s_cbranch_execz .LBB123_349
; %bb.348:
	v_mov_b32_e32 v4, s60
	v_mov_b32_e32 v5, 0
	s_clause 0x3
	buffer_load_dword v1, v4, s[0:3], 0 offen
	buffer_load_dword v2, v4, s[0:3], 0 offen offset:4
	buffer_load_dword v3, v4, s[0:3], 0 offen offset:8
	;; [unrolled: 1-line block ×3, first 2 shown]
	buffer_store_dword v5, off, s[0:3], 0 offset:208
	buffer_store_dword v5, off, s[0:3], 0 offset:212
	;; [unrolled: 1-line block ×4, first 2 shown]
	s_waitcnt vmcnt(0)
	ds_write_b128 v189, v[1:4]
.LBB123_349:
	s_or_b32 exec_lo, exec_lo, s4
	s_waitcnt lgkmcnt(0)
	s_waitcnt_vscnt null, 0x0
	s_barrier
	buffer_gl0_inv
	s_clause 0x37
	buffer_load_dword v137, off, s[0:3], 0 offset:232
	buffer_load_dword v138, off, s[0:3], 0 offset:236
	;; [unrolled: 1-line block ×56, first 2 shown]
	v_mov_b32_e32 v190, 0
	s_mov_b32 s4, exec_lo
	ds_read_b128 v[5:8], v190 offset:1168
	s_clause 0x2
	buffer_load_dword v186, off, s[0:3], 0 offset:460
	buffer_load_dword v188, off, s[0:3], 0 offset:436
	buffer_load_dword v187, off, s[0:3], 0 offset:432
	ds_read_b128 v[1:4], v190 offset:1184
	s_clause 0x4
	buffer_load_dword v198, off, s[0:3], 0 offset:476
	buffer_load_dword v199, off, s[0:3], 0 offset:488
	buffer_load_dword v201, off, s[0:3], 0 offset:480
	buffer_load_dword v197, off, s[0:3], 0 offset:472
	buffer_load_dword v178, off, s[0:3], 0 offset:452
	ds_read_b128 v[191:194], v190 offset:1200
	s_waitcnt vmcnt(62) lgkmcnt(2)
	v_mul_f64 v[195:196], v[7:8], v[137:138]
	v_mul_f64 v[137:138], v[5:6], v[137:138]
	s_waitcnt vmcnt(60) lgkmcnt(1)
	v_mul_f64 v[202:203], v[3:4], v[133:134]
	v_mul_f64 v[133:134], v[1:2], v[133:134]
	;; [unrolled: 3-line block ×3, first 2 shown]
	v_fma_f64 v[195:196], v[5:6], v[135:136], -v[195:196]
	v_fma_f64 v[135:136], v[7:8], v[135:136], v[137:138]
	s_clause 0x2
	buffer_load_dword v200, off, s[0:3], 0 offset:492
	buffer_load_dword v138, off, s[0:3], 0 offset:468
	;; [unrolled: 1-line block ×3, first 2 shown]
	s_waitcnt vmcnt(57)
	v_fma_f64 v[206:207], v[1:2], v[129:130], -v[202:203]
	ds_read_b128 v[5:8], v190 offset:1216
	v_fma_f64 v[129:130], v[3:4], v[129:130], v[133:134]
	s_waitcnt vmcnt(51)
	v_fma_f64 v[191:192], v[191:192], v[153:154], -v[131:132]
	v_fma_f64 v[153:154], v[193:194], v[153:154], v[204:205]
	v_add_f64 v[195:196], v[195:196], 0
	v_add_f64 v[133:134], v[135:136], 0
	s_clause 0x4
	buffer_load_dword v136, off, s[0:3], 0 offset:508
	buffer_load_dword v203, off, s[0:3], 0 offset:520
	buffer_load_dword v208, off, s[0:3], 0 offset:512
	buffer_load_dword v135, off, s[0:3], 0 offset:504
	buffer_load_dword v202, off, s[0:3], 0 offset:484
	s_waitcnt lgkmcnt(0)
	v_mul_f64 v[209:210], v[5:6], v[141:142]
	v_mul_f64 v[141:142], v[7:8], v[141:142]
	ds_read_b128 v[1:4], v190 offset:1232
	s_clause 0x2
	buffer_load_dword v204, off, s[0:3], 0 offset:524
	buffer_load_dword v194, off, s[0:3], 0 offset:500
	;; [unrolled: 1-line block ×3, first 2 shown]
	v_add_f64 v[195:196], v[195:196], v[206:207]
	v_add_f64 v[133:134], v[133:134], v[129:130]
	ds_read_b128 v[129:132], v190 offset:1248
	s_waitcnt vmcnt(58) lgkmcnt(1)
	v_mul_f64 v[205:206], v[1:2], v[145:146]
	v_mul_f64 v[145:146], v[3:4], v[145:146]
	s_waitcnt vmcnt(56)
	v_fma_f64 v[141:142], v[5:6], v[147:148], -v[141:142]
	v_fma_f64 v[147:148], v[7:8], v[147:148], v[209:210]
	s_waitcnt vmcnt(52) lgkmcnt(0)
	v_mul_f64 v[211:212], v[129:130], v[149:150]
	v_add_f64 v[191:192], v[195:196], v[191:192]
	v_add_f64 v[133:134], v[133:134], v[153:154]
	s_clause 0x4
	buffer_load_dword v154, off, s[0:3], 0 offset:540
	buffer_load_dword v195, off, s[0:3], 0 offset:552
	;; [unrolled: 1-line block ×5, first 2 shown]
	v_mul_f64 v[149:150], v[131:132], v[149:150]
	s_waitcnt vmcnt(56)
	v_fma_f64 v[145:146], v[1:2], v[139:140], -v[145:146]
	ds_read_b128 v[5:8], v190 offset:1264
	v_fma_f64 v[139:140], v[3:4], v[139:140], v[205:206]
	v_add_f64 v[141:142], v[191:192], v[141:142]
	v_add_f64 v[133:134], v[133:134], v[147:148]
	s_clause 0x2
	buffer_load_dword v196, off, s[0:3], 0 offset:556
	buffer_load_dword v148, off, s[0:3], 0 offset:532
	;; [unrolled: 1-line block ×3, first 2 shown]
	s_waitcnt vmcnt(58) lgkmcnt(0)
	v_mul_f64 v[191:192], v[5:6], v[155:156]
	v_mul_f64 v[155:156], v[7:8], v[155:156]
	s_waitcnt vmcnt(56)
	v_fma_f64 v[149:150], v[129:130], v[157:158], -v[149:150]
	ds_read_b128 v[1:4], v190 offset:1280
	v_add_f64 v[141:142], v[141:142], v[145:146]
	v_fma_f64 v[145:146], v[131:132], v[157:158], v[211:212]
	v_add_f64 v[133:134], v[133:134], v[139:140]
	s_clause 0x4
	buffer_load_dword v140, off, s[0:3], 0 offset:572
	buffer_load_dword v157, off, s[0:3], 0 offset:584
	;; [unrolled: 1-line block ×5, first 2 shown]
	s_waitcnt vmcnt(57) lgkmcnt(0)
	v_mul_f64 v[206:207], v[1:2], v[159:160]
	v_mul_f64 v[159:160], v[3:4], v[159:160]
	s_waitcnt vmcnt(56)
	v_fma_f64 v[155:156], v[5:6], v[143:144], -v[155:156]
	ds_read_b128 v[129:132], v190 offset:1296
	v_fma_f64 v[143:144], v[7:8], v[143:144], v[191:192]
	v_add_f64 v[141:142], v[141:142], v[149:150]
	v_add_f64 v[133:134], v[133:134], v[145:146]
	s_clause 0x2
	buffer_load_dword v158, off, s[0:3], 0 offset:588
	buffer_load_dword v146, off, s[0:3], 0 offset:564
	;; [unrolled: 1-line block ×3, first 2 shown]
	ds_read_b128 v[5:8], v190 offset:1312
	s_waitcnt vmcnt(58) lgkmcnt(1)
	v_mul_f64 v[149:150], v[129:130], v[163:164]
	v_mul_f64 v[163:164], v[131:132], v[163:164]
	s_waitcnt vmcnt(56)
	v_fma_f64 v[159:160], v[1:2], v[165:166], -v[159:160]
	v_add_f64 v[141:142], v[141:142], v[155:156]
	v_fma_f64 v[155:156], v[3:4], v[165:166], v[206:207]
	v_add_f64 v[133:134], v[133:134], v[143:144]
	s_clause 0x4
	buffer_load_dword v144, off, s[0:3], 0 offset:604
	buffer_load_dword v165, off, s[0:3], 0 offset:616
	buffer_load_dword v191, off, s[0:3], 0 offset:608
	buffer_load_dword v143, off, s[0:3], 0 offset:600
	buffer_load_dword v206, off, s[0:3], 0 offset:580
	s_waitcnt vmcnt(57) lgkmcnt(0)
	v_mul_f64 v[212:213], v[5:6], v[167:168]
	v_mul_f64 v[167:168], v[7:8], v[167:168]
	s_waitcnt vmcnt(56)
	v_fma_f64 v[163:164], v[129:130], v[151:152], -v[163:164]
	ds_read_b128 v[1:4], v190 offset:1328
	v_fma_f64 v[149:150], v[131:132], v[151:152], v[149:150]
	s_clause 0x2
	buffer_load_dword v166, off, s[0:3], 0 offset:620
	buffer_load_dword v152, off, s[0:3], 0 offset:596
	;; [unrolled: 1-line block ×3, first 2 shown]
	ds_read_b128 v[129:132], v190 offset:1344
	v_add_f64 v[141:142], v[141:142], v[159:160]
	v_add_f64 v[133:134], v[133:134], v[155:156]
	s_waitcnt vmcnt(58) lgkmcnt(1)
	v_mul_f64 v[159:160], v[3:4], v[171:172]
	s_waitcnt vmcnt(56)
	v_fma_f64 v[167:168], v[5:6], v[173:174], -v[167:168]
	v_mul_f64 v[155:156], v[1:2], v[171:172]
	v_add_f64 v[141:142], v[141:142], v[163:164]
	v_fma_f64 v[163:164], v[7:8], v[173:174], v[212:213]
	v_add_f64 v[133:134], v[133:134], v[149:150]
	s_clause 0x4
	buffer_load_dword v150, off, s[0:3], 0 offset:636
	buffer_load_dword v171, off, s[0:3], 0 offset:648
	;; [unrolled: 1-line block ×5, first 2 shown]
	s_waitcnt vmcnt(57) lgkmcnt(0)
	v_mul_f64 v[212:213], v[129:130], v[175:176]
	v_mul_f64 v[174:175], v[131:132], v[175:176]
	s_waitcnt vmcnt(56)
	v_fma_f64 v[159:160], v[1:2], v[161:162], -v[159:160]
	ds_read_b128 v[5:8], v190 offset:1360
	v_fma_f64 v[155:156], v[3:4], v[161:162], v[155:156]
	s_clause 0x2
	buffer_load_dword v172, off, s[0:3], 0 offset:652
	buffer_load_dword v162, off, s[0:3], 0 offset:628
	;; [unrolled: 1-line block ×3, first 2 shown]
	ds_read_b128 v[1:4], v190 offset:1376
	v_add_f64 v[141:142], v[141:142], v[167:168]
	v_add_f64 v[133:134], v[133:134], v[163:164]
	s_waitcnt vmcnt(58) lgkmcnt(1)
	v_mul_f64 v[167:168], v[7:8], v[179:180]
	s_waitcnt vmcnt(56)
	v_fma_f64 v[175:176], v[129:130], v[181:182], -v[174:175]
	v_mul_f64 v[163:164], v[5:6], v[179:180]
	v_add_f64 v[141:142], v[141:142], v[159:160]
	v_fma_f64 v[159:160], v[131:132], v[181:182], v[212:213]
	v_add_f64 v[133:134], v[133:134], v[155:156]
	s_clause 0x4
	buffer_load_dword v156, off, s[0:3], 0 offset:668
	buffer_load_dword v179, off, s[0:3], 0 offset:680
	;; [unrolled: 1-line block ×5, first 2 shown]
	s_waitcnt vmcnt(57) lgkmcnt(0)
	v_mul_f64 v[212:213], v[1:2], v[183:184]
	v_mul_f64 v[182:183], v[3:4], v[183:184]
	s_waitcnt vmcnt(56)
	v_fma_f64 v[167:168], v[5:6], v[169:170], -v[167:168]
	ds_read_b128 v[129:132], v190 offset:1392
	v_fma_f64 v[163:164], v[7:8], v[169:170], v[163:164]
	v_add_f64 v[141:142], v[141:142], v[175:176]
	v_add_f64 v[133:134], v[133:134], v[159:160]
	s_clause 0x2
	buffer_load_dword v180, off, s[0:3], 0 offset:684
	buffer_load_dword v160, off, s[0:3], 0 offset:660
	;; [unrolled: 1-line block ×3, first 2 shown]
	ds_read_b128 v[5:8], v190 offset:1408
	s_waitcnt vmcnt(58) lgkmcnt(1)
	v_mul_f64 v[175:176], v[131:132], v[185:186]
	s_waitcnt vmcnt(56)
	v_fma_f64 v[183:184], v[1:2], v[187:188], -v[182:183]
	v_mul_f64 v[169:170], v[129:130], v[185:186]
	v_add_f64 v[141:142], v[141:142], v[167:168]
	v_fma_f64 v[167:168], v[3:4], v[187:188], v[212:213]
	v_add_f64 v[133:134], v[133:134], v[163:164]
	s_clause 0x4
	buffer_load_dword v164, off, s[0:3], 0 offset:700
	buffer_load_dword v185, off, s[0:3], 0 offset:712
	;; [unrolled: 1-line block ×5, first 2 shown]
	s_waitcnt vmcnt(57) lgkmcnt(0)
	v_mul_f64 v[212:213], v[5:6], v[197:198]
	v_mul_f64 v[197:198], v[7:8], v[197:198]
	s_waitcnt vmcnt(56)
	v_fma_f64 v[175:176], v[129:130], v[177:178], -v[175:176]
	ds_read_b128 v[1:4], v190 offset:1424
	v_fma_f64 v[169:170], v[131:132], v[177:178], v[169:170]
	v_add_f64 v[141:142], v[141:142], v[183:184]
	v_add_f64 v[133:134], v[133:134], v[167:168]
	s_clause 0x2
	buffer_load_dword v186, off, s[0:3], 0 offset:716
	buffer_load_dword v168, off, s[0:3], 0 offset:692
	;; [unrolled: 1-line block ×3, first 2 shown]
	ds_read_b128 v[129:132], v190 offset:1440
	s_waitcnt vmcnt(58) lgkmcnt(1)
	v_mul_f64 v[183:184], v[3:4], v[199:200]
	v_mul_f64 v[177:178], v[1:2], v[199:200]
	s_waitcnt vmcnt(56)
	v_fma_f64 v[197:198], v[5:6], v[137:138], -v[197:198]
	v_fma_f64 v[137:138], v[7:8], v[137:138], v[212:213]
	v_add_f64 v[141:142], v[141:142], v[175:176]
	v_add_f64 v[133:134], v[133:134], v[169:170]
	s_clause 0x4
	buffer_load_dword v170, off, s[0:3], 0 offset:732
	buffer_load_dword v175, off, s[0:3], 0 offset:744
	;; [unrolled: 1-line block ×5, first 2 shown]
	ds_read_b128 v[5:8], v190 offset:1456
	s_waitcnt vmcnt(57) lgkmcnt(1)
	v_mul_f64 v[212:213], v[129:130], v[135:136]
	v_mul_f64 v[135:136], v[131:132], v[135:136]
	s_waitcnt vmcnt(56)
	v_fma_f64 v[183:184], v[1:2], v[201:202], -v[183:184]
	v_fma_f64 v[177:178], v[3:4], v[201:202], v[177:178]
	v_add_f64 v[141:142], v[141:142], v[197:198]
	v_add_f64 v[133:134], v[133:134], v[137:138]
	s_clause 0x2
	buffer_load_dword v176, off, s[0:3], 0 offset:748
	buffer_load_dword v138, off, s[0:3], 0 offset:724
	;; [unrolled: 1-line block ×3, first 2 shown]
	s_waitcnt vmcnt(58) lgkmcnt(0)
	v_mul_f64 v[201:202], v[7:8], v[203:204]
	ds_read_b128 v[1:4], v190 offset:1472
	v_mul_f64 v[197:198], v[5:6], v[203:204]
	s_waitcnt vmcnt(56)
	v_fma_f64 v[135:136], v[129:130], v[193:194], -v[135:136]
	v_add_f64 v[141:142], v[141:142], v[183:184]
	v_fma_f64 v[183:184], v[131:132], v[193:194], v[212:213]
	v_add_f64 v[133:134], v[133:134], v[177:178]
	s_clause 0x4
	buffer_load_dword v178, off, s[0:3], 0 offset:764
	buffer_load_dword v193, off, s[0:3], 0 offset:776
	;; [unrolled: 1-line block ×5, first 2 shown]
	ds_read_b128 v[129:132], v190 offset:1488
	s_waitcnt vmcnt(57) lgkmcnt(1)
	v_mul_f64 v[212:213], v[1:2], v[153:154]
	v_mul_f64 v[153:154], v[3:4], v[153:154]
	s_waitcnt vmcnt(56)
	v_fma_f64 v[201:202], v[5:6], v[208:209], -v[201:202]
	v_add_f64 v[135:136], v[141:142], v[135:136]
	v_fma_f64 v[141:142], v[7:8], v[208:209], v[197:198]
	v_add_f64 v[133:134], v[133:134], v[183:184]
	s_clause 0x2
	buffer_load_dword v194, off, s[0:3], 0 offset:780
	buffer_load_dword v184, off, s[0:3], 0 offset:756
	;; [unrolled: 1-line block ×3, first 2 shown]
	ds_read_b128 v[5:8], v190 offset:1504
	s_waitcnt vmcnt(58) lgkmcnt(1)
	v_mul_f64 v[197:198], v[129:130], v[195:196]
	v_mul_f64 v[195:196], v[131:132], v[195:196]
	s_waitcnt vmcnt(56)
	v_fma_f64 v[153:154], v[1:2], v[147:148], -v[153:154]
	v_fma_f64 v[147:148], v[3:4], v[147:148], v[212:213]
	v_add_f64 v[135:136], v[135:136], v[201:202]
	v_add_f64 v[133:134], v[133:134], v[141:142]
	s_clause 0x4
	buffer_load_dword v142, off, s[0:3], 0 offset:796
	buffer_load_dword v201, off, s[0:3], 0 offset:808
	;; [unrolled: 1-line block ×5, first 2 shown]
	ds_read_b128 v[1:4], v190 offset:1520
	s_waitcnt vmcnt(57) lgkmcnt(1)
	v_mul_f64 v[208:209], v[5:6], v[139:140]
	v_mul_f64 v[139:140], v[7:8], v[139:140]
	s_waitcnt vmcnt(56)
	v_fma_f64 v[195:196], v[129:130], v[210:211], -v[195:196]
	v_add_f64 v[135:136], v[135:136], v[153:154]
	v_fma_f64 v[153:154], v[131:132], v[210:211], v[197:198]
	v_add_f64 v[133:134], v[133:134], v[147:148]
	s_clause 0x2
	buffer_load_dword v202, off, s[0:3], 0 offset:812
	buffer_load_dword v148, off, s[0:3], 0 offset:788
	;; [unrolled: 1-line block ×3, first 2 shown]
	ds_read_b128 v[129:132], v190 offset:1536
	s_waitcnt vmcnt(58) lgkmcnt(1)
	v_mul_f64 v[197:198], v[1:2], v[157:158]
	v_mul_f64 v[157:158], v[3:4], v[157:158]
	s_waitcnt vmcnt(56)
	v_fma_f64 v[139:140], v[5:6], v[145:146], -v[139:140]
	v_fma_f64 v[145:146], v[7:8], v[145:146], v[208:209]
	v_add_f64 v[135:136], v[135:136], v[195:196]
	v_add_f64 v[133:134], v[133:134], v[153:154]
	s_clause 0x4
	buffer_load_dword v154, off, s[0:3], 0 offset:828
	buffer_load_dword v195, off, s[0:3], 0 offset:840
	;; [unrolled: 1-line block ×5, first 2 shown]
	ds_read_b128 v[5:8], v190 offset:1552
	s_waitcnt vmcnt(57) lgkmcnt(1)
	v_mul_f64 v[210:211], v[129:130], v[143:144]
	v_mul_f64 v[143:144], v[131:132], v[143:144]
	s_waitcnt vmcnt(56)
	v_fma_f64 v[157:158], v[1:2], v[205:206], -v[157:158]
	v_add_f64 v[135:136], v[135:136], v[139:140]
	v_fma_f64 v[139:140], v[3:4], v[205:206], v[197:198]
	v_add_f64 v[133:134], v[133:134], v[145:146]
	s_clause 0x2
	buffer_load_dword v196, off, s[0:3], 0 offset:844
	buffer_load_dword v146, off, s[0:3], 0 offset:820
	;; [unrolled: 1-line block ×3, first 2 shown]
	s_waitcnt vmcnt(58) lgkmcnt(0)
	v_mul_f64 v[197:198], v[5:6], v[165:166]
	v_mul_f64 v[165:166], v[7:8], v[165:166]
	ds_read_b128 v[1:4], v190 offset:1568
	s_waitcnt vmcnt(56)
	v_fma_f64 v[143:144], v[129:130], v[151:152], -v[143:144]
	v_fma_f64 v[151:152], v[131:132], v[151:152], v[210:211]
	v_add_f64 v[135:136], v[135:136], v[157:158]
	v_add_f64 v[133:134], v[133:134], v[139:140]
	s_clause 0x4
	buffer_load_dword v140, off, s[0:3], 0 offset:860
	buffer_load_dword v157, off, s[0:3], 0 offset:872
	;; [unrolled: 1-line block ×5, first 2 shown]
	ds_read_b128 v[129:132], v190 offset:1584
	s_waitcnt vmcnt(57) lgkmcnt(1)
	v_mul_f64 v[211:212], v[1:2], v[149:150]
	v_mul_f64 v[149:150], v[3:4], v[149:150]
	s_waitcnt vmcnt(56)
	v_fma_f64 v[165:166], v[5:6], v[191:192], -v[165:166]
	v_add_f64 v[135:136], v[135:136], v[143:144]
	v_fma_f64 v[143:144], v[7:8], v[191:192], v[197:198]
	v_add_f64 v[133:134], v[133:134], v[151:152]
	s_clause 0x2
	buffer_load_dword v158, off, s[0:3], 0 offset:876
	buffer_load_dword v152, off, s[0:3], 0 offset:852
	;; [unrolled: 1-line block ×3, first 2 shown]
	s_waitcnt vmcnt(58) lgkmcnt(0)
	v_mul_f64 v[191:192], v[129:130], v[171:172]
	v_mul_f64 v[171:172], v[131:132], v[171:172]
	ds_read_b128 v[5:8], v190 offset:1600
	s_waitcnt vmcnt(56)
	v_fma_f64 v[149:150], v[1:2], v[161:162], -v[149:150]
	v_fma_f64 v[161:162], v[3:4], v[161:162], v[211:212]
	v_add_f64 v[135:136], v[135:136], v[165:166]
	v_add_f64 v[133:134], v[133:134], v[143:144]
	s_clause 0x4
	buffer_load_dword v144, off, s[0:3], 0 offset:892
	buffer_load_dword v165, off, s[0:3], 0 offset:904
	;; [unrolled: 1-line block ×5, first 2 shown]
	ds_read_b128 v[1:4], v190 offset:1616
	s_waitcnt vmcnt(57) lgkmcnt(1)
	v_mul_f64 v[211:212], v[5:6], v[155:156]
	v_mul_f64 v[155:156], v[7:8], v[155:156]
	s_waitcnt vmcnt(56)
	v_fma_f64 v[171:172], v[129:130], v[173:174], -v[171:172]
	v_add_f64 v[135:136], v[135:136], v[149:150]
	v_fma_f64 v[149:150], v[131:132], v[173:174], v[191:192]
	v_add_f64 v[133:134], v[133:134], v[161:162]
	s_clause 0x2
	buffer_load_dword v166, off, s[0:3], 0 offset:908
	buffer_load_dword v162, off, s[0:3], 0 offset:884
	;; [unrolled: 1-line block ×3, first 2 shown]
	ds_read_b128 v[129:132], v190 offset:1632
	s_waitcnt vmcnt(58) lgkmcnt(1)
	v_mul_f64 v[173:174], v[1:2], v[179:180]
	v_mul_f64 v[179:180], v[3:4], v[179:180]
	s_waitcnt vmcnt(56)
	v_fma_f64 v[155:156], v[5:6], v[159:160], -v[155:156]
	v_fma_f64 v[159:160], v[7:8], v[159:160], v[211:212]
	v_add_f64 v[135:136], v[135:136], v[171:172]
	v_add_f64 v[133:134], v[133:134], v[149:150]
	s_clause 0x4
	buffer_load_dword v150, off, s[0:3], 0 offset:924
	buffer_load_dword v171, off, s[0:3], 0 offset:936
	;; [unrolled: 1-line block ×5, first 2 shown]
	ds_read_b128 v[5:8], v190 offset:1648
	s_waitcnt vmcnt(57) lgkmcnt(1)
	v_mul_f64 v[211:212], v[129:130], v[163:164]
	v_mul_f64 v[163:164], v[131:132], v[163:164]
	s_waitcnt vmcnt(56)
	v_fma_f64 v[179:180], v[1:2], v[181:182], -v[179:180]
	v_add_f64 v[135:136], v[135:136], v[155:156]
	v_fma_f64 v[155:156], v[3:4], v[181:182], v[173:174]
	v_add_f64 v[133:134], v[133:134], v[159:160]
	s_clause 0x2
	buffer_load_dword v172, off, s[0:3], 0 offset:940
	buffer_load_dword v160, off, s[0:3], 0 offset:916
	;; [unrolled: 1-line block ×3, first 2 shown]
	ds_read_b128 v[1:4], v190 offset:1664
	s_waitcnt vmcnt(58) lgkmcnt(1)
	v_mul_f64 v[181:182], v[7:8], v[185:186]
	v_mul_f64 v[173:174], v[5:6], v[185:186]
	s_waitcnt vmcnt(56)
	v_fma_f64 v[163:164], v[129:130], v[167:168], -v[163:164]
	v_fma_f64 v[167:168], v[131:132], v[167:168], v[211:212]
	v_add_f64 v[135:136], v[135:136], v[179:180]
	v_add_f64 v[133:134], v[133:134], v[155:156]
	s_clause 0x4
	buffer_load_dword v156, off, s[0:3], 0 offset:956
	buffer_load_dword v179, off, s[0:3], 0 offset:968
	;; [unrolled: 1-line block ×5, first 2 shown]
	ds_read_b128 v[129:132], v190 offset:1680
	s_waitcnt vmcnt(57) lgkmcnt(1)
	v_mul_f64 v[211:212], v[1:2], v[169:170]
	v_mul_f64 v[169:170], v[3:4], v[169:170]
	s_waitcnt vmcnt(56)
	v_fma_f64 v[181:182], v[5:6], v[187:188], -v[181:182]
	v_add_f64 v[135:136], v[135:136], v[163:164]
	v_fma_f64 v[163:164], v[7:8], v[187:188], v[173:174]
	v_add_f64 v[133:134], v[133:134], v[167:168]
	s_clause 0x2
	buffer_load_dword v180, off, s[0:3], 0 offset:972
	buffer_load_dword v168, off, s[0:3], 0 offset:948
	buffer_load_dword v167, off, s[0:3], 0 offset:944
	ds_read_b128 v[5:8], v190 offset:1696
	buffer_load_dword v186, off, s[0:3], 0 offset:964
	s_waitcnt vmcnt(59) lgkmcnt(1)
	v_mul_f64 v[173:174], v[129:130], v[175:176]
	v_mul_f64 v[175:176], v[131:132], v[175:176]
	s_waitcnt vmcnt(57)
	v_fma_f64 v[169:170], v[1:2], v[137:138], -v[169:170]
	v_fma_f64 v[137:138], v[3:4], v[137:138], v[211:212]
	ds_read_b128 v[1:4], v190 offset:1712
	v_add_f64 v[135:136], v[135:136], v[181:182]
	v_add_f64 v[133:134], v[133:134], v[163:164]
	s_waitcnt vmcnt(53) lgkmcnt(1)
	v_mul_f64 v[163:164], v[5:6], v[177:178]
	v_mul_f64 v[177:178], v[7:8], v[177:178]
	s_waitcnt vmcnt(52)
	v_fma_f64 v[175:176], v[129:130], v[199:200], -v[175:176]
	v_add_f64 v[135:136], v[135:136], v[169:170]
	v_fma_f64 v[169:170], v[131:132], v[199:200], v[173:174]
	v_add_f64 v[133:134], v[133:134], v[137:138]
	ds_read_b128 v[129:132], v190 offset:1728
	s_waitcnt vmcnt(51) lgkmcnt(1)
	v_mul_f64 v[173:174], v[3:4], v[193:194]
	v_mul_f64 v[137:138], v[1:2], v[193:194]
	s_waitcnt vmcnt(49)
	v_fma_f64 v[177:178], v[5:6], v[183:184], -v[177:178]
	v_fma_f64 v[163:164], v[7:8], v[183:184], v[163:164]
	v_add_f64 v[135:136], v[135:136], v[175:176]
	v_add_f64 v[133:134], v[133:134], v[169:170]
	s_clause 0x3
	buffer_load_dword v169, off, s[0:3], 0 offset:208
	buffer_load_dword v170, off, s[0:3], 0 offset:212
	;; [unrolled: 1-line block ×4, first 2 shown]
	ds_read_b128 v[5:8], v190 offset:1744
	s_waitcnt vmcnt(49) lgkmcnt(1)
	v_mul_f64 v[181:182], v[129:130], v[141:142]
	v_mul_f64 v[141:142], v[131:132], v[141:142]
	s_waitcnt vmcnt(48)
	v_fma_f64 v[173:174], v[1:2], v[203:204], -v[173:174]
	v_fma_f64 v[137:138], v[3:4], v[203:204], v[137:138]
	ds_read_b128 v[1:4], v190 offset:1760
	v_add_f64 v[135:136], v[135:136], v[177:178]
	v_add_f64 v[133:134], v[133:134], v[163:164]
	s_waitcnt vmcnt(47) lgkmcnt(1)
	v_mul_f64 v[177:178], v[7:8], v[201:202]
	v_mul_f64 v[163:164], v[5:6], v[201:202]
	s_waitcnt vmcnt(45)
	v_fma_f64 v[141:142], v[129:130], v[147:148], -v[141:142]
	v_fma_f64 v[147:148], v[131:132], v[147:148], v[181:182]
	ds_read_b128 v[129:132], v190 offset:1776
	v_add_f64 v[135:136], v[135:136], v[173:174]
	v_add_f64 v[133:134], v[133:134], v[137:138]
	s_waitcnt vmcnt(41) lgkmcnt(1)
	v_mul_f64 v[137:138], v[1:2], v[153:154]
	v_mul_f64 v[153:154], v[3:4], v[153:154]
	s_waitcnt vmcnt(40)
	v_fma_f64 v[173:174], v[5:6], v[207:208], -v[177:178]
	v_add_f64 v[135:136], v[135:136], v[141:142]
	v_fma_f64 v[141:142], v[7:8], v[207:208], v[163:164]
	v_add_f64 v[133:134], v[133:134], v[147:148]
	ds_read_b128 v[5:8], v190 offset:1792
	s_waitcnt vmcnt(39) lgkmcnt(1)
	v_mul_f64 v[163:164], v[131:132], v[195:196]
	v_mul_f64 v[147:148], v[129:130], v[195:196]
	s_waitcnt vmcnt(37)
	v_fma_f64 v[153:154], v[1:2], v[145:146], -v[153:154]
	v_fma_f64 v[137:138], v[3:4], v[145:146], v[137:138]
	ds_read_b128 v[1:4], v190 offset:1808
	v_add_f64 v[135:136], v[135:136], v[173:174]
	v_add_f64 v[133:134], v[133:134], v[141:142]
	s_waitcnt vmcnt(33) lgkmcnt(1)
	v_mul_f64 v[141:142], v[5:6], v[139:140]
	v_mul_f64 v[139:140], v[7:8], v[139:140]
	s_waitcnt vmcnt(32)
	v_fma_f64 v[145:146], v[129:130], v[209:210], -v[163:164]
	v_fma_f64 v[147:148], v[131:132], v[209:210], v[147:148]
	ds_read_b128 v[129:132], v190 offset:1824
	v_add_f64 v[135:136], v[135:136], v[153:154]
	v_add_f64 v[133:134], v[133:134], v[137:138]
	;; [unrolled: 9-line block ×5, first 2 shown]
	s_waitcnt vmcnt(17) lgkmcnt(1)
	v_mul_f64 v[147:148], v[3:4], v[149:150]
	s_waitcnt vmcnt(16)
	v_fma_f64 v[141:142], v[5:6], v[197:198], -v[141:142]
	v_mul_f64 v[137:138], v[1:2], v[149:150]
	v_fma_f64 v[139:140], v[7:8], v[197:198], v[139:140]
	ds_read_b128 v[5:8], v190 offset:1888
	v_add_f64 v[135:136], v[135:136], v[143:144]
	v_add_f64 v[133:134], v[133:134], v[145:146]
	s_waitcnt vmcnt(15) lgkmcnt(1)
	v_mul_f64 v[145:146], v[131:132], v[171:172]
	v_mul_f64 v[143:144], v[129:130], v[171:172]
	s_waitcnt vmcnt(13)
	v_fma_f64 v[147:148], v[1:2], v[159:160], -v[147:148]
	v_fma_f64 v[137:138], v[3:4], v[159:160], v[137:138]
	ds_read_b128 v[1:4], v190 offset:1904
	v_add_f64 v[135:136], v[135:136], v[141:142]
	v_add_f64 v[133:134], v[133:134], v[139:140]
	s_waitcnt vmcnt(9) lgkmcnt(1)
	v_mul_f64 v[141:142], v[7:8], v[155:156]
	s_waitcnt vmcnt(8)
	v_fma_f64 v[129:130], v[129:130], v[191:192], -v[145:146]
	v_mul_f64 v[139:140], v[5:6], v[155:156]
	v_fma_f64 v[131:132], v[131:132], v[191:192], v[143:144]
	v_add_f64 v[135:136], v[135:136], v[147:148]
	v_add_f64 v[133:134], v[133:134], v[137:138]
	s_waitcnt vmcnt(7) lgkmcnt(0)
	v_mul_f64 v[143:144], v[3:4], v[179:180]
	v_mul_f64 v[137:138], v[1:2], v[179:180]
	s_waitcnt vmcnt(5)
	v_fma_f64 v[5:6], v[5:6], v[167:168], -v[141:142]
	v_fma_f64 v[7:8], v[7:8], v[167:168], v[139:140]
	v_add_f64 v[129:130], v[135:136], v[129:130]
	v_add_f64 v[131:132], v[133:134], v[131:132]
	s_waitcnt vmcnt(4)
	v_fma_f64 v[1:2], v[1:2], v[185:186], -v[143:144]
	v_fma_f64 v[3:4], v[3:4], v[185:186], v[137:138]
	v_add_f64 v[5:6], v[129:130], v[5:6]
	v_add_f64 v[7:8], v[131:132], v[7:8]
	;; [unrolled: 1-line block ×4, first 2 shown]
	s_waitcnt vmcnt(2)
	v_add_f64 v[1:2], v[169:170], -v[1:2]
	s_waitcnt vmcnt(0)
	v_add_f64 v[3:4], v[175:176], -v[3:4]
	buffer_store_dword v2, off, s[0:3], 0 offset:212
	buffer_store_dword v1, off, s[0:3], 0 offset:208
	buffer_store_dword v4, off, s[0:3], 0 offset:220
	buffer_store_dword v3, off, s[0:3], 0 offset:216
	v_cmpx_lt_u32_e32 11, v0
	s_cbranch_execz .LBB123_351
; %bb.350:
	v_mov_b32_e32 v4, s61
	s_clause 0x3
	buffer_load_dword v1, v4, s[0:3], 0 offen
	buffer_load_dword v2, v4, s[0:3], 0 offen offset:4
	buffer_load_dword v3, v4, s[0:3], 0 offen offset:8
	;; [unrolled: 1-line block ×3, first 2 shown]
	buffer_store_dword v190, off, s[0:3], 0 offset:192
	buffer_store_dword v190, off, s[0:3], 0 offset:196
	;; [unrolled: 1-line block ×4, first 2 shown]
	s_waitcnt vmcnt(0)
	ds_write_b128 v189, v[1:4]
.LBB123_351:
	s_or_b32 exec_lo, exec_lo, s4
	s_waitcnt lgkmcnt(0)
	s_waitcnt_vscnt null, 0x0
	s_barrier
	buffer_gl0_inv
	s_clause 0x37
	buffer_load_dword v137, off, s[0:3], 0 offset:216
	buffer_load_dword v138, off, s[0:3], 0 offset:220
	;; [unrolled: 1-line block ×56, first 2 shown]
	ds_read_b128 v[5:8], v190 offset:1152
	s_clause 0x2
	buffer_load_dword v186, off, s[0:3], 0 offset:444
	buffer_load_dword v188, off, s[0:3], 0 offset:420
	;; [unrolled: 1-line block ×3, first 2 shown]
	ds_read_b128 v[1:4], v190 offset:1168
	s_clause 0x4
	buffer_load_dword v198, off, s[0:3], 0 offset:460
	buffer_load_dword v199, off, s[0:3], 0 offset:472
	;; [unrolled: 1-line block ×5, first 2 shown]
	ds_read_b128 v[191:194], v190 offset:1184
	s_mov_b32 s4, exec_lo
	s_waitcnt vmcnt(62) lgkmcnt(2)
	v_mul_f64 v[195:196], v[7:8], v[137:138]
	v_mul_f64 v[137:138], v[5:6], v[137:138]
	s_waitcnt vmcnt(60) lgkmcnt(1)
	v_mul_f64 v[202:203], v[3:4], v[133:134]
	v_mul_f64 v[133:134], v[1:2], v[133:134]
	;; [unrolled: 3-line block ×3, first 2 shown]
	v_fma_f64 v[195:196], v[5:6], v[135:136], -v[195:196]
	v_fma_f64 v[135:136], v[7:8], v[135:136], v[137:138]
	s_clause 0x2
	buffer_load_dword v200, off, s[0:3], 0 offset:476
	buffer_load_dword v138, off, s[0:3], 0 offset:452
	;; [unrolled: 1-line block ×3, first 2 shown]
	s_waitcnt vmcnt(57)
	v_fma_f64 v[206:207], v[1:2], v[129:130], -v[202:203]
	ds_read_b128 v[5:8], v190 offset:1200
	v_fma_f64 v[129:130], v[3:4], v[129:130], v[133:134]
	s_waitcnt vmcnt(51)
	v_fma_f64 v[191:192], v[191:192], v[153:154], -v[131:132]
	v_fma_f64 v[153:154], v[193:194], v[153:154], v[204:205]
	v_add_f64 v[195:196], v[195:196], 0
	v_add_f64 v[133:134], v[135:136], 0
	s_clause 0x4
	buffer_load_dword v136, off, s[0:3], 0 offset:492
	buffer_load_dword v203, off, s[0:3], 0 offset:504
	;; [unrolled: 1-line block ×5, first 2 shown]
	s_waitcnt lgkmcnt(0)
	v_mul_f64 v[209:210], v[5:6], v[141:142]
	v_mul_f64 v[141:142], v[7:8], v[141:142]
	ds_read_b128 v[1:4], v190 offset:1216
	s_clause 0x2
	buffer_load_dword v204, off, s[0:3], 0 offset:508
	buffer_load_dword v194, off, s[0:3], 0 offset:484
	;; [unrolled: 1-line block ×3, first 2 shown]
	v_add_f64 v[195:196], v[195:196], v[206:207]
	v_add_f64 v[133:134], v[133:134], v[129:130]
	ds_read_b128 v[129:132], v190 offset:1232
	s_waitcnt vmcnt(58) lgkmcnt(1)
	v_mul_f64 v[205:206], v[1:2], v[145:146]
	v_mul_f64 v[145:146], v[3:4], v[145:146]
	s_waitcnt vmcnt(56)
	v_fma_f64 v[141:142], v[5:6], v[147:148], -v[141:142]
	v_fma_f64 v[147:148], v[7:8], v[147:148], v[209:210]
	s_waitcnt vmcnt(52) lgkmcnt(0)
	v_mul_f64 v[211:212], v[129:130], v[149:150]
	v_add_f64 v[191:192], v[195:196], v[191:192]
	v_add_f64 v[133:134], v[133:134], v[153:154]
	s_clause 0x4
	buffer_load_dword v154, off, s[0:3], 0 offset:524
	buffer_load_dword v195, off, s[0:3], 0 offset:536
	;; [unrolled: 1-line block ×5, first 2 shown]
	v_mul_f64 v[149:150], v[131:132], v[149:150]
	s_waitcnt vmcnt(56)
	v_fma_f64 v[145:146], v[1:2], v[139:140], -v[145:146]
	ds_read_b128 v[5:8], v190 offset:1248
	v_fma_f64 v[139:140], v[3:4], v[139:140], v[205:206]
	v_add_f64 v[141:142], v[191:192], v[141:142]
	v_add_f64 v[133:134], v[133:134], v[147:148]
	s_clause 0x2
	buffer_load_dword v196, off, s[0:3], 0 offset:540
	buffer_load_dword v148, off, s[0:3], 0 offset:516
	;; [unrolled: 1-line block ×3, first 2 shown]
	s_waitcnt vmcnt(58) lgkmcnt(0)
	v_mul_f64 v[191:192], v[5:6], v[155:156]
	v_mul_f64 v[155:156], v[7:8], v[155:156]
	s_waitcnt vmcnt(56)
	v_fma_f64 v[149:150], v[129:130], v[157:158], -v[149:150]
	ds_read_b128 v[1:4], v190 offset:1264
	v_add_f64 v[141:142], v[141:142], v[145:146]
	v_fma_f64 v[145:146], v[131:132], v[157:158], v[211:212]
	v_add_f64 v[133:134], v[133:134], v[139:140]
	s_clause 0x4
	buffer_load_dword v140, off, s[0:3], 0 offset:556
	buffer_load_dword v157, off, s[0:3], 0 offset:568
	;; [unrolled: 1-line block ×5, first 2 shown]
	s_waitcnt vmcnt(57) lgkmcnt(0)
	v_mul_f64 v[206:207], v[1:2], v[159:160]
	v_mul_f64 v[159:160], v[3:4], v[159:160]
	s_waitcnt vmcnt(56)
	v_fma_f64 v[155:156], v[5:6], v[143:144], -v[155:156]
	ds_read_b128 v[129:132], v190 offset:1280
	v_fma_f64 v[143:144], v[7:8], v[143:144], v[191:192]
	v_add_f64 v[141:142], v[141:142], v[149:150]
	v_add_f64 v[133:134], v[133:134], v[145:146]
	s_clause 0x2
	buffer_load_dword v158, off, s[0:3], 0 offset:572
	buffer_load_dword v146, off, s[0:3], 0 offset:548
	;; [unrolled: 1-line block ×3, first 2 shown]
	ds_read_b128 v[5:8], v190 offset:1296
	s_waitcnt vmcnt(58) lgkmcnt(1)
	v_mul_f64 v[149:150], v[129:130], v[163:164]
	v_mul_f64 v[163:164], v[131:132], v[163:164]
	s_waitcnt vmcnt(56)
	v_fma_f64 v[159:160], v[1:2], v[165:166], -v[159:160]
	v_add_f64 v[141:142], v[141:142], v[155:156]
	v_fma_f64 v[155:156], v[3:4], v[165:166], v[206:207]
	v_add_f64 v[133:134], v[133:134], v[143:144]
	s_clause 0x4
	buffer_load_dword v144, off, s[0:3], 0 offset:588
	buffer_load_dword v165, off, s[0:3], 0 offset:600
	;; [unrolled: 1-line block ×5, first 2 shown]
	s_waitcnt vmcnt(57) lgkmcnt(0)
	v_mul_f64 v[212:213], v[5:6], v[167:168]
	v_mul_f64 v[167:168], v[7:8], v[167:168]
	s_waitcnt vmcnt(56)
	v_fma_f64 v[163:164], v[129:130], v[151:152], -v[163:164]
	ds_read_b128 v[1:4], v190 offset:1312
	v_fma_f64 v[149:150], v[131:132], v[151:152], v[149:150]
	s_clause 0x2
	buffer_load_dword v166, off, s[0:3], 0 offset:604
	buffer_load_dword v152, off, s[0:3], 0 offset:580
	;; [unrolled: 1-line block ×3, first 2 shown]
	ds_read_b128 v[129:132], v190 offset:1328
	v_add_f64 v[141:142], v[141:142], v[159:160]
	v_add_f64 v[133:134], v[133:134], v[155:156]
	s_waitcnt vmcnt(58) lgkmcnt(1)
	v_mul_f64 v[159:160], v[3:4], v[171:172]
	s_waitcnt vmcnt(56)
	v_fma_f64 v[167:168], v[5:6], v[173:174], -v[167:168]
	v_mul_f64 v[155:156], v[1:2], v[171:172]
	v_add_f64 v[141:142], v[141:142], v[163:164]
	v_fma_f64 v[163:164], v[7:8], v[173:174], v[212:213]
	v_add_f64 v[133:134], v[133:134], v[149:150]
	s_clause 0x4
	buffer_load_dword v150, off, s[0:3], 0 offset:620
	buffer_load_dword v171, off, s[0:3], 0 offset:632
	;; [unrolled: 1-line block ×5, first 2 shown]
	s_waitcnt vmcnt(57) lgkmcnt(0)
	v_mul_f64 v[212:213], v[129:130], v[175:176]
	v_mul_f64 v[174:175], v[131:132], v[175:176]
	s_waitcnt vmcnt(56)
	v_fma_f64 v[159:160], v[1:2], v[161:162], -v[159:160]
	ds_read_b128 v[5:8], v190 offset:1344
	v_fma_f64 v[155:156], v[3:4], v[161:162], v[155:156]
	s_clause 0x2
	buffer_load_dword v172, off, s[0:3], 0 offset:636
	buffer_load_dword v162, off, s[0:3], 0 offset:612
	;; [unrolled: 1-line block ×3, first 2 shown]
	ds_read_b128 v[1:4], v190 offset:1360
	v_add_f64 v[141:142], v[141:142], v[167:168]
	v_add_f64 v[133:134], v[133:134], v[163:164]
	s_waitcnt vmcnt(58) lgkmcnt(1)
	v_mul_f64 v[167:168], v[7:8], v[179:180]
	s_waitcnt vmcnt(56)
	v_fma_f64 v[175:176], v[129:130], v[181:182], -v[174:175]
	v_mul_f64 v[163:164], v[5:6], v[179:180]
	v_add_f64 v[141:142], v[141:142], v[159:160]
	v_fma_f64 v[159:160], v[131:132], v[181:182], v[212:213]
	v_add_f64 v[133:134], v[133:134], v[155:156]
	s_clause 0x4
	buffer_load_dword v156, off, s[0:3], 0 offset:652
	buffer_load_dword v179, off, s[0:3], 0 offset:664
	;; [unrolled: 1-line block ×5, first 2 shown]
	s_waitcnt vmcnt(57) lgkmcnt(0)
	v_mul_f64 v[212:213], v[1:2], v[183:184]
	v_mul_f64 v[182:183], v[3:4], v[183:184]
	s_waitcnt vmcnt(56)
	v_fma_f64 v[167:168], v[5:6], v[169:170], -v[167:168]
	ds_read_b128 v[129:132], v190 offset:1376
	v_fma_f64 v[163:164], v[7:8], v[169:170], v[163:164]
	v_add_f64 v[141:142], v[141:142], v[175:176]
	v_add_f64 v[133:134], v[133:134], v[159:160]
	s_clause 0x2
	buffer_load_dword v180, off, s[0:3], 0 offset:668
	buffer_load_dword v160, off, s[0:3], 0 offset:644
	;; [unrolled: 1-line block ×3, first 2 shown]
	ds_read_b128 v[5:8], v190 offset:1392
	s_waitcnt vmcnt(58) lgkmcnt(1)
	v_mul_f64 v[175:176], v[131:132], v[185:186]
	s_waitcnt vmcnt(56)
	v_fma_f64 v[183:184], v[1:2], v[187:188], -v[182:183]
	v_mul_f64 v[169:170], v[129:130], v[185:186]
	v_add_f64 v[141:142], v[141:142], v[167:168]
	v_fma_f64 v[167:168], v[3:4], v[187:188], v[212:213]
	v_add_f64 v[133:134], v[133:134], v[163:164]
	s_clause 0x4
	buffer_load_dword v164, off, s[0:3], 0 offset:684
	buffer_load_dword v185, off, s[0:3], 0 offset:696
	;; [unrolled: 1-line block ×5, first 2 shown]
	s_waitcnt vmcnt(57) lgkmcnt(0)
	v_mul_f64 v[212:213], v[5:6], v[197:198]
	v_mul_f64 v[197:198], v[7:8], v[197:198]
	s_waitcnt vmcnt(56)
	v_fma_f64 v[175:176], v[129:130], v[177:178], -v[175:176]
	ds_read_b128 v[1:4], v190 offset:1408
	v_fma_f64 v[169:170], v[131:132], v[177:178], v[169:170]
	v_add_f64 v[141:142], v[141:142], v[183:184]
	v_add_f64 v[133:134], v[133:134], v[167:168]
	s_clause 0x2
	buffer_load_dword v186, off, s[0:3], 0 offset:700
	buffer_load_dword v168, off, s[0:3], 0 offset:676
	;; [unrolled: 1-line block ×3, first 2 shown]
	ds_read_b128 v[129:132], v190 offset:1424
	s_waitcnt vmcnt(58) lgkmcnt(1)
	v_mul_f64 v[183:184], v[3:4], v[199:200]
	v_mul_f64 v[177:178], v[1:2], v[199:200]
	s_waitcnt vmcnt(56)
	v_fma_f64 v[197:198], v[5:6], v[137:138], -v[197:198]
	v_fma_f64 v[137:138], v[7:8], v[137:138], v[212:213]
	v_add_f64 v[141:142], v[141:142], v[175:176]
	v_add_f64 v[133:134], v[133:134], v[169:170]
	s_clause 0x4
	buffer_load_dword v170, off, s[0:3], 0 offset:716
	buffer_load_dword v175, off, s[0:3], 0 offset:728
	;; [unrolled: 1-line block ×5, first 2 shown]
	ds_read_b128 v[5:8], v190 offset:1440
	s_waitcnt vmcnt(57) lgkmcnt(1)
	v_mul_f64 v[212:213], v[129:130], v[135:136]
	v_mul_f64 v[135:136], v[131:132], v[135:136]
	s_waitcnt vmcnt(56)
	v_fma_f64 v[183:184], v[1:2], v[201:202], -v[183:184]
	v_fma_f64 v[177:178], v[3:4], v[201:202], v[177:178]
	v_add_f64 v[141:142], v[141:142], v[197:198]
	v_add_f64 v[133:134], v[133:134], v[137:138]
	s_clause 0x2
	buffer_load_dword v176, off, s[0:3], 0 offset:732
	buffer_load_dword v138, off, s[0:3], 0 offset:708
	;; [unrolled: 1-line block ×3, first 2 shown]
	s_waitcnt vmcnt(58) lgkmcnt(0)
	v_mul_f64 v[201:202], v[7:8], v[203:204]
	ds_read_b128 v[1:4], v190 offset:1456
	v_mul_f64 v[197:198], v[5:6], v[203:204]
	s_waitcnt vmcnt(56)
	v_fma_f64 v[135:136], v[129:130], v[193:194], -v[135:136]
	v_add_f64 v[141:142], v[141:142], v[183:184]
	v_fma_f64 v[183:184], v[131:132], v[193:194], v[212:213]
	v_add_f64 v[133:134], v[133:134], v[177:178]
	s_clause 0x4
	buffer_load_dword v178, off, s[0:3], 0 offset:748
	buffer_load_dword v193, off, s[0:3], 0 offset:760
	buffer_load_dword v203, off, s[0:3], 0 offset:752
	buffer_load_dword v177, off, s[0:3], 0 offset:744
	buffer_load_dword v200, off, s[0:3], 0 offset:724
	ds_read_b128 v[129:132], v190 offset:1472
	s_waitcnt vmcnt(57) lgkmcnt(1)
	v_mul_f64 v[212:213], v[1:2], v[153:154]
	v_mul_f64 v[153:154], v[3:4], v[153:154]
	s_waitcnt vmcnt(56)
	v_fma_f64 v[201:202], v[5:6], v[208:209], -v[201:202]
	v_add_f64 v[135:136], v[141:142], v[135:136]
	v_fma_f64 v[141:142], v[7:8], v[208:209], v[197:198]
	v_add_f64 v[133:134], v[133:134], v[183:184]
	s_clause 0x2
	buffer_load_dword v194, off, s[0:3], 0 offset:764
	buffer_load_dword v184, off, s[0:3], 0 offset:740
	;; [unrolled: 1-line block ×3, first 2 shown]
	ds_read_b128 v[5:8], v190 offset:1488
	s_waitcnt vmcnt(58) lgkmcnt(1)
	v_mul_f64 v[197:198], v[129:130], v[195:196]
	v_mul_f64 v[195:196], v[131:132], v[195:196]
	s_waitcnt vmcnt(56)
	v_fma_f64 v[153:154], v[1:2], v[147:148], -v[153:154]
	v_fma_f64 v[147:148], v[3:4], v[147:148], v[212:213]
	v_add_f64 v[135:136], v[135:136], v[201:202]
	v_add_f64 v[133:134], v[133:134], v[141:142]
	s_clause 0x4
	buffer_load_dword v142, off, s[0:3], 0 offset:780
	buffer_load_dword v201, off, s[0:3], 0 offset:792
	;; [unrolled: 1-line block ×5, first 2 shown]
	ds_read_b128 v[1:4], v190 offset:1504
	s_waitcnt vmcnt(57) lgkmcnt(1)
	v_mul_f64 v[208:209], v[5:6], v[139:140]
	v_mul_f64 v[139:140], v[7:8], v[139:140]
	s_waitcnt vmcnt(56)
	v_fma_f64 v[195:196], v[129:130], v[210:211], -v[195:196]
	v_add_f64 v[135:136], v[135:136], v[153:154]
	v_fma_f64 v[153:154], v[131:132], v[210:211], v[197:198]
	v_add_f64 v[133:134], v[133:134], v[147:148]
	s_clause 0x2
	buffer_load_dword v202, off, s[0:3], 0 offset:796
	buffer_load_dword v148, off, s[0:3], 0 offset:772
	buffer_load_dword v147, off, s[0:3], 0 offset:768
	ds_read_b128 v[129:132], v190 offset:1520
	s_waitcnt vmcnt(58) lgkmcnt(1)
	v_mul_f64 v[197:198], v[1:2], v[157:158]
	v_mul_f64 v[157:158], v[3:4], v[157:158]
	s_waitcnt vmcnt(56)
	v_fma_f64 v[139:140], v[5:6], v[145:146], -v[139:140]
	v_fma_f64 v[145:146], v[7:8], v[145:146], v[208:209]
	v_add_f64 v[135:136], v[135:136], v[195:196]
	v_add_f64 v[133:134], v[133:134], v[153:154]
	s_clause 0x4
	buffer_load_dword v154, off, s[0:3], 0 offset:812
	buffer_load_dword v195, off, s[0:3], 0 offset:824
	;; [unrolled: 1-line block ×5, first 2 shown]
	ds_read_b128 v[5:8], v190 offset:1536
	s_waitcnt vmcnt(57) lgkmcnt(1)
	v_mul_f64 v[210:211], v[129:130], v[143:144]
	v_mul_f64 v[143:144], v[131:132], v[143:144]
	s_waitcnt vmcnt(56)
	v_fma_f64 v[157:158], v[1:2], v[205:206], -v[157:158]
	v_add_f64 v[135:136], v[135:136], v[139:140]
	v_fma_f64 v[139:140], v[3:4], v[205:206], v[197:198]
	v_add_f64 v[133:134], v[133:134], v[145:146]
	s_clause 0x2
	buffer_load_dword v196, off, s[0:3], 0 offset:828
	buffer_load_dword v146, off, s[0:3], 0 offset:804
	;; [unrolled: 1-line block ×3, first 2 shown]
	s_waitcnt vmcnt(58) lgkmcnt(0)
	v_mul_f64 v[197:198], v[5:6], v[165:166]
	v_mul_f64 v[165:166], v[7:8], v[165:166]
	ds_read_b128 v[1:4], v190 offset:1552
	s_waitcnt vmcnt(56)
	v_fma_f64 v[143:144], v[129:130], v[151:152], -v[143:144]
	v_fma_f64 v[151:152], v[131:132], v[151:152], v[210:211]
	v_add_f64 v[135:136], v[135:136], v[157:158]
	v_add_f64 v[133:134], v[133:134], v[139:140]
	s_clause 0x4
	buffer_load_dword v140, off, s[0:3], 0 offset:844
	buffer_load_dword v157, off, s[0:3], 0 offset:856
	;; [unrolled: 1-line block ×5, first 2 shown]
	ds_read_b128 v[129:132], v190 offset:1568
	s_waitcnt vmcnt(57) lgkmcnt(1)
	v_mul_f64 v[211:212], v[1:2], v[149:150]
	v_mul_f64 v[149:150], v[3:4], v[149:150]
	s_waitcnt vmcnt(56)
	v_fma_f64 v[165:166], v[5:6], v[191:192], -v[165:166]
	v_add_f64 v[135:136], v[135:136], v[143:144]
	v_fma_f64 v[143:144], v[7:8], v[191:192], v[197:198]
	v_add_f64 v[133:134], v[133:134], v[151:152]
	s_clause 0x2
	buffer_load_dword v158, off, s[0:3], 0 offset:860
	buffer_load_dword v152, off, s[0:3], 0 offset:836
	;; [unrolled: 1-line block ×3, first 2 shown]
	s_waitcnt vmcnt(58) lgkmcnt(0)
	v_mul_f64 v[191:192], v[129:130], v[171:172]
	v_mul_f64 v[171:172], v[131:132], v[171:172]
	ds_read_b128 v[5:8], v190 offset:1584
	s_waitcnt vmcnt(56)
	v_fma_f64 v[149:150], v[1:2], v[161:162], -v[149:150]
	v_fma_f64 v[161:162], v[3:4], v[161:162], v[211:212]
	v_add_f64 v[135:136], v[135:136], v[165:166]
	v_add_f64 v[133:134], v[133:134], v[143:144]
	s_clause 0x4
	buffer_load_dword v144, off, s[0:3], 0 offset:876
	buffer_load_dword v165, off, s[0:3], 0 offset:888
	buffer_load_dword v197, off, s[0:3], 0 offset:880
	buffer_load_dword v143, off, s[0:3], 0 offset:872
	buffer_load_dword v206, off, s[0:3], 0 offset:852
	ds_read_b128 v[1:4], v190 offset:1600
	s_waitcnt vmcnt(57) lgkmcnt(1)
	v_mul_f64 v[211:212], v[5:6], v[155:156]
	v_mul_f64 v[155:156], v[7:8], v[155:156]
	s_waitcnt vmcnt(56)
	v_fma_f64 v[171:172], v[129:130], v[173:174], -v[171:172]
	v_add_f64 v[135:136], v[135:136], v[149:150]
	v_fma_f64 v[149:150], v[131:132], v[173:174], v[191:192]
	v_add_f64 v[133:134], v[133:134], v[161:162]
	s_clause 0x2
	buffer_load_dword v166, off, s[0:3], 0 offset:892
	buffer_load_dword v162, off, s[0:3], 0 offset:868
	buffer_load_dword v161, off, s[0:3], 0 offset:864
	ds_read_b128 v[129:132], v190 offset:1616
	s_waitcnt vmcnt(58) lgkmcnt(1)
	v_mul_f64 v[173:174], v[1:2], v[179:180]
	v_mul_f64 v[179:180], v[3:4], v[179:180]
	s_waitcnt vmcnt(56)
	v_fma_f64 v[155:156], v[5:6], v[159:160], -v[155:156]
	v_fma_f64 v[159:160], v[7:8], v[159:160], v[211:212]
	v_add_f64 v[135:136], v[135:136], v[171:172]
	v_add_f64 v[133:134], v[133:134], v[149:150]
	s_clause 0x4
	buffer_load_dword v150, off, s[0:3], 0 offset:908
	buffer_load_dword v171, off, s[0:3], 0 offset:920
	buffer_load_dword v191, off, s[0:3], 0 offset:912
	buffer_load_dword v149, off, s[0:3], 0 offset:904
	buffer_load_dword v198, off, s[0:3], 0 offset:884
	ds_read_b128 v[5:8], v190 offset:1632
	s_waitcnt vmcnt(57) lgkmcnt(1)
	v_mul_f64 v[211:212], v[129:130], v[163:164]
	v_mul_f64 v[163:164], v[131:132], v[163:164]
	s_waitcnt vmcnt(56)
	v_fma_f64 v[179:180], v[1:2], v[181:182], -v[179:180]
	v_add_f64 v[135:136], v[135:136], v[155:156]
	v_fma_f64 v[155:156], v[3:4], v[181:182], v[173:174]
	v_add_f64 v[133:134], v[133:134], v[159:160]
	s_clause 0x2
	buffer_load_dword v172, off, s[0:3], 0 offset:924
	buffer_load_dword v160, off, s[0:3], 0 offset:900
	buffer_load_dword v159, off, s[0:3], 0 offset:896
	ds_read_b128 v[1:4], v190 offset:1648
	s_waitcnt vmcnt(58) lgkmcnt(1)
	v_mul_f64 v[181:182], v[7:8], v[185:186]
	v_mul_f64 v[173:174], v[5:6], v[185:186]
	;; [unrolled: 28-line block ×3, first 2 shown]
	s_waitcnt vmcnt(56)
	v_fma_f64 v[169:170], v[1:2], v[137:138], -v[169:170]
	v_fma_f64 v[137:138], v[3:4], v[137:138], v[211:212]
	v_add_f64 v[135:136], v[135:136], v[181:182]
	v_add_f64 v[133:134], v[133:134], v[163:164]
	s_clause 0x2
	buffer_load_dword v164, off, s[0:3], 0 offset:972
	buffer_load_dword v163, off, s[0:3], 0 offset:968
	;; [unrolled: 1-line block ×3, first 2 shown]
	ds_read_b128 v[1:4], v190 offset:1696
	s_waitcnt vmcnt(55) lgkmcnt(1)
	v_mul_f64 v[181:182], v[5:6], v[177:178]
	v_mul_f64 v[177:178], v[7:8], v[177:178]
	s_waitcnt vmcnt(54)
	v_fma_f64 v[175:176], v[129:130], v[199:200], -v[175:176]
	v_add_f64 v[135:136], v[135:136], v[169:170]
	v_fma_f64 v[169:170], v[131:132], v[199:200], v[173:174]
	v_add_f64 v[133:134], v[133:134], v[137:138]
	s_clause 0x1
	buffer_load_dword v138, off, s[0:3], 0 offset:964
	buffer_load_dword v137, off, s[0:3], 0 offset:960
	ds_read_b128 v[129:132], v190 offset:1712
	s_waitcnt vmcnt(55) lgkmcnt(1)
	v_mul_f64 v[187:188], v[3:4], v[193:194]
	v_mul_f64 v[173:174], v[1:2], v[193:194]
	s_waitcnt vmcnt(53)
	v_fma_f64 v[177:178], v[5:6], v[183:184], -v[177:178]
	v_add_f64 v[135:136], v[135:136], v[175:176]
	v_fma_f64 v[175:176], v[7:8], v[183:184], v[181:182]
	v_add_f64 v[133:134], v[133:134], v[169:170]
	ds_read_b128 v[5:8], v190 offset:1728
	s_waitcnt vmcnt(49) lgkmcnt(1)
	v_mul_f64 v[169:170], v[129:130], v[141:142]
	v_mul_f64 v[141:142], v[131:132], v[141:142]
	s_waitcnt vmcnt(48)
	v_fma_f64 v[181:182], v[1:2], v[203:204], -v[187:188]
	v_fma_f64 v[173:174], v[3:4], v[203:204], v[173:174]
	v_add_f64 v[135:136], v[135:136], v[177:178]
	v_add_f64 v[133:134], v[133:134], v[175:176]
	s_clause 0x3
	buffer_load_dword v175, off, s[0:3], 0 offset:192
	buffer_load_dword v176, off, s[0:3], 0 offset:196
	;; [unrolled: 1-line block ×4, first 2 shown]
	ds_read_b128 v[1:4], v190 offset:1744
	s_waitcnt vmcnt(51) lgkmcnt(1)
	v_mul_f64 v[187:188], v[7:8], v[201:202]
	v_mul_f64 v[183:184], v[5:6], v[201:202]
	s_waitcnt vmcnt(49)
	v_fma_f64 v[141:142], v[129:130], v[147:148], -v[141:142]
	v_fma_f64 v[147:148], v[131:132], v[147:148], v[169:170]
	ds_read_b128 v[129:132], v190 offset:1760
	v_add_f64 v[135:136], v[135:136], v[181:182]
	v_add_f64 v[133:134], v[133:134], v[173:174]
	s_waitcnt vmcnt(45) lgkmcnt(1)
	v_mul_f64 v[169:170], v[1:2], v[153:154]
	v_mul_f64 v[153:154], v[3:4], v[153:154]
	s_waitcnt vmcnt(44)
	v_fma_f64 v[173:174], v[5:6], v[207:208], -v[187:188]
	v_add_f64 v[135:136], v[135:136], v[141:142]
	v_fma_f64 v[141:142], v[7:8], v[207:208], v[183:184]
	v_add_f64 v[133:134], v[133:134], v[147:148]
	ds_read_b128 v[5:8], v190 offset:1776
	s_waitcnt vmcnt(43) lgkmcnt(1)
	v_mul_f64 v[181:182], v[131:132], v[195:196]
	v_mul_f64 v[147:148], v[129:130], v[195:196]
	s_waitcnt vmcnt(41)
	v_fma_f64 v[153:154], v[1:2], v[145:146], -v[153:154]
	v_fma_f64 v[145:146], v[3:4], v[145:146], v[169:170]
	ds_read_b128 v[1:4], v190 offset:1792
	v_add_f64 v[135:136], v[135:136], v[173:174]
	v_add_f64 v[133:134], v[133:134], v[141:142]
	s_waitcnt vmcnt(37) lgkmcnt(1)
	v_mul_f64 v[141:142], v[5:6], v[139:140]
	v_mul_f64 v[139:140], v[7:8], v[139:140]
	s_waitcnt vmcnt(36)
	v_fma_f64 v[169:170], v[129:130], v[209:210], -v[181:182]
	v_fma_f64 v[147:148], v[131:132], v[209:210], v[147:148]
	ds_read_b128 v[129:132], v190 offset:1808
	v_add_f64 v[135:136], v[135:136], v[153:154]
	v_add_f64 v[133:134], v[133:134], v[145:146]
	;; [unrolled: 9-line block ×3, first 2 shown]
	s_waitcnt vmcnt(29) lgkmcnt(1)
	v_mul_f64 v[147:148], v[129:130], v[143:144]
	v_mul_f64 v[143:144], v[131:132], v[143:144]
	s_waitcnt vmcnt(28)
	v_fma_f64 v[151:152], v[1:2], v[205:206], -v[153:154]
	v_add_f64 v[135:136], v[135:136], v[139:140]
	v_fma_f64 v[139:140], v[3:4], v[205:206], v[145:146]
	v_add_f64 v[133:134], v[133:134], v[141:142]
	ds_read_b128 v[1:4], v190 offset:1840
	s_waitcnt vmcnt(27) lgkmcnt(1)
	v_mul_f64 v[145:146], v[7:8], v[165:166]
	v_mul_f64 v[141:142], v[5:6], v[165:166]
	s_waitcnt vmcnt(25)
	v_fma_f64 v[143:144], v[129:130], v[161:162], -v[143:144]
	v_fma_f64 v[147:148], v[131:132], v[161:162], v[147:148]
	ds_read_b128 v[129:132], v190 offset:1856
	v_add_f64 v[135:136], v[135:136], v[151:152]
	v_add_f64 v[133:134], v[133:134], v[139:140]
	s_waitcnt vmcnt(21) lgkmcnt(1)
	v_mul_f64 v[139:140], v[1:2], v[149:150]
	v_mul_f64 v[149:150], v[3:4], v[149:150]
	s_waitcnt vmcnt(20)
	v_fma_f64 v[145:146], v[5:6], v[197:198], -v[145:146]
	v_fma_f64 v[141:142], v[7:8], v[197:198], v[141:142]
	ds_read_b128 v[5:8], v190 offset:1872
	v_add_f64 v[135:136], v[135:136], v[143:144]
	v_add_f64 v[133:134], v[133:134], v[147:148]
	;; [unrolled: 9-line block ×3, first 2 shown]
	s_waitcnt vmcnt(13) lgkmcnt(1)
	v_mul_f64 v[145:146], v[7:8], v[155:156]
	s_waitcnt vmcnt(12)
	v_fma_f64 v[147:148], v[129:130], v[191:192], -v[147:148]
	v_mul_f64 v[141:142], v[5:6], v[155:156]
	v_fma_f64 v[143:144], v[131:132], v[191:192], v[143:144]
	ds_read_b128 v[129:132], v190 offset:1904
	v_add_f64 v[135:136], v[135:136], v[149:150]
	v_add_f64 v[133:134], v[133:134], v[139:140]
	s_waitcnt vmcnt(11) lgkmcnt(1)
	v_mul_f64 v[149:150], v[3:4], v[179:180]
	v_mul_f64 v[139:140], v[1:2], v[179:180]
	s_waitcnt vmcnt(9)
	v_fma_f64 v[5:6], v[5:6], v[167:168], -v[145:146]
	v_fma_f64 v[7:8], v[7:8], v[167:168], v[141:142]
	v_add_f64 v[135:136], v[135:136], v[147:148]
	v_add_f64 v[133:134], v[133:134], v[143:144]
	s_waitcnt vmcnt(7) lgkmcnt(0)
	v_mul_f64 v[143:144], v[131:132], v[163:164]
	s_waitcnt vmcnt(6)
	v_fma_f64 v[1:2], v[1:2], v[185:186], -v[149:150]
	v_mul_f64 v[141:142], v[129:130], v[163:164]
	v_fma_f64 v[3:4], v[3:4], v[185:186], v[139:140]
	v_add_f64 v[5:6], v[135:136], v[5:6]
	v_add_f64 v[7:8], v[133:134], v[7:8]
	s_waitcnt vmcnt(4)
	v_fma_f64 v[129:130], v[129:130], v[137:138], -v[143:144]
	v_add_f64 v[1:2], v[5:6], v[1:2]
	v_fma_f64 v[5:6], v[131:132], v[137:138], v[141:142]
	v_add_f64 v[3:4], v[7:8], v[3:4]
	v_add_f64 v[1:2], v[1:2], v[129:130]
	v_add_f64 v[3:4], v[3:4], v[5:6]
	s_waitcnt vmcnt(2)
	v_add_f64 v[1:2], v[175:176], -v[1:2]
	s_waitcnt vmcnt(0)
	v_add_f64 v[3:4], v[177:178], -v[3:4]
	buffer_store_dword v2, off, s[0:3], 0 offset:196
	buffer_store_dword v1, off, s[0:3], 0 offset:192
	;; [unrolled: 1-line block ×4, first 2 shown]
	v_cmpx_lt_u32_e32 10, v0
	s_cbranch_execz .LBB123_353
; %bb.352:
	v_mov_b32_e32 v4, s62
	v_mov_b32_e32 v5, 0
	s_clause 0x3
	buffer_load_dword v1, v4, s[0:3], 0 offen
	buffer_load_dword v2, v4, s[0:3], 0 offen offset:4
	buffer_load_dword v3, v4, s[0:3], 0 offen offset:8
	buffer_load_dword v4, v4, s[0:3], 0 offen offset:12
	buffer_store_dword v5, off, s[0:3], 0 offset:176
	buffer_store_dword v5, off, s[0:3], 0 offset:180
	;; [unrolled: 1-line block ×4, first 2 shown]
	s_waitcnt vmcnt(0)
	ds_write_b128 v189, v[1:4]
.LBB123_353:
	s_or_b32 exec_lo, exec_lo, s4
	s_waitcnt lgkmcnt(0)
	s_waitcnt_vscnt null, 0x0
	s_barrier
	buffer_gl0_inv
	s_clause 0x37
	buffer_load_dword v137, off, s[0:3], 0 offset:200
	buffer_load_dword v138, off, s[0:3], 0 offset:204
	;; [unrolled: 1-line block ×56, first 2 shown]
	v_mov_b32_e32 v190, 0
	s_mov_b32 s4, exec_lo
	ds_read_b128 v[5:8], v190 offset:1136
	s_clause 0x2
	buffer_load_dword v186, off, s[0:3], 0 offset:428
	buffer_load_dword v188, off, s[0:3], 0 offset:404
	;; [unrolled: 1-line block ×3, first 2 shown]
	ds_read_b128 v[1:4], v190 offset:1152
	s_clause 0x4
	buffer_load_dword v198, off, s[0:3], 0 offset:444
	buffer_load_dword v199, off, s[0:3], 0 offset:456
	;; [unrolled: 1-line block ×5, first 2 shown]
	ds_read_b128 v[191:194], v190 offset:1168
	s_waitcnt vmcnt(62) lgkmcnt(2)
	v_mul_f64 v[195:196], v[7:8], v[137:138]
	v_mul_f64 v[137:138], v[5:6], v[137:138]
	s_waitcnt vmcnt(60) lgkmcnt(1)
	v_mul_f64 v[202:203], v[3:4], v[133:134]
	v_mul_f64 v[133:134], v[1:2], v[133:134]
	s_waitcnt vmcnt(56) lgkmcnt(0)
	v_mul_f64 v[204:205], v[191:192], v[131:132]
	v_mul_f64 v[131:132], v[193:194], v[131:132]
	v_fma_f64 v[195:196], v[5:6], v[135:136], -v[195:196]
	v_fma_f64 v[135:136], v[7:8], v[135:136], v[137:138]
	s_clause 0x2
	buffer_load_dword v200, off, s[0:3], 0 offset:460
	buffer_load_dword v138, off, s[0:3], 0 offset:436
	;; [unrolled: 1-line block ×3, first 2 shown]
	s_waitcnt vmcnt(57)
	v_fma_f64 v[206:207], v[1:2], v[129:130], -v[202:203]
	ds_read_b128 v[5:8], v190 offset:1184
	v_fma_f64 v[129:130], v[3:4], v[129:130], v[133:134]
	s_waitcnt vmcnt(51)
	v_fma_f64 v[191:192], v[191:192], v[153:154], -v[131:132]
	v_fma_f64 v[153:154], v[193:194], v[153:154], v[204:205]
	v_add_f64 v[195:196], v[195:196], 0
	v_add_f64 v[133:134], v[135:136], 0
	s_clause 0x4
	buffer_load_dword v136, off, s[0:3], 0 offset:476
	buffer_load_dword v203, off, s[0:3], 0 offset:488
	buffer_load_dword v208, off, s[0:3], 0 offset:480
	buffer_load_dword v135, off, s[0:3], 0 offset:472
	buffer_load_dword v202, off, s[0:3], 0 offset:452
	s_waitcnt lgkmcnt(0)
	v_mul_f64 v[209:210], v[5:6], v[141:142]
	v_mul_f64 v[141:142], v[7:8], v[141:142]
	ds_read_b128 v[1:4], v190 offset:1200
	s_clause 0x2
	buffer_load_dword v204, off, s[0:3], 0 offset:492
	buffer_load_dword v194, off, s[0:3], 0 offset:468
	buffer_load_dword v193, off, s[0:3], 0 offset:464
	v_add_f64 v[195:196], v[195:196], v[206:207]
	v_add_f64 v[133:134], v[133:134], v[129:130]
	ds_read_b128 v[129:132], v190 offset:1216
	s_waitcnt vmcnt(58) lgkmcnt(1)
	v_mul_f64 v[205:206], v[1:2], v[145:146]
	v_mul_f64 v[145:146], v[3:4], v[145:146]
	s_waitcnt vmcnt(56)
	v_fma_f64 v[141:142], v[5:6], v[147:148], -v[141:142]
	v_fma_f64 v[147:148], v[7:8], v[147:148], v[209:210]
	s_waitcnt vmcnt(52) lgkmcnt(0)
	v_mul_f64 v[211:212], v[129:130], v[149:150]
	v_add_f64 v[191:192], v[195:196], v[191:192]
	v_add_f64 v[133:134], v[133:134], v[153:154]
	s_clause 0x4
	buffer_load_dword v154, off, s[0:3], 0 offset:508
	buffer_load_dword v195, off, s[0:3], 0 offset:520
	;; [unrolled: 1-line block ×5, first 2 shown]
	v_mul_f64 v[149:150], v[131:132], v[149:150]
	s_waitcnt vmcnt(56)
	v_fma_f64 v[145:146], v[1:2], v[139:140], -v[145:146]
	ds_read_b128 v[5:8], v190 offset:1232
	v_fma_f64 v[139:140], v[3:4], v[139:140], v[205:206]
	v_add_f64 v[141:142], v[191:192], v[141:142]
	v_add_f64 v[133:134], v[133:134], v[147:148]
	s_clause 0x2
	buffer_load_dword v196, off, s[0:3], 0 offset:524
	buffer_load_dword v148, off, s[0:3], 0 offset:500
	;; [unrolled: 1-line block ×3, first 2 shown]
	s_waitcnt vmcnt(58) lgkmcnt(0)
	v_mul_f64 v[191:192], v[5:6], v[155:156]
	v_mul_f64 v[155:156], v[7:8], v[155:156]
	s_waitcnt vmcnt(56)
	v_fma_f64 v[149:150], v[129:130], v[157:158], -v[149:150]
	ds_read_b128 v[1:4], v190 offset:1248
	v_add_f64 v[141:142], v[141:142], v[145:146]
	v_fma_f64 v[145:146], v[131:132], v[157:158], v[211:212]
	v_add_f64 v[133:134], v[133:134], v[139:140]
	s_clause 0x4
	buffer_load_dword v140, off, s[0:3], 0 offset:540
	buffer_load_dword v157, off, s[0:3], 0 offset:552
	buffer_load_dword v205, off, s[0:3], 0 offset:544
	buffer_load_dword v139, off, s[0:3], 0 offset:536
	buffer_load_dword v211, off, s[0:3], 0 offset:516
	s_waitcnt vmcnt(57) lgkmcnt(0)
	v_mul_f64 v[206:207], v[1:2], v[159:160]
	v_mul_f64 v[159:160], v[3:4], v[159:160]
	s_waitcnt vmcnt(56)
	v_fma_f64 v[155:156], v[5:6], v[143:144], -v[155:156]
	ds_read_b128 v[129:132], v190 offset:1264
	v_fma_f64 v[143:144], v[7:8], v[143:144], v[191:192]
	v_add_f64 v[141:142], v[141:142], v[149:150]
	v_add_f64 v[133:134], v[133:134], v[145:146]
	s_clause 0x2
	buffer_load_dword v158, off, s[0:3], 0 offset:556
	buffer_load_dword v146, off, s[0:3], 0 offset:532
	buffer_load_dword v145, off, s[0:3], 0 offset:528
	ds_read_b128 v[5:8], v190 offset:1280
	s_waitcnt vmcnt(58) lgkmcnt(1)
	v_mul_f64 v[149:150], v[129:130], v[163:164]
	v_mul_f64 v[163:164], v[131:132], v[163:164]
	s_waitcnt vmcnt(56)
	v_fma_f64 v[159:160], v[1:2], v[165:166], -v[159:160]
	v_add_f64 v[141:142], v[141:142], v[155:156]
	v_fma_f64 v[155:156], v[3:4], v[165:166], v[206:207]
	v_add_f64 v[133:134], v[133:134], v[143:144]
	s_clause 0x4
	buffer_load_dword v144, off, s[0:3], 0 offset:572
	buffer_load_dword v165, off, s[0:3], 0 offset:584
	;; [unrolled: 1-line block ×5, first 2 shown]
	s_waitcnt vmcnt(57) lgkmcnt(0)
	v_mul_f64 v[212:213], v[5:6], v[167:168]
	v_mul_f64 v[167:168], v[7:8], v[167:168]
	s_waitcnt vmcnt(56)
	v_fma_f64 v[163:164], v[129:130], v[151:152], -v[163:164]
	ds_read_b128 v[1:4], v190 offset:1296
	v_fma_f64 v[149:150], v[131:132], v[151:152], v[149:150]
	s_clause 0x2
	buffer_load_dword v166, off, s[0:3], 0 offset:588
	buffer_load_dword v152, off, s[0:3], 0 offset:564
	buffer_load_dword v151, off, s[0:3], 0 offset:560
	ds_read_b128 v[129:132], v190 offset:1312
	v_add_f64 v[141:142], v[141:142], v[159:160]
	v_add_f64 v[133:134], v[133:134], v[155:156]
	s_waitcnt vmcnt(58) lgkmcnt(1)
	v_mul_f64 v[159:160], v[3:4], v[171:172]
	s_waitcnt vmcnt(56)
	v_fma_f64 v[167:168], v[5:6], v[173:174], -v[167:168]
	v_mul_f64 v[155:156], v[1:2], v[171:172]
	v_add_f64 v[141:142], v[141:142], v[163:164]
	v_fma_f64 v[163:164], v[7:8], v[173:174], v[212:213]
	v_add_f64 v[133:134], v[133:134], v[149:150]
	s_clause 0x4
	buffer_load_dword v150, off, s[0:3], 0 offset:604
	buffer_load_dword v171, off, s[0:3], 0 offset:616
	;; [unrolled: 1-line block ×5, first 2 shown]
	s_waitcnt vmcnt(57) lgkmcnt(0)
	v_mul_f64 v[212:213], v[129:130], v[175:176]
	v_mul_f64 v[174:175], v[131:132], v[175:176]
	s_waitcnt vmcnt(56)
	v_fma_f64 v[159:160], v[1:2], v[161:162], -v[159:160]
	ds_read_b128 v[5:8], v190 offset:1328
	v_fma_f64 v[155:156], v[3:4], v[161:162], v[155:156]
	s_clause 0x2
	buffer_load_dword v172, off, s[0:3], 0 offset:620
	buffer_load_dword v162, off, s[0:3], 0 offset:596
	;; [unrolled: 1-line block ×3, first 2 shown]
	ds_read_b128 v[1:4], v190 offset:1344
	v_add_f64 v[141:142], v[141:142], v[167:168]
	v_add_f64 v[133:134], v[133:134], v[163:164]
	s_waitcnt vmcnt(58) lgkmcnt(1)
	v_mul_f64 v[167:168], v[7:8], v[179:180]
	s_waitcnt vmcnt(56)
	v_fma_f64 v[175:176], v[129:130], v[181:182], -v[174:175]
	v_mul_f64 v[163:164], v[5:6], v[179:180]
	v_add_f64 v[141:142], v[141:142], v[159:160]
	v_fma_f64 v[159:160], v[131:132], v[181:182], v[212:213]
	v_add_f64 v[133:134], v[133:134], v[155:156]
	s_clause 0x4
	buffer_load_dword v156, off, s[0:3], 0 offset:636
	buffer_load_dword v179, off, s[0:3], 0 offset:648
	;; [unrolled: 1-line block ×5, first 2 shown]
	s_waitcnt vmcnt(57) lgkmcnt(0)
	v_mul_f64 v[212:213], v[1:2], v[183:184]
	v_mul_f64 v[182:183], v[3:4], v[183:184]
	s_waitcnt vmcnt(56)
	v_fma_f64 v[167:168], v[5:6], v[169:170], -v[167:168]
	ds_read_b128 v[129:132], v190 offset:1360
	v_fma_f64 v[163:164], v[7:8], v[169:170], v[163:164]
	v_add_f64 v[141:142], v[141:142], v[175:176]
	v_add_f64 v[133:134], v[133:134], v[159:160]
	s_clause 0x2
	buffer_load_dword v180, off, s[0:3], 0 offset:652
	buffer_load_dword v160, off, s[0:3], 0 offset:628
	;; [unrolled: 1-line block ×3, first 2 shown]
	ds_read_b128 v[5:8], v190 offset:1376
	s_waitcnt vmcnt(58) lgkmcnt(1)
	v_mul_f64 v[175:176], v[131:132], v[185:186]
	s_waitcnt vmcnt(56)
	v_fma_f64 v[183:184], v[1:2], v[187:188], -v[182:183]
	v_mul_f64 v[169:170], v[129:130], v[185:186]
	v_add_f64 v[141:142], v[141:142], v[167:168]
	v_fma_f64 v[167:168], v[3:4], v[187:188], v[212:213]
	v_add_f64 v[133:134], v[133:134], v[163:164]
	s_clause 0x4
	buffer_load_dword v164, off, s[0:3], 0 offset:668
	buffer_load_dword v185, off, s[0:3], 0 offset:680
	;; [unrolled: 1-line block ×5, first 2 shown]
	s_waitcnt vmcnt(57) lgkmcnt(0)
	v_mul_f64 v[212:213], v[5:6], v[197:198]
	v_mul_f64 v[197:198], v[7:8], v[197:198]
	s_waitcnt vmcnt(56)
	v_fma_f64 v[175:176], v[129:130], v[177:178], -v[175:176]
	ds_read_b128 v[1:4], v190 offset:1392
	v_fma_f64 v[169:170], v[131:132], v[177:178], v[169:170]
	v_add_f64 v[141:142], v[141:142], v[183:184]
	v_add_f64 v[133:134], v[133:134], v[167:168]
	s_clause 0x2
	buffer_load_dword v186, off, s[0:3], 0 offset:684
	buffer_load_dword v168, off, s[0:3], 0 offset:660
	;; [unrolled: 1-line block ×3, first 2 shown]
	ds_read_b128 v[129:132], v190 offset:1408
	s_waitcnt vmcnt(58) lgkmcnt(1)
	v_mul_f64 v[183:184], v[3:4], v[199:200]
	v_mul_f64 v[177:178], v[1:2], v[199:200]
	s_waitcnt vmcnt(56)
	v_fma_f64 v[197:198], v[5:6], v[137:138], -v[197:198]
	v_fma_f64 v[137:138], v[7:8], v[137:138], v[212:213]
	v_add_f64 v[141:142], v[141:142], v[175:176]
	v_add_f64 v[133:134], v[133:134], v[169:170]
	s_clause 0x4
	buffer_load_dword v170, off, s[0:3], 0 offset:700
	buffer_load_dword v175, off, s[0:3], 0 offset:712
	;; [unrolled: 1-line block ×5, first 2 shown]
	ds_read_b128 v[5:8], v190 offset:1424
	s_waitcnt vmcnt(57) lgkmcnt(1)
	v_mul_f64 v[212:213], v[129:130], v[135:136]
	v_mul_f64 v[135:136], v[131:132], v[135:136]
	s_waitcnt vmcnt(56)
	v_fma_f64 v[183:184], v[1:2], v[201:202], -v[183:184]
	v_fma_f64 v[177:178], v[3:4], v[201:202], v[177:178]
	v_add_f64 v[141:142], v[141:142], v[197:198]
	v_add_f64 v[133:134], v[133:134], v[137:138]
	s_clause 0x2
	buffer_load_dword v176, off, s[0:3], 0 offset:716
	buffer_load_dword v138, off, s[0:3], 0 offset:692
	;; [unrolled: 1-line block ×3, first 2 shown]
	s_waitcnt vmcnt(58) lgkmcnt(0)
	v_mul_f64 v[201:202], v[7:8], v[203:204]
	ds_read_b128 v[1:4], v190 offset:1440
	v_mul_f64 v[197:198], v[5:6], v[203:204]
	s_waitcnt vmcnt(56)
	v_fma_f64 v[135:136], v[129:130], v[193:194], -v[135:136]
	v_add_f64 v[141:142], v[141:142], v[183:184]
	v_fma_f64 v[183:184], v[131:132], v[193:194], v[212:213]
	v_add_f64 v[133:134], v[133:134], v[177:178]
	s_clause 0x4
	buffer_load_dword v178, off, s[0:3], 0 offset:732
	buffer_load_dword v193, off, s[0:3], 0 offset:744
	;; [unrolled: 1-line block ×5, first 2 shown]
	ds_read_b128 v[129:132], v190 offset:1456
	s_waitcnt vmcnt(57) lgkmcnt(1)
	v_mul_f64 v[212:213], v[1:2], v[153:154]
	v_mul_f64 v[153:154], v[3:4], v[153:154]
	s_waitcnt vmcnt(56)
	v_fma_f64 v[201:202], v[5:6], v[208:209], -v[201:202]
	v_add_f64 v[135:136], v[141:142], v[135:136]
	v_fma_f64 v[141:142], v[7:8], v[208:209], v[197:198]
	v_add_f64 v[133:134], v[133:134], v[183:184]
	s_clause 0x2
	buffer_load_dword v194, off, s[0:3], 0 offset:748
	buffer_load_dword v184, off, s[0:3], 0 offset:724
	;; [unrolled: 1-line block ×3, first 2 shown]
	ds_read_b128 v[5:8], v190 offset:1472
	s_waitcnt vmcnt(58) lgkmcnt(1)
	v_mul_f64 v[197:198], v[129:130], v[195:196]
	v_mul_f64 v[195:196], v[131:132], v[195:196]
	s_waitcnt vmcnt(56)
	v_fma_f64 v[153:154], v[1:2], v[147:148], -v[153:154]
	v_fma_f64 v[147:148], v[3:4], v[147:148], v[212:213]
	v_add_f64 v[135:136], v[135:136], v[201:202]
	v_add_f64 v[133:134], v[133:134], v[141:142]
	s_clause 0x4
	buffer_load_dword v142, off, s[0:3], 0 offset:764
	buffer_load_dword v201, off, s[0:3], 0 offset:776
	;; [unrolled: 1-line block ×5, first 2 shown]
	ds_read_b128 v[1:4], v190 offset:1488
	s_waitcnt vmcnt(57) lgkmcnt(1)
	v_mul_f64 v[208:209], v[5:6], v[139:140]
	v_mul_f64 v[139:140], v[7:8], v[139:140]
	s_waitcnt vmcnt(56)
	v_fma_f64 v[195:196], v[129:130], v[210:211], -v[195:196]
	v_add_f64 v[135:136], v[135:136], v[153:154]
	v_fma_f64 v[153:154], v[131:132], v[210:211], v[197:198]
	v_add_f64 v[133:134], v[133:134], v[147:148]
	s_clause 0x2
	buffer_load_dword v202, off, s[0:3], 0 offset:780
	buffer_load_dword v148, off, s[0:3], 0 offset:756
	;; [unrolled: 1-line block ×3, first 2 shown]
	ds_read_b128 v[129:132], v190 offset:1504
	s_waitcnt vmcnt(58) lgkmcnt(1)
	v_mul_f64 v[197:198], v[1:2], v[157:158]
	v_mul_f64 v[157:158], v[3:4], v[157:158]
	s_waitcnt vmcnt(56)
	v_fma_f64 v[139:140], v[5:6], v[145:146], -v[139:140]
	v_fma_f64 v[145:146], v[7:8], v[145:146], v[208:209]
	v_add_f64 v[135:136], v[135:136], v[195:196]
	v_add_f64 v[133:134], v[133:134], v[153:154]
	s_clause 0x4
	buffer_load_dword v154, off, s[0:3], 0 offset:796
	buffer_load_dword v195, off, s[0:3], 0 offset:808
	;; [unrolled: 1-line block ×5, first 2 shown]
	ds_read_b128 v[5:8], v190 offset:1520
	s_waitcnt vmcnt(57) lgkmcnt(1)
	v_mul_f64 v[210:211], v[129:130], v[143:144]
	v_mul_f64 v[143:144], v[131:132], v[143:144]
	s_waitcnt vmcnt(56)
	v_fma_f64 v[157:158], v[1:2], v[205:206], -v[157:158]
	v_add_f64 v[135:136], v[135:136], v[139:140]
	v_fma_f64 v[139:140], v[3:4], v[205:206], v[197:198]
	v_add_f64 v[133:134], v[133:134], v[145:146]
	s_clause 0x2
	buffer_load_dword v196, off, s[0:3], 0 offset:812
	buffer_load_dword v146, off, s[0:3], 0 offset:788
	buffer_load_dword v145, off, s[0:3], 0 offset:784
	s_waitcnt vmcnt(58) lgkmcnt(0)
	v_mul_f64 v[197:198], v[5:6], v[165:166]
	v_mul_f64 v[165:166], v[7:8], v[165:166]
	ds_read_b128 v[1:4], v190 offset:1536
	s_waitcnt vmcnt(56)
	v_fma_f64 v[143:144], v[129:130], v[151:152], -v[143:144]
	v_fma_f64 v[151:152], v[131:132], v[151:152], v[210:211]
	v_add_f64 v[135:136], v[135:136], v[157:158]
	v_add_f64 v[133:134], v[133:134], v[139:140]
	s_clause 0x4
	buffer_load_dword v140, off, s[0:3], 0 offset:828
	buffer_load_dword v157, off, s[0:3], 0 offset:840
	;; [unrolled: 1-line block ×5, first 2 shown]
	ds_read_b128 v[129:132], v190 offset:1552
	s_waitcnt vmcnt(57) lgkmcnt(1)
	v_mul_f64 v[211:212], v[1:2], v[149:150]
	v_mul_f64 v[149:150], v[3:4], v[149:150]
	s_waitcnt vmcnt(56)
	v_fma_f64 v[165:166], v[5:6], v[191:192], -v[165:166]
	v_add_f64 v[135:136], v[135:136], v[143:144]
	v_fma_f64 v[143:144], v[7:8], v[191:192], v[197:198]
	v_add_f64 v[133:134], v[133:134], v[151:152]
	s_clause 0x2
	buffer_load_dword v158, off, s[0:3], 0 offset:844
	buffer_load_dword v152, off, s[0:3], 0 offset:820
	;; [unrolled: 1-line block ×3, first 2 shown]
	s_waitcnt vmcnt(58) lgkmcnt(0)
	v_mul_f64 v[191:192], v[129:130], v[171:172]
	v_mul_f64 v[171:172], v[131:132], v[171:172]
	ds_read_b128 v[5:8], v190 offset:1568
	s_waitcnt vmcnt(56)
	v_fma_f64 v[149:150], v[1:2], v[161:162], -v[149:150]
	v_fma_f64 v[161:162], v[3:4], v[161:162], v[211:212]
	v_add_f64 v[135:136], v[135:136], v[165:166]
	v_add_f64 v[133:134], v[133:134], v[143:144]
	s_clause 0x4
	buffer_load_dword v144, off, s[0:3], 0 offset:860
	buffer_load_dword v165, off, s[0:3], 0 offset:872
	buffer_load_dword v197, off, s[0:3], 0 offset:864
	buffer_load_dword v143, off, s[0:3], 0 offset:856
	buffer_load_dword v206, off, s[0:3], 0 offset:836
	ds_read_b128 v[1:4], v190 offset:1584
	s_waitcnt vmcnt(57) lgkmcnt(1)
	v_mul_f64 v[211:212], v[5:6], v[155:156]
	v_mul_f64 v[155:156], v[7:8], v[155:156]
	s_waitcnt vmcnt(56)
	v_fma_f64 v[171:172], v[129:130], v[173:174], -v[171:172]
	v_add_f64 v[135:136], v[135:136], v[149:150]
	v_fma_f64 v[149:150], v[131:132], v[173:174], v[191:192]
	v_add_f64 v[133:134], v[133:134], v[161:162]
	s_clause 0x2
	buffer_load_dword v166, off, s[0:3], 0 offset:876
	buffer_load_dword v162, off, s[0:3], 0 offset:852
	buffer_load_dword v161, off, s[0:3], 0 offset:848
	ds_read_b128 v[129:132], v190 offset:1600
	s_waitcnt vmcnt(58) lgkmcnt(1)
	v_mul_f64 v[173:174], v[1:2], v[179:180]
	v_mul_f64 v[179:180], v[3:4], v[179:180]
	s_waitcnt vmcnt(56)
	v_fma_f64 v[155:156], v[5:6], v[159:160], -v[155:156]
	v_fma_f64 v[159:160], v[7:8], v[159:160], v[211:212]
	v_add_f64 v[135:136], v[135:136], v[171:172]
	v_add_f64 v[133:134], v[133:134], v[149:150]
	s_clause 0x4
	buffer_load_dword v150, off, s[0:3], 0 offset:892
	buffer_load_dword v171, off, s[0:3], 0 offset:904
	buffer_load_dword v191, off, s[0:3], 0 offset:896
	buffer_load_dword v149, off, s[0:3], 0 offset:888
	buffer_load_dword v198, off, s[0:3], 0 offset:868
	ds_read_b128 v[5:8], v190 offset:1616
	s_waitcnt vmcnt(57) lgkmcnt(1)
	v_mul_f64 v[211:212], v[129:130], v[163:164]
	v_mul_f64 v[163:164], v[131:132], v[163:164]
	s_waitcnt vmcnt(56)
	v_fma_f64 v[179:180], v[1:2], v[181:182], -v[179:180]
	v_add_f64 v[135:136], v[135:136], v[155:156]
	v_fma_f64 v[155:156], v[3:4], v[181:182], v[173:174]
	v_add_f64 v[133:134], v[133:134], v[159:160]
	s_clause 0x2
	buffer_load_dword v172, off, s[0:3], 0 offset:908
	buffer_load_dword v160, off, s[0:3], 0 offset:884
	buffer_load_dword v159, off, s[0:3], 0 offset:880
	ds_read_b128 v[1:4], v190 offset:1632
	s_waitcnt vmcnt(58) lgkmcnt(1)
	v_mul_f64 v[181:182], v[7:8], v[185:186]
	v_mul_f64 v[173:174], v[5:6], v[185:186]
	;; [unrolled: 28-line block ×3, first 2 shown]
	s_waitcnt vmcnt(56)
	v_fma_f64 v[169:170], v[1:2], v[137:138], -v[169:170]
	v_fma_f64 v[137:138], v[3:4], v[137:138], v[211:212]
	v_add_f64 v[135:136], v[135:136], v[181:182]
	v_add_f64 v[133:134], v[133:134], v[163:164]
	s_clause 0x4
	buffer_load_dword v164, off, s[0:3], 0 offset:956
	buffer_load_dword v181, off, s[0:3], 0 offset:968
	;; [unrolled: 1-line block ×5, first 2 shown]
	ds_read_b128 v[1:4], v190 offset:1680
	s_waitcnt vmcnt(57) lgkmcnt(1)
	v_mul_f64 v[211:212], v[5:6], v[177:178]
	v_mul_f64 v[177:178], v[7:8], v[177:178]
	s_waitcnt vmcnt(56)
	v_fma_f64 v[175:176], v[129:130], v[199:200], -v[175:176]
	v_add_f64 v[135:136], v[135:136], v[169:170]
	v_fma_f64 v[169:170], v[131:132], v[199:200], v[173:174]
	v_add_f64 v[133:134], v[133:134], v[137:138]
	s_clause 0x2
	buffer_load_dword v182, off, s[0:3], 0 offset:972
	buffer_load_dword v138, off, s[0:3], 0 offset:948
	;; [unrolled: 1-line block ×3, first 2 shown]
	ds_read_b128 v[129:132], v190 offset:1696
	buffer_load_dword v188, off, s[0:3], 0 offset:964
	s_waitcnt vmcnt(59) lgkmcnt(1)
	v_mul_f64 v[173:174], v[1:2], v[193:194]
	v_mul_f64 v[193:194], v[3:4], v[193:194]
	s_waitcnt vmcnt(57)
	v_fma_f64 v[177:178], v[5:6], v[183:184], -v[177:178]
	v_add_f64 v[135:136], v[135:136], v[175:176]
	v_fma_f64 v[175:176], v[7:8], v[183:184], v[211:212]
	v_add_f64 v[133:134], v[133:134], v[169:170]
	ds_read_b128 v[5:8], v190 offset:1712
	s_waitcnt vmcnt(53) lgkmcnt(1)
	v_mul_f64 v[169:170], v[129:130], v[141:142]
	v_mul_f64 v[141:142], v[131:132], v[141:142]
	s_waitcnt vmcnt(52)
	v_fma_f64 v[183:184], v[1:2], v[203:204], -v[193:194]
	v_fma_f64 v[173:174], v[3:4], v[203:204], v[173:174]
	ds_read_b128 v[1:4], v190 offset:1728
	v_add_f64 v[135:136], v[135:136], v[177:178]
	v_add_f64 v[133:134], v[133:134], v[175:176]
	s_waitcnt vmcnt(51) lgkmcnt(1)
	v_mul_f64 v[177:178], v[7:8], v[201:202]
	v_mul_f64 v[175:176], v[5:6], v[201:202]
	s_waitcnt vmcnt(49)
	v_fma_f64 v[141:142], v[129:130], v[147:148], -v[141:142]
	v_fma_f64 v[147:148], v[131:132], v[147:148], v[169:170]
	v_add_f64 v[135:136], v[135:136], v[183:184]
	v_add_f64 v[133:134], v[133:134], v[173:174]
	s_clause 0x3
	buffer_load_dword v169, off, s[0:3], 0 offset:176
	buffer_load_dword v170, off, s[0:3], 0 offset:180
	;; [unrolled: 1-line block ×4, first 2 shown]
	ds_read_b128 v[129:132], v190 offset:1744
	s_waitcnt vmcnt(49) lgkmcnt(1)
	v_mul_f64 v[183:184], v[1:2], v[153:154]
	v_mul_f64 v[153:154], v[3:4], v[153:154]
	s_waitcnt vmcnt(48)
	v_fma_f64 v[177:178], v[5:6], v[207:208], -v[177:178]
	v_add_f64 v[135:136], v[135:136], v[141:142]
	v_fma_f64 v[141:142], v[7:8], v[207:208], v[175:176]
	v_add_f64 v[133:134], v[133:134], v[147:148]
	ds_read_b128 v[5:8], v190 offset:1760
	s_waitcnt vmcnt(47) lgkmcnt(1)
	v_mul_f64 v[175:176], v[131:132], v[195:196]
	v_mul_f64 v[147:148], v[129:130], v[195:196]
	s_waitcnt vmcnt(45)
	v_fma_f64 v[153:154], v[1:2], v[145:146], -v[153:154]
	v_fma_f64 v[145:146], v[3:4], v[145:146], v[183:184]
	ds_read_b128 v[1:4], v190 offset:1776
	v_add_f64 v[135:136], v[135:136], v[177:178]
	v_add_f64 v[133:134], v[133:134], v[141:142]
	s_waitcnt vmcnt(41) lgkmcnt(1)
	v_mul_f64 v[141:142], v[5:6], v[139:140]
	v_mul_f64 v[139:140], v[7:8], v[139:140]
	s_waitcnt vmcnt(40)
	v_fma_f64 v[175:176], v[129:130], v[209:210], -v[175:176]
	v_fma_f64 v[147:148], v[131:132], v[209:210], v[147:148]
	ds_read_b128 v[129:132], v190 offset:1792
	v_add_f64 v[135:136], v[135:136], v[153:154]
	v_add_f64 v[133:134], v[133:134], v[145:146]
	;; [unrolled: 9-line block ×3, first 2 shown]
	s_waitcnt vmcnt(33) lgkmcnt(1)
	v_mul_f64 v[147:148], v[129:130], v[143:144]
	v_mul_f64 v[143:144], v[131:132], v[143:144]
	s_waitcnt vmcnt(32)
	v_fma_f64 v[151:152], v[1:2], v[205:206], -v[153:154]
	v_add_f64 v[135:136], v[135:136], v[139:140]
	v_fma_f64 v[139:140], v[3:4], v[205:206], v[145:146]
	v_add_f64 v[133:134], v[133:134], v[141:142]
	ds_read_b128 v[1:4], v190 offset:1824
	s_waitcnt vmcnt(31) lgkmcnt(1)
	v_mul_f64 v[145:146], v[7:8], v[165:166]
	v_mul_f64 v[141:142], v[5:6], v[165:166]
	s_waitcnt vmcnt(29)
	v_fma_f64 v[143:144], v[129:130], v[161:162], -v[143:144]
	v_fma_f64 v[147:148], v[131:132], v[161:162], v[147:148]
	ds_read_b128 v[129:132], v190 offset:1840
	v_add_f64 v[135:136], v[135:136], v[151:152]
	v_add_f64 v[133:134], v[133:134], v[139:140]
	s_waitcnt vmcnt(25) lgkmcnt(1)
	v_mul_f64 v[139:140], v[1:2], v[149:150]
	v_mul_f64 v[149:150], v[3:4], v[149:150]
	s_waitcnt vmcnt(24)
	v_fma_f64 v[145:146], v[5:6], v[197:198], -v[145:146]
	v_fma_f64 v[141:142], v[7:8], v[197:198], v[141:142]
	ds_read_b128 v[5:8], v190 offset:1856
	v_add_f64 v[135:136], v[135:136], v[143:144]
	v_add_f64 v[133:134], v[133:134], v[147:148]
	;; [unrolled: 9-line block ×3, first 2 shown]
	s_waitcnt vmcnt(17) lgkmcnt(1)
	v_mul_f64 v[145:146], v[7:8], v[155:156]
	s_waitcnt vmcnt(16)
	v_fma_f64 v[147:148], v[129:130], v[191:192], -v[147:148]
	v_mul_f64 v[141:142], v[5:6], v[155:156]
	v_fma_f64 v[143:144], v[131:132], v[191:192], v[143:144]
	ds_read_b128 v[129:132], v190 offset:1888
	v_add_f64 v[135:136], v[135:136], v[149:150]
	v_add_f64 v[133:134], v[133:134], v[139:140]
	s_waitcnt vmcnt(15) lgkmcnt(1)
	v_mul_f64 v[149:150], v[3:4], v[179:180]
	v_mul_f64 v[139:140], v[1:2], v[179:180]
	s_waitcnt vmcnt(13)
	v_fma_f64 v[145:146], v[5:6], v[167:168], -v[145:146]
	v_fma_f64 v[141:142], v[7:8], v[167:168], v[141:142]
	ds_read_b128 v[5:8], v190 offset:1904
	v_add_f64 v[135:136], v[135:136], v[147:148]
	v_add_f64 v[133:134], v[133:134], v[143:144]
	s_waitcnt vmcnt(9) lgkmcnt(1)
	v_mul_f64 v[147:148], v[131:132], v[163:164]
	s_waitcnt vmcnt(8)
	v_fma_f64 v[1:2], v[1:2], v[185:186], -v[149:150]
	v_mul_f64 v[143:144], v[129:130], v[163:164]
	v_fma_f64 v[3:4], v[3:4], v[185:186], v[139:140]
	v_add_f64 v[135:136], v[135:136], v[145:146]
	v_add_f64 v[133:134], v[133:134], v[141:142]
	s_waitcnt vmcnt(7) lgkmcnt(0)
	v_mul_f64 v[141:142], v[7:8], v[181:182]
	v_mul_f64 v[139:140], v[5:6], v[181:182]
	s_waitcnt vmcnt(5)
	v_fma_f64 v[129:130], v[129:130], v[137:138], -v[147:148]
	v_fma_f64 v[131:132], v[131:132], v[137:138], v[143:144]
	v_add_f64 v[1:2], v[135:136], v[1:2]
	v_add_f64 v[3:4], v[133:134], v[3:4]
	s_waitcnt vmcnt(4)
	v_fma_f64 v[5:6], v[5:6], v[187:188], -v[141:142]
	v_fma_f64 v[7:8], v[7:8], v[187:188], v[139:140]
	v_add_f64 v[1:2], v[1:2], v[129:130]
	v_add_f64 v[3:4], v[3:4], v[131:132]
	;; [unrolled: 1-line block ×4, first 2 shown]
	s_waitcnt vmcnt(2)
	v_add_f64 v[1:2], v[169:170], -v[1:2]
	s_waitcnt vmcnt(0)
	v_add_f64 v[3:4], v[173:174], -v[3:4]
	buffer_store_dword v2, off, s[0:3], 0 offset:180
	buffer_store_dword v1, off, s[0:3], 0 offset:176
	;; [unrolled: 1-line block ×4, first 2 shown]
	v_cmpx_lt_u32_e32 9, v0
	s_cbranch_execz .LBB123_355
; %bb.354:
	v_mov_b32_e32 v4, s63
	s_clause 0x3
	buffer_load_dword v1, v4, s[0:3], 0 offen
	buffer_load_dword v2, v4, s[0:3], 0 offen offset:4
	buffer_load_dword v3, v4, s[0:3], 0 offen offset:8
	;; [unrolled: 1-line block ×3, first 2 shown]
	buffer_store_dword v190, off, s[0:3], 0 offset:160
	buffer_store_dword v190, off, s[0:3], 0 offset:164
	;; [unrolled: 1-line block ×4, first 2 shown]
	s_waitcnt vmcnt(0)
	ds_write_b128 v189, v[1:4]
.LBB123_355:
	s_or_b32 exec_lo, exec_lo, s4
	s_waitcnt lgkmcnt(0)
	s_waitcnt_vscnt null, 0x0
	s_barrier
	buffer_gl0_inv
	s_clause 0x37
	buffer_load_dword v137, off, s[0:3], 0 offset:184
	buffer_load_dword v138, off, s[0:3], 0 offset:188
	buffer_load_dword v133, off, s[0:3], 0 offset:200
	buffer_load_dword v134, off, s[0:3], 0 offset:204
	buffer_load_dword v135, off, s[0:3], 0 offset:176
	buffer_load_dword v136, off, s[0:3], 0 offset:180
	buffer_load_dword v131, off, s[0:3], 0 offset:216
	buffer_load_dword v132, off, s[0:3], 0 offset:220
	buffer_load_dword v129, off, s[0:3], 0 offset:192
	buffer_load_dword v130, off, s[0:3], 0 offset:196
	buffer_load_dword v142, off, s[0:3], 0 offset:236
	buffer_load_dword v145, off, s[0:3], 0 offset:248
	buffer_load_dword v139, off, s[0:3], 0 offset:240
	buffer_load_dword v141, off, s[0:3], 0 offset:232
	buffer_load_dword v153, off, s[0:3], 0 offset:208
	buffer_load_dword v154, off, s[0:3], 0 offset:212
	buffer_load_dword v146, off, s[0:3], 0 offset:252
	buffer_load_dword v148, off, s[0:3], 0 offset:228
	buffer_load_dword v147, off, s[0:3], 0 offset:224
	buffer_load_dword v150, off, s[0:3], 0 offset:268
	buffer_load_dword v155, off, s[0:3], 0 offset:280
	buffer_load_dword v143, off, s[0:3], 0 offset:272
	buffer_load_dword v149, off, s[0:3], 0 offset:264
	buffer_load_dword v140, off, s[0:3], 0 offset:244
	buffer_load_dword v156, off, s[0:3], 0 offset:284
	buffer_load_dword v158, off, s[0:3], 0 offset:260
	buffer_load_dword v157, off, s[0:3], 0 offset:256
	buffer_load_dword v160, off, s[0:3], 0 offset:300
	buffer_load_dword v163, off, s[0:3], 0 offset:312
	buffer_load_dword v151, off, s[0:3], 0 offset:304
	buffer_load_dword v159, off, s[0:3], 0 offset:296
	buffer_load_dword v144, off, s[0:3], 0 offset:276
	buffer_load_dword v164, off, s[0:3], 0 offset:316
	buffer_load_dword v166, off, s[0:3], 0 offset:292
	buffer_load_dword v165, off, s[0:3], 0 offset:288
	buffer_load_dword v168, off, s[0:3], 0 offset:332
	buffer_load_dword v171, off, s[0:3], 0 offset:344
	buffer_load_dword v161, off, s[0:3], 0 offset:336
	buffer_load_dword v167, off, s[0:3], 0 offset:328
	buffer_load_dword v152, off, s[0:3], 0 offset:308
	buffer_load_dword v172, off, s[0:3], 0 offset:348
	buffer_load_dword v174, off, s[0:3], 0 offset:324
	buffer_load_dword v173, off, s[0:3], 0 offset:320
	buffer_load_dword v176, off, s[0:3], 0 offset:364
	buffer_load_dword v179, off, s[0:3], 0 offset:376
	buffer_load_dword v169, off, s[0:3], 0 offset:368
	buffer_load_dword v175, off, s[0:3], 0 offset:360
	buffer_load_dword v162, off, s[0:3], 0 offset:340
	buffer_load_dword v180, off, s[0:3], 0 offset:380
	buffer_load_dword v182, off, s[0:3], 0 offset:356
	buffer_load_dword v181, off, s[0:3], 0 offset:352
	buffer_load_dword v184, off, s[0:3], 0 offset:396
	buffer_load_dword v185, off, s[0:3], 0 offset:408
	buffer_load_dword v177, off, s[0:3], 0 offset:400
	buffer_load_dword v183, off, s[0:3], 0 offset:392
	buffer_load_dword v170, off, s[0:3], 0 offset:372
	ds_read_b128 v[5:8], v190 offset:1120
	s_clause 0x2
	buffer_load_dword v186, off, s[0:3], 0 offset:412
	buffer_load_dword v188, off, s[0:3], 0 offset:388
	;; [unrolled: 1-line block ×3, first 2 shown]
	ds_read_b128 v[1:4], v190 offset:1136
	s_clause 0x4
	buffer_load_dword v198, off, s[0:3], 0 offset:428
	buffer_load_dword v199, off, s[0:3], 0 offset:440
	;; [unrolled: 1-line block ×5, first 2 shown]
	ds_read_b128 v[191:194], v190 offset:1152
	s_mov_b32 s4, exec_lo
	s_waitcnt vmcnt(62) lgkmcnt(2)
	v_mul_f64 v[195:196], v[7:8], v[137:138]
	v_mul_f64 v[137:138], v[5:6], v[137:138]
	s_waitcnt vmcnt(60) lgkmcnt(1)
	v_mul_f64 v[202:203], v[3:4], v[133:134]
	v_mul_f64 v[133:134], v[1:2], v[133:134]
	;; [unrolled: 3-line block ×3, first 2 shown]
	v_fma_f64 v[195:196], v[5:6], v[135:136], -v[195:196]
	v_fma_f64 v[135:136], v[7:8], v[135:136], v[137:138]
	s_clause 0x2
	buffer_load_dword v200, off, s[0:3], 0 offset:444
	buffer_load_dword v138, off, s[0:3], 0 offset:420
	;; [unrolled: 1-line block ×3, first 2 shown]
	s_waitcnt vmcnt(57)
	v_fma_f64 v[206:207], v[1:2], v[129:130], -v[202:203]
	ds_read_b128 v[5:8], v190 offset:1168
	v_fma_f64 v[129:130], v[3:4], v[129:130], v[133:134]
	s_waitcnt vmcnt(51)
	v_fma_f64 v[191:192], v[191:192], v[153:154], -v[131:132]
	v_fma_f64 v[153:154], v[193:194], v[153:154], v[204:205]
	v_add_f64 v[195:196], v[195:196], 0
	v_add_f64 v[133:134], v[135:136], 0
	s_clause 0x4
	buffer_load_dword v136, off, s[0:3], 0 offset:460
	buffer_load_dword v203, off, s[0:3], 0 offset:472
	;; [unrolled: 1-line block ×5, first 2 shown]
	s_waitcnt lgkmcnt(0)
	v_mul_f64 v[209:210], v[5:6], v[141:142]
	v_mul_f64 v[141:142], v[7:8], v[141:142]
	ds_read_b128 v[1:4], v190 offset:1184
	s_clause 0x2
	buffer_load_dword v204, off, s[0:3], 0 offset:476
	buffer_load_dword v194, off, s[0:3], 0 offset:452
	;; [unrolled: 1-line block ×3, first 2 shown]
	v_add_f64 v[195:196], v[195:196], v[206:207]
	v_add_f64 v[133:134], v[133:134], v[129:130]
	ds_read_b128 v[129:132], v190 offset:1200
	s_waitcnt vmcnt(58) lgkmcnt(1)
	v_mul_f64 v[205:206], v[1:2], v[145:146]
	v_mul_f64 v[145:146], v[3:4], v[145:146]
	s_waitcnt vmcnt(56)
	v_fma_f64 v[141:142], v[5:6], v[147:148], -v[141:142]
	v_fma_f64 v[147:148], v[7:8], v[147:148], v[209:210]
	s_waitcnt vmcnt(52) lgkmcnt(0)
	v_mul_f64 v[211:212], v[129:130], v[149:150]
	v_add_f64 v[191:192], v[195:196], v[191:192]
	v_add_f64 v[133:134], v[133:134], v[153:154]
	s_clause 0x4
	buffer_load_dword v154, off, s[0:3], 0 offset:492
	buffer_load_dword v195, off, s[0:3], 0 offset:504
	;; [unrolled: 1-line block ×5, first 2 shown]
	v_mul_f64 v[149:150], v[131:132], v[149:150]
	s_waitcnt vmcnt(56)
	v_fma_f64 v[145:146], v[1:2], v[139:140], -v[145:146]
	ds_read_b128 v[5:8], v190 offset:1216
	v_fma_f64 v[139:140], v[3:4], v[139:140], v[205:206]
	v_add_f64 v[141:142], v[191:192], v[141:142]
	v_add_f64 v[133:134], v[133:134], v[147:148]
	s_clause 0x2
	buffer_load_dword v196, off, s[0:3], 0 offset:508
	buffer_load_dword v148, off, s[0:3], 0 offset:484
	;; [unrolled: 1-line block ×3, first 2 shown]
	s_waitcnt vmcnt(58) lgkmcnt(0)
	v_mul_f64 v[191:192], v[5:6], v[155:156]
	v_mul_f64 v[155:156], v[7:8], v[155:156]
	s_waitcnt vmcnt(56)
	v_fma_f64 v[149:150], v[129:130], v[157:158], -v[149:150]
	ds_read_b128 v[1:4], v190 offset:1232
	v_add_f64 v[141:142], v[141:142], v[145:146]
	v_fma_f64 v[145:146], v[131:132], v[157:158], v[211:212]
	v_add_f64 v[133:134], v[133:134], v[139:140]
	s_clause 0x4
	buffer_load_dword v140, off, s[0:3], 0 offset:524
	buffer_load_dword v157, off, s[0:3], 0 offset:536
	;; [unrolled: 1-line block ×5, first 2 shown]
	s_waitcnt vmcnt(57) lgkmcnt(0)
	v_mul_f64 v[206:207], v[1:2], v[159:160]
	v_mul_f64 v[159:160], v[3:4], v[159:160]
	s_waitcnt vmcnt(56)
	v_fma_f64 v[155:156], v[5:6], v[143:144], -v[155:156]
	ds_read_b128 v[129:132], v190 offset:1248
	v_fma_f64 v[143:144], v[7:8], v[143:144], v[191:192]
	v_add_f64 v[141:142], v[141:142], v[149:150]
	v_add_f64 v[133:134], v[133:134], v[145:146]
	s_clause 0x2
	buffer_load_dword v158, off, s[0:3], 0 offset:540
	buffer_load_dword v146, off, s[0:3], 0 offset:516
	;; [unrolled: 1-line block ×3, first 2 shown]
	ds_read_b128 v[5:8], v190 offset:1264
	s_waitcnt vmcnt(58) lgkmcnt(1)
	v_mul_f64 v[149:150], v[129:130], v[163:164]
	v_mul_f64 v[163:164], v[131:132], v[163:164]
	s_waitcnt vmcnt(56)
	v_fma_f64 v[159:160], v[1:2], v[165:166], -v[159:160]
	v_add_f64 v[141:142], v[141:142], v[155:156]
	v_fma_f64 v[155:156], v[3:4], v[165:166], v[206:207]
	v_add_f64 v[133:134], v[133:134], v[143:144]
	s_clause 0x4
	buffer_load_dword v144, off, s[0:3], 0 offset:556
	buffer_load_dword v165, off, s[0:3], 0 offset:568
	;; [unrolled: 1-line block ×5, first 2 shown]
	s_waitcnt vmcnt(57) lgkmcnt(0)
	v_mul_f64 v[212:213], v[5:6], v[167:168]
	v_mul_f64 v[167:168], v[7:8], v[167:168]
	s_waitcnt vmcnt(56)
	v_fma_f64 v[163:164], v[129:130], v[151:152], -v[163:164]
	ds_read_b128 v[1:4], v190 offset:1280
	v_fma_f64 v[149:150], v[131:132], v[151:152], v[149:150]
	s_clause 0x2
	buffer_load_dword v166, off, s[0:3], 0 offset:572
	buffer_load_dword v152, off, s[0:3], 0 offset:548
	;; [unrolled: 1-line block ×3, first 2 shown]
	ds_read_b128 v[129:132], v190 offset:1296
	v_add_f64 v[141:142], v[141:142], v[159:160]
	v_add_f64 v[133:134], v[133:134], v[155:156]
	s_waitcnt vmcnt(58) lgkmcnt(1)
	v_mul_f64 v[159:160], v[3:4], v[171:172]
	s_waitcnt vmcnt(56)
	v_fma_f64 v[167:168], v[5:6], v[173:174], -v[167:168]
	v_mul_f64 v[155:156], v[1:2], v[171:172]
	v_add_f64 v[141:142], v[141:142], v[163:164]
	v_fma_f64 v[163:164], v[7:8], v[173:174], v[212:213]
	v_add_f64 v[133:134], v[133:134], v[149:150]
	s_clause 0x4
	buffer_load_dword v150, off, s[0:3], 0 offset:588
	buffer_load_dword v171, off, s[0:3], 0 offset:600
	;; [unrolled: 1-line block ×5, first 2 shown]
	s_waitcnt vmcnt(57) lgkmcnt(0)
	v_mul_f64 v[212:213], v[129:130], v[175:176]
	v_mul_f64 v[174:175], v[131:132], v[175:176]
	s_waitcnt vmcnt(56)
	v_fma_f64 v[159:160], v[1:2], v[161:162], -v[159:160]
	ds_read_b128 v[5:8], v190 offset:1312
	v_fma_f64 v[155:156], v[3:4], v[161:162], v[155:156]
	s_clause 0x2
	buffer_load_dword v172, off, s[0:3], 0 offset:604
	buffer_load_dword v162, off, s[0:3], 0 offset:580
	;; [unrolled: 1-line block ×3, first 2 shown]
	ds_read_b128 v[1:4], v190 offset:1328
	v_add_f64 v[141:142], v[141:142], v[167:168]
	v_add_f64 v[133:134], v[133:134], v[163:164]
	s_waitcnt vmcnt(58) lgkmcnt(1)
	v_mul_f64 v[167:168], v[7:8], v[179:180]
	s_waitcnt vmcnt(56)
	v_fma_f64 v[175:176], v[129:130], v[181:182], -v[174:175]
	v_mul_f64 v[163:164], v[5:6], v[179:180]
	v_add_f64 v[141:142], v[141:142], v[159:160]
	v_fma_f64 v[159:160], v[131:132], v[181:182], v[212:213]
	v_add_f64 v[133:134], v[133:134], v[155:156]
	s_clause 0x4
	buffer_load_dword v156, off, s[0:3], 0 offset:620
	buffer_load_dword v179, off, s[0:3], 0 offset:632
	;; [unrolled: 1-line block ×5, first 2 shown]
	s_waitcnt vmcnt(57) lgkmcnt(0)
	v_mul_f64 v[212:213], v[1:2], v[183:184]
	v_mul_f64 v[182:183], v[3:4], v[183:184]
	s_waitcnt vmcnt(56)
	v_fma_f64 v[167:168], v[5:6], v[169:170], -v[167:168]
	ds_read_b128 v[129:132], v190 offset:1344
	v_fma_f64 v[163:164], v[7:8], v[169:170], v[163:164]
	v_add_f64 v[141:142], v[141:142], v[175:176]
	v_add_f64 v[133:134], v[133:134], v[159:160]
	s_clause 0x2
	buffer_load_dword v180, off, s[0:3], 0 offset:636
	buffer_load_dword v160, off, s[0:3], 0 offset:612
	;; [unrolled: 1-line block ×3, first 2 shown]
	ds_read_b128 v[5:8], v190 offset:1360
	s_waitcnt vmcnt(58) lgkmcnt(1)
	v_mul_f64 v[175:176], v[131:132], v[185:186]
	s_waitcnt vmcnt(56)
	v_fma_f64 v[183:184], v[1:2], v[187:188], -v[182:183]
	v_mul_f64 v[169:170], v[129:130], v[185:186]
	v_add_f64 v[141:142], v[141:142], v[167:168]
	v_fma_f64 v[167:168], v[3:4], v[187:188], v[212:213]
	v_add_f64 v[133:134], v[133:134], v[163:164]
	s_clause 0x4
	buffer_load_dword v164, off, s[0:3], 0 offset:652
	buffer_load_dword v185, off, s[0:3], 0 offset:664
	;; [unrolled: 1-line block ×5, first 2 shown]
	s_waitcnt vmcnt(57) lgkmcnt(0)
	v_mul_f64 v[212:213], v[5:6], v[197:198]
	v_mul_f64 v[197:198], v[7:8], v[197:198]
	s_waitcnt vmcnt(56)
	v_fma_f64 v[175:176], v[129:130], v[177:178], -v[175:176]
	ds_read_b128 v[1:4], v190 offset:1376
	v_fma_f64 v[169:170], v[131:132], v[177:178], v[169:170]
	v_add_f64 v[141:142], v[141:142], v[183:184]
	v_add_f64 v[133:134], v[133:134], v[167:168]
	s_clause 0x2
	buffer_load_dword v186, off, s[0:3], 0 offset:668
	buffer_load_dword v168, off, s[0:3], 0 offset:644
	;; [unrolled: 1-line block ×3, first 2 shown]
	ds_read_b128 v[129:132], v190 offset:1392
	s_waitcnt vmcnt(58) lgkmcnt(1)
	v_mul_f64 v[183:184], v[3:4], v[199:200]
	v_mul_f64 v[177:178], v[1:2], v[199:200]
	s_waitcnt vmcnt(56)
	v_fma_f64 v[197:198], v[5:6], v[137:138], -v[197:198]
	v_fma_f64 v[137:138], v[7:8], v[137:138], v[212:213]
	v_add_f64 v[141:142], v[141:142], v[175:176]
	v_add_f64 v[133:134], v[133:134], v[169:170]
	s_clause 0x4
	buffer_load_dword v170, off, s[0:3], 0 offset:684
	buffer_load_dword v175, off, s[0:3], 0 offset:696
	;; [unrolled: 1-line block ×5, first 2 shown]
	ds_read_b128 v[5:8], v190 offset:1408
	s_waitcnt vmcnt(57) lgkmcnt(1)
	v_mul_f64 v[212:213], v[129:130], v[135:136]
	v_mul_f64 v[135:136], v[131:132], v[135:136]
	s_waitcnt vmcnt(56)
	v_fma_f64 v[183:184], v[1:2], v[201:202], -v[183:184]
	v_fma_f64 v[177:178], v[3:4], v[201:202], v[177:178]
	v_add_f64 v[141:142], v[141:142], v[197:198]
	v_add_f64 v[133:134], v[133:134], v[137:138]
	s_clause 0x2
	buffer_load_dword v176, off, s[0:3], 0 offset:700
	buffer_load_dword v138, off, s[0:3], 0 offset:676
	;; [unrolled: 1-line block ×3, first 2 shown]
	s_waitcnt vmcnt(58) lgkmcnt(0)
	v_mul_f64 v[201:202], v[7:8], v[203:204]
	ds_read_b128 v[1:4], v190 offset:1424
	v_mul_f64 v[197:198], v[5:6], v[203:204]
	s_waitcnt vmcnt(56)
	v_fma_f64 v[135:136], v[129:130], v[193:194], -v[135:136]
	v_add_f64 v[141:142], v[141:142], v[183:184]
	v_fma_f64 v[183:184], v[131:132], v[193:194], v[212:213]
	v_add_f64 v[133:134], v[133:134], v[177:178]
	s_clause 0x4
	buffer_load_dword v178, off, s[0:3], 0 offset:716
	buffer_load_dword v193, off, s[0:3], 0 offset:728
	buffer_load_dword v203, off, s[0:3], 0 offset:720
	buffer_load_dword v177, off, s[0:3], 0 offset:712
	buffer_load_dword v200, off, s[0:3], 0 offset:692
	ds_read_b128 v[129:132], v190 offset:1440
	s_waitcnt vmcnt(57) lgkmcnt(1)
	v_mul_f64 v[212:213], v[1:2], v[153:154]
	v_mul_f64 v[153:154], v[3:4], v[153:154]
	s_waitcnt vmcnt(56)
	v_fma_f64 v[201:202], v[5:6], v[208:209], -v[201:202]
	v_add_f64 v[135:136], v[141:142], v[135:136]
	v_fma_f64 v[141:142], v[7:8], v[208:209], v[197:198]
	v_add_f64 v[133:134], v[133:134], v[183:184]
	s_clause 0x2
	buffer_load_dword v194, off, s[0:3], 0 offset:732
	buffer_load_dword v184, off, s[0:3], 0 offset:708
	;; [unrolled: 1-line block ×3, first 2 shown]
	ds_read_b128 v[5:8], v190 offset:1456
	s_waitcnt vmcnt(58) lgkmcnt(1)
	v_mul_f64 v[197:198], v[129:130], v[195:196]
	v_mul_f64 v[195:196], v[131:132], v[195:196]
	s_waitcnt vmcnt(56)
	v_fma_f64 v[153:154], v[1:2], v[147:148], -v[153:154]
	v_fma_f64 v[147:148], v[3:4], v[147:148], v[212:213]
	v_add_f64 v[135:136], v[135:136], v[201:202]
	v_add_f64 v[133:134], v[133:134], v[141:142]
	s_clause 0x4
	buffer_load_dword v142, off, s[0:3], 0 offset:748
	buffer_load_dword v201, off, s[0:3], 0 offset:760
	;; [unrolled: 1-line block ×5, first 2 shown]
	ds_read_b128 v[1:4], v190 offset:1472
	s_waitcnt vmcnt(57) lgkmcnt(1)
	v_mul_f64 v[208:209], v[5:6], v[139:140]
	v_mul_f64 v[139:140], v[7:8], v[139:140]
	s_waitcnt vmcnt(56)
	v_fma_f64 v[195:196], v[129:130], v[210:211], -v[195:196]
	v_add_f64 v[135:136], v[135:136], v[153:154]
	v_fma_f64 v[153:154], v[131:132], v[210:211], v[197:198]
	v_add_f64 v[133:134], v[133:134], v[147:148]
	s_clause 0x2
	buffer_load_dword v202, off, s[0:3], 0 offset:764
	buffer_load_dword v148, off, s[0:3], 0 offset:740
	;; [unrolled: 1-line block ×3, first 2 shown]
	ds_read_b128 v[129:132], v190 offset:1488
	s_waitcnt vmcnt(58) lgkmcnt(1)
	v_mul_f64 v[197:198], v[1:2], v[157:158]
	v_mul_f64 v[157:158], v[3:4], v[157:158]
	s_waitcnt vmcnt(56)
	v_fma_f64 v[139:140], v[5:6], v[145:146], -v[139:140]
	v_fma_f64 v[145:146], v[7:8], v[145:146], v[208:209]
	v_add_f64 v[135:136], v[135:136], v[195:196]
	v_add_f64 v[133:134], v[133:134], v[153:154]
	s_clause 0x4
	buffer_load_dword v154, off, s[0:3], 0 offset:780
	buffer_load_dword v195, off, s[0:3], 0 offset:792
	;; [unrolled: 1-line block ×5, first 2 shown]
	ds_read_b128 v[5:8], v190 offset:1504
	s_waitcnt vmcnt(57) lgkmcnt(1)
	v_mul_f64 v[210:211], v[129:130], v[143:144]
	v_mul_f64 v[143:144], v[131:132], v[143:144]
	s_waitcnt vmcnt(56)
	v_fma_f64 v[157:158], v[1:2], v[205:206], -v[157:158]
	v_add_f64 v[135:136], v[135:136], v[139:140]
	v_fma_f64 v[139:140], v[3:4], v[205:206], v[197:198]
	v_add_f64 v[133:134], v[133:134], v[145:146]
	s_clause 0x2
	buffer_load_dword v196, off, s[0:3], 0 offset:796
	buffer_load_dword v146, off, s[0:3], 0 offset:772
	;; [unrolled: 1-line block ×3, first 2 shown]
	s_waitcnt vmcnt(58) lgkmcnt(0)
	v_mul_f64 v[197:198], v[5:6], v[165:166]
	v_mul_f64 v[165:166], v[7:8], v[165:166]
	ds_read_b128 v[1:4], v190 offset:1520
	s_waitcnt vmcnt(56)
	v_fma_f64 v[143:144], v[129:130], v[151:152], -v[143:144]
	v_fma_f64 v[151:152], v[131:132], v[151:152], v[210:211]
	v_add_f64 v[135:136], v[135:136], v[157:158]
	v_add_f64 v[133:134], v[133:134], v[139:140]
	s_clause 0x4
	buffer_load_dword v140, off, s[0:3], 0 offset:812
	buffer_load_dword v157, off, s[0:3], 0 offset:824
	;; [unrolled: 1-line block ×5, first 2 shown]
	ds_read_b128 v[129:132], v190 offset:1536
	s_waitcnt vmcnt(57) lgkmcnt(1)
	v_mul_f64 v[211:212], v[1:2], v[149:150]
	v_mul_f64 v[149:150], v[3:4], v[149:150]
	s_waitcnt vmcnt(56)
	v_fma_f64 v[165:166], v[5:6], v[191:192], -v[165:166]
	v_add_f64 v[135:136], v[135:136], v[143:144]
	v_fma_f64 v[143:144], v[7:8], v[191:192], v[197:198]
	v_add_f64 v[133:134], v[133:134], v[151:152]
	s_clause 0x2
	buffer_load_dword v158, off, s[0:3], 0 offset:828
	buffer_load_dword v152, off, s[0:3], 0 offset:804
	;; [unrolled: 1-line block ×3, first 2 shown]
	s_waitcnt vmcnt(58) lgkmcnt(0)
	v_mul_f64 v[191:192], v[129:130], v[171:172]
	v_mul_f64 v[171:172], v[131:132], v[171:172]
	ds_read_b128 v[5:8], v190 offset:1552
	s_waitcnt vmcnt(56)
	v_fma_f64 v[149:150], v[1:2], v[161:162], -v[149:150]
	v_fma_f64 v[161:162], v[3:4], v[161:162], v[211:212]
	v_add_f64 v[135:136], v[135:136], v[165:166]
	v_add_f64 v[133:134], v[133:134], v[143:144]
	s_clause 0x4
	buffer_load_dword v144, off, s[0:3], 0 offset:844
	buffer_load_dword v165, off, s[0:3], 0 offset:856
	buffer_load_dword v197, off, s[0:3], 0 offset:848
	buffer_load_dword v143, off, s[0:3], 0 offset:840
	buffer_load_dword v206, off, s[0:3], 0 offset:820
	ds_read_b128 v[1:4], v190 offset:1568
	s_waitcnt vmcnt(57) lgkmcnt(1)
	v_mul_f64 v[211:212], v[5:6], v[155:156]
	v_mul_f64 v[155:156], v[7:8], v[155:156]
	s_waitcnt vmcnt(56)
	v_fma_f64 v[171:172], v[129:130], v[173:174], -v[171:172]
	v_add_f64 v[135:136], v[135:136], v[149:150]
	v_fma_f64 v[149:150], v[131:132], v[173:174], v[191:192]
	v_add_f64 v[133:134], v[133:134], v[161:162]
	s_clause 0x2
	buffer_load_dword v166, off, s[0:3], 0 offset:860
	buffer_load_dword v162, off, s[0:3], 0 offset:836
	buffer_load_dword v161, off, s[0:3], 0 offset:832
	ds_read_b128 v[129:132], v190 offset:1584
	s_waitcnt vmcnt(58) lgkmcnt(1)
	v_mul_f64 v[173:174], v[1:2], v[179:180]
	v_mul_f64 v[179:180], v[3:4], v[179:180]
	s_waitcnt vmcnt(56)
	v_fma_f64 v[155:156], v[5:6], v[159:160], -v[155:156]
	v_fma_f64 v[159:160], v[7:8], v[159:160], v[211:212]
	v_add_f64 v[135:136], v[135:136], v[171:172]
	v_add_f64 v[133:134], v[133:134], v[149:150]
	s_clause 0x4
	buffer_load_dword v150, off, s[0:3], 0 offset:876
	buffer_load_dword v171, off, s[0:3], 0 offset:888
	buffer_load_dword v191, off, s[0:3], 0 offset:880
	buffer_load_dword v149, off, s[0:3], 0 offset:872
	buffer_load_dword v198, off, s[0:3], 0 offset:852
	ds_read_b128 v[5:8], v190 offset:1600
	s_waitcnt vmcnt(57) lgkmcnt(1)
	v_mul_f64 v[211:212], v[129:130], v[163:164]
	v_mul_f64 v[163:164], v[131:132], v[163:164]
	s_waitcnt vmcnt(56)
	v_fma_f64 v[179:180], v[1:2], v[181:182], -v[179:180]
	v_add_f64 v[135:136], v[135:136], v[155:156]
	v_fma_f64 v[155:156], v[3:4], v[181:182], v[173:174]
	v_add_f64 v[133:134], v[133:134], v[159:160]
	s_clause 0x2
	buffer_load_dword v172, off, s[0:3], 0 offset:892
	buffer_load_dword v160, off, s[0:3], 0 offset:868
	buffer_load_dword v159, off, s[0:3], 0 offset:864
	ds_read_b128 v[1:4], v190 offset:1616
	s_waitcnt vmcnt(58) lgkmcnt(1)
	v_mul_f64 v[181:182], v[7:8], v[185:186]
	v_mul_f64 v[173:174], v[5:6], v[185:186]
	;; [unrolled: 28-line block ×4, first 2 shown]
	s_waitcnt vmcnt(56)
	v_fma_f64 v[177:178], v[5:6], v[183:184], -v[177:178]
	v_add_f64 v[135:136], v[135:136], v[175:176]
	v_fma_f64 v[175:176], v[7:8], v[183:184], v[211:212]
	v_add_f64 v[133:134], v[133:134], v[169:170]
	s_clause 0x2
	buffer_load_dword v170, off, s[0:3], 0 offset:972
	buffer_load_dword v169, off, s[0:3], 0 offset:968
	;; [unrolled: 1-line block ×3, first 2 shown]
	ds_read_b128 v[5:8], v190 offset:1696
	s_waitcnt vmcnt(55) lgkmcnt(1)
	v_mul_f64 v[183:184], v[129:130], v[141:142]
	v_mul_f64 v[141:142], v[131:132], v[141:142]
	s_waitcnt vmcnt(54)
	v_fma_f64 v[193:194], v[1:2], v[203:204], -v[193:194]
	v_fma_f64 v[173:174], v[3:4], v[203:204], v[173:174]
	v_add_f64 v[135:136], v[135:136], v[177:178]
	v_add_f64 v[133:134], v[133:134], v[175:176]
	s_clause 0x1
	buffer_load_dword v176, off, s[0:3], 0 offset:964
	buffer_load_dword v175, off, s[0:3], 0 offset:960
	ds_read_b128 v[1:4], v190 offset:1712
	s_waitcnt vmcnt(55) lgkmcnt(1)
	v_mul_f64 v[199:200], v[7:8], v[201:202]
	v_mul_f64 v[177:178], v[5:6], v[201:202]
	s_waitcnt vmcnt(53)
	v_fma_f64 v[141:142], v[129:130], v[147:148], -v[141:142]
	v_fma_f64 v[147:148], v[131:132], v[147:148], v[183:184]
	ds_read_b128 v[129:132], v190 offset:1728
	v_add_f64 v[135:136], v[135:136], v[193:194]
	v_add_f64 v[133:134], v[133:134], v[173:174]
	s_waitcnt vmcnt(49) lgkmcnt(1)
	v_mul_f64 v[173:174], v[1:2], v[153:154]
	v_mul_f64 v[153:154], v[3:4], v[153:154]
	s_waitcnt vmcnt(48)
	v_fma_f64 v[183:184], v[5:6], v[207:208], -v[199:200]
	v_add_f64 v[135:136], v[135:136], v[141:142]
	v_fma_f64 v[141:142], v[7:8], v[207:208], v[177:178]
	v_add_f64 v[133:134], v[133:134], v[147:148]
	s_clause 0x3
	buffer_load_dword v147, off, s[0:3], 0 offset:160
	buffer_load_dword v148, off, s[0:3], 0 offset:164
	;; [unrolled: 1-line block ×4, first 2 shown]
	ds_read_b128 v[5:8], v190 offset:1744
	s_waitcnt vmcnt(51) lgkmcnt(1)
	v_mul_f64 v[193:194], v[129:130], v[195:196]
	v_mul_f64 v[195:196], v[131:132], v[195:196]
	s_waitcnt vmcnt(49)
	v_fma_f64 v[153:154], v[1:2], v[145:146], -v[153:154]
	v_fma_f64 v[145:146], v[3:4], v[145:146], v[173:174]
	ds_read_b128 v[1:4], v190 offset:1760
	v_add_f64 v[135:136], v[135:136], v[183:184]
	v_add_f64 v[133:134], v[133:134], v[141:142]
	s_waitcnt vmcnt(45) lgkmcnt(1)
	v_mul_f64 v[141:142], v[5:6], v[139:140]
	v_mul_f64 v[139:140], v[7:8], v[139:140]
	s_waitcnt vmcnt(44)
	v_fma_f64 v[173:174], v[129:130], v[209:210], -v[195:196]
	v_add_f64 v[135:136], v[135:136], v[153:154]
	v_fma_f64 v[153:154], v[131:132], v[209:210], v[193:194]
	v_add_f64 v[133:134], v[133:134], v[145:146]
	ds_read_b128 v[129:132], v190 offset:1776
	s_waitcnt vmcnt(43) lgkmcnt(1)
	v_mul_f64 v[145:146], v[1:2], v[157:158]
	v_mul_f64 v[157:158], v[3:4], v[157:158]
	s_waitcnt vmcnt(41)
	v_fma_f64 v[139:140], v[5:6], v[151:152], -v[139:140]
	v_fma_f64 v[141:142], v[7:8], v[151:152], v[141:142]
	ds_read_b128 v[5:8], v190 offset:1792
	v_add_f64 v[135:136], v[135:136], v[173:174]
	v_add_f64 v[133:134], v[133:134], v[153:154]
	s_waitcnt vmcnt(37) lgkmcnt(1)
	v_mul_f64 v[151:152], v[129:130], v[143:144]
	v_mul_f64 v[143:144], v[131:132], v[143:144]
	s_waitcnt vmcnt(36)
	v_fma_f64 v[153:154], v[1:2], v[205:206], -v[157:158]
	v_add_f64 v[135:136], v[135:136], v[139:140]
	v_fma_f64 v[139:140], v[3:4], v[205:206], v[145:146]
	v_add_f64 v[133:134], v[133:134], v[141:142]
	ds_read_b128 v[1:4], v190 offset:1808
	s_waitcnt vmcnt(35) lgkmcnt(1)
	v_mul_f64 v[145:146], v[7:8], v[165:166]
	v_mul_f64 v[141:142], v[5:6], v[165:166]
	s_waitcnt vmcnt(33)
	v_fma_f64 v[143:144], v[129:130], v[161:162], -v[143:144]
	v_fma_f64 v[151:152], v[131:132], v[161:162], v[151:152]
	ds_read_b128 v[129:132], v190 offset:1824
	v_add_f64 v[135:136], v[135:136], v[153:154]
	v_add_f64 v[133:134], v[133:134], v[139:140]
	s_waitcnt vmcnt(29) lgkmcnt(1)
	v_mul_f64 v[139:140], v[1:2], v[149:150]
	v_mul_f64 v[149:150], v[3:4], v[149:150]
	s_waitcnt vmcnt(28)
	v_fma_f64 v[145:146], v[5:6], v[197:198], -v[145:146]
	v_fma_f64 v[141:142], v[7:8], v[197:198], v[141:142]
	ds_read_b128 v[5:8], v190 offset:1840
	v_add_f64 v[135:136], v[135:136], v[143:144]
	v_add_f64 v[133:134], v[133:134], v[151:152]
	;; [unrolled: 9-line block ×3, first 2 shown]
	s_waitcnt vmcnt(21) lgkmcnt(1)
	v_mul_f64 v[145:146], v[7:8], v[155:156]
	s_waitcnt vmcnt(20)
	v_fma_f64 v[151:152], v[129:130], v[191:192], -v[151:152]
	v_mul_f64 v[141:142], v[5:6], v[155:156]
	v_fma_f64 v[143:144], v[131:132], v[191:192], v[143:144]
	ds_read_b128 v[129:132], v190 offset:1872
	v_add_f64 v[135:136], v[135:136], v[149:150]
	v_add_f64 v[133:134], v[133:134], v[139:140]
	s_waitcnt vmcnt(19) lgkmcnt(1)
	v_mul_f64 v[149:150], v[3:4], v[179:180]
	v_mul_f64 v[139:140], v[1:2], v[179:180]
	s_waitcnt vmcnt(17)
	v_fma_f64 v[145:146], v[5:6], v[167:168], -v[145:146]
	v_fma_f64 v[141:142], v[7:8], v[167:168], v[141:142]
	ds_read_b128 v[5:8], v190 offset:1888
	v_add_f64 v[135:136], v[135:136], v[151:152]
	v_add_f64 v[133:134], v[133:134], v[143:144]
	s_waitcnt vmcnt(13) lgkmcnt(1)
	v_mul_f64 v[151:152], v[131:132], v[163:164]
	s_waitcnt vmcnt(12)
	v_fma_f64 v[149:150], v[1:2], v[185:186], -v[149:150]
	v_mul_f64 v[143:144], v[129:130], v[163:164]
	v_fma_f64 v[139:140], v[3:4], v[185:186], v[139:140]
	ds_read_b128 v[1:4], v190 offset:1904
	v_add_f64 v[135:136], v[135:136], v[145:146]
	v_add_f64 v[133:134], v[133:134], v[141:142]
	s_waitcnt vmcnt(11) lgkmcnt(1)
	v_mul_f64 v[145:146], v[7:8], v[181:182]
	v_mul_f64 v[141:142], v[5:6], v[181:182]
	s_waitcnt vmcnt(9)
	v_fma_f64 v[129:130], v[129:130], v[137:138], -v[151:152]
	v_fma_f64 v[131:132], v[131:132], v[137:138], v[143:144]
	v_add_f64 v[135:136], v[135:136], v[149:150]
	v_add_f64 v[133:134], v[133:134], v[139:140]
	s_waitcnt vmcnt(7) lgkmcnt(0)
	v_mul_f64 v[139:140], v[3:4], v[169:170]
	s_waitcnt vmcnt(6)
	v_fma_f64 v[5:6], v[5:6], v[187:188], -v[145:146]
	v_mul_f64 v[137:138], v[1:2], v[169:170]
	v_fma_f64 v[7:8], v[7:8], v[187:188], v[141:142]
	v_add_f64 v[129:130], v[135:136], v[129:130]
	v_add_f64 v[131:132], v[133:134], v[131:132]
	s_waitcnt vmcnt(4)
	v_fma_f64 v[1:2], v[1:2], v[175:176], -v[139:140]
	v_fma_f64 v[3:4], v[3:4], v[175:176], v[137:138]
	v_add_f64 v[5:6], v[129:130], v[5:6]
	v_add_f64 v[7:8], v[131:132], v[7:8]
	;; [unrolled: 1-line block ×4, first 2 shown]
	s_waitcnt vmcnt(2)
	v_add_f64 v[1:2], v[147:148], -v[1:2]
	s_waitcnt vmcnt(0)
	v_add_f64 v[3:4], v[177:178], -v[3:4]
	buffer_store_dword v2, off, s[0:3], 0 offset:164
	buffer_store_dword v1, off, s[0:3], 0 offset:160
	buffer_store_dword v4, off, s[0:3], 0 offset:172
	buffer_store_dword v3, off, s[0:3], 0 offset:168
	v_cmpx_lt_u32_e32 8, v0
	s_cbranch_execz .LBB123_357
; %bb.356:
	v_mov_b32_e32 v4, s64
	v_mov_b32_e32 v5, 0
	s_clause 0x3
	buffer_load_dword v1, v4, s[0:3], 0 offen
	buffer_load_dword v2, v4, s[0:3], 0 offen offset:4
	buffer_load_dword v3, v4, s[0:3], 0 offen offset:8
	;; [unrolled: 1-line block ×3, first 2 shown]
	buffer_store_dword v5, off, s[0:3], 0 offset:144
	buffer_store_dword v5, off, s[0:3], 0 offset:148
	;; [unrolled: 1-line block ×4, first 2 shown]
	s_waitcnt vmcnt(0)
	ds_write_b128 v189, v[1:4]
.LBB123_357:
	s_or_b32 exec_lo, exec_lo, s4
	s_waitcnt lgkmcnt(0)
	s_waitcnt_vscnt null, 0x0
	s_barrier
	buffer_gl0_inv
	s_clause 0x37
	buffer_load_dword v137, off, s[0:3], 0 offset:168
	buffer_load_dword v138, off, s[0:3], 0 offset:172
	;; [unrolled: 1-line block ×56, first 2 shown]
	v_mov_b32_e32 v190, 0
	s_mov_b32 s4, exec_lo
	ds_read_b128 v[5:8], v190 offset:1104
	s_clause 0x2
	buffer_load_dword v186, off, s[0:3], 0 offset:396
	buffer_load_dword v188, off, s[0:3], 0 offset:372
	;; [unrolled: 1-line block ×3, first 2 shown]
	ds_read_b128 v[1:4], v190 offset:1120
	s_clause 0x4
	buffer_load_dword v198, off, s[0:3], 0 offset:412
	buffer_load_dword v199, off, s[0:3], 0 offset:424
	;; [unrolled: 1-line block ×5, first 2 shown]
	ds_read_b128 v[191:194], v190 offset:1136
	s_waitcnt vmcnt(62) lgkmcnt(2)
	v_mul_f64 v[195:196], v[7:8], v[137:138]
	v_mul_f64 v[137:138], v[5:6], v[137:138]
	s_waitcnt vmcnt(60) lgkmcnt(1)
	v_mul_f64 v[202:203], v[3:4], v[133:134]
	v_mul_f64 v[133:134], v[1:2], v[133:134]
	;; [unrolled: 3-line block ×3, first 2 shown]
	v_fma_f64 v[195:196], v[5:6], v[135:136], -v[195:196]
	v_fma_f64 v[135:136], v[7:8], v[135:136], v[137:138]
	s_clause 0x2
	buffer_load_dword v200, off, s[0:3], 0 offset:428
	buffer_load_dword v138, off, s[0:3], 0 offset:404
	;; [unrolled: 1-line block ×3, first 2 shown]
	s_waitcnt vmcnt(57)
	v_fma_f64 v[206:207], v[1:2], v[129:130], -v[202:203]
	ds_read_b128 v[5:8], v190 offset:1152
	v_fma_f64 v[129:130], v[3:4], v[129:130], v[133:134]
	s_waitcnt vmcnt(51)
	v_fma_f64 v[191:192], v[191:192], v[153:154], -v[131:132]
	v_fma_f64 v[153:154], v[193:194], v[153:154], v[204:205]
	v_add_f64 v[195:196], v[195:196], 0
	v_add_f64 v[133:134], v[135:136], 0
	s_clause 0x4
	buffer_load_dword v136, off, s[0:3], 0 offset:444
	buffer_load_dword v203, off, s[0:3], 0 offset:456
	;; [unrolled: 1-line block ×5, first 2 shown]
	s_waitcnt lgkmcnt(0)
	v_mul_f64 v[209:210], v[5:6], v[141:142]
	v_mul_f64 v[141:142], v[7:8], v[141:142]
	ds_read_b128 v[1:4], v190 offset:1168
	s_clause 0x2
	buffer_load_dword v204, off, s[0:3], 0 offset:460
	buffer_load_dword v194, off, s[0:3], 0 offset:436
	;; [unrolled: 1-line block ×3, first 2 shown]
	v_add_f64 v[195:196], v[195:196], v[206:207]
	v_add_f64 v[133:134], v[133:134], v[129:130]
	ds_read_b128 v[129:132], v190 offset:1184
	s_waitcnt vmcnt(58) lgkmcnt(1)
	v_mul_f64 v[205:206], v[1:2], v[145:146]
	v_mul_f64 v[145:146], v[3:4], v[145:146]
	s_waitcnt vmcnt(56)
	v_fma_f64 v[141:142], v[5:6], v[147:148], -v[141:142]
	v_fma_f64 v[147:148], v[7:8], v[147:148], v[209:210]
	s_waitcnt vmcnt(52) lgkmcnt(0)
	v_mul_f64 v[211:212], v[129:130], v[149:150]
	v_add_f64 v[191:192], v[195:196], v[191:192]
	v_add_f64 v[133:134], v[133:134], v[153:154]
	s_clause 0x4
	buffer_load_dword v154, off, s[0:3], 0 offset:476
	buffer_load_dword v195, off, s[0:3], 0 offset:488
	buffer_load_dword v210, off, s[0:3], 0 offset:480
	buffer_load_dword v153, off, s[0:3], 0 offset:472
	buffer_load_dword v209, off, s[0:3], 0 offset:452
	v_mul_f64 v[149:150], v[131:132], v[149:150]
	s_waitcnt vmcnt(56)
	v_fma_f64 v[145:146], v[1:2], v[139:140], -v[145:146]
	ds_read_b128 v[5:8], v190 offset:1200
	v_fma_f64 v[139:140], v[3:4], v[139:140], v[205:206]
	v_add_f64 v[141:142], v[191:192], v[141:142]
	v_add_f64 v[133:134], v[133:134], v[147:148]
	s_clause 0x2
	buffer_load_dword v196, off, s[0:3], 0 offset:492
	buffer_load_dword v148, off, s[0:3], 0 offset:468
	;; [unrolled: 1-line block ×3, first 2 shown]
	s_waitcnt vmcnt(58) lgkmcnt(0)
	v_mul_f64 v[191:192], v[5:6], v[155:156]
	v_mul_f64 v[155:156], v[7:8], v[155:156]
	s_waitcnt vmcnt(56)
	v_fma_f64 v[149:150], v[129:130], v[157:158], -v[149:150]
	ds_read_b128 v[1:4], v190 offset:1216
	v_add_f64 v[141:142], v[141:142], v[145:146]
	v_fma_f64 v[145:146], v[131:132], v[157:158], v[211:212]
	v_add_f64 v[133:134], v[133:134], v[139:140]
	s_clause 0x4
	buffer_load_dword v140, off, s[0:3], 0 offset:508
	buffer_load_dword v157, off, s[0:3], 0 offset:520
	buffer_load_dword v205, off, s[0:3], 0 offset:512
	buffer_load_dword v139, off, s[0:3], 0 offset:504
	buffer_load_dword v211, off, s[0:3], 0 offset:484
	s_waitcnt vmcnt(57) lgkmcnt(0)
	v_mul_f64 v[206:207], v[1:2], v[159:160]
	v_mul_f64 v[159:160], v[3:4], v[159:160]
	s_waitcnt vmcnt(56)
	v_fma_f64 v[155:156], v[5:6], v[143:144], -v[155:156]
	ds_read_b128 v[129:132], v190 offset:1232
	v_fma_f64 v[143:144], v[7:8], v[143:144], v[191:192]
	v_add_f64 v[141:142], v[141:142], v[149:150]
	v_add_f64 v[133:134], v[133:134], v[145:146]
	s_clause 0x2
	buffer_load_dword v158, off, s[0:3], 0 offset:524
	buffer_load_dword v146, off, s[0:3], 0 offset:500
	;; [unrolled: 1-line block ×3, first 2 shown]
	ds_read_b128 v[5:8], v190 offset:1248
	s_waitcnt vmcnt(58) lgkmcnt(1)
	v_mul_f64 v[149:150], v[129:130], v[163:164]
	v_mul_f64 v[163:164], v[131:132], v[163:164]
	s_waitcnt vmcnt(56)
	v_fma_f64 v[159:160], v[1:2], v[165:166], -v[159:160]
	v_add_f64 v[141:142], v[141:142], v[155:156]
	v_fma_f64 v[155:156], v[3:4], v[165:166], v[206:207]
	v_add_f64 v[133:134], v[133:134], v[143:144]
	s_clause 0x4
	buffer_load_dword v144, off, s[0:3], 0 offset:540
	buffer_load_dword v165, off, s[0:3], 0 offset:552
	;; [unrolled: 1-line block ×5, first 2 shown]
	s_waitcnt vmcnt(57) lgkmcnt(0)
	v_mul_f64 v[212:213], v[5:6], v[167:168]
	v_mul_f64 v[167:168], v[7:8], v[167:168]
	s_waitcnt vmcnt(56)
	v_fma_f64 v[163:164], v[129:130], v[151:152], -v[163:164]
	ds_read_b128 v[1:4], v190 offset:1264
	v_fma_f64 v[149:150], v[131:132], v[151:152], v[149:150]
	s_clause 0x2
	buffer_load_dword v166, off, s[0:3], 0 offset:556
	buffer_load_dword v152, off, s[0:3], 0 offset:532
	;; [unrolled: 1-line block ×3, first 2 shown]
	ds_read_b128 v[129:132], v190 offset:1280
	v_add_f64 v[141:142], v[141:142], v[159:160]
	v_add_f64 v[133:134], v[133:134], v[155:156]
	s_waitcnt vmcnt(58) lgkmcnt(1)
	v_mul_f64 v[159:160], v[3:4], v[171:172]
	s_waitcnt vmcnt(56)
	v_fma_f64 v[167:168], v[5:6], v[173:174], -v[167:168]
	v_mul_f64 v[155:156], v[1:2], v[171:172]
	v_add_f64 v[141:142], v[141:142], v[163:164]
	v_fma_f64 v[163:164], v[7:8], v[173:174], v[212:213]
	v_add_f64 v[133:134], v[133:134], v[149:150]
	s_clause 0x4
	buffer_load_dword v150, off, s[0:3], 0 offset:572
	buffer_load_dword v171, off, s[0:3], 0 offset:584
	;; [unrolled: 1-line block ×5, first 2 shown]
	s_waitcnt vmcnt(57) lgkmcnt(0)
	v_mul_f64 v[212:213], v[129:130], v[175:176]
	v_mul_f64 v[174:175], v[131:132], v[175:176]
	s_waitcnt vmcnt(56)
	v_fma_f64 v[159:160], v[1:2], v[161:162], -v[159:160]
	ds_read_b128 v[5:8], v190 offset:1296
	v_fma_f64 v[155:156], v[3:4], v[161:162], v[155:156]
	s_clause 0x2
	buffer_load_dword v172, off, s[0:3], 0 offset:588
	buffer_load_dword v162, off, s[0:3], 0 offset:564
	;; [unrolled: 1-line block ×3, first 2 shown]
	ds_read_b128 v[1:4], v190 offset:1312
	v_add_f64 v[141:142], v[141:142], v[167:168]
	v_add_f64 v[133:134], v[133:134], v[163:164]
	s_waitcnt vmcnt(58) lgkmcnt(1)
	v_mul_f64 v[167:168], v[7:8], v[179:180]
	s_waitcnt vmcnt(56)
	v_fma_f64 v[175:176], v[129:130], v[181:182], -v[174:175]
	v_mul_f64 v[163:164], v[5:6], v[179:180]
	v_add_f64 v[141:142], v[141:142], v[159:160]
	v_fma_f64 v[159:160], v[131:132], v[181:182], v[212:213]
	v_add_f64 v[133:134], v[133:134], v[155:156]
	s_clause 0x4
	buffer_load_dword v156, off, s[0:3], 0 offset:604
	buffer_load_dword v179, off, s[0:3], 0 offset:616
	;; [unrolled: 1-line block ×5, first 2 shown]
	s_waitcnt vmcnt(57) lgkmcnt(0)
	v_mul_f64 v[212:213], v[1:2], v[183:184]
	v_mul_f64 v[182:183], v[3:4], v[183:184]
	s_waitcnt vmcnt(56)
	v_fma_f64 v[167:168], v[5:6], v[169:170], -v[167:168]
	ds_read_b128 v[129:132], v190 offset:1328
	v_fma_f64 v[163:164], v[7:8], v[169:170], v[163:164]
	v_add_f64 v[141:142], v[141:142], v[175:176]
	v_add_f64 v[133:134], v[133:134], v[159:160]
	s_clause 0x2
	buffer_load_dword v180, off, s[0:3], 0 offset:620
	buffer_load_dword v160, off, s[0:3], 0 offset:596
	;; [unrolled: 1-line block ×3, first 2 shown]
	ds_read_b128 v[5:8], v190 offset:1344
	s_waitcnt vmcnt(58) lgkmcnt(1)
	v_mul_f64 v[175:176], v[131:132], v[185:186]
	s_waitcnt vmcnt(56)
	v_fma_f64 v[183:184], v[1:2], v[187:188], -v[182:183]
	v_mul_f64 v[169:170], v[129:130], v[185:186]
	v_add_f64 v[141:142], v[141:142], v[167:168]
	v_fma_f64 v[167:168], v[3:4], v[187:188], v[212:213]
	v_add_f64 v[133:134], v[133:134], v[163:164]
	s_clause 0x4
	buffer_load_dword v164, off, s[0:3], 0 offset:636
	buffer_load_dword v185, off, s[0:3], 0 offset:648
	;; [unrolled: 1-line block ×5, first 2 shown]
	s_waitcnt vmcnt(57) lgkmcnt(0)
	v_mul_f64 v[212:213], v[5:6], v[197:198]
	v_mul_f64 v[197:198], v[7:8], v[197:198]
	s_waitcnt vmcnt(56)
	v_fma_f64 v[175:176], v[129:130], v[177:178], -v[175:176]
	ds_read_b128 v[1:4], v190 offset:1360
	v_fma_f64 v[169:170], v[131:132], v[177:178], v[169:170]
	v_add_f64 v[141:142], v[141:142], v[183:184]
	v_add_f64 v[133:134], v[133:134], v[167:168]
	s_clause 0x2
	buffer_load_dword v186, off, s[0:3], 0 offset:652
	buffer_load_dword v168, off, s[0:3], 0 offset:628
	;; [unrolled: 1-line block ×3, first 2 shown]
	ds_read_b128 v[129:132], v190 offset:1376
	s_waitcnt vmcnt(58) lgkmcnt(1)
	v_mul_f64 v[183:184], v[3:4], v[199:200]
	v_mul_f64 v[177:178], v[1:2], v[199:200]
	s_waitcnt vmcnt(56)
	v_fma_f64 v[197:198], v[5:6], v[137:138], -v[197:198]
	v_fma_f64 v[137:138], v[7:8], v[137:138], v[212:213]
	v_add_f64 v[141:142], v[141:142], v[175:176]
	v_add_f64 v[133:134], v[133:134], v[169:170]
	s_clause 0x4
	buffer_load_dword v170, off, s[0:3], 0 offset:668
	buffer_load_dword v175, off, s[0:3], 0 offset:680
	;; [unrolled: 1-line block ×5, first 2 shown]
	ds_read_b128 v[5:8], v190 offset:1392
	s_waitcnt vmcnt(57) lgkmcnt(1)
	v_mul_f64 v[212:213], v[129:130], v[135:136]
	v_mul_f64 v[135:136], v[131:132], v[135:136]
	s_waitcnt vmcnt(56)
	v_fma_f64 v[183:184], v[1:2], v[201:202], -v[183:184]
	v_fma_f64 v[177:178], v[3:4], v[201:202], v[177:178]
	v_add_f64 v[141:142], v[141:142], v[197:198]
	v_add_f64 v[133:134], v[133:134], v[137:138]
	s_clause 0x2
	buffer_load_dword v176, off, s[0:3], 0 offset:684
	buffer_load_dword v138, off, s[0:3], 0 offset:660
	;; [unrolled: 1-line block ×3, first 2 shown]
	s_waitcnt vmcnt(58) lgkmcnt(0)
	v_mul_f64 v[201:202], v[7:8], v[203:204]
	ds_read_b128 v[1:4], v190 offset:1408
	v_mul_f64 v[197:198], v[5:6], v[203:204]
	s_waitcnt vmcnt(56)
	v_fma_f64 v[135:136], v[129:130], v[193:194], -v[135:136]
	v_add_f64 v[141:142], v[141:142], v[183:184]
	v_fma_f64 v[183:184], v[131:132], v[193:194], v[212:213]
	v_add_f64 v[133:134], v[133:134], v[177:178]
	s_clause 0x4
	buffer_load_dword v178, off, s[0:3], 0 offset:700
	buffer_load_dword v193, off, s[0:3], 0 offset:712
	;; [unrolled: 1-line block ×5, first 2 shown]
	ds_read_b128 v[129:132], v190 offset:1424
	s_waitcnt vmcnt(57) lgkmcnt(1)
	v_mul_f64 v[212:213], v[1:2], v[153:154]
	v_mul_f64 v[153:154], v[3:4], v[153:154]
	s_waitcnt vmcnt(56)
	v_fma_f64 v[201:202], v[5:6], v[208:209], -v[201:202]
	v_add_f64 v[135:136], v[141:142], v[135:136]
	v_fma_f64 v[141:142], v[7:8], v[208:209], v[197:198]
	v_add_f64 v[133:134], v[133:134], v[183:184]
	s_clause 0x2
	buffer_load_dword v194, off, s[0:3], 0 offset:716
	buffer_load_dword v184, off, s[0:3], 0 offset:692
	;; [unrolled: 1-line block ×3, first 2 shown]
	ds_read_b128 v[5:8], v190 offset:1440
	s_waitcnt vmcnt(58) lgkmcnt(1)
	v_mul_f64 v[197:198], v[129:130], v[195:196]
	v_mul_f64 v[195:196], v[131:132], v[195:196]
	s_waitcnt vmcnt(56)
	v_fma_f64 v[153:154], v[1:2], v[147:148], -v[153:154]
	v_fma_f64 v[147:148], v[3:4], v[147:148], v[212:213]
	v_add_f64 v[135:136], v[135:136], v[201:202]
	v_add_f64 v[133:134], v[133:134], v[141:142]
	s_clause 0x4
	buffer_load_dword v142, off, s[0:3], 0 offset:732
	buffer_load_dword v201, off, s[0:3], 0 offset:744
	;; [unrolled: 1-line block ×5, first 2 shown]
	ds_read_b128 v[1:4], v190 offset:1456
	s_waitcnt vmcnt(57) lgkmcnt(1)
	v_mul_f64 v[208:209], v[5:6], v[139:140]
	v_mul_f64 v[139:140], v[7:8], v[139:140]
	s_waitcnt vmcnt(56)
	v_fma_f64 v[195:196], v[129:130], v[210:211], -v[195:196]
	v_add_f64 v[135:136], v[135:136], v[153:154]
	v_fma_f64 v[153:154], v[131:132], v[210:211], v[197:198]
	v_add_f64 v[133:134], v[133:134], v[147:148]
	s_clause 0x2
	buffer_load_dword v202, off, s[0:3], 0 offset:748
	buffer_load_dword v148, off, s[0:3], 0 offset:724
	;; [unrolled: 1-line block ×3, first 2 shown]
	ds_read_b128 v[129:132], v190 offset:1472
	s_waitcnt vmcnt(58) lgkmcnt(1)
	v_mul_f64 v[197:198], v[1:2], v[157:158]
	v_mul_f64 v[157:158], v[3:4], v[157:158]
	s_waitcnt vmcnt(56)
	v_fma_f64 v[139:140], v[5:6], v[145:146], -v[139:140]
	v_fma_f64 v[145:146], v[7:8], v[145:146], v[208:209]
	v_add_f64 v[135:136], v[135:136], v[195:196]
	v_add_f64 v[133:134], v[133:134], v[153:154]
	s_clause 0x4
	buffer_load_dword v154, off, s[0:3], 0 offset:764
	buffer_load_dword v195, off, s[0:3], 0 offset:776
	;; [unrolled: 1-line block ×5, first 2 shown]
	ds_read_b128 v[5:8], v190 offset:1488
	s_waitcnt vmcnt(57) lgkmcnt(1)
	v_mul_f64 v[210:211], v[129:130], v[143:144]
	v_mul_f64 v[143:144], v[131:132], v[143:144]
	s_waitcnt vmcnt(56)
	v_fma_f64 v[157:158], v[1:2], v[205:206], -v[157:158]
	v_add_f64 v[135:136], v[135:136], v[139:140]
	v_fma_f64 v[139:140], v[3:4], v[205:206], v[197:198]
	v_add_f64 v[133:134], v[133:134], v[145:146]
	s_clause 0x2
	buffer_load_dword v196, off, s[0:3], 0 offset:780
	buffer_load_dword v146, off, s[0:3], 0 offset:756
	;; [unrolled: 1-line block ×3, first 2 shown]
	s_waitcnt vmcnt(58) lgkmcnt(0)
	v_mul_f64 v[197:198], v[5:6], v[165:166]
	v_mul_f64 v[165:166], v[7:8], v[165:166]
	ds_read_b128 v[1:4], v190 offset:1504
	s_waitcnt vmcnt(56)
	v_fma_f64 v[143:144], v[129:130], v[151:152], -v[143:144]
	v_fma_f64 v[151:152], v[131:132], v[151:152], v[210:211]
	v_add_f64 v[135:136], v[135:136], v[157:158]
	v_add_f64 v[133:134], v[133:134], v[139:140]
	s_clause 0x4
	buffer_load_dword v140, off, s[0:3], 0 offset:796
	buffer_load_dword v157, off, s[0:3], 0 offset:808
	;; [unrolled: 1-line block ×5, first 2 shown]
	ds_read_b128 v[129:132], v190 offset:1520
	s_waitcnt vmcnt(57) lgkmcnt(1)
	v_mul_f64 v[211:212], v[1:2], v[149:150]
	v_mul_f64 v[149:150], v[3:4], v[149:150]
	s_waitcnt vmcnt(56)
	v_fma_f64 v[165:166], v[5:6], v[191:192], -v[165:166]
	v_add_f64 v[135:136], v[135:136], v[143:144]
	v_fma_f64 v[143:144], v[7:8], v[191:192], v[197:198]
	v_add_f64 v[133:134], v[133:134], v[151:152]
	s_clause 0x2
	buffer_load_dword v158, off, s[0:3], 0 offset:812
	buffer_load_dword v152, off, s[0:3], 0 offset:788
	;; [unrolled: 1-line block ×3, first 2 shown]
	s_waitcnt vmcnt(58) lgkmcnt(0)
	v_mul_f64 v[191:192], v[129:130], v[171:172]
	v_mul_f64 v[171:172], v[131:132], v[171:172]
	ds_read_b128 v[5:8], v190 offset:1536
	s_waitcnt vmcnt(56)
	v_fma_f64 v[149:150], v[1:2], v[161:162], -v[149:150]
	v_fma_f64 v[161:162], v[3:4], v[161:162], v[211:212]
	v_add_f64 v[135:136], v[135:136], v[165:166]
	v_add_f64 v[133:134], v[133:134], v[143:144]
	s_clause 0x4
	buffer_load_dword v144, off, s[0:3], 0 offset:828
	buffer_load_dword v165, off, s[0:3], 0 offset:840
	buffer_load_dword v197, off, s[0:3], 0 offset:832
	buffer_load_dword v143, off, s[0:3], 0 offset:824
	buffer_load_dword v206, off, s[0:3], 0 offset:804
	ds_read_b128 v[1:4], v190 offset:1552
	s_waitcnt vmcnt(57) lgkmcnt(1)
	v_mul_f64 v[211:212], v[5:6], v[155:156]
	v_mul_f64 v[155:156], v[7:8], v[155:156]
	s_waitcnt vmcnt(56)
	v_fma_f64 v[171:172], v[129:130], v[173:174], -v[171:172]
	v_add_f64 v[135:136], v[135:136], v[149:150]
	v_fma_f64 v[149:150], v[131:132], v[173:174], v[191:192]
	v_add_f64 v[133:134], v[133:134], v[161:162]
	s_clause 0x2
	buffer_load_dword v166, off, s[0:3], 0 offset:844
	buffer_load_dword v162, off, s[0:3], 0 offset:820
	buffer_load_dword v161, off, s[0:3], 0 offset:816
	ds_read_b128 v[129:132], v190 offset:1568
	s_waitcnt vmcnt(58) lgkmcnt(1)
	v_mul_f64 v[173:174], v[1:2], v[179:180]
	v_mul_f64 v[179:180], v[3:4], v[179:180]
	s_waitcnt vmcnt(56)
	v_fma_f64 v[155:156], v[5:6], v[159:160], -v[155:156]
	v_fma_f64 v[159:160], v[7:8], v[159:160], v[211:212]
	v_add_f64 v[135:136], v[135:136], v[171:172]
	v_add_f64 v[133:134], v[133:134], v[149:150]
	s_clause 0x4
	buffer_load_dword v150, off, s[0:3], 0 offset:860
	buffer_load_dword v171, off, s[0:3], 0 offset:872
	buffer_load_dword v191, off, s[0:3], 0 offset:864
	buffer_load_dword v149, off, s[0:3], 0 offset:856
	buffer_load_dword v198, off, s[0:3], 0 offset:836
	ds_read_b128 v[5:8], v190 offset:1584
	s_waitcnt vmcnt(57) lgkmcnt(1)
	v_mul_f64 v[211:212], v[129:130], v[163:164]
	v_mul_f64 v[163:164], v[131:132], v[163:164]
	s_waitcnt vmcnt(56)
	v_fma_f64 v[179:180], v[1:2], v[181:182], -v[179:180]
	v_add_f64 v[135:136], v[135:136], v[155:156]
	v_fma_f64 v[155:156], v[3:4], v[181:182], v[173:174]
	v_add_f64 v[133:134], v[133:134], v[159:160]
	s_clause 0x2
	buffer_load_dword v172, off, s[0:3], 0 offset:876
	buffer_load_dword v160, off, s[0:3], 0 offset:852
	buffer_load_dword v159, off, s[0:3], 0 offset:848
	ds_read_b128 v[1:4], v190 offset:1600
	s_waitcnt vmcnt(58) lgkmcnt(1)
	v_mul_f64 v[181:182], v[7:8], v[185:186]
	v_mul_f64 v[173:174], v[5:6], v[185:186]
	;; [unrolled: 28-line block ×4, first 2 shown]
	s_waitcnt vmcnt(56)
	v_fma_f64 v[177:178], v[5:6], v[183:184], -v[177:178]
	v_add_f64 v[135:136], v[135:136], v[175:176]
	v_fma_f64 v[175:176], v[7:8], v[183:184], v[211:212]
	v_add_f64 v[133:134], v[133:134], v[169:170]
	s_clause 0x4
	buffer_load_dword v170, off, s[0:3], 0 offset:956
	buffer_load_dword v183, off, s[0:3], 0 offset:968
	;; [unrolled: 1-line block ×5, first 2 shown]
	ds_read_b128 v[5:8], v190 offset:1680
	s_waitcnt vmcnt(57) lgkmcnt(1)
	v_mul_f64 v[211:212], v[129:130], v[141:142]
	v_mul_f64 v[141:142], v[131:132], v[141:142]
	s_waitcnt vmcnt(56)
	v_fma_f64 v[193:194], v[1:2], v[203:204], -v[193:194]
	v_fma_f64 v[173:174], v[3:4], v[203:204], v[173:174]
	v_add_f64 v[135:136], v[135:136], v[177:178]
	v_add_f64 v[133:134], v[133:134], v[175:176]
	s_clause 0x2
	buffer_load_dword v184, off, s[0:3], 0 offset:972
	buffer_load_dword v176, off, s[0:3], 0 offset:948
	;; [unrolled: 1-line block ×3, first 2 shown]
	ds_read_b128 v[1:4], v190 offset:1696
	buffer_load_dword v200, off, s[0:3], 0 offset:964
	s_waitcnt vmcnt(59) lgkmcnt(1)
	v_mul_f64 v[177:178], v[5:6], v[201:202]
	v_mul_f64 v[201:202], v[7:8], v[201:202]
	s_waitcnt vmcnt(57)
	v_fma_f64 v[141:142], v[129:130], v[147:148], -v[141:142]
	v_fma_f64 v[147:148], v[131:132], v[147:148], v[211:212]
	ds_read_b128 v[129:132], v190 offset:1712
	v_add_f64 v[135:136], v[135:136], v[193:194]
	v_add_f64 v[133:134], v[133:134], v[173:174]
	s_waitcnt vmcnt(53) lgkmcnt(1)
	v_mul_f64 v[173:174], v[1:2], v[153:154]
	v_mul_f64 v[153:154], v[3:4], v[153:154]
	s_waitcnt vmcnt(52)
	v_fma_f64 v[193:194], v[5:6], v[207:208], -v[201:202]
	v_add_f64 v[135:136], v[135:136], v[141:142]
	v_fma_f64 v[141:142], v[7:8], v[207:208], v[177:178]
	v_add_f64 v[133:134], v[133:134], v[147:148]
	ds_read_b128 v[5:8], v190 offset:1728
	s_waitcnt vmcnt(51) lgkmcnt(1)
	v_mul_f64 v[177:178], v[131:132], v[195:196]
	v_mul_f64 v[147:148], v[129:130], v[195:196]
	s_waitcnt vmcnt(49)
	v_fma_f64 v[153:154], v[1:2], v[145:146], -v[153:154]
	v_fma_f64 v[145:146], v[3:4], v[145:146], v[173:174]
	v_add_f64 v[135:136], v[135:136], v[193:194]
	v_add_f64 v[133:134], v[133:134], v[141:142]
	s_clause 0x3
	buffer_load_dword v141, off, s[0:3], 0 offset:144
	buffer_load_dword v142, off, s[0:3], 0 offset:148
	;; [unrolled: 1-line block ×4, first 2 shown]
	ds_read_b128 v[1:4], v190 offset:1744
	s_waitcnt vmcnt(49) lgkmcnt(1)
	v_mul_f64 v[193:194], v[5:6], v[139:140]
	v_mul_f64 v[139:140], v[7:8], v[139:140]
	s_waitcnt vmcnt(48)
	v_fma_f64 v[177:178], v[129:130], v[209:210], -v[177:178]
	v_fma_f64 v[147:148], v[131:132], v[209:210], v[147:148]
	ds_read_b128 v[129:132], v190 offset:1760
	v_add_f64 v[135:136], v[135:136], v[153:154]
	v_add_f64 v[133:134], v[133:134], v[145:146]
	s_waitcnt vmcnt(47) lgkmcnt(1)
	v_mul_f64 v[153:154], v[3:4], v[157:158]
	v_mul_f64 v[145:146], v[1:2], v[157:158]
	s_waitcnt vmcnt(45)
	v_fma_f64 v[139:140], v[5:6], v[151:152], -v[139:140]
	v_fma_f64 v[151:152], v[7:8], v[151:152], v[193:194]
	ds_read_b128 v[5:8], v190 offset:1776
	v_add_f64 v[135:136], v[135:136], v[177:178]
	v_add_f64 v[133:134], v[133:134], v[147:148]
	s_waitcnt vmcnt(41) lgkmcnt(1)
	v_mul_f64 v[147:148], v[129:130], v[143:144]
	v_mul_f64 v[143:144], v[131:132], v[143:144]
	s_waitcnt vmcnt(40)
	v_fma_f64 v[153:154], v[1:2], v[205:206], -v[153:154]
	v_add_f64 v[135:136], v[135:136], v[139:140]
	v_fma_f64 v[139:140], v[3:4], v[205:206], v[145:146]
	v_add_f64 v[133:134], v[133:134], v[151:152]
	ds_read_b128 v[1:4], v190 offset:1792
	s_waitcnt vmcnt(39) lgkmcnt(1)
	v_mul_f64 v[151:152], v[7:8], v[165:166]
	v_mul_f64 v[145:146], v[5:6], v[165:166]
	s_waitcnt vmcnt(37)
	v_fma_f64 v[143:144], v[129:130], v[161:162], -v[143:144]
	v_fma_f64 v[147:148], v[131:132], v[161:162], v[147:148]
	ds_read_b128 v[129:132], v190 offset:1808
	v_add_f64 v[135:136], v[135:136], v[153:154]
	v_add_f64 v[133:134], v[133:134], v[139:140]
	s_waitcnt vmcnt(33) lgkmcnt(1)
	v_mul_f64 v[139:140], v[1:2], v[149:150]
	v_mul_f64 v[149:150], v[3:4], v[149:150]
	s_waitcnt vmcnt(32)
	v_fma_f64 v[151:152], v[5:6], v[197:198], -v[151:152]
	v_add_f64 v[135:136], v[135:136], v[143:144]
	v_fma_f64 v[143:144], v[7:8], v[197:198], v[145:146]
	v_add_f64 v[133:134], v[133:134], v[147:148]
	ds_read_b128 v[5:8], v190 offset:1824
	s_waitcnt vmcnt(31) lgkmcnt(1)
	v_mul_f64 v[147:148], v[131:132], v[171:172]
	v_mul_f64 v[145:146], v[129:130], v[171:172]
	s_waitcnt vmcnt(29)
	v_fma_f64 v[149:150], v[1:2], v[159:160], -v[149:150]
	v_fma_f64 v[139:140], v[3:4], v[159:160], v[139:140]
	ds_read_b128 v[1:4], v190 offset:1840
	v_add_f64 v[135:136], v[135:136], v[151:152]
	v_add_f64 v[133:134], v[133:134], v[143:144]
	s_waitcnt vmcnt(25) lgkmcnt(1)
	v_mul_f64 v[151:152], v[7:8], v[155:156]
	s_waitcnt vmcnt(24)
	v_fma_f64 v[147:148], v[129:130], v[191:192], -v[147:148]
	v_mul_f64 v[143:144], v[5:6], v[155:156]
	v_fma_f64 v[145:146], v[131:132], v[191:192], v[145:146]
	ds_read_b128 v[129:132], v190 offset:1856
	v_add_f64 v[135:136], v[135:136], v[149:150]
	v_add_f64 v[133:134], v[133:134], v[139:140]
	s_waitcnt vmcnt(23) lgkmcnt(1)
	v_mul_f64 v[149:150], v[3:4], v[179:180]
	v_mul_f64 v[139:140], v[1:2], v[179:180]
	s_waitcnt vmcnt(21)
	v_fma_f64 v[151:152], v[5:6], v[167:168], -v[151:152]
	v_fma_f64 v[143:144], v[7:8], v[167:168], v[143:144]
	ds_read_b128 v[5:8], v190 offset:1872
	v_add_f64 v[135:136], v[135:136], v[147:148]
	v_add_f64 v[133:134], v[133:134], v[145:146]
	s_waitcnt vmcnt(17) lgkmcnt(1)
	v_mul_f64 v[147:148], v[131:132], v[163:164]
	s_waitcnt vmcnt(16)
	v_fma_f64 v[149:150], v[1:2], v[185:186], -v[149:150]
	v_mul_f64 v[145:146], v[129:130], v[163:164]
	v_fma_f64 v[139:140], v[3:4], v[185:186], v[139:140]
	ds_read_b128 v[1:4], v190 offset:1888
	v_add_f64 v[135:136], v[135:136], v[151:152]
	v_add_f64 v[133:134], v[133:134], v[143:144]
	s_waitcnt vmcnt(15) lgkmcnt(1)
	v_mul_f64 v[151:152], v[7:8], v[181:182]
	v_mul_f64 v[143:144], v[5:6], v[181:182]
	s_waitcnt vmcnt(13)
	v_fma_f64 v[147:148], v[129:130], v[137:138], -v[147:148]
	v_fma_f64 v[137:138], v[131:132], v[137:138], v[145:146]
	ds_read_b128 v[129:132], v190 offset:1904
	v_add_f64 v[135:136], v[135:136], v[149:150]
	v_add_f64 v[133:134], v[133:134], v[139:140]
	s_waitcnt vmcnt(9) lgkmcnt(1)
	v_mul_f64 v[145:146], v[3:4], v[169:170]
	s_waitcnt vmcnt(8)
	v_fma_f64 v[5:6], v[5:6], v[187:188], -v[151:152]
	v_mul_f64 v[139:140], v[1:2], v[169:170]
	v_fma_f64 v[7:8], v[7:8], v[187:188], v[143:144]
	v_add_f64 v[135:136], v[135:136], v[147:148]
	v_add_f64 v[133:134], v[133:134], v[137:138]
	s_waitcnt vmcnt(7) lgkmcnt(0)
	v_mul_f64 v[143:144], v[131:132], v[183:184]
	v_mul_f64 v[137:138], v[129:130], v[183:184]
	s_waitcnt vmcnt(5)
	v_fma_f64 v[1:2], v[1:2], v[175:176], -v[145:146]
	v_fma_f64 v[3:4], v[3:4], v[175:176], v[139:140]
	v_add_f64 v[5:6], v[135:136], v[5:6]
	v_add_f64 v[7:8], v[133:134], v[7:8]
	s_waitcnt vmcnt(4)
	v_fma_f64 v[129:130], v[129:130], v[199:200], -v[143:144]
	v_add_f64 v[1:2], v[5:6], v[1:2]
	v_fma_f64 v[5:6], v[131:132], v[199:200], v[137:138]
	v_add_f64 v[3:4], v[7:8], v[3:4]
	v_add_f64 v[1:2], v[1:2], v[129:130]
	;; [unrolled: 1-line block ×3, first 2 shown]
	s_waitcnt vmcnt(2)
	v_add_f64 v[1:2], v[141:142], -v[1:2]
	s_waitcnt vmcnt(0)
	v_add_f64 v[3:4], v[173:174], -v[3:4]
	buffer_store_dword v2, off, s[0:3], 0 offset:148
	buffer_store_dword v1, off, s[0:3], 0 offset:144
	;; [unrolled: 1-line block ×4, first 2 shown]
	v_cmpx_lt_u32_e32 7, v0
	s_cbranch_execz .LBB123_359
; %bb.358:
	v_mov_b32_e32 v4, s65
	s_clause 0x3
	buffer_load_dword v1, v4, s[0:3], 0 offen
	buffer_load_dword v2, v4, s[0:3], 0 offen offset:4
	buffer_load_dword v3, v4, s[0:3], 0 offen offset:8
	;; [unrolled: 1-line block ×3, first 2 shown]
	buffer_store_dword v190, off, s[0:3], 0 offset:128
	buffer_store_dword v190, off, s[0:3], 0 offset:132
	;; [unrolled: 1-line block ×4, first 2 shown]
	s_waitcnt vmcnt(0)
	ds_write_b128 v189, v[1:4]
.LBB123_359:
	s_or_b32 exec_lo, exec_lo, s4
	s_waitcnt lgkmcnt(0)
	s_waitcnt_vscnt null, 0x0
	s_barrier
	buffer_gl0_inv
	s_clause 0x37
	buffer_load_dword v137, off, s[0:3], 0 offset:152
	buffer_load_dword v138, off, s[0:3], 0 offset:156
	;; [unrolled: 1-line block ×56, first 2 shown]
	ds_read_b128 v[5:8], v190 offset:1088
	s_clause 0x2
	buffer_load_dword v186, off, s[0:3], 0 offset:380
	buffer_load_dword v188, off, s[0:3], 0 offset:356
	;; [unrolled: 1-line block ×3, first 2 shown]
	ds_read_b128 v[1:4], v190 offset:1104
	s_clause 0x4
	buffer_load_dword v198, off, s[0:3], 0 offset:396
	buffer_load_dword v199, off, s[0:3], 0 offset:408
	buffer_load_dword v201, off, s[0:3], 0 offset:400
	buffer_load_dword v197, off, s[0:3], 0 offset:392
	buffer_load_dword v178, off, s[0:3], 0 offset:372
	ds_read_b128 v[191:194], v190 offset:1120
	s_mov_b32 s4, exec_lo
	s_waitcnt vmcnt(62) lgkmcnt(2)
	v_mul_f64 v[195:196], v[7:8], v[137:138]
	v_mul_f64 v[137:138], v[5:6], v[137:138]
	s_waitcnt vmcnt(60) lgkmcnt(1)
	v_mul_f64 v[202:203], v[3:4], v[133:134]
	v_mul_f64 v[133:134], v[1:2], v[133:134]
	s_waitcnt vmcnt(56) lgkmcnt(0)
	v_mul_f64 v[204:205], v[191:192], v[131:132]
	v_mul_f64 v[131:132], v[193:194], v[131:132]
	v_fma_f64 v[195:196], v[5:6], v[135:136], -v[195:196]
	v_fma_f64 v[135:136], v[7:8], v[135:136], v[137:138]
	s_clause 0x2
	buffer_load_dword v200, off, s[0:3], 0 offset:412
	buffer_load_dword v138, off, s[0:3], 0 offset:388
	;; [unrolled: 1-line block ×3, first 2 shown]
	s_waitcnt vmcnt(57)
	v_fma_f64 v[206:207], v[1:2], v[129:130], -v[202:203]
	ds_read_b128 v[5:8], v190 offset:1136
	v_fma_f64 v[129:130], v[3:4], v[129:130], v[133:134]
	s_waitcnt vmcnt(51)
	v_fma_f64 v[191:192], v[191:192], v[153:154], -v[131:132]
	v_fma_f64 v[153:154], v[193:194], v[153:154], v[204:205]
	v_add_f64 v[195:196], v[195:196], 0
	v_add_f64 v[133:134], v[135:136], 0
	s_clause 0x4
	buffer_load_dword v136, off, s[0:3], 0 offset:428
	buffer_load_dword v203, off, s[0:3], 0 offset:440
	;; [unrolled: 1-line block ×5, first 2 shown]
	s_waitcnt lgkmcnt(0)
	v_mul_f64 v[209:210], v[5:6], v[141:142]
	v_mul_f64 v[141:142], v[7:8], v[141:142]
	ds_read_b128 v[1:4], v190 offset:1152
	s_clause 0x2
	buffer_load_dword v204, off, s[0:3], 0 offset:444
	buffer_load_dword v194, off, s[0:3], 0 offset:420
	;; [unrolled: 1-line block ×3, first 2 shown]
	v_add_f64 v[195:196], v[195:196], v[206:207]
	v_add_f64 v[133:134], v[133:134], v[129:130]
	ds_read_b128 v[129:132], v190 offset:1168
	s_waitcnt vmcnt(58) lgkmcnt(1)
	v_mul_f64 v[205:206], v[1:2], v[145:146]
	v_mul_f64 v[145:146], v[3:4], v[145:146]
	s_waitcnt vmcnt(56)
	v_fma_f64 v[141:142], v[5:6], v[147:148], -v[141:142]
	v_fma_f64 v[147:148], v[7:8], v[147:148], v[209:210]
	s_waitcnt vmcnt(52) lgkmcnt(0)
	v_mul_f64 v[211:212], v[129:130], v[149:150]
	v_add_f64 v[191:192], v[195:196], v[191:192]
	v_add_f64 v[133:134], v[133:134], v[153:154]
	s_clause 0x4
	buffer_load_dword v154, off, s[0:3], 0 offset:460
	buffer_load_dword v195, off, s[0:3], 0 offset:472
	;; [unrolled: 1-line block ×5, first 2 shown]
	v_mul_f64 v[149:150], v[131:132], v[149:150]
	s_waitcnt vmcnt(56)
	v_fma_f64 v[145:146], v[1:2], v[139:140], -v[145:146]
	ds_read_b128 v[5:8], v190 offset:1184
	v_fma_f64 v[139:140], v[3:4], v[139:140], v[205:206]
	v_add_f64 v[141:142], v[191:192], v[141:142]
	v_add_f64 v[133:134], v[133:134], v[147:148]
	s_clause 0x2
	buffer_load_dword v196, off, s[0:3], 0 offset:476
	buffer_load_dword v148, off, s[0:3], 0 offset:452
	;; [unrolled: 1-line block ×3, first 2 shown]
	s_waitcnt vmcnt(58) lgkmcnt(0)
	v_mul_f64 v[191:192], v[5:6], v[155:156]
	v_mul_f64 v[155:156], v[7:8], v[155:156]
	s_waitcnt vmcnt(56)
	v_fma_f64 v[149:150], v[129:130], v[157:158], -v[149:150]
	ds_read_b128 v[1:4], v190 offset:1200
	v_add_f64 v[141:142], v[141:142], v[145:146]
	v_fma_f64 v[145:146], v[131:132], v[157:158], v[211:212]
	v_add_f64 v[133:134], v[133:134], v[139:140]
	s_clause 0x4
	buffer_load_dword v140, off, s[0:3], 0 offset:492
	buffer_load_dword v157, off, s[0:3], 0 offset:504
	;; [unrolled: 1-line block ×5, first 2 shown]
	s_waitcnt vmcnt(57) lgkmcnt(0)
	v_mul_f64 v[206:207], v[1:2], v[159:160]
	v_mul_f64 v[159:160], v[3:4], v[159:160]
	s_waitcnt vmcnt(56)
	v_fma_f64 v[155:156], v[5:6], v[143:144], -v[155:156]
	ds_read_b128 v[129:132], v190 offset:1216
	v_fma_f64 v[143:144], v[7:8], v[143:144], v[191:192]
	v_add_f64 v[141:142], v[141:142], v[149:150]
	v_add_f64 v[133:134], v[133:134], v[145:146]
	s_clause 0x2
	buffer_load_dword v158, off, s[0:3], 0 offset:508
	buffer_load_dword v146, off, s[0:3], 0 offset:484
	;; [unrolled: 1-line block ×3, first 2 shown]
	ds_read_b128 v[5:8], v190 offset:1232
	s_waitcnt vmcnt(58) lgkmcnt(1)
	v_mul_f64 v[149:150], v[129:130], v[163:164]
	v_mul_f64 v[163:164], v[131:132], v[163:164]
	s_waitcnt vmcnt(56)
	v_fma_f64 v[159:160], v[1:2], v[165:166], -v[159:160]
	v_add_f64 v[141:142], v[141:142], v[155:156]
	v_fma_f64 v[155:156], v[3:4], v[165:166], v[206:207]
	v_add_f64 v[133:134], v[133:134], v[143:144]
	s_clause 0x4
	buffer_load_dword v144, off, s[0:3], 0 offset:524
	buffer_load_dword v165, off, s[0:3], 0 offset:536
	;; [unrolled: 1-line block ×5, first 2 shown]
	s_waitcnt vmcnt(57) lgkmcnt(0)
	v_mul_f64 v[212:213], v[5:6], v[167:168]
	v_mul_f64 v[167:168], v[7:8], v[167:168]
	s_waitcnt vmcnt(56)
	v_fma_f64 v[163:164], v[129:130], v[151:152], -v[163:164]
	ds_read_b128 v[1:4], v190 offset:1248
	v_fma_f64 v[149:150], v[131:132], v[151:152], v[149:150]
	s_clause 0x2
	buffer_load_dword v166, off, s[0:3], 0 offset:540
	buffer_load_dword v152, off, s[0:3], 0 offset:516
	;; [unrolled: 1-line block ×3, first 2 shown]
	ds_read_b128 v[129:132], v190 offset:1264
	v_add_f64 v[141:142], v[141:142], v[159:160]
	v_add_f64 v[133:134], v[133:134], v[155:156]
	s_waitcnt vmcnt(58) lgkmcnt(1)
	v_mul_f64 v[159:160], v[3:4], v[171:172]
	s_waitcnt vmcnt(56)
	v_fma_f64 v[167:168], v[5:6], v[173:174], -v[167:168]
	v_mul_f64 v[155:156], v[1:2], v[171:172]
	v_add_f64 v[141:142], v[141:142], v[163:164]
	v_fma_f64 v[163:164], v[7:8], v[173:174], v[212:213]
	v_add_f64 v[133:134], v[133:134], v[149:150]
	s_clause 0x4
	buffer_load_dword v150, off, s[0:3], 0 offset:556
	buffer_load_dword v171, off, s[0:3], 0 offset:568
	;; [unrolled: 1-line block ×5, first 2 shown]
	s_waitcnt vmcnt(57) lgkmcnt(0)
	v_mul_f64 v[212:213], v[129:130], v[175:176]
	v_mul_f64 v[174:175], v[131:132], v[175:176]
	s_waitcnt vmcnt(56)
	v_fma_f64 v[159:160], v[1:2], v[161:162], -v[159:160]
	ds_read_b128 v[5:8], v190 offset:1280
	v_fma_f64 v[155:156], v[3:4], v[161:162], v[155:156]
	s_clause 0x2
	buffer_load_dword v172, off, s[0:3], 0 offset:572
	buffer_load_dword v162, off, s[0:3], 0 offset:548
	buffer_load_dword v161, off, s[0:3], 0 offset:544
	ds_read_b128 v[1:4], v190 offset:1296
	v_add_f64 v[141:142], v[141:142], v[167:168]
	v_add_f64 v[133:134], v[133:134], v[163:164]
	s_waitcnt vmcnt(58) lgkmcnt(1)
	v_mul_f64 v[167:168], v[7:8], v[179:180]
	s_waitcnt vmcnt(56)
	v_fma_f64 v[175:176], v[129:130], v[181:182], -v[174:175]
	v_mul_f64 v[163:164], v[5:6], v[179:180]
	v_add_f64 v[141:142], v[141:142], v[159:160]
	v_fma_f64 v[159:160], v[131:132], v[181:182], v[212:213]
	v_add_f64 v[133:134], v[133:134], v[155:156]
	s_clause 0x4
	buffer_load_dword v156, off, s[0:3], 0 offset:588
	buffer_load_dword v179, off, s[0:3], 0 offset:600
	;; [unrolled: 1-line block ×5, first 2 shown]
	s_waitcnt vmcnt(57) lgkmcnt(0)
	v_mul_f64 v[212:213], v[1:2], v[183:184]
	v_mul_f64 v[182:183], v[3:4], v[183:184]
	s_waitcnt vmcnt(56)
	v_fma_f64 v[167:168], v[5:6], v[169:170], -v[167:168]
	ds_read_b128 v[129:132], v190 offset:1312
	v_fma_f64 v[163:164], v[7:8], v[169:170], v[163:164]
	v_add_f64 v[141:142], v[141:142], v[175:176]
	v_add_f64 v[133:134], v[133:134], v[159:160]
	s_clause 0x2
	buffer_load_dword v180, off, s[0:3], 0 offset:604
	buffer_load_dword v160, off, s[0:3], 0 offset:580
	;; [unrolled: 1-line block ×3, first 2 shown]
	ds_read_b128 v[5:8], v190 offset:1328
	s_waitcnt vmcnt(58) lgkmcnt(1)
	v_mul_f64 v[175:176], v[131:132], v[185:186]
	s_waitcnt vmcnt(56)
	v_fma_f64 v[183:184], v[1:2], v[187:188], -v[182:183]
	v_mul_f64 v[169:170], v[129:130], v[185:186]
	v_add_f64 v[141:142], v[141:142], v[167:168]
	v_fma_f64 v[167:168], v[3:4], v[187:188], v[212:213]
	v_add_f64 v[133:134], v[133:134], v[163:164]
	s_clause 0x4
	buffer_load_dword v164, off, s[0:3], 0 offset:620
	buffer_load_dword v185, off, s[0:3], 0 offset:632
	;; [unrolled: 1-line block ×5, first 2 shown]
	s_waitcnt vmcnt(57) lgkmcnt(0)
	v_mul_f64 v[212:213], v[5:6], v[197:198]
	v_mul_f64 v[197:198], v[7:8], v[197:198]
	s_waitcnt vmcnt(56)
	v_fma_f64 v[175:176], v[129:130], v[177:178], -v[175:176]
	ds_read_b128 v[1:4], v190 offset:1344
	v_fma_f64 v[169:170], v[131:132], v[177:178], v[169:170]
	v_add_f64 v[141:142], v[141:142], v[183:184]
	v_add_f64 v[133:134], v[133:134], v[167:168]
	s_clause 0x2
	buffer_load_dword v186, off, s[0:3], 0 offset:636
	buffer_load_dword v168, off, s[0:3], 0 offset:612
	;; [unrolled: 1-line block ×3, first 2 shown]
	ds_read_b128 v[129:132], v190 offset:1360
	s_waitcnt vmcnt(58) lgkmcnt(1)
	v_mul_f64 v[183:184], v[3:4], v[199:200]
	v_mul_f64 v[177:178], v[1:2], v[199:200]
	s_waitcnt vmcnt(56)
	v_fma_f64 v[197:198], v[5:6], v[137:138], -v[197:198]
	v_fma_f64 v[137:138], v[7:8], v[137:138], v[212:213]
	v_add_f64 v[141:142], v[141:142], v[175:176]
	v_add_f64 v[133:134], v[133:134], v[169:170]
	s_clause 0x4
	buffer_load_dword v170, off, s[0:3], 0 offset:652
	buffer_load_dword v175, off, s[0:3], 0 offset:664
	;; [unrolled: 1-line block ×5, first 2 shown]
	ds_read_b128 v[5:8], v190 offset:1376
	s_waitcnt vmcnt(57) lgkmcnt(1)
	v_mul_f64 v[212:213], v[129:130], v[135:136]
	v_mul_f64 v[135:136], v[131:132], v[135:136]
	s_waitcnt vmcnt(56)
	v_fma_f64 v[183:184], v[1:2], v[201:202], -v[183:184]
	v_fma_f64 v[177:178], v[3:4], v[201:202], v[177:178]
	v_add_f64 v[141:142], v[141:142], v[197:198]
	v_add_f64 v[133:134], v[133:134], v[137:138]
	s_clause 0x2
	buffer_load_dword v176, off, s[0:3], 0 offset:668
	buffer_load_dword v138, off, s[0:3], 0 offset:644
	;; [unrolled: 1-line block ×3, first 2 shown]
	s_waitcnt vmcnt(58) lgkmcnt(0)
	v_mul_f64 v[201:202], v[7:8], v[203:204]
	ds_read_b128 v[1:4], v190 offset:1392
	v_mul_f64 v[197:198], v[5:6], v[203:204]
	s_waitcnt vmcnt(56)
	v_fma_f64 v[135:136], v[129:130], v[193:194], -v[135:136]
	v_add_f64 v[141:142], v[141:142], v[183:184]
	v_fma_f64 v[183:184], v[131:132], v[193:194], v[212:213]
	v_add_f64 v[133:134], v[133:134], v[177:178]
	s_clause 0x4
	buffer_load_dword v178, off, s[0:3], 0 offset:684
	buffer_load_dword v193, off, s[0:3], 0 offset:696
	buffer_load_dword v203, off, s[0:3], 0 offset:688
	buffer_load_dword v177, off, s[0:3], 0 offset:680
	buffer_load_dword v200, off, s[0:3], 0 offset:660
	ds_read_b128 v[129:132], v190 offset:1408
	s_waitcnt vmcnt(57) lgkmcnt(1)
	v_mul_f64 v[212:213], v[1:2], v[153:154]
	v_mul_f64 v[153:154], v[3:4], v[153:154]
	s_waitcnt vmcnt(56)
	v_fma_f64 v[201:202], v[5:6], v[208:209], -v[201:202]
	v_add_f64 v[135:136], v[141:142], v[135:136]
	v_fma_f64 v[141:142], v[7:8], v[208:209], v[197:198]
	v_add_f64 v[133:134], v[133:134], v[183:184]
	s_clause 0x2
	buffer_load_dword v194, off, s[0:3], 0 offset:700
	buffer_load_dword v184, off, s[0:3], 0 offset:676
	;; [unrolled: 1-line block ×3, first 2 shown]
	ds_read_b128 v[5:8], v190 offset:1424
	s_waitcnt vmcnt(58) lgkmcnt(1)
	v_mul_f64 v[197:198], v[129:130], v[195:196]
	v_mul_f64 v[195:196], v[131:132], v[195:196]
	s_waitcnt vmcnt(56)
	v_fma_f64 v[153:154], v[1:2], v[147:148], -v[153:154]
	v_fma_f64 v[147:148], v[3:4], v[147:148], v[212:213]
	v_add_f64 v[135:136], v[135:136], v[201:202]
	v_add_f64 v[133:134], v[133:134], v[141:142]
	s_clause 0x4
	buffer_load_dword v142, off, s[0:3], 0 offset:716
	buffer_load_dword v201, off, s[0:3], 0 offset:728
	;; [unrolled: 1-line block ×5, first 2 shown]
	ds_read_b128 v[1:4], v190 offset:1440
	s_waitcnt vmcnt(57) lgkmcnt(1)
	v_mul_f64 v[208:209], v[5:6], v[139:140]
	v_mul_f64 v[139:140], v[7:8], v[139:140]
	s_waitcnt vmcnt(56)
	v_fma_f64 v[195:196], v[129:130], v[210:211], -v[195:196]
	v_add_f64 v[135:136], v[135:136], v[153:154]
	v_fma_f64 v[153:154], v[131:132], v[210:211], v[197:198]
	v_add_f64 v[133:134], v[133:134], v[147:148]
	s_clause 0x2
	buffer_load_dword v202, off, s[0:3], 0 offset:732
	buffer_load_dword v148, off, s[0:3], 0 offset:708
	buffer_load_dword v147, off, s[0:3], 0 offset:704
	ds_read_b128 v[129:132], v190 offset:1456
	s_waitcnt vmcnt(58) lgkmcnt(1)
	v_mul_f64 v[197:198], v[1:2], v[157:158]
	v_mul_f64 v[157:158], v[3:4], v[157:158]
	s_waitcnt vmcnt(56)
	v_fma_f64 v[139:140], v[5:6], v[145:146], -v[139:140]
	v_fma_f64 v[145:146], v[7:8], v[145:146], v[208:209]
	v_add_f64 v[135:136], v[135:136], v[195:196]
	v_add_f64 v[133:134], v[133:134], v[153:154]
	s_clause 0x4
	buffer_load_dword v154, off, s[0:3], 0 offset:748
	buffer_load_dword v195, off, s[0:3], 0 offset:760
	;; [unrolled: 1-line block ×5, first 2 shown]
	ds_read_b128 v[5:8], v190 offset:1472
	s_waitcnt vmcnt(57) lgkmcnt(1)
	v_mul_f64 v[210:211], v[129:130], v[143:144]
	v_mul_f64 v[143:144], v[131:132], v[143:144]
	s_waitcnt vmcnt(56)
	v_fma_f64 v[157:158], v[1:2], v[205:206], -v[157:158]
	v_add_f64 v[135:136], v[135:136], v[139:140]
	v_fma_f64 v[139:140], v[3:4], v[205:206], v[197:198]
	v_add_f64 v[133:134], v[133:134], v[145:146]
	s_clause 0x2
	buffer_load_dword v196, off, s[0:3], 0 offset:764
	buffer_load_dword v146, off, s[0:3], 0 offset:740
	buffer_load_dword v145, off, s[0:3], 0 offset:736
	s_waitcnt vmcnt(58) lgkmcnt(0)
	v_mul_f64 v[197:198], v[5:6], v[165:166]
	v_mul_f64 v[165:166], v[7:8], v[165:166]
	ds_read_b128 v[1:4], v190 offset:1488
	s_waitcnt vmcnt(56)
	v_fma_f64 v[143:144], v[129:130], v[151:152], -v[143:144]
	v_fma_f64 v[151:152], v[131:132], v[151:152], v[210:211]
	v_add_f64 v[135:136], v[135:136], v[157:158]
	v_add_f64 v[133:134], v[133:134], v[139:140]
	s_clause 0x4
	buffer_load_dword v140, off, s[0:3], 0 offset:780
	buffer_load_dword v157, off, s[0:3], 0 offset:792
	;; [unrolled: 1-line block ×5, first 2 shown]
	ds_read_b128 v[129:132], v190 offset:1504
	s_waitcnt vmcnt(57) lgkmcnt(1)
	v_mul_f64 v[211:212], v[1:2], v[149:150]
	v_mul_f64 v[149:150], v[3:4], v[149:150]
	s_waitcnt vmcnt(56)
	v_fma_f64 v[165:166], v[5:6], v[191:192], -v[165:166]
	v_add_f64 v[135:136], v[135:136], v[143:144]
	v_fma_f64 v[143:144], v[7:8], v[191:192], v[197:198]
	v_add_f64 v[133:134], v[133:134], v[151:152]
	s_clause 0x2
	buffer_load_dword v158, off, s[0:3], 0 offset:796
	buffer_load_dword v152, off, s[0:3], 0 offset:772
	;; [unrolled: 1-line block ×3, first 2 shown]
	s_waitcnt vmcnt(58) lgkmcnt(0)
	v_mul_f64 v[191:192], v[129:130], v[171:172]
	v_mul_f64 v[171:172], v[131:132], v[171:172]
	ds_read_b128 v[5:8], v190 offset:1520
	s_waitcnt vmcnt(56)
	v_fma_f64 v[149:150], v[1:2], v[161:162], -v[149:150]
	v_fma_f64 v[161:162], v[3:4], v[161:162], v[211:212]
	v_add_f64 v[135:136], v[135:136], v[165:166]
	v_add_f64 v[133:134], v[133:134], v[143:144]
	s_clause 0x4
	buffer_load_dword v144, off, s[0:3], 0 offset:812
	buffer_load_dword v165, off, s[0:3], 0 offset:824
	buffer_load_dword v197, off, s[0:3], 0 offset:816
	buffer_load_dword v143, off, s[0:3], 0 offset:808
	buffer_load_dword v206, off, s[0:3], 0 offset:788
	ds_read_b128 v[1:4], v190 offset:1536
	s_waitcnt vmcnt(57) lgkmcnt(1)
	v_mul_f64 v[211:212], v[5:6], v[155:156]
	v_mul_f64 v[155:156], v[7:8], v[155:156]
	s_waitcnt vmcnt(56)
	v_fma_f64 v[171:172], v[129:130], v[173:174], -v[171:172]
	v_add_f64 v[135:136], v[135:136], v[149:150]
	v_fma_f64 v[149:150], v[131:132], v[173:174], v[191:192]
	v_add_f64 v[133:134], v[133:134], v[161:162]
	s_clause 0x2
	buffer_load_dword v166, off, s[0:3], 0 offset:828
	buffer_load_dword v162, off, s[0:3], 0 offset:804
	buffer_load_dword v161, off, s[0:3], 0 offset:800
	ds_read_b128 v[129:132], v190 offset:1552
	s_waitcnt vmcnt(58) lgkmcnt(1)
	v_mul_f64 v[173:174], v[1:2], v[179:180]
	v_mul_f64 v[179:180], v[3:4], v[179:180]
	s_waitcnt vmcnt(56)
	v_fma_f64 v[155:156], v[5:6], v[159:160], -v[155:156]
	v_fma_f64 v[159:160], v[7:8], v[159:160], v[211:212]
	v_add_f64 v[135:136], v[135:136], v[171:172]
	v_add_f64 v[133:134], v[133:134], v[149:150]
	s_clause 0x4
	buffer_load_dword v150, off, s[0:3], 0 offset:844
	buffer_load_dword v171, off, s[0:3], 0 offset:856
	buffer_load_dword v191, off, s[0:3], 0 offset:848
	buffer_load_dword v149, off, s[0:3], 0 offset:840
	buffer_load_dword v198, off, s[0:3], 0 offset:820
	ds_read_b128 v[5:8], v190 offset:1568
	s_waitcnt vmcnt(57) lgkmcnt(1)
	v_mul_f64 v[211:212], v[129:130], v[163:164]
	v_mul_f64 v[163:164], v[131:132], v[163:164]
	s_waitcnt vmcnt(56)
	v_fma_f64 v[179:180], v[1:2], v[181:182], -v[179:180]
	v_add_f64 v[135:136], v[135:136], v[155:156]
	v_fma_f64 v[155:156], v[3:4], v[181:182], v[173:174]
	v_add_f64 v[133:134], v[133:134], v[159:160]
	s_clause 0x2
	buffer_load_dword v172, off, s[0:3], 0 offset:860
	buffer_load_dword v160, off, s[0:3], 0 offset:836
	buffer_load_dword v159, off, s[0:3], 0 offset:832
	ds_read_b128 v[1:4], v190 offset:1584
	s_waitcnt vmcnt(58) lgkmcnt(1)
	v_mul_f64 v[181:182], v[7:8], v[185:186]
	v_mul_f64 v[173:174], v[5:6], v[185:186]
	;; [unrolled: 28-line block ×4, first 2 shown]
	s_waitcnt vmcnt(56)
	v_fma_f64 v[177:178], v[5:6], v[183:184], -v[177:178]
	v_add_f64 v[135:136], v[135:136], v[175:176]
	v_fma_f64 v[175:176], v[7:8], v[183:184], v[211:212]
	v_add_f64 v[133:134], v[133:134], v[169:170]
	s_clause 0x4
	buffer_load_dword v170, off, s[0:3], 0 offset:940
	buffer_load_dword v183, off, s[0:3], 0 offset:952
	;; [unrolled: 1-line block ×5, first 2 shown]
	ds_read_b128 v[5:8], v190 offset:1664
	s_waitcnt vmcnt(57) lgkmcnt(1)
	v_mul_f64 v[211:212], v[129:130], v[141:142]
	v_mul_f64 v[141:142], v[131:132], v[141:142]
	s_waitcnt vmcnt(56)
	v_fma_f64 v[193:194], v[1:2], v[203:204], -v[193:194]
	v_fma_f64 v[173:174], v[3:4], v[203:204], v[173:174]
	v_add_f64 v[135:136], v[135:136], v[177:178]
	v_add_f64 v[133:134], v[133:134], v[175:176]
	s_clause 0x2
	buffer_load_dword v184, off, s[0:3], 0 offset:956
	buffer_load_dword v176, off, s[0:3], 0 offset:932
	;; [unrolled: 1-line block ×3, first 2 shown]
	ds_read_b128 v[1:4], v190 offset:1680
	s_waitcnt vmcnt(58) lgkmcnt(1)
	v_mul_f64 v[177:178], v[5:6], v[201:202]
	v_mul_f64 v[201:202], v[7:8], v[201:202]
	s_waitcnt vmcnt(56)
	v_fma_f64 v[141:142], v[129:130], v[147:148], -v[141:142]
	v_fma_f64 v[147:148], v[131:132], v[147:148], v[211:212]
	v_add_f64 v[135:136], v[135:136], v[193:194]
	v_add_f64 v[133:134], v[133:134], v[173:174]
	s_clause 0x2
	buffer_load_dword v174, off, s[0:3], 0 offset:972
	buffer_load_dword v173, off, s[0:3], 0 offset:968
	buffer_load_dword v200, off, s[0:3], 0 offset:948
	ds_read_b128 v[129:132], v190 offset:1696
	s_waitcnt vmcnt(55) lgkmcnt(1)
	v_mul_f64 v[193:194], v[1:2], v[153:154]
	v_mul_f64 v[153:154], v[3:4], v[153:154]
	s_waitcnt vmcnt(54)
	v_fma_f64 v[201:202], v[5:6], v[207:208], -v[201:202]
	v_add_f64 v[135:136], v[135:136], v[141:142]
	v_fma_f64 v[141:142], v[7:8], v[207:208], v[177:178]
	v_add_f64 v[133:134], v[133:134], v[147:148]
	s_clause 0x1
	buffer_load_dword v148, off, s[0:3], 0 offset:964
	buffer_load_dword v147, off, s[0:3], 0 offset:960
	ds_read_b128 v[5:8], v190 offset:1712
	s_waitcnt vmcnt(55) lgkmcnt(1)
	v_mul_f64 v[177:178], v[129:130], v[195:196]
	v_mul_f64 v[195:196], v[131:132], v[195:196]
	s_waitcnt vmcnt(53)
	v_fma_f64 v[153:154], v[1:2], v[145:146], -v[153:154]
	v_fma_f64 v[145:146], v[3:4], v[145:146], v[193:194]
	ds_read_b128 v[1:4], v190 offset:1728
	v_add_f64 v[135:136], v[135:136], v[201:202]
	v_add_f64 v[133:134], v[133:134], v[141:142]
	s_waitcnt vmcnt(49) lgkmcnt(1)
	v_mul_f64 v[141:142], v[5:6], v[139:140]
	v_mul_f64 v[139:140], v[7:8], v[139:140]
	s_waitcnt vmcnt(48)
	v_fma_f64 v[193:194], v[129:130], v[209:210], -v[195:196]
	v_add_f64 v[135:136], v[135:136], v[153:154]
	v_fma_f64 v[153:154], v[131:132], v[209:210], v[177:178]
	v_add_f64 v[133:134], v[133:134], v[145:146]
	s_clause 0x3
	buffer_load_dword v145, off, s[0:3], 0 offset:128
	buffer_load_dword v146, off, s[0:3], 0 offset:132
	buffer_load_dword v177, off, s[0:3], 0 offset:136
	buffer_load_dword v178, off, s[0:3], 0 offset:140
	ds_read_b128 v[129:132], v190 offset:1744
	s_waitcnt vmcnt(51) lgkmcnt(1)
	v_mul_f64 v[195:196], v[1:2], v[157:158]
	v_mul_f64 v[157:158], v[3:4], v[157:158]
	s_waitcnt vmcnt(49)
	v_fma_f64 v[139:140], v[5:6], v[151:152], -v[139:140]
	v_fma_f64 v[141:142], v[7:8], v[151:152], v[141:142]
	ds_read_b128 v[5:8], v190 offset:1760
	v_add_f64 v[135:136], v[135:136], v[193:194]
	v_add_f64 v[133:134], v[133:134], v[153:154]
	s_waitcnt vmcnt(45) lgkmcnt(1)
	v_mul_f64 v[151:152], v[129:130], v[143:144]
	v_mul_f64 v[143:144], v[131:132], v[143:144]
	s_waitcnt vmcnt(44)
	v_fma_f64 v[153:154], v[1:2], v[205:206], -v[157:158]
	v_add_f64 v[135:136], v[135:136], v[139:140]
	v_fma_f64 v[139:140], v[3:4], v[205:206], v[195:196]
	v_add_f64 v[133:134], v[133:134], v[141:142]
	ds_read_b128 v[1:4], v190 offset:1776
	s_waitcnt vmcnt(43) lgkmcnt(1)
	v_mul_f64 v[157:158], v[7:8], v[165:166]
	v_mul_f64 v[141:142], v[5:6], v[165:166]
	s_waitcnt vmcnt(41)
	v_fma_f64 v[143:144], v[129:130], v[161:162], -v[143:144]
	v_fma_f64 v[151:152], v[131:132], v[161:162], v[151:152]
	ds_read_b128 v[129:132], v190 offset:1792
	v_add_f64 v[135:136], v[135:136], v[153:154]
	v_add_f64 v[133:134], v[133:134], v[139:140]
	s_waitcnt vmcnt(37) lgkmcnt(1)
	v_mul_f64 v[139:140], v[1:2], v[149:150]
	v_mul_f64 v[149:150], v[3:4], v[149:150]
	s_waitcnt vmcnt(36)
	v_fma_f64 v[153:154], v[5:6], v[197:198], -v[157:158]
	v_fma_f64 v[141:142], v[7:8], v[197:198], v[141:142]
	ds_read_b128 v[5:8], v190 offset:1808
	v_add_f64 v[135:136], v[135:136], v[143:144]
	v_add_f64 v[133:134], v[133:134], v[151:152]
	;; [unrolled: 9-line block ×3, first 2 shown]
	s_waitcnt vmcnt(29) lgkmcnt(1)
	v_mul_f64 v[153:154], v[7:8], v[155:156]
	s_waitcnt vmcnt(28)
	v_fma_f64 v[151:152], v[129:130], v[191:192], -v[151:152]
	v_mul_f64 v[141:142], v[5:6], v[155:156]
	v_fma_f64 v[143:144], v[131:132], v[191:192], v[143:144]
	ds_read_b128 v[129:132], v190 offset:1840
	v_add_f64 v[135:136], v[135:136], v[149:150]
	v_add_f64 v[133:134], v[133:134], v[139:140]
	s_waitcnt vmcnt(27) lgkmcnt(1)
	v_mul_f64 v[149:150], v[3:4], v[179:180]
	v_mul_f64 v[139:140], v[1:2], v[179:180]
	s_waitcnt vmcnt(25)
	v_fma_f64 v[153:154], v[5:6], v[167:168], -v[153:154]
	v_fma_f64 v[141:142], v[7:8], v[167:168], v[141:142]
	ds_read_b128 v[5:8], v190 offset:1856
	v_add_f64 v[135:136], v[135:136], v[151:152]
	v_add_f64 v[133:134], v[133:134], v[143:144]
	s_waitcnt vmcnt(21) lgkmcnt(1)
	v_mul_f64 v[151:152], v[131:132], v[163:164]
	s_waitcnt vmcnt(20)
	v_fma_f64 v[149:150], v[1:2], v[185:186], -v[149:150]
	v_mul_f64 v[143:144], v[129:130], v[163:164]
	v_fma_f64 v[139:140], v[3:4], v[185:186], v[139:140]
	ds_read_b128 v[1:4], v190 offset:1872
	v_add_f64 v[135:136], v[135:136], v[153:154]
	v_add_f64 v[133:134], v[133:134], v[141:142]
	s_waitcnt vmcnt(19) lgkmcnt(1)
	v_mul_f64 v[153:154], v[7:8], v[181:182]
	v_mul_f64 v[141:142], v[5:6], v[181:182]
	s_waitcnt vmcnt(17)
	v_fma_f64 v[151:152], v[129:130], v[137:138], -v[151:152]
	v_fma_f64 v[137:138], v[131:132], v[137:138], v[143:144]
	ds_read_b128 v[129:132], v190 offset:1888
	v_add_f64 v[135:136], v[135:136], v[149:150]
	v_add_f64 v[133:134], v[133:134], v[139:140]
	s_waitcnt vmcnt(13) lgkmcnt(1)
	v_mul_f64 v[143:144], v[3:4], v[169:170]
	s_waitcnt vmcnt(12)
	v_fma_f64 v[149:150], v[5:6], v[187:188], -v[153:154]
	v_mul_f64 v[139:140], v[1:2], v[169:170]
	v_fma_f64 v[141:142], v[7:8], v[187:188], v[141:142]
	ds_read_b128 v[5:8], v190 offset:1904
	v_add_f64 v[135:136], v[135:136], v[151:152]
	v_add_f64 v[133:134], v[133:134], v[137:138]
	s_waitcnt vmcnt(11) lgkmcnt(1)
	v_mul_f64 v[151:152], v[131:132], v[183:184]
	v_mul_f64 v[137:138], v[129:130], v[183:184]
	s_waitcnt vmcnt(9)
	v_fma_f64 v[1:2], v[1:2], v[175:176], -v[143:144]
	v_fma_f64 v[3:4], v[3:4], v[175:176], v[139:140]
	v_add_f64 v[135:136], v[135:136], v[149:150]
	v_add_f64 v[133:134], v[133:134], v[141:142]
	s_waitcnt vmcnt(7) lgkmcnt(0)
	v_mul_f64 v[141:142], v[7:8], v[173:174]
	s_waitcnt vmcnt(6)
	v_fma_f64 v[129:130], v[129:130], v[199:200], -v[151:152]
	v_mul_f64 v[139:140], v[5:6], v[173:174]
	v_fma_f64 v[131:132], v[131:132], v[199:200], v[137:138]
	v_add_f64 v[1:2], v[135:136], v[1:2]
	v_add_f64 v[3:4], v[133:134], v[3:4]
	s_waitcnt vmcnt(4)
	v_fma_f64 v[5:6], v[5:6], v[147:148], -v[141:142]
	v_fma_f64 v[7:8], v[7:8], v[147:148], v[139:140]
	v_add_f64 v[1:2], v[1:2], v[129:130]
	v_add_f64 v[3:4], v[3:4], v[131:132]
	;; [unrolled: 1-line block ×4, first 2 shown]
	s_waitcnt vmcnt(2)
	v_add_f64 v[1:2], v[145:146], -v[1:2]
	s_waitcnt vmcnt(0)
	v_add_f64 v[3:4], v[177:178], -v[3:4]
	buffer_store_dword v2, off, s[0:3], 0 offset:132
	buffer_store_dword v1, off, s[0:3], 0 offset:128
	;; [unrolled: 1-line block ×4, first 2 shown]
	v_cmpx_lt_u32_e32 6, v0
	s_cbranch_execz .LBB123_361
; %bb.360:
	v_mov_b32_e32 v4, s66
	v_mov_b32_e32 v5, 0
	s_clause 0x3
	buffer_load_dword v1, v4, s[0:3], 0 offen
	buffer_load_dword v2, v4, s[0:3], 0 offen offset:4
	buffer_load_dword v3, v4, s[0:3], 0 offen offset:8
	;; [unrolled: 1-line block ×3, first 2 shown]
	buffer_store_dword v5, off, s[0:3], 0 offset:112
	buffer_store_dword v5, off, s[0:3], 0 offset:116
	;; [unrolled: 1-line block ×4, first 2 shown]
	s_waitcnt vmcnt(0)
	ds_write_b128 v189, v[1:4]
.LBB123_361:
	s_or_b32 exec_lo, exec_lo, s4
	s_waitcnt lgkmcnt(0)
	s_waitcnt_vscnt null, 0x0
	s_barrier
	buffer_gl0_inv
	s_clause 0x37
	buffer_load_dword v137, off, s[0:3], 0 offset:136
	buffer_load_dword v138, off, s[0:3], 0 offset:140
	;; [unrolled: 1-line block ×56, first 2 shown]
	v_mov_b32_e32 v190, 0
	s_mov_b32 s4, exec_lo
	ds_read_b128 v[5:8], v190 offset:1072
	s_clause 0x2
	buffer_load_dword v186, off, s[0:3], 0 offset:364
	buffer_load_dword v188, off, s[0:3], 0 offset:340
	;; [unrolled: 1-line block ×3, first 2 shown]
	ds_read_b128 v[1:4], v190 offset:1088
	s_clause 0x4
	buffer_load_dword v198, off, s[0:3], 0 offset:380
	buffer_load_dword v199, off, s[0:3], 0 offset:392
	;; [unrolled: 1-line block ×5, first 2 shown]
	ds_read_b128 v[191:194], v190 offset:1104
	s_waitcnt vmcnt(62) lgkmcnt(2)
	v_mul_f64 v[195:196], v[7:8], v[137:138]
	v_mul_f64 v[137:138], v[5:6], v[137:138]
	s_waitcnt vmcnt(60) lgkmcnt(1)
	v_mul_f64 v[202:203], v[3:4], v[133:134]
	v_mul_f64 v[133:134], v[1:2], v[133:134]
	;; [unrolled: 3-line block ×3, first 2 shown]
	v_fma_f64 v[195:196], v[5:6], v[135:136], -v[195:196]
	v_fma_f64 v[135:136], v[7:8], v[135:136], v[137:138]
	s_clause 0x2
	buffer_load_dword v200, off, s[0:3], 0 offset:396
	buffer_load_dword v138, off, s[0:3], 0 offset:372
	;; [unrolled: 1-line block ×3, first 2 shown]
	s_waitcnt vmcnt(57)
	v_fma_f64 v[206:207], v[1:2], v[129:130], -v[202:203]
	ds_read_b128 v[5:8], v190 offset:1120
	v_fma_f64 v[129:130], v[3:4], v[129:130], v[133:134]
	s_waitcnt vmcnt(51)
	v_fma_f64 v[191:192], v[191:192], v[153:154], -v[131:132]
	v_fma_f64 v[153:154], v[193:194], v[153:154], v[204:205]
	v_add_f64 v[195:196], v[195:196], 0
	v_add_f64 v[133:134], v[135:136], 0
	s_clause 0x4
	buffer_load_dword v136, off, s[0:3], 0 offset:412
	buffer_load_dword v203, off, s[0:3], 0 offset:424
	;; [unrolled: 1-line block ×5, first 2 shown]
	s_waitcnt lgkmcnt(0)
	v_mul_f64 v[209:210], v[5:6], v[141:142]
	v_mul_f64 v[141:142], v[7:8], v[141:142]
	ds_read_b128 v[1:4], v190 offset:1136
	s_clause 0x2
	buffer_load_dword v204, off, s[0:3], 0 offset:428
	buffer_load_dword v194, off, s[0:3], 0 offset:404
	;; [unrolled: 1-line block ×3, first 2 shown]
	v_add_f64 v[195:196], v[195:196], v[206:207]
	v_add_f64 v[133:134], v[133:134], v[129:130]
	ds_read_b128 v[129:132], v190 offset:1152
	s_waitcnt vmcnt(58) lgkmcnt(1)
	v_mul_f64 v[205:206], v[1:2], v[145:146]
	v_mul_f64 v[145:146], v[3:4], v[145:146]
	s_waitcnt vmcnt(56)
	v_fma_f64 v[141:142], v[5:6], v[147:148], -v[141:142]
	v_fma_f64 v[147:148], v[7:8], v[147:148], v[209:210]
	s_waitcnt vmcnt(52) lgkmcnt(0)
	v_mul_f64 v[211:212], v[129:130], v[149:150]
	v_add_f64 v[191:192], v[195:196], v[191:192]
	v_add_f64 v[133:134], v[133:134], v[153:154]
	s_clause 0x4
	buffer_load_dword v154, off, s[0:3], 0 offset:444
	buffer_load_dword v195, off, s[0:3], 0 offset:456
	;; [unrolled: 1-line block ×5, first 2 shown]
	v_mul_f64 v[149:150], v[131:132], v[149:150]
	s_waitcnt vmcnt(56)
	v_fma_f64 v[145:146], v[1:2], v[139:140], -v[145:146]
	ds_read_b128 v[5:8], v190 offset:1168
	v_fma_f64 v[139:140], v[3:4], v[139:140], v[205:206]
	v_add_f64 v[141:142], v[191:192], v[141:142]
	v_add_f64 v[133:134], v[133:134], v[147:148]
	s_clause 0x2
	buffer_load_dword v196, off, s[0:3], 0 offset:460
	buffer_load_dword v148, off, s[0:3], 0 offset:436
	;; [unrolled: 1-line block ×3, first 2 shown]
	s_waitcnt vmcnt(58) lgkmcnt(0)
	v_mul_f64 v[191:192], v[5:6], v[155:156]
	v_mul_f64 v[155:156], v[7:8], v[155:156]
	s_waitcnt vmcnt(56)
	v_fma_f64 v[149:150], v[129:130], v[157:158], -v[149:150]
	ds_read_b128 v[1:4], v190 offset:1184
	v_add_f64 v[141:142], v[141:142], v[145:146]
	v_fma_f64 v[145:146], v[131:132], v[157:158], v[211:212]
	v_add_f64 v[133:134], v[133:134], v[139:140]
	s_clause 0x4
	buffer_load_dword v140, off, s[0:3], 0 offset:476
	buffer_load_dword v157, off, s[0:3], 0 offset:488
	;; [unrolled: 1-line block ×5, first 2 shown]
	s_waitcnt vmcnt(57) lgkmcnt(0)
	v_mul_f64 v[206:207], v[1:2], v[159:160]
	v_mul_f64 v[159:160], v[3:4], v[159:160]
	s_waitcnt vmcnt(56)
	v_fma_f64 v[155:156], v[5:6], v[143:144], -v[155:156]
	ds_read_b128 v[129:132], v190 offset:1200
	v_fma_f64 v[143:144], v[7:8], v[143:144], v[191:192]
	v_add_f64 v[141:142], v[141:142], v[149:150]
	v_add_f64 v[133:134], v[133:134], v[145:146]
	s_clause 0x2
	buffer_load_dword v158, off, s[0:3], 0 offset:492
	buffer_load_dword v146, off, s[0:3], 0 offset:468
	;; [unrolled: 1-line block ×3, first 2 shown]
	ds_read_b128 v[5:8], v190 offset:1216
	s_waitcnt vmcnt(58) lgkmcnt(1)
	v_mul_f64 v[149:150], v[129:130], v[163:164]
	v_mul_f64 v[163:164], v[131:132], v[163:164]
	s_waitcnt vmcnt(56)
	v_fma_f64 v[159:160], v[1:2], v[165:166], -v[159:160]
	v_add_f64 v[141:142], v[141:142], v[155:156]
	v_fma_f64 v[155:156], v[3:4], v[165:166], v[206:207]
	v_add_f64 v[133:134], v[133:134], v[143:144]
	s_clause 0x4
	buffer_load_dword v144, off, s[0:3], 0 offset:508
	buffer_load_dword v165, off, s[0:3], 0 offset:520
	;; [unrolled: 1-line block ×5, first 2 shown]
	s_waitcnt vmcnt(57) lgkmcnt(0)
	v_mul_f64 v[212:213], v[5:6], v[167:168]
	v_mul_f64 v[167:168], v[7:8], v[167:168]
	s_waitcnt vmcnt(56)
	v_fma_f64 v[163:164], v[129:130], v[151:152], -v[163:164]
	ds_read_b128 v[1:4], v190 offset:1232
	v_fma_f64 v[149:150], v[131:132], v[151:152], v[149:150]
	s_clause 0x2
	buffer_load_dword v166, off, s[0:3], 0 offset:524
	buffer_load_dword v152, off, s[0:3], 0 offset:500
	;; [unrolled: 1-line block ×3, first 2 shown]
	ds_read_b128 v[129:132], v190 offset:1248
	v_add_f64 v[141:142], v[141:142], v[159:160]
	v_add_f64 v[133:134], v[133:134], v[155:156]
	s_waitcnt vmcnt(58) lgkmcnt(1)
	v_mul_f64 v[159:160], v[3:4], v[171:172]
	s_waitcnt vmcnt(56)
	v_fma_f64 v[167:168], v[5:6], v[173:174], -v[167:168]
	v_mul_f64 v[155:156], v[1:2], v[171:172]
	v_add_f64 v[141:142], v[141:142], v[163:164]
	v_fma_f64 v[163:164], v[7:8], v[173:174], v[212:213]
	v_add_f64 v[133:134], v[133:134], v[149:150]
	s_clause 0x4
	buffer_load_dword v150, off, s[0:3], 0 offset:540
	buffer_load_dword v171, off, s[0:3], 0 offset:552
	;; [unrolled: 1-line block ×5, first 2 shown]
	s_waitcnt vmcnt(57) lgkmcnt(0)
	v_mul_f64 v[212:213], v[129:130], v[175:176]
	v_mul_f64 v[174:175], v[131:132], v[175:176]
	s_waitcnt vmcnt(56)
	v_fma_f64 v[159:160], v[1:2], v[161:162], -v[159:160]
	ds_read_b128 v[5:8], v190 offset:1264
	v_fma_f64 v[155:156], v[3:4], v[161:162], v[155:156]
	s_clause 0x2
	buffer_load_dword v172, off, s[0:3], 0 offset:556
	buffer_load_dword v162, off, s[0:3], 0 offset:532
	;; [unrolled: 1-line block ×3, first 2 shown]
	ds_read_b128 v[1:4], v190 offset:1280
	v_add_f64 v[141:142], v[141:142], v[167:168]
	v_add_f64 v[133:134], v[133:134], v[163:164]
	s_waitcnt vmcnt(58) lgkmcnt(1)
	v_mul_f64 v[167:168], v[7:8], v[179:180]
	s_waitcnt vmcnt(56)
	v_fma_f64 v[175:176], v[129:130], v[181:182], -v[174:175]
	v_mul_f64 v[163:164], v[5:6], v[179:180]
	v_add_f64 v[141:142], v[141:142], v[159:160]
	v_fma_f64 v[159:160], v[131:132], v[181:182], v[212:213]
	v_add_f64 v[133:134], v[133:134], v[155:156]
	s_clause 0x4
	buffer_load_dword v156, off, s[0:3], 0 offset:572
	buffer_load_dword v179, off, s[0:3], 0 offset:584
	;; [unrolled: 1-line block ×5, first 2 shown]
	s_waitcnt vmcnt(57) lgkmcnt(0)
	v_mul_f64 v[212:213], v[1:2], v[183:184]
	v_mul_f64 v[182:183], v[3:4], v[183:184]
	s_waitcnt vmcnt(56)
	v_fma_f64 v[167:168], v[5:6], v[169:170], -v[167:168]
	ds_read_b128 v[129:132], v190 offset:1296
	v_fma_f64 v[163:164], v[7:8], v[169:170], v[163:164]
	v_add_f64 v[141:142], v[141:142], v[175:176]
	v_add_f64 v[133:134], v[133:134], v[159:160]
	s_clause 0x2
	buffer_load_dword v180, off, s[0:3], 0 offset:588
	buffer_load_dword v160, off, s[0:3], 0 offset:564
	;; [unrolled: 1-line block ×3, first 2 shown]
	ds_read_b128 v[5:8], v190 offset:1312
	s_waitcnt vmcnt(58) lgkmcnt(1)
	v_mul_f64 v[175:176], v[131:132], v[185:186]
	s_waitcnt vmcnt(56)
	v_fma_f64 v[183:184], v[1:2], v[187:188], -v[182:183]
	v_mul_f64 v[169:170], v[129:130], v[185:186]
	v_add_f64 v[141:142], v[141:142], v[167:168]
	v_fma_f64 v[167:168], v[3:4], v[187:188], v[212:213]
	v_add_f64 v[133:134], v[133:134], v[163:164]
	s_clause 0x4
	buffer_load_dword v164, off, s[0:3], 0 offset:604
	buffer_load_dword v185, off, s[0:3], 0 offset:616
	;; [unrolled: 1-line block ×5, first 2 shown]
	s_waitcnt vmcnt(57) lgkmcnt(0)
	v_mul_f64 v[212:213], v[5:6], v[197:198]
	v_mul_f64 v[197:198], v[7:8], v[197:198]
	s_waitcnt vmcnt(56)
	v_fma_f64 v[175:176], v[129:130], v[177:178], -v[175:176]
	ds_read_b128 v[1:4], v190 offset:1328
	v_fma_f64 v[169:170], v[131:132], v[177:178], v[169:170]
	v_add_f64 v[141:142], v[141:142], v[183:184]
	v_add_f64 v[133:134], v[133:134], v[167:168]
	s_clause 0x2
	buffer_load_dword v186, off, s[0:3], 0 offset:620
	buffer_load_dword v168, off, s[0:3], 0 offset:596
	;; [unrolled: 1-line block ×3, first 2 shown]
	ds_read_b128 v[129:132], v190 offset:1344
	s_waitcnt vmcnt(58) lgkmcnt(1)
	v_mul_f64 v[183:184], v[3:4], v[199:200]
	v_mul_f64 v[177:178], v[1:2], v[199:200]
	s_waitcnt vmcnt(56)
	v_fma_f64 v[197:198], v[5:6], v[137:138], -v[197:198]
	v_fma_f64 v[137:138], v[7:8], v[137:138], v[212:213]
	v_add_f64 v[141:142], v[141:142], v[175:176]
	v_add_f64 v[133:134], v[133:134], v[169:170]
	s_clause 0x4
	buffer_load_dword v170, off, s[0:3], 0 offset:636
	buffer_load_dword v175, off, s[0:3], 0 offset:648
	;; [unrolled: 1-line block ×5, first 2 shown]
	ds_read_b128 v[5:8], v190 offset:1360
	s_waitcnt vmcnt(57) lgkmcnt(1)
	v_mul_f64 v[212:213], v[129:130], v[135:136]
	v_mul_f64 v[135:136], v[131:132], v[135:136]
	s_waitcnt vmcnt(56)
	v_fma_f64 v[183:184], v[1:2], v[201:202], -v[183:184]
	v_fma_f64 v[177:178], v[3:4], v[201:202], v[177:178]
	v_add_f64 v[141:142], v[141:142], v[197:198]
	v_add_f64 v[133:134], v[133:134], v[137:138]
	s_clause 0x2
	buffer_load_dword v176, off, s[0:3], 0 offset:652
	buffer_load_dword v138, off, s[0:3], 0 offset:628
	;; [unrolled: 1-line block ×3, first 2 shown]
	s_waitcnt vmcnt(58) lgkmcnt(0)
	v_mul_f64 v[201:202], v[7:8], v[203:204]
	ds_read_b128 v[1:4], v190 offset:1376
	v_mul_f64 v[197:198], v[5:6], v[203:204]
	s_waitcnt vmcnt(56)
	v_fma_f64 v[135:136], v[129:130], v[193:194], -v[135:136]
	v_add_f64 v[141:142], v[141:142], v[183:184]
	v_fma_f64 v[183:184], v[131:132], v[193:194], v[212:213]
	v_add_f64 v[133:134], v[133:134], v[177:178]
	s_clause 0x4
	buffer_load_dword v178, off, s[0:3], 0 offset:668
	buffer_load_dword v193, off, s[0:3], 0 offset:680
	;; [unrolled: 1-line block ×5, first 2 shown]
	ds_read_b128 v[129:132], v190 offset:1392
	s_waitcnt vmcnt(57) lgkmcnt(1)
	v_mul_f64 v[212:213], v[1:2], v[153:154]
	v_mul_f64 v[153:154], v[3:4], v[153:154]
	s_waitcnt vmcnt(56)
	v_fma_f64 v[201:202], v[5:6], v[208:209], -v[201:202]
	v_add_f64 v[135:136], v[141:142], v[135:136]
	v_fma_f64 v[141:142], v[7:8], v[208:209], v[197:198]
	v_add_f64 v[133:134], v[133:134], v[183:184]
	s_clause 0x2
	buffer_load_dword v194, off, s[0:3], 0 offset:684
	buffer_load_dword v184, off, s[0:3], 0 offset:660
	;; [unrolled: 1-line block ×3, first 2 shown]
	ds_read_b128 v[5:8], v190 offset:1408
	s_waitcnt vmcnt(58) lgkmcnt(1)
	v_mul_f64 v[197:198], v[129:130], v[195:196]
	v_mul_f64 v[195:196], v[131:132], v[195:196]
	s_waitcnt vmcnt(56)
	v_fma_f64 v[153:154], v[1:2], v[147:148], -v[153:154]
	v_fma_f64 v[147:148], v[3:4], v[147:148], v[212:213]
	v_add_f64 v[135:136], v[135:136], v[201:202]
	v_add_f64 v[133:134], v[133:134], v[141:142]
	s_clause 0x4
	buffer_load_dword v142, off, s[0:3], 0 offset:700
	buffer_load_dword v201, off, s[0:3], 0 offset:712
	;; [unrolled: 1-line block ×5, first 2 shown]
	ds_read_b128 v[1:4], v190 offset:1424
	s_waitcnt vmcnt(57) lgkmcnt(1)
	v_mul_f64 v[208:209], v[5:6], v[139:140]
	v_mul_f64 v[139:140], v[7:8], v[139:140]
	s_waitcnt vmcnt(56)
	v_fma_f64 v[195:196], v[129:130], v[210:211], -v[195:196]
	v_add_f64 v[135:136], v[135:136], v[153:154]
	v_fma_f64 v[153:154], v[131:132], v[210:211], v[197:198]
	v_add_f64 v[133:134], v[133:134], v[147:148]
	s_clause 0x2
	buffer_load_dword v202, off, s[0:3], 0 offset:716
	buffer_load_dword v148, off, s[0:3], 0 offset:692
	;; [unrolled: 1-line block ×3, first 2 shown]
	ds_read_b128 v[129:132], v190 offset:1440
	s_waitcnt vmcnt(58) lgkmcnt(1)
	v_mul_f64 v[197:198], v[1:2], v[157:158]
	v_mul_f64 v[157:158], v[3:4], v[157:158]
	s_waitcnt vmcnt(56)
	v_fma_f64 v[139:140], v[5:6], v[145:146], -v[139:140]
	v_fma_f64 v[145:146], v[7:8], v[145:146], v[208:209]
	v_add_f64 v[135:136], v[135:136], v[195:196]
	v_add_f64 v[133:134], v[133:134], v[153:154]
	s_clause 0x4
	buffer_load_dword v154, off, s[0:3], 0 offset:732
	buffer_load_dword v195, off, s[0:3], 0 offset:744
	;; [unrolled: 1-line block ×5, first 2 shown]
	ds_read_b128 v[5:8], v190 offset:1456
	s_waitcnt vmcnt(57) lgkmcnt(1)
	v_mul_f64 v[210:211], v[129:130], v[143:144]
	v_mul_f64 v[143:144], v[131:132], v[143:144]
	s_waitcnt vmcnt(56)
	v_fma_f64 v[157:158], v[1:2], v[205:206], -v[157:158]
	v_add_f64 v[135:136], v[135:136], v[139:140]
	v_fma_f64 v[139:140], v[3:4], v[205:206], v[197:198]
	v_add_f64 v[133:134], v[133:134], v[145:146]
	s_clause 0x2
	buffer_load_dword v196, off, s[0:3], 0 offset:748
	buffer_load_dword v146, off, s[0:3], 0 offset:724
	;; [unrolled: 1-line block ×3, first 2 shown]
	s_waitcnt vmcnt(58) lgkmcnt(0)
	v_mul_f64 v[197:198], v[5:6], v[165:166]
	v_mul_f64 v[165:166], v[7:8], v[165:166]
	ds_read_b128 v[1:4], v190 offset:1472
	s_waitcnt vmcnt(56)
	v_fma_f64 v[143:144], v[129:130], v[151:152], -v[143:144]
	v_fma_f64 v[151:152], v[131:132], v[151:152], v[210:211]
	v_add_f64 v[135:136], v[135:136], v[157:158]
	v_add_f64 v[133:134], v[133:134], v[139:140]
	s_clause 0x4
	buffer_load_dword v140, off, s[0:3], 0 offset:764
	buffer_load_dword v157, off, s[0:3], 0 offset:776
	;; [unrolled: 1-line block ×5, first 2 shown]
	ds_read_b128 v[129:132], v190 offset:1488
	s_waitcnt vmcnt(57) lgkmcnt(1)
	v_mul_f64 v[211:212], v[1:2], v[149:150]
	v_mul_f64 v[149:150], v[3:4], v[149:150]
	s_waitcnt vmcnt(56)
	v_fma_f64 v[165:166], v[5:6], v[191:192], -v[165:166]
	v_add_f64 v[135:136], v[135:136], v[143:144]
	v_fma_f64 v[143:144], v[7:8], v[191:192], v[197:198]
	v_add_f64 v[133:134], v[133:134], v[151:152]
	s_clause 0x2
	buffer_load_dword v158, off, s[0:3], 0 offset:780
	buffer_load_dword v152, off, s[0:3], 0 offset:756
	;; [unrolled: 1-line block ×3, first 2 shown]
	s_waitcnt vmcnt(58) lgkmcnt(0)
	v_mul_f64 v[191:192], v[129:130], v[171:172]
	v_mul_f64 v[171:172], v[131:132], v[171:172]
	ds_read_b128 v[5:8], v190 offset:1504
	s_waitcnt vmcnt(56)
	v_fma_f64 v[149:150], v[1:2], v[161:162], -v[149:150]
	v_fma_f64 v[161:162], v[3:4], v[161:162], v[211:212]
	v_add_f64 v[135:136], v[135:136], v[165:166]
	v_add_f64 v[133:134], v[133:134], v[143:144]
	s_clause 0x4
	buffer_load_dword v144, off, s[0:3], 0 offset:796
	buffer_load_dword v165, off, s[0:3], 0 offset:808
	buffer_load_dword v197, off, s[0:3], 0 offset:800
	buffer_load_dword v143, off, s[0:3], 0 offset:792
	buffer_load_dword v206, off, s[0:3], 0 offset:772
	ds_read_b128 v[1:4], v190 offset:1520
	s_waitcnt vmcnt(57) lgkmcnt(1)
	v_mul_f64 v[211:212], v[5:6], v[155:156]
	v_mul_f64 v[155:156], v[7:8], v[155:156]
	s_waitcnt vmcnt(56)
	v_fma_f64 v[171:172], v[129:130], v[173:174], -v[171:172]
	v_add_f64 v[135:136], v[135:136], v[149:150]
	v_fma_f64 v[149:150], v[131:132], v[173:174], v[191:192]
	v_add_f64 v[133:134], v[133:134], v[161:162]
	s_clause 0x2
	buffer_load_dword v166, off, s[0:3], 0 offset:812
	buffer_load_dword v162, off, s[0:3], 0 offset:788
	buffer_load_dword v161, off, s[0:3], 0 offset:784
	ds_read_b128 v[129:132], v190 offset:1536
	s_waitcnt vmcnt(58) lgkmcnt(1)
	v_mul_f64 v[173:174], v[1:2], v[179:180]
	v_mul_f64 v[179:180], v[3:4], v[179:180]
	s_waitcnt vmcnt(56)
	v_fma_f64 v[155:156], v[5:6], v[159:160], -v[155:156]
	v_fma_f64 v[159:160], v[7:8], v[159:160], v[211:212]
	v_add_f64 v[135:136], v[135:136], v[171:172]
	v_add_f64 v[133:134], v[133:134], v[149:150]
	s_clause 0x4
	buffer_load_dword v150, off, s[0:3], 0 offset:828
	buffer_load_dword v171, off, s[0:3], 0 offset:840
	buffer_load_dword v191, off, s[0:3], 0 offset:832
	buffer_load_dword v149, off, s[0:3], 0 offset:824
	buffer_load_dword v198, off, s[0:3], 0 offset:804
	ds_read_b128 v[5:8], v190 offset:1552
	s_waitcnt vmcnt(57) lgkmcnt(1)
	v_mul_f64 v[211:212], v[129:130], v[163:164]
	v_mul_f64 v[163:164], v[131:132], v[163:164]
	s_waitcnt vmcnt(56)
	v_fma_f64 v[179:180], v[1:2], v[181:182], -v[179:180]
	v_add_f64 v[135:136], v[135:136], v[155:156]
	v_fma_f64 v[155:156], v[3:4], v[181:182], v[173:174]
	v_add_f64 v[133:134], v[133:134], v[159:160]
	s_clause 0x2
	buffer_load_dword v172, off, s[0:3], 0 offset:844
	buffer_load_dword v160, off, s[0:3], 0 offset:820
	buffer_load_dword v159, off, s[0:3], 0 offset:816
	ds_read_b128 v[1:4], v190 offset:1568
	s_waitcnt vmcnt(58) lgkmcnt(1)
	v_mul_f64 v[181:182], v[7:8], v[185:186]
	v_mul_f64 v[173:174], v[5:6], v[185:186]
	;; [unrolled: 28-line block ×4, first 2 shown]
	s_waitcnt vmcnt(56)
	v_fma_f64 v[177:178], v[5:6], v[183:184], -v[177:178]
	v_add_f64 v[135:136], v[135:136], v[175:176]
	v_fma_f64 v[175:176], v[7:8], v[183:184], v[211:212]
	v_add_f64 v[133:134], v[133:134], v[169:170]
	s_clause 0x4
	buffer_load_dword v170, off, s[0:3], 0 offset:924
	buffer_load_dword v183, off, s[0:3], 0 offset:936
	;; [unrolled: 1-line block ×5, first 2 shown]
	ds_read_b128 v[5:8], v190 offset:1648
	s_waitcnt vmcnt(57) lgkmcnt(1)
	v_mul_f64 v[211:212], v[129:130], v[141:142]
	v_mul_f64 v[141:142], v[131:132], v[141:142]
	s_waitcnt vmcnt(56)
	v_fma_f64 v[193:194], v[1:2], v[203:204], -v[193:194]
	v_fma_f64 v[173:174], v[3:4], v[203:204], v[173:174]
	v_add_f64 v[135:136], v[135:136], v[177:178]
	v_add_f64 v[133:134], v[133:134], v[175:176]
	s_clause 0x2
	buffer_load_dword v184, off, s[0:3], 0 offset:940
	buffer_load_dword v176, off, s[0:3], 0 offset:916
	;; [unrolled: 1-line block ×3, first 2 shown]
	ds_read_b128 v[1:4], v190 offset:1664
	s_waitcnt vmcnt(58) lgkmcnt(1)
	v_mul_f64 v[177:178], v[5:6], v[201:202]
	v_mul_f64 v[201:202], v[7:8], v[201:202]
	s_waitcnt vmcnt(56)
	v_fma_f64 v[141:142], v[129:130], v[147:148], -v[141:142]
	v_fma_f64 v[147:148], v[131:132], v[147:148], v[211:212]
	v_add_f64 v[135:136], v[135:136], v[193:194]
	v_add_f64 v[133:134], v[133:134], v[173:174]
	s_clause 0x4
	buffer_load_dword v174, off, s[0:3], 0 offset:956
	buffer_load_dword v193, off, s[0:3], 0 offset:968
	;; [unrolled: 1-line block ×5, first 2 shown]
	ds_read_b128 v[129:132], v190 offset:1680
	s_waitcnt vmcnt(57) lgkmcnt(1)
	v_mul_f64 v[211:212], v[1:2], v[153:154]
	v_mul_f64 v[153:154], v[3:4], v[153:154]
	s_waitcnt vmcnt(56)
	v_fma_f64 v[201:202], v[5:6], v[207:208], -v[201:202]
	v_add_f64 v[135:136], v[135:136], v[141:142]
	v_fma_f64 v[141:142], v[7:8], v[207:208], v[177:178]
	v_add_f64 v[133:134], v[133:134], v[147:148]
	s_clause 0x2
	buffer_load_dword v194, off, s[0:3], 0 offset:972
	buffer_load_dword v148, off, s[0:3], 0 offset:948
	;; [unrolled: 1-line block ×3, first 2 shown]
	ds_read_b128 v[5:8], v190 offset:1696
	buffer_load_dword v204, off, s[0:3], 0 offset:964
	s_waitcnt vmcnt(59) lgkmcnt(1)
	v_mul_f64 v[177:178], v[129:130], v[195:196]
	v_mul_f64 v[195:196], v[131:132], v[195:196]
	s_waitcnt vmcnt(57)
	v_fma_f64 v[153:154], v[1:2], v[145:146], -v[153:154]
	v_fma_f64 v[145:146], v[3:4], v[145:146], v[211:212]
	ds_read_b128 v[1:4], v190 offset:1712
	v_add_f64 v[135:136], v[135:136], v[201:202]
	v_add_f64 v[133:134], v[133:134], v[141:142]
	s_waitcnt vmcnt(53) lgkmcnt(1)
	v_mul_f64 v[141:142], v[5:6], v[139:140]
	v_mul_f64 v[139:140], v[7:8], v[139:140]
	s_waitcnt vmcnt(52)
	v_fma_f64 v[195:196], v[129:130], v[209:210], -v[195:196]
	v_add_f64 v[135:136], v[135:136], v[153:154]
	v_fma_f64 v[153:154], v[131:132], v[209:210], v[177:178]
	v_add_f64 v[133:134], v[133:134], v[145:146]
	ds_read_b128 v[129:132], v190 offset:1728
	s_waitcnt vmcnt(51) lgkmcnt(1)
	v_mul_f64 v[145:146], v[1:2], v[157:158]
	v_mul_f64 v[157:158], v[3:4], v[157:158]
	s_waitcnt vmcnt(49)
	v_fma_f64 v[139:140], v[5:6], v[151:152], -v[139:140]
	v_fma_f64 v[141:142], v[7:8], v[151:152], v[141:142]
	v_add_f64 v[135:136], v[135:136], v[195:196]
	v_add_f64 v[133:134], v[133:134], v[153:154]
	s_clause 0x3
	buffer_load_dword v151, off, s[0:3], 0 offset:112
	buffer_load_dword v152, off, s[0:3], 0 offset:116
	buffer_load_dword v153, off, s[0:3], 0 offset:120
	buffer_load_dword v154, off, s[0:3], 0 offset:124
	ds_read_b128 v[5:8], v190 offset:1744
	s_waitcnt vmcnt(49) lgkmcnt(1)
	v_mul_f64 v[177:178], v[129:130], v[143:144]
	v_mul_f64 v[143:144], v[131:132], v[143:144]
	s_waitcnt vmcnt(48)
	v_fma_f64 v[157:158], v[1:2], v[205:206], -v[157:158]
	v_add_f64 v[135:136], v[135:136], v[139:140]
	v_fma_f64 v[139:140], v[3:4], v[205:206], v[145:146]
	v_add_f64 v[133:134], v[133:134], v[141:142]
	ds_read_b128 v[1:4], v190 offset:1760
	s_waitcnt vmcnt(47) lgkmcnt(1)
	v_mul_f64 v[145:146], v[7:8], v[165:166]
	v_mul_f64 v[141:142], v[5:6], v[165:166]
	s_waitcnt vmcnt(45)
	v_fma_f64 v[143:144], v[129:130], v[161:162], -v[143:144]
	v_add_f64 v[135:136], v[135:136], v[157:158]
	v_fma_f64 v[157:158], v[131:132], v[161:162], v[177:178]
	v_add_f64 v[133:134], v[133:134], v[139:140]
	ds_read_b128 v[129:132], v190 offset:1776
	s_waitcnt vmcnt(41) lgkmcnt(1)
	v_mul_f64 v[139:140], v[1:2], v[149:150]
	v_mul_f64 v[149:150], v[3:4], v[149:150]
	s_waitcnt vmcnt(40)
	v_fma_f64 v[145:146], v[5:6], v[197:198], -v[145:146]
	v_fma_f64 v[141:142], v[7:8], v[197:198], v[141:142]
	ds_read_b128 v[5:8], v190 offset:1792
	v_add_f64 v[135:136], v[135:136], v[143:144]
	v_add_f64 v[133:134], v[133:134], v[157:158]
	s_waitcnt vmcnt(39) lgkmcnt(1)
	v_mul_f64 v[157:158], v[131:132], v[171:172]
	v_mul_f64 v[143:144], v[129:130], v[171:172]
	s_waitcnt vmcnt(37)
	v_fma_f64 v[149:150], v[1:2], v[159:160], -v[149:150]
	v_fma_f64 v[139:140], v[3:4], v[159:160], v[139:140]
	ds_read_b128 v[1:4], v190 offset:1808
	v_add_f64 v[135:136], v[135:136], v[145:146]
	v_add_f64 v[133:134], v[133:134], v[141:142]
	s_waitcnt vmcnt(33) lgkmcnt(1)
	v_mul_f64 v[141:142], v[5:6], v[155:156]
	v_mul_f64 v[145:146], v[7:8], v[155:156]
	s_waitcnt vmcnt(32)
	v_fma_f64 v[155:156], v[129:130], v[191:192], -v[157:158]
	v_fma_f64 v[143:144], v[131:132], v[191:192], v[143:144]
	ds_read_b128 v[129:132], v190 offset:1824
	v_add_f64 v[135:136], v[135:136], v[149:150]
	v_add_f64 v[133:134], v[133:134], v[139:140]
	s_waitcnt vmcnt(31) lgkmcnt(1)
	v_mul_f64 v[149:150], v[3:4], v[179:180]
	v_mul_f64 v[139:140], v[1:2], v[179:180]
	s_waitcnt vmcnt(29)
	v_fma_f64 v[145:146], v[5:6], v[167:168], -v[145:146]
	v_fma_f64 v[141:142], v[7:8], v[167:168], v[141:142]
	ds_read_b128 v[5:8], v190 offset:1840
	v_add_f64 v[135:136], v[135:136], v[155:156]
	v_add_f64 v[133:134], v[133:134], v[143:144]
	s_waitcnt vmcnt(25) lgkmcnt(1)
	v_mul_f64 v[155:156], v[131:132], v[163:164]
	s_waitcnt vmcnt(24)
	v_fma_f64 v[149:150], v[1:2], v[185:186], -v[149:150]
	v_mul_f64 v[143:144], v[129:130], v[163:164]
	v_fma_f64 v[139:140], v[3:4], v[185:186], v[139:140]
	ds_read_b128 v[1:4], v190 offset:1856
	v_add_f64 v[135:136], v[135:136], v[145:146]
	v_add_f64 v[133:134], v[133:134], v[141:142]
	s_waitcnt vmcnt(23) lgkmcnt(1)
	v_mul_f64 v[145:146], v[7:8], v[181:182]
	v_mul_f64 v[141:142], v[5:6], v[181:182]
	s_waitcnt vmcnt(21)
	v_fma_f64 v[155:156], v[129:130], v[137:138], -v[155:156]
	v_fma_f64 v[137:138], v[131:132], v[137:138], v[143:144]
	ds_read_b128 v[129:132], v190 offset:1872
	v_add_f64 v[135:136], v[135:136], v[149:150]
	v_add_f64 v[133:134], v[133:134], v[139:140]
	s_waitcnt vmcnt(17) lgkmcnt(1)
	v_mul_f64 v[143:144], v[3:4], v[169:170]
	s_waitcnt vmcnt(16)
	v_fma_f64 v[145:146], v[5:6], v[187:188], -v[145:146]
	v_mul_f64 v[139:140], v[1:2], v[169:170]
	v_fma_f64 v[141:142], v[7:8], v[187:188], v[141:142]
	ds_read_b128 v[5:8], v190 offset:1888
	v_add_f64 v[135:136], v[135:136], v[155:156]
	v_add_f64 v[133:134], v[133:134], v[137:138]
	s_waitcnt vmcnt(15) lgkmcnt(1)
	v_mul_f64 v[149:150], v[131:132], v[183:184]
	v_mul_f64 v[137:138], v[129:130], v[183:184]
	s_waitcnt vmcnt(13)
	v_fma_f64 v[143:144], v[1:2], v[175:176], -v[143:144]
	v_fma_f64 v[139:140], v[3:4], v[175:176], v[139:140]
	ds_read_b128 v[1:4], v190 offset:1904
	v_add_f64 v[135:136], v[135:136], v[145:146]
	v_add_f64 v[133:134], v[133:134], v[141:142]
	s_waitcnt vmcnt(9) lgkmcnt(1)
	v_mul_f64 v[145:146], v[7:8], v[173:174]
	s_waitcnt vmcnt(8)
	v_fma_f64 v[129:130], v[129:130], v[199:200], -v[149:150]
	v_mul_f64 v[141:142], v[5:6], v[173:174]
	v_fma_f64 v[131:132], v[131:132], v[199:200], v[137:138]
	v_add_f64 v[135:136], v[135:136], v[143:144]
	v_add_f64 v[133:134], v[133:134], v[139:140]
	s_waitcnt vmcnt(7) lgkmcnt(0)
	v_mul_f64 v[139:140], v[3:4], v[193:194]
	v_mul_f64 v[137:138], v[1:2], v[193:194]
	s_waitcnt vmcnt(5)
	v_fma_f64 v[5:6], v[5:6], v[147:148], -v[145:146]
	v_fma_f64 v[7:8], v[7:8], v[147:148], v[141:142]
	v_add_f64 v[129:130], v[135:136], v[129:130]
	v_add_f64 v[131:132], v[133:134], v[131:132]
	s_waitcnt vmcnt(4)
	v_fma_f64 v[1:2], v[1:2], v[203:204], -v[139:140]
	v_fma_f64 v[3:4], v[3:4], v[203:204], v[137:138]
	v_add_f64 v[5:6], v[129:130], v[5:6]
	v_add_f64 v[7:8], v[131:132], v[7:8]
	;; [unrolled: 1-line block ×4, first 2 shown]
	s_waitcnt vmcnt(2)
	v_add_f64 v[1:2], v[151:152], -v[1:2]
	s_waitcnt vmcnt(0)
	v_add_f64 v[3:4], v[153:154], -v[3:4]
	buffer_store_dword v2, off, s[0:3], 0 offset:116
	buffer_store_dword v1, off, s[0:3], 0 offset:112
	;; [unrolled: 1-line block ×4, first 2 shown]
	v_cmpx_lt_u32_e32 5, v0
	s_cbranch_execz .LBB123_363
; %bb.362:
	v_mov_b32_e32 v4, s67
	s_clause 0x3
	buffer_load_dword v1, v4, s[0:3], 0 offen
	buffer_load_dword v2, v4, s[0:3], 0 offen offset:4
	buffer_load_dword v3, v4, s[0:3], 0 offen offset:8
	;; [unrolled: 1-line block ×3, first 2 shown]
	buffer_store_dword v190, off, s[0:3], 0 offset:96
	buffer_store_dword v190, off, s[0:3], 0 offset:100
	;; [unrolled: 1-line block ×4, first 2 shown]
	s_waitcnt vmcnt(0)
	ds_write_b128 v189, v[1:4]
.LBB123_363:
	s_or_b32 exec_lo, exec_lo, s4
	s_waitcnt lgkmcnt(0)
	s_waitcnt_vscnt null, 0x0
	s_barrier
	buffer_gl0_inv
	s_clause 0x37
	buffer_load_dword v137, off, s[0:3], 0 offset:120
	buffer_load_dword v138, off, s[0:3], 0 offset:124
	;; [unrolled: 1-line block ×56, first 2 shown]
	ds_read_b128 v[5:8], v190 offset:1056
	s_clause 0x2
	buffer_load_dword v186, off, s[0:3], 0 offset:348
	buffer_load_dword v188, off, s[0:3], 0 offset:324
	;; [unrolled: 1-line block ×3, first 2 shown]
	ds_read_b128 v[1:4], v190 offset:1072
	s_clause 0x4
	buffer_load_dword v198, off, s[0:3], 0 offset:364
	buffer_load_dword v199, off, s[0:3], 0 offset:376
	;; [unrolled: 1-line block ×5, first 2 shown]
	ds_read_b128 v[191:194], v190 offset:1088
	s_mov_b32 s4, exec_lo
	s_waitcnt vmcnt(62) lgkmcnt(2)
	v_mul_f64 v[195:196], v[7:8], v[137:138]
	v_mul_f64 v[137:138], v[5:6], v[137:138]
	s_waitcnt vmcnt(60) lgkmcnt(1)
	v_mul_f64 v[202:203], v[3:4], v[133:134]
	v_mul_f64 v[133:134], v[1:2], v[133:134]
	;; [unrolled: 3-line block ×3, first 2 shown]
	v_fma_f64 v[195:196], v[5:6], v[135:136], -v[195:196]
	v_fma_f64 v[135:136], v[7:8], v[135:136], v[137:138]
	s_clause 0x2
	buffer_load_dword v200, off, s[0:3], 0 offset:380
	buffer_load_dword v138, off, s[0:3], 0 offset:356
	;; [unrolled: 1-line block ×3, first 2 shown]
	s_waitcnt vmcnt(57)
	v_fma_f64 v[206:207], v[1:2], v[129:130], -v[202:203]
	ds_read_b128 v[5:8], v190 offset:1104
	v_fma_f64 v[129:130], v[3:4], v[129:130], v[133:134]
	s_waitcnt vmcnt(51)
	v_fma_f64 v[191:192], v[191:192], v[153:154], -v[131:132]
	v_fma_f64 v[153:154], v[193:194], v[153:154], v[204:205]
	v_add_f64 v[195:196], v[195:196], 0
	v_add_f64 v[133:134], v[135:136], 0
	s_clause 0x4
	buffer_load_dword v136, off, s[0:3], 0 offset:396
	buffer_load_dword v203, off, s[0:3], 0 offset:408
	;; [unrolled: 1-line block ×5, first 2 shown]
	s_waitcnt lgkmcnt(0)
	v_mul_f64 v[209:210], v[5:6], v[141:142]
	v_mul_f64 v[141:142], v[7:8], v[141:142]
	ds_read_b128 v[1:4], v190 offset:1120
	s_clause 0x2
	buffer_load_dword v204, off, s[0:3], 0 offset:412
	buffer_load_dword v194, off, s[0:3], 0 offset:388
	;; [unrolled: 1-line block ×3, first 2 shown]
	v_add_f64 v[195:196], v[195:196], v[206:207]
	v_add_f64 v[133:134], v[133:134], v[129:130]
	ds_read_b128 v[129:132], v190 offset:1136
	s_waitcnt vmcnt(58) lgkmcnt(1)
	v_mul_f64 v[205:206], v[1:2], v[145:146]
	v_mul_f64 v[145:146], v[3:4], v[145:146]
	s_waitcnt vmcnt(56)
	v_fma_f64 v[141:142], v[5:6], v[147:148], -v[141:142]
	v_fma_f64 v[147:148], v[7:8], v[147:148], v[209:210]
	s_waitcnt vmcnt(52) lgkmcnt(0)
	v_mul_f64 v[211:212], v[129:130], v[149:150]
	v_add_f64 v[191:192], v[195:196], v[191:192]
	v_add_f64 v[133:134], v[133:134], v[153:154]
	s_clause 0x4
	buffer_load_dword v154, off, s[0:3], 0 offset:428
	buffer_load_dword v195, off, s[0:3], 0 offset:440
	;; [unrolled: 1-line block ×5, first 2 shown]
	v_mul_f64 v[149:150], v[131:132], v[149:150]
	s_waitcnt vmcnt(56)
	v_fma_f64 v[145:146], v[1:2], v[139:140], -v[145:146]
	ds_read_b128 v[5:8], v190 offset:1152
	v_fma_f64 v[139:140], v[3:4], v[139:140], v[205:206]
	v_add_f64 v[141:142], v[191:192], v[141:142]
	v_add_f64 v[133:134], v[133:134], v[147:148]
	s_clause 0x2
	buffer_load_dword v196, off, s[0:3], 0 offset:444
	buffer_load_dword v148, off, s[0:3], 0 offset:420
	;; [unrolled: 1-line block ×3, first 2 shown]
	s_waitcnt vmcnt(58) lgkmcnt(0)
	v_mul_f64 v[191:192], v[5:6], v[155:156]
	v_mul_f64 v[155:156], v[7:8], v[155:156]
	s_waitcnt vmcnt(56)
	v_fma_f64 v[149:150], v[129:130], v[157:158], -v[149:150]
	ds_read_b128 v[1:4], v190 offset:1168
	v_add_f64 v[141:142], v[141:142], v[145:146]
	v_fma_f64 v[145:146], v[131:132], v[157:158], v[211:212]
	v_add_f64 v[133:134], v[133:134], v[139:140]
	s_clause 0x4
	buffer_load_dword v140, off, s[0:3], 0 offset:460
	buffer_load_dword v157, off, s[0:3], 0 offset:472
	;; [unrolled: 1-line block ×5, first 2 shown]
	s_waitcnt vmcnt(57) lgkmcnt(0)
	v_mul_f64 v[206:207], v[1:2], v[159:160]
	v_mul_f64 v[159:160], v[3:4], v[159:160]
	s_waitcnt vmcnt(56)
	v_fma_f64 v[155:156], v[5:6], v[143:144], -v[155:156]
	ds_read_b128 v[129:132], v190 offset:1184
	v_fma_f64 v[143:144], v[7:8], v[143:144], v[191:192]
	v_add_f64 v[141:142], v[141:142], v[149:150]
	v_add_f64 v[133:134], v[133:134], v[145:146]
	s_clause 0x2
	buffer_load_dword v158, off, s[0:3], 0 offset:476
	buffer_load_dword v146, off, s[0:3], 0 offset:452
	;; [unrolled: 1-line block ×3, first 2 shown]
	ds_read_b128 v[5:8], v190 offset:1200
	s_waitcnt vmcnt(58) lgkmcnt(1)
	v_mul_f64 v[149:150], v[129:130], v[163:164]
	v_mul_f64 v[163:164], v[131:132], v[163:164]
	s_waitcnt vmcnt(56)
	v_fma_f64 v[159:160], v[1:2], v[165:166], -v[159:160]
	v_add_f64 v[141:142], v[141:142], v[155:156]
	v_fma_f64 v[155:156], v[3:4], v[165:166], v[206:207]
	v_add_f64 v[133:134], v[133:134], v[143:144]
	s_clause 0x4
	buffer_load_dword v144, off, s[0:3], 0 offset:492
	buffer_load_dword v165, off, s[0:3], 0 offset:504
	;; [unrolled: 1-line block ×5, first 2 shown]
	s_waitcnt vmcnt(57) lgkmcnt(0)
	v_mul_f64 v[212:213], v[5:6], v[167:168]
	v_mul_f64 v[167:168], v[7:8], v[167:168]
	s_waitcnt vmcnt(56)
	v_fma_f64 v[163:164], v[129:130], v[151:152], -v[163:164]
	ds_read_b128 v[1:4], v190 offset:1216
	v_fma_f64 v[149:150], v[131:132], v[151:152], v[149:150]
	s_clause 0x2
	buffer_load_dword v166, off, s[0:3], 0 offset:508
	buffer_load_dword v152, off, s[0:3], 0 offset:484
	;; [unrolled: 1-line block ×3, first 2 shown]
	ds_read_b128 v[129:132], v190 offset:1232
	v_add_f64 v[141:142], v[141:142], v[159:160]
	v_add_f64 v[133:134], v[133:134], v[155:156]
	s_waitcnt vmcnt(58) lgkmcnt(1)
	v_mul_f64 v[159:160], v[3:4], v[171:172]
	s_waitcnt vmcnt(56)
	v_fma_f64 v[167:168], v[5:6], v[173:174], -v[167:168]
	v_mul_f64 v[155:156], v[1:2], v[171:172]
	v_add_f64 v[141:142], v[141:142], v[163:164]
	v_fma_f64 v[163:164], v[7:8], v[173:174], v[212:213]
	v_add_f64 v[133:134], v[133:134], v[149:150]
	s_clause 0x4
	buffer_load_dword v150, off, s[0:3], 0 offset:524
	buffer_load_dword v171, off, s[0:3], 0 offset:536
	;; [unrolled: 1-line block ×5, first 2 shown]
	s_waitcnt vmcnt(57) lgkmcnt(0)
	v_mul_f64 v[212:213], v[129:130], v[175:176]
	v_mul_f64 v[174:175], v[131:132], v[175:176]
	s_waitcnt vmcnt(56)
	v_fma_f64 v[159:160], v[1:2], v[161:162], -v[159:160]
	ds_read_b128 v[5:8], v190 offset:1248
	v_fma_f64 v[155:156], v[3:4], v[161:162], v[155:156]
	s_clause 0x2
	buffer_load_dword v172, off, s[0:3], 0 offset:540
	buffer_load_dword v162, off, s[0:3], 0 offset:516
	;; [unrolled: 1-line block ×3, first 2 shown]
	ds_read_b128 v[1:4], v190 offset:1264
	v_add_f64 v[141:142], v[141:142], v[167:168]
	v_add_f64 v[133:134], v[133:134], v[163:164]
	s_waitcnt vmcnt(58) lgkmcnt(1)
	v_mul_f64 v[167:168], v[7:8], v[179:180]
	s_waitcnt vmcnt(56)
	v_fma_f64 v[175:176], v[129:130], v[181:182], -v[174:175]
	v_mul_f64 v[163:164], v[5:6], v[179:180]
	v_add_f64 v[141:142], v[141:142], v[159:160]
	v_fma_f64 v[159:160], v[131:132], v[181:182], v[212:213]
	v_add_f64 v[133:134], v[133:134], v[155:156]
	s_clause 0x4
	buffer_load_dword v156, off, s[0:3], 0 offset:556
	buffer_load_dword v179, off, s[0:3], 0 offset:568
	buffer_load_dword v181, off, s[0:3], 0 offset:560
	buffer_load_dword v155, off, s[0:3], 0 offset:552
	buffer_load_dword v174, off, s[0:3], 0 offset:532
	s_waitcnt vmcnt(57) lgkmcnt(0)
	v_mul_f64 v[212:213], v[1:2], v[183:184]
	v_mul_f64 v[182:183], v[3:4], v[183:184]
	s_waitcnt vmcnt(56)
	v_fma_f64 v[167:168], v[5:6], v[169:170], -v[167:168]
	ds_read_b128 v[129:132], v190 offset:1280
	v_fma_f64 v[163:164], v[7:8], v[169:170], v[163:164]
	v_add_f64 v[141:142], v[141:142], v[175:176]
	v_add_f64 v[133:134], v[133:134], v[159:160]
	s_clause 0x2
	buffer_load_dword v180, off, s[0:3], 0 offset:572
	buffer_load_dword v160, off, s[0:3], 0 offset:548
	;; [unrolled: 1-line block ×3, first 2 shown]
	ds_read_b128 v[5:8], v190 offset:1296
	s_waitcnt vmcnt(58) lgkmcnt(1)
	v_mul_f64 v[175:176], v[131:132], v[185:186]
	s_waitcnt vmcnt(56)
	v_fma_f64 v[183:184], v[1:2], v[187:188], -v[182:183]
	v_mul_f64 v[169:170], v[129:130], v[185:186]
	v_add_f64 v[141:142], v[141:142], v[167:168]
	v_fma_f64 v[167:168], v[3:4], v[187:188], v[212:213]
	v_add_f64 v[133:134], v[133:134], v[163:164]
	s_clause 0x4
	buffer_load_dword v164, off, s[0:3], 0 offset:588
	buffer_load_dword v185, off, s[0:3], 0 offset:600
	;; [unrolled: 1-line block ×5, first 2 shown]
	s_waitcnt vmcnt(57) lgkmcnt(0)
	v_mul_f64 v[212:213], v[5:6], v[197:198]
	v_mul_f64 v[197:198], v[7:8], v[197:198]
	s_waitcnt vmcnt(56)
	v_fma_f64 v[175:176], v[129:130], v[177:178], -v[175:176]
	ds_read_b128 v[1:4], v190 offset:1312
	v_fma_f64 v[169:170], v[131:132], v[177:178], v[169:170]
	v_add_f64 v[141:142], v[141:142], v[183:184]
	v_add_f64 v[133:134], v[133:134], v[167:168]
	s_clause 0x2
	buffer_load_dword v186, off, s[0:3], 0 offset:604
	buffer_load_dword v168, off, s[0:3], 0 offset:580
	;; [unrolled: 1-line block ×3, first 2 shown]
	ds_read_b128 v[129:132], v190 offset:1328
	s_waitcnt vmcnt(58) lgkmcnt(1)
	v_mul_f64 v[183:184], v[3:4], v[199:200]
	v_mul_f64 v[177:178], v[1:2], v[199:200]
	s_waitcnt vmcnt(56)
	v_fma_f64 v[197:198], v[5:6], v[137:138], -v[197:198]
	v_fma_f64 v[137:138], v[7:8], v[137:138], v[212:213]
	v_add_f64 v[141:142], v[141:142], v[175:176]
	v_add_f64 v[133:134], v[133:134], v[169:170]
	s_clause 0x4
	buffer_load_dword v170, off, s[0:3], 0 offset:620
	buffer_load_dword v175, off, s[0:3], 0 offset:632
	;; [unrolled: 1-line block ×5, first 2 shown]
	ds_read_b128 v[5:8], v190 offset:1344
	s_waitcnt vmcnt(57) lgkmcnt(1)
	v_mul_f64 v[212:213], v[129:130], v[135:136]
	v_mul_f64 v[135:136], v[131:132], v[135:136]
	s_waitcnt vmcnt(56)
	v_fma_f64 v[183:184], v[1:2], v[201:202], -v[183:184]
	v_fma_f64 v[177:178], v[3:4], v[201:202], v[177:178]
	v_add_f64 v[141:142], v[141:142], v[197:198]
	v_add_f64 v[133:134], v[133:134], v[137:138]
	s_clause 0x2
	buffer_load_dword v176, off, s[0:3], 0 offset:636
	buffer_load_dword v138, off, s[0:3], 0 offset:612
	;; [unrolled: 1-line block ×3, first 2 shown]
	s_waitcnt vmcnt(58) lgkmcnt(0)
	v_mul_f64 v[201:202], v[7:8], v[203:204]
	ds_read_b128 v[1:4], v190 offset:1360
	v_mul_f64 v[197:198], v[5:6], v[203:204]
	s_waitcnt vmcnt(56)
	v_fma_f64 v[135:136], v[129:130], v[193:194], -v[135:136]
	v_add_f64 v[141:142], v[141:142], v[183:184]
	v_fma_f64 v[183:184], v[131:132], v[193:194], v[212:213]
	v_add_f64 v[133:134], v[133:134], v[177:178]
	s_clause 0x4
	buffer_load_dword v178, off, s[0:3], 0 offset:652
	buffer_load_dword v193, off, s[0:3], 0 offset:664
	;; [unrolled: 1-line block ×5, first 2 shown]
	ds_read_b128 v[129:132], v190 offset:1376
	s_waitcnt vmcnt(57) lgkmcnt(1)
	v_mul_f64 v[212:213], v[1:2], v[153:154]
	v_mul_f64 v[153:154], v[3:4], v[153:154]
	s_waitcnt vmcnt(56)
	v_fma_f64 v[201:202], v[5:6], v[208:209], -v[201:202]
	v_add_f64 v[135:136], v[141:142], v[135:136]
	v_fma_f64 v[141:142], v[7:8], v[208:209], v[197:198]
	v_add_f64 v[133:134], v[133:134], v[183:184]
	s_clause 0x2
	buffer_load_dword v194, off, s[0:3], 0 offset:668
	buffer_load_dword v184, off, s[0:3], 0 offset:644
	;; [unrolled: 1-line block ×3, first 2 shown]
	ds_read_b128 v[5:8], v190 offset:1392
	s_waitcnt vmcnt(58) lgkmcnt(1)
	v_mul_f64 v[197:198], v[129:130], v[195:196]
	v_mul_f64 v[195:196], v[131:132], v[195:196]
	s_waitcnt vmcnt(56)
	v_fma_f64 v[153:154], v[1:2], v[147:148], -v[153:154]
	v_fma_f64 v[147:148], v[3:4], v[147:148], v[212:213]
	v_add_f64 v[135:136], v[135:136], v[201:202]
	v_add_f64 v[133:134], v[133:134], v[141:142]
	s_clause 0x4
	buffer_load_dword v142, off, s[0:3], 0 offset:684
	buffer_load_dword v201, off, s[0:3], 0 offset:696
	;; [unrolled: 1-line block ×5, first 2 shown]
	ds_read_b128 v[1:4], v190 offset:1408
	s_waitcnt vmcnt(57) lgkmcnt(1)
	v_mul_f64 v[208:209], v[5:6], v[139:140]
	v_mul_f64 v[139:140], v[7:8], v[139:140]
	s_waitcnt vmcnt(56)
	v_fma_f64 v[195:196], v[129:130], v[210:211], -v[195:196]
	v_add_f64 v[135:136], v[135:136], v[153:154]
	v_fma_f64 v[153:154], v[131:132], v[210:211], v[197:198]
	v_add_f64 v[133:134], v[133:134], v[147:148]
	s_clause 0x2
	buffer_load_dword v202, off, s[0:3], 0 offset:700
	buffer_load_dword v148, off, s[0:3], 0 offset:676
	;; [unrolled: 1-line block ×3, first 2 shown]
	ds_read_b128 v[129:132], v190 offset:1424
	s_waitcnt vmcnt(58) lgkmcnt(1)
	v_mul_f64 v[197:198], v[1:2], v[157:158]
	v_mul_f64 v[157:158], v[3:4], v[157:158]
	s_waitcnt vmcnt(56)
	v_fma_f64 v[139:140], v[5:6], v[145:146], -v[139:140]
	v_fma_f64 v[145:146], v[7:8], v[145:146], v[208:209]
	v_add_f64 v[135:136], v[135:136], v[195:196]
	v_add_f64 v[133:134], v[133:134], v[153:154]
	s_clause 0x4
	buffer_load_dword v154, off, s[0:3], 0 offset:716
	buffer_load_dword v195, off, s[0:3], 0 offset:728
	;; [unrolled: 1-line block ×5, first 2 shown]
	ds_read_b128 v[5:8], v190 offset:1440
	s_waitcnt vmcnt(57) lgkmcnt(1)
	v_mul_f64 v[210:211], v[129:130], v[143:144]
	v_mul_f64 v[143:144], v[131:132], v[143:144]
	s_waitcnt vmcnt(56)
	v_fma_f64 v[157:158], v[1:2], v[205:206], -v[157:158]
	v_add_f64 v[135:136], v[135:136], v[139:140]
	v_fma_f64 v[139:140], v[3:4], v[205:206], v[197:198]
	v_add_f64 v[133:134], v[133:134], v[145:146]
	s_clause 0x2
	buffer_load_dword v196, off, s[0:3], 0 offset:732
	buffer_load_dword v146, off, s[0:3], 0 offset:708
	;; [unrolled: 1-line block ×3, first 2 shown]
	s_waitcnt vmcnt(58) lgkmcnt(0)
	v_mul_f64 v[197:198], v[5:6], v[165:166]
	v_mul_f64 v[165:166], v[7:8], v[165:166]
	ds_read_b128 v[1:4], v190 offset:1456
	s_waitcnt vmcnt(56)
	v_fma_f64 v[143:144], v[129:130], v[151:152], -v[143:144]
	v_fma_f64 v[151:152], v[131:132], v[151:152], v[210:211]
	v_add_f64 v[135:136], v[135:136], v[157:158]
	v_add_f64 v[133:134], v[133:134], v[139:140]
	s_clause 0x4
	buffer_load_dword v140, off, s[0:3], 0 offset:748
	buffer_load_dword v157, off, s[0:3], 0 offset:760
	;; [unrolled: 1-line block ×5, first 2 shown]
	ds_read_b128 v[129:132], v190 offset:1472
	s_waitcnt vmcnt(57) lgkmcnt(1)
	v_mul_f64 v[211:212], v[1:2], v[149:150]
	v_mul_f64 v[149:150], v[3:4], v[149:150]
	s_waitcnt vmcnt(56)
	v_fma_f64 v[165:166], v[5:6], v[191:192], -v[165:166]
	v_add_f64 v[135:136], v[135:136], v[143:144]
	v_fma_f64 v[143:144], v[7:8], v[191:192], v[197:198]
	v_add_f64 v[133:134], v[133:134], v[151:152]
	s_clause 0x2
	buffer_load_dword v158, off, s[0:3], 0 offset:764
	buffer_load_dword v152, off, s[0:3], 0 offset:740
	;; [unrolled: 1-line block ×3, first 2 shown]
	s_waitcnt vmcnt(58) lgkmcnt(0)
	v_mul_f64 v[191:192], v[129:130], v[171:172]
	v_mul_f64 v[171:172], v[131:132], v[171:172]
	ds_read_b128 v[5:8], v190 offset:1488
	s_waitcnt vmcnt(56)
	v_fma_f64 v[149:150], v[1:2], v[161:162], -v[149:150]
	v_fma_f64 v[161:162], v[3:4], v[161:162], v[211:212]
	v_add_f64 v[135:136], v[135:136], v[165:166]
	v_add_f64 v[133:134], v[133:134], v[143:144]
	s_clause 0x4
	buffer_load_dword v144, off, s[0:3], 0 offset:780
	buffer_load_dword v165, off, s[0:3], 0 offset:792
	buffer_load_dword v197, off, s[0:3], 0 offset:784
	buffer_load_dword v143, off, s[0:3], 0 offset:776
	buffer_load_dword v206, off, s[0:3], 0 offset:756
	ds_read_b128 v[1:4], v190 offset:1504
	s_waitcnt vmcnt(57) lgkmcnt(1)
	v_mul_f64 v[211:212], v[5:6], v[155:156]
	v_mul_f64 v[155:156], v[7:8], v[155:156]
	s_waitcnt vmcnt(56)
	v_fma_f64 v[171:172], v[129:130], v[173:174], -v[171:172]
	v_add_f64 v[135:136], v[135:136], v[149:150]
	v_fma_f64 v[149:150], v[131:132], v[173:174], v[191:192]
	v_add_f64 v[133:134], v[133:134], v[161:162]
	s_clause 0x2
	buffer_load_dword v166, off, s[0:3], 0 offset:796
	buffer_load_dword v162, off, s[0:3], 0 offset:772
	buffer_load_dword v161, off, s[0:3], 0 offset:768
	ds_read_b128 v[129:132], v190 offset:1520
	s_waitcnt vmcnt(58) lgkmcnt(1)
	v_mul_f64 v[173:174], v[1:2], v[179:180]
	v_mul_f64 v[179:180], v[3:4], v[179:180]
	s_waitcnt vmcnt(56)
	v_fma_f64 v[155:156], v[5:6], v[159:160], -v[155:156]
	v_fma_f64 v[159:160], v[7:8], v[159:160], v[211:212]
	v_add_f64 v[135:136], v[135:136], v[171:172]
	v_add_f64 v[133:134], v[133:134], v[149:150]
	s_clause 0x4
	buffer_load_dword v150, off, s[0:3], 0 offset:812
	buffer_load_dword v171, off, s[0:3], 0 offset:824
	buffer_load_dword v191, off, s[0:3], 0 offset:816
	buffer_load_dword v149, off, s[0:3], 0 offset:808
	buffer_load_dword v198, off, s[0:3], 0 offset:788
	ds_read_b128 v[5:8], v190 offset:1536
	s_waitcnt vmcnt(57) lgkmcnt(1)
	v_mul_f64 v[211:212], v[129:130], v[163:164]
	v_mul_f64 v[163:164], v[131:132], v[163:164]
	s_waitcnt vmcnt(56)
	v_fma_f64 v[179:180], v[1:2], v[181:182], -v[179:180]
	v_add_f64 v[135:136], v[135:136], v[155:156]
	v_fma_f64 v[155:156], v[3:4], v[181:182], v[173:174]
	v_add_f64 v[133:134], v[133:134], v[159:160]
	s_clause 0x2
	buffer_load_dword v172, off, s[0:3], 0 offset:828
	buffer_load_dword v160, off, s[0:3], 0 offset:804
	buffer_load_dword v159, off, s[0:3], 0 offset:800
	ds_read_b128 v[1:4], v190 offset:1552
	s_waitcnt vmcnt(58) lgkmcnt(1)
	v_mul_f64 v[181:182], v[7:8], v[185:186]
	v_mul_f64 v[173:174], v[5:6], v[185:186]
	;; [unrolled: 28-line block ×4, first 2 shown]
	s_waitcnt vmcnt(56)
	v_fma_f64 v[177:178], v[5:6], v[183:184], -v[177:178]
	v_add_f64 v[135:136], v[135:136], v[175:176]
	v_fma_f64 v[175:176], v[7:8], v[183:184], v[211:212]
	v_add_f64 v[133:134], v[133:134], v[169:170]
	s_clause 0x4
	buffer_load_dword v170, off, s[0:3], 0 offset:908
	buffer_load_dword v183, off, s[0:3], 0 offset:920
	;; [unrolled: 1-line block ×5, first 2 shown]
	ds_read_b128 v[5:8], v190 offset:1632
	s_waitcnt vmcnt(57) lgkmcnt(1)
	v_mul_f64 v[211:212], v[129:130], v[141:142]
	v_mul_f64 v[141:142], v[131:132], v[141:142]
	s_waitcnt vmcnt(56)
	v_fma_f64 v[193:194], v[1:2], v[203:204], -v[193:194]
	v_fma_f64 v[173:174], v[3:4], v[203:204], v[173:174]
	v_add_f64 v[135:136], v[135:136], v[177:178]
	v_add_f64 v[133:134], v[133:134], v[175:176]
	s_clause 0x2
	buffer_load_dword v184, off, s[0:3], 0 offset:924
	buffer_load_dword v176, off, s[0:3], 0 offset:900
	;; [unrolled: 1-line block ×3, first 2 shown]
	ds_read_b128 v[1:4], v190 offset:1648
	s_waitcnt vmcnt(58) lgkmcnt(1)
	v_mul_f64 v[177:178], v[5:6], v[201:202]
	v_mul_f64 v[201:202], v[7:8], v[201:202]
	s_waitcnt vmcnt(56)
	v_fma_f64 v[141:142], v[129:130], v[147:148], -v[141:142]
	v_fma_f64 v[147:148], v[131:132], v[147:148], v[211:212]
	v_add_f64 v[135:136], v[135:136], v[193:194]
	v_add_f64 v[133:134], v[133:134], v[173:174]
	s_clause 0x4
	buffer_load_dword v174, off, s[0:3], 0 offset:940
	buffer_load_dword v193, off, s[0:3], 0 offset:952
	;; [unrolled: 1-line block ×5, first 2 shown]
	ds_read_b128 v[129:132], v190 offset:1664
	s_waitcnt vmcnt(57) lgkmcnt(1)
	v_mul_f64 v[211:212], v[1:2], v[153:154]
	v_mul_f64 v[153:154], v[3:4], v[153:154]
	s_waitcnt vmcnt(56)
	v_fma_f64 v[201:202], v[5:6], v[207:208], -v[201:202]
	v_add_f64 v[135:136], v[135:136], v[141:142]
	v_fma_f64 v[141:142], v[7:8], v[207:208], v[177:178]
	v_add_f64 v[133:134], v[133:134], v[147:148]
	s_clause 0x2
	buffer_load_dword v194, off, s[0:3], 0 offset:956
	buffer_load_dword v148, off, s[0:3], 0 offset:932
	;; [unrolled: 1-line block ×3, first 2 shown]
	ds_read_b128 v[5:8], v190 offset:1680
	s_waitcnt vmcnt(58) lgkmcnt(1)
	v_mul_f64 v[177:178], v[129:130], v[195:196]
	v_mul_f64 v[195:196], v[131:132], v[195:196]
	s_waitcnt vmcnt(56)
	v_fma_f64 v[153:154], v[1:2], v[145:146], -v[153:154]
	v_fma_f64 v[145:146], v[3:4], v[145:146], v[211:212]
	v_add_f64 v[135:136], v[135:136], v[201:202]
	v_add_f64 v[133:134], v[133:134], v[141:142]
	s_clause 0x2
	buffer_load_dword v142, off, s[0:3], 0 offset:972
	buffer_load_dword v141, off, s[0:3], 0 offset:968
	buffer_load_dword v204, off, s[0:3], 0 offset:948
	ds_read_b128 v[1:4], v190 offset:1696
	s_waitcnt vmcnt(55) lgkmcnt(1)
	v_mul_f64 v[201:202], v[5:6], v[139:140]
	v_mul_f64 v[139:140], v[7:8], v[139:140]
	s_waitcnt vmcnt(54)
	v_fma_f64 v[195:196], v[129:130], v[209:210], -v[195:196]
	v_add_f64 v[135:136], v[135:136], v[153:154]
	v_fma_f64 v[153:154], v[131:132], v[209:210], v[177:178]
	v_add_f64 v[133:134], v[133:134], v[145:146]
	s_clause 0x1
	buffer_load_dword v146, off, s[0:3], 0 offset:964
	buffer_load_dword v145, off, s[0:3], 0 offset:960
	ds_read_b128 v[129:132], v190 offset:1712
	s_waitcnt vmcnt(55) lgkmcnt(1)
	v_mul_f64 v[177:178], v[1:2], v[157:158]
	v_mul_f64 v[157:158], v[3:4], v[157:158]
	s_waitcnt vmcnt(53)
	v_fma_f64 v[139:140], v[5:6], v[151:152], -v[139:140]
	v_fma_f64 v[151:152], v[7:8], v[151:152], v[201:202]
	ds_read_b128 v[5:8], v190 offset:1728
	v_add_f64 v[135:136], v[135:136], v[195:196]
	v_add_f64 v[133:134], v[133:134], v[153:154]
	s_waitcnt vmcnt(49) lgkmcnt(1)
	v_mul_f64 v[153:154], v[129:130], v[143:144]
	v_mul_f64 v[143:144], v[131:132], v[143:144]
	s_waitcnt vmcnt(48)
	v_fma_f64 v[157:158], v[1:2], v[205:206], -v[157:158]
	v_add_f64 v[135:136], v[135:136], v[139:140]
	v_fma_f64 v[139:140], v[3:4], v[205:206], v[177:178]
	v_add_f64 v[133:134], v[133:134], v[151:152]
	s_clause 0x3
	buffer_load_dword v151, off, s[0:3], 0 offset:96
	buffer_load_dword v152, off, s[0:3], 0 offset:100
	;; [unrolled: 1-line block ×4, first 2 shown]
	ds_read_b128 v[1:4], v190 offset:1744
	s_waitcnt vmcnt(51) lgkmcnt(1)
	v_mul_f64 v[195:196], v[5:6], v[165:166]
	v_mul_f64 v[165:166], v[7:8], v[165:166]
	s_waitcnt vmcnt(49)
	v_fma_f64 v[143:144], v[129:130], v[161:162], -v[143:144]
	v_fma_f64 v[153:154], v[131:132], v[161:162], v[153:154]
	ds_read_b128 v[129:132], v190 offset:1760
	v_add_f64 v[135:136], v[135:136], v[157:158]
	v_add_f64 v[133:134], v[133:134], v[139:140]
	s_waitcnt vmcnt(45) lgkmcnt(1)
	v_mul_f64 v[139:140], v[1:2], v[149:150]
	v_mul_f64 v[149:150], v[3:4], v[149:150]
	s_waitcnt vmcnt(44)
	v_fma_f64 v[157:158], v[5:6], v[197:198], -v[165:166]
	v_add_f64 v[135:136], v[135:136], v[143:144]
	v_fma_f64 v[143:144], v[7:8], v[197:198], v[195:196]
	v_add_f64 v[133:134], v[133:134], v[153:154]
	ds_read_b128 v[5:8], v190 offset:1776
	s_waitcnt vmcnt(43) lgkmcnt(1)
	v_mul_f64 v[161:162], v[131:132], v[171:172]
	v_mul_f64 v[153:154], v[129:130], v[171:172]
	s_waitcnt vmcnt(41)
	v_fma_f64 v[149:150], v[1:2], v[159:160], -v[149:150]
	v_fma_f64 v[139:140], v[3:4], v[159:160], v[139:140]
	ds_read_b128 v[1:4], v190 offset:1792
	v_add_f64 v[135:136], v[135:136], v[157:158]
	v_add_f64 v[133:134], v[133:134], v[143:144]
	s_waitcnt vmcnt(37) lgkmcnt(1)
	v_mul_f64 v[143:144], v[5:6], v[155:156]
	v_mul_f64 v[155:156], v[7:8], v[155:156]
	s_waitcnt vmcnt(36)
	v_fma_f64 v[157:158], v[129:130], v[191:192], -v[161:162]
	v_add_f64 v[135:136], v[135:136], v[149:150]
	v_fma_f64 v[149:150], v[131:132], v[191:192], v[153:154]
	v_add_f64 v[133:134], v[133:134], v[139:140]
	ds_read_b128 v[129:132], v190 offset:1808
	s_waitcnt vmcnt(35) lgkmcnt(1)
	v_mul_f64 v[153:154], v[3:4], v[179:180]
	v_mul_f64 v[139:140], v[1:2], v[179:180]
	s_waitcnt vmcnt(33)
	v_fma_f64 v[155:156], v[5:6], v[167:168], -v[155:156]
	v_fma_f64 v[143:144], v[7:8], v[167:168], v[143:144]
	ds_read_b128 v[5:8], v190 offset:1824
	v_add_f64 v[135:136], v[135:136], v[157:158]
	v_add_f64 v[133:134], v[133:134], v[149:150]
	s_waitcnt vmcnt(29) lgkmcnt(1)
	v_mul_f64 v[157:158], v[131:132], v[163:164]
	s_waitcnt vmcnt(28)
	v_fma_f64 v[153:154], v[1:2], v[185:186], -v[153:154]
	v_mul_f64 v[149:150], v[129:130], v[163:164]
	v_fma_f64 v[139:140], v[3:4], v[185:186], v[139:140]
	ds_read_b128 v[1:4], v190 offset:1840
	v_add_f64 v[135:136], v[135:136], v[155:156]
	v_add_f64 v[133:134], v[133:134], v[143:144]
	s_waitcnt vmcnt(27) lgkmcnt(1)
	v_mul_f64 v[155:156], v[7:8], v[181:182]
	v_mul_f64 v[143:144], v[5:6], v[181:182]
	s_waitcnt vmcnt(25)
	v_fma_f64 v[157:158], v[129:130], v[137:138], -v[157:158]
	v_fma_f64 v[137:138], v[131:132], v[137:138], v[149:150]
	ds_read_b128 v[129:132], v190 offset:1856
	v_add_f64 v[135:136], v[135:136], v[153:154]
	v_add_f64 v[133:134], v[133:134], v[139:140]
	s_waitcnt vmcnt(21) lgkmcnt(1)
	v_mul_f64 v[149:150], v[3:4], v[169:170]
	s_waitcnt vmcnt(20)
	v_fma_f64 v[153:154], v[5:6], v[187:188], -v[155:156]
	v_mul_f64 v[139:140], v[1:2], v[169:170]
	v_fma_f64 v[143:144], v[7:8], v[187:188], v[143:144]
	ds_read_b128 v[5:8], v190 offset:1872
	v_add_f64 v[135:136], v[135:136], v[157:158]
	v_add_f64 v[133:134], v[133:134], v[137:138]
	;; [unrolled: 18-line block ×3, first 2 shown]
	s_waitcnt vmcnt(11) lgkmcnt(1)
	v_mul_f64 v[149:150], v[3:4], v[193:194]
	v_mul_f64 v[139:140], v[1:2], v[193:194]
	s_waitcnt vmcnt(9)
	v_fma_f64 v[5:6], v[5:6], v[147:148], -v[153:154]
	v_fma_f64 v[7:8], v[7:8], v[147:148], v[143:144]
	v_add_f64 v[135:136], v[135:136], v[155:156]
	v_add_f64 v[133:134], v[133:134], v[137:138]
	s_waitcnt vmcnt(7) lgkmcnt(0)
	v_mul_f64 v[137:138], v[129:130], v[141:142]
	v_mul_f64 v[141:142], v[131:132], v[141:142]
	s_waitcnt vmcnt(6)
	v_fma_f64 v[1:2], v[1:2], v[203:204], -v[149:150]
	v_fma_f64 v[3:4], v[3:4], v[203:204], v[139:140]
	v_add_f64 v[5:6], v[135:136], v[5:6]
	v_add_f64 v[7:8], v[133:134], v[7:8]
	s_waitcnt vmcnt(4)
	v_fma_f64 v[129:130], v[129:130], v[145:146], -v[141:142]
	v_add_f64 v[1:2], v[5:6], v[1:2]
	v_fma_f64 v[5:6], v[131:132], v[145:146], v[137:138]
	v_add_f64 v[3:4], v[7:8], v[3:4]
	v_add_f64 v[1:2], v[1:2], v[129:130]
	;; [unrolled: 1-line block ×3, first 2 shown]
	s_waitcnt vmcnt(2)
	v_add_f64 v[1:2], v[151:152], -v[1:2]
	s_waitcnt vmcnt(0)
	v_add_f64 v[3:4], v[177:178], -v[3:4]
	buffer_store_dword v2, off, s[0:3], 0 offset:100
	buffer_store_dword v1, off, s[0:3], 0 offset:96
	;; [unrolled: 1-line block ×4, first 2 shown]
	v_cmpx_lt_u32_e32 4, v0
	s_cbranch_execz .LBB123_365
; %bb.364:
	v_mov_b32_e32 v4, s68
	v_mov_b32_e32 v5, 0
	s_clause 0x3
	buffer_load_dword v1, v4, s[0:3], 0 offen
	buffer_load_dword v2, v4, s[0:3], 0 offen offset:4
	buffer_load_dword v3, v4, s[0:3], 0 offen offset:8
	;; [unrolled: 1-line block ×3, first 2 shown]
	buffer_store_dword v5, off, s[0:3], 0 offset:80
	buffer_store_dword v5, off, s[0:3], 0 offset:84
	;; [unrolled: 1-line block ×4, first 2 shown]
	s_waitcnt vmcnt(0)
	ds_write_b128 v189, v[1:4]
.LBB123_365:
	s_or_b32 exec_lo, exec_lo, s4
	s_waitcnt lgkmcnt(0)
	s_waitcnt_vscnt null, 0x0
	s_barrier
	buffer_gl0_inv
	s_clause 0x37
	buffer_load_dword v137, off, s[0:3], 0 offset:104
	buffer_load_dword v138, off, s[0:3], 0 offset:108
	;; [unrolled: 1-line block ×56, first 2 shown]
	v_mov_b32_e32 v190, 0
	s_mov_b32 s4, exec_lo
	ds_read_b128 v[5:8], v190 offset:1040
	s_clause 0x2
	buffer_load_dword v186, off, s[0:3], 0 offset:332
	buffer_load_dword v188, off, s[0:3], 0 offset:308
	;; [unrolled: 1-line block ×3, first 2 shown]
	ds_read_b128 v[1:4], v190 offset:1056
	s_clause 0x4
	buffer_load_dword v198, off, s[0:3], 0 offset:348
	buffer_load_dword v199, off, s[0:3], 0 offset:360
	;; [unrolled: 1-line block ×5, first 2 shown]
	ds_read_b128 v[191:194], v190 offset:1072
	s_waitcnt vmcnt(62) lgkmcnt(2)
	v_mul_f64 v[195:196], v[7:8], v[137:138]
	v_mul_f64 v[137:138], v[5:6], v[137:138]
	s_waitcnt vmcnt(60) lgkmcnt(1)
	v_mul_f64 v[202:203], v[3:4], v[133:134]
	v_mul_f64 v[133:134], v[1:2], v[133:134]
	s_waitcnt vmcnt(56) lgkmcnt(0)
	v_mul_f64 v[204:205], v[191:192], v[131:132]
	v_mul_f64 v[131:132], v[193:194], v[131:132]
	v_fma_f64 v[195:196], v[5:6], v[135:136], -v[195:196]
	v_fma_f64 v[135:136], v[7:8], v[135:136], v[137:138]
	s_clause 0x2
	buffer_load_dword v200, off, s[0:3], 0 offset:364
	buffer_load_dword v138, off, s[0:3], 0 offset:340
	;; [unrolled: 1-line block ×3, first 2 shown]
	s_waitcnt vmcnt(57)
	v_fma_f64 v[206:207], v[1:2], v[129:130], -v[202:203]
	ds_read_b128 v[5:8], v190 offset:1088
	v_fma_f64 v[129:130], v[3:4], v[129:130], v[133:134]
	s_waitcnt vmcnt(51)
	v_fma_f64 v[191:192], v[191:192], v[153:154], -v[131:132]
	v_fma_f64 v[153:154], v[193:194], v[153:154], v[204:205]
	v_add_f64 v[195:196], v[195:196], 0
	v_add_f64 v[133:134], v[135:136], 0
	s_clause 0x4
	buffer_load_dword v136, off, s[0:3], 0 offset:380
	buffer_load_dword v203, off, s[0:3], 0 offset:392
	;; [unrolled: 1-line block ×5, first 2 shown]
	s_waitcnt lgkmcnt(0)
	v_mul_f64 v[209:210], v[5:6], v[141:142]
	v_mul_f64 v[141:142], v[7:8], v[141:142]
	ds_read_b128 v[1:4], v190 offset:1104
	s_clause 0x2
	buffer_load_dword v204, off, s[0:3], 0 offset:396
	buffer_load_dword v194, off, s[0:3], 0 offset:372
	buffer_load_dword v193, off, s[0:3], 0 offset:368
	v_add_f64 v[195:196], v[195:196], v[206:207]
	v_add_f64 v[133:134], v[133:134], v[129:130]
	ds_read_b128 v[129:132], v190 offset:1120
	s_waitcnt vmcnt(58) lgkmcnt(1)
	v_mul_f64 v[205:206], v[1:2], v[145:146]
	v_mul_f64 v[145:146], v[3:4], v[145:146]
	s_waitcnt vmcnt(56)
	v_fma_f64 v[141:142], v[5:6], v[147:148], -v[141:142]
	v_fma_f64 v[147:148], v[7:8], v[147:148], v[209:210]
	s_waitcnt vmcnt(52) lgkmcnt(0)
	v_mul_f64 v[211:212], v[129:130], v[149:150]
	v_add_f64 v[191:192], v[195:196], v[191:192]
	v_add_f64 v[133:134], v[133:134], v[153:154]
	s_clause 0x4
	buffer_load_dword v154, off, s[0:3], 0 offset:412
	buffer_load_dword v195, off, s[0:3], 0 offset:424
	;; [unrolled: 1-line block ×5, first 2 shown]
	v_mul_f64 v[149:150], v[131:132], v[149:150]
	s_waitcnt vmcnt(56)
	v_fma_f64 v[145:146], v[1:2], v[139:140], -v[145:146]
	ds_read_b128 v[5:8], v190 offset:1136
	v_fma_f64 v[139:140], v[3:4], v[139:140], v[205:206]
	v_add_f64 v[141:142], v[191:192], v[141:142]
	v_add_f64 v[133:134], v[133:134], v[147:148]
	s_clause 0x2
	buffer_load_dword v196, off, s[0:3], 0 offset:428
	buffer_load_dword v148, off, s[0:3], 0 offset:404
	buffer_load_dword v147, off, s[0:3], 0 offset:400
	s_waitcnt vmcnt(58) lgkmcnt(0)
	v_mul_f64 v[191:192], v[5:6], v[155:156]
	v_mul_f64 v[155:156], v[7:8], v[155:156]
	s_waitcnt vmcnt(56)
	v_fma_f64 v[149:150], v[129:130], v[157:158], -v[149:150]
	ds_read_b128 v[1:4], v190 offset:1152
	v_add_f64 v[141:142], v[141:142], v[145:146]
	v_fma_f64 v[145:146], v[131:132], v[157:158], v[211:212]
	v_add_f64 v[133:134], v[133:134], v[139:140]
	s_clause 0x4
	buffer_load_dword v140, off, s[0:3], 0 offset:444
	buffer_load_dword v157, off, s[0:3], 0 offset:456
	;; [unrolled: 1-line block ×5, first 2 shown]
	s_waitcnt vmcnt(57) lgkmcnt(0)
	v_mul_f64 v[206:207], v[1:2], v[159:160]
	v_mul_f64 v[159:160], v[3:4], v[159:160]
	s_waitcnt vmcnt(56)
	v_fma_f64 v[155:156], v[5:6], v[143:144], -v[155:156]
	ds_read_b128 v[129:132], v190 offset:1168
	v_fma_f64 v[143:144], v[7:8], v[143:144], v[191:192]
	v_add_f64 v[141:142], v[141:142], v[149:150]
	v_add_f64 v[133:134], v[133:134], v[145:146]
	s_clause 0x2
	buffer_load_dword v158, off, s[0:3], 0 offset:460
	buffer_load_dword v146, off, s[0:3], 0 offset:436
	;; [unrolled: 1-line block ×3, first 2 shown]
	ds_read_b128 v[5:8], v190 offset:1184
	s_waitcnt vmcnt(58) lgkmcnt(1)
	v_mul_f64 v[149:150], v[129:130], v[163:164]
	v_mul_f64 v[163:164], v[131:132], v[163:164]
	s_waitcnt vmcnt(56)
	v_fma_f64 v[159:160], v[1:2], v[165:166], -v[159:160]
	v_add_f64 v[141:142], v[141:142], v[155:156]
	v_fma_f64 v[155:156], v[3:4], v[165:166], v[206:207]
	v_add_f64 v[133:134], v[133:134], v[143:144]
	s_clause 0x4
	buffer_load_dword v144, off, s[0:3], 0 offset:476
	buffer_load_dword v165, off, s[0:3], 0 offset:488
	;; [unrolled: 1-line block ×5, first 2 shown]
	s_waitcnt vmcnt(57) lgkmcnt(0)
	v_mul_f64 v[212:213], v[5:6], v[167:168]
	v_mul_f64 v[167:168], v[7:8], v[167:168]
	s_waitcnt vmcnt(56)
	v_fma_f64 v[163:164], v[129:130], v[151:152], -v[163:164]
	ds_read_b128 v[1:4], v190 offset:1200
	v_fma_f64 v[149:150], v[131:132], v[151:152], v[149:150]
	s_clause 0x2
	buffer_load_dword v166, off, s[0:3], 0 offset:492
	buffer_load_dword v152, off, s[0:3], 0 offset:468
	;; [unrolled: 1-line block ×3, first 2 shown]
	ds_read_b128 v[129:132], v190 offset:1216
	v_add_f64 v[141:142], v[141:142], v[159:160]
	v_add_f64 v[133:134], v[133:134], v[155:156]
	s_waitcnt vmcnt(58) lgkmcnt(1)
	v_mul_f64 v[159:160], v[3:4], v[171:172]
	s_waitcnt vmcnt(56)
	v_fma_f64 v[167:168], v[5:6], v[173:174], -v[167:168]
	v_mul_f64 v[155:156], v[1:2], v[171:172]
	v_add_f64 v[141:142], v[141:142], v[163:164]
	v_fma_f64 v[163:164], v[7:8], v[173:174], v[212:213]
	v_add_f64 v[133:134], v[133:134], v[149:150]
	s_clause 0x4
	buffer_load_dword v150, off, s[0:3], 0 offset:508
	buffer_load_dword v171, off, s[0:3], 0 offset:520
	;; [unrolled: 1-line block ×5, first 2 shown]
	s_waitcnt vmcnt(57) lgkmcnt(0)
	v_mul_f64 v[212:213], v[129:130], v[175:176]
	v_mul_f64 v[174:175], v[131:132], v[175:176]
	s_waitcnt vmcnt(56)
	v_fma_f64 v[159:160], v[1:2], v[161:162], -v[159:160]
	ds_read_b128 v[5:8], v190 offset:1232
	v_fma_f64 v[155:156], v[3:4], v[161:162], v[155:156]
	s_clause 0x2
	buffer_load_dword v172, off, s[0:3], 0 offset:524
	buffer_load_dword v162, off, s[0:3], 0 offset:500
	buffer_load_dword v161, off, s[0:3], 0 offset:496
	ds_read_b128 v[1:4], v190 offset:1248
	v_add_f64 v[141:142], v[141:142], v[167:168]
	v_add_f64 v[133:134], v[133:134], v[163:164]
	s_waitcnt vmcnt(58) lgkmcnt(1)
	v_mul_f64 v[167:168], v[7:8], v[179:180]
	s_waitcnt vmcnt(56)
	v_fma_f64 v[175:176], v[129:130], v[181:182], -v[174:175]
	v_mul_f64 v[163:164], v[5:6], v[179:180]
	v_add_f64 v[141:142], v[141:142], v[159:160]
	v_fma_f64 v[159:160], v[131:132], v[181:182], v[212:213]
	v_add_f64 v[133:134], v[133:134], v[155:156]
	s_clause 0x4
	buffer_load_dword v156, off, s[0:3], 0 offset:540
	buffer_load_dword v179, off, s[0:3], 0 offset:552
	buffer_load_dword v181, off, s[0:3], 0 offset:544
	buffer_load_dword v155, off, s[0:3], 0 offset:536
	buffer_load_dword v174, off, s[0:3], 0 offset:516
	s_waitcnt vmcnt(57) lgkmcnt(0)
	v_mul_f64 v[212:213], v[1:2], v[183:184]
	v_mul_f64 v[182:183], v[3:4], v[183:184]
	s_waitcnt vmcnt(56)
	v_fma_f64 v[167:168], v[5:6], v[169:170], -v[167:168]
	ds_read_b128 v[129:132], v190 offset:1264
	v_fma_f64 v[163:164], v[7:8], v[169:170], v[163:164]
	v_add_f64 v[141:142], v[141:142], v[175:176]
	v_add_f64 v[133:134], v[133:134], v[159:160]
	s_clause 0x2
	buffer_load_dword v180, off, s[0:3], 0 offset:556
	buffer_load_dword v160, off, s[0:3], 0 offset:532
	;; [unrolled: 1-line block ×3, first 2 shown]
	ds_read_b128 v[5:8], v190 offset:1280
	s_waitcnt vmcnt(58) lgkmcnt(1)
	v_mul_f64 v[175:176], v[131:132], v[185:186]
	s_waitcnt vmcnt(56)
	v_fma_f64 v[183:184], v[1:2], v[187:188], -v[182:183]
	v_mul_f64 v[169:170], v[129:130], v[185:186]
	v_add_f64 v[141:142], v[141:142], v[167:168]
	v_fma_f64 v[167:168], v[3:4], v[187:188], v[212:213]
	v_add_f64 v[133:134], v[133:134], v[163:164]
	s_clause 0x4
	buffer_load_dword v164, off, s[0:3], 0 offset:572
	buffer_load_dword v185, off, s[0:3], 0 offset:584
	;; [unrolled: 1-line block ×5, first 2 shown]
	s_waitcnt vmcnt(57) lgkmcnt(0)
	v_mul_f64 v[212:213], v[5:6], v[197:198]
	v_mul_f64 v[197:198], v[7:8], v[197:198]
	s_waitcnt vmcnt(56)
	v_fma_f64 v[175:176], v[129:130], v[177:178], -v[175:176]
	ds_read_b128 v[1:4], v190 offset:1296
	v_fma_f64 v[169:170], v[131:132], v[177:178], v[169:170]
	v_add_f64 v[141:142], v[141:142], v[183:184]
	v_add_f64 v[133:134], v[133:134], v[167:168]
	s_clause 0x2
	buffer_load_dword v186, off, s[0:3], 0 offset:588
	buffer_load_dword v168, off, s[0:3], 0 offset:564
	;; [unrolled: 1-line block ×3, first 2 shown]
	ds_read_b128 v[129:132], v190 offset:1312
	s_waitcnt vmcnt(58) lgkmcnt(1)
	v_mul_f64 v[183:184], v[3:4], v[199:200]
	v_mul_f64 v[177:178], v[1:2], v[199:200]
	s_waitcnt vmcnt(56)
	v_fma_f64 v[197:198], v[5:6], v[137:138], -v[197:198]
	v_fma_f64 v[137:138], v[7:8], v[137:138], v[212:213]
	v_add_f64 v[141:142], v[141:142], v[175:176]
	v_add_f64 v[133:134], v[133:134], v[169:170]
	s_clause 0x4
	buffer_load_dword v170, off, s[0:3], 0 offset:604
	buffer_load_dword v175, off, s[0:3], 0 offset:616
	;; [unrolled: 1-line block ×5, first 2 shown]
	ds_read_b128 v[5:8], v190 offset:1328
	s_waitcnt vmcnt(57) lgkmcnt(1)
	v_mul_f64 v[212:213], v[129:130], v[135:136]
	v_mul_f64 v[135:136], v[131:132], v[135:136]
	s_waitcnt vmcnt(56)
	v_fma_f64 v[183:184], v[1:2], v[201:202], -v[183:184]
	v_fma_f64 v[177:178], v[3:4], v[201:202], v[177:178]
	v_add_f64 v[141:142], v[141:142], v[197:198]
	v_add_f64 v[133:134], v[133:134], v[137:138]
	s_clause 0x2
	buffer_load_dword v176, off, s[0:3], 0 offset:620
	buffer_load_dword v138, off, s[0:3], 0 offset:596
	;; [unrolled: 1-line block ×3, first 2 shown]
	s_waitcnt vmcnt(58) lgkmcnt(0)
	v_mul_f64 v[201:202], v[7:8], v[203:204]
	ds_read_b128 v[1:4], v190 offset:1344
	v_mul_f64 v[197:198], v[5:6], v[203:204]
	s_waitcnt vmcnt(56)
	v_fma_f64 v[135:136], v[129:130], v[193:194], -v[135:136]
	v_add_f64 v[141:142], v[141:142], v[183:184]
	v_fma_f64 v[183:184], v[131:132], v[193:194], v[212:213]
	v_add_f64 v[133:134], v[133:134], v[177:178]
	s_clause 0x4
	buffer_load_dword v178, off, s[0:3], 0 offset:636
	buffer_load_dword v193, off, s[0:3], 0 offset:648
	;; [unrolled: 1-line block ×5, first 2 shown]
	ds_read_b128 v[129:132], v190 offset:1360
	s_waitcnt vmcnt(57) lgkmcnt(1)
	v_mul_f64 v[212:213], v[1:2], v[153:154]
	v_mul_f64 v[153:154], v[3:4], v[153:154]
	s_waitcnt vmcnt(56)
	v_fma_f64 v[201:202], v[5:6], v[208:209], -v[201:202]
	v_add_f64 v[135:136], v[141:142], v[135:136]
	v_fma_f64 v[141:142], v[7:8], v[208:209], v[197:198]
	v_add_f64 v[133:134], v[133:134], v[183:184]
	s_clause 0x2
	buffer_load_dword v194, off, s[0:3], 0 offset:652
	buffer_load_dword v184, off, s[0:3], 0 offset:628
	buffer_load_dword v183, off, s[0:3], 0 offset:624
	ds_read_b128 v[5:8], v190 offset:1376
	s_waitcnt vmcnt(58) lgkmcnt(1)
	v_mul_f64 v[197:198], v[129:130], v[195:196]
	v_mul_f64 v[195:196], v[131:132], v[195:196]
	s_waitcnt vmcnt(56)
	v_fma_f64 v[153:154], v[1:2], v[147:148], -v[153:154]
	v_fma_f64 v[147:148], v[3:4], v[147:148], v[212:213]
	v_add_f64 v[135:136], v[135:136], v[201:202]
	v_add_f64 v[133:134], v[133:134], v[141:142]
	s_clause 0x4
	buffer_load_dword v142, off, s[0:3], 0 offset:668
	buffer_load_dword v201, off, s[0:3], 0 offset:680
	;; [unrolled: 1-line block ×5, first 2 shown]
	ds_read_b128 v[1:4], v190 offset:1392
	s_waitcnt vmcnt(57) lgkmcnt(1)
	v_mul_f64 v[208:209], v[5:6], v[139:140]
	v_mul_f64 v[139:140], v[7:8], v[139:140]
	s_waitcnt vmcnt(56)
	v_fma_f64 v[195:196], v[129:130], v[210:211], -v[195:196]
	v_add_f64 v[135:136], v[135:136], v[153:154]
	v_fma_f64 v[153:154], v[131:132], v[210:211], v[197:198]
	v_add_f64 v[133:134], v[133:134], v[147:148]
	s_clause 0x2
	buffer_load_dword v202, off, s[0:3], 0 offset:684
	buffer_load_dword v148, off, s[0:3], 0 offset:660
	;; [unrolled: 1-line block ×3, first 2 shown]
	ds_read_b128 v[129:132], v190 offset:1408
	s_waitcnt vmcnt(58) lgkmcnt(1)
	v_mul_f64 v[197:198], v[1:2], v[157:158]
	v_mul_f64 v[157:158], v[3:4], v[157:158]
	s_waitcnt vmcnt(56)
	v_fma_f64 v[139:140], v[5:6], v[145:146], -v[139:140]
	v_fma_f64 v[145:146], v[7:8], v[145:146], v[208:209]
	v_add_f64 v[135:136], v[135:136], v[195:196]
	v_add_f64 v[133:134], v[133:134], v[153:154]
	s_clause 0x4
	buffer_load_dword v154, off, s[0:3], 0 offset:700
	buffer_load_dword v195, off, s[0:3], 0 offset:712
	;; [unrolled: 1-line block ×5, first 2 shown]
	ds_read_b128 v[5:8], v190 offset:1424
	s_waitcnt vmcnt(57) lgkmcnt(1)
	v_mul_f64 v[210:211], v[129:130], v[143:144]
	v_mul_f64 v[143:144], v[131:132], v[143:144]
	s_waitcnt vmcnt(56)
	v_fma_f64 v[157:158], v[1:2], v[205:206], -v[157:158]
	v_add_f64 v[135:136], v[135:136], v[139:140]
	v_fma_f64 v[139:140], v[3:4], v[205:206], v[197:198]
	v_add_f64 v[133:134], v[133:134], v[145:146]
	s_clause 0x2
	buffer_load_dword v196, off, s[0:3], 0 offset:716
	buffer_load_dword v146, off, s[0:3], 0 offset:692
	;; [unrolled: 1-line block ×3, first 2 shown]
	s_waitcnt vmcnt(58) lgkmcnt(0)
	v_mul_f64 v[197:198], v[5:6], v[165:166]
	v_mul_f64 v[165:166], v[7:8], v[165:166]
	ds_read_b128 v[1:4], v190 offset:1440
	s_waitcnt vmcnt(56)
	v_fma_f64 v[143:144], v[129:130], v[151:152], -v[143:144]
	v_fma_f64 v[151:152], v[131:132], v[151:152], v[210:211]
	v_add_f64 v[135:136], v[135:136], v[157:158]
	v_add_f64 v[133:134], v[133:134], v[139:140]
	s_clause 0x4
	buffer_load_dword v140, off, s[0:3], 0 offset:732
	buffer_load_dword v157, off, s[0:3], 0 offset:744
	;; [unrolled: 1-line block ×5, first 2 shown]
	ds_read_b128 v[129:132], v190 offset:1456
	s_waitcnt vmcnt(57) lgkmcnt(1)
	v_mul_f64 v[211:212], v[1:2], v[149:150]
	v_mul_f64 v[149:150], v[3:4], v[149:150]
	s_waitcnt vmcnt(56)
	v_fma_f64 v[165:166], v[5:6], v[191:192], -v[165:166]
	v_add_f64 v[135:136], v[135:136], v[143:144]
	v_fma_f64 v[143:144], v[7:8], v[191:192], v[197:198]
	v_add_f64 v[133:134], v[133:134], v[151:152]
	s_clause 0x2
	buffer_load_dword v158, off, s[0:3], 0 offset:748
	buffer_load_dword v152, off, s[0:3], 0 offset:724
	buffer_load_dword v151, off, s[0:3], 0 offset:720
	s_waitcnt vmcnt(58) lgkmcnt(0)
	v_mul_f64 v[191:192], v[129:130], v[171:172]
	v_mul_f64 v[171:172], v[131:132], v[171:172]
	ds_read_b128 v[5:8], v190 offset:1472
	s_waitcnt vmcnt(56)
	v_fma_f64 v[149:150], v[1:2], v[161:162], -v[149:150]
	v_fma_f64 v[161:162], v[3:4], v[161:162], v[211:212]
	v_add_f64 v[135:136], v[135:136], v[165:166]
	v_add_f64 v[133:134], v[133:134], v[143:144]
	s_clause 0x4
	buffer_load_dword v144, off, s[0:3], 0 offset:764
	buffer_load_dword v165, off, s[0:3], 0 offset:776
	buffer_load_dword v197, off, s[0:3], 0 offset:768
	buffer_load_dword v143, off, s[0:3], 0 offset:760
	buffer_load_dword v206, off, s[0:3], 0 offset:740
	ds_read_b128 v[1:4], v190 offset:1488
	s_waitcnt vmcnt(57) lgkmcnt(1)
	v_mul_f64 v[211:212], v[5:6], v[155:156]
	v_mul_f64 v[155:156], v[7:8], v[155:156]
	s_waitcnt vmcnt(56)
	v_fma_f64 v[171:172], v[129:130], v[173:174], -v[171:172]
	v_add_f64 v[135:136], v[135:136], v[149:150]
	v_fma_f64 v[149:150], v[131:132], v[173:174], v[191:192]
	v_add_f64 v[133:134], v[133:134], v[161:162]
	s_clause 0x2
	buffer_load_dword v166, off, s[0:3], 0 offset:780
	buffer_load_dword v162, off, s[0:3], 0 offset:756
	buffer_load_dword v161, off, s[0:3], 0 offset:752
	ds_read_b128 v[129:132], v190 offset:1504
	s_waitcnt vmcnt(58) lgkmcnt(1)
	v_mul_f64 v[173:174], v[1:2], v[179:180]
	v_mul_f64 v[179:180], v[3:4], v[179:180]
	s_waitcnt vmcnt(56)
	v_fma_f64 v[155:156], v[5:6], v[159:160], -v[155:156]
	v_fma_f64 v[159:160], v[7:8], v[159:160], v[211:212]
	v_add_f64 v[135:136], v[135:136], v[171:172]
	v_add_f64 v[133:134], v[133:134], v[149:150]
	s_clause 0x4
	buffer_load_dword v150, off, s[0:3], 0 offset:796
	buffer_load_dword v171, off, s[0:3], 0 offset:808
	buffer_load_dword v191, off, s[0:3], 0 offset:800
	buffer_load_dword v149, off, s[0:3], 0 offset:792
	buffer_load_dword v198, off, s[0:3], 0 offset:772
	ds_read_b128 v[5:8], v190 offset:1520
	s_waitcnt vmcnt(57) lgkmcnt(1)
	v_mul_f64 v[211:212], v[129:130], v[163:164]
	v_mul_f64 v[163:164], v[131:132], v[163:164]
	s_waitcnt vmcnt(56)
	v_fma_f64 v[179:180], v[1:2], v[181:182], -v[179:180]
	v_add_f64 v[135:136], v[135:136], v[155:156]
	v_fma_f64 v[155:156], v[3:4], v[181:182], v[173:174]
	v_add_f64 v[133:134], v[133:134], v[159:160]
	s_clause 0x2
	buffer_load_dword v172, off, s[0:3], 0 offset:812
	buffer_load_dword v160, off, s[0:3], 0 offset:788
	buffer_load_dword v159, off, s[0:3], 0 offset:784
	ds_read_b128 v[1:4], v190 offset:1536
	s_waitcnt vmcnt(58) lgkmcnt(1)
	v_mul_f64 v[181:182], v[7:8], v[185:186]
	v_mul_f64 v[173:174], v[5:6], v[185:186]
	;; [unrolled: 28-line block ×4, first 2 shown]
	s_waitcnt vmcnt(56)
	v_fma_f64 v[177:178], v[5:6], v[183:184], -v[177:178]
	v_add_f64 v[135:136], v[135:136], v[175:176]
	v_fma_f64 v[175:176], v[7:8], v[183:184], v[211:212]
	v_add_f64 v[133:134], v[133:134], v[169:170]
	s_clause 0x4
	buffer_load_dword v170, off, s[0:3], 0 offset:892
	buffer_load_dword v183, off, s[0:3], 0 offset:904
	;; [unrolled: 1-line block ×5, first 2 shown]
	ds_read_b128 v[5:8], v190 offset:1616
	s_waitcnt vmcnt(57) lgkmcnt(1)
	v_mul_f64 v[211:212], v[129:130], v[141:142]
	v_mul_f64 v[141:142], v[131:132], v[141:142]
	s_waitcnt vmcnt(56)
	v_fma_f64 v[193:194], v[1:2], v[203:204], -v[193:194]
	v_fma_f64 v[173:174], v[3:4], v[203:204], v[173:174]
	v_add_f64 v[135:136], v[135:136], v[177:178]
	v_add_f64 v[133:134], v[133:134], v[175:176]
	s_clause 0x2
	buffer_load_dword v184, off, s[0:3], 0 offset:908
	buffer_load_dword v176, off, s[0:3], 0 offset:884
	;; [unrolled: 1-line block ×3, first 2 shown]
	ds_read_b128 v[1:4], v190 offset:1632
	s_waitcnt vmcnt(58) lgkmcnt(1)
	v_mul_f64 v[177:178], v[5:6], v[201:202]
	v_mul_f64 v[201:202], v[7:8], v[201:202]
	s_waitcnt vmcnt(56)
	v_fma_f64 v[141:142], v[129:130], v[147:148], -v[141:142]
	v_fma_f64 v[147:148], v[131:132], v[147:148], v[211:212]
	v_add_f64 v[135:136], v[135:136], v[193:194]
	v_add_f64 v[133:134], v[133:134], v[173:174]
	s_clause 0x4
	buffer_load_dword v174, off, s[0:3], 0 offset:924
	buffer_load_dword v193, off, s[0:3], 0 offset:936
	buffer_load_dword v203, off, s[0:3], 0 offset:928
	buffer_load_dword v173, off, s[0:3], 0 offset:920
	buffer_load_dword v200, off, s[0:3], 0 offset:900
	ds_read_b128 v[129:132], v190 offset:1648
	s_waitcnt vmcnt(57) lgkmcnt(1)
	v_mul_f64 v[211:212], v[1:2], v[153:154]
	v_mul_f64 v[153:154], v[3:4], v[153:154]
	s_waitcnt vmcnt(56)
	v_fma_f64 v[201:202], v[5:6], v[207:208], -v[201:202]
	v_add_f64 v[135:136], v[135:136], v[141:142]
	v_fma_f64 v[141:142], v[7:8], v[207:208], v[177:178]
	v_add_f64 v[133:134], v[133:134], v[147:148]
	s_clause 0x2
	buffer_load_dword v194, off, s[0:3], 0 offset:940
	buffer_load_dword v148, off, s[0:3], 0 offset:916
	;; [unrolled: 1-line block ×3, first 2 shown]
	ds_read_b128 v[5:8], v190 offset:1664
	s_waitcnt vmcnt(58) lgkmcnt(1)
	v_mul_f64 v[177:178], v[129:130], v[195:196]
	v_mul_f64 v[195:196], v[131:132], v[195:196]
	s_waitcnt vmcnt(56)
	v_fma_f64 v[153:154], v[1:2], v[145:146], -v[153:154]
	v_fma_f64 v[145:146], v[3:4], v[145:146], v[211:212]
	v_add_f64 v[135:136], v[135:136], v[201:202]
	v_add_f64 v[133:134], v[133:134], v[141:142]
	s_clause 0x4
	buffer_load_dword v142, off, s[0:3], 0 offset:956
	buffer_load_dword v201, off, s[0:3], 0 offset:968
	;; [unrolled: 1-line block ×5, first 2 shown]
	ds_read_b128 v[1:4], v190 offset:1680
	s_waitcnt vmcnt(57) lgkmcnt(1)
	v_mul_f64 v[211:212], v[5:6], v[139:140]
	v_mul_f64 v[139:140], v[7:8], v[139:140]
	s_waitcnt vmcnt(56)
	v_fma_f64 v[195:196], v[129:130], v[209:210], -v[195:196]
	v_add_f64 v[135:136], v[135:136], v[153:154]
	v_fma_f64 v[153:154], v[131:132], v[209:210], v[177:178]
	v_add_f64 v[133:134], v[133:134], v[145:146]
	s_clause 0x2
	buffer_load_dword v202, off, s[0:3], 0 offset:972
	buffer_load_dword v146, off, s[0:3], 0 offset:948
	;; [unrolled: 1-line block ×3, first 2 shown]
	ds_read_b128 v[129:132], v190 offset:1696
	buffer_load_dword v208, off, s[0:3], 0 offset:964
	s_waitcnt vmcnt(59) lgkmcnt(1)
	v_mul_f64 v[177:178], v[1:2], v[157:158]
	v_mul_f64 v[157:158], v[3:4], v[157:158]
	s_waitcnt vmcnt(57)
	v_fma_f64 v[139:140], v[5:6], v[151:152], -v[139:140]
	v_fma_f64 v[151:152], v[7:8], v[151:152], v[211:212]
	ds_read_b128 v[5:8], v190 offset:1712
	v_add_f64 v[135:136], v[135:136], v[195:196]
	v_add_f64 v[133:134], v[133:134], v[153:154]
	s_waitcnt vmcnt(53) lgkmcnt(1)
	v_mul_f64 v[153:154], v[129:130], v[143:144]
	v_mul_f64 v[143:144], v[131:132], v[143:144]
	s_waitcnt vmcnt(52)
	v_fma_f64 v[157:158], v[1:2], v[205:206], -v[157:158]
	v_add_f64 v[135:136], v[135:136], v[139:140]
	v_fma_f64 v[139:140], v[3:4], v[205:206], v[177:178]
	v_add_f64 v[133:134], v[133:134], v[151:152]
	ds_read_b128 v[1:4], v190 offset:1728
	s_waitcnt vmcnt(51) lgkmcnt(1)
	v_mul_f64 v[151:152], v[5:6], v[165:166]
	v_mul_f64 v[165:166], v[7:8], v[165:166]
	s_waitcnt vmcnt(49)
	v_fma_f64 v[143:144], v[129:130], v[161:162], -v[143:144]
	v_fma_f64 v[153:154], v[131:132], v[161:162], v[153:154]
	v_add_f64 v[135:136], v[135:136], v[157:158]
	v_add_f64 v[133:134], v[133:134], v[139:140]
	s_clause 0x3
	buffer_load_dword v139, off, s[0:3], 0 offset:80
	buffer_load_dword v140, off, s[0:3], 0 offset:84
	;; [unrolled: 1-line block ×4, first 2 shown]
	ds_read_b128 v[129:132], v190 offset:1744
	s_waitcnt vmcnt(49) lgkmcnt(1)
	v_mul_f64 v[161:162], v[1:2], v[149:150]
	v_mul_f64 v[149:150], v[3:4], v[149:150]
	s_waitcnt vmcnt(48)
	v_fma_f64 v[165:166], v[5:6], v[197:198], -v[165:166]
	v_add_f64 v[135:136], v[135:136], v[143:144]
	v_fma_f64 v[143:144], v[7:8], v[197:198], v[151:152]
	v_add_f64 v[133:134], v[133:134], v[153:154]
	ds_read_b128 v[5:8], v190 offset:1760
	s_waitcnt vmcnt(47) lgkmcnt(1)
	v_mul_f64 v[153:154], v[131:132], v[171:172]
	v_mul_f64 v[151:152], v[129:130], v[171:172]
	s_waitcnt vmcnt(45)
	v_fma_f64 v[149:150], v[1:2], v[159:160], -v[149:150]
	v_fma_f64 v[159:160], v[3:4], v[159:160], v[161:162]
	ds_read_b128 v[1:4], v190 offset:1776
	v_add_f64 v[135:136], v[135:136], v[165:166]
	v_add_f64 v[133:134], v[133:134], v[143:144]
	s_waitcnt vmcnt(41) lgkmcnt(1)
	v_mul_f64 v[143:144], v[5:6], v[155:156]
	v_mul_f64 v[155:156], v[7:8], v[155:156]
	s_waitcnt vmcnt(40)
	v_fma_f64 v[153:154], v[129:130], v[191:192], -v[153:154]
	v_add_f64 v[135:136], v[135:136], v[149:150]
	v_fma_f64 v[149:150], v[131:132], v[191:192], v[151:152]
	v_add_f64 v[133:134], v[133:134], v[159:160]
	ds_read_b128 v[129:132], v190 offset:1792
	s_waitcnt vmcnt(39) lgkmcnt(1)
	v_mul_f64 v[159:160], v[3:4], v[179:180]
	v_mul_f64 v[151:152], v[1:2], v[179:180]
	s_waitcnt vmcnt(37)
	v_fma_f64 v[155:156], v[5:6], v[167:168], -v[155:156]
	v_fma_f64 v[143:144], v[7:8], v[167:168], v[143:144]
	ds_read_b128 v[5:8], v190 offset:1808
	v_add_f64 v[135:136], v[135:136], v[153:154]
	v_add_f64 v[133:134], v[133:134], v[149:150]
	s_waitcnt vmcnt(33) lgkmcnt(1)
	v_mul_f64 v[153:154], v[131:132], v[163:164]
	s_waitcnt vmcnt(32)
	v_fma_f64 v[159:160], v[1:2], v[185:186], -v[159:160]
	v_mul_f64 v[149:150], v[129:130], v[163:164]
	v_fma_f64 v[151:152], v[3:4], v[185:186], v[151:152]
	ds_read_b128 v[1:4], v190 offset:1824
	v_add_f64 v[135:136], v[135:136], v[155:156]
	v_add_f64 v[133:134], v[133:134], v[143:144]
	s_waitcnt vmcnt(31) lgkmcnt(1)
	v_mul_f64 v[155:156], v[7:8], v[181:182]
	v_mul_f64 v[143:144], v[5:6], v[181:182]
	s_waitcnt vmcnt(29)
	v_fma_f64 v[153:154], v[129:130], v[137:138], -v[153:154]
	v_fma_f64 v[137:138], v[131:132], v[137:138], v[149:150]
	ds_read_b128 v[129:132], v190 offset:1840
	v_add_f64 v[135:136], v[135:136], v[159:160]
	v_add_f64 v[133:134], v[133:134], v[151:152]
	s_waitcnt vmcnt(25) lgkmcnt(1)
	v_mul_f64 v[151:152], v[3:4], v[169:170]
	s_waitcnt vmcnt(24)
	v_fma_f64 v[155:156], v[5:6], v[187:188], -v[155:156]
	v_mul_f64 v[149:150], v[1:2], v[169:170]
	v_fma_f64 v[143:144], v[7:8], v[187:188], v[143:144]
	ds_read_b128 v[5:8], v190 offset:1856
	v_add_f64 v[135:136], v[135:136], v[153:154]
	v_add_f64 v[133:134], v[133:134], v[137:138]
	;; [unrolled: 18-line block ×3, first 2 shown]
	s_waitcnt vmcnt(15) lgkmcnt(1)
	v_mul_f64 v[151:152], v[3:4], v[193:194]
	v_mul_f64 v[149:150], v[1:2], v[193:194]
	s_waitcnt vmcnt(13)
	v_fma_f64 v[155:156], v[5:6], v[147:148], -v[155:156]
	v_fma_f64 v[143:144], v[7:8], v[147:148], v[143:144]
	ds_read_b128 v[5:8], v190 offset:1904
	v_add_f64 v[135:136], v[135:136], v[153:154]
	v_add_f64 v[133:134], v[133:134], v[137:138]
	s_waitcnt vmcnt(9) lgkmcnt(1)
	v_mul_f64 v[137:138], v[129:130], v[141:142]
	v_mul_f64 v[141:142], v[131:132], v[141:142]
	s_waitcnt vmcnt(8)
	v_fma_f64 v[1:2], v[1:2], v[203:204], -v[151:152]
	v_fma_f64 v[3:4], v[3:4], v[203:204], v[149:150]
	v_add_f64 v[135:136], v[135:136], v[155:156]
	v_add_f64 v[133:134], v[133:134], v[143:144]
	s_waitcnt vmcnt(7) lgkmcnt(0)
	v_mul_f64 v[147:148], v[7:8], v[201:202]
	v_mul_f64 v[143:144], v[5:6], v[201:202]
	s_waitcnt vmcnt(5)
	v_fma_f64 v[129:130], v[129:130], v[145:146], -v[141:142]
	v_fma_f64 v[131:132], v[131:132], v[145:146], v[137:138]
	v_add_f64 v[1:2], v[135:136], v[1:2]
	v_add_f64 v[3:4], v[133:134], v[3:4]
	s_waitcnt vmcnt(4)
	v_fma_f64 v[5:6], v[5:6], v[207:208], -v[147:148]
	v_fma_f64 v[7:8], v[7:8], v[207:208], v[143:144]
	v_add_f64 v[1:2], v[1:2], v[129:130]
	v_add_f64 v[3:4], v[3:4], v[131:132]
	;; [unrolled: 1-line block ×4, first 2 shown]
	s_waitcnt vmcnt(2)
	v_add_f64 v[1:2], v[139:140], -v[1:2]
	s_waitcnt vmcnt(0)
	v_add_f64 v[3:4], v[157:158], -v[3:4]
	buffer_store_dword v2, off, s[0:3], 0 offset:84
	buffer_store_dword v1, off, s[0:3], 0 offset:80
	;; [unrolled: 1-line block ×4, first 2 shown]
	v_cmpx_lt_u32_e32 3, v0
	s_cbranch_execz .LBB123_367
; %bb.366:
	v_mov_b32_e32 v4, s69
	s_clause 0x3
	buffer_load_dword v1, v4, s[0:3], 0 offen
	buffer_load_dword v2, v4, s[0:3], 0 offen offset:4
	buffer_load_dword v3, v4, s[0:3], 0 offen offset:8
	buffer_load_dword v4, v4, s[0:3], 0 offen offset:12
	buffer_store_dword v190, off, s[0:3], 0 offset:64
	buffer_store_dword v190, off, s[0:3], 0 offset:68
	;; [unrolled: 1-line block ×4, first 2 shown]
	s_waitcnt vmcnt(0)
	ds_write_b128 v189, v[1:4]
.LBB123_367:
	s_or_b32 exec_lo, exec_lo, s4
	s_waitcnt lgkmcnt(0)
	s_waitcnt_vscnt null, 0x0
	s_barrier
	buffer_gl0_inv
	s_clause 0x37
	buffer_load_dword v137, off, s[0:3], 0 offset:88
	buffer_load_dword v138, off, s[0:3], 0 offset:92
	;; [unrolled: 1-line block ×56, first 2 shown]
	ds_read_b128 v[5:8], v190 offset:1024
	s_clause 0x2
	buffer_load_dword v186, off, s[0:3], 0 offset:316
	buffer_load_dword v188, off, s[0:3], 0 offset:292
	;; [unrolled: 1-line block ×3, first 2 shown]
	ds_read_b128 v[1:4], v190 offset:1040
	s_clause 0x4
	buffer_load_dword v198, off, s[0:3], 0 offset:332
	buffer_load_dword v199, off, s[0:3], 0 offset:344
	buffer_load_dword v201, off, s[0:3], 0 offset:336
	buffer_load_dword v197, off, s[0:3], 0 offset:328
	buffer_load_dword v178, off, s[0:3], 0 offset:308
	ds_read_b128 v[191:194], v190 offset:1056
	s_mov_b32 s4, exec_lo
	s_waitcnt vmcnt(62) lgkmcnt(2)
	v_mul_f64 v[195:196], v[7:8], v[137:138]
	v_mul_f64 v[137:138], v[5:6], v[137:138]
	s_waitcnt vmcnt(60) lgkmcnt(1)
	v_mul_f64 v[202:203], v[3:4], v[133:134]
	v_mul_f64 v[133:134], v[1:2], v[133:134]
	;; [unrolled: 3-line block ×3, first 2 shown]
	v_fma_f64 v[195:196], v[5:6], v[135:136], -v[195:196]
	v_fma_f64 v[135:136], v[7:8], v[135:136], v[137:138]
	s_clause 0x2
	buffer_load_dword v200, off, s[0:3], 0 offset:348
	buffer_load_dword v138, off, s[0:3], 0 offset:324
	;; [unrolled: 1-line block ×3, first 2 shown]
	s_waitcnt vmcnt(57)
	v_fma_f64 v[206:207], v[1:2], v[129:130], -v[202:203]
	ds_read_b128 v[5:8], v190 offset:1072
	v_fma_f64 v[129:130], v[3:4], v[129:130], v[133:134]
	s_waitcnt vmcnt(51)
	v_fma_f64 v[191:192], v[191:192], v[153:154], -v[131:132]
	v_fma_f64 v[153:154], v[193:194], v[153:154], v[204:205]
	v_add_f64 v[195:196], v[195:196], 0
	v_add_f64 v[133:134], v[135:136], 0
	s_clause 0x4
	buffer_load_dword v136, off, s[0:3], 0 offset:364
	buffer_load_dword v203, off, s[0:3], 0 offset:376
	;; [unrolled: 1-line block ×5, first 2 shown]
	s_waitcnt lgkmcnt(0)
	v_mul_f64 v[209:210], v[5:6], v[141:142]
	v_mul_f64 v[141:142], v[7:8], v[141:142]
	ds_read_b128 v[1:4], v190 offset:1088
	s_clause 0x2
	buffer_load_dword v204, off, s[0:3], 0 offset:380
	buffer_load_dword v194, off, s[0:3], 0 offset:356
	buffer_load_dword v193, off, s[0:3], 0 offset:352
	v_add_f64 v[195:196], v[195:196], v[206:207]
	v_add_f64 v[133:134], v[133:134], v[129:130]
	ds_read_b128 v[129:132], v190 offset:1104
	s_waitcnt vmcnt(58) lgkmcnt(1)
	v_mul_f64 v[205:206], v[1:2], v[145:146]
	v_mul_f64 v[145:146], v[3:4], v[145:146]
	s_waitcnt vmcnt(56)
	v_fma_f64 v[141:142], v[5:6], v[147:148], -v[141:142]
	v_fma_f64 v[147:148], v[7:8], v[147:148], v[209:210]
	s_waitcnt vmcnt(52) lgkmcnt(0)
	v_mul_f64 v[211:212], v[129:130], v[149:150]
	v_add_f64 v[191:192], v[195:196], v[191:192]
	v_add_f64 v[133:134], v[133:134], v[153:154]
	s_clause 0x4
	buffer_load_dword v154, off, s[0:3], 0 offset:396
	buffer_load_dword v195, off, s[0:3], 0 offset:408
	;; [unrolled: 1-line block ×5, first 2 shown]
	v_mul_f64 v[149:150], v[131:132], v[149:150]
	s_waitcnt vmcnt(56)
	v_fma_f64 v[145:146], v[1:2], v[139:140], -v[145:146]
	ds_read_b128 v[5:8], v190 offset:1120
	v_fma_f64 v[139:140], v[3:4], v[139:140], v[205:206]
	v_add_f64 v[141:142], v[191:192], v[141:142]
	v_add_f64 v[133:134], v[133:134], v[147:148]
	s_clause 0x2
	buffer_load_dword v196, off, s[0:3], 0 offset:412
	buffer_load_dword v148, off, s[0:3], 0 offset:388
	;; [unrolled: 1-line block ×3, first 2 shown]
	s_waitcnt vmcnt(58) lgkmcnt(0)
	v_mul_f64 v[191:192], v[5:6], v[155:156]
	v_mul_f64 v[155:156], v[7:8], v[155:156]
	s_waitcnt vmcnt(56)
	v_fma_f64 v[149:150], v[129:130], v[157:158], -v[149:150]
	ds_read_b128 v[1:4], v190 offset:1136
	v_add_f64 v[141:142], v[141:142], v[145:146]
	v_fma_f64 v[145:146], v[131:132], v[157:158], v[211:212]
	v_add_f64 v[133:134], v[133:134], v[139:140]
	s_clause 0x4
	buffer_load_dword v140, off, s[0:3], 0 offset:428
	buffer_load_dword v157, off, s[0:3], 0 offset:440
	;; [unrolled: 1-line block ×5, first 2 shown]
	s_waitcnt vmcnt(57) lgkmcnt(0)
	v_mul_f64 v[206:207], v[1:2], v[159:160]
	v_mul_f64 v[159:160], v[3:4], v[159:160]
	s_waitcnt vmcnt(56)
	v_fma_f64 v[155:156], v[5:6], v[143:144], -v[155:156]
	ds_read_b128 v[129:132], v190 offset:1152
	v_fma_f64 v[143:144], v[7:8], v[143:144], v[191:192]
	v_add_f64 v[141:142], v[141:142], v[149:150]
	v_add_f64 v[133:134], v[133:134], v[145:146]
	s_clause 0x2
	buffer_load_dword v158, off, s[0:3], 0 offset:444
	buffer_load_dword v146, off, s[0:3], 0 offset:420
	;; [unrolled: 1-line block ×3, first 2 shown]
	ds_read_b128 v[5:8], v190 offset:1168
	s_waitcnt vmcnt(58) lgkmcnt(1)
	v_mul_f64 v[149:150], v[129:130], v[163:164]
	v_mul_f64 v[163:164], v[131:132], v[163:164]
	s_waitcnt vmcnt(56)
	v_fma_f64 v[159:160], v[1:2], v[165:166], -v[159:160]
	v_add_f64 v[141:142], v[141:142], v[155:156]
	v_fma_f64 v[155:156], v[3:4], v[165:166], v[206:207]
	v_add_f64 v[133:134], v[133:134], v[143:144]
	s_clause 0x4
	buffer_load_dword v144, off, s[0:3], 0 offset:460
	buffer_load_dword v165, off, s[0:3], 0 offset:472
	;; [unrolled: 1-line block ×5, first 2 shown]
	s_waitcnt vmcnt(57) lgkmcnt(0)
	v_mul_f64 v[212:213], v[5:6], v[167:168]
	v_mul_f64 v[167:168], v[7:8], v[167:168]
	s_waitcnt vmcnt(56)
	v_fma_f64 v[163:164], v[129:130], v[151:152], -v[163:164]
	ds_read_b128 v[1:4], v190 offset:1184
	v_fma_f64 v[149:150], v[131:132], v[151:152], v[149:150]
	s_clause 0x2
	buffer_load_dword v166, off, s[0:3], 0 offset:476
	buffer_load_dword v152, off, s[0:3], 0 offset:452
	;; [unrolled: 1-line block ×3, first 2 shown]
	ds_read_b128 v[129:132], v190 offset:1200
	v_add_f64 v[141:142], v[141:142], v[159:160]
	v_add_f64 v[133:134], v[133:134], v[155:156]
	s_waitcnt vmcnt(58) lgkmcnt(1)
	v_mul_f64 v[159:160], v[3:4], v[171:172]
	s_waitcnt vmcnt(56)
	v_fma_f64 v[167:168], v[5:6], v[173:174], -v[167:168]
	v_mul_f64 v[155:156], v[1:2], v[171:172]
	v_add_f64 v[141:142], v[141:142], v[163:164]
	v_fma_f64 v[163:164], v[7:8], v[173:174], v[212:213]
	v_add_f64 v[133:134], v[133:134], v[149:150]
	s_clause 0x4
	buffer_load_dword v150, off, s[0:3], 0 offset:492
	buffer_load_dword v171, off, s[0:3], 0 offset:504
	;; [unrolled: 1-line block ×5, first 2 shown]
	s_waitcnt vmcnt(57) lgkmcnt(0)
	v_mul_f64 v[212:213], v[129:130], v[175:176]
	v_mul_f64 v[174:175], v[131:132], v[175:176]
	s_waitcnt vmcnt(56)
	v_fma_f64 v[159:160], v[1:2], v[161:162], -v[159:160]
	ds_read_b128 v[5:8], v190 offset:1216
	v_fma_f64 v[155:156], v[3:4], v[161:162], v[155:156]
	s_clause 0x2
	buffer_load_dword v172, off, s[0:3], 0 offset:508
	buffer_load_dword v162, off, s[0:3], 0 offset:484
	buffer_load_dword v161, off, s[0:3], 0 offset:480
	ds_read_b128 v[1:4], v190 offset:1232
	v_add_f64 v[141:142], v[141:142], v[167:168]
	v_add_f64 v[133:134], v[133:134], v[163:164]
	s_waitcnt vmcnt(58) lgkmcnt(1)
	v_mul_f64 v[167:168], v[7:8], v[179:180]
	s_waitcnt vmcnt(56)
	v_fma_f64 v[175:176], v[129:130], v[181:182], -v[174:175]
	v_mul_f64 v[163:164], v[5:6], v[179:180]
	v_add_f64 v[141:142], v[141:142], v[159:160]
	v_fma_f64 v[159:160], v[131:132], v[181:182], v[212:213]
	v_add_f64 v[133:134], v[133:134], v[155:156]
	s_clause 0x4
	buffer_load_dword v156, off, s[0:3], 0 offset:524
	buffer_load_dword v179, off, s[0:3], 0 offset:536
	;; [unrolled: 1-line block ×5, first 2 shown]
	s_waitcnt vmcnt(57) lgkmcnt(0)
	v_mul_f64 v[212:213], v[1:2], v[183:184]
	v_mul_f64 v[182:183], v[3:4], v[183:184]
	s_waitcnt vmcnt(56)
	v_fma_f64 v[167:168], v[5:6], v[169:170], -v[167:168]
	ds_read_b128 v[129:132], v190 offset:1248
	v_fma_f64 v[163:164], v[7:8], v[169:170], v[163:164]
	v_add_f64 v[141:142], v[141:142], v[175:176]
	v_add_f64 v[133:134], v[133:134], v[159:160]
	s_clause 0x2
	buffer_load_dword v180, off, s[0:3], 0 offset:540
	buffer_load_dword v160, off, s[0:3], 0 offset:516
	;; [unrolled: 1-line block ×3, first 2 shown]
	ds_read_b128 v[5:8], v190 offset:1264
	s_waitcnt vmcnt(58) lgkmcnt(1)
	v_mul_f64 v[175:176], v[131:132], v[185:186]
	s_waitcnt vmcnt(56)
	v_fma_f64 v[183:184], v[1:2], v[187:188], -v[182:183]
	v_mul_f64 v[169:170], v[129:130], v[185:186]
	v_add_f64 v[141:142], v[141:142], v[167:168]
	v_fma_f64 v[167:168], v[3:4], v[187:188], v[212:213]
	v_add_f64 v[133:134], v[133:134], v[163:164]
	s_clause 0x4
	buffer_load_dword v164, off, s[0:3], 0 offset:556
	buffer_load_dword v185, off, s[0:3], 0 offset:568
	;; [unrolled: 1-line block ×5, first 2 shown]
	s_waitcnt vmcnt(57) lgkmcnt(0)
	v_mul_f64 v[212:213], v[5:6], v[197:198]
	v_mul_f64 v[197:198], v[7:8], v[197:198]
	s_waitcnt vmcnt(56)
	v_fma_f64 v[175:176], v[129:130], v[177:178], -v[175:176]
	ds_read_b128 v[1:4], v190 offset:1280
	v_fma_f64 v[169:170], v[131:132], v[177:178], v[169:170]
	v_add_f64 v[141:142], v[141:142], v[183:184]
	v_add_f64 v[133:134], v[133:134], v[167:168]
	s_clause 0x2
	buffer_load_dword v186, off, s[0:3], 0 offset:572
	buffer_load_dword v168, off, s[0:3], 0 offset:548
	;; [unrolled: 1-line block ×3, first 2 shown]
	ds_read_b128 v[129:132], v190 offset:1296
	s_waitcnt vmcnt(58) lgkmcnt(1)
	v_mul_f64 v[183:184], v[3:4], v[199:200]
	v_mul_f64 v[177:178], v[1:2], v[199:200]
	s_waitcnt vmcnt(56)
	v_fma_f64 v[197:198], v[5:6], v[137:138], -v[197:198]
	v_fma_f64 v[137:138], v[7:8], v[137:138], v[212:213]
	v_add_f64 v[141:142], v[141:142], v[175:176]
	v_add_f64 v[133:134], v[133:134], v[169:170]
	s_clause 0x4
	buffer_load_dword v170, off, s[0:3], 0 offset:588
	buffer_load_dword v175, off, s[0:3], 0 offset:600
	;; [unrolled: 1-line block ×5, first 2 shown]
	ds_read_b128 v[5:8], v190 offset:1312
	s_waitcnt vmcnt(57) lgkmcnt(1)
	v_mul_f64 v[212:213], v[129:130], v[135:136]
	v_mul_f64 v[135:136], v[131:132], v[135:136]
	s_waitcnt vmcnt(56)
	v_fma_f64 v[183:184], v[1:2], v[201:202], -v[183:184]
	v_fma_f64 v[177:178], v[3:4], v[201:202], v[177:178]
	v_add_f64 v[141:142], v[141:142], v[197:198]
	v_add_f64 v[133:134], v[133:134], v[137:138]
	s_clause 0x2
	buffer_load_dword v176, off, s[0:3], 0 offset:604
	buffer_load_dword v138, off, s[0:3], 0 offset:580
	;; [unrolled: 1-line block ×3, first 2 shown]
	s_waitcnt vmcnt(58) lgkmcnt(0)
	v_mul_f64 v[201:202], v[7:8], v[203:204]
	ds_read_b128 v[1:4], v190 offset:1328
	v_mul_f64 v[197:198], v[5:6], v[203:204]
	s_waitcnt vmcnt(56)
	v_fma_f64 v[135:136], v[129:130], v[193:194], -v[135:136]
	v_add_f64 v[141:142], v[141:142], v[183:184]
	v_fma_f64 v[183:184], v[131:132], v[193:194], v[212:213]
	v_add_f64 v[133:134], v[133:134], v[177:178]
	s_clause 0x4
	buffer_load_dword v178, off, s[0:3], 0 offset:620
	buffer_load_dword v193, off, s[0:3], 0 offset:632
	;; [unrolled: 1-line block ×5, first 2 shown]
	ds_read_b128 v[129:132], v190 offset:1344
	s_waitcnt vmcnt(57) lgkmcnt(1)
	v_mul_f64 v[212:213], v[1:2], v[153:154]
	v_mul_f64 v[153:154], v[3:4], v[153:154]
	s_waitcnt vmcnt(56)
	v_fma_f64 v[201:202], v[5:6], v[208:209], -v[201:202]
	v_add_f64 v[135:136], v[141:142], v[135:136]
	v_fma_f64 v[141:142], v[7:8], v[208:209], v[197:198]
	v_add_f64 v[133:134], v[133:134], v[183:184]
	s_clause 0x2
	buffer_load_dword v194, off, s[0:3], 0 offset:636
	buffer_load_dword v184, off, s[0:3], 0 offset:612
	;; [unrolled: 1-line block ×3, first 2 shown]
	ds_read_b128 v[5:8], v190 offset:1360
	s_waitcnt vmcnt(58) lgkmcnt(1)
	v_mul_f64 v[197:198], v[129:130], v[195:196]
	v_mul_f64 v[195:196], v[131:132], v[195:196]
	s_waitcnt vmcnt(56)
	v_fma_f64 v[153:154], v[1:2], v[147:148], -v[153:154]
	v_fma_f64 v[147:148], v[3:4], v[147:148], v[212:213]
	v_add_f64 v[135:136], v[135:136], v[201:202]
	v_add_f64 v[133:134], v[133:134], v[141:142]
	s_clause 0x4
	buffer_load_dword v142, off, s[0:3], 0 offset:652
	buffer_load_dword v201, off, s[0:3], 0 offset:664
	;; [unrolled: 1-line block ×5, first 2 shown]
	ds_read_b128 v[1:4], v190 offset:1376
	s_waitcnt vmcnt(57) lgkmcnt(1)
	v_mul_f64 v[208:209], v[5:6], v[139:140]
	v_mul_f64 v[139:140], v[7:8], v[139:140]
	s_waitcnt vmcnt(56)
	v_fma_f64 v[195:196], v[129:130], v[210:211], -v[195:196]
	v_add_f64 v[135:136], v[135:136], v[153:154]
	v_fma_f64 v[153:154], v[131:132], v[210:211], v[197:198]
	v_add_f64 v[133:134], v[133:134], v[147:148]
	s_clause 0x2
	buffer_load_dword v202, off, s[0:3], 0 offset:668
	buffer_load_dword v148, off, s[0:3], 0 offset:644
	;; [unrolled: 1-line block ×3, first 2 shown]
	ds_read_b128 v[129:132], v190 offset:1392
	s_waitcnt vmcnt(58) lgkmcnt(1)
	v_mul_f64 v[197:198], v[1:2], v[157:158]
	v_mul_f64 v[157:158], v[3:4], v[157:158]
	s_waitcnt vmcnt(56)
	v_fma_f64 v[139:140], v[5:6], v[145:146], -v[139:140]
	v_fma_f64 v[145:146], v[7:8], v[145:146], v[208:209]
	v_add_f64 v[135:136], v[135:136], v[195:196]
	v_add_f64 v[133:134], v[133:134], v[153:154]
	s_clause 0x4
	buffer_load_dword v154, off, s[0:3], 0 offset:684
	buffer_load_dword v195, off, s[0:3], 0 offset:696
	;; [unrolled: 1-line block ×5, first 2 shown]
	ds_read_b128 v[5:8], v190 offset:1408
	s_waitcnt vmcnt(57) lgkmcnt(1)
	v_mul_f64 v[210:211], v[129:130], v[143:144]
	v_mul_f64 v[143:144], v[131:132], v[143:144]
	s_waitcnt vmcnt(56)
	v_fma_f64 v[157:158], v[1:2], v[205:206], -v[157:158]
	v_add_f64 v[135:136], v[135:136], v[139:140]
	v_fma_f64 v[139:140], v[3:4], v[205:206], v[197:198]
	v_add_f64 v[133:134], v[133:134], v[145:146]
	s_clause 0x2
	buffer_load_dword v196, off, s[0:3], 0 offset:700
	buffer_load_dword v146, off, s[0:3], 0 offset:676
	;; [unrolled: 1-line block ×3, first 2 shown]
	s_waitcnt vmcnt(58) lgkmcnt(0)
	v_mul_f64 v[197:198], v[5:6], v[165:166]
	v_mul_f64 v[165:166], v[7:8], v[165:166]
	ds_read_b128 v[1:4], v190 offset:1424
	s_waitcnt vmcnt(56)
	v_fma_f64 v[143:144], v[129:130], v[151:152], -v[143:144]
	v_fma_f64 v[151:152], v[131:132], v[151:152], v[210:211]
	v_add_f64 v[135:136], v[135:136], v[157:158]
	v_add_f64 v[133:134], v[133:134], v[139:140]
	s_clause 0x4
	buffer_load_dword v140, off, s[0:3], 0 offset:716
	buffer_load_dword v157, off, s[0:3], 0 offset:728
	;; [unrolled: 1-line block ×5, first 2 shown]
	ds_read_b128 v[129:132], v190 offset:1440
	s_waitcnt vmcnt(57) lgkmcnt(1)
	v_mul_f64 v[211:212], v[1:2], v[149:150]
	v_mul_f64 v[149:150], v[3:4], v[149:150]
	s_waitcnt vmcnt(56)
	v_fma_f64 v[165:166], v[5:6], v[191:192], -v[165:166]
	v_add_f64 v[135:136], v[135:136], v[143:144]
	v_fma_f64 v[143:144], v[7:8], v[191:192], v[197:198]
	v_add_f64 v[133:134], v[133:134], v[151:152]
	s_clause 0x2
	buffer_load_dword v158, off, s[0:3], 0 offset:732
	buffer_load_dword v152, off, s[0:3], 0 offset:708
	buffer_load_dword v151, off, s[0:3], 0 offset:704
	s_waitcnt vmcnt(58) lgkmcnt(0)
	v_mul_f64 v[191:192], v[129:130], v[171:172]
	v_mul_f64 v[171:172], v[131:132], v[171:172]
	ds_read_b128 v[5:8], v190 offset:1456
	s_waitcnt vmcnt(56)
	v_fma_f64 v[149:150], v[1:2], v[161:162], -v[149:150]
	v_fma_f64 v[161:162], v[3:4], v[161:162], v[211:212]
	v_add_f64 v[135:136], v[135:136], v[165:166]
	v_add_f64 v[133:134], v[133:134], v[143:144]
	s_clause 0x4
	buffer_load_dword v144, off, s[0:3], 0 offset:748
	buffer_load_dword v165, off, s[0:3], 0 offset:760
	buffer_load_dword v197, off, s[0:3], 0 offset:752
	buffer_load_dword v143, off, s[0:3], 0 offset:744
	buffer_load_dword v206, off, s[0:3], 0 offset:724
	ds_read_b128 v[1:4], v190 offset:1472
	s_waitcnt vmcnt(57) lgkmcnt(1)
	v_mul_f64 v[211:212], v[5:6], v[155:156]
	v_mul_f64 v[155:156], v[7:8], v[155:156]
	s_waitcnt vmcnt(56)
	v_fma_f64 v[171:172], v[129:130], v[173:174], -v[171:172]
	v_add_f64 v[135:136], v[135:136], v[149:150]
	v_fma_f64 v[149:150], v[131:132], v[173:174], v[191:192]
	v_add_f64 v[133:134], v[133:134], v[161:162]
	s_clause 0x2
	buffer_load_dword v166, off, s[0:3], 0 offset:764
	buffer_load_dword v162, off, s[0:3], 0 offset:740
	buffer_load_dword v161, off, s[0:3], 0 offset:736
	ds_read_b128 v[129:132], v190 offset:1488
	s_waitcnt vmcnt(58) lgkmcnt(1)
	v_mul_f64 v[173:174], v[1:2], v[179:180]
	v_mul_f64 v[179:180], v[3:4], v[179:180]
	s_waitcnt vmcnt(56)
	v_fma_f64 v[155:156], v[5:6], v[159:160], -v[155:156]
	v_fma_f64 v[159:160], v[7:8], v[159:160], v[211:212]
	v_add_f64 v[135:136], v[135:136], v[171:172]
	v_add_f64 v[133:134], v[133:134], v[149:150]
	s_clause 0x4
	buffer_load_dword v150, off, s[0:3], 0 offset:780
	buffer_load_dword v171, off, s[0:3], 0 offset:792
	buffer_load_dword v191, off, s[0:3], 0 offset:784
	buffer_load_dword v149, off, s[0:3], 0 offset:776
	buffer_load_dword v198, off, s[0:3], 0 offset:756
	ds_read_b128 v[5:8], v190 offset:1504
	s_waitcnt vmcnt(57) lgkmcnt(1)
	v_mul_f64 v[211:212], v[129:130], v[163:164]
	v_mul_f64 v[163:164], v[131:132], v[163:164]
	s_waitcnt vmcnt(56)
	v_fma_f64 v[179:180], v[1:2], v[181:182], -v[179:180]
	v_add_f64 v[135:136], v[135:136], v[155:156]
	v_fma_f64 v[155:156], v[3:4], v[181:182], v[173:174]
	v_add_f64 v[133:134], v[133:134], v[159:160]
	s_clause 0x2
	buffer_load_dword v172, off, s[0:3], 0 offset:796
	buffer_load_dword v160, off, s[0:3], 0 offset:772
	buffer_load_dword v159, off, s[0:3], 0 offset:768
	ds_read_b128 v[1:4], v190 offset:1520
	s_waitcnt vmcnt(58) lgkmcnt(1)
	v_mul_f64 v[181:182], v[7:8], v[185:186]
	v_mul_f64 v[173:174], v[5:6], v[185:186]
	;; [unrolled: 28-line block ×4, first 2 shown]
	s_waitcnt vmcnt(56)
	v_fma_f64 v[177:178], v[5:6], v[183:184], -v[177:178]
	v_add_f64 v[135:136], v[135:136], v[175:176]
	v_fma_f64 v[175:176], v[7:8], v[183:184], v[211:212]
	v_add_f64 v[133:134], v[133:134], v[169:170]
	s_clause 0x4
	buffer_load_dword v170, off, s[0:3], 0 offset:876
	buffer_load_dword v183, off, s[0:3], 0 offset:888
	;; [unrolled: 1-line block ×5, first 2 shown]
	ds_read_b128 v[5:8], v190 offset:1600
	s_waitcnt vmcnt(57) lgkmcnt(1)
	v_mul_f64 v[211:212], v[129:130], v[141:142]
	v_mul_f64 v[141:142], v[131:132], v[141:142]
	s_waitcnt vmcnt(56)
	v_fma_f64 v[193:194], v[1:2], v[203:204], -v[193:194]
	v_fma_f64 v[173:174], v[3:4], v[203:204], v[173:174]
	v_add_f64 v[135:136], v[135:136], v[177:178]
	v_add_f64 v[133:134], v[133:134], v[175:176]
	s_clause 0x2
	buffer_load_dword v184, off, s[0:3], 0 offset:892
	buffer_load_dword v176, off, s[0:3], 0 offset:868
	;; [unrolled: 1-line block ×3, first 2 shown]
	ds_read_b128 v[1:4], v190 offset:1616
	s_waitcnt vmcnt(58) lgkmcnt(1)
	v_mul_f64 v[177:178], v[5:6], v[201:202]
	v_mul_f64 v[201:202], v[7:8], v[201:202]
	s_waitcnt vmcnt(56)
	v_fma_f64 v[141:142], v[129:130], v[147:148], -v[141:142]
	v_fma_f64 v[147:148], v[131:132], v[147:148], v[211:212]
	v_add_f64 v[135:136], v[135:136], v[193:194]
	v_add_f64 v[133:134], v[133:134], v[173:174]
	s_clause 0x4
	buffer_load_dword v174, off, s[0:3], 0 offset:908
	buffer_load_dword v193, off, s[0:3], 0 offset:920
	;; [unrolled: 1-line block ×5, first 2 shown]
	ds_read_b128 v[129:132], v190 offset:1632
	s_waitcnt vmcnt(57) lgkmcnt(1)
	v_mul_f64 v[211:212], v[1:2], v[153:154]
	v_mul_f64 v[153:154], v[3:4], v[153:154]
	s_waitcnt vmcnt(56)
	v_fma_f64 v[201:202], v[5:6], v[207:208], -v[201:202]
	v_add_f64 v[135:136], v[135:136], v[141:142]
	v_fma_f64 v[141:142], v[7:8], v[207:208], v[177:178]
	v_add_f64 v[133:134], v[133:134], v[147:148]
	s_clause 0x2
	buffer_load_dword v194, off, s[0:3], 0 offset:924
	buffer_load_dword v148, off, s[0:3], 0 offset:900
	;; [unrolled: 1-line block ×3, first 2 shown]
	ds_read_b128 v[5:8], v190 offset:1648
	s_waitcnt vmcnt(58) lgkmcnt(1)
	v_mul_f64 v[177:178], v[129:130], v[195:196]
	v_mul_f64 v[195:196], v[131:132], v[195:196]
	s_waitcnt vmcnt(56)
	v_fma_f64 v[153:154], v[1:2], v[145:146], -v[153:154]
	v_fma_f64 v[145:146], v[3:4], v[145:146], v[211:212]
	v_add_f64 v[135:136], v[135:136], v[201:202]
	v_add_f64 v[133:134], v[133:134], v[141:142]
	s_clause 0x4
	buffer_load_dword v142, off, s[0:3], 0 offset:940
	buffer_load_dword v201, off, s[0:3], 0 offset:952
	;; [unrolled: 1-line block ×5, first 2 shown]
	ds_read_b128 v[1:4], v190 offset:1664
	s_waitcnt vmcnt(57) lgkmcnt(1)
	v_mul_f64 v[211:212], v[5:6], v[139:140]
	v_mul_f64 v[139:140], v[7:8], v[139:140]
	s_waitcnt vmcnt(56)
	v_fma_f64 v[195:196], v[129:130], v[209:210], -v[195:196]
	v_add_f64 v[135:136], v[135:136], v[153:154]
	v_fma_f64 v[153:154], v[131:132], v[209:210], v[177:178]
	v_add_f64 v[133:134], v[133:134], v[145:146]
	s_clause 0x2
	buffer_load_dword v202, off, s[0:3], 0 offset:956
	buffer_load_dword v146, off, s[0:3], 0 offset:932
	;; [unrolled: 1-line block ×3, first 2 shown]
	ds_read_b128 v[129:132], v190 offset:1680
	s_waitcnt vmcnt(58) lgkmcnt(1)
	v_mul_f64 v[177:178], v[1:2], v[157:158]
	v_mul_f64 v[157:158], v[3:4], v[157:158]
	s_waitcnt vmcnt(56)
	v_fma_f64 v[139:140], v[5:6], v[151:152], -v[139:140]
	v_fma_f64 v[151:152], v[7:8], v[151:152], v[211:212]
	v_add_f64 v[135:136], v[135:136], v[195:196]
	v_add_f64 v[133:134], v[133:134], v[153:154]
	s_clause 0x2
	buffer_load_dword v154, off, s[0:3], 0 offset:972
	buffer_load_dword v153, off, s[0:3], 0 offset:968
	;; [unrolled: 1-line block ×3, first 2 shown]
	ds_read_b128 v[5:8], v190 offset:1696
	s_waitcnt vmcnt(55) lgkmcnt(1)
	v_mul_f64 v[195:196], v[129:130], v[143:144]
	v_mul_f64 v[143:144], v[131:132], v[143:144]
	s_waitcnt vmcnt(54)
	v_fma_f64 v[157:158], v[1:2], v[205:206], -v[157:158]
	v_add_f64 v[135:136], v[135:136], v[139:140]
	v_fma_f64 v[139:140], v[3:4], v[205:206], v[177:178]
	v_add_f64 v[133:134], v[133:134], v[151:152]
	s_clause 0x1
	buffer_load_dword v152, off, s[0:3], 0 offset:964
	buffer_load_dword v151, off, s[0:3], 0 offset:960
	ds_read_b128 v[1:4], v190 offset:1712
	s_waitcnt vmcnt(55) lgkmcnt(1)
	v_mul_f64 v[177:178], v[5:6], v[165:166]
	v_mul_f64 v[165:166], v[7:8], v[165:166]
	s_waitcnt vmcnt(53)
	v_fma_f64 v[143:144], v[129:130], v[161:162], -v[143:144]
	v_add_f64 v[135:136], v[135:136], v[157:158]
	v_fma_f64 v[157:158], v[131:132], v[161:162], v[195:196]
	v_add_f64 v[133:134], v[133:134], v[139:140]
	ds_read_b128 v[129:132], v190 offset:1728
	s_waitcnt vmcnt(49) lgkmcnt(1)
	v_mul_f64 v[139:140], v[1:2], v[149:150]
	v_mul_f64 v[149:150], v[3:4], v[149:150]
	s_waitcnt vmcnt(48)
	v_fma_f64 v[161:162], v[5:6], v[197:198], -v[165:166]
	v_add_f64 v[135:136], v[135:136], v[143:144]
	v_fma_f64 v[143:144], v[7:8], v[197:198], v[177:178]
	v_add_f64 v[133:134], v[133:134], v[157:158]
	s_clause 0x3
	buffer_load_dword v157, off, s[0:3], 0 offset:64
	buffer_load_dword v158, off, s[0:3], 0 offset:68
	;; [unrolled: 1-line block ×4, first 2 shown]
	ds_read_b128 v[5:8], v190 offset:1744
	s_waitcnt vmcnt(51) lgkmcnt(1)
	v_mul_f64 v[177:178], v[129:130], v[171:172]
	v_mul_f64 v[171:172], v[131:132], v[171:172]
	s_waitcnt vmcnt(49)
	v_fma_f64 v[149:150], v[1:2], v[159:160], -v[149:150]
	v_fma_f64 v[139:140], v[3:4], v[159:160], v[139:140]
	ds_read_b128 v[1:4], v190 offset:1760
	v_add_f64 v[135:136], v[135:136], v[161:162]
	v_add_f64 v[133:134], v[133:134], v[143:144]
	s_waitcnt vmcnt(45) lgkmcnt(1)
	v_mul_f64 v[143:144], v[5:6], v[155:156]
	v_mul_f64 v[155:156], v[7:8], v[155:156]
	s_waitcnt vmcnt(44)
	v_fma_f64 v[159:160], v[129:130], v[191:192], -v[171:172]
	v_add_f64 v[135:136], v[135:136], v[149:150]
	v_fma_f64 v[149:150], v[131:132], v[191:192], v[177:178]
	v_add_f64 v[133:134], v[133:134], v[139:140]
	ds_read_b128 v[129:132], v190 offset:1776
	s_waitcnt vmcnt(43) lgkmcnt(1)
	v_mul_f64 v[161:162], v[3:4], v[179:180]
	v_mul_f64 v[139:140], v[1:2], v[179:180]
	s_waitcnt vmcnt(41)
	v_fma_f64 v[155:156], v[5:6], v[167:168], -v[155:156]
	v_fma_f64 v[143:144], v[7:8], v[167:168], v[143:144]
	ds_read_b128 v[5:8], v190 offset:1792
	v_add_f64 v[135:136], v[135:136], v[159:160]
	v_add_f64 v[133:134], v[133:134], v[149:150]
	s_waitcnt vmcnt(37) lgkmcnt(1)
	v_mul_f64 v[159:160], v[131:132], v[163:164]
	s_waitcnt vmcnt(36)
	v_fma_f64 v[161:162], v[1:2], v[185:186], -v[161:162]
	v_mul_f64 v[149:150], v[129:130], v[163:164]
	v_fma_f64 v[139:140], v[3:4], v[185:186], v[139:140]
	ds_read_b128 v[1:4], v190 offset:1808
	v_add_f64 v[135:136], v[135:136], v[155:156]
	v_add_f64 v[133:134], v[133:134], v[143:144]
	s_waitcnt vmcnt(35) lgkmcnt(1)
	v_mul_f64 v[155:156], v[7:8], v[181:182]
	v_mul_f64 v[143:144], v[5:6], v[181:182]
	s_waitcnt vmcnt(33)
	v_fma_f64 v[159:160], v[129:130], v[137:138], -v[159:160]
	v_fma_f64 v[137:138], v[131:132], v[137:138], v[149:150]
	ds_read_b128 v[129:132], v190 offset:1824
	v_add_f64 v[135:136], v[135:136], v[161:162]
	v_add_f64 v[133:134], v[133:134], v[139:140]
	s_waitcnt vmcnt(29) lgkmcnt(1)
	v_mul_f64 v[149:150], v[3:4], v[169:170]
	s_waitcnt vmcnt(28)
	v_fma_f64 v[155:156], v[5:6], v[187:188], -v[155:156]
	v_mul_f64 v[139:140], v[1:2], v[169:170]
	v_fma_f64 v[143:144], v[7:8], v[187:188], v[143:144]
	ds_read_b128 v[5:8], v190 offset:1840
	v_add_f64 v[135:136], v[135:136], v[159:160]
	v_add_f64 v[133:134], v[133:134], v[137:138]
	;; [unrolled: 18-line block ×3, first 2 shown]
	s_waitcnt vmcnt(19) lgkmcnt(1)
	v_mul_f64 v[149:150], v[3:4], v[193:194]
	v_mul_f64 v[139:140], v[1:2], v[193:194]
	s_waitcnt vmcnt(17)
	v_fma_f64 v[155:156], v[5:6], v[147:148], -v[155:156]
	v_fma_f64 v[143:144], v[7:8], v[147:148], v[143:144]
	ds_read_b128 v[5:8], v190 offset:1888
	v_add_f64 v[135:136], v[135:136], v[159:160]
	v_add_f64 v[133:134], v[133:134], v[137:138]
	s_waitcnt vmcnt(13) lgkmcnt(1)
	v_mul_f64 v[137:138], v[129:130], v[141:142]
	v_mul_f64 v[141:142], v[131:132], v[141:142]
	s_waitcnt vmcnt(12)
	v_fma_f64 v[147:148], v[1:2], v[203:204], -v[149:150]
	v_fma_f64 v[139:140], v[3:4], v[203:204], v[139:140]
	ds_read_b128 v[1:4], v190 offset:1904
	v_add_f64 v[135:136], v[135:136], v[155:156]
	v_add_f64 v[133:134], v[133:134], v[143:144]
	s_waitcnt vmcnt(11) lgkmcnt(1)
	v_mul_f64 v[149:150], v[7:8], v[201:202]
	v_mul_f64 v[143:144], v[5:6], v[201:202]
	s_waitcnt vmcnt(9)
	v_fma_f64 v[129:130], v[129:130], v[145:146], -v[141:142]
	v_fma_f64 v[131:132], v[131:132], v[145:146], v[137:138]
	v_add_f64 v[135:136], v[135:136], v[147:148]
	v_add_f64 v[133:134], v[133:134], v[139:140]
	s_waitcnt vmcnt(7) lgkmcnt(0)
	v_mul_f64 v[139:140], v[3:4], v[153:154]
	s_waitcnt vmcnt(6)
	v_fma_f64 v[5:6], v[5:6], v[207:208], -v[149:150]
	v_mul_f64 v[137:138], v[1:2], v[153:154]
	v_fma_f64 v[7:8], v[7:8], v[207:208], v[143:144]
	v_add_f64 v[129:130], v[135:136], v[129:130]
	v_add_f64 v[131:132], v[133:134], v[131:132]
	s_waitcnt vmcnt(4)
	v_fma_f64 v[1:2], v[1:2], v[151:152], -v[139:140]
	v_fma_f64 v[3:4], v[3:4], v[151:152], v[137:138]
	v_add_f64 v[5:6], v[129:130], v[5:6]
	v_add_f64 v[7:8], v[131:132], v[7:8]
	;; [unrolled: 1-line block ×4, first 2 shown]
	s_waitcnt vmcnt(2)
	v_add_f64 v[1:2], v[157:158], -v[1:2]
	s_waitcnt vmcnt(0)
	v_add_f64 v[3:4], v[165:166], -v[3:4]
	buffer_store_dword v2, off, s[0:3], 0 offset:68
	buffer_store_dword v1, off, s[0:3], 0 offset:64
	;; [unrolled: 1-line block ×4, first 2 shown]
	v_cmpx_lt_u32_e32 2, v0
	s_cbranch_execz .LBB123_369
; %bb.368:
	v_mov_b32_e32 v4, s70
	v_mov_b32_e32 v5, 0
	s_clause 0x3
	buffer_load_dword v1, v4, s[0:3], 0 offen
	buffer_load_dword v2, v4, s[0:3], 0 offen offset:4
	buffer_load_dword v3, v4, s[0:3], 0 offen offset:8
	;; [unrolled: 1-line block ×3, first 2 shown]
	buffer_store_dword v5, off, s[0:3], 0 offset:48
	buffer_store_dword v5, off, s[0:3], 0 offset:52
	;; [unrolled: 1-line block ×4, first 2 shown]
	s_waitcnt vmcnt(0)
	ds_write_b128 v189, v[1:4]
.LBB123_369:
	s_or_b32 exec_lo, exec_lo, s4
	s_waitcnt lgkmcnt(0)
	s_waitcnt_vscnt null, 0x0
	s_barrier
	buffer_gl0_inv
	s_clause 0x37
	buffer_load_dword v137, off, s[0:3], 0 offset:72
	buffer_load_dword v138, off, s[0:3], 0 offset:76
	;; [unrolled: 1-line block ×56, first 2 shown]
	v_mov_b32_e32 v190, 0
	s_mov_b32 s4, exec_lo
	ds_read_b128 v[5:8], v190 offset:1008
	s_clause 0x2
	buffer_load_dword v186, off, s[0:3], 0 offset:300
	buffer_load_dword v188, off, s[0:3], 0 offset:276
	;; [unrolled: 1-line block ×3, first 2 shown]
	ds_read_b128 v[1:4], v190 offset:1024
	s_clause 0x4
	buffer_load_dword v198, off, s[0:3], 0 offset:316
	buffer_load_dword v199, off, s[0:3], 0 offset:328
	;; [unrolled: 1-line block ×5, first 2 shown]
	ds_read_b128 v[191:194], v190 offset:1040
	s_waitcnt vmcnt(62) lgkmcnt(2)
	v_mul_f64 v[195:196], v[7:8], v[137:138]
	v_mul_f64 v[137:138], v[5:6], v[137:138]
	s_waitcnt vmcnt(60) lgkmcnt(1)
	v_mul_f64 v[202:203], v[3:4], v[133:134]
	v_mul_f64 v[133:134], v[1:2], v[133:134]
	;; [unrolled: 3-line block ×3, first 2 shown]
	v_fma_f64 v[195:196], v[5:6], v[135:136], -v[195:196]
	v_fma_f64 v[135:136], v[7:8], v[135:136], v[137:138]
	s_clause 0x2
	buffer_load_dword v200, off, s[0:3], 0 offset:332
	buffer_load_dword v138, off, s[0:3], 0 offset:308
	;; [unrolled: 1-line block ×3, first 2 shown]
	s_waitcnt vmcnt(57)
	v_fma_f64 v[206:207], v[1:2], v[129:130], -v[202:203]
	ds_read_b128 v[5:8], v190 offset:1056
	v_fma_f64 v[129:130], v[3:4], v[129:130], v[133:134]
	s_waitcnt vmcnt(51)
	v_fma_f64 v[191:192], v[191:192], v[153:154], -v[131:132]
	v_fma_f64 v[153:154], v[193:194], v[153:154], v[204:205]
	v_add_f64 v[195:196], v[195:196], 0
	v_add_f64 v[133:134], v[135:136], 0
	s_clause 0x4
	buffer_load_dword v136, off, s[0:3], 0 offset:348
	buffer_load_dword v203, off, s[0:3], 0 offset:360
	;; [unrolled: 1-line block ×5, first 2 shown]
	s_waitcnt lgkmcnt(0)
	v_mul_f64 v[209:210], v[5:6], v[141:142]
	v_mul_f64 v[141:142], v[7:8], v[141:142]
	ds_read_b128 v[1:4], v190 offset:1072
	s_clause 0x2
	buffer_load_dword v204, off, s[0:3], 0 offset:364
	buffer_load_dword v194, off, s[0:3], 0 offset:340
	;; [unrolled: 1-line block ×3, first 2 shown]
	v_add_f64 v[195:196], v[195:196], v[206:207]
	v_add_f64 v[133:134], v[133:134], v[129:130]
	ds_read_b128 v[129:132], v190 offset:1088
	s_waitcnt vmcnt(58) lgkmcnt(1)
	v_mul_f64 v[205:206], v[1:2], v[145:146]
	v_mul_f64 v[145:146], v[3:4], v[145:146]
	s_waitcnt vmcnt(56)
	v_fma_f64 v[141:142], v[5:6], v[147:148], -v[141:142]
	v_fma_f64 v[147:148], v[7:8], v[147:148], v[209:210]
	s_waitcnt vmcnt(52) lgkmcnt(0)
	v_mul_f64 v[211:212], v[129:130], v[149:150]
	v_add_f64 v[191:192], v[195:196], v[191:192]
	v_add_f64 v[133:134], v[133:134], v[153:154]
	s_clause 0x4
	buffer_load_dword v154, off, s[0:3], 0 offset:380
	buffer_load_dword v195, off, s[0:3], 0 offset:392
	;; [unrolled: 1-line block ×5, first 2 shown]
	v_mul_f64 v[149:150], v[131:132], v[149:150]
	s_waitcnt vmcnt(56)
	v_fma_f64 v[145:146], v[1:2], v[139:140], -v[145:146]
	ds_read_b128 v[5:8], v190 offset:1104
	v_fma_f64 v[139:140], v[3:4], v[139:140], v[205:206]
	v_add_f64 v[141:142], v[191:192], v[141:142]
	v_add_f64 v[133:134], v[133:134], v[147:148]
	s_clause 0x2
	buffer_load_dword v196, off, s[0:3], 0 offset:396
	buffer_load_dword v148, off, s[0:3], 0 offset:372
	;; [unrolled: 1-line block ×3, first 2 shown]
	s_waitcnt vmcnt(58) lgkmcnt(0)
	v_mul_f64 v[191:192], v[5:6], v[155:156]
	v_mul_f64 v[155:156], v[7:8], v[155:156]
	s_waitcnt vmcnt(56)
	v_fma_f64 v[149:150], v[129:130], v[157:158], -v[149:150]
	ds_read_b128 v[1:4], v190 offset:1120
	v_add_f64 v[141:142], v[141:142], v[145:146]
	v_fma_f64 v[145:146], v[131:132], v[157:158], v[211:212]
	v_add_f64 v[133:134], v[133:134], v[139:140]
	s_clause 0x4
	buffer_load_dword v140, off, s[0:3], 0 offset:412
	buffer_load_dword v157, off, s[0:3], 0 offset:424
	;; [unrolled: 1-line block ×5, first 2 shown]
	s_waitcnt vmcnt(57) lgkmcnt(0)
	v_mul_f64 v[206:207], v[1:2], v[159:160]
	v_mul_f64 v[159:160], v[3:4], v[159:160]
	s_waitcnt vmcnt(56)
	v_fma_f64 v[155:156], v[5:6], v[143:144], -v[155:156]
	ds_read_b128 v[129:132], v190 offset:1136
	v_fma_f64 v[143:144], v[7:8], v[143:144], v[191:192]
	v_add_f64 v[141:142], v[141:142], v[149:150]
	v_add_f64 v[133:134], v[133:134], v[145:146]
	s_clause 0x2
	buffer_load_dword v158, off, s[0:3], 0 offset:428
	buffer_load_dword v146, off, s[0:3], 0 offset:404
	;; [unrolled: 1-line block ×3, first 2 shown]
	ds_read_b128 v[5:8], v190 offset:1152
	s_waitcnt vmcnt(58) lgkmcnt(1)
	v_mul_f64 v[149:150], v[129:130], v[163:164]
	v_mul_f64 v[163:164], v[131:132], v[163:164]
	s_waitcnt vmcnt(56)
	v_fma_f64 v[159:160], v[1:2], v[165:166], -v[159:160]
	v_add_f64 v[141:142], v[141:142], v[155:156]
	v_fma_f64 v[155:156], v[3:4], v[165:166], v[206:207]
	v_add_f64 v[133:134], v[133:134], v[143:144]
	s_clause 0x4
	buffer_load_dword v144, off, s[0:3], 0 offset:444
	buffer_load_dword v165, off, s[0:3], 0 offset:456
	;; [unrolled: 1-line block ×5, first 2 shown]
	s_waitcnt vmcnt(57) lgkmcnt(0)
	v_mul_f64 v[212:213], v[5:6], v[167:168]
	v_mul_f64 v[167:168], v[7:8], v[167:168]
	s_waitcnt vmcnt(56)
	v_fma_f64 v[163:164], v[129:130], v[151:152], -v[163:164]
	ds_read_b128 v[1:4], v190 offset:1168
	v_fma_f64 v[149:150], v[131:132], v[151:152], v[149:150]
	s_clause 0x2
	buffer_load_dword v166, off, s[0:3], 0 offset:460
	buffer_load_dword v152, off, s[0:3], 0 offset:436
	;; [unrolled: 1-line block ×3, first 2 shown]
	ds_read_b128 v[129:132], v190 offset:1184
	v_add_f64 v[141:142], v[141:142], v[159:160]
	v_add_f64 v[133:134], v[133:134], v[155:156]
	s_waitcnt vmcnt(58) lgkmcnt(1)
	v_mul_f64 v[159:160], v[3:4], v[171:172]
	s_waitcnt vmcnt(56)
	v_fma_f64 v[167:168], v[5:6], v[173:174], -v[167:168]
	v_mul_f64 v[155:156], v[1:2], v[171:172]
	v_add_f64 v[141:142], v[141:142], v[163:164]
	v_fma_f64 v[163:164], v[7:8], v[173:174], v[212:213]
	v_add_f64 v[133:134], v[133:134], v[149:150]
	s_clause 0x4
	buffer_load_dword v150, off, s[0:3], 0 offset:476
	buffer_load_dword v171, off, s[0:3], 0 offset:488
	buffer_load_dword v173, off, s[0:3], 0 offset:480
	buffer_load_dword v149, off, s[0:3], 0 offset:472
	buffer_load_dword v192, off, s[0:3], 0 offset:452
	s_waitcnt vmcnt(57) lgkmcnt(0)
	v_mul_f64 v[212:213], v[129:130], v[175:176]
	v_mul_f64 v[174:175], v[131:132], v[175:176]
	s_waitcnt vmcnt(56)
	v_fma_f64 v[159:160], v[1:2], v[161:162], -v[159:160]
	ds_read_b128 v[5:8], v190 offset:1200
	v_fma_f64 v[155:156], v[3:4], v[161:162], v[155:156]
	s_clause 0x2
	buffer_load_dword v172, off, s[0:3], 0 offset:492
	buffer_load_dword v162, off, s[0:3], 0 offset:468
	;; [unrolled: 1-line block ×3, first 2 shown]
	ds_read_b128 v[1:4], v190 offset:1216
	v_add_f64 v[141:142], v[141:142], v[167:168]
	v_add_f64 v[133:134], v[133:134], v[163:164]
	s_waitcnt vmcnt(58) lgkmcnt(1)
	v_mul_f64 v[167:168], v[7:8], v[179:180]
	s_waitcnt vmcnt(56)
	v_fma_f64 v[175:176], v[129:130], v[181:182], -v[174:175]
	v_mul_f64 v[163:164], v[5:6], v[179:180]
	v_add_f64 v[141:142], v[141:142], v[159:160]
	v_fma_f64 v[159:160], v[131:132], v[181:182], v[212:213]
	v_add_f64 v[133:134], v[133:134], v[155:156]
	s_clause 0x4
	buffer_load_dword v156, off, s[0:3], 0 offset:508
	buffer_load_dword v179, off, s[0:3], 0 offset:520
	;; [unrolled: 1-line block ×5, first 2 shown]
	s_waitcnt vmcnt(57) lgkmcnt(0)
	v_mul_f64 v[212:213], v[1:2], v[183:184]
	v_mul_f64 v[182:183], v[3:4], v[183:184]
	s_waitcnt vmcnt(56)
	v_fma_f64 v[167:168], v[5:6], v[169:170], -v[167:168]
	ds_read_b128 v[129:132], v190 offset:1232
	v_fma_f64 v[163:164], v[7:8], v[169:170], v[163:164]
	v_add_f64 v[141:142], v[141:142], v[175:176]
	v_add_f64 v[133:134], v[133:134], v[159:160]
	s_clause 0x2
	buffer_load_dword v180, off, s[0:3], 0 offset:524
	buffer_load_dword v160, off, s[0:3], 0 offset:500
	;; [unrolled: 1-line block ×3, first 2 shown]
	ds_read_b128 v[5:8], v190 offset:1248
	s_waitcnt vmcnt(58) lgkmcnt(1)
	v_mul_f64 v[175:176], v[131:132], v[185:186]
	s_waitcnt vmcnt(56)
	v_fma_f64 v[183:184], v[1:2], v[187:188], -v[182:183]
	v_mul_f64 v[169:170], v[129:130], v[185:186]
	v_add_f64 v[141:142], v[141:142], v[167:168]
	v_fma_f64 v[167:168], v[3:4], v[187:188], v[212:213]
	v_add_f64 v[133:134], v[133:134], v[163:164]
	s_clause 0x4
	buffer_load_dword v164, off, s[0:3], 0 offset:540
	buffer_load_dword v185, off, s[0:3], 0 offset:552
	;; [unrolled: 1-line block ×5, first 2 shown]
	s_waitcnt vmcnt(57) lgkmcnt(0)
	v_mul_f64 v[212:213], v[5:6], v[197:198]
	v_mul_f64 v[197:198], v[7:8], v[197:198]
	s_waitcnt vmcnt(56)
	v_fma_f64 v[175:176], v[129:130], v[177:178], -v[175:176]
	ds_read_b128 v[1:4], v190 offset:1264
	v_fma_f64 v[169:170], v[131:132], v[177:178], v[169:170]
	v_add_f64 v[141:142], v[141:142], v[183:184]
	v_add_f64 v[133:134], v[133:134], v[167:168]
	s_clause 0x2
	buffer_load_dword v186, off, s[0:3], 0 offset:556
	buffer_load_dword v168, off, s[0:3], 0 offset:532
	;; [unrolled: 1-line block ×3, first 2 shown]
	ds_read_b128 v[129:132], v190 offset:1280
	s_waitcnt vmcnt(58) lgkmcnt(1)
	v_mul_f64 v[183:184], v[3:4], v[199:200]
	v_mul_f64 v[177:178], v[1:2], v[199:200]
	s_waitcnt vmcnt(56)
	v_fma_f64 v[197:198], v[5:6], v[137:138], -v[197:198]
	v_fma_f64 v[137:138], v[7:8], v[137:138], v[212:213]
	v_add_f64 v[141:142], v[141:142], v[175:176]
	v_add_f64 v[133:134], v[133:134], v[169:170]
	s_clause 0x4
	buffer_load_dword v170, off, s[0:3], 0 offset:572
	buffer_load_dword v175, off, s[0:3], 0 offset:584
	;; [unrolled: 1-line block ×5, first 2 shown]
	ds_read_b128 v[5:8], v190 offset:1296
	s_waitcnt vmcnt(57) lgkmcnt(1)
	v_mul_f64 v[212:213], v[129:130], v[135:136]
	v_mul_f64 v[135:136], v[131:132], v[135:136]
	s_waitcnt vmcnt(56)
	v_fma_f64 v[183:184], v[1:2], v[201:202], -v[183:184]
	v_fma_f64 v[177:178], v[3:4], v[201:202], v[177:178]
	v_add_f64 v[141:142], v[141:142], v[197:198]
	v_add_f64 v[133:134], v[133:134], v[137:138]
	s_clause 0x2
	buffer_load_dword v176, off, s[0:3], 0 offset:588
	buffer_load_dword v138, off, s[0:3], 0 offset:564
	;; [unrolled: 1-line block ×3, first 2 shown]
	s_waitcnt vmcnt(58) lgkmcnt(0)
	v_mul_f64 v[201:202], v[7:8], v[203:204]
	ds_read_b128 v[1:4], v190 offset:1312
	v_mul_f64 v[197:198], v[5:6], v[203:204]
	s_waitcnt vmcnt(56)
	v_fma_f64 v[135:136], v[129:130], v[193:194], -v[135:136]
	v_add_f64 v[141:142], v[141:142], v[183:184]
	v_fma_f64 v[183:184], v[131:132], v[193:194], v[212:213]
	v_add_f64 v[133:134], v[133:134], v[177:178]
	s_clause 0x4
	buffer_load_dword v178, off, s[0:3], 0 offset:604
	buffer_load_dword v193, off, s[0:3], 0 offset:616
	;; [unrolled: 1-line block ×5, first 2 shown]
	ds_read_b128 v[129:132], v190 offset:1328
	s_waitcnt vmcnt(57) lgkmcnt(1)
	v_mul_f64 v[212:213], v[1:2], v[153:154]
	v_mul_f64 v[153:154], v[3:4], v[153:154]
	s_waitcnt vmcnt(56)
	v_fma_f64 v[201:202], v[5:6], v[208:209], -v[201:202]
	v_add_f64 v[135:136], v[141:142], v[135:136]
	v_fma_f64 v[141:142], v[7:8], v[208:209], v[197:198]
	v_add_f64 v[133:134], v[133:134], v[183:184]
	s_clause 0x2
	buffer_load_dword v194, off, s[0:3], 0 offset:620
	buffer_load_dword v184, off, s[0:3], 0 offset:596
	;; [unrolled: 1-line block ×3, first 2 shown]
	ds_read_b128 v[5:8], v190 offset:1344
	s_waitcnt vmcnt(58) lgkmcnt(1)
	v_mul_f64 v[197:198], v[129:130], v[195:196]
	v_mul_f64 v[195:196], v[131:132], v[195:196]
	s_waitcnt vmcnt(56)
	v_fma_f64 v[153:154], v[1:2], v[147:148], -v[153:154]
	v_fma_f64 v[147:148], v[3:4], v[147:148], v[212:213]
	v_add_f64 v[135:136], v[135:136], v[201:202]
	v_add_f64 v[133:134], v[133:134], v[141:142]
	s_clause 0x4
	buffer_load_dword v142, off, s[0:3], 0 offset:636
	buffer_load_dword v201, off, s[0:3], 0 offset:648
	;; [unrolled: 1-line block ×5, first 2 shown]
	ds_read_b128 v[1:4], v190 offset:1360
	s_waitcnt vmcnt(57) lgkmcnt(1)
	v_mul_f64 v[208:209], v[5:6], v[139:140]
	v_mul_f64 v[139:140], v[7:8], v[139:140]
	s_waitcnt vmcnt(56)
	v_fma_f64 v[195:196], v[129:130], v[210:211], -v[195:196]
	v_add_f64 v[135:136], v[135:136], v[153:154]
	v_fma_f64 v[153:154], v[131:132], v[210:211], v[197:198]
	v_add_f64 v[133:134], v[133:134], v[147:148]
	s_clause 0x2
	buffer_load_dword v202, off, s[0:3], 0 offset:652
	buffer_load_dword v148, off, s[0:3], 0 offset:628
	;; [unrolled: 1-line block ×3, first 2 shown]
	ds_read_b128 v[129:132], v190 offset:1376
	s_waitcnt vmcnt(58) lgkmcnt(1)
	v_mul_f64 v[197:198], v[1:2], v[157:158]
	v_mul_f64 v[157:158], v[3:4], v[157:158]
	s_waitcnt vmcnt(56)
	v_fma_f64 v[139:140], v[5:6], v[145:146], -v[139:140]
	v_fma_f64 v[145:146], v[7:8], v[145:146], v[208:209]
	v_add_f64 v[135:136], v[135:136], v[195:196]
	v_add_f64 v[133:134], v[133:134], v[153:154]
	s_clause 0x4
	buffer_load_dword v154, off, s[0:3], 0 offset:668
	buffer_load_dword v195, off, s[0:3], 0 offset:680
	;; [unrolled: 1-line block ×5, first 2 shown]
	ds_read_b128 v[5:8], v190 offset:1392
	s_waitcnt vmcnt(57) lgkmcnt(1)
	v_mul_f64 v[210:211], v[129:130], v[143:144]
	v_mul_f64 v[143:144], v[131:132], v[143:144]
	s_waitcnt vmcnt(56)
	v_fma_f64 v[157:158], v[1:2], v[205:206], -v[157:158]
	v_add_f64 v[135:136], v[135:136], v[139:140]
	v_fma_f64 v[139:140], v[3:4], v[205:206], v[197:198]
	v_add_f64 v[133:134], v[133:134], v[145:146]
	s_clause 0x2
	buffer_load_dword v196, off, s[0:3], 0 offset:684
	buffer_load_dword v146, off, s[0:3], 0 offset:660
	;; [unrolled: 1-line block ×3, first 2 shown]
	s_waitcnt vmcnt(58) lgkmcnt(0)
	v_mul_f64 v[197:198], v[5:6], v[165:166]
	v_mul_f64 v[165:166], v[7:8], v[165:166]
	ds_read_b128 v[1:4], v190 offset:1408
	s_waitcnt vmcnt(56)
	v_fma_f64 v[143:144], v[129:130], v[151:152], -v[143:144]
	v_fma_f64 v[151:152], v[131:132], v[151:152], v[210:211]
	v_add_f64 v[135:136], v[135:136], v[157:158]
	v_add_f64 v[133:134], v[133:134], v[139:140]
	s_clause 0x4
	buffer_load_dword v140, off, s[0:3], 0 offset:700
	buffer_load_dword v157, off, s[0:3], 0 offset:712
	;; [unrolled: 1-line block ×5, first 2 shown]
	ds_read_b128 v[129:132], v190 offset:1424
	s_waitcnt vmcnt(57) lgkmcnt(1)
	v_mul_f64 v[211:212], v[1:2], v[149:150]
	v_mul_f64 v[149:150], v[3:4], v[149:150]
	s_waitcnt vmcnt(56)
	v_fma_f64 v[165:166], v[5:6], v[191:192], -v[165:166]
	v_add_f64 v[135:136], v[135:136], v[143:144]
	v_fma_f64 v[143:144], v[7:8], v[191:192], v[197:198]
	v_add_f64 v[133:134], v[133:134], v[151:152]
	s_clause 0x2
	buffer_load_dword v158, off, s[0:3], 0 offset:716
	buffer_load_dword v152, off, s[0:3], 0 offset:692
	;; [unrolled: 1-line block ×3, first 2 shown]
	s_waitcnt vmcnt(58) lgkmcnt(0)
	v_mul_f64 v[191:192], v[129:130], v[171:172]
	v_mul_f64 v[171:172], v[131:132], v[171:172]
	ds_read_b128 v[5:8], v190 offset:1440
	s_waitcnt vmcnt(56)
	v_fma_f64 v[149:150], v[1:2], v[161:162], -v[149:150]
	v_fma_f64 v[161:162], v[3:4], v[161:162], v[211:212]
	v_add_f64 v[135:136], v[135:136], v[165:166]
	v_add_f64 v[133:134], v[133:134], v[143:144]
	s_clause 0x4
	buffer_load_dword v144, off, s[0:3], 0 offset:732
	buffer_load_dword v165, off, s[0:3], 0 offset:744
	buffer_load_dword v197, off, s[0:3], 0 offset:736
	buffer_load_dword v143, off, s[0:3], 0 offset:728
	buffer_load_dword v206, off, s[0:3], 0 offset:708
	ds_read_b128 v[1:4], v190 offset:1456
	s_waitcnt vmcnt(57) lgkmcnt(1)
	v_mul_f64 v[211:212], v[5:6], v[155:156]
	v_mul_f64 v[155:156], v[7:8], v[155:156]
	s_waitcnt vmcnt(56)
	v_fma_f64 v[171:172], v[129:130], v[173:174], -v[171:172]
	v_add_f64 v[135:136], v[135:136], v[149:150]
	v_fma_f64 v[149:150], v[131:132], v[173:174], v[191:192]
	v_add_f64 v[133:134], v[133:134], v[161:162]
	s_clause 0x2
	buffer_load_dword v166, off, s[0:3], 0 offset:748
	buffer_load_dword v162, off, s[0:3], 0 offset:724
	buffer_load_dword v161, off, s[0:3], 0 offset:720
	ds_read_b128 v[129:132], v190 offset:1472
	s_waitcnt vmcnt(58) lgkmcnt(1)
	v_mul_f64 v[173:174], v[1:2], v[179:180]
	v_mul_f64 v[179:180], v[3:4], v[179:180]
	s_waitcnt vmcnt(56)
	v_fma_f64 v[155:156], v[5:6], v[159:160], -v[155:156]
	v_fma_f64 v[159:160], v[7:8], v[159:160], v[211:212]
	v_add_f64 v[135:136], v[135:136], v[171:172]
	v_add_f64 v[133:134], v[133:134], v[149:150]
	s_clause 0x4
	buffer_load_dword v150, off, s[0:3], 0 offset:764
	buffer_load_dword v171, off, s[0:3], 0 offset:776
	buffer_load_dword v191, off, s[0:3], 0 offset:768
	buffer_load_dword v149, off, s[0:3], 0 offset:760
	buffer_load_dword v198, off, s[0:3], 0 offset:740
	ds_read_b128 v[5:8], v190 offset:1488
	s_waitcnt vmcnt(57) lgkmcnt(1)
	v_mul_f64 v[211:212], v[129:130], v[163:164]
	v_mul_f64 v[163:164], v[131:132], v[163:164]
	s_waitcnt vmcnt(56)
	v_fma_f64 v[179:180], v[1:2], v[181:182], -v[179:180]
	v_add_f64 v[135:136], v[135:136], v[155:156]
	v_fma_f64 v[155:156], v[3:4], v[181:182], v[173:174]
	v_add_f64 v[133:134], v[133:134], v[159:160]
	s_clause 0x2
	buffer_load_dword v172, off, s[0:3], 0 offset:780
	buffer_load_dword v160, off, s[0:3], 0 offset:756
	buffer_load_dword v159, off, s[0:3], 0 offset:752
	ds_read_b128 v[1:4], v190 offset:1504
	s_waitcnt vmcnt(58) lgkmcnt(1)
	v_mul_f64 v[181:182], v[7:8], v[185:186]
	v_mul_f64 v[173:174], v[5:6], v[185:186]
	;; [unrolled: 28-line block ×4, first 2 shown]
	s_waitcnt vmcnt(56)
	v_fma_f64 v[177:178], v[5:6], v[183:184], -v[177:178]
	v_add_f64 v[135:136], v[135:136], v[175:176]
	v_fma_f64 v[175:176], v[7:8], v[183:184], v[211:212]
	v_add_f64 v[133:134], v[133:134], v[169:170]
	s_clause 0x4
	buffer_load_dword v170, off, s[0:3], 0 offset:860
	buffer_load_dword v183, off, s[0:3], 0 offset:872
	buffer_load_dword v199, off, s[0:3], 0 offset:864
	buffer_load_dword v169, off, s[0:3], 0 offset:856
	buffer_load_dword v188, off, s[0:3], 0 offset:836
	ds_read_b128 v[5:8], v190 offset:1584
	s_waitcnt vmcnt(57) lgkmcnt(1)
	v_mul_f64 v[211:212], v[129:130], v[141:142]
	v_mul_f64 v[141:142], v[131:132], v[141:142]
	s_waitcnt vmcnt(56)
	v_fma_f64 v[193:194], v[1:2], v[203:204], -v[193:194]
	v_fma_f64 v[173:174], v[3:4], v[203:204], v[173:174]
	v_add_f64 v[135:136], v[135:136], v[177:178]
	v_add_f64 v[133:134], v[133:134], v[175:176]
	s_clause 0x2
	buffer_load_dword v184, off, s[0:3], 0 offset:876
	buffer_load_dword v176, off, s[0:3], 0 offset:852
	buffer_load_dword v175, off, s[0:3], 0 offset:848
	ds_read_b128 v[1:4], v190 offset:1600
	s_waitcnt vmcnt(58) lgkmcnt(1)
	v_mul_f64 v[177:178], v[5:6], v[201:202]
	v_mul_f64 v[201:202], v[7:8], v[201:202]
	s_waitcnt vmcnt(56)
	v_fma_f64 v[141:142], v[129:130], v[147:148], -v[141:142]
	v_fma_f64 v[147:148], v[131:132], v[147:148], v[211:212]
	v_add_f64 v[135:136], v[135:136], v[193:194]
	v_add_f64 v[133:134], v[133:134], v[173:174]
	s_clause 0x4
	buffer_load_dword v174, off, s[0:3], 0 offset:892
	buffer_load_dword v193, off, s[0:3], 0 offset:904
	buffer_load_dword v203, off, s[0:3], 0 offset:896
	buffer_load_dword v173, off, s[0:3], 0 offset:888
	buffer_load_dword v200, off, s[0:3], 0 offset:868
	ds_read_b128 v[129:132], v190 offset:1616
	s_waitcnt vmcnt(57) lgkmcnt(1)
	v_mul_f64 v[211:212], v[1:2], v[153:154]
	v_mul_f64 v[153:154], v[3:4], v[153:154]
	s_waitcnt vmcnt(56)
	v_fma_f64 v[201:202], v[5:6], v[207:208], -v[201:202]
	v_add_f64 v[135:136], v[135:136], v[141:142]
	v_fma_f64 v[141:142], v[7:8], v[207:208], v[177:178]
	v_add_f64 v[133:134], v[133:134], v[147:148]
	s_clause 0x2
	buffer_load_dword v194, off, s[0:3], 0 offset:908
	buffer_load_dword v148, off, s[0:3], 0 offset:884
	buffer_load_dword v147, off, s[0:3], 0 offset:880
	ds_read_b128 v[5:8], v190 offset:1632
	s_waitcnt vmcnt(58) lgkmcnt(1)
	v_mul_f64 v[177:178], v[129:130], v[195:196]
	v_mul_f64 v[195:196], v[131:132], v[195:196]
	s_waitcnt vmcnt(56)
	v_fma_f64 v[153:154], v[1:2], v[145:146], -v[153:154]
	v_fma_f64 v[145:146], v[3:4], v[145:146], v[211:212]
	v_add_f64 v[135:136], v[135:136], v[201:202]
	v_add_f64 v[133:134], v[133:134], v[141:142]
	s_clause 0x4
	buffer_load_dword v142, off, s[0:3], 0 offset:924
	buffer_load_dword v201, off, s[0:3], 0 offset:936
	buffer_load_dword v207, off, s[0:3], 0 offset:928
	buffer_load_dword v141, off, s[0:3], 0 offset:920
	buffer_load_dword v204, off, s[0:3], 0 offset:900
	ds_read_b128 v[1:4], v190 offset:1648
	s_waitcnt vmcnt(57) lgkmcnt(1)
	v_mul_f64 v[211:212], v[5:6], v[139:140]
	v_mul_f64 v[139:140], v[7:8], v[139:140]
	s_waitcnt vmcnt(56)
	v_fma_f64 v[195:196], v[129:130], v[209:210], -v[195:196]
	v_add_f64 v[135:136], v[135:136], v[153:154]
	v_fma_f64 v[153:154], v[131:132], v[209:210], v[177:178]
	;; [unrolled: 28-line block ×3, first 2 shown]
	v_add_f64 v[133:134], v[133:134], v[151:152]
	s_clause 0x2
	buffer_load_dword v196, off, s[0:3], 0 offset:972
	buffer_load_dword v152, off, s[0:3], 0 offset:948
	;; [unrolled: 1-line block ×3, first 2 shown]
	ds_read_b128 v[1:4], v190 offset:1696
	s_waitcnt vmcnt(58) lgkmcnt(1)
	v_mul_f64 v[177:178], v[5:6], v[165:166]
	v_mul_f64 v[165:166], v[7:8], v[165:166]
	s_waitcnt vmcnt(56)
	v_fma_f64 v[143:144], v[129:130], v[161:162], -v[143:144]
	v_add_f64 v[135:136], v[135:136], v[157:158]
	v_fma_f64 v[157:158], v[131:132], v[161:162], v[210:211]
	v_add_f64 v[133:134], v[133:134], v[139:140]
	buffer_load_dword v210, off, s[0:3], 0 offset:964
	ds_read_b128 v[129:132], v190 offset:1712
	s_waitcnt vmcnt(53) lgkmcnt(1)
	v_mul_f64 v[139:140], v[1:2], v[149:150]
	v_mul_f64 v[149:150], v[3:4], v[149:150]
	s_waitcnt vmcnt(52)
	v_fma_f64 v[161:162], v[5:6], v[197:198], -v[165:166]
	v_add_f64 v[135:136], v[135:136], v[143:144]
	v_fma_f64 v[143:144], v[7:8], v[197:198], v[177:178]
	v_add_f64 v[133:134], v[133:134], v[157:158]
	ds_read_b128 v[5:8], v190 offset:1728
	s_waitcnt vmcnt(51) lgkmcnt(1)
	v_mul_f64 v[165:166], v[131:132], v[171:172]
	v_mul_f64 v[157:158], v[129:130], v[171:172]
	s_waitcnt vmcnt(49)
	v_fma_f64 v[149:150], v[1:2], v[159:160], -v[149:150]
	v_fma_f64 v[139:140], v[3:4], v[159:160], v[139:140]
	v_add_f64 v[135:136], v[135:136], v[161:162]
	v_add_f64 v[133:134], v[133:134], v[143:144]
	s_clause 0x3
	buffer_load_dword v143, off, s[0:3], 0 offset:48
	buffer_load_dword v144, off, s[0:3], 0 offset:52
	;; [unrolled: 1-line block ×4, first 2 shown]
	ds_read_b128 v[1:4], v190 offset:1744
	s_waitcnt vmcnt(49) lgkmcnt(1)
	v_mul_f64 v[161:162], v[5:6], v[155:156]
	v_mul_f64 v[155:156], v[7:8], v[155:156]
	s_waitcnt vmcnt(48)
	v_fma_f64 v[165:166], v[129:130], v[191:192], -v[165:166]
	v_add_f64 v[135:136], v[135:136], v[149:150]
	v_fma_f64 v[149:150], v[131:132], v[191:192], v[157:158]
	v_add_f64 v[133:134], v[133:134], v[139:140]
	ds_read_b128 v[129:132], v190 offset:1760
	s_waitcnt vmcnt(47) lgkmcnt(1)
	v_mul_f64 v[157:158], v[3:4], v[179:180]
	v_mul_f64 v[139:140], v[1:2], v[179:180]
	s_waitcnt vmcnt(45)
	v_fma_f64 v[155:156], v[5:6], v[167:168], -v[155:156]
	v_fma_f64 v[161:162], v[7:8], v[167:168], v[161:162]
	ds_read_b128 v[5:8], v190 offset:1776
	v_add_f64 v[135:136], v[135:136], v[165:166]
	v_add_f64 v[133:134], v[133:134], v[149:150]
	s_waitcnt vmcnt(41) lgkmcnt(1)
	v_mul_f64 v[149:150], v[129:130], v[163:164]
	v_mul_f64 v[163:164], v[131:132], v[163:164]
	s_waitcnt vmcnt(40)
	v_fma_f64 v[157:158], v[1:2], v[185:186], -v[157:158]
	v_fma_f64 v[139:140], v[3:4], v[185:186], v[139:140]
	ds_read_b128 v[1:4], v190 offset:1792
	v_add_f64 v[135:136], v[135:136], v[155:156]
	v_add_f64 v[133:134], v[133:134], v[161:162]
	;; [unrolled: 9-line block ×3, first 2 shown]
	s_waitcnt vmcnt(33) lgkmcnt(1)
	v_mul_f64 v[149:150], v[3:4], v[169:170]
	s_waitcnt vmcnt(32)
	v_fma_f64 v[157:158], v[5:6], v[187:188], -v[161:162]
	v_mul_f64 v[139:140], v[1:2], v[169:170]
	v_fma_f64 v[155:156], v[7:8], v[187:188], v[155:156]
	ds_read_b128 v[5:8], v190 offset:1824
	v_add_f64 v[135:136], v[135:136], v[163:164]
	v_add_f64 v[133:134], v[133:134], v[137:138]
	s_waitcnt vmcnt(31) lgkmcnt(1)
	v_mul_f64 v[161:162], v[131:132], v[183:184]
	v_mul_f64 v[137:138], v[129:130], v[183:184]
	s_waitcnt vmcnt(29)
	v_fma_f64 v[149:150], v[1:2], v[175:176], -v[149:150]
	v_fma_f64 v[139:140], v[3:4], v[175:176], v[139:140]
	ds_read_b128 v[1:4], v190 offset:1840
	v_add_f64 v[135:136], v[135:136], v[157:158]
	v_add_f64 v[133:134], v[133:134], v[155:156]
	s_waitcnt vmcnt(25) lgkmcnt(1)
	v_mul_f64 v[157:158], v[7:8], v[173:174]
	s_waitcnt vmcnt(24)
	v_fma_f64 v[161:162], v[129:130], v[199:200], -v[161:162]
	v_mul_f64 v[155:156], v[5:6], v[173:174]
	v_fma_f64 v[137:138], v[131:132], v[199:200], v[137:138]
	ds_read_b128 v[129:132], v190 offset:1856
	v_add_f64 v[135:136], v[135:136], v[149:150]
	v_add_f64 v[133:134], v[133:134], v[139:140]
	s_waitcnt vmcnt(23) lgkmcnt(1)
	v_mul_f64 v[149:150], v[3:4], v[193:194]
	v_mul_f64 v[139:140], v[1:2], v[193:194]
	s_waitcnt vmcnt(21)
	v_fma_f64 v[157:158], v[5:6], v[147:148], -v[157:158]
	v_fma_f64 v[147:148], v[7:8], v[147:148], v[155:156]
	ds_read_b128 v[5:8], v190 offset:1872
	v_add_f64 v[135:136], v[135:136], v[161:162]
	v_add_f64 v[133:134], v[133:134], v[137:138]
	s_waitcnt vmcnt(17) lgkmcnt(1)
	v_mul_f64 v[137:138], v[129:130], v[141:142]
	v_mul_f64 v[141:142], v[131:132], v[141:142]
	s_waitcnt vmcnt(16)
	v_fma_f64 v[149:150], v[1:2], v[203:204], -v[149:150]
	;; [unrolled: 9-line block ×3, first 2 shown]
	v_fma_f64 v[137:138], v[131:132], v[145:146], v[137:138]
	ds_read_b128 v[129:132], v190 offset:1904
	v_add_f64 v[135:136], v[135:136], v[149:150]
	v_add_f64 v[133:134], v[133:134], v[139:140]
	s_waitcnt vmcnt(9) lgkmcnt(1)
	v_mul_f64 v[145:146], v[3:4], v[153:154]
	s_waitcnt vmcnt(8)
	v_fma_f64 v[5:6], v[5:6], v[207:208], -v[155:156]
	v_mul_f64 v[139:140], v[1:2], v[153:154]
	v_fma_f64 v[7:8], v[7:8], v[207:208], v[147:148]
	v_add_f64 v[135:136], v[135:136], v[141:142]
	v_add_f64 v[133:134], v[133:134], v[137:138]
	s_waitcnt vmcnt(7) lgkmcnt(0)
	v_mul_f64 v[141:142], v[131:132], v[195:196]
	v_mul_f64 v[137:138], v[129:130], v[195:196]
	s_waitcnt vmcnt(5)
	v_fma_f64 v[1:2], v[1:2], v[151:152], -v[145:146]
	v_fma_f64 v[3:4], v[3:4], v[151:152], v[139:140]
	v_add_f64 v[5:6], v[135:136], v[5:6]
	v_add_f64 v[7:8], v[133:134], v[7:8]
	s_waitcnt vmcnt(4)
	v_fma_f64 v[129:130], v[129:130], v[209:210], -v[141:142]
	v_add_f64 v[1:2], v[5:6], v[1:2]
	v_fma_f64 v[5:6], v[131:132], v[209:210], v[137:138]
	v_add_f64 v[3:4], v[7:8], v[3:4]
	v_add_f64 v[1:2], v[1:2], v[129:130]
	;; [unrolled: 1-line block ×3, first 2 shown]
	s_waitcnt vmcnt(2)
	v_add_f64 v[1:2], v[143:144], -v[1:2]
	s_waitcnt vmcnt(0)
	v_add_f64 v[3:4], v[159:160], -v[3:4]
	buffer_store_dword v2, off, s[0:3], 0 offset:52
	buffer_store_dword v1, off, s[0:3], 0 offset:48
	;; [unrolled: 1-line block ×4, first 2 shown]
	v_cmpx_lt_u32_e32 1, v0
	s_cbranch_execz .LBB123_371
; %bb.370:
	v_mov_b32_e32 v4, s71
	s_clause 0x3
	buffer_load_dword v1, v4, s[0:3], 0 offen
	buffer_load_dword v2, v4, s[0:3], 0 offen offset:4
	buffer_load_dword v3, v4, s[0:3], 0 offen offset:8
	;; [unrolled: 1-line block ×3, first 2 shown]
	buffer_store_dword v190, off, s[0:3], 0 offset:32
	buffer_store_dword v190, off, s[0:3], 0 offset:36
	;; [unrolled: 1-line block ×4, first 2 shown]
	s_waitcnt vmcnt(0)
	ds_write_b128 v189, v[1:4]
.LBB123_371:
	s_or_b32 exec_lo, exec_lo, s4
	s_waitcnt lgkmcnt(0)
	s_waitcnt_vscnt null, 0x0
	s_barrier
	buffer_gl0_inv
	s_clause 0x37
	buffer_load_dword v137, off, s[0:3], 0 offset:56
	buffer_load_dword v138, off, s[0:3], 0 offset:60
	;; [unrolled: 1-line block ×56, first 2 shown]
	ds_read_b128 v[5:8], v190 offset:992
	s_clause 0x2
	buffer_load_dword v186, off, s[0:3], 0 offset:284
	buffer_load_dword v188, off, s[0:3], 0 offset:260
	;; [unrolled: 1-line block ×3, first 2 shown]
	ds_read_b128 v[1:4], v190 offset:1008
	s_clause 0x4
	buffer_load_dword v198, off, s[0:3], 0 offset:300
	buffer_load_dword v199, off, s[0:3], 0 offset:312
	;; [unrolled: 1-line block ×5, first 2 shown]
	ds_read_b128 v[191:194], v190 offset:1024
	s_mov_b32 s4, exec_lo
	s_waitcnt vmcnt(62) lgkmcnt(2)
	v_mul_f64 v[195:196], v[7:8], v[137:138]
	v_mul_f64 v[137:138], v[5:6], v[137:138]
	s_waitcnt vmcnt(60) lgkmcnt(1)
	v_mul_f64 v[202:203], v[3:4], v[133:134]
	v_mul_f64 v[133:134], v[1:2], v[133:134]
	;; [unrolled: 3-line block ×3, first 2 shown]
	v_fma_f64 v[195:196], v[5:6], v[135:136], -v[195:196]
	v_fma_f64 v[135:136], v[7:8], v[135:136], v[137:138]
	s_clause 0x2
	buffer_load_dword v200, off, s[0:3], 0 offset:316
	buffer_load_dword v138, off, s[0:3], 0 offset:292
	;; [unrolled: 1-line block ×3, first 2 shown]
	s_waitcnt vmcnt(57)
	v_fma_f64 v[206:207], v[1:2], v[129:130], -v[202:203]
	ds_read_b128 v[5:8], v190 offset:1040
	v_fma_f64 v[129:130], v[3:4], v[129:130], v[133:134]
	s_waitcnt vmcnt(51)
	v_fma_f64 v[191:192], v[191:192], v[153:154], -v[131:132]
	v_fma_f64 v[153:154], v[193:194], v[153:154], v[204:205]
	v_add_f64 v[195:196], v[195:196], 0
	v_add_f64 v[133:134], v[135:136], 0
	s_clause 0x4
	buffer_load_dword v136, off, s[0:3], 0 offset:332
	buffer_load_dword v203, off, s[0:3], 0 offset:344
	;; [unrolled: 1-line block ×5, first 2 shown]
	s_waitcnt lgkmcnt(0)
	v_mul_f64 v[209:210], v[5:6], v[141:142]
	v_mul_f64 v[141:142], v[7:8], v[141:142]
	ds_read_b128 v[1:4], v190 offset:1056
	s_clause 0x2
	buffer_load_dword v204, off, s[0:3], 0 offset:348
	buffer_load_dword v194, off, s[0:3], 0 offset:324
	;; [unrolled: 1-line block ×3, first 2 shown]
	v_add_f64 v[195:196], v[195:196], v[206:207]
	v_add_f64 v[133:134], v[133:134], v[129:130]
	ds_read_b128 v[129:132], v190 offset:1072
	s_waitcnt vmcnt(58) lgkmcnt(1)
	v_mul_f64 v[205:206], v[1:2], v[145:146]
	v_mul_f64 v[145:146], v[3:4], v[145:146]
	s_waitcnt vmcnt(56)
	v_fma_f64 v[141:142], v[5:6], v[147:148], -v[141:142]
	v_fma_f64 v[147:148], v[7:8], v[147:148], v[209:210]
	s_waitcnt vmcnt(52) lgkmcnt(0)
	v_mul_f64 v[211:212], v[129:130], v[149:150]
	v_add_f64 v[191:192], v[195:196], v[191:192]
	v_add_f64 v[133:134], v[133:134], v[153:154]
	s_clause 0x4
	buffer_load_dword v154, off, s[0:3], 0 offset:364
	buffer_load_dword v195, off, s[0:3], 0 offset:376
	;; [unrolled: 1-line block ×5, first 2 shown]
	v_mul_f64 v[149:150], v[131:132], v[149:150]
	s_waitcnt vmcnt(56)
	v_fma_f64 v[145:146], v[1:2], v[139:140], -v[145:146]
	ds_read_b128 v[5:8], v190 offset:1088
	v_fma_f64 v[139:140], v[3:4], v[139:140], v[205:206]
	v_add_f64 v[141:142], v[191:192], v[141:142]
	v_add_f64 v[133:134], v[133:134], v[147:148]
	s_clause 0x2
	buffer_load_dword v196, off, s[0:3], 0 offset:380
	buffer_load_dword v148, off, s[0:3], 0 offset:356
	;; [unrolled: 1-line block ×3, first 2 shown]
	s_waitcnt vmcnt(58) lgkmcnt(0)
	v_mul_f64 v[191:192], v[5:6], v[155:156]
	v_mul_f64 v[155:156], v[7:8], v[155:156]
	s_waitcnt vmcnt(56)
	v_fma_f64 v[149:150], v[129:130], v[157:158], -v[149:150]
	ds_read_b128 v[1:4], v190 offset:1104
	v_add_f64 v[141:142], v[141:142], v[145:146]
	v_fma_f64 v[145:146], v[131:132], v[157:158], v[211:212]
	v_add_f64 v[133:134], v[133:134], v[139:140]
	s_clause 0x4
	buffer_load_dword v140, off, s[0:3], 0 offset:396
	buffer_load_dword v157, off, s[0:3], 0 offset:408
	buffer_load_dword v205, off, s[0:3], 0 offset:400
	buffer_load_dword v139, off, s[0:3], 0 offset:392
	buffer_load_dword v211, off, s[0:3], 0 offset:372
	s_waitcnt vmcnt(57) lgkmcnt(0)
	v_mul_f64 v[206:207], v[1:2], v[159:160]
	v_mul_f64 v[159:160], v[3:4], v[159:160]
	s_waitcnt vmcnt(56)
	v_fma_f64 v[155:156], v[5:6], v[143:144], -v[155:156]
	ds_read_b128 v[129:132], v190 offset:1120
	v_fma_f64 v[143:144], v[7:8], v[143:144], v[191:192]
	v_add_f64 v[141:142], v[141:142], v[149:150]
	v_add_f64 v[133:134], v[133:134], v[145:146]
	s_clause 0x2
	buffer_load_dword v158, off, s[0:3], 0 offset:412
	buffer_load_dword v146, off, s[0:3], 0 offset:388
	;; [unrolled: 1-line block ×3, first 2 shown]
	ds_read_b128 v[5:8], v190 offset:1136
	s_waitcnt vmcnt(58) lgkmcnt(1)
	v_mul_f64 v[149:150], v[129:130], v[163:164]
	v_mul_f64 v[163:164], v[131:132], v[163:164]
	s_waitcnt vmcnt(56)
	v_fma_f64 v[159:160], v[1:2], v[165:166], -v[159:160]
	v_add_f64 v[141:142], v[141:142], v[155:156]
	v_fma_f64 v[155:156], v[3:4], v[165:166], v[206:207]
	v_add_f64 v[133:134], v[133:134], v[143:144]
	s_clause 0x4
	buffer_load_dword v144, off, s[0:3], 0 offset:428
	buffer_load_dword v165, off, s[0:3], 0 offset:440
	;; [unrolled: 1-line block ×5, first 2 shown]
	s_waitcnt vmcnt(57) lgkmcnt(0)
	v_mul_f64 v[212:213], v[5:6], v[167:168]
	v_mul_f64 v[167:168], v[7:8], v[167:168]
	s_waitcnt vmcnt(56)
	v_fma_f64 v[163:164], v[129:130], v[151:152], -v[163:164]
	ds_read_b128 v[1:4], v190 offset:1152
	v_fma_f64 v[149:150], v[131:132], v[151:152], v[149:150]
	s_clause 0x2
	buffer_load_dword v166, off, s[0:3], 0 offset:444
	buffer_load_dword v152, off, s[0:3], 0 offset:420
	;; [unrolled: 1-line block ×3, first 2 shown]
	ds_read_b128 v[129:132], v190 offset:1168
	v_add_f64 v[141:142], v[141:142], v[159:160]
	v_add_f64 v[133:134], v[133:134], v[155:156]
	s_waitcnt vmcnt(58) lgkmcnt(1)
	v_mul_f64 v[159:160], v[3:4], v[171:172]
	s_waitcnt vmcnt(56)
	v_fma_f64 v[167:168], v[5:6], v[173:174], -v[167:168]
	v_mul_f64 v[155:156], v[1:2], v[171:172]
	v_add_f64 v[141:142], v[141:142], v[163:164]
	v_fma_f64 v[163:164], v[7:8], v[173:174], v[212:213]
	v_add_f64 v[133:134], v[133:134], v[149:150]
	s_clause 0x4
	buffer_load_dword v150, off, s[0:3], 0 offset:460
	buffer_load_dword v171, off, s[0:3], 0 offset:472
	;; [unrolled: 1-line block ×5, first 2 shown]
	s_waitcnt vmcnt(57) lgkmcnt(0)
	v_mul_f64 v[212:213], v[129:130], v[175:176]
	v_mul_f64 v[174:175], v[131:132], v[175:176]
	s_waitcnt vmcnt(56)
	v_fma_f64 v[159:160], v[1:2], v[161:162], -v[159:160]
	ds_read_b128 v[5:8], v190 offset:1184
	v_fma_f64 v[155:156], v[3:4], v[161:162], v[155:156]
	s_clause 0x2
	buffer_load_dword v172, off, s[0:3], 0 offset:476
	buffer_load_dword v162, off, s[0:3], 0 offset:452
	;; [unrolled: 1-line block ×3, first 2 shown]
	ds_read_b128 v[1:4], v190 offset:1200
	v_add_f64 v[141:142], v[141:142], v[167:168]
	v_add_f64 v[133:134], v[133:134], v[163:164]
	s_waitcnt vmcnt(58) lgkmcnt(1)
	v_mul_f64 v[167:168], v[7:8], v[179:180]
	s_waitcnt vmcnt(56)
	v_fma_f64 v[175:176], v[129:130], v[181:182], -v[174:175]
	v_mul_f64 v[163:164], v[5:6], v[179:180]
	v_add_f64 v[141:142], v[141:142], v[159:160]
	v_fma_f64 v[159:160], v[131:132], v[181:182], v[212:213]
	v_add_f64 v[133:134], v[133:134], v[155:156]
	s_clause 0x4
	buffer_load_dword v156, off, s[0:3], 0 offset:492
	buffer_load_dword v179, off, s[0:3], 0 offset:504
	;; [unrolled: 1-line block ×5, first 2 shown]
	s_waitcnt vmcnt(57) lgkmcnt(0)
	v_mul_f64 v[212:213], v[1:2], v[183:184]
	v_mul_f64 v[182:183], v[3:4], v[183:184]
	s_waitcnt vmcnt(56)
	v_fma_f64 v[167:168], v[5:6], v[169:170], -v[167:168]
	ds_read_b128 v[129:132], v190 offset:1216
	v_fma_f64 v[163:164], v[7:8], v[169:170], v[163:164]
	v_add_f64 v[141:142], v[141:142], v[175:176]
	v_add_f64 v[133:134], v[133:134], v[159:160]
	s_clause 0x2
	buffer_load_dword v180, off, s[0:3], 0 offset:508
	buffer_load_dword v160, off, s[0:3], 0 offset:484
	;; [unrolled: 1-line block ×3, first 2 shown]
	ds_read_b128 v[5:8], v190 offset:1232
	s_waitcnt vmcnt(58) lgkmcnt(1)
	v_mul_f64 v[175:176], v[131:132], v[185:186]
	s_waitcnt vmcnt(56)
	v_fma_f64 v[183:184], v[1:2], v[187:188], -v[182:183]
	v_mul_f64 v[169:170], v[129:130], v[185:186]
	v_add_f64 v[141:142], v[141:142], v[167:168]
	v_fma_f64 v[167:168], v[3:4], v[187:188], v[212:213]
	v_add_f64 v[133:134], v[133:134], v[163:164]
	s_clause 0x4
	buffer_load_dword v164, off, s[0:3], 0 offset:524
	buffer_load_dword v185, off, s[0:3], 0 offset:536
	;; [unrolled: 1-line block ×5, first 2 shown]
	s_waitcnt vmcnt(57) lgkmcnt(0)
	v_mul_f64 v[212:213], v[5:6], v[197:198]
	v_mul_f64 v[197:198], v[7:8], v[197:198]
	s_waitcnt vmcnt(56)
	v_fma_f64 v[175:176], v[129:130], v[177:178], -v[175:176]
	ds_read_b128 v[1:4], v190 offset:1248
	v_fma_f64 v[169:170], v[131:132], v[177:178], v[169:170]
	v_add_f64 v[141:142], v[141:142], v[183:184]
	v_add_f64 v[133:134], v[133:134], v[167:168]
	s_clause 0x2
	buffer_load_dword v186, off, s[0:3], 0 offset:540
	buffer_load_dword v168, off, s[0:3], 0 offset:516
	buffer_load_dword v167, off, s[0:3], 0 offset:512
	ds_read_b128 v[129:132], v190 offset:1264
	s_waitcnt vmcnt(58) lgkmcnt(1)
	v_mul_f64 v[183:184], v[3:4], v[199:200]
	v_mul_f64 v[177:178], v[1:2], v[199:200]
	s_waitcnt vmcnt(56)
	v_fma_f64 v[197:198], v[5:6], v[137:138], -v[197:198]
	v_fma_f64 v[137:138], v[7:8], v[137:138], v[212:213]
	v_add_f64 v[141:142], v[141:142], v[175:176]
	v_add_f64 v[133:134], v[133:134], v[169:170]
	s_clause 0x4
	buffer_load_dword v170, off, s[0:3], 0 offset:556
	buffer_load_dword v175, off, s[0:3], 0 offset:568
	buffer_load_dword v199, off, s[0:3], 0 offset:560
	buffer_load_dword v169, off, s[0:3], 0 offset:552
	buffer_load_dword v188, off, s[0:3], 0 offset:532
	ds_read_b128 v[5:8], v190 offset:1280
	s_waitcnt vmcnt(57) lgkmcnt(1)
	v_mul_f64 v[212:213], v[129:130], v[135:136]
	v_mul_f64 v[135:136], v[131:132], v[135:136]
	s_waitcnt vmcnt(56)
	v_fma_f64 v[183:184], v[1:2], v[201:202], -v[183:184]
	v_fma_f64 v[177:178], v[3:4], v[201:202], v[177:178]
	v_add_f64 v[141:142], v[141:142], v[197:198]
	v_add_f64 v[133:134], v[133:134], v[137:138]
	s_clause 0x2
	buffer_load_dword v176, off, s[0:3], 0 offset:572
	buffer_load_dword v138, off, s[0:3], 0 offset:548
	;; [unrolled: 1-line block ×3, first 2 shown]
	s_waitcnt vmcnt(58) lgkmcnt(0)
	v_mul_f64 v[201:202], v[7:8], v[203:204]
	ds_read_b128 v[1:4], v190 offset:1296
	v_mul_f64 v[197:198], v[5:6], v[203:204]
	s_waitcnt vmcnt(56)
	v_fma_f64 v[135:136], v[129:130], v[193:194], -v[135:136]
	v_add_f64 v[141:142], v[141:142], v[183:184]
	v_fma_f64 v[183:184], v[131:132], v[193:194], v[212:213]
	v_add_f64 v[133:134], v[133:134], v[177:178]
	s_clause 0x4
	buffer_load_dword v178, off, s[0:3], 0 offset:588
	buffer_load_dword v193, off, s[0:3], 0 offset:600
	;; [unrolled: 1-line block ×5, first 2 shown]
	ds_read_b128 v[129:132], v190 offset:1312
	s_waitcnt vmcnt(57) lgkmcnt(1)
	v_mul_f64 v[212:213], v[1:2], v[153:154]
	v_mul_f64 v[153:154], v[3:4], v[153:154]
	s_waitcnt vmcnt(56)
	v_fma_f64 v[201:202], v[5:6], v[208:209], -v[201:202]
	v_add_f64 v[135:136], v[141:142], v[135:136]
	v_fma_f64 v[141:142], v[7:8], v[208:209], v[197:198]
	v_add_f64 v[133:134], v[133:134], v[183:184]
	s_clause 0x2
	buffer_load_dword v194, off, s[0:3], 0 offset:604
	buffer_load_dword v184, off, s[0:3], 0 offset:580
	;; [unrolled: 1-line block ×3, first 2 shown]
	ds_read_b128 v[5:8], v190 offset:1328
	s_waitcnt vmcnt(58) lgkmcnt(1)
	v_mul_f64 v[197:198], v[129:130], v[195:196]
	v_mul_f64 v[195:196], v[131:132], v[195:196]
	s_waitcnt vmcnt(56)
	v_fma_f64 v[153:154], v[1:2], v[147:148], -v[153:154]
	v_fma_f64 v[147:148], v[3:4], v[147:148], v[212:213]
	v_add_f64 v[135:136], v[135:136], v[201:202]
	v_add_f64 v[133:134], v[133:134], v[141:142]
	s_clause 0x4
	buffer_load_dword v142, off, s[0:3], 0 offset:620
	buffer_load_dword v201, off, s[0:3], 0 offset:632
	;; [unrolled: 1-line block ×5, first 2 shown]
	ds_read_b128 v[1:4], v190 offset:1344
	s_waitcnt vmcnt(57) lgkmcnt(1)
	v_mul_f64 v[208:209], v[5:6], v[139:140]
	v_mul_f64 v[139:140], v[7:8], v[139:140]
	s_waitcnt vmcnt(56)
	v_fma_f64 v[195:196], v[129:130], v[210:211], -v[195:196]
	v_add_f64 v[135:136], v[135:136], v[153:154]
	v_fma_f64 v[153:154], v[131:132], v[210:211], v[197:198]
	v_add_f64 v[133:134], v[133:134], v[147:148]
	s_clause 0x2
	buffer_load_dword v202, off, s[0:3], 0 offset:636
	buffer_load_dword v148, off, s[0:3], 0 offset:612
	;; [unrolled: 1-line block ×3, first 2 shown]
	ds_read_b128 v[129:132], v190 offset:1360
	s_waitcnt vmcnt(58) lgkmcnt(1)
	v_mul_f64 v[197:198], v[1:2], v[157:158]
	v_mul_f64 v[157:158], v[3:4], v[157:158]
	s_waitcnt vmcnt(56)
	v_fma_f64 v[139:140], v[5:6], v[145:146], -v[139:140]
	v_fma_f64 v[145:146], v[7:8], v[145:146], v[208:209]
	v_add_f64 v[135:136], v[135:136], v[195:196]
	v_add_f64 v[133:134], v[133:134], v[153:154]
	s_clause 0x4
	buffer_load_dword v154, off, s[0:3], 0 offset:652
	buffer_load_dword v195, off, s[0:3], 0 offset:664
	;; [unrolled: 1-line block ×5, first 2 shown]
	ds_read_b128 v[5:8], v190 offset:1376
	s_waitcnt vmcnt(57) lgkmcnt(1)
	v_mul_f64 v[210:211], v[129:130], v[143:144]
	v_mul_f64 v[143:144], v[131:132], v[143:144]
	s_waitcnt vmcnt(56)
	v_fma_f64 v[157:158], v[1:2], v[205:206], -v[157:158]
	v_add_f64 v[135:136], v[135:136], v[139:140]
	v_fma_f64 v[139:140], v[3:4], v[205:206], v[197:198]
	v_add_f64 v[133:134], v[133:134], v[145:146]
	s_clause 0x2
	buffer_load_dword v196, off, s[0:3], 0 offset:668
	buffer_load_dword v146, off, s[0:3], 0 offset:644
	buffer_load_dword v145, off, s[0:3], 0 offset:640
	s_waitcnt vmcnt(58) lgkmcnt(0)
	v_mul_f64 v[197:198], v[5:6], v[165:166]
	v_mul_f64 v[165:166], v[7:8], v[165:166]
	ds_read_b128 v[1:4], v190 offset:1392
	s_waitcnt vmcnt(56)
	v_fma_f64 v[143:144], v[129:130], v[151:152], -v[143:144]
	v_fma_f64 v[151:152], v[131:132], v[151:152], v[210:211]
	v_add_f64 v[135:136], v[135:136], v[157:158]
	v_add_f64 v[133:134], v[133:134], v[139:140]
	s_clause 0x4
	buffer_load_dword v140, off, s[0:3], 0 offset:684
	buffer_load_dword v157, off, s[0:3], 0 offset:696
	;; [unrolled: 1-line block ×5, first 2 shown]
	ds_read_b128 v[129:132], v190 offset:1408
	s_waitcnt vmcnt(57) lgkmcnt(1)
	v_mul_f64 v[211:212], v[1:2], v[149:150]
	v_mul_f64 v[149:150], v[3:4], v[149:150]
	s_waitcnt vmcnt(56)
	v_fma_f64 v[165:166], v[5:6], v[191:192], -v[165:166]
	v_add_f64 v[135:136], v[135:136], v[143:144]
	v_fma_f64 v[143:144], v[7:8], v[191:192], v[197:198]
	v_add_f64 v[133:134], v[133:134], v[151:152]
	s_clause 0x2
	buffer_load_dword v158, off, s[0:3], 0 offset:700
	buffer_load_dword v152, off, s[0:3], 0 offset:676
	buffer_load_dword v151, off, s[0:3], 0 offset:672
	s_waitcnt vmcnt(58) lgkmcnt(0)
	v_mul_f64 v[191:192], v[129:130], v[171:172]
	v_mul_f64 v[171:172], v[131:132], v[171:172]
	ds_read_b128 v[5:8], v190 offset:1424
	s_waitcnt vmcnt(56)
	v_fma_f64 v[149:150], v[1:2], v[161:162], -v[149:150]
	v_fma_f64 v[161:162], v[3:4], v[161:162], v[211:212]
	v_add_f64 v[135:136], v[135:136], v[165:166]
	v_add_f64 v[133:134], v[133:134], v[143:144]
	s_clause 0x4
	buffer_load_dword v144, off, s[0:3], 0 offset:716
	buffer_load_dword v165, off, s[0:3], 0 offset:728
	buffer_load_dword v197, off, s[0:3], 0 offset:720
	buffer_load_dword v143, off, s[0:3], 0 offset:712
	buffer_load_dword v206, off, s[0:3], 0 offset:692
	ds_read_b128 v[1:4], v190 offset:1440
	s_waitcnt vmcnt(57) lgkmcnt(1)
	v_mul_f64 v[211:212], v[5:6], v[155:156]
	v_mul_f64 v[155:156], v[7:8], v[155:156]
	s_waitcnt vmcnt(56)
	v_fma_f64 v[171:172], v[129:130], v[173:174], -v[171:172]
	v_add_f64 v[135:136], v[135:136], v[149:150]
	v_fma_f64 v[149:150], v[131:132], v[173:174], v[191:192]
	v_add_f64 v[133:134], v[133:134], v[161:162]
	s_clause 0x2
	buffer_load_dword v166, off, s[0:3], 0 offset:732
	buffer_load_dword v162, off, s[0:3], 0 offset:708
	buffer_load_dword v161, off, s[0:3], 0 offset:704
	ds_read_b128 v[129:132], v190 offset:1456
	s_waitcnt vmcnt(58) lgkmcnt(1)
	v_mul_f64 v[173:174], v[1:2], v[179:180]
	v_mul_f64 v[179:180], v[3:4], v[179:180]
	s_waitcnt vmcnt(56)
	v_fma_f64 v[155:156], v[5:6], v[159:160], -v[155:156]
	v_fma_f64 v[159:160], v[7:8], v[159:160], v[211:212]
	v_add_f64 v[135:136], v[135:136], v[171:172]
	v_add_f64 v[133:134], v[133:134], v[149:150]
	s_clause 0x4
	buffer_load_dword v150, off, s[0:3], 0 offset:748
	buffer_load_dword v171, off, s[0:3], 0 offset:760
	buffer_load_dword v191, off, s[0:3], 0 offset:752
	buffer_load_dword v149, off, s[0:3], 0 offset:744
	buffer_load_dword v198, off, s[0:3], 0 offset:724
	ds_read_b128 v[5:8], v190 offset:1472
	s_waitcnt vmcnt(57) lgkmcnt(1)
	v_mul_f64 v[211:212], v[129:130], v[163:164]
	v_mul_f64 v[163:164], v[131:132], v[163:164]
	s_waitcnt vmcnt(56)
	v_fma_f64 v[179:180], v[1:2], v[181:182], -v[179:180]
	v_add_f64 v[135:136], v[135:136], v[155:156]
	v_fma_f64 v[155:156], v[3:4], v[181:182], v[173:174]
	v_add_f64 v[133:134], v[133:134], v[159:160]
	s_clause 0x2
	buffer_load_dword v172, off, s[0:3], 0 offset:764
	buffer_load_dword v160, off, s[0:3], 0 offset:740
	buffer_load_dword v159, off, s[0:3], 0 offset:736
	ds_read_b128 v[1:4], v190 offset:1488
	s_waitcnt vmcnt(58) lgkmcnt(1)
	v_mul_f64 v[181:182], v[7:8], v[185:186]
	v_mul_f64 v[173:174], v[5:6], v[185:186]
	;; [unrolled: 28-line block ×4, first 2 shown]
	s_waitcnt vmcnt(56)
	v_fma_f64 v[177:178], v[5:6], v[183:184], -v[177:178]
	v_add_f64 v[135:136], v[135:136], v[175:176]
	v_fma_f64 v[175:176], v[7:8], v[183:184], v[211:212]
	v_add_f64 v[133:134], v[133:134], v[169:170]
	s_clause 0x4
	buffer_load_dword v170, off, s[0:3], 0 offset:844
	buffer_load_dword v183, off, s[0:3], 0 offset:856
	;; [unrolled: 1-line block ×5, first 2 shown]
	ds_read_b128 v[5:8], v190 offset:1568
	s_waitcnt vmcnt(57) lgkmcnt(1)
	v_mul_f64 v[211:212], v[129:130], v[141:142]
	v_mul_f64 v[141:142], v[131:132], v[141:142]
	s_waitcnt vmcnt(56)
	v_fma_f64 v[193:194], v[1:2], v[203:204], -v[193:194]
	v_fma_f64 v[173:174], v[3:4], v[203:204], v[173:174]
	v_add_f64 v[135:136], v[135:136], v[177:178]
	v_add_f64 v[133:134], v[133:134], v[175:176]
	s_clause 0x2
	buffer_load_dword v184, off, s[0:3], 0 offset:860
	buffer_load_dword v176, off, s[0:3], 0 offset:836
	buffer_load_dword v175, off, s[0:3], 0 offset:832
	ds_read_b128 v[1:4], v190 offset:1584
	s_waitcnt vmcnt(58) lgkmcnt(1)
	v_mul_f64 v[177:178], v[5:6], v[201:202]
	v_mul_f64 v[201:202], v[7:8], v[201:202]
	s_waitcnt vmcnt(56)
	v_fma_f64 v[141:142], v[129:130], v[147:148], -v[141:142]
	v_fma_f64 v[147:148], v[131:132], v[147:148], v[211:212]
	v_add_f64 v[135:136], v[135:136], v[193:194]
	v_add_f64 v[133:134], v[133:134], v[173:174]
	s_clause 0x4
	buffer_load_dword v174, off, s[0:3], 0 offset:876
	buffer_load_dword v193, off, s[0:3], 0 offset:888
	buffer_load_dword v203, off, s[0:3], 0 offset:880
	buffer_load_dword v173, off, s[0:3], 0 offset:872
	buffer_load_dword v200, off, s[0:3], 0 offset:852
	ds_read_b128 v[129:132], v190 offset:1600
	s_waitcnt vmcnt(57) lgkmcnt(1)
	v_mul_f64 v[211:212], v[1:2], v[153:154]
	v_mul_f64 v[153:154], v[3:4], v[153:154]
	s_waitcnt vmcnt(56)
	v_fma_f64 v[201:202], v[5:6], v[207:208], -v[201:202]
	v_add_f64 v[135:136], v[135:136], v[141:142]
	v_fma_f64 v[141:142], v[7:8], v[207:208], v[177:178]
	v_add_f64 v[133:134], v[133:134], v[147:148]
	s_clause 0x2
	buffer_load_dword v194, off, s[0:3], 0 offset:892
	buffer_load_dword v148, off, s[0:3], 0 offset:868
	buffer_load_dword v147, off, s[0:3], 0 offset:864
	ds_read_b128 v[5:8], v190 offset:1616
	s_waitcnt vmcnt(58) lgkmcnt(1)
	v_mul_f64 v[177:178], v[129:130], v[195:196]
	v_mul_f64 v[195:196], v[131:132], v[195:196]
	s_waitcnt vmcnt(56)
	v_fma_f64 v[153:154], v[1:2], v[145:146], -v[153:154]
	v_fma_f64 v[145:146], v[3:4], v[145:146], v[211:212]
	v_add_f64 v[135:136], v[135:136], v[201:202]
	v_add_f64 v[133:134], v[133:134], v[141:142]
	s_clause 0x4
	buffer_load_dword v142, off, s[0:3], 0 offset:908
	buffer_load_dword v201, off, s[0:3], 0 offset:920
	buffer_load_dword v207, off, s[0:3], 0 offset:912
	buffer_load_dword v141, off, s[0:3], 0 offset:904
	buffer_load_dword v204, off, s[0:3], 0 offset:884
	ds_read_b128 v[1:4], v190 offset:1632
	s_waitcnt vmcnt(57) lgkmcnt(1)
	v_mul_f64 v[211:212], v[5:6], v[139:140]
	v_mul_f64 v[139:140], v[7:8], v[139:140]
	s_waitcnt vmcnt(56)
	v_fma_f64 v[195:196], v[129:130], v[209:210], -v[195:196]
	v_add_f64 v[135:136], v[135:136], v[153:154]
	v_fma_f64 v[153:154], v[131:132], v[209:210], v[177:178]
	;; [unrolled: 28-line block ×3, first 2 shown]
	v_add_f64 v[133:134], v[133:134], v[151:152]
	s_clause 0x2
	buffer_load_dword v196, off, s[0:3], 0 offset:956
	buffer_load_dword v152, off, s[0:3], 0 offset:932
	;; [unrolled: 1-line block ×3, first 2 shown]
	ds_read_b128 v[1:4], v190 offset:1680
	s_waitcnt vmcnt(58) lgkmcnt(1)
	v_mul_f64 v[177:178], v[5:6], v[165:166]
	v_mul_f64 v[165:166], v[7:8], v[165:166]
	s_waitcnt vmcnt(56)
	v_fma_f64 v[143:144], v[129:130], v[161:162], -v[143:144]
	v_add_f64 v[135:136], v[135:136], v[157:158]
	v_fma_f64 v[157:158], v[131:132], v[161:162], v[210:211]
	v_add_f64 v[133:134], v[133:134], v[139:140]
	s_clause 0x2
	buffer_load_dword v140, off, s[0:3], 0 offset:972
	buffer_load_dword v139, off, s[0:3], 0 offset:968
	;; [unrolled: 1-line block ×3, first 2 shown]
	ds_read_b128 v[129:132], v190 offset:1696
	s_waitcnt vmcnt(55) lgkmcnt(1)
	v_mul_f64 v[161:162], v[1:2], v[149:150]
	v_mul_f64 v[149:150], v[3:4], v[149:150]
	s_waitcnt vmcnt(54)
	v_fma_f64 v[165:166], v[5:6], v[197:198], -v[165:166]
	v_add_f64 v[135:136], v[135:136], v[143:144]
	v_fma_f64 v[143:144], v[7:8], v[197:198], v[177:178]
	v_add_f64 v[133:134], v[133:134], v[157:158]
	s_clause 0x1
	buffer_load_dword v158, off, s[0:3], 0 offset:964
	buffer_load_dword v157, off, s[0:3], 0 offset:960
	ds_read_b128 v[5:8], v190 offset:1712
	s_waitcnt vmcnt(55) lgkmcnt(1)
	v_mul_f64 v[177:178], v[129:130], v[171:172]
	v_mul_f64 v[171:172], v[131:132], v[171:172]
	s_waitcnt vmcnt(53)
	v_fma_f64 v[149:150], v[1:2], v[159:160], -v[149:150]
	v_fma_f64 v[159:160], v[3:4], v[159:160], v[161:162]
	ds_read_b128 v[1:4], v190 offset:1728
	v_add_f64 v[135:136], v[135:136], v[165:166]
	v_add_f64 v[133:134], v[133:134], v[143:144]
	s_waitcnt vmcnt(49) lgkmcnt(1)
	v_mul_f64 v[143:144], v[5:6], v[155:156]
	v_mul_f64 v[155:156], v[7:8], v[155:156]
	s_waitcnt vmcnt(48)
	v_fma_f64 v[161:162], v[129:130], v[191:192], -v[171:172]
	v_add_f64 v[135:136], v[135:136], v[149:150]
	v_fma_f64 v[149:150], v[131:132], v[191:192], v[177:178]
	v_add_f64 v[133:134], v[133:134], v[159:160]
	s_clause 0x3
	buffer_load_dword v159, off, s[0:3], 0 offset:32
	buffer_load_dword v160, off, s[0:3], 0 offset:36
	;; [unrolled: 1-line block ×4, first 2 shown]
	ds_read_b128 v[129:132], v190 offset:1744
	s_waitcnt vmcnt(51) lgkmcnt(1)
	v_mul_f64 v[177:178], v[3:4], v[179:180]
	v_mul_f64 v[171:172], v[1:2], v[179:180]
	s_waitcnt vmcnt(49)
	v_fma_f64 v[155:156], v[5:6], v[167:168], -v[155:156]
	v_fma_f64 v[143:144], v[7:8], v[167:168], v[143:144]
	ds_read_b128 v[5:8], v190 offset:1760
	v_add_f64 v[135:136], v[135:136], v[161:162]
	v_add_f64 v[133:134], v[133:134], v[149:150]
	s_waitcnt vmcnt(45) lgkmcnt(1)
	v_mul_f64 v[149:150], v[129:130], v[163:164]
	v_mul_f64 v[161:162], v[131:132], v[163:164]
	s_waitcnt vmcnt(44)
	v_fma_f64 v[163:164], v[1:2], v[185:186], -v[177:178]
	v_add_f64 v[135:136], v[135:136], v[155:156]
	v_fma_f64 v[155:156], v[3:4], v[185:186], v[171:172]
	v_add_f64 v[133:134], v[133:134], v[143:144]
	ds_read_b128 v[1:4], v190 offset:1776
	s_waitcnt vmcnt(43) lgkmcnt(1)
	v_mul_f64 v[167:168], v[7:8], v[181:182]
	v_mul_f64 v[143:144], v[5:6], v[181:182]
	s_waitcnt vmcnt(41)
	v_fma_f64 v[161:162], v[129:130], v[137:138], -v[161:162]
	v_fma_f64 v[137:138], v[131:132], v[137:138], v[149:150]
	ds_read_b128 v[129:132], v190 offset:1792
	v_add_f64 v[135:136], v[135:136], v[163:164]
	v_add_f64 v[133:134], v[133:134], v[155:156]
	s_waitcnt vmcnt(37) lgkmcnt(1)
	v_mul_f64 v[155:156], v[3:4], v[169:170]
	s_waitcnt vmcnt(36)
	v_fma_f64 v[163:164], v[5:6], v[187:188], -v[167:168]
	v_mul_f64 v[149:150], v[1:2], v[169:170]
	v_fma_f64 v[143:144], v[7:8], v[187:188], v[143:144]
	ds_read_b128 v[5:8], v190 offset:1808
	v_add_f64 v[135:136], v[135:136], v[161:162]
	v_add_f64 v[133:134], v[133:134], v[137:138]
	s_waitcnt vmcnt(35) lgkmcnt(1)
	v_mul_f64 v[161:162], v[131:132], v[183:184]
	v_mul_f64 v[137:138], v[129:130], v[183:184]
	s_waitcnt vmcnt(33)
	v_fma_f64 v[155:156], v[1:2], v[175:176], -v[155:156]
	v_fma_f64 v[149:150], v[3:4], v[175:176], v[149:150]
	ds_read_b128 v[1:4], v190 offset:1824
	v_add_f64 v[135:136], v[135:136], v[163:164]
	v_add_f64 v[133:134], v[133:134], v[143:144]
	s_waitcnt vmcnt(29) lgkmcnt(1)
	v_mul_f64 v[163:164], v[7:8], v[173:174]
	s_waitcnt vmcnt(28)
	v_fma_f64 v[161:162], v[129:130], v[199:200], -v[161:162]
	v_mul_f64 v[143:144], v[5:6], v[173:174]
	v_fma_f64 v[137:138], v[131:132], v[199:200], v[137:138]
	ds_read_b128 v[129:132], v190 offset:1840
	v_add_f64 v[135:136], v[135:136], v[155:156]
	v_add_f64 v[133:134], v[133:134], v[149:150]
	s_waitcnt vmcnt(27) lgkmcnt(1)
	v_mul_f64 v[155:156], v[3:4], v[193:194]
	v_mul_f64 v[149:150], v[1:2], v[193:194]
	s_waitcnt vmcnt(25)
	v_fma_f64 v[163:164], v[5:6], v[147:148], -v[163:164]
	v_fma_f64 v[143:144], v[7:8], v[147:148], v[143:144]
	ds_read_b128 v[5:8], v190 offset:1856
	v_add_f64 v[135:136], v[135:136], v[161:162]
	v_add_f64 v[133:134], v[133:134], v[137:138]
	s_waitcnt vmcnt(21) lgkmcnt(1)
	v_mul_f64 v[137:138], v[129:130], v[141:142]
	v_mul_f64 v[141:142], v[131:132], v[141:142]
	s_waitcnt vmcnt(20)
	v_fma_f64 v[147:148], v[1:2], v[203:204], -v[155:156]
	;; [unrolled: 9-line block ×3, first 2 shown]
	v_fma_f64 v[137:138], v[131:132], v[145:146], v[137:138]
	ds_read_b128 v[129:132], v190 offset:1888
	v_add_f64 v[135:136], v[135:136], v[147:148]
	v_add_f64 v[133:134], v[133:134], v[149:150]
	s_waitcnt vmcnt(13) lgkmcnt(1)
	v_mul_f64 v[147:148], v[3:4], v[153:154]
	s_waitcnt vmcnt(12)
	v_fma_f64 v[149:150], v[5:6], v[207:208], -v[155:156]
	v_mul_f64 v[145:146], v[1:2], v[153:154]
	v_add_f64 v[135:136], v[135:136], v[141:142]
	v_fma_f64 v[141:142], v[7:8], v[207:208], v[143:144]
	v_add_f64 v[133:134], v[133:134], v[137:138]
	ds_read_b128 v[5:8], v190 offset:1904
	s_waitcnt vmcnt(11) lgkmcnt(1)
	v_mul_f64 v[143:144], v[131:132], v[195:196]
	v_mul_f64 v[137:138], v[129:130], v[195:196]
	s_waitcnt vmcnt(9)
	v_fma_f64 v[1:2], v[1:2], v[151:152], -v[147:148]
	v_fma_f64 v[3:4], v[3:4], v[151:152], v[145:146]
	v_add_f64 v[135:136], v[135:136], v[149:150]
	v_add_f64 v[133:134], v[133:134], v[141:142]
	s_waitcnt vmcnt(7) lgkmcnt(0)
	v_mul_f64 v[141:142], v[5:6], v[139:140]
	v_mul_f64 v[139:140], v[7:8], v[139:140]
	s_waitcnt vmcnt(6)
	v_fma_f64 v[129:130], v[129:130], v[209:210], -v[143:144]
	v_fma_f64 v[131:132], v[131:132], v[209:210], v[137:138]
	v_add_f64 v[1:2], v[135:136], v[1:2]
	v_add_f64 v[3:4], v[133:134], v[3:4]
	s_waitcnt vmcnt(4)
	v_fma_f64 v[5:6], v[5:6], v[157:158], -v[139:140]
	v_fma_f64 v[7:8], v[7:8], v[157:158], v[141:142]
	v_add_f64 v[1:2], v[1:2], v[129:130]
	v_add_f64 v[3:4], v[3:4], v[131:132]
	;; [unrolled: 1-line block ×4, first 2 shown]
	s_waitcnt vmcnt(2)
	v_add_f64 v[1:2], v[159:160], -v[1:2]
	s_waitcnt vmcnt(0)
	v_add_f64 v[3:4], v[165:166], -v[3:4]
	buffer_store_dword v2, off, s[0:3], 0 offset:36
	buffer_store_dword v1, off, s[0:3], 0 offset:32
	;; [unrolled: 1-line block ×4, first 2 shown]
	v_cmpx_ne_u32_e32 0, v0
	s_cbranch_execz .LBB123_373
; %bb.372:
	s_clause 0x3
	buffer_load_dword v0, off, s[0:3], 0 offset:16
	buffer_load_dword v1, off, s[0:3], 0 offset:20
	buffer_load_dword v2, off, s[0:3], 0 offset:24
	buffer_load_dword v3, off, s[0:3], 0 offset:28
	v_mov_b32_e32 v4, 0
	buffer_store_dword v4, off, s[0:3], 0 offset:16
	buffer_store_dword v4, off, s[0:3], 0 offset:20
	;; [unrolled: 1-line block ×4, first 2 shown]
	s_waitcnt vmcnt(0)
	ds_write_b128 v189, v[0:3]
.LBB123_373:
	s_or_b32 exec_lo, exec_lo, s4
	s_waitcnt lgkmcnt(0)
	s_waitcnt_vscnt null, 0x0
	s_barrier
	buffer_gl0_inv
	s_clause 0x37
	buffer_load_dword v137, off, s[0:3], 0 offset:40
	buffer_load_dword v138, off, s[0:3], 0 offset:44
	;; [unrolled: 1-line block ×56, first 2 shown]
	v_mov_b32_e32 v8, 0
	s_and_b32 vcc_lo, exec_lo, s72
	ds_read_b128 v[4:7], v8 offset:976
	s_clause 0x2
	buffer_load_dword v186, off, s[0:3], 0 offset:268
	buffer_load_dword v188, off, s[0:3], 0 offset:244
	;; [unrolled: 1-line block ×3, first 2 shown]
	ds_read_b128 v[0:3], v8 offset:992
	s_clause 0x4
	buffer_load_dword v196, off, s[0:3], 0 offset:284
	buffer_load_dword v197, off, s[0:3], 0 offset:296
	;; [unrolled: 1-line block ×5, first 2 shown]
	ds_read_b128 v[189:192], v8 offset:1008
	s_waitcnt vmcnt(62) lgkmcnt(2)
	v_mul_f64 v[193:194], v[6:7], v[137:138]
	v_mul_f64 v[137:138], v[4:5], v[137:138]
	s_waitcnt vmcnt(60) lgkmcnt(1)
	v_mul_f64 v[200:201], v[2:3], v[133:134]
	v_mul_f64 v[133:134], v[0:1], v[133:134]
	;; [unrolled: 3-line block ×3, first 2 shown]
	v_fma_f64 v[193:194], v[4:5], v[135:136], -v[193:194]
	v_fma_f64 v[135:136], v[6:7], v[135:136], v[137:138]
	s_clause 0x2
	buffer_load_dword v198, off, s[0:3], 0 offset:300
	buffer_load_dword v138, off, s[0:3], 0 offset:276
	;; [unrolled: 1-line block ×3, first 2 shown]
	s_waitcnt vmcnt(57)
	v_fma_f64 v[204:205], v[0:1], v[129:130], -v[200:201]
	ds_read_b128 v[4:7], v8 offset:1024
	v_fma_f64 v[129:130], v[2:3], v[129:130], v[133:134]
	s_waitcnt vmcnt(51)
	v_fma_f64 v[189:190], v[189:190], v[153:154], -v[131:132]
	v_fma_f64 v[153:154], v[191:192], v[153:154], v[202:203]
	v_add_f64 v[193:194], v[193:194], 0
	v_add_f64 v[133:134], v[135:136], 0
	s_clause 0x4
	buffer_load_dword v136, off, s[0:3], 0 offset:316
	buffer_load_dword v201, off, s[0:3], 0 offset:328
	;; [unrolled: 1-line block ×5, first 2 shown]
	s_waitcnt lgkmcnt(0)
	v_mul_f64 v[207:208], v[4:5], v[141:142]
	v_mul_f64 v[141:142], v[6:7], v[141:142]
	ds_read_b128 v[0:3], v8 offset:1040
	s_clause 0x2
	buffer_load_dword v202, off, s[0:3], 0 offset:332
	buffer_load_dword v192, off, s[0:3], 0 offset:308
	;; [unrolled: 1-line block ×3, first 2 shown]
	v_add_f64 v[193:194], v[193:194], v[204:205]
	v_add_f64 v[133:134], v[133:134], v[129:130]
	ds_read_b128 v[129:132], v8 offset:1056
	s_waitcnt vmcnt(58) lgkmcnt(1)
	v_mul_f64 v[203:204], v[0:1], v[145:146]
	v_mul_f64 v[145:146], v[2:3], v[145:146]
	s_waitcnt vmcnt(56)
	v_fma_f64 v[141:142], v[4:5], v[147:148], -v[141:142]
	v_fma_f64 v[147:148], v[6:7], v[147:148], v[207:208]
	s_waitcnt vmcnt(52) lgkmcnt(0)
	v_mul_f64 v[209:210], v[129:130], v[149:150]
	v_add_f64 v[189:190], v[193:194], v[189:190]
	v_add_f64 v[133:134], v[133:134], v[153:154]
	s_clause 0x4
	buffer_load_dword v154, off, s[0:3], 0 offset:348
	buffer_load_dword v193, off, s[0:3], 0 offset:360
	;; [unrolled: 1-line block ×5, first 2 shown]
	v_mul_f64 v[149:150], v[131:132], v[149:150]
	s_waitcnt vmcnt(56)
	v_fma_f64 v[145:146], v[0:1], v[139:140], -v[145:146]
	ds_read_b128 v[4:7], v8 offset:1072
	v_fma_f64 v[139:140], v[2:3], v[139:140], v[203:204]
	v_add_f64 v[141:142], v[189:190], v[141:142]
	v_add_f64 v[133:134], v[133:134], v[147:148]
	s_clause 0x2
	buffer_load_dword v194, off, s[0:3], 0 offset:364
	buffer_load_dword v148, off, s[0:3], 0 offset:340
	buffer_load_dword v147, off, s[0:3], 0 offset:336
	s_waitcnt vmcnt(58) lgkmcnt(0)
	v_mul_f64 v[189:190], v[4:5], v[155:156]
	v_mul_f64 v[155:156], v[6:7], v[155:156]
	s_waitcnt vmcnt(56)
	v_fma_f64 v[149:150], v[129:130], v[157:158], -v[149:150]
	ds_read_b128 v[0:3], v8 offset:1088
	v_add_f64 v[141:142], v[141:142], v[145:146]
	v_fma_f64 v[145:146], v[131:132], v[157:158], v[209:210]
	v_add_f64 v[133:134], v[133:134], v[139:140]
	s_clause 0x4
	buffer_load_dword v140, off, s[0:3], 0 offset:380
	buffer_load_dword v157, off, s[0:3], 0 offset:392
	;; [unrolled: 1-line block ×5, first 2 shown]
	s_waitcnt vmcnt(57) lgkmcnt(0)
	v_mul_f64 v[204:205], v[0:1], v[159:160]
	v_mul_f64 v[159:160], v[2:3], v[159:160]
	s_waitcnt vmcnt(56)
	v_fma_f64 v[155:156], v[4:5], v[143:144], -v[155:156]
	ds_read_b128 v[129:132], v8 offset:1104
	v_fma_f64 v[143:144], v[6:7], v[143:144], v[189:190]
	v_add_f64 v[141:142], v[141:142], v[149:150]
	v_add_f64 v[133:134], v[133:134], v[145:146]
	s_clause 0x2
	buffer_load_dword v158, off, s[0:3], 0 offset:396
	buffer_load_dword v146, off, s[0:3], 0 offset:372
	;; [unrolled: 1-line block ×3, first 2 shown]
	ds_read_b128 v[4:7], v8 offset:1120
	s_waitcnt vmcnt(58) lgkmcnt(1)
	v_mul_f64 v[149:150], v[129:130], v[163:164]
	v_mul_f64 v[163:164], v[131:132], v[163:164]
	s_waitcnt vmcnt(56)
	v_fma_f64 v[159:160], v[0:1], v[165:166], -v[159:160]
	v_add_f64 v[141:142], v[141:142], v[155:156]
	v_fma_f64 v[155:156], v[2:3], v[165:166], v[204:205]
	v_add_f64 v[133:134], v[133:134], v[143:144]
	s_clause 0x4
	buffer_load_dword v144, off, s[0:3], 0 offset:412
	buffer_load_dword v165, off, s[0:3], 0 offset:424
	;; [unrolled: 1-line block ×5, first 2 shown]
	s_waitcnt vmcnt(57) lgkmcnt(0)
	v_mul_f64 v[210:211], v[4:5], v[167:168]
	v_mul_f64 v[167:168], v[6:7], v[167:168]
	s_waitcnt vmcnt(56)
	v_fma_f64 v[163:164], v[129:130], v[151:152], -v[163:164]
	ds_read_b128 v[0:3], v8 offset:1136
	v_fma_f64 v[149:150], v[131:132], v[151:152], v[149:150]
	s_clause 0x2
	buffer_load_dword v166, off, s[0:3], 0 offset:428
	buffer_load_dword v152, off, s[0:3], 0 offset:404
	;; [unrolled: 1-line block ×3, first 2 shown]
	ds_read_b128 v[129:132], v8 offset:1152
	v_add_f64 v[141:142], v[141:142], v[159:160]
	v_add_f64 v[133:134], v[133:134], v[155:156]
	s_waitcnt vmcnt(58) lgkmcnt(1)
	v_mul_f64 v[159:160], v[2:3], v[171:172]
	s_waitcnt vmcnt(56)
	v_fma_f64 v[167:168], v[4:5], v[173:174], -v[167:168]
	v_mul_f64 v[155:156], v[0:1], v[171:172]
	v_add_f64 v[141:142], v[141:142], v[163:164]
	v_fma_f64 v[163:164], v[6:7], v[173:174], v[210:211]
	v_add_f64 v[133:134], v[133:134], v[149:150]
	s_clause 0x4
	buffer_load_dword v150, off, s[0:3], 0 offset:444
	buffer_load_dword v171, off, s[0:3], 0 offset:456
	;; [unrolled: 1-line block ×5, first 2 shown]
	s_waitcnt vmcnt(57) lgkmcnt(0)
	v_mul_f64 v[210:211], v[129:130], v[175:176]
	v_mul_f64 v[174:175], v[131:132], v[175:176]
	s_waitcnt vmcnt(56)
	v_fma_f64 v[159:160], v[0:1], v[161:162], -v[159:160]
	ds_read_b128 v[4:7], v8 offset:1168
	v_fma_f64 v[155:156], v[2:3], v[161:162], v[155:156]
	s_clause 0x2
	buffer_load_dword v172, off, s[0:3], 0 offset:460
	buffer_load_dword v162, off, s[0:3], 0 offset:436
	;; [unrolled: 1-line block ×3, first 2 shown]
	ds_read_b128 v[0:3], v8 offset:1184
	v_add_f64 v[141:142], v[141:142], v[167:168]
	v_add_f64 v[133:134], v[133:134], v[163:164]
	s_waitcnt vmcnt(58) lgkmcnt(1)
	v_mul_f64 v[167:168], v[6:7], v[179:180]
	s_waitcnt vmcnt(56)
	v_fma_f64 v[175:176], v[129:130], v[181:182], -v[174:175]
	v_mul_f64 v[163:164], v[4:5], v[179:180]
	v_add_f64 v[141:142], v[141:142], v[159:160]
	v_fma_f64 v[159:160], v[131:132], v[181:182], v[210:211]
	v_add_f64 v[133:134], v[133:134], v[155:156]
	s_clause 0x4
	buffer_load_dword v156, off, s[0:3], 0 offset:476
	buffer_load_dword v179, off, s[0:3], 0 offset:488
	;; [unrolled: 1-line block ×5, first 2 shown]
	s_waitcnt vmcnt(57) lgkmcnt(0)
	v_mul_f64 v[210:211], v[0:1], v[183:184]
	v_mul_f64 v[182:183], v[2:3], v[183:184]
	s_waitcnt vmcnt(56)
	v_fma_f64 v[167:168], v[4:5], v[169:170], -v[167:168]
	ds_read_b128 v[129:132], v8 offset:1200
	v_fma_f64 v[163:164], v[6:7], v[169:170], v[163:164]
	v_add_f64 v[141:142], v[141:142], v[175:176]
	v_add_f64 v[133:134], v[133:134], v[159:160]
	s_clause 0x2
	buffer_load_dword v180, off, s[0:3], 0 offset:492
	buffer_load_dword v160, off, s[0:3], 0 offset:468
	;; [unrolled: 1-line block ×3, first 2 shown]
	ds_read_b128 v[4:7], v8 offset:1216
	s_waitcnt vmcnt(58) lgkmcnt(1)
	v_mul_f64 v[175:176], v[131:132], v[185:186]
	s_waitcnt vmcnt(56)
	v_fma_f64 v[183:184], v[0:1], v[187:188], -v[182:183]
	v_mul_f64 v[169:170], v[129:130], v[185:186]
	v_add_f64 v[141:142], v[141:142], v[167:168]
	v_fma_f64 v[167:168], v[2:3], v[187:188], v[210:211]
	v_add_f64 v[133:134], v[133:134], v[163:164]
	s_clause 0x4
	buffer_load_dword v164, off, s[0:3], 0 offset:508
	buffer_load_dword v185, off, s[0:3], 0 offset:520
	buffer_load_dword v187, off, s[0:3], 0 offset:512
	buffer_load_dword v163, off, s[0:3], 0 offset:504
	buffer_load_dword v182, off, s[0:3], 0 offset:484
	s_waitcnt vmcnt(57) lgkmcnt(0)
	v_mul_f64 v[210:211], v[4:5], v[195:196]
	v_mul_f64 v[195:196], v[6:7], v[195:196]
	s_waitcnt vmcnt(56)
	v_fma_f64 v[175:176], v[129:130], v[177:178], -v[175:176]
	ds_read_b128 v[0:3], v8 offset:1232
	v_fma_f64 v[169:170], v[131:132], v[177:178], v[169:170]
	v_add_f64 v[141:142], v[141:142], v[183:184]
	v_add_f64 v[133:134], v[133:134], v[167:168]
	s_clause 0x2
	buffer_load_dword v186, off, s[0:3], 0 offset:524
	buffer_load_dword v168, off, s[0:3], 0 offset:500
	;; [unrolled: 1-line block ×3, first 2 shown]
	ds_read_b128 v[129:132], v8 offset:1248
	s_waitcnt vmcnt(58) lgkmcnt(1)
	v_mul_f64 v[183:184], v[2:3], v[197:198]
	v_mul_f64 v[177:178], v[0:1], v[197:198]
	s_waitcnt vmcnt(56)
	v_fma_f64 v[195:196], v[4:5], v[137:138], -v[195:196]
	v_fma_f64 v[137:138], v[6:7], v[137:138], v[210:211]
	v_add_f64 v[141:142], v[141:142], v[175:176]
	v_add_f64 v[133:134], v[133:134], v[169:170]
	s_clause 0x4
	buffer_load_dword v170, off, s[0:3], 0 offset:540
	buffer_load_dword v175, off, s[0:3], 0 offset:552
	buffer_load_dword v197, off, s[0:3], 0 offset:544
	buffer_load_dword v169, off, s[0:3], 0 offset:536
	buffer_load_dword v188, off, s[0:3], 0 offset:516
	ds_read_b128 v[4:7], v8 offset:1264
	s_waitcnt vmcnt(57) lgkmcnt(1)
	v_mul_f64 v[210:211], v[129:130], v[135:136]
	v_mul_f64 v[135:136], v[131:132], v[135:136]
	s_waitcnt vmcnt(56)
	v_fma_f64 v[183:184], v[0:1], v[199:200], -v[183:184]
	v_fma_f64 v[177:178], v[2:3], v[199:200], v[177:178]
	v_add_f64 v[141:142], v[141:142], v[195:196]
	v_add_f64 v[133:134], v[133:134], v[137:138]
	s_clause 0x2
	buffer_load_dword v176, off, s[0:3], 0 offset:556
	buffer_load_dword v138, off, s[0:3], 0 offset:532
	;; [unrolled: 1-line block ×3, first 2 shown]
	s_waitcnt vmcnt(58) lgkmcnt(0)
	v_mul_f64 v[199:200], v[6:7], v[201:202]
	ds_read_b128 v[0:3], v8 offset:1280
	v_mul_f64 v[195:196], v[4:5], v[201:202]
	s_waitcnt vmcnt(56)
	v_fma_f64 v[135:136], v[129:130], v[191:192], -v[135:136]
	v_add_f64 v[141:142], v[141:142], v[183:184]
	v_fma_f64 v[183:184], v[131:132], v[191:192], v[210:211]
	v_add_f64 v[133:134], v[133:134], v[177:178]
	s_clause 0x4
	buffer_load_dword v178, off, s[0:3], 0 offset:572
	buffer_load_dword v191, off, s[0:3], 0 offset:584
	;; [unrolled: 1-line block ×5, first 2 shown]
	ds_read_b128 v[129:132], v8 offset:1296
	s_waitcnt vmcnt(57) lgkmcnt(1)
	v_mul_f64 v[210:211], v[0:1], v[153:154]
	v_mul_f64 v[153:154], v[2:3], v[153:154]
	s_waitcnt vmcnt(56)
	v_fma_f64 v[199:200], v[4:5], v[206:207], -v[199:200]
	v_add_f64 v[135:136], v[141:142], v[135:136]
	v_fma_f64 v[141:142], v[6:7], v[206:207], v[195:196]
	v_add_f64 v[133:134], v[133:134], v[183:184]
	s_clause 0x2
	buffer_load_dword v192, off, s[0:3], 0 offset:588
	buffer_load_dword v184, off, s[0:3], 0 offset:564
	;; [unrolled: 1-line block ×3, first 2 shown]
	ds_read_b128 v[4:7], v8 offset:1312
	s_waitcnt vmcnt(58) lgkmcnt(1)
	v_mul_f64 v[195:196], v[129:130], v[193:194]
	v_mul_f64 v[193:194], v[131:132], v[193:194]
	s_waitcnt vmcnt(56)
	v_fma_f64 v[153:154], v[0:1], v[147:148], -v[153:154]
	v_fma_f64 v[147:148], v[2:3], v[147:148], v[210:211]
	v_add_f64 v[135:136], v[135:136], v[199:200]
	v_add_f64 v[133:134], v[133:134], v[141:142]
	s_clause 0x4
	buffer_load_dword v142, off, s[0:3], 0 offset:604
	buffer_load_dword v199, off, s[0:3], 0 offset:616
	;; [unrolled: 1-line block ×5, first 2 shown]
	ds_read_b128 v[0:3], v8 offset:1328
	s_waitcnt vmcnt(57) lgkmcnt(1)
	v_mul_f64 v[206:207], v[4:5], v[139:140]
	v_mul_f64 v[139:140], v[6:7], v[139:140]
	s_waitcnt vmcnt(56)
	v_fma_f64 v[193:194], v[129:130], v[208:209], -v[193:194]
	v_add_f64 v[135:136], v[135:136], v[153:154]
	v_fma_f64 v[153:154], v[131:132], v[208:209], v[195:196]
	v_add_f64 v[133:134], v[133:134], v[147:148]
	s_clause 0x2
	buffer_load_dword v200, off, s[0:3], 0 offset:620
	buffer_load_dword v148, off, s[0:3], 0 offset:596
	;; [unrolled: 1-line block ×3, first 2 shown]
	ds_read_b128 v[129:132], v8 offset:1344
	s_waitcnt vmcnt(58) lgkmcnt(1)
	v_mul_f64 v[195:196], v[0:1], v[157:158]
	v_mul_f64 v[157:158], v[2:3], v[157:158]
	s_waitcnt vmcnt(56)
	v_fma_f64 v[139:140], v[4:5], v[145:146], -v[139:140]
	v_fma_f64 v[145:146], v[6:7], v[145:146], v[206:207]
	v_add_f64 v[135:136], v[135:136], v[193:194]
	v_add_f64 v[133:134], v[133:134], v[153:154]
	s_clause 0x4
	buffer_load_dword v154, off, s[0:3], 0 offset:636
	buffer_load_dword v193, off, s[0:3], 0 offset:648
	;; [unrolled: 1-line block ×5, first 2 shown]
	ds_read_b128 v[4:7], v8 offset:1360
	s_waitcnt vmcnt(57) lgkmcnt(1)
	v_mul_f64 v[208:209], v[129:130], v[143:144]
	v_mul_f64 v[143:144], v[131:132], v[143:144]
	s_waitcnt vmcnt(56)
	v_fma_f64 v[157:158], v[0:1], v[203:204], -v[157:158]
	v_add_f64 v[135:136], v[135:136], v[139:140]
	v_fma_f64 v[139:140], v[2:3], v[203:204], v[195:196]
	v_add_f64 v[133:134], v[133:134], v[145:146]
	s_clause 0x2
	buffer_load_dword v194, off, s[0:3], 0 offset:652
	buffer_load_dword v146, off, s[0:3], 0 offset:628
	;; [unrolled: 1-line block ×3, first 2 shown]
	s_waitcnt vmcnt(58) lgkmcnt(0)
	v_mul_f64 v[195:196], v[4:5], v[165:166]
	v_mul_f64 v[165:166], v[6:7], v[165:166]
	ds_read_b128 v[0:3], v8 offset:1376
	s_waitcnt vmcnt(56)
	v_fma_f64 v[143:144], v[129:130], v[151:152], -v[143:144]
	v_fma_f64 v[151:152], v[131:132], v[151:152], v[208:209]
	v_add_f64 v[135:136], v[135:136], v[157:158]
	v_add_f64 v[133:134], v[133:134], v[139:140]
	s_clause 0x4
	buffer_load_dword v140, off, s[0:3], 0 offset:668
	buffer_load_dword v157, off, s[0:3], 0 offset:680
	;; [unrolled: 1-line block ×5, first 2 shown]
	ds_read_b128 v[129:132], v8 offset:1392
	s_waitcnt vmcnt(57) lgkmcnt(1)
	v_mul_f64 v[209:210], v[0:1], v[149:150]
	v_mul_f64 v[149:150], v[2:3], v[149:150]
	s_waitcnt vmcnt(56)
	v_fma_f64 v[165:166], v[4:5], v[189:190], -v[165:166]
	v_add_f64 v[135:136], v[135:136], v[143:144]
	v_fma_f64 v[143:144], v[6:7], v[189:190], v[195:196]
	v_add_f64 v[133:134], v[133:134], v[151:152]
	s_clause 0x2
	buffer_load_dword v158, off, s[0:3], 0 offset:684
	buffer_load_dword v152, off, s[0:3], 0 offset:660
	;; [unrolled: 1-line block ×3, first 2 shown]
	s_waitcnt vmcnt(58) lgkmcnt(0)
	v_mul_f64 v[189:190], v[129:130], v[171:172]
	v_mul_f64 v[171:172], v[131:132], v[171:172]
	ds_read_b128 v[4:7], v8 offset:1408
	s_waitcnt vmcnt(56)
	v_fma_f64 v[149:150], v[0:1], v[161:162], -v[149:150]
	v_fma_f64 v[161:162], v[2:3], v[161:162], v[209:210]
	v_add_f64 v[135:136], v[135:136], v[165:166]
	v_add_f64 v[133:134], v[133:134], v[143:144]
	s_clause 0x4
	buffer_load_dword v144, off, s[0:3], 0 offset:700
	buffer_load_dword v165, off, s[0:3], 0 offset:712
	buffer_load_dword v195, off, s[0:3], 0 offset:704
	buffer_load_dword v143, off, s[0:3], 0 offset:696
	buffer_load_dword v204, off, s[0:3], 0 offset:676
	ds_read_b128 v[0:3], v8 offset:1424
	s_waitcnt vmcnt(57) lgkmcnt(1)
	v_mul_f64 v[209:210], v[4:5], v[155:156]
	v_mul_f64 v[155:156], v[6:7], v[155:156]
	s_waitcnt vmcnt(56)
	v_fma_f64 v[171:172], v[129:130], v[173:174], -v[171:172]
	v_add_f64 v[135:136], v[135:136], v[149:150]
	v_fma_f64 v[149:150], v[131:132], v[173:174], v[189:190]
	v_add_f64 v[133:134], v[133:134], v[161:162]
	s_clause 0x2
	buffer_load_dword v166, off, s[0:3], 0 offset:716
	buffer_load_dword v162, off, s[0:3], 0 offset:692
	buffer_load_dword v161, off, s[0:3], 0 offset:688
	ds_read_b128 v[129:132], v8 offset:1440
	s_waitcnt vmcnt(58) lgkmcnt(1)
	v_mul_f64 v[173:174], v[0:1], v[179:180]
	v_mul_f64 v[179:180], v[2:3], v[179:180]
	s_waitcnt vmcnt(56)
	v_fma_f64 v[155:156], v[4:5], v[159:160], -v[155:156]
	v_fma_f64 v[159:160], v[6:7], v[159:160], v[209:210]
	v_add_f64 v[135:136], v[135:136], v[171:172]
	v_add_f64 v[133:134], v[133:134], v[149:150]
	s_clause 0x4
	buffer_load_dword v150, off, s[0:3], 0 offset:732
	buffer_load_dword v171, off, s[0:3], 0 offset:744
	buffer_load_dword v189, off, s[0:3], 0 offset:736
	buffer_load_dword v149, off, s[0:3], 0 offset:728
	buffer_load_dword v196, off, s[0:3], 0 offset:708
	ds_read_b128 v[4:7], v8 offset:1456
	s_waitcnt vmcnt(57) lgkmcnt(1)
	v_mul_f64 v[209:210], v[129:130], v[163:164]
	v_mul_f64 v[163:164], v[131:132], v[163:164]
	s_waitcnt vmcnt(56)
	v_fma_f64 v[179:180], v[0:1], v[181:182], -v[179:180]
	v_add_f64 v[135:136], v[135:136], v[155:156]
	v_fma_f64 v[155:156], v[2:3], v[181:182], v[173:174]
	v_add_f64 v[133:134], v[133:134], v[159:160]
	s_clause 0x2
	buffer_load_dword v172, off, s[0:3], 0 offset:748
	buffer_load_dword v160, off, s[0:3], 0 offset:724
	buffer_load_dword v159, off, s[0:3], 0 offset:720
	ds_read_b128 v[0:3], v8 offset:1472
	s_waitcnt vmcnt(58) lgkmcnt(1)
	v_mul_f64 v[181:182], v[6:7], v[185:186]
	v_mul_f64 v[173:174], v[4:5], v[185:186]
	s_waitcnt vmcnt(56)
	v_fma_f64 v[163:164], v[129:130], v[167:168], -v[163:164]
	v_fma_f64 v[167:168], v[131:132], v[167:168], v[209:210]
	v_add_f64 v[135:136], v[135:136], v[179:180]
	v_add_f64 v[133:134], v[133:134], v[155:156]
	s_clause 0x4
	buffer_load_dword v156, off, s[0:3], 0 offset:764
	buffer_load_dword v179, off, s[0:3], 0 offset:776
	buffer_load_dword v185, off, s[0:3], 0 offset:768
	buffer_load_dword v155, off, s[0:3], 0 offset:760
	buffer_load_dword v190, off, s[0:3], 0 offset:740
	ds_read_b128 v[129:132], v8 offset:1488
	s_waitcnt vmcnt(57) lgkmcnt(1)
	v_mul_f64 v[209:210], v[0:1], v[169:170]
	v_mul_f64 v[169:170], v[2:3], v[169:170]
	s_waitcnt vmcnt(56)
	v_fma_f64 v[181:182], v[4:5], v[187:188], -v[181:182]
	v_add_f64 v[135:136], v[135:136], v[163:164]
	v_fma_f64 v[163:164], v[6:7], v[187:188], v[173:174]
	v_add_f64 v[133:134], v[133:134], v[167:168]
	s_clause 0x2
	buffer_load_dword v180, off, s[0:3], 0 offset:780
	buffer_load_dword v168, off, s[0:3], 0 offset:756
	buffer_load_dword v167, off, s[0:3], 0 offset:752
	ds_read_b128 v[4:7], v8 offset:1504
	s_waitcnt vmcnt(58) lgkmcnt(1)
	v_mul_f64 v[173:174], v[129:130], v[175:176]
	v_mul_f64 v[175:176], v[131:132], v[175:176]
	s_waitcnt vmcnt(56)
	v_fma_f64 v[169:170], v[0:1], v[137:138], -v[169:170]
	v_fma_f64 v[137:138], v[2:3], v[137:138], v[209:210]
	v_add_f64 v[135:136], v[135:136], v[181:182]
	v_add_f64 v[133:134], v[133:134], v[163:164]
	s_clause 0x4
	buffer_load_dword v164, off, s[0:3], 0 offset:796
	buffer_load_dword v181, off, s[0:3], 0 offset:808
	buffer_load_dword v187, off, s[0:3], 0 offset:800
	buffer_load_dword v163, off, s[0:3], 0 offset:792
	buffer_load_dword v186, off, s[0:3], 0 offset:772
	ds_read_b128 v[0:3], v8 offset:1520
	s_waitcnt vmcnt(57) lgkmcnt(1)
	v_mul_f64 v[209:210], v[4:5], v[177:178]
	v_mul_f64 v[177:178], v[6:7], v[177:178]
	s_waitcnt vmcnt(56)
	v_fma_f64 v[175:176], v[129:130], v[197:198], -v[175:176]
	v_add_f64 v[135:136], v[135:136], v[169:170]
	v_fma_f64 v[169:170], v[131:132], v[197:198], v[173:174]
	v_add_f64 v[133:134], v[133:134], v[137:138]
	s_clause 0x2
	buffer_load_dword v182, off, s[0:3], 0 offset:812
	buffer_load_dword v138, off, s[0:3], 0 offset:788
	buffer_load_dword v137, off, s[0:3], 0 offset:784
	ds_read_b128 v[129:132], v8 offset:1536
	s_waitcnt vmcnt(58) lgkmcnt(1)
	v_mul_f64 v[173:174], v[0:1], v[191:192]
	v_mul_f64 v[191:192], v[2:3], v[191:192]
	s_waitcnt vmcnt(56)
	v_fma_f64 v[177:178], v[4:5], v[183:184], -v[177:178]
	v_add_f64 v[135:136], v[135:136], v[175:176]
	v_fma_f64 v[175:176], v[6:7], v[183:184], v[209:210]
	v_add_f64 v[133:134], v[133:134], v[169:170]
	s_clause 0x4
	buffer_load_dword v170, off, s[0:3], 0 offset:828
	buffer_load_dword v183, off, s[0:3], 0 offset:840
	;; [unrolled: 1-line block ×5, first 2 shown]
	ds_read_b128 v[4:7], v8 offset:1552
	s_waitcnt vmcnt(57) lgkmcnt(1)
	v_mul_f64 v[209:210], v[129:130], v[141:142]
	v_mul_f64 v[141:142], v[131:132], v[141:142]
	s_waitcnt vmcnt(56)
	v_fma_f64 v[191:192], v[0:1], v[201:202], -v[191:192]
	v_fma_f64 v[173:174], v[2:3], v[201:202], v[173:174]
	v_add_f64 v[135:136], v[135:136], v[177:178]
	v_add_f64 v[133:134], v[133:134], v[175:176]
	s_clause 0x2
	buffer_load_dword v184, off, s[0:3], 0 offset:844
	buffer_load_dword v176, off, s[0:3], 0 offset:820
	buffer_load_dword v175, off, s[0:3], 0 offset:816
	ds_read_b128 v[0:3], v8 offset:1568
	s_waitcnt vmcnt(58) lgkmcnt(1)
	v_mul_f64 v[177:178], v[4:5], v[199:200]
	v_mul_f64 v[199:200], v[6:7], v[199:200]
	s_waitcnt vmcnt(56)
	v_fma_f64 v[141:142], v[129:130], v[147:148], -v[141:142]
	v_fma_f64 v[147:148], v[131:132], v[147:148], v[209:210]
	v_add_f64 v[135:136], v[135:136], v[191:192]
	v_add_f64 v[133:134], v[133:134], v[173:174]
	s_clause 0x4
	buffer_load_dword v174, off, s[0:3], 0 offset:860
	buffer_load_dword v191, off, s[0:3], 0 offset:872
	buffer_load_dword v201, off, s[0:3], 0 offset:864
	buffer_load_dword v173, off, s[0:3], 0 offset:856
	buffer_load_dword v198, off, s[0:3], 0 offset:836
	ds_read_b128 v[129:132], v8 offset:1584
	s_waitcnt vmcnt(57) lgkmcnt(1)
	v_mul_f64 v[209:210], v[0:1], v[153:154]
	v_mul_f64 v[153:154], v[2:3], v[153:154]
	s_waitcnt vmcnt(56)
	v_fma_f64 v[199:200], v[4:5], v[205:206], -v[199:200]
	v_add_f64 v[135:136], v[135:136], v[141:142]
	v_fma_f64 v[141:142], v[6:7], v[205:206], v[177:178]
	v_add_f64 v[133:134], v[133:134], v[147:148]
	s_clause 0x2
	buffer_load_dword v192, off, s[0:3], 0 offset:876
	buffer_load_dword v148, off, s[0:3], 0 offset:852
	buffer_load_dword v147, off, s[0:3], 0 offset:848
	ds_read_b128 v[4:7], v8 offset:1600
	s_waitcnt vmcnt(58) lgkmcnt(1)
	v_mul_f64 v[177:178], v[129:130], v[193:194]
	v_mul_f64 v[193:194], v[131:132], v[193:194]
	s_waitcnt vmcnt(56)
	v_fma_f64 v[153:154], v[0:1], v[145:146], -v[153:154]
	v_fma_f64 v[145:146], v[2:3], v[145:146], v[209:210]
	v_add_f64 v[135:136], v[135:136], v[199:200]
	v_add_f64 v[133:134], v[133:134], v[141:142]
	s_clause 0x4
	buffer_load_dword v142, off, s[0:3], 0 offset:892
	buffer_load_dword v199, off, s[0:3], 0 offset:904
	buffer_load_dword v205, off, s[0:3], 0 offset:896
	buffer_load_dword v141, off, s[0:3], 0 offset:888
	buffer_load_dword v202, off, s[0:3], 0 offset:868
	ds_read_b128 v[0:3], v8 offset:1616
	s_waitcnt vmcnt(57) lgkmcnt(1)
	v_mul_f64 v[209:210], v[4:5], v[139:140]
	v_mul_f64 v[139:140], v[6:7], v[139:140]
	s_waitcnt vmcnt(56)
	v_fma_f64 v[193:194], v[129:130], v[207:208], -v[193:194]
	v_add_f64 v[135:136], v[135:136], v[153:154]
	v_fma_f64 v[153:154], v[131:132], v[207:208], v[177:178]
	;; [unrolled: 28-line block ×3, first 2 shown]
	v_add_f64 v[133:134], v[133:134], v[151:152]
	s_clause 0x2
	buffer_load_dword v194, off, s[0:3], 0 offset:940
	buffer_load_dword v152, off, s[0:3], 0 offset:916
	;; [unrolled: 1-line block ×3, first 2 shown]
	ds_read_b128 v[0:3], v8 offset:1664
	s_waitcnt vmcnt(58) lgkmcnt(1)
	v_mul_f64 v[177:178], v[4:5], v[165:166]
	v_mul_f64 v[165:166], v[6:7], v[165:166]
	s_waitcnt vmcnt(56)
	v_fma_f64 v[143:144], v[129:130], v[161:162], -v[143:144]
	v_add_f64 v[135:136], v[135:136], v[157:158]
	v_fma_f64 v[157:158], v[131:132], v[161:162], v[208:209]
	v_add_f64 v[133:134], v[133:134], v[139:140]
	s_clause 0x4
	buffer_load_dword v140, off, s[0:3], 0 offset:956
	buffer_load_dword v161, off, s[0:3], 0 offset:968
	;; [unrolled: 1-line block ×5, first 2 shown]
	ds_read_b128 v[129:132], v8 offset:1680
	s_waitcnt vmcnt(57) lgkmcnt(1)
	v_mul_f64 v[209:210], v[0:1], v[149:150]
	v_mul_f64 v[149:150], v[2:3], v[149:150]
	s_waitcnt vmcnt(56)
	v_fma_f64 v[165:166], v[4:5], v[195:196], -v[165:166]
	v_add_f64 v[135:136], v[135:136], v[143:144]
	v_fma_f64 v[143:144], v[6:7], v[195:196], v[177:178]
	v_add_f64 v[133:134], v[133:134], v[157:158]
	s_clause 0x2
	buffer_load_dword v162, off, s[0:3], 0 offset:972
	buffer_load_dword v158, off, s[0:3], 0 offset:948
	;; [unrolled: 1-line block ×3, first 2 shown]
	ds_read_b128 v[4:7], v8 offset:1696
	buffer_load_dword v204, off, s[0:3], 0 offset:964
	s_waitcnt vmcnt(59) lgkmcnt(1)
	v_mul_f64 v[177:178], v[129:130], v[171:172]
	v_mul_f64 v[171:172], v[131:132], v[171:172]
	s_waitcnt vmcnt(57)
	v_fma_f64 v[149:150], v[0:1], v[159:160], -v[149:150]
	v_fma_f64 v[159:160], v[2:3], v[159:160], v[209:210]
	ds_read_b128 v[0:3], v8 offset:1712
	v_add_f64 v[135:136], v[135:136], v[165:166]
	v_add_f64 v[133:134], v[133:134], v[143:144]
	s_waitcnt vmcnt(53) lgkmcnt(1)
	v_mul_f64 v[143:144], v[4:5], v[155:156]
	v_mul_f64 v[155:156], v[6:7], v[155:156]
	s_waitcnt vmcnt(52)
	v_fma_f64 v[165:166], v[129:130], v[189:190], -v[171:172]
	v_add_f64 v[135:136], v[135:136], v[149:150]
	v_fma_f64 v[149:150], v[131:132], v[189:190], v[177:178]
	v_add_f64 v[133:134], v[133:134], v[159:160]
	ds_read_b128 v[129:132], v8 offset:1728
	s_waitcnt vmcnt(51) lgkmcnt(1)
	v_mul_f64 v[171:172], v[2:3], v[179:180]
	v_mul_f64 v[159:160], v[0:1], v[179:180]
	s_waitcnt vmcnt(49)
	v_fma_f64 v[155:156], v[4:5], v[167:168], -v[155:156]
	v_fma_f64 v[143:144], v[6:7], v[167:168], v[143:144]
	v_add_f64 v[135:136], v[135:136], v[165:166]
	v_add_f64 v[133:134], v[133:134], v[149:150]
	s_clause 0x3
	buffer_load_dword v149, off, s[0:3], 0 offset:16
	buffer_load_dword v150, off, s[0:3], 0 offset:20
	;; [unrolled: 1-line block ×4, first 2 shown]
	ds_read_b128 v[4:7], v8 offset:1744
	s_waitcnt vmcnt(49) lgkmcnt(1)
	v_mul_f64 v[167:168], v[129:130], v[163:164]
	v_mul_f64 v[163:164], v[131:132], v[163:164]
	s_waitcnt vmcnt(48)
	v_fma_f64 v[171:172], v[0:1], v[185:186], -v[171:172]
	v_add_f64 v[135:136], v[135:136], v[155:156]
	v_fma_f64 v[155:156], v[2:3], v[185:186], v[159:160]
	v_add_f64 v[133:134], v[133:134], v[143:144]
	ds_read_b128 v[0:3], v8 offset:1760
	s_waitcnt vmcnt(47) lgkmcnt(1)
	v_mul_f64 v[159:160], v[6:7], v[181:182]
	v_mul_f64 v[143:144], v[4:5], v[181:182]
	s_waitcnt vmcnt(45)
	v_fma_f64 v[163:164], v[129:130], v[137:138], -v[163:164]
	v_fma_f64 v[137:138], v[131:132], v[137:138], v[167:168]
	ds_read_b128 v[129:132], v8 offset:1776
	v_add_f64 v[135:136], v[135:136], v[171:172]
	v_add_f64 v[133:134], v[133:134], v[155:156]
	s_waitcnt vmcnt(41) lgkmcnt(1)
	v_mul_f64 v[167:168], v[2:3], v[169:170]
	s_waitcnt vmcnt(40)
	v_fma_f64 v[159:160], v[4:5], v[187:188], -v[159:160]
	v_mul_f64 v[155:156], v[0:1], v[169:170]
	v_fma_f64 v[143:144], v[6:7], v[187:188], v[143:144]
	ds_read_b128 v[4:7], v8 offset:1792
	v_add_f64 v[135:136], v[135:136], v[163:164]
	v_add_f64 v[133:134], v[133:134], v[137:138]
	s_waitcnt vmcnt(39) lgkmcnt(1)
	v_mul_f64 v[163:164], v[131:132], v[183:184]
	v_mul_f64 v[137:138], v[129:130], v[183:184]
	s_waitcnt vmcnt(37)
	v_fma_f64 v[167:168], v[0:1], v[175:176], -v[167:168]
	v_fma_f64 v[155:156], v[2:3], v[175:176], v[155:156]
	ds_read_b128 v[0:3], v8 offset:1808
	v_add_f64 v[135:136], v[135:136], v[159:160]
	v_add_f64 v[133:134], v[133:134], v[143:144]
	s_waitcnt vmcnt(33) lgkmcnt(1)
	v_mul_f64 v[159:160], v[6:7], v[173:174]
	s_waitcnt vmcnt(32)
	v_fma_f64 v[163:164], v[129:130], v[197:198], -v[163:164]
	v_mul_f64 v[143:144], v[4:5], v[173:174]
	v_fma_f64 v[137:138], v[131:132], v[197:198], v[137:138]
	ds_read_b128 v[129:132], v8 offset:1824
	v_add_f64 v[135:136], v[135:136], v[167:168]
	v_add_f64 v[133:134], v[133:134], v[155:156]
	s_waitcnt vmcnt(31) lgkmcnt(1)
	v_mul_f64 v[167:168], v[2:3], v[191:192]
	v_mul_f64 v[155:156], v[0:1], v[191:192]
	s_waitcnt vmcnt(29)
	v_fma_f64 v[159:160], v[4:5], v[147:148], -v[159:160]
	v_fma_f64 v[143:144], v[6:7], v[147:148], v[143:144]
	ds_read_b128 v[4:7], v8 offset:1840
	v_add_f64 v[135:136], v[135:136], v[163:164]
	v_add_f64 v[133:134], v[133:134], v[137:138]
	s_waitcnt vmcnt(25) lgkmcnt(1)
	v_mul_f64 v[137:138], v[129:130], v[141:142]
	v_mul_f64 v[141:142], v[131:132], v[141:142]
	s_waitcnt vmcnt(24)
	v_fma_f64 v[147:148], v[0:1], v[201:202], -v[167:168]
	v_fma_f64 v[155:156], v[2:3], v[201:202], v[155:156]
	ds_read_b128 v[0:3], v8 offset:1856
	v_add_f64 v[135:136], v[135:136], v[159:160]
	v_add_f64 v[133:134], v[133:134], v[143:144]
	s_waitcnt vmcnt(23) lgkmcnt(1)
	v_mul_f64 v[159:160], v[6:7], v[199:200]
	v_mul_f64 v[143:144], v[4:5], v[199:200]
	s_waitcnt vmcnt(21)
	v_fma_f64 v[141:142], v[129:130], v[145:146], -v[141:142]
	v_fma_f64 v[137:138], v[131:132], v[145:146], v[137:138]
	ds_read_b128 v[129:132], v8 offset:1872
	v_add_f64 v[135:136], v[135:136], v[147:148]
	v_add_f64 v[133:134], v[133:134], v[155:156]
	s_waitcnt vmcnt(17) lgkmcnt(1)
	v_mul_f64 v[145:146], v[0:1], v[153:154]
	v_mul_f64 v[147:148], v[2:3], v[153:154]
	s_waitcnt vmcnt(16)
	v_fma_f64 v[153:154], v[4:5], v[205:206], -v[159:160]
	v_add_f64 v[135:136], v[135:136], v[141:142]
	v_fma_f64 v[141:142], v[6:7], v[205:206], v[143:144]
	v_add_f64 v[133:134], v[133:134], v[137:138]
	ds_read_b128 v[4:7], v8 offset:1888
	s_waitcnt vmcnt(15) lgkmcnt(1)
	v_mul_f64 v[143:144], v[131:132], v[193:194]
	v_mul_f64 v[137:138], v[129:130], v[193:194]
	s_waitcnt vmcnt(13)
	v_fma_f64 v[147:148], v[0:1], v[151:152], -v[147:148]
	v_fma_f64 v[145:146], v[2:3], v[151:152], v[145:146]
	ds_read_b128 v[0:3], v8 offset:1904
	v_add_f64 v[135:136], v[135:136], v[153:154]
	v_add_f64 v[133:134], v[133:134], v[141:142]
	s_waitcnt vmcnt(9) lgkmcnt(1)
	v_mul_f64 v[141:142], v[4:5], v[139:140]
	v_mul_f64 v[139:140], v[6:7], v[139:140]
	s_waitcnt vmcnt(8)
	v_fma_f64 v[129:130], v[129:130], v[207:208], -v[143:144]
	v_fma_f64 v[131:132], v[131:132], v[207:208], v[137:138]
	v_add_f64 v[135:136], v[135:136], v[147:148]
	v_add_f64 v[133:134], v[133:134], v[145:146]
	s_waitcnt vmcnt(7) lgkmcnt(0)
	v_mul_f64 v[143:144], v[2:3], v[161:162]
	v_mul_f64 v[137:138], v[0:1], v[161:162]
	s_waitcnt vmcnt(5)
	v_fma_f64 v[4:5], v[4:5], v[157:158], -v[139:140]
	v_fma_f64 v[6:7], v[6:7], v[157:158], v[141:142]
	v_add_f64 v[129:130], v[135:136], v[129:130]
	v_add_f64 v[131:132], v[133:134], v[131:132]
	s_waitcnt vmcnt(4)
	v_fma_f64 v[0:1], v[0:1], v[203:204], -v[143:144]
	v_fma_f64 v[2:3], v[2:3], v[203:204], v[137:138]
	v_add_f64 v[4:5], v[129:130], v[4:5]
	v_add_f64 v[6:7], v[131:132], v[6:7]
	;; [unrolled: 1-line block ×4, first 2 shown]
	s_waitcnt vmcnt(2)
	v_add_f64 v[0:1], v[149:150], -v[0:1]
	s_waitcnt vmcnt(0)
	v_add_f64 v[2:3], v[165:166], -v[2:3]
	buffer_store_dword v1, off, s[0:3], 0 offset:20
	buffer_store_dword v0, off, s[0:3], 0 offset:16
	;; [unrolled: 1-line block ×4, first 2 shown]
	s_cbranch_vccz .LBB123_492
; %bb.374:
	global_load_dword v0, v8, s[12:13] offset:232
	s_waitcnt vmcnt(0)
	v_add_nc_u32_e32 v0, -1, v0
	v_cmp_ne_u32_e32 vcc_lo, 58, v0
	s_cbranch_vccz .LBB123_376
; %bb.375:
	v_lshlrev_b32_e32 v0, 4, v0
	v_mov_b32_e32 v1, s9
	v_add_nc_u32_e32 v0, 16, v0
	s_clause 0x7
	buffer_load_dword v2, v0, s[0:3], 0 offen
	buffer_load_dword v3, v0, s[0:3], 0 offen offset:4
	buffer_load_dword v4, v0, s[0:3], 0 offen offset:8
	;; [unrolled: 1-line block ×6, first 2 shown]
	buffer_load_dword v129, v1, s[0:3], 0 offen
	s_waitcnt vmcnt(7)
	buffer_store_dword v2, v1, s[0:3], 0 offen
	s_waitcnt vmcnt(6)
	buffer_store_dword v3, v1, s[0:3], 0 offen offset:4
	s_waitcnt vmcnt(5)
	buffer_store_dword v4, v1, s[0:3], 0 offen offset:8
	;; [unrolled: 2-line block ×6, first 2 shown]
	s_waitcnt vmcnt(0)
	buffer_store_dword v129, v0, s[0:3], 0 offen
.LBB123_376:
	v_mov_b32_e32 v0, 0
	global_load_dword v1, v0, s[12:13] offset:228
	s_waitcnt vmcnt(0)
	v_add_nc_u32_e32 v1, -1, v1
	v_cmp_eq_u32_e32 vcc_lo, 57, v1
	s_cbranch_vccnz .LBB123_378
; %bb.377:
	v_lshlrev_b32_e32 v1, 4, v1
	v_mov_b32_e32 v2, s14
	v_add_nc_u32_e32 v1, 16, v1
	s_clause 0x7
	buffer_load_dword v3, v1, s[0:3], 0 offen
	buffer_load_dword v4, v1, s[0:3], 0 offen offset:4
	buffer_load_dword v5, v1, s[0:3], 0 offen offset:8
	;; [unrolled: 1-line block ×6, first 2 shown]
	buffer_load_dword v130, v2, s[0:3], 0 offen
	s_waitcnt vmcnt(7)
	buffer_store_dword v3, v2, s[0:3], 0 offen
	s_waitcnt vmcnt(6)
	buffer_store_dword v4, v2, s[0:3], 0 offen offset:4
	s_waitcnt vmcnt(5)
	buffer_store_dword v5, v2, s[0:3], 0 offen offset:8
	;; [unrolled: 2-line block ×6, first 2 shown]
	s_waitcnt vmcnt(0)
	buffer_store_dword v130, v1, s[0:3], 0 offen
.LBB123_378:
	global_load_dword v0, v0, s[12:13] offset:224
	s_waitcnt vmcnt(0)
	v_add_nc_u32_e32 v0, -1, v0
	v_cmp_eq_u32_e32 vcc_lo, 56, v0
	s_cbranch_vccnz .LBB123_380
; %bb.379:
	v_lshlrev_b32_e32 v0, 4, v0
	v_mov_b32_e32 v1, s15
	v_add_nc_u32_e32 v0, 16, v0
	s_clause 0x7
	buffer_load_dword v2, v0, s[0:3], 0 offen
	buffer_load_dword v3, v0, s[0:3], 0 offen offset:4
	buffer_load_dword v4, v0, s[0:3], 0 offen offset:8
	;; [unrolled: 1-line block ×6, first 2 shown]
	buffer_load_dword v129, v1, s[0:3], 0 offen
	s_waitcnt vmcnt(7)
	buffer_store_dword v2, v1, s[0:3], 0 offen
	s_waitcnt vmcnt(6)
	buffer_store_dword v3, v1, s[0:3], 0 offen offset:4
	s_waitcnt vmcnt(5)
	buffer_store_dword v4, v1, s[0:3], 0 offen offset:8
	;; [unrolled: 2-line block ×6, first 2 shown]
	s_waitcnt vmcnt(0)
	buffer_store_dword v129, v0, s[0:3], 0 offen
.LBB123_380:
	v_mov_b32_e32 v0, 0
	global_load_dword v1, v0, s[12:13] offset:220
	s_waitcnt vmcnt(0)
	v_add_nc_u32_e32 v1, -1, v1
	v_cmp_eq_u32_e32 vcc_lo, 55, v1
	s_cbranch_vccnz .LBB123_382
; %bb.381:
	v_lshlrev_b32_e32 v1, 4, v1
	v_mov_b32_e32 v2, s16
	v_add_nc_u32_e32 v1, 16, v1
	s_clause 0x7
	buffer_load_dword v3, v1, s[0:3], 0 offen
	buffer_load_dword v4, v1, s[0:3], 0 offen offset:4
	buffer_load_dword v5, v1, s[0:3], 0 offen offset:8
	;; [unrolled: 1-line block ×6, first 2 shown]
	buffer_load_dword v130, v2, s[0:3], 0 offen
	s_waitcnt vmcnt(7)
	buffer_store_dword v3, v2, s[0:3], 0 offen
	s_waitcnt vmcnt(6)
	buffer_store_dword v4, v2, s[0:3], 0 offen offset:4
	s_waitcnt vmcnt(5)
	buffer_store_dword v5, v2, s[0:3], 0 offen offset:8
	;; [unrolled: 2-line block ×6, first 2 shown]
	s_waitcnt vmcnt(0)
	buffer_store_dword v130, v1, s[0:3], 0 offen
.LBB123_382:
	global_load_dword v0, v0, s[12:13] offset:216
	s_waitcnt vmcnt(0)
	v_add_nc_u32_e32 v0, -1, v0
	v_cmp_eq_u32_e32 vcc_lo, 54, v0
	s_cbranch_vccnz .LBB123_384
; %bb.383:
	v_lshlrev_b32_e32 v0, 4, v0
	v_mov_b32_e32 v1, s17
	v_add_nc_u32_e32 v0, 16, v0
	s_clause 0x7
	buffer_load_dword v2, v0, s[0:3], 0 offen
	buffer_load_dword v3, v0, s[0:3], 0 offen offset:4
	buffer_load_dword v4, v0, s[0:3], 0 offen offset:8
	;; [unrolled: 1-line block ×6, first 2 shown]
	buffer_load_dword v129, v1, s[0:3], 0 offen
	s_waitcnt vmcnt(7)
	buffer_store_dword v2, v1, s[0:3], 0 offen
	s_waitcnt vmcnt(6)
	buffer_store_dword v3, v1, s[0:3], 0 offen offset:4
	s_waitcnt vmcnt(5)
	buffer_store_dword v4, v1, s[0:3], 0 offen offset:8
	;; [unrolled: 2-line block ×6, first 2 shown]
	s_waitcnt vmcnt(0)
	buffer_store_dword v129, v0, s[0:3], 0 offen
.LBB123_384:
	v_mov_b32_e32 v0, 0
	global_load_dword v1, v0, s[12:13] offset:212
	s_waitcnt vmcnt(0)
	v_add_nc_u32_e32 v1, -1, v1
	v_cmp_eq_u32_e32 vcc_lo, 53, v1
	s_cbranch_vccnz .LBB123_386
; %bb.385:
	v_lshlrev_b32_e32 v1, 4, v1
	v_mov_b32_e32 v2, s18
	v_add_nc_u32_e32 v1, 16, v1
	s_clause 0x7
	buffer_load_dword v3, v1, s[0:3], 0 offen
	buffer_load_dword v4, v1, s[0:3], 0 offen offset:4
	buffer_load_dword v5, v1, s[0:3], 0 offen offset:8
	;; [unrolled: 1-line block ×6, first 2 shown]
	buffer_load_dword v130, v2, s[0:3], 0 offen
	s_waitcnt vmcnt(7)
	buffer_store_dword v3, v2, s[0:3], 0 offen
	s_waitcnt vmcnt(6)
	buffer_store_dword v4, v2, s[0:3], 0 offen offset:4
	s_waitcnt vmcnt(5)
	buffer_store_dword v5, v2, s[0:3], 0 offen offset:8
	;; [unrolled: 2-line block ×6, first 2 shown]
	s_waitcnt vmcnt(0)
	buffer_store_dword v130, v1, s[0:3], 0 offen
.LBB123_386:
	global_load_dword v0, v0, s[12:13] offset:208
	s_waitcnt vmcnt(0)
	v_add_nc_u32_e32 v0, -1, v0
	v_cmp_eq_u32_e32 vcc_lo, 52, v0
	s_cbranch_vccnz .LBB123_388
; %bb.387:
	v_lshlrev_b32_e32 v0, 4, v0
	v_mov_b32_e32 v1, s19
	v_add_nc_u32_e32 v0, 16, v0
	s_clause 0x7
	buffer_load_dword v2, v0, s[0:3], 0 offen
	buffer_load_dword v3, v0, s[0:3], 0 offen offset:4
	buffer_load_dword v4, v0, s[0:3], 0 offen offset:8
	;; [unrolled: 1-line block ×6, first 2 shown]
	buffer_load_dword v129, v1, s[0:3], 0 offen
	s_waitcnt vmcnt(7)
	buffer_store_dword v2, v1, s[0:3], 0 offen
	s_waitcnt vmcnt(6)
	buffer_store_dword v3, v1, s[0:3], 0 offen offset:4
	s_waitcnt vmcnt(5)
	buffer_store_dword v4, v1, s[0:3], 0 offen offset:8
	;; [unrolled: 2-line block ×6, first 2 shown]
	s_waitcnt vmcnt(0)
	buffer_store_dword v129, v0, s[0:3], 0 offen
.LBB123_388:
	v_mov_b32_e32 v0, 0
	global_load_dword v1, v0, s[12:13] offset:204
	s_waitcnt vmcnt(0)
	v_add_nc_u32_e32 v1, -1, v1
	v_cmp_eq_u32_e32 vcc_lo, 51, v1
	s_cbranch_vccnz .LBB123_390
; %bb.389:
	v_lshlrev_b32_e32 v1, 4, v1
	v_mov_b32_e32 v2, s20
	v_add_nc_u32_e32 v1, 16, v1
	s_clause 0x7
	buffer_load_dword v3, v1, s[0:3], 0 offen
	buffer_load_dword v4, v1, s[0:3], 0 offen offset:4
	buffer_load_dword v5, v1, s[0:3], 0 offen offset:8
	;; [unrolled: 1-line block ×6, first 2 shown]
	buffer_load_dword v130, v2, s[0:3], 0 offen
	s_waitcnt vmcnt(7)
	buffer_store_dword v3, v2, s[0:3], 0 offen
	s_waitcnt vmcnt(6)
	buffer_store_dword v4, v2, s[0:3], 0 offen offset:4
	s_waitcnt vmcnt(5)
	buffer_store_dword v5, v2, s[0:3], 0 offen offset:8
	;; [unrolled: 2-line block ×6, first 2 shown]
	s_waitcnt vmcnt(0)
	buffer_store_dword v130, v1, s[0:3], 0 offen
.LBB123_390:
	global_load_dword v0, v0, s[12:13] offset:200
	s_waitcnt vmcnt(0)
	v_add_nc_u32_e32 v0, -1, v0
	v_cmp_eq_u32_e32 vcc_lo, 50, v0
	s_cbranch_vccnz .LBB123_392
; %bb.391:
	v_lshlrev_b32_e32 v0, 4, v0
	v_mov_b32_e32 v1, s21
	v_add_nc_u32_e32 v0, 16, v0
	s_clause 0x7
	buffer_load_dword v2, v0, s[0:3], 0 offen
	buffer_load_dword v3, v0, s[0:3], 0 offen offset:4
	buffer_load_dword v4, v0, s[0:3], 0 offen offset:8
	;; [unrolled: 1-line block ×6, first 2 shown]
	buffer_load_dword v129, v1, s[0:3], 0 offen
	s_waitcnt vmcnt(7)
	buffer_store_dword v2, v1, s[0:3], 0 offen
	s_waitcnt vmcnt(6)
	buffer_store_dword v3, v1, s[0:3], 0 offen offset:4
	s_waitcnt vmcnt(5)
	buffer_store_dword v4, v1, s[0:3], 0 offen offset:8
	;; [unrolled: 2-line block ×6, first 2 shown]
	s_waitcnt vmcnt(0)
	buffer_store_dword v129, v0, s[0:3], 0 offen
.LBB123_392:
	v_mov_b32_e32 v0, 0
	global_load_dword v1, v0, s[12:13] offset:196
	s_waitcnt vmcnt(0)
	v_add_nc_u32_e32 v1, -1, v1
	v_cmp_eq_u32_e32 vcc_lo, 49, v1
	s_cbranch_vccnz .LBB123_394
; %bb.393:
	v_lshlrev_b32_e32 v1, 4, v1
	v_mov_b32_e32 v2, s22
	v_add_nc_u32_e32 v1, 16, v1
	s_clause 0x7
	buffer_load_dword v3, v1, s[0:3], 0 offen
	buffer_load_dword v4, v1, s[0:3], 0 offen offset:4
	buffer_load_dword v5, v1, s[0:3], 0 offen offset:8
	;; [unrolled: 1-line block ×6, first 2 shown]
	buffer_load_dword v130, v2, s[0:3], 0 offen
	s_waitcnt vmcnt(7)
	buffer_store_dword v3, v2, s[0:3], 0 offen
	s_waitcnt vmcnt(6)
	buffer_store_dword v4, v2, s[0:3], 0 offen offset:4
	s_waitcnt vmcnt(5)
	buffer_store_dword v5, v2, s[0:3], 0 offen offset:8
	;; [unrolled: 2-line block ×6, first 2 shown]
	s_waitcnt vmcnt(0)
	buffer_store_dword v130, v1, s[0:3], 0 offen
.LBB123_394:
	global_load_dword v0, v0, s[12:13] offset:192
	s_waitcnt vmcnt(0)
	v_add_nc_u32_e32 v0, -1, v0
	v_cmp_eq_u32_e32 vcc_lo, 48, v0
	s_cbranch_vccnz .LBB123_396
; %bb.395:
	v_lshlrev_b32_e32 v0, 4, v0
	v_mov_b32_e32 v1, s23
	v_add_nc_u32_e32 v0, 16, v0
	s_clause 0x7
	buffer_load_dword v2, v0, s[0:3], 0 offen
	buffer_load_dword v3, v0, s[0:3], 0 offen offset:4
	buffer_load_dword v4, v0, s[0:3], 0 offen offset:8
	;; [unrolled: 1-line block ×6, first 2 shown]
	buffer_load_dword v129, v1, s[0:3], 0 offen
	s_waitcnt vmcnt(7)
	buffer_store_dword v2, v1, s[0:3], 0 offen
	s_waitcnt vmcnt(6)
	buffer_store_dword v3, v1, s[0:3], 0 offen offset:4
	s_waitcnt vmcnt(5)
	buffer_store_dword v4, v1, s[0:3], 0 offen offset:8
	;; [unrolled: 2-line block ×6, first 2 shown]
	s_waitcnt vmcnt(0)
	buffer_store_dword v129, v0, s[0:3], 0 offen
.LBB123_396:
	v_mov_b32_e32 v0, 0
	global_load_dword v1, v0, s[12:13] offset:188
	s_waitcnt vmcnt(0)
	v_add_nc_u32_e32 v1, -1, v1
	v_cmp_eq_u32_e32 vcc_lo, 47, v1
	s_cbranch_vccnz .LBB123_398
; %bb.397:
	v_lshlrev_b32_e32 v1, 4, v1
	v_mov_b32_e32 v2, s24
	v_add_nc_u32_e32 v1, 16, v1
	s_clause 0x7
	buffer_load_dword v3, v1, s[0:3], 0 offen
	buffer_load_dword v4, v1, s[0:3], 0 offen offset:4
	buffer_load_dword v5, v1, s[0:3], 0 offen offset:8
	;; [unrolled: 1-line block ×6, first 2 shown]
	buffer_load_dword v130, v2, s[0:3], 0 offen
	s_waitcnt vmcnt(7)
	buffer_store_dword v3, v2, s[0:3], 0 offen
	s_waitcnt vmcnt(6)
	buffer_store_dword v4, v2, s[0:3], 0 offen offset:4
	s_waitcnt vmcnt(5)
	buffer_store_dword v5, v2, s[0:3], 0 offen offset:8
	s_waitcnt vmcnt(4)
	buffer_store_dword v6, v2, s[0:3], 0 offen offset:12
	s_waitcnt vmcnt(3)
	buffer_store_dword v7, v1, s[0:3], 0 offen offset:12
	s_waitcnt vmcnt(2)
	buffer_store_dword v8, v1, s[0:3], 0 offen offset:8
	s_waitcnt vmcnt(1)
	buffer_store_dword v129, v1, s[0:3], 0 offen offset:4
	s_waitcnt vmcnt(0)
	buffer_store_dword v130, v1, s[0:3], 0 offen
.LBB123_398:
	global_load_dword v0, v0, s[12:13] offset:184
	s_waitcnt vmcnt(0)
	v_add_nc_u32_e32 v0, -1, v0
	v_cmp_eq_u32_e32 vcc_lo, 46, v0
	s_cbranch_vccnz .LBB123_400
; %bb.399:
	v_lshlrev_b32_e32 v0, 4, v0
	v_mov_b32_e32 v1, s25
	v_add_nc_u32_e32 v0, 16, v0
	s_clause 0x7
	buffer_load_dword v2, v0, s[0:3], 0 offen
	buffer_load_dword v3, v0, s[0:3], 0 offen offset:4
	buffer_load_dword v4, v0, s[0:3], 0 offen offset:8
	buffer_load_dword v5, v0, s[0:3], 0 offen offset:12
	buffer_load_dword v6, v1, s[0:3], 0 offen offset:12
	buffer_load_dword v7, v1, s[0:3], 0 offen offset:8
	buffer_load_dword v8, v1, s[0:3], 0 offen offset:4
	buffer_load_dword v129, v1, s[0:3], 0 offen
	s_waitcnt vmcnt(7)
	buffer_store_dword v2, v1, s[0:3], 0 offen
	s_waitcnt vmcnt(6)
	buffer_store_dword v3, v1, s[0:3], 0 offen offset:4
	s_waitcnt vmcnt(5)
	buffer_store_dword v4, v1, s[0:3], 0 offen offset:8
	;; [unrolled: 2-line block ×6, first 2 shown]
	s_waitcnt vmcnt(0)
	buffer_store_dword v129, v0, s[0:3], 0 offen
.LBB123_400:
	v_mov_b32_e32 v0, 0
	global_load_dword v1, v0, s[12:13] offset:180
	s_waitcnt vmcnt(0)
	v_add_nc_u32_e32 v1, -1, v1
	v_cmp_eq_u32_e32 vcc_lo, 45, v1
	s_cbranch_vccnz .LBB123_402
; %bb.401:
	v_lshlrev_b32_e32 v1, 4, v1
	v_mov_b32_e32 v2, s26
	v_add_nc_u32_e32 v1, 16, v1
	s_clause 0x7
	buffer_load_dword v3, v1, s[0:3], 0 offen
	buffer_load_dword v4, v1, s[0:3], 0 offen offset:4
	buffer_load_dword v5, v1, s[0:3], 0 offen offset:8
	;; [unrolled: 1-line block ×6, first 2 shown]
	buffer_load_dword v130, v2, s[0:3], 0 offen
	s_waitcnt vmcnt(7)
	buffer_store_dword v3, v2, s[0:3], 0 offen
	s_waitcnt vmcnt(6)
	buffer_store_dword v4, v2, s[0:3], 0 offen offset:4
	s_waitcnt vmcnt(5)
	buffer_store_dword v5, v2, s[0:3], 0 offen offset:8
	s_waitcnt vmcnt(4)
	buffer_store_dword v6, v2, s[0:3], 0 offen offset:12
	s_waitcnt vmcnt(3)
	buffer_store_dword v7, v1, s[0:3], 0 offen offset:12
	s_waitcnt vmcnt(2)
	buffer_store_dword v8, v1, s[0:3], 0 offen offset:8
	s_waitcnt vmcnt(1)
	buffer_store_dword v129, v1, s[0:3], 0 offen offset:4
	s_waitcnt vmcnt(0)
	buffer_store_dword v130, v1, s[0:3], 0 offen
.LBB123_402:
	global_load_dword v0, v0, s[12:13] offset:176
	s_waitcnt vmcnt(0)
	v_add_nc_u32_e32 v0, -1, v0
	v_cmp_eq_u32_e32 vcc_lo, 44, v0
	s_cbranch_vccnz .LBB123_404
; %bb.403:
	v_lshlrev_b32_e32 v0, 4, v0
	v_mov_b32_e32 v1, s27
	v_add_nc_u32_e32 v0, 16, v0
	s_clause 0x7
	buffer_load_dword v2, v0, s[0:3], 0 offen
	buffer_load_dword v3, v0, s[0:3], 0 offen offset:4
	buffer_load_dword v4, v0, s[0:3], 0 offen offset:8
	;; [unrolled: 1-line block ×6, first 2 shown]
	buffer_load_dword v129, v1, s[0:3], 0 offen
	s_waitcnt vmcnt(7)
	buffer_store_dword v2, v1, s[0:3], 0 offen
	s_waitcnt vmcnt(6)
	buffer_store_dword v3, v1, s[0:3], 0 offen offset:4
	s_waitcnt vmcnt(5)
	buffer_store_dword v4, v1, s[0:3], 0 offen offset:8
	;; [unrolled: 2-line block ×6, first 2 shown]
	s_waitcnt vmcnt(0)
	buffer_store_dword v129, v0, s[0:3], 0 offen
.LBB123_404:
	v_mov_b32_e32 v0, 0
	global_load_dword v1, v0, s[12:13] offset:172
	s_waitcnt vmcnt(0)
	v_add_nc_u32_e32 v1, -1, v1
	v_cmp_eq_u32_e32 vcc_lo, 43, v1
	s_cbranch_vccnz .LBB123_406
; %bb.405:
	v_lshlrev_b32_e32 v1, 4, v1
	v_mov_b32_e32 v2, s28
	v_add_nc_u32_e32 v1, 16, v1
	s_clause 0x7
	buffer_load_dword v3, v1, s[0:3], 0 offen
	buffer_load_dword v4, v1, s[0:3], 0 offen offset:4
	buffer_load_dword v5, v1, s[0:3], 0 offen offset:8
	;; [unrolled: 1-line block ×6, first 2 shown]
	buffer_load_dword v130, v2, s[0:3], 0 offen
	s_waitcnt vmcnt(7)
	buffer_store_dword v3, v2, s[0:3], 0 offen
	s_waitcnt vmcnt(6)
	buffer_store_dword v4, v2, s[0:3], 0 offen offset:4
	s_waitcnt vmcnt(5)
	buffer_store_dword v5, v2, s[0:3], 0 offen offset:8
	;; [unrolled: 2-line block ×6, first 2 shown]
	s_waitcnt vmcnt(0)
	buffer_store_dword v130, v1, s[0:3], 0 offen
.LBB123_406:
	global_load_dword v0, v0, s[12:13] offset:168
	s_waitcnt vmcnt(0)
	v_add_nc_u32_e32 v0, -1, v0
	v_cmp_eq_u32_e32 vcc_lo, 42, v0
	s_cbranch_vccnz .LBB123_408
; %bb.407:
	v_lshlrev_b32_e32 v0, 4, v0
	v_mov_b32_e32 v1, s29
	v_add_nc_u32_e32 v0, 16, v0
	s_clause 0x7
	buffer_load_dword v2, v0, s[0:3], 0 offen
	buffer_load_dword v3, v0, s[0:3], 0 offen offset:4
	buffer_load_dword v4, v0, s[0:3], 0 offen offset:8
	;; [unrolled: 1-line block ×6, first 2 shown]
	buffer_load_dword v129, v1, s[0:3], 0 offen
	s_waitcnt vmcnt(7)
	buffer_store_dword v2, v1, s[0:3], 0 offen
	s_waitcnt vmcnt(6)
	buffer_store_dword v3, v1, s[0:3], 0 offen offset:4
	s_waitcnt vmcnt(5)
	buffer_store_dword v4, v1, s[0:3], 0 offen offset:8
	s_waitcnt vmcnt(4)
	buffer_store_dword v5, v1, s[0:3], 0 offen offset:12
	s_waitcnt vmcnt(3)
	buffer_store_dword v6, v0, s[0:3], 0 offen offset:12
	s_waitcnt vmcnt(2)
	buffer_store_dword v7, v0, s[0:3], 0 offen offset:8
	s_waitcnt vmcnt(1)
	buffer_store_dword v8, v0, s[0:3], 0 offen offset:4
	s_waitcnt vmcnt(0)
	buffer_store_dword v129, v0, s[0:3], 0 offen
.LBB123_408:
	v_mov_b32_e32 v0, 0
	global_load_dword v1, v0, s[12:13] offset:164
	s_waitcnt vmcnt(0)
	v_add_nc_u32_e32 v1, -1, v1
	v_cmp_eq_u32_e32 vcc_lo, 41, v1
	s_cbranch_vccnz .LBB123_410
; %bb.409:
	v_lshlrev_b32_e32 v1, 4, v1
	v_mov_b32_e32 v2, s30
	v_add_nc_u32_e32 v1, 16, v1
	s_clause 0x7
	buffer_load_dword v3, v1, s[0:3], 0 offen
	buffer_load_dword v4, v1, s[0:3], 0 offen offset:4
	buffer_load_dword v5, v1, s[0:3], 0 offen offset:8
	;; [unrolled: 1-line block ×6, first 2 shown]
	buffer_load_dword v130, v2, s[0:3], 0 offen
	s_waitcnt vmcnt(7)
	buffer_store_dword v3, v2, s[0:3], 0 offen
	s_waitcnt vmcnt(6)
	buffer_store_dword v4, v2, s[0:3], 0 offen offset:4
	s_waitcnt vmcnt(5)
	buffer_store_dword v5, v2, s[0:3], 0 offen offset:8
	;; [unrolled: 2-line block ×6, first 2 shown]
	s_waitcnt vmcnt(0)
	buffer_store_dword v130, v1, s[0:3], 0 offen
.LBB123_410:
	global_load_dword v0, v0, s[12:13] offset:160
	s_waitcnt vmcnt(0)
	v_add_nc_u32_e32 v0, -1, v0
	v_cmp_eq_u32_e32 vcc_lo, 40, v0
	s_cbranch_vccnz .LBB123_412
; %bb.411:
	v_lshlrev_b32_e32 v0, 4, v0
	v_mov_b32_e32 v1, s31
	v_add_nc_u32_e32 v0, 16, v0
	s_clause 0x7
	buffer_load_dword v2, v0, s[0:3], 0 offen
	buffer_load_dword v3, v0, s[0:3], 0 offen offset:4
	buffer_load_dword v4, v0, s[0:3], 0 offen offset:8
	;; [unrolled: 1-line block ×6, first 2 shown]
	buffer_load_dword v129, v1, s[0:3], 0 offen
	s_waitcnt vmcnt(7)
	buffer_store_dword v2, v1, s[0:3], 0 offen
	s_waitcnt vmcnt(6)
	buffer_store_dword v3, v1, s[0:3], 0 offen offset:4
	s_waitcnt vmcnt(5)
	buffer_store_dword v4, v1, s[0:3], 0 offen offset:8
	;; [unrolled: 2-line block ×6, first 2 shown]
	s_waitcnt vmcnt(0)
	buffer_store_dword v129, v0, s[0:3], 0 offen
.LBB123_412:
	v_mov_b32_e32 v0, 0
	global_load_dword v1, v0, s[12:13] offset:156
	s_waitcnt vmcnt(0)
	v_add_nc_u32_e32 v1, -1, v1
	v_cmp_eq_u32_e32 vcc_lo, 39, v1
	s_cbranch_vccnz .LBB123_414
; %bb.413:
	v_lshlrev_b32_e32 v1, 4, v1
	v_mov_b32_e32 v2, s33
	v_add_nc_u32_e32 v1, 16, v1
	s_clause 0x7
	buffer_load_dword v3, v1, s[0:3], 0 offen
	buffer_load_dword v4, v1, s[0:3], 0 offen offset:4
	buffer_load_dword v5, v1, s[0:3], 0 offen offset:8
	;; [unrolled: 1-line block ×6, first 2 shown]
	buffer_load_dword v130, v2, s[0:3], 0 offen
	s_waitcnt vmcnt(7)
	buffer_store_dword v3, v2, s[0:3], 0 offen
	s_waitcnt vmcnt(6)
	buffer_store_dword v4, v2, s[0:3], 0 offen offset:4
	s_waitcnt vmcnt(5)
	buffer_store_dword v5, v2, s[0:3], 0 offen offset:8
	;; [unrolled: 2-line block ×6, first 2 shown]
	s_waitcnt vmcnt(0)
	buffer_store_dword v130, v1, s[0:3], 0 offen
.LBB123_414:
	global_load_dword v0, v0, s[12:13] offset:152
	s_waitcnt vmcnt(0)
	v_add_nc_u32_e32 v0, -1, v0
	v_cmp_eq_u32_e32 vcc_lo, 38, v0
	s_cbranch_vccnz .LBB123_416
; %bb.415:
	v_lshlrev_b32_e32 v0, 4, v0
	v_mov_b32_e32 v1, s34
	v_add_nc_u32_e32 v0, 16, v0
	s_clause 0x7
	buffer_load_dword v2, v0, s[0:3], 0 offen
	buffer_load_dword v3, v0, s[0:3], 0 offen offset:4
	buffer_load_dword v4, v0, s[0:3], 0 offen offset:8
	;; [unrolled: 1-line block ×6, first 2 shown]
	buffer_load_dword v129, v1, s[0:3], 0 offen
	s_waitcnt vmcnt(7)
	buffer_store_dword v2, v1, s[0:3], 0 offen
	s_waitcnt vmcnt(6)
	buffer_store_dword v3, v1, s[0:3], 0 offen offset:4
	s_waitcnt vmcnt(5)
	buffer_store_dword v4, v1, s[0:3], 0 offen offset:8
	;; [unrolled: 2-line block ×6, first 2 shown]
	s_waitcnt vmcnt(0)
	buffer_store_dword v129, v0, s[0:3], 0 offen
.LBB123_416:
	v_mov_b32_e32 v0, 0
	global_load_dword v1, v0, s[12:13] offset:148
	s_waitcnt vmcnt(0)
	v_add_nc_u32_e32 v1, -1, v1
	v_cmp_eq_u32_e32 vcc_lo, 37, v1
	s_cbranch_vccnz .LBB123_418
; %bb.417:
	v_lshlrev_b32_e32 v1, 4, v1
	v_mov_b32_e32 v2, s35
	v_add_nc_u32_e32 v1, 16, v1
	s_clause 0x7
	buffer_load_dword v3, v1, s[0:3], 0 offen
	buffer_load_dword v4, v1, s[0:3], 0 offen offset:4
	buffer_load_dword v5, v1, s[0:3], 0 offen offset:8
	;; [unrolled: 1-line block ×6, first 2 shown]
	buffer_load_dword v130, v2, s[0:3], 0 offen
	s_waitcnt vmcnt(7)
	buffer_store_dword v3, v2, s[0:3], 0 offen
	s_waitcnt vmcnt(6)
	buffer_store_dword v4, v2, s[0:3], 0 offen offset:4
	s_waitcnt vmcnt(5)
	buffer_store_dword v5, v2, s[0:3], 0 offen offset:8
	;; [unrolled: 2-line block ×6, first 2 shown]
	s_waitcnt vmcnt(0)
	buffer_store_dword v130, v1, s[0:3], 0 offen
.LBB123_418:
	global_load_dword v0, v0, s[12:13] offset:144
	s_waitcnt vmcnt(0)
	v_add_nc_u32_e32 v0, -1, v0
	v_cmp_eq_u32_e32 vcc_lo, 36, v0
	s_cbranch_vccnz .LBB123_420
; %bb.419:
	v_lshlrev_b32_e32 v0, 4, v0
	v_mov_b32_e32 v1, s36
	v_add_nc_u32_e32 v0, 16, v0
	s_clause 0x7
	buffer_load_dword v2, v0, s[0:3], 0 offen
	buffer_load_dword v3, v0, s[0:3], 0 offen offset:4
	buffer_load_dword v4, v0, s[0:3], 0 offen offset:8
	;; [unrolled: 1-line block ×6, first 2 shown]
	buffer_load_dword v129, v1, s[0:3], 0 offen
	s_waitcnt vmcnt(7)
	buffer_store_dword v2, v1, s[0:3], 0 offen
	s_waitcnt vmcnt(6)
	buffer_store_dword v3, v1, s[0:3], 0 offen offset:4
	s_waitcnt vmcnt(5)
	buffer_store_dword v4, v1, s[0:3], 0 offen offset:8
	;; [unrolled: 2-line block ×6, first 2 shown]
	s_waitcnt vmcnt(0)
	buffer_store_dword v129, v0, s[0:3], 0 offen
.LBB123_420:
	v_mov_b32_e32 v0, 0
	global_load_dword v1, v0, s[12:13] offset:140
	s_waitcnt vmcnt(0)
	v_add_nc_u32_e32 v1, -1, v1
	v_cmp_eq_u32_e32 vcc_lo, 35, v1
	s_cbranch_vccnz .LBB123_422
; %bb.421:
	v_lshlrev_b32_e32 v1, 4, v1
	v_mov_b32_e32 v2, s37
	v_add_nc_u32_e32 v1, 16, v1
	s_clause 0x7
	buffer_load_dword v3, v1, s[0:3], 0 offen
	buffer_load_dword v4, v1, s[0:3], 0 offen offset:4
	buffer_load_dword v5, v1, s[0:3], 0 offen offset:8
	;; [unrolled: 1-line block ×6, first 2 shown]
	buffer_load_dword v130, v2, s[0:3], 0 offen
	s_waitcnt vmcnt(7)
	buffer_store_dword v3, v2, s[0:3], 0 offen
	s_waitcnt vmcnt(6)
	buffer_store_dword v4, v2, s[0:3], 0 offen offset:4
	s_waitcnt vmcnt(5)
	buffer_store_dword v5, v2, s[0:3], 0 offen offset:8
	;; [unrolled: 2-line block ×6, first 2 shown]
	s_waitcnt vmcnt(0)
	buffer_store_dword v130, v1, s[0:3], 0 offen
.LBB123_422:
	global_load_dword v0, v0, s[12:13] offset:136
	s_waitcnt vmcnt(0)
	v_add_nc_u32_e32 v0, -1, v0
	v_cmp_eq_u32_e32 vcc_lo, 34, v0
	s_cbranch_vccnz .LBB123_424
; %bb.423:
	v_lshlrev_b32_e32 v0, 4, v0
	v_mov_b32_e32 v1, s38
	v_add_nc_u32_e32 v0, 16, v0
	s_clause 0x7
	buffer_load_dword v2, v0, s[0:3], 0 offen
	buffer_load_dword v3, v0, s[0:3], 0 offen offset:4
	buffer_load_dword v4, v0, s[0:3], 0 offen offset:8
	buffer_load_dword v5, v0, s[0:3], 0 offen offset:12
	buffer_load_dword v6, v1, s[0:3], 0 offen offset:12
	buffer_load_dword v7, v1, s[0:3], 0 offen offset:8
	buffer_load_dword v8, v1, s[0:3], 0 offen offset:4
	buffer_load_dword v129, v1, s[0:3], 0 offen
	s_waitcnt vmcnt(7)
	buffer_store_dword v2, v1, s[0:3], 0 offen
	s_waitcnt vmcnt(6)
	buffer_store_dword v3, v1, s[0:3], 0 offen offset:4
	s_waitcnt vmcnt(5)
	buffer_store_dword v4, v1, s[0:3], 0 offen offset:8
	;; [unrolled: 2-line block ×6, first 2 shown]
	s_waitcnt vmcnt(0)
	buffer_store_dword v129, v0, s[0:3], 0 offen
.LBB123_424:
	v_mov_b32_e32 v0, 0
	global_load_dword v1, v0, s[12:13] offset:132
	s_waitcnt vmcnt(0)
	v_add_nc_u32_e32 v1, -1, v1
	v_cmp_eq_u32_e32 vcc_lo, 33, v1
	s_cbranch_vccnz .LBB123_426
; %bb.425:
	v_lshlrev_b32_e32 v1, 4, v1
	v_mov_b32_e32 v2, s39
	v_add_nc_u32_e32 v1, 16, v1
	s_clause 0x7
	buffer_load_dword v3, v1, s[0:3], 0 offen
	buffer_load_dword v4, v1, s[0:3], 0 offen offset:4
	buffer_load_dword v5, v1, s[0:3], 0 offen offset:8
	;; [unrolled: 1-line block ×6, first 2 shown]
	buffer_load_dword v130, v2, s[0:3], 0 offen
	s_waitcnt vmcnt(7)
	buffer_store_dword v3, v2, s[0:3], 0 offen
	s_waitcnt vmcnt(6)
	buffer_store_dword v4, v2, s[0:3], 0 offen offset:4
	s_waitcnt vmcnt(5)
	buffer_store_dword v5, v2, s[0:3], 0 offen offset:8
	;; [unrolled: 2-line block ×6, first 2 shown]
	s_waitcnt vmcnt(0)
	buffer_store_dword v130, v1, s[0:3], 0 offen
.LBB123_426:
	global_load_dword v0, v0, s[12:13] offset:128
	s_waitcnt vmcnt(0)
	v_add_nc_u32_e32 v0, -1, v0
	v_cmp_eq_u32_e32 vcc_lo, 32, v0
	s_cbranch_vccnz .LBB123_428
; %bb.427:
	v_lshlrev_b32_e32 v0, 4, v0
	v_mov_b32_e32 v1, s40
	v_add_nc_u32_e32 v0, 16, v0
	s_clause 0x7
	buffer_load_dword v2, v0, s[0:3], 0 offen
	buffer_load_dword v3, v0, s[0:3], 0 offen offset:4
	buffer_load_dword v4, v0, s[0:3], 0 offen offset:8
	buffer_load_dword v5, v0, s[0:3], 0 offen offset:12
	buffer_load_dword v6, v1, s[0:3], 0 offen offset:12
	buffer_load_dword v7, v1, s[0:3], 0 offen offset:8
	buffer_load_dword v8, v1, s[0:3], 0 offen offset:4
	buffer_load_dword v129, v1, s[0:3], 0 offen
	s_waitcnt vmcnt(7)
	buffer_store_dword v2, v1, s[0:3], 0 offen
	s_waitcnt vmcnt(6)
	buffer_store_dword v3, v1, s[0:3], 0 offen offset:4
	s_waitcnt vmcnt(5)
	buffer_store_dword v4, v1, s[0:3], 0 offen offset:8
	;; [unrolled: 2-line block ×6, first 2 shown]
	s_waitcnt vmcnt(0)
	buffer_store_dword v129, v0, s[0:3], 0 offen
.LBB123_428:
	v_mov_b32_e32 v0, 0
	global_load_dword v1, v0, s[12:13] offset:124
	s_waitcnt vmcnt(0)
	v_add_nc_u32_e32 v1, -1, v1
	v_cmp_eq_u32_e32 vcc_lo, 31, v1
	s_cbranch_vccnz .LBB123_430
; %bb.429:
	v_lshlrev_b32_e32 v1, 4, v1
	v_mov_b32_e32 v2, s41
	v_add_nc_u32_e32 v1, 16, v1
	s_clause 0x7
	buffer_load_dword v3, v1, s[0:3], 0 offen
	buffer_load_dword v4, v1, s[0:3], 0 offen offset:4
	buffer_load_dword v5, v1, s[0:3], 0 offen offset:8
	;; [unrolled: 1-line block ×6, first 2 shown]
	buffer_load_dword v130, v2, s[0:3], 0 offen
	s_waitcnt vmcnt(7)
	buffer_store_dword v3, v2, s[0:3], 0 offen
	s_waitcnt vmcnt(6)
	buffer_store_dword v4, v2, s[0:3], 0 offen offset:4
	s_waitcnt vmcnt(5)
	buffer_store_dword v5, v2, s[0:3], 0 offen offset:8
	;; [unrolled: 2-line block ×6, first 2 shown]
	s_waitcnt vmcnt(0)
	buffer_store_dword v130, v1, s[0:3], 0 offen
.LBB123_430:
	global_load_dword v0, v0, s[12:13] offset:120
	s_waitcnt vmcnt(0)
	v_add_nc_u32_e32 v0, -1, v0
	v_cmp_eq_u32_e32 vcc_lo, 30, v0
	s_cbranch_vccnz .LBB123_432
; %bb.431:
	v_lshlrev_b32_e32 v0, 4, v0
	v_mov_b32_e32 v1, s42
	v_add_nc_u32_e32 v0, 16, v0
	s_clause 0x7
	buffer_load_dword v2, v0, s[0:3], 0 offen
	buffer_load_dword v3, v0, s[0:3], 0 offen offset:4
	buffer_load_dword v4, v0, s[0:3], 0 offen offset:8
	;; [unrolled: 1-line block ×6, first 2 shown]
	buffer_load_dword v129, v1, s[0:3], 0 offen
	s_waitcnt vmcnt(7)
	buffer_store_dword v2, v1, s[0:3], 0 offen
	s_waitcnt vmcnt(6)
	buffer_store_dword v3, v1, s[0:3], 0 offen offset:4
	s_waitcnt vmcnt(5)
	buffer_store_dword v4, v1, s[0:3], 0 offen offset:8
	;; [unrolled: 2-line block ×6, first 2 shown]
	s_waitcnt vmcnt(0)
	buffer_store_dword v129, v0, s[0:3], 0 offen
.LBB123_432:
	v_mov_b32_e32 v0, 0
	global_load_dword v1, v0, s[12:13] offset:116
	s_waitcnt vmcnt(0)
	v_add_nc_u32_e32 v1, -1, v1
	v_cmp_eq_u32_e32 vcc_lo, 29, v1
	s_cbranch_vccnz .LBB123_434
; %bb.433:
	v_lshlrev_b32_e32 v1, 4, v1
	v_mov_b32_e32 v2, s43
	v_add_nc_u32_e32 v1, 16, v1
	s_clause 0x7
	buffer_load_dword v3, v1, s[0:3], 0 offen
	buffer_load_dword v4, v1, s[0:3], 0 offen offset:4
	buffer_load_dword v5, v1, s[0:3], 0 offen offset:8
	;; [unrolled: 1-line block ×6, first 2 shown]
	buffer_load_dword v130, v2, s[0:3], 0 offen
	s_waitcnt vmcnt(7)
	buffer_store_dword v3, v2, s[0:3], 0 offen
	s_waitcnt vmcnt(6)
	buffer_store_dword v4, v2, s[0:3], 0 offen offset:4
	s_waitcnt vmcnt(5)
	buffer_store_dword v5, v2, s[0:3], 0 offen offset:8
	;; [unrolled: 2-line block ×6, first 2 shown]
	s_waitcnt vmcnt(0)
	buffer_store_dword v130, v1, s[0:3], 0 offen
.LBB123_434:
	global_load_dword v0, v0, s[12:13] offset:112
	s_waitcnt vmcnt(0)
	v_add_nc_u32_e32 v0, -1, v0
	v_cmp_eq_u32_e32 vcc_lo, 28, v0
	s_cbranch_vccnz .LBB123_436
; %bb.435:
	v_lshlrev_b32_e32 v0, 4, v0
	v_mov_b32_e32 v1, s44
	v_add_nc_u32_e32 v0, 16, v0
	s_clause 0x7
	buffer_load_dword v2, v0, s[0:3], 0 offen
	buffer_load_dword v3, v0, s[0:3], 0 offen offset:4
	buffer_load_dword v4, v0, s[0:3], 0 offen offset:8
	;; [unrolled: 1-line block ×6, first 2 shown]
	buffer_load_dword v129, v1, s[0:3], 0 offen
	s_waitcnt vmcnt(7)
	buffer_store_dword v2, v1, s[0:3], 0 offen
	s_waitcnt vmcnt(6)
	buffer_store_dword v3, v1, s[0:3], 0 offen offset:4
	s_waitcnt vmcnt(5)
	buffer_store_dword v4, v1, s[0:3], 0 offen offset:8
	;; [unrolled: 2-line block ×6, first 2 shown]
	s_waitcnt vmcnt(0)
	buffer_store_dword v129, v0, s[0:3], 0 offen
.LBB123_436:
	v_mov_b32_e32 v0, 0
	global_load_dword v1, v0, s[12:13] offset:108
	s_waitcnt vmcnt(0)
	v_add_nc_u32_e32 v1, -1, v1
	v_cmp_eq_u32_e32 vcc_lo, 27, v1
	s_cbranch_vccnz .LBB123_438
; %bb.437:
	v_lshlrev_b32_e32 v1, 4, v1
	v_mov_b32_e32 v2, s45
	v_add_nc_u32_e32 v1, 16, v1
	s_clause 0x7
	buffer_load_dword v3, v1, s[0:3], 0 offen
	buffer_load_dword v4, v1, s[0:3], 0 offen offset:4
	buffer_load_dword v5, v1, s[0:3], 0 offen offset:8
	;; [unrolled: 1-line block ×6, first 2 shown]
	buffer_load_dword v130, v2, s[0:3], 0 offen
	s_waitcnt vmcnt(7)
	buffer_store_dword v3, v2, s[0:3], 0 offen
	s_waitcnt vmcnt(6)
	buffer_store_dword v4, v2, s[0:3], 0 offen offset:4
	s_waitcnt vmcnt(5)
	buffer_store_dword v5, v2, s[0:3], 0 offen offset:8
	s_waitcnt vmcnt(4)
	buffer_store_dword v6, v2, s[0:3], 0 offen offset:12
	s_waitcnt vmcnt(3)
	buffer_store_dword v7, v1, s[0:3], 0 offen offset:12
	s_waitcnt vmcnt(2)
	buffer_store_dword v8, v1, s[0:3], 0 offen offset:8
	s_waitcnt vmcnt(1)
	buffer_store_dword v129, v1, s[0:3], 0 offen offset:4
	s_waitcnt vmcnt(0)
	buffer_store_dword v130, v1, s[0:3], 0 offen
.LBB123_438:
	global_load_dword v0, v0, s[12:13] offset:104
	s_waitcnt vmcnt(0)
	v_add_nc_u32_e32 v0, -1, v0
	v_cmp_eq_u32_e32 vcc_lo, 26, v0
	s_cbranch_vccnz .LBB123_440
; %bb.439:
	v_lshlrev_b32_e32 v0, 4, v0
	v_mov_b32_e32 v1, s46
	v_add_nc_u32_e32 v0, 16, v0
	s_clause 0x7
	buffer_load_dword v2, v0, s[0:3], 0 offen
	buffer_load_dword v3, v0, s[0:3], 0 offen offset:4
	buffer_load_dword v4, v0, s[0:3], 0 offen offset:8
	;; [unrolled: 1-line block ×6, first 2 shown]
	buffer_load_dword v129, v1, s[0:3], 0 offen
	s_waitcnt vmcnt(7)
	buffer_store_dword v2, v1, s[0:3], 0 offen
	s_waitcnt vmcnt(6)
	buffer_store_dword v3, v1, s[0:3], 0 offen offset:4
	s_waitcnt vmcnt(5)
	buffer_store_dword v4, v1, s[0:3], 0 offen offset:8
	;; [unrolled: 2-line block ×6, first 2 shown]
	s_waitcnt vmcnt(0)
	buffer_store_dword v129, v0, s[0:3], 0 offen
.LBB123_440:
	v_mov_b32_e32 v0, 0
	global_load_dword v1, v0, s[12:13] offset:100
	s_waitcnt vmcnt(0)
	v_add_nc_u32_e32 v1, -1, v1
	v_cmp_eq_u32_e32 vcc_lo, 25, v1
	s_cbranch_vccnz .LBB123_442
; %bb.441:
	v_lshlrev_b32_e32 v1, 4, v1
	v_mov_b32_e32 v2, s47
	v_add_nc_u32_e32 v1, 16, v1
	s_clause 0x7
	buffer_load_dword v3, v1, s[0:3], 0 offen
	buffer_load_dword v4, v1, s[0:3], 0 offen offset:4
	buffer_load_dword v5, v1, s[0:3], 0 offen offset:8
	;; [unrolled: 1-line block ×6, first 2 shown]
	buffer_load_dword v130, v2, s[0:3], 0 offen
	s_waitcnt vmcnt(7)
	buffer_store_dword v3, v2, s[0:3], 0 offen
	s_waitcnt vmcnt(6)
	buffer_store_dword v4, v2, s[0:3], 0 offen offset:4
	s_waitcnt vmcnt(5)
	buffer_store_dword v5, v2, s[0:3], 0 offen offset:8
	;; [unrolled: 2-line block ×6, first 2 shown]
	s_waitcnt vmcnt(0)
	buffer_store_dword v130, v1, s[0:3], 0 offen
.LBB123_442:
	global_load_dword v0, v0, s[12:13] offset:96
	s_waitcnt vmcnt(0)
	v_add_nc_u32_e32 v0, -1, v0
	v_cmp_eq_u32_e32 vcc_lo, 24, v0
	s_cbranch_vccnz .LBB123_444
; %bb.443:
	v_lshlrev_b32_e32 v0, 4, v0
	v_mov_b32_e32 v1, s48
	v_add_nc_u32_e32 v0, 16, v0
	s_clause 0x7
	buffer_load_dword v2, v0, s[0:3], 0 offen
	buffer_load_dword v3, v0, s[0:3], 0 offen offset:4
	buffer_load_dword v4, v0, s[0:3], 0 offen offset:8
	;; [unrolled: 1-line block ×6, first 2 shown]
	buffer_load_dword v129, v1, s[0:3], 0 offen
	s_waitcnt vmcnt(7)
	buffer_store_dword v2, v1, s[0:3], 0 offen
	s_waitcnt vmcnt(6)
	buffer_store_dword v3, v1, s[0:3], 0 offen offset:4
	s_waitcnt vmcnt(5)
	buffer_store_dword v4, v1, s[0:3], 0 offen offset:8
	;; [unrolled: 2-line block ×6, first 2 shown]
	s_waitcnt vmcnt(0)
	buffer_store_dword v129, v0, s[0:3], 0 offen
.LBB123_444:
	v_mov_b32_e32 v0, 0
	global_load_dword v1, v0, s[12:13] offset:92
	s_waitcnt vmcnt(0)
	v_add_nc_u32_e32 v1, -1, v1
	v_cmp_eq_u32_e32 vcc_lo, 23, v1
	s_cbranch_vccnz .LBB123_446
; %bb.445:
	v_lshlrev_b32_e32 v1, 4, v1
	v_mov_b32_e32 v2, s49
	v_add_nc_u32_e32 v1, 16, v1
	s_clause 0x7
	buffer_load_dword v3, v1, s[0:3], 0 offen
	buffer_load_dword v4, v1, s[0:3], 0 offen offset:4
	buffer_load_dword v5, v1, s[0:3], 0 offen offset:8
	;; [unrolled: 1-line block ×6, first 2 shown]
	buffer_load_dword v130, v2, s[0:3], 0 offen
	s_waitcnt vmcnt(7)
	buffer_store_dword v3, v2, s[0:3], 0 offen
	s_waitcnt vmcnt(6)
	buffer_store_dword v4, v2, s[0:3], 0 offen offset:4
	s_waitcnt vmcnt(5)
	buffer_store_dword v5, v2, s[0:3], 0 offen offset:8
	;; [unrolled: 2-line block ×6, first 2 shown]
	s_waitcnt vmcnt(0)
	buffer_store_dword v130, v1, s[0:3], 0 offen
.LBB123_446:
	global_load_dword v0, v0, s[12:13] offset:88
	s_waitcnt vmcnt(0)
	v_add_nc_u32_e32 v0, -1, v0
	v_cmp_eq_u32_e32 vcc_lo, 22, v0
	s_cbranch_vccnz .LBB123_448
; %bb.447:
	v_lshlrev_b32_e32 v0, 4, v0
	v_mov_b32_e32 v1, s50
	v_add_nc_u32_e32 v0, 16, v0
	s_clause 0x7
	buffer_load_dword v2, v0, s[0:3], 0 offen
	buffer_load_dword v3, v0, s[0:3], 0 offen offset:4
	buffer_load_dword v4, v0, s[0:3], 0 offen offset:8
	;; [unrolled: 1-line block ×6, first 2 shown]
	buffer_load_dword v129, v1, s[0:3], 0 offen
	s_waitcnt vmcnt(7)
	buffer_store_dword v2, v1, s[0:3], 0 offen
	s_waitcnt vmcnt(6)
	buffer_store_dword v3, v1, s[0:3], 0 offen offset:4
	s_waitcnt vmcnt(5)
	buffer_store_dword v4, v1, s[0:3], 0 offen offset:8
	;; [unrolled: 2-line block ×6, first 2 shown]
	s_waitcnt vmcnt(0)
	buffer_store_dword v129, v0, s[0:3], 0 offen
.LBB123_448:
	v_mov_b32_e32 v0, 0
	global_load_dword v1, v0, s[12:13] offset:84
	s_waitcnt vmcnt(0)
	v_add_nc_u32_e32 v1, -1, v1
	v_cmp_eq_u32_e32 vcc_lo, 21, v1
	s_cbranch_vccnz .LBB123_450
; %bb.449:
	v_lshlrev_b32_e32 v1, 4, v1
	v_mov_b32_e32 v2, s51
	v_add_nc_u32_e32 v1, 16, v1
	s_clause 0x7
	buffer_load_dword v3, v1, s[0:3], 0 offen
	buffer_load_dword v4, v1, s[0:3], 0 offen offset:4
	buffer_load_dword v5, v1, s[0:3], 0 offen offset:8
	;; [unrolled: 1-line block ×6, first 2 shown]
	buffer_load_dword v130, v2, s[0:3], 0 offen
	s_waitcnt vmcnt(7)
	buffer_store_dword v3, v2, s[0:3], 0 offen
	s_waitcnt vmcnt(6)
	buffer_store_dword v4, v2, s[0:3], 0 offen offset:4
	s_waitcnt vmcnt(5)
	buffer_store_dword v5, v2, s[0:3], 0 offen offset:8
	;; [unrolled: 2-line block ×6, first 2 shown]
	s_waitcnt vmcnt(0)
	buffer_store_dword v130, v1, s[0:3], 0 offen
.LBB123_450:
	global_load_dword v0, v0, s[12:13] offset:80
	s_waitcnt vmcnt(0)
	v_add_nc_u32_e32 v0, -1, v0
	v_cmp_eq_u32_e32 vcc_lo, 20, v0
	s_cbranch_vccnz .LBB123_452
; %bb.451:
	v_lshlrev_b32_e32 v0, 4, v0
	v_mov_b32_e32 v1, s52
	v_add_nc_u32_e32 v0, 16, v0
	s_clause 0x7
	buffer_load_dword v2, v0, s[0:3], 0 offen
	buffer_load_dword v3, v0, s[0:3], 0 offen offset:4
	buffer_load_dword v4, v0, s[0:3], 0 offen offset:8
	;; [unrolled: 1-line block ×6, first 2 shown]
	buffer_load_dword v129, v1, s[0:3], 0 offen
	s_waitcnt vmcnt(7)
	buffer_store_dword v2, v1, s[0:3], 0 offen
	s_waitcnt vmcnt(6)
	buffer_store_dword v3, v1, s[0:3], 0 offen offset:4
	s_waitcnt vmcnt(5)
	buffer_store_dword v4, v1, s[0:3], 0 offen offset:8
	;; [unrolled: 2-line block ×6, first 2 shown]
	s_waitcnt vmcnt(0)
	buffer_store_dword v129, v0, s[0:3], 0 offen
.LBB123_452:
	v_mov_b32_e32 v0, 0
	global_load_dword v1, v0, s[12:13] offset:76
	s_waitcnt vmcnt(0)
	v_add_nc_u32_e32 v1, -1, v1
	v_cmp_eq_u32_e32 vcc_lo, 19, v1
	s_cbranch_vccnz .LBB123_454
; %bb.453:
	v_lshlrev_b32_e32 v1, 4, v1
	v_mov_b32_e32 v2, s53
	v_add_nc_u32_e32 v1, 16, v1
	s_clause 0x7
	buffer_load_dword v3, v1, s[0:3], 0 offen
	buffer_load_dword v4, v1, s[0:3], 0 offen offset:4
	buffer_load_dword v5, v1, s[0:3], 0 offen offset:8
	;; [unrolled: 1-line block ×6, first 2 shown]
	buffer_load_dword v130, v2, s[0:3], 0 offen
	s_waitcnt vmcnt(7)
	buffer_store_dword v3, v2, s[0:3], 0 offen
	s_waitcnt vmcnt(6)
	buffer_store_dword v4, v2, s[0:3], 0 offen offset:4
	s_waitcnt vmcnt(5)
	buffer_store_dword v5, v2, s[0:3], 0 offen offset:8
	;; [unrolled: 2-line block ×6, first 2 shown]
	s_waitcnt vmcnt(0)
	buffer_store_dword v130, v1, s[0:3], 0 offen
.LBB123_454:
	global_load_dword v0, v0, s[12:13] offset:72
	s_waitcnt vmcnt(0)
	v_add_nc_u32_e32 v0, -1, v0
	v_cmp_eq_u32_e32 vcc_lo, 18, v0
	s_cbranch_vccnz .LBB123_456
; %bb.455:
	v_lshlrev_b32_e32 v0, 4, v0
	v_mov_b32_e32 v1, s54
	v_add_nc_u32_e32 v0, 16, v0
	s_clause 0x7
	buffer_load_dword v2, v0, s[0:3], 0 offen
	buffer_load_dword v3, v0, s[0:3], 0 offen offset:4
	buffer_load_dword v4, v0, s[0:3], 0 offen offset:8
	;; [unrolled: 1-line block ×6, first 2 shown]
	buffer_load_dword v129, v1, s[0:3], 0 offen
	s_waitcnt vmcnt(7)
	buffer_store_dword v2, v1, s[0:3], 0 offen
	s_waitcnt vmcnt(6)
	buffer_store_dword v3, v1, s[0:3], 0 offen offset:4
	s_waitcnt vmcnt(5)
	buffer_store_dword v4, v1, s[0:3], 0 offen offset:8
	;; [unrolled: 2-line block ×6, first 2 shown]
	s_waitcnt vmcnt(0)
	buffer_store_dword v129, v0, s[0:3], 0 offen
.LBB123_456:
	v_mov_b32_e32 v0, 0
	global_load_dword v1, v0, s[12:13] offset:68
	s_waitcnt vmcnt(0)
	v_add_nc_u32_e32 v1, -1, v1
	v_cmp_eq_u32_e32 vcc_lo, 17, v1
	s_cbranch_vccnz .LBB123_458
; %bb.457:
	v_lshlrev_b32_e32 v1, 4, v1
	v_mov_b32_e32 v2, s55
	v_add_nc_u32_e32 v1, 16, v1
	s_clause 0x7
	buffer_load_dword v3, v1, s[0:3], 0 offen
	buffer_load_dword v4, v1, s[0:3], 0 offen offset:4
	buffer_load_dword v5, v1, s[0:3], 0 offen offset:8
	;; [unrolled: 1-line block ×6, first 2 shown]
	buffer_load_dword v130, v2, s[0:3], 0 offen
	s_waitcnt vmcnt(7)
	buffer_store_dword v3, v2, s[0:3], 0 offen
	s_waitcnt vmcnt(6)
	buffer_store_dword v4, v2, s[0:3], 0 offen offset:4
	s_waitcnt vmcnt(5)
	buffer_store_dword v5, v2, s[0:3], 0 offen offset:8
	;; [unrolled: 2-line block ×6, first 2 shown]
	s_waitcnt vmcnt(0)
	buffer_store_dword v130, v1, s[0:3], 0 offen
.LBB123_458:
	global_load_dword v0, v0, s[12:13] offset:64
	s_waitcnt vmcnt(0)
	v_add_nc_u32_e32 v0, -1, v0
	v_cmp_eq_u32_e32 vcc_lo, 16, v0
	s_cbranch_vccnz .LBB123_460
; %bb.459:
	v_lshlrev_b32_e32 v0, 4, v0
	v_mov_b32_e32 v1, s56
	v_add_nc_u32_e32 v0, 16, v0
	s_clause 0x7
	buffer_load_dword v2, v0, s[0:3], 0 offen
	buffer_load_dword v3, v0, s[0:3], 0 offen offset:4
	buffer_load_dword v4, v0, s[0:3], 0 offen offset:8
	;; [unrolled: 1-line block ×6, first 2 shown]
	buffer_load_dword v129, v1, s[0:3], 0 offen
	s_waitcnt vmcnt(7)
	buffer_store_dword v2, v1, s[0:3], 0 offen
	s_waitcnt vmcnt(6)
	buffer_store_dword v3, v1, s[0:3], 0 offen offset:4
	s_waitcnt vmcnt(5)
	buffer_store_dword v4, v1, s[0:3], 0 offen offset:8
	s_waitcnt vmcnt(4)
	buffer_store_dword v5, v1, s[0:3], 0 offen offset:12
	s_waitcnt vmcnt(3)
	buffer_store_dword v6, v0, s[0:3], 0 offen offset:12
	s_waitcnt vmcnt(2)
	buffer_store_dword v7, v0, s[0:3], 0 offen offset:8
	s_waitcnt vmcnt(1)
	buffer_store_dword v8, v0, s[0:3], 0 offen offset:4
	s_waitcnt vmcnt(0)
	buffer_store_dword v129, v0, s[0:3], 0 offen
.LBB123_460:
	v_mov_b32_e32 v0, 0
	global_load_dword v1, v0, s[12:13] offset:60
	s_waitcnt vmcnt(0)
	v_add_nc_u32_e32 v1, -1, v1
	v_cmp_eq_u32_e32 vcc_lo, 15, v1
	s_cbranch_vccnz .LBB123_462
; %bb.461:
	v_lshlrev_b32_e32 v1, 4, v1
	v_mov_b32_e32 v2, s57
	v_add_nc_u32_e32 v1, 16, v1
	s_clause 0x7
	buffer_load_dword v3, v1, s[0:3], 0 offen
	buffer_load_dword v4, v1, s[0:3], 0 offen offset:4
	buffer_load_dword v5, v1, s[0:3], 0 offen offset:8
	;; [unrolled: 1-line block ×6, first 2 shown]
	buffer_load_dword v130, v2, s[0:3], 0 offen
	s_waitcnt vmcnt(7)
	buffer_store_dword v3, v2, s[0:3], 0 offen
	s_waitcnt vmcnt(6)
	buffer_store_dword v4, v2, s[0:3], 0 offen offset:4
	s_waitcnt vmcnt(5)
	buffer_store_dword v5, v2, s[0:3], 0 offen offset:8
	;; [unrolled: 2-line block ×6, first 2 shown]
	s_waitcnt vmcnt(0)
	buffer_store_dword v130, v1, s[0:3], 0 offen
.LBB123_462:
	global_load_dword v0, v0, s[12:13] offset:56
	s_waitcnt vmcnt(0)
	v_add_nc_u32_e32 v0, -1, v0
	v_cmp_eq_u32_e32 vcc_lo, 14, v0
	s_cbranch_vccnz .LBB123_464
; %bb.463:
	v_lshlrev_b32_e32 v0, 4, v0
	v_mov_b32_e32 v1, s58
	v_add_nc_u32_e32 v0, 16, v0
	s_clause 0x7
	buffer_load_dword v2, v0, s[0:3], 0 offen
	buffer_load_dword v3, v0, s[0:3], 0 offen offset:4
	buffer_load_dword v4, v0, s[0:3], 0 offen offset:8
	buffer_load_dword v5, v0, s[0:3], 0 offen offset:12
	buffer_load_dword v6, v1, s[0:3], 0 offen offset:12
	buffer_load_dword v7, v1, s[0:3], 0 offen offset:8
	buffer_load_dword v8, v1, s[0:3], 0 offen offset:4
	buffer_load_dword v129, v1, s[0:3], 0 offen
	s_waitcnt vmcnt(7)
	buffer_store_dword v2, v1, s[0:3], 0 offen
	s_waitcnt vmcnt(6)
	buffer_store_dword v3, v1, s[0:3], 0 offen offset:4
	s_waitcnt vmcnt(5)
	buffer_store_dword v4, v1, s[0:3], 0 offen offset:8
	;; [unrolled: 2-line block ×6, first 2 shown]
	s_waitcnt vmcnt(0)
	buffer_store_dword v129, v0, s[0:3], 0 offen
.LBB123_464:
	v_mov_b32_e32 v0, 0
	global_load_dword v1, v0, s[12:13] offset:52
	s_waitcnt vmcnt(0)
	v_add_nc_u32_e32 v1, -1, v1
	v_cmp_eq_u32_e32 vcc_lo, 13, v1
	s_cbranch_vccnz .LBB123_466
; %bb.465:
	v_lshlrev_b32_e32 v1, 4, v1
	v_mov_b32_e32 v2, s59
	v_add_nc_u32_e32 v1, 16, v1
	s_clause 0x7
	buffer_load_dword v3, v1, s[0:3], 0 offen
	buffer_load_dword v4, v1, s[0:3], 0 offen offset:4
	buffer_load_dword v5, v1, s[0:3], 0 offen offset:8
	;; [unrolled: 1-line block ×6, first 2 shown]
	buffer_load_dword v130, v2, s[0:3], 0 offen
	s_waitcnt vmcnt(7)
	buffer_store_dword v3, v2, s[0:3], 0 offen
	s_waitcnt vmcnt(6)
	buffer_store_dword v4, v2, s[0:3], 0 offen offset:4
	s_waitcnt vmcnt(5)
	buffer_store_dword v5, v2, s[0:3], 0 offen offset:8
	;; [unrolled: 2-line block ×6, first 2 shown]
	s_waitcnt vmcnt(0)
	buffer_store_dword v130, v1, s[0:3], 0 offen
.LBB123_466:
	global_load_dword v0, v0, s[12:13] offset:48
	s_waitcnt vmcnt(0)
	v_add_nc_u32_e32 v0, -1, v0
	v_cmp_eq_u32_e32 vcc_lo, 12, v0
	s_cbranch_vccnz .LBB123_468
; %bb.467:
	v_lshlrev_b32_e32 v0, 4, v0
	v_mov_b32_e32 v1, s60
	v_add_nc_u32_e32 v0, 16, v0
	s_clause 0x7
	buffer_load_dword v2, v0, s[0:3], 0 offen
	buffer_load_dword v3, v0, s[0:3], 0 offen offset:4
	buffer_load_dword v4, v0, s[0:3], 0 offen offset:8
	;; [unrolled: 1-line block ×6, first 2 shown]
	buffer_load_dword v129, v1, s[0:3], 0 offen
	s_waitcnt vmcnt(7)
	buffer_store_dword v2, v1, s[0:3], 0 offen
	s_waitcnt vmcnt(6)
	buffer_store_dword v3, v1, s[0:3], 0 offen offset:4
	s_waitcnt vmcnt(5)
	buffer_store_dword v4, v1, s[0:3], 0 offen offset:8
	;; [unrolled: 2-line block ×6, first 2 shown]
	s_waitcnt vmcnt(0)
	buffer_store_dword v129, v0, s[0:3], 0 offen
.LBB123_468:
	v_mov_b32_e32 v0, 0
	global_load_dword v1, v0, s[12:13] offset:44
	s_waitcnt vmcnt(0)
	v_add_nc_u32_e32 v1, -1, v1
	v_cmp_eq_u32_e32 vcc_lo, 11, v1
	s_cbranch_vccnz .LBB123_470
; %bb.469:
	v_lshlrev_b32_e32 v1, 4, v1
	v_mov_b32_e32 v2, s61
	v_add_nc_u32_e32 v1, 16, v1
	s_clause 0x7
	buffer_load_dword v3, v1, s[0:3], 0 offen
	buffer_load_dword v4, v1, s[0:3], 0 offen offset:4
	buffer_load_dword v5, v1, s[0:3], 0 offen offset:8
	;; [unrolled: 1-line block ×6, first 2 shown]
	buffer_load_dword v130, v2, s[0:3], 0 offen
	s_waitcnt vmcnt(7)
	buffer_store_dword v3, v2, s[0:3], 0 offen
	s_waitcnt vmcnt(6)
	buffer_store_dword v4, v2, s[0:3], 0 offen offset:4
	s_waitcnt vmcnt(5)
	buffer_store_dword v5, v2, s[0:3], 0 offen offset:8
	;; [unrolled: 2-line block ×6, first 2 shown]
	s_waitcnt vmcnt(0)
	buffer_store_dword v130, v1, s[0:3], 0 offen
.LBB123_470:
	global_load_dword v0, v0, s[12:13] offset:40
	s_waitcnt vmcnt(0)
	v_add_nc_u32_e32 v0, -1, v0
	v_cmp_eq_u32_e32 vcc_lo, 10, v0
	s_cbranch_vccnz .LBB123_472
; %bb.471:
	v_lshlrev_b32_e32 v0, 4, v0
	v_mov_b32_e32 v1, s62
	v_add_nc_u32_e32 v0, 16, v0
	s_clause 0x7
	buffer_load_dword v2, v0, s[0:3], 0 offen
	buffer_load_dword v3, v0, s[0:3], 0 offen offset:4
	buffer_load_dword v4, v0, s[0:3], 0 offen offset:8
	;; [unrolled: 1-line block ×6, first 2 shown]
	buffer_load_dword v129, v1, s[0:3], 0 offen
	s_waitcnt vmcnt(7)
	buffer_store_dword v2, v1, s[0:3], 0 offen
	s_waitcnt vmcnt(6)
	buffer_store_dword v3, v1, s[0:3], 0 offen offset:4
	s_waitcnt vmcnt(5)
	buffer_store_dword v4, v1, s[0:3], 0 offen offset:8
	;; [unrolled: 2-line block ×6, first 2 shown]
	s_waitcnt vmcnt(0)
	buffer_store_dword v129, v0, s[0:3], 0 offen
.LBB123_472:
	v_mov_b32_e32 v0, 0
	global_load_dword v1, v0, s[12:13] offset:36
	s_waitcnt vmcnt(0)
	v_add_nc_u32_e32 v1, -1, v1
	v_cmp_eq_u32_e32 vcc_lo, 9, v1
	s_cbranch_vccnz .LBB123_474
; %bb.473:
	v_lshlrev_b32_e32 v1, 4, v1
	v_mov_b32_e32 v2, s63
	v_add_nc_u32_e32 v1, 16, v1
	s_clause 0x7
	buffer_load_dword v3, v1, s[0:3], 0 offen
	buffer_load_dword v4, v1, s[0:3], 0 offen offset:4
	buffer_load_dword v5, v1, s[0:3], 0 offen offset:8
	;; [unrolled: 1-line block ×6, first 2 shown]
	buffer_load_dword v130, v2, s[0:3], 0 offen
	s_waitcnt vmcnt(7)
	buffer_store_dword v3, v2, s[0:3], 0 offen
	s_waitcnt vmcnt(6)
	buffer_store_dword v4, v2, s[0:3], 0 offen offset:4
	s_waitcnt vmcnt(5)
	buffer_store_dword v5, v2, s[0:3], 0 offen offset:8
	;; [unrolled: 2-line block ×6, first 2 shown]
	s_waitcnt vmcnt(0)
	buffer_store_dword v130, v1, s[0:3], 0 offen
.LBB123_474:
	global_load_dword v0, v0, s[12:13] offset:32
	s_waitcnt vmcnt(0)
	v_add_nc_u32_e32 v0, -1, v0
	v_cmp_eq_u32_e32 vcc_lo, 8, v0
	s_cbranch_vccnz .LBB123_476
; %bb.475:
	v_lshlrev_b32_e32 v0, 4, v0
	v_mov_b32_e32 v1, s64
	v_add_nc_u32_e32 v0, 16, v0
	s_clause 0x7
	buffer_load_dword v2, v0, s[0:3], 0 offen
	buffer_load_dword v3, v0, s[0:3], 0 offen offset:4
	buffer_load_dword v4, v0, s[0:3], 0 offen offset:8
	buffer_load_dword v5, v0, s[0:3], 0 offen offset:12
	buffer_load_dword v6, v1, s[0:3], 0 offen offset:12
	buffer_load_dword v7, v1, s[0:3], 0 offen offset:8
	buffer_load_dword v8, v1, s[0:3], 0 offen offset:4
	buffer_load_dword v129, v1, s[0:3], 0 offen
	s_waitcnt vmcnt(7)
	buffer_store_dword v2, v1, s[0:3], 0 offen
	s_waitcnt vmcnt(6)
	buffer_store_dword v3, v1, s[0:3], 0 offen offset:4
	s_waitcnt vmcnt(5)
	buffer_store_dword v4, v1, s[0:3], 0 offen offset:8
	;; [unrolled: 2-line block ×6, first 2 shown]
	s_waitcnt vmcnt(0)
	buffer_store_dword v129, v0, s[0:3], 0 offen
.LBB123_476:
	v_mov_b32_e32 v0, 0
	global_load_dword v1, v0, s[12:13] offset:28
	s_waitcnt vmcnt(0)
	v_add_nc_u32_e32 v1, -1, v1
	v_cmp_eq_u32_e32 vcc_lo, 7, v1
	s_cbranch_vccnz .LBB123_478
; %bb.477:
	v_lshlrev_b32_e32 v1, 4, v1
	v_mov_b32_e32 v2, s65
	v_add_nc_u32_e32 v1, 16, v1
	s_clause 0x7
	buffer_load_dword v3, v1, s[0:3], 0 offen
	buffer_load_dword v4, v1, s[0:3], 0 offen offset:4
	buffer_load_dword v5, v1, s[0:3], 0 offen offset:8
	;; [unrolled: 1-line block ×6, first 2 shown]
	buffer_load_dword v130, v2, s[0:3], 0 offen
	s_waitcnt vmcnt(7)
	buffer_store_dword v3, v2, s[0:3], 0 offen
	s_waitcnt vmcnt(6)
	buffer_store_dword v4, v2, s[0:3], 0 offen offset:4
	s_waitcnt vmcnt(5)
	buffer_store_dword v5, v2, s[0:3], 0 offen offset:8
	;; [unrolled: 2-line block ×6, first 2 shown]
	s_waitcnt vmcnt(0)
	buffer_store_dword v130, v1, s[0:3], 0 offen
.LBB123_478:
	global_load_dword v0, v0, s[12:13] offset:24
	s_waitcnt vmcnt(0)
	v_add_nc_u32_e32 v0, -1, v0
	v_cmp_eq_u32_e32 vcc_lo, 6, v0
	s_cbranch_vccnz .LBB123_480
; %bb.479:
	v_lshlrev_b32_e32 v0, 4, v0
	v_mov_b32_e32 v1, s66
	v_add_nc_u32_e32 v0, 16, v0
	s_clause 0x7
	buffer_load_dword v2, v0, s[0:3], 0 offen
	buffer_load_dword v3, v0, s[0:3], 0 offen offset:4
	buffer_load_dword v4, v0, s[0:3], 0 offen offset:8
	;; [unrolled: 1-line block ×6, first 2 shown]
	buffer_load_dword v129, v1, s[0:3], 0 offen
	s_waitcnt vmcnt(7)
	buffer_store_dword v2, v1, s[0:3], 0 offen
	s_waitcnt vmcnt(6)
	buffer_store_dword v3, v1, s[0:3], 0 offen offset:4
	s_waitcnt vmcnt(5)
	buffer_store_dword v4, v1, s[0:3], 0 offen offset:8
	;; [unrolled: 2-line block ×6, first 2 shown]
	s_waitcnt vmcnt(0)
	buffer_store_dword v129, v0, s[0:3], 0 offen
.LBB123_480:
	v_mov_b32_e32 v0, 0
	global_load_dword v1, v0, s[12:13] offset:20
	s_waitcnt vmcnt(0)
	v_add_nc_u32_e32 v1, -1, v1
	v_cmp_eq_u32_e32 vcc_lo, 5, v1
	s_cbranch_vccnz .LBB123_482
; %bb.481:
	v_lshlrev_b32_e32 v1, 4, v1
	v_mov_b32_e32 v2, s67
	v_add_nc_u32_e32 v1, 16, v1
	s_clause 0x7
	buffer_load_dword v3, v1, s[0:3], 0 offen
	buffer_load_dword v4, v1, s[0:3], 0 offen offset:4
	buffer_load_dword v5, v1, s[0:3], 0 offen offset:8
	;; [unrolled: 1-line block ×6, first 2 shown]
	buffer_load_dword v130, v2, s[0:3], 0 offen
	s_waitcnt vmcnt(7)
	buffer_store_dword v3, v2, s[0:3], 0 offen
	s_waitcnt vmcnt(6)
	buffer_store_dword v4, v2, s[0:3], 0 offen offset:4
	s_waitcnt vmcnt(5)
	buffer_store_dword v5, v2, s[0:3], 0 offen offset:8
	;; [unrolled: 2-line block ×6, first 2 shown]
	s_waitcnt vmcnt(0)
	buffer_store_dword v130, v1, s[0:3], 0 offen
.LBB123_482:
	global_load_dword v0, v0, s[12:13] offset:16
	s_waitcnt vmcnt(0)
	v_add_nc_u32_e32 v0, -1, v0
	v_cmp_eq_u32_e32 vcc_lo, 4, v0
	s_cbranch_vccnz .LBB123_484
; %bb.483:
	v_lshlrev_b32_e32 v0, 4, v0
	v_mov_b32_e32 v1, s68
	v_add_nc_u32_e32 v0, 16, v0
	s_clause 0x7
	buffer_load_dword v2, v0, s[0:3], 0 offen
	buffer_load_dword v3, v0, s[0:3], 0 offen offset:4
	buffer_load_dword v4, v0, s[0:3], 0 offen offset:8
	;; [unrolled: 1-line block ×6, first 2 shown]
	buffer_load_dword v129, v1, s[0:3], 0 offen
	s_waitcnt vmcnt(7)
	buffer_store_dword v2, v1, s[0:3], 0 offen
	s_waitcnt vmcnt(6)
	buffer_store_dword v3, v1, s[0:3], 0 offen offset:4
	s_waitcnt vmcnt(5)
	buffer_store_dword v4, v1, s[0:3], 0 offen offset:8
	;; [unrolled: 2-line block ×6, first 2 shown]
	s_waitcnt vmcnt(0)
	buffer_store_dword v129, v0, s[0:3], 0 offen
.LBB123_484:
	v_mov_b32_e32 v0, 0
	global_load_dword v1, v0, s[12:13] offset:12
	s_waitcnt vmcnt(0)
	v_add_nc_u32_e32 v1, -1, v1
	v_cmp_eq_u32_e32 vcc_lo, 3, v1
	s_cbranch_vccnz .LBB123_486
; %bb.485:
	v_lshlrev_b32_e32 v1, 4, v1
	v_mov_b32_e32 v2, s69
	v_add_nc_u32_e32 v1, 16, v1
	s_clause 0x7
	buffer_load_dword v3, v1, s[0:3], 0 offen
	buffer_load_dword v4, v1, s[0:3], 0 offen offset:4
	buffer_load_dword v5, v1, s[0:3], 0 offen offset:8
	;; [unrolled: 1-line block ×6, first 2 shown]
	buffer_load_dword v130, v2, s[0:3], 0 offen
	s_waitcnt vmcnt(7)
	buffer_store_dword v3, v2, s[0:3], 0 offen
	s_waitcnt vmcnt(6)
	buffer_store_dword v4, v2, s[0:3], 0 offen offset:4
	s_waitcnt vmcnt(5)
	buffer_store_dword v5, v2, s[0:3], 0 offen offset:8
	;; [unrolled: 2-line block ×6, first 2 shown]
	s_waitcnt vmcnt(0)
	buffer_store_dword v130, v1, s[0:3], 0 offen
.LBB123_486:
	global_load_dword v0, v0, s[12:13] offset:8
	s_waitcnt vmcnt(0)
	v_add_nc_u32_e32 v0, -1, v0
	v_cmp_eq_u32_e32 vcc_lo, 2, v0
	s_cbranch_vccnz .LBB123_488
; %bb.487:
	v_lshlrev_b32_e32 v0, 4, v0
	v_mov_b32_e32 v1, s70
	v_add_nc_u32_e32 v0, 16, v0
	s_clause 0x7
	buffer_load_dword v2, v0, s[0:3], 0 offen
	buffer_load_dword v3, v0, s[0:3], 0 offen offset:4
	buffer_load_dword v4, v0, s[0:3], 0 offen offset:8
	;; [unrolled: 1-line block ×6, first 2 shown]
	buffer_load_dword v129, v1, s[0:3], 0 offen
	s_waitcnt vmcnt(7)
	buffer_store_dword v2, v1, s[0:3], 0 offen
	s_waitcnt vmcnt(6)
	buffer_store_dword v3, v1, s[0:3], 0 offen offset:4
	s_waitcnt vmcnt(5)
	buffer_store_dword v4, v1, s[0:3], 0 offen offset:8
	;; [unrolled: 2-line block ×6, first 2 shown]
	s_waitcnt vmcnt(0)
	buffer_store_dword v129, v0, s[0:3], 0 offen
.LBB123_488:
	v_mov_b32_e32 v0, 0
	global_load_dword v1, v0, s[12:13] offset:4
	s_waitcnt vmcnt(0)
	v_add_nc_u32_e32 v1, -1, v1
	v_cmp_eq_u32_e32 vcc_lo, 1, v1
	s_cbranch_vccnz .LBB123_490
; %bb.489:
	v_lshlrev_b32_e32 v1, 4, v1
	v_mov_b32_e32 v2, s71
	v_add_nc_u32_e32 v1, 16, v1
	s_clause 0x7
	buffer_load_dword v3, v1, s[0:3], 0 offen
	buffer_load_dword v4, v1, s[0:3], 0 offen offset:4
	buffer_load_dword v5, v1, s[0:3], 0 offen offset:8
	buffer_load_dword v6, v1, s[0:3], 0 offen offset:12
	buffer_load_dword v7, v2, s[0:3], 0 offen offset:12
	buffer_load_dword v8, v2, s[0:3], 0 offen offset:8
	buffer_load_dword v129, v2, s[0:3], 0 offen offset:4
	buffer_load_dword v130, v2, s[0:3], 0 offen
	s_waitcnt vmcnt(7)
	buffer_store_dword v3, v2, s[0:3], 0 offen
	s_waitcnt vmcnt(6)
	buffer_store_dword v4, v2, s[0:3], 0 offen offset:4
	s_waitcnt vmcnt(5)
	buffer_store_dword v5, v2, s[0:3], 0 offen offset:8
	;; [unrolled: 2-line block ×6, first 2 shown]
	s_waitcnt vmcnt(0)
	buffer_store_dword v130, v1, s[0:3], 0 offen
.LBB123_490:
	global_load_dword v0, v0, s[12:13]
	s_waitcnt vmcnt(0)
	v_add_nc_u32_e32 v0, -1, v0
	v_cmp_eq_u32_e32 vcc_lo, 0, v0
	s_cbranch_vccnz .LBB123_492
; %bb.491:
	v_lshlrev_b32_e32 v0, 4, v0
	v_add_nc_u32_e32 v0, 16, v0
	s_clause 0x7
	buffer_load_dword v1, v0, s[0:3], 0 offen
	buffer_load_dword v2, v0, s[0:3], 0 offen offset:4
	buffer_load_dword v3, v0, s[0:3], 0 offen offset:8
	;; [unrolled: 1-line block ×3, first 2 shown]
	buffer_load_dword v5, off, s[0:3], 0 offset:28
	buffer_load_dword v6, off, s[0:3], 0 offset:24
	;; [unrolled: 1-line block ×4, first 2 shown]
	s_waitcnt vmcnt(7)
	buffer_store_dword v1, off, s[0:3], 0 offset:16
	s_waitcnt vmcnt(6)
	buffer_store_dword v2, off, s[0:3], 0 offset:20
	;; [unrolled: 2-line block ×4, first 2 shown]
	s_waitcnt vmcnt(3)
	buffer_store_dword v5, v0, s[0:3], 0 offen offset:12
	s_waitcnt vmcnt(2)
	buffer_store_dword v6, v0, s[0:3], 0 offen offset:8
	;; [unrolled: 2-line block ×3, first 2 shown]
	s_waitcnt vmcnt(0)
	buffer_store_dword v8, v0, s[0:3], 0 offen
.LBB123_492:
	s_clause 0x3
	buffer_load_dword v0, off, s[0:3], 0 offset:16
	buffer_load_dword v1, off, s[0:3], 0 offset:20
	;; [unrolled: 1-line block ×4, first 2 shown]
	v_mov_b32_e32 v4, s71
	s_waitcnt vmcnt(0)
	flat_store_dwordx4 v[9:10], v[0:3]
	s_clause 0x3
	buffer_load_dword v0, v4, s[0:3], 0 offen
	buffer_load_dword v1, v4, s[0:3], 0 offen offset:4
	buffer_load_dword v2, v4, s[0:3], 0 offen offset:8
	buffer_load_dword v3, v4, s[0:3], 0 offen offset:12
	v_mov_b32_e32 v4, s70
	s_waitcnt vmcnt(0)
	flat_store_dwordx4 v[63:64], v[0:3]
	s_clause 0x3
	buffer_load_dword v0, v4, s[0:3], 0 offen
	buffer_load_dword v1, v4, s[0:3], 0 offen offset:4
	buffer_load_dword v2, v4, s[0:3], 0 offen offset:8
	buffer_load_dword v3, v4, s[0:3], 0 offen offset:12
	;; [unrolled: 8-line block ×59, first 2 shown]
	s_waitcnt vmcnt(0)
	flat_store_dwordx4 v[127:128], v[0:3]
	s_endpgm
	.section	.rodata,"a",@progbits
	.p2align	6, 0x0
	.amdhsa_kernel _ZN9rocsolver6v33100L18getri_kernel_smallILi60E19rocblas_complex_numIdEPKPS3_EEvT1_iilPiilS8_bb
		.amdhsa_group_segment_fixed_size 1928
		.amdhsa_private_segment_fixed_size 992
		.amdhsa_kernarg_size 60
		.amdhsa_user_sgpr_count 6
		.amdhsa_user_sgpr_private_segment_buffer 1
		.amdhsa_user_sgpr_dispatch_ptr 0
		.amdhsa_user_sgpr_queue_ptr 0
		.amdhsa_user_sgpr_kernarg_segment_ptr 1
		.amdhsa_user_sgpr_dispatch_id 0
		.amdhsa_user_sgpr_flat_scratch_init 0
		.amdhsa_user_sgpr_private_segment_size 0
		.amdhsa_wavefront_size32 1
		.amdhsa_uses_dynamic_stack 0
		.amdhsa_system_sgpr_private_segment_wavefront_offset 1
		.amdhsa_system_sgpr_workgroup_id_x 1
		.amdhsa_system_sgpr_workgroup_id_y 0
		.amdhsa_system_sgpr_workgroup_id_z 0
		.amdhsa_system_sgpr_workgroup_info 0
		.amdhsa_system_vgpr_workitem_id 0
		.amdhsa_next_free_vgpr 215
		.amdhsa_next_free_sgpr 101
		.amdhsa_reserve_vcc 1
		.amdhsa_reserve_flat_scratch 0
		.amdhsa_float_round_mode_32 0
		.amdhsa_float_round_mode_16_64 0
		.amdhsa_float_denorm_mode_32 3
		.amdhsa_float_denorm_mode_16_64 3
		.amdhsa_dx10_clamp 1
		.amdhsa_ieee_mode 1
		.amdhsa_fp16_overflow 0
		.amdhsa_workgroup_processor_mode 1
		.amdhsa_memory_ordered 1
		.amdhsa_forward_progress 1
		.amdhsa_shared_vgpr_count 0
		.amdhsa_exception_fp_ieee_invalid_op 0
		.amdhsa_exception_fp_denorm_src 0
		.amdhsa_exception_fp_ieee_div_zero 0
		.amdhsa_exception_fp_ieee_overflow 0
		.amdhsa_exception_fp_ieee_underflow 0
		.amdhsa_exception_fp_ieee_inexact 0
		.amdhsa_exception_int_div_zero 0
	.end_amdhsa_kernel
	.section	.text._ZN9rocsolver6v33100L18getri_kernel_smallILi60E19rocblas_complex_numIdEPKPS3_EEvT1_iilPiilS8_bb,"axG",@progbits,_ZN9rocsolver6v33100L18getri_kernel_smallILi60E19rocblas_complex_numIdEPKPS3_EEvT1_iilPiilS8_bb,comdat
.Lfunc_end123:
	.size	_ZN9rocsolver6v33100L18getri_kernel_smallILi60E19rocblas_complex_numIdEPKPS3_EEvT1_iilPiilS8_bb, .Lfunc_end123-_ZN9rocsolver6v33100L18getri_kernel_smallILi60E19rocblas_complex_numIdEPKPS3_EEvT1_iilPiilS8_bb
                                        ; -- End function
	.set _ZN9rocsolver6v33100L18getri_kernel_smallILi60E19rocblas_complex_numIdEPKPS3_EEvT1_iilPiilS8_bb.num_vgpr, 215
	.set _ZN9rocsolver6v33100L18getri_kernel_smallILi60E19rocblas_complex_numIdEPKPS3_EEvT1_iilPiilS8_bb.num_agpr, 0
	.set _ZN9rocsolver6v33100L18getri_kernel_smallILi60E19rocblas_complex_numIdEPKPS3_EEvT1_iilPiilS8_bb.numbered_sgpr, 101
	.set _ZN9rocsolver6v33100L18getri_kernel_smallILi60E19rocblas_complex_numIdEPKPS3_EEvT1_iilPiilS8_bb.num_named_barrier, 0
	.set _ZN9rocsolver6v33100L18getri_kernel_smallILi60E19rocblas_complex_numIdEPKPS3_EEvT1_iilPiilS8_bb.private_seg_size, 992
	.set _ZN9rocsolver6v33100L18getri_kernel_smallILi60E19rocblas_complex_numIdEPKPS3_EEvT1_iilPiilS8_bb.uses_vcc, 1
	.set _ZN9rocsolver6v33100L18getri_kernel_smallILi60E19rocblas_complex_numIdEPKPS3_EEvT1_iilPiilS8_bb.uses_flat_scratch, 0
	.set _ZN9rocsolver6v33100L18getri_kernel_smallILi60E19rocblas_complex_numIdEPKPS3_EEvT1_iilPiilS8_bb.has_dyn_sized_stack, 0
	.set _ZN9rocsolver6v33100L18getri_kernel_smallILi60E19rocblas_complex_numIdEPKPS3_EEvT1_iilPiilS8_bb.has_recursion, 0
	.set _ZN9rocsolver6v33100L18getri_kernel_smallILi60E19rocblas_complex_numIdEPKPS3_EEvT1_iilPiilS8_bb.has_indirect_call, 0
	.section	.AMDGPU.csdata,"",@progbits
; Kernel info:
; codeLenInByte = 230660
; TotalNumSgprs: 103
; NumVgprs: 215
; ScratchSize: 992
; MemoryBound: 0
; FloatMode: 240
; IeeeMode: 1
; LDSByteSize: 1928 bytes/workgroup (compile time only)
; SGPRBlocks: 0
; VGPRBlocks: 26
; NumSGPRsForWavesPerEU: 103
; NumVGPRsForWavesPerEU: 215
; Occupancy: 4
; WaveLimiterHint : 1
; COMPUTE_PGM_RSRC2:SCRATCH_EN: 1
; COMPUTE_PGM_RSRC2:USER_SGPR: 6
; COMPUTE_PGM_RSRC2:TRAP_HANDLER: 0
; COMPUTE_PGM_RSRC2:TGID_X_EN: 1
; COMPUTE_PGM_RSRC2:TGID_Y_EN: 0
; COMPUTE_PGM_RSRC2:TGID_Z_EN: 0
; COMPUTE_PGM_RSRC2:TIDIG_COMP_CNT: 0
	.section	.text._ZN9rocsolver6v33100L18getri_kernel_smallILi61E19rocblas_complex_numIdEPKPS3_EEvT1_iilPiilS8_bb,"axG",@progbits,_ZN9rocsolver6v33100L18getri_kernel_smallILi61E19rocblas_complex_numIdEPKPS3_EEvT1_iilPiilS8_bb,comdat
	.globl	_ZN9rocsolver6v33100L18getri_kernel_smallILi61E19rocblas_complex_numIdEPKPS3_EEvT1_iilPiilS8_bb ; -- Begin function _ZN9rocsolver6v33100L18getri_kernel_smallILi61E19rocblas_complex_numIdEPKPS3_EEvT1_iilPiilS8_bb
	.p2align	8
	.type	_ZN9rocsolver6v33100L18getri_kernel_smallILi61E19rocblas_complex_numIdEPKPS3_EEvT1_iilPiilS8_bb,@function
_ZN9rocsolver6v33100L18getri_kernel_smallILi61E19rocblas_complex_numIdEPKPS3_EEvT1_iilPiilS8_bb: ; @_ZN9rocsolver6v33100L18getri_kernel_smallILi61E19rocblas_complex_numIdEPKPS3_EEvT1_iilPiilS8_bb
; %bb.0:
	s_add_u32 s0, s0, s7
	s_addc_u32 s1, s1, 0
	s_mov_b32 s7, exec_lo
	v_cmpx_gt_u32_e32 61, v0
	s_cbranch_execz .LBB124_270
; %bb.1:
	s_clause 0x2
	s_load_dword s16, s[4:5], 0x38
	s_load_dwordx2 s[12:13], s[4:5], 0x0
	s_load_dwordx4 s[8:11], s[4:5], 0x28
	s_waitcnt lgkmcnt(0)
	s_bitcmp1_b32 s16, 8
	s_cselect_b32 s75, -1, 0
	s_ashr_i32 s7, s6, 31
	s_lshl_b64 s[14:15], s[6:7], 3
	s_add_u32 s12, s12, s14
	s_addc_u32 s13, s13, s15
	s_load_dwordx2 s[14:15], s[12:13], 0x0
	s_bfe_u32 s12, s16, 0x10008
	s_cmp_eq_u32 s12, 0
                                        ; implicit-def: $sgpr12_sgpr13
	s_cbranch_scc1 .LBB124_3
; %bb.2:
	s_clause 0x1
	s_load_dword s12, s[4:5], 0x20
	s_load_dwordx2 s[16:17], s[4:5], 0x18
	s_mul_i32 s13, s8, s7
	s_mul_hi_u32 s18, s8, s6
	s_mul_i32 s9, s9, s6
	s_add_i32 s13, s18, s13
	s_mul_i32 s8, s8, s6
	s_add_i32 s9, s13, s9
	s_lshl_b64 s[8:9], s[8:9], 2
	s_waitcnt lgkmcnt(0)
	s_ashr_i32 s13, s12, 31
	s_add_u32 s16, s16, s8
	s_addc_u32 s17, s17, s9
	s_lshl_b64 s[8:9], s[12:13], 2
	s_add_u32 s12, s16, s8
	s_addc_u32 s13, s17, s9
.LBB124_3:
	s_clause 0x1
	s_load_dwordx2 s[8:9], s[4:5], 0x8
	s_load_dword s76, s[4:5], 0x38
	v_lshlrev_b32_e32 v133, 4, v0
	s_movk_i32 s16, 0xa0
	s_movk_i32 s17, 0xb0
	;; [unrolled: 1-line block ×17, first 2 shown]
	s_waitcnt lgkmcnt(0)
	s_ashr_i32 s5, s8, 31
	s_mov_b32 s4, s8
	v_add3_u32 v5, s9, s9, v0
	s_lshl_b64 s[4:5], s[4:5], 4
	s_movk_i32 s34, 0x1b0
	s_add_u32 s8, s14, s4
	s_addc_u32 s14, s15, s5
	v_add_co_u32 v9, s4, s8, v133
	v_add_co_ci_u32_e64 v10, null, s14, 0, s4
	s_mov_b32 s4, s9
	s_ashr_i32 s5, s9, 31
	v_ashrrev_i32_e32 v6, 31, v5
	flat_load_dwordx4 v[1:4], v[9:10]
	s_lshl_b64 s[4:5], s[4:5], 4
	s_movk_i32 s15, 0x90
	v_add_co_u32 v63, vcc_lo, v9, s4
	v_add_co_ci_u32_e64 v64, null, s5, v10, vcc_lo
	v_lshlrev_b64 v[6:7], 4, v[5:6]
	v_add_nc_u32_e32 v5, s9, v5
	s_movk_i32 s4, 0x50
	s_movk_i32 s35, 0x1c0
	s_movk_i32 s36, 0x1d0
	s_movk_i32 s37, 0x1e0
	v_add_co_u32 v61, vcc_lo, s8, v6
	v_add_co_ci_u32_e64 v62, null, s14, v7, vcc_lo
	v_ashrrev_i32_e32 v6, 31, v5
	s_movk_i32 s38, 0x1f0
	s_movk_i32 s39, 0x200
	s_movk_i32 s40, 0x210
	s_movk_i32 s41, 0x220
	v_lshlrev_b64 v[6:7], 4, v[5:6]
	v_add_nc_u32_e32 v5, s9, v5
	s_movk_i32 s77, 0x230
	s_movk_i32 s78, 0x240
	s_movk_i32 s79, 0x250
	s_movk_i32 s80, 0x260
	v_add_co_u32 v57, vcc_lo, s8, v6
	v_add_co_ci_u32_e64 v58, null, s14, v7, vcc_lo
	v_ashrrev_i32_e32 v6, 31, v5
	s_movk_i32 s81, 0x270
	s_movk_i32 s82, 0x280
	s_movk_i32 s83, 0x290
	s_movk_i32 s84, 0x2a0
	;; [unrolled: 13-line block ×4, first 2 shown]
	v_lshlrev_b64 v[6:7], 4, v[5:6]
	v_add_nc_u32_e32 v5, s9, v5
	s_movk_i32 s101, 0x3b0
	s_movk_i32 s104, 0x3c0
	s_add_i32 s70, s4, 16
	s_add_i32 s66, s15, 16
	v_add_co_u32 v51, vcc_lo, s8, v6
	v_add_co_ci_u32_e64 v52, null, s14, v7, vcc_lo
	v_ashrrev_i32_e32 v6, 31, v5
	s_add_i32 s65, s16, 16
	s_add_i32 s64, s17, 16
	s_add_i32 s63, s18, 16
	s_add_i32 s62, s19, 16
	v_lshlrev_b64 v[6:7], 4, v[5:6]
	v_add_nc_u32_e32 v5, s9, v5
	s_add_i32 s61, s20, 16
	s_add_i32 s60, s21, 16
	s_add_i32 s59, s22, 16
	s_add_i32 s58, s23, 16
	v_add_co_u32 v49, vcc_lo, s8, v6
	v_add_co_ci_u32_e64 v50, null, s14, v7, vcc_lo
	v_ashrrev_i32_e32 v6, 31, v5
	s_add_i32 s57, s24, 16
	s_add_i32 s56, s25, 16
	s_add_i32 s55, s26, 16
	s_add_i32 s54, s27, 16
	v_lshlrev_b64 v[6:7], 4, v[5:6]
	v_add_nc_u32_e32 v5, s9, v5
	s_add_i32 s53, s28, 16
	s_add_i32 s52, s29, 16
	;; [unrolled: 13-line block ×6, first 2 shown]
	s_add_i32 s18, s98, 16
	s_add_i32 s17, s99, 16
	v_add_co_u32 v37, vcc_lo, s8, v6
	v_add_co_ci_u32_e64 v38, null, s14, v7, vcc_lo
	v_ashrrev_i32_e32 v6, 31, v5
	s_add_i32 s16, s100, 16
	s_add_i32 s15, s101, 16
	s_mov_b32 s5, -1
	s_mov_b32 s74, 32
	v_lshlrev_b64 v[6:7], 4, v[5:6]
	v_add_nc_u32_e32 v5, s9, v5
	s_mov_b32 s73, 48
	s_mov_b32 s72, 64
	s_movk_i32 s71, 0x50
	s_waitcnt vmcnt(0) lgkmcnt(0)
	buffer_store_dword v4, off, s[0:3], 0 offset:28
	buffer_store_dword v3, off, s[0:3], 0 offset:24
	buffer_store_dword v2, off, s[0:3], 0 offset:20
	buffer_store_dword v1, off, s[0:3], 0 offset:16
	flat_load_dwordx4 v[1:4], v[63:64]
	v_add_co_u32 v35, vcc_lo, s8, v6
	v_add_co_ci_u32_e64 v36, null, s14, v7, vcc_lo
	v_ashrrev_i32_e32 v6, 31, v5
	s_waitcnt vmcnt(0) lgkmcnt(0)
	buffer_store_dword v4, off, s[0:3], 0 offset:44
	buffer_store_dword v3, off, s[0:3], 0 offset:40
	buffer_store_dword v2, off, s[0:3], 0 offset:36
	buffer_store_dword v1, off, s[0:3], 0 offset:32
	flat_load_dwordx4 v[1:4], v[61:62]
	v_lshlrev_b64 v[6:7], 4, v[5:6]
	v_add_nc_u32_e32 v5, s9, v5
	s_waitcnt vmcnt(0) lgkmcnt(0)
	buffer_store_dword v4, off, s[0:3], 0 offset:60
	buffer_store_dword v3, off, s[0:3], 0 offset:56
	buffer_store_dword v2, off, s[0:3], 0 offset:52
	buffer_store_dword v1, off, s[0:3], 0 offset:48
	flat_load_dwordx4 v[1:4], v[57:58]
	v_add_co_u32 v33, vcc_lo, s8, v6
	v_add_co_ci_u32_e64 v34, null, s14, v7, vcc_lo
	v_ashrrev_i32_e32 v6, 31, v5
	s_waitcnt vmcnt(0) lgkmcnt(0)
	buffer_store_dword v4, off, s[0:3], 0 offset:76
	buffer_store_dword v3, off, s[0:3], 0 offset:72
	buffer_store_dword v2, off, s[0:3], 0 offset:68
	buffer_store_dword v1, off, s[0:3], 0 offset:64
	flat_load_dwordx4 v[1:4], v[55:56]
	v_lshlrev_b64 v[6:7], 4, v[5:6]
	v_add_nc_u32_e32 v5, s9, v5
	;; [unrolled: 17-line block ×12, first 2 shown]
	s_waitcnt vmcnt(0) lgkmcnt(0)
	buffer_store_dword v4, off, s[0:3], 0 offset:412
	buffer_store_dword v3, off, s[0:3], 0 offset:408
	;; [unrolled: 1-line block ×4, first 2 shown]
	v_add_co_u32 v11, vcc_lo, s8, v6
	v_add_co_ci_u32_e64 v12, null, s14, v7, vcc_lo
	v_ashrrev_i32_e32 v6, 31, v5
	flat_load_dwordx4 v[1:4], v[11:12]
	s_waitcnt vmcnt(0) lgkmcnt(0)
	buffer_store_dword v4, off, s[0:3], 0 offset:428
	buffer_store_dword v3, off, s[0:3], 0 offset:424
	buffer_store_dword v2, off, s[0:3], 0 offset:420
	buffer_store_dword v1, off, s[0:3], 0 offset:416
	v_lshlrev_b64 v[6:7], 4, v[5:6]
	v_add_nc_u32_e32 v5, s9, v5
	v_add_co_u32 v39, vcc_lo, s8, v6
	v_add_co_ci_u32_e64 v40, null, s14, v7, vcc_lo
	v_ashrrev_i32_e32 v6, 31, v5
	flat_load_dwordx4 v[1:4], v[39:40]
	s_waitcnt vmcnt(0) lgkmcnt(0)
	buffer_store_dword v4, off, s[0:3], 0 offset:444
	buffer_store_dword v3, off, s[0:3], 0 offset:440
	buffer_store_dword v2, off, s[0:3], 0 offset:436
	buffer_store_dword v1, off, s[0:3], 0 offset:432
	v_lshlrev_b64 v[6:7], 4, v[5:6]
	v_add_nc_u32_e32 v5, s9, v5
	;; [unrolled: 11-line block ×34, first 2 shown]
	s_movk_i32 s9, 0x70
	s_add_i32 s68, s9, 16
	v_add_co_u32 v127, vcc_lo, s8, v6
	v_add_co_ci_u32_e64 v128, null, s14, v7, vcc_lo
	v_ashrrev_i32_e32 v6, 31, v5
	flat_load_dwordx4 v[1:4], v[127:128]
	s_waitcnt vmcnt(0) lgkmcnt(0)
	buffer_store_dword v4, off, s[0:3], 0 offset:972
	buffer_store_dword v3, off, s[0:3], 0 offset:968
	;; [unrolled: 1-line block ×4, first 2 shown]
	v_lshlrev_b64 v[5:6], 4, v[5:6]
	v_add_co_u32 v129, vcc_lo, s8, v5
	v_add_co_ci_u32_e64 v130, null, s14, v6, vcc_lo
	s_movk_i32 s8, 0x60
	s_movk_i32 s14, 0x80
	s_add_i32 s69, s8, 16
	flat_load_dwordx4 v[1:4], v[129:130]
	s_add_i32 s67, s14, 16
	s_add_i32 s14, s104, 16
	s_bitcmp0_b32 s76, 0
	s_waitcnt vmcnt(0) lgkmcnt(0)
	buffer_store_dword v4, off, s[0:3], 0 offset:988
	buffer_store_dword v3, off, s[0:3], 0 offset:984
	;; [unrolled: 1-line block ×4, first 2 shown]
	s_cbranch_scc1 .LBB124_268
; %bb.4:
	v_cmp_eq_u32_e64 s4, 0, v0
	s_and_saveexec_b32 s5, s4
; %bb.5:
	v_mov_b32_e32 v1, 0
	ds_write_b32 v1, v1 offset:1952
; %bb.6:
	s_or_b32 exec_lo, exec_lo, s5
	v_lshl_add_u32 v134, v0, 4, 16
	s_waitcnt lgkmcnt(0)
	s_waitcnt_vscnt null, 0x0
	s_barrier
	buffer_gl0_inv
	s_clause 0x3
	buffer_load_dword v1, v134, s[0:3], 0 offen
	buffer_load_dword v2, v134, s[0:3], 0 offen offset:4
	buffer_load_dword v3, v134, s[0:3], 0 offen offset:8
	;; [unrolled: 1-line block ×3, first 2 shown]
	s_waitcnt vmcnt(2)
	v_cmp_eq_f64_e32 vcc_lo, 0, v[1:2]
	s_waitcnt vmcnt(0)
	v_cmp_eq_f64_e64 s5, 0, v[3:4]
	s_and_b32 s5, vcc_lo, s5
	s_and_saveexec_b32 s8, s5
	s_cbranch_execz .LBB124_10
; %bb.7:
	v_mov_b32_e32 v1, 0
	s_mov_b32 s9, 0
	ds_read_b32 v2, v1 offset:1952
	s_waitcnt lgkmcnt(0)
	v_readfirstlane_b32 s5, v2
	v_add_nc_u32_e32 v2, 1, v0
	s_cmp_eq_u32 s5, 0
	v_cmp_gt_i32_e32 vcc_lo, s5, v2
	s_cselect_b32 s76, -1, 0
	s_or_b32 s76, s76, vcc_lo
	s_and_b32 exec_lo, exec_lo, s76
	s_cbranch_execz .LBB124_10
; %bb.8:
	v_mov_b32_e32 v3, s5
.LBB124_9:                              ; =>This Inner Loop Header: Depth=1
	ds_cmpst_rtn_b32 v3, v1, v3, v2 offset:1952
	s_waitcnt lgkmcnt(0)
	v_cmp_ne_u32_e32 vcc_lo, 0, v3
	v_cmp_le_i32_e64 s5, v3, v2
	s_and_b32 s5, vcc_lo, s5
	s_and_b32 s5, exec_lo, s5
	s_or_b32 s9, s5, s9
	s_andn2_b32 exec_lo, exec_lo, s9
	s_cbranch_execnz .LBB124_9
.LBB124_10:
	s_or_b32 exec_lo, exec_lo, s8
	v_mov_b32_e32 v1, 0
	s_barrier
	buffer_gl0_inv
	ds_read_b32 v2, v1 offset:1952
	s_and_saveexec_b32 s5, s4
	s_cbranch_execz .LBB124_12
; %bb.11:
	s_lshl_b64 s[8:9], s[6:7], 2
	s_add_u32 s8, s10, s8
	s_addc_u32 s9, s11, s9
	s_waitcnt lgkmcnt(0)
	global_store_dword v1, v2, s[8:9]
.LBB124_12:
	s_or_b32 exec_lo, exec_lo, s5
	s_waitcnt lgkmcnt(0)
	v_cmp_ne_u32_e32 vcc_lo, 0, v2
	s_mov_b32 s5, 0
	s_cbranch_vccnz .LBB124_268
; %bb.13:
	s_clause 0x3
	buffer_load_dword v7, v134, s[0:3], 0 offen
	buffer_load_dword v8, v134, s[0:3], 0 offen offset:4
	buffer_load_dword v131, v134, s[0:3], 0 offen offset:8
	;; [unrolled: 1-line block ×3, first 2 shown]
                                        ; implicit-def: $vgpr5_vgpr6
                                        ; implicit-def: $vgpr3_vgpr4
	s_waitcnt vmcnt(0)
	v_cmp_ngt_f64_e64 s5, |v[7:8]|, |v[131:132]|
	s_and_saveexec_b32 s8, s5
	s_xor_b32 s5, exec_lo, s8
	s_cbranch_execz .LBB124_15
; %bb.14:
	v_div_scale_f64 v[1:2], null, v[131:132], v[131:132], v[7:8]
	v_div_scale_f64 v[135:136], vcc_lo, v[7:8], v[131:132], v[7:8]
	v_rcp_f64_e32 v[3:4], v[1:2]
	v_fma_f64 v[5:6], -v[1:2], v[3:4], 1.0
	v_fma_f64 v[3:4], v[3:4], v[5:6], v[3:4]
	v_fma_f64 v[5:6], -v[1:2], v[3:4], 1.0
	v_fma_f64 v[3:4], v[3:4], v[5:6], v[3:4]
	v_mul_f64 v[5:6], v[135:136], v[3:4]
	v_fma_f64 v[1:2], -v[1:2], v[5:6], v[135:136]
	v_div_fmas_f64 v[1:2], v[1:2], v[3:4], v[5:6]
	v_div_fixup_f64 v[1:2], v[1:2], v[131:132], v[7:8]
	v_fma_f64 v[3:4], v[7:8], v[1:2], v[131:132]
	v_div_scale_f64 v[5:6], null, v[3:4], v[3:4], 1.0
	v_div_scale_f64 v[135:136], vcc_lo, 1.0, v[3:4], 1.0
	v_rcp_f64_e32 v[7:8], v[5:6]
	v_fma_f64 v[131:132], -v[5:6], v[7:8], 1.0
	v_fma_f64 v[7:8], v[7:8], v[131:132], v[7:8]
	v_fma_f64 v[131:132], -v[5:6], v[7:8], 1.0
	v_fma_f64 v[7:8], v[7:8], v[131:132], v[7:8]
	v_mul_f64 v[131:132], v[135:136], v[7:8]
	v_fma_f64 v[5:6], -v[5:6], v[131:132], v[135:136]
	v_div_fmas_f64 v[5:6], v[5:6], v[7:8], v[131:132]
                                        ; implicit-def: $vgpr7_vgpr8
                                        ; implicit-def: $vgpr131_vgpr132
	v_div_fixup_f64 v[3:4], v[5:6], v[3:4], 1.0
	v_mul_f64 v[5:6], v[1:2], v[3:4]
	v_xor_b32_e32 v4, 0x80000000, v4
	v_xor_b32_e32 v2, 0x80000000, v6
	v_mov_b32_e32 v1, v5
.LBB124_15:
	s_andn2_saveexec_b32 s5, s5
	s_cbranch_execz .LBB124_17
; %bb.16:
	v_div_scale_f64 v[1:2], null, v[7:8], v[7:8], v[131:132]
	v_div_scale_f64 v[135:136], vcc_lo, v[131:132], v[7:8], v[131:132]
	v_rcp_f64_e32 v[3:4], v[1:2]
	v_fma_f64 v[5:6], -v[1:2], v[3:4], 1.0
	v_fma_f64 v[3:4], v[3:4], v[5:6], v[3:4]
	v_fma_f64 v[5:6], -v[1:2], v[3:4], 1.0
	v_fma_f64 v[3:4], v[3:4], v[5:6], v[3:4]
	v_mul_f64 v[5:6], v[135:136], v[3:4]
	v_fma_f64 v[1:2], -v[1:2], v[5:6], v[135:136]
	v_div_fmas_f64 v[1:2], v[1:2], v[3:4], v[5:6]
	v_div_fixup_f64 v[1:2], v[1:2], v[7:8], v[131:132]
	v_fma_f64 v[3:4], v[131:132], v[1:2], v[7:8]
	v_div_scale_f64 v[5:6], null, v[3:4], v[3:4], 1.0
	v_rcp_f64_e32 v[7:8], v[5:6]
	v_fma_f64 v[131:132], -v[5:6], v[7:8], 1.0
	v_fma_f64 v[7:8], v[7:8], v[131:132], v[7:8]
	v_fma_f64 v[131:132], -v[5:6], v[7:8], 1.0
	v_fma_f64 v[7:8], v[7:8], v[131:132], v[7:8]
	v_div_scale_f64 v[131:132], vcc_lo, 1.0, v[3:4], 1.0
	v_mul_f64 v[135:136], v[131:132], v[7:8]
	v_fma_f64 v[5:6], -v[5:6], v[135:136], v[131:132]
	v_div_fmas_f64 v[5:6], v[5:6], v[7:8], v[135:136]
	v_div_fixup_f64 v[5:6], v[5:6], v[3:4], 1.0
	v_mul_f64 v[3:4], v[1:2], -v[5:6]
	v_xor_b32_e32 v2, 0x80000000, v6
	v_mov_b32_e32 v1, v5
.LBB124_17:
	s_or_b32 exec_lo, exec_lo, s5
	v_mov_b32_e32 v7, s74
	buffer_store_dword v6, v134, s[0:3], 0 offen offset:4
	buffer_store_dword v5, v134, s[0:3], 0 offen
	buffer_store_dword v4, v134, s[0:3], 0 offen offset:12
	buffer_store_dword v3, v134, s[0:3], 0 offen offset:8
	v_xor_b32_e32 v4, 0x80000000, v4
	v_add_nc_u32_e32 v5, 0x3d0, v133
	s_clause 0x3
	buffer_load_dword v138, v7, s[0:3], 0 offen offset:12
	buffer_load_dword v137, v7, s[0:3], 0 offen offset:8
	;; [unrolled: 1-line block ×3, first 2 shown]
	buffer_load_dword v135, v7, s[0:3], 0 offen
	ds_write_b128 v133, v[1:4]
	s_waitcnt vmcnt(0)
	ds_write_b128 v133, v[135:138] offset:976
	s_waitcnt lgkmcnt(0)
	s_waitcnt_vscnt null, 0x0
	s_barrier
	buffer_gl0_inv
	s_and_saveexec_b32 s5, s4
	s_cbranch_execz .LBB124_19
; %bb.18:
	s_clause 0x3
	buffer_load_dword v6, v134, s[0:3], 0 offen offset:8
	buffer_load_dword v7, v134, s[0:3], 0 offen offset:12
	buffer_load_dword v131, v134, s[0:3], 0 offen
	buffer_load_dword v132, v134, s[0:3], 0 offen offset:4
	ds_read_b128 v[1:4], v5
	v_mov_b32_e32 v8, 0
	ds_read_b128 v[135:138], v8 offset:16
	s_waitcnt vmcnt(2) lgkmcnt(1)
	v_mul_f64 v[139:140], v[1:2], v[6:7]
	v_mul_f64 v[6:7], v[3:4], v[6:7]
	s_waitcnt vmcnt(0)
	v_fma_f64 v[3:4], v[3:4], v[131:132], v[139:140]
	v_fma_f64 v[1:2], v[1:2], v[131:132], -v[6:7]
	v_add_f64 v[3:4], v[3:4], 0
	v_add_f64 v[1:2], v[1:2], 0
	s_waitcnt lgkmcnt(0)
	v_mul_f64 v[6:7], v[3:4], v[137:138]
	v_mul_f64 v[131:132], v[1:2], v[137:138]
	v_fma_f64 v[1:2], v[1:2], v[135:136], -v[6:7]
	v_fma_f64 v[3:4], v[3:4], v[135:136], v[131:132]
	buffer_store_dword v1, off, s[0:3], 0 offset:32
	buffer_store_dword v2, off, s[0:3], 0 offset:36
	;; [unrolled: 1-line block ×4, first 2 shown]
.LBB124_19:
	s_or_b32 exec_lo, exec_lo, s5
	v_mov_b32_e32 v4, s73
	s_waitcnt_vscnt null, 0x0
	s_barrier
	buffer_gl0_inv
	v_cmp_gt_u32_e32 vcc_lo, 2, v0
	s_clause 0x3
	buffer_load_dword v1, v4, s[0:3], 0 offen
	buffer_load_dword v2, v4, s[0:3], 0 offen offset:4
	buffer_load_dword v3, v4, s[0:3], 0 offen offset:8
	;; [unrolled: 1-line block ×3, first 2 shown]
	s_waitcnt vmcnt(0)
	ds_write_b128 v5, v[1:4]
	s_waitcnt lgkmcnt(0)
	s_barrier
	buffer_gl0_inv
	s_and_saveexec_b32 s5, vcc_lo
	s_cbranch_execz .LBB124_23
; %bb.20:
	s_clause 0x3
	buffer_load_dword v6, v134, s[0:3], 0 offen offset:8
	buffer_load_dword v7, v134, s[0:3], 0 offen offset:12
	buffer_load_dword v131, v134, s[0:3], 0 offen
	buffer_load_dword v132, v134, s[0:3], 0 offen offset:4
	ds_read_b128 v[1:4], v5
	s_waitcnt vmcnt(2) lgkmcnt(0)
	v_mul_f64 v[135:136], v[3:4], v[6:7]
	v_mul_f64 v[6:7], v[1:2], v[6:7]
	s_waitcnt vmcnt(0)
	v_fma_f64 v[1:2], v[1:2], v[131:132], -v[135:136]
	v_fma_f64 v[3:4], v[3:4], v[131:132], v[6:7]
	v_add_f64 v[1:2], v[1:2], 0
	v_add_f64 v[3:4], v[3:4], 0
	s_and_saveexec_b32 s8, s4
	s_cbranch_execz .LBB124_22
; %bb.21:
	s_clause 0x3
	buffer_load_dword v6, off, s[0:3], 0 offset:40
	buffer_load_dword v7, off, s[0:3], 0 offset:44
	;; [unrolled: 1-line block ×4, first 2 shown]
	v_mov_b32_e32 v8, 0
	ds_read_b128 v[135:138], v8 offset:992
	s_waitcnt vmcnt(2) lgkmcnt(0)
	v_mul_f64 v[139:140], v[135:136], v[6:7]
	v_mul_f64 v[6:7], v[137:138], v[6:7]
	s_waitcnt vmcnt(0)
	v_fma_f64 v[137:138], v[137:138], v[131:132], v[139:140]
	v_fma_f64 v[6:7], v[135:136], v[131:132], -v[6:7]
	v_add_f64 v[3:4], v[3:4], v[137:138]
	v_add_f64 v[1:2], v[1:2], v[6:7]
.LBB124_22:
	s_or_b32 exec_lo, exec_lo, s8
	v_mov_b32_e32 v6, 0
	ds_read_b128 v[135:138], v6 offset:32
	s_waitcnt lgkmcnt(0)
	v_mul_f64 v[6:7], v[3:4], v[137:138]
	v_mul_f64 v[131:132], v[1:2], v[137:138]
	v_fma_f64 v[1:2], v[1:2], v[135:136], -v[6:7]
	v_fma_f64 v[3:4], v[3:4], v[135:136], v[131:132]
	buffer_store_dword v2, off, s[0:3], 0 offset:52
	buffer_store_dword v1, off, s[0:3], 0 offset:48
	;; [unrolled: 1-line block ×4, first 2 shown]
.LBB124_23:
	s_or_b32 exec_lo, exec_lo, s5
	v_mov_b32_e32 v4, s72
	s_waitcnt_vscnt null, 0x0
	s_barrier
	buffer_gl0_inv
	v_add_nc_u32_e32 v6, -1, v0
	s_clause 0x3
	buffer_load_dword v1, v4, s[0:3], 0 offen
	buffer_load_dword v2, v4, s[0:3], 0 offen offset:4
	buffer_load_dword v3, v4, s[0:3], 0 offen offset:8
	;; [unrolled: 1-line block ×3, first 2 shown]
	s_mov_b32 s8, exec_lo
	s_waitcnt vmcnt(0)
	ds_write_b128 v5, v[1:4]
	s_waitcnt lgkmcnt(0)
	s_barrier
	buffer_gl0_inv
	v_cmpx_gt_u32_e32 3, v0
	s_cbranch_execz .LBB124_27
; %bb.24:
	v_mov_b32_e32 v1, 0
	v_mov_b32_e32 v3, 0
	v_add_nc_u32_e32 v7, -1, v0
	v_add_nc_u32_e32 v8, 0x3d0, v133
	v_mov_b32_e32 v2, 0
	v_mov_b32_e32 v4, 0
	v_add_nc_u32_e32 v131, 16, v133
	s_mov_b32 s9, 0
	.p2align	6
.LBB124_25:                             ; =>This Inner Loop Header: Depth=1
	s_clause 0x3
	buffer_load_dword v139, v131, s[0:3], 0 offen offset:8
	buffer_load_dword v140, v131, s[0:3], 0 offen offset:12
	buffer_load_dword v141, v131, s[0:3], 0 offen
	buffer_load_dword v142, v131, s[0:3], 0 offen offset:4
	ds_read_b128 v[135:138], v8
	v_add_nc_u32_e32 v7, 1, v7
	v_add_nc_u32_e32 v8, 16, v8
	;; [unrolled: 1-line block ×3, first 2 shown]
	v_cmp_lt_u32_e64 s5, 1, v7
	s_or_b32 s9, s5, s9
	s_waitcnt vmcnt(2) lgkmcnt(0)
	v_mul_f64 v[143:144], v[137:138], v[139:140]
	v_mul_f64 v[139:140], v[135:136], v[139:140]
	s_waitcnt vmcnt(0)
	v_fma_f64 v[135:136], v[135:136], v[141:142], -v[143:144]
	v_fma_f64 v[137:138], v[137:138], v[141:142], v[139:140]
	v_add_f64 v[3:4], v[3:4], v[135:136]
	v_add_f64 v[1:2], v[1:2], v[137:138]
	s_andn2_b32 exec_lo, exec_lo, s9
	s_cbranch_execnz .LBB124_25
; %bb.26:
	s_or_b32 exec_lo, exec_lo, s9
	v_mov_b32_e32 v7, 0
	ds_read_b128 v[135:138], v7 offset:48
	s_waitcnt lgkmcnt(0)
	v_mul_f64 v[7:8], v[1:2], v[137:138]
	v_mul_f64 v[131:132], v[3:4], v[137:138]
	v_fma_f64 v[3:4], v[3:4], v[135:136], -v[7:8]
	v_fma_f64 v[1:2], v[1:2], v[135:136], v[131:132]
	buffer_store_dword v4, off, s[0:3], 0 offset:68
	buffer_store_dword v3, off, s[0:3], 0 offset:64
	buffer_store_dword v2, off, s[0:3], 0 offset:76
	buffer_store_dword v1, off, s[0:3], 0 offset:72
.LBB124_27:
	s_or_b32 exec_lo, exec_lo, s8
	v_mov_b32_e32 v4, s71
	s_waitcnt_vscnt null, 0x0
	s_barrier
	buffer_gl0_inv
	v_cmp_gt_u32_e64 s5, 4, v0
	s_clause 0x3
	buffer_load_dword v1, v4, s[0:3], 0 offen
	buffer_load_dword v2, v4, s[0:3], 0 offen offset:4
	buffer_load_dword v3, v4, s[0:3], 0 offen offset:8
	;; [unrolled: 1-line block ×3, first 2 shown]
	s_waitcnt vmcnt(0)
	ds_write_b128 v5, v[1:4]
	s_waitcnt lgkmcnt(0)
	s_barrier
	buffer_gl0_inv
	s_and_saveexec_b32 s9, s5
	s_cbranch_execz .LBB124_31
; %bb.28:
	v_mov_b32_e32 v1, 0
	v_mov_b32_e32 v3, 0
	v_add_nc_u32_e32 v7, -1, v0
	v_add_nc_u32_e32 v8, 0x3d0, v133
	v_mov_b32_e32 v2, 0
	v_mov_b32_e32 v4, 0
	v_add_nc_u32_e32 v131, 16, v133
	s_mov_b32 s76, 0
	.p2align	6
.LBB124_29:                             ; =>This Inner Loop Header: Depth=1
	s_clause 0x3
	buffer_load_dword v139, v131, s[0:3], 0 offen offset:8
	buffer_load_dword v140, v131, s[0:3], 0 offen offset:12
	buffer_load_dword v141, v131, s[0:3], 0 offen
	buffer_load_dword v142, v131, s[0:3], 0 offen offset:4
	ds_read_b128 v[135:138], v8
	v_add_nc_u32_e32 v7, 1, v7
	v_add_nc_u32_e32 v8, 16, v8
	;; [unrolled: 1-line block ×3, first 2 shown]
	v_cmp_lt_u32_e64 s8, 2, v7
	s_or_b32 s76, s8, s76
	s_waitcnt vmcnt(2) lgkmcnt(0)
	v_mul_f64 v[143:144], v[137:138], v[139:140]
	v_mul_f64 v[139:140], v[135:136], v[139:140]
	s_waitcnt vmcnt(0)
	v_fma_f64 v[135:136], v[135:136], v[141:142], -v[143:144]
	v_fma_f64 v[137:138], v[137:138], v[141:142], v[139:140]
	v_add_f64 v[3:4], v[3:4], v[135:136]
	v_add_f64 v[1:2], v[1:2], v[137:138]
	s_andn2_b32 exec_lo, exec_lo, s76
	s_cbranch_execnz .LBB124_29
; %bb.30:
	s_or_b32 exec_lo, exec_lo, s76
	v_mov_b32_e32 v7, 0
	ds_read_b128 v[135:138], v7 offset:64
	s_waitcnt lgkmcnt(0)
	v_mul_f64 v[7:8], v[1:2], v[137:138]
	v_mul_f64 v[131:132], v[3:4], v[137:138]
	v_fma_f64 v[3:4], v[3:4], v[135:136], -v[7:8]
	v_fma_f64 v[1:2], v[1:2], v[135:136], v[131:132]
	buffer_store_dword v4, off, s[0:3], 0 offset:84
	buffer_store_dword v3, off, s[0:3], 0 offset:80
	;; [unrolled: 1-line block ×4, first 2 shown]
.LBB124_31:
	s_or_b32 exec_lo, exec_lo, s9
	v_mov_b32_e32 v4, s70
	s_waitcnt_vscnt null, 0x0
	s_barrier
	buffer_gl0_inv
	s_mov_b32 s9, exec_lo
	s_clause 0x3
	buffer_load_dword v1, v4, s[0:3], 0 offen
	buffer_load_dword v2, v4, s[0:3], 0 offen offset:4
	buffer_load_dword v3, v4, s[0:3], 0 offen offset:8
	;; [unrolled: 1-line block ×3, first 2 shown]
	s_waitcnt vmcnt(0)
	ds_write_b128 v5, v[1:4]
	s_waitcnt lgkmcnt(0)
	s_barrier
	buffer_gl0_inv
	v_cmpx_gt_u32_e32 5, v0
	s_cbranch_execz .LBB124_35
; %bb.32:
	v_mov_b32_e32 v1, 0
	v_mov_b32_e32 v3, 0
	v_add_nc_u32_e32 v7, -1, v0
	v_add_nc_u32_e32 v8, 0x3d0, v133
	v_mov_b32_e32 v2, 0
	v_mov_b32_e32 v4, 0
	v_add_nc_u32_e32 v131, 16, v133
	s_mov_b32 s76, 0
	.p2align	6
.LBB124_33:                             ; =>This Inner Loop Header: Depth=1
	s_clause 0x3
	buffer_load_dword v139, v131, s[0:3], 0 offen offset:8
	buffer_load_dword v140, v131, s[0:3], 0 offen offset:12
	buffer_load_dword v141, v131, s[0:3], 0 offen
	buffer_load_dword v142, v131, s[0:3], 0 offen offset:4
	ds_read_b128 v[135:138], v8
	v_add_nc_u32_e32 v7, 1, v7
	v_add_nc_u32_e32 v8, 16, v8
	;; [unrolled: 1-line block ×3, first 2 shown]
	v_cmp_lt_u32_e64 s8, 3, v7
	s_or_b32 s76, s8, s76
	s_waitcnt vmcnt(2) lgkmcnt(0)
	v_mul_f64 v[143:144], v[137:138], v[139:140]
	v_mul_f64 v[139:140], v[135:136], v[139:140]
	s_waitcnt vmcnt(0)
	v_fma_f64 v[135:136], v[135:136], v[141:142], -v[143:144]
	v_fma_f64 v[137:138], v[137:138], v[141:142], v[139:140]
	v_add_f64 v[3:4], v[3:4], v[135:136]
	v_add_f64 v[1:2], v[1:2], v[137:138]
	s_andn2_b32 exec_lo, exec_lo, s76
	s_cbranch_execnz .LBB124_33
; %bb.34:
	s_or_b32 exec_lo, exec_lo, s76
	v_mov_b32_e32 v7, 0
	ds_read_b128 v[135:138], v7 offset:80
	s_waitcnt lgkmcnt(0)
	v_mul_f64 v[7:8], v[1:2], v[137:138]
	v_mul_f64 v[131:132], v[3:4], v[137:138]
	v_fma_f64 v[3:4], v[3:4], v[135:136], -v[7:8]
	v_fma_f64 v[1:2], v[1:2], v[135:136], v[131:132]
	buffer_store_dword v4, off, s[0:3], 0 offset:100
	buffer_store_dword v3, off, s[0:3], 0 offset:96
	;; [unrolled: 1-line block ×4, first 2 shown]
.LBB124_35:
	s_or_b32 exec_lo, exec_lo, s9
	v_mov_b32_e32 v4, s69
	s_waitcnt_vscnt null, 0x0
	s_barrier
	buffer_gl0_inv
	v_cmp_gt_u32_e64 s8, 6, v0
	s_clause 0x3
	buffer_load_dword v1, v4, s[0:3], 0 offen
	buffer_load_dword v2, v4, s[0:3], 0 offen offset:4
	buffer_load_dword v3, v4, s[0:3], 0 offen offset:8
	;; [unrolled: 1-line block ×3, first 2 shown]
	s_waitcnt vmcnt(0)
	ds_write_b128 v5, v[1:4]
	s_waitcnt lgkmcnt(0)
	s_barrier
	buffer_gl0_inv
	s_and_saveexec_b32 s76, s8
	s_cbranch_execz .LBB124_39
; %bb.36:
	v_mov_b32_e32 v1, 0
	v_mov_b32_e32 v3, 0
	v_add_nc_u32_e32 v7, -1, v0
	v_add_nc_u32_e32 v8, 0x3d0, v133
	v_mov_b32_e32 v2, 0
	v_mov_b32_e32 v4, 0
	v_add_nc_u32_e32 v131, 16, v133
	s_mov_b32 s77, 0
	.p2align	6
.LBB124_37:                             ; =>This Inner Loop Header: Depth=1
	s_clause 0x3
	buffer_load_dword v139, v131, s[0:3], 0 offen offset:8
	buffer_load_dword v140, v131, s[0:3], 0 offen offset:12
	buffer_load_dword v141, v131, s[0:3], 0 offen
	buffer_load_dword v142, v131, s[0:3], 0 offen offset:4
	ds_read_b128 v[135:138], v8
	v_add_nc_u32_e32 v7, 1, v7
	v_add_nc_u32_e32 v8, 16, v8
	;; [unrolled: 1-line block ×3, first 2 shown]
	v_cmp_lt_u32_e64 s9, 4, v7
	s_or_b32 s77, s9, s77
	s_waitcnt vmcnt(2) lgkmcnt(0)
	v_mul_f64 v[143:144], v[137:138], v[139:140]
	v_mul_f64 v[139:140], v[135:136], v[139:140]
	s_waitcnt vmcnt(0)
	v_fma_f64 v[135:136], v[135:136], v[141:142], -v[143:144]
	v_fma_f64 v[137:138], v[137:138], v[141:142], v[139:140]
	v_add_f64 v[3:4], v[3:4], v[135:136]
	v_add_f64 v[1:2], v[1:2], v[137:138]
	s_andn2_b32 exec_lo, exec_lo, s77
	s_cbranch_execnz .LBB124_37
; %bb.38:
	s_or_b32 exec_lo, exec_lo, s77
	v_mov_b32_e32 v7, 0
	ds_read_b128 v[135:138], v7 offset:96
	s_waitcnt lgkmcnt(0)
	v_mul_f64 v[7:8], v[1:2], v[137:138]
	v_mul_f64 v[131:132], v[3:4], v[137:138]
	v_fma_f64 v[3:4], v[3:4], v[135:136], -v[7:8]
	v_fma_f64 v[1:2], v[1:2], v[135:136], v[131:132]
	buffer_store_dword v4, off, s[0:3], 0 offset:116
	buffer_store_dword v3, off, s[0:3], 0 offset:112
	;; [unrolled: 1-line block ×4, first 2 shown]
.LBB124_39:
	s_or_b32 exec_lo, exec_lo, s76
	v_mov_b32_e32 v4, s68
	s_waitcnt_vscnt null, 0x0
	s_barrier
	buffer_gl0_inv
	s_mov_b32 s76, exec_lo
	s_clause 0x3
	buffer_load_dword v1, v4, s[0:3], 0 offen
	buffer_load_dword v2, v4, s[0:3], 0 offen offset:4
	buffer_load_dword v3, v4, s[0:3], 0 offen offset:8
	;; [unrolled: 1-line block ×3, first 2 shown]
	s_waitcnt vmcnt(0)
	ds_write_b128 v5, v[1:4]
	s_waitcnt lgkmcnt(0)
	s_barrier
	buffer_gl0_inv
	v_cmpx_gt_u32_e32 7, v0
	s_cbranch_execz .LBB124_43
; %bb.40:
	v_mov_b32_e32 v1, 0
	v_mov_b32_e32 v3, 0
	v_add_nc_u32_e32 v7, -1, v0
	v_add_nc_u32_e32 v8, 0x3d0, v133
	v_mov_b32_e32 v2, 0
	v_mov_b32_e32 v4, 0
	v_add_nc_u32_e32 v131, 16, v133
	s_mov_b32 s77, 0
	.p2align	6
.LBB124_41:                             ; =>This Inner Loop Header: Depth=1
	s_clause 0x3
	buffer_load_dword v139, v131, s[0:3], 0 offen offset:8
	buffer_load_dword v140, v131, s[0:3], 0 offen offset:12
	buffer_load_dword v141, v131, s[0:3], 0 offen
	buffer_load_dword v142, v131, s[0:3], 0 offen offset:4
	ds_read_b128 v[135:138], v8
	v_add_nc_u32_e32 v7, 1, v7
	v_add_nc_u32_e32 v8, 16, v8
	;; [unrolled: 1-line block ×3, first 2 shown]
	v_cmp_lt_u32_e64 s9, 5, v7
	s_or_b32 s77, s9, s77
	s_waitcnt vmcnt(2) lgkmcnt(0)
	v_mul_f64 v[143:144], v[137:138], v[139:140]
	v_mul_f64 v[139:140], v[135:136], v[139:140]
	s_waitcnt vmcnt(0)
	v_fma_f64 v[135:136], v[135:136], v[141:142], -v[143:144]
	v_fma_f64 v[137:138], v[137:138], v[141:142], v[139:140]
	v_add_f64 v[3:4], v[3:4], v[135:136]
	v_add_f64 v[1:2], v[1:2], v[137:138]
	s_andn2_b32 exec_lo, exec_lo, s77
	s_cbranch_execnz .LBB124_41
; %bb.42:
	s_or_b32 exec_lo, exec_lo, s77
	v_mov_b32_e32 v7, 0
	ds_read_b128 v[135:138], v7 offset:112
	s_waitcnt lgkmcnt(0)
	v_mul_f64 v[7:8], v[1:2], v[137:138]
	v_mul_f64 v[131:132], v[3:4], v[137:138]
	v_fma_f64 v[3:4], v[3:4], v[135:136], -v[7:8]
	v_fma_f64 v[1:2], v[1:2], v[135:136], v[131:132]
	buffer_store_dword v4, off, s[0:3], 0 offset:132
	buffer_store_dword v3, off, s[0:3], 0 offset:128
	;; [unrolled: 1-line block ×4, first 2 shown]
.LBB124_43:
	s_or_b32 exec_lo, exec_lo, s76
	v_mov_b32_e32 v4, s67
	s_waitcnt_vscnt null, 0x0
	s_barrier
	buffer_gl0_inv
	s_mov_b32 s76, exec_lo
	s_clause 0x3
	buffer_load_dword v1, v4, s[0:3], 0 offen
	buffer_load_dword v2, v4, s[0:3], 0 offen offset:4
	buffer_load_dword v3, v4, s[0:3], 0 offen offset:8
	;; [unrolled: 1-line block ×3, first 2 shown]
	s_waitcnt vmcnt(0)
	ds_write_b128 v5, v[1:4]
	s_waitcnt lgkmcnt(0)
	s_barrier
	buffer_gl0_inv
	v_cmpx_gt_u32_e32 8, v0
	s_cbranch_execz .LBB124_59
; %bb.44:
	s_clause 0x3
	buffer_load_dword v7, v134, s[0:3], 0 offen offset:8
	buffer_load_dword v8, v134, s[0:3], 0 offen offset:12
	buffer_load_dword v131, v134, s[0:3], 0 offen
	buffer_load_dword v132, v134, s[0:3], 0 offen offset:4
	ds_read_b128 v[1:4], v5
	s_mov_b32 s77, exec_lo
	s_waitcnt vmcnt(2) lgkmcnt(0)
	v_mul_f64 v[135:136], v[3:4], v[7:8]
	v_mul_f64 v[7:8], v[1:2], v[7:8]
	s_waitcnt vmcnt(0)
	v_fma_f64 v[1:2], v[1:2], v[131:132], -v[135:136]
	v_fma_f64 v[7:8], v[3:4], v[131:132], v[7:8]
	v_add_f64 v[3:4], v[1:2], 0
	v_add_f64 v[1:2], v[7:8], 0
	v_cmpx_ne_u32_e32 7, v0
	s_cbranch_execz .LBB124_58
; %bb.45:
	s_clause 0x3
	buffer_load_dword v7, v134, s[0:3], 0 offen offset:24
	buffer_load_dword v8, v134, s[0:3], 0 offen offset:28
	;; [unrolled: 1-line block ×4, first 2 shown]
	ds_read_b128 v[135:138], v5 offset:16
	s_waitcnt vmcnt(2) lgkmcnt(0)
	v_mul_f64 v[139:140], v[137:138], v[7:8]
	v_mul_f64 v[7:8], v[135:136], v[7:8]
	s_waitcnt vmcnt(0)
	v_fma_f64 v[135:136], v[135:136], v[131:132], -v[139:140]
	v_fma_f64 v[7:8], v[137:138], v[131:132], v[7:8]
	v_add_f64 v[3:4], v[3:4], v[135:136]
	v_add_f64 v[1:2], v[1:2], v[7:8]
	s_and_saveexec_b32 s9, s8
	s_cbranch_execz .LBB124_57
; %bb.46:
	s_clause 0x3
	buffer_load_dword v7, v134, s[0:3], 0 offen offset:40
	buffer_load_dword v8, v134, s[0:3], 0 offen offset:44
	;; [unrolled: 1-line block ×4, first 2 shown]
	ds_read_b128 v[135:138], v5 offset:32
	s_mov_b32 s78, exec_lo
	s_waitcnt vmcnt(2) lgkmcnt(0)
	v_mul_f64 v[139:140], v[137:138], v[7:8]
	v_mul_f64 v[7:8], v[135:136], v[7:8]
	s_waitcnt vmcnt(0)
	v_fma_f64 v[135:136], v[135:136], v[131:132], -v[139:140]
	v_fma_f64 v[7:8], v[137:138], v[131:132], v[7:8]
	v_add_f64 v[3:4], v[3:4], v[135:136]
	v_add_f64 v[1:2], v[1:2], v[7:8]
	v_cmpx_ne_u32_e32 5, v0
	s_cbranch_execz .LBB124_56
; %bb.47:
	s_clause 0x3
	buffer_load_dword v7, v134, s[0:3], 0 offen offset:56
	buffer_load_dword v8, v134, s[0:3], 0 offen offset:60
	;; [unrolled: 1-line block ×4, first 2 shown]
	ds_read_b128 v[135:138], v5 offset:48
	s_waitcnt vmcnt(2) lgkmcnt(0)
	v_mul_f64 v[139:140], v[137:138], v[7:8]
	v_mul_f64 v[7:8], v[135:136], v[7:8]
	s_waitcnt vmcnt(0)
	v_fma_f64 v[135:136], v[135:136], v[131:132], -v[139:140]
	v_fma_f64 v[7:8], v[137:138], v[131:132], v[7:8]
	v_add_f64 v[3:4], v[3:4], v[135:136]
	v_add_f64 v[1:2], v[1:2], v[7:8]
	s_and_saveexec_b32 s8, s5
	s_cbranch_execz .LBB124_55
; %bb.48:
	s_clause 0x3
	buffer_load_dword v7, v134, s[0:3], 0 offen offset:72
	buffer_load_dword v8, v134, s[0:3], 0 offen offset:76
	;; [unrolled: 1-line block ×4, first 2 shown]
	ds_read_b128 v[135:138], v5 offset:64
	s_mov_b32 s79, exec_lo
	s_waitcnt vmcnt(2) lgkmcnt(0)
	v_mul_f64 v[139:140], v[137:138], v[7:8]
	v_mul_f64 v[7:8], v[135:136], v[7:8]
	s_waitcnt vmcnt(0)
	v_fma_f64 v[135:136], v[135:136], v[131:132], -v[139:140]
	v_fma_f64 v[7:8], v[137:138], v[131:132], v[7:8]
	v_add_f64 v[3:4], v[3:4], v[135:136]
	v_add_f64 v[1:2], v[1:2], v[7:8]
	v_cmpx_ne_u32_e32 3, v0
	s_cbranch_execz .LBB124_54
; %bb.49:
	s_clause 0x3
	buffer_load_dword v7, v134, s[0:3], 0 offen offset:88
	buffer_load_dword v8, v134, s[0:3], 0 offen offset:92
	;; [unrolled: 1-line block ×4, first 2 shown]
	ds_read_b128 v[135:138], v5 offset:80
	s_waitcnt vmcnt(2) lgkmcnt(0)
	v_mul_f64 v[139:140], v[137:138], v[7:8]
	v_mul_f64 v[7:8], v[135:136], v[7:8]
	s_waitcnt vmcnt(0)
	v_fma_f64 v[135:136], v[135:136], v[131:132], -v[139:140]
	v_fma_f64 v[7:8], v[137:138], v[131:132], v[7:8]
	v_add_f64 v[3:4], v[3:4], v[135:136]
	v_add_f64 v[1:2], v[1:2], v[7:8]
	s_and_saveexec_b32 s5, vcc_lo
	s_cbranch_execz .LBB124_53
; %bb.50:
	s_clause 0x3
	buffer_load_dword v7, v134, s[0:3], 0 offen offset:104
	buffer_load_dword v8, v134, s[0:3], 0 offen offset:108
	;; [unrolled: 1-line block ×4, first 2 shown]
	ds_read_b128 v[135:138], v5 offset:96
	s_waitcnt vmcnt(2) lgkmcnt(0)
	v_mul_f64 v[139:140], v[137:138], v[7:8]
	v_mul_f64 v[7:8], v[135:136], v[7:8]
	s_waitcnt vmcnt(0)
	v_fma_f64 v[135:136], v[135:136], v[131:132], -v[139:140]
	v_fma_f64 v[7:8], v[137:138], v[131:132], v[7:8]
	v_add_f64 v[3:4], v[3:4], v[135:136]
	v_add_f64 v[1:2], v[1:2], v[7:8]
	s_and_saveexec_b32 s80, s4
	s_cbranch_execz .LBB124_52
; %bb.51:
	s_clause 0x3
	buffer_load_dword v7, v134, s[0:3], 0 offen offset:120
	buffer_load_dword v8, v134, s[0:3], 0 offen offset:124
	;; [unrolled: 1-line block ×4, first 2 shown]
	ds_read_b128 v[134:137], v5 offset:112
	s_waitcnt vmcnt(2) lgkmcnt(0)
	v_mul_f64 v[138:139], v[136:137], v[7:8]
	v_mul_f64 v[7:8], v[134:135], v[7:8]
	s_waitcnt vmcnt(0)
	v_fma_f64 v[134:135], v[134:135], v[131:132], -v[138:139]
	v_fma_f64 v[7:8], v[136:137], v[131:132], v[7:8]
	v_add_f64 v[3:4], v[3:4], v[134:135]
	v_add_f64 v[1:2], v[1:2], v[7:8]
.LBB124_52:
	s_or_b32 exec_lo, exec_lo, s80
.LBB124_53:
	s_or_b32 exec_lo, exec_lo, s5
.LBB124_54:
	s_or_b32 exec_lo, exec_lo, s79
.LBB124_55:
	s_or_b32 exec_lo, exec_lo, s8
.LBB124_56:
	s_or_b32 exec_lo, exec_lo, s78
.LBB124_57:
	s_or_b32 exec_lo, exec_lo, s9
.LBB124_58:
	s_or_b32 exec_lo, exec_lo, s77
	v_mov_b32_e32 v7, 0
	ds_read_b128 v[134:137], v7 offset:128
	s_waitcnt lgkmcnt(0)
	v_mul_f64 v[7:8], v[1:2], v[136:137]
	v_mul_f64 v[131:132], v[3:4], v[136:137]
	v_fma_f64 v[3:4], v[3:4], v[134:135], -v[7:8]
	v_fma_f64 v[1:2], v[1:2], v[134:135], v[131:132]
	buffer_store_dword v4, off, s[0:3], 0 offset:148
	buffer_store_dword v3, off, s[0:3], 0 offset:144
	buffer_store_dword v2, off, s[0:3], 0 offset:156
	buffer_store_dword v1, off, s[0:3], 0 offset:152
.LBB124_59:
	s_or_b32 exec_lo, exec_lo, s76
	v_mov_b32_e32 v4, s66
	s_waitcnt_vscnt null, 0x0
	s_barrier
	buffer_gl0_inv
	s_mov_b32 s4, exec_lo
	s_clause 0x3
	buffer_load_dword v1, v4, s[0:3], 0 offen
	buffer_load_dword v2, v4, s[0:3], 0 offen offset:4
	buffer_load_dword v3, v4, s[0:3], 0 offen offset:8
	;; [unrolled: 1-line block ×3, first 2 shown]
	s_waitcnt vmcnt(0)
	ds_write_b128 v5, v[1:4]
	s_waitcnt lgkmcnt(0)
	s_barrier
	buffer_gl0_inv
	v_cmpx_gt_u32_e32 9, v0
	s_cbranch_execz .LBB124_63
; %bb.60:
	v_mov_b32_e32 v1, 0
	v_mov_b32_e32 v3, 0
	v_add_nc_u32_e32 v7, -1, v0
	v_add_nc_u32_e32 v8, 0x3d0, v133
	v_mov_b32_e32 v2, 0
	v_mov_b32_e32 v4, 0
	v_add_nc_u32_e32 v131, 16, v133
	s_mov_b32 s5, 0
	.p2align	6
.LBB124_61:                             ; =>This Inner Loop Header: Depth=1
	s_clause 0x3
	buffer_load_dword v138, v131, s[0:3], 0 offen offset:8
	buffer_load_dword v139, v131, s[0:3], 0 offen offset:12
	buffer_load_dword v140, v131, s[0:3], 0 offen
	buffer_load_dword v141, v131, s[0:3], 0 offen offset:4
	ds_read_b128 v[134:137], v8
	v_add_nc_u32_e32 v7, 1, v7
	v_add_nc_u32_e32 v8, 16, v8
	;; [unrolled: 1-line block ×3, first 2 shown]
	v_cmp_lt_u32_e32 vcc_lo, 7, v7
	s_or_b32 s5, vcc_lo, s5
	s_waitcnt vmcnt(2) lgkmcnt(0)
	v_mul_f64 v[142:143], v[136:137], v[138:139]
	v_mul_f64 v[138:139], v[134:135], v[138:139]
	s_waitcnt vmcnt(0)
	v_fma_f64 v[134:135], v[134:135], v[140:141], -v[142:143]
	v_fma_f64 v[136:137], v[136:137], v[140:141], v[138:139]
	v_add_f64 v[3:4], v[3:4], v[134:135]
	v_add_f64 v[1:2], v[1:2], v[136:137]
	s_andn2_b32 exec_lo, exec_lo, s5
	s_cbranch_execnz .LBB124_61
; %bb.62:
	s_or_b32 exec_lo, exec_lo, s5
	v_mov_b32_e32 v7, 0
	ds_read_b128 v[134:137], v7 offset:144
	s_waitcnt lgkmcnt(0)
	v_mul_f64 v[7:8], v[1:2], v[136:137]
	v_mul_f64 v[131:132], v[3:4], v[136:137]
	v_fma_f64 v[3:4], v[3:4], v[134:135], -v[7:8]
	v_fma_f64 v[1:2], v[1:2], v[134:135], v[131:132]
	buffer_store_dword v4, off, s[0:3], 0 offset:164
	buffer_store_dword v3, off, s[0:3], 0 offset:160
	;; [unrolled: 1-line block ×4, first 2 shown]
.LBB124_63:
	s_or_b32 exec_lo, exec_lo, s4
	v_mov_b32_e32 v4, s65
	s_waitcnt_vscnt null, 0x0
	s_barrier
	buffer_gl0_inv
	s_mov_b32 s4, exec_lo
	s_clause 0x3
	buffer_load_dword v1, v4, s[0:3], 0 offen
	buffer_load_dword v2, v4, s[0:3], 0 offen offset:4
	buffer_load_dword v3, v4, s[0:3], 0 offen offset:8
	buffer_load_dword v4, v4, s[0:3], 0 offen offset:12
	s_waitcnt vmcnt(0)
	ds_write_b128 v5, v[1:4]
	s_waitcnt lgkmcnt(0)
	s_barrier
	buffer_gl0_inv
	v_cmpx_gt_u32_e32 10, v0
	s_cbranch_execz .LBB124_67
; %bb.64:
	v_mov_b32_e32 v1, 0
	v_mov_b32_e32 v3, 0
	v_add_nc_u32_e32 v7, -1, v0
	v_add_nc_u32_e32 v8, 0x3d0, v133
	v_mov_b32_e32 v2, 0
	v_mov_b32_e32 v4, 0
	v_add_nc_u32_e32 v131, 16, v133
	s_mov_b32 s5, 0
	.p2align	6
.LBB124_65:                             ; =>This Inner Loop Header: Depth=1
	s_clause 0x3
	buffer_load_dword v138, v131, s[0:3], 0 offen offset:8
	buffer_load_dword v139, v131, s[0:3], 0 offen offset:12
	buffer_load_dword v140, v131, s[0:3], 0 offen
	buffer_load_dword v141, v131, s[0:3], 0 offen offset:4
	ds_read_b128 v[134:137], v8
	v_add_nc_u32_e32 v7, 1, v7
	v_add_nc_u32_e32 v8, 16, v8
	;; [unrolled: 1-line block ×3, first 2 shown]
	v_cmp_lt_u32_e32 vcc_lo, 8, v7
	s_or_b32 s5, vcc_lo, s5
	s_waitcnt vmcnt(2) lgkmcnt(0)
	v_mul_f64 v[142:143], v[136:137], v[138:139]
	v_mul_f64 v[138:139], v[134:135], v[138:139]
	s_waitcnt vmcnt(0)
	v_fma_f64 v[134:135], v[134:135], v[140:141], -v[142:143]
	v_fma_f64 v[136:137], v[136:137], v[140:141], v[138:139]
	v_add_f64 v[3:4], v[3:4], v[134:135]
	v_add_f64 v[1:2], v[1:2], v[136:137]
	s_andn2_b32 exec_lo, exec_lo, s5
	s_cbranch_execnz .LBB124_65
; %bb.66:
	s_or_b32 exec_lo, exec_lo, s5
	v_mov_b32_e32 v7, 0
	ds_read_b128 v[134:137], v7 offset:160
	s_waitcnt lgkmcnt(0)
	v_mul_f64 v[7:8], v[1:2], v[136:137]
	v_mul_f64 v[131:132], v[3:4], v[136:137]
	v_fma_f64 v[3:4], v[3:4], v[134:135], -v[7:8]
	v_fma_f64 v[1:2], v[1:2], v[134:135], v[131:132]
	buffer_store_dword v4, off, s[0:3], 0 offset:180
	buffer_store_dword v3, off, s[0:3], 0 offset:176
	;; [unrolled: 1-line block ×4, first 2 shown]
.LBB124_67:
	s_or_b32 exec_lo, exec_lo, s4
	v_mov_b32_e32 v4, s64
	s_waitcnt_vscnt null, 0x0
	s_barrier
	buffer_gl0_inv
	s_mov_b32 s4, exec_lo
	s_clause 0x3
	buffer_load_dword v1, v4, s[0:3], 0 offen
	buffer_load_dword v2, v4, s[0:3], 0 offen offset:4
	buffer_load_dword v3, v4, s[0:3], 0 offen offset:8
	;; [unrolled: 1-line block ×3, first 2 shown]
	s_waitcnt vmcnt(0)
	ds_write_b128 v5, v[1:4]
	s_waitcnt lgkmcnt(0)
	s_barrier
	buffer_gl0_inv
	v_cmpx_gt_u32_e32 11, v0
	s_cbranch_execz .LBB124_71
; %bb.68:
	v_mov_b32_e32 v1, 0
	v_mov_b32_e32 v3, 0
	v_add_nc_u32_e32 v7, -1, v0
	v_add_nc_u32_e32 v8, 0x3d0, v133
	v_mov_b32_e32 v2, 0
	v_mov_b32_e32 v4, 0
	v_add_nc_u32_e32 v131, 16, v133
	s_mov_b32 s5, 0
	.p2align	6
.LBB124_69:                             ; =>This Inner Loop Header: Depth=1
	s_clause 0x3
	buffer_load_dword v138, v131, s[0:3], 0 offen offset:8
	buffer_load_dword v139, v131, s[0:3], 0 offen offset:12
	buffer_load_dword v140, v131, s[0:3], 0 offen
	buffer_load_dword v141, v131, s[0:3], 0 offen offset:4
	ds_read_b128 v[134:137], v8
	v_add_nc_u32_e32 v7, 1, v7
	v_add_nc_u32_e32 v8, 16, v8
	;; [unrolled: 1-line block ×3, first 2 shown]
	v_cmp_lt_u32_e32 vcc_lo, 9, v7
	s_or_b32 s5, vcc_lo, s5
	s_waitcnt vmcnt(2) lgkmcnt(0)
	v_mul_f64 v[142:143], v[136:137], v[138:139]
	v_mul_f64 v[138:139], v[134:135], v[138:139]
	s_waitcnt vmcnt(0)
	v_fma_f64 v[134:135], v[134:135], v[140:141], -v[142:143]
	v_fma_f64 v[136:137], v[136:137], v[140:141], v[138:139]
	v_add_f64 v[3:4], v[3:4], v[134:135]
	v_add_f64 v[1:2], v[1:2], v[136:137]
	s_andn2_b32 exec_lo, exec_lo, s5
	s_cbranch_execnz .LBB124_69
; %bb.70:
	s_or_b32 exec_lo, exec_lo, s5
	v_mov_b32_e32 v7, 0
	ds_read_b128 v[134:137], v7 offset:176
	s_waitcnt lgkmcnt(0)
	v_mul_f64 v[7:8], v[1:2], v[136:137]
	v_mul_f64 v[131:132], v[3:4], v[136:137]
	v_fma_f64 v[3:4], v[3:4], v[134:135], -v[7:8]
	v_fma_f64 v[1:2], v[1:2], v[134:135], v[131:132]
	buffer_store_dword v4, off, s[0:3], 0 offset:196
	buffer_store_dword v3, off, s[0:3], 0 offset:192
	;; [unrolled: 1-line block ×4, first 2 shown]
.LBB124_71:
	s_or_b32 exec_lo, exec_lo, s4
	v_mov_b32_e32 v4, s63
	s_waitcnt_vscnt null, 0x0
	s_barrier
	buffer_gl0_inv
	s_mov_b32 s4, exec_lo
	s_clause 0x3
	buffer_load_dword v1, v4, s[0:3], 0 offen
	buffer_load_dword v2, v4, s[0:3], 0 offen offset:4
	buffer_load_dword v3, v4, s[0:3], 0 offen offset:8
	;; [unrolled: 1-line block ×3, first 2 shown]
	s_waitcnt vmcnt(0)
	ds_write_b128 v5, v[1:4]
	s_waitcnt lgkmcnt(0)
	s_barrier
	buffer_gl0_inv
	v_cmpx_gt_u32_e32 12, v0
	s_cbranch_execz .LBB124_75
; %bb.72:
	v_mov_b32_e32 v1, 0
	v_mov_b32_e32 v3, 0
	v_add_nc_u32_e32 v7, -1, v0
	v_add_nc_u32_e32 v8, 0x3d0, v133
	v_mov_b32_e32 v2, 0
	v_mov_b32_e32 v4, 0
	v_add_nc_u32_e32 v131, 16, v133
	s_mov_b32 s5, 0
	.p2align	6
.LBB124_73:                             ; =>This Inner Loop Header: Depth=1
	s_clause 0x3
	buffer_load_dword v138, v131, s[0:3], 0 offen offset:8
	buffer_load_dword v139, v131, s[0:3], 0 offen offset:12
	buffer_load_dword v140, v131, s[0:3], 0 offen
	buffer_load_dword v141, v131, s[0:3], 0 offen offset:4
	ds_read_b128 v[134:137], v8
	v_add_nc_u32_e32 v7, 1, v7
	v_add_nc_u32_e32 v8, 16, v8
	;; [unrolled: 1-line block ×3, first 2 shown]
	v_cmp_lt_u32_e32 vcc_lo, 10, v7
	s_or_b32 s5, vcc_lo, s5
	s_waitcnt vmcnt(2) lgkmcnt(0)
	v_mul_f64 v[142:143], v[136:137], v[138:139]
	v_mul_f64 v[138:139], v[134:135], v[138:139]
	s_waitcnt vmcnt(0)
	v_fma_f64 v[134:135], v[134:135], v[140:141], -v[142:143]
	v_fma_f64 v[136:137], v[136:137], v[140:141], v[138:139]
	v_add_f64 v[3:4], v[3:4], v[134:135]
	v_add_f64 v[1:2], v[1:2], v[136:137]
	s_andn2_b32 exec_lo, exec_lo, s5
	s_cbranch_execnz .LBB124_73
; %bb.74:
	s_or_b32 exec_lo, exec_lo, s5
	v_mov_b32_e32 v7, 0
	ds_read_b128 v[134:137], v7 offset:192
	s_waitcnt lgkmcnt(0)
	v_mul_f64 v[7:8], v[1:2], v[136:137]
	v_mul_f64 v[131:132], v[3:4], v[136:137]
	v_fma_f64 v[3:4], v[3:4], v[134:135], -v[7:8]
	v_fma_f64 v[1:2], v[1:2], v[134:135], v[131:132]
	buffer_store_dword v4, off, s[0:3], 0 offset:212
	buffer_store_dword v3, off, s[0:3], 0 offset:208
	;; [unrolled: 1-line block ×4, first 2 shown]
.LBB124_75:
	s_or_b32 exec_lo, exec_lo, s4
	v_mov_b32_e32 v4, s62
	s_waitcnt_vscnt null, 0x0
	s_barrier
	buffer_gl0_inv
	s_mov_b32 s4, exec_lo
	s_clause 0x3
	buffer_load_dword v1, v4, s[0:3], 0 offen
	buffer_load_dword v2, v4, s[0:3], 0 offen offset:4
	buffer_load_dword v3, v4, s[0:3], 0 offen offset:8
	;; [unrolled: 1-line block ×3, first 2 shown]
	s_waitcnt vmcnt(0)
	ds_write_b128 v5, v[1:4]
	s_waitcnt lgkmcnt(0)
	s_barrier
	buffer_gl0_inv
	v_cmpx_gt_u32_e32 13, v0
	s_cbranch_execz .LBB124_79
; %bb.76:
	v_mov_b32_e32 v1, 0
	v_mov_b32_e32 v3, 0
	v_add_nc_u32_e32 v7, -1, v0
	v_add_nc_u32_e32 v8, 0x3d0, v133
	v_mov_b32_e32 v2, 0
	v_mov_b32_e32 v4, 0
	v_add_nc_u32_e32 v131, 16, v133
	s_mov_b32 s5, 0
	.p2align	6
.LBB124_77:                             ; =>This Inner Loop Header: Depth=1
	s_clause 0x3
	buffer_load_dword v138, v131, s[0:3], 0 offen offset:8
	buffer_load_dword v139, v131, s[0:3], 0 offen offset:12
	buffer_load_dword v140, v131, s[0:3], 0 offen
	buffer_load_dword v141, v131, s[0:3], 0 offen offset:4
	ds_read_b128 v[134:137], v8
	v_add_nc_u32_e32 v7, 1, v7
	v_add_nc_u32_e32 v8, 16, v8
	;; [unrolled: 1-line block ×3, first 2 shown]
	v_cmp_lt_u32_e32 vcc_lo, 11, v7
	s_or_b32 s5, vcc_lo, s5
	s_waitcnt vmcnt(2) lgkmcnt(0)
	v_mul_f64 v[142:143], v[136:137], v[138:139]
	v_mul_f64 v[138:139], v[134:135], v[138:139]
	s_waitcnt vmcnt(0)
	v_fma_f64 v[134:135], v[134:135], v[140:141], -v[142:143]
	v_fma_f64 v[136:137], v[136:137], v[140:141], v[138:139]
	v_add_f64 v[3:4], v[3:4], v[134:135]
	v_add_f64 v[1:2], v[1:2], v[136:137]
	s_andn2_b32 exec_lo, exec_lo, s5
	s_cbranch_execnz .LBB124_77
; %bb.78:
	s_or_b32 exec_lo, exec_lo, s5
	v_mov_b32_e32 v7, 0
	ds_read_b128 v[134:137], v7 offset:208
	s_waitcnt lgkmcnt(0)
	v_mul_f64 v[7:8], v[1:2], v[136:137]
	v_mul_f64 v[131:132], v[3:4], v[136:137]
	v_fma_f64 v[3:4], v[3:4], v[134:135], -v[7:8]
	v_fma_f64 v[1:2], v[1:2], v[134:135], v[131:132]
	buffer_store_dword v4, off, s[0:3], 0 offset:228
	buffer_store_dword v3, off, s[0:3], 0 offset:224
	;; [unrolled: 1-line block ×4, first 2 shown]
.LBB124_79:
	s_or_b32 exec_lo, exec_lo, s4
	v_mov_b32_e32 v4, s61
	s_waitcnt_vscnt null, 0x0
	s_barrier
	buffer_gl0_inv
	s_mov_b32 s4, exec_lo
	s_clause 0x3
	buffer_load_dword v1, v4, s[0:3], 0 offen
	buffer_load_dword v2, v4, s[0:3], 0 offen offset:4
	buffer_load_dword v3, v4, s[0:3], 0 offen offset:8
	;; [unrolled: 1-line block ×3, first 2 shown]
	s_waitcnt vmcnt(0)
	ds_write_b128 v5, v[1:4]
	s_waitcnt lgkmcnt(0)
	s_barrier
	buffer_gl0_inv
	v_cmpx_gt_u32_e32 14, v0
	s_cbranch_execz .LBB124_83
; %bb.80:
	v_mov_b32_e32 v1, 0
	v_mov_b32_e32 v3, 0
	v_add_nc_u32_e32 v7, -1, v0
	v_add_nc_u32_e32 v8, 0x3d0, v133
	v_mov_b32_e32 v2, 0
	v_mov_b32_e32 v4, 0
	v_add_nc_u32_e32 v131, 16, v133
	s_mov_b32 s5, 0
	.p2align	6
.LBB124_81:                             ; =>This Inner Loop Header: Depth=1
	s_clause 0x3
	buffer_load_dword v138, v131, s[0:3], 0 offen offset:8
	buffer_load_dword v139, v131, s[0:3], 0 offen offset:12
	buffer_load_dword v140, v131, s[0:3], 0 offen
	buffer_load_dword v141, v131, s[0:3], 0 offen offset:4
	ds_read_b128 v[134:137], v8
	v_add_nc_u32_e32 v7, 1, v7
	v_add_nc_u32_e32 v8, 16, v8
	;; [unrolled: 1-line block ×3, first 2 shown]
	v_cmp_lt_u32_e32 vcc_lo, 12, v7
	s_or_b32 s5, vcc_lo, s5
	s_waitcnt vmcnt(2) lgkmcnt(0)
	v_mul_f64 v[142:143], v[136:137], v[138:139]
	v_mul_f64 v[138:139], v[134:135], v[138:139]
	s_waitcnt vmcnt(0)
	v_fma_f64 v[134:135], v[134:135], v[140:141], -v[142:143]
	v_fma_f64 v[136:137], v[136:137], v[140:141], v[138:139]
	v_add_f64 v[3:4], v[3:4], v[134:135]
	v_add_f64 v[1:2], v[1:2], v[136:137]
	s_andn2_b32 exec_lo, exec_lo, s5
	s_cbranch_execnz .LBB124_81
; %bb.82:
	s_or_b32 exec_lo, exec_lo, s5
	v_mov_b32_e32 v7, 0
	ds_read_b128 v[134:137], v7 offset:224
	s_waitcnt lgkmcnt(0)
	v_mul_f64 v[7:8], v[1:2], v[136:137]
	v_mul_f64 v[131:132], v[3:4], v[136:137]
	v_fma_f64 v[3:4], v[3:4], v[134:135], -v[7:8]
	v_fma_f64 v[1:2], v[1:2], v[134:135], v[131:132]
	buffer_store_dword v4, off, s[0:3], 0 offset:244
	buffer_store_dword v3, off, s[0:3], 0 offset:240
	buffer_store_dword v2, off, s[0:3], 0 offset:252
	buffer_store_dword v1, off, s[0:3], 0 offset:248
.LBB124_83:
	s_or_b32 exec_lo, exec_lo, s4
	v_mov_b32_e32 v4, s60
	s_waitcnt_vscnt null, 0x0
	s_barrier
	buffer_gl0_inv
	s_mov_b32 s4, exec_lo
	s_clause 0x3
	buffer_load_dword v1, v4, s[0:3], 0 offen
	buffer_load_dword v2, v4, s[0:3], 0 offen offset:4
	buffer_load_dword v3, v4, s[0:3], 0 offen offset:8
	;; [unrolled: 1-line block ×3, first 2 shown]
	s_waitcnt vmcnt(0)
	ds_write_b128 v5, v[1:4]
	s_waitcnt lgkmcnt(0)
	s_barrier
	buffer_gl0_inv
	v_cmpx_gt_u32_e32 15, v0
	s_cbranch_execz .LBB124_87
; %bb.84:
	v_mov_b32_e32 v1, 0
	v_mov_b32_e32 v3, 0
	v_add_nc_u32_e32 v7, -1, v0
	v_add_nc_u32_e32 v8, 0x3d0, v133
	v_mov_b32_e32 v2, 0
	v_mov_b32_e32 v4, 0
	v_add_nc_u32_e32 v131, 16, v133
	s_mov_b32 s5, 0
	.p2align	6
.LBB124_85:                             ; =>This Inner Loop Header: Depth=1
	s_clause 0x3
	buffer_load_dword v138, v131, s[0:3], 0 offen offset:8
	buffer_load_dword v139, v131, s[0:3], 0 offen offset:12
	buffer_load_dword v140, v131, s[0:3], 0 offen
	buffer_load_dword v141, v131, s[0:3], 0 offen offset:4
	ds_read_b128 v[134:137], v8
	v_add_nc_u32_e32 v7, 1, v7
	v_add_nc_u32_e32 v8, 16, v8
	;; [unrolled: 1-line block ×3, first 2 shown]
	v_cmp_lt_u32_e32 vcc_lo, 13, v7
	s_or_b32 s5, vcc_lo, s5
	s_waitcnt vmcnt(2) lgkmcnt(0)
	v_mul_f64 v[142:143], v[136:137], v[138:139]
	v_mul_f64 v[138:139], v[134:135], v[138:139]
	s_waitcnt vmcnt(0)
	v_fma_f64 v[134:135], v[134:135], v[140:141], -v[142:143]
	v_fma_f64 v[136:137], v[136:137], v[140:141], v[138:139]
	v_add_f64 v[3:4], v[3:4], v[134:135]
	v_add_f64 v[1:2], v[1:2], v[136:137]
	s_andn2_b32 exec_lo, exec_lo, s5
	s_cbranch_execnz .LBB124_85
; %bb.86:
	s_or_b32 exec_lo, exec_lo, s5
	v_mov_b32_e32 v7, 0
	ds_read_b128 v[134:137], v7 offset:240
	s_waitcnt lgkmcnt(0)
	v_mul_f64 v[7:8], v[1:2], v[136:137]
	v_mul_f64 v[131:132], v[3:4], v[136:137]
	v_fma_f64 v[3:4], v[3:4], v[134:135], -v[7:8]
	v_fma_f64 v[1:2], v[1:2], v[134:135], v[131:132]
	buffer_store_dword v4, off, s[0:3], 0 offset:260
	buffer_store_dword v3, off, s[0:3], 0 offset:256
	buffer_store_dword v2, off, s[0:3], 0 offset:268
	buffer_store_dword v1, off, s[0:3], 0 offset:264
.LBB124_87:
	s_or_b32 exec_lo, exec_lo, s4
	v_mov_b32_e32 v4, s59
	s_waitcnt_vscnt null, 0x0
	s_barrier
	buffer_gl0_inv
	s_mov_b32 s4, exec_lo
	s_clause 0x3
	buffer_load_dword v1, v4, s[0:3], 0 offen
	buffer_load_dword v2, v4, s[0:3], 0 offen offset:4
	buffer_load_dword v3, v4, s[0:3], 0 offen offset:8
	;; [unrolled: 1-line block ×3, first 2 shown]
	s_waitcnt vmcnt(0)
	ds_write_b128 v5, v[1:4]
	s_waitcnt lgkmcnt(0)
	s_barrier
	buffer_gl0_inv
	v_cmpx_gt_u32_e32 16, v0
	s_cbranch_execz .LBB124_91
; %bb.88:
	v_mov_b32_e32 v1, 0
	v_mov_b32_e32 v3, 0
	v_add_nc_u32_e32 v7, -1, v0
	v_add_nc_u32_e32 v8, 0x3d0, v133
	v_mov_b32_e32 v2, 0
	v_mov_b32_e32 v4, 0
	v_add_nc_u32_e32 v131, 16, v133
	s_mov_b32 s5, 0
	.p2align	6
.LBB124_89:                             ; =>This Inner Loop Header: Depth=1
	s_clause 0x3
	buffer_load_dword v138, v131, s[0:3], 0 offen offset:8
	buffer_load_dword v139, v131, s[0:3], 0 offen offset:12
	buffer_load_dword v140, v131, s[0:3], 0 offen
	buffer_load_dword v141, v131, s[0:3], 0 offen offset:4
	ds_read_b128 v[134:137], v8
	v_add_nc_u32_e32 v7, 1, v7
	v_add_nc_u32_e32 v8, 16, v8
	;; [unrolled: 1-line block ×3, first 2 shown]
	v_cmp_lt_u32_e32 vcc_lo, 14, v7
	s_or_b32 s5, vcc_lo, s5
	s_waitcnt vmcnt(2) lgkmcnt(0)
	v_mul_f64 v[142:143], v[136:137], v[138:139]
	v_mul_f64 v[138:139], v[134:135], v[138:139]
	s_waitcnt vmcnt(0)
	v_fma_f64 v[134:135], v[134:135], v[140:141], -v[142:143]
	v_fma_f64 v[136:137], v[136:137], v[140:141], v[138:139]
	v_add_f64 v[3:4], v[3:4], v[134:135]
	v_add_f64 v[1:2], v[1:2], v[136:137]
	s_andn2_b32 exec_lo, exec_lo, s5
	s_cbranch_execnz .LBB124_89
; %bb.90:
	s_or_b32 exec_lo, exec_lo, s5
	v_mov_b32_e32 v7, 0
	ds_read_b128 v[134:137], v7 offset:256
	s_waitcnt lgkmcnt(0)
	v_mul_f64 v[7:8], v[1:2], v[136:137]
	v_mul_f64 v[131:132], v[3:4], v[136:137]
	v_fma_f64 v[3:4], v[3:4], v[134:135], -v[7:8]
	v_fma_f64 v[1:2], v[1:2], v[134:135], v[131:132]
	buffer_store_dword v4, off, s[0:3], 0 offset:276
	buffer_store_dword v3, off, s[0:3], 0 offset:272
	;; [unrolled: 1-line block ×4, first 2 shown]
.LBB124_91:
	s_or_b32 exec_lo, exec_lo, s4
	v_mov_b32_e32 v4, s58
	s_waitcnt_vscnt null, 0x0
	s_barrier
	buffer_gl0_inv
	s_mov_b32 s4, exec_lo
	s_clause 0x3
	buffer_load_dword v1, v4, s[0:3], 0 offen
	buffer_load_dword v2, v4, s[0:3], 0 offen offset:4
	buffer_load_dword v3, v4, s[0:3], 0 offen offset:8
	;; [unrolled: 1-line block ×3, first 2 shown]
	s_waitcnt vmcnt(0)
	ds_write_b128 v5, v[1:4]
	s_waitcnt lgkmcnt(0)
	s_barrier
	buffer_gl0_inv
	v_cmpx_gt_u32_e32 17, v0
	s_cbranch_execz .LBB124_95
; %bb.92:
	v_mov_b32_e32 v1, 0
	v_mov_b32_e32 v3, 0
	v_add_nc_u32_e32 v7, -1, v0
	v_add_nc_u32_e32 v8, 0x3d0, v133
	v_mov_b32_e32 v2, 0
	v_mov_b32_e32 v4, 0
	v_add_nc_u32_e32 v131, 16, v133
	s_mov_b32 s5, 0
	.p2align	6
.LBB124_93:                             ; =>This Inner Loop Header: Depth=1
	s_clause 0x3
	buffer_load_dword v138, v131, s[0:3], 0 offen offset:8
	buffer_load_dword v139, v131, s[0:3], 0 offen offset:12
	buffer_load_dword v140, v131, s[0:3], 0 offen
	buffer_load_dword v141, v131, s[0:3], 0 offen offset:4
	ds_read_b128 v[134:137], v8
	v_add_nc_u32_e32 v7, 1, v7
	v_add_nc_u32_e32 v8, 16, v8
	;; [unrolled: 1-line block ×3, first 2 shown]
	v_cmp_lt_u32_e32 vcc_lo, 15, v7
	s_or_b32 s5, vcc_lo, s5
	s_waitcnt vmcnt(2) lgkmcnt(0)
	v_mul_f64 v[142:143], v[136:137], v[138:139]
	v_mul_f64 v[138:139], v[134:135], v[138:139]
	s_waitcnt vmcnt(0)
	v_fma_f64 v[134:135], v[134:135], v[140:141], -v[142:143]
	v_fma_f64 v[136:137], v[136:137], v[140:141], v[138:139]
	v_add_f64 v[3:4], v[3:4], v[134:135]
	v_add_f64 v[1:2], v[1:2], v[136:137]
	s_andn2_b32 exec_lo, exec_lo, s5
	s_cbranch_execnz .LBB124_93
; %bb.94:
	s_or_b32 exec_lo, exec_lo, s5
	v_mov_b32_e32 v7, 0
	ds_read_b128 v[134:137], v7 offset:272
	s_waitcnt lgkmcnt(0)
	v_mul_f64 v[7:8], v[1:2], v[136:137]
	v_mul_f64 v[131:132], v[3:4], v[136:137]
	v_fma_f64 v[3:4], v[3:4], v[134:135], -v[7:8]
	v_fma_f64 v[1:2], v[1:2], v[134:135], v[131:132]
	buffer_store_dword v4, off, s[0:3], 0 offset:292
	buffer_store_dword v3, off, s[0:3], 0 offset:288
	;; [unrolled: 1-line block ×4, first 2 shown]
.LBB124_95:
	s_or_b32 exec_lo, exec_lo, s4
	v_mov_b32_e32 v4, s57
	s_waitcnt_vscnt null, 0x0
	s_barrier
	buffer_gl0_inv
	s_mov_b32 s4, exec_lo
	s_clause 0x3
	buffer_load_dword v1, v4, s[0:3], 0 offen
	buffer_load_dword v2, v4, s[0:3], 0 offen offset:4
	buffer_load_dword v3, v4, s[0:3], 0 offen offset:8
	;; [unrolled: 1-line block ×3, first 2 shown]
	s_waitcnt vmcnt(0)
	ds_write_b128 v5, v[1:4]
	s_waitcnt lgkmcnt(0)
	s_barrier
	buffer_gl0_inv
	v_cmpx_gt_u32_e32 18, v0
	s_cbranch_execz .LBB124_99
; %bb.96:
	v_mov_b32_e32 v1, 0
	v_mov_b32_e32 v3, 0
	v_add_nc_u32_e32 v7, -1, v0
	v_add_nc_u32_e32 v8, 0x3d0, v133
	v_mov_b32_e32 v2, 0
	v_mov_b32_e32 v4, 0
	v_add_nc_u32_e32 v131, 16, v133
	s_mov_b32 s5, 0
	.p2align	6
.LBB124_97:                             ; =>This Inner Loop Header: Depth=1
	s_clause 0x3
	buffer_load_dword v138, v131, s[0:3], 0 offen offset:8
	buffer_load_dword v139, v131, s[0:3], 0 offen offset:12
	buffer_load_dword v140, v131, s[0:3], 0 offen
	buffer_load_dword v141, v131, s[0:3], 0 offen offset:4
	ds_read_b128 v[134:137], v8
	v_add_nc_u32_e32 v7, 1, v7
	v_add_nc_u32_e32 v8, 16, v8
	;; [unrolled: 1-line block ×3, first 2 shown]
	v_cmp_lt_u32_e32 vcc_lo, 16, v7
	s_or_b32 s5, vcc_lo, s5
	s_waitcnt vmcnt(2) lgkmcnt(0)
	v_mul_f64 v[142:143], v[136:137], v[138:139]
	v_mul_f64 v[138:139], v[134:135], v[138:139]
	s_waitcnt vmcnt(0)
	v_fma_f64 v[134:135], v[134:135], v[140:141], -v[142:143]
	v_fma_f64 v[136:137], v[136:137], v[140:141], v[138:139]
	v_add_f64 v[3:4], v[3:4], v[134:135]
	v_add_f64 v[1:2], v[1:2], v[136:137]
	s_andn2_b32 exec_lo, exec_lo, s5
	s_cbranch_execnz .LBB124_97
; %bb.98:
	s_or_b32 exec_lo, exec_lo, s5
	v_mov_b32_e32 v7, 0
	ds_read_b128 v[134:137], v7 offset:288
	s_waitcnt lgkmcnt(0)
	v_mul_f64 v[7:8], v[1:2], v[136:137]
	v_mul_f64 v[131:132], v[3:4], v[136:137]
	v_fma_f64 v[3:4], v[3:4], v[134:135], -v[7:8]
	v_fma_f64 v[1:2], v[1:2], v[134:135], v[131:132]
	buffer_store_dword v4, off, s[0:3], 0 offset:308
	buffer_store_dword v3, off, s[0:3], 0 offset:304
	;; [unrolled: 1-line block ×4, first 2 shown]
.LBB124_99:
	s_or_b32 exec_lo, exec_lo, s4
	v_mov_b32_e32 v4, s56
	s_waitcnt_vscnt null, 0x0
	s_barrier
	buffer_gl0_inv
	s_mov_b32 s4, exec_lo
	s_clause 0x3
	buffer_load_dword v1, v4, s[0:3], 0 offen
	buffer_load_dword v2, v4, s[0:3], 0 offen offset:4
	buffer_load_dword v3, v4, s[0:3], 0 offen offset:8
	;; [unrolled: 1-line block ×3, first 2 shown]
	s_waitcnt vmcnt(0)
	ds_write_b128 v5, v[1:4]
	s_waitcnt lgkmcnt(0)
	s_barrier
	buffer_gl0_inv
	v_cmpx_gt_u32_e32 19, v0
	s_cbranch_execz .LBB124_103
; %bb.100:
	v_mov_b32_e32 v1, 0
	v_mov_b32_e32 v3, 0
	v_add_nc_u32_e32 v7, -1, v0
	v_add_nc_u32_e32 v8, 0x3d0, v133
	v_mov_b32_e32 v2, 0
	v_mov_b32_e32 v4, 0
	v_add_nc_u32_e32 v131, 16, v133
	s_mov_b32 s5, 0
	.p2align	6
.LBB124_101:                            ; =>This Inner Loop Header: Depth=1
	s_clause 0x3
	buffer_load_dword v138, v131, s[0:3], 0 offen offset:8
	buffer_load_dword v139, v131, s[0:3], 0 offen offset:12
	buffer_load_dword v140, v131, s[0:3], 0 offen
	buffer_load_dword v141, v131, s[0:3], 0 offen offset:4
	ds_read_b128 v[134:137], v8
	v_add_nc_u32_e32 v7, 1, v7
	v_add_nc_u32_e32 v8, 16, v8
	;; [unrolled: 1-line block ×3, first 2 shown]
	v_cmp_lt_u32_e32 vcc_lo, 17, v7
	s_or_b32 s5, vcc_lo, s5
	s_waitcnt vmcnt(2) lgkmcnt(0)
	v_mul_f64 v[142:143], v[136:137], v[138:139]
	v_mul_f64 v[138:139], v[134:135], v[138:139]
	s_waitcnt vmcnt(0)
	v_fma_f64 v[134:135], v[134:135], v[140:141], -v[142:143]
	v_fma_f64 v[136:137], v[136:137], v[140:141], v[138:139]
	v_add_f64 v[3:4], v[3:4], v[134:135]
	v_add_f64 v[1:2], v[1:2], v[136:137]
	s_andn2_b32 exec_lo, exec_lo, s5
	s_cbranch_execnz .LBB124_101
; %bb.102:
	s_or_b32 exec_lo, exec_lo, s5
	v_mov_b32_e32 v7, 0
	ds_read_b128 v[134:137], v7 offset:304
	s_waitcnt lgkmcnt(0)
	v_mul_f64 v[7:8], v[1:2], v[136:137]
	v_mul_f64 v[131:132], v[3:4], v[136:137]
	v_fma_f64 v[3:4], v[3:4], v[134:135], -v[7:8]
	v_fma_f64 v[1:2], v[1:2], v[134:135], v[131:132]
	buffer_store_dword v4, off, s[0:3], 0 offset:324
	buffer_store_dword v3, off, s[0:3], 0 offset:320
	;; [unrolled: 1-line block ×4, first 2 shown]
.LBB124_103:
	s_or_b32 exec_lo, exec_lo, s4
	v_mov_b32_e32 v4, s55
	s_waitcnt_vscnt null, 0x0
	s_barrier
	buffer_gl0_inv
	s_mov_b32 s4, exec_lo
	s_clause 0x3
	buffer_load_dword v1, v4, s[0:3], 0 offen
	buffer_load_dword v2, v4, s[0:3], 0 offen offset:4
	buffer_load_dword v3, v4, s[0:3], 0 offen offset:8
	;; [unrolled: 1-line block ×3, first 2 shown]
	s_waitcnt vmcnt(0)
	ds_write_b128 v5, v[1:4]
	s_waitcnt lgkmcnt(0)
	s_barrier
	buffer_gl0_inv
	v_cmpx_gt_u32_e32 20, v0
	s_cbranch_execz .LBB124_107
; %bb.104:
	v_mov_b32_e32 v1, 0
	v_mov_b32_e32 v3, 0
	v_add_nc_u32_e32 v7, -1, v0
	v_add_nc_u32_e32 v8, 0x3d0, v133
	v_mov_b32_e32 v2, 0
	v_mov_b32_e32 v4, 0
	v_add_nc_u32_e32 v131, 16, v133
	s_mov_b32 s5, 0
	.p2align	6
.LBB124_105:                            ; =>This Inner Loop Header: Depth=1
	s_clause 0x3
	buffer_load_dword v138, v131, s[0:3], 0 offen offset:8
	buffer_load_dword v139, v131, s[0:3], 0 offen offset:12
	buffer_load_dword v140, v131, s[0:3], 0 offen
	buffer_load_dword v141, v131, s[0:3], 0 offen offset:4
	ds_read_b128 v[134:137], v8
	v_add_nc_u32_e32 v7, 1, v7
	v_add_nc_u32_e32 v8, 16, v8
	;; [unrolled: 1-line block ×3, first 2 shown]
	v_cmp_lt_u32_e32 vcc_lo, 18, v7
	s_or_b32 s5, vcc_lo, s5
	s_waitcnt vmcnt(2) lgkmcnt(0)
	v_mul_f64 v[142:143], v[136:137], v[138:139]
	v_mul_f64 v[138:139], v[134:135], v[138:139]
	s_waitcnt vmcnt(0)
	v_fma_f64 v[134:135], v[134:135], v[140:141], -v[142:143]
	v_fma_f64 v[136:137], v[136:137], v[140:141], v[138:139]
	v_add_f64 v[3:4], v[3:4], v[134:135]
	v_add_f64 v[1:2], v[1:2], v[136:137]
	s_andn2_b32 exec_lo, exec_lo, s5
	s_cbranch_execnz .LBB124_105
; %bb.106:
	s_or_b32 exec_lo, exec_lo, s5
	v_mov_b32_e32 v7, 0
	ds_read_b128 v[134:137], v7 offset:320
	s_waitcnt lgkmcnt(0)
	v_mul_f64 v[7:8], v[1:2], v[136:137]
	v_mul_f64 v[131:132], v[3:4], v[136:137]
	v_fma_f64 v[3:4], v[3:4], v[134:135], -v[7:8]
	v_fma_f64 v[1:2], v[1:2], v[134:135], v[131:132]
	buffer_store_dword v4, off, s[0:3], 0 offset:340
	buffer_store_dword v3, off, s[0:3], 0 offset:336
	;; [unrolled: 1-line block ×4, first 2 shown]
.LBB124_107:
	s_or_b32 exec_lo, exec_lo, s4
	v_mov_b32_e32 v4, s54
	s_waitcnt_vscnt null, 0x0
	s_barrier
	buffer_gl0_inv
	s_mov_b32 s4, exec_lo
	s_clause 0x3
	buffer_load_dword v1, v4, s[0:3], 0 offen
	buffer_load_dword v2, v4, s[0:3], 0 offen offset:4
	buffer_load_dword v3, v4, s[0:3], 0 offen offset:8
	;; [unrolled: 1-line block ×3, first 2 shown]
	s_waitcnt vmcnt(0)
	ds_write_b128 v5, v[1:4]
	s_waitcnt lgkmcnt(0)
	s_barrier
	buffer_gl0_inv
	v_cmpx_gt_u32_e32 21, v0
	s_cbranch_execz .LBB124_111
; %bb.108:
	v_mov_b32_e32 v1, 0
	v_mov_b32_e32 v3, 0
	v_add_nc_u32_e32 v7, -1, v0
	v_add_nc_u32_e32 v8, 0x3d0, v133
	v_mov_b32_e32 v2, 0
	v_mov_b32_e32 v4, 0
	v_add_nc_u32_e32 v131, 16, v133
	s_mov_b32 s5, 0
	.p2align	6
.LBB124_109:                            ; =>This Inner Loop Header: Depth=1
	s_clause 0x3
	buffer_load_dword v138, v131, s[0:3], 0 offen offset:8
	buffer_load_dword v139, v131, s[0:3], 0 offen offset:12
	buffer_load_dword v140, v131, s[0:3], 0 offen
	buffer_load_dword v141, v131, s[0:3], 0 offen offset:4
	ds_read_b128 v[134:137], v8
	v_add_nc_u32_e32 v7, 1, v7
	v_add_nc_u32_e32 v8, 16, v8
	;; [unrolled: 1-line block ×3, first 2 shown]
	v_cmp_lt_u32_e32 vcc_lo, 19, v7
	s_or_b32 s5, vcc_lo, s5
	s_waitcnt vmcnt(2) lgkmcnt(0)
	v_mul_f64 v[142:143], v[136:137], v[138:139]
	v_mul_f64 v[138:139], v[134:135], v[138:139]
	s_waitcnt vmcnt(0)
	v_fma_f64 v[134:135], v[134:135], v[140:141], -v[142:143]
	v_fma_f64 v[136:137], v[136:137], v[140:141], v[138:139]
	v_add_f64 v[3:4], v[3:4], v[134:135]
	v_add_f64 v[1:2], v[1:2], v[136:137]
	s_andn2_b32 exec_lo, exec_lo, s5
	s_cbranch_execnz .LBB124_109
; %bb.110:
	s_or_b32 exec_lo, exec_lo, s5
	v_mov_b32_e32 v7, 0
	ds_read_b128 v[134:137], v7 offset:336
	s_waitcnt lgkmcnt(0)
	v_mul_f64 v[7:8], v[1:2], v[136:137]
	v_mul_f64 v[131:132], v[3:4], v[136:137]
	v_fma_f64 v[3:4], v[3:4], v[134:135], -v[7:8]
	v_fma_f64 v[1:2], v[1:2], v[134:135], v[131:132]
	buffer_store_dword v4, off, s[0:3], 0 offset:356
	buffer_store_dword v3, off, s[0:3], 0 offset:352
	;; [unrolled: 1-line block ×4, first 2 shown]
.LBB124_111:
	s_or_b32 exec_lo, exec_lo, s4
	v_mov_b32_e32 v4, s53
	s_waitcnt_vscnt null, 0x0
	s_barrier
	buffer_gl0_inv
	s_mov_b32 s4, exec_lo
	s_clause 0x3
	buffer_load_dword v1, v4, s[0:3], 0 offen
	buffer_load_dword v2, v4, s[0:3], 0 offen offset:4
	buffer_load_dword v3, v4, s[0:3], 0 offen offset:8
	;; [unrolled: 1-line block ×3, first 2 shown]
	s_waitcnt vmcnt(0)
	ds_write_b128 v5, v[1:4]
	s_waitcnt lgkmcnt(0)
	s_barrier
	buffer_gl0_inv
	v_cmpx_gt_u32_e32 22, v0
	s_cbranch_execz .LBB124_115
; %bb.112:
	v_mov_b32_e32 v1, 0
	v_mov_b32_e32 v3, 0
	v_add_nc_u32_e32 v7, -1, v0
	v_add_nc_u32_e32 v8, 0x3d0, v133
	v_mov_b32_e32 v2, 0
	v_mov_b32_e32 v4, 0
	v_add_nc_u32_e32 v131, 16, v133
	s_mov_b32 s5, 0
	.p2align	6
.LBB124_113:                            ; =>This Inner Loop Header: Depth=1
	s_clause 0x3
	buffer_load_dword v138, v131, s[0:3], 0 offen offset:8
	buffer_load_dword v139, v131, s[0:3], 0 offen offset:12
	buffer_load_dword v140, v131, s[0:3], 0 offen
	buffer_load_dword v141, v131, s[0:3], 0 offen offset:4
	ds_read_b128 v[134:137], v8
	v_add_nc_u32_e32 v7, 1, v7
	v_add_nc_u32_e32 v8, 16, v8
	;; [unrolled: 1-line block ×3, first 2 shown]
	v_cmp_lt_u32_e32 vcc_lo, 20, v7
	s_or_b32 s5, vcc_lo, s5
	s_waitcnt vmcnt(2) lgkmcnt(0)
	v_mul_f64 v[142:143], v[136:137], v[138:139]
	v_mul_f64 v[138:139], v[134:135], v[138:139]
	s_waitcnt vmcnt(0)
	v_fma_f64 v[134:135], v[134:135], v[140:141], -v[142:143]
	v_fma_f64 v[136:137], v[136:137], v[140:141], v[138:139]
	v_add_f64 v[3:4], v[3:4], v[134:135]
	v_add_f64 v[1:2], v[1:2], v[136:137]
	s_andn2_b32 exec_lo, exec_lo, s5
	s_cbranch_execnz .LBB124_113
; %bb.114:
	s_or_b32 exec_lo, exec_lo, s5
	v_mov_b32_e32 v7, 0
	ds_read_b128 v[134:137], v7 offset:352
	s_waitcnt lgkmcnt(0)
	v_mul_f64 v[7:8], v[1:2], v[136:137]
	v_mul_f64 v[131:132], v[3:4], v[136:137]
	v_fma_f64 v[3:4], v[3:4], v[134:135], -v[7:8]
	v_fma_f64 v[1:2], v[1:2], v[134:135], v[131:132]
	buffer_store_dword v4, off, s[0:3], 0 offset:372
	buffer_store_dword v3, off, s[0:3], 0 offset:368
	;; [unrolled: 1-line block ×4, first 2 shown]
.LBB124_115:
	s_or_b32 exec_lo, exec_lo, s4
	v_mov_b32_e32 v4, s52
	s_waitcnt_vscnt null, 0x0
	s_barrier
	buffer_gl0_inv
	s_mov_b32 s4, exec_lo
	s_clause 0x3
	buffer_load_dword v1, v4, s[0:3], 0 offen
	buffer_load_dword v2, v4, s[0:3], 0 offen offset:4
	buffer_load_dword v3, v4, s[0:3], 0 offen offset:8
	;; [unrolled: 1-line block ×3, first 2 shown]
	s_waitcnt vmcnt(0)
	ds_write_b128 v5, v[1:4]
	s_waitcnt lgkmcnt(0)
	s_barrier
	buffer_gl0_inv
	v_cmpx_gt_u32_e32 23, v0
	s_cbranch_execz .LBB124_119
; %bb.116:
	v_mov_b32_e32 v1, 0
	v_mov_b32_e32 v3, 0
	v_add_nc_u32_e32 v7, -1, v0
	v_add_nc_u32_e32 v8, 0x3d0, v133
	v_mov_b32_e32 v2, 0
	v_mov_b32_e32 v4, 0
	v_add_nc_u32_e32 v131, 16, v133
	s_mov_b32 s5, 0
	.p2align	6
.LBB124_117:                            ; =>This Inner Loop Header: Depth=1
	s_clause 0x3
	buffer_load_dword v138, v131, s[0:3], 0 offen offset:8
	buffer_load_dword v139, v131, s[0:3], 0 offen offset:12
	buffer_load_dword v140, v131, s[0:3], 0 offen
	buffer_load_dword v141, v131, s[0:3], 0 offen offset:4
	ds_read_b128 v[134:137], v8
	v_add_nc_u32_e32 v7, 1, v7
	v_add_nc_u32_e32 v8, 16, v8
	;; [unrolled: 1-line block ×3, first 2 shown]
	v_cmp_lt_u32_e32 vcc_lo, 21, v7
	s_or_b32 s5, vcc_lo, s5
	s_waitcnt vmcnt(2) lgkmcnt(0)
	v_mul_f64 v[142:143], v[136:137], v[138:139]
	v_mul_f64 v[138:139], v[134:135], v[138:139]
	s_waitcnt vmcnt(0)
	v_fma_f64 v[134:135], v[134:135], v[140:141], -v[142:143]
	v_fma_f64 v[136:137], v[136:137], v[140:141], v[138:139]
	v_add_f64 v[3:4], v[3:4], v[134:135]
	v_add_f64 v[1:2], v[1:2], v[136:137]
	s_andn2_b32 exec_lo, exec_lo, s5
	s_cbranch_execnz .LBB124_117
; %bb.118:
	s_or_b32 exec_lo, exec_lo, s5
	v_mov_b32_e32 v7, 0
	ds_read_b128 v[134:137], v7 offset:368
	s_waitcnt lgkmcnt(0)
	v_mul_f64 v[7:8], v[1:2], v[136:137]
	v_mul_f64 v[131:132], v[3:4], v[136:137]
	v_fma_f64 v[3:4], v[3:4], v[134:135], -v[7:8]
	v_fma_f64 v[1:2], v[1:2], v[134:135], v[131:132]
	buffer_store_dword v4, off, s[0:3], 0 offset:388
	buffer_store_dword v3, off, s[0:3], 0 offset:384
	;; [unrolled: 1-line block ×4, first 2 shown]
.LBB124_119:
	s_or_b32 exec_lo, exec_lo, s4
	v_mov_b32_e32 v4, s51
	s_waitcnt_vscnt null, 0x0
	s_barrier
	buffer_gl0_inv
	s_mov_b32 s4, exec_lo
	s_clause 0x3
	buffer_load_dword v1, v4, s[0:3], 0 offen
	buffer_load_dword v2, v4, s[0:3], 0 offen offset:4
	buffer_load_dword v3, v4, s[0:3], 0 offen offset:8
	;; [unrolled: 1-line block ×3, first 2 shown]
	s_waitcnt vmcnt(0)
	ds_write_b128 v5, v[1:4]
	s_waitcnt lgkmcnt(0)
	s_barrier
	buffer_gl0_inv
	v_cmpx_gt_u32_e32 24, v0
	s_cbranch_execz .LBB124_123
; %bb.120:
	v_mov_b32_e32 v1, 0
	v_mov_b32_e32 v3, 0
	v_add_nc_u32_e32 v7, -1, v0
	v_add_nc_u32_e32 v8, 0x3d0, v133
	v_mov_b32_e32 v2, 0
	v_mov_b32_e32 v4, 0
	v_add_nc_u32_e32 v131, 16, v133
	s_mov_b32 s5, 0
	.p2align	6
.LBB124_121:                            ; =>This Inner Loop Header: Depth=1
	s_clause 0x3
	buffer_load_dword v138, v131, s[0:3], 0 offen offset:8
	buffer_load_dword v139, v131, s[0:3], 0 offen offset:12
	buffer_load_dword v140, v131, s[0:3], 0 offen
	buffer_load_dword v141, v131, s[0:3], 0 offen offset:4
	ds_read_b128 v[134:137], v8
	v_add_nc_u32_e32 v7, 1, v7
	v_add_nc_u32_e32 v8, 16, v8
	;; [unrolled: 1-line block ×3, first 2 shown]
	v_cmp_lt_u32_e32 vcc_lo, 22, v7
	s_or_b32 s5, vcc_lo, s5
	s_waitcnt vmcnt(2) lgkmcnt(0)
	v_mul_f64 v[142:143], v[136:137], v[138:139]
	v_mul_f64 v[138:139], v[134:135], v[138:139]
	s_waitcnt vmcnt(0)
	v_fma_f64 v[134:135], v[134:135], v[140:141], -v[142:143]
	v_fma_f64 v[136:137], v[136:137], v[140:141], v[138:139]
	v_add_f64 v[3:4], v[3:4], v[134:135]
	v_add_f64 v[1:2], v[1:2], v[136:137]
	s_andn2_b32 exec_lo, exec_lo, s5
	s_cbranch_execnz .LBB124_121
; %bb.122:
	s_or_b32 exec_lo, exec_lo, s5
	v_mov_b32_e32 v7, 0
	ds_read_b128 v[134:137], v7 offset:384
	s_waitcnt lgkmcnt(0)
	v_mul_f64 v[7:8], v[1:2], v[136:137]
	v_mul_f64 v[131:132], v[3:4], v[136:137]
	v_fma_f64 v[3:4], v[3:4], v[134:135], -v[7:8]
	v_fma_f64 v[1:2], v[1:2], v[134:135], v[131:132]
	buffer_store_dword v4, off, s[0:3], 0 offset:404
	buffer_store_dword v3, off, s[0:3], 0 offset:400
	;; [unrolled: 1-line block ×4, first 2 shown]
.LBB124_123:
	s_or_b32 exec_lo, exec_lo, s4
	v_mov_b32_e32 v4, s50
	s_waitcnt_vscnt null, 0x0
	s_barrier
	buffer_gl0_inv
	s_mov_b32 s4, exec_lo
	s_clause 0x3
	buffer_load_dword v1, v4, s[0:3], 0 offen
	buffer_load_dword v2, v4, s[0:3], 0 offen offset:4
	buffer_load_dword v3, v4, s[0:3], 0 offen offset:8
	;; [unrolled: 1-line block ×3, first 2 shown]
	s_waitcnt vmcnt(0)
	ds_write_b128 v5, v[1:4]
	s_waitcnt lgkmcnt(0)
	s_barrier
	buffer_gl0_inv
	v_cmpx_gt_u32_e32 25, v0
	s_cbranch_execz .LBB124_127
; %bb.124:
	v_mov_b32_e32 v1, 0
	v_mov_b32_e32 v3, 0
	v_add_nc_u32_e32 v7, -1, v0
	v_add_nc_u32_e32 v8, 0x3d0, v133
	v_mov_b32_e32 v2, 0
	v_mov_b32_e32 v4, 0
	v_add_nc_u32_e32 v131, 16, v133
	s_mov_b32 s5, 0
	.p2align	6
.LBB124_125:                            ; =>This Inner Loop Header: Depth=1
	s_clause 0x3
	buffer_load_dword v138, v131, s[0:3], 0 offen offset:8
	buffer_load_dword v139, v131, s[0:3], 0 offen offset:12
	buffer_load_dword v140, v131, s[0:3], 0 offen
	buffer_load_dword v141, v131, s[0:3], 0 offen offset:4
	ds_read_b128 v[134:137], v8
	v_add_nc_u32_e32 v7, 1, v7
	v_add_nc_u32_e32 v8, 16, v8
	v_add_nc_u32_e32 v131, 16, v131
	v_cmp_lt_u32_e32 vcc_lo, 23, v7
	s_or_b32 s5, vcc_lo, s5
	s_waitcnt vmcnt(2) lgkmcnt(0)
	v_mul_f64 v[142:143], v[136:137], v[138:139]
	v_mul_f64 v[138:139], v[134:135], v[138:139]
	s_waitcnt vmcnt(0)
	v_fma_f64 v[134:135], v[134:135], v[140:141], -v[142:143]
	v_fma_f64 v[136:137], v[136:137], v[140:141], v[138:139]
	v_add_f64 v[3:4], v[3:4], v[134:135]
	v_add_f64 v[1:2], v[1:2], v[136:137]
	s_andn2_b32 exec_lo, exec_lo, s5
	s_cbranch_execnz .LBB124_125
; %bb.126:
	s_or_b32 exec_lo, exec_lo, s5
	v_mov_b32_e32 v7, 0
	ds_read_b128 v[134:137], v7 offset:400
	s_waitcnt lgkmcnt(0)
	v_mul_f64 v[7:8], v[1:2], v[136:137]
	v_mul_f64 v[131:132], v[3:4], v[136:137]
	v_fma_f64 v[3:4], v[3:4], v[134:135], -v[7:8]
	v_fma_f64 v[1:2], v[1:2], v[134:135], v[131:132]
	buffer_store_dword v4, off, s[0:3], 0 offset:420
	buffer_store_dword v3, off, s[0:3], 0 offset:416
	;; [unrolled: 1-line block ×4, first 2 shown]
.LBB124_127:
	s_or_b32 exec_lo, exec_lo, s4
	v_mov_b32_e32 v4, s49
	s_waitcnt_vscnt null, 0x0
	s_barrier
	buffer_gl0_inv
	s_mov_b32 s4, exec_lo
	s_clause 0x3
	buffer_load_dword v1, v4, s[0:3], 0 offen
	buffer_load_dword v2, v4, s[0:3], 0 offen offset:4
	buffer_load_dword v3, v4, s[0:3], 0 offen offset:8
	;; [unrolled: 1-line block ×3, first 2 shown]
	s_waitcnt vmcnt(0)
	ds_write_b128 v5, v[1:4]
	s_waitcnt lgkmcnt(0)
	s_barrier
	buffer_gl0_inv
	v_cmpx_gt_u32_e32 26, v0
	s_cbranch_execz .LBB124_131
; %bb.128:
	v_mov_b32_e32 v1, 0
	v_mov_b32_e32 v3, 0
	v_add_nc_u32_e32 v7, -1, v0
	v_add_nc_u32_e32 v8, 0x3d0, v133
	v_mov_b32_e32 v2, 0
	v_mov_b32_e32 v4, 0
	v_add_nc_u32_e32 v131, 16, v133
	s_mov_b32 s5, 0
	.p2align	6
.LBB124_129:                            ; =>This Inner Loop Header: Depth=1
	s_clause 0x3
	buffer_load_dword v138, v131, s[0:3], 0 offen offset:8
	buffer_load_dword v139, v131, s[0:3], 0 offen offset:12
	buffer_load_dword v140, v131, s[0:3], 0 offen
	buffer_load_dword v141, v131, s[0:3], 0 offen offset:4
	ds_read_b128 v[134:137], v8
	v_add_nc_u32_e32 v7, 1, v7
	v_add_nc_u32_e32 v8, 16, v8
	;; [unrolled: 1-line block ×3, first 2 shown]
	v_cmp_lt_u32_e32 vcc_lo, 24, v7
	s_or_b32 s5, vcc_lo, s5
	s_waitcnt vmcnt(2) lgkmcnt(0)
	v_mul_f64 v[142:143], v[136:137], v[138:139]
	v_mul_f64 v[138:139], v[134:135], v[138:139]
	s_waitcnt vmcnt(0)
	v_fma_f64 v[134:135], v[134:135], v[140:141], -v[142:143]
	v_fma_f64 v[136:137], v[136:137], v[140:141], v[138:139]
	v_add_f64 v[3:4], v[3:4], v[134:135]
	v_add_f64 v[1:2], v[1:2], v[136:137]
	s_andn2_b32 exec_lo, exec_lo, s5
	s_cbranch_execnz .LBB124_129
; %bb.130:
	s_or_b32 exec_lo, exec_lo, s5
	v_mov_b32_e32 v7, 0
	ds_read_b128 v[134:137], v7 offset:416
	s_waitcnt lgkmcnt(0)
	v_mul_f64 v[7:8], v[1:2], v[136:137]
	v_mul_f64 v[131:132], v[3:4], v[136:137]
	v_fma_f64 v[3:4], v[3:4], v[134:135], -v[7:8]
	v_fma_f64 v[1:2], v[1:2], v[134:135], v[131:132]
	buffer_store_dword v4, off, s[0:3], 0 offset:436
	buffer_store_dword v3, off, s[0:3], 0 offset:432
	;; [unrolled: 1-line block ×4, first 2 shown]
.LBB124_131:
	s_or_b32 exec_lo, exec_lo, s4
	v_mov_b32_e32 v4, s48
	s_waitcnt_vscnt null, 0x0
	s_barrier
	buffer_gl0_inv
	s_mov_b32 s4, exec_lo
	s_clause 0x3
	buffer_load_dword v1, v4, s[0:3], 0 offen
	buffer_load_dword v2, v4, s[0:3], 0 offen offset:4
	buffer_load_dword v3, v4, s[0:3], 0 offen offset:8
	;; [unrolled: 1-line block ×3, first 2 shown]
	s_waitcnt vmcnt(0)
	ds_write_b128 v5, v[1:4]
	s_waitcnt lgkmcnt(0)
	s_barrier
	buffer_gl0_inv
	v_cmpx_gt_u32_e32 27, v0
	s_cbranch_execz .LBB124_135
; %bb.132:
	v_mov_b32_e32 v1, 0
	v_mov_b32_e32 v3, 0
	v_add_nc_u32_e32 v7, -1, v0
	v_add_nc_u32_e32 v8, 0x3d0, v133
	v_mov_b32_e32 v2, 0
	v_mov_b32_e32 v4, 0
	v_add_nc_u32_e32 v131, 16, v133
	s_mov_b32 s5, 0
	.p2align	6
.LBB124_133:                            ; =>This Inner Loop Header: Depth=1
	s_clause 0x3
	buffer_load_dword v138, v131, s[0:3], 0 offen offset:8
	buffer_load_dword v139, v131, s[0:3], 0 offen offset:12
	buffer_load_dword v140, v131, s[0:3], 0 offen
	buffer_load_dword v141, v131, s[0:3], 0 offen offset:4
	ds_read_b128 v[134:137], v8
	v_add_nc_u32_e32 v7, 1, v7
	v_add_nc_u32_e32 v8, 16, v8
	;; [unrolled: 1-line block ×3, first 2 shown]
	v_cmp_lt_u32_e32 vcc_lo, 25, v7
	s_or_b32 s5, vcc_lo, s5
	s_waitcnt vmcnt(2) lgkmcnt(0)
	v_mul_f64 v[142:143], v[136:137], v[138:139]
	v_mul_f64 v[138:139], v[134:135], v[138:139]
	s_waitcnt vmcnt(0)
	v_fma_f64 v[134:135], v[134:135], v[140:141], -v[142:143]
	v_fma_f64 v[136:137], v[136:137], v[140:141], v[138:139]
	v_add_f64 v[3:4], v[3:4], v[134:135]
	v_add_f64 v[1:2], v[1:2], v[136:137]
	s_andn2_b32 exec_lo, exec_lo, s5
	s_cbranch_execnz .LBB124_133
; %bb.134:
	s_or_b32 exec_lo, exec_lo, s5
	v_mov_b32_e32 v7, 0
	ds_read_b128 v[134:137], v7 offset:432
	s_waitcnt lgkmcnt(0)
	v_mul_f64 v[7:8], v[1:2], v[136:137]
	v_mul_f64 v[131:132], v[3:4], v[136:137]
	v_fma_f64 v[3:4], v[3:4], v[134:135], -v[7:8]
	v_fma_f64 v[1:2], v[1:2], v[134:135], v[131:132]
	buffer_store_dword v4, off, s[0:3], 0 offset:452
	buffer_store_dword v3, off, s[0:3], 0 offset:448
	;; [unrolled: 1-line block ×4, first 2 shown]
.LBB124_135:
	s_or_b32 exec_lo, exec_lo, s4
	v_mov_b32_e32 v4, s47
	s_waitcnt_vscnt null, 0x0
	s_barrier
	buffer_gl0_inv
	s_mov_b32 s4, exec_lo
	s_clause 0x3
	buffer_load_dword v1, v4, s[0:3], 0 offen
	buffer_load_dword v2, v4, s[0:3], 0 offen offset:4
	buffer_load_dword v3, v4, s[0:3], 0 offen offset:8
	;; [unrolled: 1-line block ×3, first 2 shown]
	s_waitcnt vmcnt(0)
	ds_write_b128 v5, v[1:4]
	s_waitcnt lgkmcnt(0)
	s_barrier
	buffer_gl0_inv
	v_cmpx_gt_u32_e32 28, v0
	s_cbranch_execz .LBB124_139
; %bb.136:
	v_mov_b32_e32 v1, 0
	v_mov_b32_e32 v3, 0
	v_add_nc_u32_e32 v7, -1, v0
	v_add_nc_u32_e32 v8, 0x3d0, v133
	v_mov_b32_e32 v2, 0
	v_mov_b32_e32 v4, 0
	v_add_nc_u32_e32 v131, 16, v133
	s_mov_b32 s5, 0
	.p2align	6
.LBB124_137:                            ; =>This Inner Loop Header: Depth=1
	s_clause 0x3
	buffer_load_dword v138, v131, s[0:3], 0 offen offset:8
	buffer_load_dword v139, v131, s[0:3], 0 offen offset:12
	buffer_load_dword v140, v131, s[0:3], 0 offen
	buffer_load_dword v141, v131, s[0:3], 0 offen offset:4
	ds_read_b128 v[134:137], v8
	v_add_nc_u32_e32 v7, 1, v7
	v_add_nc_u32_e32 v8, 16, v8
	;; [unrolled: 1-line block ×3, first 2 shown]
	v_cmp_lt_u32_e32 vcc_lo, 26, v7
	s_or_b32 s5, vcc_lo, s5
	s_waitcnt vmcnt(2) lgkmcnt(0)
	v_mul_f64 v[142:143], v[136:137], v[138:139]
	v_mul_f64 v[138:139], v[134:135], v[138:139]
	s_waitcnt vmcnt(0)
	v_fma_f64 v[134:135], v[134:135], v[140:141], -v[142:143]
	v_fma_f64 v[136:137], v[136:137], v[140:141], v[138:139]
	v_add_f64 v[3:4], v[3:4], v[134:135]
	v_add_f64 v[1:2], v[1:2], v[136:137]
	s_andn2_b32 exec_lo, exec_lo, s5
	s_cbranch_execnz .LBB124_137
; %bb.138:
	s_or_b32 exec_lo, exec_lo, s5
	v_mov_b32_e32 v7, 0
	ds_read_b128 v[134:137], v7 offset:448
	s_waitcnt lgkmcnt(0)
	v_mul_f64 v[7:8], v[1:2], v[136:137]
	v_mul_f64 v[131:132], v[3:4], v[136:137]
	v_fma_f64 v[3:4], v[3:4], v[134:135], -v[7:8]
	v_fma_f64 v[1:2], v[1:2], v[134:135], v[131:132]
	buffer_store_dword v4, off, s[0:3], 0 offset:468
	buffer_store_dword v3, off, s[0:3], 0 offset:464
	;; [unrolled: 1-line block ×4, first 2 shown]
.LBB124_139:
	s_or_b32 exec_lo, exec_lo, s4
	v_mov_b32_e32 v4, s46
	s_waitcnt_vscnt null, 0x0
	s_barrier
	buffer_gl0_inv
	s_mov_b32 s4, exec_lo
	s_clause 0x3
	buffer_load_dword v1, v4, s[0:3], 0 offen
	buffer_load_dword v2, v4, s[0:3], 0 offen offset:4
	buffer_load_dword v3, v4, s[0:3], 0 offen offset:8
	;; [unrolled: 1-line block ×3, first 2 shown]
	s_waitcnt vmcnt(0)
	ds_write_b128 v5, v[1:4]
	s_waitcnt lgkmcnt(0)
	s_barrier
	buffer_gl0_inv
	v_cmpx_gt_u32_e32 29, v0
	s_cbranch_execz .LBB124_143
; %bb.140:
	v_mov_b32_e32 v1, 0
	v_mov_b32_e32 v3, 0
	v_add_nc_u32_e32 v7, -1, v0
	v_add_nc_u32_e32 v8, 0x3d0, v133
	v_mov_b32_e32 v2, 0
	v_mov_b32_e32 v4, 0
	v_add_nc_u32_e32 v131, 16, v133
	s_mov_b32 s5, 0
	.p2align	6
.LBB124_141:                            ; =>This Inner Loop Header: Depth=1
	s_clause 0x3
	buffer_load_dword v138, v131, s[0:3], 0 offen offset:8
	buffer_load_dword v139, v131, s[0:3], 0 offen offset:12
	buffer_load_dword v140, v131, s[0:3], 0 offen
	buffer_load_dword v141, v131, s[0:3], 0 offen offset:4
	ds_read_b128 v[134:137], v8
	v_add_nc_u32_e32 v7, 1, v7
	v_add_nc_u32_e32 v8, 16, v8
	;; [unrolled: 1-line block ×3, first 2 shown]
	v_cmp_lt_u32_e32 vcc_lo, 27, v7
	s_or_b32 s5, vcc_lo, s5
	s_waitcnt vmcnt(2) lgkmcnt(0)
	v_mul_f64 v[142:143], v[136:137], v[138:139]
	v_mul_f64 v[138:139], v[134:135], v[138:139]
	s_waitcnt vmcnt(0)
	v_fma_f64 v[134:135], v[134:135], v[140:141], -v[142:143]
	v_fma_f64 v[136:137], v[136:137], v[140:141], v[138:139]
	v_add_f64 v[3:4], v[3:4], v[134:135]
	v_add_f64 v[1:2], v[1:2], v[136:137]
	s_andn2_b32 exec_lo, exec_lo, s5
	s_cbranch_execnz .LBB124_141
; %bb.142:
	s_or_b32 exec_lo, exec_lo, s5
	v_mov_b32_e32 v7, 0
	ds_read_b128 v[134:137], v7 offset:464
	s_waitcnt lgkmcnt(0)
	v_mul_f64 v[7:8], v[1:2], v[136:137]
	v_mul_f64 v[131:132], v[3:4], v[136:137]
	v_fma_f64 v[3:4], v[3:4], v[134:135], -v[7:8]
	v_fma_f64 v[1:2], v[1:2], v[134:135], v[131:132]
	buffer_store_dword v4, off, s[0:3], 0 offset:484
	buffer_store_dword v3, off, s[0:3], 0 offset:480
	buffer_store_dword v2, off, s[0:3], 0 offset:492
	buffer_store_dword v1, off, s[0:3], 0 offset:488
.LBB124_143:
	s_or_b32 exec_lo, exec_lo, s4
	v_mov_b32_e32 v4, s45
	s_waitcnt_vscnt null, 0x0
	s_barrier
	buffer_gl0_inv
	s_mov_b32 s4, exec_lo
	s_clause 0x3
	buffer_load_dword v1, v4, s[0:3], 0 offen
	buffer_load_dword v2, v4, s[0:3], 0 offen offset:4
	buffer_load_dword v3, v4, s[0:3], 0 offen offset:8
	;; [unrolled: 1-line block ×3, first 2 shown]
	s_waitcnt vmcnt(0)
	ds_write_b128 v5, v[1:4]
	s_waitcnt lgkmcnt(0)
	s_barrier
	buffer_gl0_inv
	v_cmpx_gt_u32_e32 30, v0
	s_cbranch_execz .LBB124_147
; %bb.144:
	v_mov_b32_e32 v1, 0
	v_mov_b32_e32 v3, 0
	v_add_nc_u32_e32 v7, -1, v0
	v_add_nc_u32_e32 v8, 0x3d0, v133
	v_mov_b32_e32 v2, 0
	v_mov_b32_e32 v4, 0
	v_add_nc_u32_e32 v131, 16, v133
	s_mov_b32 s5, 0
	.p2align	6
.LBB124_145:                            ; =>This Inner Loop Header: Depth=1
	s_clause 0x3
	buffer_load_dword v138, v131, s[0:3], 0 offen offset:8
	buffer_load_dword v139, v131, s[0:3], 0 offen offset:12
	buffer_load_dword v140, v131, s[0:3], 0 offen
	buffer_load_dword v141, v131, s[0:3], 0 offen offset:4
	ds_read_b128 v[134:137], v8
	v_add_nc_u32_e32 v7, 1, v7
	v_add_nc_u32_e32 v8, 16, v8
	;; [unrolled: 1-line block ×3, first 2 shown]
	v_cmp_lt_u32_e32 vcc_lo, 28, v7
	s_or_b32 s5, vcc_lo, s5
	s_waitcnt vmcnt(2) lgkmcnt(0)
	v_mul_f64 v[142:143], v[136:137], v[138:139]
	v_mul_f64 v[138:139], v[134:135], v[138:139]
	s_waitcnt vmcnt(0)
	v_fma_f64 v[134:135], v[134:135], v[140:141], -v[142:143]
	v_fma_f64 v[136:137], v[136:137], v[140:141], v[138:139]
	v_add_f64 v[3:4], v[3:4], v[134:135]
	v_add_f64 v[1:2], v[1:2], v[136:137]
	s_andn2_b32 exec_lo, exec_lo, s5
	s_cbranch_execnz .LBB124_145
; %bb.146:
	s_or_b32 exec_lo, exec_lo, s5
	v_mov_b32_e32 v7, 0
	ds_read_b128 v[134:137], v7 offset:480
	s_waitcnt lgkmcnt(0)
	v_mul_f64 v[7:8], v[1:2], v[136:137]
	v_mul_f64 v[131:132], v[3:4], v[136:137]
	v_fma_f64 v[3:4], v[3:4], v[134:135], -v[7:8]
	v_fma_f64 v[1:2], v[1:2], v[134:135], v[131:132]
	buffer_store_dword v4, off, s[0:3], 0 offset:500
	buffer_store_dword v3, off, s[0:3], 0 offset:496
	;; [unrolled: 1-line block ×4, first 2 shown]
.LBB124_147:
	s_or_b32 exec_lo, exec_lo, s4
	v_mov_b32_e32 v4, s44
	s_waitcnt_vscnt null, 0x0
	s_barrier
	buffer_gl0_inv
	s_mov_b32 s4, exec_lo
	s_clause 0x3
	buffer_load_dword v1, v4, s[0:3], 0 offen
	buffer_load_dword v2, v4, s[0:3], 0 offen offset:4
	buffer_load_dword v3, v4, s[0:3], 0 offen offset:8
	;; [unrolled: 1-line block ×3, first 2 shown]
	s_waitcnt vmcnt(0)
	ds_write_b128 v5, v[1:4]
	s_waitcnt lgkmcnt(0)
	s_barrier
	buffer_gl0_inv
	v_cmpx_gt_u32_e32 31, v0
	s_cbranch_execz .LBB124_151
; %bb.148:
	v_mov_b32_e32 v1, 0
	v_mov_b32_e32 v3, 0
	v_add_nc_u32_e32 v7, -1, v0
	v_add_nc_u32_e32 v8, 0x3d0, v133
	v_mov_b32_e32 v2, 0
	v_mov_b32_e32 v4, 0
	v_add_nc_u32_e32 v131, 16, v133
	s_mov_b32 s5, 0
	.p2align	6
.LBB124_149:                            ; =>This Inner Loop Header: Depth=1
	s_clause 0x3
	buffer_load_dword v138, v131, s[0:3], 0 offen offset:8
	buffer_load_dword v139, v131, s[0:3], 0 offen offset:12
	buffer_load_dword v140, v131, s[0:3], 0 offen
	buffer_load_dword v141, v131, s[0:3], 0 offen offset:4
	ds_read_b128 v[134:137], v8
	v_add_nc_u32_e32 v7, 1, v7
	v_add_nc_u32_e32 v8, 16, v8
	;; [unrolled: 1-line block ×3, first 2 shown]
	v_cmp_lt_u32_e32 vcc_lo, 29, v7
	s_or_b32 s5, vcc_lo, s5
	s_waitcnt vmcnt(2) lgkmcnt(0)
	v_mul_f64 v[142:143], v[136:137], v[138:139]
	v_mul_f64 v[138:139], v[134:135], v[138:139]
	s_waitcnt vmcnt(0)
	v_fma_f64 v[134:135], v[134:135], v[140:141], -v[142:143]
	v_fma_f64 v[136:137], v[136:137], v[140:141], v[138:139]
	v_add_f64 v[3:4], v[3:4], v[134:135]
	v_add_f64 v[1:2], v[1:2], v[136:137]
	s_andn2_b32 exec_lo, exec_lo, s5
	s_cbranch_execnz .LBB124_149
; %bb.150:
	s_or_b32 exec_lo, exec_lo, s5
	v_mov_b32_e32 v7, 0
	ds_read_b128 v[134:137], v7 offset:496
	s_waitcnt lgkmcnt(0)
	v_mul_f64 v[7:8], v[1:2], v[136:137]
	v_mul_f64 v[131:132], v[3:4], v[136:137]
	v_fma_f64 v[3:4], v[3:4], v[134:135], -v[7:8]
	v_fma_f64 v[1:2], v[1:2], v[134:135], v[131:132]
	buffer_store_dword v4, off, s[0:3], 0 offset:516
	buffer_store_dword v3, off, s[0:3], 0 offset:512
	;; [unrolled: 1-line block ×4, first 2 shown]
.LBB124_151:
	s_or_b32 exec_lo, exec_lo, s4
	v_mov_b32_e32 v4, s43
	s_waitcnt_vscnt null, 0x0
	s_barrier
	buffer_gl0_inv
	s_mov_b32 s4, exec_lo
	s_clause 0x3
	buffer_load_dword v1, v4, s[0:3], 0 offen
	buffer_load_dword v2, v4, s[0:3], 0 offen offset:4
	buffer_load_dword v3, v4, s[0:3], 0 offen offset:8
	;; [unrolled: 1-line block ×3, first 2 shown]
	s_waitcnt vmcnt(0)
	ds_write_b128 v5, v[1:4]
	s_waitcnt lgkmcnt(0)
	s_barrier
	buffer_gl0_inv
	v_cmpx_gt_u32_e32 32, v0
	s_cbranch_execz .LBB124_155
; %bb.152:
	v_mov_b32_e32 v1, 0
	v_mov_b32_e32 v3, 0
	v_add_nc_u32_e32 v7, -1, v0
	v_add_nc_u32_e32 v8, 0x3d0, v133
	v_mov_b32_e32 v2, 0
	v_mov_b32_e32 v4, 0
	v_add_nc_u32_e32 v131, 16, v133
	s_mov_b32 s5, 0
	.p2align	6
.LBB124_153:                            ; =>This Inner Loop Header: Depth=1
	s_clause 0x3
	buffer_load_dword v138, v131, s[0:3], 0 offen offset:8
	buffer_load_dword v139, v131, s[0:3], 0 offen offset:12
	buffer_load_dword v140, v131, s[0:3], 0 offen
	buffer_load_dword v141, v131, s[0:3], 0 offen offset:4
	ds_read_b128 v[134:137], v8
	v_add_nc_u32_e32 v7, 1, v7
	v_add_nc_u32_e32 v8, 16, v8
	;; [unrolled: 1-line block ×3, first 2 shown]
	v_cmp_lt_u32_e32 vcc_lo, 30, v7
	s_or_b32 s5, vcc_lo, s5
	s_waitcnt vmcnt(2) lgkmcnt(0)
	v_mul_f64 v[142:143], v[136:137], v[138:139]
	v_mul_f64 v[138:139], v[134:135], v[138:139]
	s_waitcnt vmcnt(0)
	v_fma_f64 v[134:135], v[134:135], v[140:141], -v[142:143]
	v_fma_f64 v[136:137], v[136:137], v[140:141], v[138:139]
	v_add_f64 v[3:4], v[3:4], v[134:135]
	v_add_f64 v[1:2], v[1:2], v[136:137]
	s_andn2_b32 exec_lo, exec_lo, s5
	s_cbranch_execnz .LBB124_153
; %bb.154:
	s_or_b32 exec_lo, exec_lo, s5
	v_mov_b32_e32 v7, 0
	ds_read_b128 v[134:137], v7 offset:512
	s_waitcnt lgkmcnt(0)
	v_mul_f64 v[7:8], v[1:2], v[136:137]
	v_mul_f64 v[131:132], v[3:4], v[136:137]
	v_fma_f64 v[3:4], v[3:4], v[134:135], -v[7:8]
	v_fma_f64 v[1:2], v[1:2], v[134:135], v[131:132]
	buffer_store_dword v4, off, s[0:3], 0 offset:532
	buffer_store_dword v3, off, s[0:3], 0 offset:528
	;; [unrolled: 1-line block ×4, first 2 shown]
.LBB124_155:
	s_or_b32 exec_lo, exec_lo, s4
	v_mov_b32_e32 v4, s42
	s_waitcnt_vscnt null, 0x0
	s_barrier
	buffer_gl0_inv
	s_mov_b32 s4, exec_lo
	s_clause 0x3
	buffer_load_dword v1, v4, s[0:3], 0 offen
	buffer_load_dword v2, v4, s[0:3], 0 offen offset:4
	buffer_load_dword v3, v4, s[0:3], 0 offen offset:8
	;; [unrolled: 1-line block ×3, first 2 shown]
	s_waitcnt vmcnt(0)
	ds_write_b128 v5, v[1:4]
	s_waitcnt lgkmcnt(0)
	s_barrier
	buffer_gl0_inv
	v_cmpx_gt_u32_e32 33, v0
	s_cbranch_execz .LBB124_159
; %bb.156:
	v_mov_b32_e32 v1, 0
	v_mov_b32_e32 v3, 0
	v_add_nc_u32_e32 v7, -1, v0
	v_add_nc_u32_e32 v8, 0x3d0, v133
	v_mov_b32_e32 v2, 0
	v_mov_b32_e32 v4, 0
	v_add_nc_u32_e32 v131, 16, v133
	s_mov_b32 s5, 0
	.p2align	6
.LBB124_157:                            ; =>This Inner Loop Header: Depth=1
	s_clause 0x3
	buffer_load_dword v138, v131, s[0:3], 0 offen offset:8
	buffer_load_dword v139, v131, s[0:3], 0 offen offset:12
	buffer_load_dword v140, v131, s[0:3], 0 offen
	buffer_load_dword v141, v131, s[0:3], 0 offen offset:4
	ds_read_b128 v[134:137], v8
	v_add_nc_u32_e32 v7, 1, v7
	v_add_nc_u32_e32 v8, 16, v8
	;; [unrolled: 1-line block ×3, first 2 shown]
	v_cmp_lt_u32_e32 vcc_lo, 31, v7
	s_or_b32 s5, vcc_lo, s5
	s_waitcnt vmcnt(2) lgkmcnt(0)
	v_mul_f64 v[142:143], v[136:137], v[138:139]
	v_mul_f64 v[138:139], v[134:135], v[138:139]
	s_waitcnt vmcnt(0)
	v_fma_f64 v[134:135], v[134:135], v[140:141], -v[142:143]
	v_fma_f64 v[136:137], v[136:137], v[140:141], v[138:139]
	v_add_f64 v[3:4], v[3:4], v[134:135]
	v_add_f64 v[1:2], v[1:2], v[136:137]
	s_andn2_b32 exec_lo, exec_lo, s5
	s_cbranch_execnz .LBB124_157
; %bb.158:
	s_or_b32 exec_lo, exec_lo, s5
	v_mov_b32_e32 v7, 0
	ds_read_b128 v[134:137], v7 offset:528
	s_waitcnt lgkmcnt(0)
	v_mul_f64 v[7:8], v[1:2], v[136:137]
	v_mul_f64 v[131:132], v[3:4], v[136:137]
	v_fma_f64 v[3:4], v[3:4], v[134:135], -v[7:8]
	v_fma_f64 v[1:2], v[1:2], v[134:135], v[131:132]
	buffer_store_dword v4, off, s[0:3], 0 offset:548
	buffer_store_dword v3, off, s[0:3], 0 offset:544
	;; [unrolled: 1-line block ×4, first 2 shown]
.LBB124_159:
	s_or_b32 exec_lo, exec_lo, s4
	v_mov_b32_e32 v4, s41
	s_waitcnt_vscnt null, 0x0
	s_barrier
	buffer_gl0_inv
	s_mov_b32 s4, exec_lo
	s_clause 0x3
	buffer_load_dword v1, v4, s[0:3], 0 offen
	buffer_load_dword v2, v4, s[0:3], 0 offen offset:4
	buffer_load_dword v3, v4, s[0:3], 0 offen offset:8
	;; [unrolled: 1-line block ×3, first 2 shown]
	s_waitcnt vmcnt(0)
	ds_write_b128 v5, v[1:4]
	s_waitcnt lgkmcnt(0)
	s_barrier
	buffer_gl0_inv
	v_cmpx_gt_u32_e32 34, v0
	s_cbranch_execz .LBB124_163
; %bb.160:
	v_mov_b32_e32 v1, 0
	v_mov_b32_e32 v3, 0
	v_add_nc_u32_e32 v7, -1, v0
	v_add_nc_u32_e32 v8, 0x3d0, v133
	v_mov_b32_e32 v2, 0
	v_mov_b32_e32 v4, 0
	v_add_nc_u32_e32 v131, 16, v133
	s_mov_b32 s5, 0
	.p2align	6
.LBB124_161:                            ; =>This Inner Loop Header: Depth=1
	s_clause 0x3
	buffer_load_dword v138, v131, s[0:3], 0 offen offset:8
	buffer_load_dword v139, v131, s[0:3], 0 offen offset:12
	buffer_load_dword v140, v131, s[0:3], 0 offen
	buffer_load_dword v141, v131, s[0:3], 0 offen offset:4
	ds_read_b128 v[134:137], v8
	v_add_nc_u32_e32 v7, 1, v7
	v_add_nc_u32_e32 v8, 16, v8
	;; [unrolled: 1-line block ×3, first 2 shown]
	v_cmp_lt_u32_e32 vcc_lo, 32, v7
	s_or_b32 s5, vcc_lo, s5
	s_waitcnt vmcnt(2) lgkmcnt(0)
	v_mul_f64 v[142:143], v[136:137], v[138:139]
	v_mul_f64 v[138:139], v[134:135], v[138:139]
	s_waitcnt vmcnt(0)
	v_fma_f64 v[134:135], v[134:135], v[140:141], -v[142:143]
	v_fma_f64 v[136:137], v[136:137], v[140:141], v[138:139]
	v_add_f64 v[3:4], v[3:4], v[134:135]
	v_add_f64 v[1:2], v[1:2], v[136:137]
	s_andn2_b32 exec_lo, exec_lo, s5
	s_cbranch_execnz .LBB124_161
; %bb.162:
	s_or_b32 exec_lo, exec_lo, s5
	v_mov_b32_e32 v7, 0
	ds_read_b128 v[134:137], v7 offset:544
	s_waitcnt lgkmcnt(0)
	v_mul_f64 v[7:8], v[1:2], v[136:137]
	v_mul_f64 v[131:132], v[3:4], v[136:137]
	v_fma_f64 v[3:4], v[3:4], v[134:135], -v[7:8]
	v_fma_f64 v[1:2], v[1:2], v[134:135], v[131:132]
	buffer_store_dword v4, off, s[0:3], 0 offset:564
	buffer_store_dword v3, off, s[0:3], 0 offset:560
	;; [unrolled: 1-line block ×4, first 2 shown]
.LBB124_163:
	s_or_b32 exec_lo, exec_lo, s4
	v_mov_b32_e32 v4, s40
	s_waitcnt_vscnt null, 0x0
	s_barrier
	buffer_gl0_inv
	s_mov_b32 s4, exec_lo
	s_clause 0x3
	buffer_load_dword v1, v4, s[0:3], 0 offen
	buffer_load_dword v2, v4, s[0:3], 0 offen offset:4
	buffer_load_dword v3, v4, s[0:3], 0 offen offset:8
	;; [unrolled: 1-line block ×3, first 2 shown]
	s_waitcnt vmcnt(0)
	ds_write_b128 v5, v[1:4]
	s_waitcnt lgkmcnt(0)
	s_barrier
	buffer_gl0_inv
	v_cmpx_gt_u32_e32 35, v0
	s_cbranch_execz .LBB124_167
; %bb.164:
	v_mov_b32_e32 v1, 0
	v_mov_b32_e32 v3, 0
	v_add_nc_u32_e32 v7, -1, v0
	v_add_nc_u32_e32 v8, 0x3d0, v133
	v_mov_b32_e32 v2, 0
	v_mov_b32_e32 v4, 0
	v_add_nc_u32_e32 v131, 16, v133
	s_mov_b32 s5, 0
	.p2align	6
.LBB124_165:                            ; =>This Inner Loop Header: Depth=1
	s_clause 0x3
	buffer_load_dword v138, v131, s[0:3], 0 offen offset:8
	buffer_load_dword v139, v131, s[0:3], 0 offen offset:12
	buffer_load_dword v140, v131, s[0:3], 0 offen
	buffer_load_dword v141, v131, s[0:3], 0 offen offset:4
	ds_read_b128 v[134:137], v8
	v_add_nc_u32_e32 v7, 1, v7
	v_add_nc_u32_e32 v8, 16, v8
	;; [unrolled: 1-line block ×3, first 2 shown]
	v_cmp_lt_u32_e32 vcc_lo, 33, v7
	s_or_b32 s5, vcc_lo, s5
	s_waitcnt vmcnt(2) lgkmcnt(0)
	v_mul_f64 v[142:143], v[136:137], v[138:139]
	v_mul_f64 v[138:139], v[134:135], v[138:139]
	s_waitcnt vmcnt(0)
	v_fma_f64 v[134:135], v[134:135], v[140:141], -v[142:143]
	v_fma_f64 v[136:137], v[136:137], v[140:141], v[138:139]
	v_add_f64 v[3:4], v[3:4], v[134:135]
	v_add_f64 v[1:2], v[1:2], v[136:137]
	s_andn2_b32 exec_lo, exec_lo, s5
	s_cbranch_execnz .LBB124_165
; %bb.166:
	s_or_b32 exec_lo, exec_lo, s5
	v_mov_b32_e32 v7, 0
	ds_read_b128 v[134:137], v7 offset:560
	s_waitcnt lgkmcnt(0)
	v_mul_f64 v[7:8], v[1:2], v[136:137]
	v_mul_f64 v[131:132], v[3:4], v[136:137]
	v_fma_f64 v[3:4], v[3:4], v[134:135], -v[7:8]
	v_fma_f64 v[1:2], v[1:2], v[134:135], v[131:132]
	buffer_store_dword v4, off, s[0:3], 0 offset:580
	buffer_store_dword v3, off, s[0:3], 0 offset:576
	;; [unrolled: 1-line block ×4, first 2 shown]
.LBB124_167:
	s_or_b32 exec_lo, exec_lo, s4
	v_mov_b32_e32 v4, s39
	s_waitcnt_vscnt null, 0x0
	s_barrier
	buffer_gl0_inv
	s_mov_b32 s4, exec_lo
	s_clause 0x3
	buffer_load_dword v1, v4, s[0:3], 0 offen
	buffer_load_dword v2, v4, s[0:3], 0 offen offset:4
	buffer_load_dword v3, v4, s[0:3], 0 offen offset:8
	buffer_load_dword v4, v4, s[0:3], 0 offen offset:12
	s_waitcnt vmcnt(0)
	ds_write_b128 v5, v[1:4]
	s_waitcnt lgkmcnt(0)
	s_barrier
	buffer_gl0_inv
	v_cmpx_gt_u32_e32 36, v0
	s_cbranch_execz .LBB124_171
; %bb.168:
	v_mov_b32_e32 v1, 0
	v_mov_b32_e32 v3, 0
	v_add_nc_u32_e32 v7, -1, v0
	v_add_nc_u32_e32 v8, 0x3d0, v133
	v_mov_b32_e32 v2, 0
	v_mov_b32_e32 v4, 0
	v_add_nc_u32_e32 v131, 16, v133
	s_mov_b32 s5, 0
	.p2align	6
.LBB124_169:                            ; =>This Inner Loop Header: Depth=1
	s_clause 0x3
	buffer_load_dword v138, v131, s[0:3], 0 offen offset:8
	buffer_load_dword v139, v131, s[0:3], 0 offen offset:12
	buffer_load_dword v140, v131, s[0:3], 0 offen
	buffer_load_dword v141, v131, s[0:3], 0 offen offset:4
	ds_read_b128 v[134:137], v8
	v_add_nc_u32_e32 v7, 1, v7
	v_add_nc_u32_e32 v8, 16, v8
	;; [unrolled: 1-line block ×3, first 2 shown]
	v_cmp_lt_u32_e32 vcc_lo, 34, v7
	s_or_b32 s5, vcc_lo, s5
	s_waitcnt vmcnt(2) lgkmcnt(0)
	v_mul_f64 v[142:143], v[136:137], v[138:139]
	v_mul_f64 v[138:139], v[134:135], v[138:139]
	s_waitcnt vmcnt(0)
	v_fma_f64 v[134:135], v[134:135], v[140:141], -v[142:143]
	v_fma_f64 v[136:137], v[136:137], v[140:141], v[138:139]
	v_add_f64 v[3:4], v[3:4], v[134:135]
	v_add_f64 v[1:2], v[1:2], v[136:137]
	s_andn2_b32 exec_lo, exec_lo, s5
	s_cbranch_execnz .LBB124_169
; %bb.170:
	s_or_b32 exec_lo, exec_lo, s5
	v_mov_b32_e32 v7, 0
	ds_read_b128 v[134:137], v7 offset:576
	s_waitcnt lgkmcnt(0)
	v_mul_f64 v[7:8], v[1:2], v[136:137]
	v_mul_f64 v[131:132], v[3:4], v[136:137]
	v_fma_f64 v[3:4], v[3:4], v[134:135], -v[7:8]
	v_fma_f64 v[1:2], v[1:2], v[134:135], v[131:132]
	buffer_store_dword v4, off, s[0:3], 0 offset:596
	buffer_store_dword v3, off, s[0:3], 0 offset:592
	;; [unrolled: 1-line block ×4, first 2 shown]
.LBB124_171:
	s_or_b32 exec_lo, exec_lo, s4
	v_mov_b32_e32 v4, s38
	s_waitcnt_vscnt null, 0x0
	s_barrier
	buffer_gl0_inv
	s_mov_b32 s4, exec_lo
	s_clause 0x3
	buffer_load_dword v1, v4, s[0:3], 0 offen
	buffer_load_dword v2, v4, s[0:3], 0 offen offset:4
	buffer_load_dword v3, v4, s[0:3], 0 offen offset:8
	;; [unrolled: 1-line block ×3, first 2 shown]
	s_waitcnt vmcnt(0)
	ds_write_b128 v5, v[1:4]
	s_waitcnt lgkmcnt(0)
	s_barrier
	buffer_gl0_inv
	v_cmpx_gt_u32_e32 37, v0
	s_cbranch_execz .LBB124_175
; %bb.172:
	v_mov_b32_e32 v1, 0
	v_mov_b32_e32 v3, 0
	v_add_nc_u32_e32 v7, -1, v0
	v_add_nc_u32_e32 v8, 0x3d0, v133
	v_mov_b32_e32 v2, 0
	v_mov_b32_e32 v4, 0
	v_add_nc_u32_e32 v131, 16, v133
	s_mov_b32 s5, 0
	.p2align	6
.LBB124_173:                            ; =>This Inner Loop Header: Depth=1
	s_clause 0x3
	buffer_load_dword v138, v131, s[0:3], 0 offen offset:8
	buffer_load_dword v139, v131, s[0:3], 0 offen offset:12
	buffer_load_dword v140, v131, s[0:3], 0 offen
	buffer_load_dword v141, v131, s[0:3], 0 offen offset:4
	ds_read_b128 v[134:137], v8
	v_add_nc_u32_e32 v7, 1, v7
	v_add_nc_u32_e32 v8, 16, v8
	;; [unrolled: 1-line block ×3, first 2 shown]
	v_cmp_lt_u32_e32 vcc_lo, 35, v7
	s_or_b32 s5, vcc_lo, s5
	s_waitcnt vmcnt(2) lgkmcnt(0)
	v_mul_f64 v[142:143], v[136:137], v[138:139]
	v_mul_f64 v[138:139], v[134:135], v[138:139]
	s_waitcnt vmcnt(0)
	v_fma_f64 v[134:135], v[134:135], v[140:141], -v[142:143]
	v_fma_f64 v[136:137], v[136:137], v[140:141], v[138:139]
	v_add_f64 v[3:4], v[3:4], v[134:135]
	v_add_f64 v[1:2], v[1:2], v[136:137]
	s_andn2_b32 exec_lo, exec_lo, s5
	s_cbranch_execnz .LBB124_173
; %bb.174:
	s_or_b32 exec_lo, exec_lo, s5
	v_mov_b32_e32 v7, 0
	ds_read_b128 v[134:137], v7 offset:592
	s_waitcnt lgkmcnt(0)
	v_mul_f64 v[7:8], v[1:2], v[136:137]
	v_mul_f64 v[131:132], v[3:4], v[136:137]
	v_fma_f64 v[3:4], v[3:4], v[134:135], -v[7:8]
	v_fma_f64 v[1:2], v[1:2], v[134:135], v[131:132]
	buffer_store_dword v4, off, s[0:3], 0 offset:612
	buffer_store_dword v3, off, s[0:3], 0 offset:608
	;; [unrolled: 1-line block ×4, first 2 shown]
.LBB124_175:
	s_or_b32 exec_lo, exec_lo, s4
	v_mov_b32_e32 v4, s37
	s_waitcnt_vscnt null, 0x0
	s_barrier
	buffer_gl0_inv
	s_mov_b32 s4, exec_lo
	s_clause 0x3
	buffer_load_dword v1, v4, s[0:3], 0 offen
	buffer_load_dword v2, v4, s[0:3], 0 offen offset:4
	buffer_load_dword v3, v4, s[0:3], 0 offen offset:8
	;; [unrolled: 1-line block ×3, first 2 shown]
	s_waitcnt vmcnt(0)
	ds_write_b128 v5, v[1:4]
	s_waitcnt lgkmcnt(0)
	s_barrier
	buffer_gl0_inv
	v_cmpx_gt_u32_e32 38, v0
	s_cbranch_execz .LBB124_179
; %bb.176:
	v_mov_b32_e32 v1, 0
	v_mov_b32_e32 v3, 0
	v_add_nc_u32_e32 v7, -1, v0
	v_add_nc_u32_e32 v8, 0x3d0, v133
	v_mov_b32_e32 v2, 0
	v_mov_b32_e32 v4, 0
	v_add_nc_u32_e32 v131, 16, v133
	s_mov_b32 s5, 0
	.p2align	6
.LBB124_177:                            ; =>This Inner Loop Header: Depth=1
	s_clause 0x3
	buffer_load_dword v138, v131, s[0:3], 0 offen offset:8
	buffer_load_dword v139, v131, s[0:3], 0 offen offset:12
	buffer_load_dword v140, v131, s[0:3], 0 offen
	buffer_load_dword v141, v131, s[0:3], 0 offen offset:4
	ds_read_b128 v[134:137], v8
	v_add_nc_u32_e32 v7, 1, v7
	v_add_nc_u32_e32 v8, 16, v8
	;; [unrolled: 1-line block ×3, first 2 shown]
	v_cmp_lt_u32_e32 vcc_lo, 36, v7
	s_or_b32 s5, vcc_lo, s5
	s_waitcnt vmcnt(2) lgkmcnt(0)
	v_mul_f64 v[142:143], v[136:137], v[138:139]
	v_mul_f64 v[138:139], v[134:135], v[138:139]
	s_waitcnt vmcnt(0)
	v_fma_f64 v[134:135], v[134:135], v[140:141], -v[142:143]
	v_fma_f64 v[136:137], v[136:137], v[140:141], v[138:139]
	v_add_f64 v[3:4], v[3:4], v[134:135]
	v_add_f64 v[1:2], v[1:2], v[136:137]
	s_andn2_b32 exec_lo, exec_lo, s5
	s_cbranch_execnz .LBB124_177
; %bb.178:
	s_or_b32 exec_lo, exec_lo, s5
	v_mov_b32_e32 v7, 0
	ds_read_b128 v[134:137], v7 offset:608
	s_waitcnt lgkmcnt(0)
	v_mul_f64 v[7:8], v[1:2], v[136:137]
	v_mul_f64 v[131:132], v[3:4], v[136:137]
	v_fma_f64 v[3:4], v[3:4], v[134:135], -v[7:8]
	v_fma_f64 v[1:2], v[1:2], v[134:135], v[131:132]
	buffer_store_dword v4, off, s[0:3], 0 offset:628
	buffer_store_dword v3, off, s[0:3], 0 offset:624
	;; [unrolled: 1-line block ×4, first 2 shown]
.LBB124_179:
	s_or_b32 exec_lo, exec_lo, s4
	v_mov_b32_e32 v4, s36
	s_waitcnt_vscnt null, 0x0
	s_barrier
	buffer_gl0_inv
	s_mov_b32 s4, exec_lo
	s_clause 0x3
	buffer_load_dword v1, v4, s[0:3], 0 offen
	buffer_load_dword v2, v4, s[0:3], 0 offen offset:4
	buffer_load_dword v3, v4, s[0:3], 0 offen offset:8
	;; [unrolled: 1-line block ×3, first 2 shown]
	s_waitcnt vmcnt(0)
	ds_write_b128 v5, v[1:4]
	s_waitcnt lgkmcnt(0)
	s_barrier
	buffer_gl0_inv
	v_cmpx_gt_u32_e32 39, v0
	s_cbranch_execz .LBB124_183
; %bb.180:
	v_mov_b32_e32 v1, 0
	v_mov_b32_e32 v3, 0
	v_add_nc_u32_e32 v7, -1, v0
	v_add_nc_u32_e32 v8, 0x3d0, v133
	v_mov_b32_e32 v2, 0
	v_mov_b32_e32 v4, 0
	v_add_nc_u32_e32 v131, 16, v133
	s_mov_b32 s5, 0
	.p2align	6
.LBB124_181:                            ; =>This Inner Loop Header: Depth=1
	s_clause 0x3
	buffer_load_dword v138, v131, s[0:3], 0 offen offset:8
	buffer_load_dword v139, v131, s[0:3], 0 offen offset:12
	buffer_load_dword v140, v131, s[0:3], 0 offen
	buffer_load_dword v141, v131, s[0:3], 0 offen offset:4
	ds_read_b128 v[134:137], v8
	v_add_nc_u32_e32 v7, 1, v7
	v_add_nc_u32_e32 v8, 16, v8
	;; [unrolled: 1-line block ×3, first 2 shown]
	v_cmp_lt_u32_e32 vcc_lo, 37, v7
	s_or_b32 s5, vcc_lo, s5
	s_waitcnt vmcnt(2) lgkmcnt(0)
	v_mul_f64 v[142:143], v[136:137], v[138:139]
	v_mul_f64 v[138:139], v[134:135], v[138:139]
	s_waitcnt vmcnt(0)
	v_fma_f64 v[134:135], v[134:135], v[140:141], -v[142:143]
	v_fma_f64 v[136:137], v[136:137], v[140:141], v[138:139]
	v_add_f64 v[3:4], v[3:4], v[134:135]
	v_add_f64 v[1:2], v[1:2], v[136:137]
	s_andn2_b32 exec_lo, exec_lo, s5
	s_cbranch_execnz .LBB124_181
; %bb.182:
	s_or_b32 exec_lo, exec_lo, s5
	v_mov_b32_e32 v7, 0
	ds_read_b128 v[134:137], v7 offset:624
	s_waitcnt lgkmcnt(0)
	v_mul_f64 v[7:8], v[1:2], v[136:137]
	v_mul_f64 v[131:132], v[3:4], v[136:137]
	v_fma_f64 v[3:4], v[3:4], v[134:135], -v[7:8]
	v_fma_f64 v[1:2], v[1:2], v[134:135], v[131:132]
	buffer_store_dword v4, off, s[0:3], 0 offset:644
	buffer_store_dword v3, off, s[0:3], 0 offset:640
	buffer_store_dword v2, off, s[0:3], 0 offset:652
	buffer_store_dword v1, off, s[0:3], 0 offset:648
.LBB124_183:
	s_or_b32 exec_lo, exec_lo, s4
	v_mov_b32_e32 v4, s35
	s_waitcnt_vscnt null, 0x0
	s_barrier
	buffer_gl0_inv
	s_mov_b32 s4, exec_lo
	s_clause 0x3
	buffer_load_dword v1, v4, s[0:3], 0 offen
	buffer_load_dword v2, v4, s[0:3], 0 offen offset:4
	buffer_load_dword v3, v4, s[0:3], 0 offen offset:8
	;; [unrolled: 1-line block ×3, first 2 shown]
	s_waitcnt vmcnt(0)
	ds_write_b128 v5, v[1:4]
	s_waitcnt lgkmcnt(0)
	s_barrier
	buffer_gl0_inv
	v_cmpx_gt_u32_e32 40, v0
	s_cbranch_execz .LBB124_187
; %bb.184:
	v_mov_b32_e32 v1, 0
	v_mov_b32_e32 v3, 0
	v_add_nc_u32_e32 v7, -1, v0
	v_add_nc_u32_e32 v8, 0x3d0, v133
	v_mov_b32_e32 v2, 0
	v_mov_b32_e32 v4, 0
	v_add_nc_u32_e32 v131, 16, v133
	s_mov_b32 s5, 0
	.p2align	6
.LBB124_185:                            ; =>This Inner Loop Header: Depth=1
	s_clause 0x3
	buffer_load_dword v138, v131, s[0:3], 0 offen offset:8
	buffer_load_dword v139, v131, s[0:3], 0 offen offset:12
	buffer_load_dword v140, v131, s[0:3], 0 offen
	buffer_load_dword v141, v131, s[0:3], 0 offen offset:4
	ds_read_b128 v[134:137], v8
	v_add_nc_u32_e32 v7, 1, v7
	v_add_nc_u32_e32 v8, 16, v8
	;; [unrolled: 1-line block ×3, first 2 shown]
	v_cmp_lt_u32_e32 vcc_lo, 38, v7
	s_or_b32 s5, vcc_lo, s5
	s_waitcnt vmcnt(2) lgkmcnt(0)
	v_mul_f64 v[142:143], v[136:137], v[138:139]
	v_mul_f64 v[138:139], v[134:135], v[138:139]
	s_waitcnt vmcnt(0)
	v_fma_f64 v[134:135], v[134:135], v[140:141], -v[142:143]
	v_fma_f64 v[136:137], v[136:137], v[140:141], v[138:139]
	v_add_f64 v[3:4], v[3:4], v[134:135]
	v_add_f64 v[1:2], v[1:2], v[136:137]
	s_andn2_b32 exec_lo, exec_lo, s5
	s_cbranch_execnz .LBB124_185
; %bb.186:
	s_or_b32 exec_lo, exec_lo, s5
	v_mov_b32_e32 v7, 0
	ds_read_b128 v[134:137], v7 offset:640
	s_waitcnt lgkmcnt(0)
	v_mul_f64 v[7:8], v[1:2], v[136:137]
	v_mul_f64 v[131:132], v[3:4], v[136:137]
	v_fma_f64 v[3:4], v[3:4], v[134:135], -v[7:8]
	v_fma_f64 v[1:2], v[1:2], v[134:135], v[131:132]
	buffer_store_dword v4, off, s[0:3], 0 offset:660
	buffer_store_dword v3, off, s[0:3], 0 offset:656
	;; [unrolled: 1-line block ×4, first 2 shown]
.LBB124_187:
	s_or_b32 exec_lo, exec_lo, s4
	v_mov_b32_e32 v4, s34
	s_waitcnt_vscnt null, 0x0
	s_barrier
	buffer_gl0_inv
	s_mov_b32 s4, exec_lo
	s_clause 0x3
	buffer_load_dword v1, v4, s[0:3], 0 offen
	buffer_load_dword v2, v4, s[0:3], 0 offen offset:4
	buffer_load_dword v3, v4, s[0:3], 0 offen offset:8
	;; [unrolled: 1-line block ×3, first 2 shown]
	s_waitcnt vmcnt(0)
	ds_write_b128 v5, v[1:4]
	s_waitcnt lgkmcnt(0)
	s_barrier
	buffer_gl0_inv
	v_cmpx_gt_u32_e32 41, v0
	s_cbranch_execz .LBB124_191
; %bb.188:
	v_mov_b32_e32 v1, 0
	v_mov_b32_e32 v3, 0
	v_add_nc_u32_e32 v7, -1, v0
	v_add_nc_u32_e32 v8, 0x3d0, v133
	v_mov_b32_e32 v2, 0
	v_mov_b32_e32 v4, 0
	v_add_nc_u32_e32 v131, 16, v133
	s_mov_b32 s5, 0
	.p2align	6
.LBB124_189:                            ; =>This Inner Loop Header: Depth=1
	s_clause 0x3
	buffer_load_dword v138, v131, s[0:3], 0 offen offset:8
	buffer_load_dword v139, v131, s[0:3], 0 offen offset:12
	buffer_load_dword v140, v131, s[0:3], 0 offen
	buffer_load_dword v141, v131, s[0:3], 0 offen offset:4
	ds_read_b128 v[134:137], v8
	v_add_nc_u32_e32 v7, 1, v7
	v_add_nc_u32_e32 v8, 16, v8
	;; [unrolled: 1-line block ×3, first 2 shown]
	v_cmp_lt_u32_e32 vcc_lo, 39, v7
	s_or_b32 s5, vcc_lo, s5
	s_waitcnt vmcnt(2) lgkmcnt(0)
	v_mul_f64 v[142:143], v[136:137], v[138:139]
	v_mul_f64 v[138:139], v[134:135], v[138:139]
	s_waitcnt vmcnt(0)
	v_fma_f64 v[134:135], v[134:135], v[140:141], -v[142:143]
	v_fma_f64 v[136:137], v[136:137], v[140:141], v[138:139]
	v_add_f64 v[3:4], v[3:4], v[134:135]
	v_add_f64 v[1:2], v[1:2], v[136:137]
	s_andn2_b32 exec_lo, exec_lo, s5
	s_cbranch_execnz .LBB124_189
; %bb.190:
	s_or_b32 exec_lo, exec_lo, s5
	v_mov_b32_e32 v7, 0
	ds_read_b128 v[134:137], v7 offset:656
	s_waitcnt lgkmcnt(0)
	v_mul_f64 v[7:8], v[1:2], v[136:137]
	v_mul_f64 v[131:132], v[3:4], v[136:137]
	v_fma_f64 v[3:4], v[3:4], v[134:135], -v[7:8]
	v_fma_f64 v[1:2], v[1:2], v[134:135], v[131:132]
	buffer_store_dword v4, off, s[0:3], 0 offset:676
	buffer_store_dword v3, off, s[0:3], 0 offset:672
	;; [unrolled: 1-line block ×4, first 2 shown]
.LBB124_191:
	s_or_b32 exec_lo, exec_lo, s4
	v_mov_b32_e32 v4, s33
	s_waitcnt_vscnt null, 0x0
	s_barrier
	buffer_gl0_inv
	s_mov_b32 s4, exec_lo
	s_clause 0x3
	buffer_load_dword v1, v4, s[0:3], 0 offen
	buffer_load_dword v2, v4, s[0:3], 0 offen offset:4
	buffer_load_dword v3, v4, s[0:3], 0 offen offset:8
	;; [unrolled: 1-line block ×3, first 2 shown]
	s_waitcnt vmcnt(0)
	ds_write_b128 v5, v[1:4]
	s_waitcnt lgkmcnt(0)
	s_barrier
	buffer_gl0_inv
	v_cmpx_gt_u32_e32 42, v0
	s_cbranch_execz .LBB124_195
; %bb.192:
	v_mov_b32_e32 v1, 0
	v_mov_b32_e32 v3, 0
	v_add_nc_u32_e32 v7, -1, v0
	v_add_nc_u32_e32 v8, 0x3d0, v133
	v_mov_b32_e32 v2, 0
	v_mov_b32_e32 v4, 0
	v_add_nc_u32_e32 v131, 16, v133
	s_mov_b32 s5, 0
	.p2align	6
.LBB124_193:                            ; =>This Inner Loop Header: Depth=1
	s_clause 0x3
	buffer_load_dword v138, v131, s[0:3], 0 offen offset:8
	buffer_load_dword v139, v131, s[0:3], 0 offen offset:12
	buffer_load_dword v140, v131, s[0:3], 0 offen
	buffer_load_dword v141, v131, s[0:3], 0 offen offset:4
	ds_read_b128 v[134:137], v8
	v_add_nc_u32_e32 v7, 1, v7
	v_add_nc_u32_e32 v8, 16, v8
	v_add_nc_u32_e32 v131, 16, v131
	v_cmp_lt_u32_e32 vcc_lo, 40, v7
	s_or_b32 s5, vcc_lo, s5
	s_waitcnt vmcnt(2) lgkmcnt(0)
	v_mul_f64 v[142:143], v[136:137], v[138:139]
	v_mul_f64 v[138:139], v[134:135], v[138:139]
	s_waitcnt vmcnt(0)
	v_fma_f64 v[134:135], v[134:135], v[140:141], -v[142:143]
	v_fma_f64 v[136:137], v[136:137], v[140:141], v[138:139]
	v_add_f64 v[3:4], v[3:4], v[134:135]
	v_add_f64 v[1:2], v[1:2], v[136:137]
	s_andn2_b32 exec_lo, exec_lo, s5
	s_cbranch_execnz .LBB124_193
; %bb.194:
	s_or_b32 exec_lo, exec_lo, s5
	v_mov_b32_e32 v7, 0
	ds_read_b128 v[134:137], v7 offset:672
	s_waitcnt lgkmcnt(0)
	v_mul_f64 v[7:8], v[1:2], v[136:137]
	v_mul_f64 v[131:132], v[3:4], v[136:137]
	v_fma_f64 v[3:4], v[3:4], v[134:135], -v[7:8]
	v_fma_f64 v[1:2], v[1:2], v[134:135], v[131:132]
	buffer_store_dword v4, off, s[0:3], 0 offset:692
	buffer_store_dword v3, off, s[0:3], 0 offset:688
	buffer_store_dword v2, off, s[0:3], 0 offset:700
	buffer_store_dword v1, off, s[0:3], 0 offset:696
.LBB124_195:
	s_or_b32 exec_lo, exec_lo, s4
	v_mov_b32_e32 v4, s31
	s_waitcnt_vscnt null, 0x0
	s_barrier
	buffer_gl0_inv
	s_mov_b32 s4, exec_lo
	s_clause 0x3
	buffer_load_dword v1, v4, s[0:3], 0 offen
	buffer_load_dword v2, v4, s[0:3], 0 offen offset:4
	buffer_load_dword v3, v4, s[0:3], 0 offen offset:8
	;; [unrolled: 1-line block ×3, first 2 shown]
	s_waitcnt vmcnt(0)
	ds_write_b128 v5, v[1:4]
	s_waitcnt lgkmcnt(0)
	s_barrier
	buffer_gl0_inv
	v_cmpx_gt_u32_e32 43, v0
	s_cbranch_execz .LBB124_199
; %bb.196:
	v_mov_b32_e32 v1, 0
	v_mov_b32_e32 v3, 0
	v_add_nc_u32_e32 v7, -1, v0
	v_add_nc_u32_e32 v8, 0x3d0, v133
	v_mov_b32_e32 v2, 0
	v_mov_b32_e32 v4, 0
	v_add_nc_u32_e32 v131, 16, v133
	s_mov_b32 s5, 0
	.p2align	6
.LBB124_197:                            ; =>This Inner Loop Header: Depth=1
	s_clause 0x3
	buffer_load_dword v138, v131, s[0:3], 0 offen offset:8
	buffer_load_dword v139, v131, s[0:3], 0 offen offset:12
	buffer_load_dword v140, v131, s[0:3], 0 offen
	buffer_load_dword v141, v131, s[0:3], 0 offen offset:4
	ds_read_b128 v[134:137], v8
	v_add_nc_u32_e32 v7, 1, v7
	v_add_nc_u32_e32 v8, 16, v8
	;; [unrolled: 1-line block ×3, first 2 shown]
	v_cmp_lt_u32_e32 vcc_lo, 41, v7
	s_or_b32 s5, vcc_lo, s5
	s_waitcnt vmcnt(2) lgkmcnt(0)
	v_mul_f64 v[142:143], v[136:137], v[138:139]
	v_mul_f64 v[138:139], v[134:135], v[138:139]
	s_waitcnt vmcnt(0)
	v_fma_f64 v[134:135], v[134:135], v[140:141], -v[142:143]
	v_fma_f64 v[136:137], v[136:137], v[140:141], v[138:139]
	v_add_f64 v[3:4], v[3:4], v[134:135]
	v_add_f64 v[1:2], v[1:2], v[136:137]
	s_andn2_b32 exec_lo, exec_lo, s5
	s_cbranch_execnz .LBB124_197
; %bb.198:
	s_or_b32 exec_lo, exec_lo, s5
	v_mov_b32_e32 v7, 0
	ds_read_b128 v[134:137], v7 offset:688
	s_waitcnt lgkmcnt(0)
	v_mul_f64 v[7:8], v[1:2], v[136:137]
	v_mul_f64 v[131:132], v[3:4], v[136:137]
	v_fma_f64 v[3:4], v[3:4], v[134:135], -v[7:8]
	v_fma_f64 v[1:2], v[1:2], v[134:135], v[131:132]
	buffer_store_dword v4, off, s[0:3], 0 offset:708
	buffer_store_dword v3, off, s[0:3], 0 offset:704
	;; [unrolled: 1-line block ×4, first 2 shown]
.LBB124_199:
	s_or_b32 exec_lo, exec_lo, s4
	v_mov_b32_e32 v4, s30
	s_waitcnt_vscnt null, 0x0
	s_barrier
	buffer_gl0_inv
	s_mov_b32 s4, exec_lo
	s_clause 0x3
	buffer_load_dword v1, v4, s[0:3], 0 offen
	buffer_load_dword v2, v4, s[0:3], 0 offen offset:4
	buffer_load_dword v3, v4, s[0:3], 0 offen offset:8
	;; [unrolled: 1-line block ×3, first 2 shown]
	s_waitcnt vmcnt(0)
	ds_write_b128 v5, v[1:4]
	s_waitcnt lgkmcnt(0)
	s_barrier
	buffer_gl0_inv
	v_cmpx_gt_u32_e32 44, v0
	s_cbranch_execz .LBB124_203
; %bb.200:
	v_mov_b32_e32 v1, 0
	v_mov_b32_e32 v3, 0
	v_add_nc_u32_e32 v7, -1, v0
	v_add_nc_u32_e32 v8, 0x3d0, v133
	v_mov_b32_e32 v2, 0
	v_mov_b32_e32 v4, 0
	v_add_nc_u32_e32 v131, 16, v133
	s_mov_b32 s5, 0
	.p2align	6
.LBB124_201:                            ; =>This Inner Loop Header: Depth=1
	s_clause 0x3
	buffer_load_dword v138, v131, s[0:3], 0 offen offset:8
	buffer_load_dword v139, v131, s[0:3], 0 offen offset:12
	buffer_load_dword v140, v131, s[0:3], 0 offen
	buffer_load_dword v141, v131, s[0:3], 0 offen offset:4
	ds_read_b128 v[134:137], v8
	v_add_nc_u32_e32 v7, 1, v7
	v_add_nc_u32_e32 v8, 16, v8
	;; [unrolled: 1-line block ×3, first 2 shown]
	v_cmp_lt_u32_e32 vcc_lo, 42, v7
	s_or_b32 s5, vcc_lo, s5
	s_waitcnt vmcnt(2) lgkmcnt(0)
	v_mul_f64 v[142:143], v[136:137], v[138:139]
	v_mul_f64 v[138:139], v[134:135], v[138:139]
	s_waitcnt vmcnt(0)
	v_fma_f64 v[134:135], v[134:135], v[140:141], -v[142:143]
	v_fma_f64 v[136:137], v[136:137], v[140:141], v[138:139]
	v_add_f64 v[3:4], v[3:4], v[134:135]
	v_add_f64 v[1:2], v[1:2], v[136:137]
	s_andn2_b32 exec_lo, exec_lo, s5
	s_cbranch_execnz .LBB124_201
; %bb.202:
	s_or_b32 exec_lo, exec_lo, s5
	v_mov_b32_e32 v7, 0
	ds_read_b128 v[134:137], v7 offset:704
	s_waitcnt lgkmcnt(0)
	v_mul_f64 v[7:8], v[1:2], v[136:137]
	v_mul_f64 v[131:132], v[3:4], v[136:137]
	v_fma_f64 v[3:4], v[3:4], v[134:135], -v[7:8]
	v_fma_f64 v[1:2], v[1:2], v[134:135], v[131:132]
	buffer_store_dword v4, off, s[0:3], 0 offset:724
	buffer_store_dword v3, off, s[0:3], 0 offset:720
	;; [unrolled: 1-line block ×4, first 2 shown]
.LBB124_203:
	s_or_b32 exec_lo, exec_lo, s4
	v_mov_b32_e32 v4, s29
	s_waitcnt_vscnt null, 0x0
	s_barrier
	buffer_gl0_inv
	s_mov_b32 s4, exec_lo
	s_clause 0x3
	buffer_load_dword v1, v4, s[0:3], 0 offen
	buffer_load_dword v2, v4, s[0:3], 0 offen offset:4
	buffer_load_dword v3, v4, s[0:3], 0 offen offset:8
	;; [unrolled: 1-line block ×3, first 2 shown]
	s_waitcnt vmcnt(0)
	ds_write_b128 v5, v[1:4]
	s_waitcnt lgkmcnt(0)
	s_barrier
	buffer_gl0_inv
	v_cmpx_gt_u32_e32 45, v0
	s_cbranch_execz .LBB124_207
; %bb.204:
	v_mov_b32_e32 v1, 0
	v_mov_b32_e32 v3, 0
	v_add_nc_u32_e32 v7, -1, v0
	v_add_nc_u32_e32 v8, 0x3d0, v133
	v_mov_b32_e32 v2, 0
	v_mov_b32_e32 v4, 0
	v_add_nc_u32_e32 v131, 16, v133
	s_mov_b32 s5, 0
	.p2align	6
.LBB124_205:                            ; =>This Inner Loop Header: Depth=1
	s_clause 0x3
	buffer_load_dword v138, v131, s[0:3], 0 offen offset:8
	buffer_load_dword v139, v131, s[0:3], 0 offen offset:12
	buffer_load_dword v140, v131, s[0:3], 0 offen
	buffer_load_dword v141, v131, s[0:3], 0 offen offset:4
	ds_read_b128 v[134:137], v8
	v_add_nc_u32_e32 v7, 1, v7
	v_add_nc_u32_e32 v8, 16, v8
	;; [unrolled: 1-line block ×3, first 2 shown]
	v_cmp_lt_u32_e32 vcc_lo, 43, v7
	s_or_b32 s5, vcc_lo, s5
	s_waitcnt vmcnt(2) lgkmcnt(0)
	v_mul_f64 v[142:143], v[136:137], v[138:139]
	v_mul_f64 v[138:139], v[134:135], v[138:139]
	s_waitcnt vmcnt(0)
	v_fma_f64 v[134:135], v[134:135], v[140:141], -v[142:143]
	v_fma_f64 v[136:137], v[136:137], v[140:141], v[138:139]
	v_add_f64 v[3:4], v[3:4], v[134:135]
	v_add_f64 v[1:2], v[1:2], v[136:137]
	s_andn2_b32 exec_lo, exec_lo, s5
	s_cbranch_execnz .LBB124_205
; %bb.206:
	s_or_b32 exec_lo, exec_lo, s5
	v_mov_b32_e32 v7, 0
	ds_read_b128 v[134:137], v7 offset:720
	s_waitcnt lgkmcnt(0)
	v_mul_f64 v[7:8], v[1:2], v[136:137]
	v_mul_f64 v[131:132], v[3:4], v[136:137]
	v_fma_f64 v[3:4], v[3:4], v[134:135], -v[7:8]
	v_fma_f64 v[1:2], v[1:2], v[134:135], v[131:132]
	buffer_store_dword v4, off, s[0:3], 0 offset:740
	buffer_store_dword v3, off, s[0:3], 0 offset:736
	;; [unrolled: 1-line block ×4, first 2 shown]
.LBB124_207:
	s_or_b32 exec_lo, exec_lo, s4
	v_mov_b32_e32 v4, s28
	s_waitcnt_vscnt null, 0x0
	s_barrier
	buffer_gl0_inv
	s_mov_b32 s4, exec_lo
	s_clause 0x3
	buffer_load_dword v1, v4, s[0:3], 0 offen
	buffer_load_dword v2, v4, s[0:3], 0 offen offset:4
	buffer_load_dword v3, v4, s[0:3], 0 offen offset:8
	;; [unrolled: 1-line block ×3, first 2 shown]
	s_waitcnt vmcnt(0)
	ds_write_b128 v5, v[1:4]
	s_waitcnt lgkmcnt(0)
	s_barrier
	buffer_gl0_inv
	v_cmpx_gt_u32_e32 46, v0
	s_cbranch_execz .LBB124_211
; %bb.208:
	v_mov_b32_e32 v1, 0
	v_mov_b32_e32 v3, 0
	v_add_nc_u32_e32 v7, -1, v0
	v_add_nc_u32_e32 v8, 0x3d0, v133
	v_mov_b32_e32 v2, 0
	v_mov_b32_e32 v4, 0
	v_add_nc_u32_e32 v131, 16, v133
	s_mov_b32 s5, 0
	.p2align	6
.LBB124_209:                            ; =>This Inner Loop Header: Depth=1
	s_clause 0x3
	buffer_load_dword v138, v131, s[0:3], 0 offen offset:8
	buffer_load_dword v139, v131, s[0:3], 0 offen offset:12
	buffer_load_dword v140, v131, s[0:3], 0 offen
	buffer_load_dword v141, v131, s[0:3], 0 offen offset:4
	ds_read_b128 v[134:137], v8
	v_add_nc_u32_e32 v7, 1, v7
	v_add_nc_u32_e32 v8, 16, v8
	;; [unrolled: 1-line block ×3, first 2 shown]
	v_cmp_lt_u32_e32 vcc_lo, 44, v7
	s_or_b32 s5, vcc_lo, s5
	s_waitcnt vmcnt(2) lgkmcnt(0)
	v_mul_f64 v[142:143], v[136:137], v[138:139]
	v_mul_f64 v[138:139], v[134:135], v[138:139]
	s_waitcnt vmcnt(0)
	v_fma_f64 v[134:135], v[134:135], v[140:141], -v[142:143]
	v_fma_f64 v[136:137], v[136:137], v[140:141], v[138:139]
	v_add_f64 v[3:4], v[3:4], v[134:135]
	v_add_f64 v[1:2], v[1:2], v[136:137]
	s_andn2_b32 exec_lo, exec_lo, s5
	s_cbranch_execnz .LBB124_209
; %bb.210:
	s_or_b32 exec_lo, exec_lo, s5
	v_mov_b32_e32 v7, 0
	ds_read_b128 v[134:137], v7 offset:736
	s_waitcnt lgkmcnt(0)
	v_mul_f64 v[7:8], v[1:2], v[136:137]
	v_mul_f64 v[131:132], v[3:4], v[136:137]
	v_fma_f64 v[3:4], v[3:4], v[134:135], -v[7:8]
	v_fma_f64 v[1:2], v[1:2], v[134:135], v[131:132]
	buffer_store_dword v4, off, s[0:3], 0 offset:756
	buffer_store_dword v3, off, s[0:3], 0 offset:752
	buffer_store_dword v2, off, s[0:3], 0 offset:764
	buffer_store_dword v1, off, s[0:3], 0 offset:760
.LBB124_211:
	s_or_b32 exec_lo, exec_lo, s4
	v_mov_b32_e32 v4, s27
	s_waitcnt_vscnt null, 0x0
	s_barrier
	buffer_gl0_inv
	s_mov_b32 s4, exec_lo
	s_clause 0x3
	buffer_load_dword v1, v4, s[0:3], 0 offen
	buffer_load_dword v2, v4, s[0:3], 0 offen offset:4
	buffer_load_dword v3, v4, s[0:3], 0 offen offset:8
	;; [unrolled: 1-line block ×3, first 2 shown]
	s_waitcnt vmcnt(0)
	ds_write_b128 v5, v[1:4]
	s_waitcnt lgkmcnt(0)
	s_barrier
	buffer_gl0_inv
	v_cmpx_gt_u32_e32 47, v0
	s_cbranch_execz .LBB124_215
; %bb.212:
	v_mov_b32_e32 v1, 0
	v_mov_b32_e32 v3, 0
	v_add_nc_u32_e32 v7, -1, v0
	v_add_nc_u32_e32 v8, 0x3d0, v133
	v_mov_b32_e32 v2, 0
	v_mov_b32_e32 v4, 0
	v_add_nc_u32_e32 v131, 16, v133
	s_mov_b32 s5, 0
	.p2align	6
.LBB124_213:                            ; =>This Inner Loop Header: Depth=1
	s_clause 0x3
	buffer_load_dword v138, v131, s[0:3], 0 offen offset:8
	buffer_load_dword v139, v131, s[0:3], 0 offen offset:12
	buffer_load_dword v140, v131, s[0:3], 0 offen
	buffer_load_dword v141, v131, s[0:3], 0 offen offset:4
	ds_read_b128 v[134:137], v8
	v_add_nc_u32_e32 v7, 1, v7
	v_add_nc_u32_e32 v8, 16, v8
	v_add_nc_u32_e32 v131, 16, v131
	v_cmp_lt_u32_e32 vcc_lo, 45, v7
	s_or_b32 s5, vcc_lo, s5
	s_waitcnt vmcnt(2) lgkmcnt(0)
	v_mul_f64 v[142:143], v[136:137], v[138:139]
	v_mul_f64 v[138:139], v[134:135], v[138:139]
	s_waitcnt vmcnt(0)
	v_fma_f64 v[134:135], v[134:135], v[140:141], -v[142:143]
	v_fma_f64 v[136:137], v[136:137], v[140:141], v[138:139]
	v_add_f64 v[3:4], v[3:4], v[134:135]
	v_add_f64 v[1:2], v[1:2], v[136:137]
	s_andn2_b32 exec_lo, exec_lo, s5
	s_cbranch_execnz .LBB124_213
; %bb.214:
	s_or_b32 exec_lo, exec_lo, s5
	v_mov_b32_e32 v7, 0
	ds_read_b128 v[134:137], v7 offset:752
	s_waitcnt lgkmcnt(0)
	v_mul_f64 v[7:8], v[1:2], v[136:137]
	v_mul_f64 v[131:132], v[3:4], v[136:137]
	v_fma_f64 v[3:4], v[3:4], v[134:135], -v[7:8]
	v_fma_f64 v[1:2], v[1:2], v[134:135], v[131:132]
	buffer_store_dword v4, off, s[0:3], 0 offset:772
	buffer_store_dword v3, off, s[0:3], 0 offset:768
	;; [unrolled: 1-line block ×4, first 2 shown]
.LBB124_215:
	s_or_b32 exec_lo, exec_lo, s4
	v_mov_b32_e32 v4, s26
	s_waitcnt_vscnt null, 0x0
	s_barrier
	buffer_gl0_inv
	s_mov_b32 s4, exec_lo
	s_clause 0x3
	buffer_load_dword v1, v4, s[0:3], 0 offen
	buffer_load_dword v2, v4, s[0:3], 0 offen offset:4
	buffer_load_dword v3, v4, s[0:3], 0 offen offset:8
	;; [unrolled: 1-line block ×3, first 2 shown]
	s_waitcnt vmcnt(0)
	ds_write_b128 v5, v[1:4]
	s_waitcnt lgkmcnt(0)
	s_barrier
	buffer_gl0_inv
	v_cmpx_gt_u32_e32 48, v0
	s_cbranch_execz .LBB124_219
; %bb.216:
	v_mov_b32_e32 v1, 0
	v_mov_b32_e32 v3, 0
	v_add_nc_u32_e32 v7, -1, v0
	v_add_nc_u32_e32 v8, 0x3d0, v133
	v_mov_b32_e32 v2, 0
	v_mov_b32_e32 v4, 0
	v_add_nc_u32_e32 v131, 16, v133
	s_mov_b32 s5, 0
	.p2align	6
.LBB124_217:                            ; =>This Inner Loop Header: Depth=1
	s_clause 0x3
	buffer_load_dword v138, v131, s[0:3], 0 offen offset:8
	buffer_load_dword v139, v131, s[0:3], 0 offen offset:12
	buffer_load_dword v140, v131, s[0:3], 0 offen
	buffer_load_dword v141, v131, s[0:3], 0 offen offset:4
	ds_read_b128 v[134:137], v8
	v_add_nc_u32_e32 v7, 1, v7
	v_add_nc_u32_e32 v8, 16, v8
	;; [unrolled: 1-line block ×3, first 2 shown]
	v_cmp_lt_u32_e32 vcc_lo, 46, v7
	s_or_b32 s5, vcc_lo, s5
	s_waitcnt vmcnt(2) lgkmcnt(0)
	v_mul_f64 v[142:143], v[136:137], v[138:139]
	v_mul_f64 v[138:139], v[134:135], v[138:139]
	s_waitcnt vmcnt(0)
	v_fma_f64 v[134:135], v[134:135], v[140:141], -v[142:143]
	v_fma_f64 v[136:137], v[136:137], v[140:141], v[138:139]
	v_add_f64 v[3:4], v[3:4], v[134:135]
	v_add_f64 v[1:2], v[1:2], v[136:137]
	s_andn2_b32 exec_lo, exec_lo, s5
	s_cbranch_execnz .LBB124_217
; %bb.218:
	s_or_b32 exec_lo, exec_lo, s5
	v_mov_b32_e32 v7, 0
	ds_read_b128 v[134:137], v7 offset:768
	s_waitcnt lgkmcnt(0)
	v_mul_f64 v[7:8], v[1:2], v[136:137]
	v_mul_f64 v[131:132], v[3:4], v[136:137]
	v_fma_f64 v[3:4], v[3:4], v[134:135], -v[7:8]
	v_fma_f64 v[1:2], v[1:2], v[134:135], v[131:132]
	buffer_store_dword v4, off, s[0:3], 0 offset:788
	buffer_store_dword v3, off, s[0:3], 0 offset:784
	;; [unrolled: 1-line block ×4, first 2 shown]
.LBB124_219:
	s_or_b32 exec_lo, exec_lo, s4
	v_mov_b32_e32 v4, s25
	s_waitcnt_vscnt null, 0x0
	s_barrier
	buffer_gl0_inv
	s_mov_b32 s4, exec_lo
	s_clause 0x3
	buffer_load_dword v1, v4, s[0:3], 0 offen
	buffer_load_dword v2, v4, s[0:3], 0 offen offset:4
	buffer_load_dword v3, v4, s[0:3], 0 offen offset:8
	;; [unrolled: 1-line block ×3, first 2 shown]
	s_waitcnt vmcnt(0)
	ds_write_b128 v5, v[1:4]
	s_waitcnt lgkmcnt(0)
	s_barrier
	buffer_gl0_inv
	v_cmpx_gt_u32_e32 49, v0
	s_cbranch_execz .LBB124_223
; %bb.220:
	v_mov_b32_e32 v1, 0
	v_mov_b32_e32 v3, 0
	v_add_nc_u32_e32 v7, -1, v0
	v_add_nc_u32_e32 v8, 0x3d0, v133
	v_mov_b32_e32 v2, 0
	v_mov_b32_e32 v4, 0
	v_add_nc_u32_e32 v131, 16, v133
	s_mov_b32 s5, 0
	.p2align	6
.LBB124_221:                            ; =>This Inner Loop Header: Depth=1
	s_clause 0x3
	buffer_load_dword v138, v131, s[0:3], 0 offen offset:8
	buffer_load_dword v139, v131, s[0:3], 0 offen offset:12
	buffer_load_dword v140, v131, s[0:3], 0 offen
	buffer_load_dword v141, v131, s[0:3], 0 offen offset:4
	ds_read_b128 v[134:137], v8
	v_add_nc_u32_e32 v7, 1, v7
	v_add_nc_u32_e32 v8, 16, v8
	;; [unrolled: 1-line block ×3, first 2 shown]
	v_cmp_lt_u32_e32 vcc_lo, 47, v7
	s_or_b32 s5, vcc_lo, s5
	s_waitcnt vmcnt(2) lgkmcnt(0)
	v_mul_f64 v[142:143], v[136:137], v[138:139]
	v_mul_f64 v[138:139], v[134:135], v[138:139]
	s_waitcnt vmcnt(0)
	v_fma_f64 v[134:135], v[134:135], v[140:141], -v[142:143]
	v_fma_f64 v[136:137], v[136:137], v[140:141], v[138:139]
	v_add_f64 v[3:4], v[3:4], v[134:135]
	v_add_f64 v[1:2], v[1:2], v[136:137]
	s_andn2_b32 exec_lo, exec_lo, s5
	s_cbranch_execnz .LBB124_221
; %bb.222:
	s_or_b32 exec_lo, exec_lo, s5
	v_mov_b32_e32 v7, 0
	ds_read_b128 v[134:137], v7 offset:784
	s_waitcnt lgkmcnt(0)
	v_mul_f64 v[7:8], v[1:2], v[136:137]
	v_mul_f64 v[131:132], v[3:4], v[136:137]
	v_fma_f64 v[3:4], v[3:4], v[134:135], -v[7:8]
	v_fma_f64 v[1:2], v[1:2], v[134:135], v[131:132]
	buffer_store_dword v4, off, s[0:3], 0 offset:804
	buffer_store_dword v3, off, s[0:3], 0 offset:800
	;; [unrolled: 1-line block ×4, first 2 shown]
.LBB124_223:
	s_or_b32 exec_lo, exec_lo, s4
	v_mov_b32_e32 v4, s24
	s_waitcnt_vscnt null, 0x0
	s_barrier
	buffer_gl0_inv
	s_mov_b32 s4, exec_lo
	s_clause 0x3
	buffer_load_dword v1, v4, s[0:3], 0 offen
	buffer_load_dword v2, v4, s[0:3], 0 offen offset:4
	buffer_load_dword v3, v4, s[0:3], 0 offen offset:8
	;; [unrolled: 1-line block ×3, first 2 shown]
	s_waitcnt vmcnt(0)
	ds_write_b128 v5, v[1:4]
	s_waitcnt lgkmcnt(0)
	s_barrier
	buffer_gl0_inv
	v_cmpx_gt_u32_e32 50, v0
	s_cbranch_execz .LBB124_227
; %bb.224:
	v_mov_b32_e32 v1, 0
	v_mov_b32_e32 v3, 0
	v_add_nc_u32_e32 v7, -1, v0
	v_add_nc_u32_e32 v8, 0x3d0, v133
	v_mov_b32_e32 v2, 0
	v_mov_b32_e32 v4, 0
	v_add_nc_u32_e32 v131, 16, v133
	s_mov_b32 s5, 0
	.p2align	6
.LBB124_225:                            ; =>This Inner Loop Header: Depth=1
	s_clause 0x3
	buffer_load_dword v138, v131, s[0:3], 0 offen offset:8
	buffer_load_dword v139, v131, s[0:3], 0 offen offset:12
	buffer_load_dword v140, v131, s[0:3], 0 offen
	buffer_load_dword v141, v131, s[0:3], 0 offen offset:4
	ds_read_b128 v[134:137], v8
	v_add_nc_u32_e32 v7, 1, v7
	v_add_nc_u32_e32 v8, 16, v8
	;; [unrolled: 1-line block ×3, first 2 shown]
	v_cmp_lt_u32_e32 vcc_lo, 48, v7
	s_or_b32 s5, vcc_lo, s5
	s_waitcnt vmcnt(2) lgkmcnt(0)
	v_mul_f64 v[142:143], v[136:137], v[138:139]
	v_mul_f64 v[138:139], v[134:135], v[138:139]
	s_waitcnt vmcnt(0)
	v_fma_f64 v[134:135], v[134:135], v[140:141], -v[142:143]
	v_fma_f64 v[136:137], v[136:137], v[140:141], v[138:139]
	v_add_f64 v[3:4], v[3:4], v[134:135]
	v_add_f64 v[1:2], v[1:2], v[136:137]
	s_andn2_b32 exec_lo, exec_lo, s5
	s_cbranch_execnz .LBB124_225
; %bb.226:
	s_or_b32 exec_lo, exec_lo, s5
	v_mov_b32_e32 v7, 0
	ds_read_b128 v[134:137], v7 offset:800
	s_waitcnt lgkmcnt(0)
	v_mul_f64 v[7:8], v[1:2], v[136:137]
	v_mul_f64 v[131:132], v[3:4], v[136:137]
	v_fma_f64 v[3:4], v[3:4], v[134:135], -v[7:8]
	v_fma_f64 v[1:2], v[1:2], v[134:135], v[131:132]
	buffer_store_dword v4, off, s[0:3], 0 offset:820
	buffer_store_dword v3, off, s[0:3], 0 offset:816
	;; [unrolled: 1-line block ×4, first 2 shown]
.LBB124_227:
	s_or_b32 exec_lo, exec_lo, s4
	v_mov_b32_e32 v4, s23
	s_waitcnt_vscnt null, 0x0
	s_barrier
	buffer_gl0_inv
	s_mov_b32 s4, exec_lo
	s_clause 0x3
	buffer_load_dword v1, v4, s[0:3], 0 offen
	buffer_load_dword v2, v4, s[0:3], 0 offen offset:4
	buffer_load_dword v3, v4, s[0:3], 0 offen offset:8
	;; [unrolled: 1-line block ×3, first 2 shown]
	s_waitcnt vmcnt(0)
	ds_write_b128 v5, v[1:4]
	s_waitcnt lgkmcnt(0)
	s_barrier
	buffer_gl0_inv
	v_cmpx_gt_u32_e32 51, v0
	s_cbranch_execz .LBB124_231
; %bb.228:
	v_mov_b32_e32 v1, 0
	v_mov_b32_e32 v3, 0
	v_add_nc_u32_e32 v7, -1, v0
	v_add_nc_u32_e32 v8, 0x3d0, v133
	v_mov_b32_e32 v2, 0
	v_mov_b32_e32 v4, 0
	v_add_nc_u32_e32 v131, 16, v133
	s_mov_b32 s5, 0
	.p2align	6
.LBB124_229:                            ; =>This Inner Loop Header: Depth=1
	s_clause 0x3
	buffer_load_dword v138, v131, s[0:3], 0 offen offset:8
	buffer_load_dword v139, v131, s[0:3], 0 offen offset:12
	buffer_load_dword v140, v131, s[0:3], 0 offen
	buffer_load_dword v141, v131, s[0:3], 0 offen offset:4
	ds_read_b128 v[134:137], v8
	v_add_nc_u32_e32 v7, 1, v7
	v_add_nc_u32_e32 v8, 16, v8
	;; [unrolled: 1-line block ×3, first 2 shown]
	v_cmp_lt_u32_e32 vcc_lo, 49, v7
	s_or_b32 s5, vcc_lo, s5
	s_waitcnt vmcnt(2) lgkmcnt(0)
	v_mul_f64 v[142:143], v[136:137], v[138:139]
	v_mul_f64 v[138:139], v[134:135], v[138:139]
	s_waitcnt vmcnt(0)
	v_fma_f64 v[134:135], v[134:135], v[140:141], -v[142:143]
	v_fma_f64 v[136:137], v[136:137], v[140:141], v[138:139]
	v_add_f64 v[3:4], v[3:4], v[134:135]
	v_add_f64 v[1:2], v[1:2], v[136:137]
	s_andn2_b32 exec_lo, exec_lo, s5
	s_cbranch_execnz .LBB124_229
; %bb.230:
	s_or_b32 exec_lo, exec_lo, s5
	v_mov_b32_e32 v7, 0
	ds_read_b128 v[134:137], v7 offset:816
	s_waitcnt lgkmcnt(0)
	v_mul_f64 v[7:8], v[1:2], v[136:137]
	v_mul_f64 v[131:132], v[3:4], v[136:137]
	v_fma_f64 v[3:4], v[3:4], v[134:135], -v[7:8]
	v_fma_f64 v[1:2], v[1:2], v[134:135], v[131:132]
	buffer_store_dword v4, off, s[0:3], 0 offset:836
	buffer_store_dword v3, off, s[0:3], 0 offset:832
	;; [unrolled: 1-line block ×4, first 2 shown]
.LBB124_231:
	s_or_b32 exec_lo, exec_lo, s4
	v_mov_b32_e32 v4, s22
	s_waitcnt_vscnt null, 0x0
	s_barrier
	buffer_gl0_inv
	s_mov_b32 s4, exec_lo
	s_clause 0x3
	buffer_load_dword v1, v4, s[0:3], 0 offen
	buffer_load_dword v2, v4, s[0:3], 0 offen offset:4
	buffer_load_dword v3, v4, s[0:3], 0 offen offset:8
	;; [unrolled: 1-line block ×3, first 2 shown]
	s_waitcnt vmcnt(0)
	ds_write_b128 v5, v[1:4]
	s_waitcnt lgkmcnt(0)
	s_barrier
	buffer_gl0_inv
	v_cmpx_gt_u32_e32 52, v0
	s_cbranch_execz .LBB124_235
; %bb.232:
	v_mov_b32_e32 v1, 0
	v_mov_b32_e32 v3, 0
	v_add_nc_u32_e32 v7, -1, v0
	v_add_nc_u32_e32 v8, 0x3d0, v133
	v_mov_b32_e32 v2, 0
	v_mov_b32_e32 v4, 0
	v_add_nc_u32_e32 v131, 16, v133
	s_mov_b32 s5, 0
	.p2align	6
.LBB124_233:                            ; =>This Inner Loop Header: Depth=1
	s_clause 0x3
	buffer_load_dword v138, v131, s[0:3], 0 offen offset:8
	buffer_load_dword v139, v131, s[0:3], 0 offen offset:12
	buffer_load_dword v140, v131, s[0:3], 0 offen
	buffer_load_dword v141, v131, s[0:3], 0 offen offset:4
	ds_read_b128 v[134:137], v8
	v_add_nc_u32_e32 v7, 1, v7
	v_add_nc_u32_e32 v8, 16, v8
	;; [unrolled: 1-line block ×3, first 2 shown]
	v_cmp_lt_u32_e32 vcc_lo, 50, v7
	s_or_b32 s5, vcc_lo, s5
	s_waitcnt vmcnt(2) lgkmcnt(0)
	v_mul_f64 v[142:143], v[136:137], v[138:139]
	v_mul_f64 v[138:139], v[134:135], v[138:139]
	s_waitcnt vmcnt(0)
	v_fma_f64 v[134:135], v[134:135], v[140:141], -v[142:143]
	v_fma_f64 v[136:137], v[136:137], v[140:141], v[138:139]
	v_add_f64 v[3:4], v[3:4], v[134:135]
	v_add_f64 v[1:2], v[1:2], v[136:137]
	s_andn2_b32 exec_lo, exec_lo, s5
	s_cbranch_execnz .LBB124_233
; %bb.234:
	s_or_b32 exec_lo, exec_lo, s5
	v_mov_b32_e32 v7, 0
	ds_read_b128 v[134:137], v7 offset:832
	s_waitcnt lgkmcnt(0)
	v_mul_f64 v[7:8], v[1:2], v[136:137]
	v_mul_f64 v[131:132], v[3:4], v[136:137]
	v_fma_f64 v[3:4], v[3:4], v[134:135], -v[7:8]
	v_fma_f64 v[1:2], v[1:2], v[134:135], v[131:132]
	buffer_store_dword v4, off, s[0:3], 0 offset:852
	buffer_store_dword v3, off, s[0:3], 0 offset:848
	;; [unrolled: 1-line block ×4, first 2 shown]
.LBB124_235:
	s_or_b32 exec_lo, exec_lo, s4
	v_mov_b32_e32 v4, s21
	s_waitcnt_vscnt null, 0x0
	s_barrier
	buffer_gl0_inv
	s_mov_b32 s4, exec_lo
	s_clause 0x3
	buffer_load_dword v1, v4, s[0:3], 0 offen
	buffer_load_dword v2, v4, s[0:3], 0 offen offset:4
	buffer_load_dword v3, v4, s[0:3], 0 offen offset:8
	buffer_load_dword v4, v4, s[0:3], 0 offen offset:12
	s_waitcnt vmcnt(0)
	ds_write_b128 v5, v[1:4]
	s_waitcnt lgkmcnt(0)
	s_barrier
	buffer_gl0_inv
	v_cmpx_gt_u32_e32 53, v0
	s_cbranch_execz .LBB124_239
; %bb.236:
	v_mov_b32_e32 v1, 0
	v_mov_b32_e32 v3, 0
	v_add_nc_u32_e32 v7, -1, v0
	v_add_nc_u32_e32 v8, 0x3d0, v133
	v_mov_b32_e32 v2, 0
	v_mov_b32_e32 v4, 0
	v_add_nc_u32_e32 v131, 16, v133
	s_mov_b32 s5, 0
	.p2align	6
.LBB124_237:                            ; =>This Inner Loop Header: Depth=1
	s_clause 0x3
	buffer_load_dword v138, v131, s[0:3], 0 offen offset:8
	buffer_load_dword v139, v131, s[0:3], 0 offen offset:12
	buffer_load_dword v140, v131, s[0:3], 0 offen
	buffer_load_dword v141, v131, s[0:3], 0 offen offset:4
	ds_read_b128 v[134:137], v8
	v_add_nc_u32_e32 v7, 1, v7
	v_add_nc_u32_e32 v8, 16, v8
	;; [unrolled: 1-line block ×3, first 2 shown]
	v_cmp_lt_u32_e32 vcc_lo, 51, v7
	s_or_b32 s5, vcc_lo, s5
	s_waitcnt vmcnt(2) lgkmcnt(0)
	v_mul_f64 v[142:143], v[136:137], v[138:139]
	v_mul_f64 v[138:139], v[134:135], v[138:139]
	s_waitcnt vmcnt(0)
	v_fma_f64 v[134:135], v[134:135], v[140:141], -v[142:143]
	v_fma_f64 v[136:137], v[136:137], v[140:141], v[138:139]
	v_add_f64 v[3:4], v[3:4], v[134:135]
	v_add_f64 v[1:2], v[1:2], v[136:137]
	s_andn2_b32 exec_lo, exec_lo, s5
	s_cbranch_execnz .LBB124_237
; %bb.238:
	s_or_b32 exec_lo, exec_lo, s5
	v_mov_b32_e32 v7, 0
	ds_read_b128 v[134:137], v7 offset:848
	s_waitcnt lgkmcnt(0)
	v_mul_f64 v[7:8], v[1:2], v[136:137]
	v_mul_f64 v[131:132], v[3:4], v[136:137]
	v_fma_f64 v[3:4], v[3:4], v[134:135], -v[7:8]
	v_fma_f64 v[1:2], v[1:2], v[134:135], v[131:132]
	buffer_store_dword v4, off, s[0:3], 0 offset:868
	buffer_store_dword v3, off, s[0:3], 0 offset:864
	;; [unrolled: 1-line block ×4, first 2 shown]
.LBB124_239:
	s_or_b32 exec_lo, exec_lo, s4
	v_mov_b32_e32 v4, s20
	s_waitcnt_vscnt null, 0x0
	s_barrier
	buffer_gl0_inv
	s_mov_b32 s4, exec_lo
	s_clause 0x3
	buffer_load_dword v1, v4, s[0:3], 0 offen
	buffer_load_dword v2, v4, s[0:3], 0 offen offset:4
	buffer_load_dword v3, v4, s[0:3], 0 offen offset:8
	;; [unrolled: 1-line block ×3, first 2 shown]
	s_waitcnt vmcnt(0)
	ds_write_b128 v5, v[1:4]
	s_waitcnt lgkmcnt(0)
	s_barrier
	buffer_gl0_inv
	v_cmpx_gt_u32_e32 54, v0
	s_cbranch_execz .LBB124_243
; %bb.240:
	v_mov_b32_e32 v1, 0
	v_mov_b32_e32 v3, 0
	v_add_nc_u32_e32 v7, -1, v0
	v_add_nc_u32_e32 v8, 0x3d0, v133
	v_mov_b32_e32 v2, 0
	v_mov_b32_e32 v4, 0
	v_add_nc_u32_e32 v131, 16, v133
	s_mov_b32 s5, 0
	.p2align	6
.LBB124_241:                            ; =>This Inner Loop Header: Depth=1
	s_clause 0x3
	buffer_load_dword v138, v131, s[0:3], 0 offen offset:8
	buffer_load_dword v139, v131, s[0:3], 0 offen offset:12
	buffer_load_dword v140, v131, s[0:3], 0 offen
	buffer_load_dword v141, v131, s[0:3], 0 offen offset:4
	ds_read_b128 v[134:137], v8
	v_add_nc_u32_e32 v7, 1, v7
	v_add_nc_u32_e32 v8, 16, v8
	;; [unrolled: 1-line block ×3, first 2 shown]
	v_cmp_lt_u32_e32 vcc_lo, 52, v7
	s_or_b32 s5, vcc_lo, s5
	s_waitcnt vmcnt(2) lgkmcnt(0)
	v_mul_f64 v[142:143], v[136:137], v[138:139]
	v_mul_f64 v[138:139], v[134:135], v[138:139]
	s_waitcnt vmcnt(0)
	v_fma_f64 v[134:135], v[134:135], v[140:141], -v[142:143]
	v_fma_f64 v[136:137], v[136:137], v[140:141], v[138:139]
	v_add_f64 v[3:4], v[3:4], v[134:135]
	v_add_f64 v[1:2], v[1:2], v[136:137]
	s_andn2_b32 exec_lo, exec_lo, s5
	s_cbranch_execnz .LBB124_241
; %bb.242:
	s_or_b32 exec_lo, exec_lo, s5
	v_mov_b32_e32 v7, 0
	ds_read_b128 v[134:137], v7 offset:864
	s_waitcnt lgkmcnt(0)
	v_mul_f64 v[7:8], v[1:2], v[136:137]
	v_mul_f64 v[131:132], v[3:4], v[136:137]
	v_fma_f64 v[3:4], v[3:4], v[134:135], -v[7:8]
	v_fma_f64 v[1:2], v[1:2], v[134:135], v[131:132]
	buffer_store_dword v4, off, s[0:3], 0 offset:884
	buffer_store_dword v3, off, s[0:3], 0 offset:880
	;; [unrolled: 1-line block ×4, first 2 shown]
.LBB124_243:
	s_or_b32 exec_lo, exec_lo, s4
	v_mov_b32_e32 v4, s19
	s_waitcnt_vscnt null, 0x0
	s_barrier
	buffer_gl0_inv
	s_mov_b32 s4, exec_lo
	s_clause 0x3
	buffer_load_dword v1, v4, s[0:3], 0 offen
	buffer_load_dword v2, v4, s[0:3], 0 offen offset:4
	buffer_load_dword v3, v4, s[0:3], 0 offen offset:8
	;; [unrolled: 1-line block ×3, first 2 shown]
	s_waitcnt vmcnt(0)
	ds_write_b128 v5, v[1:4]
	s_waitcnt lgkmcnt(0)
	s_barrier
	buffer_gl0_inv
	v_cmpx_gt_u32_e32 55, v0
	s_cbranch_execz .LBB124_247
; %bb.244:
	v_mov_b32_e32 v1, 0
	v_mov_b32_e32 v3, 0
	v_add_nc_u32_e32 v7, -1, v0
	v_add_nc_u32_e32 v8, 0x3d0, v133
	v_mov_b32_e32 v2, 0
	v_mov_b32_e32 v4, 0
	v_add_nc_u32_e32 v131, 16, v133
	s_mov_b32 s5, 0
	.p2align	6
.LBB124_245:                            ; =>This Inner Loop Header: Depth=1
	s_clause 0x3
	buffer_load_dword v138, v131, s[0:3], 0 offen offset:8
	buffer_load_dword v139, v131, s[0:3], 0 offen offset:12
	buffer_load_dword v140, v131, s[0:3], 0 offen
	buffer_load_dword v141, v131, s[0:3], 0 offen offset:4
	ds_read_b128 v[134:137], v8
	v_add_nc_u32_e32 v7, 1, v7
	v_add_nc_u32_e32 v8, 16, v8
	;; [unrolled: 1-line block ×3, first 2 shown]
	v_cmp_lt_u32_e32 vcc_lo, 53, v7
	s_or_b32 s5, vcc_lo, s5
	s_waitcnt vmcnt(2) lgkmcnt(0)
	v_mul_f64 v[142:143], v[136:137], v[138:139]
	v_mul_f64 v[138:139], v[134:135], v[138:139]
	s_waitcnt vmcnt(0)
	v_fma_f64 v[134:135], v[134:135], v[140:141], -v[142:143]
	v_fma_f64 v[136:137], v[136:137], v[140:141], v[138:139]
	v_add_f64 v[3:4], v[3:4], v[134:135]
	v_add_f64 v[1:2], v[1:2], v[136:137]
	s_andn2_b32 exec_lo, exec_lo, s5
	s_cbranch_execnz .LBB124_245
; %bb.246:
	s_or_b32 exec_lo, exec_lo, s5
	v_mov_b32_e32 v7, 0
	ds_read_b128 v[134:137], v7 offset:880
	s_waitcnt lgkmcnt(0)
	v_mul_f64 v[7:8], v[1:2], v[136:137]
	v_mul_f64 v[131:132], v[3:4], v[136:137]
	v_fma_f64 v[3:4], v[3:4], v[134:135], -v[7:8]
	v_fma_f64 v[1:2], v[1:2], v[134:135], v[131:132]
	buffer_store_dword v4, off, s[0:3], 0 offset:900
	buffer_store_dword v3, off, s[0:3], 0 offset:896
	;; [unrolled: 1-line block ×4, first 2 shown]
.LBB124_247:
	s_or_b32 exec_lo, exec_lo, s4
	v_mov_b32_e32 v4, s18
	s_waitcnt_vscnt null, 0x0
	s_barrier
	buffer_gl0_inv
	s_mov_b32 s4, exec_lo
	s_clause 0x3
	buffer_load_dword v1, v4, s[0:3], 0 offen
	buffer_load_dword v2, v4, s[0:3], 0 offen offset:4
	buffer_load_dword v3, v4, s[0:3], 0 offen offset:8
	;; [unrolled: 1-line block ×3, first 2 shown]
	s_waitcnt vmcnt(0)
	ds_write_b128 v5, v[1:4]
	s_waitcnt lgkmcnt(0)
	s_barrier
	buffer_gl0_inv
	v_cmpx_gt_u32_e32 56, v0
	s_cbranch_execz .LBB124_251
; %bb.248:
	v_mov_b32_e32 v1, 0
	v_mov_b32_e32 v3, 0
	v_add_nc_u32_e32 v7, -1, v0
	v_add_nc_u32_e32 v8, 0x3d0, v133
	v_mov_b32_e32 v2, 0
	v_mov_b32_e32 v4, 0
	v_add_nc_u32_e32 v131, 16, v133
	s_mov_b32 s5, 0
	.p2align	6
.LBB124_249:                            ; =>This Inner Loop Header: Depth=1
	s_clause 0x3
	buffer_load_dword v138, v131, s[0:3], 0 offen offset:8
	buffer_load_dword v139, v131, s[0:3], 0 offen offset:12
	buffer_load_dword v140, v131, s[0:3], 0 offen
	buffer_load_dword v141, v131, s[0:3], 0 offen offset:4
	ds_read_b128 v[134:137], v8
	v_add_nc_u32_e32 v7, 1, v7
	v_add_nc_u32_e32 v8, 16, v8
	;; [unrolled: 1-line block ×3, first 2 shown]
	v_cmp_lt_u32_e32 vcc_lo, 54, v7
	s_or_b32 s5, vcc_lo, s5
	s_waitcnt vmcnt(2) lgkmcnt(0)
	v_mul_f64 v[142:143], v[136:137], v[138:139]
	v_mul_f64 v[138:139], v[134:135], v[138:139]
	s_waitcnt vmcnt(0)
	v_fma_f64 v[134:135], v[134:135], v[140:141], -v[142:143]
	v_fma_f64 v[136:137], v[136:137], v[140:141], v[138:139]
	v_add_f64 v[3:4], v[3:4], v[134:135]
	v_add_f64 v[1:2], v[1:2], v[136:137]
	s_andn2_b32 exec_lo, exec_lo, s5
	s_cbranch_execnz .LBB124_249
; %bb.250:
	s_or_b32 exec_lo, exec_lo, s5
	v_mov_b32_e32 v7, 0
	ds_read_b128 v[134:137], v7 offset:896
	s_waitcnt lgkmcnt(0)
	v_mul_f64 v[7:8], v[1:2], v[136:137]
	v_mul_f64 v[131:132], v[3:4], v[136:137]
	v_fma_f64 v[3:4], v[3:4], v[134:135], -v[7:8]
	v_fma_f64 v[1:2], v[1:2], v[134:135], v[131:132]
	buffer_store_dword v4, off, s[0:3], 0 offset:916
	buffer_store_dword v3, off, s[0:3], 0 offset:912
	;; [unrolled: 1-line block ×4, first 2 shown]
.LBB124_251:
	s_or_b32 exec_lo, exec_lo, s4
	v_mov_b32_e32 v4, s17
	s_waitcnt_vscnt null, 0x0
	s_barrier
	buffer_gl0_inv
	s_mov_b32 s4, exec_lo
	s_clause 0x3
	buffer_load_dword v1, v4, s[0:3], 0 offen
	buffer_load_dword v2, v4, s[0:3], 0 offen offset:4
	buffer_load_dword v3, v4, s[0:3], 0 offen offset:8
	;; [unrolled: 1-line block ×3, first 2 shown]
	s_waitcnt vmcnt(0)
	ds_write_b128 v5, v[1:4]
	s_waitcnt lgkmcnt(0)
	s_barrier
	buffer_gl0_inv
	v_cmpx_gt_u32_e32 57, v0
	s_cbranch_execz .LBB124_255
; %bb.252:
	v_mov_b32_e32 v1, 0
	v_mov_b32_e32 v3, 0
	v_add_nc_u32_e32 v7, -1, v0
	v_add_nc_u32_e32 v8, 0x3d0, v133
	v_mov_b32_e32 v2, 0
	v_mov_b32_e32 v4, 0
	v_add_nc_u32_e32 v131, 16, v133
	s_mov_b32 s5, 0
	.p2align	6
.LBB124_253:                            ; =>This Inner Loop Header: Depth=1
	s_clause 0x3
	buffer_load_dword v138, v131, s[0:3], 0 offen offset:8
	buffer_load_dword v139, v131, s[0:3], 0 offen offset:12
	buffer_load_dword v140, v131, s[0:3], 0 offen
	buffer_load_dword v141, v131, s[0:3], 0 offen offset:4
	ds_read_b128 v[134:137], v8
	v_add_nc_u32_e32 v7, 1, v7
	v_add_nc_u32_e32 v8, 16, v8
	;; [unrolled: 1-line block ×3, first 2 shown]
	v_cmp_lt_u32_e32 vcc_lo, 55, v7
	s_or_b32 s5, vcc_lo, s5
	s_waitcnt vmcnt(2) lgkmcnt(0)
	v_mul_f64 v[142:143], v[136:137], v[138:139]
	v_mul_f64 v[138:139], v[134:135], v[138:139]
	s_waitcnt vmcnt(0)
	v_fma_f64 v[134:135], v[134:135], v[140:141], -v[142:143]
	v_fma_f64 v[136:137], v[136:137], v[140:141], v[138:139]
	v_add_f64 v[3:4], v[3:4], v[134:135]
	v_add_f64 v[1:2], v[1:2], v[136:137]
	s_andn2_b32 exec_lo, exec_lo, s5
	s_cbranch_execnz .LBB124_253
; %bb.254:
	s_or_b32 exec_lo, exec_lo, s5
	v_mov_b32_e32 v7, 0
	ds_read_b128 v[134:137], v7 offset:912
	s_waitcnt lgkmcnt(0)
	v_mul_f64 v[7:8], v[1:2], v[136:137]
	v_mul_f64 v[131:132], v[3:4], v[136:137]
	v_fma_f64 v[3:4], v[3:4], v[134:135], -v[7:8]
	v_fma_f64 v[1:2], v[1:2], v[134:135], v[131:132]
	buffer_store_dword v4, off, s[0:3], 0 offset:932
	buffer_store_dword v3, off, s[0:3], 0 offset:928
	buffer_store_dword v2, off, s[0:3], 0 offset:940
	buffer_store_dword v1, off, s[0:3], 0 offset:936
.LBB124_255:
	s_or_b32 exec_lo, exec_lo, s4
	v_mov_b32_e32 v4, s16
	s_waitcnt_vscnt null, 0x0
	s_barrier
	buffer_gl0_inv
	s_mov_b32 s4, exec_lo
	s_clause 0x3
	buffer_load_dword v1, v4, s[0:3], 0 offen
	buffer_load_dword v2, v4, s[0:3], 0 offen offset:4
	buffer_load_dword v3, v4, s[0:3], 0 offen offset:8
	;; [unrolled: 1-line block ×3, first 2 shown]
	s_waitcnt vmcnt(0)
	ds_write_b128 v5, v[1:4]
	s_waitcnt lgkmcnt(0)
	s_barrier
	buffer_gl0_inv
	v_cmpx_gt_u32_e32 58, v0
	s_cbranch_execz .LBB124_259
; %bb.256:
	v_mov_b32_e32 v1, 0
	v_mov_b32_e32 v3, 0
	v_add_nc_u32_e32 v7, -1, v0
	v_add_nc_u32_e32 v8, 0x3d0, v133
	v_mov_b32_e32 v2, 0
	v_mov_b32_e32 v4, 0
	v_add_nc_u32_e32 v131, 16, v133
	s_mov_b32 s5, 0
	.p2align	6
.LBB124_257:                            ; =>This Inner Loop Header: Depth=1
	s_clause 0x3
	buffer_load_dword v138, v131, s[0:3], 0 offen offset:8
	buffer_load_dword v139, v131, s[0:3], 0 offen offset:12
	buffer_load_dword v140, v131, s[0:3], 0 offen
	buffer_load_dword v141, v131, s[0:3], 0 offen offset:4
	ds_read_b128 v[134:137], v8
	v_add_nc_u32_e32 v7, 1, v7
	v_add_nc_u32_e32 v8, 16, v8
	;; [unrolled: 1-line block ×3, first 2 shown]
	v_cmp_lt_u32_e32 vcc_lo, 56, v7
	s_or_b32 s5, vcc_lo, s5
	s_waitcnt vmcnt(2) lgkmcnt(0)
	v_mul_f64 v[142:143], v[136:137], v[138:139]
	v_mul_f64 v[138:139], v[134:135], v[138:139]
	s_waitcnt vmcnt(0)
	v_fma_f64 v[134:135], v[134:135], v[140:141], -v[142:143]
	v_fma_f64 v[136:137], v[136:137], v[140:141], v[138:139]
	v_add_f64 v[3:4], v[3:4], v[134:135]
	v_add_f64 v[1:2], v[1:2], v[136:137]
	s_andn2_b32 exec_lo, exec_lo, s5
	s_cbranch_execnz .LBB124_257
; %bb.258:
	s_or_b32 exec_lo, exec_lo, s5
	v_mov_b32_e32 v7, 0
	ds_read_b128 v[134:137], v7 offset:928
	s_waitcnt lgkmcnt(0)
	v_mul_f64 v[7:8], v[1:2], v[136:137]
	v_mul_f64 v[131:132], v[3:4], v[136:137]
	v_fma_f64 v[3:4], v[3:4], v[134:135], -v[7:8]
	v_fma_f64 v[1:2], v[1:2], v[134:135], v[131:132]
	buffer_store_dword v4, off, s[0:3], 0 offset:948
	buffer_store_dword v3, off, s[0:3], 0 offset:944
	;; [unrolled: 1-line block ×4, first 2 shown]
.LBB124_259:
	s_or_b32 exec_lo, exec_lo, s4
	v_mov_b32_e32 v4, s15
	s_waitcnt_vscnt null, 0x0
	s_barrier
	buffer_gl0_inv
	s_mov_b32 s4, exec_lo
	s_clause 0x3
	buffer_load_dword v1, v4, s[0:3], 0 offen
	buffer_load_dword v2, v4, s[0:3], 0 offen offset:4
	buffer_load_dword v3, v4, s[0:3], 0 offen offset:8
	;; [unrolled: 1-line block ×3, first 2 shown]
	s_waitcnt vmcnt(0)
	ds_write_b128 v5, v[1:4]
	s_waitcnt lgkmcnt(0)
	s_barrier
	buffer_gl0_inv
	v_cmpx_gt_u32_e32 59, v0
	s_cbranch_execz .LBB124_263
; %bb.260:
	v_mov_b32_e32 v1, 0
	v_mov_b32_e32 v3, 0
	v_add_nc_u32_e32 v7, -1, v0
	v_add_nc_u32_e32 v8, 0x3d0, v133
	v_mov_b32_e32 v2, 0
	v_mov_b32_e32 v4, 0
	v_add_nc_u32_e32 v131, 16, v133
	s_mov_b32 s5, 0
	.p2align	6
.LBB124_261:                            ; =>This Inner Loop Header: Depth=1
	s_clause 0x3
	buffer_load_dword v138, v131, s[0:3], 0 offen offset:8
	buffer_load_dword v139, v131, s[0:3], 0 offen offset:12
	buffer_load_dword v140, v131, s[0:3], 0 offen
	buffer_load_dword v141, v131, s[0:3], 0 offen offset:4
	ds_read_b128 v[134:137], v8
	v_add_nc_u32_e32 v7, 1, v7
	v_add_nc_u32_e32 v8, 16, v8
	;; [unrolled: 1-line block ×3, first 2 shown]
	v_cmp_lt_u32_e32 vcc_lo, 57, v7
	s_or_b32 s5, vcc_lo, s5
	s_waitcnt vmcnt(2) lgkmcnt(0)
	v_mul_f64 v[142:143], v[136:137], v[138:139]
	v_mul_f64 v[138:139], v[134:135], v[138:139]
	s_waitcnt vmcnt(0)
	v_fma_f64 v[134:135], v[134:135], v[140:141], -v[142:143]
	v_fma_f64 v[136:137], v[136:137], v[140:141], v[138:139]
	v_add_f64 v[3:4], v[3:4], v[134:135]
	v_add_f64 v[1:2], v[1:2], v[136:137]
	s_andn2_b32 exec_lo, exec_lo, s5
	s_cbranch_execnz .LBB124_261
; %bb.262:
	s_or_b32 exec_lo, exec_lo, s5
	v_mov_b32_e32 v7, 0
	ds_read_b128 v[134:137], v7 offset:944
	s_waitcnt lgkmcnt(0)
	v_mul_f64 v[7:8], v[1:2], v[136:137]
	v_mul_f64 v[131:132], v[3:4], v[136:137]
	v_fma_f64 v[3:4], v[3:4], v[134:135], -v[7:8]
	v_fma_f64 v[1:2], v[1:2], v[134:135], v[131:132]
	buffer_store_dword v4, off, s[0:3], 0 offset:964
	buffer_store_dword v3, off, s[0:3], 0 offset:960
	;; [unrolled: 1-line block ×4, first 2 shown]
.LBB124_263:
	s_or_b32 exec_lo, exec_lo, s4
	v_mov_b32_e32 v4, s14
	s_waitcnt_vscnt null, 0x0
	s_barrier
	buffer_gl0_inv
	s_mov_b32 s4, exec_lo
	s_clause 0x3
	buffer_load_dword v1, v4, s[0:3], 0 offen
	buffer_load_dword v2, v4, s[0:3], 0 offen offset:4
	buffer_load_dword v3, v4, s[0:3], 0 offen offset:8
	;; [unrolled: 1-line block ×3, first 2 shown]
	s_waitcnt vmcnt(0)
	ds_write_b128 v5, v[1:4]
	s_waitcnt lgkmcnt(0)
	s_barrier
	buffer_gl0_inv
	v_cmpx_ne_u32_e32 60, v0
	s_cbranch_execz .LBB124_267
; %bb.264:
	v_mov_b32_e32 v1, 0
	v_mov_b32_e32 v3, 0
	;; [unrolled: 1-line block ×4, first 2 shown]
	v_add_nc_u32_e32 v7, 16, v133
	s_mov_b32 s5, 0
	.p2align	6
.LBB124_265:                            ; =>This Inner Loop Header: Depth=1
	s_clause 0x3
	buffer_load_dword v135, v7, s[0:3], 0 offen offset:8
	buffer_load_dword v136, v7, s[0:3], 0 offen offset:12
	buffer_load_dword v137, v7, s[0:3], 0 offen
	buffer_load_dword v138, v7, s[0:3], 0 offen offset:4
	ds_read_b128 v[131:134], v5
	v_add_nc_u32_e32 v6, 1, v6
	v_add_nc_u32_e32 v5, 16, v5
	;; [unrolled: 1-line block ×3, first 2 shown]
	v_cmp_lt_u32_e32 vcc_lo, 58, v6
	s_or_b32 s5, vcc_lo, s5
	s_waitcnt vmcnt(2) lgkmcnt(0)
	v_mul_f64 v[139:140], v[133:134], v[135:136]
	v_mul_f64 v[135:136], v[131:132], v[135:136]
	s_waitcnt vmcnt(0)
	v_fma_f64 v[131:132], v[131:132], v[137:138], -v[139:140]
	v_fma_f64 v[133:134], v[133:134], v[137:138], v[135:136]
	v_add_f64 v[3:4], v[3:4], v[131:132]
	v_add_f64 v[1:2], v[1:2], v[133:134]
	s_andn2_b32 exec_lo, exec_lo, s5
	s_cbranch_execnz .LBB124_265
; %bb.266:
	s_or_b32 exec_lo, exec_lo, s5
	v_mov_b32_e32 v5, 0
	ds_read_b128 v[5:8], v5 offset:960
	s_waitcnt lgkmcnt(0)
	v_mul_f64 v[131:132], v[1:2], v[7:8]
	v_mul_f64 v[7:8], v[3:4], v[7:8]
	v_fma_f64 v[3:4], v[3:4], v[5:6], -v[131:132]
	v_fma_f64 v[1:2], v[1:2], v[5:6], v[7:8]
	buffer_store_dword v4, off, s[0:3], 0 offset:980
	buffer_store_dword v3, off, s[0:3], 0 offset:976
	;; [unrolled: 1-line block ×4, first 2 shown]
.LBB124_267:
	s_or_b32 exec_lo, exec_lo, s4
	s_mov_b32 s5, -1
	s_waitcnt_vscnt null, 0x0
	s_barrier
	buffer_gl0_inv
.LBB124_268:
	s_and_b32 vcc_lo, exec_lo, s5
	s_cbranch_vccz .LBB124_270
; %bb.269:
	s_lshl_b64 s[4:5], s[6:7], 2
	v_mov_b32_e32 v1, 0
	s_add_u32 s4, s10, s4
	s_addc_u32 s5, s11, s5
	global_load_dword v1, v1, s[4:5]
	s_waitcnt vmcnt(0)
	v_cmp_ne_u32_e32 vcc_lo, 0, v1
	s_cbranch_vccz .LBB124_271
.LBB124_270:
	s_endpgm
.LBB124_271:
	v_lshl_add_u32 v191, v0, 4, 0x3d0
	s_mov_b32 s4, exec_lo
	v_cmpx_eq_u32_e32 60, v0
	s_cbranch_execz .LBB124_273
; %bb.272:
	v_mov_b32_e32 v4, s15
	v_mov_b32_e32 v5, 0
	s_clause 0x3
	buffer_load_dword v1, v4, s[0:3], 0 offen
	buffer_load_dword v2, v4, s[0:3], 0 offen offset:4
	buffer_load_dword v3, v4, s[0:3], 0 offen offset:8
	;; [unrolled: 1-line block ×3, first 2 shown]
	buffer_store_dword v5, off, s[0:3], 0 offset:960
	buffer_store_dword v5, off, s[0:3], 0 offset:964
	;; [unrolled: 1-line block ×4, first 2 shown]
	s_waitcnt vmcnt(0)
	ds_write_b128 v191, v[1:4]
.LBB124_273:
	s_or_b32 exec_lo, exec_lo, s4
	s_waitcnt lgkmcnt(0)
	s_waitcnt_vscnt null, 0x0
	s_barrier
	buffer_gl0_inv
	s_clause 0x7
	buffer_load_dword v6, off, s[0:3], 0 offset:984
	buffer_load_dword v7, off, s[0:3], 0 offset:988
	;; [unrolled: 1-line block ×8, first 2 shown]
	v_mov_b32_e32 v1, 0
	s_mov_b32 s4, exec_lo
	ds_read_b128 v[2:5], v1 offset:1936
	s_waitcnt vmcnt(6) lgkmcnt(0)
	v_mul_f64 v[137:138], v[4:5], v[6:7]
	v_mul_f64 v[6:7], v[2:3], v[6:7]
	s_waitcnt vmcnt(4)
	v_fma_f64 v[2:3], v[2:3], v[131:132], -v[137:138]
	v_fma_f64 v[4:5], v[4:5], v[131:132], v[6:7]
	v_add_f64 v[2:3], v[2:3], 0
	v_add_f64 v[4:5], v[4:5], 0
	s_waitcnt vmcnt(2)
	v_add_f64 v[2:3], v[133:134], -v[2:3]
	s_waitcnt vmcnt(0)
	v_add_f64 v[4:5], v[135:136], -v[4:5]
	buffer_store_dword v2, off, s[0:3], 0 offset:960
	buffer_store_dword v3, off, s[0:3], 0 offset:964
	;; [unrolled: 1-line block ×4, first 2 shown]
	v_cmpx_lt_u32_e32 58, v0
	s_cbranch_execz .LBB124_275
; %bb.274:
	v_mov_b32_e32 v5, s16
	s_clause 0x3
	buffer_load_dword v2, v5, s[0:3], 0 offen
	buffer_load_dword v3, v5, s[0:3], 0 offen offset:4
	buffer_load_dword v4, v5, s[0:3], 0 offen offset:8
	;; [unrolled: 1-line block ×3, first 2 shown]
	buffer_store_dword v1, off, s[0:3], 0 offset:944
	buffer_store_dword v1, off, s[0:3], 0 offset:948
	;; [unrolled: 1-line block ×4, first 2 shown]
	s_waitcnt vmcnt(0)
	ds_write_b128 v191, v[2:5]
.LBB124_275:
	s_or_b32 exec_lo, exec_lo, s4
	s_waitcnt lgkmcnt(0)
	s_waitcnt_vscnt null, 0x0
	s_barrier
	buffer_gl0_inv
	s_clause 0xb
	buffer_load_dword v6, off, s[0:3], 0 offset:968
	buffer_load_dword v7, off, s[0:3], 0 offset:972
	;; [unrolled: 1-line block ×12, first 2 shown]
	ds_read_b128 v[2:5], v1 offset:1920
	ds_read_b128 v[131:134], v1 offset:1936
	s_mov_b32 s4, exec_lo
	s_waitcnt vmcnt(10) lgkmcnt(1)
	v_mul_f64 v[145:146], v[4:5], v[6:7]
	v_mul_f64 v[6:7], v[2:3], v[6:7]
	s_waitcnt vmcnt(8) lgkmcnt(0)
	v_mul_f64 v[147:148], v[133:134], v[135:136]
	v_mul_f64 v[135:136], v[131:132], v[135:136]
	s_waitcnt vmcnt(6)
	v_fma_f64 v[1:2], v[2:3], v[137:138], -v[145:146]
	v_fma_f64 v[3:4], v[4:5], v[137:138], v[6:7]
	s_waitcnt vmcnt(4)
	v_fma_f64 v[5:6], v[131:132], v[139:140], -v[147:148]
	v_fma_f64 v[7:8], v[133:134], v[139:140], v[135:136]
	v_add_f64 v[1:2], v[1:2], 0
	v_add_f64 v[3:4], v[3:4], 0
	;; [unrolled: 1-line block ×4, first 2 shown]
	s_waitcnt vmcnt(2)
	v_add_f64 v[1:2], v[141:142], -v[1:2]
	s_waitcnt vmcnt(0)
	v_add_f64 v[3:4], v[143:144], -v[3:4]
	buffer_store_dword v1, off, s[0:3], 0 offset:944
	buffer_store_dword v2, off, s[0:3], 0 offset:948
	buffer_store_dword v3, off, s[0:3], 0 offset:952
	buffer_store_dword v4, off, s[0:3], 0 offset:956
	v_cmpx_lt_u32_e32 57, v0
	s_cbranch_execz .LBB124_277
; %bb.276:
	v_mov_b32_e32 v4, s17
	v_mov_b32_e32 v5, 0
	s_clause 0x3
	buffer_load_dword v1, v4, s[0:3], 0 offen
	buffer_load_dword v2, v4, s[0:3], 0 offen offset:4
	buffer_load_dword v3, v4, s[0:3], 0 offen offset:8
	;; [unrolled: 1-line block ×3, first 2 shown]
	buffer_store_dword v5, off, s[0:3], 0 offset:928
	buffer_store_dword v5, off, s[0:3], 0 offset:932
	;; [unrolled: 1-line block ×4, first 2 shown]
	s_waitcnt vmcnt(0)
	ds_write_b128 v191, v[1:4]
.LBB124_277:
	s_or_b32 exec_lo, exec_lo, s4
	s_waitcnt lgkmcnt(0)
	s_waitcnt_vscnt null, 0x0
	s_barrier
	buffer_gl0_inv
	s_clause 0xf
	buffer_load_dword v6, off, s[0:3], 0 offset:952
	buffer_load_dword v7, off, s[0:3], 0 offset:956
	;; [unrolled: 1-line block ×16, first 2 shown]
	v_mov_b32_e32 v1, 0
	ds_read_b128 v[2:5], v1 offset:1904
	ds_read_b128 v[131:134], v1 offset:1920
	;; [unrolled: 1-line block ×3, first 2 shown]
	s_mov_b32 s4, exec_lo
	s_waitcnt vmcnt(14) lgkmcnt(2)
	v_mul_f64 v[153:154], v[4:5], v[6:7]
	v_mul_f64 v[6:7], v[2:3], v[6:7]
	s_waitcnt vmcnt(12) lgkmcnt(1)
	v_mul_f64 v[155:156], v[133:134], v[139:140]
	v_mul_f64 v[139:140], v[131:132], v[139:140]
	s_waitcnt vmcnt(10)
	v_fma_f64 v[2:3], v[2:3], v[141:142], -v[153:154]
	v_fma_f64 v[4:5], v[4:5], v[141:142], v[6:7]
	s_waitcnt vmcnt(8) lgkmcnt(0)
	v_mul_f64 v[141:142], v[137:138], v[143:144]
	s_waitcnt vmcnt(6)
	v_fma_f64 v[131:132], v[131:132], v[145:146], -v[155:156]
	v_mul_f64 v[6:7], v[135:136], v[143:144]
	v_fma_f64 v[133:134], v[133:134], v[145:146], v[139:140]
	v_add_f64 v[2:3], v[2:3], 0
	v_add_f64 v[4:5], v[4:5], 0
	s_waitcnt vmcnt(4)
	v_fma_f64 v[135:136], v[135:136], v[147:148], -v[141:142]
	v_fma_f64 v[6:7], v[137:138], v[147:148], v[6:7]
	v_add_f64 v[2:3], v[2:3], v[131:132]
	v_add_f64 v[4:5], v[4:5], v[133:134]
	;; [unrolled: 1-line block ×4, first 2 shown]
	s_waitcnt vmcnt(2)
	v_add_f64 v[2:3], v[149:150], -v[2:3]
	s_waitcnt vmcnt(0)
	v_add_f64 v[4:5], v[151:152], -v[4:5]
	buffer_store_dword v2, off, s[0:3], 0 offset:928
	buffer_store_dword v3, off, s[0:3], 0 offset:932
	;; [unrolled: 1-line block ×4, first 2 shown]
	v_cmpx_lt_u32_e32 56, v0
	s_cbranch_execz .LBB124_279
; %bb.278:
	v_mov_b32_e32 v5, s18
	s_clause 0x3
	buffer_load_dword v2, v5, s[0:3], 0 offen
	buffer_load_dword v3, v5, s[0:3], 0 offen offset:4
	buffer_load_dword v4, v5, s[0:3], 0 offen offset:8
	;; [unrolled: 1-line block ×3, first 2 shown]
	buffer_store_dword v1, off, s[0:3], 0 offset:912
	buffer_store_dword v1, off, s[0:3], 0 offset:916
	;; [unrolled: 1-line block ×4, first 2 shown]
	s_waitcnt vmcnt(0)
	ds_write_b128 v191, v[2:5]
.LBB124_279:
	s_or_b32 exec_lo, exec_lo, s4
	s_waitcnt lgkmcnt(0)
	s_waitcnt_vscnt null, 0x0
	s_barrier
	buffer_gl0_inv
	s_clause 0x13
	buffer_load_dword v6, off, s[0:3], 0 offset:936
	buffer_load_dword v7, off, s[0:3], 0 offset:940
	buffer_load_dword v139, off, s[0:3], 0 offset:952
	buffer_load_dword v140, off, s[0:3], 0 offset:956
	buffer_load_dword v141, off, s[0:3], 0 offset:928
	buffer_load_dword v142, off, s[0:3], 0 offset:932
	buffer_load_dword v143, off, s[0:3], 0 offset:968
	buffer_load_dword v144, off, s[0:3], 0 offset:972
	buffer_load_dword v145, off, s[0:3], 0 offset:944
	buffer_load_dword v146, off, s[0:3], 0 offset:948
	buffer_load_dword v148, off, s[0:3], 0 offset:988
	buffer_load_dword v147, off, s[0:3], 0 offset:984
	buffer_load_dword v149, off, s[0:3], 0 offset:960
	buffer_load_dword v150, off, s[0:3], 0 offset:964
	buffer_load_dword v152, off, s[0:3], 0 offset:980
	buffer_load_dword v151, off, s[0:3], 0 offset:976
	buffer_load_dword v153, off, s[0:3], 0 offset:912
	buffer_load_dword v154, off, s[0:3], 0 offset:916
	buffer_load_dword v155, off, s[0:3], 0 offset:920
	buffer_load_dword v156, off, s[0:3], 0 offset:924
	ds_read_b128 v[2:5], v1 offset:1888
	ds_read_b128 v[131:134], v1 offset:1904
	;; [unrolled: 1-line block ×3, first 2 shown]
	s_mov_b32 s4, exec_lo
	s_waitcnt vmcnt(18) lgkmcnt(2)
	v_mul_f64 v[157:158], v[4:5], v[6:7]
	v_mul_f64 v[6:7], v[2:3], v[6:7]
	s_waitcnt vmcnt(16) lgkmcnt(1)
	v_mul_f64 v[159:160], v[133:134], v[139:140]
	v_mul_f64 v[139:140], v[131:132], v[139:140]
	s_waitcnt vmcnt(14)
	v_fma_f64 v[157:158], v[2:3], v[141:142], -v[157:158]
	v_fma_f64 v[5:6], v[4:5], v[141:142], v[6:7]
	s_waitcnt vmcnt(12) lgkmcnt(0)
	v_mul_f64 v[7:8], v[135:136], v[143:144]
	v_mul_f64 v[141:142], v[137:138], v[143:144]
	s_waitcnt vmcnt(10)
	v_fma_f64 v[131:132], v[131:132], v[145:146], -v[159:160]
	ds_read_b128 v[1:4], v1 offset:1936
	v_fma_f64 v[133:134], v[133:134], v[145:146], v[139:140]
	v_add_f64 v[143:144], v[157:158], 0
	v_add_f64 v[5:6], v[5:6], 0
	s_waitcnt vmcnt(6)
	v_fma_f64 v[7:8], v[137:138], v[149:150], v[7:8]
	s_waitcnt lgkmcnt(0)
	v_mul_f64 v[145:146], v[3:4], v[147:148]
	v_fma_f64 v[135:136], v[135:136], v[149:150], -v[141:142]
	v_mul_f64 v[139:140], v[1:2], v[147:148]
	v_add_f64 v[131:132], v[143:144], v[131:132]
	v_add_f64 v[5:6], v[5:6], v[133:134]
	s_waitcnt vmcnt(4)
	v_fma_f64 v[1:2], v[1:2], v[151:152], -v[145:146]
	v_fma_f64 v[3:4], v[3:4], v[151:152], v[139:140]
	v_add_f64 v[131:132], v[131:132], v[135:136]
	v_add_f64 v[5:6], v[5:6], v[7:8]
	;; [unrolled: 1-line block ×4, first 2 shown]
	s_waitcnt vmcnt(2)
	v_add_f64 v[1:2], v[153:154], -v[1:2]
	s_waitcnt vmcnt(0)
	v_add_f64 v[3:4], v[155:156], -v[3:4]
	buffer_store_dword v1, off, s[0:3], 0 offset:912
	buffer_store_dword v2, off, s[0:3], 0 offset:916
	;; [unrolled: 1-line block ×4, first 2 shown]
	v_cmpx_lt_u32_e32 55, v0
	s_cbranch_execz .LBB124_281
; %bb.280:
	v_mov_b32_e32 v4, s19
	v_mov_b32_e32 v5, 0
	s_clause 0x3
	buffer_load_dword v1, v4, s[0:3], 0 offen
	buffer_load_dword v2, v4, s[0:3], 0 offen offset:4
	buffer_load_dword v3, v4, s[0:3], 0 offen offset:8
	;; [unrolled: 1-line block ×3, first 2 shown]
	buffer_store_dword v5, off, s[0:3], 0 offset:896
	buffer_store_dword v5, off, s[0:3], 0 offset:900
	;; [unrolled: 1-line block ×4, first 2 shown]
	s_waitcnt vmcnt(0)
	ds_write_b128 v191, v[1:4]
.LBB124_281:
	s_or_b32 exec_lo, exec_lo, s4
	s_waitcnt lgkmcnt(0)
	s_waitcnt_vscnt null, 0x0
	s_barrier
	buffer_gl0_inv
	s_clause 0x17
	buffer_load_dword v6, off, s[0:3], 0 offset:920
	buffer_load_dword v7, off, s[0:3], 0 offset:924
	;; [unrolled: 1-line block ×24, first 2 shown]
	v_mov_b32_e32 v1, 0
	ds_read_b128 v[2:5], v1 offset:1872
	ds_read_b128 v[131:134], v1 offset:1888
	;; [unrolled: 1-line block ×3, first 2 shown]
	s_mov_b32 s4, exec_lo
	s_waitcnt vmcnt(22) lgkmcnt(2)
	v_mul_f64 v[161:162], v[4:5], v[6:7]
	v_mul_f64 v[6:7], v[2:3], v[6:7]
	s_waitcnt vmcnt(20) lgkmcnt(1)
	v_mul_f64 v[163:164], v[133:134], v[139:140]
	v_mul_f64 v[139:140], v[131:132], v[139:140]
	s_waitcnt vmcnt(18)
	v_fma_f64 v[161:162], v[2:3], v[141:142], -v[161:162]
	v_fma_f64 v[6:7], v[4:5], v[141:142], v[6:7]
	ds_read_b128 v[2:5], v1 offset:1920
	s_waitcnt vmcnt(16) lgkmcnt(1)
	v_mul_f64 v[141:142], v[135:136], v[143:144]
	v_mul_f64 v[143:144], v[137:138], v[143:144]
	s_waitcnt vmcnt(14)
	v_fma_f64 v[163:164], v[131:132], v[145:146], -v[163:164]
	v_fma_f64 v[139:140], v[133:134], v[145:146], v[139:140]
	ds_read_b128 v[131:134], v1 offset:1936
	s_waitcnt vmcnt(10) lgkmcnt(1)
	v_mul_f64 v[145:146], v[2:3], v[147:148]
	v_add_f64 v[161:162], v[161:162], 0
	v_add_f64 v[6:7], v[6:7], 0
	v_mul_f64 v[147:148], v[4:5], v[147:148]
	s_waitcnt vmcnt(8)
	v_fma_f64 v[135:136], v[135:136], v[153:154], -v[143:144]
	v_fma_f64 v[137:138], v[137:138], v[153:154], v[141:142]
	s_waitcnt vmcnt(7) lgkmcnt(0)
	v_mul_f64 v[141:142], v[133:134], v[149:150]
	s_waitcnt vmcnt(5)
	v_fma_f64 v[4:5], v[4:5], v[155:156], v[145:146]
	v_add_f64 v[143:144], v[161:162], v[163:164]
	v_add_f64 v[6:7], v[6:7], v[139:140]
	v_fma_f64 v[2:3], v[2:3], v[155:156], -v[147:148]
	v_mul_f64 v[139:140], v[131:132], v[149:150]
	s_waitcnt vmcnt(4)
	v_fma_f64 v[131:132], v[131:132], v[151:152], -v[141:142]
	v_add_f64 v[135:136], v[143:144], v[135:136]
	v_add_f64 v[6:7], v[6:7], v[137:138]
	v_fma_f64 v[133:134], v[133:134], v[151:152], v[139:140]
	v_add_f64 v[2:3], v[135:136], v[2:3]
	v_add_f64 v[4:5], v[6:7], v[4:5]
	;; [unrolled: 1-line block ×4, first 2 shown]
	s_waitcnt vmcnt(2)
	v_add_f64 v[2:3], v[157:158], -v[2:3]
	s_waitcnt vmcnt(0)
	v_add_f64 v[4:5], v[159:160], -v[4:5]
	buffer_store_dword v3, off, s[0:3], 0 offset:900
	buffer_store_dword v2, off, s[0:3], 0 offset:896
	;; [unrolled: 1-line block ×4, first 2 shown]
	v_cmpx_lt_u32_e32 54, v0
	s_cbranch_execz .LBB124_283
; %bb.282:
	v_mov_b32_e32 v5, s20
	s_clause 0x3
	buffer_load_dword v2, v5, s[0:3], 0 offen
	buffer_load_dword v3, v5, s[0:3], 0 offen offset:4
	buffer_load_dword v4, v5, s[0:3], 0 offen offset:8
	;; [unrolled: 1-line block ×3, first 2 shown]
	buffer_store_dword v1, off, s[0:3], 0 offset:880
	buffer_store_dword v1, off, s[0:3], 0 offset:884
	;; [unrolled: 1-line block ×4, first 2 shown]
	s_waitcnt vmcnt(0)
	ds_write_b128 v191, v[2:5]
.LBB124_283:
	s_or_b32 exec_lo, exec_lo, s4
	s_waitcnt lgkmcnt(0)
	s_waitcnt_vscnt null, 0x0
	s_barrier
	buffer_gl0_inv
	s_clause 0x1b
	buffer_load_dword v6, off, s[0:3], 0 offset:904
	buffer_load_dword v7, off, s[0:3], 0 offset:908
	;; [unrolled: 1-line block ×28, first 2 shown]
	ds_read_b128 v[2:5], v1 offset:1856
	ds_read_b128 v[131:134], v1 offset:1872
	;; [unrolled: 1-line block ×3, first 2 shown]
	s_mov_b32 s4, exec_lo
	s_waitcnt vmcnt(26) lgkmcnt(2)
	v_mul_f64 v[165:166], v[4:5], v[6:7]
	v_mul_f64 v[6:7], v[2:3], v[6:7]
	s_waitcnt vmcnt(24) lgkmcnt(1)
	v_mul_f64 v[167:168], v[133:134], v[139:140]
	v_mul_f64 v[139:140], v[131:132], v[139:140]
	s_waitcnt vmcnt(22)
	v_fma_f64 v[165:166], v[2:3], v[141:142], -v[165:166]
	v_fma_f64 v[6:7], v[4:5], v[141:142], v[6:7]
	ds_read_b128 v[2:5], v1 offset:1904
	s_waitcnt vmcnt(20) lgkmcnt(1)
	v_mul_f64 v[141:142], v[135:136], v[143:144]
	v_mul_f64 v[143:144], v[137:138], v[143:144]
	s_waitcnt vmcnt(18)
	v_fma_f64 v[167:168], v[131:132], v[145:146], -v[167:168]
	v_fma_f64 v[139:140], v[133:134], v[145:146], v[139:140]
	ds_read_b128 v[131:134], v1 offset:1920
	s_waitcnt vmcnt(14) lgkmcnt(1)
	v_mul_f64 v[145:146], v[2:3], v[147:148]
	v_add_f64 v[165:166], v[165:166], 0
	v_add_f64 v[6:7], v[6:7], 0
	v_mul_f64 v[147:148], v[4:5], v[147:148]
	s_waitcnt vmcnt(12)
	v_fma_f64 v[143:144], v[135:136], v[153:154], -v[143:144]
	v_fma_f64 v[141:142], v[137:138], v[153:154], v[141:142]
	ds_read_b128 v[135:138], v1 offset:1936
	v_add_f64 v[165:166], v[165:166], v[167:168]
	v_add_f64 v[6:7], v[6:7], v[139:140]
	s_waitcnt vmcnt(11) lgkmcnt(1)
	v_mul_f64 v[139:140], v[131:132], v[149:150]
	v_mul_f64 v[149:150], v[133:134], v[149:150]
	s_waitcnt vmcnt(9)
	v_fma_f64 v[1:2], v[2:3], v[155:156], -v[147:148]
	v_fma_f64 v[3:4], v[4:5], v[155:156], v[145:146]
	v_add_f64 v[143:144], v[165:166], v[143:144]
	v_add_f64 v[5:6], v[6:7], v[141:142]
	s_waitcnt vmcnt(7) lgkmcnt(0)
	v_mul_f64 v[141:142], v[137:138], v[157:158]
	s_waitcnt vmcnt(6)
	v_fma_f64 v[131:132], v[131:132], v[151:152], -v[149:150]
	v_mul_f64 v[7:8], v[135:136], v[157:158]
	v_fma_f64 v[133:134], v[133:134], v[151:152], v[139:140]
	v_add_f64 v[1:2], v[143:144], v[1:2]
	v_add_f64 v[3:4], v[5:6], v[3:4]
	s_waitcnt vmcnt(4)
	v_fma_f64 v[5:6], v[135:136], v[159:160], -v[141:142]
	v_fma_f64 v[7:8], v[137:138], v[159:160], v[7:8]
	v_add_f64 v[1:2], v[1:2], v[131:132]
	v_add_f64 v[3:4], v[3:4], v[133:134]
	;; [unrolled: 1-line block ×4, first 2 shown]
	s_waitcnt vmcnt(2)
	v_add_f64 v[1:2], v[161:162], -v[1:2]
	s_waitcnt vmcnt(0)
	v_add_f64 v[3:4], v[163:164], -v[3:4]
	buffer_store_dword v2, off, s[0:3], 0 offset:884
	buffer_store_dword v1, off, s[0:3], 0 offset:880
	;; [unrolled: 1-line block ×4, first 2 shown]
	v_cmpx_lt_u32_e32 53, v0
	s_cbranch_execz .LBB124_285
; %bb.284:
	v_mov_b32_e32 v4, s21
	v_mov_b32_e32 v5, 0
	s_clause 0x3
	buffer_load_dword v1, v4, s[0:3], 0 offen
	buffer_load_dword v2, v4, s[0:3], 0 offen offset:4
	buffer_load_dword v3, v4, s[0:3], 0 offen offset:8
	buffer_load_dword v4, v4, s[0:3], 0 offen offset:12
	buffer_store_dword v5, off, s[0:3], 0 offset:864
	buffer_store_dword v5, off, s[0:3], 0 offset:868
	;; [unrolled: 1-line block ×4, first 2 shown]
	s_waitcnt vmcnt(0)
	ds_write_b128 v191, v[1:4]
.LBB124_285:
	s_or_b32 exec_lo, exec_lo, s4
	s_waitcnt lgkmcnt(0)
	s_waitcnt_vscnt null, 0x0
	s_barrier
	buffer_gl0_inv
	s_clause 0x1f
	buffer_load_dword v6, off, s[0:3], 0 offset:888
	buffer_load_dword v7, off, s[0:3], 0 offset:892
	;; [unrolled: 1-line block ×32, first 2 shown]
	v_mov_b32_e32 v1, 0
	ds_read_b128 v[2:5], v1 offset:1840
	ds_read_b128 v[131:134], v1 offset:1856
	;; [unrolled: 1-line block ×3, first 2 shown]
	s_mov_b32 s4, exec_lo
	s_waitcnt vmcnt(30) lgkmcnt(2)
	v_mul_f64 v[169:170], v[4:5], v[6:7]
	v_mul_f64 v[6:7], v[2:3], v[6:7]
	s_waitcnt vmcnt(28) lgkmcnt(1)
	v_mul_f64 v[171:172], v[133:134], v[139:140]
	v_mul_f64 v[139:140], v[131:132], v[139:140]
	s_waitcnt vmcnt(26)
	v_fma_f64 v[169:170], v[2:3], v[141:142], -v[169:170]
	v_fma_f64 v[6:7], v[4:5], v[141:142], v[6:7]
	ds_read_b128 v[2:5], v1 offset:1888
	s_waitcnt vmcnt(24) lgkmcnt(1)
	v_mul_f64 v[141:142], v[135:136], v[143:144]
	v_mul_f64 v[143:144], v[137:138], v[143:144]
	s_waitcnt vmcnt(22)
	v_fma_f64 v[171:172], v[131:132], v[145:146], -v[171:172]
	v_fma_f64 v[139:140], v[133:134], v[145:146], v[139:140]
	ds_read_b128 v[131:134], v1 offset:1904
	s_waitcnt vmcnt(18) lgkmcnt(1)
	v_mul_f64 v[145:146], v[2:3], v[147:148]
	v_add_f64 v[169:170], v[169:170], 0
	v_add_f64 v[6:7], v[6:7], 0
	v_mul_f64 v[147:148], v[4:5], v[147:148]
	s_waitcnt vmcnt(16)
	v_fma_f64 v[143:144], v[135:136], v[153:154], -v[143:144]
	v_fma_f64 v[141:142], v[137:138], v[153:154], v[141:142]
	ds_read_b128 v[135:138], v1 offset:1920
	s_waitcnt vmcnt(13)
	v_fma_f64 v[145:146], v[4:5], v[155:156], v[145:146]
	v_add_f64 v[169:170], v[169:170], v[171:172]
	v_add_f64 v[6:7], v[6:7], v[139:140]
	s_waitcnt lgkmcnt(1)
	v_mul_f64 v[139:140], v[131:132], v[149:150]
	v_mul_f64 v[149:150], v[133:134], v[149:150]
	v_fma_f64 v[147:148], v[2:3], v[155:156], -v[147:148]
	s_waitcnt vmcnt(9) lgkmcnt(0)
	v_mul_f64 v[153:154], v[137:138], v[157:158]
	ds_read_b128 v[2:5], v1 offset:1936
	v_add_f64 v[143:144], v[169:170], v[143:144]
	v_add_f64 v[6:7], v[6:7], v[141:142]
	v_mul_f64 v[141:142], v[135:136], v[157:158]
	s_waitcnt vmcnt(8)
	v_fma_f64 v[131:132], v[131:132], v[151:152], -v[149:150]
	v_fma_f64 v[133:134], v[133:134], v[151:152], v[139:140]
	s_waitcnt vmcnt(5)
	v_fma_f64 v[135:136], v[135:136], v[163:164], -v[153:154]
	s_waitcnt lgkmcnt(0)
	v_mul_f64 v[139:140], v[2:3], v[159:160]
	v_add_f64 v[143:144], v[143:144], v[147:148]
	v_add_f64 v[6:7], v[6:7], v[145:146]
	v_mul_f64 v[145:146], v[4:5], v[159:160]
	v_fma_f64 v[137:138], v[137:138], v[163:164], v[141:142]
	s_waitcnt vmcnt(4)
	v_fma_f64 v[4:5], v[4:5], v[161:162], v[139:140]
	v_add_f64 v[131:132], v[143:144], v[131:132]
	v_add_f64 v[6:7], v[6:7], v[133:134]
	v_fma_f64 v[2:3], v[2:3], v[161:162], -v[145:146]
	v_add_f64 v[131:132], v[131:132], v[135:136]
	v_add_f64 v[6:7], v[6:7], v[137:138]
	;; [unrolled: 1-line block ×4, first 2 shown]
	s_waitcnt vmcnt(2)
	v_add_f64 v[2:3], v[165:166], -v[2:3]
	s_waitcnt vmcnt(0)
	v_add_f64 v[4:5], v[167:168], -v[4:5]
	buffer_store_dword v3, off, s[0:3], 0 offset:868
	buffer_store_dword v2, off, s[0:3], 0 offset:864
	;; [unrolled: 1-line block ×4, first 2 shown]
	v_cmpx_lt_u32_e32 52, v0
	s_cbranch_execz .LBB124_287
; %bb.286:
	v_mov_b32_e32 v5, s22
	s_clause 0x3
	buffer_load_dword v2, v5, s[0:3], 0 offen
	buffer_load_dword v3, v5, s[0:3], 0 offen offset:4
	buffer_load_dword v4, v5, s[0:3], 0 offen offset:8
	;; [unrolled: 1-line block ×3, first 2 shown]
	buffer_store_dword v1, off, s[0:3], 0 offset:848
	buffer_store_dword v1, off, s[0:3], 0 offset:852
	;; [unrolled: 1-line block ×4, first 2 shown]
	s_waitcnt vmcnt(0)
	ds_write_b128 v191, v[2:5]
.LBB124_287:
	s_or_b32 exec_lo, exec_lo, s4
	s_waitcnt lgkmcnt(0)
	s_waitcnt_vscnt null, 0x0
	s_barrier
	buffer_gl0_inv
	s_clause 0x23
	buffer_load_dword v6, off, s[0:3], 0 offset:872
	buffer_load_dword v7, off, s[0:3], 0 offset:876
	;; [unrolled: 1-line block ×36, first 2 shown]
	ds_read_b128 v[2:5], v1 offset:1824
	ds_read_b128 v[131:134], v1 offset:1840
	;; [unrolled: 1-line block ×3, first 2 shown]
	s_mov_b32 s4, exec_lo
	s_waitcnt vmcnt(34) lgkmcnt(2)
	v_mul_f64 v[173:174], v[4:5], v[6:7]
	v_mul_f64 v[6:7], v[2:3], v[6:7]
	s_waitcnt vmcnt(32) lgkmcnt(1)
	v_mul_f64 v[175:176], v[133:134], v[139:140]
	v_mul_f64 v[139:140], v[131:132], v[139:140]
	s_waitcnt vmcnt(30)
	v_fma_f64 v[173:174], v[2:3], v[141:142], -v[173:174]
	v_fma_f64 v[6:7], v[4:5], v[141:142], v[6:7]
	ds_read_b128 v[2:5], v1 offset:1872
	s_waitcnt vmcnt(28) lgkmcnt(1)
	v_mul_f64 v[141:142], v[135:136], v[143:144]
	v_mul_f64 v[143:144], v[137:138], v[143:144]
	s_waitcnt vmcnt(26)
	v_fma_f64 v[175:176], v[131:132], v[145:146], -v[175:176]
	v_fma_f64 v[139:140], v[133:134], v[145:146], v[139:140]
	ds_read_b128 v[131:134], v1 offset:1888
	s_waitcnt vmcnt(22) lgkmcnt(1)
	v_mul_f64 v[145:146], v[2:3], v[147:148]
	v_add_f64 v[173:174], v[173:174], 0
	v_add_f64 v[6:7], v[6:7], 0
	v_mul_f64 v[147:148], v[4:5], v[147:148]
	s_waitcnt vmcnt(20)
	v_fma_f64 v[143:144], v[135:136], v[153:154], -v[143:144]
	v_fma_f64 v[141:142], v[137:138], v[153:154], v[141:142]
	ds_read_b128 v[135:138], v1 offset:1904
	s_waitcnt vmcnt(17)
	v_fma_f64 v[145:146], v[4:5], v[155:156], v[145:146]
	v_add_f64 v[173:174], v[173:174], v[175:176]
	v_add_f64 v[6:7], v[6:7], v[139:140]
	s_waitcnt lgkmcnt(1)
	v_mul_f64 v[139:140], v[131:132], v[149:150]
	v_mul_f64 v[149:150], v[133:134], v[149:150]
	v_fma_f64 v[147:148], v[2:3], v[155:156], -v[147:148]
	s_waitcnt vmcnt(13) lgkmcnt(0)
	v_mul_f64 v[153:154], v[137:138], v[157:158]
	ds_read_b128 v[2:5], v1 offset:1920
	v_add_f64 v[143:144], v[173:174], v[143:144]
	v_add_f64 v[6:7], v[6:7], v[141:142]
	v_mul_f64 v[141:142], v[135:136], v[157:158]
	s_waitcnt vmcnt(12)
	v_fma_f64 v[149:150], v[131:132], v[151:152], -v[149:150]
	v_fma_f64 v[139:140], v[133:134], v[151:152], v[139:140]
	ds_read_b128 v[131:134], v1 offset:1936
	s_waitcnt vmcnt(9)
	v_fma_f64 v[135:136], v[135:136], v[163:164], -v[153:154]
	v_add_f64 v[143:144], v[143:144], v[147:148]
	v_add_f64 v[6:7], v[6:7], v[145:146]
	s_waitcnt lgkmcnt(1)
	v_mul_f64 v[147:148], v[4:5], v[159:160]
	v_mul_f64 v[145:146], v[2:3], v[159:160]
	v_fma_f64 v[137:138], v[137:138], v[163:164], v[141:142]
	s_waitcnt vmcnt(7) lgkmcnt(0)
	v_mul_f64 v[141:142], v[133:134], v[165:166]
	v_add_f64 v[143:144], v[143:144], v[149:150]
	v_add_f64 v[6:7], v[6:7], v[139:140]
	s_waitcnt vmcnt(6)
	v_fma_f64 v[1:2], v[2:3], v[161:162], -v[147:148]
	v_mul_f64 v[139:140], v[131:132], v[165:166]
	v_fma_f64 v[3:4], v[4:5], v[161:162], v[145:146]
	v_add_f64 v[135:136], v[143:144], v[135:136]
	v_add_f64 v[5:6], v[6:7], v[137:138]
	s_waitcnt vmcnt(4)
	v_fma_f64 v[7:8], v[131:132], v[167:168], -v[141:142]
	v_fma_f64 v[131:132], v[133:134], v[167:168], v[139:140]
	v_add_f64 v[1:2], v[135:136], v[1:2]
	v_add_f64 v[3:4], v[5:6], v[3:4]
	;; [unrolled: 1-line block ×4, first 2 shown]
	s_waitcnt vmcnt(2)
	v_add_f64 v[1:2], v[169:170], -v[1:2]
	s_waitcnt vmcnt(0)
	v_add_f64 v[3:4], v[171:172], -v[3:4]
	buffer_store_dword v2, off, s[0:3], 0 offset:852
	buffer_store_dword v1, off, s[0:3], 0 offset:848
	;; [unrolled: 1-line block ×4, first 2 shown]
	v_cmpx_lt_u32_e32 51, v0
	s_cbranch_execz .LBB124_289
; %bb.288:
	v_mov_b32_e32 v4, s23
	v_mov_b32_e32 v5, 0
	s_clause 0x3
	buffer_load_dword v1, v4, s[0:3], 0 offen
	buffer_load_dword v2, v4, s[0:3], 0 offen offset:4
	buffer_load_dword v3, v4, s[0:3], 0 offen offset:8
	;; [unrolled: 1-line block ×3, first 2 shown]
	buffer_store_dword v5, off, s[0:3], 0 offset:832
	buffer_store_dword v5, off, s[0:3], 0 offset:836
	;; [unrolled: 1-line block ×4, first 2 shown]
	s_waitcnt vmcnt(0)
	ds_write_b128 v191, v[1:4]
.LBB124_289:
	s_or_b32 exec_lo, exec_lo, s4
	s_waitcnt lgkmcnt(0)
	s_waitcnt_vscnt null, 0x0
	s_barrier
	buffer_gl0_inv
	s_clause 0x27
	buffer_load_dword v6, off, s[0:3], 0 offset:856
	buffer_load_dword v7, off, s[0:3], 0 offset:860
	;; [unrolled: 1-line block ×40, first 2 shown]
	v_mov_b32_e32 v1, 0
	ds_read_b128 v[2:5], v1 offset:1808
	ds_read_b128 v[131:134], v1 offset:1824
	;; [unrolled: 1-line block ×3, first 2 shown]
	s_mov_b32 s4, exec_lo
	s_waitcnt vmcnt(38) lgkmcnt(2)
	v_mul_f64 v[177:178], v[4:5], v[6:7]
	v_mul_f64 v[6:7], v[2:3], v[6:7]
	s_waitcnt vmcnt(36) lgkmcnt(1)
	v_mul_f64 v[179:180], v[133:134], v[139:140]
	v_mul_f64 v[139:140], v[131:132], v[139:140]
	s_waitcnt vmcnt(34)
	v_fma_f64 v[177:178], v[2:3], v[141:142], -v[177:178]
	v_fma_f64 v[6:7], v[4:5], v[141:142], v[6:7]
	ds_read_b128 v[2:5], v1 offset:1856
	s_waitcnt vmcnt(32) lgkmcnt(1)
	v_mul_f64 v[141:142], v[135:136], v[143:144]
	v_mul_f64 v[143:144], v[137:138], v[143:144]
	s_waitcnt vmcnt(30)
	v_fma_f64 v[179:180], v[131:132], v[145:146], -v[179:180]
	v_fma_f64 v[139:140], v[133:134], v[145:146], v[139:140]
	ds_read_b128 v[131:134], v1 offset:1872
	s_waitcnt vmcnt(26) lgkmcnt(1)
	v_mul_f64 v[145:146], v[2:3], v[147:148]
	v_add_f64 v[177:178], v[177:178], 0
	v_add_f64 v[6:7], v[6:7], 0
	v_mul_f64 v[147:148], v[4:5], v[147:148]
	s_waitcnt vmcnt(24)
	v_fma_f64 v[143:144], v[135:136], v[153:154], -v[143:144]
	v_fma_f64 v[141:142], v[137:138], v[153:154], v[141:142]
	ds_read_b128 v[135:138], v1 offset:1888
	s_waitcnt vmcnt(21)
	v_fma_f64 v[145:146], v[4:5], v[155:156], v[145:146]
	v_add_f64 v[177:178], v[177:178], v[179:180]
	v_add_f64 v[6:7], v[6:7], v[139:140]
	s_waitcnt lgkmcnt(1)
	v_mul_f64 v[139:140], v[131:132], v[149:150]
	v_mul_f64 v[149:150], v[133:134], v[149:150]
	v_fma_f64 v[147:148], v[2:3], v[155:156], -v[147:148]
	s_waitcnt vmcnt(17) lgkmcnt(0)
	v_mul_f64 v[153:154], v[137:138], v[157:158]
	ds_read_b128 v[2:5], v1 offset:1904
	v_add_f64 v[143:144], v[177:178], v[143:144]
	v_add_f64 v[6:7], v[6:7], v[141:142]
	v_mul_f64 v[141:142], v[135:136], v[157:158]
	s_waitcnt vmcnt(16)
	v_fma_f64 v[149:150], v[131:132], v[151:152], -v[149:150]
	v_fma_f64 v[139:140], v[133:134], v[151:152], v[139:140]
	ds_read_b128 v[131:134], v1 offset:1920
	s_waitcnt vmcnt(13)
	v_fma_f64 v[151:152], v[135:136], v[163:164], -v[153:154]
	v_add_f64 v[143:144], v[143:144], v[147:148]
	v_add_f64 v[6:7], v[6:7], v[145:146]
	s_waitcnt lgkmcnt(1)
	v_mul_f64 v[147:148], v[4:5], v[159:160]
	v_mul_f64 v[145:146], v[2:3], v[159:160]
	v_fma_f64 v[141:142], v[137:138], v[163:164], v[141:142]
	ds_read_b128 v[135:138], v1 offset:1936
	v_add_f64 v[143:144], v[143:144], v[149:150]
	v_add_f64 v[6:7], v[6:7], v[139:140]
	s_waitcnt vmcnt(9) lgkmcnt(1)
	v_mul_f64 v[149:150], v[133:134], v[165:166]
	s_waitcnt vmcnt(8)
	v_fma_f64 v[2:3], v[2:3], v[161:162], -v[147:148]
	v_mul_f64 v[139:140], v[131:132], v[165:166]
	v_fma_f64 v[4:5], v[4:5], v[161:162], v[145:146]
	s_waitcnt vmcnt(7) lgkmcnt(0)
	v_mul_f64 v[145:146], v[137:138], v[167:168]
	v_add_f64 v[143:144], v[143:144], v[151:152]
	v_add_f64 v[6:7], v[6:7], v[141:142]
	s_waitcnt vmcnt(5)
	v_fma_f64 v[131:132], v[131:132], v[171:172], -v[149:150]
	v_mul_f64 v[141:142], v[135:136], v[167:168]
	v_fma_f64 v[133:134], v[133:134], v[171:172], v[139:140]
	v_add_f64 v[2:3], v[143:144], v[2:3]
	v_add_f64 v[4:5], v[6:7], v[4:5]
	s_waitcnt vmcnt(4)
	v_fma_f64 v[6:7], v[135:136], v[169:170], -v[145:146]
	v_add_f64 v[2:3], v[2:3], v[131:132]
	v_fma_f64 v[131:132], v[137:138], v[169:170], v[141:142]
	v_add_f64 v[4:5], v[4:5], v[133:134]
	v_add_f64 v[2:3], v[2:3], v[6:7]
	;; [unrolled: 1-line block ×3, first 2 shown]
	s_waitcnt vmcnt(2)
	v_add_f64 v[2:3], v[173:174], -v[2:3]
	s_waitcnt vmcnt(0)
	v_add_f64 v[4:5], v[175:176], -v[4:5]
	buffer_store_dword v3, off, s[0:3], 0 offset:836
	buffer_store_dword v2, off, s[0:3], 0 offset:832
	buffer_store_dword v5, off, s[0:3], 0 offset:844
	buffer_store_dword v4, off, s[0:3], 0 offset:840
	v_cmpx_lt_u32_e32 50, v0
	s_cbranch_execz .LBB124_291
; %bb.290:
	v_mov_b32_e32 v5, s24
	s_clause 0x3
	buffer_load_dword v2, v5, s[0:3], 0 offen
	buffer_load_dword v3, v5, s[0:3], 0 offen offset:4
	buffer_load_dword v4, v5, s[0:3], 0 offen offset:8
	;; [unrolled: 1-line block ×3, first 2 shown]
	buffer_store_dword v1, off, s[0:3], 0 offset:816
	buffer_store_dword v1, off, s[0:3], 0 offset:820
	;; [unrolled: 1-line block ×4, first 2 shown]
	s_waitcnt vmcnt(0)
	ds_write_b128 v191, v[2:5]
.LBB124_291:
	s_or_b32 exec_lo, exec_lo, s4
	s_waitcnt lgkmcnt(0)
	s_waitcnt_vscnt null, 0x0
	s_barrier
	buffer_gl0_inv
	s_clause 0x2b
	buffer_load_dword v6, off, s[0:3], 0 offset:840
	buffer_load_dword v7, off, s[0:3], 0 offset:844
	;; [unrolled: 1-line block ×44, first 2 shown]
	ds_read_b128 v[2:5], v1 offset:1792
	ds_read_b128 v[131:134], v1 offset:1808
	;; [unrolled: 1-line block ×3, first 2 shown]
	s_mov_b32 s4, exec_lo
	s_waitcnt vmcnt(42) lgkmcnt(2)
	v_mul_f64 v[181:182], v[4:5], v[6:7]
	v_mul_f64 v[6:7], v[2:3], v[6:7]
	s_waitcnt vmcnt(40) lgkmcnt(1)
	v_mul_f64 v[183:184], v[133:134], v[139:140]
	v_mul_f64 v[139:140], v[131:132], v[139:140]
	s_waitcnt vmcnt(38)
	v_fma_f64 v[181:182], v[2:3], v[141:142], -v[181:182]
	v_fma_f64 v[6:7], v[4:5], v[141:142], v[6:7]
	ds_read_b128 v[2:5], v1 offset:1840
	s_waitcnt vmcnt(36) lgkmcnt(1)
	v_mul_f64 v[141:142], v[135:136], v[143:144]
	v_mul_f64 v[143:144], v[137:138], v[143:144]
	s_waitcnt vmcnt(34)
	v_fma_f64 v[183:184], v[131:132], v[145:146], -v[183:184]
	v_fma_f64 v[139:140], v[133:134], v[145:146], v[139:140]
	ds_read_b128 v[131:134], v1 offset:1856
	s_waitcnt vmcnt(30) lgkmcnt(1)
	v_mul_f64 v[145:146], v[2:3], v[147:148]
	v_add_f64 v[181:182], v[181:182], 0
	v_add_f64 v[6:7], v[6:7], 0
	v_mul_f64 v[147:148], v[4:5], v[147:148]
	s_waitcnt vmcnt(28)
	v_fma_f64 v[143:144], v[135:136], v[153:154], -v[143:144]
	v_fma_f64 v[141:142], v[137:138], v[153:154], v[141:142]
	ds_read_b128 v[135:138], v1 offset:1872
	s_waitcnt vmcnt(25)
	v_fma_f64 v[145:146], v[4:5], v[155:156], v[145:146]
	v_add_f64 v[181:182], v[181:182], v[183:184]
	v_add_f64 v[6:7], v[6:7], v[139:140]
	s_waitcnt lgkmcnt(1)
	v_mul_f64 v[139:140], v[131:132], v[149:150]
	v_mul_f64 v[149:150], v[133:134], v[149:150]
	v_fma_f64 v[147:148], v[2:3], v[155:156], -v[147:148]
	s_waitcnt vmcnt(21) lgkmcnt(0)
	v_mul_f64 v[153:154], v[137:138], v[157:158]
	ds_read_b128 v[2:5], v1 offset:1888
	v_add_f64 v[143:144], v[181:182], v[143:144]
	v_add_f64 v[6:7], v[6:7], v[141:142]
	v_mul_f64 v[141:142], v[135:136], v[157:158]
	s_waitcnt vmcnt(20)
	v_fma_f64 v[149:150], v[131:132], v[151:152], -v[149:150]
	v_fma_f64 v[139:140], v[133:134], v[151:152], v[139:140]
	ds_read_b128 v[131:134], v1 offset:1904
	s_waitcnt vmcnt(17)
	v_fma_f64 v[151:152], v[135:136], v[163:164], -v[153:154]
	v_add_f64 v[143:144], v[143:144], v[147:148]
	v_add_f64 v[6:7], v[6:7], v[145:146]
	s_waitcnt lgkmcnt(1)
	v_mul_f64 v[147:148], v[4:5], v[159:160]
	v_mul_f64 v[145:146], v[2:3], v[159:160]
	v_fma_f64 v[141:142], v[137:138], v[163:164], v[141:142]
	ds_read_b128 v[135:138], v1 offset:1920
	v_add_f64 v[143:144], v[143:144], v[149:150]
	v_add_f64 v[6:7], v[6:7], v[139:140]
	s_waitcnt vmcnt(13) lgkmcnt(1)
	v_mul_f64 v[149:150], v[133:134], v[165:166]
	s_waitcnt vmcnt(12)
	v_fma_f64 v[147:148], v[2:3], v[161:162], -v[147:148]
	v_mul_f64 v[139:140], v[131:132], v[165:166]
	v_fma_f64 v[145:146], v[4:5], v[161:162], v[145:146]
	ds_read_b128 v[1:4], v1 offset:1936
	v_add_f64 v[143:144], v[143:144], v[151:152]
	v_add_f64 v[5:6], v[6:7], v[141:142]
	s_waitcnt vmcnt(11) lgkmcnt(1)
	v_mul_f64 v[141:142], v[137:138], v[167:168]
	s_waitcnt vmcnt(9)
	v_fma_f64 v[131:132], v[131:132], v[171:172], -v[149:150]
	v_mul_f64 v[7:8], v[135:136], v[167:168]
	v_fma_f64 v[133:134], v[133:134], v[171:172], v[139:140]
	s_waitcnt vmcnt(7) lgkmcnt(0)
	v_mul_f64 v[139:140], v[1:2], v[173:174]
	v_add_f64 v[143:144], v[143:144], v[147:148]
	v_add_f64 v[5:6], v[5:6], v[145:146]
	v_mul_f64 v[145:146], v[3:4], v[173:174]
	s_waitcnt vmcnt(6)
	v_fma_f64 v[135:136], v[135:136], v[169:170], -v[141:142]
	v_fma_f64 v[7:8], v[137:138], v[169:170], v[7:8]
	s_waitcnt vmcnt(4)
	v_fma_f64 v[3:4], v[3:4], v[175:176], v[139:140]
	v_add_f64 v[131:132], v[143:144], v[131:132]
	v_add_f64 v[5:6], v[5:6], v[133:134]
	v_fma_f64 v[1:2], v[1:2], v[175:176], -v[145:146]
	v_add_f64 v[131:132], v[131:132], v[135:136]
	v_add_f64 v[5:6], v[5:6], v[7:8]
	;; [unrolled: 1-line block ×4, first 2 shown]
	s_waitcnt vmcnt(2)
	v_add_f64 v[1:2], v[177:178], -v[1:2]
	s_waitcnt vmcnt(0)
	v_add_f64 v[3:4], v[179:180], -v[3:4]
	buffer_store_dword v2, off, s[0:3], 0 offset:820
	buffer_store_dword v1, off, s[0:3], 0 offset:816
	;; [unrolled: 1-line block ×4, first 2 shown]
	v_cmpx_lt_u32_e32 49, v0
	s_cbranch_execz .LBB124_293
; %bb.292:
	v_mov_b32_e32 v4, s25
	v_mov_b32_e32 v5, 0
	s_clause 0x3
	buffer_load_dword v1, v4, s[0:3], 0 offen
	buffer_load_dword v2, v4, s[0:3], 0 offen offset:4
	buffer_load_dword v3, v4, s[0:3], 0 offen offset:8
	;; [unrolled: 1-line block ×3, first 2 shown]
	buffer_store_dword v5, off, s[0:3], 0 offset:800
	buffer_store_dword v5, off, s[0:3], 0 offset:804
	buffer_store_dword v5, off, s[0:3], 0 offset:808
	buffer_store_dword v5, off, s[0:3], 0 offset:812
	s_waitcnt vmcnt(0)
	ds_write_b128 v191, v[1:4]
.LBB124_293:
	s_or_b32 exec_lo, exec_lo, s4
	s_waitcnt lgkmcnt(0)
	s_waitcnt_vscnt null, 0x0
	s_barrier
	buffer_gl0_inv
	s_clause 0x2f
	buffer_load_dword v6, off, s[0:3], 0 offset:824
	buffer_load_dword v7, off, s[0:3], 0 offset:828
	;; [unrolled: 1-line block ×48, first 2 shown]
	v_mov_b32_e32 v1, 0
	ds_read_b128 v[2:5], v1 offset:1776
	ds_read_b128 v[131:134], v1 offset:1792
	;; [unrolled: 1-line block ×3, first 2 shown]
	s_mov_b32 s4, exec_lo
	s_waitcnt vmcnt(46) lgkmcnt(2)
	v_mul_f64 v[185:186], v[4:5], v[6:7]
	v_mul_f64 v[6:7], v[2:3], v[6:7]
	s_waitcnt vmcnt(44) lgkmcnt(1)
	v_mul_f64 v[187:188], v[133:134], v[139:140]
	v_mul_f64 v[139:140], v[131:132], v[139:140]
	s_waitcnt vmcnt(42)
	v_fma_f64 v[185:186], v[2:3], v[141:142], -v[185:186]
	v_fma_f64 v[6:7], v[4:5], v[141:142], v[6:7]
	ds_read_b128 v[2:5], v1 offset:1824
	s_waitcnt vmcnt(40) lgkmcnt(1)
	v_mul_f64 v[141:142], v[135:136], v[143:144]
	v_mul_f64 v[143:144], v[137:138], v[143:144]
	s_waitcnt vmcnt(38)
	v_fma_f64 v[187:188], v[131:132], v[145:146], -v[187:188]
	v_fma_f64 v[139:140], v[133:134], v[145:146], v[139:140]
	ds_read_b128 v[131:134], v1 offset:1840
	s_waitcnt vmcnt(34) lgkmcnt(1)
	v_mul_f64 v[145:146], v[2:3], v[147:148]
	v_add_f64 v[185:186], v[185:186], 0
	v_add_f64 v[6:7], v[6:7], 0
	v_mul_f64 v[147:148], v[4:5], v[147:148]
	s_waitcnt vmcnt(32)
	v_fma_f64 v[143:144], v[135:136], v[153:154], -v[143:144]
	v_fma_f64 v[141:142], v[137:138], v[153:154], v[141:142]
	ds_read_b128 v[135:138], v1 offset:1856
	s_waitcnt vmcnt(29)
	v_fma_f64 v[145:146], v[4:5], v[155:156], v[145:146]
	v_add_f64 v[185:186], v[185:186], v[187:188]
	v_add_f64 v[6:7], v[6:7], v[139:140]
	s_waitcnt lgkmcnt(1)
	v_mul_f64 v[139:140], v[131:132], v[149:150]
	v_mul_f64 v[149:150], v[133:134], v[149:150]
	v_fma_f64 v[147:148], v[2:3], v[155:156], -v[147:148]
	s_waitcnt vmcnt(25) lgkmcnt(0)
	v_mul_f64 v[153:154], v[137:138], v[157:158]
	ds_read_b128 v[2:5], v1 offset:1872
	v_add_f64 v[143:144], v[185:186], v[143:144]
	v_add_f64 v[6:7], v[6:7], v[141:142]
	v_mul_f64 v[141:142], v[135:136], v[157:158]
	s_waitcnt vmcnt(24)
	v_fma_f64 v[149:150], v[131:132], v[151:152], -v[149:150]
	v_fma_f64 v[139:140], v[133:134], v[151:152], v[139:140]
	ds_read_b128 v[131:134], v1 offset:1888
	s_waitcnt vmcnt(21)
	v_fma_f64 v[151:152], v[135:136], v[163:164], -v[153:154]
	v_add_f64 v[143:144], v[143:144], v[147:148]
	v_add_f64 v[6:7], v[6:7], v[145:146]
	s_waitcnt lgkmcnt(1)
	v_mul_f64 v[147:148], v[4:5], v[159:160]
	v_mul_f64 v[145:146], v[2:3], v[159:160]
	v_fma_f64 v[141:142], v[137:138], v[163:164], v[141:142]
	ds_read_b128 v[135:138], v1 offset:1904
	v_add_f64 v[143:144], v[143:144], v[149:150]
	v_add_f64 v[6:7], v[6:7], v[139:140]
	s_waitcnt vmcnt(17) lgkmcnt(1)
	v_mul_f64 v[149:150], v[133:134], v[165:166]
	s_waitcnt vmcnt(16)
	v_fma_f64 v[147:148], v[2:3], v[161:162], -v[147:148]
	v_mul_f64 v[139:140], v[131:132], v[165:166]
	v_fma_f64 v[145:146], v[4:5], v[161:162], v[145:146]
	ds_read_b128 v[2:5], v1 offset:1920
	v_add_f64 v[143:144], v[143:144], v[151:152]
	v_add_f64 v[6:7], v[6:7], v[141:142]
	s_waitcnt vmcnt(15) lgkmcnt(1)
	v_mul_f64 v[151:152], v[137:138], v[167:168]
	s_waitcnt vmcnt(13)
	v_fma_f64 v[149:150], v[131:132], v[171:172], -v[149:150]
	;; [unrolled: 9-line block ×3, first 2 shown]
	v_mul_f64 v[145:146], v[2:3], v[173:174]
	v_fma_f64 v[137:138], v[137:138], v[169:170], v[141:142]
	s_waitcnt vmcnt(7) lgkmcnt(0)
	v_mul_f64 v[141:142], v[133:134], v[175:176]
	v_add_f64 v[143:144], v[143:144], v[149:150]
	v_add_f64 v[6:7], v[6:7], v[139:140]
	s_waitcnt vmcnt(5)
	v_fma_f64 v[2:3], v[2:3], v[179:180], -v[147:148]
	v_mul_f64 v[139:140], v[131:132], v[175:176]
	v_fma_f64 v[4:5], v[4:5], v[179:180], v[145:146]
	s_waitcnt vmcnt(4)
	v_fma_f64 v[131:132], v[131:132], v[177:178], -v[141:142]
	v_add_f64 v[135:136], v[143:144], v[135:136]
	v_add_f64 v[6:7], v[6:7], v[137:138]
	v_fma_f64 v[133:134], v[133:134], v[177:178], v[139:140]
	v_add_f64 v[2:3], v[135:136], v[2:3]
	v_add_f64 v[4:5], v[6:7], v[4:5]
	;; [unrolled: 1-line block ×4, first 2 shown]
	s_waitcnt vmcnt(2)
	v_add_f64 v[2:3], v[181:182], -v[2:3]
	s_waitcnt vmcnt(0)
	v_add_f64 v[4:5], v[183:184], -v[4:5]
	buffer_store_dword v3, off, s[0:3], 0 offset:804
	buffer_store_dword v2, off, s[0:3], 0 offset:800
	buffer_store_dword v5, off, s[0:3], 0 offset:812
	buffer_store_dword v4, off, s[0:3], 0 offset:808
	v_cmpx_lt_u32_e32 48, v0
	s_cbranch_execz .LBB124_295
; %bb.294:
	v_mov_b32_e32 v5, s26
	s_clause 0x3
	buffer_load_dword v2, v5, s[0:3], 0 offen
	buffer_load_dword v3, v5, s[0:3], 0 offen offset:4
	buffer_load_dword v4, v5, s[0:3], 0 offen offset:8
	;; [unrolled: 1-line block ×3, first 2 shown]
	buffer_store_dword v1, off, s[0:3], 0 offset:784
	buffer_store_dword v1, off, s[0:3], 0 offset:788
	;; [unrolled: 1-line block ×4, first 2 shown]
	s_waitcnt vmcnt(0)
	ds_write_b128 v191, v[2:5]
.LBB124_295:
	s_or_b32 exec_lo, exec_lo, s4
	s_waitcnt lgkmcnt(0)
	s_waitcnt_vscnt null, 0x0
	s_barrier
	buffer_gl0_inv
	s_clause 0x2f
	buffer_load_dword v6, off, s[0:3], 0 offset:808
	buffer_load_dword v7, off, s[0:3], 0 offset:812
	;; [unrolled: 1-line block ×48, first 2 shown]
	ds_read_b128 v[2:5], v1 offset:1760
	s_clause 0x3
	buffer_load_dword v185, off, s[0:3], 0 offset:784
	buffer_load_dword v186, off, s[0:3], 0 offset:788
	;; [unrolled: 1-line block ×4, first 2 shown]
	ds_read_b128 v[131:134], v1 offset:1776
	ds_read_b128 v[135:138], v1 offset:1792
	s_mov_b32 s4, exec_lo
	s_waitcnt vmcnt(50) lgkmcnt(2)
	v_mul_f64 v[189:190], v[4:5], v[6:7]
	v_mul_f64 v[6:7], v[2:3], v[6:7]
	s_waitcnt vmcnt(48) lgkmcnt(1)
	v_mul_f64 v[192:193], v[133:134], v[139:140]
	v_mul_f64 v[139:140], v[131:132], v[139:140]
	s_waitcnt vmcnt(46)
	v_fma_f64 v[189:190], v[2:3], v[141:142], -v[189:190]
	v_fma_f64 v[6:7], v[4:5], v[141:142], v[6:7]
	s_waitcnt vmcnt(44) lgkmcnt(0)
	v_mul_f64 v[141:142], v[135:136], v[143:144]
	v_mul_f64 v[143:144], v[137:138], v[143:144]
	s_waitcnt vmcnt(42)
	v_fma_f64 v[192:193], v[131:132], v[145:146], -v[192:193]
	ds_read_b128 v[2:5], v1 offset:1808
	v_fma_f64 v[139:140], v[133:134], v[145:146], v[139:140]
	ds_read_b128 v[131:134], v1 offset:1824
	v_add_f64 v[189:190], v[189:190], 0
	v_add_f64 v[6:7], v[6:7], 0
	s_waitcnt vmcnt(38)
	v_fma_f64 v[141:142], v[137:138], v[149:150], v[141:142]
	s_waitcnt lgkmcnt(1)
	v_mul_f64 v[145:146], v[2:3], v[147:148]
	v_mul_f64 v[147:148], v[4:5], v[147:148]
	v_fma_f64 v[143:144], v[135:136], v[149:150], -v[143:144]
	s_waitcnt vmcnt(36) lgkmcnt(0)
	v_mul_f64 v[149:150], v[133:134], v[151:152]
	ds_read_b128 v[135:138], v1 offset:1840
	v_add_f64 v[189:190], v[189:190], v[192:193]
	v_add_f64 v[6:7], v[6:7], v[139:140]
	v_mul_f64 v[139:140], v[131:132], v[151:152]
	s_waitcnt vmcnt(34)
	v_fma_f64 v[145:146], v[4:5], v[153:154], v[145:146]
	v_fma_f64 v[147:148], v[2:3], v[153:154], -v[147:148]
	ds_read_b128 v[2:5], v1 offset:1856
	s_waitcnt vmcnt(32) lgkmcnt(1)
	v_mul_f64 v[151:152], v[137:138], v[155:156]
	s_waitcnt vmcnt(30)
	v_fma_f64 v[149:150], v[131:132], v[157:158], -v[149:150]
	v_add_f64 v[143:144], v[189:190], v[143:144]
	v_add_f64 v[6:7], v[6:7], v[141:142]
	v_mul_f64 v[141:142], v[135:136], v[155:156]
	v_fma_f64 v[139:140], v[133:134], v[157:158], v[139:140]
	ds_read_b128 v[131:134], v1 offset:1872
	s_waitcnt vmcnt(26)
	v_fma_f64 v[151:152], v[135:136], v[161:162], -v[151:152]
	v_add_f64 v[143:144], v[143:144], v[147:148]
	v_add_f64 v[6:7], v[6:7], v[145:146]
	s_waitcnt lgkmcnt(1)
	v_mul_f64 v[147:148], v[4:5], v[159:160]
	v_mul_f64 v[145:146], v[2:3], v[159:160]
	v_fma_f64 v[141:142], v[137:138], v[161:162], v[141:142]
	ds_read_b128 v[135:138], v1 offset:1888
	v_add_f64 v[143:144], v[143:144], v[149:150]
	v_add_f64 v[6:7], v[6:7], v[139:140]
	s_waitcnt vmcnt(24) lgkmcnt(1)
	v_mul_f64 v[149:150], v[133:134], v[163:164]
	s_waitcnt vmcnt(22)
	v_fma_f64 v[147:148], v[2:3], v[165:166], -v[147:148]
	v_mul_f64 v[139:140], v[131:132], v[163:164]
	v_fma_f64 v[145:146], v[4:5], v[165:166], v[145:146]
	ds_read_b128 v[2:5], v1 offset:1904
	v_add_f64 v[143:144], v[143:144], v[151:152]
	v_add_f64 v[6:7], v[6:7], v[141:142]
	s_waitcnt vmcnt(20) lgkmcnt(1)
	v_mul_f64 v[151:152], v[137:138], v[167:168]
	s_waitcnt vmcnt(18)
	v_fma_f64 v[149:150], v[131:132], v[169:170], -v[149:150]
	;; [unrolled: 9-line block ×4, first 2 shown]
	v_mul_f64 v[139:140], v[131:132], v[175:176]
	v_fma_f64 v[3:4], v[4:5], v[177:178], v[145:146]
	v_add_f64 v[143:144], v[143:144], v[151:152]
	v_add_f64 v[5:6], v[6:7], v[141:142]
	s_waitcnt vmcnt(8) lgkmcnt(0)
	v_mul_f64 v[141:142], v[137:138], v[179:180]
	s_waitcnt vmcnt(6)
	v_fma_f64 v[131:132], v[131:132], v[181:182], -v[149:150]
	v_mul_f64 v[7:8], v[135:136], v[179:180]
	v_fma_f64 v[133:134], v[133:134], v[181:182], v[139:140]
	v_add_f64 v[1:2], v[143:144], v[1:2]
	v_add_f64 v[3:4], v[5:6], v[3:4]
	s_waitcnt vmcnt(4)
	v_fma_f64 v[5:6], v[135:136], v[183:184], -v[141:142]
	v_fma_f64 v[7:8], v[137:138], v[183:184], v[7:8]
	v_add_f64 v[1:2], v[1:2], v[131:132]
	v_add_f64 v[3:4], v[3:4], v[133:134]
	;; [unrolled: 1-line block ×4, first 2 shown]
	s_waitcnt vmcnt(2)
	v_add_f64 v[1:2], v[185:186], -v[1:2]
	s_waitcnt vmcnt(0)
	v_add_f64 v[3:4], v[187:188], -v[3:4]
	buffer_store_dword v2, off, s[0:3], 0 offset:788
	buffer_store_dword v1, off, s[0:3], 0 offset:784
	;; [unrolled: 1-line block ×4, first 2 shown]
	v_cmpx_lt_u32_e32 47, v0
	s_cbranch_execz .LBB124_297
; %bb.296:
	v_mov_b32_e32 v4, s27
	v_mov_b32_e32 v5, 0
	s_clause 0x3
	buffer_load_dword v1, v4, s[0:3], 0 offen
	buffer_load_dword v2, v4, s[0:3], 0 offen offset:4
	buffer_load_dword v3, v4, s[0:3], 0 offen offset:8
	;; [unrolled: 1-line block ×3, first 2 shown]
	buffer_store_dword v5, off, s[0:3], 0 offset:768
	buffer_store_dword v5, off, s[0:3], 0 offset:772
	;; [unrolled: 1-line block ×4, first 2 shown]
	s_waitcnt vmcnt(0)
	ds_write_b128 v191, v[1:4]
.LBB124_297:
	s_or_b32 exec_lo, exec_lo, s4
	s_waitcnt lgkmcnt(0)
	s_waitcnt_vscnt null, 0x0
	s_barrier
	buffer_gl0_inv
	s_clause 0x33
	buffer_load_dword v6, off, s[0:3], 0 offset:792
	buffer_load_dword v7, off, s[0:3], 0 offset:796
	;; [unrolled: 1-line block ×52, first 2 shown]
	v_mov_b32_e32 v1, 0
	ds_read_b128 v[2:5], v1 offset:1744
	ds_read_b128 v[131:134], v1 offset:1760
	s_clause 0x3
	buffer_load_dword v192, off, s[0:3], 0 offset:768
	buffer_load_dword v193, off, s[0:3], 0 offset:772
	;; [unrolled: 1-line block ×4, first 2 shown]
	ds_read_b128 v[135:138], v1 offset:1776
	s_mov_b32 s4, exec_lo
	s_waitcnt vmcnt(54) lgkmcnt(2)
	v_mul_f64 v[189:190], v[4:5], v[6:7]
	v_mul_f64 v[6:7], v[2:3], v[6:7]
	s_waitcnt vmcnt(52) lgkmcnt(1)
	v_mul_f64 v[196:197], v[133:134], v[139:140]
	v_mul_f64 v[139:140], v[131:132], v[139:140]
	s_waitcnt vmcnt(50)
	v_fma_f64 v[189:190], v[2:3], v[141:142], -v[189:190]
	v_fma_f64 v[6:7], v[4:5], v[141:142], v[6:7]
	ds_read_b128 v[2:5], v1 offset:1792
	s_waitcnt vmcnt(48) lgkmcnt(1)
	v_mul_f64 v[141:142], v[135:136], v[143:144]
	v_mul_f64 v[143:144], v[137:138], v[143:144]
	s_waitcnt vmcnt(46)
	v_fma_f64 v[196:197], v[131:132], v[145:146], -v[196:197]
	v_fma_f64 v[139:140], v[133:134], v[145:146], v[139:140]
	ds_read_b128 v[131:134], v1 offset:1808
	s_waitcnt vmcnt(42) lgkmcnt(1)
	v_mul_f64 v[145:146], v[2:3], v[147:148]
	v_add_f64 v[189:190], v[189:190], 0
	v_add_f64 v[6:7], v[6:7], 0
	v_mul_f64 v[147:148], v[4:5], v[147:148]
	s_waitcnt vmcnt(40)
	v_fma_f64 v[143:144], v[135:136], v[153:154], -v[143:144]
	v_fma_f64 v[141:142], v[137:138], v[153:154], v[141:142]
	ds_read_b128 v[135:138], v1 offset:1824
	s_waitcnt vmcnt(37)
	v_fma_f64 v[145:146], v[4:5], v[155:156], v[145:146]
	v_add_f64 v[189:190], v[189:190], v[196:197]
	v_add_f64 v[6:7], v[6:7], v[139:140]
	s_waitcnt lgkmcnt(1)
	v_mul_f64 v[139:140], v[131:132], v[149:150]
	v_mul_f64 v[149:150], v[133:134], v[149:150]
	v_fma_f64 v[147:148], v[2:3], v[155:156], -v[147:148]
	s_waitcnt vmcnt(33) lgkmcnt(0)
	v_mul_f64 v[153:154], v[137:138], v[157:158]
	ds_read_b128 v[2:5], v1 offset:1840
	v_add_f64 v[143:144], v[189:190], v[143:144]
	v_add_f64 v[6:7], v[6:7], v[141:142]
	v_mul_f64 v[141:142], v[135:136], v[157:158]
	s_waitcnt vmcnt(32)
	v_fma_f64 v[149:150], v[131:132], v[151:152], -v[149:150]
	v_fma_f64 v[139:140], v[133:134], v[151:152], v[139:140]
	ds_read_b128 v[131:134], v1 offset:1856
	s_waitcnt vmcnt(29)
	v_fma_f64 v[151:152], v[135:136], v[163:164], -v[153:154]
	v_add_f64 v[143:144], v[143:144], v[147:148]
	v_add_f64 v[6:7], v[6:7], v[145:146]
	s_waitcnt lgkmcnt(1)
	v_mul_f64 v[147:148], v[4:5], v[159:160]
	v_mul_f64 v[145:146], v[2:3], v[159:160]
	v_fma_f64 v[141:142], v[137:138], v[163:164], v[141:142]
	ds_read_b128 v[135:138], v1 offset:1872
	v_add_f64 v[143:144], v[143:144], v[149:150]
	v_add_f64 v[6:7], v[6:7], v[139:140]
	s_waitcnt vmcnt(25) lgkmcnt(1)
	v_mul_f64 v[149:150], v[133:134], v[165:166]
	s_waitcnt vmcnt(24)
	v_fma_f64 v[147:148], v[2:3], v[161:162], -v[147:148]
	v_mul_f64 v[139:140], v[131:132], v[165:166]
	v_fma_f64 v[145:146], v[4:5], v[161:162], v[145:146]
	ds_read_b128 v[2:5], v1 offset:1888
	v_add_f64 v[143:144], v[143:144], v[151:152]
	v_add_f64 v[6:7], v[6:7], v[141:142]
	s_waitcnt vmcnt(23) lgkmcnt(1)
	v_mul_f64 v[151:152], v[137:138], v[167:168]
	s_waitcnt vmcnt(21)
	v_fma_f64 v[149:150], v[131:132], v[171:172], -v[149:150]
	;; [unrolled: 9-line block ×5, first 2 shown]
	v_mul_f64 v[141:142], v[135:136], v[181:182]
	v_fma_f64 v[133:134], v[133:134], v[177:178], v[139:140]
	s_waitcnt vmcnt(7) lgkmcnt(0)
	v_mul_f64 v[139:140], v[2:3], v[183:184]
	v_add_f64 v[143:144], v[143:144], v[147:148]
	v_add_f64 v[6:7], v[6:7], v[145:146]
	v_mul_f64 v[145:146], v[4:5], v[183:184]
	s_waitcnt vmcnt(5)
	v_fma_f64 v[135:136], v[135:136], v[187:188], -v[151:152]
	v_fma_f64 v[137:138], v[137:138], v[187:188], v[141:142]
	s_waitcnt vmcnt(4)
	v_fma_f64 v[4:5], v[4:5], v[185:186], v[139:140]
	v_add_f64 v[131:132], v[143:144], v[131:132]
	v_add_f64 v[6:7], v[6:7], v[133:134]
	v_fma_f64 v[2:3], v[2:3], v[185:186], -v[145:146]
	v_add_f64 v[131:132], v[131:132], v[135:136]
	v_add_f64 v[6:7], v[6:7], v[137:138]
	;; [unrolled: 1-line block ×4, first 2 shown]
	s_waitcnt vmcnt(2)
	v_add_f64 v[2:3], v[192:193], -v[2:3]
	s_waitcnt vmcnt(0)
	v_add_f64 v[4:5], v[194:195], -v[4:5]
	buffer_store_dword v3, off, s[0:3], 0 offset:772
	buffer_store_dword v2, off, s[0:3], 0 offset:768
	;; [unrolled: 1-line block ×4, first 2 shown]
	v_cmpx_lt_u32_e32 46, v0
	s_cbranch_execz .LBB124_299
; %bb.298:
	v_mov_b32_e32 v5, s28
	s_clause 0x3
	buffer_load_dword v2, v5, s[0:3], 0 offen
	buffer_load_dword v3, v5, s[0:3], 0 offen offset:4
	buffer_load_dword v4, v5, s[0:3], 0 offen offset:8
	;; [unrolled: 1-line block ×3, first 2 shown]
	buffer_store_dword v1, off, s[0:3], 0 offset:752
	buffer_store_dword v1, off, s[0:3], 0 offset:756
	buffer_store_dword v1, off, s[0:3], 0 offset:760
	buffer_store_dword v1, off, s[0:3], 0 offset:764
	s_waitcnt vmcnt(0)
	ds_write_b128 v191, v[2:5]
.LBB124_299:
	s_or_b32 exec_lo, exec_lo, s4
	s_waitcnt lgkmcnt(0)
	s_waitcnt_vscnt null, 0x0
	s_barrier
	buffer_gl0_inv
	s_clause 0x35
	buffer_load_dword v6, off, s[0:3], 0 offset:776
	buffer_load_dword v7, off, s[0:3], 0 offset:780
	buffer_load_dword v139, off, s[0:3], 0 offset:792
	buffer_load_dword v140, off, s[0:3], 0 offset:796
	buffer_load_dword v141, off, s[0:3], 0 offset:768
	buffer_load_dword v142, off, s[0:3], 0 offset:772
	buffer_load_dword v143, off, s[0:3], 0 offset:808
	buffer_load_dword v144, off, s[0:3], 0 offset:812
	buffer_load_dword v145, off, s[0:3], 0 offset:784
	buffer_load_dword v146, off, s[0:3], 0 offset:788
	buffer_load_dword v148, off, s[0:3], 0 offset:828
	buffer_load_dword v149, off, s[0:3], 0 offset:840
	buffer_load_dword v151, off, s[0:3], 0 offset:832
	buffer_load_dword v147, off, s[0:3], 0 offset:824
	buffer_load_dword v153, off, s[0:3], 0 offset:800
	buffer_load_dword v154, off, s[0:3], 0 offset:804
	buffer_load_dword v150, off, s[0:3], 0 offset:844
	buffer_load_dword v156, off, s[0:3], 0 offset:820
	buffer_load_dword v155, off, s[0:3], 0 offset:816
	buffer_load_dword v158, off, s[0:3], 0 offset:860
	buffer_load_dword v159, off, s[0:3], 0 offset:872
	buffer_load_dword v161, off, s[0:3], 0 offset:864
	buffer_load_dword v157, off, s[0:3], 0 offset:856
	buffer_load_dword v152, off, s[0:3], 0 offset:836
	buffer_load_dword v160, off, s[0:3], 0 offset:876
	buffer_load_dword v164, off, s[0:3], 0 offset:852
	buffer_load_dword v163, off, s[0:3], 0 offset:848
	buffer_load_dword v166, off, s[0:3], 0 offset:892
	buffer_load_dword v167, off, s[0:3], 0 offset:904
	buffer_load_dword v169, off, s[0:3], 0 offset:896
	buffer_load_dword v165, off, s[0:3], 0 offset:888
	buffer_load_dword v162, off, s[0:3], 0 offset:868
	buffer_load_dword v168, off, s[0:3], 0 offset:908
	buffer_load_dword v172, off, s[0:3], 0 offset:884
	buffer_load_dword v171, off, s[0:3], 0 offset:880
	buffer_load_dword v174, off, s[0:3], 0 offset:924
	buffer_load_dword v175, off, s[0:3], 0 offset:936
	buffer_load_dword v177, off, s[0:3], 0 offset:928
	buffer_load_dword v173, off, s[0:3], 0 offset:920
	buffer_load_dword v170, off, s[0:3], 0 offset:900
	buffer_load_dword v176, off, s[0:3], 0 offset:940
	buffer_load_dword v180, off, s[0:3], 0 offset:916
	buffer_load_dword v179, off, s[0:3], 0 offset:912
	buffer_load_dword v182, off, s[0:3], 0 offset:956
	buffer_load_dword v183, off, s[0:3], 0 offset:968
	buffer_load_dword v185, off, s[0:3], 0 offset:960
	buffer_load_dword v181, off, s[0:3], 0 offset:952
	buffer_load_dword v178, off, s[0:3], 0 offset:932
	buffer_load_dword v184, off, s[0:3], 0 offset:972
	buffer_load_dword v188, off, s[0:3], 0 offset:948
	buffer_load_dword v187, off, s[0:3], 0 offset:944
	buffer_load_dword v190, off, s[0:3], 0 offset:988
	buffer_load_dword v189, off, s[0:3], 0 offset:984
	buffer_load_dword v186, off, s[0:3], 0 offset:964
	ds_read_b128 v[2:5], v1 offset:1728
	s_clause 0x1
	buffer_load_dword v193, off, s[0:3], 0 offset:980
	buffer_load_dword v192, off, s[0:3], 0 offset:976
	ds_read_b128 v[131:134], v1 offset:1744
	ds_read_b128 v[135:138], v1 offset:1760
	s_mov_b32 s4, exec_lo
	s_waitcnt vmcnt(54) lgkmcnt(2)
	v_mul_f64 v[194:195], v[4:5], v[6:7]
	v_mul_f64 v[6:7], v[2:3], v[6:7]
	s_waitcnt vmcnt(52) lgkmcnt(1)
	v_mul_f64 v[196:197], v[133:134], v[139:140]
	v_mul_f64 v[139:140], v[131:132], v[139:140]
	;; [unrolled: 3-line block ×3, first 2 shown]
	v_fma_f64 v[194:195], v[2:3], v[141:142], -v[194:195]
	v_fma_f64 v[6:7], v[4:5], v[141:142], v[6:7]
	s_clause 0x3
	buffer_load_dword v141, off, s[0:3], 0 offset:752
	buffer_load_dword v142, off, s[0:3], 0 offset:756
	;; [unrolled: 1-line block ×4, first 2 shown]
	s_waitcnt vmcnt(50)
	v_fma_f64 v[196:197], v[131:132], v[145:146], -v[196:197]
	ds_read_b128 v[2:5], v1 offset:1776
	v_fma_f64 v[139:140], v[133:134], v[145:146], v[139:140]
	ds_read_b128 v[131:134], v1 offset:1792
	s_waitcnt vmcnt(44)
	v_fma_f64 v[143:144], v[135:136], v[153:154], -v[143:144]
	v_fma_f64 v[153:154], v[137:138], v[153:154], v[200:201]
	ds_read_b128 v[135:138], v1 offset:1808
	v_add_f64 v[194:195], v[194:195], 0
	v_add_f64 v[6:7], v[6:7], 0
	s_waitcnt lgkmcnt(2)
	v_mul_f64 v[145:146], v[2:3], v[147:148]
	v_mul_f64 v[147:148], v[4:5], v[147:148]
	v_add_f64 v[194:195], v[194:195], v[196:197]
	v_add_f64 v[6:7], v[6:7], v[139:140]
	s_waitcnt vmcnt(43) lgkmcnt(1)
	v_mul_f64 v[139:140], v[131:132], v[149:150]
	v_mul_f64 v[149:150], v[133:134], v[149:150]
	s_waitcnt vmcnt(41)
	v_fma_f64 v[147:148], v[2:3], v[155:156], -v[147:148]
	v_fma_f64 v[145:146], v[4:5], v[155:156], v[145:146]
	ds_read_b128 v[2:5], v1 offset:1824
	s_waitcnt vmcnt(37) lgkmcnt(1)
	v_mul_f64 v[155:156], v[137:138], v[157:158]
	v_add_f64 v[143:144], v[194:195], v[143:144]
	v_add_f64 v[6:7], v[6:7], v[153:154]
	v_mul_f64 v[153:154], v[135:136], v[157:158]
	s_waitcnt vmcnt(36)
	v_fma_f64 v[149:150], v[131:132], v[151:152], -v[149:150]
	v_fma_f64 v[139:140], v[133:134], v[151:152], v[139:140]
	ds_read_b128 v[131:134], v1 offset:1840
	s_waitcnt vmcnt(33)
	v_fma_f64 v[151:152], v[135:136], v[163:164], -v[155:156]
	v_add_f64 v[143:144], v[143:144], v[147:148]
	v_add_f64 v[6:7], v[6:7], v[145:146]
	s_waitcnt lgkmcnt(1)
	v_mul_f64 v[147:148], v[4:5], v[159:160]
	v_mul_f64 v[145:146], v[2:3], v[159:160]
	v_add_f64 v[143:144], v[143:144], v[149:150]
	v_fma_f64 v[149:150], v[137:138], v[163:164], v[153:154]
	v_add_f64 v[6:7], v[6:7], v[139:140]
	ds_read_b128 v[135:138], v1 offset:1856
	s_waitcnt vmcnt(29) lgkmcnt(1)
	v_mul_f64 v[153:154], v[133:134], v[165:166]
	s_waitcnt vmcnt(28)
	v_fma_f64 v[147:148], v[2:3], v[161:162], -v[147:148]
	v_mul_f64 v[139:140], v[131:132], v[165:166]
	v_fma_f64 v[145:146], v[4:5], v[161:162], v[145:146]
	ds_read_b128 v[2:5], v1 offset:1872
	v_add_f64 v[143:144], v[143:144], v[151:152]
	s_waitcnt vmcnt(27) lgkmcnt(1)
	v_mul_f64 v[151:152], v[137:138], v[167:168]
	v_add_f64 v[6:7], v[6:7], v[149:150]
	v_mul_f64 v[149:150], v[135:136], v[167:168]
	s_waitcnt vmcnt(25)
	v_fma_f64 v[153:154], v[131:132], v[171:172], -v[153:154]
	v_fma_f64 v[139:140], v[133:134], v[171:172], v[139:140]
	ds_read_b128 v[131:134], v1 offset:1888
	v_add_f64 v[143:144], v[143:144], v[147:148]
	s_waitcnt vmcnt(21) lgkmcnt(1)
	v_mul_f64 v[147:148], v[4:5], v[173:174]
	v_add_f64 v[6:7], v[6:7], v[145:146]
	s_waitcnt vmcnt(20)
	v_fma_f64 v[151:152], v[135:136], v[169:170], -v[151:152]
	v_mul_f64 v[145:146], v[2:3], v[173:174]
	v_fma_f64 v[149:150], v[137:138], v[169:170], v[149:150]
	ds_read_b128 v[135:138], v1 offset:1904
	v_add_f64 v[143:144], v[143:144], v[153:154]
	s_waitcnt vmcnt(19) lgkmcnt(1)
	v_mul_f64 v[153:154], v[133:134], v[175:176]
	v_add_f64 v[6:7], v[6:7], v[139:140]
	s_waitcnt vmcnt(17)
	v_fma_f64 v[147:148], v[2:3], v[179:180], -v[147:148]
	v_mul_f64 v[139:140], v[131:132], v[175:176]
	;; [unrolled: 9-line block ×4, first 2 shown]
	v_fma_f64 v[137:138], v[137:138], v[187:188], v[149:150]
	s_waitcnt vmcnt(7) lgkmcnt(0)
	v_mul_f64 v[149:150], v[133:134], v[189:190]
	v_add_f64 v[143:144], v[143:144], v[153:154]
	s_waitcnt vmcnt(6)
	v_fma_f64 v[1:2], v[2:3], v[185:186], -v[147:148]
	v_add_f64 v[6:7], v[6:7], v[139:140]
	v_mul_f64 v[139:140], v[131:132], v[189:190]
	v_fma_f64 v[3:4], v[4:5], v[185:186], v[145:146]
	v_add_f64 v[135:136], v[143:144], v[135:136]
	v_add_f64 v[5:6], v[6:7], v[137:138]
	s_waitcnt vmcnt(4)
	v_fma_f64 v[7:8], v[131:132], v[192:193], -v[149:150]
	v_fma_f64 v[131:132], v[133:134], v[192:193], v[139:140]
	v_add_f64 v[1:2], v[135:136], v[1:2]
	v_add_f64 v[3:4], v[5:6], v[3:4]
	;; [unrolled: 1-line block ×4, first 2 shown]
	s_waitcnt vmcnt(2)
	v_add_f64 v[1:2], v[141:142], -v[1:2]
	s_waitcnt vmcnt(0)
	v_add_f64 v[3:4], v[198:199], -v[3:4]
	buffer_store_dword v2, off, s[0:3], 0 offset:756
	buffer_store_dword v1, off, s[0:3], 0 offset:752
	;; [unrolled: 1-line block ×4, first 2 shown]
	v_cmpx_lt_u32_e32 45, v0
	s_cbranch_execz .LBB124_301
; %bb.300:
	v_mov_b32_e32 v4, s29
	v_mov_b32_e32 v5, 0
	s_clause 0x3
	buffer_load_dword v1, v4, s[0:3], 0 offen
	buffer_load_dword v2, v4, s[0:3], 0 offen offset:4
	buffer_load_dword v3, v4, s[0:3], 0 offen offset:8
	;; [unrolled: 1-line block ×3, first 2 shown]
	buffer_store_dword v5, off, s[0:3], 0 offset:736
	buffer_store_dword v5, off, s[0:3], 0 offset:740
	;; [unrolled: 1-line block ×4, first 2 shown]
	s_waitcnt vmcnt(0)
	ds_write_b128 v191, v[1:4]
.LBB124_301:
	s_or_b32 exec_lo, exec_lo, s4
	s_waitcnt lgkmcnt(0)
	s_waitcnt_vscnt null, 0x0
	s_barrier
	buffer_gl0_inv
	s_clause 0x37
	buffer_load_dword v6, off, s[0:3], 0 offset:760
	buffer_load_dword v7, off, s[0:3], 0 offset:764
	;; [unrolled: 1-line block ×56, first 2 shown]
	v_mov_b32_e32 v1, 0
	s_mov_b32 s4, exec_lo
	ds_read_b128 v[2:5], v1 offset:1712
	s_clause 0x2
	buffer_load_dword v193, off, s[0:3], 0 offset:988
	buffer_load_dword v197, off, s[0:3], 0 offset:964
	;; [unrolled: 1-line block ×3, first 2 shown]
	ds_read_b128 v[131:134], v1 offset:1728
	ds_read_b128 v[135:138], v1 offset:1744
	buffer_load_dword v195, off, s[0:3], 0 offset:980
	s_waitcnt vmcnt(58) lgkmcnt(2)
	v_mul_f64 v[198:199], v[4:5], v[6:7]
	v_mul_f64 v[6:7], v[2:3], v[6:7]
	s_waitcnt vmcnt(56) lgkmcnt(1)
	v_mul_f64 v[200:201], v[133:134], v[139:140]
	v_mul_f64 v[139:140], v[131:132], v[139:140]
	s_waitcnt vmcnt(54)
	v_fma_f64 v[198:199], v[2:3], v[141:142], -v[198:199]
	v_fma_f64 v[6:7], v[4:5], v[141:142], v[6:7]
	s_waitcnt vmcnt(52) lgkmcnt(0)
	v_mul_f64 v[141:142], v[135:136], v[143:144]
	v_mul_f64 v[143:144], v[137:138], v[143:144]
	s_waitcnt vmcnt(50)
	v_fma_f64 v[200:201], v[131:132], v[145:146], -v[200:201]
	ds_read_b128 v[2:5], v1 offset:1760
	v_fma_f64 v[139:140], v[133:134], v[145:146], v[139:140]
	s_clause 0x3
	buffer_load_dword v145, off, s[0:3], 0 offset:736
	buffer_load_dword v146, off, s[0:3], 0 offset:740
	;; [unrolled: 1-line block ×4, first 2 shown]
	ds_read_b128 v[131:134], v1 offset:1776
	v_add_f64 v[198:199], v[198:199], 0
	v_add_f64 v[6:7], v[6:7], 0
	s_waitcnt vmcnt(48)
	v_fma_f64 v[141:142], v[137:138], v[153:154], v[141:142]
	s_waitcnt lgkmcnt(1)
	v_mul_f64 v[204:205], v[2:3], v[147:148]
	v_mul_f64 v[147:148], v[4:5], v[147:148]
	v_fma_f64 v[143:144], v[135:136], v[153:154], -v[143:144]
	ds_read_b128 v[135:138], v1 offset:1792
	v_add_f64 v[198:199], v[198:199], v[200:201]
	v_add_f64 v[6:7], v[6:7], v[139:140]
	s_waitcnt vmcnt(47) lgkmcnt(1)
	v_mul_f64 v[139:140], v[131:132], v[149:150]
	v_mul_f64 v[149:150], v[133:134], v[149:150]
	s_waitcnt vmcnt(45)
	v_fma_f64 v[147:148], v[2:3], v[155:156], -v[147:148]
	v_fma_f64 v[153:154], v[4:5], v[155:156], v[204:205]
	s_waitcnt vmcnt(41) lgkmcnt(0)
	v_mul_f64 v[155:156], v[137:138], v[157:158]
	ds_read_b128 v[2:5], v1 offset:1808
	v_add_f64 v[143:144], v[198:199], v[143:144]
	v_add_f64 v[6:7], v[6:7], v[141:142]
	v_mul_f64 v[141:142], v[135:136], v[157:158]
	s_waitcnt vmcnt(40)
	v_fma_f64 v[149:150], v[131:132], v[151:152], -v[149:150]
	v_fma_f64 v[139:140], v[133:134], v[151:152], v[139:140]
	ds_read_b128 v[131:134], v1 offset:1824
	s_waitcnt vmcnt(39) lgkmcnt(1)
	v_mul_f64 v[151:152], v[4:5], v[159:160]
	v_add_f64 v[143:144], v[143:144], v[147:148]
	v_add_f64 v[6:7], v[6:7], v[153:154]
	s_waitcnt vmcnt(37)
	v_fma_f64 v[153:154], v[135:136], v[163:164], -v[155:156]
	v_mul_f64 v[147:148], v[2:3], v[159:160]
	v_fma_f64 v[141:142], v[137:138], v[163:164], v[141:142]
	ds_read_b128 v[135:138], v1 offset:1840
	s_waitcnt vmcnt(32)
	v_fma_f64 v[151:152], v[2:3], v[161:162], -v[151:152]
	v_add_f64 v[143:144], v[143:144], v[149:150]
	v_add_f64 v[6:7], v[6:7], v[139:140]
	s_waitcnt lgkmcnt(1)
	v_mul_f64 v[149:150], v[133:134], v[165:166]
	v_mul_f64 v[139:140], v[131:132], v[165:166]
	v_fma_f64 v[147:148], v[4:5], v[161:162], v[147:148]
	ds_read_b128 v[2:5], v1 offset:1856
	v_add_f64 v[143:144], v[143:144], v[153:154]
	v_add_f64 v[6:7], v[6:7], v[141:142]
	s_waitcnt vmcnt(31) lgkmcnt(1)
	v_mul_f64 v[153:154], v[137:138], v[167:168]
	s_waitcnt vmcnt(29)
	v_fma_f64 v[149:150], v[131:132], v[171:172], -v[149:150]
	v_mul_f64 v[141:142], v[135:136], v[167:168]
	v_fma_f64 v[139:140], v[133:134], v[171:172], v[139:140]
	ds_read_b128 v[131:134], v1 offset:1872
	v_add_f64 v[143:144], v[143:144], v[151:152]
	v_add_f64 v[6:7], v[6:7], v[147:148]
	s_waitcnt vmcnt(25) lgkmcnt(1)
	v_mul_f64 v[151:152], v[4:5], v[173:174]
	s_waitcnt vmcnt(24)
	v_fma_f64 v[153:154], v[135:136], v[169:170], -v[153:154]
	;; [unrolled: 9-line block ×6, first 2 shown]
	v_mul_f64 v[139:140], v[131:132], v[189:190]
	v_fma_f64 v[4:5], v[4:5], v[185:186], v[147:148]
	s_waitcnt vmcnt(7) lgkmcnt(0)
	v_mul_f64 v[147:148], v[137:138], v[192:193]
	v_add_f64 v[143:144], v[143:144], v[153:154]
	v_add_f64 v[6:7], v[6:7], v[141:142]
	s_waitcnt vmcnt(5)
	v_fma_f64 v[131:132], v[131:132], v[196:197], -v[149:150]
	v_mul_f64 v[141:142], v[135:136], v[192:193]
	v_fma_f64 v[133:134], v[133:134], v[196:197], v[139:140]
	v_add_f64 v[2:3], v[143:144], v[2:3]
	v_add_f64 v[4:5], v[6:7], v[4:5]
	s_waitcnt vmcnt(4)
	v_fma_f64 v[6:7], v[135:136], v[194:195], -v[147:148]
	v_add_f64 v[2:3], v[2:3], v[131:132]
	v_fma_f64 v[131:132], v[137:138], v[194:195], v[141:142]
	v_add_f64 v[4:5], v[4:5], v[133:134]
	v_add_f64 v[2:3], v[2:3], v[6:7]
	;; [unrolled: 1-line block ×3, first 2 shown]
	s_waitcnt vmcnt(2)
	v_add_f64 v[2:3], v[145:146], -v[2:3]
	s_waitcnt vmcnt(0)
	v_add_f64 v[4:5], v[202:203], -v[4:5]
	buffer_store_dword v3, off, s[0:3], 0 offset:740
	buffer_store_dword v2, off, s[0:3], 0 offset:736
	;; [unrolled: 1-line block ×4, first 2 shown]
	v_cmpx_lt_u32_e32 44, v0
	s_cbranch_execz .LBB124_303
; %bb.302:
	v_mov_b32_e32 v5, s30
	s_clause 0x3
	buffer_load_dword v2, v5, s[0:3], 0 offen
	buffer_load_dword v3, v5, s[0:3], 0 offen offset:4
	buffer_load_dword v4, v5, s[0:3], 0 offen offset:8
	;; [unrolled: 1-line block ×3, first 2 shown]
	buffer_store_dword v1, off, s[0:3], 0 offset:720
	buffer_store_dword v1, off, s[0:3], 0 offset:724
	;; [unrolled: 1-line block ×4, first 2 shown]
	s_waitcnt vmcnt(0)
	ds_write_b128 v191, v[2:5]
.LBB124_303:
	s_or_b32 exec_lo, exec_lo, s4
	s_waitcnt lgkmcnt(0)
	s_waitcnt_vscnt null, 0x0
	s_barrier
	buffer_gl0_inv
	s_clause 0x37
	buffer_load_dword v6, off, s[0:3], 0 offset:744
	buffer_load_dword v7, off, s[0:3], 0 offset:748
	;; [unrolled: 1-line block ×56, first 2 shown]
	ds_read_b128 v[2:5], v1 offset:1696
	s_clause 0x2
	buffer_load_dword v193, off, s[0:3], 0 offset:972
	buffer_load_dword v197, off, s[0:3], 0 offset:948
	;; [unrolled: 1-line block ×3, first 2 shown]
	ds_read_b128 v[131:134], v1 offset:1712
	s_clause 0x2
	buffer_load_dword v201, off, s[0:3], 0 offset:988
	buffer_load_dword v200, off, s[0:3], 0 offset:984
	;; [unrolled: 1-line block ×3, first 2 shown]
	ds_read_b128 v[135:138], v1 offset:1728
	s_mov_b32 s4, exec_lo
	s_waitcnt vmcnt(60) lgkmcnt(2)
	v_mul_f64 v[198:199], v[4:5], v[6:7]
	v_mul_f64 v[6:7], v[2:3], v[6:7]
	s_waitcnt vmcnt(58) lgkmcnt(1)
	v_mul_f64 v[202:203], v[133:134], v[139:140]
	v_mul_f64 v[139:140], v[131:132], v[139:140]
	;; [unrolled: 3-line block ×3, first 2 shown]
	v_fma_f64 v[198:199], v[2:3], v[141:142], -v[198:199]
	v_fma_f64 v[6:7], v[4:5], v[141:142], v[6:7]
	s_clause 0x1
	buffer_load_dword v142, off, s[0:3], 0 offset:980
	buffer_load_dword v141, off, s[0:3], 0 offset:976
	s_waitcnt vmcnt(54)
	v_fma_f64 v[202:203], v[131:132], v[145:146], -v[202:203]
	ds_read_b128 v[2:5], v1 offset:1744
	v_fma_f64 v[139:140], v[133:134], v[145:146], v[139:140]
	ds_read_b128 v[131:134], v1 offset:1760
	s_waitcnt vmcnt(48)
	v_fma_f64 v[143:144], v[135:136], v[153:154], -v[143:144]
	v_fma_f64 v[153:154], v[137:138], v[153:154], v[204:205]
	v_add_f64 v[198:199], v[198:199], 0
	v_add_f64 v[6:7], v[6:7], 0
	s_waitcnt lgkmcnt(1)
	v_mul_f64 v[145:146], v[2:3], v[147:148]
	v_mul_f64 v[147:148], v[4:5], v[147:148]
	s_waitcnt vmcnt(47) lgkmcnt(0)
	v_mul_f64 v[204:205], v[131:132], v[149:150]
	v_mul_f64 v[149:150], v[133:134], v[149:150]
	v_add_f64 v[198:199], v[198:199], v[202:203]
	v_add_f64 v[6:7], v[6:7], v[139:140]
	s_clause 0x3
	buffer_load_dword v139, off, s[0:3], 0 offset:720
	buffer_load_dword v140, off, s[0:3], 0 offset:724
	;; [unrolled: 1-line block ×4, first 2 shown]
	s_waitcnt vmcnt(49)
	v_fma_f64 v[147:148], v[2:3], v[155:156], -v[147:148]
	ds_read_b128 v[135:138], v1 offset:1776
	v_fma_f64 v[145:146], v[4:5], v[155:156], v[145:146]
	ds_read_b128 v[2:5], v1 offset:1792
	s_waitcnt vmcnt(44)
	v_fma_f64 v[149:150], v[131:132], v[151:152], -v[149:150]
	v_add_f64 v[143:144], v[198:199], v[143:144]
	v_add_f64 v[6:7], v[6:7], v[153:154]
	s_waitcnt lgkmcnt(1)
	v_mul_f64 v[155:156], v[137:138], v[157:158]
	v_mul_f64 v[153:154], v[135:136], v[157:158]
	v_add_f64 v[143:144], v[143:144], v[147:148]
	v_fma_f64 v[147:148], v[133:134], v[151:152], v[204:205]
	v_add_f64 v[6:7], v[6:7], v[145:146]
	s_waitcnt vmcnt(43) lgkmcnt(0)
	v_mul_f64 v[151:152], v[4:5], v[159:160]
	s_waitcnt vmcnt(41)
	v_fma_f64 v[155:156], v[135:136], v[163:164], -v[155:156]
	ds_read_b128 v[131:134], v1 offset:1808
	v_mul_f64 v[145:146], v[2:3], v[159:160]
	v_add_f64 v[143:144], v[143:144], v[149:150]
	v_fma_f64 v[149:150], v[137:138], v[163:164], v[153:154]
	v_add_f64 v[6:7], v[6:7], v[147:148]
	ds_read_b128 v[135:138], v1 offset:1824
	s_waitcnt vmcnt(37) lgkmcnt(1)
	v_mul_f64 v[153:154], v[133:134], v[165:166]
	s_waitcnt vmcnt(36)
	v_fma_f64 v[151:152], v[2:3], v[161:162], -v[151:152]
	v_mul_f64 v[147:148], v[131:132], v[165:166]
	v_fma_f64 v[145:146], v[4:5], v[161:162], v[145:146]
	ds_read_b128 v[2:5], v1 offset:1840
	v_add_f64 v[143:144], v[143:144], v[155:156]
	s_waitcnt vmcnt(35) lgkmcnt(1)
	v_mul_f64 v[155:156], v[137:138], v[167:168]
	v_add_f64 v[6:7], v[6:7], v[149:150]
	v_mul_f64 v[149:150], v[135:136], v[167:168]
	s_waitcnt vmcnt(33)
	v_fma_f64 v[153:154], v[131:132], v[171:172], -v[153:154]
	v_fma_f64 v[147:148], v[133:134], v[171:172], v[147:148]
	ds_read_b128 v[131:134], v1 offset:1856
	v_add_f64 v[143:144], v[143:144], v[151:152]
	s_waitcnt vmcnt(29) lgkmcnt(1)
	v_mul_f64 v[151:152], v[4:5], v[173:174]
	v_add_f64 v[6:7], v[6:7], v[145:146]
	s_waitcnt vmcnt(28)
	v_fma_f64 v[155:156], v[135:136], v[169:170], -v[155:156]
	v_mul_f64 v[145:146], v[2:3], v[173:174]
	v_fma_f64 v[149:150], v[137:138], v[169:170], v[149:150]
	ds_read_b128 v[135:138], v1 offset:1872
	v_add_f64 v[143:144], v[143:144], v[153:154]
	s_waitcnt vmcnt(27) lgkmcnt(1)
	v_mul_f64 v[153:154], v[133:134], v[175:176]
	v_add_f64 v[6:7], v[6:7], v[147:148]
	s_waitcnt vmcnt(25)
	v_fma_f64 v[151:152], v[2:3], v[179:180], -v[151:152]
	v_mul_f64 v[147:148], v[131:132], v[175:176]
	;; [unrolled: 9-line block ×5, first 2 shown]
	v_fma_f64 v[145:146], v[4:5], v[185:186], v[145:146]
	ds_read_b128 v[1:4], v1 offset:1936
	v_add_f64 v[143:144], v[143:144], v[155:156]
	s_waitcnt vmcnt(9)
	v_fma_f64 v[131:132], v[131:132], v[196:197], -v[153:154]
	v_add_f64 v[5:6], v[6:7], v[149:150]
	s_waitcnt lgkmcnt(1)
	v_mul_f64 v[149:150], v[137:138], v[192:193]
	v_mul_f64 v[7:8], v[135:136], v[192:193]
	v_fma_f64 v[133:134], v[133:134], v[196:197], v[147:148]
	s_waitcnt vmcnt(7) lgkmcnt(0)
	v_mul_f64 v[147:148], v[3:4], v[200:201]
	v_add_f64 v[143:144], v[143:144], v[151:152]
	v_add_f64 v[5:6], v[5:6], v[145:146]
	s_waitcnt vmcnt(6)
	v_fma_f64 v[135:136], v[135:136], v[194:195], -v[149:150]
	v_mul_f64 v[145:146], v[1:2], v[200:201]
	v_fma_f64 v[7:8], v[137:138], v[194:195], v[7:8]
	v_add_f64 v[131:132], v[143:144], v[131:132]
	v_add_f64 v[5:6], v[5:6], v[133:134]
	s_waitcnt vmcnt(4)
	v_fma_f64 v[1:2], v[1:2], v[141:142], -v[147:148]
	v_fma_f64 v[3:4], v[3:4], v[141:142], v[145:146]
	v_add_f64 v[131:132], v[131:132], v[135:136]
	v_add_f64 v[5:6], v[5:6], v[7:8]
	;; [unrolled: 1-line block ×4, first 2 shown]
	s_waitcnt vmcnt(2)
	v_add_f64 v[1:2], v[139:140], -v[1:2]
	s_waitcnt vmcnt(0)
	v_add_f64 v[3:4], v[202:203], -v[3:4]
	buffer_store_dword v2, off, s[0:3], 0 offset:724
	buffer_store_dword v1, off, s[0:3], 0 offset:720
	;; [unrolled: 1-line block ×4, first 2 shown]
	v_cmpx_lt_u32_e32 43, v0
	s_cbranch_execz .LBB124_305
; %bb.304:
	v_mov_b32_e32 v4, s31
	v_mov_b32_e32 v5, 0
	s_clause 0x3
	buffer_load_dword v1, v4, s[0:3], 0 offen
	buffer_load_dword v2, v4, s[0:3], 0 offen offset:4
	buffer_load_dword v3, v4, s[0:3], 0 offen offset:8
	;; [unrolled: 1-line block ×3, first 2 shown]
	buffer_store_dword v5, off, s[0:3], 0 offset:704
	buffer_store_dword v5, off, s[0:3], 0 offset:708
	;; [unrolled: 1-line block ×4, first 2 shown]
	s_waitcnt vmcnt(0)
	ds_write_b128 v191, v[1:4]
.LBB124_305:
	s_or_b32 exec_lo, exec_lo, s4
	s_waitcnt lgkmcnt(0)
	s_waitcnt_vscnt null, 0x0
	s_barrier
	buffer_gl0_inv
	s_clause 0x37
	buffer_load_dword v6, off, s[0:3], 0 offset:728
	buffer_load_dword v7, off, s[0:3], 0 offset:732
	;; [unrolled: 1-line block ×56, first 2 shown]
	v_mov_b32_e32 v1, 0
	s_mov_b32 s4, exec_lo
	ds_read_b128 v[2:5], v1 offset:1680
	s_clause 0x2
	buffer_load_dword v193, off, s[0:3], 0 offset:956
	buffer_load_dword v197, off, s[0:3], 0 offset:932
	;; [unrolled: 1-line block ×3, first 2 shown]
	ds_read_b128 v[131:134], v1 offset:1696
	s_clause 0x4
	buffer_load_dword v201, off, s[0:3], 0 offset:972
	buffer_load_dword v202, off, s[0:3], 0 offset:984
	;; [unrolled: 1-line block ×5, first 2 shown]
	ds_read_b128 v[135:138], v1 offset:1712
	s_waitcnt vmcnt(62) lgkmcnt(2)
	v_mul_f64 v[198:199], v[4:5], v[6:7]
	v_mul_f64 v[6:7], v[2:3], v[6:7]
	s_waitcnt vmcnt(60) lgkmcnt(1)
	v_mul_f64 v[205:206], v[133:134], v[139:140]
	v_mul_f64 v[139:140], v[131:132], v[139:140]
	;; [unrolled: 3-line block ×3, first 2 shown]
	v_fma_f64 v[198:199], v[2:3], v[141:142], -v[198:199]
	v_fma_f64 v[6:7], v[4:5], v[141:142], v[6:7]
	s_clause 0x2
	buffer_load_dword v203, off, s[0:3], 0 offset:988
	buffer_load_dword v142, off, s[0:3], 0 offset:964
	;; [unrolled: 1-line block ×3, first 2 shown]
	s_waitcnt vmcnt(57)
	v_fma_f64 v[209:210], v[131:132], v[145:146], -v[205:206]
	ds_read_b128 v[2:5], v1 offset:1728
	v_fma_f64 v[139:140], v[133:134], v[145:146], v[139:140]
	buffer_load_dword v205, off, s[0:3], 0 offset:980
	ds_read_b128 v[131:134], v1 offset:1744
	s_waitcnt vmcnt(52)
	v_fma_f64 v[143:144], v[135:136], v[153:154], -v[143:144]
	v_fma_f64 v[153:154], v[137:138], v[153:154], v[207:208]
	ds_read_b128 v[135:138], v1 offset:1760
	v_add_f64 v[198:199], v[198:199], 0
	v_add_f64 v[6:7], v[6:7], 0
	s_waitcnt lgkmcnt(2)
	v_mul_f64 v[145:146], v[2:3], v[147:148]
	v_mul_f64 v[147:148], v[4:5], v[147:148]
	v_add_f64 v[198:199], v[198:199], v[209:210]
	v_add_f64 v[6:7], v[6:7], v[139:140]
	s_waitcnt vmcnt(51) lgkmcnt(1)
	v_mul_f64 v[139:140], v[131:132], v[149:150]
	v_mul_f64 v[149:150], v[133:134], v[149:150]
	s_waitcnt vmcnt(49)
	v_fma_f64 v[147:148], v[2:3], v[155:156], -v[147:148]
	v_fma_f64 v[145:146], v[4:5], v[155:156], v[145:146]
	v_add_f64 v[143:144], v[198:199], v[143:144]
	v_add_f64 v[6:7], v[6:7], v[153:154]
	s_clause 0x3
	buffer_load_dword v153, off, s[0:3], 0 offset:704
	buffer_load_dword v154, off, s[0:3], 0 offset:708
	;; [unrolled: 1-line block ×4, first 2 shown]
	s_waitcnt vmcnt(49) lgkmcnt(0)
	v_mul_f64 v[198:199], v[135:136], v[157:158]
	v_mul_f64 v[157:158], v[137:138], v[157:158]
	s_waitcnt vmcnt(48)
	v_fma_f64 v[149:150], v[131:132], v[151:152], -v[149:150]
	ds_read_b128 v[2:5], v1 offset:1776
	v_fma_f64 v[139:140], v[133:134], v[151:152], v[139:140]
	ds_read_b128 v[131:134], v1 offset:1792
	v_add_f64 v[143:144], v[143:144], v[147:148]
	v_add_f64 v[6:7], v[6:7], v[145:146]
	s_waitcnt vmcnt(47) lgkmcnt(1)
	v_mul_f64 v[147:148], v[4:5], v[159:160]
	s_waitcnt vmcnt(45)
	v_fma_f64 v[151:152], v[135:136], v[163:164], -v[157:158]
	v_mul_f64 v[145:146], v[2:3], v[159:160]
	s_waitcnt vmcnt(41) lgkmcnt(0)
	v_mul_f64 v[157:158], v[133:134], v[165:166]
	v_add_f64 v[143:144], v[143:144], v[149:150]
	v_fma_f64 v[149:150], v[137:138], v[163:164], v[198:199]
	v_add_f64 v[6:7], v[6:7], v[139:140]
	ds_read_b128 v[135:138], v1 offset:1808
	s_waitcnt vmcnt(40)
	v_fma_f64 v[147:148], v[2:3], v[161:162], -v[147:148]
	v_mul_f64 v[139:140], v[131:132], v[165:166]
	v_fma_f64 v[145:146], v[4:5], v[161:162], v[145:146]
	ds_read_b128 v[2:5], v1 offset:1824
	s_waitcnt vmcnt(37)
	v_fma_f64 v[157:158], v[131:132], v[171:172], -v[157:158]
	v_add_f64 v[143:144], v[143:144], v[151:152]
	s_waitcnt lgkmcnt(1)
	v_mul_f64 v[151:152], v[137:138], v[167:168]
	v_add_f64 v[6:7], v[6:7], v[149:150]
	v_mul_f64 v[149:150], v[135:136], v[167:168]
	v_fma_f64 v[139:140], v[133:134], v[171:172], v[139:140]
	ds_read_b128 v[131:134], v1 offset:1840
	v_add_f64 v[143:144], v[143:144], v[147:148]
	s_waitcnt vmcnt(33) lgkmcnt(1)
	v_mul_f64 v[147:148], v[4:5], v[173:174]
	v_add_f64 v[6:7], v[6:7], v[145:146]
	s_waitcnt vmcnt(32)
	v_fma_f64 v[151:152], v[135:136], v[169:170], -v[151:152]
	v_mul_f64 v[145:146], v[2:3], v[173:174]
	v_fma_f64 v[149:150], v[137:138], v[169:170], v[149:150]
	ds_read_b128 v[135:138], v1 offset:1856
	v_add_f64 v[143:144], v[143:144], v[157:158]
	s_waitcnt vmcnt(31) lgkmcnt(1)
	v_mul_f64 v[157:158], v[133:134], v[175:176]
	v_add_f64 v[6:7], v[6:7], v[139:140]
	s_waitcnt vmcnt(29)
	v_fma_f64 v[147:148], v[2:3], v[179:180], -v[147:148]
	;; [unrolled: 9-line block ×7, first 2 shown]
	v_mul_f64 v[145:146], v[2:3], v[200:201]
	v_fma_f64 v[137:138], v[137:138], v[194:195], v[149:150]
	v_add_f64 v[143:144], v[143:144], v[157:158]
	v_add_f64 v[6:7], v[6:7], v[139:140]
	s_waitcnt vmcnt(7) lgkmcnt(0)
	v_mul_f64 v[149:150], v[133:134], v[202:203]
	v_mul_f64 v[139:140], v[131:132], v[202:203]
	s_waitcnt vmcnt(5)
	v_fma_f64 v[2:3], v[2:3], v[141:142], -v[147:148]
	v_fma_f64 v[4:5], v[4:5], v[141:142], v[145:146]
	v_add_f64 v[135:136], v[143:144], v[135:136]
	v_add_f64 v[6:7], v[6:7], v[137:138]
	s_waitcnt vmcnt(4)
	v_fma_f64 v[131:132], v[131:132], v[204:205], -v[149:150]
	v_fma_f64 v[133:134], v[133:134], v[204:205], v[139:140]
	v_add_f64 v[2:3], v[135:136], v[2:3]
	v_add_f64 v[4:5], v[6:7], v[4:5]
	;; [unrolled: 1-line block ×4, first 2 shown]
	s_waitcnt vmcnt(2)
	v_add_f64 v[2:3], v[153:154], -v[2:3]
	s_waitcnt vmcnt(0)
	v_add_f64 v[4:5], v[155:156], -v[4:5]
	buffer_store_dword v3, off, s[0:3], 0 offset:708
	buffer_store_dword v2, off, s[0:3], 0 offset:704
	;; [unrolled: 1-line block ×4, first 2 shown]
	v_cmpx_lt_u32_e32 42, v0
	s_cbranch_execz .LBB124_307
; %bb.306:
	v_mov_b32_e32 v5, s33
	s_clause 0x3
	buffer_load_dword v2, v5, s[0:3], 0 offen
	buffer_load_dword v3, v5, s[0:3], 0 offen offset:4
	buffer_load_dword v4, v5, s[0:3], 0 offen offset:8
	;; [unrolled: 1-line block ×3, first 2 shown]
	buffer_store_dword v1, off, s[0:3], 0 offset:688
	buffer_store_dword v1, off, s[0:3], 0 offset:692
	;; [unrolled: 1-line block ×4, first 2 shown]
	s_waitcnt vmcnt(0)
	ds_write_b128 v191, v[2:5]
.LBB124_307:
	s_or_b32 exec_lo, exec_lo, s4
	s_waitcnt lgkmcnt(0)
	s_waitcnt_vscnt null, 0x0
	s_barrier
	buffer_gl0_inv
	s_clause 0x37
	buffer_load_dword v6, off, s[0:3], 0 offset:712
	buffer_load_dword v7, off, s[0:3], 0 offset:716
	;; [unrolled: 1-line block ×56, first 2 shown]
	ds_read_b128 v[2:5], v1 offset:1664
	s_clause 0x2
	buffer_load_dword v193, off, s[0:3], 0 offset:940
	buffer_load_dword v197, off, s[0:3], 0 offset:916
	;; [unrolled: 1-line block ×3, first 2 shown]
	ds_read_b128 v[131:134], v1 offset:1680
	s_clause 0x4
	buffer_load_dword v201, off, s[0:3], 0 offset:956
	buffer_load_dword v202, off, s[0:3], 0 offset:968
	;; [unrolled: 1-line block ×5, first 2 shown]
	ds_read_b128 v[135:138], v1 offset:1696
	s_mov_b32 s4, exec_lo
	s_waitcnt vmcnt(62) lgkmcnt(2)
	v_mul_f64 v[198:199], v[4:5], v[6:7]
	v_mul_f64 v[6:7], v[2:3], v[6:7]
	s_waitcnt vmcnt(60) lgkmcnt(1)
	v_mul_f64 v[205:206], v[133:134], v[139:140]
	v_mul_f64 v[139:140], v[131:132], v[139:140]
	;; [unrolled: 3-line block ×3, first 2 shown]
	v_fma_f64 v[198:199], v[2:3], v[141:142], -v[198:199]
	v_fma_f64 v[6:7], v[4:5], v[141:142], v[6:7]
	s_clause 0x2
	buffer_load_dword v203, off, s[0:3], 0 offset:972
	buffer_load_dword v142, off, s[0:3], 0 offset:948
	;; [unrolled: 1-line block ×3, first 2 shown]
	s_waitcnt vmcnt(57)
	v_fma_f64 v[209:210], v[131:132], v[145:146], -v[205:206]
	ds_read_b128 v[2:5], v1 offset:1712
	v_fma_f64 v[139:140], v[133:134], v[145:146], v[139:140]
	s_clause 0x2
	buffer_load_dword v146, off, s[0:3], 0 offset:988
	buffer_load_dword v145, off, s[0:3], 0 offset:984
	;; [unrolled: 1-line block ×3, first 2 shown]
	s_waitcnt vmcnt(54)
	v_fma_f64 v[143:144], v[135:136], v[153:154], -v[143:144]
	ds_read_b128 v[131:134], v1 offset:1728
	v_fma_f64 v[153:154], v[137:138], v[153:154], v[207:208]
	v_add_f64 v[198:199], v[198:199], 0
	v_add_f64 v[6:7], v[6:7], 0
	s_waitcnt lgkmcnt(1)
	v_mul_f64 v[211:212], v[2:3], v[147:148]
	v_mul_f64 v[147:148], v[4:5], v[147:148]
	s_waitcnt vmcnt(53) lgkmcnt(0)
	v_mul_f64 v[206:207], v[131:132], v[149:150]
	v_mul_f64 v[149:150], v[133:134], v[149:150]
	v_add_f64 v[198:199], v[198:199], v[209:210]
	v_add_f64 v[6:7], v[6:7], v[139:140]
	s_clause 0x1
	buffer_load_dword v140, off, s[0:3], 0 offset:980
	buffer_load_dword v139, off, s[0:3], 0 offset:976
	s_waitcnt vmcnt(53)
	v_fma_f64 v[147:148], v[2:3], v[155:156], -v[147:148]
	ds_read_b128 v[135:138], v1 offset:1744
	v_fma_f64 v[155:156], v[4:5], v[155:156], v[211:212]
	ds_read_b128 v[2:5], v1 offset:1760
	s_waitcnt vmcnt(48)
	v_fma_f64 v[149:150], v[131:132], v[151:152], -v[149:150]
	v_add_f64 v[143:144], v[198:199], v[143:144]
	v_add_f64 v[6:7], v[6:7], v[153:154]
	s_waitcnt lgkmcnt(1)
	v_mul_f64 v[153:154], v[135:136], v[157:158]
	v_mul_f64 v[157:158], v[137:138], v[157:158]
	s_waitcnt vmcnt(47) lgkmcnt(0)
	v_mul_f64 v[198:199], v[2:3], v[159:160]
	v_mul_f64 v[159:160], v[4:5], v[159:160]
	v_add_f64 v[143:144], v[143:144], v[147:148]
	v_fma_f64 v[147:148], v[133:134], v[151:152], v[206:207]
	v_add_f64 v[6:7], v[6:7], v[155:156]
	s_clause 0x3
	buffer_load_dword v151, off, s[0:3], 0 offset:688
	buffer_load_dword v152, off, s[0:3], 0 offset:692
	;; [unrolled: 1-line block ×4, first 2 shown]
	s_waitcnt vmcnt(49)
	v_fma_f64 v[157:158], v[135:136], v[163:164], -v[157:158]
	ds_read_b128 v[131:134], v1 offset:1776
	s_waitcnt vmcnt(44)
	v_fma_f64 v[159:160], v[2:3], v[161:162], -v[159:160]
	v_add_f64 v[143:144], v[143:144], v[149:150]
	v_fma_f64 v[149:150], v[137:138], v[163:164], v[153:154]
	v_add_f64 v[6:7], v[6:7], v[147:148]
	ds_read_b128 v[135:138], v1 offset:1792
	s_waitcnt lgkmcnt(1)
	v_mul_f64 v[153:154], v[133:134], v[165:166]
	v_mul_f64 v[147:148], v[131:132], v[165:166]
	v_add_f64 v[143:144], v[143:144], v[157:158]
	v_fma_f64 v[157:158], v[4:5], v[161:162], v[198:199]
	v_add_f64 v[6:7], v[6:7], v[149:150]
	s_waitcnt vmcnt(43) lgkmcnt(0)
	v_mul_f64 v[161:162], v[137:138], v[167:168]
	s_waitcnt vmcnt(41)
	v_fma_f64 v[153:154], v[131:132], v[171:172], -v[153:154]
	ds_read_b128 v[2:5], v1 offset:1808
	v_mul_f64 v[149:150], v[135:136], v[167:168]
	v_fma_f64 v[147:148], v[133:134], v[171:172], v[147:148]
	ds_read_b128 v[131:134], v1 offset:1824
	v_add_f64 v[143:144], v[143:144], v[159:160]
	v_add_f64 v[6:7], v[6:7], v[157:158]
	s_waitcnt vmcnt(37) lgkmcnt(1)
	v_mul_f64 v[159:160], v[4:5], v[173:174]
	s_waitcnt vmcnt(36)
	v_fma_f64 v[161:162], v[135:136], v[169:170], -v[161:162]
	v_mul_f64 v[157:158], v[2:3], v[173:174]
	v_fma_f64 v[149:150], v[137:138], v[169:170], v[149:150]
	ds_read_b128 v[135:138], v1 offset:1840
	v_add_f64 v[143:144], v[143:144], v[153:154]
	s_waitcnt vmcnt(35) lgkmcnt(1)
	v_mul_f64 v[153:154], v[133:134], v[175:176]
	v_add_f64 v[6:7], v[6:7], v[147:148]
	s_waitcnt vmcnt(33)
	v_fma_f64 v[159:160], v[2:3], v[179:180], -v[159:160]
	v_mul_f64 v[147:148], v[131:132], v[175:176]
	v_fma_f64 v[157:158], v[4:5], v[179:180], v[157:158]
	ds_read_b128 v[2:5], v1 offset:1856
	v_add_f64 v[143:144], v[143:144], v[161:162]
	s_waitcnt vmcnt(29) lgkmcnt(1)
	v_mul_f64 v[161:162], v[137:138], v[181:182]
	v_add_f64 v[6:7], v[6:7], v[149:150]
	;; [unrolled: 9-line block ×6, first 2 shown]
	s_waitcnt vmcnt(12)
	v_fma_f64 v[161:162], v[135:136], v[194:195], -v[161:162]
	v_mul_f64 v[157:158], v[2:3], v[200:201]
	v_fma_f64 v[149:150], v[137:138], v[194:195], v[149:150]
	ds_read_b128 v[135:138], v1 offset:1936
	v_add_f64 v[143:144], v[143:144], v[153:154]
	v_add_f64 v[6:7], v[6:7], v[147:148]
	s_waitcnt vmcnt(11) lgkmcnt(1)
	v_mul_f64 v[153:154], v[133:134], v[202:203]
	v_mul_f64 v[147:148], v[131:132], v[202:203]
	s_waitcnt vmcnt(9)
	v_fma_f64 v[1:2], v[2:3], v[141:142], -v[159:160]
	v_fma_f64 v[3:4], v[4:5], v[141:142], v[157:158]
	s_waitcnt vmcnt(7) lgkmcnt(0)
	v_mul_f64 v[141:142], v[137:138], v[145:146]
	v_add_f64 v[143:144], v[143:144], v[161:162]
	v_add_f64 v[5:6], v[6:7], v[149:150]
	v_mul_f64 v[7:8], v[135:136], v[145:146]
	s_waitcnt vmcnt(6)
	v_fma_f64 v[131:132], v[131:132], v[204:205], -v[153:154]
	v_fma_f64 v[133:134], v[133:134], v[204:205], v[147:148]
	v_add_f64 v[1:2], v[143:144], v[1:2]
	v_add_f64 v[3:4], v[5:6], v[3:4]
	s_waitcnt vmcnt(4)
	v_fma_f64 v[5:6], v[135:136], v[139:140], -v[141:142]
	v_fma_f64 v[7:8], v[137:138], v[139:140], v[7:8]
	v_add_f64 v[1:2], v[1:2], v[131:132]
	v_add_f64 v[3:4], v[3:4], v[133:134]
	;; [unrolled: 1-line block ×4, first 2 shown]
	s_waitcnt vmcnt(2)
	v_add_f64 v[1:2], v[151:152], -v[1:2]
	s_waitcnt vmcnt(0)
	v_add_f64 v[3:4], v[155:156], -v[3:4]
	buffer_store_dword v2, off, s[0:3], 0 offset:692
	buffer_store_dword v1, off, s[0:3], 0 offset:688
	;; [unrolled: 1-line block ×4, first 2 shown]
	v_cmpx_lt_u32_e32 41, v0
	s_cbranch_execz .LBB124_309
; %bb.308:
	v_mov_b32_e32 v4, s34
	v_mov_b32_e32 v5, 0
	s_clause 0x3
	buffer_load_dword v1, v4, s[0:3], 0 offen
	buffer_load_dword v2, v4, s[0:3], 0 offen offset:4
	buffer_load_dword v3, v4, s[0:3], 0 offen offset:8
	;; [unrolled: 1-line block ×3, first 2 shown]
	buffer_store_dword v5, off, s[0:3], 0 offset:672
	buffer_store_dword v5, off, s[0:3], 0 offset:676
	;; [unrolled: 1-line block ×4, first 2 shown]
	s_waitcnt vmcnt(0)
	ds_write_b128 v191, v[1:4]
.LBB124_309:
	s_or_b32 exec_lo, exec_lo, s4
	s_waitcnt lgkmcnt(0)
	s_waitcnt_vscnt null, 0x0
	s_barrier
	buffer_gl0_inv
	s_clause 0x37
	buffer_load_dword v6, off, s[0:3], 0 offset:696
	buffer_load_dword v7, off, s[0:3], 0 offset:700
	;; [unrolled: 1-line block ×56, first 2 shown]
	v_mov_b32_e32 v1, 0
	s_mov_b32 s4, exec_lo
	ds_read_b128 v[2:5], v1 offset:1648
	s_clause 0x2
	buffer_load_dword v193, off, s[0:3], 0 offset:924
	buffer_load_dword v197, off, s[0:3], 0 offset:900
	;; [unrolled: 1-line block ×3, first 2 shown]
	ds_read_b128 v[131:134], v1 offset:1664
	s_clause 0x4
	buffer_load_dword v201, off, s[0:3], 0 offset:940
	buffer_load_dword v202, off, s[0:3], 0 offset:952
	;; [unrolled: 1-line block ×5, first 2 shown]
	ds_read_b128 v[135:138], v1 offset:1680
	s_waitcnt vmcnt(62) lgkmcnt(2)
	v_mul_f64 v[198:199], v[4:5], v[6:7]
	v_mul_f64 v[6:7], v[2:3], v[6:7]
	s_waitcnt vmcnt(60) lgkmcnt(1)
	v_mul_f64 v[205:206], v[133:134], v[139:140]
	v_mul_f64 v[139:140], v[131:132], v[139:140]
	;; [unrolled: 3-line block ×3, first 2 shown]
	v_fma_f64 v[198:199], v[2:3], v[141:142], -v[198:199]
	v_fma_f64 v[6:7], v[4:5], v[141:142], v[6:7]
	s_clause 0x2
	buffer_load_dword v203, off, s[0:3], 0 offset:956
	buffer_load_dword v142, off, s[0:3], 0 offset:932
	;; [unrolled: 1-line block ×3, first 2 shown]
	s_waitcnt vmcnt(57)
	v_fma_f64 v[209:210], v[131:132], v[145:146], -v[205:206]
	ds_read_b128 v[2:5], v1 offset:1696
	v_fma_f64 v[139:140], v[133:134], v[145:146], v[139:140]
	s_clause 0x4
	buffer_load_dword v146, off, s[0:3], 0 offset:972
	buffer_load_dword v206, off, s[0:3], 0 offset:984
	;; [unrolled: 1-line block ×5, first 2 shown]
	s_waitcnt vmcnt(56)
	v_fma_f64 v[143:144], v[135:136], v[153:154], -v[143:144]
	ds_read_b128 v[131:134], v1 offset:1712
	v_fma_f64 v[153:154], v[137:138], v[153:154], v[207:208]
	v_add_f64 v[198:199], v[198:199], 0
	v_add_f64 v[6:7], v[6:7], 0
	s_waitcnt lgkmcnt(1)
	v_mul_f64 v[212:213], v[2:3], v[147:148]
	v_mul_f64 v[147:148], v[4:5], v[147:148]
	v_add_f64 v[198:199], v[198:199], v[209:210]
	v_add_f64 v[6:7], v[6:7], v[139:140]
	s_clause 0x2
	buffer_load_dword v207, off, s[0:3], 0 offset:988
	buffer_load_dword v140, off, s[0:3], 0 offset:964
	;; [unrolled: 1-line block ×3, first 2 shown]
	s_waitcnt vmcnt(58) lgkmcnt(0)
	v_mul_f64 v[208:209], v[131:132], v[149:150]
	v_mul_f64 v[149:150], v[133:134], v[149:150]
	s_waitcnt vmcnt(56)
	v_fma_f64 v[147:148], v[2:3], v[155:156], -v[147:148]
	ds_read_b128 v[135:138], v1 offset:1728
	v_fma_f64 v[155:156], v[4:5], v[155:156], v[212:213]
	buffer_load_dword v212, off, s[0:3], 0 offset:980
	ds_read_b128 v[2:5], v1 offset:1744
	v_add_f64 v[143:144], v[198:199], v[143:144]
	v_add_f64 v[6:7], v[6:7], v[153:154]
	s_waitcnt vmcnt(53) lgkmcnt(1)
	v_mul_f64 v[153:154], v[135:136], v[157:158]
	v_mul_f64 v[157:158], v[137:138], v[157:158]
	s_waitcnt vmcnt(52)
	v_fma_f64 v[149:150], v[131:132], v[151:152], -v[149:150]
	v_add_f64 v[143:144], v[143:144], v[147:148]
	v_fma_f64 v[147:148], v[133:134], v[151:152], v[208:209]
	v_add_f64 v[6:7], v[6:7], v[155:156]
	s_waitcnt vmcnt(51) lgkmcnt(0)
	v_mul_f64 v[155:156], v[4:5], v[159:160]
	ds_read_b128 v[131:134], v1 offset:1760
	s_waitcnt vmcnt(49)
	v_fma_f64 v[157:158], v[135:136], v[163:164], -v[157:158]
	v_mul_f64 v[151:152], v[2:3], v[159:160]
	v_add_f64 v[143:144], v[143:144], v[149:150]
	v_fma_f64 v[149:150], v[137:138], v[163:164], v[153:154]
	v_add_f64 v[6:7], v[6:7], v[147:148]
	s_clause 0x3
	buffer_load_dword v147, off, s[0:3], 0 offset:672
	buffer_load_dword v148, off, s[0:3], 0 offset:676
	;; [unrolled: 1-line block ×4, first 2 shown]
	s_waitcnt vmcnt(49) lgkmcnt(0)
	v_mul_f64 v[163:164], v[133:134], v[165:166]
	s_waitcnt vmcnt(48)
	v_fma_f64 v[155:156], v[2:3], v[161:162], -v[155:156]
	ds_read_b128 v[135:138], v1 offset:1776
	v_mul_f64 v[159:160], v[131:132], v[165:166]
	v_fma_f64 v[151:152], v[4:5], v[161:162], v[151:152]
	ds_read_b128 v[2:5], v1 offset:1792
	v_add_f64 v[143:144], v[143:144], v[157:158]
	v_add_f64 v[6:7], v[6:7], v[149:150]
	s_waitcnt vmcnt(47) lgkmcnt(1)
	v_mul_f64 v[157:158], v[137:138], v[167:168]
	s_waitcnt vmcnt(45)
	v_fma_f64 v[161:162], v[131:132], v[171:172], -v[163:164]
	v_mul_f64 v[149:150], v[135:136], v[167:168]
	v_add_f64 v[143:144], v[143:144], v[155:156]
	v_fma_f64 v[155:156], v[133:134], v[171:172], v[159:160]
	v_add_f64 v[6:7], v[6:7], v[151:152]
	s_waitcnt vmcnt(41) lgkmcnt(0)
	v_mul_f64 v[159:160], v[4:5], v[173:174]
	s_waitcnt vmcnt(40)
	v_fma_f64 v[157:158], v[135:136], v[169:170], -v[157:158]
	ds_read_b128 v[131:134], v1 offset:1808
	v_mul_f64 v[151:152], v[2:3], v[173:174]
	v_fma_f64 v[149:150], v[137:138], v[169:170], v[149:150]
	ds_read_b128 v[135:138], v1 offset:1824
	v_add_f64 v[143:144], v[143:144], v[161:162]
	v_add_f64 v[6:7], v[6:7], v[155:156]
	s_waitcnt vmcnt(39) lgkmcnt(1)
	v_mul_f64 v[161:162], v[133:134], v[175:176]
	s_waitcnt vmcnt(37)
	v_fma_f64 v[159:160], v[2:3], v[179:180], -v[159:160]
	v_mul_f64 v[155:156], v[131:132], v[175:176]
	v_fma_f64 v[151:152], v[4:5], v[179:180], v[151:152]
	ds_read_b128 v[2:5], v1 offset:1840
	v_add_f64 v[143:144], v[143:144], v[157:158]
	s_waitcnt vmcnt(33) lgkmcnt(1)
	v_mul_f64 v[157:158], v[137:138], v[181:182]
	v_add_f64 v[6:7], v[6:7], v[149:150]
	s_waitcnt vmcnt(32)
	v_fma_f64 v[161:162], v[131:132], v[177:178], -v[161:162]
	v_mul_f64 v[149:150], v[135:136], v[181:182]
	v_fma_f64 v[155:156], v[133:134], v[177:178], v[155:156]
	ds_read_b128 v[131:134], v1 offset:1856
	v_add_f64 v[143:144], v[143:144], v[159:160]
	s_waitcnt vmcnt(31) lgkmcnt(1)
	v_mul_f64 v[159:160], v[4:5], v[183:184]
	v_add_f64 v[6:7], v[6:7], v[151:152]
	;; [unrolled: 9-line block ×5, first 2 shown]
	s_waitcnt vmcnt(16)
	v_fma_f64 v[157:158], v[135:136], v[194:195], -v[157:158]
	v_mul_f64 v[151:152], v[2:3], v[200:201]
	v_fma_f64 v[149:150], v[137:138], v[194:195], v[149:150]
	ds_read_b128 v[135:138], v1 offset:1920
	v_add_f64 v[143:144], v[143:144], v[161:162]
	v_add_f64 v[6:7], v[6:7], v[155:156]
	s_waitcnt vmcnt(15) lgkmcnt(1)
	v_mul_f64 v[161:162], v[133:134], v[202:203]
	v_mul_f64 v[155:156], v[131:132], v[202:203]
	s_waitcnt vmcnt(13)
	v_fma_f64 v[159:160], v[2:3], v[141:142], -v[159:160]
	v_fma_f64 v[141:142], v[4:5], v[141:142], v[151:152]
	ds_read_b128 v[2:5], v1 offset:1936
	v_add_f64 v[143:144], v[143:144], v[157:158]
	v_add_f64 v[6:7], v[6:7], v[149:150]
	s_waitcnt vmcnt(9) lgkmcnt(1)
	v_mul_f64 v[149:150], v[135:136], v[145:146]
	v_mul_f64 v[145:146], v[137:138], v[145:146]
	s_waitcnt vmcnt(8)
	v_fma_f64 v[131:132], v[131:132], v[204:205], -v[161:162]
	v_fma_f64 v[133:134], v[133:134], v[204:205], v[155:156]
	v_add_f64 v[143:144], v[143:144], v[159:160]
	v_add_f64 v[6:7], v[6:7], v[141:142]
	s_waitcnt vmcnt(7) lgkmcnt(0)
	v_mul_f64 v[151:152], v[4:5], v[206:207]
	v_mul_f64 v[141:142], v[2:3], v[206:207]
	s_waitcnt vmcnt(5)
	v_fma_f64 v[135:136], v[135:136], v[139:140], -v[145:146]
	v_fma_f64 v[137:138], v[137:138], v[139:140], v[149:150]
	v_add_f64 v[131:132], v[143:144], v[131:132]
	v_add_f64 v[6:7], v[6:7], v[133:134]
	s_waitcnt vmcnt(4)
	v_fma_f64 v[2:3], v[2:3], v[211:212], -v[151:152]
	v_fma_f64 v[4:5], v[4:5], v[211:212], v[141:142]
	v_add_f64 v[131:132], v[131:132], v[135:136]
	v_add_f64 v[6:7], v[6:7], v[137:138]
	;; [unrolled: 1-line block ×4, first 2 shown]
	s_waitcnt vmcnt(2)
	v_add_f64 v[2:3], v[147:148], -v[2:3]
	s_waitcnt vmcnt(0)
	v_add_f64 v[4:5], v[153:154], -v[4:5]
	buffer_store_dword v3, off, s[0:3], 0 offset:676
	buffer_store_dword v2, off, s[0:3], 0 offset:672
	;; [unrolled: 1-line block ×4, first 2 shown]
	v_cmpx_lt_u32_e32 40, v0
	s_cbranch_execz .LBB124_311
; %bb.310:
	v_mov_b32_e32 v5, s35
	s_clause 0x3
	buffer_load_dword v2, v5, s[0:3], 0 offen
	buffer_load_dword v3, v5, s[0:3], 0 offen offset:4
	buffer_load_dword v4, v5, s[0:3], 0 offen offset:8
	;; [unrolled: 1-line block ×3, first 2 shown]
	buffer_store_dword v1, off, s[0:3], 0 offset:656
	buffer_store_dword v1, off, s[0:3], 0 offset:660
	;; [unrolled: 1-line block ×4, first 2 shown]
	s_waitcnt vmcnt(0)
	ds_write_b128 v191, v[2:5]
.LBB124_311:
	s_or_b32 exec_lo, exec_lo, s4
	s_waitcnt lgkmcnt(0)
	s_waitcnt_vscnt null, 0x0
	s_barrier
	buffer_gl0_inv
	s_clause 0x37
	buffer_load_dword v6, off, s[0:3], 0 offset:680
	buffer_load_dword v7, off, s[0:3], 0 offset:684
	;; [unrolled: 1-line block ×56, first 2 shown]
	ds_read_b128 v[2:5], v1 offset:1632
	s_clause 0x2
	buffer_load_dword v193, off, s[0:3], 0 offset:908
	buffer_load_dword v197, off, s[0:3], 0 offset:884
	buffer_load_dword v196, off, s[0:3], 0 offset:880
	ds_read_b128 v[131:134], v1 offset:1648
	s_clause 0x4
	buffer_load_dword v201, off, s[0:3], 0 offset:924
	buffer_load_dword v202, off, s[0:3], 0 offset:936
	;; [unrolled: 1-line block ×5, first 2 shown]
	ds_read_b128 v[135:138], v1 offset:1664
	s_mov_b32 s4, exec_lo
	s_waitcnt vmcnt(62) lgkmcnt(2)
	v_mul_f64 v[198:199], v[4:5], v[6:7]
	v_mul_f64 v[6:7], v[2:3], v[6:7]
	s_waitcnt vmcnt(60) lgkmcnt(1)
	v_mul_f64 v[205:206], v[133:134], v[139:140]
	v_mul_f64 v[139:140], v[131:132], v[139:140]
	;; [unrolled: 3-line block ×3, first 2 shown]
	v_fma_f64 v[198:199], v[2:3], v[141:142], -v[198:199]
	v_fma_f64 v[6:7], v[4:5], v[141:142], v[6:7]
	s_clause 0x2
	buffer_load_dword v203, off, s[0:3], 0 offset:940
	buffer_load_dword v142, off, s[0:3], 0 offset:916
	;; [unrolled: 1-line block ×3, first 2 shown]
	s_waitcnt vmcnt(57)
	v_fma_f64 v[209:210], v[131:132], v[145:146], -v[205:206]
	ds_read_b128 v[2:5], v1 offset:1680
	v_fma_f64 v[139:140], v[133:134], v[145:146], v[139:140]
	s_clause 0x4
	buffer_load_dword v146, off, s[0:3], 0 offset:956
	buffer_load_dword v206, off, s[0:3], 0 offset:968
	buffer_load_dword v211, off, s[0:3], 0 offset:960
	buffer_load_dword v145, off, s[0:3], 0 offset:952
	buffer_load_dword v205, off, s[0:3], 0 offset:932
	s_waitcnt vmcnt(56)
	v_fma_f64 v[143:144], v[135:136], v[153:154], -v[143:144]
	ds_read_b128 v[131:134], v1 offset:1696
	v_fma_f64 v[153:154], v[137:138], v[153:154], v[207:208]
	v_add_f64 v[198:199], v[198:199], 0
	v_add_f64 v[6:7], v[6:7], 0
	s_waitcnt lgkmcnt(1)
	v_mul_f64 v[212:213], v[2:3], v[147:148]
	v_mul_f64 v[147:148], v[4:5], v[147:148]
	v_add_f64 v[198:199], v[198:199], v[209:210]
	v_add_f64 v[6:7], v[6:7], v[139:140]
	s_clause 0x2
	buffer_load_dword v207, off, s[0:3], 0 offset:972
	buffer_load_dword v140, off, s[0:3], 0 offset:948
	;; [unrolled: 1-line block ×3, first 2 shown]
	s_waitcnt vmcnt(58) lgkmcnt(0)
	v_mul_f64 v[208:209], v[131:132], v[149:150]
	v_mul_f64 v[149:150], v[133:134], v[149:150]
	s_waitcnt vmcnt(56)
	v_fma_f64 v[147:148], v[2:3], v[155:156], -v[147:148]
	ds_read_b128 v[135:138], v1 offset:1712
	v_fma_f64 v[155:156], v[4:5], v[155:156], v[212:213]
	v_add_f64 v[143:144], v[198:199], v[143:144]
	v_add_f64 v[6:7], v[6:7], v[153:154]
	s_clause 0x2
	buffer_load_dword v154, off, s[0:3], 0 offset:988
	buffer_load_dword v153, off, s[0:3], 0 offset:984
	buffer_load_dword v212, off, s[0:3], 0 offset:964
	ds_read_b128 v[2:5], v1 offset:1728
	s_waitcnt vmcnt(55) lgkmcnt(1)
	v_mul_f64 v[198:199], v[135:136], v[157:158]
	v_mul_f64 v[157:158], v[137:138], v[157:158]
	s_waitcnt vmcnt(54)
	v_fma_f64 v[149:150], v[131:132], v[151:152], -v[149:150]
	v_add_f64 v[143:144], v[143:144], v[147:148]
	v_fma_f64 v[147:148], v[133:134], v[151:152], v[208:209]
	v_add_f64 v[6:7], v[6:7], v[155:156]
	s_clause 0x1
	buffer_load_dword v152, off, s[0:3], 0 offset:980
	buffer_load_dword v151, off, s[0:3], 0 offset:976
	s_waitcnt vmcnt(55) lgkmcnt(0)
	v_mul_f64 v[155:156], v[2:3], v[159:160]
	v_mul_f64 v[159:160], v[4:5], v[159:160]
	s_waitcnt vmcnt(53)
	v_fma_f64 v[157:158], v[135:136], v[163:164], -v[157:158]
	ds_read_b128 v[131:134], v1 offset:1744
	v_add_f64 v[143:144], v[143:144], v[149:150]
	v_fma_f64 v[149:150], v[137:138], v[163:164], v[198:199]
	v_add_f64 v[6:7], v[6:7], v[147:148]
	ds_read_b128 v[135:138], v1 offset:1760
	s_waitcnt vmcnt(48)
	v_fma_f64 v[155:156], v[4:5], v[161:162], v[155:156]
	s_waitcnt lgkmcnt(1)
	v_mul_f64 v[163:164], v[133:134], v[165:166]
	v_fma_f64 v[159:160], v[2:3], v[161:162], -v[159:160]
	v_mul_f64 v[147:148], v[131:132], v[165:166]
	v_add_f64 v[143:144], v[143:144], v[157:158]
	s_waitcnt vmcnt(47) lgkmcnt(0)
	v_mul_f64 v[165:166], v[137:138], v[167:168]
	v_add_f64 v[6:7], v[6:7], v[149:150]
	s_clause 0x3
	buffer_load_dword v149, off, s[0:3], 0 offset:656
	buffer_load_dword v150, off, s[0:3], 0 offset:660
	;; [unrolled: 1-line block ×4, first 2 shown]
	ds_read_b128 v[2:5], v1 offset:1776
	s_waitcnt vmcnt(49)
	v_fma_f64 v[163:164], v[131:132], v[171:172], -v[163:164]
	v_mul_f64 v[161:162], v[135:136], v[167:168]
	v_fma_f64 v[147:148], v[133:134], v[171:172], v[147:148]
	ds_read_b128 v[131:134], v1 offset:1792
	v_add_f64 v[143:144], v[143:144], v[159:160]
	s_waitcnt vmcnt(44)
	v_fma_f64 v[165:166], v[135:136], v[169:170], -v[165:166]
	v_add_f64 v[6:7], v[6:7], v[155:156]
	s_waitcnt lgkmcnt(1)
	v_mul_f64 v[159:160], v[4:5], v[173:174]
	v_mul_f64 v[155:156], v[2:3], v[173:174]
	v_fma_f64 v[161:162], v[137:138], v[169:170], v[161:162]
	ds_read_b128 v[135:138], v1 offset:1808
	v_add_f64 v[143:144], v[143:144], v[163:164]
	s_waitcnt vmcnt(43) lgkmcnt(1)
	v_mul_f64 v[163:164], v[133:134], v[175:176]
	v_add_f64 v[6:7], v[6:7], v[147:148]
	s_waitcnt vmcnt(41)
	v_fma_f64 v[159:160], v[2:3], v[179:180], -v[159:160]
	v_mul_f64 v[147:148], v[131:132], v[175:176]
	v_fma_f64 v[155:156], v[4:5], v[179:180], v[155:156]
	ds_read_b128 v[2:5], v1 offset:1824
	v_add_f64 v[143:144], v[143:144], v[165:166]
	s_waitcnt vmcnt(37) lgkmcnt(1)
	v_mul_f64 v[165:166], v[137:138], v[181:182]
	v_add_f64 v[6:7], v[6:7], v[161:162]
	s_waitcnt vmcnt(36)
	v_fma_f64 v[163:164], v[131:132], v[177:178], -v[163:164]
	v_mul_f64 v[161:162], v[135:136], v[181:182]
	v_fma_f64 v[147:148], v[133:134], v[177:178], v[147:148]
	ds_read_b128 v[131:134], v1 offset:1840
	v_add_f64 v[143:144], v[143:144], v[159:160]
	s_waitcnt vmcnt(35) lgkmcnt(1)
	v_mul_f64 v[159:160], v[4:5], v[183:184]
	v_add_f64 v[6:7], v[6:7], v[155:156]
	s_waitcnt vmcnt(33)
	v_fma_f64 v[165:166], v[135:136], v[187:188], -v[165:166]
	v_mul_f64 v[155:156], v[2:3], v[183:184]
	v_fma_f64 v[161:162], v[137:138], v[187:188], v[161:162]
	ds_read_b128 v[135:138], v1 offset:1856
	v_add_f64 v[143:144], v[143:144], v[163:164]
	s_waitcnt vmcnt(29) lgkmcnt(1)
	v_mul_f64 v[163:164], v[133:134], v[189:190]
	v_add_f64 v[6:7], v[6:7], v[147:148]
	s_waitcnt vmcnt(28)
	v_fma_f64 v[159:160], v[2:3], v[185:186], -v[159:160]
	v_mul_f64 v[147:148], v[131:132], v[189:190]
	v_fma_f64 v[155:156], v[4:5], v[185:186], v[155:156]
	ds_read_b128 v[2:5], v1 offset:1872
	v_add_f64 v[143:144], v[143:144], v[165:166]
	s_waitcnt vmcnt(27) lgkmcnt(1)
	v_mul_f64 v[165:166], v[137:138], v[192:193]
	v_add_f64 v[6:7], v[6:7], v[161:162]
	s_waitcnt vmcnt(25)
	v_fma_f64 v[163:164], v[131:132], v[196:197], -v[163:164]
	v_mul_f64 v[161:162], v[135:136], v[192:193]
	v_fma_f64 v[147:148], v[133:134], v[196:197], v[147:148]
	ds_read_b128 v[131:134], v1 offset:1888
	v_add_f64 v[143:144], v[143:144], v[159:160]
	s_waitcnt vmcnt(21) lgkmcnt(1)
	v_mul_f64 v[159:160], v[4:5], v[200:201]
	v_add_f64 v[6:7], v[6:7], v[155:156]
	s_waitcnt vmcnt(20)
	v_fma_f64 v[165:166], v[135:136], v[194:195], -v[165:166]
	v_mul_f64 v[155:156], v[2:3], v[200:201]
	v_fma_f64 v[161:162], v[137:138], v[194:195], v[161:162]
	ds_read_b128 v[135:138], v1 offset:1904
	v_add_f64 v[143:144], v[143:144], v[163:164]
	v_add_f64 v[6:7], v[6:7], v[147:148]
	s_waitcnt vmcnt(19) lgkmcnt(1)
	v_mul_f64 v[163:164], v[133:134], v[202:203]
	v_mul_f64 v[147:148], v[131:132], v[202:203]
	s_waitcnt vmcnt(17)
	v_fma_f64 v[159:160], v[2:3], v[141:142], -v[159:160]
	v_fma_f64 v[141:142], v[4:5], v[141:142], v[155:156]
	ds_read_b128 v[2:5], v1 offset:1920
	s_waitcnt vmcnt(13) lgkmcnt(1)
	v_mul_f64 v[155:156], v[135:136], v[145:146]
	v_mul_f64 v[145:146], v[137:138], v[145:146]
	v_add_f64 v[143:144], v[143:144], v[165:166]
	v_add_f64 v[6:7], v[6:7], v[161:162]
	s_waitcnt vmcnt(12)
	v_fma_f64 v[161:162], v[131:132], v[204:205], -v[163:164]
	v_fma_f64 v[147:148], v[133:134], v[204:205], v[147:148]
	ds_read_b128 v[131:134], v1 offset:1936
	v_add_f64 v[143:144], v[143:144], v[159:160]
	v_add_f64 v[6:7], v[6:7], v[141:142]
	s_waitcnt vmcnt(11) lgkmcnt(1)
	v_mul_f64 v[159:160], v[4:5], v[206:207]
	v_mul_f64 v[141:142], v[2:3], v[206:207]
	s_waitcnt vmcnt(9)
	v_fma_f64 v[135:136], v[135:136], v[139:140], -v[145:146]
	v_fma_f64 v[137:138], v[137:138], v[139:140], v[155:156]
	v_add_f64 v[143:144], v[143:144], v[161:162]
	v_add_f64 v[6:7], v[6:7], v[147:148]
	s_waitcnt vmcnt(7) lgkmcnt(0)
	v_mul_f64 v[145:146], v[133:134], v[153:154]
	s_waitcnt vmcnt(6)
	v_fma_f64 v[1:2], v[2:3], v[211:212], -v[159:160]
	v_mul_f64 v[139:140], v[131:132], v[153:154]
	v_fma_f64 v[3:4], v[4:5], v[211:212], v[141:142]
	v_add_f64 v[135:136], v[143:144], v[135:136]
	v_add_f64 v[5:6], v[6:7], v[137:138]
	s_waitcnt vmcnt(4)
	v_fma_f64 v[7:8], v[131:132], v[151:152], -v[145:146]
	v_fma_f64 v[131:132], v[133:134], v[151:152], v[139:140]
	v_add_f64 v[1:2], v[135:136], v[1:2]
	v_add_f64 v[3:4], v[5:6], v[3:4]
	;; [unrolled: 1-line block ×4, first 2 shown]
	s_waitcnt vmcnt(2)
	v_add_f64 v[1:2], v[149:150], -v[1:2]
	s_waitcnt vmcnt(0)
	v_add_f64 v[3:4], v[157:158], -v[3:4]
	buffer_store_dword v2, off, s[0:3], 0 offset:660
	buffer_store_dword v1, off, s[0:3], 0 offset:656
	buffer_store_dword v4, off, s[0:3], 0 offset:668
	buffer_store_dword v3, off, s[0:3], 0 offset:664
	v_cmpx_lt_u32_e32 39, v0
	s_cbranch_execz .LBB124_313
; %bb.312:
	v_mov_b32_e32 v4, s36
	v_mov_b32_e32 v5, 0
	s_clause 0x3
	buffer_load_dword v1, v4, s[0:3], 0 offen
	buffer_load_dword v2, v4, s[0:3], 0 offen offset:4
	buffer_load_dword v3, v4, s[0:3], 0 offen offset:8
	;; [unrolled: 1-line block ×3, first 2 shown]
	buffer_store_dword v5, off, s[0:3], 0 offset:640
	buffer_store_dword v5, off, s[0:3], 0 offset:644
	;; [unrolled: 1-line block ×4, first 2 shown]
	s_waitcnt vmcnt(0)
	ds_write_b128 v191, v[1:4]
.LBB124_313:
	s_or_b32 exec_lo, exec_lo, s4
	s_waitcnt lgkmcnt(0)
	s_waitcnt_vscnt null, 0x0
	s_barrier
	buffer_gl0_inv
	s_clause 0x37
	buffer_load_dword v6, off, s[0:3], 0 offset:664
	buffer_load_dword v7, off, s[0:3], 0 offset:668
	;; [unrolled: 1-line block ×56, first 2 shown]
	v_mov_b32_e32 v1, 0
	s_mov_b32 s4, exec_lo
	ds_read_b128 v[2:5], v1 offset:1616
	s_clause 0x2
	buffer_load_dword v193, off, s[0:3], 0 offset:892
	buffer_load_dword v197, off, s[0:3], 0 offset:868
	;; [unrolled: 1-line block ×3, first 2 shown]
	ds_read_b128 v[131:134], v1 offset:1632
	s_clause 0x4
	buffer_load_dword v201, off, s[0:3], 0 offset:908
	buffer_load_dword v202, off, s[0:3], 0 offset:920
	;; [unrolled: 1-line block ×5, first 2 shown]
	ds_read_b128 v[135:138], v1 offset:1648
	s_waitcnt vmcnt(62) lgkmcnt(2)
	v_mul_f64 v[198:199], v[4:5], v[6:7]
	v_mul_f64 v[6:7], v[2:3], v[6:7]
	s_waitcnt vmcnt(60) lgkmcnt(1)
	v_mul_f64 v[205:206], v[133:134], v[139:140]
	v_mul_f64 v[139:140], v[131:132], v[139:140]
	;; [unrolled: 3-line block ×3, first 2 shown]
	v_fma_f64 v[198:199], v[2:3], v[141:142], -v[198:199]
	v_fma_f64 v[6:7], v[4:5], v[141:142], v[6:7]
	s_clause 0x2
	buffer_load_dword v203, off, s[0:3], 0 offset:924
	buffer_load_dword v142, off, s[0:3], 0 offset:900
	;; [unrolled: 1-line block ×3, first 2 shown]
	s_waitcnt vmcnt(57)
	v_fma_f64 v[209:210], v[131:132], v[145:146], -v[205:206]
	ds_read_b128 v[2:5], v1 offset:1664
	v_fma_f64 v[139:140], v[133:134], v[145:146], v[139:140]
	s_clause 0x4
	buffer_load_dword v146, off, s[0:3], 0 offset:940
	buffer_load_dword v206, off, s[0:3], 0 offset:952
	;; [unrolled: 1-line block ×5, first 2 shown]
	s_waitcnt vmcnt(56)
	v_fma_f64 v[143:144], v[135:136], v[153:154], -v[143:144]
	ds_read_b128 v[131:134], v1 offset:1680
	v_fma_f64 v[153:154], v[137:138], v[153:154], v[207:208]
	v_add_f64 v[198:199], v[198:199], 0
	v_add_f64 v[6:7], v[6:7], 0
	s_waitcnt lgkmcnt(1)
	v_mul_f64 v[212:213], v[2:3], v[147:148]
	v_mul_f64 v[147:148], v[4:5], v[147:148]
	v_add_f64 v[198:199], v[198:199], v[209:210]
	v_add_f64 v[6:7], v[6:7], v[139:140]
	s_clause 0x2
	buffer_load_dword v207, off, s[0:3], 0 offset:956
	buffer_load_dword v140, off, s[0:3], 0 offset:932
	;; [unrolled: 1-line block ×3, first 2 shown]
	s_waitcnt vmcnt(58) lgkmcnt(0)
	v_mul_f64 v[208:209], v[131:132], v[149:150]
	v_mul_f64 v[149:150], v[133:134], v[149:150]
	s_waitcnt vmcnt(56)
	v_fma_f64 v[147:148], v[2:3], v[155:156], -v[147:148]
	ds_read_b128 v[135:138], v1 offset:1696
	v_fma_f64 v[155:156], v[4:5], v[155:156], v[212:213]
	v_add_f64 v[143:144], v[198:199], v[143:144]
	v_add_f64 v[6:7], v[6:7], v[153:154]
	s_clause 0x4
	buffer_load_dword v154, off, s[0:3], 0 offset:972
	buffer_load_dword v198, off, s[0:3], 0 offset:984
	;; [unrolled: 1-line block ×5, first 2 shown]
	ds_read_b128 v[2:5], v1 offset:1712
	s_waitcnt vmcnt(57) lgkmcnt(1)
	v_mul_f64 v[214:215], v[135:136], v[157:158]
	v_mul_f64 v[157:158], v[137:138], v[157:158]
	s_waitcnt vmcnt(56)
	v_fma_f64 v[149:150], v[131:132], v[151:152], -v[149:150]
	v_add_f64 v[143:144], v[143:144], v[147:148]
	v_fma_f64 v[147:148], v[133:134], v[151:152], v[208:209]
	v_add_f64 v[6:7], v[6:7], v[155:156]
	s_clause 0x2
	buffer_load_dword v199, off, s[0:3], 0 offset:988
	buffer_load_dword v152, off, s[0:3], 0 offset:964
	;; [unrolled: 1-line block ×3, first 2 shown]
	s_waitcnt vmcnt(58) lgkmcnt(0)
	v_mul_f64 v[155:156], v[2:3], v[159:160]
	v_mul_f64 v[159:160], v[4:5], v[159:160]
	s_waitcnt vmcnt(56)
	v_fma_f64 v[157:158], v[135:136], v[163:164], -v[157:158]
	ds_read_b128 v[131:134], v1 offset:1728
	v_add_f64 v[143:144], v[143:144], v[149:150]
	v_fma_f64 v[149:150], v[137:138], v[163:164], v[214:215]
	v_add_f64 v[6:7], v[6:7], v[147:148]
	buffer_load_dword v214, off, s[0:3], 0 offset:980
	ds_read_b128 v[135:138], v1 offset:1744
	s_waitcnt vmcnt(53) lgkmcnt(1)
	v_mul_f64 v[163:164], v[133:134], v[165:166]
	s_waitcnt vmcnt(52)
	v_fma_f64 v[159:160], v[2:3], v[161:162], -v[159:160]
	v_mul_f64 v[147:148], v[131:132], v[165:166]
	v_fma_f64 v[155:156], v[4:5], v[161:162], v[155:156]
	ds_read_b128 v[2:5], v1 offset:1760
	v_add_f64 v[143:144], v[143:144], v[157:158]
	v_add_f64 v[6:7], v[6:7], v[149:150]
	s_waitcnt vmcnt(51) lgkmcnt(1)
	v_mul_f64 v[157:158], v[137:138], v[167:168]
	v_mul_f64 v[149:150], v[135:136], v[167:168]
	s_waitcnt vmcnt(49)
	v_fma_f64 v[161:162], v[131:132], v[171:172], -v[163:164]
	v_fma_f64 v[147:148], v[133:134], v[171:172], v[147:148]
	s_waitcnt vmcnt(45) lgkmcnt(0)
	v_mul_f64 v[165:166], v[4:5], v[173:174]
	v_mul_f64 v[163:164], v[2:3], v[173:174]
	v_add_f64 v[143:144], v[143:144], v[159:160]
	v_add_f64 v[6:7], v[6:7], v[155:156]
	s_clause 0x3
	buffer_load_dword v155, off, s[0:3], 0 offset:640
	buffer_load_dword v156, off, s[0:3], 0 offset:644
	;; [unrolled: 1-line block ×4, first 2 shown]
	s_waitcnt vmcnt(48)
	v_fma_f64 v[157:158], v[135:136], v[169:170], -v[157:158]
	ds_read_b128 v[131:134], v1 offset:1776
	v_fma_f64 v[149:150], v[137:138], v[169:170], v[149:150]
	ds_read_b128 v[135:138], v1 offset:1792
	s_waitcnt vmcnt(45)
	v_fma_f64 v[165:166], v[2:3], v[179:180], -v[165:166]
	v_add_f64 v[143:144], v[143:144], v[161:162]
	v_add_f64 v[6:7], v[6:7], v[147:148]
	s_waitcnt lgkmcnt(1)
	v_mul_f64 v[161:162], v[133:134], v[175:176]
	v_mul_f64 v[147:148], v[131:132], v[175:176]
	v_add_f64 v[143:144], v[143:144], v[157:158]
	v_fma_f64 v[157:158], v[4:5], v[179:180], v[163:164]
	v_add_f64 v[6:7], v[6:7], v[149:150]
	s_waitcnt vmcnt(41) lgkmcnt(0)
	v_mul_f64 v[163:164], v[137:138], v[181:182]
	s_waitcnt vmcnt(40)
	v_fma_f64 v[161:162], v[131:132], v[177:178], -v[161:162]
	ds_read_b128 v[2:5], v1 offset:1808
	v_mul_f64 v[149:150], v[135:136], v[181:182]
	v_fma_f64 v[147:148], v[133:134], v[177:178], v[147:148]
	ds_read_b128 v[131:134], v1 offset:1824
	v_add_f64 v[143:144], v[143:144], v[165:166]
	v_add_f64 v[6:7], v[6:7], v[157:158]
	s_waitcnt vmcnt(39) lgkmcnt(1)
	v_mul_f64 v[165:166], v[4:5], v[183:184]
	s_waitcnt vmcnt(37)
	v_fma_f64 v[163:164], v[135:136], v[187:188], -v[163:164]
	v_mul_f64 v[157:158], v[2:3], v[183:184]
	v_fma_f64 v[149:150], v[137:138], v[187:188], v[149:150]
	ds_read_b128 v[135:138], v1 offset:1840
	v_add_f64 v[143:144], v[143:144], v[161:162]
	s_waitcnt vmcnt(33) lgkmcnt(1)
	v_mul_f64 v[161:162], v[133:134], v[189:190]
	v_add_f64 v[6:7], v[6:7], v[147:148]
	s_waitcnt vmcnt(32)
	v_fma_f64 v[165:166], v[2:3], v[185:186], -v[165:166]
	v_mul_f64 v[147:148], v[131:132], v[189:190]
	v_fma_f64 v[157:158], v[4:5], v[185:186], v[157:158]
	ds_read_b128 v[2:5], v1 offset:1856
	v_add_f64 v[143:144], v[143:144], v[163:164]
	s_waitcnt vmcnt(31) lgkmcnt(1)
	v_mul_f64 v[163:164], v[137:138], v[192:193]
	v_add_f64 v[6:7], v[6:7], v[149:150]
	;; [unrolled: 9-line block ×3, first 2 shown]
	s_waitcnt vmcnt(24)
	v_fma_f64 v[163:164], v[135:136], v[194:195], -v[163:164]
	v_mul_f64 v[157:158], v[2:3], v[200:201]
	v_fma_f64 v[149:150], v[137:138], v[194:195], v[149:150]
	ds_read_b128 v[135:138], v1 offset:1888
	v_add_f64 v[143:144], v[143:144], v[161:162]
	v_add_f64 v[6:7], v[6:7], v[147:148]
	s_waitcnt vmcnt(23) lgkmcnt(1)
	v_mul_f64 v[161:162], v[133:134], v[202:203]
	v_mul_f64 v[147:148], v[131:132], v[202:203]
	s_waitcnt vmcnt(21)
	v_fma_f64 v[165:166], v[2:3], v[141:142], -v[165:166]
	v_fma_f64 v[141:142], v[4:5], v[141:142], v[157:158]
	ds_read_b128 v[2:5], v1 offset:1904
	v_add_f64 v[143:144], v[143:144], v[163:164]
	v_add_f64 v[6:7], v[6:7], v[149:150]
	s_waitcnt vmcnt(17) lgkmcnt(1)
	v_mul_f64 v[149:150], v[135:136], v[145:146]
	v_mul_f64 v[145:146], v[137:138], v[145:146]
	s_waitcnt vmcnt(16)
	v_fma_f64 v[157:158], v[131:132], v[204:205], -v[161:162]
	;; [unrolled: 9-line block ×3, first 2 shown]
	v_fma_f64 v[139:140], v[137:138], v[139:140], v[149:150]
	ds_read_b128 v[135:138], v1 offset:1936
	v_add_f64 v[143:144], v[143:144], v[157:158]
	v_add_f64 v[6:7], v[6:7], v[147:148]
	s_waitcnt vmcnt(9) lgkmcnt(1)
	v_mul_f64 v[149:150], v[133:134], v[153:154]
	s_waitcnt vmcnt(8)
	v_fma_f64 v[2:3], v[2:3], v[211:212], -v[161:162]
	v_mul_f64 v[147:148], v[131:132], v[153:154]
	v_fma_f64 v[4:5], v[4:5], v[211:212], v[141:142]
	v_add_f64 v[143:144], v[143:144], v[145:146]
	v_add_f64 v[6:7], v[6:7], v[139:140]
	s_waitcnt vmcnt(7) lgkmcnt(0)
	v_mul_f64 v[141:142], v[137:138], v[198:199]
	v_mul_f64 v[139:140], v[135:136], v[198:199]
	s_waitcnt vmcnt(5)
	v_fma_f64 v[131:132], v[131:132], v[151:152], -v[149:150]
	v_fma_f64 v[133:134], v[133:134], v[151:152], v[147:148]
	v_add_f64 v[2:3], v[143:144], v[2:3]
	v_add_f64 v[4:5], v[6:7], v[4:5]
	s_waitcnt vmcnt(4)
	v_fma_f64 v[6:7], v[135:136], v[213:214], -v[141:142]
	v_add_f64 v[2:3], v[2:3], v[131:132]
	v_fma_f64 v[131:132], v[137:138], v[213:214], v[139:140]
	v_add_f64 v[4:5], v[4:5], v[133:134]
	v_add_f64 v[2:3], v[2:3], v[6:7]
	;; [unrolled: 1-line block ×3, first 2 shown]
	s_waitcnt vmcnt(2)
	v_add_f64 v[2:3], v[155:156], -v[2:3]
	s_waitcnt vmcnt(0)
	v_add_f64 v[4:5], v[159:160], -v[4:5]
	buffer_store_dword v3, off, s[0:3], 0 offset:644
	buffer_store_dword v2, off, s[0:3], 0 offset:640
	;; [unrolled: 1-line block ×4, first 2 shown]
	v_cmpx_lt_u32_e32 38, v0
	s_cbranch_execz .LBB124_315
; %bb.314:
	v_mov_b32_e32 v5, s37
	s_clause 0x3
	buffer_load_dword v2, v5, s[0:3], 0 offen
	buffer_load_dword v3, v5, s[0:3], 0 offen offset:4
	buffer_load_dword v4, v5, s[0:3], 0 offen offset:8
	;; [unrolled: 1-line block ×3, first 2 shown]
	buffer_store_dword v1, off, s[0:3], 0 offset:624
	buffer_store_dword v1, off, s[0:3], 0 offset:628
	;; [unrolled: 1-line block ×4, first 2 shown]
	s_waitcnt vmcnt(0)
	ds_write_b128 v191, v[2:5]
.LBB124_315:
	s_or_b32 exec_lo, exec_lo, s4
	s_waitcnt lgkmcnt(0)
	s_waitcnt_vscnt null, 0x0
	s_barrier
	buffer_gl0_inv
	s_clause 0x37
	buffer_load_dword v6, off, s[0:3], 0 offset:648
	buffer_load_dword v7, off, s[0:3], 0 offset:652
	;; [unrolled: 1-line block ×56, first 2 shown]
	ds_read_b128 v[2:5], v1 offset:1600
	s_clause 0x2
	buffer_load_dword v193, off, s[0:3], 0 offset:876
	buffer_load_dword v197, off, s[0:3], 0 offset:852
	;; [unrolled: 1-line block ×3, first 2 shown]
	ds_read_b128 v[131:134], v1 offset:1616
	s_clause 0x4
	buffer_load_dword v201, off, s[0:3], 0 offset:892
	buffer_load_dword v202, off, s[0:3], 0 offset:904
	;; [unrolled: 1-line block ×5, first 2 shown]
	ds_read_b128 v[135:138], v1 offset:1632
	s_mov_b32 s4, exec_lo
	s_waitcnt vmcnt(62) lgkmcnt(2)
	v_mul_f64 v[198:199], v[4:5], v[6:7]
	v_mul_f64 v[6:7], v[2:3], v[6:7]
	s_waitcnt vmcnt(60) lgkmcnt(1)
	v_mul_f64 v[205:206], v[133:134], v[139:140]
	v_mul_f64 v[139:140], v[131:132], v[139:140]
	;; [unrolled: 3-line block ×3, first 2 shown]
	v_fma_f64 v[198:199], v[2:3], v[141:142], -v[198:199]
	v_fma_f64 v[6:7], v[4:5], v[141:142], v[6:7]
	s_clause 0x2
	buffer_load_dword v203, off, s[0:3], 0 offset:908
	buffer_load_dword v142, off, s[0:3], 0 offset:884
	;; [unrolled: 1-line block ×3, first 2 shown]
	s_waitcnt vmcnt(57)
	v_fma_f64 v[209:210], v[131:132], v[145:146], -v[205:206]
	ds_read_b128 v[2:5], v1 offset:1648
	v_fma_f64 v[139:140], v[133:134], v[145:146], v[139:140]
	s_clause 0x4
	buffer_load_dword v146, off, s[0:3], 0 offset:924
	buffer_load_dword v206, off, s[0:3], 0 offset:936
	;; [unrolled: 1-line block ×5, first 2 shown]
	s_waitcnt vmcnt(56)
	v_fma_f64 v[143:144], v[135:136], v[153:154], -v[143:144]
	ds_read_b128 v[131:134], v1 offset:1664
	v_fma_f64 v[153:154], v[137:138], v[153:154], v[207:208]
	v_add_f64 v[198:199], v[198:199], 0
	v_add_f64 v[6:7], v[6:7], 0
	s_waitcnt lgkmcnt(1)
	v_mul_f64 v[212:213], v[2:3], v[147:148]
	v_mul_f64 v[147:148], v[4:5], v[147:148]
	v_add_f64 v[198:199], v[198:199], v[209:210]
	v_add_f64 v[6:7], v[6:7], v[139:140]
	s_clause 0x2
	buffer_load_dword v207, off, s[0:3], 0 offset:940
	buffer_load_dword v140, off, s[0:3], 0 offset:916
	;; [unrolled: 1-line block ×3, first 2 shown]
	s_waitcnt vmcnt(58) lgkmcnt(0)
	v_mul_f64 v[208:209], v[131:132], v[149:150]
	v_mul_f64 v[149:150], v[133:134], v[149:150]
	s_waitcnt vmcnt(56)
	v_fma_f64 v[147:148], v[2:3], v[155:156], -v[147:148]
	ds_read_b128 v[135:138], v1 offset:1680
	v_fma_f64 v[155:156], v[4:5], v[155:156], v[212:213]
	v_add_f64 v[143:144], v[198:199], v[143:144]
	v_add_f64 v[6:7], v[6:7], v[153:154]
	s_clause 0x4
	buffer_load_dword v154, off, s[0:3], 0 offset:956
	buffer_load_dword v198, off, s[0:3], 0 offset:968
	;; [unrolled: 1-line block ×5, first 2 shown]
	ds_read_b128 v[2:5], v1 offset:1696
	s_waitcnt vmcnt(57) lgkmcnt(1)
	v_mul_f64 v[214:215], v[135:136], v[157:158]
	v_mul_f64 v[157:158], v[137:138], v[157:158]
	s_waitcnt vmcnt(56)
	v_fma_f64 v[149:150], v[131:132], v[151:152], -v[149:150]
	v_add_f64 v[143:144], v[143:144], v[147:148]
	v_fma_f64 v[147:148], v[133:134], v[151:152], v[208:209]
	v_add_f64 v[6:7], v[6:7], v[155:156]
	s_clause 0x2
	buffer_load_dword v199, off, s[0:3], 0 offset:972
	buffer_load_dword v152, off, s[0:3], 0 offset:948
	;; [unrolled: 1-line block ×3, first 2 shown]
	s_waitcnt vmcnt(58) lgkmcnt(0)
	v_mul_f64 v[155:156], v[2:3], v[159:160]
	v_mul_f64 v[159:160], v[4:5], v[159:160]
	s_waitcnt vmcnt(56)
	v_fma_f64 v[157:158], v[135:136], v[163:164], -v[157:158]
	ds_read_b128 v[131:134], v1 offset:1712
	v_add_f64 v[143:144], v[143:144], v[149:150]
	v_fma_f64 v[149:150], v[137:138], v[163:164], v[214:215]
	v_add_f64 v[6:7], v[6:7], v[147:148]
	s_clause 0x2
	buffer_load_dword v148, off, s[0:3], 0 offset:988
	buffer_load_dword v147, off, s[0:3], 0 offset:984
	;; [unrolled: 1-line block ×3, first 2 shown]
	ds_read_b128 v[135:138], v1 offset:1728
	s_waitcnt vmcnt(55) lgkmcnt(1)
	v_mul_f64 v[163:164], v[131:132], v[165:166]
	v_mul_f64 v[165:166], v[133:134], v[165:166]
	s_waitcnt vmcnt(54)
	v_fma_f64 v[159:160], v[2:3], v[161:162], -v[159:160]
	v_fma_f64 v[155:156], v[4:5], v[161:162], v[155:156]
	v_add_f64 v[143:144], v[143:144], v[157:158]
	v_add_f64 v[6:7], v[6:7], v[149:150]
	s_clause 0x1
	buffer_load_dword v150, off, s[0:3], 0 offset:980
	buffer_load_dword v149, off, s[0:3], 0 offset:976
	s_waitcnt vmcnt(55) lgkmcnt(0)
	v_mul_f64 v[161:162], v[137:138], v[167:168]
	ds_read_b128 v[2:5], v1 offset:1744
	s_waitcnt vmcnt(53)
	v_fma_f64 v[165:166], v[131:132], v[171:172], -v[165:166]
	v_mul_f64 v[157:158], v[135:136], v[167:168]
	v_add_f64 v[143:144], v[143:144], v[159:160]
	v_fma_f64 v[159:160], v[133:134], v[171:172], v[163:164]
	v_add_f64 v[6:7], v[6:7], v[155:156]
	ds_read_b128 v[131:134], v1 offset:1760
	s_waitcnt vmcnt(49) lgkmcnt(1)
	v_mul_f64 v[163:164], v[4:5], v[173:174]
	s_waitcnt vmcnt(48)
	v_fma_f64 v[161:162], v[135:136], v[169:170], -v[161:162]
	v_mul_f64 v[155:156], v[2:3], v[173:174]
	v_fma_f64 v[157:158], v[137:138], v[169:170], v[157:158]
	v_add_f64 v[143:144], v[143:144], v[165:166]
	s_waitcnt vmcnt(47) lgkmcnt(0)
	v_mul_f64 v[169:170], v[133:134], v[175:176]
	v_add_f64 v[6:7], v[6:7], v[159:160]
	s_clause 0x3
	buffer_load_dword v159, off, s[0:3], 0 offset:624
	buffer_load_dword v160, off, s[0:3], 0 offset:628
	;; [unrolled: 1-line block ×4, first 2 shown]
	s_waitcnt vmcnt(49)
	v_fma_f64 v[163:164], v[2:3], v[179:180], -v[163:164]
	ds_read_b128 v[135:138], v1 offset:1776
	v_mul_f64 v[167:168], v[131:132], v[175:176]
	v_fma_f64 v[155:156], v[4:5], v[179:180], v[155:156]
	ds_read_b128 v[2:5], v1 offset:1792
	v_add_f64 v[143:144], v[143:144], v[161:162]
	s_waitcnt vmcnt(44)
	v_fma_f64 v[169:170], v[131:132], v[177:178], -v[169:170]
	v_add_f64 v[6:7], v[6:7], v[157:158]
	s_waitcnt lgkmcnt(1)
	v_mul_f64 v[161:162], v[137:138], v[181:182]
	v_mul_f64 v[157:158], v[135:136], v[181:182]
	v_add_f64 v[143:144], v[143:144], v[163:164]
	v_fma_f64 v[163:164], v[133:134], v[177:178], v[167:168]
	v_add_f64 v[6:7], v[6:7], v[155:156]
	s_waitcnt vmcnt(43) lgkmcnt(0)
	v_mul_f64 v[167:168], v[4:5], v[183:184]
	s_waitcnt vmcnt(41)
	v_fma_f64 v[161:162], v[135:136], v[187:188], -v[161:162]
	ds_read_b128 v[131:134], v1 offset:1808
	v_mul_f64 v[155:156], v[2:3], v[183:184]
	v_fma_f64 v[157:158], v[137:138], v[187:188], v[157:158]
	ds_read_b128 v[135:138], v1 offset:1824
	v_add_f64 v[143:144], v[143:144], v[169:170]
	v_add_f64 v[6:7], v[6:7], v[163:164]
	s_waitcnt vmcnt(37) lgkmcnt(1)
	v_mul_f64 v[169:170], v[133:134], v[189:190]
	s_waitcnt vmcnt(36)
	v_fma_f64 v[167:168], v[2:3], v[185:186], -v[167:168]
	v_mul_f64 v[163:164], v[131:132], v[189:190]
	v_fma_f64 v[155:156], v[4:5], v[185:186], v[155:156]
	ds_read_b128 v[2:5], v1 offset:1840
	v_add_f64 v[143:144], v[143:144], v[161:162]
	s_waitcnt vmcnt(35) lgkmcnt(1)
	v_mul_f64 v[161:162], v[137:138], v[192:193]
	v_add_f64 v[6:7], v[6:7], v[157:158]
	s_waitcnt vmcnt(33)
	v_fma_f64 v[169:170], v[131:132], v[196:197], -v[169:170]
	v_mul_f64 v[157:158], v[135:136], v[192:193]
	v_fma_f64 v[163:164], v[133:134], v[196:197], v[163:164]
	ds_read_b128 v[131:134], v1 offset:1856
	v_add_f64 v[143:144], v[143:144], v[167:168]
	s_waitcnt vmcnt(29) lgkmcnt(1)
	v_mul_f64 v[167:168], v[4:5], v[200:201]
	v_add_f64 v[6:7], v[6:7], v[155:156]
	s_waitcnt vmcnt(28)
	v_fma_f64 v[161:162], v[135:136], v[194:195], -v[161:162]
	v_mul_f64 v[155:156], v[2:3], v[200:201]
	v_fma_f64 v[157:158], v[137:138], v[194:195], v[157:158]
	ds_read_b128 v[135:138], v1 offset:1872
	v_add_f64 v[143:144], v[143:144], v[169:170]
	v_add_f64 v[6:7], v[6:7], v[163:164]
	s_waitcnt vmcnt(27) lgkmcnt(1)
	v_mul_f64 v[169:170], v[133:134], v[202:203]
	v_mul_f64 v[163:164], v[131:132], v[202:203]
	s_waitcnt vmcnt(25)
	v_fma_f64 v[167:168], v[2:3], v[141:142], -v[167:168]
	v_fma_f64 v[141:142], v[4:5], v[141:142], v[155:156]
	ds_read_b128 v[2:5], v1 offset:1888
	s_waitcnt vmcnt(21) lgkmcnt(1)
	v_mul_f64 v[155:156], v[135:136], v[145:146]
	v_mul_f64 v[145:146], v[137:138], v[145:146]
	v_add_f64 v[143:144], v[143:144], v[161:162]
	v_add_f64 v[6:7], v[6:7], v[157:158]
	s_waitcnt vmcnt(20)
	v_fma_f64 v[157:158], v[131:132], v[204:205], -v[169:170]
	v_fma_f64 v[161:162], v[133:134], v[204:205], v[163:164]
	ds_read_b128 v[131:134], v1 offset:1904
	v_add_f64 v[143:144], v[143:144], v[167:168]
	v_add_f64 v[6:7], v[6:7], v[141:142]
	s_waitcnt vmcnt(19) lgkmcnt(1)
	v_mul_f64 v[163:164], v[4:5], v[206:207]
	v_mul_f64 v[141:142], v[2:3], v[206:207]
	s_waitcnt vmcnt(17)
	v_fma_f64 v[145:146], v[135:136], v[139:140], -v[145:146]
	v_fma_f64 v[139:140], v[137:138], v[139:140], v[155:156]
	ds_read_b128 v[135:138], v1 offset:1920
	v_add_f64 v[143:144], v[143:144], v[157:158]
	v_add_f64 v[6:7], v[6:7], v[161:162]
	s_waitcnt vmcnt(13) lgkmcnt(1)
	v_mul_f64 v[155:156], v[131:132], v[153:154]
	v_mul_f64 v[153:154], v[133:134], v[153:154]
	;; [unrolled: 9-line block ×3, first 2 shown]
	s_waitcnt vmcnt(9)
	v_fma_f64 v[131:132], v[131:132], v[151:152], -v[153:154]
	v_fma_f64 v[133:134], v[133:134], v[151:152], v[155:156]
	v_add_f64 v[143:144], v[143:144], v[157:158]
	v_add_f64 v[5:6], v[5:6], v[141:142]
	s_waitcnt vmcnt(7) lgkmcnt(0)
	v_mul_f64 v[145:146], v[3:4], v[147:148]
	s_waitcnt vmcnt(6)
	v_fma_f64 v[135:136], v[135:136], v[213:214], -v[139:140]
	v_mul_f64 v[141:142], v[1:2], v[147:148]
	v_fma_f64 v[7:8], v[137:138], v[213:214], v[7:8]
	v_add_f64 v[131:132], v[143:144], v[131:132]
	v_add_f64 v[5:6], v[5:6], v[133:134]
	s_waitcnt vmcnt(4)
	v_fma_f64 v[1:2], v[1:2], v[149:150], -v[145:146]
	v_fma_f64 v[3:4], v[3:4], v[149:150], v[141:142]
	v_add_f64 v[131:132], v[131:132], v[135:136]
	v_add_f64 v[5:6], v[5:6], v[7:8]
	;; [unrolled: 1-line block ×4, first 2 shown]
	s_waitcnt vmcnt(2)
	v_add_f64 v[1:2], v[159:160], -v[1:2]
	s_waitcnt vmcnt(0)
	v_add_f64 v[3:4], v[165:166], -v[3:4]
	buffer_store_dword v2, off, s[0:3], 0 offset:628
	buffer_store_dword v1, off, s[0:3], 0 offset:624
	;; [unrolled: 1-line block ×4, first 2 shown]
	v_cmpx_lt_u32_e32 37, v0
	s_cbranch_execz .LBB124_317
; %bb.316:
	v_mov_b32_e32 v4, s38
	v_mov_b32_e32 v5, 0
	s_clause 0x3
	buffer_load_dword v1, v4, s[0:3], 0 offen
	buffer_load_dword v2, v4, s[0:3], 0 offen offset:4
	buffer_load_dword v3, v4, s[0:3], 0 offen offset:8
	;; [unrolled: 1-line block ×3, first 2 shown]
	buffer_store_dword v5, off, s[0:3], 0 offset:608
	buffer_store_dword v5, off, s[0:3], 0 offset:612
	;; [unrolled: 1-line block ×4, first 2 shown]
	s_waitcnt vmcnt(0)
	ds_write_b128 v191, v[1:4]
.LBB124_317:
	s_or_b32 exec_lo, exec_lo, s4
	s_waitcnt lgkmcnt(0)
	s_waitcnt_vscnt null, 0x0
	s_barrier
	buffer_gl0_inv
	s_clause 0x37
	buffer_load_dword v6, off, s[0:3], 0 offset:632
	buffer_load_dword v7, off, s[0:3], 0 offset:636
	;; [unrolled: 1-line block ×56, first 2 shown]
	v_mov_b32_e32 v1, 0
	s_mov_b32 s4, exec_lo
	ds_read_b128 v[2:5], v1 offset:1584
	s_clause 0x2
	buffer_load_dword v193, off, s[0:3], 0 offset:860
	buffer_load_dword v197, off, s[0:3], 0 offset:836
	;; [unrolled: 1-line block ×3, first 2 shown]
	ds_read_b128 v[131:134], v1 offset:1600
	s_clause 0x4
	buffer_load_dword v201, off, s[0:3], 0 offset:876
	buffer_load_dword v202, off, s[0:3], 0 offset:888
	;; [unrolled: 1-line block ×5, first 2 shown]
	ds_read_b128 v[135:138], v1 offset:1616
	s_waitcnt vmcnt(62) lgkmcnt(2)
	v_mul_f64 v[198:199], v[4:5], v[6:7]
	v_mul_f64 v[6:7], v[2:3], v[6:7]
	s_waitcnt vmcnt(60) lgkmcnt(1)
	v_mul_f64 v[205:206], v[133:134], v[139:140]
	v_mul_f64 v[139:140], v[131:132], v[139:140]
	;; [unrolled: 3-line block ×3, first 2 shown]
	v_fma_f64 v[198:199], v[2:3], v[141:142], -v[198:199]
	v_fma_f64 v[6:7], v[4:5], v[141:142], v[6:7]
	s_clause 0x2
	buffer_load_dword v203, off, s[0:3], 0 offset:892
	buffer_load_dword v142, off, s[0:3], 0 offset:868
	buffer_load_dword v141, off, s[0:3], 0 offset:864
	s_waitcnt vmcnt(57)
	v_fma_f64 v[209:210], v[131:132], v[145:146], -v[205:206]
	ds_read_b128 v[2:5], v1 offset:1632
	v_fma_f64 v[139:140], v[133:134], v[145:146], v[139:140]
	s_clause 0x4
	buffer_load_dword v146, off, s[0:3], 0 offset:908
	buffer_load_dword v206, off, s[0:3], 0 offset:920
	;; [unrolled: 1-line block ×5, first 2 shown]
	s_waitcnt vmcnt(56)
	v_fma_f64 v[143:144], v[135:136], v[153:154], -v[143:144]
	ds_read_b128 v[131:134], v1 offset:1648
	v_fma_f64 v[153:154], v[137:138], v[153:154], v[207:208]
	v_add_f64 v[198:199], v[198:199], 0
	v_add_f64 v[6:7], v[6:7], 0
	s_waitcnt lgkmcnt(1)
	v_mul_f64 v[212:213], v[2:3], v[147:148]
	v_mul_f64 v[147:148], v[4:5], v[147:148]
	v_add_f64 v[198:199], v[198:199], v[209:210]
	v_add_f64 v[6:7], v[6:7], v[139:140]
	s_clause 0x2
	buffer_load_dword v207, off, s[0:3], 0 offset:924
	buffer_load_dword v140, off, s[0:3], 0 offset:900
	;; [unrolled: 1-line block ×3, first 2 shown]
	s_waitcnt vmcnt(58) lgkmcnt(0)
	v_mul_f64 v[208:209], v[131:132], v[149:150]
	v_mul_f64 v[149:150], v[133:134], v[149:150]
	s_waitcnt vmcnt(56)
	v_fma_f64 v[147:148], v[2:3], v[155:156], -v[147:148]
	ds_read_b128 v[135:138], v1 offset:1664
	v_fma_f64 v[155:156], v[4:5], v[155:156], v[212:213]
	v_add_f64 v[143:144], v[198:199], v[143:144]
	v_add_f64 v[6:7], v[6:7], v[153:154]
	s_clause 0x4
	buffer_load_dword v154, off, s[0:3], 0 offset:940
	buffer_load_dword v198, off, s[0:3], 0 offset:952
	;; [unrolled: 1-line block ×5, first 2 shown]
	ds_read_b128 v[2:5], v1 offset:1680
	s_waitcnt vmcnt(57) lgkmcnt(1)
	v_mul_f64 v[214:215], v[135:136], v[157:158]
	v_mul_f64 v[157:158], v[137:138], v[157:158]
	s_waitcnt vmcnt(56)
	v_fma_f64 v[149:150], v[131:132], v[151:152], -v[149:150]
	v_add_f64 v[143:144], v[143:144], v[147:148]
	v_fma_f64 v[147:148], v[133:134], v[151:152], v[208:209]
	v_add_f64 v[6:7], v[6:7], v[155:156]
	s_clause 0x2
	buffer_load_dword v199, off, s[0:3], 0 offset:956
	buffer_load_dword v152, off, s[0:3], 0 offset:932
	;; [unrolled: 1-line block ×3, first 2 shown]
	s_waitcnt vmcnt(58) lgkmcnt(0)
	v_mul_f64 v[155:156], v[2:3], v[159:160]
	v_mul_f64 v[159:160], v[4:5], v[159:160]
	s_waitcnt vmcnt(56)
	v_fma_f64 v[157:158], v[135:136], v[163:164], -v[157:158]
	ds_read_b128 v[131:134], v1 offset:1696
	v_add_f64 v[143:144], v[143:144], v[149:150]
	v_fma_f64 v[149:150], v[137:138], v[163:164], v[214:215]
	v_add_f64 v[6:7], v[6:7], v[147:148]
	s_clause 0x4
	buffer_load_dword v148, off, s[0:3], 0 offset:972
	buffer_load_dword v163, off, s[0:3], 0 offset:984
	;; [unrolled: 1-line block ×5, first 2 shown]
	ds_read_b128 v[135:138], v1 offset:1712
	s_waitcnt vmcnt(57) lgkmcnt(1)
	v_mul_f64 v[209:210], v[131:132], v[165:166]
	v_mul_f64 v[165:166], v[133:134], v[165:166]
	s_waitcnt vmcnt(56)
	v_fma_f64 v[159:160], v[2:3], v[161:162], -v[159:160]
	v_fma_f64 v[155:156], v[4:5], v[161:162], v[155:156]
	v_add_f64 v[143:144], v[143:144], v[157:158]
	v_add_f64 v[6:7], v[6:7], v[149:150]
	s_clause 0x2
	buffer_load_dword v164, off, s[0:3], 0 offset:988
	buffer_load_dword v150, off, s[0:3], 0 offset:964
	;; [unrolled: 1-line block ×3, first 2 shown]
	s_waitcnt vmcnt(58) lgkmcnt(0)
	v_mul_f64 v[161:162], v[137:138], v[167:168]
	ds_read_b128 v[2:5], v1 offset:1728
	s_waitcnt vmcnt(56)
	v_fma_f64 v[165:166], v[131:132], v[171:172], -v[165:166]
	v_mul_f64 v[157:158], v[135:136], v[167:168]
	v_add_f64 v[143:144], v[143:144], v[159:160]
	v_fma_f64 v[159:160], v[133:134], v[171:172], v[209:210]
	v_add_f64 v[6:7], v[6:7], v[155:156]
	buffer_load_dword v209, off, s[0:3], 0 offset:980
	ds_read_b128 v[131:134], v1 offset:1744
	s_waitcnt vmcnt(53) lgkmcnt(1)
	v_mul_f64 v[167:168], v[4:5], v[173:174]
	s_waitcnt vmcnt(52)
	v_fma_f64 v[161:162], v[135:136], v[169:170], -v[161:162]
	v_mul_f64 v[155:156], v[2:3], v[173:174]
	v_fma_f64 v[157:158], v[137:138], v[169:170], v[157:158]
	ds_read_b128 v[135:138], v1 offset:1760
	v_add_f64 v[143:144], v[143:144], v[165:166]
	v_add_f64 v[6:7], v[6:7], v[159:160]
	s_waitcnt vmcnt(51) lgkmcnt(1)
	v_mul_f64 v[165:166], v[133:134], v[175:176]
	v_mul_f64 v[159:160], v[131:132], v[175:176]
	s_waitcnt vmcnt(49)
	v_fma_f64 v[167:168], v[2:3], v[179:180], -v[167:168]
	v_fma_f64 v[155:156], v[4:5], v[179:180], v[155:156]
	s_waitcnt vmcnt(45) lgkmcnt(0)
	v_mul_f64 v[171:172], v[137:138], v[181:182]
	v_mul_f64 v[169:170], v[135:136], v[181:182]
	v_add_f64 v[143:144], v[143:144], v[161:162]
	v_add_f64 v[6:7], v[6:7], v[157:158]
	s_clause 0x3
	buffer_load_dword v157, off, s[0:3], 0 offset:608
	buffer_load_dword v158, off, s[0:3], 0 offset:612
	buffer_load_dword v161, off, s[0:3], 0 offset:616
	buffer_load_dword v162, off, s[0:3], 0 offset:620
	s_waitcnt vmcnt(48)
	v_fma_f64 v[165:166], v[131:132], v[177:178], -v[165:166]
	ds_read_b128 v[2:5], v1 offset:1776
	v_fma_f64 v[159:160], v[133:134], v[177:178], v[159:160]
	ds_read_b128 v[131:134], v1 offset:1792
	s_waitcnt vmcnt(45)
	v_fma_f64 v[171:172], v[135:136], v[187:188], -v[171:172]
	v_add_f64 v[143:144], v[143:144], v[167:168]
	v_add_f64 v[6:7], v[6:7], v[155:156]
	s_waitcnt lgkmcnt(1)
	v_mul_f64 v[167:168], v[4:5], v[183:184]
	v_mul_f64 v[155:156], v[2:3], v[183:184]
	v_add_f64 v[143:144], v[143:144], v[165:166]
	v_fma_f64 v[165:166], v[137:138], v[187:188], v[169:170]
	v_add_f64 v[6:7], v[6:7], v[159:160]
	s_waitcnt vmcnt(41) lgkmcnt(0)
	v_mul_f64 v[169:170], v[133:134], v[189:190]
	s_waitcnt vmcnt(40)
	v_fma_f64 v[167:168], v[2:3], v[185:186], -v[167:168]
	ds_read_b128 v[135:138], v1 offset:1808
	v_mul_f64 v[159:160], v[131:132], v[189:190]
	v_fma_f64 v[155:156], v[4:5], v[185:186], v[155:156]
	ds_read_b128 v[2:5], v1 offset:1824
	v_add_f64 v[143:144], v[143:144], v[171:172]
	v_add_f64 v[6:7], v[6:7], v[165:166]
	s_waitcnt vmcnt(39) lgkmcnt(1)
	v_mul_f64 v[171:172], v[137:138], v[192:193]
	s_waitcnt vmcnt(37)
	v_fma_f64 v[169:170], v[131:132], v[196:197], -v[169:170]
	v_mul_f64 v[165:166], v[135:136], v[192:193]
	v_fma_f64 v[159:160], v[133:134], v[196:197], v[159:160]
	ds_read_b128 v[131:134], v1 offset:1840
	v_add_f64 v[143:144], v[143:144], v[167:168]
	s_waitcnt vmcnt(33) lgkmcnt(1)
	v_mul_f64 v[167:168], v[4:5], v[200:201]
	v_add_f64 v[6:7], v[6:7], v[155:156]
	s_waitcnt vmcnt(32)
	v_fma_f64 v[171:172], v[135:136], v[194:195], -v[171:172]
	v_mul_f64 v[155:156], v[2:3], v[200:201]
	v_fma_f64 v[165:166], v[137:138], v[194:195], v[165:166]
	ds_read_b128 v[135:138], v1 offset:1856
	v_add_f64 v[143:144], v[143:144], v[169:170]
	v_add_f64 v[6:7], v[6:7], v[159:160]
	s_waitcnt vmcnt(31) lgkmcnt(1)
	v_mul_f64 v[169:170], v[133:134], v[202:203]
	v_mul_f64 v[159:160], v[131:132], v[202:203]
	s_waitcnt vmcnt(29)
	v_fma_f64 v[167:168], v[2:3], v[141:142], -v[167:168]
	v_fma_f64 v[141:142], v[4:5], v[141:142], v[155:156]
	ds_read_b128 v[2:5], v1 offset:1872
	s_waitcnt vmcnt(25) lgkmcnt(1)
	v_mul_f64 v[155:156], v[135:136], v[145:146]
	v_mul_f64 v[145:146], v[137:138], v[145:146]
	v_add_f64 v[143:144], v[143:144], v[171:172]
	v_add_f64 v[6:7], v[6:7], v[165:166]
	s_waitcnt vmcnt(24)
	v_fma_f64 v[165:166], v[131:132], v[204:205], -v[169:170]
	v_fma_f64 v[159:160], v[133:134], v[204:205], v[159:160]
	ds_read_b128 v[131:134], v1 offset:1888
	v_add_f64 v[143:144], v[143:144], v[167:168]
	v_add_f64 v[6:7], v[6:7], v[141:142]
	s_waitcnt vmcnt(23) lgkmcnt(1)
	v_mul_f64 v[167:168], v[4:5], v[206:207]
	v_mul_f64 v[141:142], v[2:3], v[206:207]
	s_waitcnt vmcnt(21)
	v_fma_f64 v[145:146], v[135:136], v[139:140], -v[145:146]
	v_fma_f64 v[139:140], v[137:138], v[139:140], v[155:156]
	ds_read_b128 v[135:138], v1 offset:1904
	v_add_f64 v[143:144], v[143:144], v[165:166]
	v_add_f64 v[6:7], v[6:7], v[159:160]
	s_waitcnt vmcnt(17) lgkmcnt(1)
	v_mul_f64 v[155:156], v[131:132], v[153:154]
	v_mul_f64 v[153:154], v[133:134], v[153:154]
	;; [unrolled: 9-line block ×4, first 2 shown]
	s_waitcnt vmcnt(8)
	v_fma_f64 v[135:136], v[135:136], v[213:214], -v[145:146]
	v_fma_f64 v[137:138], v[137:138], v[213:214], v[139:140]
	v_add_f64 v[143:144], v[143:144], v[153:154]
	v_add_f64 v[6:7], v[6:7], v[151:152]
	s_waitcnt vmcnt(7) lgkmcnt(0)
	v_mul_f64 v[145:146], v[133:134], v[163:164]
	v_mul_f64 v[139:140], v[131:132], v[163:164]
	s_waitcnt vmcnt(5)
	v_fma_f64 v[2:3], v[2:3], v[149:150], -v[147:148]
	v_fma_f64 v[4:5], v[4:5], v[149:150], v[141:142]
	v_add_f64 v[135:136], v[143:144], v[135:136]
	v_add_f64 v[6:7], v[6:7], v[137:138]
	s_waitcnt vmcnt(4)
	v_fma_f64 v[131:132], v[131:132], v[208:209], -v[145:146]
	v_fma_f64 v[133:134], v[133:134], v[208:209], v[139:140]
	v_add_f64 v[2:3], v[135:136], v[2:3]
	v_add_f64 v[4:5], v[6:7], v[4:5]
	;; [unrolled: 1-line block ×4, first 2 shown]
	s_waitcnt vmcnt(2)
	v_add_f64 v[2:3], v[157:158], -v[2:3]
	s_waitcnt vmcnt(0)
	v_add_f64 v[4:5], v[161:162], -v[4:5]
	buffer_store_dword v3, off, s[0:3], 0 offset:612
	buffer_store_dword v2, off, s[0:3], 0 offset:608
	;; [unrolled: 1-line block ×4, first 2 shown]
	v_cmpx_lt_u32_e32 36, v0
	s_cbranch_execz .LBB124_319
; %bb.318:
	v_mov_b32_e32 v5, s39
	s_clause 0x3
	buffer_load_dword v2, v5, s[0:3], 0 offen
	buffer_load_dword v3, v5, s[0:3], 0 offen offset:4
	buffer_load_dword v4, v5, s[0:3], 0 offen offset:8
	;; [unrolled: 1-line block ×3, first 2 shown]
	buffer_store_dword v1, off, s[0:3], 0 offset:592
	buffer_store_dword v1, off, s[0:3], 0 offset:596
	;; [unrolled: 1-line block ×4, first 2 shown]
	s_waitcnt vmcnt(0)
	ds_write_b128 v191, v[2:5]
.LBB124_319:
	s_or_b32 exec_lo, exec_lo, s4
	s_waitcnt lgkmcnt(0)
	s_waitcnt_vscnt null, 0x0
	s_barrier
	buffer_gl0_inv
	s_clause 0x37
	buffer_load_dword v6, off, s[0:3], 0 offset:616
	buffer_load_dword v7, off, s[0:3], 0 offset:620
	;; [unrolled: 1-line block ×56, first 2 shown]
	ds_read_b128 v[2:5], v1 offset:1568
	s_clause 0x2
	buffer_load_dword v193, off, s[0:3], 0 offset:844
	buffer_load_dword v197, off, s[0:3], 0 offset:820
	;; [unrolled: 1-line block ×3, first 2 shown]
	ds_read_b128 v[131:134], v1 offset:1584
	s_clause 0x4
	buffer_load_dword v201, off, s[0:3], 0 offset:860
	buffer_load_dword v202, off, s[0:3], 0 offset:872
	;; [unrolled: 1-line block ×5, first 2 shown]
	ds_read_b128 v[135:138], v1 offset:1600
	s_mov_b32 s4, exec_lo
	s_waitcnt vmcnt(62) lgkmcnt(2)
	v_mul_f64 v[198:199], v[4:5], v[6:7]
	v_mul_f64 v[6:7], v[2:3], v[6:7]
	s_waitcnt vmcnt(60) lgkmcnt(1)
	v_mul_f64 v[205:206], v[133:134], v[139:140]
	v_mul_f64 v[139:140], v[131:132], v[139:140]
	;; [unrolled: 3-line block ×3, first 2 shown]
	v_fma_f64 v[198:199], v[2:3], v[141:142], -v[198:199]
	v_fma_f64 v[6:7], v[4:5], v[141:142], v[6:7]
	s_clause 0x2
	buffer_load_dword v203, off, s[0:3], 0 offset:876
	buffer_load_dword v142, off, s[0:3], 0 offset:852
	;; [unrolled: 1-line block ×3, first 2 shown]
	s_waitcnt vmcnt(57)
	v_fma_f64 v[209:210], v[131:132], v[145:146], -v[205:206]
	ds_read_b128 v[2:5], v1 offset:1616
	v_fma_f64 v[139:140], v[133:134], v[145:146], v[139:140]
	s_clause 0x4
	buffer_load_dword v146, off, s[0:3], 0 offset:892
	buffer_load_dword v206, off, s[0:3], 0 offset:904
	;; [unrolled: 1-line block ×5, first 2 shown]
	s_waitcnt vmcnt(56)
	v_fma_f64 v[143:144], v[135:136], v[153:154], -v[143:144]
	ds_read_b128 v[131:134], v1 offset:1632
	v_fma_f64 v[153:154], v[137:138], v[153:154], v[207:208]
	v_add_f64 v[198:199], v[198:199], 0
	v_add_f64 v[6:7], v[6:7], 0
	s_waitcnt lgkmcnt(1)
	v_mul_f64 v[212:213], v[2:3], v[147:148]
	v_mul_f64 v[147:148], v[4:5], v[147:148]
	v_add_f64 v[198:199], v[198:199], v[209:210]
	v_add_f64 v[6:7], v[6:7], v[139:140]
	s_clause 0x2
	buffer_load_dword v207, off, s[0:3], 0 offset:908
	buffer_load_dword v140, off, s[0:3], 0 offset:884
	;; [unrolled: 1-line block ×3, first 2 shown]
	s_waitcnt vmcnt(58) lgkmcnt(0)
	v_mul_f64 v[208:209], v[131:132], v[149:150]
	v_mul_f64 v[149:150], v[133:134], v[149:150]
	s_waitcnt vmcnt(56)
	v_fma_f64 v[147:148], v[2:3], v[155:156], -v[147:148]
	ds_read_b128 v[135:138], v1 offset:1648
	v_fma_f64 v[155:156], v[4:5], v[155:156], v[212:213]
	v_add_f64 v[143:144], v[198:199], v[143:144]
	v_add_f64 v[6:7], v[6:7], v[153:154]
	s_clause 0x4
	buffer_load_dword v154, off, s[0:3], 0 offset:924
	buffer_load_dword v198, off, s[0:3], 0 offset:936
	;; [unrolled: 1-line block ×5, first 2 shown]
	ds_read_b128 v[2:5], v1 offset:1664
	s_waitcnt vmcnt(57) lgkmcnt(1)
	v_mul_f64 v[214:215], v[135:136], v[157:158]
	v_mul_f64 v[157:158], v[137:138], v[157:158]
	s_waitcnt vmcnt(56)
	v_fma_f64 v[149:150], v[131:132], v[151:152], -v[149:150]
	v_add_f64 v[143:144], v[143:144], v[147:148]
	v_fma_f64 v[147:148], v[133:134], v[151:152], v[208:209]
	v_add_f64 v[6:7], v[6:7], v[155:156]
	s_clause 0x2
	buffer_load_dword v199, off, s[0:3], 0 offset:940
	buffer_load_dword v152, off, s[0:3], 0 offset:916
	;; [unrolled: 1-line block ×3, first 2 shown]
	s_waitcnt vmcnt(58) lgkmcnt(0)
	v_mul_f64 v[155:156], v[2:3], v[159:160]
	v_mul_f64 v[159:160], v[4:5], v[159:160]
	s_waitcnt vmcnt(56)
	v_fma_f64 v[157:158], v[135:136], v[163:164], -v[157:158]
	ds_read_b128 v[131:134], v1 offset:1680
	v_add_f64 v[143:144], v[143:144], v[149:150]
	v_fma_f64 v[149:150], v[137:138], v[163:164], v[214:215]
	v_add_f64 v[6:7], v[6:7], v[147:148]
	s_clause 0x4
	buffer_load_dword v148, off, s[0:3], 0 offset:956
	buffer_load_dword v163, off, s[0:3], 0 offset:968
	;; [unrolled: 1-line block ×5, first 2 shown]
	ds_read_b128 v[135:138], v1 offset:1696
	s_waitcnt vmcnt(57) lgkmcnt(1)
	v_mul_f64 v[209:210], v[131:132], v[165:166]
	v_mul_f64 v[165:166], v[133:134], v[165:166]
	s_waitcnt vmcnt(56)
	v_fma_f64 v[159:160], v[2:3], v[161:162], -v[159:160]
	v_fma_f64 v[155:156], v[4:5], v[161:162], v[155:156]
	v_add_f64 v[143:144], v[143:144], v[157:158]
	v_add_f64 v[6:7], v[6:7], v[149:150]
	s_clause 0x2
	buffer_load_dword v164, off, s[0:3], 0 offset:972
	buffer_load_dword v150, off, s[0:3], 0 offset:948
	;; [unrolled: 1-line block ×3, first 2 shown]
	s_waitcnt vmcnt(58) lgkmcnt(0)
	v_mul_f64 v[161:162], v[137:138], v[167:168]
	ds_read_b128 v[2:5], v1 offset:1712
	s_waitcnt vmcnt(56)
	v_fma_f64 v[165:166], v[131:132], v[171:172], -v[165:166]
	v_mul_f64 v[157:158], v[135:136], v[167:168]
	v_add_f64 v[143:144], v[143:144], v[159:160]
	v_fma_f64 v[159:160], v[133:134], v[171:172], v[209:210]
	v_add_f64 v[6:7], v[6:7], v[155:156]
	s_clause 0x2
	buffer_load_dword v156, off, s[0:3], 0 offset:988
	buffer_load_dword v155, off, s[0:3], 0 offset:984
	;; [unrolled: 1-line block ×3, first 2 shown]
	s_waitcnt vmcnt(55) lgkmcnt(0)
	v_mul_f64 v[171:172], v[4:5], v[173:174]
	s_waitcnt vmcnt(54)
	v_fma_f64 v[161:162], v[135:136], v[169:170], -v[161:162]
	ds_read_b128 v[131:134], v1 offset:1728
	v_mul_f64 v[167:168], v[2:3], v[173:174]
	v_fma_f64 v[157:158], v[137:138], v[169:170], v[157:158]
	v_add_f64 v[143:144], v[143:144], v[165:166]
	v_add_f64 v[6:7], v[6:7], v[159:160]
	s_clause 0x1
	buffer_load_dword v160, off, s[0:3], 0 offset:980
	buffer_load_dword v159, off, s[0:3], 0 offset:976
	s_waitcnt vmcnt(55) lgkmcnt(0)
	v_mul_f64 v[169:170], v[133:134], v[175:176]
	s_waitcnt vmcnt(53)
	v_fma_f64 v[171:172], v[2:3], v[179:180], -v[171:172]
	ds_read_b128 v[135:138], v1 offset:1744
	v_mul_f64 v[165:166], v[131:132], v[175:176]
	v_add_f64 v[143:144], v[143:144], v[161:162]
	v_fma_f64 v[161:162], v[4:5], v[179:180], v[167:168]
	v_add_f64 v[6:7], v[6:7], v[157:158]
	ds_read_b128 v[2:5], v1 offset:1760
	s_waitcnt vmcnt(49) lgkmcnt(1)
	v_mul_f64 v[167:168], v[137:138], v[181:182]
	s_waitcnt vmcnt(48)
	v_fma_f64 v[169:170], v[131:132], v[177:178], -v[169:170]
	v_mul_f64 v[157:158], v[135:136], v[181:182]
	v_fma_f64 v[165:166], v[133:134], v[177:178], v[165:166]
	v_add_f64 v[143:144], v[143:144], v[171:172]
	s_waitcnt vmcnt(47) lgkmcnt(0)
	v_mul_f64 v[175:176], v[4:5], v[183:184]
	v_add_f64 v[6:7], v[6:7], v[161:162]
	s_clause 0x3
	buffer_load_dword v161, off, s[0:3], 0 offset:592
	buffer_load_dword v162, off, s[0:3], 0 offset:596
	;; [unrolled: 1-line block ×4, first 2 shown]
	s_waitcnt vmcnt(49)
	v_fma_f64 v[167:168], v[135:136], v[187:188], -v[167:168]
	ds_read_b128 v[131:134], v1 offset:1776
	v_mul_f64 v[173:174], v[2:3], v[183:184]
	v_fma_f64 v[157:158], v[137:138], v[187:188], v[157:158]
	ds_read_b128 v[135:138], v1 offset:1792
	v_add_f64 v[143:144], v[143:144], v[169:170]
	s_waitcnt vmcnt(44)
	v_fma_f64 v[175:176], v[2:3], v[185:186], -v[175:176]
	v_add_f64 v[6:7], v[6:7], v[165:166]
	s_waitcnt lgkmcnt(1)
	v_mul_f64 v[169:170], v[133:134], v[189:190]
	v_mul_f64 v[165:166], v[131:132], v[189:190]
	v_add_f64 v[143:144], v[143:144], v[167:168]
	v_fma_f64 v[167:168], v[4:5], v[185:186], v[173:174]
	v_add_f64 v[6:7], v[6:7], v[157:158]
	s_waitcnt vmcnt(43) lgkmcnt(0)
	v_mul_f64 v[173:174], v[137:138], v[192:193]
	s_waitcnt vmcnt(41)
	v_fma_f64 v[169:170], v[131:132], v[196:197], -v[169:170]
	ds_read_b128 v[2:5], v1 offset:1808
	v_mul_f64 v[157:158], v[135:136], v[192:193]
	v_fma_f64 v[165:166], v[133:134], v[196:197], v[165:166]
	ds_read_b128 v[131:134], v1 offset:1824
	v_add_f64 v[143:144], v[143:144], v[175:176]
	v_add_f64 v[6:7], v[6:7], v[167:168]
	s_waitcnt vmcnt(37) lgkmcnt(1)
	v_mul_f64 v[175:176], v[4:5], v[200:201]
	s_waitcnt vmcnt(36)
	v_fma_f64 v[173:174], v[135:136], v[194:195], -v[173:174]
	v_mul_f64 v[167:168], v[2:3], v[200:201]
	v_fma_f64 v[157:158], v[137:138], v[194:195], v[157:158]
	ds_read_b128 v[135:138], v1 offset:1840
	v_add_f64 v[143:144], v[143:144], v[169:170]
	v_add_f64 v[6:7], v[6:7], v[165:166]
	s_waitcnt vmcnt(35) lgkmcnt(1)
	v_mul_f64 v[169:170], v[133:134], v[202:203]
	v_mul_f64 v[165:166], v[131:132], v[202:203]
	s_waitcnt vmcnt(33)
	v_fma_f64 v[175:176], v[2:3], v[141:142], -v[175:176]
	v_fma_f64 v[141:142], v[4:5], v[141:142], v[167:168]
	ds_read_b128 v[2:5], v1 offset:1856
	v_add_f64 v[143:144], v[143:144], v[173:174]
	v_add_f64 v[6:7], v[6:7], v[157:158]
	s_waitcnt vmcnt(29) lgkmcnt(1)
	v_mul_f64 v[157:158], v[135:136], v[145:146]
	v_mul_f64 v[145:146], v[137:138], v[145:146]
	s_waitcnt vmcnt(28)
	v_fma_f64 v[167:168], v[131:132], v[204:205], -v[169:170]
	;; [unrolled: 9-line block ×7, first 2 shown]
	v_fma_f64 v[3:4], v[4:5], v[149:150], v[141:142]
	v_add_f64 v[143:144], v[143:144], v[145:146]
	v_add_f64 v[5:6], v[6:7], v[139:140]
	s_waitcnt vmcnt(7) lgkmcnt(0)
	v_mul_f64 v[139:140], v[137:138], v[155:156]
	s_waitcnt vmcnt(6)
	v_fma_f64 v[131:132], v[131:132], v[208:209], -v[153:154]
	v_mul_f64 v[7:8], v[135:136], v[155:156]
	v_fma_f64 v[133:134], v[133:134], v[208:209], v[151:152]
	v_add_f64 v[1:2], v[143:144], v[1:2]
	v_add_f64 v[3:4], v[5:6], v[3:4]
	s_waitcnt vmcnt(4)
	v_fma_f64 v[5:6], v[135:136], v[159:160], -v[139:140]
	v_fma_f64 v[7:8], v[137:138], v[159:160], v[7:8]
	v_add_f64 v[1:2], v[1:2], v[131:132]
	v_add_f64 v[3:4], v[3:4], v[133:134]
	;; [unrolled: 1-line block ×4, first 2 shown]
	s_waitcnt vmcnt(2)
	v_add_f64 v[1:2], v[161:162], -v[1:2]
	s_waitcnt vmcnt(0)
	v_add_f64 v[3:4], v[171:172], -v[3:4]
	buffer_store_dword v2, off, s[0:3], 0 offset:596
	buffer_store_dword v1, off, s[0:3], 0 offset:592
	;; [unrolled: 1-line block ×4, first 2 shown]
	v_cmpx_lt_u32_e32 35, v0
	s_cbranch_execz .LBB124_321
; %bb.320:
	v_mov_b32_e32 v4, s40
	v_mov_b32_e32 v5, 0
	s_clause 0x3
	buffer_load_dword v1, v4, s[0:3], 0 offen
	buffer_load_dword v2, v4, s[0:3], 0 offen offset:4
	buffer_load_dword v3, v4, s[0:3], 0 offen offset:8
	;; [unrolled: 1-line block ×3, first 2 shown]
	buffer_store_dword v5, off, s[0:3], 0 offset:576
	buffer_store_dword v5, off, s[0:3], 0 offset:580
	;; [unrolled: 1-line block ×4, first 2 shown]
	s_waitcnt vmcnt(0)
	ds_write_b128 v191, v[1:4]
.LBB124_321:
	s_or_b32 exec_lo, exec_lo, s4
	s_waitcnt lgkmcnt(0)
	s_waitcnt_vscnt null, 0x0
	s_barrier
	buffer_gl0_inv
	s_clause 0x37
	buffer_load_dword v6, off, s[0:3], 0 offset:600
	buffer_load_dword v7, off, s[0:3], 0 offset:604
	buffer_load_dword v139, off, s[0:3], 0 offset:616
	buffer_load_dword v140, off, s[0:3], 0 offset:620
	buffer_load_dword v141, off, s[0:3], 0 offset:592
	buffer_load_dword v142, off, s[0:3], 0 offset:596
	buffer_load_dword v143, off, s[0:3], 0 offset:632
	buffer_load_dword v144, off, s[0:3], 0 offset:636
	buffer_load_dword v145, off, s[0:3], 0 offset:608
	buffer_load_dword v146, off, s[0:3], 0 offset:612
	buffer_load_dword v148, off, s[0:3], 0 offset:652
	buffer_load_dword v149, off, s[0:3], 0 offset:664
	buffer_load_dword v151, off, s[0:3], 0 offset:656
	buffer_load_dword v147, off, s[0:3], 0 offset:648
	buffer_load_dword v153, off, s[0:3], 0 offset:624
	buffer_load_dword v154, off, s[0:3], 0 offset:628
	buffer_load_dword v150, off, s[0:3], 0 offset:668
	buffer_load_dword v156, off, s[0:3], 0 offset:644
	buffer_load_dword v155, off, s[0:3], 0 offset:640
	buffer_load_dword v158, off, s[0:3], 0 offset:684
	buffer_load_dword v159, off, s[0:3], 0 offset:696
	buffer_load_dword v161, off, s[0:3], 0 offset:688
	buffer_load_dword v157, off, s[0:3], 0 offset:680
	buffer_load_dword v152, off, s[0:3], 0 offset:660
	buffer_load_dword v160, off, s[0:3], 0 offset:700
	buffer_load_dword v164, off, s[0:3], 0 offset:676
	buffer_load_dword v163, off, s[0:3], 0 offset:672
	buffer_load_dword v166, off, s[0:3], 0 offset:716
	buffer_load_dword v167, off, s[0:3], 0 offset:728
	buffer_load_dword v169, off, s[0:3], 0 offset:720
	buffer_load_dword v165, off, s[0:3], 0 offset:712
	buffer_load_dword v162, off, s[0:3], 0 offset:692
	buffer_load_dword v168, off, s[0:3], 0 offset:732
	buffer_load_dword v172, off, s[0:3], 0 offset:708
	buffer_load_dword v171, off, s[0:3], 0 offset:704
	buffer_load_dword v174, off, s[0:3], 0 offset:748
	buffer_load_dword v175, off, s[0:3], 0 offset:760
	buffer_load_dword v177, off, s[0:3], 0 offset:752
	buffer_load_dword v173, off, s[0:3], 0 offset:744
	buffer_load_dword v170, off, s[0:3], 0 offset:724
	buffer_load_dword v176, off, s[0:3], 0 offset:764
	buffer_load_dword v180, off, s[0:3], 0 offset:740
	buffer_load_dword v179, off, s[0:3], 0 offset:736
	buffer_load_dword v182, off, s[0:3], 0 offset:780
	buffer_load_dword v183, off, s[0:3], 0 offset:792
	buffer_load_dword v185, off, s[0:3], 0 offset:784
	buffer_load_dword v181, off, s[0:3], 0 offset:776
	buffer_load_dword v178, off, s[0:3], 0 offset:756
	buffer_load_dword v184, off, s[0:3], 0 offset:796
	buffer_load_dword v188, off, s[0:3], 0 offset:772
	buffer_load_dword v187, off, s[0:3], 0 offset:768
	buffer_load_dword v190, off, s[0:3], 0 offset:812
	buffer_load_dword v192, off, s[0:3], 0 offset:824
	buffer_load_dword v194, off, s[0:3], 0 offset:816
	buffer_load_dword v189, off, s[0:3], 0 offset:808
	buffer_load_dword v186, off, s[0:3], 0 offset:788
	v_mov_b32_e32 v1, 0
	s_mov_b32 s4, exec_lo
	ds_read_b128 v[2:5], v1 offset:1552
	s_clause 0x2
	buffer_load_dword v193, off, s[0:3], 0 offset:828
	buffer_load_dword v197, off, s[0:3], 0 offset:804
	;; [unrolled: 1-line block ×3, first 2 shown]
	ds_read_b128 v[131:134], v1 offset:1568
	s_clause 0x4
	buffer_load_dword v201, off, s[0:3], 0 offset:844
	buffer_load_dword v202, off, s[0:3], 0 offset:856
	;; [unrolled: 1-line block ×5, first 2 shown]
	ds_read_b128 v[135:138], v1 offset:1584
	s_waitcnt vmcnt(62) lgkmcnt(2)
	v_mul_f64 v[198:199], v[4:5], v[6:7]
	v_mul_f64 v[6:7], v[2:3], v[6:7]
	s_waitcnt vmcnt(60) lgkmcnt(1)
	v_mul_f64 v[205:206], v[133:134], v[139:140]
	v_mul_f64 v[139:140], v[131:132], v[139:140]
	;; [unrolled: 3-line block ×3, first 2 shown]
	v_fma_f64 v[198:199], v[2:3], v[141:142], -v[198:199]
	v_fma_f64 v[6:7], v[4:5], v[141:142], v[6:7]
	s_clause 0x2
	buffer_load_dword v203, off, s[0:3], 0 offset:860
	buffer_load_dword v142, off, s[0:3], 0 offset:836
	buffer_load_dword v141, off, s[0:3], 0 offset:832
	s_waitcnt vmcnt(57)
	v_fma_f64 v[209:210], v[131:132], v[145:146], -v[205:206]
	ds_read_b128 v[2:5], v1 offset:1600
	v_fma_f64 v[139:140], v[133:134], v[145:146], v[139:140]
	s_clause 0x4
	buffer_load_dword v146, off, s[0:3], 0 offset:876
	buffer_load_dword v206, off, s[0:3], 0 offset:888
	;; [unrolled: 1-line block ×5, first 2 shown]
	s_waitcnt vmcnt(56)
	v_fma_f64 v[143:144], v[135:136], v[153:154], -v[143:144]
	ds_read_b128 v[131:134], v1 offset:1616
	v_fma_f64 v[153:154], v[137:138], v[153:154], v[207:208]
	v_add_f64 v[198:199], v[198:199], 0
	v_add_f64 v[6:7], v[6:7], 0
	s_waitcnt lgkmcnt(1)
	v_mul_f64 v[212:213], v[2:3], v[147:148]
	v_mul_f64 v[147:148], v[4:5], v[147:148]
	v_add_f64 v[198:199], v[198:199], v[209:210]
	v_add_f64 v[6:7], v[6:7], v[139:140]
	s_clause 0x2
	buffer_load_dword v207, off, s[0:3], 0 offset:892
	buffer_load_dword v140, off, s[0:3], 0 offset:868
	;; [unrolled: 1-line block ×3, first 2 shown]
	s_waitcnt vmcnt(58) lgkmcnt(0)
	v_mul_f64 v[208:209], v[131:132], v[149:150]
	v_mul_f64 v[149:150], v[133:134], v[149:150]
	s_waitcnt vmcnt(56)
	v_fma_f64 v[147:148], v[2:3], v[155:156], -v[147:148]
	ds_read_b128 v[135:138], v1 offset:1632
	v_fma_f64 v[155:156], v[4:5], v[155:156], v[212:213]
	v_add_f64 v[143:144], v[198:199], v[143:144]
	v_add_f64 v[6:7], v[6:7], v[153:154]
	s_clause 0x4
	buffer_load_dword v154, off, s[0:3], 0 offset:908
	buffer_load_dword v198, off, s[0:3], 0 offset:920
	;; [unrolled: 1-line block ×5, first 2 shown]
	ds_read_b128 v[2:5], v1 offset:1648
	s_waitcnt vmcnt(57) lgkmcnt(1)
	v_mul_f64 v[214:215], v[135:136], v[157:158]
	v_mul_f64 v[157:158], v[137:138], v[157:158]
	s_waitcnt vmcnt(56)
	v_fma_f64 v[149:150], v[131:132], v[151:152], -v[149:150]
	v_add_f64 v[143:144], v[143:144], v[147:148]
	v_fma_f64 v[147:148], v[133:134], v[151:152], v[208:209]
	v_add_f64 v[6:7], v[6:7], v[155:156]
	s_clause 0x2
	buffer_load_dword v199, off, s[0:3], 0 offset:924
	buffer_load_dword v152, off, s[0:3], 0 offset:900
	;; [unrolled: 1-line block ×3, first 2 shown]
	s_waitcnt vmcnt(58) lgkmcnt(0)
	v_mul_f64 v[155:156], v[2:3], v[159:160]
	v_mul_f64 v[159:160], v[4:5], v[159:160]
	s_waitcnt vmcnt(56)
	v_fma_f64 v[157:158], v[135:136], v[163:164], -v[157:158]
	ds_read_b128 v[131:134], v1 offset:1664
	v_add_f64 v[143:144], v[143:144], v[149:150]
	v_fma_f64 v[149:150], v[137:138], v[163:164], v[214:215]
	v_add_f64 v[6:7], v[6:7], v[147:148]
	s_clause 0x4
	buffer_load_dword v148, off, s[0:3], 0 offset:940
	buffer_load_dword v163, off, s[0:3], 0 offset:952
	;; [unrolled: 1-line block ×5, first 2 shown]
	ds_read_b128 v[135:138], v1 offset:1680
	s_waitcnt vmcnt(57) lgkmcnt(1)
	v_mul_f64 v[209:210], v[131:132], v[165:166]
	v_mul_f64 v[165:166], v[133:134], v[165:166]
	s_waitcnt vmcnt(56)
	v_fma_f64 v[159:160], v[2:3], v[161:162], -v[159:160]
	v_fma_f64 v[155:156], v[4:5], v[161:162], v[155:156]
	v_add_f64 v[143:144], v[143:144], v[157:158]
	v_add_f64 v[6:7], v[6:7], v[149:150]
	s_clause 0x2
	buffer_load_dword v164, off, s[0:3], 0 offset:956
	buffer_load_dword v150, off, s[0:3], 0 offset:932
	buffer_load_dword v149, off, s[0:3], 0 offset:928
	s_waitcnt vmcnt(58) lgkmcnt(0)
	v_mul_f64 v[161:162], v[137:138], v[167:168]
	ds_read_b128 v[2:5], v1 offset:1696
	s_waitcnt vmcnt(56)
	v_fma_f64 v[165:166], v[131:132], v[171:172], -v[165:166]
	v_mul_f64 v[157:158], v[135:136], v[167:168]
	v_add_f64 v[143:144], v[143:144], v[159:160]
	v_fma_f64 v[159:160], v[133:134], v[171:172], v[209:210]
	v_add_f64 v[6:7], v[6:7], v[155:156]
	s_clause 0x4
	buffer_load_dword v156, off, s[0:3], 0 offset:972
	buffer_load_dword v167, off, s[0:3], 0 offset:984
	;; [unrolled: 1-line block ×5, first 2 shown]
	s_waitcnt vmcnt(57) lgkmcnt(0)
	v_mul_f64 v[215:216], v[2:3], v[173:174]
	v_mul_f64 v[172:173], v[4:5], v[173:174]
	s_waitcnt vmcnt(56)
	v_fma_f64 v[161:162], v[135:136], v[169:170], -v[161:162]
	ds_read_b128 v[131:134], v1 offset:1712
	v_fma_f64 v[157:158], v[137:138], v[169:170], v[157:158]
	v_add_f64 v[143:144], v[143:144], v[165:166]
	v_add_f64 v[6:7], v[6:7], v[159:160]
	s_clause 0x2
	buffer_load_dword v168, off, s[0:3], 0 offset:988
	buffer_load_dword v160, off, s[0:3], 0 offset:964
	;; [unrolled: 1-line block ×3, first 2 shown]
	ds_read_b128 v[135:138], v1 offset:1728
	s_waitcnt vmcnt(58) lgkmcnt(1)
	v_mul_f64 v[169:170], v[133:134], v[175:176]
	s_waitcnt vmcnt(56)
	v_fma_f64 v[173:174], v[2:3], v[179:180], -v[172:173]
	v_mul_f64 v[165:166], v[131:132], v[175:176]
	buffer_load_dword v172, off, s[0:3], 0 offset:980
	v_add_f64 v[143:144], v[143:144], v[161:162]
	v_fma_f64 v[161:162], v[4:5], v[179:180], v[215:216]
	v_add_f64 v[6:7], v[6:7], v[157:158]
	ds_read_b128 v[2:5], v1 offset:1744
	s_waitcnt vmcnt(53) lgkmcnt(1)
	v_mul_f64 v[175:176], v[137:138], v[181:182]
	s_waitcnt vmcnt(52)
	v_fma_f64 v[169:170], v[131:132], v[177:178], -v[169:170]
	v_mul_f64 v[157:158], v[135:136], v[181:182]
	v_fma_f64 v[165:166], v[133:134], v[177:178], v[165:166]
	ds_read_b128 v[131:134], v1 offset:1760
	v_add_f64 v[143:144], v[143:144], v[173:174]
	s_waitcnt vmcnt(51) lgkmcnt(1)
	v_mul_f64 v[173:174], v[4:5], v[183:184]
	v_add_f64 v[6:7], v[6:7], v[161:162]
	v_mul_f64 v[161:162], v[2:3], v[183:184]
	s_waitcnt vmcnt(49)
	v_fma_f64 v[175:176], v[135:136], v[187:188], -v[175:176]
	v_fma_f64 v[157:158], v[137:138], v[187:188], v[157:158]
	s_waitcnt vmcnt(45) lgkmcnt(0)
	v_mul_f64 v[179:180], v[133:134], v[189:190]
	v_mul_f64 v[177:178], v[131:132], v[189:190]
	v_add_f64 v[143:144], v[143:144], v[169:170]
	s_waitcnt vmcnt(44)
	v_fma_f64 v[173:174], v[2:3], v[185:186], -v[173:174]
	v_add_f64 v[6:7], v[6:7], v[165:166]
	s_clause 0x3
	buffer_load_dword v165, off, s[0:3], 0 offset:576
	buffer_load_dword v166, off, s[0:3], 0 offset:580
	;; [unrolled: 1-line block ×4, first 2 shown]
	ds_read_b128 v[135:138], v1 offset:1776
	v_fma_f64 v[161:162], v[4:5], v[185:186], v[161:162]
	ds_read_b128 v[2:5], v1 offset:1792
	s_waitcnt vmcnt(45)
	v_fma_f64 v[179:180], v[131:132], v[196:197], -v[179:180]
	v_add_f64 v[143:144], v[143:144], v[175:176]
	v_add_f64 v[6:7], v[6:7], v[157:158]
	s_waitcnt lgkmcnt(1)
	v_mul_f64 v[175:176], v[137:138], v[192:193]
	v_mul_f64 v[157:158], v[135:136], v[192:193]
	v_add_f64 v[143:144], v[143:144], v[173:174]
	v_fma_f64 v[173:174], v[133:134], v[196:197], v[177:178]
	v_add_f64 v[6:7], v[6:7], v[161:162]
	s_waitcnt vmcnt(41) lgkmcnt(0)
	v_mul_f64 v[177:178], v[4:5], v[200:201]
	s_waitcnt vmcnt(40)
	v_fma_f64 v[175:176], v[135:136], v[194:195], -v[175:176]
	ds_read_b128 v[131:134], v1 offset:1808
	v_mul_f64 v[161:162], v[2:3], v[200:201]
	v_fma_f64 v[157:158], v[137:138], v[194:195], v[157:158]
	ds_read_b128 v[135:138], v1 offset:1824
	v_add_f64 v[143:144], v[143:144], v[179:180]
	v_add_f64 v[6:7], v[6:7], v[173:174]
	s_waitcnt vmcnt(39) lgkmcnt(1)
	v_mul_f64 v[179:180], v[133:134], v[202:203]
	v_mul_f64 v[173:174], v[131:132], v[202:203]
	s_waitcnt vmcnt(37)
	v_fma_f64 v[177:178], v[2:3], v[141:142], -v[177:178]
	v_fma_f64 v[141:142], v[4:5], v[141:142], v[161:162]
	ds_read_b128 v[2:5], v1 offset:1840
	v_add_f64 v[143:144], v[143:144], v[175:176]
	v_add_f64 v[6:7], v[6:7], v[157:158]
	s_waitcnt vmcnt(33) lgkmcnt(1)
	v_mul_f64 v[157:158], v[135:136], v[145:146]
	v_mul_f64 v[145:146], v[137:138], v[145:146]
	s_waitcnt vmcnt(32)
	v_fma_f64 v[161:162], v[131:132], v[204:205], -v[179:180]
	;; [unrolled: 9-line block ×7, first 2 shown]
	v_fma_f64 v[141:142], v[4:5], v[149:150], v[141:142]
	ds_read_b128 v[2:5], v1 offset:1936
	v_add_f64 v[143:144], v[143:144], v[145:146]
	v_add_f64 v[6:7], v[6:7], v[139:140]
	s_waitcnt vmcnt(9) lgkmcnt(1)
	v_mul_f64 v[145:146], v[137:138], v[155:156]
	s_waitcnt vmcnt(8)
	v_fma_f64 v[131:132], v[131:132], v[208:209], -v[153:154]
	v_mul_f64 v[139:140], v[135:136], v[155:156]
	v_fma_f64 v[133:134], v[133:134], v[208:209], v[151:152]
	v_add_f64 v[143:144], v[143:144], v[147:148]
	v_add_f64 v[6:7], v[6:7], v[141:142]
	s_waitcnt vmcnt(7) lgkmcnt(0)
	v_mul_f64 v[147:148], v[4:5], v[167:168]
	v_mul_f64 v[141:142], v[2:3], v[167:168]
	s_waitcnt vmcnt(5)
	v_fma_f64 v[135:136], v[135:136], v[159:160], -v[145:146]
	v_fma_f64 v[137:138], v[137:138], v[159:160], v[139:140]
	v_add_f64 v[131:132], v[143:144], v[131:132]
	v_add_f64 v[6:7], v[6:7], v[133:134]
	s_waitcnt vmcnt(4)
	v_fma_f64 v[2:3], v[2:3], v[171:172], -v[147:148]
	v_fma_f64 v[4:5], v[4:5], v[171:172], v[141:142]
	v_add_f64 v[131:132], v[131:132], v[135:136]
	v_add_f64 v[6:7], v[6:7], v[137:138]
	;; [unrolled: 1-line block ×4, first 2 shown]
	s_waitcnt vmcnt(2)
	v_add_f64 v[2:3], v[165:166], -v[2:3]
	s_waitcnt vmcnt(0)
	v_add_f64 v[4:5], v[169:170], -v[4:5]
	buffer_store_dword v3, off, s[0:3], 0 offset:580
	buffer_store_dword v2, off, s[0:3], 0 offset:576
	;; [unrolled: 1-line block ×4, first 2 shown]
	v_cmpx_lt_u32_e32 34, v0
	s_cbranch_execz .LBB124_323
; %bb.322:
	v_mov_b32_e32 v5, s41
	s_clause 0x3
	buffer_load_dword v2, v5, s[0:3], 0 offen
	buffer_load_dword v3, v5, s[0:3], 0 offen offset:4
	buffer_load_dword v4, v5, s[0:3], 0 offen offset:8
	;; [unrolled: 1-line block ×3, first 2 shown]
	buffer_store_dword v1, off, s[0:3], 0 offset:560
	buffer_store_dword v1, off, s[0:3], 0 offset:564
	;; [unrolled: 1-line block ×4, first 2 shown]
	s_waitcnt vmcnt(0)
	ds_write_b128 v191, v[2:5]
.LBB124_323:
	s_or_b32 exec_lo, exec_lo, s4
	s_waitcnt lgkmcnt(0)
	s_waitcnt_vscnt null, 0x0
	s_barrier
	buffer_gl0_inv
	s_clause 0x37
	buffer_load_dword v6, off, s[0:3], 0 offset:584
	buffer_load_dword v7, off, s[0:3], 0 offset:588
	;; [unrolled: 1-line block ×56, first 2 shown]
	ds_read_b128 v[2:5], v1 offset:1536
	s_clause 0x2
	buffer_load_dword v193, off, s[0:3], 0 offset:812
	buffer_load_dword v197, off, s[0:3], 0 offset:788
	;; [unrolled: 1-line block ×3, first 2 shown]
	ds_read_b128 v[131:134], v1 offset:1552
	s_clause 0x4
	buffer_load_dword v201, off, s[0:3], 0 offset:828
	buffer_load_dword v202, off, s[0:3], 0 offset:840
	;; [unrolled: 1-line block ×5, first 2 shown]
	ds_read_b128 v[135:138], v1 offset:1568
	s_mov_b32 s4, exec_lo
	s_waitcnt vmcnt(62) lgkmcnt(2)
	v_mul_f64 v[198:199], v[4:5], v[6:7]
	v_mul_f64 v[6:7], v[2:3], v[6:7]
	s_waitcnt vmcnt(60) lgkmcnt(1)
	v_mul_f64 v[205:206], v[133:134], v[139:140]
	v_mul_f64 v[139:140], v[131:132], v[139:140]
	;; [unrolled: 3-line block ×3, first 2 shown]
	v_fma_f64 v[198:199], v[2:3], v[141:142], -v[198:199]
	v_fma_f64 v[6:7], v[4:5], v[141:142], v[6:7]
	s_clause 0x2
	buffer_load_dword v203, off, s[0:3], 0 offset:844
	buffer_load_dword v142, off, s[0:3], 0 offset:820
	;; [unrolled: 1-line block ×3, first 2 shown]
	s_waitcnt vmcnt(57)
	v_fma_f64 v[209:210], v[131:132], v[145:146], -v[205:206]
	ds_read_b128 v[2:5], v1 offset:1584
	v_fma_f64 v[139:140], v[133:134], v[145:146], v[139:140]
	s_clause 0x4
	buffer_load_dword v146, off, s[0:3], 0 offset:860
	buffer_load_dword v206, off, s[0:3], 0 offset:872
	;; [unrolled: 1-line block ×5, first 2 shown]
	s_waitcnt vmcnt(56)
	v_fma_f64 v[143:144], v[135:136], v[153:154], -v[143:144]
	ds_read_b128 v[131:134], v1 offset:1600
	v_fma_f64 v[153:154], v[137:138], v[153:154], v[207:208]
	v_add_f64 v[198:199], v[198:199], 0
	v_add_f64 v[6:7], v[6:7], 0
	s_waitcnt lgkmcnt(1)
	v_mul_f64 v[212:213], v[2:3], v[147:148]
	v_mul_f64 v[147:148], v[4:5], v[147:148]
	v_add_f64 v[198:199], v[198:199], v[209:210]
	v_add_f64 v[6:7], v[6:7], v[139:140]
	s_clause 0x2
	buffer_load_dword v207, off, s[0:3], 0 offset:876
	buffer_load_dword v140, off, s[0:3], 0 offset:852
	;; [unrolled: 1-line block ×3, first 2 shown]
	s_waitcnt vmcnt(58) lgkmcnt(0)
	v_mul_f64 v[208:209], v[131:132], v[149:150]
	v_mul_f64 v[149:150], v[133:134], v[149:150]
	s_waitcnt vmcnt(56)
	v_fma_f64 v[147:148], v[2:3], v[155:156], -v[147:148]
	ds_read_b128 v[135:138], v1 offset:1616
	v_fma_f64 v[155:156], v[4:5], v[155:156], v[212:213]
	v_add_f64 v[143:144], v[198:199], v[143:144]
	v_add_f64 v[6:7], v[6:7], v[153:154]
	s_clause 0x4
	buffer_load_dword v154, off, s[0:3], 0 offset:892
	buffer_load_dword v198, off, s[0:3], 0 offset:904
	buffer_load_dword v213, off, s[0:3], 0 offset:896
	buffer_load_dword v153, off, s[0:3], 0 offset:888
	buffer_load_dword v212, off, s[0:3], 0 offset:868
	ds_read_b128 v[2:5], v1 offset:1632
	s_waitcnt vmcnt(57) lgkmcnt(1)
	v_mul_f64 v[214:215], v[135:136], v[157:158]
	v_mul_f64 v[157:158], v[137:138], v[157:158]
	s_waitcnt vmcnt(56)
	v_fma_f64 v[149:150], v[131:132], v[151:152], -v[149:150]
	v_add_f64 v[143:144], v[143:144], v[147:148]
	v_fma_f64 v[147:148], v[133:134], v[151:152], v[208:209]
	v_add_f64 v[6:7], v[6:7], v[155:156]
	s_clause 0x2
	buffer_load_dword v199, off, s[0:3], 0 offset:908
	buffer_load_dword v152, off, s[0:3], 0 offset:884
	;; [unrolled: 1-line block ×3, first 2 shown]
	s_waitcnt vmcnt(58) lgkmcnt(0)
	v_mul_f64 v[155:156], v[2:3], v[159:160]
	v_mul_f64 v[159:160], v[4:5], v[159:160]
	s_waitcnt vmcnt(56)
	v_fma_f64 v[157:158], v[135:136], v[163:164], -v[157:158]
	ds_read_b128 v[131:134], v1 offset:1648
	v_add_f64 v[143:144], v[143:144], v[149:150]
	v_fma_f64 v[149:150], v[137:138], v[163:164], v[214:215]
	v_add_f64 v[6:7], v[6:7], v[147:148]
	s_clause 0x4
	buffer_load_dword v148, off, s[0:3], 0 offset:924
	buffer_load_dword v163, off, s[0:3], 0 offset:936
	;; [unrolled: 1-line block ×5, first 2 shown]
	ds_read_b128 v[135:138], v1 offset:1664
	s_waitcnt vmcnt(57) lgkmcnt(1)
	v_mul_f64 v[209:210], v[131:132], v[165:166]
	v_mul_f64 v[165:166], v[133:134], v[165:166]
	s_waitcnt vmcnt(56)
	v_fma_f64 v[159:160], v[2:3], v[161:162], -v[159:160]
	v_fma_f64 v[155:156], v[4:5], v[161:162], v[155:156]
	v_add_f64 v[143:144], v[143:144], v[157:158]
	v_add_f64 v[6:7], v[6:7], v[149:150]
	s_clause 0x2
	buffer_load_dword v164, off, s[0:3], 0 offset:940
	buffer_load_dword v150, off, s[0:3], 0 offset:916
	;; [unrolled: 1-line block ×3, first 2 shown]
	s_waitcnt vmcnt(58) lgkmcnt(0)
	v_mul_f64 v[161:162], v[137:138], v[167:168]
	ds_read_b128 v[2:5], v1 offset:1680
	s_waitcnt vmcnt(56)
	v_fma_f64 v[165:166], v[131:132], v[171:172], -v[165:166]
	v_mul_f64 v[157:158], v[135:136], v[167:168]
	v_add_f64 v[143:144], v[143:144], v[159:160]
	v_fma_f64 v[159:160], v[133:134], v[171:172], v[209:210]
	v_add_f64 v[6:7], v[6:7], v[155:156]
	s_clause 0x4
	buffer_load_dword v156, off, s[0:3], 0 offset:956
	buffer_load_dword v167, off, s[0:3], 0 offset:968
	;; [unrolled: 1-line block ×5, first 2 shown]
	s_waitcnt vmcnt(57) lgkmcnt(0)
	v_mul_f64 v[215:216], v[2:3], v[173:174]
	v_mul_f64 v[172:173], v[4:5], v[173:174]
	s_waitcnt vmcnt(56)
	v_fma_f64 v[161:162], v[135:136], v[169:170], -v[161:162]
	ds_read_b128 v[131:134], v1 offset:1696
	v_fma_f64 v[157:158], v[137:138], v[169:170], v[157:158]
	v_add_f64 v[143:144], v[143:144], v[165:166]
	v_add_f64 v[6:7], v[6:7], v[159:160]
	s_clause 0x2
	buffer_load_dword v168, off, s[0:3], 0 offset:972
	buffer_load_dword v160, off, s[0:3], 0 offset:948
	;; [unrolled: 1-line block ×3, first 2 shown]
	ds_read_b128 v[135:138], v1 offset:1712
	s_waitcnt vmcnt(58) lgkmcnt(1)
	v_mul_f64 v[169:170], v[133:134], v[175:176]
	s_waitcnt vmcnt(56)
	v_fma_f64 v[173:174], v[2:3], v[179:180], -v[172:173]
	v_mul_f64 v[165:166], v[131:132], v[175:176]
	v_add_f64 v[143:144], v[143:144], v[161:162]
	v_fma_f64 v[161:162], v[4:5], v[179:180], v[215:216]
	v_add_f64 v[6:7], v[6:7], v[157:158]
	s_clause 0x2
	buffer_load_dword v158, off, s[0:3], 0 offset:988
	buffer_load_dword v157, off, s[0:3], 0 offset:984
	;; [unrolled: 1-line block ×3, first 2 shown]
	s_waitcnt vmcnt(55) lgkmcnt(0)
	v_mul_f64 v[179:180], v[137:138], v[181:182]
	s_waitcnt vmcnt(54)
	v_fma_f64 v[169:170], v[131:132], v[177:178], -v[169:170]
	ds_read_b128 v[2:5], v1 offset:1728
	v_mul_f64 v[175:176], v[135:136], v[181:182]
	v_fma_f64 v[165:166], v[133:134], v[177:178], v[165:166]
	v_add_f64 v[143:144], v[143:144], v[173:174]
	v_add_f64 v[6:7], v[6:7], v[161:162]
	s_clause 0x1
	buffer_load_dword v162, off, s[0:3], 0 offset:980
	buffer_load_dword v161, off, s[0:3], 0 offset:976
	s_waitcnt vmcnt(55) lgkmcnt(0)
	v_mul_f64 v[177:178], v[4:5], v[183:184]
	s_waitcnt vmcnt(53)
	v_fma_f64 v[179:180], v[135:136], v[187:188], -v[179:180]
	ds_read_b128 v[131:134], v1 offset:1744
	v_mul_f64 v[173:174], v[2:3], v[183:184]
	v_add_f64 v[143:144], v[143:144], v[169:170]
	v_fma_f64 v[169:170], v[137:138], v[187:188], v[175:176]
	v_add_f64 v[6:7], v[6:7], v[165:166]
	ds_read_b128 v[135:138], v1 offset:1760
	s_waitcnt vmcnt(49) lgkmcnt(1)
	v_mul_f64 v[175:176], v[133:134], v[189:190]
	s_waitcnt vmcnt(48)
	v_fma_f64 v[177:178], v[2:3], v[185:186], -v[177:178]
	v_mul_f64 v[165:166], v[131:132], v[189:190]
	v_fma_f64 v[173:174], v[4:5], v[185:186], v[173:174]
	v_add_f64 v[143:144], v[143:144], v[179:180]
	s_waitcnt vmcnt(47) lgkmcnt(0)
	v_mul_f64 v[183:184], v[137:138], v[192:193]
	v_add_f64 v[6:7], v[6:7], v[169:170]
	s_clause 0x3
	buffer_load_dword v169, off, s[0:3], 0 offset:560
	buffer_load_dword v170, off, s[0:3], 0 offset:564
	;; [unrolled: 1-line block ×4, first 2 shown]
	s_waitcnt vmcnt(49)
	v_fma_f64 v[175:176], v[131:132], v[196:197], -v[175:176]
	ds_read_b128 v[2:5], v1 offset:1776
	v_mul_f64 v[181:182], v[135:136], v[192:193]
	v_fma_f64 v[165:166], v[133:134], v[196:197], v[165:166]
	ds_read_b128 v[131:134], v1 offset:1792
	v_add_f64 v[143:144], v[143:144], v[177:178]
	s_waitcnt vmcnt(44)
	v_fma_f64 v[183:184], v[135:136], v[194:195], -v[183:184]
	v_add_f64 v[6:7], v[6:7], v[173:174]
	s_waitcnt lgkmcnt(1)
	v_mul_f64 v[177:178], v[4:5], v[200:201]
	v_mul_f64 v[173:174], v[2:3], v[200:201]
	v_add_f64 v[143:144], v[143:144], v[175:176]
	v_fma_f64 v[175:176], v[137:138], v[194:195], v[181:182]
	v_add_f64 v[6:7], v[6:7], v[165:166]
	ds_read_b128 v[135:138], v1 offset:1808
	s_waitcnt vmcnt(43) lgkmcnt(1)
	v_mul_f64 v[181:182], v[133:134], v[202:203]
	v_mul_f64 v[165:166], v[131:132], v[202:203]
	s_waitcnt vmcnt(41)
	v_fma_f64 v[177:178], v[2:3], v[141:142], -v[177:178]
	v_fma_f64 v[141:142], v[4:5], v[141:142], v[173:174]
	ds_read_b128 v[2:5], v1 offset:1824
	v_add_f64 v[143:144], v[143:144], v[183:184]
	s_waitcnt vmcnt(37) lgkmcnt(1)
	v_mul_f64 v[173:174], v[135:136], v[145:146]
	v_add_f64 v[6:7], v[6:7], v[175:176]
	v_mul_f64 v[145:146], v[137:138], v[145:146]
	s_waitcnt vmcnt(36)
	v_fma_f64 v[175:176], v[131:132], v[204:205], -v[181:182]
	v_fma_f64 v[165:166], v[133:134], v[204:205], v[165:166]
	ds_read_b128 v[131:134], v1 offset:1840
	v_add_f64 v[143:144], v[143:144], v[177:178]
	v_add_f64 v[6:7], v[6:7], v[141:142]
	s_waitcnt vmcnt(35) lgkmcnt(1)
	v_mul_f64 v[177:178], v[4:5], v[206:207]
	v_mul_f64 v[141:142], v[2:3], v[206:207]
	s_waitcnt vmcnt(33)
	v_fma_f64 v[145:146], v[135:136], v[139:140], -v[145:146]
	v_fma_f64 v[139:140], v[137:138], v[139:140], v[173:174]
	ds_read_b128 v[135:138], v1 offset:1856
	v_add_f64 v[143:144], v[143:144], v[175:176]
	v_add_f64 v[6:7], v[6:7], v[165:166]
	s_waitcnt vmcnt(29) lgkmcnt(1)
	v_mul_f64 v[165:166], v[131:132], v[153:154]
	;; [unrolled: 9-line block ×6, first 2 shown]
	s_waitcnt vmcnt(12)
	v_fma_f64 v[149:150], v[131:132], v[208:209], -v[153:154]
	v_mul_f64 v[139:140], v[135:136], v[155:156]
	v_add_f64 v[143:144], v[143:144], v[147:148]
	v_fma_f64 v[147:148], v[133:134], v[208:209], v[151:152]
	v_add_f64 v[6:7], v[6:7], v[141:142]
	ds_read_b128 v[131:134], v1 offset:1936
	s_waitcnt vmcnt(11) lgkmcnt(1)
	v_mul_f64 v[151:152], v[4:5], v[167:168]
	v_mul_f64 v[141:142], v[2:3], v[167:168]
	s_waitcnt vmcnt(9)
	v_fma_f64 v[135:136], v[135:136], v[159:160], -v[145:146]
	v_fma_f64 v[137:138], v[137:138], v[159:160], v[139:140]
	v_add_f64 v[143:144], v[143:144], v[149:150]
	v_add_f64 v[6:7], v[6:7], v[147:148]
	s_waitcnt vmcnt(7) lgkmcnt(0)
	v_mul_f64 v[145:146], v[133:134], v[157:158]
	s_waitcnt vmcnt(6)
	v_fma_f64 v[1:2], v[2:3], v[171:172], -v[151:152]
	v_mul_f64 v[139:140], v[131:132], v[157:158]
	v_fma_f64 v[3:4], v[4:5], v[171:172], v[141:142]
	v_add_f64 v[135:136], v[143:144], v[135:136]
	v_add_f64 v[5:6], v[6:7], v[137:138]
	s_waitcnt vmcnt(4)
	v_fma_f64 v[7:8], v[131:132], v[161:162], -v[145:146]
	v_fma_f64 v[131:132], v[133:134], v[161:162], v[139:140]
	v_add_f64 v[1:2], v[135:136], v[1:2]
	v_add_f64 v[3:4], v[5:6], v[3:4]
	v_add_f64 v[1:2], v[1:2], v[7:8]
	v_add_f64 v[3:4], v[3:4], v[131:132]
	s_waitcnt vmcnt(2)
	v_add_f64 v[1:2], v[169:170], -v[1:2]
	s_waitcnt vmcnt(0)
	v_add_f64 v[3:4], v[179:180], -v[3:4]
	buffer_store_dword v2, off, s[0:3], 0 offset:564
	buffer_store_dword v1, off, s[0:3], 0 offset:560
	;; [unrolled: 1-line block ×4, first 2 shown]
	v_cmpx_lt_u32_e32 33, v0
	s_cbranch_execz .LBB124_325
; %bb.324:
	v_mov_b32_e32 v4, s42
	v_mov_b32_e32 v5, 0
	s_clause 0x3
	buffer_load_dword v1, v4, s[0:3], 0 offen
	buffer_load_dword v2, v4, s[0:3], 0 offen offset:4
	buffer_load_dword v3, v4, s[0:3], 0 offen offset:8
	;; [unrolled: 1-line block ×3, first 2 shown]
	buffer_store_dword v5, off, s[0:3], 0 offset:544
	buffer_store_dword v5, off, s[0:3], 0 offset:548
	buffer_store_dword v5, off, s[0:3], 0 offset:552
	buffer_store_dword v5, off, s[0:3], 0 offset:556
	s_waitcnt vmcnt(0)
	ds_write_b128 v191, v[1:4]
.LBB124_325:
	s_or_b32 exec_lo, exec_lo, s4
	s_waitcnt lgkmcnt(0)
	s_waitcnt_vscnt null, 0x0
	s_barrier
	buffer_gl0_inv
	s_clause 0x37
	buffer_load_dword v6, off, s[0:3], 0 offset:568
	buffer_load_dword v7, off, s[0:3], 0 offset:572
	;; [unrolled: 1-line block ×56, first 2 shown]
	v_mov_b32_e32 v1, 0
	s_mov_b32 s4, exec_lo
	ds_read_b128 v[2:5], v1 offset:1520
	s_clause 0x2
	buffer_load_dword v193, off, s[0:3], 0 offset:796
	buffer_load_dword v197, off, s[0:3], 0 offset:772
	buffer_load_dword v196, off, s[0:3], 0 offset:768
	ds_read_b128 v[131:134], v1 offset:1536
	s_clause 0x4
	buffer_load_dword v201, off, s[0:3], 0 offset:812
	buffer_load_dword v202, off, s[0:3], 0 offset:824
	;; [unrolled: 1-line block ×5, first 2 shown]
	ds_read_b128 v[135:138], v1 offset:1552
	s_waitcnt vmcnt(62) lgkmcnt(2)
	v_mul_f64 v[198:199], v[4:5], v[6:7]
	v_mul_f64 v[6:7], v[2:3], v[6:7]
	s_waitcnt vmcnt(60) lgkmcnt(1)
	v_mul_f64 v[205:206], v[133:134], v[139:140]
	v_mul_f64 v[139:140], v[131:132], v[139:140]
	;; [unrolled: 3-line block ×3, first 2 shown]
	v_fma_f64 v[198:199], v[2:3], v[141:142], -v[198:199]
	v_fma_f64 v[6:7], v[4:5], v[141:142], v[6:7]
	s_clause 0x2
	buffer_load_dword v203, off, s[0:3], 0 offset:828
	buffer_load_dword v142, off, s[0:3], 0 offset:804
	;; [unrolled: 1-line block ×3, first 2 shown]
	s_waitcnt vmcnt(57)
	v_fma_f64 v[209:210], v[131:132], v[145:146], -v[205:206]
	ds_read_b128 v[2:5], v1 offset:1568
	v_fma_f64 v[139:140], v[133:134], v[145:146], v[139:140]
	s_clause 0x4
	buffer_load_dword v146, off, s[0:3], 0 offset:844
	buffer_load_dword v206, off, s[0:3], 0 offset:856
	;; [unrolled: 1-line block ×5, first 2 shown]
	s_waitcnt vmcnt(56)
	v_fma_f64 v[143:144], v[135:136], v[153:154], -v[143:144]
	ds_read_b128 v[131:134], v1 offset:1584
	v_fma_f64 v[153:154], v[137:138], v[153:154], v[207:208]
	v_add_f64 v[198:199], v[198:199], 0
	v_add_f64 v[6:7], v[6:7], 0
	s_waitcnt lgkmcnt(1)
	v_mul_f64 v[212:213], v[2:3], v[147:148]
	v_mul_f64 v[147:148], v[4:5], v[147:148]
	v_add_f64 v[198:199], v[198:199], v[209:210]
	v_add_f64 v[6:7], v[6:7], v[139:140]
	s_clause 0x2
	buffer_load_dword v207, off, s[0:3], 0 offset:860
	buffer_load_dword v140, off, s[0:3], 0 offset:836
	;; [unrolled: 1-line block ×3, first 2 shown]
	s_waitcnt vmcnt(58) lgkmcnt(0)
	v_mul_f64 v[208:209], v[131:132], v[149:150]
	v_mul_f64 v[149:150], v[133:134], v[149:150]
	s_waitcnt vmcnt(56)
	v_fma_f64 v[147:148], v[2:3], v[155:156], -v[147:148]
	ds_read_b128 v[135:138], v1 offset:1600
	v_fma_f64 v[155:156], v[4:5], v[155:156], v[212:213]
	v_add_f64 v[143:144], v[198:199], v[143:144]
	v_add_f64 v[6:7], v[6:7], v[153:154]
	s_clause 0x4
	buffer_load_dword v154, off, s[0:3], 0 offset:876
	buffer_load_dword v198, off, s[0:3], 0 offset:888
	;; [unrolled: 1-line block ×5, first 2 shown]
	ds_read_b128 v[2:5], v1 offset:1616
	s_waitcnt vmcnt(57) lgkmcnt(1)
	v_mul_f64 v[214:215], v[135:136], v[157:158]
	v_mul_f64 v[157:158], v[137:138], v[157:158]
	s_waitcnt vmcnt(56)
	v_fma_f64 v[149:150], v[131:132], v[151:152], -v[149:150]
	v_add_f64 v[143:144], v[143:144], v[147:148]
	v_fma_f64 v[147:148], v[133:134], v[151:152], v[208:209]
	v_add_f64 v[6:7], v[6:7], v[155:156]
	s_clause 0x2
	buffer_load_dword v199, off, s[0:3], 0 offset:892
	buffer_load_dword v152, off, s[0:3], 0 offset:868
	;; [unrolled: 1-line block ×3, first 2 shown]
	s_waitcnt vmcnt(58) lgkmcnt(0)
	v_mul_f64 v[155:156], v[2:3], v[159:160]
	v_mul_f64 v[159:160], v[4:5], v[159:160]
	s_waitcnt vmcnt(56)
	v_fma_f64 v[157:158], v[135:136], v[163:164], -v[157:158]
	ds_read_b128 v[131:134], v1 offset:1632
	v_add_f64 v[143:144], v[143:144], v[149:150]
	v_fma_f64 v[149:150], v[137:138], v[163:164], v[214:215]
	v_add_f64 v[6:7], v[6:7], v[147:148]
	s_clause 0x4
	buffer_load_dword v148, off, s[0:3], 0 offset:908
	buffer_load_dword v163, off, s[0:3], 0 offset:920
	;; [unrolled: 1-line block ×5, first 2 shown]
	ds_read_b128 v[135:138], v1 offset:1648
	s_waitcnt vmcnt(57) lgkmcnt(1)
	v_mul_f64 v[209:210], v[131:132], v[165:166]
	v_mul_f64 v[165:166], v[133:134], v[165:166]
	s_waitcnt vmcnt(56)
	v_fma_f64 v[159:160], v[2:3], v[161:162], -v[159:160]
	v_fma_f64 v[155:156], v[4:5], v[161:162], v[155:156]
	v_add_f64 v[143:144], v[143:144], v[157:158]
	v_add_f64 v[6:7], v[6:7], v[149:150]
	s_clause 0x2
	buffer_load_dword v164, off, s[0:3], 0 offset:924
	buffer_load_dword v150, off, s[0:3], 0 offset:900
	buffer_load_dword v149, off, s[0:3], 0 offset:896
	s_waitcnt vmcnt(58) lgkmcnt(0)
	v_mul_f64 v[161:162], v[137:138], v[167:168]
	ds_read_b128 v[2:5], v1 offset:1664
	s_waitcnt vmcnt(56)
	v_fma_f64 v[165:166], v[131:132], v[171:172], -v[165:166]
	v_mul_f64 v[157:158], v[135:136], v[167:168]
	v_add_f64 v[143:144], v[143:144], v[159:160]
	v_fma_f64 v[159:160], v[133:134], v[171:172], v[209:210]
	v_add_f64 v[6:7], v[6:7], v[155:156]
	s_clause 0x4
	buffer_load_dword v156, off, s[0:3], 0 offset:940
	buffer_load_dword v167, off, s[0:3], 0 offset:952
	;; [unrolled: 1-line block ×5, first 2 shown]
	s_waitcnt vmcnt(57) lgkmcnt(0)
	v_mul_f64 v[215:216], v[2:3], v[173:174]
	v_mul_f64 v[172:173], v[4:5], v[173:174]
	s_waitcnt vmcnt(56)
	v_fma_f64 v[161:162], v[135:136], v[169:170], -v[161:162]
	ds_read_b128 v[131:134], v1 offset:1680
	v_fma_f64 v[157:158], v[137:138], v[169:170], v[157:158]
	v_add_f64 v[143:144], v[143:144], v[165:166]
	v_add_f64 v[6:7], v[6:7], v[159:160]
	s_clause 0x2
	buffer_load_dword v168, off, s[0:3], 0 offset:956
	buffer_load_dword v160, off, s[0:3], 0 offset:932
	buffer_load_dword v159, off, s[0:3], 0 offset:928
	ds_read_b128 v[135:138], v1 offset:1696
	s_waitcnt vmcnt(58) lgkmcnt(1)
	v_mul_f64 v[169:170], v[133:134], v[175:176]
	s_waitcnt vmcnt(56)
	v_fma_f64 v[173:174], v[2:3], v[179:180], -v[172:173]
	v_mul_f64 v[165:166], v[131:132], v[175:176]
	v_add_f64 v[143:144], v[143:144], v[161:162]
	v_fma_f64 v[161:162], v[4:5], v[179:180], v[215:216]
	v_add_f64 v[6:7], v[6:7], v[157:158]
	s_clause 0x4
	buffer_load_dword v158, off, s[0:3], 0 offset:972
	buffer_load_dword v175, off, s[0:3], 0 offset:984
	;; [unrolled: 1-line block ×5, first 2 shown]
	s_waitcnt vmcnt(57) lgkmcnt(0)
	v_mul_f64 v[215:216], v[135:136], v[181:182]
	v_mul_f64 v[180:181], v[137:138], v[181:182]
	s_waitcnt vmcnt(56)
	v_fma_f64 v[169:170], v[131:132], v[177:178], -v[169:170]
	ds_read_b128 v[2:5], v1 offset:1712
	v_fma_f64 v[165:166], v[133:134], v[177:178], v[165:166]
	v_add_f64 v[143:144], v[143:144], v[173:174]
	v_add_f64 v[6:7], v[6:7], v[161:162]
	s_clause 0x2
	buffer_load_dword v176, off, s[0:3], 0 offset:988
	buffer_load_dword v162, off, s[0:3], 0 offset:964
	buffer_load_dword v161, off, s[0:3], 0 offset:960
	ds_read_b128 v[131:134], v1 offset:1728
	s_waitcnt vmcnt(58) lgkmcnt(1)
	v_mul_f64 v[177:178], v[4:5], v[183:184]
	s_waitcnt vmcnt(56)
	v_fma_f64 v[181:182], v[135:136], v[187:188], -v[180:181]
	v_mul_f64 v[173:174], v[2:3], v[183:184]
	buffer_load_dword v180, off, s[0:3], 0 offset:980
	v_add_f64 v[143:144], v[143:144], v[169:170]
	v_fma_f64 v[169:170], v[137:138], v[187:188], v[215:216]
	v_add_f64 v[6:7], v[6:7], v[165:166]
	ds_read_b128 v[135:138], v1 offset:1744
	s_waitcnt vmcnt(53) lgkmcnt(1)
	v_mul_f64 v[183:184], v[133:134], v[189:190]
	s_waitcnt vmcnt(52)
	v_fma_f64 v[177:178], v[2:3], v[185:186], -v[177:178]
	v_mul_f64 v[165:166], v[131:132], v[189:190]
	v_fma_f64 v[173:174], v[4:5], v[185:186], v[173:174]
	ds_read_b128 v[2:5], v1 offset:1760
	v_add_f64 v[143:144], v[143:144], v[181:182]
	s_waitcnt vmcnt(51) lgkmcnt(1)
	v_mul_f64 v[181:182], v[137:138], v[192:193]
	v_add_f64 v[6:7], v[6:7], v[169:170]
	v_mul_f64 v[169:170], v[135:136], v[192:193]
	s_waitcnt vmcnt(49)
	v_fma_f64 v[183:184], v[131:132], v[196:197], -v[183:184]
	v_fma_f64 v[165:166], v[133:134], v[196:197], v[165:166]
	s_waitcnt vmcnt(45) lgkmcnt(0)
	v_mul_f64 v[187:188], v[4:5], v[200:201]
	v_mul_f64 v[185:186], v[2:3], v[200:201]
	v_add_f64 v[143:144], v[143:144], v[177:178]
	s_waitcnt vmcnt(44)
	v_fma_f64 v[181:182], v[135:136], v[194:195], -v[181:182]
	v_add_f64 v[6:7], v[6:7], v[173:174]
	s_clause 0x3
	buffer_load_dword v173, off, s[0:3], 0 offset:544
	buffer_load_dword v174, off, s[0:3], 0 offset:548
	;; [unrolled: 1-line block ×4, first 2 shown]
	ds_read_b128 v[131:134], v1 offset:1776
	v_fma_f64 v[169:170], v[137:138], v[194:195], v[169:170]
	ds_read_b128 v[135:138], v1 offset:1792
	v_add_f64 v[143:144], v[143:144], v[183:184]
	v_add_f64 v[6:7], v[6:7], v[165:166]
	s_waitcnt vmcnt(47) lgkmcnt(1)
	v_mul_f64 v[183:184], v[133:134], v[202:203]
	v_mul_f64 v[165:166], v[131:132], v[202:203]
	s_waitcnt vmcnt(45)
	v_fma_f64 v[187:188], v[2:3], v[141:142], -v[187:188]
	v_fma_f64 v[141:142], v[4:5], v[141:142], v[185:186]
	ds_read_b128 v[2:5], v1 offset:1808
	v_add_f64 v[143:144], v[143:144], v[181:182]
	v_add_f64 v[6:7], v[6:7], v[169:170]
	s_waitcnt vmcnt(41) lgkmcnt(1)
	v_mul_f64 v[169:170], v[135:136], v[145:146]
	v_mul_f64 v[145:146], v[137:138], v[145:146]
	s_waitcnt vmcnt(40)
	v_fma_f64 v[181:182], v[131:132], v[204:205], -v[183:184]
	;; [unrolled: 9-line block ×7, first 2 shown]
	v_fma_f64 v[141:142], v[4:5], v[149:150], v[141:142]
	ds_read_b128 v[2:5], v1 offset:1904
	v_add_f64 v[143:144], v[143:144], v[145:146]
	v_add_f64 v[6:7], v[6:7], v[139:140]
	s_waitcnt vmcnt(17) lgkmcnt(1)
	v_mul_f64 v[145:146], v[137:138], v[155:156]
	s_waitcnt vmcnt(16)
	v_fma_f64 v[149:150], v[131:132], v[208:209], -v[153:154]
	v_mul_f64 v[139:140], v[135:136], v[155:156]
	v_add_f64 v[143:144], v[143:144], v[147:148]
	v_fma_f64 v[147:148], v[133:134], v[208:209], v[151:152]
	v_add_f64 v[6:7], v[6:7], v[141:142]
	ds_read_b128 v[131:134], v1 offset:1920
	s_waitcnt vmcnt(15) lgkmcnt(1)
	v_mul_f64 v[151:152], v[4:5], v[167:168]
	v_mul_f64 v[141:142], v[2:3], v[167:168]
	s_waitcnt vmcnt(13)
	v_fma_f64 v[145:146], v[135:136], v[159:160], -v[145:146]
	v_fma_f64 v[139:140], v[137:138], v[159:160], v[139:140]
	ds_read_b128 v[135:138], v1 offset:1936
	v_add_f64 v[143:144], v[143:144], v[149:150]
	v_add_f64 v[6:7], v[6:7], v[147:148]
	s_waitcnt vmcnt(9) lgkmcnt(1)
	v_mul_f64 v[149:150], v[133:134], v[157:158]
	s_waitcnt vmcnt(8)
	v_fma_f64 v[2:3], v[2:3], v[171:172], -v[151:152]
	v_mul_f64 v[147:148], v[131:132], v[157:158]
	v_fma_f64 v[4:5], v[4:5], v[171:172], v[141:142]
	v_add_f64 v[143:144], v[143:144], v[145:146]
	v_add_f64 v[6:7], v[6:7], v[139:140]
	s_waitcnt vmcnt(7) lgkmcnt(0)
	v_mul_f64 v[141:142], v[137:138], v[175:176]
	v_mul_f64 v[139:140], v[135:136], v[175:176]
	s_waitcnt vmcnt(5)
	v_fma_f64 v[131:132], v[131:132], v[161:162], -v[149:150]
	v_fma_f64 v[133:134], v[133:134], v[161:162], v[147:148]
	v_add_f64 v[2:3], v[143:144], v[2:3]
	v_add_f64 v[4:5], v[6:7], v[4:5]
	s_waitcnt vmcnt(4)
	v_fma_f64 v[6:7], v[135:136], v[179:180], -v[141:142]
	v_add_f64 v[2:3], v[2:3], v[131:132]
	v_fma_f64 v[131:132], v[137:138], v[179:180], v[139:140]
	v_add_f64 v[4:5], v[4:5], v[133:134]
	v_add_f64 v[2:3], v[2:3], v[6:7]
	;; [unrolled: 1-line block ×3, first 2 shown]
	s_waitcnt vmcnt(2)
	v_add_f64 v[2:3], v[173:174], -v[2:3]
	s_waitcnt vmcnt(0)
	v_add_f64 v[4:5], v[177:178], -v[4:5]
	buffer_store_dword v3, off, s[0:3], 0 offset:548
	buffer_store_dword v2, off, s[0:3], 0 offset:544
	;; [unrolled: 1-line block ×4, first 2 shown]
	v_cmpx_lt_u32_e32 32, v0
	s_cbranch_execz .LBB124_327
; %bb.326:
	v_mov_b32_e32 v5, s43
	s_clause 0x3
	buffer_load_dword v2, v5, s[0:3], 0 offen
	buffer_load_dword v3, v5, s[0:3], 0 offen offset:4
	buffer_load_dword v4, v5, s[0:3], 0 offen offset:8
	;; [unrolled: 1-line block ×3, first 2 shown]
	buffer_store_dword v1, off, s[0:3], 0 offset:528
	buffer_store_dword v1, off, s[0:3], 0 offset:532
	;; [unrolled: 1-line block ×4, first 2 shown]
	s_waitcnt vmcnt(0)
	ds_write_b128 v191, v[2:5]
.LBB124_327:
	s_or_b32 exec_lo, exec_lo, s4
	s_waitcnt lgkmcnt(0)
	s_waitcnt_vscnt null, 0x0
	s_barrier
	buffer_gl0_inv
	s_clause 0x37
	buffer_load_dword v6, off, s[0:3], 0 offset:552
	buffer_load_dword v7, off, s[0:3], 0 offset:556
	;; [unrolled: 1-line block ×56, first 2 shown]
	ds_read_b128 v[2:5], v1 offset:1504
	s_clause 0x2
	buffer_load_dword v193, off, s[0:3], 0 offset:780
	buffer_load_dword v197, off, s[0:3], 0 offset:756
	buffer_load_dword v196, off, s[0:3], 0 offset:752
	ds_read_b128 v[131:134], v1 offset:1520
	s_clause 0x4
	buffer_load_dword v201, off, s[0:3], 0 offset:796
	buffer_load_dword v202, off, s[0:3], 0 offset:808
	buffer_load_dword v204, off, s[0:3], 0 offset:800
	buffer_load_dword v200, off, s[0:3], 0 offset:792
	buffer_load_dword v195, off, s[0:3], 0 offset:772
	ds_read_b128 v[135:138], v1 offset:1536
	s_mov_b32 s4, exec_lo
	s_waitcnt vmcnt(62) lgkmcnt(2)
	v_mul_f64 v[198:199], v[4:5], v[6:7]
	v_mul_f64 v[6:7], v[2:3], v[6:7]
	s_waitcnt vmcnt(60) lgkmcnt(1)
	v_mul_f64 v[205:206], v[133:134], v[139:140]
	v_mul_f64 v[139:140], v[131:132], v[139:140]
	;; [unrolled: 3-line block ×3, first 2 shown]
	v_fma_f64 v[198:199], v[2:3], v[141:142], -v[198:199]
	v_fma_f64 v[6:7], v[4:5], v[141:142], v[6:7]
	s_clause 0x2
	buffer_load_dword v203, off, s[0:3], 0 offset:812
	buffer_load_dword v142, off, s[0:3], 0 offset:788
	;; [unrolled: 1-line block ×3, first 2 shown]
	s_waitcnt vmcnt(57)
	v_fma_f64 v[209:210], v[131:132], v[145:146], -v[205:206]
	ds_read_b128 v[2:5], v1 offset:1552
	v_fma_f64 v[139:140], v[133:134], v[145:146], v[139:140]
	s_clause 0x4
	buffer_load_dword v146, off, s[0:3], 0 offset:828
	buffer_load_dword v206, off, s[0:3], 0 offset:840
	;; [unrolled: 1-line block ×5, first 2 shown]
	s_waitcnt vmcnt(56)
	v_fma_f64 v[143:144], v[135:136], v[153:154], -v[143:144]
	ds_read_b128 v[131:134], v1 offset:1568
	v_fma_f64 v[153:154], v[137:138], v[153:154], v[207:208]
	v_add_f64 v[198:199], v[198:199], 0
	v_add_f64 v[6:7], v[6:7], 0
	s_waitcnt lgkmcnt(1)
	v_mul_f64 v[212:213], v[2:3], v[147:148]
	v_mul_f64 v[147:148], v[4:5], v[147:148]
	v_add_f64 v[198:199], v[198:199], v[209:210]
	v_add_f64 v[6:7], v[6:7], v[139:140]
	s_clause 0x2
	buffer_load_dword v207, off, s[0:3], 0 offset:844
	buffer_load_dword v140, off, s[0:3], 0 offset:820
	;; [unrolled: 1-line block ×3, first 2 shown]
	s_waitcnt vmcnt(58) lgkmcnt(0)
	v_mul_f64 v[208:209], v[131:132], v[149:150]
	v_mul_f64 v[149:150], v[133:134], v[149:150]
	s_waitcnt vmcnt(56)
	v_fma_f64 v[147:148], v[2:3], v[155:156], -v[147:148]
	ds_read_b128 v[135:138], v1 offset:1584
	v_fma_f64 v[155:156], v[4:5], v[155:156], v[212:213]
	v_add_f64 v[143:144], v[198:199], v[143:144]
	v_add_f64 v[6:7], v[6:7], v[153:154]
	s_clause 0x4
	buffer_load_dword v154, off, s[0:3], 0 offset:860
	buffer_load_dword v198, off, s[0:3], 0 offset:872
	;; [unrolled: 1-line block ×5, first 2 shown]
	ds_read_b128 v[2:5], v1 offset:1600
	s_waitcnt vmcnt(57) lgkmcnt(1)
	v_mul_f64 v[214:215], v[135:136], v[157:158]
	v_mul_f64 v[157:158], v[137:138], v[157:158]
	s_waitcnt vmcnt(56)
	v_fma_f64 v[149:150], v[131:132], v[151:152], -v[149:150]
	v_add_f64 v[143:144], v[143:144], v[147:148]
	v_fma_f64 v[147:148], v[133:134], v[151:152], v[208:209]
	v_add_f64 v[6:7], v[6:7], v[155:156]
	s_clause 0x2
	buffer_load_dword v199, off, s[0:3], 0 offset:876
	buffer_load_dword v152, off, s[0:3], 0 offset:852
	;; [unrolled: 1-line block ×3, first 2 shown]
	s_waitcnt vmcnt(58) lgkmcnt(0)
	v_mul_f64 v[155:156], v[2:3], v[159:160]
	v_mul_f64 v[159:160], v[4:5], v[159:160]
	s_waitcnt vmcnt(56)
	v_fma_f64 v[157:158], v[135:136], v[163:164], -v[157:158]
	ds_read_b128 v[131:134], v1 offset:1616
	v_add_f64 v[143:144], v[143:144], v[149:150]
	v_fma_f64 v[149:150], v[137:138], v[163:164], v[214:215]
	v_add_f64 v[6:7], v[6:7], v[147:148]
	s_clause 0x4
	buffer_load_dword v148, off, s[0:3], 0 offset:892
	buffer_load_dword v163, off, s[0:3], 0 offset:904
	;; [unrolled: 1-line block ×5, first 2 shown]
	ds_read_b128 v[135:138], v1 offset:1632
	s_waitcnt vmcnt(57) lgkmcnt(1)
	v_mul_f64 v[209:210], v[131:132], v[165:166]
	v_mul_f64 v[165:166], v[133:134], v[165:166]
	s_waitcnt vmcnt(56)
	v_fma_f64 v[159:160], v[2:3], v[161:162], -v[159:160]
	v_fma_f64 v[155:156], v[4:5], v[161:162], v[155:156]
	v_add_f64 v[143:144], v[143:144], v[157:158]
	v_add_f64 v[6:7], v[6:7], v[149:150]
	s_clause 0x2
	buffer_load_dword v164, off, s[0:3], 0 offset:908
	buffer_load_dword v150, off, s[0:3], 0 offset:884
	;; [unrolled: 1-line block ×3, first 2 shown]
	s_waitcnt vmcnt(58) lgkmcnt(0)
	v_mul_f64 v[161:162], v[137:138], v[167:168]
	ds_read_b128 v[2:5], v1 offset:1648
	s_waitcnt vmcnt(56)
	v_fma_f64 v[165:166], v[131:132], v[171:172], -v[165:166]
	v_mul_f64 v[157:158], v[135:136], v[167:168]
	v_add_f64 v[143:144], v[143:144], v[159:160]
	v_fma_f64 v[159:160], v[133:134], v[171:172], v[209:210]
	v_add_f64 v[6:7], v[6:7], v[155:156]
	s_clause 0x4
	buffer_load_dword v156, off, s[0:3], 0 offset:924
	buffer_load_dword v167, off, s[0:3], 0 offset:936
	;; [unrolled: 1-line block ×5, first 2 shown]
	s_waitcnt vmcnt(57) lgkmcnt(0)
	v_mul_f64 v[215:216], v[2:3], v[173:174]
	v_mul_f64 v[172:173], v[4:5], v[173:174]
	s_waitcnt vmcnt(56)
	v_fma_f64 v[161:162], v[135:136], v[169:170], -v[161:162]
	ds_read_b128 v[131:134], v1 offset:1664
	v_fma_f64 v[157:158], v[137:138], v[169:170], v[157:158]
	v_add_f64 v[143:144], v[143:144], v[165:166]
	v_add_f64 v[6:7], v[6:7], v[159:160]
	s_clause 0x2
	buffer_load_dword v168, off, s[0:3], 0 offset:940
	buffer_load_dword v160, off, s[0:3], 0 offset:916
	;; [unrolled: 1-line block ×3, first 2 shown]
	ds_read_b128 v[135:138], v1 offset:1680
	s_waitcnt vmcnt(58) lgkmcnt(1)
	v_mul_f64 v[169:170], v[133:134], v[175:176]
	s_waitcnt vmcnt(56)
	v_fma_f64 v[173:174], v[2:3], v[179:180], -v[172:173]
	v_mul_f64 v[165:166], v[131:132], v[175:176]
	v_add_f64 v[143:144], v[143:144], v[161:162]
	v_fma_f64 v[161:162], v[4:5], v[179:180], v[215:216]
	v_add_f64 v[6:7], v[6:7], v[157:158]
	s_clause 0x4
	buffer_load_dword v158, off, s[0:3], 0 offset:956
	buffer_load_dword v175, off, s[0:3], 0 offset:968
	;; [unrolled: 1-line block ×5, first 2 shown]
	s_waitcnt vmcnt(57) lgkmcnt(0)
	v_mul_f64 v[215:216], v[135:136], v[181:182]
	v_mul_f64 v[180:181], v[137:138], v[181:182]
	s_waitcnt vmcnt(56)
	v_fma_f64 v[169:170], v[131:132], v[177:178], -v[169:170]
	ds_read_b128 v[2:5], v1 offset:1696
	v_fma_f64 v[165:166], v[133:134], v[177:178], v[165:166]
	v_add_f64 v[143:144], v[143:144], v[173:174]
	v_add_f64 v[6:7], v[6:7], v[161:162]
	s_clause 0x2
	buffer_load_dword v176, off, s[0:3], 0 offset:972
	buffer_load_dword v162, off, s[0:3], 0 offset:948
	;; [unrolled: 1-line block ×3, first 2 shown]
	ds_read_b128 v[131:134], v1 offset:1712
	s_waitcnt vmcnt(58) lgkmcnt(1)
	v_mul_f64 v[177:178], v[4:5], v[183:184]
	s_waitcnt vmcnt(56)
	v_fma_f64 v[181:182], v[135:136], v[187:188], -v[180:181]
	v_mul_f64 v[173:174], v[2:3], v[183:184]
	v_add_f64 v[143:144], v[143:144], v[169:170]
	v_fma_f64 v[169:170], v[137:138], v[187:188], v[215:216]
	v_add_f64 v[6:7], v[6:7], v[165:166]
	s_clause 0x2
	buffer_load_dword v166, off, s[0:3], 0 offset:988
	buffer_load_dword v165, off, s[0:3], 0 offset:984
	;; [unrolled: 1-line block ×3, first 2 shown]
	s_waitcnt vmcnt(55) lgkmcnt(0)
	v_mul_f64 v[187:188], v[133:134], v[189:190]
	s_waitcnt vmcnt(54)
	v_fma_f64 v[177:178], v[2:3], v[185:186], -v[177:178]
	ds_read_b128 v[135:138], v1 offset:1728
	v_mul_f64 v[183:184], v[131:132], v[189:190]
	v_fma_f64 v[173:174], v[4:5], v[185:186], v[173:174]
	v_add_f64 v[143:144], v[143:144], v[181:182]
	v_add_f64 v[6:7], v[6:7], v[169:170]
	s_clause 0x1
	buffer_load_dword v170, off, s[0:3], 0 offset:980
	buffer_load_dword v169, off, s[0:3], 0 offset:976
	s_waitcnt vmcnt(55) lgkmcnt(0)
	v_mul_f64 v[185:186], v[137:138], v[192:193]
	s_waitcnt vmcnt(53)
	v_fma_f64 v[187:188], v[131:132], v[196:197], -v[187:188]
	ds_read_b128 v[2:5], v1 offset:1744
	v_mul_f64 v[181:182], v[135:136], v[192:193]
	v_add_f64 v[143:144], v[143:144], v[177:178]
	v_fma_f64 v[177:178], v[133:134], v[196:197], v[183:184]
	v_add_f64 v[6:7], v[6:7], v[173:174]
	ds_read_b128 v[131:134], v1 offset:1760
	s_waitcnt vmcnt(49) lgkmcnt(1)
	v_mul_f64 v[183:184], v[4:5], v[200:201]
	s_waitcnt vmcnt(48)
	v_fma_f64 v[185:186], v[135:136], v[194:195], -v[185:186]
	v_mul_f64 v[173:174], v[2:3], v[200:201]
	v_fma_f64 v[181:182], v[137:138], v[194:195], v[181:182]
	v_add_f64 v[143:144], v[143:144], v[187:188]
	v_add_f64 v[6:7], v[6:7], v[177:178]
	s_clause 0x3
	buffer_load_dword v177, off, s[0:3], 0 offset:528
	buffer_load_dword v178, off, s[0:3], 0 offset:532
	;; [unrolled: 1-line block ×4, first 2 shown]
	ds_read_b128 v[135:138], v1 offset:1776
	s_waitcnt vmcnt(51) lgkmcnt(1)
	v_mul_f64 v[192:193], v[133:134], v[202:203]
	v_mul_f64 v[189:190], v[131:132], v[202:203]
	s_waitcnt vmcnt(49)
	v_fma_f64 v[183:184], v[2:3], v[141:142], -v[183:184]
	v_fma_f64 v[141:142], v[4:5], v[141:142], v[173:174]
	ds_read_b128 v[2:5], v1 offset:1792
	v_add_f64 v[143:144], v[143:144], v[185:186]
	v_add_f64 v[6:7], v[6:7], v[181:182]
	s_waitcnt vmcnt(45) lgkmcnt(1)
	v_mul_f64 v[173:174], v[135:136], v[145:146]
	v_mul_f64 v[145:146], v[137:138], v[145:146]
	s_waitcnt vmcnt(44)
	v_fma_f64 v[181:182], v[131:132], v[204:205], -v[192:193]
	v_add_f64 v[143:144], v[143:144], v[183:184]
	v_fma_f64 v[183:184], v[133:134], v[204:205], v[189:190]
	v_add_f64 v[6:7], v[6:7], v[141:142]
	ds_read_b128 v[131:134], v1 offset:1808
	s_waitcnt vmcnt(43) lgkmcnt(1)
	v_mul_f64 v[185:186], v[4:5], v[206:207]
	v_mul_f64 v[141:142], v[2:3], v[206:207]
	s_waitcnt vmcnt(41)
	v_fma_f64 v[145:146], v[135:136], v[139:140], -v[145:146]
	v_fma_f64 v[139:140], v[137:138], v[139:140], v[173:174]
	ds_read_b128 v[135:138], v1 offset:1824
	v_add_f64 v[143:144], v[143:144], v[181:182]
	v_add_f64 v[6:7], v[6:7], v[183:184]
	s_waitcnt vmcnt(37) lgkmcnt(1)
	v_mul_f64 v[173:174], v[131:132], v[153:154]
	v_mul_f64 v[153:154], v[133:134], v[153:154]
	s_waitcnt vmcnt(36)
	v_fma_f64 v[181:182], v[2:3], v[211:212], -v[185:186]
	v_fma_f64 v[141:142], v[4:5], v[211:212], v[141:142]
	ds_read_b128 v[2:5], v1 offset:1840
	v_add_f64 v[143:144], v[143:144], v[145:146]
	v_add_f64 v[6:7], v[6:7], v[139:140]
	;; [unrolled: 9-line block ×5, first 2 shown]
	s_waitcnt vmcnt(21) lgkmcnt(1)
	v_mul_f64 v[145:146], v[137:138], v[155:156]
	s_waitcnt vmcnt(20)
	v_fma_f64 v[149:150], v[131:132], v[208:209], -v[153:154]
	v_mul_f64 v[139:140], v[135:136], v[155:156]
	v_add_f64 v[143:144], v[143:144], v[147:148]
	v_fma_f64 v[147:148], v[133:134], v[208:209], v[151:152]
	v_add_f64 v[6:7], v[6:7], v[141:142]
	ds_read_b128 v[131:134], v1 offset:1904
	s_waitcnt vmcnt(19) lgkmcnt(1)
	v_mul_f64 v[151:152], v[4:5], v[167:168]
	v_mul_f64 v[141:142], v[2:3], v[167:168]
	s_waitcnt vmcnt(17)
	v_fma_f64 v[145:146], v[135:136], v[159:160], -v[145:146]
	v_fma_f64 v[139:140], v[137:138], v[159:160], v[139:140]
	ds_read_b128 v[135:138], v1 offset:1920
	v_add_f64 v[143:144], v[143:144], v[149:150]
	v_add_f64 v[6:7], v[6:7], v[147:148]
	s_waitcnt vmcnt(13) lgkmcnt(1)
	v_mul_f64 v[149:150], v[133:134], v[157:158]
	s_waitcnt vmcnt(12)
	v_fma_f64 v[151:152], v[2:3], v[171:172], -v[151:152]
	v_mul_f64 v[147:148], v[131:132], v[157:158]
	v_fma_f64 v[141:142], v[4:5], v[171:172], v[141:142]
	ds_read_b128 v[1:4], v1 offset:1936
	v_add_f64 v[143:144], v[143:144], v[145:146]
	v_add_f64 v[5:6], v[6:7], v[139:140]
	s_waitcnt vmcnt(11) lgkmcnt(1)
	v_mul_f64 v[139:140], v[137:138], v[175:176]
	v_mul_f64 v[7:8], v[135:136], v[175:176]
	s_waitcnt vmcnt(9)
	v_fma_f64 v[131:132], v[131:132], v[161:162], -v[149:150]
	v_fma_f64 v[133:134], v[133:134], v[161:162], v[147:148]
	v_add_f64 v[143:144], v[143:144], v[151:152]
	v_add_f64 v[5:6], v[5:6], v[141:142]
	s_waitcnt vmcnt(7) lgkmcnt(0)
	v_mul_f64 v[145:146], v[3:4], v[165:166]
	s_waitcnt vmcnt(6)
	v_fma_f64 v[135:136], v[135:136], v[179:180], -v[139:140]
	v_mul_f64 v[141:142], v[1:2], v[165:166]
	v_fma_f64 v[7:8], v[137:138], v[179:180], v[7:8]
	v_add_f64 v[131:132], v[143:144], v[131:132]
	v_add_f64 v[5:6], v[5:6], v[133:134]
	s_waitcnt vmcnt(4)
	v_fma_f64 v[1:2], v[1:2], v[169:170], -v[145:146]
	v_fma_f64 v[3:4], v[3:4], v[169:170], v[141:142]
	v_add_f64 v[131:132], v[131:132], v[135:136]
	v_add_f64 v[5:6], v[5:6], v[7:8]
	v_add_f64 v[1:2], v[131:132], v[1:2]
	v_add_f64 v[3:4], v[5:6], v[3:4]
	s_waitcnt vmcnt(2)
	v_add_f64 v[1:2], v[177:178], -v[1:2]
	s_waitcnt vmcnt(0)
	v_add_f64 v[3:4], v[187:188], -v[3:4]
	buffer_store_dword v2, off, s[0:3], 0 offset:532
	buffer_store_dword v1, off, s[0:3], 0 offset:528
	buffer_store_dword v4, off, s[0:3], 0 offset:540
	buffer_store_dword v3, off, s[0:3], 0 offset:536
	v_cmpx_lt_u32_e32 31, v0
	s_cbranch_execz .LBB124_329
; %bb.328:
	v_mov_b32_e32 v4, s44
	v_mov_b32_e32 v5, 0
	s_clause 0x3
	buffer_load_dword v1, v4, s[0:3], 0 offen
	buffer_load_dword v2, v4, s[0:3], 0 offen offset:4
	buffer_load_dword v3, v4, s[0:3], 0 offen offset:8
	;; [unrolled: 1-line block ×3, first 2 shown]
	buffer_store_dword v5, off, s[0:3], 0 offset:512
	buffer_store_dword v5, off, s[0:3], 0 offset:516
	buffer_store_dword v5, off, s[0:3], 0 offset:520
	buffer_store_dword v5, off, s[0:3], 0 offset:524
	s_waitcnt vmcnt(0)
	ds_write_b128 v191, v[1:4]
.LBB124_329:
	s_or_b32 exec_lo, exec_lo, s4
	s_waitcnt lgkmcnt(0)
	s_waitcnt_vscnt null, 0x0
	s_barrier
	buffer_gl0_inv
	s_clause 0x37
	buffer_load_dword v131, off, s[0:3], 0 offset:536
	buffer_load_dword v132, off, s[0:3], 0 offset:540
	;; [unrolled: 1-line block ×56, first 2 shown]
	v_mov_b32_e32 v133, 0
	s_mov_b32 s4, exec_lo
	ds_read_b128 v[5:8], v133 offset:1488
	s_clause 0x2
	buffer_load_dword v193, off, s[0:3], 0 offset:764
	buffer_load_dword v197, off, s[0:3], 0 offset:740
	;; [unrolled: 1-line block ×3, first 2 shown]
	ds_read_b128 v[134:137], v133 offset:1504
	s_clause 0x4
	buffer_load_dword v201, off, s[0:3], 0 offset:780
	buffer_load_dword v202, off, s[0:3], 0 offset:792
	;; [unrolled: 1-line block ×5, first 2 shown]
	ds_read_b128 v[138:141], v133 offset:1520
	s_waitcnt vmcnt(62) lgkmcnt(2)
	v_mul_f64 v[198:199], v[7:8], v[131:132]
	v_mul_f64 v[131:132], v[5:6], v[131:132]
	s_waitcnt vmcnt(60) lgkmcnt(1)
	v_mul_f64 v[205:206], v[136:137], v[142:143]
	v_mul_f64 v[142:143], v[134:135], v[142:143]
	;; [unrolled: 3-line block ×3, first 2 shown]
	v_fma_f64 v[198:199], v[5:6], v[144:145], -v[198:199]
	v_fma_f64 v[131:132], v[7:8], v[144:145], v[131:132]
	s_clause 0x2
	buffer_load_dword v203, off, s[0:3], 0 offset:796
	buffer_load_dword v145, off, s[0:3], 0 offset:772
	;; [unrolled: 1-line block ×3, first 2 shown]
	s_waitcnt vmcnt(57)
	v_fma_f64 v[134:135], v[134:135], v[1:2], -v[205:206]
	ds_read_b128 v[5:8], v133 offset:1536
	v_fma_f64 v[136:137], v[136:137], v[1:2], v[142:143]
	s_clause 0x4
	buffer_load_dword v143, off, s[0:3], 0 offset:812
	buffer_load_dword v206, off, s[0:3], 0 offset:824
	;; [unrolled: 1-line block ×5, first 2 shown]
	s_waitcnt vmcnt(56)
	v_fma_f64 v[138:139], v[138:139], v[152:153], -v[209:210]
	ds_read_b128 v[1:4], v133 offset:1552
	v_fma_f64 v[140:141], v[140:141], v[152:153], v[207:208]
	s_clause 0x2
	buffer_load_dword v207, off, s[0:3], 0 offset:828
	buffer_load_dword v153, off, s[0:3], 0 offset:804
	;; [unrolled: 1-line block ×3, first 2 shown]
	v_add_f64 v[198:199], v[198:199], 0
	v_add_f64 v[131:132], v[131:132], 0
	s_waitcnt lgkmcnt(1)
	v_mul_f64 v[212:213], v[5:6], v[146:147]
	v_mul_f64 v[146:147], v[7:8], v[146:147]
	s_waitcnt vmcnt(58) lgkmcnt(0)
	v_mul_f64 v[208:209], v[1:2], v[148:149]
	v_mul_f64 v[148:149], v[3:4], v[148:149]
	v_add_f64 v[198:199], v[198:199], v[134:135]
	v_add_f64 v[131:132], v[131:132], v[136:137]
	ds_read_b128 v[134:137], v133 offset:1568
	s_waitcnt vmcnt(56)
	v_fma_f64 v[146:147], v[5:6], v[154:155], -v[146:147]
	v_fma_f64 v[154:155], v[7:8], v[154:155], v[212:213]
	s_waitcnt vmcnt(51)
	v_fma_f64 v[148:149], v[1:2], v[150:151], -v[148:149]
	s_waitcnt lgkmcnt(0)
	v_mul_f64 v[214:215], v[134:135], v[156:157]
	v_add_f64 v[138:139], v[198:199], v[138:139]
	v_add_f64 v[131:132], v[131:132], v[140:141]
	s_clause 0x4
	buffer_load_dword v141, off, s[0:3], 0 offset:844
	buffer_load_dword v198, off, s[0:3], 0 offset:856
	;; [unrolled: 1-line block ×5, first 2 shown]
	v_mul_f64 v[156:157], v[136:137], v[156:157]
	ds_read_b128 v[5:8], v133 offset:1584
	v_add_f64 v[138:139], v[138:139], v[146:147]
	v_fma_f64 v[146:147], v[3:4], v[150:151], v[208:209]
	v_add_f64 v[131:132], v[131:132], v[154:155]
	s_clause 0x2
	buffer_load_dword v199, off, s[0:3], 0 offset:860
	buffer_load_dword v151, off, s[0:3], 0 offset:836
	;; [unrolled: 1-line block ×3, first 2 shown]
	s_waitcnt vmcnt(58) lgkmcnt(0)
	v_mul_f64 v[154:155], v[5:6], v[158:159]
	v_mul_f64 v[158:159], v[7:8], v[158:159]
	s_waitcnt vmcnt(56)
	v_fma_f64 v[156:157], v[134:135], v[162:163], -v[156:157]
	ds_read_b128 v[1:4], v133 offset:1600
	v_add_f64 v[138:139], v[138:139], v[148:149]
	v_fma_f64 v[148:149], v[136:137], v[162:163], v[214:215]
	v_add_f64 v[131:132], v[131:132], v[146:147]
	s_clause 0x4
	buffer_load_dword v147, off, s[0:3], 0 offset:876
	buffer_load_dword v162, off, s[0:3], 0 offset:888
	;; [unrolled: 1-line block ×5, first 2 shown]
	ds_read_b128 v[134:137], v133 offset:1616
	s_waitcnt vmcnt(57) lgkmcnt(1)
	v_mul_f64 v[209:210], v[1:2], v[164:165]
	v_mul_f64 v[164:165], v[3:4], v[164:165]
	s_waitcnt vmcnt(56)
	v_fma_f64 v[158:159], v[5:6], v[160:161], -v[158:159]
	v_fma_f64 v[154:155], v[7:8], v[160:161], v[154:155]
	v_add_f64 v[138:139], v[138:139], v[156:157]
	v_add_f64 v[131:132], v[131:132], v[148:149]
	s_clause 0x2
	buffer_load_dword v163, off, s[0:3], 0 offset:892
	buffer_load_dword v149, off, s[0:3], 0 offset:868
	;; [unrolled: 1-line block ×3, first 2 shown]
	s_waitcnt vmcnt(58) lgkmcnt(0)
	v_mul_f64 v[160:161], v[136:137], v[166:167]
	ds_read_b128 v[5:8], v133 offset:1632
	s_waitcnt vmcnt(56)
	v_fma_f64 v[164:165], v[1:2], v[170:171], -v[164:165]
	v_mul_f64 v[156:157], v[134:135], v[166:167]
	v_add_f64 v[138:139], v[138:139], v[158:159]
	v_fma_f64 v[158:159], v[3:4], v[170:171], v[209:210]
	v_add_f64 v[131:132], v[131:132], v[154:155]
	s_clause 0x4
	buffer_load_dword v155, off, s[0:3], 0 offset:908
	buffer_load_dword v166, off, s[0:3], 0 offset:920
	buffer_load_dword v170, off, s[0:3], 0 offset:912
	buffer_load_dword v154, off, s[0:3], 0 offset:904
	buffer_load_dword v209, off, s[0:3], 0 offset:884
	s_waitcnt vmcnt(57) lgkmcnt(0)
	v_mul_f64 v[215:216], v[5:6], v[172:173]
	v_mul_f64 v[171:172], v[7:8], v[172:173]
	s_waitcnt vmcnt(56)
	v_fma_f64 v[160:161], v[134:135], v[168:169], -v[160:161]
	ds_read_b128 v[1:4], v133 offset:1648
	v_fma_f64 v[156:157], v[136:137], v[168:169], v[156:157]
	v_add_f64 v[138:139], v[138:139], v[164:165]
	v_add_f64 v[131:132], v[131:132], v[158:159]
	s_clause 0x2
	buffer_load_dword v167, off, s[0:3], 0 offset:924
	buffer_load_dword v159, off, s[0:3], 0 offset:900
	buffer_load_dword v158, off, s[0:3], 0 offset:896
	ds_read_b128 v[134:137], v133 offset:1664
	s_waitcnt vmcnt(58) lgkmcnt(1)
	v_mul_f64 v[168:169], v[3:4], v[174:175]
	s_waitcnt vmcnt(56)
	v_fma_f64 v[172:173], v[5:6], v[178:179], -v[171:172]
	v_mul_f64 v[164:165], v[1:2], v[174:175]
	v_add_f64 v[138:139], v[138:139], v[160:161]
	v_fma_f64 v[160:161], v[7:8], v[178:179], v[215:216]
	v_add_f64 v[131:132], v[131:132], v[156:157]
	s_clause 0x4
	buffer_load_dword v157, off, s[0:3], 0 offset:940
	buffer_load_dword v174, off, s[0:3], 0 offset:952
	buffer_load_dword v178, off, s[0:3], 0 offset:944
	buffer_load_dword v156, off, s[0:3], 0 offset:936
	buffer_load_dword v171, off, s[0:3], 0 offset:916
	s_waitcnt vmcnt(57) lgkmcnt(0)
	v_mul_f64 v[215:216], v[134:135], v[180:181]
	v_mul_f64 v[179:180], v[136:137], v[180:181]
	s_waitcnt vmcnt(56)
	v_fma_f64 v[168:169], v[1:2], v[176:177], -v[168:169]
	ds_read_b128 v[5:8], v133 offset:1680
	v_fma_f64 v[164:165], v[3:4], v[176:177], v[164:165]
	v_add_f64 v[138:139], v[138:139], v[172:173]
	v_add_f64 v[131:132], v[131:132], v[160:161]
	s_clause 0x2
	buffer_load_dword v175, off, s[0:3], 0 offset:956
	buffer_load_dword v161, off, s[0:3], 0 offset:932
	buffer_load_dword v160, off, s[0:3], 0 offset:928
	ds_read_b128 v[1:4], v133 offset:1696
	s_waitcnt vmcnt(58) lgkmcnt(1)
	v_mul_f64 v[176:177], v[7:8], v[182:183]
	;; [unrolled: 28-line block ×3, first 2 shown]
	s_waitcnt vmcnt(56)
	v_fma_f64 v[188:189], v[1:2], v[196:197], -v[187:188]
	v_mul_f64 v[180:181], v[134:135], v[192:193]
	buffer_load_dword v187, off, s[0:3], 0 offset:980
	v_add_f64 v[138:139], v[138:139], v[176:177]
	v_fma_f64 v[176:177], v[3:4], v[196:197], v[215:216]
	v_add_f64 v[131:132], v[131:132], v[172:173]
	ds_read_b128 v[1:4], v133 offset:1744
	s_waitcnt vmcnt(53) lgkmcnt(1)
	v_mul_f64 v[192:193], v[7:8], v[200:201]
	s_waitcnt vmcnt(52)
	v_fma_f64 v[184:185], v[134:135], v[194:195], -v[184:185]
	v_mul_f64 v[172:173], v[5:6], v[200:201]
	v_fma_f64 v[180:181], v[136:137], v[194:195], v[180:181]
	ds_read_b128 v[134:137], v133 offset:1760
	v_add_f64 v[138:139], v[138:139], v[188:189]
	v_add_f64 v[131:132], v[131:132], v[176:177]
	s_waitcnt vmcnt(51) lgkmcnt(1)
	v_mul_f64 v[188:189], v[3:4], v[202:203]
	v_mul_f64 v[176:177], v[1:2], v[202:203]
	s_waitcnt vmcnt(49)
	v_fma_f64 v[192:193], v[5:6], v[144:145], -v[192:193]
	v_fma_f64 v[144:145], v[7:8], v[144:145], v[172:173]
	v_add_f64 v[138:139], v[138:139], v[184:185]
	s_waitcnt vmcnt(45) lgkmcnt(0)
	v_mul_f64 v[184:185], v[134:135], v[142:143]
	v_add_f64 v[131:132], v[131:132], v[180:181]
	s_clause 0x3
	buffer_load_dword v172, off, s[0:3], 0 offset:512
	buffer_load_dword v173, off, s[0:3], 0 offset:516
	;; [unrolled: 1-line block ×4, first 2 shown]
	v_mul_f64 v[142:143], v[136:137], v[142:143]
	ds_read_b128 v[5:8], v133 offset:1776
	s_waitcnt vmcnt(48)
	v_fma_f64 v[188:189], v[1:2], v[204:205], -v[188:189]
	v_fma_f64 v[176:177], v[3:4], v[204:205], v[176:177]
	ds_read_b128 v[1:4], v133 offset:1792
	v_add_f64 v[138:139], v[138:139], v[192:193]
	v_add_f64 v[131:132], v[131:132], v[144:145]
	s_waitcnt vmcnt(47) lgkmcnt(1)
	v_mul_f64 v[192:193], v[7:8], v[206:207]
	s_waitcnt vmcnt(45)
	v_fma_f64 v[142:143], v[134:135], v[152:153], -v[142:143]
	v_mul_f64 v[144:145], v[5:6], v[206:207]
	v_fma_f64 v[152:153], v[136:137], v[152:153], v[184:185]
	ds_read_b128 v[134:137], v133 offset:1808
	v_add_f64 v[138:139], v[138:139], v[188:189]
	v_add_f64 v[131:132], v[131:132], v[176:177]
	s_waitcnt vmcnt(41) lgkmcnt(1)
	v_mul_f64 v[176:177], v[1:2], v[140:141]
	v_mul_f64 v[140:141], v[3:4], v[140:141]
	s_waitcnt vmcnt(40)
	v_fma_f64 v[184:185], v[5:6], v[211:212], -v[192:193]
	v_add_f64 v[138:139], v[138:139], v[142:143]
	v_fma_f64 v[142:143], v[7:8], v[211:212], v[144:145]
	v_add_f64 v[131:132], v[131:132], v[152:153]
	ds_read_b128 v[5:8], v133 offset:1824
	s_waitcnt vmcnt(39) lgkmcnt(1)
	v_mul_f64 v[152:153], v[136:137], v[198:199]
	v_mul_f64 v[144:145], v[134:135], v[198:199]
	s_waitcnt vmcnt(37)
	v_fma_f64 v[140:141], v[1:2], v[150:151], -v[140:141]
	v_fma_f64 v[150:151], v[3:4], v[150:151], v[176:177]
	ds_read_b128 v[1:4], v133 offset:1840
	v_add_f64 v[138:139], v[138:139], v[184:185]
	v_add_f64 v[131:132], v[131:132], v[142:143]
	s_waitcnt vmcnt(33) lgkmcnt(1)
	v_mul_f64 v[142:143], v[5:6], v[146:147]
	v_mul_f64 v[146:147], v[7:8], v[146:147]
	s_waitcnt vmcnt(32)
	v_fma_f64 v[152:153], v[134:135], v[213:214], -v[152:153]
	v_add_f64 v[138:139], v[138:139], v[140:141]
	v_fma_f64 v[140:141], v[136:137], v[213:214], v[144:145]
	v_add_f64 v[131:132], v[131:132], v[150:151]
	ds_read_b128 v[134:137], v133 offset:1856
	s_waitcnt vmcnt(31) lgkmcnt(1)
	v_mul_f64 v[150:151], v[3:4], v[162:163]
	v_mul_f64 v[144:145], v[1:2], v[162:163]
	s_waitcnt vmcnt(29)
	v_fma_f64 v[146:147], v[5:6], v[148:149], -v[146:147]
	v_fma_f64 v[142:143], v[7:8], v[148:149], v[142:143]
	ds_read_b128 v[5:8], v133 offset:1872
	v_add_f64 v[138:139], v[138:139], v[152:153]
	v_add_f64 v[131:132], v[131:132], v[140:141]
	s_waitcnt vmcnt(25) lgkmcnt(1)
	v_mul_f64 v[148:149], v[136:137], v[154:155]
	s_waitcnt vmcnt(24)
	v_fma_f64 v[150:151], v[1:2], v[208:209], -v[150:151]
	v_mul_f64 v[140:141], v[134:135], v[154:155]
	v_fma_f64 v[144:145], v[3:4], v[208:209], v[144:145]
	ds_read_b128 v[1:4], v133 offset:1888
	v_add_f64 v[138:139], v[138:139], v[146:147]
	v_add_f64 v[131:132], v[131:132], v[142:143]
	s_waitcnt vmcnt(23) lgkmcnt(1)
	v_mul_f64 v[146:147], v[7:8], v[166:167]
	v_mul_f64 v[142:143], v[5:6], v[166:167]
	s_waitcnt vmcnt(21)
	v_fma_f64 v[148:149], v[134:135], v[158:159], -v[148:149]
	v_fma_f64 v[140:141], v[136:137], v[158:159], v[140:141]
	ds_read_b128 v[134:137], v133 offset:1904
	v_add_f64 v[138:139], v[138:139], v[150:151]
	v_add_f64 v[131:132], v[131:132], v[144:145]
	s_waitcnt vmcnt(17) lgkmcnt(1)
	v_mul_f64 v[150:151], v[3:4], v[156:157]
	s_waitcnt vmcnt(16)
	v_fma_f64 v[146:147], v[5:6], v[170:171], -v[146:147]
	v_mul_f64 v[144:145], v[1:2], v[156:157]
	v_fma_f64 v[142:143], v[7:8], v[170:171], v[142:143]
	ds_read_b128 v[5:8], v133 offset:1920
	v_add_f64 v[138:139], v[138:139], v[148:149]
	v_add_f64 v[131:132], v[131:132], v[140:141]
	s_waitcnt vmcnt(15) lgkmcnt(1)
	v_mul_f64 v[148:149], v[136:137], v[174:175]
	v_mul_f64 v[140:141], v[134:135], v[174:175]
	s_waitcnt vmcnt(13)
	v_fma_f64 v[150:151], v[1:2], v[160:161], -v[150:151]
	v_fma_f64 v[144:145], v[3:4], v[160:161], v[144:145]
	ds_read_b128 v[1:4], v133 offset:1936
	v_add_f64 v[138:139], v[138:139], v[146:147]
	v_add_f64 v[131:132], v[131:132], v[142:143]
	s_waitcnt vmcnt(9) lgkmcnt(1)
	v_mul_f64 v[146:147], v[7:8], v[164:165]
	s_waitcnt vmcnt(8)
	v_fma_f64 v[134:135], v[134:135], v[178:179], -v[148:149]
	v_mul_f64 v[142:143], v[5:6], v[164:165]
	v_fma_f64 v[136:137], v[136:137], v[178:179], v[140:141]
	v_add_f64 v[138:139], v[138:139], v[150:151]
	v_add_f64 v[131:132], v[131:132], v[144:145]
	s_waitcnt vmcnt(7) lgkmcnt(0)
	v_mul_f64 v[144:145], v[3:4], v[182:183]
	v_mul_f64 v[140:141], v[1:2], v[182:183]
	s_waitcnt vmcnt(5)
	v_fma_f64 v[5:6], v[5:6], v[168:169], -v[146:147]
	v_fma_f64 v[7:8], v[7:8], v[168:169], v[142:143]
	v_add_f64 v[134:135], v[138:139], v[134:135]
	v_add_f64 v[131:132], v[131:132], v[136:137]
	s_waitcnt vmcnt(4)
	v_fma_f64 v[1:2], v[1:2], v[186:187], -v[144:145]
	v_fma_f64 v[3:4], v[3:4], v[186:187], v[140:141]
	v_add_f64 v[5:6], v[134:135], v[5:6]
	v_add_f64 v[7:8], v[131:132], v[7:8]
	;; [unrolled: 1-line block ×4, first 2 shown]
	s_waitcnt vmcnt(2)
	v_add_f64 v[1:2], v[172:173], -v[1:2]
	s_waitcnt vmcnt(0)
	v_add_f64 v[3:4], v[180:181], -v[3:4]
	buffer_store_dword v2, off, s[0:3], 0 offset:516
	buffer_store_dword v1, off, s[0:3], 0 offset:512
	;; [unrolled: 1-line block ×4, first 2 shown]
	v_cmpx_lt_u32_e32 30, v0
	s_cbranch_execz .LBB124_331
; %bb.330:
	v_mov_b32_e32 v4, s45
	s_clause 0x3
	buffer_load_dword v1, v4, s[0:3], 0 offen
	buffer_load_dword v2, v4, s[0:3], 0 offen offset:4
	buffer_load_dword v3, v4, s[0:3], 0 offen offset:8
	;; [unrolled: 1-line block ×3, first 2 shown]
	buffer_store_dword v133, off, s[0:3], 0 offset:496
	buffer_store_dword v133, off, s[0:3], 0 offset:500
	;; [unrolled: 1-line block ×4, first 2 shown]
	s_waitcnt vmcnt(0)
	ds_write_b128 v191, v[1:4]
.LBB124_331:
	s_or_b32 exec_lo, exec_lo, s4
	s_waitcnt lgkmcnt(0)
	s_waitcnt_vscnt null, 0x0
	s_barrier
	buffer_gl0_inv
	s_clause 0x37
	buffer_load_dword v131, off, s[0:3], 0 offset:520
	buffer_load_dword v132, off, s[0:3], 0 offset:524
	;; [unrolled: 1-line block ×56, first 2 shown]
	ds_read_b128 v[134:137], v133 offset:1472
	s_clause 0x2
	buffer_load_dword v193, off, s[0:3], 0 offset:748
	buffer_load_dword v197, off, s[0:3], 0 offset:724
	;; [unrolled: 1-line block ×3, first 2 shown]
	ds_read_b128 v[138:141], v133 offset:1488
	s_clause 0x4
	buffer_load_dword v201, off, s[0:3], 0 offset:764
	buffer_load_dword v202, off, s[0:3], 0 offset:776
	;; [unrolled: 1-line block ×5, first 2 shown]
	ds_read_b128 v[142:145], v133 offset:1504
	s_clause 0x2
	buffer_load_dword v203, off, s[0:3], 0 offset:780
	buffer_load_dword v208, off, s[0:3], 0 offset:756
	buffer_load_dword v207, off, s[0:3], 0 offset:752
	s_mov_b32 s4, exec_lo
	s_waitcnt vmcnt(62) lgkmcnt(2)
	v_mul_f64 v[198:199], v[136:137], v[131:132]
	v_mul_f64 v[131:132], v[134:135], v[131:132]
	s_waitcnt lgkmcnt(1)
	v_mul_f64 v[205:206], v[140:141], v[5:6]
	s_waitcnt vmcnt(59) lgkmcnt(0)
	v_mul_f64 v[209:210], v[144:145], v[3:4]
	v_fma_f64 v[134:135], v[134:135], v[7:8], -v[198:199]
	v_mul_f64 v[198:199], v[138:139], v[5:6]
	v_fma_f64 v[131:132], v[136:137], v[7:8], v[131:132]
	s_waitcnt vmcnt(57)
	v_fma_f64 v[138:139], v[138:139], v[1:2], -v[205:206]
	ds_read_b128 v[5:8], v133 offset:1520
	v_mul_f64 v[136:137], v[142:143], v[3:4]
	s_waitcnt vmcnt(51)
	v_fma_f64 v[142:143], v[142:143], v[152:153], -v[209:210]
	v_add_f64 v[134:135], v[134:135], 0
	v_fma_f64 v[140:141], v[140:141], v[1:2], v[198:199]
	v_add_f64 v[131:132], v[131:132], 0
	s_clause 0x4
	buffer_load_dword v199, off, s[0:3], 0 offset:796
	buffer_load_dword v211, off, s[0:3], 0 offset:808
	;; [unrolled: 1-line block ×5, first 2 shown]
	s_waitcnt lgkmcnt(0)
	v_mul_f64 v[214:215], v[5:6], v[146:147]
	v_mul_f64 v[146:147], v[7:8], v[146:147]
	ds_read_b128 v[1:4], v133 offset:1536
	v_fma_f64 v[144:145], v[144:145], v[152:153], v[136:137]
	v_add_f64 v[138:139], v[134:135], v[138:139]
	v_add_f64 v[131:132], v[131:132], v[140:141]
	s_clause 0x2
	buffer_load_dword v212, off, s[0:3], 0 offset:812
	buffer_load_dword v141, off, s[0:3], 0 offset:788
	;; [unrolled: 1-line block ×3, first 2 shown]
	s_waitcnt vmcnt(58) lgkmcnt(0)
	v_mul_f64 v[152:153], v[1:2], v[148:149]
	v_mul_f64 v[148:149], v[3:4], v[148:149]
	s_waitcnt vmcnt(56)
	v_fma_f64 v[146:147], v[5:6], v[154:155], -v[146:147]
	ds_read_b128 v[134:137], v133 offset:1552
	v_add_f64 v[138:139], v[138:139], v[142:143]
	v_fma_f64 v[142:143], v[7:8], v[154:155], v[214:215]
	v_add_f64 v[131:132], v[131:132], v[144:145]
	s_clause 0x4
	buffer_load_dword v145, off, s[0:3], 0 offset:828
	buffer_load_dword v154, off, s[0:3], 0 offset:840
	;; [unrolled: 1-line block ×5, first 2 shown]
	ds_read_b128 v[5:8], v133 offset:1568
	s_waitcnt vmcnt(57) lgkmcnt(1)
	v_mul_f64 v[215:216], v[134:135], v[156:157]
	v_mul_f64 v[156:157], v[136:137], v[156:157]
	s_waitcnt vmcnt(56)
	v_fma_f64 v[148:149], v[1:2], v[150:151], -v[148:149]
	v_add_f64 v[138:139], v[138:139], v[146:147]
	v_fma_f64 v[146:147], v[3:4], v[150:151], v[152:153]
	v_add_f64 v[131:132], v[131:132], v[142:143]
	s_clause 0x2
	buffer_load_dword v155, off, s[0:3], 0 offset:844
	buffer_load_dword v143, off, s[0:3], 0 offset:820
	;; [unrolled: 1-line block ×3, first 2 shown]
	s_waitcnt vmcnt(58) lgkmcnt(0)
	v_mul_f64 v[152:153], v[7:8], v[158:159]
	ds_read_b128 v[1:4], v133 offset:1584
	s_waitcnt vmcnt(56)
	v_fma_f64 v[156:157], v[134:135], v[162:163], -v[156:157]
	v_mul_f64 v[150:151], v[5:6], v[158:159]
	v_add_f64 v[138:139], v[138:139], v[148:149]
	v_fma_f64 v[148:149], v[136:137], v[162:163], v[215:216]
	v_add_f64 v[131:132], v[131:132], v[146:147]
	s_clause 0x4
	buffer_load_dword v147, off, s[0:3], 0 offset:860
	buffer_load_dword v158, off, s[0:3], 0 offset:872
	buffer_load_dword v162, off, s[0:3], 0 offset:864
	buffer_load_dword v146, off, s[0:3], 0 offset:856
	buffer_load_dword v210, off, s[0:3], 0 offset:836
	s_waitcnt vmcnt(57) lgkmcnt(0)
	v_mul_f64 v[215:216], v[1:2], v[164:165]
	v_mul_f64 v[163:164], v[3:4], v[164:165]
	s_waitcnt vmcnt(56)
	v_fma_f64 v[152:153], v[5:6], v[160:161], -v[152:153]
	ds_read_b128 v[134:137], v133 offset:1600
	v_fma_f64 v[150:151], v[7:8], v[160:161], v[150:151]
	v_add_f64 v[138:139], v[138:139], v[156:157]
	v_add_f64 v[131:132], v[131:132], v[148:149]
	s_clause 0x2
	buffer_load_dword v159, off, s[0:3], 0 offset:876
	buffer_load_dword v149, off, s[0:3], 0 offset:852
	buffer_load_dword v148, off, s[0:3], 0 offset:848
	ds_read_b128 v[5:8], v133 offset:1616
	s_waitcnt vmcnt(58) lgkmcnt(1)
	v_mul_f64 v[160:161], v[136:137], v[166:167]
	s_waitcnt vmcnt(56)
	v_fma_f64 v[164:165], v[1:2], v[170:171], -v[163:164]
	v_mul_f64 v[156:157], v[134:135], v[166:167]
	v_add_f64 v[138:139], v[138:139], v[152:153]
	v_fma_f64 v[152:153], v[3:4], v[170:171], v[215:216]
	v_add_f64 v[131:132], v[131:132], v[150:151]
	s_clause 0x4
	buffer_load_dword v151, off, s[0:3], 0 offset:892
	buffer_load_dword v166, off, s[0:3], 0 offset:904
	buffer_load_dword v170, off, s[0:3], 0 offset:896
	buffer_load_dword v150, off, s[0:3], 0 offset:888
	buffer_load_dword v163, off, s[0:3], 0 offset:868
	s_waitcnt vmcnt(57) lgkmcnt(0)
	v_mul_f64 v[215:216], v[5:6], v[172:173]
	v_mul_f64 v[171:172], v[7:8], v[172:173]
	s_waitcnt vmcnt(56)
	v_fma_f64 v[160:161], v[134:135], v[168:169], -v[160:161]
	ds_read_b128 v[1:4], v133 offset:1632
	v_fma_f64 v[156:157], v[136:137], v[168:169], v[156:157]
	v_add_f64 v[138:139], v[138:139], v[164:165]
	v_add_f64 v[131:132], v[131:132], v[152:153]
	s_clause 0x2
	buffer_load_dword v167, off, s[0:3], 0 offset:908
	buffer_load_dword v153, off, s[0:3], 0 offset:884
	buffer_load_dword v152, off, s[0:3], 0 offset:880
	ds_read_b128 v[134:137], v133 offset:1648
	s_waitcnt vmcnt(58) lgkmcnt(1)
	v_mul_f64 v[168:169], v[3:4], v[174:175]
	;; [unrolled: 28-line block ×4, first 2 shown]
	s_waitcnt vmcnt(56)
	v_fma_f64 v[188:189], v[1:2], v[196:197], -v[187:188]
	v_mul_f64 v[180:181], v[134:135], v[192:193]
	v_add_f64 v[138:139], v[138:139], v[176:177]
	v_fma_f64 v[176:177], v[3:4], v[196:197], v[215:216]
	v_add_f64 v[131:132], v[131:132], v[172:173]
	s_clause 0x2
	buffer_load_dword v173, off, s[0:3], 0 offset:988
	buffer_load_dword v172, off, s[0:3], 0 offset:984
	;; [unrolled: 1-line block ×3, first 2 shown]
	s_waitcnt vmcnt(55) lgkmcnt(0)
	v_mul_f64 v[196:197], v[7:8], v[200:201]
	s_waitcnt vmcnt(54)
	v_fma_f64 v[184:185], v[134:135], v[194:195], -v[184:185]
	ds_read_b128 v[1:4], v133 offset:1728
	v_mul_f64 v[192:193], v[5:6], v[200:201]
	v_fma_f64 v[180:181], v[136:137], v[194:195], v[180:181]
	v_add_f64 v[138:139], v[138:139], v[188:189]
	v_add_f64 v[131:132], v[131:132], v[176:177]
	s_clause 0x1
	buffer_load_dword v177, off, s[0:3], 0 offset:980
	buffer_load_dword v176, off, s[0:3], 0 offset:976
	s_waitcnt vmcnt(55) lgkmcnt(0)
	v_mul_f64 v[194:195], v[3:4], v[202:203]
	s_waitcnt vmcnt(53)
	v_fma_f64 v[196:197], v[5:6], v[207:208], -v[196:197]
	ds_read_b128 v[134:137], v133 offset:1744
	v_mul_f64 v[188:189], v[1:2], v[202:203]
	v_add_f64 v[138:139], v[138:139], v[184:185]
	v_fma_f64 v[184:185], v[7:8], v[207:208], v[192:193]
	v_add_f64 v[131:132], v[131:132], v[180:181]
	ds_read_b128 v[5:8], v133 offset:1760
	s_waitcnt vmcnt(49) lgkmcnt(1)
	v_mul_f64 v[192:193], v[136:137], v[198:199]
	s_waitcnt vmcnt(48)
	v_fma_f64 v[194:195], v[1:2], v[204:205], -v[194:195]
	v_mul_f64 v[180:181], v[134:135], v[198:199]
	v_fma_f64 v[188:189], v[3:4], v[204:205], v[188:189]
	v_add_f64 v[138:139], v[138:139], v[196:197]
	v_add_f64 v[131:132], v[131:132], v[184:185]
	s_clause 0x3
	buffer_load_dword v184, off, s[0:3], 0 offset:496
	buffer_load_dword v185, off, s[0:3], 0 offset:500
	;; [unrolled: 1-line block ×4, first 2 shown]
	ds_read_b128 v[1:4], v133 offset:1776
	s_waitcnt vmcnt(51) lgkmcnt(1)
	v_mul_f64 v[200:201], v[7:8], v[211:212]
	v_mul_f64 v[198:199], v[5:6], v[211:212]
	s_waitcnt vmcnt(49)
	v_fma_f64 v[192:193], v[134:135], v[140:141], -v[192:193]
	v_fma_f64 v[140:141], v[136:137], v[140:141], v[180:181]
	ds_read_b128 v[134:137], v133 offset:1792
	v_add_f64 v[138:139], v[138:139], v[194:195]
	v_add_f64 v[131:132], v[131:132], v[188:189]
	s_waitcnt vmcnt(45) lgkmcnt(1)
	v_mul_f64 v[180:181], v[1:2], v[144:145]
	v_mul_f64 v[144:145], v[3:4], v[144:145]
	s_waitcnt vmcnt(44)
	v_fma_f64 v[188:189], v[5:6], v[213:214], -v[200:201]
	v_add_f64 v[138:139], v[138:139], v[192:193]
	v_fma_f64 v[192:193], v[7:8], v[213:214], v[198:199]
	v_add_f64 v[131:132], v[131:132], v[140:141]
	ds_read_b128 v[5:8], v133 offset:1808
	s_waitcnt vmcnt(43) lgkmcnt(1)
	v_mul_f64 v[140:141], v[134:135], v[154:155]
	v_mul_f64 v[154:155], v[136:137], v[154:155]
	s_waitcnt vmcnt(41)
	v_fma_f64 v[144:145], v[1:2], v[142:143], -v[144:145]
	v_fma_f64 v[142:143], v[3:4], v[142:143], v[180:181]
	ds_read_b128 v[1:4], v133 offset:1824
	v_add_f64 v[138:139], v[138:139], v[188:189]
	v_add_f64 v[131:132], v[131:132], v[192:193]
	s_waitcnt vmcnt(37) lgkmcnt(1)
	v_mul_f64 v[180:181], v[5:6], v[146:147]
	v_mul_f64 v[146:147], v[7:8], v[146:147]
	s_waitcnt vmcnt(36)
	v_fma_f64 v[154:155], v[134:135], v[209:210], -v[154:155]
	v_fma_f64 v[140:141], v[136:137], v[209:210], v[140:141]
	ds_read_b128 v[134:137], v133 offset:1840
	v_add_f64 v[138:139], v[138:139], v[144:145]
	v_add_f64 v[131:132], v[131:132], v[142:143]
	;; [unrolled: 9-line block ×5, first 2 shown]
	s_waitcnt vmcnt(21) lgkmcnt(1)
	v_mul_f64 v[144:145], v[3:4], v[156:157]
	s_waitcnt vmcnt(20)
	v_fma_f64 v[148:149], v[5:6], v[170:171], -v[148:149]
	v_mul_f64 v[142:143], v[1:2], v[156:157]
	v_fma_f64 v[146:147], v[7:8], v[170:171], v[146:147]
	ds_read_b128 v[5:8], v133 offset:1904
	v_add_f64 v[138:139], v[138:139], v[150:151]
	v_add_f64 v[131:132], v[131:132], v[140:141]
	s_waitcnt vmcnt(19) lgkmcnt(1)
	v_mul_f64 v[150:151], v[136:137], v[174:175]
	v_mul_f64 v[140:141], v[134:135], v[174:175]
	s_waitcnt vmcnt(17)
	v_fma_f64 v[144:145], v[1:2], v[160:161], -v[144:145]
	v_fma_f64 v[142:143], v[3:4], v[160:161], v[142:143]
	ds_read_b128 v[1:4], v133 offset:1920
	v_add_f64 v[138:139], v[138:139], v[148:149]
	v_add_f64 v[131:132], v[131:132], v[146:147]
	s_waitcnt vmcnt(13) lgkmcnt(1)
	v_mul_f64 v[148:149], v[7:8], v[164:165]
	s_waitcnt vmcnt(12)
	v_fma_f64 v[150:151], v[134:135], v[178:179], -v[150:151]
	v_mul_f64 v[146:147], v[5:6], v[164:165]
	v_fma_f64 v[135:136], v[136:137], v[178:179], v[140:141]
	v_add_f64 v[138:139], v[138:139], v[144:145]
	v_add_f64 v[140:141], v[131:132], v[142:143]
	ds_read_b128 v[131:134], v133 offset:1936
	s_waitcnt vmcnt(11) lgkmcnt(1)
	v_mul_f64 v[144:145], v[3:4], v[182:183]
	v_mul_f64 v[142:143], v[1:2], v[182:183]
	s_waitcnt vmcnt(9)
	v_fma_f64 v[5:6], v[5:6], v[168:169], -v[148:149]
	v_fma_f64 v[7:8], v[7:8], v[168:169], v[146:147]
	v_add_f64 v[137:138], v[138:139], v[150:151]
	v_add_f64 v[135:136], v[140:141], v[135:136]
	s_waitcnt vmcnt(7) lgkmcnt(0)
	v_mul_f64 v[146:147], v[133:134], v[172:173]
	s_waitcnt vmcnt(6)
	v_fma_f64 v[1:2], v[1:2], v[186:187], -v[144:145]
	v_mul_f64 v[139:140], v[131:132], v[172:173]
	v_fma_f64 v[3:4], v[3:4], v[186:187], v[142:143]
	v_add_f64 v[5:6], v[137:138], v[5:6]
	v_add_f64 v[7:8], v[135:136], v[7:8]
	s_waitcnt vmcnt(4)
	v_fma_f64 v[131:132], v[131:132], v[176:177], -v[146:147]
	v_add_f64 v[1:2], v[5:6], v[1:2]
	v_fma_f64 v[5:6], v[133:134], v[176:177], v[139:140]
	v_add_f64 v[3:4], v[7:8], v[3:4]
	v_add_f64 v[1:2], v[1:2], v[131:132]
	;; [unrolled: 1-line block ×3, first 2 shown]
	s_waitcnt vmcnt(2)
	v_add_f64 v[1:2], v[184:185], -v[1:2]
	s_waitcnt vmcnt(0)
	v_add_f64 v[3:4], v[196:197], -v[3:4]
	buffer_store_dword v2, off, s[0:3], 0 offset:500
	buffer_store_dword v1, off, s[0:3], 0 offset:496
	;; [unrolled: 1-line block ×4, first 2 shown]
	v_cmpx_lt_u32_e32 29, v0
	s_cbranch_execz .LBB124_333
; %bb.332:
	v_mov_b32_e32 v4, s46
	v_mov_b32_e32 v5, 0
	s_clause 0x3
	buffer_load_dword v1, v4, s[0:3], 0 offen
	buffer_load_dword v2, v4, s[0:3], 0 offen offset:4
	buffer_load_dword v3, v4, s[0:3], 0 offen offset:8
	;; [unrolled: 1-line block ×3, first 2 shown]
	buffer_store_dword v5, off, s[0:3], 0 offset:480
	buffer_store_dword v5, off, s[0:3], 0 offset:484
	;; [unrolled: 1-line block ×4, first 2 shown]
	s_waitcnt vmcnt(0)
	ds_write_b128 v191, v[1:4]
.LBB124_333:
	s_or_b32 exec_lo, exec_lo, s4
	s_waitcnt lgkmcnt(0)
	s_waitcnt_vscnt null, 0x0
	s_barrier
	buffer_gl0_inv
	s_clause 0x37
	buffer_load_dword v131, off, s[0:3], 0 offset:504
	buffer_load_dword v132, off, s[0:3], 0 offset:508
	buffer_load_dword v5, off, s[0:3], 0 offset:520
	buffer_load_dword v6, off, s[0:3], 0 offset:524
	buffer_load_dword v7, off, s[0:3], 0 offset:496
	buffer_load_dword v8, off, s[0:3], 0 offset:500
	buffer_load_dword v3, off, s[0:3], 0 offset:536
	buffer_load_dword v4, off, s[0:3], 0 offset:540
	buffer_load_dword v1, off, s[0:3], 0 offset:512
	buffer_load_dword v2, off, s[0:3], 0 offset:516
	buffer_load_dword v136, off, s[0:3], 0 offset:556
	buffer_load_dword v152, off, s[0:3], 0 offset:568
	buffer_load_dword v133, off, s[0:3], 0 offset:560
	buffer_load_dword v135, off, s[0:3], 0 offset:552
	buffer_load_dword v154, off, s[0:3], 0 offset:528
	buffer_load_dword v155, off, s[0:3], 0 offset:532
	buffer_load_dword v153, off, s[0:3], 0 offset:572
	buffer_load_dword v157, off, s[0:3], 0 offset:548
	buffer_load_dword v156, off, s[0:3], 0 offset:544
	buffer_load_dword v159, off, s[0:3], 0 offset:588
	buffer_load_dword v160, off, s[0:3], 0 offset:600
	buffer_load_dword v137, off, s[0:3], 0 offset:592
	buffer_load_dword v158, off, s[0:3], 0 offset:584
	buffer_load_dword v134, off, s[0:3], 0 offset:564
	buffer_load_dword v161, off, s[0:3], 0 offset:604
	buffer_load_dword v163, off, s[0:3], 0 offset:580
	buffer_load_dword v162, off, s[0:3], 0 offset:576
	buffer_load_dword v165, off, s[0:3], 0 offset:620
	buffer_load_dword v166, off, s[0:3], 0 offset:632
	buffer_load_dword v168, off, s[0:3], 0 offset:624
	buffer_load_dword v164, off, s[0:3], 0 offset:616
	buffer_load_dword v138, off, s[0:3], 0 offset:596
	buffer_load_dword v167, off, s[0:3], 0 offset:636
	buffer_load_dword v171, off, s[0:3], 0 offset:612
	buffer_load_dword v170, off, s[0:3], 0 offset:608
	buffer_load_dword v173, off, s[0:3], 0 offset:652
	buffer_load_dword v174, off, s[0:3], 0 offset:664
	buffer_load_dword v176, off, s[0:3], 0 offset:656
	buffer_load_dword v172, off, s[0:3], 0 offset:648
	buffer_load_dword v169, off, s[0:3], 0 offset:628
	buffer_load_dword v175, off, s[0:3], 0 offset:668
	buffer_load_dword v179, off, s[0:3], 0 offset:644
	buffer_load_dword v178, off, s[0:3], 0 offset:640
	buffer_load_dword v181, off, s[0:3], 0 offset:684
	buffer_load_dword v182, off, s[0:3], 0 offset:696
	buffer_load_dword v184, off, s[0:3], 0 offset:688
	buffer_load_dword v180, off, s[0:3], 0 offset:680
	buffer_load_dword v177, off, s[0:3], 0 offset:660
	buffer_load_dword v183, off, s[0:3], 0 offset:700
	buffer_load_dword v187, off, s[0:3], 0 offset:676
	buffer_load_dword v186, off, s[0:3], 0 offset:672
	buffer_load_dword v189, off, s[0:3], 0 offset:716
	buffer_load_dword v192, off, s[0:3], 0 offset:728
	buffer_load_dword v194, off, s[0:3], 0 offset:720
	buffer_load_dword v188, off, s[0:3], 0 offset:712
	buffer_load_dword v185, off, s[0:3], 0 offset:692
	v_mov_b32_e32 v151, 0
	s_mov_b32 s4, exec_lo
	ds_read_b128 v[139:142], v151 offset:1456
	s_clause 0x2
	buffer_load_dword v193, off, s[0:3], 0 offset:732
	buffer_load_dword v197, off, s[0:3], 0 offset:708
	;; [unrolled: 1-line block ×3, first 2 shown]
	ds_read_b128 v[143:146], v151 offset:1472
	s_clause 0x4
	buffer_load_dword v201, off, s[0:3], 0 offset:748
	buffer_load_dword v202, off, s[0:3], 0 offset:760
	;; [unrolled: 1-line block ×5, first 2 shown]
	ds_read_b128 v[147:150], v151 offset:1488
	s_clause 0x2
	buffer_load_dword v203, off, s[0:3], 0 offset:764
	buffer_load_dword v208, off, s[0:3], 0 offset:740
	;; [unrolled: 1-line block ×3, first 2 shown]
	s_waitcnt vmcnt(62) lgkmcnt(2)
	v_mul_f64 v[198:199], v[141:142], v[131:132]
	v_mul_f64 v[131:132], v[139:140], v[131:132]
	s_waitcnt lgkmcnt(1)
	v_mul_f64 v[205:206], v[145:146], v[5:6]
	s_waitcnt vmcnt(59) lgkmcnt(0)
	v_mul_f64 v[209:210], v[149:150], v[3:4]
	v_fma_f64 v[139:140], v[139:140], v[7:8], -v[198:199]
	v_mul_f64 v[198:199], v[143:144], v[5:6]
	v_fma_f64 v[131:132], v[141:142], v[7:8], v[131:132]
	s_waitcnt vmcnt(57)
	v_fma_f64 v[143:144], v[143:144], v[1:2], -v[205:206]
	ds_read_b128 v[5:8], v151 offset:1504
	v_mul_f64 v[141:142], v[147:148], v[3:4]
	s_waitcnt vmcnt(51)
	v_fma_f64 v[147:148], v[147:148], v[154:155], -v[209:210]
	v_add_f64 v[139:140], v[139:140], 0
	v_fma_f64 v[145:146], v[145:146], v[1:2], v[198:199]
	v_add_f64 v[131:132], v[131:132], 0
	s_clause 0x4
	buffer_load_dword v199, off, s[0:3], 0 offset:780
	buffer_load_dword v211, off, s[0:3], 0 offset:792
	;; [unrolled: 1-line block ×5, first 2 shown]
	s_waitcnt lgkmcnt(0)
	v_mul_f64 v[214:215], v[5:6], v[135:136]
	v_mul_f64 v[135:136], v[7:8], v[135:136]
	ds_read_b128 v[1:4], v151 offset:1520
	v_fma_f64 v[149:150], v[149:150], v[154:155], v[141:142]
	v_add_f64 v[143:144], v[139:140], v[143:144]
	v_add_f64 v[131:132], v[131:132], v[145:146]
	s_clause 0x2
	buffer_load_dword v212, off, s[0:3], 0 offset:796
	buffer_load_dword v146, off, s[0:3], 0 offset:772
	;; [unrolled: 1-line block ×3, first 2 shown]
	s_waitcnt vmcnt(58) lgkmcnt(0)
	v_mul_f64 v[154:155], v[1:2], v[152:153]
	v_mul_f64 v[152:153], v[3:4], v[152:153]
	s_waitcnt vmcnt(56)
	v_fma_f64 v[135:136], v[5:6], v[156:157], -v[135:136]
	ds_read_b128 v[139:142], v151 offset:1536
	v_add_f64 v[143:144], v[143:144], v[147:148]
	v_fma_f64 v[147:148], v[7:8], v[156:157], v[214:215]
	v_add_f64 v[131:132], v[131:132], v[149:150]
	s_clause 0x4
	buffer_load_dword v150, off, s[0:3], 0 offset:812
	buffer_load_dword v156, off, s[0:3], 0 offset:824
	;; [unrolled: 1-line block ×5, first 2 shown]
	ds_read_b128 v[5:8], v151 offset:1552
	s_waitcnt vmcnt(57) lgkmcnt(1)
	v_mul_f64 v[215:216], v[139:140], v[158:159]
	v_mul_f64 v[158:159], v[141:142], v[158:159]
	s_waitcnt vmcnt(56)
	v_fma_f64 v[152:153], v[1:2], v[133:134], -v[152:153]
	v_fma_f64 v[133:134], v[3:4], v[133:134], v[154:155]
	v_add_f64 v[135:136], v[143:144], v[135:136]
	s_clause 0x2
	buffer_load_dword v157, off, s[0:3], 0 offset:828
	buffer_load_dword v144, off, s[0:3], 0 offset:804
	;; [unrolled: 1-line block ×3, first 2 shown]
	v_add_f64 v[131:132], v[131:132], v[147:148]
	s_waitcnt vmcnt(58) lgkmcnt(0)
	v_mul_f64 v[154:155], v[7:8], v[160:161]
	ds_read_b128 v[1:4], v151 offset:1568
	v_mul_f64 v[147:148], v[5:6], v[160:161]
	s_waitcnt vmcnt(56)
	v_fma_f64 v[139:140], v[139:140], v[162:163], -v[158:159]
	v_fma_f64 v[141:142], v[141:142], v[162:163], v[215:216]
	s_clause 0x4
	buffer_load_dword v159, off, s[0:3], 0 offset:844
	buffer_load_dword v160, off, s[0:3], 0 offset:856
	;; [unrolled: 1-line block ×5, first 2 shown]
	v_add_f64 v[135:136], v[135:136], v[152:153]
	v_add_f64 v[152:153], v[131:132], v[133:134]
	s_waitcnt vmcnt(57) lgkmcnt(0)
	v_mul_f64 v[215:216], v[1:2], v[164:165]
	v_mul_f64 v[163:164], v[3:4], v[164:165]
	s_waitcnt vmcnt(56)
	v_fma_f64 v[154:155], v[5:6], v[137:138], -v[154:155]
	ds_read_b128 v[131:134], v151 offset:1584
	v_fma_f64 v[137:138], v[7:8], v[137:138], v[147:148]
	v_add_f64 v[135:136], v[135:136], v[139:140]
	v_add_f64 v[139:140], v[152:153], v[141:142]
	s_clause 0x2
	buffer_load_dword v161, off, s[0:3], 0 offset:860
	buffer_load_dword v142, off, s[0:3], 0 offset:836
	;; [unrolled: 1-line block ×3, first 2 shown]
	s_waitcnt vmcnt(58) lgkmcnt(0)
	v_mul_f64 v[152:153], v[133:134], v[166:167]
	s_waitcnt vmcnt(56)
	v_fma_f64 v[164:165], v[1:2], v[170:171], -v[163:164]
	ds_read_b128 v[5:8], v151 offset:1600
	v_mul_f64 v[147:148], v[131:132], v[166:167]
	v_add_f64 v[135:136], v[135:136], v[154:155]
	v_fma_f64 v[154:155], v[3:4], v[170:171], v[215:216]
	v_add_f64 v[137:138], v[139:140], v[137:138]
	s_clause 0x4
	buffer_load_dword v140, off, s[0:3], 0 offset:876
	buffer_load_dword v166, off, s[0:3], 0 offset:888
	buffer_load_dword v170, off, s[0:3], 0 offset:880
	buffer_load_dword v139, off, s[0:3], 0 offset:872
	buffer_load_dword v163, off, s[0:3], 0 offset:852
	s_waitcnt vmcnt(57) lgkmcnt(0)
	v_mul_f64 v[215:216], v[5:6], v[172:173]
	v_mul_f64 v[171:172], v[7:8], v[172:173]
	s_waitcnt vmcnt(56)
	v_fma_f64 v[152:153], v[131:132], v[168:169], -v[152:153]
	ds_read_b128 v[1:4], v151 offset:1616
	v_fma_f64 v[147:148], v[133:134], v[168:169], v[147:148]
	v_add_f64 v[135:136], v[135:136], v[164:165]
	v_add_f64 v[137:138], v[137:138], v[154:155]
	s_clause 0x2
	buffer_load_dword v167, off, s[0:3], 0 offset:892
	buffer_load_dword v155, off, s[0:3], 0 offset:868
	buffer_load_dword v154, off, s[0:3], 0 offset:864
	ds_read_b128 v[131:134], v151 offset:1632
	s_waitcnt vmcnt(58) lgkmcnt(1)
	v_mul_f64 v[168:169], v[3:4], v[174:175]
	s_waitcnt vmcnt(56)
	v_fma_f64 v[172:173], v[5:6], v[178:179], -v[171:172]
	v_mul_f64 v[164:165], v[1:2], v[174:175]
	v_add_f64 v[135:136], v[135:136], v[152:153]
	v_fma_f64 v[152:153], v[7:8], v[178:179], v[215:216]
	v_add_f64 v[137:138], v[137:138], v[147:148]
	s_clause 0x4
	buffer_load_dword v148, off, s[0:3], 0 offset:908
	buffer_load_dword v174, off, s[0:3], 0 offset:920
	buffer_load_dword v178, off, s[0:3], 0 offset:912
	buffer_load_dword v147, off, s[0:3], 0 offset:904
	buffer_load_dword v171, off, s[0:3], 0 offset:884
	s_waitcnt vmcnt(57) lgkmcnt(0)
	v_mul_f64 v[215:216], v[131:132], v[180:181]
	v_mul_f64 v[179:180], v[133:134], v[180:181]
	s_waitcnt vmcnt(56)
	v_fma_f64 v[168:169], v[1:2], v[176:177], -v[168:169]
	ds_read_b128 v[5:8], v151 offset:1648
	v_fma_f64 v[164:165], v[3:4], v[176:177], v[164:165]
	v_add_f64 v[135:136], v[135:136], v[172:173]
	v_add_f64 v[137:138], v[137:138], v[152:153]
	s_clause 0x2
	buffer_load_dword v175, off, s[0:3], 0 offset:924
	buffer_load_dword v153, off, s[0:3], 0 offset:900
	buffer_load_dword v152, off, s[0:3], 0 offset:896
	ds_read_b128 v[1:4], v151 offset:1664
	s_waitcnt vmcnt(58) lgkmcnt(1)
	v_mul_f64 v[176:177], v[7:8], v[182:183]
	s_waitcnt vmcnt(56)
	v_fma_f64 v[180:181], v[131:132], v[186:187], -v[179:180]
	;; [unrolled: 28-line block ×4, first 2 shown]
	v_mul_f64 v[188:189], v[1:2], v[202:203]
	buffer_load_dword v197, off, s[0:3], 0 offset:980
	v_add_f64 v[135:136], v[135:136], v[184:185]
	v_fma_f64 v[184:185], v[7:8], v[207:208], v[215:216]
	v_add_f64 v[137:138], v[137:138], v[180:181]
	ds_read_b128 v[5:8], v151 offset:1744
	s_waitcnt vmcnt(53) lgkmcnt(1)
	v_mul_f64 v[180:181], v[131:132], v[198:199]
	v_mul_f64 v[198:199], v[133:134], v[198:199]
	s_waitcnt vmcnt(52)
	v_fma_f64 v[194:195], v[1:2], v[204:205], -v[194:195]
	v_fma_f64 v[188:189], v[3:4], v[204:205], v[188:189]
	ds_read_b128 v[1:4], v151 offset:1760
	v_add_f64 v[135:136], v[135:136], v[200:201]
	v_add_f64 v[137:138], v[137:138], v[184:185]
	s_waitcnt vmcnt(51) lgkmcnt(1)
	v_mul_f64 v[200:201], v[7:8], v[211:212]
	v_mul_f64 v[184:185], v[5:6], v[211:212]
	s_waitcnt vmcnt(49)
	v_fma_f64 v[198:199], v[131:132], v[145:146], -v[198:199]
	v_fma_f64 v[145:146], v[133:134], v[145:146], v[180:181]
	v_add_f64 v[135:136], v[135:136], v[194:195]
	v_add_f64 v[137:138], v[137:138], v[188:189]
	s_clause 0x3
	buffer_load_dword v180, off, s[0:3], 0 offset:480
	buffer_load_dword v181, off, s[0:3], 0 offset:484
	;; [unrolled: 1-line block ×4, first 2 shown]
	ds_read_b128 v[131:134], v151 offset:1776
	s_waitcnt vmcnt(49) lgkmcnt(1)
	v_mul_f64 v[194:195], v[1:2], v[149:150]
	v_mul_f64 v[149:150], v[3:4], v[149:150]
	s_waitcnt vmcnt(48)
	v_fma_f64 v[200:201], v[5:6], v[213:214], -v[200:201]
	v_fma_f64 v[184:185], v[7:8], v[213:214], v[184:185]
	ds_read_b128 v[5:8], v151 offset:1792
	v_add_f64 v[135:136], v[135:136], v[198:199]
	v_add_f64 v[137:138], v[137:138], v[145:146]
	s_waitcnt vmcnt(47) lgkmcnt(1)
	v_mul_f64 v[145:146], v[131:132], v[156:157]
	v_mul_f64 v[156:157], v[133:134], v[156:157]
	s_waitcnt vmcnt(45)
	v_fma_f64 v[149:150], v[1:2], v[143:144], -v[149:150]
	v_fma_f64 v[143:144], v[3:4], v[143:144], v[194:195]
	ds_read_b128 v[1:4], v151 offset:1808
	v_add_f64 v[135:136], v[135:136], v[200:201]
	v_add_f64 v[137:138], v[137:138], v[184:185]
	s_waitcnt vmcnt(41) lgkmcnt(1)
	v_mul_f64 v[184:185], v[5:6], v[158:159]
	v_mul_f64 v[158:159], v[7:8], v[158:159]
	s_waitcnt vmcnt(40)
	v_fma_f64 v[145:146], v[133:134], v[209:210], v[145:146]
	v_fma_f64 v[156:157], v[131:132], v[209:210], -v[156:157]
	ds_read_b128 v[131:134], v151 offset:1824
	v_add_f64 v[135:136], v[135:136], v[149:150]
	v_add_f64 v[137:138], v[137:138], v[143:144]
	s_waitcnt vmcnt(39) lgkmcnt(1)
	v_mul_f64 v[149:150], v[3:4], v[160:161]
	v_mul_f64 v[143:144], v[1:2], v[160:161]
	s_waitcnt vmcnt(37)
	v_fma_f64 v[158:159], v[5:6], v[141:142], -v[158:159]
	v_fma_f64 v[141:142], v[7:8], v[141:142], v[184:185]
	ds_read_b128 v[5:8], v151 offset:1840
	v_add_f64 v[135:136], v[135:136], v[156:157]
	v_add_f64 v[137:138], v[137:138], v[145:146]
	s_waitcnt vmcnt(33) lgkmcnt(1)
	v_mul_f64 v[145:146], v[131:132], v[139:140]
	v_mul_f64 v[139:140], v[133:134], v[139:140]
	s_waitcnt vmcnt(32)
	v_fma_f64 v[149:150], v[1:2], v[162:163], -v[149:150]
	v_fma_f64 v[143:144], v[3:4], v[162:163], v[143:144]
	;; [unrolled: 9-line block ×3, first 2 shown]
	ds_read_b128 v[131:134], v151 offset:1872
	v_add_f64 v[135:136], v[135:136], v[149:150]
	v_add_f64 v[137:138], v[137:138], v[143:144]
	s_waitcnt vmcnt(25) lgkmcnt(1)
	v_mul_f64 v[143:144], v[1:2], v[147:148]
	v_mul_f64 v[147:148], v[3:4], v[147:148]
	s_waitcnt vmcnt(24)
	v_fma_f64 v[149:150], v[5:6], v[170:171], -v[156:157]
	v_add_f64 v[135:136], v[135:136], v[139:140]
	v_fma_f64 v[139:140], v[7:8], v[170:171], v[141:142]
	v_add_f64 v[137:138], v[137:138], v[145:146]
	ds_read_b128 v[5:8], v151 offset:1888
	s_waitcnt vmcnt(23) lgkmcnt(1)
	v_mul_f64 v[145:146], v[133:134], v[174:175]
	v_mul_f64 v[141:142], v[131:132], v[174:175]
	s_waitcnt vmcnt(21)
	v_fma_f64 v[147:148], v[1:2], v[152:153], -v[147:148]
	v_fma_f64 v[143:144], v[3:4], v[152:153], v[143:144]
	ds_read_b128 v[1:4], v151 offset:1904
	v_add_f64 v[135:136], v[135:136], v[149:150]
	v_add_f64 v[137:138], v[137:138], v[139:140]
	s_waitcnt vmcnt(17) lgkmcnt(1)
	v_mul_f64 v[149:150], v[7:8], v[164:165]
	s_waitcnt vmcnt(16)
	v_fma_f64 v[145:146], v[131:132], v[178:179], -v[145:146]
	v_mul_f64 v[139:140], v[5:6], v[164:165]
	v_fma_f64 v[141:142], v[133:134], v[178:179], v[141:142]
	ds_read_b128 v[131:134], v151 offset:1920
	v_add_f64 v[135:136], v[135:136], v[147:148]
	v_add_f64 v[137:138], v[137:138], v[143:144]
	s_waitcnt vmcnt(15) lgkmcnt(1)
	v_mul_f64 v[147:148], v[3:4], v[182:183]
	v_mul_f64 v[143:144], v[1:2], v[182:183]
	s_waitcnt vmcnt(13)
	v_fma_f64 v[149:150], v[5:6], v[168:169], -v[149:150]
	v_fma_f64 v[139:140], v[7:8], v[168:169], v[139:140]
	ds_read_b128 v[5:8], v151 offset:1936
	v_add_f64 v[135:136], v[135:136], v[145:146]
	v_add_f64 v[137:138], v[137:138], v[141:142]
	s_waitcnt vmcnt(9) lgkmcnt(1)
	v_mul_f64 v[145:146], v[133:134], v[172:173]
	s_waitcnt vmcnt(8)
	v_fma_f64 v[1:2], v[1:2], v[186:187], -v[147:148]
	v_mul_f64 v[141:142], v[131:132], v[172:173]
	v_fma_f64 v[3:4], v[3:4], v[186:187], v[143:144]
	v_add_f64 v[135:136], v[135:136], v[149:150]
	v_add_f64 v[137:138], v[137:138], v[139:140]
	s_waitcnt vmcnt(7) lgkmcnt(0)
	v_mul_f64 v[143:144], v[7:8], v[192:193]
	v_mul_f64 v[139:140], v[5:6], v[192:193]
	s_waitcnt vmcnt(5)
	v_fma_f64 v[131:132], v[131:132], v[176:177], -v[145:146]
	v_fma_f64 v[133:134], v[133:134], v[176:177], v[141:142]
	v_add_f64 v[1:2], v[135:136], v[1:2]
	v_add_f64 v[3:4], v[137:138], v[3:4]
	s_waitcnt vmcnt(4)
	v_fma_f64 v[5:6], v[5:6], v[196:197], -v[143:144]
	v_fma_f64 v[7:8], v[7:8], v[196:197], v[139:140]
	v_add_f64 v[1:2], v[1:2], v[131:132]
	v_add_f64 v[3:4], v[3:4], v[133:134]
	;; [unrolled: 1-line block ×4, first 2 shown]
	s_waitcnt vmcnt(2)
	v_add_f64 v[1:2], v[180:181], -v[1:2]
	s_waitcnt vmcnt(0)
	v_add_f64 v[3:4], v[188:189], -v[3:4]
	buffer_store_dword v2, off, s[0:3], 0 offset:484
	buffer_store_dword v1, off, s[0:3], 0 offset:480
	buffer_store_dword v4, off, s[0:3], 0 offset:492
	buffer_store_dword v3, off, s[0:3], 0 offset:488
	v_cmpx_lt_u32_e32 28, v0
	s_cbranch_execz .LBB124_335
; %bb.334:
	v_mov_b32_e32 v4, s47
	s_clause 0x3
	buffer_load_dword v1, v4, s[0:3], 0 offen
	buffer_load_dword v2, v4, s[0:3], 0 offen offset:4
	buffer_load_dword v3, v4, s[0:3], 0 offen offset:8
	;; [unrolled: 1-line block ×3, first 2 shown]
	buffer_store_dword v151, off, s[0:3], 0 offset:464
	buffer_store_dword v151, off, s[0:3], 0 offset:468
	;; [unrolled: 1-line block ×4, first 2 shown]
	s_waitcnt vmcnt(0)
	ds_write_b128 v191, v[1:4]
.LBB124_335:
	s_or_b32 exec_lo, exec_lo, s4
	s_waitcnt lgkmcnt(0)
	s_waitcnt_vscnt null, 0x0
	s_barrier
	buffer_gl0_inv
	s_clause 0x37
	buffer_load_dword v131, off, s[0:3], 0 offset:488
	buffer_load_dword v132, off, s[0:3], 0 offset:492
	;; [unrolled: 1-line block ×56, first 2 shown]
	ds_read_b128 v[152:155], v151 offset:1440
	s_clause 0x2
	buffer_load_dword v193, off, s[0:3], 0 offset:716
	buffer_load_dword v197, off, s[0:3], 0 offset:692
	;; [unrolled: 1-line block ×3, first 2 shown]
	ds_read_b128 v[156:159], v151 offset:1456
	s_clause 0x4
	buffer_load_dword v201, off, s[0:3], 0 offset:732
	buffer_load_dword v202, off, s[0:3], 0 offset:744
	;; [unrolled: 1-line block ×5, first 2 shown]
	ds_read_b128 v[160:163], v151 offset:1472
	s_clause 0x2
	buffer_load_dword v203, off, s[0:3], 0 offset:748
	buffer_load_dword v208, off, s[0:3], 0 offset:724
	;; [unrolled: 1-line block ×3, first 2 shown]
	s_mov_b32 s4, exec_lo
	s_waitcnt vmcnt(62) lgkmcnt(2)
	v_mul_f64 v[198:199], v[154:155], v[131:132]
	v_mul_f64 v[131:132], v[152:153], v[131:132]
	s_waitcnt lgkmcnt(1)
	v_mul_f64 v[205:206], v[158:159], v[5:6]
	s_waitcnt vmcnt(59) lgkmcnt(0)
	v_mul_f64 v[209:210], v[162:163], v[3:4]
	v_fma_f64 v[152:153], v[152:153], v[7:8], -v[198:199]
	v_mul_f64 v[198:199], v[156:157], v[5:6]
	v_fma_f64 v[131:132], v[154:155], v[7:8], v[131:132]
	s_waitcnt vmcnt(57)
	v_fma_f64 v[156:157], v[156:157], v[1:2], -v[205:206]
	ds_read_b128 v[5:8], v151 offset:1488
	v_mul_f64 v[154:155], v[160:161], v[3:4]
	s_waitcnt vmcnt(51)
	v_fma_f64 v[160:161], v[160:161], v[147:148], -v[209:210]
	v_add_f64 v[152:153], v[152:153], 0
	v_fma_f64 v[158:159], v[158:159], v[1:2], v[198:199]
	v_add_f64 v[131:132], v[131:132], 0
	s_clause 0x4
	buffer_load_dword v199, off, s[0:3], 0 offset:764
	buffer_load_dword v211, off, s[0:3], 0 offset:776
	;; [unrolled: 1-line block ×5, first 2 shown]
	s_waitcnt lgkmcnt(0)
	v_mul_f64 v[214:215], v[5:6], v[135:136]
	v_mul_f64 v[135:136], v[7:8], v[135:136]
	ds_read_b128 v[1:4], v151 offset:1504
	v_fma_f64 v[147:148], v[162:163], v[147:148], v[154:155]
	v_add_f64 v[156:157], v[152:153], v[156:157]
	v_add_f64 v[131:132], v[131:132], v[158:159]
	s_clause 0x2
	buffer_load_dword v212, off, s[0:3], 0 offset:780
	buffer_load_dword v159, off, s[0:3], 0 offset:756
	;; [unrolled: 1-line block ×3, first 2 shown]
	s_waitcnt vmcnt(58) lgkmcnt(0)
	v_mul_f64 v[162:163], v[1:2], v[139:140]
	v_mul_f64 v[139:140], v[3:4], v[139:140]
	s_waitcnt vmcnt(56)
	v_fma_f64 v[135:136], v[5:6], v[141:142], -v[135:136]
	ds_read_b128 v[152:155], v151 offset:1520
	v_fma_f64 v[141:142], v[7:8], v[141:142], v[214:215]
	v_add_f64 v[156:157], v[156:157], v[160:161]
	v_add_f64 v[131:132], v[131:132], v[147:148]
	s_clause 0x4
	buffer_load_dword v148, off, s[0:3], 0 offset:796
	buffer_load_dword v160, off, s[0:3], 0 offset:808
	;; [unrolled: 1-line block ×5, first 2 shown]
	ds_read_b128 v[5:8], v151 offset:1536
	s_waitcnt vmcnt(57) lgkmcnt(1)
	v_mul_f64 v[215:216], v[152:153], v[143:144]
	v_mul_f64 v[143:144], v[154:155], v[143:144]
	s_waitcnt vmcnt(56)
	v_fma_f64 v[139:140], v[1:2], v[133:134], -v[139:140]
	v_fma_f64 v[133:134], v[3:4], v[133:134], v[162:163]
	v_add_f64 v[135:136], v[156:157], v[135:136]
	v_add_f64 v[131:132], v[131:132], v[141:142]
	s_clause 0x2
	buffer_load_dword v161, off, s[0:3], 0 offset:812
	buffer_load_dword v142, off, s[0:3], 0 offset:788
	buffer_load_dword v141, off, s[0:3], 0 offset:784
	s_waitcnt vmcnt(58) lgkmcnt(0)
	v_mul_f64 v[156:157], v[5:6], v[149:150]
	v_mul_f64 v[149:150], v[7:8], v[149:150]
	s_waitcnt vmcnt(56)
	v_fma_f64 v[143:144], v[152:153], v[164:165], -v[143:144]
	ds_read_b128 v[1:4], v151 offset:1552
	v_add_f64 v[135:136], v[135:136], v[139:140]
	v_fma_f64 v[139:140], v[154:155], v[164:165], v[215:216]
	v_add_f64 v[152:153], v[131:132], v[133:134]
	s_clause 0x4
	buffer_load_dword v155, off, s[0:3], 0 offset:828
	buffer_load_dword v162, off, s[0:3], 0 offset:840
	;; [unrolled: 1-line block ×5, first 2 shown]
	ds_read_b128 v[131:134], v151 offset:1568
	s_waitcnt vmcnt(57) lgkmcnt(1)
	v_mul_f64 v[215:216], v[1:2], v[166:167]
	v_mul_f64 v[165:166], v[3:4], v[166:167]
	s_waitcnt vmcnt(56)
	v_fma_f64 v[149:150], v[5:6], v[137:138], -v[149:150]
	v_fma_f64 v[137:138], v[7:8], v[137:138], v[156:157]
	v_add_f64 v[135:136], v[135:136], v[143:144]
	s_clause 0x2
	buffer_load_dword v163, off, s[0:3], 0 offset:844
	buffer_load_dword v144, off, s[0:3], 0 offset:820
	;; [unrolled: 1-line block ×3, first 2 shown]
	v_add_f64 v[139:140], v[152:153], v[139:140]
	s_waitcnt vmcnt(58) lgkmcnt(0)
	v_mul_f64 v[156:157], v[133:134], v[168:169]
	ds_read_b128 v[5:8], v151 offset:1584
	v_mul_f64 v[152:153], v[131:132], v[168:169]
	s_waitcnt vmcnt(56)
	v_fma_f64 v[166:167], v[1:2], v[170:171], -v[165:166]
	v_add_f64 v[135:136], v[135:136], v[149:150]
	v_fma_f64 v[149:150], v[3:4], v[170:171], v[215:216]
	v_add_f64 v[137:138], v[139:140], v[137:138]
	s_clause 0x4
	buffer_load_dword v140, off, s[0:3], 0 offset:860
	buffer_load_dword v168, off, s[0:3], 0 offset:872
	buffer_load_dword v170, off, s[0:3], 0 offset:864
	buffer_load_dword v139, off, s[0:3], 0 offset:856
	buffer_load_dword v165, off, s[0:3], 0 offset:836
	s_waitcnt vmcnt(57) lgkmcnt(0)
	v_mul_f64 v[215:216], v[5:6], v[172:173]
	v_mul_f64 v[171:172], v[7:8], v[172:173]
	s_waitcnt vmcnt(56)
	v_fma_f64 v[156:157], v[131:132], v[145:146], -v[156:157]
	ds_read_b128 v[1:4], v151 offset:1600
	v_fma_f64 v[145:146], v[133:134], v[145:146], v[152:153]
	v_add_f64 v[135:136], v[135:136], v[166:167]
	v_add_f64 v[137:138], v[137:138], v[149:150]
	s_clause 0x2
	buffer_load_dword v169, off, s[0:3], 0 offset:876
	buffer_load_dword v150, off, s[0:3], 0 offset:852
	buffer_load_dword v149, off, s[0:3], 0 offset:848
	ds_read_b128 v[131:134], v151 offset:1616
	s_waitcnt vmcnt(58) lgkmcnt(1)
	v_mul_f64 v[166:167], v[3:4], v[174:175]
	s_waitcnt vmcnt(56)
	v_fma_f64 v[172:173], v[5:6], v[178:179], -v[171:172]
	v_mul_f64 v[152:153], v[1:2], v[174:175]
	v_add_f64 v[135:136], v[135:136], v[156:157]
	v_fma_f64 v[156:157], v[7:8], v[178:179], v[215:216]
	v_add_f64 v[137:138], v[137:138], v[145:146]
	s_clause 0x4
	buffer_load_dword v146, off, s[0:3], 0 offset:892
	buffer_load_dword v174, off, s[0:3], 0 offset:904
	buffer_load_dword v178, off, s[0:3], 0 offset:896
	buffer_load_dword v145, off, s[0:3], 0 offset:888
	buffer_load_dword v171, off, s[0:3], 0 offset:868
	s_waitcnt vmcnt(57) lgkmcnt(0)
	v_mul_f64 v[215:216], v[131:132], v[180:181]
	v_mul_f64 v[179:180], v[133:134], v[180:181]
	s_waitcnt vmcnt(56)
	v_fma_f64 v[166:167], v[1:2], v[176:177], -v[166:167]
	ds_read_b128 v[5:8], v151 offset:1632
	v_fma_f64 v[152:153], v[3:4], v[176:177], v[152:153]
	v_add_f64 v[135:136], v[135:136], v[172:173]
	v_add_f64 v[137:138], v[137:138], v[156:157]
	s_clause 0x2
	buffer_load_dword v175, off, s[0:3], 0 offset:908
	buffer_load_dword v157, off, s[0:3], 0 offset:884
	buffer_load_dword v156, off, s[0:3], 0 offset:880
	ds_read_b128 v[1:4], v151 offset:1648
	s_waitcnt vmcnt(58) lgkmcnt(1)
	v_mul_f64 v[176:177], v[7:8], v[182:183]
	s_waitcnt vmcnt(56)
	v_fma_f64 v[180:181], v[131:132], v[186:187], -v[179:180]
	v_mul_f64 v[172:173], v[5:6], v[182:183]
	;; [unrolled: 28-line block ×4, first 2 shown]
	v_add_f64 v[135:136], v[135:136], v[184:185]
	v_fma_f64 v[184:185], v[7:8], v[207:208], v[215:216]
	v_add_f64 v[137:138], v[137:138], v[180:181]
	s_clause 0x2
	buffer_load_dword v181, off, s[0:3], 0 offset:988
	buffer_load_dword v180, off, s[0:3], 0 offset:984
	;; [unrolled: 1-line block ×3, first 2 shown]
	ds_read_b128 v[5:8], v151 offset:1728
	s_waitcnt vmcnt(55) lgkmcnt(1)
	v_mul_f64 v[202:203], v[131:132], v[198:199]
	v_mul_f64 v[198:199], v[133:134], v[198:199]
	s_waitcnt vmcnt(54)
	v_fma_f64 v[194:195], v[1:2], v[204:205], -v[194:195]
	v_fma_f64 v[188:189], v[3:4], v[204:205], v[188:189]
	v_add_f64 v[135:136], v[135:136], v[200:201]
	v_add_f64 v[137:138], v[137:138], v[184:185]
	s_clause 0x1
	buffer_load_dword v185, off, s[0:3], 0 offset:980
	buffer_load_dword v184, off, s[0:3], 0 offset:976
	ds_read_b128 v[1:4], v151 offset:1744
	s_waitcnt vmcnt(55) lgkmcnt(1)
	v_mul_f64 v[204:205], v[7:8], v[211:212]
	v_mul_f64 v[200:201], v[5:6], v[211:212]
	s_waitcnt vmcnt(53)
	v_fma_f64 v[198:199], v[131:132], v[158:159], -v[198:199]
	v_fma_f64 v[158:159], v[133:134], v[158:159], v[202:203]
	ds_read_b128 v[131:134], v151 offset:1760
	v_add_f64 v[135:136], v[135:136], v[194:195]
	v_add_f64 v[137:138], v[137:138], v[188:189]
	s_waitcnt vmcnt(49) lgkmcnt(1)
	v_mul_f64 v[188:189], v[1:2], v[147:148]
	v_mul_f64 v[147:148], v[3:4], v[147:148]
	s_waitcnt vmcnt(48)
	v_fma_f64 v[194:195], v[5:6], v[213:214], -v[204:205]
	v_add_f64 v[135:136], v[135:136], v[198:199]
	v_fma_f64 v[198:199], v[7:8], v[213:214], v[200:201]
	v_add_f64 v[137:138], v[137:138], v[158:159]
	s_clause 0x3
	buffer_load_dword v158, off, s[0:3], 0 offset:464
	buffer_load_dword v159, off, s[0:3], 0 offset:468
	buffer_load_dword v200, off, s[0:3], 0 offset:472
	buffer_load_dword v201, off, s[0:3], 0 offset:476
	ds_read_b128 v[5:8], v151 offset:1776
	s_waitcnt vmcnt(51) lgkmcnt(1)
	v_mul_f64 v[202:203], v[131:132], v[160:161]
	v_mul_f64 v[160:161], v[133:134], v[160:161]
	s_waitcnt vmcnt(49)
	v_fma_f64 v[147:148], v[1:2], v[141:142], -v[147:148]
	v_fma_f64 v[141:142], v[3:4], v[141:142], v[188:189]
	ds_read_b128 v[1:4], v151 offset:1792
	v_add_f64 v[135:136], v[135:136], v[194:195]
	v_add_f64 v[137:138], v[137:138], v[198:199]
	s_waitcnt vmcnt(45) lgkmcnt(1)
	v_mul_f64 v[188:189], v[5:6], v[154:155]
	v_mul_f64 v[154:155], v[7:8], v[154:155]
	s_waitcnt vmcnt(44)
	v_fma_f64 v[160:161], v[131:132], v[209:210], -v[160:161]
	v_add_f64 v[135:136], v[135:136], v[147:148]
	v_fma_f64 v[147:148], v[133:134], v[209:210], v[202:203]
	v_add_f64 v[137:138], v[137:138], v[141:142]
	ds_read_b128 v[131:134], v151 offset:1808
	s_waitcnt vmcnt(43) lgkmcnt(1)
	v_mul_f64 v[141:142], v[1:2], v[162:163]
	v_mul_f64 v[162:163], v[3:4], v[162:163]
	s_waitcnt vmcnt(41)
	v_fma_f64 v[154:155], v[5:6], v[143:144], -v[154:155]
	v_fma_f64 v[143:144], v[7:8], v[143:144], v[188:189]
	ds_read_b128 v[5:8], v151 offset:1824
	v_add_f64 v[135:136], v[135:136], v[160:161]
	v_add_f64 v[137:138], v[137:138], v[147:148]
	s_waitcnt vmcnt(37) lgkmcnt(1)
	v_mul_f64 v[147:148], v[131:132], v[139:140]
	v_mul_f64 v[139:140], v[133:134], v[139:140]
	s_waitcnt vmcnt(36)
	v_fma_f64 v[160:161], v[1:2], v[164:165], -v[162:163]
	v_fma_f64 v[141:142], v[3:4], v[164:165], v[141:142]
	ds_read_b128 v[1:4], v151 offset:1840
	v_add_f64 v[135:136], v[135:136], v[154:155]
	v_add_f64 v[137:138], v[137:138], v[143:144]
	s_waitcnt vmcnt(35) lgkmcnt(1)
	v_mul_f64 v[154:155], v[7:8], v[168:169]
	v_mul_f64 v[143:144], v[5:6], v[168:169]
	s_waitcnt vmcnt(33)
	v_fma_f64 v[139:140], v[131:132], v[149:150], -v[139:140]
	v_fma_f64 v[147:148], v[133:134], v[149:150], v[147:148]
	ds_read_b128 v[131:134], v151 offset:1856
	v_add_f64 v[135:136], v[135:136], v[160:161]
	v_add_f64 v[137:138], v[137:138], v[141:142]
	s_waitcnt vmcnt(29) lgkmcnt(1)
	v_mul_f64 v[141:142], v[1:2], v[145:146]
	v_mul_f64 v[145:146], v[3:4], v[145:146]
	s_waitcnt vmcnt(28)
	v_fma_f64 v[149:150], v[5:6], v[170:171], -v[154:155]
	v_add_f64 v[135:136], v[135:136], v[139:140]
	v_fma_f64 v[139:140], v[7:8], v[170:171], v[143:144]
	v_add_f64 v[137:138], v[137:138], v[147:148]
	ds_read_b128 v[5:8], v151 offset:1872
	s_waitcnt vmcnt(27) lgkmcnt(1)
	v_mul_f64 v[147:148], v[133:134], v[174:175]
	v_mul_f64 v[143:144], v[131:132], v[174:175]
	s_waitcnt vmcnt(25)
	v_fma_f64 v[145:146], v[1:2], v[156:157], -v[145:146]
	v_fma_f64 v[141:142], v[3:4], v[156:157], v[141:142]
	ds_read_b128 v[1:4], v151 offset:1888
	v_add_f64 v[135:136], v[135:136], v[149:150]
	v_add_f64 v[137:138], v[137:138], v[139:140]
	s_waitcnt vmcnt(21) lgkmcnt(1)
	v_mul_f64 v[149:150], v[7:8], v[152:153]
	s_waitcnt vmcnt(20)
	v_fma_f64 v[147:148], v[131:132], v[178:179], -v[147:148]
	v_mul_f64 v[139:140], v[5:6], v[152:153]
	v_fma_f64 v[143:144], v[133:134], v[178:179], v[143:144]
	ds_read_b128 v[131:134], v151 offset:1904
	v_add_f64 v[135:136], v[135:136], v[145:146]
	v_add_f64 v[137:138], v[137:138], v[141:142]
	s_waitcnt vmcnt(19) lgkmcnt(1)
	v_mul_f64 v[145:146], v[3:4], v[182:183]
	v_mul_f64 v[141:142], v[1:2], v[182:183]
	s_waitcnt vmcnt(17)
	v_fma_f64 v[149:150], v[5:6], v[166:167], -v[149:150]
	v_fma_f64 v[139:140], v[7:8], v[166:167], v[139:140]
	ds_read_b128 v[5:8], v151 offset:1920
	v_add_f64 v[135:136], v[135:136], v[147:148]
	v_add_f64 v[137:138], v[137:138], v[143:144]
	s_waitcnt vmcnt(13) lgkmcnt(1)
	v_mul_f64 v[147:148], v[133:134], v[172:173]
	s_waitcnt vmcnt(12)
	v_fma_f64 v[145:146], v[1:2], v[186:187], -v[145:146]
	v_mul_f64 v[143:144], v[131:132], v[172:173]
	v_fma_f64 v[141:142], v[3:4], v[186:187], v[141:142]
	ds_read_b128 v[1:4], v151 offset:1936
	v_add_f64 v[135:136], v[135:136], v[149:150]
	v_add_f64 v[137:138], v[137:138], v[139:140]
	s_waitcnt vmcnt(11) lgkmcnt(1)
	v_mul_f64 v[149:150], v[7:8], v[192:193]
	v_mul_f64 v[139:140], v[5:6], v[192:193]
	s_waitcnt vmcnt(9)
	v_fma_f64 v[131:132], v[131:132], v[176:177], -v[147:148]
	v_fma_f64 v[133:134], v[133:134], v[176:177], v[143:144]
	v_add_f64 v[135:136], v[135:136], v[145:146]
	v_add_f64 v[137:138], v[137:138], v[141:142]
	s_waitcnt vmcnt(7) lgkmcnt(0)
	v_mul_f64 v[143:144], v[3:4], v[180:181]
	s_waitcnt vmcnt(6)
	v_fma_f64 v[5:6], v[5:6], v[196:197], -v[149:150]
	v_mul_f64 v[141:142], v[1:2], v[180:181]
	v_fma_f64 v[7:8], v[7:8], v[196:197], v[139:140]
	v_add_f64 v[131:132], v[135:136], v[131:132]
	v_add_f64 v[133:134], v[137:138], v[133:134]
	s_waitcnt vmcnt(4)
	v_fma_f64 v[1:2], v[1:2], v[184:185], -v[143:144]
	v_fma_f64 v[3:4], v[3:4], v[184:185], v[141:142]
	v_add_f64 v[5:6], v[131:132], v[5:6]
	v_add_f64 v[7:8], v[133:134], v[7:8]
	;; [unrolled: 1-line block ×4, first 2 shown]
	s_waitcnt vmcnt(2)
	v_add_f64 v[1:2], v[158:159], -v[1:2]
	s_waitcnt vmcnt(0)
	v_add_f64 v[3:4], v[200:201], -v[3:4]
	buffer_store_dword v2, off, s[0:3], 0 offset:468
	buffer_store_dword v1, off, s[0:3], 0 offset:464
	;; [unrolled: 1-line block ×4, first 2 shown]
	v_cmpx_lt_u32_e32 27, v0
	s_cbranch_execz .LBB124_337
; %bb.336:
	v_mov_b32_e32 v4, s48
	v_mov_b32_e32 v5, 0
	s_clause 0x3
	buffer_load_dword v1, v4, s[0:3], 0 offen
	buffer_load_dword v2, v4, s[0:3], 0 offen offset:4
	buffer_load_dword v3, v4, s[0:3], 0 offen offset:8
	;; [unrolled: 1-line block ×3, first 2 shown]
	buffer_store_dword v5, off, s[0:3], 0 offset:448
	buffer_store_dword v5, off, s[0:3], 0 offset:452
	;; [unrolled: 1-line block ×4, first 2 shown]
	s_waitcnt vmcnt(0)
	ds_write_b128 v191, v[1:4]
.LBB124_337:
	s_or_b32 exec_lo, exec_lo, s4
	s_waitcnt lgkmcnt(0)
	s_waitcnt_vscnt null, 0x0
	s_barrier
	buffer_gl0_inv
	s_clause 0x37
	buffer_load_dword v131, off, s[0:3], 0 offset:472
	buffer_load_dword v132, off, s[0:3], 0 offset:476
	;; [unrolled: 1-line block ×56, first 2 shown]
	v_mov_b32_e32 v173, 0
	s_mov_b32 s4, exec_lo
	ds_read_b128 v[161:164], v173 offset:1424
	s_clause 0x2
	buffer_load_dword v193, off, s[0:3], 0 offset:700
	buffer_load_dword v197, off, s[0:3], 0 offset:676
	;; [unrolled: 1-line block ×3, first 2 shown]
	ds_read_b128 v[165:168], v173 offset:1440
	s_clause 0x4
	buffer_load_dword v201, off, s[0:3], 0 offset:716
	buffer_load_dword v202, off, s[0:3], 0 offset:728
	;; [unrolled: 1-line block ×5, first 2 shown]
	ds_read_b128 v[169:172], v173 offset:1456
	s_clause 0x2
	buffer_load_dword v203, off, s[0:3], 0 offset:732
	buffer_load_dword v208, off, s[0:3], 0 offset:708
	;; [unrolled: 1-line block ×3, first 2 shown]
	s_waitcnt vmcnt(62) lgkmcnt(2)
	v_mul_f64 v[198:199], v[163:164], v[131:132]
	v_mul_f64 v[131:132], v[161:162], v[131:132]
	s_waitcnt lgkmcnt(1)
	v_mul_f64 v[205:206], v[167:168], v[5:6]
	s_waitcnt vmcnt(59) lgkmcnt(0)
	v_mul_f64 v[209:210], v[171:172], v[3:4]
	v_fma_f64 v[161:162], v[161:162], v[7:8], -v[198:199]
	v_mul_f64 v[198:199], v[165:166], v[5:6]
	v_fma_f64 v[131:132], v[163:164], v[7:8], v[131:132]
	s_waitcnt vmcnt(57)
	v_fma_f64 v[165:166], v[165:166], v[1:2], -v[205:206]
	ds_read_b128 v[5:8], v173 offset:1472
	v_mul_f64 v[163:164], v[169:170], v[3:4]
	s_waitcnt vmcnt(51)
	v_fma_f64 v[169:170], v[169:170], v[147:148], -v[209:210]
	v_add_f64 v[161:162], v[161:162], 0
	v_fma_f64 v[167:168], v[167:168], v[1:2], v[198:199]
	v_add_f64 v[131:132], v[131:132], 0
	s_clause 0x4
	buffer_load_dword v199, off, s[0:3], 0 offset:748
	buffer_load_dword v211, off, s[0:3], 0 offset:760
	;; [unrolled: 1-line block ×5, first 2 shown]
	s_waitcnt lgkmcnt(0)
	v_mul_f64 v[214:215], v[5:6], v[135:136]
	v_mul_f64 v[135:136], v[7:8], v[135:136]
	ds_read_b128 v[1:4], v173 offset:1488
	v_fma_f64 v[147:148], v[171:172], v[147:148], v[163:164]
	v_add_f64 v[165:166], v[161:162], v[165:166]
	v_add_f64 v[131:132], v[131:132], v[167:168]
	s_clause 0x2
	buffer_load_dword v212, off, s[0:3], 0 offset:764
	buffer_load_dword v168, off, s[0:3], 0 offset:740
	;; [unrolled: 1-line block ×3, first 2 shown]
	s_waitcnt vmcnt(58) lgkmcnt(0)
	v_mul_f64 v[171:172], v[1:2], v[139:140]
	v_mul_f64 v[139:140], v[3:4], v[139:140]
	s_waitcnt vmcnt(56)
	v_fma_f64 v[135:136], v[5:6], v[141:142], -v[135:136]
	ds_read_b128 v[161:164], v173 offset:1504
	v_fma_f64 v[141:142], v[7:8], v[141:142], v[214:215]
	v_add_f64 v[165:166], v[165:166], v[169:170]
	v_add_f64 v[131:132], v[131:132], v[147:148]
	s_clause 0x4
	buffer_load_dword v148, off, s[0:3], 0 offset:780
	buffer_load_dword v169, off, s[0:3], 0 offset:792
	;; [unrolled: 1-line block ×5, first 2 shown]
	ds_read_b128 v[5:8], v173 offset:1520
	s_waitcnt vmcnt(57) lgkmcnt(1)
	v_mul_f64 v[215:216], v[161:162], v[143:144]
	v_mul_f64 v[143:144], v[163:164], v[143:144]
	s_waitcnt vmcnt(56)
	v_fma_f64 v[139:140], v[1:2], v[133:134], -v[139:140]
	v_fma_f64 v[133:134], v[3:4], v[133:134], v[171:172]
	v_add_f64 v[135:136], v[165:166], v[135:136]
	v_add_f64 v[131:132], v[131:132], v[141:142]
	s_clause 0x2
	buffer_load_dword v170, off, s[0:3], 0 offset:796
	buffer_load_dword v142, off, s[0:3], 0 offset:772
	;; [unrolled: 1-line block ×3, first 2 shown]
	s_waitcnt vmcnt(58) lgkmcnt(0)
	v_mul_f64 v[165:166], v[5:6], v[149:150]
	v_mul_f64 v[149:150], v[7:8], v[149:150]
	s_waitcnt vmcnt(56)
	v_fma_f64 v[143:144], v[161:162], v[151:152], -v[143:144]
	ds_read_b128 v[1:4], v173 offset:1536
	v_add_f64 v[135:136], v[135:136], v[139:140]
	v_fma_f64 v[139:140], v[163:164], v[151:152], v[215:216]
	v_add_f64 v[151:152], v[131:132], v[133:134]
	s_clause 0x4
	buffer_load_dword v162, off, s[0:3], 0 offset:812
	buffer_load_dword v163, off, s[0:3], 0 offset:824
	;; [unrolled: 1-line block ×5, first 2 shown]
	ds_read_b128 v[131:134], v173 offset:1552
	s_waitcnt vmcnt(57) lgkmcnt(1)
	v_mul_f64 v[215:216], v[1:2], v[153:154]
	v_mul_f64 v[153:154], v[3:4], v[153:154]
	s_waitcnt vmcnt(56)
	v_fma_f64 v[149:150], v[5:6], v[137:138], -v[149:150]
	v_fma_f64 v[137:138], v[7:8], v[137:138], v[165:166]
	v_add_f64 v[135:136], v[135:136], v[143:144]
	s_clause 0x2
	buffer_load_dword v164, off, s[0:3], 0 offset:828
	buffer_load_dword v144, off, s[0:3], 0 offset:804
	;; [unrolled: 1-line block ×3, first 2 shown]
	v_add_f64 v[139:140], v[151:152], v[139:140]
	s_waitcnt vmcnt(58) lgkmcnt(0)
	v_mul_f64 v[151:152], v[131:132], v[157:158]
	v_mul_f64 v[157:158], v[133:134], v[157:158]
	ds_read_b128 v[5:8], v173 offset:1568
	s_waitcnt vmcnt(56)
	v_fma_f64 v[153:154], v[1:2], v[159:160], -v[153:154]
	v_add_f64 v[135:136], v[135:136], v[149:150]
	v_fma_f64 v[149:150], v[3:4], v[159:160], v[215:216]
	v_add_f64 v[137:138], v[139:140], v[137:138]
	s_clause 0x4
	buffer_load_dword v140, off, s[0:3], 0 offset:844
	buffer_load_dword v159, off, s[0:3], 0 offset:856
	buffer_load_dword v165, off, s[0:3], 0 offset:848
	buffer_load_dword v139, off, s[0:3], 0 offset:840
	buffer_load_dword v172, off, s[0:3], 0 offset:820
	s_waitcnt vmcnt(57) lgkmcnt(0)
	v_mul_f64 v[215:216], v[5:6], v[174:175]
	v_mul_f64 v[174:175], v[7:8], v[174:175]
	s_waitcnt vmcnt(56)
	v_fma_f64 v[157:158], v[131:132], v[145:146], -v[157:158]
	ds_read_b128 v[1:4], v173 offset:1584
	v_fma_f64 v[145:146], v[133:134], v[145:146], v[151:152]
	v_add_f64 v[135:136], v[135:136], v[153:154]
	v_add_f64 v[137:138], v[137:138], v[149:150]
	s_clause 0x2
	buffer_load_dword v160, off, s[0:3], 0 offset:860
	buffer_load_dword v150, off, s[0:3], 0 offset:836
	;; [unrolled: 1-line block ×3, first 2 shown]
	ds_read_b128 v[131:134], v173 offset:1600
	s_waitcnt vmcnt(58) lgkmcnt(1)
	v_mul_f64 v[153:154], v[3:4], v[176:177]
	s_waitcnt vmcnt(56)
	v_fma_f64 v[174:175], v[5:6], v[178:179], -v[174:175]
	v_mul_f64 v[151:152], v[1:2], v[176:177]
	v_add_f64 v[135:136], v[135:136], v[157:158]
	v_fma_f64 v[157:158], v[7:8], v[178:179], v[215:216]
	v_add_f64 v[137:138], v[137:138], v[145:146]
	s_clause 0x4
	buffer_load_dword v146, off, s[0:3], 0 offset:876
	buffer_load_dword v176, off, s[0:3], 0 offset:888
	;; [unrolled: 1-line block ×5, first 2 shown]
	s_waitcnt vmcnt(57) lgkmcnt(0)
	v_mul_f64 v[215:216], v[131:132], v[180:181]
	v_mul_f64 v[179:180], v[133:134], v[180:181]
	s_waitcnt vmcnt(56)
	v_fma_f64 v[153:154], v[1:2], v[155:156], -v[153:154]
	ds_read_b128 v[5:8], v173 offset:1616
	v_fma_f64 v[151:152], v[3:4], v[155:156], v[151:152]
	s_clause 0x2
	buffer_load_dword v177, off, s[0:3], 0 offset:892
	buffer_load_dword v156, off, s[0:3], 0 offset:868
	buffer_load_dword v155, off, s[0:3], 0 offset:864
	ds_read_b128 v[1:4], v173 offset:1632
	v_add_f64 v[135:136], v[135:136], v[174:175]
	v_add_f64 v[137:138], v[137:138], v[157:158]
	s_waitcnt vmcnt(58) lgkmcnt(1)
	v_mul_f64 v[174:175], v[7:8], v[182:183]
	s_waitcnt vmcnt(56)
	v_fma_f64 v[180:181], v[131:132], v[186:187], -v[179:180]
	v_mul_f64 v[157:158], v[5:6], v[182:183]
	v_add_f64 v[135:136], v[135:136], v[153:154]
	v_fma_f64 v[153:154], v[133:134], v[186:187], v[215:216]
	v_add_f64 v[137:138], v[137:138], v[151:152]
	s_clause 0x4
	buffer_load_dword v152, off, s[0:3], 0 offset:908
	buffer_load_dword v182, off, s[0:3], 0 offset:920
	;; [unrolled: 1-line block ×5, first 2 shown]
	s_waitcnt vmcnt(57) lgkmcnt(0)
	v_mul_f64 v[215:216], v[1:2], v[188:189]
	v_mul_f64 v[187:188], v[3:4], v[188:189]
	s_waitcnt vmcnt(56)
	v_fma_f64 v[174:175], v[5:6], v[184:185], -v[174:175]
	ds_read_b128 v[131:134], v173 offset:1648
	v_fma_f64 v[157:158], v[7:8], v[184:185], v[157:158]
	v_add_f64 v[135:136], v[135:136], v[180:181]
	v_add_f64 v[137:138], v[137:138], v[153:154]
	s_clause 0x2
	buffer_load_dword v183, off, s[0:3], 0 offset:924
	buffer_load_dword v154, off, s[0:3], 0 offset:900
	buffer_load_dword v153, off, s[0:3], 0 offset:896
	ds_read_b128 v[5:8], v173 offset:1664
	s_waitcnt vmcnt(58) lgkmcnt(1)
	v_mul_f64 v[184:185], v[133:134], v[192:193]
	s_waitcnt vmcnt(56)
	v_fma_f64 v[188:189], v[1:2], v[196:197], -v[187:188]
	v_mul_f64 v[180:181], v[131:132], v[192:193]
	v_add_f64 v[135:136], v[135:136], v[174:175]
	v_fma_f64 v[174:175], v[3:4], v[196:197], v[215:216]
	v_add_f64 v[137:138], v[137:138], v[157:158]
	s_clause 0x4
	buffer_load_dword v158, off, s[0:3], 0 offset:940
	buffer_load_dword v192, off, s[0:3], 0 offset:952
	;; [unrolled: 1-line block ×5, first 2 shown]
	s_waitcnt vmcnt(57) lgkmcnt(0)
	v_mul_f64 v[215:216], v[5:6], v[200:201]
	v_mul_f64 v[200:201], v[7:8], v[200:201]
	s_waitcnt vmcnt(56)
	v_fma_f64 v[184:185], v[131:132], v[194:195], -v[184:185]
	ds_read_b128 v[1:4], v173 offset:1680
	v_fma_f64 v[180:181], v[133:134], v[194:195], v[180:181]
	v_add_f64 v[135:136], v[135:136], v[188:189]
	v_add_f64 v[137:138], v[137:138], v[174:175]
	s_clause 0x2
	buffer_load_dword v193, off, s[0:3], 0 offset:956
	buffer_load_dword v175, off, s[0:3], 0 offset:932
	;; [unrolled: 1-line block ×3, first 2 shown]
	ds_read_b128 v[131:134], v173 offset:1696
	s_waitcnt vmcnt(58) lgkmcnt(1)
	v_mul_f64 v[194:195], v[3:4], v[202:203]
	s_waitcnt vmcnt(56)
	v_fma_f64 v[200:201], v[5:6], v[207:208], -v[200:201]
	v_mul_f64 v[188:189], v[1:2], v[202:203]
	v_add_f64 v[135:136], v[135:136], v[184:185]
	v_fma_f64 v[184:185], v[7:8], v[207:208], v[215:216]
	v_add_f64 v[137:138], v[137:138], v[180:181]
	s_clause 0x4
	buffer_load_dword v181, off, s[0:3], 0 offset:972
	buffer_load_dword v202, off, s[0:3], 0 offset:984
	;; [unrolled: 1-line block ×5, first 2 shown]
	ds_read_b128 v[5:8], v173 offset:1712
	s_waitcnt vmcnt(57) lgkmcnt(1)
	v_mul_f64 v[207:208], v[131:132], v[198:199]
	v_mul_f64 v[198:199], v[133:134], v[198:199]
	s_waitcnt vmcnt(56)
	v_fma_f64 v[194:195], v[1:2], v[204:205], -v[194:195]
	v_fma_f64 v[188:189], v[3:4], v[204:205], v[188:189]
	v_add_f64 v[135:136], v[135:136], v[200:201]
	v_add_f64 v[137:138], v[137:138], v[184:185]
	s_clause 0x2
	buffer_load_dword v203, off, s[0:3], 0 offset:988
	buffer_load_dword v185, off, s[0:3], 0 offset:964
	;; [unrolled: 1-line block ×3, first 2 shown]
	ds_read_b128 v[1:4], v173 offset:1728
	s_waitcnt vmcnt(58) lgkmcnt(1)
	v_mul_f64 v[204:205], v[7:8], v[211:212]
	v_mul_f64 v[200:201], v[5:6], v[211:212]
	s_waitcnt vmcnt(56)
	v_fma_f64 v[198:199], v[131:132], v[167:168], -v[198:199]
	v_fma_f64 v[167:168], v[133:134], v[167:168], v[207:208]
	buffer_load_dword v207, off, s[0:3], 0 offset:980
	ds_read_b128 v[131:134], v173 offset:1744
	v_add_f64 v[135:136], v[135:136], v[194:195]
	v_add_f64 v[137:138], v[137:138], v[188:189]
	s_waitcnt vmcnt(53) lgkmcnt(1)
	v_mul_f64 v[188:189], v[1:2], v[147:148]
	v_mul_f64 v[147:148], v[3:4], v[147:148]
	s_waitcnt vmcnt(52)
	v_fma_f64 v[194:195], v[5:6], v[213:214], -v[204:205]
	v_add_f64 v[135:136], v[135:136], v[198:199]
	v_fma_f64 v[198:199], v[7:8], v[213:214], v[200:201]
	v_add_f64 v[137:138], v[137:138], v[167:168]
	ds_read_b128 v[5:8], v173 offset:1760
	s_waitcnt vmcnt(51) lgkmcnt(1)
	v_mul_f64 v[167:168], v[131:132], v[169:170]
	v_mul_f64 v[169:170], v[133:134], v[169:170]
	s_waitcnt vmcnt(49)
	v_fma_f64 v[147:148], v[1:2], v[141:142], -v[147:148]
	v_fma_f64 v[141:142], v[3:4], v[141:142], v[188:189]
	v_add_f64 v[135:136], v[135:136], v[194:195]
	s_clause 0x3
	buffer_load_dword v188, off, s[0:3], 0 offset:448
	buffer_load_dword v189, off, s[0:3], 0 offset:452
	;; [unrolled: 1-line block ×4, first 2 shown]
	v_add_f64 v[137:138], v[137:138], v[198:199]
	ds_read_b128 v[1:4], v173 offset:1776
	s_waitcnt vmcnt(49) lgkmcnt(1)
	v_mul_f64 v[198:199], v[5:6], v[161:162]
	v_mul_f64 v[161:162], v[7:8], v[161:162]
	s_waitcnt vmcnt(48)
	v_fma_f64 v[169:170], v[131:132], v[209:210], -v[169:170]
	v_add_f64 v[135:136], v[135:136], v[147:148]
	v_fma_f64 v[147:148], v[133:134], v[209:210], v[167:168]
	v_add_f64 v[137:138], v[137:138], v[141:142]
	ds_read_b128 v[131:134], v173 offset:1792
	s_waitcnt vmcnt(47) lgkmcnt(1)
	v_mul_f64 v[141:142], v[1:2], v[163:164]
	v_mul_f64 v[163:164], v[3:4], v[163:164]
	s_waitcnt vmcnt(45)
	v_fma_f64 v[161:162], v[5:6], v[143:144], -v[161:162]
	v_fma_f64 v[143:144], v[7:8], v[143:144], v[198:199]
	ds_read_b128 v[5:8], v173 offset:1808
	v_add_f64 v[135:136], v[135:136], v[169:170]
	v_add_f64 v[137:138], v[137:138], v[147:148]
	s_waitcnt vmcnt(41) lgkmcnt(1)
	v_mul_f64 v[147:148], v[131:132], v[139:140]
	v_mul_f64 v[139:140], v[133:134], v[139:140]
	s_waitcnt vmcnt(40)
	v_fma_f64 v[163:164], v[1:2], v[171:172], -v[163:164]
	v_fma_f64 v[141:142], v[3:4], v[171:172], v[141:142]
	ds_read_b128 v[1:4], v173 offset:1824
	v_add_f64 v[135:136], v[135:136], v[161:162]
	v_add_f64 v[137:138], v[137:138], v[143:144]
	;; [unrolled: 9-line block ×3, first 2 shown]
	s_waitcnt vmcnt(33) lgkmcnt(1)
	v_mul_f64 v[141:142], v[1:2], v[145:146]
	v_mul_f64 v[145:146], v[3:4], v[145:146]
	s_waitcnt vmcnt(32)
	v_fma_f64 v[149:150], v[5:6], v[165:166], -v[159:160]
	v_add_f64 v[135:136], v[135:136], v[139:140]
	v_fma_f64 v[139:140], v[7:8], v[165:166], v[143:144]
	v_add_f64 v[137:138], v[137:138], v[147:148]
	ds_read_b128 v[5:8], v173 offset:1856
	s_waitcnt vmcnt(31) lgkmcnt(1)
	v_mul_f64 v[147:148], v[133:134], v[176:177]
	v_mul_f64 v[143:144], v[131:132], v[176:177]
	s_waitcnt vmcnt(29)
	v_fma_f64 v[141:142], v[3:4], v[155:156], v[141:142]
	v_fma_f64 v[145:146], v[1:2], v[155:156], -v[145:146]
	ds_read_b128 v[1:4], v173 offset:1872
	v_add_f64 v[135:136], v[135:136], v[149:150]
	v_add_f64 v[137:138], v[137:138], v[139:140]
	s_waitcnt vmcnt(25) lgkmcnt(1)
	v_mul_f64 v[149:150], v[7:8], v[151:152]
	s_waitcnt vmcnt(24)
	v_fma_f64 v[147:148], v[131:132], v[178:179], -v[147:148]
	v_mul_f64 v[139:140], v[5:6], v[151:152]
	v_fma_f64 v[143:144], v[133:134], v[178:179], v[143:144]
	ds_read_b128 v[131:134], v173 offset:1888
	v_add_f64 v[135:136], v[135:136], v[145:146]
	v_add_f64 v[137:138], v[137:138], v[141:142]
	s_waitcnt vmcnt(23) lgkmcnt(1)
	v_mul_f64 v[145:146], v[3:4], v[182:183]
	v_mul_f64 v[141:142], v[1:2], v[182:183]
	s_waitcnt vmcnt(21)
	v_fma_f64 v[149:150], v[5:6], v[153:154], -v[149:150]
	v_fma_f64 v[139:140], v[7:8], v[153:154], v[139:140]
	ds_read_b128 v[5:8], v173 offset:1904
	v_add_f64 v[135:136], v[135:136], v[147:148]
	v_add_f64 v[137:138], v[137:138], v[143:144]
	s_waitcnt vmcnt(17) lgkmcnt(1)
	v_mul_f64 v[147:148], v[133:134], v[157:158]
	s_waitcnt vmcnt(16)
	v_fma_f64 v[145:146], v[1:2], v[186:187], -v[145:146]
	v_mul_f64 v[143:144], v[131:132], v[157:158]
	v_fma_f64 v[141:142], v[3:4], v[186:187], v[141:142]
	ds_read_b128 v[1:4], v173 offset:1920
	v_add_f64 v[135:136], v[135:136], v[149:150]
	v_add_f64 v[137:138], v[137:138], v[139:140]
	s_waitcnt vmcnt(15) lgkmcnt(1)
	v_mul_f64 v[149:150], v[7:8], v[192:193]
	v_mul_f64 v[139:140], v[5:6], v[192:193]
	s_waitcnt vmcnt(13)
	v_fma_f64 v[147:148], v[131:132], v[174:175], -v[147:148]
	v_fma_f64 v[143:144], v[133:134], v[174:175], v[143:144]
	ds_read_b128 v[131:134], v173 offset:1936
	v_add_f64 v[135:136], v[135:136], v[145:146]
	v_add_f64 v[137:138], v[137:138], v[141:142]
	s_waitcnt vmcnt(9) lgkmcnt(1)
	v_mul_f64 v[145:146], v[3:4], v[180:181]
	s_waitcnt vmcnt(8)
	v_fma_f64 v[5:6], v[5:6], v[196:197], -v[149:150]
	v_mul_f64 v[141:142], v[1:2], v[180:181]
	v_fma_f64 v[7:8], v[7:8], v[196:197], v[139:140]
	v_add_f64 v[135:136], v[135:136], v[147:148]
	v_add_f64 v[137:138], v[137:138], v[143:144]
	s_waitcnt vmcnt(7) lgkmcnt(0)
	v_mul_f64 v[143:144], v[133:134], v[202:203]
	v_mul_f64 v[139:140], v[131:132], v[202:203]
	s_waitcnt vmcnt(5)
	v_fma_f64 v[1:2], v[1:2], v[184:185], -v[145:146]
	v_fma_f64 v[3:4], v[3:4], v[184:185], v[141:142]
	v_add_f64 v[5:6], v[135:136], v[5:6]
	v_add_f64 v[7:8], v[137:138], v[7:8]
	s_waitcnt vmcnt(4)
	v_fma_f64 v[131:132], v[131:132], v[206:207], -v[143:144]
	v_add_f64 v[1:2], v[5:6], v[1:2]
	v_fma_f64 v[5:6], v[133:134], v[206:207], v[139:140]
	v_add_f64 v[3:4], v[7:8], v[3:4]
	v_add_f64 v[1:2], v[1:2], v[131:132]
	;; [unrolled: 1-line block ×3, first 2 shown]
	s_waitcnt vmcnt(2)
	v_add_f64 v[1:2], v[188:189], -v[1:2]
	s_waitcnt vmcnt(0)
	v_add_f64 v[3:4], v[194:195], -v[3:4]
	buffer_store_dword v2, off, s[0:3], 0 offset:452
	buffer_store_dword v1, off, s[0:3], 0 offset:448
	;; [unrolled: 1-line block ×4, first 2 shown]
	v_cmpx_lt_u32_e32 26, v0
	s_cbranch_execz .LBB124_339
; %bb.338:
	v_mov_b32_e32 v4, s49
	s_clause 0x3
	buffer_load_dword v1, v4, s[0:3], 0 offen
	buffer_load_dword v2, v4, s[0:3], 0 offen offset:4
	buffer_load_dword v3, v4, s[0:3], 0 offen offset:8
	;; [unrolled: 1-line block ×3, first 2 shown]
	buffer_store_dword v173, off, s[0:3], 0 offset:432
	buffer_store_dword v173, off, s[0:3], 0 offset:436
	;; [unrolled: 1-line block ×4, first 2 shown]
	s_waitcnt vmcnt(0)
	ds_write_b128 v191, v[1:4]
.LBB124_339:
	s_or_b32 exec_lo, exec_lo, s4
	s_waitcnt lgkmcnt(0)
	s_waitcnt_vscnt null, 0x0
	s_barrier
	buffer_gl0_inv
	s_clause 0x37
	buffer_load_dword v131, off, s[0:3], 0 offset:456
	buffer_load_dword v132, off, s[0:3], 0 offset:460
	;; [unrolled: 1-line block ×56, first 2 shown]
	ds_read_b128 v[174:177], v173 offset:1408
	s_clause 0x2
	buffer_load_dword v195, off, s[0:3], 0 offset:684
	buffer_load_dword v197, off, s[0:3], 0 offset:660
	buffer_load_dword v196, off, s[0:3], 0 offset:656
	ds_read_b128 v[178:181], v173 offset:1424
	s_clause 0x4
	buffer_load_dword v201, off, s[0:3], 0 offset:700
	buffer_load_dword v202, off, s[0:3], 0 offset:712
	;; [unrolled: 1-line block ×5, first 2 shown]
	ds_read_b128 v[182:185], v173 offset:1440
	s_clause 0x2
	buffer_load_dword v203, off, s[0:3], 0 offset:716
	buffer_load_dword v208, off, s[0:3], 0 offset:692
	buffer_load_dword v207, off, s[0:3], 0 offset:688
	s_mov_b32 s4, exec_lo
	s_waitcnt vmcnt(62) lgkmcnt(2)
	v_mul_f64 v[198:199], v[176:177], v[131:132]
	v_mul_f64 v[131:132], v[174:175], v[131:132]
	s_waitcnt lgkmcnt(1)
	v_mul_f64 v[205:206], v[180:181], v[5:6]
	s_waitcnt vmcnt(59) lgkmcnt(0)
	v_mul_f64 v[209:210], v[184:185], v[3:4]
	v_fma_f64 v[174:175], v[174:175], v[7:8], -v[198:199]
	v_mul_f64 v[198:199], v[178:179], v[5:6]
	v_fma_f64 v[131:132], v[176:177], v[7:8], v[131:132]
	s_waitcnt vmcnt(57)
	v_fma_f64 v[178:179], v[178:179], v[1:2], -v[205:206]
	ds_read_b128 v[5:8], v173 offset:1456
	v_mul_f64 v[176:177], v[182:183], v[3:4]
	s_waitcnt vmcnt(51)
	v_fma_f64 v[182:183], v[182:183], v[147:148], -v[209:210]
	v_add_f64 v[174:175], v[174:175], 0
	v_fma_f64 v[180:181], v[180:181], v[1:2], v[198:199]
	v_add_f64 v[131:132], v[131:132], 0
	s_clause 0x4
	buffer_load_dword v199, off, s[0:3], 0 offset:732
	buffer_load_dword v211, off, s[0:3], 0 offset:744
	buffer_load_dword v213, off, s[0:3], 0 offset:736
	buffer_load_dword v198, off, s[0:3], 0 offset:728
	buffer_load_dword v205, off, s[0:3], 0 offset:708
	s_waitcnt lgkmcnt(0)
	v_mul_f64 v[214:215], v[5:6], v[135:136]
	v_mul_f64 v[135:136], v[7:8], v[135:136]
	ds_read_b128 v[1:4], v173 offset:1472
	v_fma_f64 v[147:148], v[184:185], v[147:148], v[176:177]
	v_add_f64 v[178:179], v[174:175], v[178:179]
	v_add_f64 v[131:132], v[131:132], v[180:181]
	s_clause 0x2
	buffer_load_dword v212, off, s[0:3], 0 offset:748
	buffer_load_dword v181, off, s[0:3], 0 offset:724
	;; [unrolled: 1-line block ×3, first 2 shown]
	s_waitcnt vmcnt(58) lgkmcnt(0)
	v_mul_f64 v[184:185], v[1:2], v[139:140]
	v_mul_f64 v[139:140], v[3:4], v[139:140]
	s_waitcnt vmcnt(56)
	v_fma_f64 v[135:136], v[5:6], v[141:142], -v[135:136]
	ds_read_b128 v[174:177], v173 offset:1488
	v_fma_f64 v[141:142], v[7:8], v[141:142], v[214:215]
	v_add_f64 v[178:179], v[178:179], v[182:183]
	v_add_f64 v[131:132], v[131:132], v[147:148]
	s_clause 0x4
	buffer_load_dword v148, off, s[0:3], 0 offset:764
	buffer_load_dword v182, off, s[0:3], 0 offset:776
	buffer_load_dword v209, off, s[0:3], 0 offset:768
	buffer_load_dword v147, off, s[0:3], 0 offset:760
	buffer_load_dword v214, off, s[0:3], 0 offset:740
	ds_read_b128 v[5:8], v173 offset:1504
	s_waitcnt vmcnt(57) lgkmcnt(1)
	v_mul_f64 v[215:216], v[174:175], v[143:144]
	v_mul_f64 v[143:144], v[176:177], v[143:144]
	s_waitcnt vmcnt(56)
	v_fma_f64 v[139:140], v[1:2], v[133:134], -v[139:140]
	v_fma_f64 v[133:134], v[3:4], v[133:134], v[184:185]
	v_add_f64 v[135:136], v[178:179], v[135:136]
	v_add_f64 v[131:132], v[131:132], v[141:142]
	s_clause 0x2
	buffer_load_dword v183, off, s[0:3], 0 offset:780
	buffer_load_dword v142, off, s[0:3], 0 offset:756
	;; [unrolled: 1-line block ×3, first 2 shown]
	s_waitcnt vmcnt(58) lgkmcnt(0)
	v_mul_f64 v[178:179], v[5:6], v[149:150]
	v_mul_f64 v[149:150], v[7:8], v[149:150]
	s_waitcnt vmcnt(56)
	v_fma_f64 v[143:144], v[174:175], v[151:152], -v[143:144]
	ds_read_b128 v[1:4], v173 offset:1520
	v_add_f64 v[135:136], v[135:136], v[139:140]
	v_fma_f64 v[139:140], v[176:177], v[151:152], v[215:216]
	v_add_f64 v[151:152], v[131:132], v[133:134]
	s_clause 0x4
	buffer_load_dword v175, off, s[0:3], 0 offset:796
	buffer_load_dword v176, off, s[0:3], 0 offset:808
	;; [unrolled: 1-line block ×5, first 2 shown]
	ds_read_b128 v[131:134], v173 offset:1536
	s_waitcnt vmcnt(57) lgkmcnt(1)
	v_mul_f64 v[215:216], v[1:2], v[153:154]
	v_mul_f64 v[153:154], v[3:4], v[153:154]
	s_waitcnt vmcnt(56)
	v_fma_f64 v[149:150], v[5:6], v[137:138], -v[149:150]
	v_fma_f64 v[137:138], v[7:8], v[137:138], v[178:179]
	v_add_f64 v[135:136], v[135:136], v[143:144]
	s_clause 0x2
	buffer_load_dword v177, off, s[0:3], 0 offset:812
	buffer_load_dword v144, off, s[0:3], 0 offset:788
	;; [unrolled: 1-line block ×3, first 2 shown]
	v_add_f64 v[139:140], v[151:152], v[139:140]
	s_waitcnt vmcnt(58) lgkmcnt(0)
	v_mul_f64 v[151:152], v[131:132], v[157:158]
	v_mul_f64 v[157:158], v[133:134], v[157:158]
	ds_read_b128 v[5:8], v173 offset:1552
	s_waitcnt vmcnt(56)
	v_fma_f64 v[153:154], v[1:2], v[159:160], -v[153:154]
	v_add_f64 v[135:136], v[135:136], v[149:150]
	v_fma_f64 v[149:150], v[3:4], v[159:160], v[215:216]
	v_add_f64 v[137:138], v[139:140], v[137:138]
	s_clause 0x4
	buffer_load_dword v140, off, s[0:3], 0 offset:828
	buffer_load_dword v159, off, s[0:3], 0 offset:840
	;; [unrolled: 1-line block ×5, first 2 shown]
	s_waitcnt vmcnt(57) lgkmcnt(0)
	v_mul_f64 v[215:216], v[5:6], v[161:162]
	v_mul_f64 v[161:162], v[7:8], v[161:162]
	s_waitcnt vmcnt(56)
	v_fma_f64 v[157:158], v[131:132], v[145:146], -v[157:158]
	ds_read_b128 v[1:4], v173 offset:1568
	v_fma_f64 v[145:146], v[133:134], v[145:146], v[151:152]
	v_add_f64 v[135:136], v[135:136], v[153:154]
	v_add_f64 v[137:138], v[137:138], v[149:150]
	s_clause 0x2
	buffer_load_dword v160, off, s[0:3], 0 offset:844
	buffer_load_dword v150, off, s[0:3], 0 offset:820
	;; [unrolled: 1-line block ×3, first 2 shown]
	ds_read_b128 v[131:134], v173 offset:1584
	s_waitcnt vmcnt(58) lgkmcnt(1)
	v_mul_f64 v[153:154], v[3:4], v[165:166]
	s_waitcnt vmcnt(56)
	v_fma_f64 v[161:162], v[5:6], v[167:168], -v[161:162]
	v_mul_f64 v[151:152], v[1:2], v[165:166]
	v_add_f64 v[135:136], v[135:136], v[157:158]
	v_fma_f64 v[157:158], v[7:8], v[167:168], v[215:216]
	v_add_f64 v[137:138], v[137:138], v[145:146]
	s_clause 0x4
	buffer_load_dword v146, off, s[0:3], 0 offset:860
	buffer_load_dword v165, off, s[0:3], 0 offset:872
	;; [unrolled: 1-line block ×5, first 2 shown]
	s_waitcnt vmcnt(57) lgkmcnt(0)
	v_mul_f64 v[215:216], v[131:132], v[169:170]
	v_mul_f64 v[168:169], v[133:134], v[169:170]
	s_waitcnt vmcnt(56)
	v_fma_f64 v[153:154], v[1:2], v[155:156], -v[153:154]
	ds_read_b128 v[5:8], v173 offset:1600
	v_fma_f64 v[151:152], v[3:4], v[155:156], v[151:152]
	s_clause 0x2
	buffer_load_dword v166, off, s[0:3], 0 offset:876
	buffer_load_dword v156, off, s[0:3], 0 offset:852
	;; [unrolled: 1-line block ×3, first 2 shown]
	ds_read_b128 v[1:4], v173 offset:1616
	v_add_f64 v[135:136], v[135:136], v[161:162]
	v_add_f64 v[137:138], v[137:138], v[157:158]
	s_waitcnt vmcnt(58) lgkmcnt(1)
	v_mul_f64 v[161:162], v[7:8], v[186:187]
	s_waitcnt vmcnt(56)
	v_fma_f64 v[169:170], v[131:132], v[188:189], -v[168:169]
	v_mul_f64 v[157:158], v[5:6], v[186:187]
	v_add_f64 v[135:136], v[135:136], v[153:154]
	v_fma_f64 v[153:154], v[133:134], v[188:189], v[215:216]
	v_add_f64 v[137:138], v[137:138], v[151:152]
	s_clause 0x4
	buffer_load_dword v152, off, s[0:3], 0 offset:892
	buffer_load_dword v186, off, s[0:3], 0 offset:904
	;; [unrolled: 1-line block ×5, first 2 shown]
	s_waitcnt vmcnt(57) lgkmcnt(0)
	v_mul_f64 v[189:190], v[1:2], v[192:193]
	v_mul_f64 v[192:193], v[3:4], v[192:193]
	s_waitcnt vmcnt(56)
	v_fma_f64 v[161:162], v[5:6], v[163:164], -v[161:162]
	ds_read_b128 v[131:134], v173 offset:1632
	v_fma_f64 v[157:158], v[7:8], v[163:164], v[157:158]
	v_add_f64 v[135:136], v[135:136], v[169:170]
	v_add_f64 v[137:138], v[137:138], v[153:154]
	s_clause 0x2
	buffer_load_dword v187, off, s[0:3], 0 offset:908
	buffer_load_dword v154, off, s[0:3], 0 offset:884
	;; [unrolled: 1-line block ×3, first 2 shown]
	ds_read_b128 v[5:8], v173 offset:1648
	s_waitcnt vmcnt(58) lgkmcnt(1)
	v_mul_f64 v[169:170], v[133:134], v[194:195]
	s_waitcnt vmcnt(56)
	v_fma_f64 v[192:193], v[1:2], v[196:197], -v[192:193]
	v_mul_f64 v[163:164], v[131:132], v[194:195]
	v_add_f64 v[135:136], v[135:136], v[161:162]
	v_fma_f64 v[161:162], v[3:4], v[196:197], v[189:190]
	v_add_f64 v[137:138], v[137:138], v[157:158]
	s_clause 0x4
	buffer_load_dword v158, off, s[0:3], 0 offset:924
	buffer_load_dword v194, off, s[0:3], 0 offset:936
	;; [unrolled: 1-line block ×5, first 2 shown]
	s_waitcnt vmcnt(57) lgkmcnt(0)
	v_mul_f64 v[215:216], v[5:6], v[200:201]
	v_mul_f64 v[200:201], v[7:8], v[200:201]
	s_waitcnt vmcnt(56)
	v_fma_f64 v[169:170], v[131:132], v[171:172], -v[169:170]
	ds_read_b128 v[1:4], v173 offset:1664
	v_fma_f64 v[163:164], v[133:134], v[171:172], v[163:164]
	v_add_f64 v[135:136], v[135:136], v[192:193]
	v_add_f64 v[137:138], v[137:138], v[161:162]
	s_clause 0x2
	buffer_load_dword v195, off, s[0:3], 0 offset:940
	buffer_load_dword v162, off, s[0:3], 0 offset:916
	buffer_load_dword v161, off, s[0:3], 0 offset:912
	ds_read_b128 v[131:134], v173 offset:1680
	s_waitcnt vmcnt(58) lgkmcnt(1)
	v_mul_f64 v[192:193], v[3:4], v[202:203]
	s_waitcnt vmcnt(56)
	v_fma_f64 v[200:201], v[5:6], v[207:208], -v[200:201]
	v_mul_f64 v[171:172], v[1:2], v[202:203]
	v_add_f64 v[135:136], v[135:136], v[169:170]
	v_fma_f64 v[169:170], v[7:8], v[207:208], v[215:216]
	v_add_f64 v[137:138], v[137:138], v[163:164]
	s_clause 0x4
	buffer_load_dword v164, off, s[0:3], 0 offset:956
	buffer_load_dword v202, off, s[0:3], 0 offset:968
	;; [unrolled: 1-line block ×5, first 2 shown]
	ds_read_b128 v[5:8], v173 offset:1696
	s_waitcnt vmcnt(57) lgkmcnt(1)
	v_mul_f64 v[207:208], v[131:132], v[198:199]
	v_mul_f64 v[198:199], v[133:134], v[198:199]
	s_waitcnt vmcnt(56)
	v_fma_f64 v[192:193], v[1:2], v[204:205], -v[192:193]
	v_fma_f64 v[171:172], v[3:4], v[204:205], v[171:172]
	v_add_f64 v[135:136], v[135:136], v[200:201]
	v_add_f64 v[137:138], v[137:138], v[169:170]
	s_clause 0x2
	buffer_load_dword v203, off, s[0:3], 0 offset:972
	buffer_load_dword v170, off, s[0:3], 0 offset:948
	buffer_load_dword v169, off, s[0:3], 0 offset:944
	ds_read_b128 v[1:4], v173 offset:1712
	s_waitcnt vmcnt(58) lgkmcnt(1)
	v_mul_f64 v[204:205], v[7:8], v[211:212]
	v_mul_f64 v[200:201], v[5:6], v[211:212]
	s_waitcnt vmcnt(56)
	v_fma_f64 v[198:199], v[131:132], v[180:181], -v[198:199]
	v_fma_f64 v[180:181], v[133:134], v[180:181], v[207:208]
	v_add_f64 v[135:136], v[135:136], v[192:193]
	v_add_f64 v[137:138], v[137:138], v[171:172]
	s_clause 0x2
	buffer_load_dword v172, off, s[0:3], 0 offset:988
	buffer_load_dword v171, off, s[0:3], 0 offset:984
	;; [unrolled: 1-line block ×3, first 2 shown]
	ds_read_b128 v[131:134], v173 offset:1728
	s_waitcnt vmcnt(55) lgkmcnt(1)
	v_mul_f64 v[192:193], v[1:2], v[147:148]
	v_mul_f64 v[147:148], v[3:4], v[147:148]
	s_waitcnt vmcnt(54)
	v_fma_f64 v[204:205], v[5:6], v[213:214], -v[204:205]
	v_add_f64 v[135:136], v[135:136], v[198:199]
	v_fma_f64 v[198:199], v[7:8], v[213:214], v[200:201]
	v_add_f64 v[137:138], v[137:138], v[180:181]
	s_clause 0x1
	buffer_load_dword v181, off, s[0:3], 0 offset:980
	buffer_load_dword v180, off, s[0:3], 0 offset:976
	ds_read_b128 v[5:8], v173 offset:1744
	s_waitcnt vmcnt(55) lgkmcnt(1)
	v_mul_f64 v[200:201], v[131:132], v[182:183]
	v_mul_f64 v[182:183], v[133:134], v[182:183]
	s_waitcnt vmcnt(53)
	v_fma_f64 v[147:148], v[1:2], v[141:142], -v[147:148]
	v_fma_f64 v[141:142], v[3:4], v[141:142], v[192:193]
	ds_read_b128 v[1:4], v173 offset:1760
	v_add_f64 v[135:136], v[135:136], v[204:205]
	v_add_f64 v[137:138], v[137:138], v[198:199]
	s_waitcnt vmcnt(49) lgkmcnt(1)
	v_mul_f64 v[192:193], v[5:6], v[174:175]
	v_mul_f64 v[174:175], v[7:8], v[174:175]
	s_waitcnt vmcnt(48)
	v_fma_f64 v[182:183], v[131:132], v[209:210], -v[182:183]
	v_add_f64 v[135:136], v[135:136], v[147:148]
	v_fma_f64 v[147:148], v[133:134], v[209:210], v[200:201]
	v_add_f64 v[137:138], v[137:138], v[141:142]
	s_clause 0x3
	buffer_load_dword v141, off, s[0:3], 0 offset:432
	buffer_load_dword v142, off, s[0:3], 0 offset:436
	;; [unrolled: 1-line block ×4, first 2 shown]
	ds_read_b128 v[131:134], v173 offset:1776
	s_waitcnt vmcnt(51) lgkmcnt(1)
	v_mul_f64 v[200:201], v[1:2], v[176:177]
	v_mul_f64 v[176:177], v[3:4], v[176:177]
	s_waitcnt vmcnt(49)
	v_fma_f64 v[174:175], v[5:6], v[143:144], -v[174:175]
	v_fma_f64 v[143:144], v[7:8], v[143:144], v[192:193]
	ds_read_b128 v[5:8], v173 offset:1792
	v_add_f64 v[135:136], v[135:136], v[182:183]
	v_add_f64 v[137:138], v[137:138], v[147:148]
	s_waitcnt vmcnt(45) lgkmcnt(1)
	v_mul_f64 v[147:148], v[131:132], v[139:140]
	v_mul_f64 v[139:140], v[133:134], v[139:140]
	s_waitcnt vmcnt(44)
	v_fma_f64 v[176:177], v[1:2], v[184:185], -v[176:177]
	v_add_f64 v[135:136], v[135:136], v[174:175]
	v_fma_f64 v[174:175], v[3:4], v[184:185], v[200:201]
	v_add_f64 v[137:138], v[137:138], v[143:144]
	ds_read_b128 v[1:4], v173 offset:1808
	s_waitcnt vmcnt(43) lgkmcnt(1)
	v_mul_f64 v[143:144], v[5:6], v[159:160]
	v_mul_f64 v[159:160], v[7:8], v[159:160]
	s_waitcnt vmcnt(41)
	v_fma_f64 v[139:140], v[131:132], v[149:150], -v[139:140]
	v_fma_f64 v[147:148], v[133:134], v[149:150], v[147:148]
	ds_read_b128 v[131:134], v173 offset:1824
	v_add_f64 v[135:136], v[135:136], v[176:177]
	v_add_f64 v[137:138], v[137:138], v[174:175]
	s_waitcnt vmcnt(37) lgkmcnt(1)
	v_mul_f64 v[149:150], v[1:2], v[145:146]
	v_mul_f64 v[145:146], v[3:4], v[145:146]
	s_waitcnt vmcnt(36)
	v_fma_f64 v[159:160], v[5:6], v[178:179], -v[159:160]
	v_add_f64 v[135:136], v[135:136], v[139:140]
	v_fma_f64 v[139:140], v[7:8], v[178:179], v[143:144]
	v_add_f64 v[137:138], v[137:138], v[147:148]
	s_waitcnt vmcnt(35) lgkmcnt(0)
	v_mul_f64 v[147:148], v[133:134], v[165:166]
	ds_read_b128 v[5:8], v173 offset:1840
	v_mul_f64 v[143:144], v[131:132], v[165:166]
	s_waitcnt vmcnt(33)
	v_fma_f64 v[149:150], v[3:4], v[155:156], v[149:150]
	v_fma_f64 v[145:146], v[1:2], v[155:156], -v[145:146]
	ds_read_b128 v[1:4], v173 offset:1856
	v_add_f64 v[135:136], v[135:136], v[159:160]
	v_add_f64 v[137:138], v[137:138], v[139:140]
	s_waitcnt vmcnt(29) lgkmcnt(1)
	v_mul_f64 v[139:140], v[5:6], v[151:152]
	v_mul_f64 v[151:152], v[7:8], v[151:152]
	s_waitcnt vmcnt(28)
	v_fma_f64 v[147:148], v[131:132], v[167:168], -v[147:148]
	v_fma_f64 v[143:144], v[133:134], v[167:168], v[143:144]
	ds_read_b128 v[131:134], v173 offset:1872
	v_add_f64 v[135:136], v[135:136], v[145:146]
	v_add_f64 v[137:138], v[137:138], v[149:150]
	s_waitcnt vmcnt(27) lgkmcnt(1)
	v_mul_f64 v[149:150], v[3:4], v[186:187]
	v_mul_f64 v[145:146], v[1:2], v[186:187]
	s_waitcnt vmcnt(25)
	v_fma_f64 v[151:152], v[5:6], v[153:154], -v[151:152]
	v_fma_f64 v[139:140], v[7:8], v[153:154], v[139:140]
	ds_read_b128 v[5:8], v173 offset:1888
	v_add_f64 v[135:136], v[135:136], v[147:148]
	v_add_f64 v[137:138], v[137:138], v[143:144]
	s_waitcnt vmcnt(21) lgkmcnt(1)
	v_mul_f64 v[147:148], v[133:134], v[157:158]
	s_waitcnt vmcnt(20)
	v_fma_f64 v[149:150], v[1:2], v[188:189], -v[149:150]
	v_mul_f64 v[143:144], v[131:132], v[157:158]
	v_fma_f64 v[145:146], v[3:4], v[188:189], v[145:146]
	ds_read_b128 v[1:4], v173 offset:1904
	v_add_f64 v[135:136], v[135:136], v[151:152]
	v_add_f64 v[137:138], v[137:138], v[139:140]
	s_waitcnt vmcnt(19) lgkmcnt(1)
	v_mul_f64 v[151:152], v[7:8], v[194:195]
	v_mul_f64 v[139:140], v[5:6], v[194:195]
	s_waitcnt vmcnt(17)
	v_fma_f64 v[147:148], v[131:132], v[161:162], -v[147:148]
	v_fma_f64 v[143:144], v[133:134], v[161:162], v[143:144]
	ds_read_b128 v[131:134], v173 offset:1920
	v_add_f64 v[135:136], v[135:136], v[149:150]
	v_add_f64 v[137:138], v[137:138], v[145:146]
	s_waitcnt vmcnt(13) lgkmcnt(1)
	v_mul_f64 v[149:150], v[3:4], v[163:164]
	s_waitcnt vmcnt(12)
	v_fma_f64 v[151:152], v[5:6], v[196:197], -v[151:152]
	v_mul_f64 v[145:146], v[1:2], v[163:164]
	v_fma_f64 v[139:140], v[7:8], v[196:197], v[139:140]
	ds_read_b128 v[5:8], v173 offset:1936
	v_add_f64 v[135:136], v[135:136], v[147:148]
	v_add_f64 v[137:138], v[137:138], v[143:144]
	s_waitcnt vmcnt(11) lgkmcnt(1)
	v_mul_f64 v[147:148], v[133:134], v[202:203]
	v_mul_f64 v[143:144], v[131:132], v[202:203]
	s_waitcnt vmcnt(9)
	v_fma_f64 v[1:2], v[1:2], v[169:170], -v[149:150]
	v_fma_f64 v[3:4], v[3:4], v[169:170], v[145:146]
	v_add_f64 v[135:136], v[135:136], v[151:152]
	v_add_f64 v[137:138], v[137:138], v[139:140]
	s_waitcnt vmcnt(7) lgkmcnt(0)
	v_mul_f64 v[145:146], v[7:8], v[171:172]
	s_waitcnt vmcnt(6)
	v_fma_f64 v[131:132], v[131:132], v[206:207], -v[147:148]
	v_mul_f64 v[139:140], v[5:6], v[171:172]
	v_fma_f64 v[133:134], v[133:134], v[206:207], v[143:144]
	v_add_f64 v[1:2], v[135:136], v[1:2]
	v_add_f64 v[3:4], v[137:138], v[3:4]
	s_waitcnt vmcnt(4)
	v_fma_f64 v[5:6], v[5:6], v[180:181], -v[145:146]
	v_fma_f64 v[7:8], v[7:8], v[180:181], v[139:140]
	v_add_f64 v[1:2], v[1:2], v[131:132]
	v_add_f64 v[3:4], v[3:4], v[133:134]
	v_add_f64 v[1:2], v[1:2], v[5:6]
	v_add_f64 v[3:4], v[3:4], v[7:8]
	s_waitcnt vmcnt(2)
	v_add_f64 v[1:2], v[141:142], -v[1:2]
	s_waitcnt vmcnt(0)
	v_add_f64 v[3:4], v[198:199], -v[3:4]
	buffer_store_dword v2, off, s[0:3], 0 offset:436
	buffer_store_dword v1, off, s[0:3], 0 offset:432
	;; [unrolled: 1-line block ×4, first 2 shown]
	v_cmpx_lt_u32_e32 25, v0
	s_cbranch_execz .LBB124_341
; %bb.340:
	v_mov_b32_e32 v4, s50
	v_mov_b32_e32 v5, 0
	s_clause 0x3
	buffer_load_dword v1, v4, s[0:3], 0 offen
	buffer_load_dword v2, v4, s[0:3], 0 offen offset:4
	buffer_load_dword v3, v4, s[0:3], 0 offen offset:8
	;; [unrolled: 1-line block ×3, first 2 shown]
	buffer_store_dword v5, off, s[0:3], 0 offset:416
	buffer_store_dword v5, off, s[0:3], 0 offset:420
	;; [unrolled: 1-line block ×4, first 2 shown]
	s_waitcnt vmcnt(0)
	ds_write_b128 v191, v[1:4]
.LBB124_341:
	s_or_b32 exec_lo, exec_lo, s4
	s_waitcnt lgkmcnt(0)
	s_waitcnt_vscnt null, 0x0
	s_barrier
	buffer_gl0_inv
	s_clause 0x37
	buffer_load_dword v131, off, s[0:3], 0 offset:440
	buffer_load_dword v132, off, s[0:3], 0 offset:444
	;; [unrolled: 1-line block ×56, first 2 shown]
	v_mov_b32_e32 v183, 0
	s_mov_b32 s4, exec_lo
	ds_read_b128 v[184:187], v183 offset:1392
	s_clause 0x2
	buffer_load_dword v180, off, s[0:3], 0 offset:668
	buffer_load_dword v182, off, s[0:3], 0 offset:644
	;; [unrolled: 1-line block ×3, first 2 shown]
	ds_read_b128 v[192:195], v183 offset:1408
	s_clause 0x4
	buffer_load_dword v201, off, s[0:3], 0 offset:684
	buffer_load_dword v202, off, s[0:3], 0 offset:696
	buffer_load_dword v204, off, s[0:3], 0 offset:688
	buffer_load_dword v200, off, s[0:3], 0 offset:680
	buffer_load_dword v172, off, s[0:3], 0 offset:660
	ds_read_b128 v[196:199], v183 offset:1424
	s_clause 0x2
	buffer_load_dword v203, off, s[0:3], 0 offset:700
	buffer_load_dword v208, off, s[0:3], 0 offset:676
	;; [unrolled: 1-line block ×3, first 2 shown]
	s_waitcnt vmcnt(62) lgkmcnt(2)
	v_mul_f64 v[188:189], v[186:187], v[131:132]
	v_mul_f64 v[131:132], v[184:185], v[131:132]
	s_waitcnt lgkmcnt(1)
	v_mul_f64 v[205:206], v[194:195], v[5:6]
	s_waitcnt vmcnt(59) lgkmcnt(0)
	v_mul_f64 v[209:210], v[198:199], v[3:4]
	v_fma_f64 v[184:185], v[184:185], v[7:8], -v[188:189]
	v_mul_f64 v[188:189], v[192:193], v[5:6]
	v_fma_f64 v[131:132], v[186:187], v[7:8], v[131:132]
	s_waitcnt vmcnt(57)
	v_fma_f64 v[192:193], v[192:193], v[1:2], -v[205:206]
	ds_read_b128 v[5:8], v183 offset:1440
	v_mul_f64 v[186:187], v[196:197], v[3:4]
	s_waitcnt vmcnt(51)
	v_fma_f64 v[196:197], v[196:197], v[147:148], -v[209:210]
	v_add_f64 v[184:185], v[184:185], 0
	v_fma_f64 v[188:189], v[194:195], v[1:2], v[188:189]
	v_add_f64 v[131:132], v[131:132], 0
	s_clause 0x4
	buffer_load_dword v195, off, s[0:3], 0 offset:716
	buffer_load_dword v211, off, s[0:3], 0 offset:728
	;; [unrolled: 1-line block ×5, first 2 shown]
	s_waitcnt lgkmcnt(0)
	v_mul_f64 v[214:215], v[5:6], v[135:136]
	v_mul_f64 v[135:136], v[7:8], v[135:136]
	ds_read_b128 v[1:4], v183 offset:1456
	v_fma_f64 v[147:148], v[198:199], v[147:148], v[186:187]
	v_add_f64 v[192:193], v[184:185], v[192:193]
	v_add_f64 v[131:132], v[131:132], v[188:189]
	s_clause 0x2
	buffer_load_dword v212, off, s[0:3], 0 offset:732
	buffer_load_dword v189, off, s[0:3], 0 offset:708
	;; [unrolled: 1-line block ×3, first 2 shown]
	s_waitcnt vmcnt(58) lgkmcnt(0)
	v_mul_f64 v[198:199], v[1:2], v[139:140]
	v_mul_f64 v[139:140], v[3:4], v[139:140]
	s_waitcnt vmcnt(56)
	v_fma_f64 v[135:136], v[5:6], v[141:142], -v[135:136]
	ds_read_b128 v[184:187], v183 offset:1472
	v_fma_f64 v[141:142], v[7:8], v[141:142], v[214:215]
	v_add_f64 v[192:193], v[192:193], v[196:197]
	v_add_f64 v[131:132], v[131:132], v[147:148]
	s_clause 0x4
	buffer_load_dword v148, off, s[0:3], 0 offset:748
	buffer_load_dword v196, off, s[0:3], 0 offset:760
	;; [unrolled: 1-line block ×5, first 2 shown]
	ds_read_b128 v[5:8], v183 offset:1488
	s_waitcnt vmcnt(57) lgkmcnt(1)
	v_mul_f64 v[215:216], v[184:185], v[143:144]
	v_mul_f64 v[143:144], v[186:187], v[143:144]
	s_waitcnt vmcnt(56)
	v_fma_f64 v[139:140], v[1:2], v[133:134], -v[139:140]
	v_fma_f64 v[133:134], v[3:4], v[133:134], v[198:199]
	v_add_f64 v[135:136], v[192:193], v[135:136]
	v_add_f64 v[131:132], v[131:132], v[141:142]
	s_clause 0x2
	buffer_load_dword v197, off, s[0:3], 0 offset:764
	buffer_load_dword v142, off, s[0:3], 0 offset:740
	;; [unrolled: 1-line block ×3, first 2 shown]
	s_waitcnt vmcnt(58) lgkmcnt(0)
	v_mul_f64 v[192:193], v[5:6], v[149:150]
	v_mul_f64 v[149:150], v[7:8], v[149:150]
	s_waitcnt vmcnt(56)
	v_fma_f64 v[143:144], v[184:185], v[151:152], -v[143:144]
	ds_read_b128 v[1:4], v183 offset:1504
	v_add_f64 v[135:136], v[135:136], v[139:140]
	v_fma_f64 v[139:140], v[186:187], v[151:152], v[215:216]
	v_add_f64 v[151:152], v[131:132], v[133:134]
	s_clause 0x4
	buffer_load_dword v185, off, s[0:3], 0 offset:780
	buffer_load_dword v186, off, s[0:3], 0 offset:792
	;; [unrolled: 1-line block ×5, first 2 shown]
	ds_read_b128 v[131:134], v183 offset:1520
	s_waitcnt vmcnt(57) lgkmcnt(1)
	v_mul_f64 v[215:216], v[1:2], v[153:154]
	v_mul_f64 v[153:154], v[3:4], v[153:154]
	s_waitcnt vmcnt(56)
	v_fma_f64 v[149:150], v[5:6], v[137:138], -v[149:150]
	v_fma_f64 v[137:138], v[7:8], v[137:138], v[192:193]
	v_add_f64 v[135:136], v[135:136], v[143:144]
	s_clause 0x2
	buffer_load_dword v187, off, s[0:3], 0 offset:796
	buffer_load_dword v144, off, s[0:3], 0 offset:772
	;; [unrolled: 1-line block ×3, first 2 shown]
	v_add_f64 v[139:140], v[151:152], v[139:140]
	s_waitcnt vmcnt(58) lgkmcnt(0)
	v_mul_f64 v[151:152], v[131:132], v[157:158]
	v_mul_f64 v[157:158], v[133:134], v[157:158]
	ds_read_b128 v[5:8], v183 offset:1536
	s_waitcnt vmcnt(56)
	v_fma_f64 v[153:154], v[1:2], v[159:160], -v[153:154]
	v_add_f64 v[135:136], v[135:136], v[149:150]
	v_fma_f64 v[149:150], v[3:4], v[159:160], v[215:216]
	v_add_f64 v[137:138], v[139:140], v[137:138]
	s_clause 0x4
	buffer_load_dword v140, off, s[0:3], 0 offset:812
	buffer_load_dword v159, off, s[0:3], 0 offset:824
	;; [unrolled: 1-line block ×5, first 2 shown]
	s_waitcnt vmcnt(57) lgkmcnt(0)
	v_mul_f64 v[215:216], v[5:6], v[161:162]
	v_mul_f64 v[161:162], v[7:8], v[161:162]
	s_waitcnt vmcnt(56)
	v_fma_f64 v[157:158], v[131:132], v[145:146], -v[157:158]
	ds_read_b128 v[1:4], v183 offset:1552
	v_fma_f64 v[145:146], v[133:134], v[145:146], v[151:152]
	v_add_f64 v[135:136], v[135:136], v[153:154]
	v_add_f64 v[137:138], v[137:138], v[149:150]
	s_clause 0x2
	buffer_load_dword v160, off, s[0:3], 0 offset:828
	buffer_load_dword v150, off, s[0:3], 0 offset:804
	;; [unrolled: 1-line block ×3, first 2 shown]
	ds_read_b128 v[131:134], v183 offset:1568
	s_waitcnt vmcnt(58) lgkmcnt(1)
	v_mul_f64 v[153:154], v[3:4], v[165:166]
	s_waitcnt vmcnt(56)
	v_fma_f64 v[161:162], v[5:6], v[167:168], -v[161:162]
	v_mul_f64 v[151:152], v[1:2], v[165:166]
	v_add_f64 v[135:136], v[135:136], v[157:158]
	v_fma_f64 v[157:158], v[7:8], v[167:168], v[215:216]
	v_add_f64 v[137:138], v[137:138], v[145:146]
	s_clause 0x4
	buffer_load_dword v146, off, s[0:3], 0 offset:844
	buffer_load_dword v165, off, s[0:3], 0 offset:856
	;; [unrolled: 1-line block ×5, first 2 shown]
	s_waitcnt vmcnt(57) lgkmcnt(0)
	v_mul_f64 v[215:216], v[131:132], v[169:170]
	v_mul_f64 v[168:169], v[133:134], v[169:170]
	s_waitcnt vmcnt(56)
	v_fma_f64 v[153:154], v[1:2], v[155:156], -v[153:154]
	ds_read_b128 v[5:8], v183 offset:1584
	v_fma_f64 v[151:152], v[3:4], v[155:156], v[151:152]
	s_clause 0x2
	buffer_load_dword v166, off, s[0:3], 0 offset:860
	buffer_load_dword v156, off, s[0:3], 0 offset:836
	;; [unrolled: 1-line block ×3, first 2 shown]
	ds_read_b128 v[1:4], v183 offset:1600
	v_add_f64 v[135:136], v[135:136], v[161:162]
	v_add_f64 v[137:138], v[137:138], v[157:158]
	s_waitcnt vmcnt(58) lgkmcnt(1)
	v_mul_f64 v[161:162], v[7:8], v[173:174]
	s_waitcnt vmcnt(56)
	v_fma_f64 v[169:170], v[131:132], v[175:176], -v[168:169]
	v_mul_f64 v[157:158], v[5:6], v[173:174]
	v_add_f64 v[135:136], v[135:136], v[153:154]
	v_fma_f64 v[153:154], v[133:134], v[175:176], v[215:216]
	v_add_f64 v[137:138], v[137:138], v[151:152]
	s_clause 0x4
	buffer_load_dword v152, off, s[0:3], 0 offset:876
	buffer_load_dword v173, off, s[0:3], 0 offset:888
	;; [unrolled: 1-line block ×5, first 2 shown]
	s_waitcnt vmcnt(57) lgkmcnt(0)
	v_mul_f64 v[215:216], v[1:2], v[177:178]
	v_mul_f64 v[176:177], v[3:4], v[177:178]
	s_waitcnt vmcnt(56)
	v_fma_f64 v[161:162], v[5:6], v[163:164], -v[161:162]
	ds_read_b128 v[131:134], v183 offset:1616
	v_fma_f64 v[157:158], v[7:8], v[163:164], v[157:158]
	v_add_f64 v[135:136], v[135:136], v[169:170]
	v_add_f64 v[137:138], v[137:138], v[153:154]
	s_clause 0x2
	buffer_load_dword v174, off, s[0:3], 0 offset:892
	buffer_load_dword v154, off, s[0:3], 0 offset:868
	;; [unrolled: 1-line block ×3, first 2 shown]
	ds_read_b128 v[5:8], v183 offset:1632
	s_waitcnt vmcnt(58) lgkmcnt(1)
	v_mul_f64 v[169:170], v[133:134], v[179:180]
	s_waitcnt vmcnt(56)
	v_fma_f64 v[177:178], v[1:2], v[181:182], -v[176:177]
	v_mul_f64 v[163:164], v[131:132], v[179:180]
	v_add_f64 v[135:136], v[135:136], v[161:162]
	v_fma_f64 v[161:162], v[3:4], v[181:182], v[215:216]
	v_add_f64 v[137:138], v[137:138], v[157:158]
	s_clause 0x4
	buffer_load_dword v158, off, s[0:3], 0 offset:908
	buffer_load_dword v179, off, s[0:3], 0 offset:920
	buffer_load_dword v181, off, s[0:3], 0 offset:912
	buffer_load_dword v157, off, s[0:3], 0 offset:904
	buffer_load_dword v176, off, s[0:3], 0 offset:884
	s_waitcnt vmcnt(57) lgkmcnt(0)
	v_mul_f64 v[215:216], v[5:6], v[200:201]
	v_mul_f64 v[200:201], v[7:8], v[200:201]
	s_waitcnt vmcnt(56)
	v_fma_f64 v[169:170], v[131:132], v[171:172], -v[169:170]
	ds_read_b128 v[1:4], v183 offset:1648
	v_fma_f64 v[163:164], v[133:134], v[171:172], v[163:164]
	v_add_f64 v[135:136], v[135:136], v[177:178]
	v_add_f64 v[137:138], v[137:138], v[161:162]
	s_clause 0x2
	buffer_load_dword v180, off, s[0:3], 0 offset:924
	buffer_load_dword v162, off, s[0:3], 0 offset:900
	;; [unrolled: 1-line block ×3, first 2 shown]
	ds_read_b128 v[131:134], v183 offset:1664
	s_waitcnt vmcnt(58) lgkmcnt(1)
	v_mul_f64 v[177:178], v[3:4], v[202:203]
	s_waitcnt vmcnt(56)
	v_fma_f64 v[200:201], v[5:6], v[207:208], -v[200:201]
	v_mul_f64 v[171:172], v[1:2], v[202:203]
	v_add_f64 v[135:136], v[135:136], v[169:170]
	v_fma_f64 v[169:170], v[7:8], v[207:208], v[215:216]
	v_add_f64 v[137:138], v[137:138], v[163:164]
	s_clause 0x4
	buffer_load_dword v164, off, s[0:3], 0 offset:940
	buffer_load_dword v202, off, s[0:3], 0 offset:952
	;; [unrolled: 1-line block ×5, first 2 shown]
	ds_read_b128 v[5:8], v183 offset:1680
	s_waitcnt vmcnt(57) lgkmcnt(1)
	v_mul_f64 v[207:208], v[131:132], v[194:195]
	v_mul_f64 v[194:195], v[133:134], v[194:195]
	s_waitcnt vmcnt(56)
	v_fma_f64 v[177:178], v[1:2], v[204:205], -v[177:178]
	v_fma_f64 v[171:172], v[3:4], v[204:205], v[171:172]
	v_add_f64 v[135:136], v[135:136], v[200:201]
	v_add_f64 v[137:138], v[137:138], v[169:170]
	s_clause 0x2
	buffer_load_dword v203, off, s[0:3], 0 offset:956
	buffer_load_dword v170, off, s[0:3], 0 offset:932
	;; [unrolled: 1-line block ×3, first 2 shown]
	ds_read_b128 v[1:4], v183 offset:1696
	s_waitcnt vmcnt(58) lgkmcnt(1)
	v_mul_f64 v[204:205], v[7:8], v[211:212]
	v_mul_f64 v[200:201], v[5:6], v[211:212]
	s_waitcnt vmcnt(56)
	v_fma_f64 v[194:195], v[131:132], v[188:189], -v[194:195]
	v_add_f64 v[135:136], v[135:136], v[177:178]
	v_fma_f64 v[177:178], v[133:134], v[188:189], v[207:208]
	v_add_f64 v[137:138], v[137:138], v[171:172]
	s_clause 0x4
	buffer_load_dword v172, off, s[0:3], 0 offset:972
	buffer_load_dword v188, off, s[0:3], 0 offset:984
	;; [unrolled: 1-line block ×5, first 2 shown]
	ds_read_b128 v[131:134], v183 offset:1712
	s_waitcnt vmcnt(57) lgkmcnt(1)
	v_mul_f64 v[215:216], v[1:2], v[147:148]
	v_mul_f64 v[147:148], v[3:4], v[147:148]
	s_waitcnt vmcnt(56)
	v_fma_f64 v[204:205], v[5:6], v[213:214], -v[204:205]
	v_add_f64 v[135:136], v[135:136], v[194:195]
	v_fma_f64 v[194:195], v[7:8], v[213:214], v[200:201]
	v_add_f64 v[137:138], v[137:138], v[177:178]
	s_clause 0x2
	buffer_load_dword v189, off, s[0:3], 0 offset:988
	buffer_load_dword v178, off, s[0:3], 0 offset:964
	;; [unrolled: 1-line block ×3, first 2 shown]
	ds_read_b128 v[5:8], v183 offset:1728
	buffer_load_dword v212, off, s[0:3], 0 offset:980
	s_waitcnt vmcnt(59) lgkmcnt(1)
	v_mul_f64 v[200:201], v[131:132], v[196:197]
	v_mul_f64 v[196:197], v[133:134], v[196:197]
	s_waitcnt vmcnt(57)
	v_fma_f64 v[147:148], v[1:2], v[141:142], -v[147:148]
	v_fma_f64 v[141:142], v[3:4], v[141:142], v[215:216]
	ds_read_b128 v[1:4], v183 offset:1744
	v_add_f64 v[135:136], v[135:136], v[204:205]
	v_add_f64 v[137:138], v[137:138], v[194:195]
	s_waitcnt vmcnt(53) lgkmcnt(1)
	v_mul_f64 v[194:195], v[5:6], v[184:185]
	v_mul_f64 v[184:185], v[7:8], v[184:185]
	s_waitcnt vmcnt(52)
	v_fma_f64 v[196:197], v[131:132], v[209:210], -v[196:197]
	v_add_f64 v[135:136], v[135:136], v[147:148]
	v_fma_f64 v[147:148], v[133:134], v[209:210], v[200:201]
	v_add_f64 v[137:138], v[137:138], v[141:142]
	ds_read_b128 v[131:134], v183 offset:1760
	s_waitcnt vmcnt(51) lgkmcnt(1)
	v_mul_f64 v[141:142], v[1:2], v[186:187]
	v_mul_f64 v[186:187], v[3:4], v[186:187]
	s_waitcnt vmcnt(49)
	v_fma_f64 v[184:185], v[5:6], v[143:144], -v[184:185]
	v_fma_f64 v[143:144], v[7:8], v[143:144], v[194:195]
	v_add_f64 v[135:136], v[135:136], v[196:197]
	v_add_f64 v[137:138], v[137:138], v[147:148]
	s_clause 0x3
	buffer_load_dword v147, off, s[0:3], 0 offset:416
	buffer_load_dword v148, off, s[0:3], 0 offset:420
	;; [unrolled: 1-line block ×4, first 2 shown]
	ds_read_b128 v[5:8], v183 offset:1776
	s_waitcnt vmcnt(49) lgkmcnt(1)
	v_mul_f64 v[196:197], v[131:132], v[139:140]
	v_mul_f64 v[139:140], v[133:134], v[139:140]
	s_waitcnt vmcnt(48)
	v_fma_f64 v[186:187], v[1:2], v[198:199], -v[186:187]
	v_fma_f64 v[141:142], v[3:4], v[198:199], v[141:142]
	ds_read_b128 v[1:4], v183 offset:1792
	v_add_f64 v[135:136], v[135:136], v[184:185]
	v_add_f64 v[137:138], v[137:138], v[143:144]
	s_waitcnt vmcnt(47) lgkmcnt(1)
	v_mul_f64 v[143:144], v[5:6], v[159:160]
	v_mul_f64 v[159:160], v[7:8], v[159:160]
	s_waitcnt vmcnt(45)
	v_fma_f64 v[139:140], v[131:132], v[149:150], -v[139:140]
	v_fma_f64 v[149:150], v[133:134], v[149:150], v[196:197]
	ds_read_b128 v[131:134], v183 offset:1808
	v_add_f64 v[135:136], v[135:136], v[186:187]
	v_add_f64 v[137:138], v[137:138], v[141:142]
	s_waitcnt vmcnt(41) lgkmcnt(1)
	v_mul_f64 v[141:142], v[1:2], v[145:146]
	v_mul_f64 v[145:146], v[3:4], v[145:146]
	s_waitcnt vmcnt(40)
	v_fma_f64 v[159:160], v[5:6], v[192:193], -v[159:160]
	v_add_f64 v[135:136], v[135:136], v[139:140]
	v_fma_f64 v[139:140], v[7:8], v[192:193], v[143:144]
	v_add_f64 v[137:138], v[137:138], v[149:150]
	ds_read_b128 v[5:8], v183 offset:1824
	s_waitcnt vmcnt(39) lgkmcnt(1)
	v_mul_f64 v[149:150], v[133:134], v[165:166]
	v_mul_f64 v[143:144], v[131:132], v[165:166]
	s_waitcnt vmcnt(37)
	v_fma_f64 v[141:142], v[3:4], v[155:156], v[141:142]
	v_fma_f64 v[145:146], v[1:2], v[155:156], -v[145:146]
	ds_read_b128 v[1:4], v183 offset:1840
	v_add_f64 v[135:136], v[135:136], v[159:160]
	v_add_f64 v[137:138], v[137:138], v[139:140]
	s_waitcnt vmcnt(33) lgkmcnt(1)
	v_mul_f64 v[139:140], v[5:6], v[151:152]
	v_mul_f64 v[151:152], v[7:8], v[151:152]
	s_waitcnt vmcnt(32)
	v_fma_f64 v[149:150], v[131:132], v[167:168], -v[149:150]
	v_fma_f64 v[143:144], v[133:134], v[167:168], v[143:144]
	ds_read_b128 v[131:134], v183 offset:1856
	v_add_f64 v[135:136], v[135:136], v[145:146]
	v_add_f64 v[137:138], v[137:138], v[141:142]
	s_waitcnt vmcnt(31) lgkmcnt(1)
	v_mul_f64 v[145:146], v[3:4], v[173:174]
	v_mul_f64 v[141:142], v[1:2], v[173:174]
	s_waitcnt vmcnt(29)
	v_fma_f64 v[151:152], v[5:6], v[153:154], -v[151:152]
	v_fma_f64 v[139:140], v[7:8], v[153:154], v[139:140]
	ds_read_b128 v[5:8], v183 offset:1872
	v_add_f64 v[135:136], v[135:136], v[149:150]
	v_add_f64 v[137:138], v[137:138], v[143:144]
	s_waitcnt vmcnt(25) lgkmcnt(1)
	v_mul_f64 v[149:150], v[133:134], v[157:158]
	s_waitcnt vmcnt(24)
	v_fma_f64 v[145:146], v[1:2], v[175:176], -v[145:146]
	v_mul_f64 v[143:144], v[131:132], v[157:158]
	v_fma_f64 v[141:142], v[3:4], v[175:176], v[141:142]
	ds_read_b128 v[1:4], v183 offset:1888
	v_add_f64 v[135:136], v[135:136], v[151:152]
	v_add_f64 v[137:138], v[137:138], v[139:140]
	s_waitcnt vmcnt(23) lgkmcnt(1)
	v_mul_f64 v[151:152], v[7:8], v[179:180]
	v_mul_f64 v[139:140], v[5:6], v[179:180]
	s_waitcnt vmcnt(21)
	v_fma_f64 v[149:150], v[131:132], v[161:162], -v[149:150]
	v_fma_f64 v[143:144], v[133:134], v[161:162], v[143:144]
	ds_read_b128 v[131:134], v183 offset:1904
	v_add_f64 v[135:136], v[135:136], v[145:146]
	v_add_f64 v[137:138], v[137:138], v[141:142]
	s_waitcnt vmcnt(17) lgkmcnt(1)
	v_mul_f64 v[145:146], v[3:4], v[163:164]
	s_waitcnt vmcnt(16)
	v_fma_f64 v[151:152], v[5:6], v[181:182], -v[151:152]
	v_mul_f64 v[141:142], v[1:2], v[163:164]
	;; [unrolled: 18-line block ×3, first 2 shown]
	v_fma_f64 v[133:134], v[133:134], v[206:207], v[143:144]
	v_add_f64 v[135:136], v[135:136], v[145:146]
	v_add_f64 v[137:138], v[137:138], v[141:142]
	s_waitcnt vmcnt(7) lgkmcnt(0)
	v_mul_f64 v[143:144], v[3:4], v[188:189]
	v_mul_f64 v[141:142], v[1:2], v[188:189]
	s_waitcnt vmcnt(5)
	v_fma_f64 v[5:6], v[5:6], v[177:178], -v[151:152]
	v_fma_f64 v[7:8], v[7:8], v[177:178], v[139:140]
	v_add_f64 v[131:132], v[135:136], v[131:132]
	v_add_f64 v[133:134], v[137:138], v[133:134]
	s_waitcnt vmcnt(4)
	v_fma_f64 v[1:2], v[1:2], v[211:212], -v[143:144]
	v_fma_f64 v[3:4], v[3:4], v[211:212], v[141:142]
	v_add_f64 v[5:6], v[131:132], v[5:6]
	v_add_f64 v[7:8], v[133:134], v[7:8]
	;; [unrolled: 1-line block ×4, first 2 shown]
	s_waitcnt vmcnt(2)
	v_add_f64 v[1:2], v[147:148], -v[1:2]
	s_waitcnt vmcnt(0)
	v_add_f64 v[3:4], v[194:195], -v[3:4]
	buffer_store_dword v2, off, s[0:3], 0 offset:420
	buffer_store_dword v1, off, s[0:3], 0 offset:416
	;; [unrolled: 1-line block ×4, first 2 shown]
	v_cmpx_lt_u32_e32 24, v0
	s_cbranch_execz .LBB124_343
; %bb.342:
	v_mov_b32_e32 v4, s51
	s_clause 0x3
	buffer_load_dword v1, v4, s[0:3], 0 offen
	buffer_load_dword v2, v4, s[0:3], 0 offen offset:4
	buffer_load_dword v3, v4, s[0:3], 0 offen offset:8
	;; [unrolled: 1-line block ×3, first 2 shown]
	buffer_store_dword v183, off, s[0:3], 0 offset:400
	buffer_store_dword v183, off, s[0:3], 0 offset:404
	;; [unrolled: 1-line block ×4, first 2 shown]
	s_waitcnt vmcnt(0)
	ds_write_b128 v191, v[1:4]
.LBB124_343:
	s_or_b32 exec_lo, exec_lo, s4
	s_waitcnt lgkmcnt(0)
	s_waitcnt_vscnt null, 0x0
	s_barrier
	buffer_gl0_inv
	s_clause 0x37
	buffer_load_dword v131, off, s[0:3], 0 offset:424
	buffer_load_dword v132, off, s[0:3], 0 offset:428
	;; [unrolled: 1-line block ×56, first 2 shown]
	ds_read_b128 v[184:187], v183 offset:1376
	s_clause 0x2
	buffer_load_dword v180, off, s[0:3], 0 offset:652
	buffer_load_dword v182, off, s[0:3], 0 offset:628
	;; [unrolled: 1-line block ×3, first 2 shown]
	ds_read_b128 v[192:195], v183 offset:1392
	s_clause 0x4
	buffer_load_dword v201, off, s[0:3], 0 offset:668
	buffer_load_dword v202, off, s[0:3], 0 offset:680
	;; [unrolled: 1-line block ×5, first 2 shown]
	ds_read_b128 v[196:199], v183 offset:1408
	s_clause 0x2
	buffer_load_dword v203, off, s[0:3], 0 offset:684
	buffer_load_dword v208, off, s[0:3], 0 offset:660
	;; [unrolled: 1-line block ×3, first 2 shown]
	s_mov_b32 s4, exec_lo
	s_waitcnt vmcnt(62) lgkmcnt(2)
	v_mul_f64 v[188:189], v[186:187], v[131:132]
	v_mul_f64 v[131:132], v[184:185], v[131:132]
	s_waitcnt lgkmcnt(1)
	v_mul_f64 v[205:206], v[194:195], v[5:6]
	s_waitcnt vmcnt(59) lgkmcnt(0)
	v_mul_f64 v[209:210], v[198:199], v[3:4]
	v_fma_f64 v[184:185], v[184:185], v[7:8], -v[188:189]
	v_mul_f64 v[188:189], v[192:193], v[5:6]
	v_fma_f64 v[131:132], v[186:187], v[7:8], v[131:132]
	s_waitcnt vmcnt(57)
	v_fma_f64 v[192:193], v[192:193], v[1:2], -v[205:206]
	ds_read_b128 v[5:8], v183 offset:1424
	v_mul_f64 v[186:187], v[196:197], v[3:4]
	s_waitcnt vmcnt(51)
	v_fma_f64 v[196:197], v[196:197], v[147:148], -v[209:210]
	v_add_f64 v[184:185], v[184:185], 0
	v_fma_f64 v[188:189], v[194:195], v[1:2], v[188:189]
	v_add_f64 v[131:132], v[131:132], 0
	s_clause 0x4
	buffer_load_dword v195, off, s[0:3], 0 offset:700
	buffer_load_dword v211, off, s[0:3], 0 offset:712
	;; [unrolled: 1-line block ×5, first 2 shown]
	s_waitcnt lgkmcnt(0)
	v_mul_f64 v[214:215], v[5:6], v[135:136]
	v_mul_f64 v[135:136], v[7:8], v[135:136]
	ds_read_b128 v[1:4], v183 offset:1440
	v_fma_f64 v[147:148], v[198:199], v[147:148], v[186:187]
	v_add_f64 v[192:193], v[184:185], v[192:193]
	v_add_f64 v[131:132], v[131:132], v[188:189]
	s_clause 0x2
	buffer_load_dword v212, off, s[0:3], 0 offset:716
	buffer_load_dword v189, off, s[0:3], 0 offset:692
	;; [unrolled: 1-line block ×3, first 2 shown]
	s_waitcnt vmcnt(58) lgkmcnt(0)
	v_mul_f64 v[198:199], v[1:2], v[139:140]
	v_mul_f64 v[139:140], v[3:4], v[139:140]
	s_waitcnt vmcnt(56)
	v_fma_f64 v[135:136], v[5:6], v[141:142], -v[135:136]
	ds_read_b128 v[184:187], v183 offset:1456
	v_fma_f64 v[141:142], v[7:8], v[141:142], v[214:215]
	v_add_f64 v[192:193], v[192:193], v[196:197]
	v_add_f64 v[131:132], v[131:132], v[147:148]
	s_clause 0x4
	buffer_load_dword v148, off, s[0:3], 0 offset:732
	buffer_load_dword v196, off, s[0:3], 0 offset:744
	;; [unrolled: 1-line block ×5, first 2 shown]
	ds_read_b128 v[5:8], v183 offset:1472
	s_waitcnt vmcnt(57) lgkmcnt(1)
	v_mul_f64 v[215:216], v[184:185], v[143:144]
	v_mul_f64 v[143:144], v[186:187], v[143:144]
	s_waitcnt vmcnt(56)
	v_fma_f64 v[139:140], v[1:2], v[133:134], -v[139:140]
	v_fma_f64 v[133:134], v[3:4], v[133:134], v[198:199]
	v_add_f64 v[135:136], v[192:193], v[135:136]
	v_add_f64 v[131:132], v[131:132], v[141:142]
	s_clause 0x2
	buffer_load_dword v197, off, s[0:3], 0 offset:748
	buffer_load_dword v142, off, s[0:3], 0 offset:724
	;; [unrolled: 1-line block ×3, first 2 shown]
	s_waitcnt vmcnt(58) lgkmcnt(0)
	v_mul_f64 v[192:193], v[5:6], v[149:150]
	v_mul_f64 v[149:150], v[7:8], v[149:150]
	s_waitcnt vmcnt(56)
	v_fma_f64 v[143:144], v[184:185], v[151:152], -v[143:144]
	ds_read_b128 v[1:4], v183 offset:1488
	v_add_f64 v[135:136], v[135:136], v[139:140]
	v_fma_f64 v[139:140], v[186:187], v[151:152], v[215:216]
	v_add_f64 v[151:152], v[131:132], v[133:134]
	s_clause 0x4
	buffer_load_dword v185, off, s[0:3], 0 offset:764
	buffer_load_dword v186, off, s[0:3], 0 offset:776
	;; [unrolled: 1-line block ×5, first 2 shown]
	ds_read_b128 v[131:134], v183 offset:1504
	s_waitcnt vmcnt(57) lgkmcnt(1)
	v_mul_f64 v[215:216], v[1:2], v[153:154]
	v_mul_f64 v[153:154], v[3:4], v[153:154]
	s_waitcnt vmcnt(56)
	v_fma_f64 v[149:150], v[5:6], v[137:138], -v[149:150]
	v_fma_f64 v[137:138], v[7:8], v[137:138], v[192:193]
	v_add_f64 v[135:136], v[135:136], v[143:144]
	s_clause 0x2
	buffer_load_dword v187, off, s[0:3], 0 offset:780
	buffer_load_dword v144, off, s[0:3], 0 offset:756
	;; [unrolled: 1-line block ×3, first 2 shown]
	v_add_f64 v[139:140], v[151:152], v[139:140]
	s_waitcnt vmcnt(58) lgkmcnt(0)
	v_mul_f64 v[151:152], v[131:132], v[157:158]
	v_mul_f64 v[157:158], v[133:134], v[157:158]
	ds_read_b128 v[5:8], v183 offset:1520
	s_waitcnt vmcnt(56)
	v_fma_f64 v[153:154], v[1:2], v[159:160], -v[153:154]
	v_add_f64 v[135:136], v[135:136], v[149:150]
	v_fma_f64 v[149:150], v[3:4], v[159:160], v[215:216]
	v_add_f64 v[137:138], v[139:140], v[137:138]
	s_clause 0x4
	buffer_load_dword v140, off, s[0:3], 0 offset:796
	buffer_load_dword v159, off, s[0:3], 0 offset:808
	;; [unrolled: 1-line block ×5, first 2 shown]
	s_waitcnt vmcnt(57) lgkmcnt(0)
	v_mul_f64 v[215:216], v[5:6], v[161:162]
	v_mul_f64 v[161:162], v[7:8], v[161:162]
	s_waitcnt vmcnt(56)
	v_fma_f64 v[157:158], v[131:132], v[145:146], -v[157:158]
	ds_read_b128 v[1:4], v183 offset:1536
	v_fma_f64 v[145:146], v[133:134], v[145:146], v[151:152]
	v_add_f64 v[135:136], v[135:136], v[153:154]
	v_add_f64 v[137:138], v[137:138], v[149:150]
	s_clause 0x2
	buffer_load_dword v160, off, s[0:3], 0 offset:812
	buffer_load_dword v150, off, s[0:3], 0 offset:788
	;; [unrolled: 1-line block ×3, first 2 shown]
	ds_read_b128 v[131:134], v183 offset:1552
	s_waitcnt vmcnt(58) lgkmcnt(1)
	v_mul_f64 v[153:154], v[3:4], v[165:166]
	s_waitcnt vmcnt(56)
	v_fma_f64 v[161:162], v[5:6], v[167:168], -v[161:162]
	v_mul_f64 v[151:152], v[1:2], v[165:166]
	v_add_f64 v[135:136], v[135:136], v[157:158]
	v_fma_f64 v[157:158], v[7:8], v[167:168], v[215:216]
	v_add_f64 v[137:138], v[137:138], v[145:146]
	s_clause 0x4
	buffer_load_dword v146, off, s[0:3], 0 offset:828
	buffer_load_dword v165, off, s[0:3], 0 offset:840
	;; [unrolled: 1-line block ×5, first 2 shown]
	s_waitcnt vmcnt(57) lgkmcnt(0)
	v_mul_f64 v[215:216], v[131:132], v[169:170]
	v_mul_f64 v[168:169], v[133:134], v[169:170]
	s_waitcnt vmcnt(56)
	v_fma_f64 v[153:154], v[1:2], v[155:156], -v[153:154]
	ds_read_b128 v[5:8], v183 offset:1568
	v_fma_f64 v[151:152], v[3:4], v[155:156], v[151:152]
	s_clause 0x2
	buffer_load_dword v166, off, s[0:3], 0 offset:844
	buffer_load_dword v156, off, s[0:3], 0 offset:820
	;; [unrolled: 1-line block ×3, first 2 shown]
	ds_read_b128 v[1:4], v183 offset:1584
	v_add_f64 v[135:136], v[135:136], v[161:162]
	v_add_f64 v[137:138], v[137:138], v[157:158]
	s_waitcnt vmcnt(58) lgkmcnt(1)
	v_mul_f64 v[161:162], v[7:8], v[173:174]
	s_waitcnt vmcnt(56)
	v_fma_f64 v[169:170], v[131:132], v[175:176], -v[168:169]
	v_mul_f64 v[157:158], v[5:6], v[173:174]
	v_add_f64 v[135:136], v[135:136], v[153:154]
	v_fma_f64 v[153:154], v[133:134], v[175:176], v[215:216]
	v_add_f64 v[137:138], v[137:138], v[151:152]
	s_clause 0x4
	buffer_load_dword v152, off, s[0:3], 0 offset:860
	buffer_load_dword v173, off, s[0:3], 0 offset:872
	;; [unrolled: 1-line block ×5, first 2 shown]
	s_waitcnt vmcnt(57) lgkmcnt(0)
	v_mul_f64 v[215:216], v[1:2], v[177:178]
	v_mul_f64 v[176:177], v[3:4], v[177:178]
	s_waitcnt vmcnt(56)
	v_fma_f64 v[161:162], v[5:6], v[163:164], -v[161:162]
	ds_read_b128 v[131:134], v183 offset:1600
	v_fma_f64 v[157:158], v[7:8], v[163:164], v[157:158]
	v_add_f64 v[135:136], v[135:136], v[169:170]
	v_add_f64 v[137:138], v[137:138], v[153:154]
	s_clause 0x2
	buffer_load_dword v174, off, s[0:3], 0 offset:876
	buffer_load_dword v154, off, s[0:3], 0 offset:852
	;; [unrolled: 1-line block ×3, first 2 shown]
	ds_read_b128 v[5:8], v183 offset:1616
	s_waitcnt vmcnt(58) lgkmcnt(1)
	v_mul_f64 v[169:170], v[133:134], v[179:180]
	s_waitcnt vmcnt(56)
	v_fma_f64 v[177:178], v[1:2], v[181:182], -v[176:177]
	v_mul_f64 v[163:164], v[131:132], v[179:180]
	v_add_f64 v[135:136], v[135:136], v[161:162]
	v_fma_f64 v[161:162], v[3:4], v[181:182], v[215:216]
	v_add_f64 v[137:138], v[137:138], v[157:158]
	s_clause 0x4
	buffer_load_dword v158, off, s[0:3], 0 offset:892
	buffer_load_dword v179, off, s[0:3], 0 offset:904
	;; [unrolled: 1-line block ×5, first 2 shown]
	s_waitcnt vmcnt(57) lgkmcnt(0)
	v_mul_f64 v[215:216], v[5:6], v[200:201]
	v_mul_f64 v[200:201], v[7:8], v[200:201]
	s_waitcnt vmcnt(56)
	v_fma_f64 v[169:170], v[131:132], v[171:172], -v[169:170]
	ds_read_b128 v[1:4], v183 offset:1632
	v_fma_f64 v[163:164], v[133:134], v[171:172], v[163:164]
	v_add_f64 v[135:136], v[135:136], v[177:178]
	v_add_f64 v[137:138], v[137:138], v[161:162]
	s_clause 0x2
	buffer_load_dword v180, off, s[0:3], 0 offset:908
	buffer_load_dword v162, off, s[0:3], 0 offset:884
	;; [unrolled: 1-line block ×3, first 2 shown]
	ds_read_b128 v[131:134], v183 offset:1648
	s_waitcnt vmcnt(58) lgkmcnt(1)
	v_mul_f64 v[177:178], v[3:4], v[202:203]
	s_waitcnt vmcnt(56)
	v_fma_f64 v[200:201], v[5:6], v[207:208], -v[200:201]
	v_mul_f64 v[171:172], v[1:2], v[202:203]
	v_add_f64 v[135:136], v[135:136], v[169:170]
	v_fma_f64 v[169:170], v[7:8], v[207:208], v[215:216]
	v_add_f64 v[137:138], v[137:138], v[163:164]
	s_clause 0x4
	buffer_load_dword v164, off, s[0:3], 0 offset:924
	buffer_load_dword v202, off, s[0:3], 0 offset:936
	;; [unrolled: 1-line block ×5, first 2 shown]
	ds_read_b128 v[5:8], v183 offset:1664
	s_waitcnt vmcnt(57) lgkmcnt(1)
	v_mul_f64 v[207:208], v[131:132], v[194:195]
	v_mul_f64 v[194:195], v[133:134], v[194:195]
	s_waitcnt vmcnt(56)
	v_fma_f64 v[177:178], v[1:2], v[204:205], -v[177:178]
	v_fma_f64 v[171:172], v[3:4], v[204:205], v[171:172]
	v_add_f64 v[135:136], v[135:136], v[200:201]
	v_add_f64 v[137:138], v[137:138], v[169:170]
	s_clause 0x2
	buffer_load_dword v203, off, s[0:3], 0 offset:940
	buffer_load_dword v170, off, s[0:3], 0 offset:916
	;; [unrolled: 1-line block ×3, first 2 shown]
	ds_read_b128 v[1:4], v183 offset:1680
	s_waitcnt vmcnt(58) lgkmcnt(1)
	v_mul_f64 v[204:205], v[7:8], v[211:212]
	v_mul_f64 v[200:201], v[5:6], v[211:212]
	s_waitcnt vmcnt(56)
	v_fma_f64 v[194:195], v[131:132], v[188:189], -v[194:195]
	v_add_f64 v[135:136], v[135:136], v[177:178]
	v_fma_f64 v[177:178], v[133:134], v[188:189], v[207:208]
	v_add_f64 v[137:138], v[137:138], v[171:172]
	s_clause 0x4
	buffer_load_dword v172, off, s[0:3], 0 offset:956
	buffer_load_dword v188, off, s[0:3], 0 offset:968
	;; [unrolled: 1-line block ×5, first 2 shown]
	ds_read_b128 v[131:134], v183 offset:1696
	s_waitcnt vmcnt(57) lgkmcnt(1)
	v_mul_f64 v[215:216], v[1:2], v[147:148]
	v_mul_f64 v[147:148], v[3:4], v[147:148]
	s_waitcnt vmcnt(56)
	v_fma_f64 v[204:205], v[5:6], v[213:214], -v[204:205]
	v_add_f64 v[135:136], v[135:136], v[194:195]
	v_fma_f64 v[194:195], v[7:8], v[213:214], v[200:201]
	v_add_f64 v[137:138], v[137:138], v[177:178]
	s_clause 0x2
	buffer_load_dword v189, off, s[0:3], 0 offset:972
	buffer_load_dword v178, off, s[0:3], 0 offset:948
	buffer_load_dword v177, off, s[0:3], 0 offset:944
	ds_read_b128 v[5:8], v183 offset:1712
	s_waitcnt vmcnt(58) lgkmcnt(1)
	v_mul_f64 v[200:201], v[131:132], v[196:197]
	v_mul_f64 v[196:197], v[133:134], v[196:197]
	s_waitcnt vmcnt(56)
	v_fma_f64 v[147:148], v[1:2], v[141:142], -v[147:148]
	v_fma_f64 v[141:142], v[3:4], v[141:142], v[215:216]
	v_add_f64 v[135:136], v[135:136], v[204:205]
	v_add_f64 v[137:138], v[137:138], v[194:195]
	s_clause 0x2
	buffer_load_dword v195, off, s[0:3], 0 offset:988
	buffer_load_dword v194, off, s[0:3], 0 offset:984
	;; [unrolled: 1-line block ×3, first 2 shown]
	ds_read_b128 v[1:4], v183 offset:1728
	s_waitcnt vmcnt(55) lgkmcnt(1)
	v_mul_f64 v[204:205], v[5:6], v[184:185]
	v_mul_f64 v[184:185], v[7:8], v[184:185]
	s_waitcnt vmcnt(54)
	v_fma_f64 v[196:197], v[131:132], v[209:210], -v[196:197]
	v_add_f64 v[135:136], v[135:136], v[147:148]
	v_fma_f64 v[147:148], v[133:134], v[209:210], v[200:201]
	v_add_f64 v[137:138], v[137:138], v[141:142]
	s_clause 0x1
	buffer_load_dword v142, off, s[0:3], 0 offset:980
	buffer_load_dword v141, off, s[0:3], 0 offset:976
	ds_read_b128 v[131:134], v183 offset:1744
	s_waitcnt vmcnt(55) lgkmcnt(1)
	v_mul_f64 v[200:201], v[1:2], v[186:187]
	v_mul_f64 v[186:187], v[3:4], v[186:187]
	s_waitcnt vmcnt(53)
	v_fma_f64 v[184:185], v[5:6], v[143:144], -v[184:185]
	v_fma_f64 v[143:144], v[7:8], v[143:144], v[204:205]
	ds_read_b128 v[5:8], v183 offset:1760
	v_add_f64 v[135:136], v[135:136], v[196:197]
	v_add_f64 v[137:138], v[137:138], v[147:148]
	s_waitcnt vmcnt(49) lgkmcnt(1)
	v_mul_f64 v[147:148], v[131:132], v[139:140]
	v_mul_f64 v[139:140], v[133:134], v[139:140]
	s_waitcnt vmcnt(48)
	v_fma_f64 v[186:187], v[1:2], v[198:199], -v[186:187]
	v_add_f64 v[135:136], v[135:136], v[184:185]
	v_fma_f64 v[184:185], v[3:4], v[198:199], v[200:201]
	v_add_f64 v[137:138], v[137:138], v[143:144]
	s_clause 0x3
	buffer_load_dword v143, off, s[0:3], 0 offset:400
	buffer_load_dword v144, off, s[0:3], 0 offset:404
	;; [unrolled: 1-line block ×4, first 2 shown]
	ds_read_b128 v[1:4], v183 offset:1776
	s_waitcnt vmcnt(51) lgkmcnt(1)
	v_mul_f64 v[198:199], v[5:6], v[159:160]
	v_mul_f64 v[159:160], v[7:8], v[159:160]
	s_waitcnt vmcnt(49)
	v_fma_f64 v[139:140], v[131:132], v[149:150], -v[139:140]
	v_fma_f64 v[147:148], v[133:134], v[149:150], v[147:148]
	ds_read_b128 v[131:134], v183 offset:1792
	v_add_f64 v[135:136], v[135:136], v[186:187]
	v_add_f64 v[137:138], v[137:138], v[184:185]
	s_waitcnt vmcnt(45) lgkmcnt(1)
	v_mul_f64 v[149:150], v[1:2], v[145:146]
	v_mul_f64 v[145:146], v[3:4], v[145:146]
	s_waitcnt vmcnt(44)
	v_fma_f64 v[159:160], v[5:6], v[192:193], -v[159:160]
	v_add_f64 v[135:136], v[135:136], v[139:140]
	v_fma_f64 v[139:140], v[7:8], v[192:193], v[198:199]
	v_add_f64 v[137:138], v[137:138], v[147:148]
	s_waitcnt vmcnt(43) lgkmcnt(0)
	v_mul_f64 v[147:148], v[131:132], v[165:166]
	v_mul_f64 v[165:166], v[133:134], v[165:166]
	ds_read_b128 v[5:8], v183 offset:1808
	s_waitcnt vmcnt(41)
	v_fma_f64 v[149:150], v[3:4], v[155:156], v[149:150]
	v_fma_f64 v[145:146], v[1:2], v[155:156], -v[145:146]
	ds_read_b128 v[1:4], v183 offset:1824
	v_add_f64 v[135:136], v[135:136], v[159:160]
	v_add_f64 v[137:138], v[137:138], v[139:140]
	s_waitcnt vmcnt(37) lgkmcnt(1)
	v_mul_f64 v[139:140], v[5:6], v[151:152]
	v_mul_f64 v[151:152], v[7:8], v[151:152]
	s_waitcnt vmcnt(36)
	v_fma_f64 v[155:156], v[131:132], v[167:168], -v[165:166]
	v_add_f64 v[135:136], v[135:136], v[145:146]
	v_fma_f64 v[145:146], v[133:134], v[167:168], v[147:148]
	v_add_f64 v[137:138], v[137:138], v[149:150]
	ds_read_b128 v[131:134], v183 offset:1840
	s_waitcnt vmcnt(35) lgkmcnt(1)
	v_mul_f64 v[149:150], v[3:4], v[173:174]
	v_mul_f64 v[147:148], v[1:2], v[173:174]
	s_waitcnt vmcnt(33)
	v_fma_f64 v[151:152], v[5:6], v[153:154], -v[151:152]
	v_fma_f64 v[139:140], v[7:8], v[153:154], v[139:140]
	ds_read_b128 v[5:8], v183 offset:1856
	v_add_f64 v[135:136], v[135:136], v[155:156]
	v_add_f64 v[137:138], v[137:138], v[145:146]
	s_waitcnt vmcnt(29) lgkmcnt(1)
	v_mul_f64 v[153:154], v[133:134], v[157:158]
	s_waitcnt vmcnt(28)
	v_fma_f64 v[149:150], v[1:2], v[175:176], -v[149:150]
	v_mul_f64 v[145:146], v[131:132], v[157:158]
	v_fma_f64 v[147:148], v[3:4], v[175:176], v[147:148]
	ds_read_b128 v[1:4], v183 offset:1872
	v_add_f64 v[135:136], v[135:136], v[151:152]
	v_add_f64 v[137:138], v[137:138], v[139:140]
	s_waitcnt vmcnt(27) lgkmcnt(1)
	v_mul_f64 v[151:152], v[7:8], v[179:180]
	v_mul_f64 v[139:140], v[5:6], v[179:180]
	s_waitcnt vmcnt(25)
	v_fma_f64 v[153:154], v[131:132], v[161:162], -v[153:154]
	v_fma_f64 v[145:146], v[133:134], v[161:162], v[145:146]
	ds_read_b128 v[131:134], v183 offset:1888
	v_add_f64 v[135:136], v[135:136], v[149:150]
	v_add_f64 v[137:138], v[137:138], v[147:148]
	s_waitcnt vmcnt(21) lgkmcnt(1)
	v_mul_f64 v[149:150], v[3:4], v[163:164]
	s_waitcnt vmcnt(20)
	v_fma_f64 v[151:152], v[5:6], v[181:182], -v[151:152]
	v_mul_f64 v[147:148], v[1:2], v[163:164]
	v_fma_f64 v[139:140], v[7:8], v[181:182], v[139:140]
	ds_read_b128 v[5:8], v183 offset:1904
	v_add_f64 v[135:136], v[135:136], v[153:154]
	v_add_f64 v[137:138], v[137:138], v[145:146]
	s_waitcnt vmcnt(19) lgkmcnt(1)
	v_mul_f64 v[153:154], v[133:134], v[202:203]
	v_mul_f64 v[145:146], v[131:132], v[202:203]
	s_waitcnt vmcnt(17)
	v_fma_f64 v[149:150], v[1:2], v[169:170], -v[149:150]
	v_fma_f64 v[147:148], v[3:4], v[169:170], v[147:148]
	ds_read_b128 v[1:4], v183 offset:1920
	v_add_f64 v[135:136], v[135:136], v[151:152]
	v_add_f64 v[137:138], v[137:138], v[139:140]
	s_waitcnt vmcnt(13) lgkmcnt(1)
	v_mul_f64 v[151:152], v[7:8], v[171:172]
	s_waitcnt vmcnt(12)
	v_fma_f64 v[153:154], v[131:132], v[206:207], -v[153:154]
	v_mul_f64 v[139:140], v[5:6], v[171:172]
	v_fma_f64 v[145:146], v[133:134], v[206:207], v[145:146]
	ds_read_b128 v[131:134], v183 offset:1936
	v_add_f64 v[135:136], v[135:136], v[149:150]
	v_add_f64 v[137:138], v[137:138], v[147:148]
	s_waitcnt vmcnt(11) lgkmcnt(1)
	v_mul_f64 v[149:150], v[3:4], v[188:189]
	v_mul_f64 v[147:148], v[1:2], v[188:189]
	s_waitcnt vmcnt(9)
	v_fma_f64 v[5:6], v[5:6], v[177:178], -v[151:152]
	v_fma_f64 v[7:8], v[7:8], v[177:178], v[139:140]
	v_add_f64 v[135:136], v[135:136], v[153:154]
	v_add_f64 v[137:138], v[137:138], v[145:146]
	s_waitcnt vmcnt(7) lgkmcnt(0)
	v_mul_f64 v[145:146], v[133:134], v[194:195]
	s_waitcnt vmcnt(6)
	v_fma_f64 v[1:2], v[1:2], v[211:212], -v[149:150]
	v_mul_f64 v[139:140], v[131:132], v[194:195]
	v_fma_f64 v[3:4], v[3:4], v[211:212], v[147:148]
	v_add_f64 v[5:6], v[135:136], v[5:6]
	v_add_f64 v[7:8], v[137:138], v[7:8]
	s_waitcnt vmcnt(4)
	v_fma_f64 v[131:132], v[131:132], v[141:142], -v[145:146]
	v_add_f64 v[1:2], v[5:6], v[1:2]
	v_fma_f64 v[5:6], v[133:134], v[141:142], v[139:140]
	v_add_f64 v[3:4], v[7:8], v[3:4]
	v_add_f64 v[1:2], v[1:2], v[131:132]
	v_add_f64 v[3:4], v[3:4], v[5:6]
	s_waitcnt vmcnt(2)
	v_add_f64 v[1:2], v[143:144], -v[1:2]
	s_waitcnt vmcnt(0)
	v_add_f64 v[3:4], v[196:197], -v[3:4]
	buffer_store_dword v2, off, s[0:3], 0 offset:404
	buffer_store_dword v1, off, s[0:3], 0 offset:400
	;; [unrolled: 1-line block ×4, first 2 shown]
	v_cmpx_lt_u32_e32 23, v0
	s_cbranch_execz .LBB124_345
; %bb.344:
	v_mov_b32_e32 v4, s52
	v_mov_b32_e32 v5, 0
	s_clause 0x3
	buffer_load_dword v1, v4, s[0:3], 0 offen
	buffer_load_dword v2, v4, s[0:3], 0 offen offset:4
	buffer_load_dword v3, v4, s[0:3], 0 offen offset:8
	;; [unrolled: 1-line block ×3, first 2 shown]
	buffer_store_dword v5, off, s[0:3], 0 offset:384
	buffer_store_dword v5, off, s[0:3], 0 offset:388
	;; [unrolled: 1-line block ×4, first 2 shown]
	s_waitcnt vmcnt(0)
	ds_write_b128 v191, v[1:4]
.LBB124_345:
	s_or_b32 exec_lo, exec_lo, s4
	s_waitcnt lgkmcnt(0)
	s_waitcnt_vscnt null, 0x0
	s_barrier
	buffer_gl0_inv
	s_clause 0x37
	buffer_load_dword v131, off, s[0:3], 0 offset:408
	buffer_load_dword v132, off, s[0:3], 0 offset:412
	;; [unrolled: 1-line block ×56, first 2 shown]
	v_mov_b32_e32 v183, 0
	s_mov_b32 s4, exec_lo
	ds_read_b128 v[184:187], v183 offset:1360
	s_clause 0x2
	buffer_load_dword v180, off, s[0:3], 0 offset:636
	buffer_load_dword v182, off, s[0:3], 0 offset:612
	;; [unrolled: 1-line block ×3, first 2 shown]
	ds_read_b128 v[192:195], v183 offset:1376
	s_clause 0x4
	buffer_load_dword v201, off, s[0:3], 0 offset:652
	buffer_load_dword v202, off, s[0:3], 0 offset:664
	buffer_load_dword v204, off, s[0:3], 0 offset:656
	buffer_load_dword v200, off, s[0:3], 0 offset:648
	buffer_load_dword v172, off, s[0:3], 0 offset:628
	ds_read_b128 v[196:199], v183 offset:1392
	s_clause 0x2
	buffer_load_dword v203, off, s[0:3], 0 offset:668
	buffer_load_dword v208, off, s[0:3], 0 offset:644
	buffer_load_dword v207, off, s[0:3], 0 offset:640
	s_waitcnt vmcnt(62) lgkmcnt(2)
	v_mul_f64 v[188:189], v[186:187], v[131:132]
	v_mul_f64 v[131:132], v[184:185], v[131:132]
	s_waitcnt lgkmcnt(1)
	v_mul_f64 v[205:206], v[194:195], v[5:6]
	s_waitcnt vmcnt(59) lgkmcnt(0)
	v_mul_f64 v[209:210], v[198:199], v[3:4]
	v_fma_f64 v[184:185], v[184:185], v[7:8], -v[188:189]
	v_mul_f64 v[188:189], v[192:193], v[5:6]
	v_fma_f64 v[131:132], v[186:187], v[7:8], v[131:132]
	s_waitcnt vmcnt(57)
	v_fma_f64 v[192:193], v[192:193], v[1:2], -v[205:206]
	ds_read_b128 v[5:8], v183 offset:1408
	v_mul_f64 v[186:187], v[196:197], v[3:4]
	s_waitcnt vmcnt(51)
	v_fma_f64 v[196:197], v[196:197], v[147:148], -v[209:210]
	v_add_f64 v[184:185], v[184:185], 0
	v_fma_f64 v[188:189], v[194:195], v[1:2], v[188:189]
	v_add_f64 v[131:132], v[131:132], 0
	s_clause 0x4
	buffer_load_dword v195, off, s[0:3], 0 offset:684
	buffer_load_dword v211, off, s[0:3], 0 offset:696
	;; [unrolled: 1-line block ×5, first 2 shown]
	s_waitcnt lgkmcnt(0)
	v_mul_f64 v[214:215], v[5:6], v[135:136]
	v_mul_f64 v[135:136], v[7:8], v[135:136]
	ds_read_b128 v[1:4], v183 offset:1424
	v_fma_f64 v[147:148], v[198:199], v[147:148], v[186:187]
	v_add_f64 v[192:193], v[184:185], v[192:193]
	v_add_f64 v[131:132], v[131:132], v[188:189]
	s_clause 0x2
	buffer_load_dword v212, off, s[0:3], 0 offset:700
	buffer_load_dword v189, off, s[0:3], 0 offset:676
	;; [unrolled: 1-line block ×3, first 2 shown]
	s_waitcnt vmcnt(58) lgkmcnt(0)
	v_mul_f64 v[198:199], v[1:2], v[139:140]
	v_mul_f64 v[139:140], v[3:4], v[139:140]
	s_waitcnt vmcnt(56)
	v_fma_f64 v[135:136], v[5:6], v[141:142], -v[135:136]
	ds_read_b128 v[184:187], v183 offset:1440
	v_fma_f64 v[141:142], v[7:8], v[141:142], v[214:215]
	v_add_f64 v[192:193], v[192:193], v[196:197]
	v_add_f64 v[131:132], v[131:132], v[147:148]
	s_clause 0x4
	buffer_load_dword v148, off, s[0:3], 0 offset:716
	buffer_load_dword v196, off, s[0:3], 0 offset:728
	;; [unrolled: 1-line block ×5, first 2 shown]
	ds_read_b128 v[5:8], v183 offset:1456
	s_waitcnt vmcnt(57) lgkmcnt(1)
	v_mul_f64 v[215:216], v[184:185], v[143:144]
	v_mul_f64 v[143:144], v[186:187], v[143:144]
	s_waitcnt vmcnt(56)
	v_fma_f64 v[139:140], v[1:2], v[133:134], -v[139:140]
	v_fma_f64 v[133:134], v[3:4], v[133:134], v[198:199]
	v_add_f64 v[135:136], v[192:193], v[135:136]
	v_add_f64 v[131:132], v[131:132], v[141:142]
	s_clause 0x2
	buffer_load_dword v197, off, s[0:3], 0 offset:732
	buffer_load_dword v142, off, s[0:3], 0 offset:708
	;; [unrolled: 1-line block ×3, first 2 shown]
	s_waitcnt vmcnt(58) lgkmcnt(0)
	v_mul_f64 v[192:193], v[5:6], v[149:150]
	v_mul_f64 v[149:150], v[7:8], v[149:150]
	s_waitcnt vmcnt(56)
	v_fma_f64 v[143:144], v[184:185], v[151:152], -v[143:144]
	ds_read_b128 v[1:4], v183 offset:1472
	v_add_f64 v[135:136], v[135:136], v[139:140]
	v_fma_f64 v[139:140], v[186:187], v[151:152], v[215:216]
	v_add_f64 v[151:152], v[131:132], v[133:134]
	s_clause 0x4
	buffer_load_dword v185, off, s[0:3], 0 offset:748
	buffer_load_dword v186, off, s[0:3], 0 offset:760
	;; [unrolled: 1-line block ×5, first 2 shown]
	ds_read_b128 v[131:134], v183 offset:1488
	s_waitcnt vmcnt(57) lgkmcnt(1)
	v_mul_f64 v[215:216], v[1:2], v[153:154]
	v_mul_f64 v[153:154], v[3:4], v[153:154]
	s_waitcnt vmcnt(56)
	v_fma_f64 v[149:150], v[5:6], v[137:138], -v[149:150]
	v_fma_f64 v[137:138], v[7:8], v[137:138], v[192:193]
	v_add_f64 v[135:136], v[135:136], v[143:144]
	s_clause 0x2
	buffer_load_dword v187, off, s[0:3], 0 offset:764
	buffer_load_dword v144, off, s[0:3], 0 offset:740
	;; [unrolled: 1-line block ×3, first 2 shown]
	v_add_f64 v[139:140], v[151:152], v[139:140]
	s_waitcnt vmcnt(58) lgkmcnt(0)
	v_mul_f64 v[151:152], v[131:132], v[157:158]
	v_mul_f64 v[157:158], v[133:134], v[157:158]
	ds_read_b128 v[5:8], v183 offset:1504
	s_waitcnt vmcnt(56)
	v_fma_f64 v[153:154], v[1:2], v[159:160], -v[153:154]
	v_add_f64 v[135:136], v[135:136], v[149:150]
	v_fma_f64 v[149:150], v[3:4], v[159:160], v[215:216]
	v_add_f64 v[137:138], v[139:140], v[137:138]
	s_clause 0x4
	buffer_load_dword v140, off, s[0:3], 0 offset:780
	buffer_load_dword v159, off, s[0:3], 0 offset:792
	;; [unrolled: 1-line block ×5, first 2 shown]
	s_waitcnt vmcnt(57) lgkmcnt(0)
	v_mul_f64 v[215:216], v[5:6], v[161:162]
	v_mul_f64 v[161:162], v[7:8], v[161:162]
	s_waitcnt vmcnt(56)
	v_fma_f64 v[157:158], v[131:132], v[145:146], -v[157:158]
	ds_read_b128 v[1:4], v183 offset:1520
	v_fma_f64 v[145:146], v[133:134], v[145:146], v[151:152]
	v_add_f64 v[135:136], v[135:136], v[153:154]
	v_add_f64 v[137:138], v[137:138], v[149:150]
	s_clause 0x2
	buffer_load_dword v160, off, s[0:3], 0 offset:796
	buffer_load_dword v150, off, s[0:3], 0 offset:772
	;; [unrolled: 1-line block ×3, first 2 shown]
	ds_read_b128 v[131:134], v183 offset:1536
	s_waitcnt vmcnt(58) lgkmcnt(1)
	v_mul_f64 v[153:154], v[3:4], v[165:166]
	s_waitcnt vmcnt(56)
	v_fma_f64 v[161:162], v[5:6], v[167:168], -v[161:162]
	v_mul_f64 v[151:152], v[1:2], v[165:166]
	v_add_f64 v[135:136], v[135:136], v[157:158]
	v_fma_f64 v[157:158], v[7:8], v[167:168], v[215:216]
	v_add_f64 v[137:138], v[137:138], v[145:146]
	s_clause 0x4
	buffer_load_dword v146, off, s[0:3], 0 offset:812
	buffer_load_dword v165, off, s[0:3], 0 offset:824
	;; [unrolled: 1-line block ×5, first 2 shown]
	s_waitcnt vmcnt(57) lgkmcnt(0)
	v_mul_f64 v[215:216], v[131:132], v[169:170]
	v_mul_f64 v[168:169], v[133:134], v[169:170]
	s_waitcnt vmcnt(56)
	v_fma_f64 v[153:154], v[1:2], v[155:156], -v[153:154]
	ds_read_b128 v[5:8], v183 offset:1552
	v_fma_f64 v[151:152], v[3:4], v[155:156], v[151:152]
	s_clause 0x2
	buffer_load_dword v166, off, s[0:3], 0 offset:828
	buffer_load_dword v156, off, s[0:3], 0 offset:804
	;; [unrolled: 1-line block ×3, first 2 shown]
	ds_read_b128 v[1:4], v183 offset:1568
	v_add_f64 v[135:136], v[135:136], v[161:162]
	v_add_f64 v[137:138], v[137:138], v[157:158]
	s_waitcnt vmcnt(58) lgkmcnt(1)
	v_mul_f64 v[161:162], v[7:8], v[173:174]
	s_waitcnt vmcnt(56)
	v_fma_f64 v[169:170], v[131:132], v[175:176], -v[168:169]
	v_mul_f64 v[157:158], v[5:6], v[173:174]
	v_add_f64 v[135:136], v[135:136], v[153:154]
	v_fma_f64 v[153:154], v[133:134], v[175:176], v[215:216]
	v_add_f64 v[137:138], v[137:138], v[151:152]
	s_clause 0x4
	buffer_load_dword v152, off, s[0:3], 0 offset:844
	buffer_load_dword v173, off, s[0:3], 0 offset:856
	;; [unrolled: 1-line block ×5, first 2 shown]
	s_waitcnt vmcnt(57) lgkmcnt(0)
	v_mul_f64 v[215:216], v[1:2], v[177:178]
	v_mul_f64 v[176:177], v[3:4], v[177:178]
	s_waitcnt vmcnt(56)
	v_fma_f64 v[161:162], v[5:6], v[163:164], -v[161:162]
	ds_read_b128 v[131:134], v183 offset:1584
	v_fma_f64 v[157:158], v[7:8], v[163:164], v[157:158]
	v_add_f64 v[135:136], v[135:136], v[169:170]
	v_add_f64 v[137:138], v[137:138], v[153:154]
	s_clause 0x2
	buffer_load_dword v174, off, s[0:3], 0 offset:860
	buffer_load_dword v154, off, s[0:3], 0 offset:836
	;; [unrolled: 1-line block ×3, first 2 shown]
	ds_read_b128 v[5:8], v183 offset:1600
	s_waitcnt vmcnt(58) lgkmcnt(1)
	v_mul_f64 v[169:170], v[133:134], v[179:180]
	s_waitcnt vmcnt(56)
	v_fma_f64 v[177:178], v[1:2], v[181:182], -v[176:177]
	v_mul_f64 v[163:164], v[131:132], v[179:180]
	v_add_f64 v[135:136], v[135:136], v[161:162]
	v_fma_f64 v[161:162], v[3:4], v[181:182], v[215:216]
	v_add_f64 v[137:138], v[137:138], v[157:158]
	s_clause 0x4
	buffer_load_dword v158, off, s[0:3], 0 offset:876
	buffer_load_dword v179, off, s[0:3], 0 offset:888
	;; [unrolled: 1-line block ×5, first 2 shown]
	s_waitcnt vmcnt(57) lgkmcnt(0)
	v_mul_f64 v[215:216], v[5:6], v[200:201]
	v_mul_f64 v[200:201], v[7:8], v[200:201]
	s_waitcnt vmcnt(56)
	v_fma_f64 v[169:170], v[131:132], v[171:172], -v[169:170]
	ds_read_b128 v[1:4], v183 offset:1616
	v_fma_f64 v[163:164], v[133:134], v[171:172], v[163:164]
	v_add_f64 v[135:136], v[135:136], v[177:178]
	v_add_f64 v[137:138], v[137:138], v[161:162]
	s_clause 0x2
	buffer_load_dword v180, off, s[0:3], 0 offset:892
	buffer_load_dword v162, off, s[0:3], 0 offset:868
	;; [unrolled: 1-line block ×3, first 2 shown]
	ds_read_b128 v[131:134], v183 offset:1632
	s_waitcnt vmcnt(58) lgkmcnt(1)
	v_mul_f64 v[177:178], v[3:4], v[202:203]
	s_waitcnt vmcnt(56)
	v_fma_f64 v[200:201], v[5:6], v[207:208], -v[200:201]
	v_mul_f64 v[171:172], v[1:2], v[202:203]
	v_add_f64 v[135:136], v[135:136], v[169:170]
	v_fma_f64 v[169:170], v[7:8], v[207:208], v[215:216]
	v_add_f64 v[137:138], v[137:138], v[163:164]
	s_clause 0x4
	buffer_load_dword v164, off, s[0:3], 0 offset:908
	buffer_load_dword v202, off, s[0:3], 0 offset:920
	;; [unrolled: 1-line block ×5, first 2 shown]
	ds_read_b128 v[5:8], v183 offset:1648
	s_waitcnt vmcnt(57) lgkmcnt(1)
	v_mul_f64 v[207:208], v[131:132], v[194:195]
	v_mul_f64 v[194:195], v[133:134], v[194:195]
	s_waitcnt vmcnt(56)
	v_fma_f64 v[177:178], v[1:2], v[204:205], -v[177:178]
	v_fma_f64 v[171:172], v[3:4], v[204:205], v[171:172]
	v_add_f64 v[135:136], v[135:136], v[200:201]
	v_add_f64 v[137:138], v[137:138], v[169:170]
	s_clause 0x2
	buffer_load_dword v203, off, s[0:3], 0 offset:924
	buffer_load_dword v170, off, s[0:3], 0 offset:900
	;; [unrolled: 1-line block ×3, first 2 shown]
	ds_read_b128 v[1:4], v183 offset:1664
	s_waitcnt vmcnt(58) lgkmcnt(1)
	v_mul_f64 v[204:205], v[7:8], v[211:212]
	v_mul_f64 v[200:201], v[5:6], v[211:212]
	s_waitcnt vmcnt(56)
	v_fma_f64 v[194:195], v[131:132], v[188:189], -v[194:195]
	v_add_f64 v[135:136], v[135:136], v[177:178]
	v_fma_f64 v[177:178], v[133:134], v[188:189], v[207:208]
	v_add_f64 v[137:138], v[137:138], v[171:172]
	s_clause 0x4
	buffer_load_dword v172, off, s[0:3], 0 offset:940
	buffer_load_dword v188, off, s[0:3], 0 offset:952
	buffer_load_dword v211, off, s[0:3], 0 offset:944
	buffer_load_dword v171, off, s[0:3], 0 offset:936
	buffer_load_dword v207, off, s[0:3], 0 offset:916
	ds_read_b128 v[131:134], v183 offset:1680
	s_waitcnt vmcnt(57) lgkmcnt(1)
	v_mul_f64 v[215:216], v[1:2], v[147:148]
	v_mul_f64 v[147:148], v[3:4], v[147:148]
	s_waitcnt vmcnt(56)
	v_fma_f64 v[204:205], v[5:6], v[213:214], -v[204:205]
	v_add_f64 v[135:136], v[135:136], v[194:195]
	v_fma_f64 v[194:195], v[7:8], v[213:214], v[200:201]
	v_add_f64 v[137:138], v[137:138], v[177:178]
	s_clause 0x2
	buffer_load_dword v189, off, s[0:3], 0 offset:956
	buffer_load_dword v178, off, s[0:3], 0 offset:932
	;; [unrolled: 1-line block ×3, first 2 shown]
	ds_read_b128 v[5:8], v183 offset:1696
	s_waitcnt vmcnt(58) lgkmcnt(1)
	v_mul_f64 v[200:201], v[131:132], v[196:197]
	v_mul_f64 v[196:197], v[133:134], v[196:197]
	s_waitcnt vmcnt(56)
	v_fma_f64 v[147:148], v[1:2], v[141:142], -v[147:148]
	v_fma_f64 v[141:142], v[3:4], v[141:142], v[215:216]
	v_add_f64 v[135:136], v[135:136], v[204:205]
	v_add_f64 v[137:138], v[137:138], v[194:195]
	s_clause 0x4
	buffer_load_dword v195, off, s[0:3], 0 offset:972
	buffer_load_dword v204, off, s[0:3], 0 offset:984
	;; [unrolled: 1-line block ×5, first 2 shown]
	ds_read_b128 v[1:4], v183 offset:1712
	s_waitcnt vmcnt(57) lgkmcnt(1)
	v_mul_f64 v[213:214], v[5:6], v[184:185]
	v_mul_f64 v[184:185], v[7:8], v[184:185]
	s_waitcnt vmcnt(56)
	v_fma_f64 v[196:197], v[131:132], v[209:210], -v[196:197]
	v_add_f64 v[135:136], v[135:136], v[147:148]
	v_fma_f64 v[147:148], v[133:134], v[209:210], v[200:201]
	v_add_f64 v[137:138], v[137:138], v[141:142]
	s_clause 0x2
	buffer_load_dword v205, off, s[0:3], 0 offset:988
	buffer_load_dword v142, off, s[0:3], 0 offset:964
	;; [unrolled: 1-line block ×3, first 2 shown]
	ds_read_b128 v[131:134], v183 offset:1728
	buffer_load_dword v209, off, s[0:3], 0 offset:980
	s_waitcnt vmcnt(59) lgkmcnt(1)
	v_mul_f64 v[200:201], v[1:2], v[186:187]
	v_mul_f64 v[186:187], v[3:4], v[186:187]
	s_waitcnt vmcnt(57)
	v_fma_f64 v[184:185], v[5:6], v[143:144], -v[184:185]
	v_fma_f64 v[143:144], v[7:8], v[143:144], v[213:214]
	ds_read_b128 v[5:8], v183 offset:1744
	v_add_f64 v[135:136], v[135:136], v[196:197]
	v_add_f64 v[137:138], v[137:138], v[147:148]
	s_waitcnt vmcnt(53) lgkmcnt(1)
	v_mul_f64 v[147:148], v[131:132], v[139:140]
	v_mul_f64 v[139:140], v[133:134], v[139:140]
	s_waitcnt vmcnt(52)
	v_fma_f64 v[186:187], v[1:2], v[198:199], -v[186:187]
	v_add_f64 v[135:136], v[135:136], v[184:185]
	v_fma_f64 v[184:185], v[3:4], v[198:199], v[200:201]
	v_add_f64 v[137:138], v[137:138], v[143:144]
	ds_read_b128 v[1:4], v183 offset:1760
	s_waitcnt vmcnt(51) lgkmcnt(1)
	v_mul_f64 v[143:144], v[5:6], v[159:160]
	v_mul_f64 v[159:160], v[7:8], v[159:160]
	s_waitcnt vmcnt(49)
	v_fma_f64 v[139:140], v[131:132], v[149:150], -v[139:140]
	v_fma_f64 v[147:148], v[133:134], v[149:150], v[147:148]
	v_add_f64 v[135:136], v[135:136], v[186:187]
	v_add_f64 v[137:138], v[137:138], v[184:185]
	s_clause 0x3
	buffer_load_dword v149, off, s[0:3], 0 offset:384
	buffer_load_dword v150, off, s[0:3], 0 offset:388
	;; [unrolled: 1-line block ×4, first 2 shown]
	ds_read_b128 v[131:134], v183 offset:1776
	s_waitcnt vmcnt(49) lgkmcnt(1)
	v_mul_f64 v[186:187], v[1:2], v[145:146]
	v_mul_f64 v[145:146], v[3:4], v[145:146]
	s_waitcnt vmcnt(48)
	v_fma_f64 v[159:160], v[5:6], v[192:193], -v[159:160]
	v_add_f64 v[135:136], v[135:136], v[139:140]
	v_fma_f64 v[139:140], v[7:8], v[192:193], v[143:144]
	v_add_f64 v[137:138], v[137:138], v[147:148]
	ds_read_b128 v[5:8], v183 offset:1792
	s_waitcnt vmcnt(47) lgkmcnt(1)
	v_mul_f64 v[147:148], v[133:134], v[165:166]
	v_mul_f64 v[143:144], v[131:132], v[165:166]
	s_waitcnt vmcnt(45)
	v_fma_f64 v[145:146], v[1:2], v[155:156], -v[145:146]
	v_fma_f64 v[155:156], v[3:4], v[155:156], v[186:187]
	ds_read_b128 v[1:4], v183 offset:1808
	v_add_f64 v[135:136], v[135:136], v[159:160]
	v_add_f64 v[137:138], v[137:138], v[139:140]
	s_waitcnt vmcnt(41) lgkmcnt(1)
	v_mul_f64 v[139:140], v[5:6], v[151:152]
	v_mul_f64 v[151:152], v[7:8], v[151:152]
	s_waitcnt vmcnt(40)
	v_fma_f64 v[147:148], v[131:132], v[167:168], -v[147:148]
	v_fma_f64 v[143:144], v[133:134], v[167:168], v[143:144]
	ds_read_b128 v[131:134], v183 offset:1824
	v_add_f64 v[135:136], v[135:136], v[145:146]
	v_add_f64 v[137:138], v[137:138], v[155:156]
	;; [unrolled: 9-line block ×3, first 2 shown]
	s_waitcnt vmcnt(33) lgkmcnt(1)
	v_mul_f64 v[147:148], v[133:134], v[157:158]
	s_waitcnt vmcnt(32)
	v_fma_f64 v[153:154], v[1:2], v[175:176], -v[155:156]
	v_mul_f64 v[143:144], v[131:132], v[157:158]
	v_fma_f64 v[145:146], v[3:4], v[175:176], v[145:146]
	ds_read_b128 v[1:4], v183 offset:1856
	v_add_f64 v[135:136], v[135:136], v[151:152]
	v_add_f64 v[137:138], v[137:138], v[139:140]
	s_waitcnt vmcnt(31) lgkmcnt(1)
	v_mul_f64 v[151:152], v[7:8], v[179:180]
	v_mul_f64 v[139:140], v[5:6], v[179:180]
	s_waitcnt vmcnt(29)
	v_fma_f64 v[147:148], v[131:132], v[161:162], -v[147:148]
	v_fma_f64 v[143:144], v[133:134], v[161:162], v[143:144]
	ds_read_b128 v[131:134], v183 offset:1872
	v_add_f64 v[135:136], v[135:136], v[153:154]
	v_add_f64 v[137:138], v[137:138], v[145:146]
	s_waitcnt vmcnt(25) lgkmcnt(1)
	v_mul_f64 v[153:154], v[3:4], v[163:164]
	s_waitcnt vmcnt(24)
	v_fma_f64 v[151:152], v[5:6], v[181:182], -v[151:152]
	v_mul_f64 v[145:146], v[1:2], v[163:164]
	v_fma_f64 v[139:140], v[7:8], v[181:182], v[139:140]
	ds_read_b128 v[5:8], v183 offset:1888
	v_add_f64 v[135:136], v[135:136], v[147:148]
	v_add_f64 v[137:138], v[137:138], v[143:144]
	s_waitcnt vmcnt(23) lgkmcnt(1)
	v_mul_f64 v[147:148], v[133:134], v[202:203]
	v_mul_f64 v[143:144], v[131:132], v[202:203]
	s_waitcnt vmcnt(21)
	v_fma_f64 v[153:154], v[1:2], v[169:170], -v[153:154]
	v_fma_f64 v[145:146], v[3:4], v[169:170], v[145:146]
	ds_read_b128 v[1:4], v183 offset:1904
	v_add_f64 v[135:136], v[135:136], v[151:152]
	v_add_f64 v[137:138], v[137:138], v[139:140]
	;; [unrolled: 18-line block ×3, first 2 shown]
	s_waitcnt vmcnt(9) lgkmcnt(1)
	v_mul_f64 v[147:148], v[133:134], v[194:195]
	s_waitcnt vmcnt(8)
	v_fma_f64 v[1:2], v[1:2], v[211:212], -v[153:154]
	v_mul_f64 v[143:144], v[131:132], v[194:195]
	v_fma_f64 v[3:4], v[3:4], v[211:212], v[145:146]
	v_add_f64 v[135:136], v[135:136], v[151:152]
	v_add_f64 v[137:138], v[137:138], v[139:140]
	s_waitcnt vmcnt(7) lgkmcnt(0)
	v_mul_f64 v[145:146], v[7:8], v[204:205]
	v_mul_f64 v[139:140], v[5:6], v[204:205]
	s_waitcnt vmcnt(5)
	v_fma_f64 v[131:132], v[131:132], v[141:142], -v[147:148]
	v_fma_f64 v[133:134], v[133:134], v[141:142], v[143:144]
	v_add_f64 v[1:2], v[135:136], v[1:2]
	v_add_f64 v[3:4], v[137:138], v[3:4]
	s_waitcnt vmcnt(4)
	v_fma_f64 v[5:6], v[5:6], v[208:209], -v[145:146]
	v_fma_f64 v[7:8], v[7:8], v[208:209], v[139:140]
	v_add_f64 v[1:2], v[1:2], v[131:132]
	v_add_f64 v[3:4], v[3:4], v[133:134]
	;; [unrolled: 1-line block ×4, first 2 shown]
	s_waitcnt vmcnt(2)
	v_add_f64 v[1:2], v[149:150], -v[1:2]
	s_waitcnt vmcnt(0)
	v_add_f64 v[3:4], v[184:185], -v[3:4]
	buffer_store_dword v2, off, s[0:3], 0 offset:388
	buffer_store_dword v1, off, s[0:3], 0 offset:384
	;; [unrolled: 1-line block ×4, first 2 shown]
	v_cmpx_lt_u32_e32 22, v0
	s_cbranch_execz .LBB124_347
; %bb.346:
	v_mov_b32_e32 v4, s53
	s_clause 0x3
	buffer_load_dword v1, v4, s[0:3], 0 offen
	buffer_load_dword v2, v4, s[0:3], 0 offen offset:4
	buffer_load_dword v3, v4, s[0:3], 0 offen offset:8
	;; [unrolled: 1-line block ×3, first 2 shown]
	buffer_store_dword v183, off, s[0:3], 0 offset:368
	buffer_store_dword v183, off, s[0:3], 0 offset:372
	;; [unrolled: 1-line block ×4, first 2 shown]
	s_waitcnt vmcnt(0)
	ds_write_b128 v191, v[1:4]
.LBB124_347:
	s_or_b32 exec_lo, exec_lo, s4
	s_waitcnt lgkmcnt(0)
	s_waitcnt_vscnt null, 0x0
	s_barrier
	buffer_gl0_inv
	s_clause 0x37
	buffer_load_dword v131, off, s[0:3], 0 offset:392
	buffer_load_dword v132, off, s[0:3], 0 offset:396
	;; [unrolled: 1-line block ×56, first 2 shown]
	ds_read_b128 v[184:187], v183 offset:1344
	s_clause 0x2
	buffer_load_dword v180, off, s[0:3], 0 offset:620
	buffer_load_dword v182, off, s[0:3], 0 offset:596
	;; [unrolled: 1-line block ×3, first 2 shown]
	ds_read_b128 v[192:195], v183 offset:1360
	s_clause 0x4
	buffer_load_dword v201, off, s[0:3], 0 offset:636
	buffer_load_dword v202, off, s[0:3], 0 offset:648
	;; [unrolled: 1-line block ×5, first 2 shown]
	ds_read_b128 v[196:199], v183 offset:1376
	s_clause 0x2
	buffer_load_dword v203, off, s[0:3], 0 offset:652
	buffer_load_dword v208, off, s[0:3], 0 offset:628
	;; [unrolled: 1-line block ×3, first 2 shown]
	s_mov_b32 s4, exec_lo
	s_waitcnt vmcnt(62) lgkmcnt(2)
	v_mul_f64 v[188:189], v[186:187], v[131:132]
	v_mul_f64 v[131:132], v[184:185], v[131:132]
	s_waitcnt lgkmcnt(1)
	v_mul_f64 v[205:206], v[194:195], v[5:6]
	s_waitcnt vmcnt(59) lgkmcnt(0)
	v_mul_f64 v[209:210], v[198:199], v[3:4]
	v_fma_f64 v[184:185], v[184:185], v[7:8], -v[188:189]
	v_mul_f64 v[188:189], v[192:193], v[5:6]
	v_fma_f64 v[131:132], v[186:187], v[7:8], v[131:132]
	s_waitcnt vmcnt(57)
	v_fma_f64 v[192:193], v[192:193], v[1:2], -v[205:206]
	ds_read_b128 v[5:8], v183 offset:1392
	v_mul_f64 v[186:187], v[196:197], v[3:4]
	s_waitcnt vmcnt(51)
	v_fma_f64 v[196:197], v[196:197], v[147:148], -v[209:210]
	v_add_f64 v[184:185], v[184:185], 0
	v_fma_f64 v[188:189], v[194:195], v[1:2], v[188:189]
	v_add_f64 v[131:132], v[131:132], 0
	s_clause 0x4
	buffer_load_dword v195, off, s[0:3], 0 offset:668
	buffer_load_dword v211, off, s[0:3], 0 offset:680
	;; [unrolled: 1-line block ×5, first 2 shown]
	s_waitcnt lgkmcnt(0)
	v_mul_f64 v[214:215], v[5:6], v[135:136]
	v_mul_f64 v[135:136], v[7:8], v[135:136]
	ds_read_b128 v[1:4], v183 offset:1408
	v_fma_f64 v[147:148], v[198:199], v[147:148], v[186:187]
	v_add_f64 v[192:193], v[184:185], v[192:193]
	v_add_f64 v[131:132], v[131:132], v[188:189]
	s_clause 0x2
	buffer_load_dword v212, off, s[0:3], 0 offset:684
	buffer_load_dword v189, off, s[0:3], 0 offset:660
	;; [unrolled: 1-line block ×3, first 2 shown]
	s_waitcnt vmcnt(58) lgkmcnt(0)
	v_mul_f64 v[198:199], v[1:2], v[139:140]
	v_mul_f64 v[139:140], v[3:4], v[139:140]
	s_waitcnt vmcnt(56)
	v_fma_f64 v[135:136], v[5:6], v[141:142], -v[135:136]
	ds_read_b128 v[184:187], v183 offset:1424
	v_fma_f64 v[141:142], v[7:8], v[141:142], v[214:215]
	v_add_f64 v[192:193], v[192:193], v[196:197]
	v_add_f64 v[131:132], v[131:132], v[147:148]
	s_clause 0x4
	buffer_load_dword v148, off, s[0:3], 0 offset:700
	buffer_load_dword v196, off, s[0:3], 0 offset:712
	;; [unrolled: 1-line block ×5, first 2 shown]
	ds_read_b128 v[5:8], v183 offset:1440
	s_waitcnt vmcnt(57) lgkmcnt(1)
	v_mul_f64 v[215:216], v[184:185], v[143:144]
	v_mul_f64 v[143:144], v[186:187], v[143:144]
	s_waitcnt vmcnt(56)
	v_fma_f64 v[139:140], v[1:2], v[133:134], -v[139:140]
	v_fma_f64 v[133:134], v[3:4], v[133:134], v[198:199]
	v_add_f64 v[135:136], v[192:193], v[135:136]
	v_add_f64 v[131:132], v[131:132], v[141:142]
	s_clause 0x2
	buffer_load_dword v197, off, s[0:3], 0 offset:716
	buffer_load_dword v142, off, s[0:3], 0 offset:692
	;; [unrolled: 1-line block ×3, first 2 shown]
	s_waitcnt vmcnt(58) lgkmcnt(0)
	v_mul_f64 v[192:193], v[5:6], v[149:150]
	v_mul_f64 v[149:150], v[7:8], v[149:150]
	s_waitcnt vmcnt(56)
	v_fma_f64 v[143:144], v[184:185], v[151:152], -v[143:144]
	ds_read_b128 v[1:4], v183 offset:1456
	v_add_f64 v[135:136], v[135:136], v[139:140]
	v_fma_f64 v[139:140], v[186:187], v[151:152], v[215:216]
	v_add_f64 v[151:152], v[131:132], v[133:134]
	s_clause 0x4
	buffer_load_dword v185, off, s[0:3], 0 offset:732
	buffer_load_dword v186, off, s[0:3], 0 offset:744
	buffer_load_dword v198, off, s[0:3], 0 offset:736
	buffer_load_dword v184, off, s[0:3], 0 offset:728
	buffer_load_dword v210, off, s[0:3], 0 offset:708
	ds_read_b128 v[131:134], v183 offset:1472
	s_waitcnt vmcnt(57) lgkmcnt(1)
	v_mul_f64 v[215:216], v[1:2], v[153:154]
	v_mul_f64 v[153:154], v[3:4], v[153:154]
	s_waitcnt vmcnt(56)
	v_fma_f64 v[149:150], v[5:6], v[137:138], -v[149:150]
	v_fma_f64 v[137:138], v[7:8], v[137:138], v[192:193]
	v_add_f64 v[135:136], v[135:136], v[143:144]
	s_clause 0x2
	buffer_load_dword v187, off, s[0:3], 0 offset:748
	buffer_load_dword v144, off, s[0:3], 0 offset:724
	;; [unrolled: 1-line block ×3, first 2 shown]
	v_add_f64 v[139:140], v[151:152], v[139:140]
	s_waitcnt vmcnt(58) lgkmcnt(0)
	v_mul_f64 v[151:152], v[131:132], v[157:158]
	v_mul_f64 v[157:158], v[133:134], v[157:158]
	ds_read_b128 v[5:8], v183 offset:1488
	s_waitcnt vmcnt(56)
	v_fma_f64 v[153:154], v[1:2], v[159:160], -v[153:154]
	v_add_f64 v[135:136], v[135:136], v[149:150]
	v_fma_f64 v[149:150], v[3:4], v[159:160], v[215:216]
	v_add_f64 v[137:138], v[139:140], v[137:138]
	s_clause 0x4
	buffer_load_dword v140, off, s[0:3], 0 offset:764
	buffer_load_dword v159, off, s[0:3], 0 offset:776
	;; [unrolled: 1-line block ×5, first 2 shown]
	s_waitcnt vmcnt(57) lgkmcnt(0)
	v_mul_f64 v[215:216], v[5:6], v[161:162]
	v_mul_f64 v[161:162], v[7:8], v[161:162]
	s_waitcnt vmcnt(56)
	v_fma_f64 v[157:158], v[131:132], v[145:146], -v[157:158]
	ds_read_b128 v[1:4], v183 offset:1504
	v_fma_f64 v[145:146], v[133:134], v[145:146], v[151:152]
	v_add_f64 v[135:136], v[135:136], v[153:154]
	v_add_f64 v[137:138], v[137:138], v[149:150]
	s_clause 0x2
	buffer_load_dword v160, off, s[0:3], 0 offset:780
	buffer_load_dword v150, off, s[0:3], 0 offset:756
	;; [unrolled: 1-line block ×3, first 2 shown]
	ds_read_b128 v[131:134], v183 offset:1520
	s_waitcnt vmcnt(58) lgkmcnt(1)
	v_mul_f64 v[153:154], v[3:4], v[165:166]
	s_waitcnt vmcnt(56)
	v_fma_f64 v[161:162], v[5:6], v[167:168], -v[161:162]
	v_mul_f64 v[151:152], v[1:2], v[165:166]
	v_add_f64 v[135:136], v[135:136], v[157:158]
	v_fma_f64 v[157:158], v[7:8], v[167:168], v[215:216]
	v_add_f64 v[137:138], v[137:138], v[145:146]
	s_clause 0x4
	buffer_load_dword v146, off, s[0:3], 0 offset:796
	buffer_load_dword v165, off, s[0:3], 0 offset:808
	;; [unrolled: 1-line block ×5, first 2 shown]
	s_waitcnt vmcnt(57) lgkmcnt(0)
	v_mul_f64 v[215:216], v[131:132], v[169:170]
	v_mul_f64 v[168:169], v[133:134], v[169:170]
	s_waitcnt vmcnt(56)
	v_fma_f64 v[153:154], v[1:2], v[155:156], -v[153:154]
	ds_read_b128 v[5:8], v183 offset:1536
	v_fma_f64 v[151:152], v[3:4], v[155:156], v[151:152]
	s_clause 0x2
	buffer_load_dword v166, off, s[0:3], 0 offset:812
	buffer_load_dword v156, off, s[0:3], 0 offset:788
	;; [unrolled: 1-line block ×3, first 2 shown]
	ds_read_b128 v[1:4], v183 offset:1552
	v_add_f64 v[135:136], v[135:136], v[161:162]
	v_add_f64 v[137:138], v[137:138], v[157:158]
	s_waitcnt vmcnt(58) lgkmcnt(1)
	v_mul_f64 v[161:162], v[7:8], v[173:174]
	s_waitcnt vmcnt(56)
	v_fma_f64 v[169:170], v[131:132], v[175:176], -v[168:169]
	v_mul_f64 v[157:158], v[5:6], v[173:174]
	v_add_f64 v[135:136], v[135:136], v[153:154]
	v_fma_f64 v[153:154], v[133:134], v[175:176], v[215:216]
	v_add_f64 v[137:138], v[137:138], v[151:152]
	s_clause 0x4
	buffer_load_dword v152, off, s[0:3], 0 offset:828
	buffer_load_dword v173, off, s[0:3], 0 offset:840
	;; [unrolled: 1-line block ×5, first 2 shown]
	s_waitcnt vmcnt(57) lgkmcnt(0)
	v_mul_f64 v[215:216], v[1:2], v[177:178]
	v_mul_f64 v[176:177], v[3:4], v[177:178]
	s_waitcnt vmcnt(56)
	v_fma_f64 v[161:162], v[5:6], v[163:164], -v[161:162]
	ds_read_b128 v[131:134], v183 offset:1568
	v_fma_f64 v[157:158], v[7:8], v[163:164], v[157:158]
	v_add_f64 v[135:136], v[135:136], v[169:170]
	v_add_f64 v[137:138], v[137:138], v[153:154]
	s_clause 0x2
	buffer_load_dword v174, off, s[0:3], 0 offset:844
	buffer_load_dword v154, off, s[0:3], 0 offset:820
	buffer_load_dword v153, off, s[0:3], 0 offset:816
	ds_read_b128 v[5:8], v183 offset:1584
	s_waitcnt vmcnt(58) lgkmcnt(1)
	v_mul_f64 v[169:170], v[133:134], v[179:180]
	s_waitcnt vmcnt(56)
	v_fma_f64 v[177:178], v[1:2], v[181:182], -v[176:177]
	v_mul_f64 v[163:164], v[131:132], v[179:180]
	v_add_f64 v[135:136], v[135:136], v[161:162]
	v_fma_f64 v[161:162], v[3:4], v[181:182], v[215:216]
	v_add_f64 v[137:138], v[137:138], v[157:158]
	s_clause 0x4
	buffer_load_dword v158, off, s[0:3], 0 offset:860
	buffer_load_dword v179, off, s[0:3], 0 offset:872
	;; [unrolled: 1-line block ×5, first 2 shown]
	s_waitcnt vmcnt(57) lgkmcnt(0)
	v_mul_f64 v[215:216], v[5:6], v[200:201]
	v_mul_f64 v[200:201], v[7:8], v[200:201]
	s_waitcnt vmcnt(56)
	v_fma_f64 v[169:170], v[131:132], v[171:172], -v[169:170]
	ds_read_b128 v[1:4], v183 offset:1600
	v_fma_f64 v[163:164], v[133:134], v[171:172], v[163:164]
	v_add_f64 v[135:136], v[135:136], v[177:178]
	v_add_f64 v[137:138], v[137:138], v[161:162]
	s_clause 0x2
	buffer_load_dword v180, off, s[0:3], 0 offset:876
	buffer_load_dword v162, off, s[0:3], 0 offset:852
	;; [unrolled: 1-line block ×3, first 2 shown]
	ds_read_b128 v[131:134], v183 offset:1616
	s_waitcnt vmcnt(58) lgkmcnt(1)
	v_mul_f64 v[177:178], v[3:4], v[202:203]
	s_waitcnt vmcnt(56)
	v_fma_f64 v[200:201], v[5:6], v[207:208], -v[200:201]
	v_mul_f64 v[171:172], v[1:2], v[202:203]
	v_add_f64 v[135:136], v[135:136], v[169:170]
	v_fma_f64 v[169:170], v[7:8], v[207:208], v[215:216]
	v_add_f64 v[137:138], v[137:138], v[163:164]
	s_clause 0x4
	buffer_load_dword v164, off, s[0:3], 0 offset:892
	buffer_load_dword v202, off, s[0:3], 0 offset:904
	;; [unrolled: 1-line block ×5, first 2 shown]
	ds_read_b128 v[5:8], v183 offset:1632
	s_waitcnt vmcnt(57) lgkmcnt(1)
	v_mul_f64 v[207:208], v[131:132], v[194:195]
	v_mul_f64 v[194:195], v[133:134], v[194:195]
	s_waitcnt vmcnt(56)
	v_fma_f64 v[177:178], v[1:2], v[204:205], -v[177:178]
	v_fma_f64 v[171:172], v[3:4], v[204:205], v[171:172]
	v_add_f64 v[135:136], v[135:136], v[200:201]
	v_add_f64 v[137:138], v[137:138], v[169:170]
	s_clause 0x2
	buffer_load_dword v203, off, s[0:3], 0 offset:908
	buffer_load_dword v170, off, s[0:3], 0 offset:884
	buffer_load_dword v169, off, s[0:3], 0 offset:880
	ds_read_b128 v[1:4], v183 offset:1648
	s_waitcnt vmcnt(58) lgkmcnt(1)
	v_mul_f64 v[204:205], v[7:8], v[211:212]
	v_mul_f64 v[200:201], v[5:6], v[211:212]
	s_waitcnt vmcnt(56)
	v_fma_f64 v[194:195], v[131:132], v[188:189], -v[194:195]
	v_add_f64 v[135:136], v[135:136], v[177:178]
	v_fma_f64 v[177:178], v[133:134], v[188:189], v[207:208]
	v_add_f64 v[137:138], v[137:138], v[171:172]
	s_clause 0x4
	buffer_load_dword v172, off, s[0:3], 0 offset:924
	buffer_load_dword v188, off, s[0:3], 0 offset:936
	;; [unrolled: 1-line block ×5, first 2 shown]
	ds_read_b128 v[131:134], v183 offset:1664
	s_waitcnt vmcnt(57) lgkmcnt(1)
	v_mul_f64 v[215:216], v[1:2], v[147:148]
	v_mul_f64 v[147:148], v[3:4], v[147:148]
	s_waitcnt vmcnt(56)
	v_fma_f64 v[204:205], v[5:6], v[213:214], -v[204:205]
	v_add_f64 v[135:136], v[135:136], v[194:195]
	v_fma_f64 v[194:195], v[7:8], v[213:214], v[200:201]
	v_add_f64 v[137:138], v[137:138], v[177:178]
	s_clause 0x2
	buffer_load_dword v189, off, s[0:3], 0 offset:940
	buffer_load_dword v178, off, s[0:3], 0 offset:916
	;; [unrolled: 1-line block ×3, first 2 shown]
	ds_read_b128 v[5:8], v183 offset:1680
	s_waitcnt vmcnt(58) lgkmcnt(1)
	v_mul_f64 v[200:201], v[131:132], v[196:197]
	v_mul_f64 v[196:197], v[133:134], v[196:197]
	s_waitcnt vmcnt(56)
	v_fma_f64 v[147:148], v[1:2], v[141:142], -v[147:148]
	v_fma_f64 v[141:142], v[3:4], v[141:142], v[215:216]
	v_add_f64 v[135:136], v[135:136], v[204:205]
	v_add_f64 v[137:138], v[137:138], v[194:195]
	s_clause 0x4
	buffer_load_dword v195, off, s[0:3], 0 offset:956
	buffer_load_dword v204, off, s[0:3], 0 offset:968
	;; [unrolled: 1-line block ×5, first 2 shown]
	ds_read_b128 v[1:4], v183 offset:1696
	s_waitcnt vmcnt(57) lgkmcnt(1)
	v_mul_f64 v[213:214], v[5:6], v[184:185]
	v_mul_f64 v[184:185], v[7:8], v[184:185]
	s_waitcnt vmcnt(56)
	v_fma_f64 v[196:197], v[131:132], v[209:210], -v[196:197]
	v_add_f64 v[135:136], v[135:136], v[147:148]
	v_fma_f64 v[147:148], v[133:134], v[209:210], v[200:201]
	v_add_f64 v[137:138], v[137:138], v[141:142]
	s_clause 0x2
	buffer_load_dword v205, off, s[0:3], 0 offset:972
	buffer_load_dword v142, off, s[0:3], 0 offset:948
	;; [unrolled: 1-line block ×3, first 2 shown]
	ds_read_b128 v[131:134], v183 offset:1712
	s_waitcnt vmcnt(58) lgkmcnt(1)
	v_mul_f64 v[200:201], v[1:2], v[186:187]
	v_mul_f64 v[186:187], v[3:4], v[186:187]
	s_waitcnt vmcnt(56)
	v_fma_f64 v[184:185], v[5:6], v[143:144], -v[184:185]
	v_fma_f64 v[143:144], v[7:8], v[143:144], v[213:214]
	v_add_f64 v[135:136], v[135:136], v[196:197]
	v_add_f64 v[137:138], v[137:138], v[147:148]
	s_clause 0x2
	buffer_load_dword v148, off, s[0:3], 0 offset:988
	buffer_load_dword v147, off, s[0:3], 0 offset:984
	;; [unrolled: 1-line block ×3, first 2 shown]
	ds_read_b128 v[5:8], v183 offset:1728
	s_waitcnt vmcnt(55) lgkmcnt(1)
	v_mul_f64 v[196:197], v[131:132], v[139:140]
	v_mul_f64 v[139:140], v[133:134], v[139:140]
	s_waitcnt vmcnt(54)
	v_fma_f64 v[186:187], v[1:2], v[198:199], -v[186:187]
	v_add_f64 v[135:136], v[135:136], v[184:185]
	v_fma_f64 v[184:185], v[3:4], v[198:199], v[200:201]
	v_add_f64 v[137:138], v[137:138], v[143:144]
	s_clause 0x1
	buffer_load_dword v144, off, s[0:3], 0 offset:980
	buffer_load_dword v143, off, s[0:3], 0 offset:976
	ds_read_b128 v[1:4], v183 offset:1744
	s_waitcnt vmcnt(55) lgkmcnt(1)
	v_mul_f64 v[198:199], v[5:6], v[159:160]
	v_mul_f64 v[159:160], v[7:8], v[159:160]
	s_waitcnt vmcnt(53)
	v_fma_f64 v[139:140], v[131:132], v[149:150], -v[139:140]
	v_fma_f64 v[149:150], v[133:134], v[149:150], v[196:197]
	ds_read_b128 v[131:134], v183 offset:1760
	v_add_f64 v[135:136], v[135:136], v[186:187]
	v_add_f64 v[137:138], v[137:138], v[184:185]
	s_waitcnt vmcnt(49) lgkmcnt(1)
	v_mul_f64 v[184:185], v[1:2], v[145:146]
	v_mul_f64 v[145:146], v[3:4], v[145:146]
	s_waitcnt vmcnt(48)
	v_fma_f64 v[159:160], v[5:6], v[192:193], -v[159:160]
	v_add_f64 v[135:136], v[135:136], v[139:140]
	v_fma_f64 v[139:140], v[7:8], v[192:193], v[198:199]
	v_add_f64 v[137:138], v[137:138], v[149:150]
	s_clause 0x3
	buffer_load_dword v149, off, s[0:3], 0 offset:368
	buffer_load_dword v150, off, s[0:3], 0 offset:372
	;; [unrolled: 1-line block ×4, first 2 shown]
	s_waitcnt vmcnt(51) lgkmcnt(0)
	v_mul_f64 v[192:193], v[131:132], v[165:166]
	v_mul_f64 v[165:166], v[133:134], v[165:166]
	ds_read_b128 v[5:8], v183 offset:1776
	s_waitcnt vmcnt(49)
	v_fma_f64 v[145:146], v[1:2], v[155:156], -v[145:146]
	v_fma_f64 v[155:156], v[3:4], v[155:156], v[184:185]
	ds_read_b128 v[1:4], v183 offset:1792
	v_add_f64 v[135:136], v[135:136], v[159:160]
	v_add_f64 v[137:138], v[137:138], v[139:140]
	s_waitcnt vmcnt(45) lgkmcnt(1)
	v_mul_f64 v[139:140], v[5:6], v[151:152]
	v_mul_f64 v[151:152], v[7:8], v[151:152]
	s_waitcnt vmcnt(44)
	v_fma_f64 v[159:160], v[131:132], v[167:168], -v[165:166]
	v_add_f64 v[135:136], v[135:136], v[145:146]
	v_fma_f64 v[145:146], v[133:134], v[167:168], v[192:193]
	v_add_f64 v[137:138], v[137:138], v[155:156]
	ds_read_b128 v[131:134], v183 offset:1808
	s_waitcnt vmcnt(43) lgkmcnt(1)
	v_mul_f64 v[165:166], v[3:4], v[173:174]
	v_mul_f64 v[155:156], v[1:2], v[173:174]
	s_waitcnt vmcnt(41)
	v_fma_f64 v[151:152], v[5:6], v[153:154], -v[151:152]
	v_fma_f64 v[139:140], v[7:8], v[153:154], v[139:140]
	ds_read_b128 v[5:8], v183 offset:1824
	v_add_f64 v[135:136], v[135:136], v[159:160]
	v_add_f64 v[137:138], v[137:138], v[145:146]
	s_waitcnt vmcnt(37) lgkmcnt(1)
	v_mul_f64 v[145:146], v[131:132], v[157:158]
	v_mul_f64 v[153:154], v[133:134], v[157:158]
	s_waitcnt vmcnt(36)
	v_fma_f64 v[157:158], v[1:2], v[175:176], -v[165:166]
	v_add_f64 v[135:136], v[135:136], v[151:152]
	v_fma_f64 v[151:152], v[3:4], v[175:176], v[155:156]
	v_add_f64 v[137:138], v[137:138], v[139:140]
	ds_read_b128 v[1:4], v183 offset:1840
	s_waitcnt vmcnt(35) lgkmcnt(1)
	v_mul_f64 v[155:156], v[7:8], v[179:180]
	v_mul_f64 v[139:140], v[5:6], v[179:180]
	s_waitcnt vmcnt(33)
	v_fma_f64 v[153:154], v[131:132], v[161:162], -v[153:154]
	v_fma_f64 v[145:146], v[133:134], v[161:162], v[145:146]
	ds_read_b128 v[131:134], v183 offset:1856
	v_add_f64 v[135:136], v[135:136], v[157:158]
	v_add_f64 v[137:138], v[137:138], v[151:152]
	s_waitcnt vmcnt(29) lgkmcnt(1)
	v_mul_f64 v[157:158], v[3:4], v[163:164]
	s_waitcnt vmcnt(28)
	v_fma_f64 v[155:156], v[5:6], v[181:182], -v[155:156]
	v_mul_f64 v[151:152], v[1:2], v[163:164]
	v_fma_f64 v[139:140], v[7:8], v[181:182], v[139:140]
	ds_read_b128 v[5:8], v183 offset:1872
	v_add_f64 v[135:136], v[135:136], v[153:154]
	v_add_f64 v[137:138], v[137:138], v[145:146]
	s_waitcnt vmcnt(27) lgkmcnt(1)
	v_mul_f64 v[153:154], v[133:134], v[202:203]
	v_mul_f64 v[145:146], v[131:132], v[202:203]
	s_waitcnt vmcnt(25)
	v_fma_f64 v[157:158], v[1:2], v[169:170], -v[157:158]
	v_fma_f64 v[151:152], v[3:4], v[169:170], v[151:152]
	ds_read_b128 v[1:4], v183 offset:1888
	v_add_f64 v[135:136], v[135:136], v[155:156]
	v_add_f64 v[137:138], v[137:138], v[139:140]
	s_waitcnt vmcnt(21) lgkmcnt(1)
	v_mul_f64 v[155:156], v[7:8], v[171:172]
	s_waitcnt vmcnt(20)
	v_fma_f64 v[153:154], v[131:132], v[206:207], -v[153:154]
	v_mul_f64 v[139:140], v[5:6], v[171:172]
	v_fma_f64 v[145:146], v[133:134], v[206:207], v[145:146]
	ds_read_b128 v[131:134], v183 offset:1904
	v_add_f64 v[135:136], v[135:136], v[157:158]
	v_add_f64 v[137:138], v[137:138], v[151:152]
	;; [unrolled: 18-line block ×3, first 2 shown]
	s_waitcnt vmcnt(11) lgkmcnt(1)
	v_mul_f64 v[155:156], v[7:8], v[204:205]
	v_mul_f64 v[139:140], v[5:6], v[204:205]
	s_waitcnt vmcnt(9)
	v_fma_f64 v[131:132], v[131:132], v[141:142], -v[153:154]
	v_fma_f64 v[133:134], v[133:134], v[141:142], v[145:146]
	v_add_f64 v[135:136], v[135:136], v[157:158]
	v_add_f64 v[137:138], v[137:138], v[151:152]
	s_waitcnt vmcnt(7) lgkmcnt(0)
	v_mul_f64 v[145:146], v[3:4], v[147:148]
	s_waitcnt vmcnt(6)
	v_fma_f64 v[5:6], v[5:6], v[208:209], -v[155:156]
	v_mul_f64 v[141:142], v[1:2], v[147:148]
	v_fma_f64 v[7:8], v[7:8], v[208:209], v[139:140]
	v_add_f64 v[131:132], v[135:136], v[131:132]
	v_add_f64 v[133:134], v[137:138], v[133:134]
	s_waitcnt vmcnt(4)
	v_fma_f64 v[1:2], v[1:2], v[143:144], -v[145:146]
	v_fma_f64 v[3:4], v[3:4], v[143:144], v[141:142]
	v_add_f64 v[5:6], v[131:132], v[5:6]
	v_add_f64 v[7:8], v[133:134], v[7:8]
	;; [unrolled: 1-line block ×4, first 2 shown]
	s_waitcnt vmcnt(2)
	v_add_f64 v[1:2], v[149:150], -v[1:2]
	s_waitcnt vmcnt(0)
	v_add_f64 v[3:4], v[186:187], -v[3:4]
	buffer_store_dword v2, off, s[0:3], 0 offset:372
	buffer_store_dword v1, off, s[0:3], 0 offset:368
	;; [unrolled: 1-line block ×4, first 2 shown]
	v_cmpx_lt_u32_e32 21, v0
	s_cbranch_execz .LBB124_349
; %bb.348:
	v_mov_b32_e32 v4, s54
	v_mov_b32_e32 v5, 0
	s_clause 0x3
	buffer_load_dword v1, v4, s[0:3], 0 offen
	buffer_load_dword v2, v4, s[0:3], 0 offen offset:4
	buffer_load_dword v3, v4, s[0:3], 0 offen offset:8
	;; [unrolled: 1-line block ×3, first 2 shown]
	buffer_store_dword v5, off, s[0:3], 0 offset:352
	buffer_store_dword v5, off, s[0:3], 0 offset:356
	;; [unrolled: 1-line block ×4, first 2 shown]
	s_waitcnt vmcnt(0)
	ds_write_b128 v191, v[1:4]
.LBB124_349:
	s_or_b32 exec_lo, exec_lo, s4
	s_waitcnt lgkmcnt(0)
	s_waitcnt_vscnt null, 0x0
	s_barrier
	buffer_gl0_inv
	s_clause 0x37
	buffer_load_dword v131, off, s[0:3], 0 offset:376
	buffer_load_dword v132, off, s[0:3], 0 offset:380
	;; [unrolled: 1-line block ×56, first 2 shown]
	v_mov_b32_e32 v183, 0
	s_mov_b32 s4, exec_lo
	ds_read_b128 v[184:187], v183 offset:1328
	s_clause 0x2
	buffer_load_dword v180, off, s[0:3], 0 offset:604
	buffer_load_dword v182, off, s[0:3], 0 offset:580
	;; [unrolled: 1-line block ×3, first 2 shown]
	ds_read_b128 v[192:195], v183 offset:1344
	s_clause 0x4
	buffer_load_dword v201, off, s[0:3], 0 offset:620
	buffer_load_dword v202, off, s[0:3], 0 offset:632
	;; [unrolled: 1-line block ×5, first 2 shown]
	ds_read_b128 v[196:199], v183 offset:1360
	s_clause 0x2
	buffer_load_dword v203, off, s[0:3], 0 offset:636
	buffer_load_dword v208, off, s[0:3], 0 offset:612
	;; [unrolled: 1-line block ×3, first 2 shown]
	s_waitcnt vmcnt(62) lgkmcnt(2)
	v_mul_f64 v[188:189], v[186:187], v[131:132]
	v_mul_f64 v[131:132], v[184:185], v[131:132]
	s_waitcnt lgkmcnt(1)
	v_mul_f64 v[205:206], v[194:195], v[5:6]
	s_waitcnt vmcnt(59) lgkmcnt(0)
	v_mul_f64 v[209:210], v[198:199], v[3:4]
	v_fma_f64 v[184:185], v[184:185], v[7:8], -v[188:189]
	v_mul_f64 v[188:189], v[192:193], v[5:6]
	v_fma_f64 v[131:132], v[186:187], v[7:8], v[131:132]
	s_waitcnt vmcnt(57)
	v_fma_f64 v[192:193], v[192:193], v[1:2], -v[205:206]
	ds_read_b128 v[5:8], v183 offset:1376
	v_mul_f64 v[186:187], v[196:197], v[3:4]
	s_waitcnt vmcnt(51)
	v_fma_f64 v[196:197], v[196:197], v[147:148], -v[209:210]
	v_add_f64 v[184:185], v[184:185], 0
	v_fma_f64 v[188:189], v[194:195], v[1:2], v[188:189]
	v_add_f64 v[131:132], v[131:132], 0
	s_clause 0x4
	buffer_load_dword v195, off, s[0:3], 0 offset:652
	buffer_load_dword v211, off, s[0:3], 0 offset:664
	;; [unrolled: 1-line block ×5, first 2 shown]
	s_waitcnt lgkmcnt(0)
	v_mul_f64 v[214:215], v[5:6], v[135:136]
	v_mul_f64 v[135:136], v[7:8], v[135:136]
	ds_read_b128 v[1:4], v183 offset:1392
	v_fma_f64 v[147:148], v[198:199], v[147:148], v[186:187]
	v_add_f64 v[192:193], v[184:185], v[192:193]
	v_add_f64 v[131:132], v[131:132], v[188:189]
	s_clause 0x2
	buffer_load_dword v212, off, s[0:3], 0 offset:668
	buffer_load_dword v189, off, s[0:3], 0 offset:644
	;; [unrolled: 1-line block ×3, first 2 shown]
	s_waitcnt vmcnt(58) lgkmcnt(0)
	v_mul_f64 v[198:199], v[1:2], v[139:140]
	v_mul_f64 v[139:140], v[3:4], v[139:140]
	s_waitcnt vmcnt(56)
	v_fma_f64 v[135:136], v[5:6], v[141:142], -v[135:136]
	ds_read_b128 v[184:187], v183 offset:1408
	v_fma_f64 v[141:142], v[7:8], v[141:142], v[214:215]
	v_add_f64 v[192:193], v[192:193], v[196:197]
	v_add_f64 v[131:132], v[131:132], v[147:148]
	s_clause 0x4
	buffer_load_dword v148, off, s[0:3], 0 offset:684
	buffer_load_dword v196, off, s[0:3], 0 offset:696
	;; [unrolled: 1-line block ×5, first 2 shown]
	ds_read_b128 v[5:8], v183 offset:1424
	s_waitcnt vmcnt(57) lgkmcnt(1)
	v_mul_f64 v[215:216], v[184:185], v[143:144]
	v_mul_f64 v[143:144], v[186:187], v[143:144]
	s_waitcnt vmcnt(56)
	v_fma_f64 v[139:140], v[1:2], v[133:134], -v[139:140]
	v_fma_f64 v[133:134], v[3:4], v[133:134], v[198:199]
	v_add_f64 v[135:136], v[192:193], v[135:136]
	v_add_f64 v[131:132], v[131:132], v[141:142]
	s_clause 0x2
	buffer_load_dword v197, off, s[0:3], 0 offset:700
	buffer_load_dword v142, off, s[0:3], 0 offset:676
	;; [unrolled: 1-line block ×3, first 2 shown]
	s_waitcnt vmcnt(58) lgkmcnt(0)
	v_mul_f64 v[192:193], v[5:6], v[149:150]
	v_mul_f64 v[149:150], v[7:8], v[149:150]
	s_waitcnt vmcnt(56)
	v_fma_f64 v[143:144], v[184:185], v[151:152], -v[143:144]
	ds_read_b128 v[1:4], v183 offset:1440
	v_add_f64 v[135:136], v[135:136], v[139:140]
	v_fma_f64 v[139:140], v[186:187], v[151:152], v[215:216]
	v_add_f64 v[151:152], v[131:132], v[133:134]
	s_clause 0x4
	buffer_load_dword v185, off, s[0:3], 0 offset:716
	buffer_load_dword v186, off, s[0:3], 0 offset:728
	;; [unrolled: 1-line block ×5, first 2 shown]
	ds_read_b128 v[131:134], v183 offset:1456
	s_waitcnt vmcnt(57) lgkmcnt(1)
	v_mul_f64 v[215:216], v[1:2], v[153:154]
	v_mul_f64 v[153:154], v[3:4], v[153:154]
	s_waitcnt vmcnt(56)
	v_fma_f64 v[149:150], v[5:6], v[137:138], -v[149:150]
	v_fma_f64 v[137:138], v[7:8], v[137:138], v[192:193]
	v_add_f64 v[135:136], v[135:136], v[143:144]
	s_clause 0x2
	buffer_load_dword v187, off, s[0:3], 0 offset:732
	buffer_load_dword v144, off, s[0:3], 0 offset:708
	;; [unrolled: 1-line block ×3, first 2 shown]
	v_add_f64 v[139:140], v[151:152], v[139:140]
	s_waitcnt vmcnt(58) lgkmcnt(0)
	v_mul_f64 v[151:152], v[131:132], v[157:158]
	v_mul_f64 v[157:158], v[133:134], v[157:158]
	ds_read_b128 v[5:8], v183 offset:1472
	s_waitcnt vmcnt(56)
	v_fma_f64 v[153:154], v[1:2], v[159:160], -v[153:154]
	v_add_f64 v[135:136], v[135:136], v[149:150]
	v_fma_f64 v[149:150], v[3:4], v[159:160], v[215:216]
	v_add_f64 v[137:138], v[139:140], v[137:138]
	s_clause 0x4
	buffer_load_dword v140, off, s[0:3], 0 offset:748
	buffer_load_dword v159, off, s[0:3], 0 offset:760
	;; [unrolled: 1-line block ×5, first 2 shown]
	s_waitcnt vmcnt(57) lgkmcnt(0)
	v_mul_f64 v[215:216], v[5:6], v[161:162]
	v_mul_f64 v[161:162], v[7:8], v[161:162]
	s_waitcnt vmcnt(56)
	v_fma_f64 v[157:158], v[131:132], v[145:146], -v[157:158]
	ds_read_b128 v[1:4], v183 offset:1488
	v_fma_f64 v[145:146], v[133:134], v[145:146], v[151:152]
	v_add_f64 v[135:136], v[135:136], v[153:154]
	v_add_f64 v[137:138], v[137:138], v[149:150]
	s_clause 0x2
	buffer_load_dword v160, off, s[0:3], 0 offset:764
	buffer_load_dword v150, off, s[0:3], 0 offset:740
	;; [unrolled: 1-line block ×3, first 2 shown]
	ds_read_b128 v[131:134], v183 offset:1504
	s_waitcnt vmcnt(58) lgkmcnt(1)
	v_mul_f64 v[153:154], v[3:4], v[165:166]
	s_waitcnt vmcnt(56)
	v_fma_f64 v[161:162], v[5:6], v[167:168], -v[161:162]
	v_mul_f64 v[151:152], v[1:2], v[165:166]
	v_add_f64 v[135:136], v[135:136], v[157:158]
	v_fma_f64 v[157:158], v[7:8], v[167:168], v[215:216]
	v_add_f64 v[137:138], v[137:138], v[145:146]
	s_clause 0x4
	buffer_load_dword v146, off, s[0:3], 0 offset:780
	buffer_load_dword v165, off, s[0:3], 0 offset:792
	;; [unrolled: 1-line block ×5, first 2 shown]
	s_waitcnt vmcnt(57) lgkmcnt(0)
	v_mul_f64 v[215:216], v[131:132], v[169:170]
	v_mul_f64 v[168:169], v[133:134], v[169:170]
	s_waitcnt vmcnt(56)
	v_fma_f64 v[153:154], v[1:2], v[155:156], -v[153:154]
	ds_read_b128 v[5:8], v183 offset:1520
	v_fma_f64 v[151:152], v[3:4], v[155:156], v[151:152]
	s_clause 0x2
	buffer_load_dword v166, off, s[0:3], 0 offset:796
	buffer_load_dword v156, off, s[0:3], 0 offset:772
	;; [unrolled: 1-line block ×3, first 2 shown]
	ds_read_b128 v[1:4], v183 offset:1536
	v_add_f64 v[135:136], v[135:136], v[161:162]
	v_add_f64 v[137:138], v[137:138], v[157:158]
	s_waitcnt vmcnt(58) lgkmcnt(1)
	v_mul_f64 v[161:162], v[7:8], v[173:174]
	s_waitcnt vmcnt(56)
	v_fma_f64 v[169:170], v[131:132], v[175:176], -v[168:169]
	v_mul_f64 v[157:158], v[5:6], v[173:174]
	v_add_f64 v[135:136], v[135:136], v[153:154]
	v_fma_f64 v[153:154], v[133:134], v[175:176], v[215:216]
	v_add_f64 v[137:138], v[137:138], v[151:152]
	s_clause 0x4
	buffer_load_dword v152, off, s[0:3], 0 offset:812
	buffer_load_dword v173, off, s[0:3], 0 offset:824
	;; [unrolled: 1-line block ×5, first 2 shown]
	s_waitcnt vmcnt(57) lgkmcnt(0)
	v_mul_f64 v[215:216], v[1:2], v[177:178]
	v_mul_f64 v[176:177], v[3:4], v[177:178]
	s_waitcnt vmcnt(56)
	v_fma_f64 v[161:162], v[5:6], v[163:164], -v[161:162]
	ds_read_b128 v[131:134], v183 offset:1552
	v_fma_f64 v[157:158], v[7:8], v[163:164], v[157:158]
	v_add_f64 v[135:136], v[135:136], v[169:170]
	v_add_f64 v[137:138], v[137:138], v[153:154]
	s_clause 0x2
	buffer_load_dword v174, off, s[0:3], 0 offset:828
	buffer_load_dword v154, off, s[0:3], 0 offset:804
	buffer_load_dword v153, off, s[0:3], 0 offset:800
	ds_read_b128 v[5:8], v183 offset:1568
	s_waitcnt vmcnt(58) lgkmcnt(1)
	v_mul_f64 v[169:170], v[133:134], v[179:180]
	s_waitcnt vmcnt(56)
	v_fma_f64 v[177:178], v[1:2], v[181:182], -v[176:177]
	v_mul_f64 v[163:164], v[131:132], v[179:180]
	v_add_f64 v[135:136], v[135:136], v[161:162]
	v_fma_f64 v[161:162], v[3:4], v[181:182], v[215:216]
	v_add_f64 v[137:138], v[137:138], v[157:158]
	s_clause 0x4
	buffer_load_dword v158, off, s[0:3], 0 offset:844
	buffer_load_dword v179, off, s[0:3], 0 offset:856
	;; [unrolled: 1-line block ×5, first 2 shown]
	s_waitcnt vmcnt(57) lgkmcnt(0)
	v_mul_f64 v[215:216], v[5:6], v[200:201]
	v_mul_f64 v[200:201], v[7:8], v[200:201]
	s_waitcnt vmcnt(56)
	v_fma_f64 v[169:170], v[131:132], v[171:172], -v[169:170]
	ds_read_b128 v[1:4], v183 offset:1584
	v_fma_f64 v[163:164], v[133:134], v[171:172], v[163:164]
	v_add_f64 v[135:136], v[135:136], v[177:178]
	v_add_f64 v[137:138], v[137:138], v[161:162]
	s_clause 0x2
	buffer_load_dword v180, off, s[0:3], 0 offset:860
	buffer_load_dword v162, off, s[0:3], 0 offset:836
	;; [unrolled: 1-line block ×3, first 2 shown]
	ds_read_b128 v[131:134], v183 offset:1600
	s_waitcnt vmcnt(58) lgkmcnt(1)
	v_mul_f64 v[177:178], v[3:4], v[202:203]
	s_waitcnt vmcnt(56)
	v_fma_f64 v[200:201], v[5:6], v[207:208], -v[200:201]
	v_mul_f64 v[171:172], v[1:2], v[202:203]
	v_add_f64 v[135:136], v[135:136], v[169:170]
	v_fma_f64 v[169:170], v[7:8], v[207:208], v[215:216]
	v_add_f64 v[137:138], v[137:138], v[163:164]
	s_clause 0x4
	buffer_load_dword v164, off, s[0:3], 0 offset:876
	buffer_load_dword v202, off, s[0:3], 0 offset:888
	;; [unrolled: 1-line block ×5, first 2 shown]
	ds_read_b128 v[5:8], v183 offset:1616
	s_waitcnt vmcnt(57) lgkmcnt(1)
	v_mul_f64 v[207:208], v[131:132], v[194:195]
	v_mul_f64 v[194:195], v[133:134], v[194:195]
	s_waitcnt vmcnt(56)
	v_fma_f64 v[177:178], v[1:2], v[204:205], -v[177:178]
	v_fma_f64 v[171:172], v[3:4], v[204:205], v[171:172]
	v_add_f64 v[135:136], v[135:136], v[200:201]
	v_add_f64 v[137:138], v[137:138], v[169:170]
	s_clause 0x2
	buffer_load_dword v203, off, s[0:3], 0 offset:892
	buffer_load_dword v170, off, s[0:3], 0 offset:868
	;; [unrolled: 1-line block ×3, first 2 shown]
	ds_read_b128 v[1:4], v183 offset:1632
	s_waitcnt vmcnt(58) lgkmcnt(1)
	v_mul_f64 v[204:205], v[7:8], v[211:212]
	v_mul_f64 v[200:201], v[5:6], v[211:212]
	s_waitcnt vmcnt(56)
	v_fma_f64 v[194:195], v[131:132], v[188:189], -v[194:195]
	v_add_f64 v[135:136], v[135:136], v[177:178]
	v_fma_f64 v[177:178], v[133:134], v[188:189], v[207:208]
	v_add_f64 v[137:138], v[137:138], v[171:172]
	s_clause 0x4
	buffer_load_dword v172, off, s[0:3], 0 offset:908
	buffer_load_dword v188, off, s[0:3], 0 offset:920
	;; [unrolled: 1-line block ×5, first 2 shown]
	ds_read_b128 v[131:134], v183 offset:1648
	s_waitcnt vmcnt(57) lgkmcnt(1)
	v_mul_f64 v[215:216], v[1:2], v[147:148]
	v_mul_f64 v[147:148], v[3:4], v[147:148]
	s_waitcnt vmcnt(56)
	v_fma_f64 v[204:205], v[5:6], v[213:214], -v[204:205]
	v_add_f64 v[135:136], v[135:136], v[194:195]
	v_fma_f64 v[194:195], v[7:8], v[213:214], v[200:201]
	v_add_f64 v[137:138], v[137:138], v[177:178]
	s_clause 0x2
	buffer_load_dword v189, off, s[0:3], 0 offset:924
	buffer_load_dword v178, off, s[0:3], 0 offset:900
	;; [unrolled: 1-line block ×3, first 2 shown]
	ds_read_b128 v[5:8], v183 offset:1664
	s_waitcnt vmcnt(58) lgkmcnt(1)
	v_mul_f64 v[200:201], v[131:132], v[196:197]
	v_mul_f64 v[196:197], v[133:134], v[196:197]
	s_waitcnt vmcnt(56)
	v_fma_f64 v[147:148], v[1:2], v[141:142], -v[147:148]
	v_fma_f64 v[141:142], v[3:4], v[141:142], v[215:216]
	v_add_f64 v[135:136], v[135:136], v[204:205]
	v_add_f64 v[137:138], v[137:138], v[194:195]
	s_clause 0x4
	buffer_load_dword v195, off, s[0:3], 0 offset:940
	buffer_load_dword v204, off, s[0:3], 0 offset:952
	;; [unrolled: 1-line block ×5, first 2 shown]
	ds_read_b128 v[1:4], v183 offset:1680
	s_waitcnt vmcnt(57) lgkmcnt(1)
	v_mul_f64 v[213:214], v[5:6], v[184:185]
	v_mul_f64 v[184:185], v[7:8], v[184:185]
	s_waitcnt vmcnt(56)
	v_fma_f64 v[196:197], v[131:132], v[209:210], -v[196:197]
	v_add_f64 v[135:136], v[135:136], v[147:148]
	v_fma_f64 v[147:148], v[133:134], v[209:210], v[200:201]
	v_add_f64 v[137:138], v[137:138], v[141:142]
	s_clause 0x2
	buffer_load_dword v205, off, s[0:3], 0 offset:956
	buffer_load_dword v142, off, s[0:3], 0 offset:932
	;; [unrolled: 1-line block ×3, first 2 shown]
	ds_read_b128 v[131:134], v183 offset:1696
	s_waitcnt vmcnt(58) lgkmcnt(1)
	v_mul_f64 v[200:201], v[1:2], v[186:187]
	v_mul_f64 v[186:187], v[3:4], v[186:187]
	s_waitcnt vmcnt(56)
	v_fma_f64 v[184:185], v[5:6], v[143:144], -v[184:185]
	v_fma_f64 v[143:144], v[7:8], v[143:144], v[213:214]
	v_add_f64 v[135:136], v[135:136], v[196:197]
	v_add_f64 v[137:138], v[137:138], v[147:148]
	s_clause 0x4
	buffer_load_dword v148, off, s[0:3], 0 offset:972
	buffer_load_dword v196, off, s[0:3], 0 offset:984
	;; [unrolled: 1-line block ×5, first 2 shown]
	ds_read_b128 v[5:8], v183 offset:1712
	s_waitcnt vmcnt(57) lgkmcnt(1)
	v_mul_f64 v[214:215], v[131:132], v[139:140]
	v_mul_f64 v[139:140], v[133:134], v[139:140]
	s_waitcnt vmcnt(56)
	v_fma_f64 v[186:187], v[1:2], v[198:199], -v[186:187]
	v_add_f64 v[135:136], v[135:136], v[184:185]
	v_fma_f64 v[184:185], v[3:4], v[198:199], v[200:201]
	v_add_f64 v[137:138], v[137:138], v[143:144]
	s_clause 0x2
	buffer_load_dword v197, off, s[0:3], 0 offset:988
	buffer_load_dword v144, off, s[0:3], 0 offset:964
	;; [unrolled: 1-line block ×3, first 2 shown]
	ds_read_b128 v[1:4], v183 offset:1728
	s_waitcnt vmcnt(58) lgkmcnt(1)
	v_mul_f64 v[198:199], v[5:6], v[159:160]
	v_mul_f64 v[159:160], v[7:8], v[159:160]
	s_waitcnt vmcnt(56)
	v_fma_f64 v[139:140], v[131:132], v[149:150], -v[139:140]
	v_fma_f64 v[149:150], v[133:134], v[149:150], v[214:215]
	buffer_load_dword v214, off, s[0:3], 0 offset:980
	ds_read_b128 v[131:134], v183 offset:1744
	v_add_f64 v[135:136], v[135:136], v[186:187]
	v_add_f64 v[137:138], v[137:138], v[184:185]
	s_waitcnt vmcnt(53) lgkmcnt(1)
	v_mul_f64 v[184:185], v[1:2], v[145:146]
	v_mul_f64 v[145:146], v[3:4], v[145:146]
	s_waitcnt vmcnt(52)
	v_fma_f64 v[159:160], v[5:6], v[192:193], -v[159:160]
	v_add_f64 v[135:136], v[135:136], v[139:140]
	v_fma_f64 v[139:140], v[7:8], v[192:193], v[198:199]
	v_add_f64 v[137:138], v[137:138], v[149:150]
	s_waitcnt vmcnt(51) lgkmcnt(0)
	v_mul_f64 v[149:150], v[131:132], v[165:166]
	v_mul_f64 v[165:166], v[133:134], v[165:166]
	ds_read_b128 v[5:8], v183 offset:1760
	s_waitcnt vmcnt(49)
	v_fma_f64 v[145:146], v[1:2], v[155:156], -v[145:146]
	v_fma_f64 v[155:156], v[3:4], v[155:156], v[184:185]
	v_add_f64 v[135:136], v[135:136], v[159:160]
	v_add_f64 v[137:138], v[137:138], v[139:140]
	s_clause 0x3
	buffer_load_dword v139, off, s[0:3], 0 offset:352
	buffer_load_dword v140, off, s[0:3], 0 offset:356
	buffer_load_dword v159, off, s[0:3], 0 offset:360
	buffer_load_dword v160, off, s[0:3], 0 offset:364
	ds_read_b128 v[1:4], v183 offset:1776
	s_waitcnt vmcnt(49) lgkmcnt(1)
	v_mul_f64 v[184:185], v[5:6], v[151:152]
	v_mul_f64 v[151:152], v[7:8], v[151:152]
	s_waitcnt vmcnt(48)
	v_fma_f64 v[165:166], v[131:132], v[167:168], -v[165:166]
	v_add_f64 v[135:136], v[135:136], v[145:146]
	v_fma_f64 v[145:146], v[133:134], v[167:168], v[149:150]
	v_add_f64 v[137:138], v[137:138], v[155:156]
	ds_read_b128 v[131:134], v183 offset:1792
	s_waitcnt vmcnt(47) lgkmcnt(1)
	v_mul_f64 v[155:156], v[3:4], v[173:174]
	v_mul_f64 v[149:150], v[1:2], v[173:174]
	s_waitcnt vmcnt(45)
	v_fma_f64 v[151:152], v[5:6], v[153:154], -v[151:152]
	v_fma_f64 v[153:154], v[7:8], v[153:154], v[184:185]
	ds_read_b128 v[5:8], v183 offset:1808
	v_add_f64 v[135:136], v[135:136], v[165:166]
	v_add_f64 v[137:138], v[137:138], v[145:146]
	s_waitcnt vmcnt(41) lgkmcnt(1)
	v_mul_f64 v[145:146], v[131:132], v[157:158]
	v_mul_f64 v[157:158], v[133:134], v[157:158]
	s_waitcnt vmcnt(40)
	v_fma_f64 v[155:156], v[1:2], v[175:176], -v[155:156]
	v_fma_f64 v[149:150], v[3:4], v[175:176], v[149:150]
	ds_read_b128 v[1:4], v183 offset:1824
	v_add_f64 v[135:136], v[135:136], v[151:152]
	v_add_f64 v[137:138], v[137:138], v[153:154]
	;; [unrolled: 9-line block ×3, first 2 shown]
	s_waitcnt vmcnt(33) lgkmcnt(1)
	v_mul_f64 v[155:156], v[3:4], v[163:164]
	s_waitcnt vmcnt(32)
	v_fma_f64 v[153:154], v[5:6], v[181:182], -v[153:154]
	v_mul_f64 v[149:150], v[1:2], v[163:164]
	v_fma_f64 v[151:152], v[7:8], v[181:182], v[151:152]
	ds_read_b128 v[5:8], v183 offset:1856
	v_add_f64 v[135:136], v[135:136], v[157:158]
	v_add_f64 v[137:138], v[137:138], v[145:146]
	s_waitcnt vmcnt(31) lgkmcnt(1)
	v_mul_f64 v[157:158], v[133:134], v[202:203]
	v_mul_f64 v[145:146], v[131:132], v[202:203]
	s_waitcnt vmcnt(29)
	v_fma_f64 v[155:156], v[1:2], v[169:170], -v[155:156]
	v_fma_f64 v[149:150], v[3:4], v[169:170], v[149:150]
	ds_read_b128 v[1:4], v183 offset:1872
	v_add_f64 v[135:136], v[135:136], v[153:154]
	v_add_f64 v[137:138], v[137:138], v[151:152]
	s_waitcnt vmcnt(25) lgkmcnt(1)
	v_mul_f64 v[153:154], v[7:8], v[171:172]
	s_waitcnt vmcnt(24)
	v_fma_f64 v[157:158], v[131:132], v[206:207], -v[157:158]
	v_mul_f64 v[151:152], v[5:6], v[171:172]
	v_fma_f64 v[145:146], v[133:134], v[206:207], v[145:146]
	ds_read_b128 v[131:134], v183 offset:1888
	v_add_f64 v[135:136], v[135:136], v[155:156]
	v_add_f64 v[137:138], v[137:138], v[149:150]
	s_waitcnt vmcnt(23) lgkmcnt(1)
	v_mul_f64 v[155:156], v[3:4], v[188:189]
	v_mul_f64 v[149:150], v[1:2], v[188:189]
	s_waitcnt vmcnt(21)
	v_fma_f64 v[153:154], v[5:6], v[177:178], -v[153:154]
	v_fma_f64 v[151:152], v[7:8], v[177:178], v[151:152]
	ds_read_b128 v[5:8], v183 offset:1904
	v_add_f64 v[135:136], v[135:136], v[157:158]
	v_add_f64 v[137:138], v[137:138], v[145:146]
	;; [unrolled: 18-line block ×3, first 2 shown]
	s_waitcnt vmcnt(9) lgkmcnt(1)
	v_mul_f64 v[145:146], v[1:2], v[147:148]
	v_mul_f64 v[147:148], v[3:4], v[147:148]
	s_waitcnt vmcnt(8)
	v_fma_f64 v[5:6], v[5:6], v[208:209], -v[153:154]
	v_fma_f64 v[7:8], v[7:8], v[208:209], v[151:152]
	v_add_f64 v[135:136], v[135:136], v[157:158]
	v_add_f64 v[137:138], v[137:138], v[141:142]
	s_waitcnt vmcnt(7) lgkmcnt(0)
	v_mul_f64 v[149:150], v[133:134], v[196:197]
	v_mul_f64 v[141:142], v[131:132], v[196:197]
	s_waitcnt vmcnt(5)
	v_fma_f64 v[1:2], v[1:2], v[143:144], -v[147:148]
	v_fma_f64 v[3:4], v[3:4], v[143:144], v[145:146]
	v_add_f64 v[5:6], v[135:136], v[5:6]
	v_add_f64 v[7:8], v[137:138], v[7:8]
	s_waitcnt vmcnt(4)
	v_fma_f64 v[131:132], v[131:132], v[213:214], -v[149:150]
	v_add_f64 v[1:2], v[5:6], v[1:2]
	v_fma_f64 v[5:6], v[133:134], v[213:214], v[141:142]
	v_add_f64 v[3:4], v[7:8], v[3:4]
	v_add_f64 v[1:2], v[1:2], v[131:132]
	v_add_f64 v[3:4], v[3:4], v[5:6]
	s_waitcnt vmcnt(2)
	v_add_f64 v[1:2], v[139:140], -v[1:2]
	s_waitcnt vmcnt(0)
	v_add_f64 v[3:4], v[159:160], -v[3:4]
	buffer_store_dword v2, off, s[0:3], 0 offset:356
	buffer_store_dword v1, off, s[0:3], 0 offset:352
	;; [unrolled: 1-line block ×4, first 2 shown]
	v_cmpx_lt_u32_e32 20, v0
	s_cbranch_execz .LBB124_351
; %bb.350:
	v_mov_b32_e32 v4, s55
	s_clause 0x3
	buffer_load_dword v1, v4, s[0:3], 0 offen
	buffer_load_dword v2, v4, s[0:3], 0 offen offset:4
	buffer_load_dword v3, v4, s[0:3], 0 offen offset:8
	;; [unrolled: 1-line block ×3, first 2 shown]
	buffer_store_dword v183, off, s[0:3], 0 offset:336
	buffer_store_dword v183, off, s[0:3], 0 offset:340
	;; [unrolled: 1-line block ×4, first 2 shown]
	s_waitcnt vmcnt(0)
	ds_write_b128 v191, v[1:4]
.LBB124_351:
	s_or_b32 exec_lo, exec_lo, s4
	s_waitcnt lgkmcnt(0)
	s_waitcnt_vscnt null, 0x0
	s_barrier
	buffer_gl0_inv
	s_clause 0x37
	buffer_load_dword v131, off, s[0:3], 0 offset:360
	buffer_load_dword v132, off, s[0:3], 0 offset:364
	;; [unrolled: 1-line block ×56, first 2 shown]
	ds_read_b128 v[184:187], v183 offset:1312
	s_clause 0x2
	buffer_load_dword v180, off, s[0:3], 0 offset:588
	buffer_load_dword v182, off, s[0:3], 0 offset:564
	buffer_load_dword v181, off, s[0:3], 0 offset:560
	ds_read_b128 v[192:195], v183 offset:1328
	s_clause 0x4
	buffer_load_dword v201, off, s[0:3], 0 offset:604
	buffer_load_dword v202, off, s[0:3], 0 offset:616
	;; [unrolled: 1-line block ×5, first 2 shown]
	ds_read_b128 v[196:199], v183 offset:1344
	s_clause 0x2
	buffer_load_dword v203, off, s[0:3], 0 offset:620
	buffer_load_dword v208, off, s[0:3], 0 offset:596
	;; [unrolled: 1-line block ×3, first 2 shown]
	s_mov_b32 s4, exec_lo
	s_waitcnt vmcnt(62) lgkmcnt(2)
	v_mul_f64 v[188:189], v[186:187], v[131:132]
	v_mul_f64 v[131:132], v[184:185], v[131:132]
	s_waitcnt lgkmcnt(1)
	v_mul_f64 v[205:206], v[194:195], v[5:6]
	s_waitcnt vmcnt(59) lgkmcnt(0)
	v_mul_f64 v[209:210], v[198:199], v[3:4]
	v_fma_f64 v[184:185], v[184:185], v[7:8], -v[188:189]
	v_mul_f64 v[188:189], v[192:193], v[5:6]
	v_fma_f64 v[131:132], v[186:187], v[7:8], v[131:132]
	s_waitcnt vmcnt(57)
	v_fma_f64 v[192:193], v[192:193], v[1:2], -v[205:206]
	ds_read_b128 v[5:8], v183 offset:1360
	v_mul_f64 v[186:187], v[196:197], v[3:4]
	s_waitcnt vmcnt(51)
	v_fma_f64 v[196:197], v[196:197], v[147:148], -v[209:210]
	v_add_f64 v[184:185], v[184:185], 0
	v_fma_f64 v[188:189], v[194:195], v[1:2], v[188:189]
	v_add_f64 v[131:132], v[131:132], 0
	s_clause 0x4
	buffer_load_dword v195, off, s[0:3], 0 offset:636
	buffer_load_dword v211, off, s[0:3], 0 offset:648
	;; [unrolled: 1-line block ×5, first 2 shown]
	s_waitcnt lgkmcnt(0)
	v_mul_f64 v[214:215], v[5:6], v[135:136]
	v_mul_f64 v[135:136], v[7:8], v[135:136]
	ds_read_b128 v[1:4], v183 offset:1376
	v_fma_f64 v[147:148], v[198:199], v[147:148], v[186:187]
	v_add_f64 v[192:193], v[184:185], v[192:193]
	v_add_f64 v[131:132], v[131:132], v[188:189]
	s_clause 0x2
	buffer_load_dword v212, off, s[0:3], 0 offset:652
	buffer_load_dword v189, off, s[0:3], 0 offset:628
	buffer_load_dword v188, off, s[0:3], 0 offset:624
	s_waitcnt vmcnt(58) lgkmcnt(0)
	v_mul_f64 v[198:199], v[1:2], v[139:140]
	v_mul_f64 v[139:140], v[3:4], v[139:140]
	s_waitcnt vmcnt(56)
	v_fma_f64 v[135:136], v[5:6], v[141:142], -v[135:136]
	ds_read_b128 v[184:187], v183 offset:1392
	v_fma_f64 v[141:142], v[7:8], v[141:142], v[214:215]
	v_add_f64 v[192:193], v[192:193], v[196:197]
	v_add_f64 v[131:132], v[131:132], v[147:148]
	s_clause 0x4
	buffer_load_dword v148, off, s[0:3], 0 offset:668
	buffer_load_dword v196, off, s[0:3], 0 offset:680
	;; [unrolled: 1-line block ×5, first 2 shown]
	ds_read_b128 v[5:8], v183 offset:1408
	s_waitcnt vmcnt(57) lgkmcnt(1)
	v_mul_f64 v[215:216], v[184:185], v[143:144]
	v_mul_f64 v[143:144], v[186:187], v[143:144]
	s_waitcnt vmcnt(56)
	v_fma_f64 v[139:140], v[1:2], v[133:134], -v[139:140]
	v_fma_f64 v[133:134], v[3:4], v[133:134], v[198:199]
	v_add_f64 v[135:136], v[192:193], v[135:136]
	v_add_f64 v[131:132], v[131:132], v[141:142]
	s_clause 0x2
	buffer_load_dword v197, off, s[0:3], 0 offset:684
	buffer_load_dword v142, off, s[0:3], 0 offset:660
	;; [unrolled: 1-line block ×3, first 2 shown]
	s_waitcnt vmcnt(58) lgkmcnt(0)
	v_mul_f64 v[192:193], v[5:6], v[149:150]
	v_mul_f64 v[149:150], v[7:8], v[149:150]
	s_waitcnt vmcnt(56)
	v_fma_f64 v[143:144], v[184:185], v[151:152], -v[143:144]
	ds_read_b128 v[1:4], v183 offset:1424
	v_add_f64 v[135:136], v[135:136], v[139:140]
	v_fma_f64 v[139:140], v[186:187], v[151:152], v[215:216]
	v_add_f64 v[151:152], v[131:132], v[133:134]
	s_clause 0x4
	buffer_load_dword v185, off, s[0:3], 0 offset:700
	buffer_load_dword v186, off, s[0:3], 0 offset:712
	;; [unrolled: 1-line block ×5, first 2 shown]
	ds_read_b128 v[131:134], v183 offset:1440
	s_waitcnt vmcnt(57) lgkmcnt(1)
	v_mul_f64 v[215:216], v[1:2], v[153:154]
	v_mul_f64 v[153:154], v[3:4], v[153:154]
	s_waitcnt vmcnt(56)
	v_fma_f64 v[149:150], v[5:6], v[137:138], -v[149:150]
	v_fma_f64 v[137:138], v[7:8], v[137:138], v[192:193]
	v_add_f64 v[135:136], v[135:136], v[143:144]
	s_clause 0x2
	buffer_load_dword v187, off, s[0:3], 0 offset:716
	buffer_load_dword v144, off, s[0:3], 0 offset:692
	;; [unrolled: 1-line block ×3, first 2 shown]
	v_add_f64 v[139:140], v[151:152], v[139:140]
	s_waitcnt vmcnt(58) lgkmcnt(0)
	v_mul_f64 v[151:152], v[131:132], v[157:158]
	v_mul_f64 v[157:158], v[133:134], v[157:158]
	ds_read_b128 v[5:8], v183 offset:1456
	s_waitcnt vmcnt(56)
	v_fma_f64 v[153:154], v[1:2], v[159:160], -v[153:154]
	v_add_f64 v[135:136], v[135:136], v[149:150]
	v_fma_f64 v[149:150], v[3:4], v[159:160], v[215:216]
	v_add_f64 v[137:138], v[139:140], v[137:138]
	s_clause 0x4
	buffer_load_dword v140, off, s[0:3], 0 offset:732
	buffer_load_dword v159, off, s[0:3], 0 offset:744
	buffer_load_dword v192, off, s[0:3], 0 offset:736
	buffer_load_dword v139, off, s[0:3], 0 offset:728
	buffer_load_dword v199, off, s[0:3], 0 offset:708
	s_waitcnt vmcnt(57) lgkmcnt(0)
	v_mul_f64 v[215:216], v[5:6], v[161:162]
	v_mul_f64 v[161:162], v[7:8], v[161:162]
	s_waitcnt vmcnt(56)
	v_fma_f64 v[157:158], v[131:132], v[145:146], -v[157:158]
	ds_read_b128 v[1:4], v183 offset:1472
	v_fma_f64 v[145:146], v[133:134], v[145:146], v[151:152]
	v_add_f64 v[135:136], v[135:136], v[153:154]
	v_add_f64 v[137:138], v[137:138], v[149:150]
	s_clause 0x2
	buffer_load_dword v160, off, s[0:3], 0 offset:748
	buffer_load_dword v150, off, s[0:3], 0 offset:724
	;; [unrolled: 1-line block ×3, first 2 shown]
	ds_read_b128 v[131:134], v183 offset:1488
	s_waitcnt vmcnt(58) lgkmcnt(1)
	v_mul_f64 v[153:154], v[3:4], v[165:166]
	s_waitcnt vmcnt(56)
	v_fma_f64 v[161:162], v[5:6], v[167:168], -v[161:162]
	v_mul_f64 v[151:152], v[1:2], v[165:166]
	v_add_f64 v[135:136], v[135:136], v[157:158]
	v_fma_f64 v[157:158], v[7:8], v[167:168], v[215:216]
	v_add_f64 v[137:138], v[137:138], v[145:146]
	s_clause 0x4
	buffer_load_dword v146, off, s[0:3], 0 offset:764
	buffer_load_dword v165, off, s[0:3], 0 offset:776
	buffer_load_dword v167, off, s[0:3], 0 offset:768
	buffer_load_dword v145, off, s[0:3], 0 offset:760
	buffer_load_dword v193, off, s[0:3], 0 offset:740
	s_waitcnt vmcnt(57) lgkmcnt(0)
	v_mul_f64 v[215:216], v[131:132], v[169:170]
	v_mul_f64 v[168:169], v[133:134], v[169:170]
	s_waitcnt vmcnt(56)
	v_fma_f64 v[153:154], v[1:2], v[155:156], -v[153:154]
	ds_read_b128 v[5:8], v183 offset:1504
	v_fma_f64 v[151:152], v[3:4], v[155:156], v[151:152]
	s_clause 0x2
	buffer_load_dword v166, off, s[0:3], 0 offset:780
	buffer_load_dword v156, off, s[0:3], 0 offset:756
	;; [unrolled: 1-line block ×3, first 2 shown]
	ds_read_b128 v[1:4], v183 offset:1520
	v_add_f64 v[135:136], v[135:136], v[161:162]
	v_add_f64 v[137:138], v[137:138], v[157:158]
	s_waitcnt vmcnt(58) lgkmcnt(1)
	v_mul_f64 v[161:162], v[7:8], v[173:174]
	s_waitcnt vmcnt(56)
	v_fma_f64 v[169:170], v[131:132], v[175:176], -v[168:169]
	v_mul_f64 v[157:158], v[5:6], v[173:174]
	v_add_f64 v[135:136], v[135:136], v[153:154]
	v_fma_f64 v[153:154], v[133:134], v[175:176], v[215:216]
	v_add_f64 v[137:138], v[137:138], v[151:152]
	s_clause 0x4
	buffer_load_dword v152, off, s[0:3], 0 offset:796
	buffer_load_dword v173, off, s[0:3], 0 offset:808
	;; [unrolled: 1-line block ×5, first 2 shown]
	s_waitcnt vmcnt(57) lgkmcnt(0)
	v_mul_f64 v[215:216], v[1:2], v[177:178]
	v_mul_f64 v[176:177], v[3:4], v[177:178]
	s_waitcnt vmcnt(56)
	v_fma_f64 v[161:162], v[5:6], v[163:164], -v[161:162]
	ds_read_b128 v[131:134], v183 offset:1536
	v_fma_f64 v[157:158], v[7:8], v[163:164], v[157:158]
	v_add_f64 v[135:136], v[135:136], v[169:170]
	v_add_f64 v[137:138], v[137:138], v[153:154]
	s_clause 0x2
	buffer_load_dword v174, off, s[0:3], 0 offset:812
	buffer_load_dword v154, off, s[0:3], 0 offset:788
	;; [unrolled: 1-line block ×3, first 2 shown]
	ds_read_b128 v[5:8], v183 offset:1552
	s_waitcnt vmcnt(58) lgkmcnt(1)
	v_mul_f64 v[169:170], v[133:134], v[179:180]
	s_waitcnt vmcnt(56)
	v_fma_f64 v[177:178], v[1:2], v[181:182], -v[176:177]
	v_mul_f64 v[163:164], v[131:132], v[179:180]
	v_add_f64 v[135:136], v[135:136], v[161:162]
	v_fma_f64 v[161:162], v[3:4], v[181:182], v[215:216]
	v_add_f64 v[137:138], v[137:138], v[157:158]
	s_clause 0x4
	buffer_load_dword v158, off, s[0:3], 0 offset:828
	buffer_load_dword v179, off, s[0:3], 0 offset:840
	;; [unrolled: 1-line block ×5, first 2 shown]
	s_waitcnt vmcnt(57) lgkmcnt(0)
	v_mul_f64 v[215:216], v[5:6], v[200:201]
	v_mul_f64 v[200:201], v[7:8], v[200:201]
	s_waitcnt vmcnt(56)
	v_fma_f64 v[169:170], v[131:132], v[171:172], -v[169:170]
	ds_read_b128 v[1:4], v183 offset:1568
	v_fma_f64 v[163:164], v[133:134], v[171:172], v[163:164]
	v_add_f64 v[135:136], v[135:136], v[177:178]
	v_add_f64 v[137:138], v[137:138], v[161:162]
	s_clause 0x2
	buffer_load_dword v180, off, s[0:3], 0 offset:844
	buffer_load_dword v162, off, s[0:3], 0 offset:820
	;; [unrolled: 1-line block ×3, first 2 shown]
	ds_read_b128 v[131:134], v183 offset:1584
	s_waitcnt vmcnt(58) lgkmcnt(1)
	v_mul_f64 v[177:178], v[3:4], v[202:203]
	s_waitcnt vmcnt(56)
	v_fma_f64 v[200:201], v[5:6], v[207:208], -v[200:201]
	v_mul_f64 v[171:172], v[1:2], v[202:203]
	v_add_f64 v[135:136], v[135:136], v[169:170]
	v_fma_f64 v[169:170], v[7:8], v[207:208], v[215:216]
	v_add_f64 v[137:138], v[137:138], v[163:164]
	s_clause 0x4
	buffer_load_dword v164, off, s[0:3], 0 offset:860
	buffer_load_dword v202, off, s[0:3], 0 offset:872
	;; [unrolled: 1-line block ×5, first 2 shown]
	ds_read_b128 v[5:8], v183 offset:1600
	s_waitcnt vmcnt(57) lgkmcnt(1)
	v_mul_f64 v[207:208], v[131:132], v[194:195]
	v_mul_f64 v[194:195], v[133:134], v[194:195]
	s_waitcnt vmcnt(56)
	v_fma_f64 v[177:178], v[1:2], v[204:205], -v[177:178]
	v_fma_f64 v[171:172], v[3:4], v[204:205], v[171:172]
	v_add_f64 v[135:136], v[135:136], v[200:201]
	v_add_f64 v[137:138], v[137:138], v[169:170]
	s_clause 0x2
	buffer_load_dword v203, off, s[0:3], 0 offset:876
	buffer_load_dword v170, off, s[0:3], 0 offset:852
	;; [unrolled: 1-line block ×3, first 2 shown]
	ds_read_b128 v[1:4], v183 offset:1616
	s_waitcnt vmcnt(58) lgkmcnt(1)
	v_mul_f64 v[204:205], v[7:8], v[211:212]
	v_mul_f64 v[200:201], v[5:6], v[211:212]
	s_waitcnt vmcnt(56)
	v_fma_f64 v[194:195], v[131:132], v[188:189], -v[194:195]
	v_add_f64 v[135:136], v[135:136], v[177:178]
	v_fma_f64 v[177:178], v[133:134], v[188:189], v[207:208]
	v_add_f64 v[137:138], v[137:138], v[171:172]
	s_clause 0x4
	buffer_load_dword v172, off, s[0:3], 0 offset:892
	buffer_load_dword v188, off, s[0:3], 0 offset:904
	buffer_load_dword v211, off, s[0:3], 0 offset:896
	buffer_load_dword v171, off, s[0:3], 0 offset:888
	buffer_load_dword v207, off, s[0:3], 0 offset:868
	ds_read_b128 v[131:134], v183 offset:1632
	s_waitcnt vmcnt(57) lgkmcnt(1)
	v_mul_f64 v[215:216], v[1:2], v[147:148]
	v_mul_f64 v[147:148], v[3:4], v[147:148]
	s_waitcnt vmcnt(56)
	v_fma_f64 v[204:205], v[5:6], v[213:214], -v[204:205]
	v_add_f64 v[135:136], v[135:136], v[194:195]
	v_fma_f64 v[194:195], v[7:8], v[213:214], v[200:201]
	v_add_f64 v[137:138], v[137:138], v[177:178]
	s_clause 0x2
	buffer_load_dword v189, off, s[0:3], 0 offset:908
	buffer_load_dword v178, off, s[0:3], 0 offset:884
	buffer_load_dword v177, off, s[0:3], 0 offset:880
	ds_read_b128 v[5:8], v183 offset:1648
	s_waitcnt vmcnt(58) lgkmcnt(1)
	v_mul_f64 v[200:201], v[131:132], v[196:197]
	v_mul_f64 v[196:197], v[133:134], v[196:197]
	s_waitcnt vmcnt(56)
	v_fma_f64 v[147:148], v[1:2], v[141:142], -v[147:148]
	v_fma_f64 v[141:142], v[3:4], v[141:142], v[215:216]
	v_add_f64 v[135:136], v[135:136], v[204:205]
	v_add_f64 v[137:138], v[137:138], v[194:195]
	s_clause 0x4
	buffer_load_dword v195, off, s[0:3], 0 offset:924
	buffer_load_dword v204, off, s[0:3], 0 offset:936
	buffer_load_dword v208, off, s[0:3], 0 offset:928
	buffer_load_dword v194, off, s[0:3], 0 offset:920
	buffer_load_dword v212, off, s[0:3], 0 offset:900
	ds_read_b128 v[1:4], v183 offset:1664
	s_waitcnt vmcnt(57) lgkmcnt(1)
	v_mul_f64 v[213:214], v[5:6], v[184:185]
	v_mul_f64 v[184:185], v[7:8], v[184:185]
	s_waitcnt vmcnt(56)
	v_fma_f64 v[196:197], v[131:132], v[209:210], -v[196:197]
	v_add_f64 v[135:136], v[135:136], v[147:148]
	v_fma_f64 v[147:148], v[133:134], v[209:210], v[200:201]
	v_add_f64 v[137:138], v[137:138], v[141:142]
	s_clause 0x2
	buffer_load_dword v205, off, s[0:3], 0 offset:940
	buffer_load_dword v142, off, s[0:3], 0 offset:916
	buffer_load_dword v141, off, s[0:3], 0 offset:912
	ds_read_b128 v[131:134], v183 offset:1680
	s_waitcnt vmcnt(58) lgkmcnt(1)
	v_mul_f64 v[200:201], v[1:2], v[186:187]
	v_mul_f64 v[186:187], v[3:4], v[186:187]
	s_waitcnt vmcnt(56)
	v_fma_f64 v[184:185], v[5:6], v[143:144], -v[184:185]
	v_fma_f64 v[143:144], v[7:8], v[143:144], v[213:214]
	v_add_f64 v[135:136], v[135:136], v[196:197]
	;; [unrolled: 28-line block ×3, first 2 shown]
	v_add_f64 v[137:138], v[137:138], v[184:185]
	s_clause 0x2
	buffer_load_dword v185, off, s[0:3], 0 offset:988
	buffer_load_dword v184, off, s[0:3], 0 offset:984
	;; [unrolled: 1-line block ×3, first 2 shown]
	ds_read_b128 v[131:134], v183 offset:1728
	s_waitcnt vmcnt(55) lgkmcnt(1)
	v_mul_f64 v[186:187], v[1:2], v[145:146]
	v_mul_f64 v[145:146], v[3:4], v[145:146]
	s_waitcnt vmcnt(54)
	v_fma_f64 v[159:160], v[5:6], v[192:193], -v[159:160]
	v_add_f64 v[135:136], v[135:136], v[139:140]
	v_fma_f64 v[139:140], v[7:8], v[192:193], v[198:199]
	v_add_f64 v[137:138], v[137:138], v[149:150]
	s_clause 0x1
	buffer_load_dword v150, off, s[0:3], 0 offset:980
	buffer_load_dword v149, off, s[0:3], 0 offset:976
	s_waitcnt vmcnt(55) lgkmcnt(0)
	v_mul_f64 v[192:193], v[131:132], v[165:166]
	v_mul_f64 v[165:166], v[133:134], v[165:166]
	ds_read_b128 v[5:8], v183 offset:1744
	s_waitcnt vmcnt(53)
	v_fma_f64 v[145:146], v[1:2], v[155:156], -v[145:146]
	v_fma_f64 v[155:156], v[3:4], v[155:156], v[186:187]
	ds_read_b128 v[1:4], v183 offset:1760
	v_add_f64 v[135:136], v[135:136], v[159:160]
	v_add_f64 v[137:138], v[137:138], v[139:140]
	s_waitcnt vmcnt(49) lgkmcnt(1)
	v_mul_f64 v[139:140], v[5:6], v[151:152]
	v_mul_f64 v[151:152], v[7:8], v[151:152]
	s_waitcnt vmcnt(48)
	v_fma_f64 v[159:160], v[131:132], v[167:168], -v[165:166]
	v_add_f64 v[135:136], v[135:136], v[145:146]
	v_fma_f64 v[145:146], v[133:134], v[167:168], v[192:193]
	v_add_f64 v[137:138], v[137:138], v[155:156]
	s_clause 0x3
	buffer_load_dword v155, off, s[0:3], 0 offset:336
	buffer_load_dword v156, off, s[0:3], 0 offset:340
	;; [unrolled: 1-line block ×4, first 2 shown]
	ds_read_b128 v[131:134], v183 offset:1776
	s_waitcnt vmcnt(51) lgkmcnt(1)
	v_mul_f64 v[167:168], v[1:2], v[173:174]
	v_mul_f64 v[173:174], v[3:4], v[173:174]
	s_waitcnt vmcnt(49)
	v_fma_f64 v[151:152], v[5:6], v[153:154], -v[151:152]
	v_fma_f64 v[139:140], v[7:8], v[153:154], v[139:140]
	ds_read_b128 v[5:8], v183 offset:1792
	v_add_f64 v[135:136], v[135:136], v[159:160]
	v_add_f64 v[137:138], v[137:138], v[145:146]
	s_waitcnt vmcnt(45) lgkmcnt(1)
	v_mul_f64 v[145:146], v[131:132], v[157:158]
	v_mul_f64 v[153:154], v[133:134], v[157:158]
	s_waitcnt vmcnt(44)
	v_fma_f64 v[157:158], v[1:2], v[175:176], -v[173:174]
	v_add_f64 v[135:136], v[135:136], v[151:152]
	v_fma_f64 v[151:152], v[3:4], v[175:176], v[167:168]
	v_add_f64 v[137:138], v[137:138], v[139:140]
	ds_read_b128 v[1:4], v183 offset:1808
	s_waitcnt vmcnt(43) lgkmcnt(1)
	v_mul_f64 v[159:160], v[7:8], v[179:180]
	v_mul_f64 v[139:140], v[5:6], v[179:180]
	s_waitcnt vmcnt(41)
	v_fma_f64 v[153:154], v[131:132], v[161:162], -v[153:154]
	v_fma_f64 v[145:146], v[133:134], v[161:162], v[145:146]
	ds_read_b128 v[131:134], v183 offset:1824
	v_add_f64 v[135:136], v[135:136], v[157:158]
	v_add_f64 v[137:138], v[137:138], v[151:152]
	s_waitcnt vmcnt(37) lgkmcnt(1)
	v_mul_f64 v[157:158], v[3:4], v[163:164]
	s_waitcnt vmcnt(36)
	v_fma_f64 v[159:160], v[5:6], v[181:182], -v[159:160]
	v_mul_f64 v[151:152], v[1:2], v[163:164]
	v_fma_f64 v[139:140], v[7:8], v[181:182], v[139:140]
	ds_read_b128 v[5:8], v183 offset:1840
	v_add_f64 v[135:136], v[135:136], v[153:154]
	v_add_f64 v[137:138], v[137:138], v[145:146]
	s_waitcnt vmcnt(35) lgkmcnt(1)
	v_mul_f64 v[153:154], v[133:134], v[202:203]
	v_mul_f64 v[145:146], v[131:132], v[202:203]
	s_waitcnt vmcnt(33)
	v_fma_f64 v[157:158], v[1:2], v[169:170], -v[157:158]
	v_fma_f64 v[151:152], v[3:4], v[169:170], v[151:152]
	ds_read_b128 v[1:4], v183 offset:1856
	v_add_f64 v[135:136], v[135:136], v[159:160]
	v_add_f64 v[137:138], v[137:138], v[139:140]
	s_waitcnt vmcnt(29) lgkmcnt(1)
	v_mul_f64 v[159:160], v[7:8], v[171:172]
	s_waitcnt vmcnt(28)
	v_fma_f64 v[153:154], v[131:132], v[206:207], -v[153:154]
	v_mul_f64 v[139:140], v[5:6], v[171:172]
	v_fma_f64 v[145:146], v[133:134], v[206:207], v[145:146]
	ds_read_b128 v[131:134], v183 offset:1872
	v_add_f64 v[135:136], v[135:136], v[157:158]
	v_add_f64 v[137:138], v[137:138], v[151:152]
	;; [unrolled: 18-line block ×3, first 2 shown]
	s_waitcnt vmcnt(19) lgkmcnt(1)
	v_mul_f64 v[159:160], v[7:8], v[204:205]
	v_mul_f64 v[139:140], v[5:6], v[204:205]
	s_waitcnt vmcnt(17)
	v_fma_f64 v[153:154], v[131:132], v[141:142], -v[153:154]
	v_fma_f64 v[141:142], v[133:134], v[141:142], v[145:146]
	ds_read_b128 v[131:134], v183 offset:1920
	v_add_f64 v[135:136], v[135:136], v[157:158]
	v_add_f64 v[137:138], v[137:138], v[151:152]
	s_waitcnt vmcnt(13) lgkmcnt(1)
	v_mul_f64 v[145:146], v[1:2], v[147:148]
	v_mul_f64 v[147:148], v[3:4], v[147:148]
	s_waitcnt vmcnt(12)
	v_fma_f64 v[151:152], v[5:6], v[208:209], -v[159:160]
	v_fma_f64 v[139:140], v[7:8], v[208:209], v[139:140]
	ds_read_b128 v[5:8], v183 offset:1936
	v_add_f64 v[135:136], v[135:136], v[153:154]
	v_add_f64 v[137:138], v[137:138], v[141:142]
	s_waitcnt vmcnt(11) lgkmcnt(1)
	v_mul_f64 v[153:154], v[133:134], v[196:197]
	v_mul_f64 v[141:142], v[131:132], v[196:197]
	s_waitcnt vmcnt(9)
	v_fma_f64 v[1:2], v[1:2], v[143:144], -v[147:148]
	v_fma_f64 v[3:4], v[3:4], v[143:144], v[145:146]
	v_add_f64 v[135:136], v[135:136], v[151:152]
	v_add_f64 v[137:138], v[137:138], v[139:140]
	s_waitcnt vmcnt(7) lgkmcnt(0)
	v_mul_f64 v[143:144], v[7:8], v[184:185]
	s_waitcnt vmcnt(6)
	v_fma_f64 v[131:132], v[131:132], v[213:214], -v[153:154]
	v_mul_f64 v[139:140], v[5:6], v[184:185]
	v_fma_f64 v[133:134], v[133:134], v[213:214], v[141:142]
	v_add_f64 v[1:2], v[135:136], v[1:2]
	v_add_f64 v[3:4], v[137:138], v[3:4]
	s_waitcnt vmcnt(4)
	v_fma_f64 v[5:6], v[5:6], v[149:150], -v[143:144]
	v_fma_f64 v[7:8], v[7:8], v[149:150], v[139:140]
	v_add_f64 v[1:2], v[1:2], v[131:132]
	v_add_f64 v[3:4], v[3:4], v[133:134]
	;; [unrolled: 1-line block ×4, first 2 shown]
	s_waitcnt vmcnt(2)
	v_add_f64 v[1:2], v[155:156], -v[1:2]
	s_waitcnt vmcnt(0)
	v_add_f64 v[3:4], v[165:166], -v[3:4]
	buffer_store_dword v2, off, s[0:3], 0 offset:340
	buffer_store_dword v1, off, s[0:3], 0 offset:336
	;; [unrolled: 1-line block ×4, first 2 shown]
	v_cmpx_lt_u32_e32 19, v0
	s_cbranch_execz .LBB124_353
; %bb.352:
	v_mov_b32_e32 v4, s56
	v_mov_b32_e32 v5, 0
	s_clause 0x3
	buffer_load_dword v1, v4, s[0:3], 0 offen
	buffer_load_dword v2, v4, s[0:3], 0 offen offset:4
	buffer_load_dword v3, v4, s[0:3], 0 offen offset:8
	;; [unrolled: 1-line block ×3, first 2 shown]
	buffer_store_dword v5, off, s[0:3], 0 offset:320
	buffer_store_dword v5, off, s[0:3], 0 offset:324
	;; [unrolled: 1-line block ×4, first 2 shown]
	s_waitcnt vmcnt(0)
	ds_write_b128 v191, v[1:4]
.LBB124_353:
	s_or_b32 exec_lo, exec_lo, s4
	s_waitcnt lgkmcnt(0)
	s_waitcnt_vscnt null, 0x0
	s_barrier
	buffer_gl0_inv
	s_clause 0x37
	buffer_load_dword v131, off, s[0:3], 0 offset:344
	buffer_load_dword v132, off, s[0:3], 0 offset:348
	;; [unrolled: 1-line block ×56, first 2 shown]
	v_mov_b32_e32 v183, 0
	s_mov_b32 s4, exec_lo
	ds_read_b128 v[184:187], v183 offset:1296
	s_clause 0x2
	buffer_load_dword v180, off, s[0:3], 0 offset:572
	buffer_load_dword v182, off, s[0:3], 0 offset:548
	;; [unrolled: 1-line block ×3, first 2 shown]
	ds_read_b128 v[192:195], v183 offset:1312
	s_clause 0x4
	buffer_load_dword v201, off, s[0:3], 0 offset:588
	buffer_load_dword v202, off, s[0:3], 0 offset:600
	;; [unrolled: 1-line block ×5, first 2 shown]
	ds_read_b128 v[196:199], v183 offset:1328
	s_clause 0x2
	buffer_load_dword v203, off, s[0:3], 0 offset:604
	buffer_load_dword v208, off, s[0:3], 0 offset:580
	;; [unrolled: 1-line block ×3, first 2 shown]
	s_waitcnt vmcnt(62) lgkmcnt(2)
	v_mul_f64 v[188:189], v[186:187], v[131:132]
	v_mul_f64 v[131:132], v[184:185], v[131:132]
	s_waitcnt lgkmcnt(1)
	v_mul_f64 v[205:206], v[194:195], v[5:6]
	s_waitcnt vmcnt(59) lgkmcnt(0)
	v_mul_f64 v[209:210], v[198:199], v[3:4]
	v_fma_f64 v[184:185], v[184:185], v[7:8], -v[188:189]
	v_mul_f64 v[188:189], v[192:193], v[5:6]
	v_fma_f64 v[131:132], v[186:187], v[7:8], v[131:132]
	s_waitcnt vmcnt(57)
	v_fma_f64 v[192:193], v[192:193], v[1:2], -v[205:206]
	ds_read_b128 v[5:8], v183 offset:1344
	v_mul_f64 v[186:187], v[196:197], v[3:4]
	s_waitcnt vmcnt(51)
	v_fma_f64 v[196:197], v[196:197], v[147:148], -v[209:210]
	v_add_f64 v[184:185], v[184:185], 0
	v_fma_f64 v[188:189], v[194:195], v[1:2], v[188:189]
	v_add_f64 v[131:132], v[131:132], 0
	s_clause 0x4
	buffer_load_dword v195, off, s[0:3], 0 offset:620
	buffer_load_dword v211, off, s[0:3], 0 offset:632
	;; [unrolled: 1-line block ×5, first 2 shown]
	s_waitcnt lgkmcnt(0)
	v_mul_f64 v[214:215], v[5:6], v[135:136]
	v_mul_f64 v[135:136], v[7:8], v[135:136]
	ds_read_b128 v[1:4], v183 offset:1360
	v_fma_f64 v[147:148], v[198:199], v[147:148], v[186:187]
	v_add_f64 v[192:193], v[184:185], v[192:193]
	v_add_f64 v[131:132], v[131:132], v[188:189]
	s_clause 0x2
	buffer_load_dword v212, off, s[0:3], 0 offset:636
	buffer_load_dword v189, off, s[0:3], 0 offset:612
	;; [unrolled: 1-line block ×3, first 2 shown]
	s_waitcnt vmcnt(58) lgkmcnt(0)
	v_mul_f64 v[198:199], v[1:2], v[139:140]
	v_mul_f64 v[139:140], v[3:4], v[139:140]
	s_waitcnt vmcnt(56)
	v_fma_f64 v[135:136], v[5:6], v[141:142], -v[135:136]
	ds_read_b128 v[184:187], v183 offset:1376
	v_fma_f64 v[141:142], v[7:8], v[141:142], v[214:215]
	v_add_f64 v[192:193], v[192:193], v[196:197]
	v_add_f64 v[131:132], v[131:132], v[147:148]
	s_clause 0x4
	buffer_load_dword v148, off, s[0:3], 0 offset:652
	buffer_load_dword v196, off, s[0:3], 0 offset:664
	;; [unrolled: 1-line block ×5, first 2 shown]
	ds_read_b128 v[5:8], v183 offset:1392
	s_waitcnt vmcnt(57) lgkmcnt(1)
	v_mul_f64 v[215:216], v[184:185], v[143:144]
	v_mul_f64 v[143:144], v[186:187], v[143:144]
	s_waitcnt vmcnt(56)
	v_fma_f64 v[139:140], v[1:2], v[133:134], -v[139:140]
	v_fma_f64 v[133:134], v[3:4], v[133:134], v[198:199]
	v_add_f64 v[135:136], v[192:193], v[135:136]
	v_add_f64 v[131:132], v[131:132], v[141:142]
	s_clause 0x2
	buffer_load_dword v197, off, s[0:3], 0 offset:668
	buffer_load_dword v142, off, s[0:3], 0 offset:644
	;; [unrolled: 1-line block ×3, first 2 shown]
	s_waitcnt vmcnt(58) lgkmcnt(0)
	v_mul_f64 v[192:193], v[5:6], v[149:150]
	v_mul_f64 v[149:150], v[7:8], v[149:150]
	s_waitcnt vmcnt(56)
	v_fma_f64 v[143:144], v[184:185], v[151:152], -v[143:144]
	ds_read_b128 v[1:4], v183 offset:1408
	v_add_f64 v[135:136], v[135:136], v[139:140]
	v_fma_f64 v[139:140], v[186:187], v[151:152], v[215:216]
	v_add_f64 v[151:152], v[131:132], v[133:134]
	s_clause 0x4
	buffer_load_dword v185, off, s[0:3], 0 offset:684
	buffer_load_dword v186, off, s[0:3], 0 offset:696
	;; [unrolled: 1-line block ×5, first 2 shown]
	ds_read_b128 v[131:134], v183 offset:1424
	s_waitcnt vmcnt(57) lgkmcnt(1)
	v_mul_f64 v[215:216], v[1:2], v[153:154]
	v_mul_f64 v[153:154], v[3:4], v[153:154]
	s_waitcnt vmcnt(56)
	v_fma_f64 v[149:150], v[5:6], v[137:138], -v[149:150]
	v_fma_f64 v[137:138], v[7:8], v[137:138], v[192:193]
	v_add_f64 v[135:136], v[135:136], v[143:144]
	s_clause 0x2
	buffer_load_dword v187, off, s[0:3], 0 offset:700
	buffer_load_dword v144, off, s[0:3], 0 offset:676
	;; [unrolled: 1-line block ×3, first 2 shown]
	v_add_f64 v[139:140], v[151:152], v[139:140]
	s_waitcnt vmcnt(58) lgkmcnt(0)
	v_mul_f64 v[151:152], v[131:132], v[157:158]
	v_mul_f64 v[157:158], v[133:134], v[157:158]
	ds_read_b128 v[5:8], v183 offset:1440
	s_waitcnt vmcnt(56)
	v_fma_f64 v[153:154], v[1:2], v[159:160], -v[153:154]
	v_add_f64 v[135:136], v[135:136], v[149:150]
	v_fma_f64 v[149:150], v[3:4], v[159:160], v[215:216]
	v_add_f64 v[137:138], v[139:140], v[137:138]
	s_clause 0x4
	buffer_load_dword v140, off, s[0:3], 0 offset:716
	buffer_load_dword v159, off, s[0:3], 0 offset:728
	;; [unrolled: 1-line block ×5, first 2 shown]
	s_waitcnt vmcnt(57) lgkmcnt(0)
	v_mul_f64 v[215:216], v[5:6], v[161:162]
	v_mul_f64 v[161:162], v[7:8], v[161:162]
	s_waitcnt vmcnt(56)
	v_fma_f64 v[157:158], v[131:132], v[145:146], -v[157:158]
	ds_read_b128 v[1:4], v183 offset:1456
	v_fma_f64 v[145:146], v[133:134], v[145:146], v[151:152]
	v_add_f64 v[135:136], v[135:136], v[153:154]
	v_add_f64 v[137:138], v[137:138], v[149:150]
	s_clause 0x2
	buffer_load_dword v160, off, s[0:3], 0 offset:732
	buffer_load_dword v150, off, s[0:3], 0 offset:708
	;; [unrolled: 1-line block ×3, first 2 shown]
	ds_read_b128 v[131:134], v183 offset:1472
	s_waitcnt vmcnt(58) lgkmcnt(1)
	v_mul_f64 v[153:154], v[3:4], v[165:166]
	s_waitcnt vmcnt(56)
	v_fma_f64 v[161:162], v[5:6], v[167:168], -v[161:162]
	v_mul_f64 v[151:152], v[1:2], v[165:166]
	v_add_f64 v[135:136], v[135:136], v[157:158]
	v_fma_f64 v[157:158], v[7:8], v[167:168], v[215:216]
	v_add_f64 v[137:138], v[137:138], v[145:146]
	s_clause 0x4
	buffer_load_dword v146, off, s[0:3], 0 offset:748
	buffer_load_dword v165, off, s[0:3], 0 offset:760
	;; [unrolled: 1-line block ×5, first 2 shown]
	s_waitcnt vmcnt(57) lgkmcnt(0)
	v_mul_f64 v[215:216], v[131:132], v[169:170]
	v_mul_f64 v[168:169], v[133:134], v[169:170]
	s_waitcnt vmcnt(56)
	v_fma_f64 v[153:154], v[1:2], v[155:156], -v[153:154]
	ds_read_b128 v[5:8], v183 offset:1488
	v_fma_f64 v[151:152], v[3:4], v[155:156], v[151:152]
	s_clause 0x2
	buffer_load_dword v166, off, s[0:3], 0 offset:764
	buffer_load_dword v156, off, s[0:3], 0 offset:740
	;; [unrolled: 1-line block ×3, first 2 shown]
	ds_read_b128 v[1:4], v183 offset:1504
	v_add_f64 v[135:136], v[135:136], v[161:162]
	v_add_f64 v[137:138], v[137:138], v[157:158]
	s_waitcnt vmcnt(58) lgkmcnt(1)
	v_mul_f64 v[161:162], v[7:8], v[173:174]
	s_waitcnt vmcnt(56)
	v_fma_f64 v[169:170], v[131:132], v[175:176], -v[168:169]
	v_mul_f64 v[157:158], v[5:6], v[173:174]
	v_add_f64 v[135:136], v[135:136], v[153:154]
	v_fma_f64 v[153:154], v[133:134], v[175:176], v[215:216]
	v_add_f64 v[137:138], v[137:138], v[151:152]
	s_clause 0x4
	buffer_load_dword v152, off, s[0:3], 0 offset:780
	buffer_load_dword v173, off, s[0:3], 0 offset:792
	buffer_load_dword v175, off, s[0:3], 0 offset:784
	buffer_load_dword v151, off, s[0:3], 0 offset:776
	buffer_load_dword v168, off, s[0:3], 0 offset:756
	s_waitcnt vmcnt(57) lgkmcnt(0)
	v_mul_f64 v[215:216], v[1:2], v[177:178]
	v_mul_f64 v[176:177], v[3:4], v[177:178]
	s_waitcnt vmcnt(56)
	v_fma_f64 v[161:162], v[5:6], v[163:164], -v[161:162]
	ds_read_b128 v[131:134], v183 offset:1520
	v_fma_f64 v[157:158], v[7:8], v[163:164], v[157:158]
	v_add_f64 v[135:136], v[135:136], v[169:170]
	v_add_f64 v[137:138], v[137:138], v[153:154]
	s_clause 0x2
	buffer_load_dword v174, off, s[0:3], 0 offset:796
	buffer_load_dword v154, off, s[0:3], 0 offset:772
	;; [unrolled: 1-line block ×3, first 2 shown]
	ds_read_b128 v[5:8], v183 offset:1536
	s_waitcnt vmcnt(58) lgkmcnt(1)
	v_mul_f64 v[169:170], v[133:134], v[179:180]
	s_waitcnt vmcnt(56)
	v_fma_f64 v[177:178], v[1:2], v[181:182], -v[176:177]
	v_mul_f64 v[163:164], v[131:132], v[179:180]
	v_add_f64 v[135:136], v[135:136], v[161:162]
	v_fma_f64 v[161:162], v[3:4], v[181:182], v[215:216]
	v_add_f64 v[137:138], v[137:138], v[157:158]
	s_clause 0x4
	buffer_load_dword v158, off, s[0:3], 0 offset:812
	buffer_load_dword v179, off, s[0:3], 0 offset:824
	;; [unrolled: 1-line block ×5, first 2 shown]
	s_waitcnt vmcnt(57) lgkmcnt(0)
	v_mul_f64 v[215:216], v[5:6], v[200:201]
	v_mul_f64 v[200:201], v[7:8], v[200:201]
	s_waitcnt vmcnt(56)
	v_fma_f64 v[169:170], v[131:132], v[171:172], -v[169:170]
	ds_read_b128 v[1:4], v183 offset:1552
	v_fma_f64 v[163:164], v[133:134], v[171:172], v[163:164]
	v_add_f64 v[135:136], v[135:136], v[177:178]
	v_add_f64 v[137:138], v[137:138], v[161:162]
	s_clause 0x2
	buffer_load_dword v180, off, s[0:3], 0 offset:828
	buffer_load_dword v162, off, s[0:3], 0 offset:804
	;; [unrolled: 1-line block ×3, first 2 shown]
	ds_read_b128 v[131:134], v183 offset:1568
	s_waitcnt vmcnt(58) lgkmcnt(1)
	v_mul_f64 v[177:178], v[3:4], v[202:203]
	s_waitcnt vmcnt(56)
	v_fma_f64 v[200:201], v[5:6], v[207:208], -v[200:201]
	v_mul_f64 v[171:172], v[1:2], v[202:203]
	v_add_f64 v[135:136], v[135:136], v[169:170]
	v_fma_f64 v[169:170], v[7:8], v[207:208], v[215:216]
	v_add_f64 v[137:138], v[137:138], v[163:164]
	s_clause 0x4
	buffer_load_dword v164, off, s[0:3], 0 offset:844
	buffer_load_dword v202, off, s[0:3], 0 offset:856
	;; [unrolled: 1-line block ×5, first 2 shown]
	ds_read_b128 v[5:8], v183 offset:1584
	s_waitcnt vmcnt(57) lgkmcnt(1)
	v_mul_f64 v[207:208], v[131:132], v[194:195]
	v_mul_f64 v[194:195], v[133:134], v[194:195]
	s_waitcnt vmcnt(56)
	v_fma_f64 v[177:178], v[1:2], v[204:205], -v[177:178]
	v_fma_f64 v[171:172], v[3:4], v[204:205], v[171:172]
	v_add_f64 v[135:136], v[135:136], v[200:201]
	v_add_f64 v[137:138], v[137:138], v[169:170]
	s_clause 0x2
	buffer_load_dword v203, off, s[0:3], 0 offset:860
	buffer_load_dword v170, off, s[0:3], 0 offset:836
	;; [unrolled: 1-line block ×3, first 2 shown]
	ds_read_b128 v[1:4], v183 offset:1600
	s_waitcnt vmcnt(58) lgkmcnt(1)
	v_mul_f64 v[204:205], v[7:8], v[211:212]
	v_mul_f64 v[200:201], v[5:6], v[211:212]
	s_waitcnt vmcnt(56)
	v_fma_f64 v[194:195], v[131:132], v[188:189], -v[194:195]
	v_add_f64 v[135:136], v[135:136], v[177:178]
	v_fma_f64 v[177:178], v[133:134], v[188:189], v[207:208]
	v_add_f64 v[137:138], v[137:138], v[171:172]
	s_clause 0x4
	buffer_load_dword v172, off, s[0:3], 0 offset:876
	buffer_load_dword v188, off, s[0:3], 0 offset:888
	buffer_load_dword v211, off, s[0:3], 0 offset:880
	buffer_load_dword v171, off, s[0:3], 0 offset:872
	buffer_load_dword v207, off, s[0:3], 0 offset:852
	ds_read_b128 v[131:134], v183 offset:1616
	s_waitcnt vmcnt(57) lgkmcnt(1)
	v_mul_f64 v[215:216], v[1:2], v[147:148]
	v_mul_f64 v[147:148], v[3:4], v[147:148]
	s_waitcnt vmcnt(56)
	v_fma_f64 v[204:205], v[5:6], v[213:214], -v[204:205]
	v_add_f64 v[135:136], v[135:136], v[194:195]
	v_fma_f64 v[194:195], v[7:8], v[213:214], v[200:201]
	v_add_f64 v[137:138], v[137:138], v[177:178]
	s_clause 0x2
	buffer_load_dword v189, off, s[0:3], 0 offset:892
	buffer_load_dword v178, off, s[0:3], 0 offset:868
	buffer_load_dword v177, off, s[0:3], 0 offset:864
	ds_read_b128 v[5:8], v183 offset:1632
	s_waitcnt vmcnt(58) lgkmcnt(1)
	v_mul_f64 v[200:201], v[131:132], v[196:197]
	v_mul_f64 v[196:197], v[133:134], v[196:197]
	s_waitcnt vmcnt(56)
	v_fma_f64 v[147:148], v[1:2], v[141:142], -v[147:148]
	v_fma_f64 v[141:142], v[3:4], v[141:142], v[215:216]
	v_add_f64 v[135:136], v[135:136], v[204:205]
	v_add_f64 v[137:138], v[137:138], v[194:195]
	s_clause 0x4
	buffer_load_dword v195, off, s[0:3], 0 offset:908
	buffer_load_dword v204, off, s[0:3], 0 offset:920
	buffer_load_dword v208, off, s[0:3], 0 offset:912
	buffer_load_dword v194, off, s[0:3], 0 offset:904
	buffer_load_dword v212, off, s[0:3], 0 offset:884
	ds_read_b128 v[1:4], v183 offset:1648
	s_waitcnt vmcnt(57) lgkmcnt(1)
	v_mul_f64 v[213:214], v[5:6], v[184:185]
	v_mul_f64 v[184:185], v[7:8], v[184:185]
	s_waitcnt vmcnt(56)
	v_fma_f64 v[196:197], v[131:132], v[209:210], -v[196:197]
	v_add_f64 v[135:136], v[135:136], v[147:148]
	v_fma_f64 v[147:148], v[133:134], v[209:210], v[200:201]
	v_add_f64 v[137:138], v[137:138], v[141:142]
	s_clause 0x2
	buffer_load_dword v205, off, s[0:3], 0 offset:924
	buffer_load_dword v142, off, s[0:3], 0 offset:900
	buffer_load_dword v141, off, s[0:3], 0 offset:896
	ds_read_b128 v[131:134], v183 offset:1664
	s_waitcnt vmcnt(58) lgkmcnt(1)
	v_mul_f64 v[200:201], v[1:2], v[186:187]
	v_mul_f64 v[186:187], v[3:4], v[186:187]
	s_waitcnt vmcnt(56)
	v_fma_f64 v[184:185], v[5:6], v[143:144], -v[184:185]
	v_fma_f64 v[143:144], v[7:8], v[143:144], v[213:214]
	v_add_f64 v[135:136], v[135:136], v[196:197]
	;; [unrolled: 28-line block ×3, first 2 shown]
	v_add_f64 v[137:138], v[137:138], v[184:185]
	s_clause 0x4
	buffer_load_dword v185, off, s[0:3], 0 offset:972
	buffer_load_dword v186, off, s[0:3], 0 offset:984
	;; [unrolled: 1-line block ×5, first 2 shown]
	ds_read_b128 v[131:134], v183 offset:1712
	s_waitcnt vmcnt(57) lgkmcnt(1)
	v_mul_f64 v[215:216], v[1:2], v[145:146]
	v_mul_f64 v[145:146], v[3:4], v[145:146]
	s_waitcnt vmcnt(56)
	v_fma_f64 v[159:160], v[5:6], v[192:193], -v[159:160]
	v_add_f64 v[135:136], v[135:136], v[139:140]
	v_fma_f64 v[139:140], v[7:8], v[192:193], v[198:199]
	v_add_f64 v[137:138], v[137:138], v[149:150]
	s_clause 0x2
	buffer_load_dword v187, off, s[0:3], 0 offset:988
	buffer_load_dword v150, off, s[0:3], 0 offset:964
	;; [unrolled: 1-line block ×3, first 2 shown]
	s_waitcnt vmcnt(58) lgkmcnt(0)
	v_mul_f64 v[192:193], v[131:132], v[165:166]
	v_mul_f64 v[165:166], v[133:134], v[165:166]
	ds_read_b128 v[5:8], v183 offset:1728
	buffer_load_dword v201, off, s[0:3], 0 offset:980
	s_waitcnt vmcnt(57)
	v_fma_f64 v[145:146], v[1:2], v[155:156], -v[145:146]
	v_fma_f64 v[155:156], v[3:4], v[155:156], v[215:216]
	ds_read_b128 v[1:4], v183 offset:1744
	v_add_f64 v[135:136], v[135:136], v[159:160]
	v_add_f64 v[137:138], v[137:138], v[139:140]
	s_waitcnt vmcnt(53) lgkmcnt(1)
	v_mul_f64 v[139:140], v[5:6], v[151:152]
	v_mul_f64 v[151:152], v[7:8], v[151:152]
	s_waitcnt vmcnt(52)
	v_fma_f64 v[159:160], v[131:132], v[167:168], -v[165:166]
	v_add_f64 v[135:136], v[135:136], v[145:146]
	v_fma_f64 v[145:146], v[133:134], v[167:168], v[192:193]
	v_add_f64 v[137:138], v[137:138], v[155:156]
	ds_read_b128 v[131:134], v183 offset:1760
	s_waitcnt vmcnt(51) lgkmcnt(1)
	v_mul_f64 v[165:166], v[3:4], v[173:174]
	v_mul_f64 v[155:156], v[1:2], v[173:174]
	s_waitcnt vmcnt(49)
	v_fma_f64 v[151:152], v[5:6], v[153:154], -v[151:152]
	v_fma_f64 v[139:140], v[7:8], v[153:154], v[139:140]
	v_add_f64 v[135:136], v[135:136], v[159:160]
	v_add_f64 v[137:138], v[137:138], v[145:146]
	s_clause 0x3
	buffer_load_dword v145, off, s[0:3], 0 offset:320
	buffer_load_dword v146, off, s[0:3], 0 offset:324
	;; [unrolled: 1-line block ×4, first 2 shown]
	ds_read_b128 v[5:8], v183 offset:1776
	s_waitcnt vmcnt(49) lgkmcnt(1)
	v_mul_f64 v[159:160], v[131:132], v[157:158]
	v_mul_f64 v[157:158], v[133:134], v[157:158]
	s_waitcnt vmcnt(48)
	v_fma_f64 v[165:166], v[1:2], v[175:176], -v[165:166]
	v_add_f64 v[135:136], v[135:136], v[151:152]
	v_fma_f64 v[151:152], v[3:4], v[175:176], v[155:156]
	v_add_f64 v[137:138], v[137:138], v[139:140]
	ds_read_b128 v[1:4], v183 offset:1792
	s_waitcnt vmcnt(47) lgkmcnt(1)
	v_mul_f64 v[155:156], v[7:8], v[179:180]
	v_mul_f64 v[139:140], v[5:6], v[179:180]
	s_waitcnt vmcnt(45)
	v_fma_f64 v[157:158], v[131:132], v[161:162], -v[157:158]
	v_fma_f64 v[159:160], v[133:134], v[161:162], v[159:160]
	ds_read_b128 v[131:134], v183 offset:1808
	v_add_f64 v[135:136], v[135:136], v[165:166]
	v_add_f64 v[137:138], v[137:138], v[151:152]
	s_waitcnt vmcnt(41) lgkmcnt(1)
	v_mul_f64 v[161:162], v[3:4], v[163:164]
	s_waitcnt vmcnt(40)
	v_fma_f64 v[155:156], v[5:6], v[181:182], -v[155:156]
	v_mul_f64 v[151:152], v[1:2], v[163:164]
	v_fma_f64 v[139:140], v[7:8], v[181:182], v[139:140]
	ds_read_b128 v[5:8], v183 offset:1824
	v_add_f64 v[135:136], v[135:136], v[157:158]
	v_add_f64 v[137:138], v[137:138], v[159:160]
	s_waitcnt vmcnt(39) lgkmcnt(1)
	v_mul_f64 v[159:160], v[133:134], v[202:203]
	v_mul_f64 v[157:158], v[131:132], v[202:203]
	s_waitcnt vmcnt(37)
	v_fma_f64 v[161:162], v[1:2], v[169:170], -v[161:162]
	v_fma_f64 v[151:152], v[3:4], v[169:170], v[151:152]
	ds_read_b128 v[1:4], v183 offset:1840
	v_add_f64 v[135:136], v[135:136], v[155:156]
	v_add_f64 v[137:138], v[137:138], v[139:140]
	s_waitcnt vmcnt(33) lgkmcnt(1)
	v_mul_f64 v[155:156], v[7:8], v[171:172]
	s_waitcnt vmcnt(32)
	v_fma_f64 v[159:160], v[131:132], v[206:207], -v[159:160]
	v_mul_f64 v[139:140], v[5:6], v[171:172]
	v_fma_f64 v[157:158], v[133:134], v[206:207], v[157:158]
	ds_read_b128 v[131:134], v183 offset:1856
	v_add_f64 v[135:136], v[135:136], v[161:162]
	v_add_f64 v[137:138], v[137:138], v[151:152]
	;; [unrolled: 18-line block ×3, first 2 shown]
	s_waitcnt vmcnt(23) lgkmcnt(1)
	v_mul_f64 v[155:156], v[7:8], v[204:205]
	v_mul_f64 v[139:140], v[5:6], v[204:205]
	s_waitcnt vmcnt(21)
	v_fma_f64 v[159:160], v[131:132], v[141:142], -v[159:160]
	v_fma_f64 v[141:142], v[133:134], v[141:142], v[157:158]
	ds_read_b128 v[131:134], v183 offset:1904
	v_add_f64 v[135:136], v[135:136], v[161:162]
	v_add_f64 v[137:138], v[137:138], v[151:152]
	s_waitcnt vmcnt(17) lgkmcnt(1)
	v_mul_f64 v[151:152], v[1:2], v[147:148]
	v_mul_f64 v[147:148], v[3:4], v[147:148]
	s_waitcnt vmcnt(16)
	v_fma_f64 v[155:156], v[5:6], v[208:209], -v[155:156]
	v_fma_f64 v[139:140], v[7:8], v[208:209], v[139:140]
	ds_read_b128 v[5:8], v183 offset:1920
	v_add_f64 v[135:136], v[135:136], v[159:160]
	v_add_f64 v[137:138], v[137:138], v[141:142]
	;; [unrolled: 9-line block ×3, first 2 shown]
	s_waitcnt vmcnt(9) lgkmcnt(1)
	v_mul_f64 v[151:152], v[7:8], v[184:185]
	s_waitcnt vmcnt(8)
	v_fma_f64 v[131:132], v[131:132], v[213:214], -v[157:158]
	v_mul_f64 v[139:140], v[5:6], v[184:185]
	v_fma_f64 v[133:134], v[133:134], v[213:214], v[141:142]
	v_add_f64 v[135:136], v[135:136], v[147:148]
	v_add_f64 v[137:138], v[137:138], v[143:144]
	s_waitcnt vmcnt(7) lgkmcnt(0)
	v_mul_f64 v[143:144], v[3:4], v[186:187]
	v_mul_f64 v[141:142], v[1:2], v[186:187]
	s_waitcnt vmcnt(5)
	v_fma_f64 v[5:6], v[5:6], v[149:150], -v[151:152]
	v_fma_f64 v[7:8], v[7:8], v[149:150], v[139:140]
	v_add_f64 v[131:132], v[135:136], v[131:132]
	v_add_f64 v[133:134], v[137:138], v[133:134]
	s_waitcnt vmcnt(4)
	v_fma_f64 v[1:2], v[1:2], v[200:201], -v[143:144]
	v_fma_f64 v[3:4], v[3:4], v[200:201], v[141:142]
	v_add_f64 v[5:6], v[131:132], v[5:6]
	v_add_f64 v[7:8], v[133:134], v[7:8]
	;; [unrolled: 1-line block ×4, first 2 shown]
	s_waitcnt vmcnt(2)
	v_add_f64 v[1:2], v[145:146], -v[1:2]
	s_waitcnt vmcnt(0)
	v_add_f64 v[3:4], v[153:154], -v[3:4]
	buffer_store_dword v2, off, s[0:3], 0 offset:324
	buffer_store_dword v1, off, s[0:3], 0 offset:320
	;; [unrolled: 1-line block ×4, first 2 shown]
	v_cmpx_lt_u32_e32 18, v0
	s_cbranch_execz .LBB124_355
; %bb.354:
	v_mov_b32_e32 v4, s57
	s_clause 0x3
	buffer_load_dword v1, v4, s[0:3], 0 offen
	buffer_load_dword v2, v4, s[0:3], 0 offen offset:4
	buffer_load_dword v3, v4, s[0:3], 0 offen offset:8
	;; [unrolled: 1-line block ×3, first 2 shown]
	buffer_store_dword v183, off, s[0:3], 0 offset:304
	buffer_store_dword v183, off, s[0:3], 0 offset:308
	;; [unrolled: 1-line block ×4, first 2 shown]
	s_waitcnt vmcnt(0)
	ds_write_b128 v191, v[1:4]
.LBB124_355:
	s_or_b32 exec_lo, exec_lo, s4
	s_waitcnt lgkmcnt(0)
	s_waitcnt_vscnt null, 0x0
	s_barrier
	buffer_gl0_inv
	s_clause 0x37
	buffer_load_dword v131, off, s[0:3], 0 offset:328
	buffer_load_dword v132, off, s[0:3], 0 offset:332
	buffer_load_dword v5, off, s[0:3], 0 offset:344
	buffer_load_dword v6, off, s[0:3], 0 offset:348
	buffer_load_dword v7, off, s[0:3], 0 offset:320
	buffer_load_dword v8, off, s[0:3], 0 offset:324
	buffer_load_dword v3, off, s[0:3], 0 offset:360
	buffer_load_dword v4, off, s[0:3], 0 offset:364
	buffer_load_dword v1, off, s[0:3], 0 offset:336
	buffer_load_dword v2, off, s[0:3], 0 offset:340
	buffer_load_dword v136, off, s[0:3], 0 offset:380
	buffer_load_dword v139, off, s[0:3], 0 offset:392
	buffer_load_dword v133, off, s[0:3], 0 offset:384
	buffer_load_dword v135, off, s[0:3], 0 offset:376
	buffer_load_dword v147, off, s[0:3], 0 offset:352
	buffer_load_dword v148, off, s[0:3], 0 offset:356
	buffer_load_dword v140, off, s[0:3], 0 offset:396
	buffer_load_dword v142, off, s[0:3], 0 offset:372
	buffer_load_dword v141, off, s[0:3], 0 offset:368
	buffer_load_dword v144, off, s[0:3], 0 offset:412
	buffer_load_dword v149, off, s[0:3], 0 offset:424
	buffer_load_dword v137, off, s[0:3], 0 offset:416
	buffer_load_dword v143, off, s[0:3], 0 offset:408
	buffer_load_dword v134, off, s[0:3], 0 offset:388
	buffer_load_dword v150, off, s[0:3], 0 offset:428
	buffer_load_dword v152, off, s[0:3], 0 offset:404
	buffer_load_dword v151, off, s[0:3], 0 offset:400
	buffer_load_dword v154, off, s[0:3], 0 offset:444
	buffer_load_dword v157, off, s[0:3], 0 offset:456
	buffer_load_dword v145, off, s[0:3], 0 offset:448
	buffer_load_dword v153, off, s[0:3], 0 offset:440
	buffer_load_dword v138, off, s[0:3], 0 offset:420
	buffer_load_dword v158, off, s[0:3], 0 offset:460
	buffer_load_dword v160, off, s[0:3], 0 offset:436
	buffer_load_dword v159, off, s[0:3], 0 offset:432
	buffer_load_dword v162, off, s[0:3], 0 offset:476
	buffer_load_dword v165, off, s[0:3], 0 offset:488
	buffer_load_dword v155, off, s[0:3], 0 offset:480
	buffer_load_dword v161, off, s[0:3], 0 offset:472
	buffer_load_dword v146, off, s[0:3], 0 offset:452
	buffer_load_dword v166, off, s[0:3], 0 offset:492
	buffer_load_dword v168, off, s[0:3], 0 offset:468
	buffer_load_dword v167, off, s[0:3], 0 offset:464
	buffer_load_dword v170, off, s[0:3], 0 offset:508
	buffer_load_dword v173, off, s[0:3], 0 offset:520
	buffer_load_dword v163, off, s[0:3], 0 offset:512
	buffer_load_dword v169, off, s[0:3], 0 offset:504
	buffer_load_dword v156, off, s[0:3], 0 offset:484
	buffer_load_dword v174, off, s[0:3], 0 offset:524
	buffer_load_dword v176, off, s[0:3], 0 offset:500
	buffer_load_dword v175, off, s[0:3], 0 offset:496
	buffer_load_dword v178, off, s[0:3], 0 offset:540
	buffer_load_dword v179, off, s[0:3], 0 offset:552
	buffer_load_dword v171, off, s[0:3], 0 offset:544
	buffer_load_dword v177, off, s[0:3], 0 offset:536
	buffer_load_dword v164, off, s[0:3], 0 offset:516
	ds_read_b128 v[184:187], v183 offset:1280
	s_clause 0x2
	buffer_load_dword v180, off, s[0:3], 0 offset:556
	buffer_load_dword v182, off, s[0:3], 0 offset:532
	;; [unrolled: 1-line block ×3, first 2 shown]
	ds_read_b128 v[192:195], v183 offset:1296
	s_clause 0x4
	buffer_load_dword v201, off, s[0:3], 0 offset:572
	buffer_load_dword v202, off, s[0:3], 0 offset:584
	;; [unrolled: 1-line block ×5, first 2 shown]
	ds_read_b128 v[196:199], v183 offset:1312
	s_clause 0x2
	buffer_load_dword v203, off, s[0:3], 0 offset:588
	buffer_load_dword v208, off, s[0:3], 0 offset:564
	;; [unrolled: 1-line block ×3, first 2 shown]
	s_mov_b32 s4, exec_lo
	s_waitcnt vmcnt(62) lgkmcnt(2)
	v_mul_f64 v[188:189], v[186:187], v[131:132]
	v_mul_f64 v[131:132], v[184:185], v[131:132]
	s_waitcnt lgkmcnt(1)
	v_mul_f64 v[205:206], v[194:195], v[5:6]
	s_waitcnt vmcnt(59) lgkmcnt(0)
	v_mul_f64 v[209:210], v[198:199], v[3:4]
	v_fma_f64 v[184:185], v[184:185], v[7:8], -v[188:189]
	v_mul_f64 v[188:189], v[192:193], v[5:6]
	v_fma_f64 v[131:132], v[186:187], v[7:8], v[131:132]
	s_waitcnt vmcnt(57)
	v_fma_f64 v[192:193], v[192:193], v[1:2], -v[205:206]
	ds_read_b128 v[5:8], v183 offset:1328
	v_mul_f64 v[186:187], v[196:197], v[3:4]
	s_waitcnt vmcnt(51)
	v_fma_f64 v[196:197], v[196:197], v[147:148], -v[209:210]
	v_add_f64 v[184:185], v[184:185], 0
	v_fma_f64 v[188:189], v[194:195], v[1:2], v[188:189]
	v_add_f64 v[131:132], v[131:132], 0
	s_clause 0x4
	buffer_load_dword v195, off, s[0:3], 0 offset:604
	buffer_load_dword v211, off, s[0:3], 0 offset:616
	;; [unrolled: 1-line block ×5, first 2 shown]
	s_waitcnt lgkmcnt(0)
	v_mul_f64 v[214:215], v[5:6], v[135:136]
	v_mul_f64 v[135:136], v[7:8], v[135:136]
	ds_read_b128 v[1:4], v183 offset:1344
	v_fma_f64 v[147:148], v[198:199], v[147:148], v[186:187]
	v_add_f64 v[192:193], v[184:185], v[192:193]
	v_add_f64 v[131:132], v[131:132], v[188:189]
	s_clause 0x2
	buffer_load_dword v212, off, s[0:3], 0 offset:620
	buffer_load_dword v189, off, s[0:3], 0 offset:596
	;; [unrolled: 1-line block ×3, first 2 shown]
	s_waitcnt vmcnt(58) lgkmcnt(0)
	v_mul_f64 v[198:199], v[1:2], v[139:140]
	v_mul_f64 v[139:140], v[3:4], v[139:140]
	s_waitcnt vmcnt(56)
	v_fma_f64 v[135:136], v[5:6], v[141:142], -v[135:136]
	ds_read_b128 v[184:187], v183 offset:1360
	v_fma_f64 v[141:142], v[7:8], v[141:142], v[214:215]
	v_add_f64 v[192:193], v[192:193], v[196:197]
	v_add_f64 v[131:132], v[131:132], v[147:148]
	s_clause 0x4
	buffer_load_dword v148, off, s[0:3], 0 offset:636
	buffer_load_dword v196, off, s[0:3], 0 offset:648
	;; [unrolled: 1-line block ×5, first 2 shown]
	ds_read_b128 v[5:8], v183 offset:1376
	s_waitcnt vmcnt(57) lgkmcnt(1)
	v_mul_f64 v[215:216], v[184:185], v[143:144]
	v_mul_f64 v[143:144], v[186:187], v[143:144]
	s_waitcnt vmcnt(56)
	v_fma_f64 v[139:140], v[1:2], v[133:134], -v[139:140]
	v_fma_f64 v[133:134], v[3:4], v[133:134], v[198:199]
	v_add_f64 v[135:136], v[192:193], v[135:136]
	v_add_f64 v[131:132], v[131:132], v[141:142]
	s_clause 0x2
	buffer_load_dword v197, off, s[0:3], 0 offset:652
	buffer_load_dword v142, off, s[0:3], 0 offset:628
	;; [unrolled: 1-line block ×3, first 2 shown]
	s_waitcnt vmcnt(58) lgkmcnt(0)
	v_mul_f64 v[192:193], v[5:6], v[149:150]
	v_mul_f64 v[149:150], v[7:8], v[149:150]
	s_waitcnt vmcnt(56)
	v_fma_f64 v[143:144], v[184:185], v[151:152], -v[143:144]
	ds_read_b128 v[1:4], v183 offset:1392
	v_add_f64 v[135:136], v[135:136], v[139:140]
	v_fma_f64 v[139:140], v[186:187], v[151:152], v[215:216]
	v_add_f64 v[151:152], v[131:132], v[133:134]
	s_clause 0x4
	buffer_load_dword v185, off, s[0:3], 0 offset:668
	buffer_load_dword v186, off, s[0:3], 0 offset:680
	;; [unrolled: 1-line block ×5, first 2 shown]
	ds_read_b128 v[131:134], v183 offset:1408
	s_waitcnt vmcnt(57) lgkmcnt(1)
	v_mul_f64 v[215:216], v[1:2], v[153:154]
	v_mul_f64 v[153:154], v[3:4], v[153:154]
	s_waitcnt vmcnt(56)
	v_fma_f64 v[149:150], v[5:6], v[137:138], -v[149:150]
	v_fma_f64 v[137:138], v[7:8], v[137:138], v[192:193]
	v_add_f64 v[135:136], v[135:136], v[143:144]
	s_clause 0x2
	buffer_load_dword v187, off, s[0:3], 0 offset:684
	buffer_load_dword v144, off, s[0:3], 0 offset:660
	;; [unrolled: 1-line block ×3, first 2 shown]
	v_add_f64 v[139:140], v[151:152], v[139:140]
	s_waitcnt vmcnt(58) lgkmcnt(0)
	v_mul_f64 v[151:152], v[131:132], v[157:158]
	v_mul_f64 v[157:158], v[133:134], v[157:158]
	ds_read_b128 v[5:8], v183 offset:1424
	s_waitcnt vmcnt(56)
	v_fma_f64 v[153:154], v[1:2], v[159:160], -v[153:154]
	v_add_f64 v[135:136], v[135:136], v[149:150]
	v_fma_f64 v[149:150], v[3:4], v[159:160], v[215:216]
	v_add_f64 v[137:138], v[139:140], v[137:138]
	s_clause 0x4
	buffer_load_dword v140, off, s[0:3], 0 offset:700
	buffer_load_dword v159, off, s[0:3], 0 offset:712
	;; [unrolled: 1-line block ×5, first 2 shown]
	s_waitcnt vmcnt(57) lgkmcnt(0)
	v_mul_f64 v[215:216], v[5:6], v[161:162]
	v_mul_f64 v[161:162], v[7:8], v[161:162]
	s_waitcnt vmcnt(56)
	v_fma_f64 v[157:158], v[131:132], v[145:146], -v[157:158]
	ds_read_b128 v[1:4], v183 offset:1440
	v_fma_f64 v[145:146], v[133:134], v[145:146], v[151:152]
	v_add_f64 v[135:136], v[135:136], v[153:154]
	v_add_f64 v[137:138], v[137:138], v[149:150]
	s_clause 0x2
	buffer_load_dword v160, off, s[0:3], 0 offset:716
	buffer_load_dword v150, off, s[0:3], 0 offset:692
	;; [unrolled: 1-line block ×3, first 2 shown]
	ds_read_b128 v[131:134], v183 offset:1456
	s_waitcnt vmcnt(58) lgkmcnt(1)
	v_mul_f64 v[153:154], v[3:4], v[165:166]
	s_waitcnt vmcnt(56)
	v_fma_f64 v[161:162], v[5:6], v[167:168], -v[161:162]
	v_mul_f64 v[151:152], v[1:2], v[165:166]
	v_add_f64 v[135:136], v[135:136], v[157:158]
	v_fma_f64 v[157:158], v[7:8], v[167:168], v[215:216]
	v_add_f64 v[137:138], v[137:138], v[145:146]
	s_clause 0x4
	buffer_load_dword v146, off, s[0:3], 0 offset:732
	buffer_load_dword v165, off, s[0:3], 0 offset:744
	;; [unrolled: 1-line block ×5, first 2 shown]
	s_waitcnt vmcnt(57) lgkmcnt(0)
	v_mul_f64 v[215:216], v[131:132], v[169:170]
	v_mul_f64 v[168:169], v[133:134], v[169:170]
	s_waitcnt vmcnt(56)
	v_fma_f64 v[153:154], v[1:2], v[155:156], -v[153:154]
	ds_read_b128 v[5:8], v183 offset:1472
	v_fma_f64 v[151:152], v[3:4], v[155:156], v[151:152]
	s_clause 0x2
	buffer_load_dword v166, off, s[0:3], 0 offset:748
	buffer_load_dword v156, off, s[0:3], 0 offset:724
	;; [unrolled: 1-line block ×3, first 2 shown]
	ds_read_b128 v[1:4], v183 offset:1488
	v_add_f64 v[135:136], v[135:136], v[161:162]
	v_add_f64 v[137:138], v[137:138], v[157:158]
	s_waitcnt vmcnt(58) lgkmcnt(1)
	v_mul_f64 v[161:162], v[7:8], v[173:174]
	s_waitcnt vmcnt(56)
	v_fma_f64 v[169:170], v[131:132], v[175:176], -v[168:169]
	v_mul_f64 v[157:158], v[5:6], v[173:174]
	v_add_f64 v[135:136], v[135:136], v[153:154]
	v_fma_f64 v[153:154], v[133:134], v[175:176], v[215:216]
	v_add_f64 v[137:138], v[137:138], v[151:152]
	s_clause 0x4
	buffer_load_dword v152, off, s[0:3], 0 offset:764
	buffer_load_dword v173, off, s[0:3], 0 offset:776
	buffer_load_dword v175, off, s[0:3], 0 offset:768
	buffer_load_dword v151, off, s[0:3], 0 offset:760
	buffer_load_dword v168, off, s[0:3], 0 offset:740
	s_waitcnt vmcnt(57) lgkmcnt(0)
	v_mul_f64 v[215:216], v[1:2], v[177:178]
	v_mul_f64 v[176:177], v[3:4], v[177:178]
	s_waitcnt vmcnt(56)
	v_fma_f64 v[161:162], v[5:6], v[163:164], -v[161:162]
	ds_read_b128 v[131:134], v183 offset:1504
	v_fma_f64 v[157:158], v[7:8], v[163:164], v[157:158]
	v_add_f64 v[135:136], v[135:136], v[169:170]
	v_add_f64 v[137:138], v[137:138], v[153:154]
	s_clause 0x2
	buffer_load_dword v174, off, s[0:3], 0 offset:780
	buffer_load_dword v154, off, s[0:3], 0 offset:756
	;; [unrolled: 1-line block ×3, first 2 shown]
	ds_read_b128 v[5:8], v183 offset:1520
	s_waitcnt vmcnt(58) lgkmcnt(1)
	v_mul_f64 v[169:170], v[133:134], v[179:180]
	s_waitcnt vmcnt(56)
	v_fma_f64 v[177:178], v[1:2], v[181:182], -v[176:177]
	v_mul_f64 v[163:164], v[131:132], v[179:180]
	v_add_f64 v[135:136], v[135:136], v[161:162]
	v_fma_f64 v[161:162], v[3:4], v[181:182], v[215:216]
	v_add_f64 v[137:138], v[137:138], v[157:158]
	s_clause 0x4
	buffer_load_dword v158, off, s[0:3], 0 offset:796
	buffer_load_dword v179, off, s[0:3], 0 offset:808
	;; [unrolled: 1-line block ×5, first 2 shown]
	s_waitcnt vmcnt(57) lgkmcnt(0)
	v_mul_f64 v[215:216], v[5:6], v[200:201]
	v_mul_f64 v[200:201], v[7:8], v[200:201]
	s_waitcnt vmcnt(56)
	v_fma_f64 v[169:170], v[131:132], v[171:172], -v[169:170]
	ds_read_b128 v[1:4], v183 offset:1536
	v_fma_f64 v[163:164], v[133:134], v[171:172], v[163:164]
	v_add_f64 v[135:136], v[135:136], v[177:178]
	v_add_f64 v[137:138], v[137:138], v[161:162]
	s_clause 0x2
	buffer_load_dword v180, off, s[0:3], 0 offset:812
	buffer_load_dword v162, off, s[0:3], 0 offset:788
	;; [unrolled: 1-line block ×3, first 2 shown]
	ds_read_b128 v[131:134], v183 offset:1552
	s_waitcnt vmcnt(58) lgkmcnt(1)
	v_mul_f64 v[177:178], v[3:4], v[202:203]
	s_waitcnt vmcnt(56)
	v_fma_f64 v[200:201], v[5:6], v[207:208], -v[200:201]
	v_mul_f64 v[171:172], v[1:2], v[202:203]
	v_add_f64 v[135:136], v[135:136], v[169:170]
	v_fma_f64 v[169:170], v[7:8], v[207:208], v[215:216]
	v_add_f64 v[137:138], v[137:138], v[163:164]
	s_clause 0x4
	buffer_load_dword v164, off, s[0:3], 0 offset:828
	buffer_load_dword v202, off, s[0:3], 0 offset:840
	;; [unrolled: 1-line block ×5, first 2 shown]
	ds_read_b128 v[5:8], v183 offset:1568
	s_waitcnt vmcnt(57) lgkmcnt(1)
	v_mul_f64 v[207:208], v[131:132], v[194:195]
	v_mul_f64 v[194:195], v[133:134], v[194:195]
	s_waitcnt vmcnt(56)
	v_fma_f64 v[177:178], v[1:2], v[204:205], -v[177:178]
	v_fma_f64 v[171:172], v[3:4], v[204:205], v[171:172]
	v_add_f64 v[135:136], v[135:136], v[200:201]
	v_add_f64 v[137:138], v[137:138], v[169:170]
	s_clause 0x2
	buffer_load_dword v203, off, s[0:3], 0 offset:844
	buffer_load_dword v170, off, s[0:3], 0 offset:820
	;; [unrolled: 1-line block ×3, first 2 shown]
	ds_read_b128 v[1:4], v183 offset:1584
	s_waitcnt vmcnt(58) lgkmcnt(1)
	v_mul_f64 v[204:205], v[7:8], v[211:212]
	v_mul_f64 v[200:201], v[5:6], v[211:212]
	s_waitcnt vmcnt(56)
	v_fma_f64 v[194:195], v[131:132], v[188:189], -v[194:195]
	v_add_f64 v[135:136], v[135:136], v[177:178]
	v_fma_f64 v[177:178], v[133:134], v[188:189], v[207:208]
	v_add_f64 v[137:138], v[137:138], v[171:172]
	s_clause 0x4
	buffer_load_dword v172, off, s[0:3], 0 offset:860
	buffer_load_dword v188, off, s[0:3], 0 offset:872
	buffer_load_dword v211, off, s[0:3], 0 offset:864
	buffer_load_dword v171, off, s[0:3], 0 offset:856
	buffer_load_dword v207, off, s[0:3], 0 offset:836
	ds_read_b128 v[131:134], v183 offset:1600
	s_waitcnt vmcnt(57) lgkmcnt(1)
	v_mul_f64 v[215:216], v[1:2], v[147:148]
	v_mul_f64 v[147:148], v[3:4], v[147:148]
	s_waitcnt vmcnt(56)
	v_fma_f64 v[204:205], v[5:6], v[213:214], -v[204:205]
	v_add_f64 v[135:136], v[135:136], v[194:195]
	v_fma_f64 v[194:195], v[7:8], v[213:214], v[200:201]
	v_add_f64 v[137:138], v[137:138], v[177:178]
	s_clause 0x2
	buffer_load_dword v189, off, s[0:3], 0 offset:876
	buffer_load_dword v178, off, s[0:3], 0 offset:852
	buffer_load_dword v177, off, s[0:3], 0 offset:848
	ds_read_b128 v[5:8], v183 offset:1616
	s_waitcnt vmcnt(58) lgkmcnt(1)
	v_mul_f64 v[200:201], v[131:132], v[196:197]
	v_mul_f64 v[196:197], v[133:134], v[196:197]
	s_waitcnt vmcnt(56)
	v_fma_f64 v[147:148], v[1:2], v[141:142], -v[147:148]
	v_fma_f64 v[141:142], v[3:4], v[141:142], v[215:216]
	v_add_f64 v[135:136], v[135:136], v[204:205]
	v_add_f64 v[137:138], v[137:138], v[194:195]
	s_clause 0x4
	buffer_load_dword v195, off, s[0:3], 0 offset:892
	buffer_load_dword v204, off, s[0:3], 0 offset:904
	buffer_load_dword v208, off, s[0:3], 0 offset:896
	buffer_load_dword v194, off, s[0:3], 0 offset:888
	buffer_load_dword v212, off, s[0:3], 0 offset:868
	ds_read_b128 v[1:4], v183 offset:1632
	s_waitcnt vmcnt(57) lgkmcnt(1)
	v_mul_f64 v[213:214], v[5:6], v[184:185]
	v_mul_f64 v[184:185], v[7:8], v[184:185]
	s_waitcnt vmcnt(56)
	v_fma_f64 v[196:197], v[131:132], v[209:210], -v[196:197]
	v_add_f64 v[135:136], v[135:136], v[147:148]
	v_fma_f64 v[147:148], v[133:134], v[209:210], v[200:201]
	v_add_f64 v[137:138], v[137:138], v[141:142]
	s_clause 0x2
	buffer_load_dword v205, off, s[0:3], 0 offset:908
	buffer_load_dword v142, off, s[0:3], 0 offset:884
	buffer_load_dword v141, off, s[0:3], 0 offset:880
	ds_read_b128 v[131:134], v183 offset:1648
	s_waitcnt vmcnt(58) lgkmcnt(1)
	v_mul_f64 v[200:201], v[1:2], v[186:187]
	v_mul_f64 v[186:187], v[3:4], v[186:187]
	s_waitcnt vmcnt(56)
	v_fma_f64 v[184:185], v[5:6], v[143:144], -v[184:185]
	v_fma_f64 v[143:144], v[7:8], v[143:144], v[213:214]
	v_add_f64 v[135:136], v[135:136], v[196:197]
	;; [unrolled: 28-line block ×3, first 2 shown]
	v_add_f64 v[137:138], v[137:138], v[184:185]
	s_clause 0x4
	buffer_load_dword v185, off, s[0:3], 0 offset:956
	buffer_load_dword v186, off, s[0:3], 0 offset:968
	;; [unrolled: 1-line block ×5, first 2 shown]
	ds_read_b128 v[131:134], v183 offset:1696
	s_waitcnt vmcnt(57) lgkmcnt(1)
	v_mul_f64 v[215:216], v[1:2], v[145:146]
	v_mul_f64 v[145:146], v[3:4], v[145:146]
	s_waitcnt vmcnt(56)
	v_fma_f64 v[159:160], v[5:6], v[192:193], -v[159:160]
	v_add_f64 v[135:136], v[135:136], v[139:140]
	v_fma_f64 v[139:140], v[7:8], v[192:193], v[198:199]
	v_add_f64 v[137:138], v[137:138], v[149:150]
	s_clause 0x2
	buffer_load_dword v187, off, s[0:3], 0 offset:972
	buffer_load_dword v150, off, s[0:3], 0 offset:948
	;; [unrolled: 1-line block ×3, first 2 shown]
	s_waitcnt vmcnt(58) lgkmcnt(0)
	v_mul_f64 v[192:193], v[131:132], v[165:166]
	v_mul_f64 v[165:166], v[133:134], v[165:166]
	ds_read_b128 v[5:8], v183 offset:1712
	s_waitcnt vmcnt(56)
	v_fma_f64 v[145:146], v[1:2], v[155:156], -v[145:146]
	v_fma_f64 v[155:156], v[3:4], v[155:156], v[215:216]
	v_add_f64 v[135:136], v[135:136], v[159:160]
	v_add_f64 v[137:138], v[137:138], v[139:140]
	s_clause 0x2
	buffer_load_dword v140, off, s[0:3], 0 offset:988
	buffer_load_dword v139, off, s[0:3], 0 offset:984
	;; [unrolled: 1-line block ×3, first 2 shown]
	ds_read_b128 v[1:4], v183 offset:1728
	s_waitcnt vmcnt(55) lgkmcnt(1)
	v_mul_f64 v[159:160], v[5:6], v[151:152]
	v_mul_f64 v[151:152], v[7:8], v[151:152]
	s_waitcnt vmcnt(54)
	v_fma_f64 v[165:166], v[131:132], v[167:168], -v[165:166]
	v_add_f64 v[135:136], v[135:136], v[145:146]
	v_fma_f64 v[145:146], v[133:134], v[167:168], v[192:193]
	v_add_f64 v[137:138], v[137:138], v[155:156]
	s_clause 0x1
	buffer_load_dword v156, off, s[0:3], 0 offset:980
	buffer_load_dword v155, off, s[0:3], 0 offset:976
	ds_read_b128 v[131:134], v183 offset:1744
	s_waitcnt vmcnt(55) lgkmcnt(1)
	v_mul_f64 v[167:168], v[1:2], v[173:174]
	v_mul_f64 v[173:174], v[3:4], v[173:174]
	s_waitcnt vmcnt(53)
	v_fma_f64 v[151:152], v[5:6], v[153:154], -v[151:152]
	v_fma_f64 v[153:154], v[7:8], v[153:154], v[159:160]
	ds_read_b128 v[5:8], v183 offset:1760
	v_add_f64 v[135:136], v[135:136], v[165:166]
	v_add_f64 v[137:138], v[137:138], v[145:146]
	s_waitcnt vmcnt(49) lgkmcnt(1)
	v_mul_f64 v[145:146], v[131:132], v[157:158]
	v_mul_f64 v[157:158], v[133:134], v[157:158]
	s_waitcnt vmcnt(48)
	v_fma_f64 v[159:160], v[1:2], v[175:176], -v[173:174]
	v_add_f64 v[135:136], v[135:136], v[151:152]
	v_fma_f64 v[151:152], v[3:4], v[175:176], v[167:168]
	v_add_f64 v[137:138], v[137:138], v[153:154]
	s_clause 0x3
	buffer_load_dword v153, off, s[0:3], 0 offset:304
	buffer_load_dword v154, off, s[0:3], 0 offset:308
	;; [unrolled: 1-line block ×4, first 2 shown]
	ds_read_b128 v[1:4], v183 offset:1776
	s_waitcnt vmcnt(51) lgkmcnt(1)
	v_mul_f64 v[173:174], v[7:8], v[179:180]
	v_mul_f64 v[167:168], v[5:6], v[179:180]
	s_waitcnt vmcnt(49)
	v_fma_f64 v[157:158], v[131:132], v[161:162], -v[157:158]
	v_fma_f64 v[145:146], v[133:134], v[161:162], v[145:146]
	ds_read_b128 v[131:134], v183 offset:1792
	v_add_f64 v[135:136], v[135:136], v[159:160]
	v_add_f64 v[137:138], v[137:138], v[151:152]
	s_waitcnt vmcnt(45) lgkmcnt(1)
	v_mul_f64 v[159:160], v[3:4], v[163:164]
	s_waitcnt vmcnt(44)
	v_fma_f64 v[161:162], v[5:6], v[181:182], -v[173:174]
	v_mul_f64 v[151:152], v[1:2], v[163:164]
	v_add_f64 v[135:136], v[135:136], v[157:158]
	v_fma_f64 v[157:158], v[7:8], v[181:182], v[167:168]
	v_add_f64 v[137:138], v[137:138], v[145:146]
	ds_read_b128 v[5:8], v183 offset:1808
	s_waitcnt vmcnt(43) lgkmcnt(1)
	v_mul_f64 v[163:164], v[133:134], v[202:203]
	v_mul_f64 v[145:146], v[131:132], v[202:203]
	s_waitcnt vmcnt(41)
	v_fma_f64 v[159:160], v[1:2], v[169:170], -v[159:160]
	v_fma_f64 v[151:152], v[3:4], v[169:170], v[151:152]
	ds_read_b128 v[1:4], v183 offset:1824
	v_add_f64 v[135:136], v[135:136], v[161:162]
	v_add_f64 v[137:138], v[137:138], v[157:158]
	s_waitcnt vmcnt(37) lgkmcnt(1)
	v_mul_f64 v[161:162], v[7:8], v[171:172]
	s_waitcnt vmcnt(36)
	v_fma_f64 v[163:164], v[131:132], v[206:207], -v[163:164]
	v_mul_f64 v[157:158], v[5:6], v[171:172]
	v_fma_f64 v[145:146], v[133:134], v[206:207], v[145:146]
	ds_read_b128 v[131:134], v183 offset:1840
	v_add_f64 v[135:136], v[135:136], v[159:160]
	v_add_f64 v[137:138], v[137:138], v[151:152]
	s_waitcnt vmcnt(35) lgkmcnt(1)
	v_mul_f64 v[159:160], v[3:4], v[188:189]
	v_mul_f64 v[151:152], v[1:2], v[188:189]
	s_waitcnt vmcnt(33)
	v_fma_f64 v[161:162], v[5:6], v[177:178], -v[161:162]
	v_fma_f64 v[157:158], v[7:8], v[177:178], v[157:158]
	ds_read_b128 v[5:8], v183 offset:1856
	v_add_f64 v[135:136], v[135:136], v[163:164]
	v_add_f64 v[137:138], v[137:138], v[145:146]
	s_waitcnt vmcnt(29) lgkmcnt(1)
	v_mul_f64 v[163:164], v[133:134], v[194:195]
	s_waitcnt vmcnt(28)
	v_fma_f64 v[159:160], v[1:2], v[211:212], -v[159:160]
	v_mul_f64 v[145:146], v[131:132], v[194:195]
	v_fma_f64 v[151:152], v[3:4], v[211:212], v[151:152]
	ds_read_b128 v[1:4], v183 offset:1872
	v_add_f64 v[135:136], v[135:136], v[161:162]
	v_add_f64 v[137:138], v[137:138], v[157:158]
	s_waitcnt vmcnt(27) lgkmcnt(1)
	v_mul_f64 v[161:162], v[7:8], v[204:205]
	v_mul_f64 v[157:158], v[5:6], v[204:205]
	s_waitcnt vmcnt(25)
	v_fma_f64 v[163:164], v[131:132], v[141:142], -v[163:164]
	v_fma_f64 v[141:142], v[133:134], v[141:142], v[145:146]
	ds_read_b128 v[131:134], v183 offset:1888
	v_add_f64 v[135:136], v[135:136], v[159:160]
	v_add_f64 v[137:138], v[137:138], v[151:152]
	s_waitcnt vmcnt(21) lgkmcnt(1)
	v_mul_f64 v[145:146], v[1:2], v[147:148]
	v_mul_f64 v[147:148], v[3:4], v[147:148]
	s_waitcnt vmcnt(20)
	v_fma_f64 v[151:152], v[5:6], v[208:209], -v[161:162]
	;; [unrolled: 9-line block ×3, first 2 shown]
	v_fma_f64 v[143:144], v[3:4], v[143:144], v[145:146]
	ds_read_b128 v[1:4], v183 offset:1920
	v_add_f64 v[135:136], v[135:136], v[151:152]
	v_add_f64 v[137:138], v[137:138], v[157:158]
	s_waitcnt vmcnt(13) lgkmcnt(1)
	v_mul_f64 v[151:152], v[7:8], v[184:185]
	s_waitcnt vmcnt(12)
	v_fma_f64 v[157:158], v[131:132], v[213:214], -v[159:160]
	v_mul_f64 v[145:146], v[5:6], v[184:185]
	v_fma_f64 v[141:142], v[133:134], v[213:214], v[141:142]
	ds_read_b128 v[131:134], v183 offset:1936
	v_add_f64 v[135:136], v[135:136], v[147:148]
	v_add_f64 v[137:138], v[137:138], v[143:144]
	s_waitcnt vmcnt(11) lgkmcnt(1)
	v_mul_f64 v[147:148], v[3:4], v[186:187]
	v_mul_f64 v[143:144], v[1:2], v[186:187]
	s_waitcnt vmcnt(9)
	v_fma_f64 v[5:6], v[5:6], v[149:150], -v[151:152]
	v_fma_f64 v[7:8], v[7:8], v[149:150], v[145:146]
	v_add_f64 v[135:136], v[135:136], v[157:158]
	v_add_f64 v[137:138], v[137:138], v[141:142]
	s_waitcnt vmcnt(7) lgkmcnt(0)
	v_mul_f64 v[141:142], v[131:132], v[139:140]
	v_mul_f64 v[139:140], v[133:134], v[139:140]
	s_waitcnt vmcnt(6)
	v_fma_f64 v[1:2], v[1:2], v[200:201], -v[147:148]
	v_fma_f64 v[3:4], v[3:4], v[200:201], v[143:144]
	v_add_f64 v[5:6], v[135:136], v[5:6]
	v_add_f64 v[7:8], v[137:138], v[7:8]
	s_waitcnt vmcnt(4)
	v_fma_f64 v[131:132], v[131:132], v[155:156], -v[139:140]
	v_add_f64 v[1:2], v[5:6], v[1:2]
	v_fma_f64 v[5:6], v[133:134], v[155:156], v[141:142]
	v_add_f64 v[3:4], v[7:8], v[3:4]
	v_add_f64 v[1:2], v[1:2], v[131:132]
	;; [unrolled: 1-line block ×3, first 2 shown]
	s_waitcnt vmcnt(2)
	v_add_f64 v[1:2], v[153:154], -v[1:2]
	s_waitcnt vmcnt(0)
	v_add_f64 v[3:4], v[165:166], -v[3:4]
	buffer_store_dword v2, off, s[0:3], 0 offset:308
	buffer_store_dword v1, off, s[0:3], 0 offset:304
	;; [unrolled: 1-line block ×4, first 2 shown]
	v_cmpx_lt_u32_e32 17, v0
	s_cbranch_execz .LBB124_357
; %bb.356:
	v_mov_b32_e32 v4, s58
	v_mov_b32_e32 v5, 0
	s_clause 0x3
	buffer_load_dword v1, v4, s[0:3], 0 offen
	buffer_load_dword v2, v4, s[0:3], 0 offen offset:4
	buffer_load_dword v3, v4, s[0:3], 0 offen offset:8
	;; [unrolled: 1-line block ×3, first 2 shown]
	buffer_store_dword v5, off, s[0:3], 0 offset:288
	buffer_store_dword v5, off, s[0:3], 0 offset:292
	;; [unrolled: 1-line block ×4, first 2 shown]
	s_waitcnt vmcnt(0)
	ds_write_b128 v191, v[1:4]
.LBB124_357:
	s_or_b32 exec_lo, exec_lo, s4
	s_waitcnt lgkmcnt(0)
	s_waitcnt_vscnt null, 0x0
	s_barrier
	buffer_gl0_inv
	s_clause 0x37
	buffer_load_dword v131, off, s[0:3], 0 offset:312
	buffer_load_dword v132, off, s[0:3], 0 offset:316
	buffer_load_dword v5, off, s[0:3], 0 offset:328
	buffer_load_dword v6, off, s[0:3], 0 offset:332
	buffer_load_dword v7, off, s[0:3], 0 offset:304
	buffer_load_dword v8, off, s[0:3], 0 offset:308
	buffer_load_dword v3, off, s[0:3], 0 offset:344
	buffer_load_dword v4, off, s[0:3], 0 offset:348
	buffer_load_dword v1, off, s[0:3], 0 offset:320
	buffer_load_dword v2, off, s[0:3], 0 offset:324
	buffer_load_dword v136, off, s[0:3], 0 offset:364
	buffer_load_dword v139, off, s[0:3], 0 offset:376
	buffer_load_dword v133, off, s[0:3], 0 offset:368
	buffer_load_dword v135, off, s[0:3], 0 offset:360
	buffer_load_dword v147, off, s[0:3], 0 offset:336
	buffer_load_dword v148, off, s[0:3], 0 offset:340
	buffer_load_dword v140, off, s[0:3], 0 offset:380
	buffer_load_dword v142, off, s[0:3], 0 offset:356
	buffer_load_dword v141, off, s[0:3], 0 offset:352
	buffer_load_dword v144, off, s[0:3], 0 offset:396
	buffer_load_dword v149, off, s[0:3], 0 offset:408
	buffer_load_dword v137, off, s[0:3], 0 offset:400
	buffer_load_dword v143, off, s[0:3], 0 offset:392
	buffer_load_dword v134, off, s[0:3], 0 offset:372
	buffer_load_dword v150, off, s[0:3], 0 offset:412
	buffer_load_dword v152, off, s[0:3], 0 offset:388
	buffer_load_dword v151, off, s[0:3], 0 offset:384
	buffer_load_dword v154, off, s[0:3], 0 offset:428
	buffer_load_dword v157, off, s[0:3], 0 offset:440
	buffer_load_dword v145, off, s[0:3], 0 offset:432
	buffer_load_dword v153, off, s[0:3], 0 offset:424
	buffer_load_dword v138, off, s[0:3], 0 offset:404
	buffer_load_dword v158, off, s[0:3], 0 offset:444
	buffer_load_dword v160, off, s[0:3], 0 offset:420
	buffer_load_dword v159, off, s[0:3], 0 offset:416
	buffer_load_dword v162, off, s[0:3], 0 offset:460
	buffer_load_dword v165, off, s[0:3], 0 offset:472
	buffer_load_dword v155, off, s[0:3], 0 offset:464
	buffer_load_dword v161, off, s[0:3], 0 offset:456
	buffer_load_dword v146, off, s[0:3], 0 offset:436
	buffer_load_dword v166, off, s[0:3], 0 offset:476
	buffer_load_dword v168, off, s[0:3], 0 offset:452
	buffer_load_dword v167, off, s[0:3], 0 offset:448
	buffer_load_dword v170, off, s[0:3], 0 offset:492
	buffer_load_dword v173, off, s[0:3], 0 offset:504
	buffer_load_dword v163, off, s[0:3], 0 offset:496
	buffer_load_dword v169, off, s[0:3], 0 offset:488
	buffer_load_dword v156, off, s[0:3], 0 offset:468
	buffer_load_dword v174, off, s[0:3], 0 offset:508
	buffer_load_dword v176, off, s[0:3], 0 offset:484
	buffer_load_dword v175, off, s[0:3], 0 offset:480
	buffer_load_dword v178, off, s[0:3], 0 offset:524
	buffer_load_dword v179, off, s[0:3], 0 offset:536
	buffer_load_dword v171, off, s[0:3], 0 offset:528
	buffer_load_dword v177, off, s[0:3], 0 offset:520
	buffer_load_dword v164, off, s[0:3], 0 offset:500
	v_mov_b32_e32 v183, 0
	s_mov_b32 s4, exec_lo
	ds_read_b128 v[184:187], v183 offset:1264
	s_clause 0x2
	buffer_load_dword v180, off, s[0:3], 0 offset:540
	buffer_load_dword v182, off, s[0:3], 0 offset:516
	;; [unrolled: 1-line block ×3, first 2 shown]
	ds_read_b128 v[192:195], v183 offset:1280
	s_clause 0x4
	buffer_load_dword v201, off, s[0:3], 0 offset:556
	buffer_load_dword v202, off, s[0:3], 0 offset:568
	;; [unrolled: 1-line block ×5, first 2 shown]
	ds_read_b128 v[196:199], v183 offset:1296
	s_clause 0x2
	buffer_load_dword v203, off, s[0:3], 0 offset:572
	buffer_load_dword v208, off, s[0:3], 0 offset:548
	;; [unrolled: 1-line block ×3, first 2 shown]
	s_waitcnt vmcnt(62) lgkmcnt(2)
	v_mul_f64 v[188:189], v[186:187], v[131:132]
	v_mul_f64 v[131:132], v[184:185], v[131:132]
	s_waitcnt lgkmcnt(1)
	v_mul_f64 v[205:206], v[194:195], v[5:6]
	s_waitcnt vmcnt(59) lgkmcnt(0)
	v_mul_f64 v[209:210], v[198:199], v[3:4]
	v_fma_f64 v[184:185], v[184:185], v[7:8], -v[188:189]
	v_mul_f64 v[188:189], v[192:193], v[5:6]
	v_fma_f64 v[131:132], v[186:187], v[7:8], v[131:132]
	s_waitcnt vmcnt(57)
	v_fma_f64 v[192:193], v[192:193], v[1:2], -v[205:206]
	ds_read_b128 v[5:8], v183 offset:1312
	v_mul_f64 v[186:187], v[196:197], v[3:4]
	s_waitcnt vmcnt(51)
	v_fma_f64 v[196:197], v[196:197], v[147:148], -v[209:210]
	v_add_f64 v[184:185], v[184:185], 0
	v_fma_f64 v[188:189], v[194:195], v[1:2], v[188:189]
	v_add_f64 v[131:132], v[131:132], 0
	s_clause 0x4
	buffer_load_dword v195, off, s[0:3], 0 offset:588
	buffer_load_dword v211, off, s[0:3], 0 offset:600
	;; [unrolled: 1-line block ×5, first 2 shown]
	s_waitcnt lgkmcnt(0)
	v_mul_f64 v[214:215], v[5:6], v[135:136]
	v_mul_f64 v[135:136], v[7:8], v[135:136]
	ds_read_b128 v[1:4], v183 offset:1328
	v_fma_f64 v[147:148], v[198:199], v[147:148], v[186:187]
	v_add_f64 v[192:193], v[184:185], v[192:193]
	v_add_f64 v[131:132], v[131:132], v[188:189]
	s_clause 0x2
	buffer_load_dword v212, off, s[0:3], 0 offset:604
	buffer_load_dword v189, off, s[0:3], 0 offset:580
	;; [unrolled: 1-line block ×3, first 2 shown]
	s_waitcnt vmcnt(58) lgkmcnt(0)
	v_mul_f64 v[198:199], v[1:2], v[139:140]
	v_mul_f64 v[139:140], v[3:4], v[139:140]
	s_waitcnt vmcnt(56)
	v_fma_f64 v[135:136], v[5:6], v[141:142], -v[135:136]
	ds_read_b128 v[184:187], v183 offset:1344
	v_fma_f64 v[141:142], v[7:8], v[141:142], v[214:215]
	v_add_f64 v[192:193], v[192:193], v[196:197]
	v_add_f64 v[131:132], v[131:132], v[147:148]
	s_clause 0x4
	buffer_load_dword v148, off, s[0:3], 0 offset:620
	buffer_load_dword v196, off, s[0:3], 0 offset:632
	;; [unrolled: 1-line block ×5, first 2 shown]
	ds_read_b128 v[5:8], v183 offset:1360
	s_waitcnt vmcnt(57) lgkmcnt(1)
	v_mul_f64 v[215:216], v[184:185], v[143:144]
	v_mul_f64 v[143:144], v[186:187], v[143:144]
	s_waitcnt vmcnt(56)
	v_fma_f64 v[139:140], v[1:2], v[133:134], -v[139:140]
	v_fma_f64 v[133:134], v[3:4], v[133:134], v[198:199]
	v_add_f64 v[135:136], v[192:193], v[135:136]
	v_add_f64 v[131:132], v[131:132], v[141:142]
	s_clause 0x2
	buffer_load_dword v197, off, s[0:3], 0 offset:636
	buffer_load_dword v142, off, s[0:3], 0 offset:612
	;; [unrolled: 1-line block ×3, first 2 shown]
	s_waitcnt vmcnt(58) lgkmcnt(0)
	v_mul_f64 v[192:193], v[5:6], v[149:150]
	v_mul_f64 v[149:150], v[7:8], v[149:150]
	s_waitcnt vmcnt(56)
	v_fma_f64 v[143:144], v[184:185], v[151:152], -v[143:144]
	ds_read_b128 v[1:4], v183 offset:1376
	v_add_f64 v[135:136], v[135:136], v[139:140]
	v_fma_f64 v[139:140], v[186:187], v[151:152], v[215:216]
	v_add_f64 v[151:152], v[131:132], v[133:134]
	s_clause 0x4
	buffer_load_dword v185, off, s[0:3], 0 offset:652
	buffer_load_dword v186, off, s[0:3], 0 offset:664
	;; [unrolled: 1-line block ×5, first 2 shown]
	ds_read_b128 v[131:134], v183 offset:1392
	s_waitcnt vmcnt(57) lgkmcnt(1)
	v_mul_f64 v[215:216], v[1:2], v[153:154]
	v_mul_f64 v[153:154], v[3:4], v[153:154]
	s_waitcnt vmcnt(56)
	v_fma_f64 v[149:150], v[5:6], v[137:138], -v[149:150]
	v_fma_f64 v[137:138], v[7:8], v[137:138], v[192:193]
	v_add_f64 v[135:136], v[135:136], v[143:144]
	s_clause 0x2
	buffer_load_dword v187, off, s[0:3], 0 offset:668
	buffer_load_dword v144, off, s[0:3], 0 offset:644
	;; [unrolled: 1-line block ×3, first 2 shown]
	v_add_f64 v[139:140], v[151:152], v[139:140]
	s_waitcnt vmcnt(58) lgkmcnt(0)
	v_mul_f64 v[151:152], v[131:132], v[157:158]
	v_mul_f64 v[157:158], v[133:134], v[157:158]
	ds_read_b128 v[5:8], v183 offset:1408
	s_waitcnt vmcnt(56)
	v_fma_f64 v[153:154], v[1:2], v[159:160], -v[153:154]
	v_add_f64 v[135:136], v[135:136], v[149:150]
	v_fma_f64 v[149:150], v[3:4], v[159:160], v[215:216]
	v_add_f64 v[137:138], v[139:140], v[137:138]
	s_clause 0x4
	buffer_load_dword v140, off, s[0:3], 0 offset:684
	buffer_load_dword v159, off, s[0:3], 0 offset:696
	;; [unrolled: 1-line block ×5, first 2 shown]
	s_waitcnt vmcnt(57) lgkmcnt(0)
	v_mul_f64 v[215:216], v[5:6], v[161:162]
	v_mul_f64 v[161:162], v[7:8], v[161:162]
	s_waitcnt vmcnt(56)
	v_fma_f64 v[157:158], v[131:132], v[145:146], -v[157:158]
	ds_read_b128 v[1:4], v183 offset:1424
	v_fma_f64 v[145:146], v[133:134], v[145:146], v[151:152]
	v_add_f64 v[135:136], v[135:136], v[153:154]
	v_add_f64 v[137:138], v[137:138], v[149:150]
	s_clause 0x2
	buffer_load_dword v160, off, s[0:3], 0 offset:700
	buffer_load_dword v150, off, s[0:3], 0 offset:676
	;; [unrolled: 1-line block ×3, first 2 shown]
	ds_read_b128 v[131:134], v183 offset:1440
	s_waitcnt vmcnt(58) lgkmcnt(1)
	v_mul_f64 v[153:154], v[3:4], v[165:166]
	s_waitcnt vmcnt(56)
	v_fma_f64 v[161:162], v[5:6], v[167:168], -v[161:162]
	v_mul_f64 v[151:152], v[1:2], v[165:166]
	v_add_f64 v[135:136], v[135:136], v[157:158]
	v_fma_f64 v[157:158], v[7:8], v[167:168], v[215:216]
	v_add_f64 v[137:138], v[137:138], v[145:146]
	s_clause 0x4
	buffer_load_dword v146, off, s[0:3], 0 offset:716
	buffer_load_dword v165, off, s[0:3], 0 offset:728
	;; [unrolled: 1-line block ×5, first 2 shown]
	s_waitcnt vmcnt(57) lgkmcnt(0)
	v_mul_f64 v[215:216], v[131:132], v[169:170]
	v_mul_f64 v[168:169], v[133:134], v[169:170]
	s_waitcnt vmcnt(56)
	v_fma_f64 v[153:154], v[1:2], v[155:156], -v[153:154]
	ds_read_b128 v[5:8], v183 offset:1456
	v_fma_f64 v[151:152], v[3:4], v[155:156], v[151:152]
	s_clause 0x2
	buffer_load_dword v166, off, s[0:3], 0 offset:732
	buffer_load_dword v156, off, s[0:3], 0 offset:708
	;; [unrolled: 1-line block ×3, first 2 shown]
	ds_read_b128 v[1:4], v183 offset:1472
	v_add_f64 v[135:136], v[135:136], v[161:162]
	v_add_f64 v[137:138], v[137:138], v[157:158]
	s_waitcnt vmcnt(58) lgkmcnt(1)
	v_mul_f64 v[161:162], v[7:8], v[173:174]
	s_waitcnt vmcnt(56)
	v_fma_f64 v[169:170], v[131:132], v[175:176], -v[168:169]
	v_mul_f64 v[157:158], v[5:6], v[173:174]
	v_add_f64 v[135:136], v[135:136], v[153:154]
	v_fma_f64 v[153:154], v[133:134], v[175:176], v[215:216]
	v_add_f64 v[137:138], v[137:138], v[151:152]
	s_clause 0x4
	buffer_load_dword v152, off, s[0:3], 0 offset:748
	buffer_load_dword v173, off, s[0:3], 0 offset:760
	;; [unrolled: 1-line block ×5, first 2 shown]
	s_waitcnt vmcnt(57) lgkmcnt(0)
	v_mul_f64 v[215:216], v[1:2], v[177:178]
	v_mul_f64 v[176:177], v[3:4], v[177:178]
	s_waitcnt vmcnt(56)
	v_fma_f64 v[161:162], v[5:6], v[163:164], -v[161:162]
	ds_read_b128 v[131:134], v183 offset:1488
	v_fma_f64 v[157:158], v[7:8], v[163:164], v[157:158]
	v_add_f64 v[135:136], v[135:136], v[169:170]
	v_add_f64 v[137:138], v[137:138], v[153:154]
	s_clause 0x2
	buffer_load_dword v174, off, s[0:3], 0 offset:764
	buffer_load_dword v154, off, s[0:3], 0 offset:740
	;; [unrolled: 1-line block ×3, first 2 shown]
	ds_read_b128 v[5:8], v183 offset:1504
	s_waitcnt vmcnt(58) lgkmcnt(1)
	v_mul_f64 v[169:170], v[133:134], v[179:180]
	s_waitcnt vmcnt(56)
	v_fma_f64 v[177:178], v[1:2], v[181:182], -v[176:177]
	v_mul_f64 v[163:164], v[131:132], v[179:180]
	v_add_f64 v[135:136], v[135:136], v[161:162]
	v_fma_f64 v[161:162], v[3:4], v[181:182], v[215:216]
	v_add_f64 v[137:138], v[137:138], v[157:158]
	s_clause 0x4
	buffer_load_dword v158, off, s[0:3], 0 offset:780
	buffer_load_dword v179, off, s[0:3], 0 offset:792
	;; [unrolled: 1-line block ×5, first 2 shown]
	s_waitcnt vmcnt(57) lgkmcnt(0)
	v_mul_f64 v[215:216], v[5:6], v[200:201]
	v_mul_f64 v[200:201], v[7:8], v[200:201]
	s_waitcnt vmcnt(56)
	v_fma_f64 v[169:170], v[131:132], v[171:172], -v[169:170]
	ds_read_b128 v[1:4], v183 offset:1520
	v_fma_f64 v[163:164], v[133:134], v[171:172], v[163:164]
	v_add_f64 v[135:136], v[135:136], v[177:178]
	v_add_f64 v[137:138], v[137:138], v[161:162]
	s_clause 0x2
	buffer_load_dword v180, off, s[0:3], 0 offset:796
	buffer_load_dword v162, off, s[0:3], 0 offset:772
	;; [unrolled: 1-line block ×3, first 2 shown]
	ds_read_b128 v[131:134], v183 offset:1536
	s_waitcnt vmcnt(58) lgkmcnt(1)
	v_mul_f64 v[177:178], v[3:4], v[202:203]
	s_waitcnt vmcnt(56)
	v_fma_f64 v[200:201], v[5:6], v[207:208], -v[200:201]
	v_mul_f64 v[171:172], v[1:2], v[202:203]
	v_add_f64 v[135:136], v[135:136], v[169:170]
	v_fma_f64 v[169:170], v[7:8], v[207:208], v[215:216]
	v_add_f64 v[137:138], v[137:138], v[163:164]
	s_clause 0x4
	buffer_load_dword v164, off, s[0:3], 0 offset:812
	buffer_load_dword v202, off, s[0:3], 0 offset:824
	;; [unrolled: 1-line block ×5, first 2 shown]
	ds_read_b128 v[5:8], v183 offset:1552
	s_waitcnt vmcnt(57) lgkmcnt(1)
	v_mul_f64 v[207:208], v[131:132], v[194:195]
	v_mul_f64 v[194:195], v[133:134], v[194:195]
	s_waitcnt vmcnt(56)
	v_fma_f64 v[177:178], v[1:2], v[204:205], -v[177:178]
	v_fma_f64 v[171:172], v[3:4], v[204:205], v[171:172]
	v_add_f64 v[135:136], v[135:136], v[200:201]
	v_add_f64 v[137:138], v[137:138], v[169:170]
	s_clause 0x2
	buffer_load_dword v203, off, s[0:3], 0 offset:828
	buffer_load_dword v170, off, s[0:3], 0 offset:804
	;; [unrolled: 1-line block ×3, first 2 shown]
	ds_read_b128 v[1:4], v183 offset:1568
	s_waitcnt vmcnt(58) lgkmcnt(1)
	v_mul_f64 v[204:205], v[7:8], v[211:212]
	v_mul_f64 v[200:201], v[5:6], v[211:212]
	s_waitcnt vmcnt(56)
	v_fma_f64 v[194:195], v[131:132], v[188:189], -v[194:195]
	v_add_f64 v[135:136], v[135:136], v[177:178]
	v_fma_f64 v[177:178], v[133:134], v[188:189], v[207:208]
	v_add_f64 v[137:138], v[137:138], v[171:172]
	s_clause 0x4
	buffer_load_dword v172, off, s[0:3], 0 offset:844
	buffer_load_dword v188, off, s[0:3], 0 offset:856
	buffer_load_dword v211, off, s[0:3], 0 offset:848
	buffer_load_dword v171, off, s[0:3], 0 offset:840
	buffer_load_dword v207, off, s[0:3], 0 offset:820
	ds_read_b128 v[131:134], v183 offset:1584
	s_waitcnt vmcnt(57) lgkmcnt(1)
	v_mul_f64 v[215:216], v[1:2], v[147:148]
	v_mul_f64 v[147:148], v[3:4], v[147:148]
	s_waitcnt vmcnt(56)
	v_fma_f64 v[204:205], v[5:6], v[213:214], -v[204:205]
	v_add_f64 v[135:136], v[135:136], v[194:195]
	v_fma_f64 v[194:195], v[7:8], v[213:214], v[200:201]
	v_add_f64 v[137:138], v[137:138], v[177:178]
	s_clause 0x2
	buffer_load_dword v189, off, s[0:3], 0 offset:860
	buffer_load_dword v178, off, s[0:3], 0 offset:836
	buffer_load_dword v177, off, s[0:3], 0 offset:832
	ds_read_b128 v[5:8], v183 offset:1600
	s_waitcnt vmcnt(58) lgkmcnt(1)
	v_mul_f64 v[200:201], v[131:132], v[196:197]
	v_mul_f64 v[196:197], v[133:134], v[196:197]
	s_waitcnt vmcnt(56)
	v_fma_f64 v[147:148], v[1:2], v[141:142], -v[147:148]
	v_fma_f64 v[141:142], v[3:4], v[141:142], v[215:216]
	v_add_f64 v[135:136], v[135:136], v[204:205]
	v_add_f64 v[137:138], v[137:138], v[194:195]
	s_clause 0x4
	buffer_load_dword v195, off, s[0:3], 0 offset:876
	buffer_load_dword v204, off, s[0:3], 0 offset:888
	buffer_load_dword v208, off, s[0:3], 0 offset:880
	buffer_load_dword v194, off, s[0:3], 0 offset:872
	buffer_load_dword v212, off, s[0:3], 0 offset:852
	ds_read_b128 v[1:4], v183 offset:1616
	s_waitcnt vmcnt(57) lgkmcnt(1)
	v_mul_f64 v[213:214], v[5:6], v[184:185]
	v_mul_f64 v[184:185], v[7:8], v[184:185]
	s_waitcnt vmcnt(56)
	v_fma_f64 v[196:197], v[131:132], v[209:210], -v[196:197]
	v_add_f64 v[135:136], v[135:136], v[147:148]
	v_fma_f64 v[147:148], v[133:134], v[209:210], v[200:201]
	v_add_f64 v[137:138], v[137:138], v[141:142]
	s_clause 0x2
	buffer_load_dword v205, off, s[0:3], 0 offset:892
	buffer_load_dword v142, off, s[0:3], 0 offset:868
	buffer_load_dword v141, off, s[0:3], 0 offset:864
	ds_read_b128 v[131:134], v183 offset:1632
	s_waitcnt vmcnt(58) lgkmcnt(1)
	v_mul_f64 v[200:201], v[1:2], v[186:187]
	v_mul_f64 v[186:187], v[3:4], v[186:187]
	s_waitcnt vmcnt(56)
	v_fma_f64 v[184:185], v[5:6], v[143:144], -v[184:185]
	v_fma_f64 v[143:144], v[7:8], v[143:144], v[213:214]
	v_add_f64 v[135:136], v[135:136], v[196:197]
	;; [unrolled: 28-line block ×3, first 2 shown]
	v_add_f64 v[137:138], v[137:138], v[184:185]
	s_clause 0x4
	buffer_load_dword v185, off, s[0:3], 0 offset:940
	buffer_load_dword v186, off, s[0:3], 0 offset:952
	;; [unrolled: 1-line block ×5, first 2 shown]
	ds_read_b128 v[131:134], v183 offset:1680
	s_waitcnt vmcnt(57) lgkmcnt(1)
	v_mul_f64 v[215:216], v[1:2], v[145:146]
	v_mul_f64 v[145:146], v[3:4], v[145:146]
	s_waitcnt vmcnt(56)
	v_fma_f64 v[159:160], v[5:6], v[192:193], -v[159:160]
	v_add_f64 v[135:136], v[135:136], v[139:140]
	v_fma_f64 v[139:140], v[7:8], v[192:193], v[198:199]
	v_add_f64 v[137:138], v[137:138], v[149:150]
	s_clause 0x2
	buffer_load_dword v187, off, s[0:3], 0 offset:956
	buffer_load_dword v150, off, s[0:3], 0 offset:932
	;; [unrolled: 1-line block ×3, first 2 shown]
	s_waitcnt vmcnt(58) lgkmcnt(0)
	v_mul_f64 v[192:193], v[131:132], v[165:166]
	v_mul_f64 v[165:166], v[133:134], v[165:166]
	ds_read_b128 v[5:8], v183 offset:1696
	s_waitcnt vmcnt(56)
	v_fma_f64 v[145:146], v[1:2], v[155:156], -v[145:146]
	v_fma_f64 v[155:156], v[3:4], v[155:156], v[215:216]
	v_add_f64 v[135:136], v[135:136], v[159:160]
	v_add_f64 v[137:138], v[137:138], v[139:140]
	s_clause 0x4
	buffer_load_dword v140, off, s[0:3], 0 offset:972
	buffer_load_dword v159, off, s[0:3], 0 offset:984
	;; [unrolled: 1-line block ×5, first 2 shown]
	ds_read_b128 v[1:4], v183 offset:1712
	s_waitcnt vmcnt(57) lgkmcnt(1)
	v_mul_f64 v[215:216], v[5:6], v[151:152]
	v_mul_f64 v[151:152], v[7:8], v[151:152]
	s_waitcnt vmcnt(56)
	v_fma_f64 v[165:166], v[131:132], v[167:168], -v[165:166]
	v_add_f64 v[135:136], v[135:136], v[145:146]
	v_fma_f64 v[145:146], v[133:134], v[167:168], v[192:193]
	v_add_f64 v[137:138], v[137:138], v[155:156]
	s_clause 0x2
	buffer_load_dword v160, off, s[0:3], 0 offset:988
	buffer_load_dword v156, off, s[0:3], 0 offset:964
	;; [unrolled: 1-line block ×3, first 2 shown]
	ds_read_b128 v[131:134], v183 offset:1728
	buffer_load_dword v199, off, s[0:3], 0 offset:980
	s_waitcnt vmcnt(59) lgkmcnt(1)
	v_mul_f64 v[167:168], v[1:2], v[173:174]
	v_mul_f64 v[173:174], v[3:4], v[173:174]
	s_waitcnt vmcnt(57)
	v_fma_f64 v[151:152], v[5:6], v[153:154], -v[151:152]
	v_fma_f64 v[153:154], v[7:8], v[153:154], v[215:216]
	ds_read_b128 v[5:8], v183 offset:1744
	v_add_f64 v[135:136], v[135:136], v[165:166]
	v_add_f64 v[137:138], v[137:138], v[145:146]
	s_waitcnt vmcnt(53) lgkmcnt(1)
	v_mul_f64 v[145:146], v[131:132], v[157:158]
	v_mul_f64 v[157:158], v[133:134], v[157:158]
	s_waitcnt vmcnt(52)
	v_fma_f64 v[165:166], v[1:2], v[175:176], -v[173:174]
	v_add_f64 v[135:136], v[135:136], v[151:152]
	v_fma_f64 v[151:152], v[3:4], v[175:176], v[167:168]
	v_add_f64 v[137:138], v[137:138], v[153:154]
	ds_read_b128 v[1:4], v183 offset:1760
	s_waitcnt vmcnt(51) lgkmcnt(1)
	v_mul_f64 v[167:168], v[7:8], v[179:180]
	v_mul_f64 v[153:154], v[5:6], v[179:180]
	s_waitcnt vmcnt(49)
	v_fma_f64 v[157:158], v[131:132], v[161:162], -v[157:158]
	v_fma_f64 v[145:146], v[133:134], v[161:162], v[145:146]
	v_add_f64 v[135:136], v[135:136], v[165:166]
	v_add_f64 v[137:138], v[137:138], v[151:152]
	s_clause 0x3
	buffer_load_dword v151, off, s[0:3], 0 offset:288
	buffer_load_dword v152, off, s[0:3], 0 offset:292
	;; [unrolled: 1-line block ×4, first 2 shown]
	ds_read_b128 v[131:134], v183 offset:1776
	s_waitcnt vmcnt(49) lgkmcnt(1)
	v_mul_f64 v[165:166], v[1:2], v[163:164]
	v_mul_f64 v[163:164], v[3:4], v[163:164]
	s_waitcnt vmcnt(48)
	v_fma_f64 v[167:168], v[5:6], v[181:182], -v[167:168]
	v_fma_f64 v[153:154], v[7:8], v[181:182], v[153:154]
	ds_read_b128 v[5:8], v183 offset:1792
	v_add_f64 v[135:136], v[135:136], v[157:158]
	v_add_f64 v[137:138], v[137:138], v[145:146]
	s_waitcnt vmcnt(47) lgkmcnt(1)
	v_mul_f64 v[157:158], v[133:134], v[202:203]
	v_mul_f64 v[145:146], v[131:132], v[202:203]
	s_waitcnt vmcnt(45)
	v_fma_f64 v[163:164], v[1:2], v[169:170], -v[163:164]
	v_fma_f64 v[165:166], v[3:4], v[169:170], v[165:166]
	ds_read_b128 v[1:4], v183 offset:1808
	v_add_f64 v[135:136], v[135:136], v[167:168]
	v_add_f64 v[137:138], v[137:138], v[153:154]
	s_waitcnt vmcnt(41) lgkmcnt(1)
	v_mul_f64 v[167:168], v[7:8], v[171:172]
	s_waitcnt vmcnt(40)
	v_fma_f64 v[157:158], v[131:132], v[206:207], -v[157:158]
	v_mul_f64 v[153:154], v[5:6], v[171:172]
	v_fma_f64 v[145:146], v[133:134], v[206:207], v[145:146]
	ds_read_b128 v[131:134], v183 offset:1824
	v_add_f64 v[135:136], v[135:136], v[163:164]
	v_add_f64 v[137:138], v[137:138], v[165:166]
	s_waitcnt vmcnt(39) lgkmcnt(1)
	v_mul_f64 v[165:166], v[3:4], v[188:189]
	v_mul_f64 v[163:164], v[1:2], v[188:189]
	s_waitcnt vmcnt(37)
	v_fma_f64 v[167:168], v[5:6], v[177:178], -v[167:168]
	v_fma_f64 v[153:154], v[7:8], v[177:178], v[153:154]
	ds_read_b128 v[5:8], v183 offset:1840
	v_add_f64 v[135:136], v[135:136], v[157:158]
	v_add_f64 v[137:138], v[137:138], v[145:146]
	s_waitcnt vmcnt(33) lgkmcnt(1)
	v_mul_f64 v[157:158], v[133:134], v[194:195]
	s_waitcnt vmcnt(32)
	v_fma_f64 v[165:166], v[1:2], v[211:212], -v[165:166]
	v_mul_f64 v[145:146], v[131:132], v[194:195]
	v_fma_f64 v[163:164], v[3:4], v[211:212], v[163:164]
	ds_read_b128 v[1:4], v183 offset:1856
	v_add_f64 v[135:136], v[135:136], v[167:168]
	v_add_f64 v[137:138], v[137:138], v[153:154]
	s_waitcnt vmcnt(31) lgkmcnt(1)
	v_mul_f64 v[167:168], v[7:8], v[204:205]
	v_mul_f64 v[153:154], v[5:6], v[204:205]
	s_waitcnt vmcnt(29)
	v_fma_f64 v[157:158], v[131:132], v[141:142], -v[157:158]
	v_fma_f64 v[141:142], v[133:134], v[141:142], v[145:146]
	ds_read_b128 v[131:134], v183 offset:1872
	v_add_f64 v[135:136], v[135:136], v[165:166]
	v_add_f64 v[137:138], v[137:138], v[163:164]
	s_waitcnt vmcnt(25) lgkmcnt(1)
	v_mul_f64 v[145:146], v[1:2], v[147:148]
	v_mul_f64 v[147:148], v[3:4], v[147:148]
	s_waitcnt vmcnt(24)
	v_fma_f64 v[163:164], v[5:6], v[208:209], -v[167:168]
	;; [unrolled: 9-line block ×3, first 2 shown]
	v_fma_f64 v[143:144], v[3:4], v[143:144], v[145:146]
	ds_read_b128 v[1:4], v183 offset:1904
	v_add_f64 v[135:136], v[135:136], v[163:164]
	v_add_f64 v[137:138], v[137:138], v[153:154]
	s_waitcnt vmcnt(17) lgkmcnt(1)
	v_mul_f64 v[153:154], v[7:8], v[184:185]
	s_waitcnt vmcnt(16)
	v_fma_f64 v[157:158], v[131:132], v[213:214], -v[157:158]
	v_mul_f64 v[145:146], v[5:6], v[184:185]
	v_fma_f64 v[141:142], v[133:134], v[213:214], v[141:142]
	ds_read_b128 v[131:134], v183 offset:1920
	v_add_f64 v[135:136], v[135:136], v[147:148]
	v_add_f64 v[137:138], v[137:138], v[143:144]
	s_waitcnt vmcnt(15) lgkmcnt(1)
	v_mul_f64 v[147:148], v[3:4], v[186:187]
	v_mul_f64 v[143:144], v[1:2], v[186:187]
	s_waitcnt vmcnt(13)
	v_fma_f64 v[153:154], v[5:6], v[149:150], -v[153:154]
	v_fma_f64 v[145:146], v[7:8], v[149:150], v[145:146]
	ds_read_b128 v[5:8], v183 offset:1936
	v_add_f64 v[135:136], v[135:136], v[157:158]
	v_add_f64 v[137:138], v[137:138], v[141:142]
	s_waitcnt vmcnt(9) lgkmcnt(1)
	v_mul_f64 v[141:142], v[131:132], v[139:140]
	v_mul_f64 v[139:140], v[133:134], v[139:140]
	s_waitcnt vmcnt(8)
	v_fma_f64 v[1:2], v[1:2], v[200:201], -v[147:148]
	v_fma_f64 v[3:4], v[3:4], v[200:201], v[143:144]
	v_add_f64 v[135:136], v[135:136], v[153:154]
	v_add_f64 v[137:138], v[137:138], v[145:146]
	s_waitcnt vmcnt(7) lgkmcnt(0)
	v_mul_f64 v[145:146], v[7:8], v[159:160]
	v_mul_f64 v[143:144], v[5:6], v[159:160]
	s_waitcnt vmcnt(5)
	v_fma_f64 v[131:132], v[131:132], v[155:156], -v[139:140]
	v_fma_f64 v[133:134], v[133:134], v[155:156], v[141:142]
	v_add_f64 v[1:2], v[135:136], v[1:2]
	v_add_f64 v[3:4], v[137:138], v[3:4]
	s_waitcnt vmcnt(4)
	v_fma_f64 v[5:6], v[5:6], v[198:199], -v[145:146]
	v_fma_f64 v[7:8], v[7:8], v[198:199], v[143:144]
	v_add_f64 v[1:2], v[1:2], v[131:132]
	v_add_f64 v[3:4], v[3:4], v[133:134]
	;; [unrolled: 1-line block ×4, first 2 shown]
	s_waitcnt vmcnt(2)
	v_add_f64 v[1:2], v[151:152], -v[1:2]
	s_waitcnt vmcnt(0)
	v_add_f64 v[3:4], v[161:162], -v[3:4]
	buffer_store_dword v2, off, s[0:3], 0 offset:292
	buffer_store_dword v1, off, s[0:3], 0 offset:288
	;; [unrolled: 1-line block ×4, first 2 shown]
	v_cmpx_lt_u32_e32 16, v0
	s_cbranch_execz .LBB124_359
; %bb.358:
	v_mov_b32_e32 v4, s59
	s_clause 0x3
	buffer_load_dword v1, v4, s[0:3], 0 offen
	buffer_load_dword v2, v4, s[0:3], 0 offen offset:4
	buffer_load_dword v3, v4, s[0:3], 0 offen offset:8
	;; [unrolled: 1-line block ×3, first 2 shown]
	buffer_store_dword v183, off, s[0:3], 0 offset:272
	buffer_store_dword v183, off, s[0:3], 0 offset:276
	;; [unrolled: 1-line block ×4, first 2 shown]
	s_waitcnt vmcnt(0)
	ds_write_b128 v191, v[1:4]
.LBB124_359:
	s_or_b32 exec_lo, exec_lo, s4
	s_waitcnt lgkmcnt(0)
	s_waitcnt_vscnt null, 0x0
	s_barrier
	buffer_gl0_inv
	s_clause 0x37
	buffer_load_dword v131, off, s[0:3], 0 offset:296
	buffer_load_dword v132, off, s[0:3], 0 offset:300
	;; [unrolled: 1-line block ×56, first 2 shown]
	ds_read_b128 v[184:187], v183 offset:1248
	s_clause 0x2
	buffer_load_dword v180, off, s[0:3], 0 offset:524
	buffer_load_dword v182, off, s[0:3], 0 offset:500
	;; [unrolled: 1-line block ×3, first 2 shown]
	ds_read_b128 v[192:195], v183 offset:1264
	s_clause 0x4
	buffer_load_dword v201, off, s[0:3], 0 offset:540
	buffer_load_dword v202, off, s[0:3], 0 offset:552
	buffer_load_dword v204, off, s[0:3], 0 offset:544
	buffer_load_dword v200, off, s[0:3], 0 offset:536
	buffer_load_dword v172, off, s[0:3], 0 offset:516
	ds_read_b128 v[196:199], v183 offset:1280
	s_clause 0x2
	buffer_load_dword v203, off, s[0:3], 0 offset:556
	buffer_load_dword v208, off, s[0:3], 0 offset:532
	;; [unrolled: 1-line block ×3, first 2 shown]
	s_mov_b32 s4, exec_lo
	s_waitcnt vmcnt(62) lgkmcnt(2)
	v_mul_f64 v[188:189], v[186:187], v[131:132]
	v_mul_f64 v[131:132], v[184:185], v[131:132]
	s_waitcnt lgkmcnt(1)
	v_mul_f64 v[205:206], v[194:195], v[5:6]
	s_waitcnt vmcnt(59) lgkmcnt(0)
	v_mul_f64 v[209:210], v[198:199], v[3:4]
	v_fma_f64 v[184:185], v[184:185], v[7:8], -v[188:189]
	v_mul_f64 v[188:189], v[192:193], v[5:6]
	v_fma_f64 v[131:132], v[186:187], v[7:8], v[131:132]
	s_waitcnt vmcnt(57)
	v_fma_f64 v[192:193], v[192:193], v[1:2], -v[205:206]
	ds_read_b128 v[5:8], v183 offset:1296
	v_mul_f64 v[186:187], v[196:197], v[3:4]
	s_waitcnt vmcnt(51)
	v_fma_f64 v[196:197], v[196:197], v[147:148], -v[209:210]
	v_add_f64 v[184:185], v[184:185], 0
	v_fma_f64 v[188:189], v[194:195], v[1:2], v[188:189]
	v_add_f64 v[131:132], v[131:132], 0
	s_clause 0x4
	buffer_load_dword v195, off, s[0:3], 0 offset:572
	buffer_load_dword v211, off, s[0:3], 0 offset:584
	;; [unrolled: 1-line block ×5, first 2 shown]
	s_waitcnt lgkmcnt(0)
	v_mul_f64 v[214:215], v[5:6], v[135:136]
	v_mul_f64 v[135:136], v[7:8], v[135:136]
	ds_read_b128 v[1:4], v183 offset:1312
	v_fma_f64 v[147:148], v[198:199], v[147:148], v[186:187]
	v_add_f64 v[192:193], v[184:185], v[192:193]
	v_add_f64 v[131:132], v[131:132], v[188:189]
	s_clause 0x2
	buffer_load_dword v212, off, s[0:3], 0 offset:588
	buffer_load_dword v189, off, s[0:3], 0 offset:564
	;; [unrolled: 1-line block ×3, first 2 shown]
	s_waitcnt vmcnt(58) lgkmcnt(0)
	v_mul_f64 v[198:199], v[1:2], v[139:140]
	v_mul_f64 v[139:140], v[3:4], v[139:140]
	s_waitcnt vmcnt(56)
	v_fma_f64 v[135:136], v[5:6], v[141:142], -v[135:136]
	ds_read_b128 v[184:187], v183 offset:1328
	v_fma_f64 v[141:142], v[7:8], v[141:142], v[214:215]
	v_add_f64 v[192:193], v[192:193], v[196:197]
	v_add_f64 v[131:132], v[131:132], v[147:148]
	s_clause 0x4
	buffer_load_dword v148, off, s[0:3], 0 offset:604
	buffer_load_dword v196, off, s[0:3], 0 offset:616
	;; [unrolled: 1-line block ×5, first 2 shown]
	ds_read_b128 v[5:8], v183 offset:1344
	s_waitcnt vmcnt(57) lgkmcnt(1)
	v_mul_f64 v[215:216], v[184:185], v[143:144]
	v_mul_f64 v[143:144], v[186:187], v[143:144]
	s_waitcnt vmcnt(56)
	v_fma_f64 v[139:140], v[1:2], v[133:134], -v[139:140]
	v_fma_f64 v[133:134], v[3:4], v[133:134], v[198:199]
	v_add_f64 v[135:136], v[192:193], v[135:136]
	v_add_f64 v[131:132], v[131:132], v[141:142]
	s_clause 0x2
	buffer_load_dword v197, off, s[0:3], 0 offset:620
	buffer_load_dword v142, off, s[0:3], 0 offset:596
	;; [unrolled: 1-line block ×3, first 2 shown]
	s_waitcnt vmcnt(58) lgkmcnt(0)
	v_mul_f64 v[192:193], v[5:6], v[149:150]
	v_mul_f64 v[149:150], v[7:8], v[149:150]
	s_waitcnt vmcnt(56)
	v_fma_f64 v[143:144], v[184:185], v[151:152], -v[143:144]
	ds_read_b128 v[1:4], v183 offset:1360
	v_add_f64 v[135:136], v[135:136], v[139:140]
	v_fma_f64 v[139:140], v[186:187], v[151:152], v[215:216]
	v_add_f64 v[151:152], v[131:132], v[133:134]
	s_clause 0x4
	buffer_load_dword v185, off, s[0:3], 0 offset:636
	buffer_load_dword v186, off, s[0:3], 0 offset:648
	;; [unrolled: 1-line block ×5, first 2 shown]
	ds_read_b128 v[131:134], v183 offset:1376
	s_waitcnt vmcnt(57) lgkmcnt(1)
	v_mul_f64 v[215:216], v[1:2], v[153:154]
	v_mul_f64 v[153:154], v[3:4], v[153:154]
	s_waitcnt vmcnt(56)
	v_fma_f64 v[149:150], v[5:6], v[137:138], -v[149:150]
	v_fma_f64 v[137:138], v[7:8], v[137:138], v[192:193]
	v_add_f64 v[135:136], v[135:136], v[143:144]
	s_clause 0x2
	buffer_load_dword v187, off, s[0:3], 0 offset:652
	buffer_load_dword v144, off, s[0:3], 0 offset:628
	;; [unrolled: 1-line block ×3, first 2 shown]
	v_add_f64 v[139:140], v[151:152], v[139:140]
	s_waitcnt vmcnt(58) lgkmcnt(0)
	v_mul_f64 v[151:152], v[131:132], v[157:158]
	v_mul_f64 v[157:158], v[133:134], v[157:158]
	ds_read_b128 v[5:8], v183 offset:1392
	s_waitcnt vmcnt(56)
	v_fma_f64 v[153:154], v[1:2], v[159:160], -v[153:154]
	v_add_f64 v[135:136], v[135:136], v[149:150]
	v_fma_f64 v[149:150], v[3:4], v[159:160], v[215:216]
	v_add_f64 v[137:138], v[139:140], v[137:138]
	s_clause 0x4
	buffer_load_dword v140, off, s[0:3], 0 offset:668
	buffer_load_dword v159, off, s[0:3], 0 offset:680
	buffer_load_dword v192, off, s[0:3], 0 offset:672
	buffer_load_dword v139, off, s[0:3], 0 offset:664
	buffer_load_dword v199, off, s[0:3], 0 offset:644
	s_waitcnt vmcnt(57) lgkmcnt(0)
	v_mul_f64 v[215:216], v[5:6], v[161:162]
	v_mul_f64 v[161:162], v[7:8], v[161:162]
	s_waitcnt vmcnt(56)
	v_fma_f64 v[157:158], v[131:132], v[145:146], -v[157:158]
	ds_read_b128 v[1:4], v183 offset:1408
	v_fma_f64 v[145:146], v[133:134], v[145:146], v[151:152]
	v_add_f64 v[135:136], v[135:136], v[153:154]
	v_add_f64 v[137:138], v[137:138], v[149:150]
	s_clause 0x2
	buffer_load_dword v160, off, s[0:3], 0 offset:684
	buffer_load_dword v150, off, s[0:3], 0 offset:660
	;; [unrolled: 1-line block ×3, first 2 shown]
	ds_read_b128 v[131:134], v183 offset:1424
	s_waitcnt vmcnt(58) lgkmcnt(1)
	v_mul_f64 v[153:154], v[3:4], v[165:166]
	s_waitcnt vmcnt(56)
	v_fma_f64 v[161:162], v[5:6], v[167:168], -v[161:162]
	v_mul_f64 v[151:152], v[1:2], v[165:166]
	v_add_f64 v[135:136], v[135:136], v[157:158]
	v_fma_f64 v[157:158], v[7:8], v[167:168], v[215:216]
	v_add_f64 v[137:138], v[137:138], v[145:146]
	s_clause 0x4
	buffer_load_dword v146, off, s[0:3], 0 offset:700
	buffer_load_dword v165, off, s[0:3], 0 offset:712
	;; [unrolled: 1-line block ×5, first 2 shown]
	s_waitcnt vmcnt(57) lgkmcnt(0)
	v_mul_f64 v[215:216], v[131:132], v[169:170]
	v_mul_f64 v[168:169], v[133:134], v[169:170]
	s_waitcnt vmcnt(56)
	v_fma_f64 v[153:154], v[1:2], v[155:156], -v[153:154]
	ds_read_b128 v[5:8], v183 offset:1440
	v_fma_f64 v[151:152], v[3:4], v[155:156], v[151:152]
	s_clause 0x2
	buffer_load_dword v166, off, s[0:3], 0 offset:716
	buffer_load_dword v156, off, s[0:3], 0 offset:692
	;; [unrolled: 1-line block ×3, first 2 shown]
	ds_read_b128 v[1:4], v183 offset:1456
	v_add_f64 v[135:136], v[135:136], v[161:162]
	v_add_f64 v[137:138], v[137:138], v[157:158]
	s_waitcnt vmcnt(58) lgkmcnt(1)
	v_mul_f64 v[161:162], v[7:8], v[173:174]
	s_waitcnt vmcnt(56)
	v_fma_f64 v[169:170], v[131:132], v[175:176], -v[168:169]
	v_mul_f64 v[157:158], v[5:6], v[173:174]
	v_add_f64 v[135:136], v[135:136], v[153:154]
	v_fma_f64 v[153:154], v[133:134], v[175:176], v[215:216]
	v_add_f64 v[137:138], v[137:138], v[151:152]
	s_clause 0x4
	buffer_load_dword v152, off, s[0:3], 0 offset:732
	buffer_load_dword v173, off, s[0:3], 0 offset:744
	;; [unrolled: 1-line block ×5, first 2 shown]
	s_waitcnt vmcnt(57) lgkmcnt(0)
	v_mul_f64 v[215:216], v[1:2], v[177:178]
	v_mul_f64 v[176:177], v[3:4], v[177:178]
	s_waitcnt vmcnt(56)
	v_fma_f64 v[161:162], v[5:6], v[163:164], -v[161:162]
	ds_read_b128 v[131:134], v183 offset:1472
	v_fma_f64 v[157:158], v[7:8], v[163:164], v[157:158]
	v_add_f64 v[135:136], v[135:136], v[169:170]
	v_add_f64 v[137:138], v[137:138], v[153:154]
	s_clause 0x2
	buffer_load_dword v174, off, s[0:3], 0 offset:748
	buffer_load_dword v154, off, s[0:3], 0 offset:724
	;; [unrolled: 1-line block ×3, first 2 shown]
	ds_read_b128 v[5:8], v183 offset:1488
	s_waitcnt vmcnt(58) lgkmcnt(1)
	v_mul_f64 v[169:170], v[133:134], v[179:180]
	s_waitcnt vmcnt(56)
	v_fma_f64 v[177:178], v[1:2], v[181:182], -v[176:177]
	v_mul_f64 v[163:164], v[131:132], v[179:180]
	v_add_f64 v[135:136], v[135:136], v[161:162]
	v_fma_f64 v[161:162], v[3:4], v[181:182], v[215:216]
	v_add_f64 v[137:138], v[137:138], v[157:158]
	s_clause 0x4
	buffer_load_dword v158, off, s[0:3], 0 offset:764
	buffer_load_dword v179, off, s[0:3], 0 offset:776
	;; [unrolled: 1-line block ×5, first 2 shown]
	s_waitcnt vmcnt(57) lgkmcnt(0)
	v_mul_f64 v[215:216], v[5:6], v[200:201]
	v_mul_f64 v[200:201], v[7:8], v[200:201]
	s_waitcnt vmcnt(56)
	v_fma_f64 v[169:170], v[131:132], v[171:172], -v[169:170]
	ds_read_b128 v[1:4], v183 offset:1504
	v_fma_f64 v[163:164], v[133:134], v[171:172], v[163:164]
	v_add_f64 v[135:136], v[135:136], v[177:178]
	v_add_f64 v[137:138], v[137:138], v[161:162]
	s_clause 0x2
	buffer_load_dword v180, off, s[0:3], 0 offset:780
	buffer_load_dword v162, off, s[0:3], 0 offset:756
	;; [unrolled: 1-line block ×3, first 2 shown]
	ds_read_b128 v[131:134], v183 offset:1520
	s_waitcnt vmcnt(58) lgkmcnt(1)
	v_mul_f64 v[177:178], v[3:4], v[202:203]
	s_waitcnt vmcnt(56)
	v_fma_f64 v[200:201], v[5:6], v[207:208], -v[200:201]
	v_mul_f64 v[171:172], v[1:2], v[202:203]
	v_add_f64 v[135:136], v[135:136], v[169:170]
	v_fma_f64 v[169:170], v[7:8], v[207:208], v[215:216]
	v_add_f64 v[137:138], v[137:138], v[163:164]
	s_clause 0x4
	buffer_load_dword v164, off, s[0:3], 0 offset:796
	buffer_load_dword v202, off, s[0:3], 0 offset:808
	;; [unrolled: 1-line block ×5, first 2 shown]
	ds_read_b128 v[5:8], v183 offset:1536
	s_waitcnt vmcnt(57) lgkmcnt(1)
	v_mul_f64 v[207:208], v[131:132], v[194:195]
	v_mul_f64 v[194:195], v[133:134], v[194:195]
	s_waitcnt vmcnt(56)
	v_fma_f64 v[177:178], v[1:2], v[204:205], -v[177:178]
	v_fma_f64 v[171:172], v[3:4], v[204:205], v[171:172]
	v_add_f64 v[135:136], v[135:136], v[200:201]
	v_add_f64 v[137:138], v[137:138], v[169:170]
	s_clause 0x2
	buffer_load_dword v203, off, s[0:3], 0 offset:812
	buffer_load_dword v170, off, s[0:3], 0 offset:788
	buffer_load_dword v169, off, s[0:3], 0 offset:784
	ds_read_b128 v[1:4], v183 offset:1552
	s_waitcnt vmcnt(58) lgkmcnt(1)
	v_mul_f64 v[204:205], v[7:8], v[211:212]
	v_mul_f64 v[200:201], v[5:6], v[211:212]
	s_waitcnt vmcnt(56)
	v_fma_f64 v[194:195], v[131:132], v[188:189], -v[194:195]
	v_add_f64 v[135:136], v[135:136], v[177:178]
	v_fma_f64 v[177:178], v[133:134], v[188:189], v[207:208]
	v_add_f64 v[137:138], v[137:138], v[171:172]
	s_clause 0x4
	buffer_load_dword v172, off, s[0:3], 0 offset:828
	buffer_load_dword v188, off, s[0:3], 0 offset:840
	buffer_load_dword v211, off, s[0:3], 0 offset:832
	buffer_load_dword v171, off, s[0:3], 0 offset:824
	buffer_load_dword v207, off, s[0:3], 0 offset:804
	ds_read_b128 v[131:134], v183 offset:1568
	s_waitcnt vmcnt(57) lgkmcnt(1)
	v_mul_f64 v[215:216], v[1:2], v[147:148]
	v_mul_f64 v[147:148], v[3:4], v[147:148]
	s_waitcnt vmcnt(56)
	v_fma_f64 v[204:205], v[5:6], v[213:214], -v[204:205]
	v_add_f64 v[135:136], v[135:136], v[194:195]
	v_fma_f64 v[194:195], v[7:8], v[213:214], v[200:201]
	v_add_f64 v[137:138], v[137:138], v[177:178]
	s_clause 0x2
	buffer_load_dword v189, off, s[0:3], 0 offset:844
	buffer_load_dword v178, off, s[0:3], 0 offset:820
	buffer_load_dword v177, off, s[0:3], 0 offset:816
	ds_read_b128 v[5:8], v183 offset:1584
	s_waitcnt vmcnt(58) lgkmcnt(1)
	v_mul_f64 v[200:201], v[131:132], v[196:197]
	v_mul_f64 v[196:197], v[133:134], v[196:197]
	s_waitcnt vmcnt(56)
	v_fma_f64 v[147:148], v[1:2], v[141:142], -v[147:148]
	v_fma_f64 v[141:142], v[3:4], v[141:142], v[215:216]
	v_add_f64 v[135:136], v[135:136], v[204:205]
	v_add_f64 v[137:138], v[137:138], v[194:195]
	s_clause 0x4
	buffer_load_dword v195, off, s[0:3], 0 offset:860
	buffer_load_dword v204, off, s[0:3], 0 offset:872
	buffer_load_dword v208, off, s[0:3], 0 offset:864
	buffer_load_dword v194, off, s[0:3], 0 offset:856
	buffer_load_dword v212, off, s[0:3], 0 offset:836
	ds_read_b128 v[1:4], v183 offset:1600
	s_waitcnt vmcnt(57) lgkmcnt(1)
	v_mul_f64 v[213:214], v[5:6], v[184:185]
	v_mul_f64 v[184:185], v[7:8], v[184:185]
	s_waitcnt vmcnt(56)
	v_fma_f64 v[196:197], v[131:132], v[209:210], -v[196:197]
	v_add_f64 v[135:136], v[135:136], v[147:148]
	v_fma_f64 v[147:148], v[133:134], v[209:210], v[200:201]
	v_add_f64 v[137:138], v[137:138], v[141:142]
	s_clause 0x2
	buffer_load_dword v205, off, s[0:3], 0 offset:876
	buffer_load_dword v142, off, s[0:3], 0 offset:852
	buffer_load_dword v141, off, s[0:3], 0 offset:848
	ds_read_b128 v[131:134], v183 offset:1616
	s_waitcnt vmcnt(58) lgkmcnt(1)
	v_mul_f64 v[200:201], v[1:2], v[186:187]
	v_mul_f64 v[186:187], v[3:4], v[186:187]
	s_waitcnt vmcnt(56)
	v_fma_f64 v[184:185], v[5:6], v[143:144], -v[184:185]
	v_fma_f64 v[143:144], v[7:8], v[143:144], v[213:214]
	v_add_f64 v[135:136], v[135:136], v[196:197]
	;; [unrolled: 28-line block ×3, first 2 shown]
	v_add_f64 v[137:138], v[137:138], v[184:185]
	s_clause 0x4
	buffer_load_dword v185, off, s[0:3], 0 offset:924
	buffer_load_dword v186, off, s[0:3], 0 offset:936
	;; [unrolled: 1-line block ×5, first 2 shown]
	ds_read_b128 v[131:134], v183 offset:1664
	s_waitcnt vmcnt(57) lgkmcnt(1)
	v_mul_f64 v[215:216], v[1:2], v[145:146]
	v_mul_f64 v[145:146], v[3:4], v[145:146]
	s_waitcnt vmcnt(56)
	v_fma_f64 v[159:160], v[5:6], v[192:193], -v[159:160]
	v_add_f64 v[135:136], v[135:136], v[139:140]
	v_fma_f64 v[139:140], v[7:8], v[192:193], v[198:199]
	v_add_f64 v[137:138], v[137:138], v[149:150]
	s_clause 0x2
	buffer_load_dword v187, off, s[0:3], 0 offset:940
	buffer_load_dword v150, off, s[0:3], 0 offset:916
	;; [unrolled: 1-line block ×3, first 2 shown]
	s_waitcnt vmcnt(58) lgkmcnt(0)
	v_mul_f64 v[192:193], v[131:132], v[165:166]
	v_mul_f64 v[165:166], v[133:134], v[165:166]
	ds_read_b128 v[5:8], v183 offset:1680
	s_waitcnt vmcnt(56)
	v_fma_f64 v[145:146], v[1:2], v[155:156], -v[145:146]
	v_fma_f64 v[155:156], v[3:4], v[155:156], v[215:216]
	v_add_f64 v[135:136], v[135:136], v[159:160]
	v_add_f64 v[137:138], v[137:138], v[139:140]
	s_clause 0x4
	buffer_load_dword v140, off, s[0:3], 0 offset:956
	buffer_load_dword v159, off, s[0:3], 0 offset:968
	;; [unrolled: 1-line block ×5, first 2 shown]
	ds_read_b128 v[1:4], v183 offset:1696
	s_waitcnt vmcnt(57) lgkmcnt(1)
	v_mul_f64 v[215:216], v[5:6], v[151:152]
	v_mul_f64 v[151:152], v[7:8], v[151:152]
	s_waitcnt vmcnt(56)
	v_fma_f64 v[165:166], v[131:132], v[167:168], -v[165:166]
	v_add_f64 v[135:136], v[135:136], v[145:146]
	v_fma_f64 v[145:146], v[133:134], v[167:168], v[192:193]
	v_add_f64 v[137:138], v[137:138], v[155:156]
	s_clause 0x2
	buffer_load_dword v160, off, s[0:3], 0 offset:972
	buffer_load_dword v156, off, s[0:3], 0 offset:948
	;; [unrolled: 1-line block ×3, first 2 shown]
	ds_read_b128 v[131:134], v183 offset:1712
	s_waitcnt vmcnt(58) lgkmcnt(1)
	v_mul_f64 v[167:168], v[1:2], v[173:174]
	v_mul_f64 v[173:174], v[3:4], v[173:174]
	s_waitcnt vmcnt(56)
	v_fma_f64 v[151:152], v[5:6], v[153:154], -v[151:152]
	v_fma_f64 v[153:154], v[7:8], v[153:154], v[215:216]
	v_add_f64 v[135:136], v[135:136], v[165:166]
	v_add_f64 v[137:138], v[137:138], v[145:146]
	s_clause 0x2
	buffer_load_dword v146, off, s[0:3], 0 offset:988
	buffer_load_dword v145, off, s[0:3], 0 offset:984
	buffer_load_dword v199, off, s[0:3], 0 offset:964
	ds_read_b128 v[5:8], v183 offset:1728
	s_waitcnt vmcnt(55) lgkmcnt(1)
	v_mul_f64 v[165:166], v[131:132], v[157:158]
	v_mul_f64 v[157:158], v[133:134], v[157:158]
	s_waitcnt vmcnt(54)
	v_fma_f64 v[173:174], v[1:2], v[175:176], -v[173:174]
	v_add_f64 v[135:136], v[135:136], v[151:152]
	v_fma_f64 v[151:152], v[3:4], v[175:176], v[167:168]
	v_add_f64 v[137:138], v[137:138], v[153:154]
	s_clause 0x1
	buffer_load_dword v154, off, s[0:3], 0 offset:980
	buffer_load_dword v153, off, s[0:3], 0 offset:976
	ds_read_b128 v[1:4], v183 offset:1744
	s_waitcnt vmcnt(55) lgkmcnt(1)
	v_mul_f64 v[175:176], v[7:8], v[179:180]
	v_mul_f64 v[167:168], v[5:6], v[179:180]
	s_waitcnt vmcnt(53)
	v_fma_f64 v[157:158], v[131:132], v[161:162], -v[157:158]
	v_fma_f64 v[161:162], v[133:134], v[161:162], v[165:166]
	ds_read_b128 v[131:134], v183 offset:1760
	v_add_f64 v[135:136], v[135:136], v[173:174]
	v_add_f64 v[137:138], v[137:138], v[151:152]
	s_waitcnt vmcnt(49) lgkmcnt(1)
	v_mul_f64 v[151:152], v[1:2], v[163:164]
	v_mul_f64 v[163:164], v[3:4], v[163:164]
	s_waitcnt vmcnt(48)
	v_fma_f64 v[165:166], v[5:6], v[181:182], -v[175:176]
	v_add_f64 v[135:136], v[135:136], v[157:158]
	v_fma_f64 v[157:158], v[7:8], v[181:182], v[167:168]
	v_add_f64 v[137:138], v[137:138], v[161:162]
	s_clause 0x3
	buffer_load_dword v161, off, s[0:3], 0 offset:272
	buffer_load_dword v162, off, s[0:3], 0 offset:276
	;; [unrolled: 1-line block ×4, first 2 shown]
	ds_read_b128 v[5:8], v183 offset:1776
	s_waitcnt vmcnt(51) lgkmcnt(1)
	v_mul_f64 v[175:176], v[133:134], v[202:203]
	v_mul_f64 v[173:174], v[131:132], v[202:203]
	s_waitcnt vmcnt(49)
	v_fma_f64 v[163:164], v[1:2], v[169:170], -v[163:164]
	v_fma_f64 v[151:152], v[3:4], v[169:170], v[151:152]
	ds_read_b128 v[1:4], v183 offset:1792
	v_add_f64 v[135:136], v[135:136], v[165:166]
	v_add_f64 v[137:138], v[137:138], v[157:158]
	s_waitcnt vmcnt(45) lgkmcnt(1)
	v_mul_f64 v[165:166], v[7:8], v[171:172]
	s_waitcnt vmcnt(44)
	v_fma_f64 v[169:170], v[131:132], v[206:207], -v[175:176]
	v_mul_f64 v[157:158], v[5:6], v[171:172]
	v_add_f64 v[135:136], v[135:136], v[163:164]
	v_fma_f64 v[163:164], v[133:134], v[206:207], v[173:174]
	v_add_f64 v[137:138], v[137:138], v[151:152]
	ds_read_b128 v[131:134], v183 offset:1808
	s_waitcnt vmcnt(43) lgkmcnt(1)
	v_mul_f64 v[171:172], v[3:4], v[188:189]
	v_mul_f64 v[151:152], v[1:2], v[188:189]
	s_waitcnt vmcnt(41)
	v_fma_f64 v[165:166], v[5:6], v[177:178], -v[165:166]
	v_fma_f64 v[157:158], v[7:8], v[177:178], v[157:158]
	ds_read_b128 v[5:8], v183 offset:1824
	v_add_f64 v[135:136], v[135:136], v[169:170]
	v_add_f64 v[137:138], v[137:138], v[163:164]
	s_waitcnt vmcnt(37) lgkmcnt(1)
	v_mul_f64 v[169:170], v[133:134], v[194:195]
	s_waitcnt vmcnt(36)
	v_fma_f64 v[171:172], v[1:2], v[211:212], -v[171:172]
	v_mul_f64 v[163:164], v[131:132], v[194:195]
	v_fma_f64 v[151:152], v[3:4], v[211:212], v[151:152]
	ds_read_b128 v[1:4], v183 offset:1840
	v_add_f64 v[135:136], v[135:136], v[165:166]
	v_add_f64 v[137:138], v[137:138], v[157:158]
	s_waitcnt vmcnt(35) lgkmcnt(1)
	v_mul_f64 v[165:166], v[7:8], v[204:205]
	v_mul_f64 v[157:158], v[5:6], v[204:205]
	s_waitcnt vmcnt(33)
	v_fma_f64 v[169:170], v[131:132], v[141:142], -v[169:170]
	v_fma_f64 v[141:142], v[133:134], v[141:142], v[163:164]
	ds_read_b128 v[131:134], v183 offset:1856
	v_add_f64 v[135:136], v[135:136], v[171:172]
	v_add_f64 v[137:138], v[137:138], v[151:152]
	s_waitcnt vmcnt(29) lgkmcnt(1)
	v_mul_f64 v[151:152], v[1:2], v[147:148]
	v_mul_f64 v[147:148], v[3:4], v[147:148]
	s_waitcnt vmcnt(28)
	v_fma_f64 v[163:164], v[5:6], v[208:209], -v[165:166]
	;; [unrolled: 9-line block ×3, first 2 shown]
	v_fma_f64 v[143:144], v[3:4], v[143:144], v[151:152]
	ds_read_b128 v[1:4], v183 offset:1888
	v_add_f64 v[135:136], v[135:136], v[163:164]
	v_add_f64 v[137:138], v[137:138], v[157:158]
	s_waitcnt vmcnt(21) lgkmcnt(1)
	v_mul_f64 v[157:158], v[7:8], v[184:185]
	s_waitcnt vmcnt(20)
	v_fma_f64 v[163:164], v[131:132], v[213:214], -v[165:166]
	v_mul_f64 v[151:152], v[5:6], v[184:185]
	v_fma_f64 v[141:142], v[133:134], v[213:214], v[141:142]
	ds_read_b128 v[131:134], v183 offset:1904
	v_add_f64 v[135:136], v[135:136], v[147:148]
	v_add_f64 v[137:138], v[137:138], v[143:144]
	s_waitcnt vmcnt(19) lgkmcnt(1)
	v_mul_f64 v[147:148], v[3:4], v[186:187]
	v_mul_f64 v[143:144], v[1:2], v[186:187]
	s_waitcnt vmcnt(17)
	v_fma_f64 v[157:158], v[5:6], v[149:150], -v[157:158]
	v_fma_f64 v[149:150], v[7:8], v[149:150], v[151:152]
	ds_read_b128 v[5:8], v183 offset:1920
	v_add_f64 v[135:136], v[135:136], v[163:164]
	v_add_f64 v[137:138], v[137:138], v[141:142]
	s_waitcnt vmcnt(13) lgkmcnt(1)
	v_mul_f64 v[141:142], v[131:132], v[139:140]
	v_mul_f64 v[139:140], v[133:134], v[139:140]
	s_waitcnt vmcnt(12)
	v_fma_f64 v[147:148], v[1:2], v[200:201], -v[147:148]
	;; [unrolled: 9-line block ×3, first 2 shown]
	v_fma_f64 v[133:134], v[133:134], v[155:156], v[141:142]
	v_add_f64 v[135:136], v[135:136], v[147:148]
	v_add_f64 v[137:138], v[137:138], v[143:144]
	s_waitcnt vmcnt(7) lgkmcnt(0)
	v_mul_f64 v[141:142], v[3:4], v[145:146]
	s_waitcnt vmcnt(6)
	v_fma_f64 v[5:6], v[5:6], v[198:199], -v[151:152]
	v_mul_f64 v[139:140], v[1:2], v[145:146]
	v_fma_f64 v[7:8], v[7:8], v[198:199], v[149:150]
	v_add_f64 v[131:132], v[135:136], v[131:132]
	v_add_f64 v[133:134], v[137:138], v[133:134]
	s_waitcnt vmcnt(4)
	v_fma_f64 v[1:2], v[1:2], v[153:154], -v[141:142]
	v_fma_f64 v[3:4], v[3:4], v[153:154], v[139:140]
	v_add_f64 v[5:6], v[131:132], v[5:6]
	v_add_f64 v[7:8], v[133:134], v[7:8]
	;; [unrolled: 1-line block ×4, first 2 shown]
	s_waitcnt vmcnt(2)
	v_add_f64 v[1:2], v[161:162], -v[1:2]
	s_waitcnt vmcnt(0)
	v_add_f64 v[3:4], v[167:168], -v[3:4]
	buffer_store_dword v2, off, s[0:3], 0 offset:276
	buffer_store_dword v1, off, s[0:3], 0 offset:272
	;; [unrolled: 1-line block ×4, first 2 shown]
	v_cmpx_lt_u32_e32 15, v0
	s_cbranch_execz .LBB124_361
; %bb.360:
	v_mov_b32_e32 v4, s60
	v_mov_b32_e32 v5, 0
	s_clause 0x3
	buffer_load_dword v1, v4, s[0:3], 0 offen
	buffer_load_dword v2, v4, s[0:3], 0 offen offset:4
	buffer_load_dword v3, v4, s[0:3], 0 offen offset:8
	;; [unrolled: 1-line block ×3, first 2 shown]
	buffer_store_dword v5, off, s[0:3], 0 offset:256
	buffer_store_dword v5, off, s[0:3], 0 offset:260
	;; [unrolled: 1-line block ×4, first 2 shown]
	s_waitcnt vmcnt(0)
	ds_write_b128 v191, v[1:4]
.LBB124_361:
	s_or_b32 exec_lo, exec_lo, s4
	s_waitcnt lgkmcnt(0)
	s_waitcnt_vscnt null, 0x0
	s_barrier
	buffer_gl0_inv
	s_clause 0x37
	buffer_load_dword v135, off, s[0:3], 0 offset:280
	buffer_load_dword v136, off, s[0:3], 0 offset:284
	;; [unrolled: 1-line block ×56, first 2 shown]
	v_mov_b32_e32 v192, 0
	s_mov_b32 s4, exec_lo
	ds_read_b128 v[187:190], v192 offset:1232
	s_clause 0x2
	buffer_load_dword v184, off, s[0:3], 0 offset:508
	buffer_load_dword v186, off, s[0:3], 0 offset:484
	;; [unrolled: 1-line block ×3, first 2 shown]
	ds_read_b128 v[1:4], v192 offset:1248
	s_clause 0x4
	buffer_load_dword v200, off, s[0:3], 0 offset:524
	buffer_load_dword v201, off, s[0:3], 0 offset:536
	;; [unrolled: 1-line block ×5, first 2 shown]
	ds_read_b128 v[193:196], v192 offset:1264
	s_waitcnt vmcnt(62) lgkmcnt(2)
	v_mul_f64 v[197:198], v[189:190], v[135:136]
	v_mul_f64 v[135:136], v[187:188], v[135:136]
	s_waitcnt vmcnt(60) lgkmcnt(1)
	v_mul_f64 v[204:205], v[3:4], v[131:132]
	s_waitcnt vmcnt(56) lgkmcnt(0)
	v_mul_f64 v[206:207], v[193:194], v[7:8]
	v_mul_f64 v[7:8], v[195:196], v[7:8]
	v_fma_f64 v[187:188], v[187:188], v[133:134], -v[197:198]
	v_mul_f64 v[197:198], v[1:2], v[131:132]
	v_fma_f64 v[135:136], v[189:190], v[133:134], v[135:136]
	s_clause 0x2
	buffer_load_dword v202, off, s[0:3], 0 offset:540
	buffer_load_dword v190, off, s[0:3], 0 offset:516
	buffer_load_dword v189, off, s[0:3], 0 offset:512
	s_waitcnt vmcnt(57)
	v_fma_f64 v[208:209], v[1:2], v[5:6], -v[204:205]
	ds_read_b128 v[131:134], v192 offset:1280
	s_waitcnt vmcnt(51)
	v_fma_f64 v[193:194], v[193:194], v[151:152], -v[7:8]
	v_fma_f64 v[151:152], v[195:196], v[151:152], v[206:207]
	v_add_f64 v[187:188], v[187:188], 0
	v_fma_f64 v[5:6], v[3:4], v[5:6], v[197:198]
	v_add_f64 v[135:136], v[135:136], 0
	s_clause 0x4
	buffer_load_dword v198, off, s[0:3], 0 offset:556
	buffer_load_dword v205, off, s[0:3], 0 offset:568
	;; [unrolled: 1-line block ×5, first 2 shown]
	s_waitcnt lgkmcnt(0)
	v_mul_f64 v[211:212], v[131:132], v[139:140]
	v_mul_f64 v[139:140], v[133:134], v[139:140]
	ds_read_b128 v[1:4], v192 offset:1296
	s_clause 0x2
	buffer_load_dword v206, off, s[0:3], 0 offset:572
	buffer_load_dword v196, off, s[0:3], 0 offset:548
	;; [unrolled: 1-line block ×3, first 2 shown]
	v_add_f64 v[187:188], v[187:188], v[208:209]
	v_add_f64 v[135:136], v[135:136], v[5:6]
	ds_read_b128 v[5:8], v192 offset:1312
	s_waitcnt vmcnt(58) lgkmcnt(1)
	v_mul_f64 v[207:208], v[1:2], v[143:144]
	v_mul_f64 v[143:144], v[3:4], v[143:144]
	s_waitcnt vmcnt(56)
	v_fma_f64 v[139:140], v[131:132], v[145:146], -v[139:140]
	v_fma_f64 v[145:146], v[133:134], v[145:146], v[211:212]
	v_add_f64 v[187:188], v[187:188], v[193:194]
	s_waitcnt vmcnt(52) lgkmcnt(0)
	v_mul_f64 v[213:214], v[5:6], v[147:148]
	v_add_f64 v[135:136], v[135:136], v[151:152]
	s_clause 0x4
	buffer_load_dword v152, off, s[0:3], 0 offset:588
	buffer_load_dword v193, off, s[0:3], 0 offset:600
	;; [unrolled: 1-line block ×5, first 2 shown]
	v_mul_f64 v[147:148], v[7:8], v[147:148]
	s_waitcnt vmcnt(56)
	v_fma_f64 v[143:144], v[1:2], v[137:138], -v[143:144]
	ds_read_b128 v[131:134], v192 offset:1328
	v_fma_f64 v[137:138], v[3:4], v[137:138], v[207:208]
	v_add_f64 v[139:140], v[187:188], v[139:140]
	v_add_f64 v[135:136], v[135:136], v[145:146]
	s_clause 0x2
	buffer_load_dword v194, off, s[0:3], 0 offset:604
	buffer_load_dword v146, off, s[0:3], 0 offset:580
	;; [unrolled: 1-line block ×3, first 2 shown]
	s_waitcnt vmcnt(58) lgkmcnt(0)
	v_mul_f64 v[187:188], v[131:132], v[153:154]
	v_mul_f64 v[153:154], v[133:134], v[153:154]
	s_waitcnt vmcnt(56)
	v_fma_f64 v[147:148], v[5:6], v[155:156], -v[147:148]
	ds_read_b128 v[1:4], v192 offset:1344
	v_add_f64 v[139:140], v[139:140], v[143:144]
	v_fma_f64 v[143:144], v[7:8], v[155:156], v[213:214]
	v_add_f64 v[135:136], v[135:136], v[137:138]
	s_clause 0x4
	buffer_load_dword v138, off, s[0:3], 0 offset:620
	buffer_load_dword v155, off, s[0:3], 0 offset:632
	;; [unrolled: 1-line block ×5, first 2 shown]
	ds_read_b128 v[5:8], v192 offset:1360
	s_waitcnt vmcnt(57) lgkmcnt(1)
	v_mul_f64 v[208:209], v[1:2], v[157:158]
	v_mul_f64 v[157:158], v[3:4], v[157:158]
	s_waitcnt vmcnt(56)
	v_fma_f64 v[153:154], v[131:132], v[141:142], -v[153:154]
	v_fma_f64 v[141:142], v[133:134], v[141:142], v[187:188]
	v_add_f64 v[139:140], v[139:140], v[147:148]
	v_add_f64 v[135:136], v[135:136], v[143:144]
	s_clause 0x2
	buffer_load_dword v156, off, s[0:3], 0 offset:636
	buffer_load_dword v144, off, s[0:3], 0 offset:612
	buffer_load_dword v143, off, s[0:3], 0 offset:608
	s_waitcnt vmcnt(58) lgkmcnt(0)
	v_mul_f64 v[147:148], v[5:6], v[161:162]
	v_mul_f64 v[161:162], v[7:8], v[161:162]
	s_waitcnt vmcnt(56)
	v_fma_f64 v[157:158], v[1:2], v[163:164], -v[157:158]
	ds_read_b128 v[131:134], v192 offset:1376
	v_add_f64 v[139:140], v[139:140], v[153:154]
	v_fma_f64 v[153:154], v[3:4], v[163:164], v[208:209]
	v_add_f64 v[135:136], v[135:136], v[141:142]
	s_clause 0x4
	buffer_load_dword v142, off, s[0:3], 0 offset:652
	buffer_load_dword v163, off, s[0:3], 0 offset:664
	;; [unrolled: 1-line block ×5, first 2 shown]
	ds_read_b128 v[1:4], v192 offset:1392
	s_waitcnt vmcnt(57) lgkmcnt(1)
	v_mul_f64 v[214:215], v[131:132], v[165:166]
	v_mul_f64 v[165:166], v[133:134], v[165:166]
	s_waitcnt vmcnt(56)
	v_fma_f64 v[161:162], v[5:6], v[149:150], -v[161:162]
	v_fma_f64 v[147:148], v[7:8], v[149:150], v[147:148]
	s_clause 0x2
	buffer_load_dword v164, off, s[0:3], 0 offset:668
	buffer_load_dword v150, off, s[0:3], 0 offset:644
	;; [unrolled: 1-line block ×3, first 2 shown]
	ds_read_b128 v[5:8], v192 offset:1408
	v_add_f64 v[139:140], v[139:140], v[157:158]
	v_add_f64 v[135:136], v[135:136], v[153:154]
	s_waitcnt vmcnt(58) lgkmcnt(1)
	v_mul_f64 v[157:158], v[3:4], v[169:170]
	v_mul_f64 v[153:154], v[1:2], v[169:170]
	s_waitcnt vmcnt(56)
	v_fma_f64 v[165:166], v[131:132], v[171:172], -v[165:166]
	v_add_f64 v[139:140], v[139:140], v[161:162]
	v_fma_f64 v[161:162], v[133:134], v[171:172], v[214:215]
	v_add_f64 v[135:136], v[135:136], v[147:148]
	s_clause 0x4
	buffer_load_dword v148, off, s[0:3], 0 offset:684
	buffer_load_dword v169, off, s[0:3], 0 offset:696
	;; [unrolled: 1-line block ×5, first 2 shown]
	s_waitcnt vmcnt(57) lgkmcnt(0)
	v_mul_f64 v[214:215], v[5:6], v[173:174]
	v_mul_f64 v[172:173], v[7:8], v[173:174]
	s_waitcnt vmcnt(56)
	v_fma_f64 v[157:158], v[1:2], v[159:160], -v[157:158]
	ds_read_b128 v[131:134], v192 offset:1424
	v_fma_f64 v[153:154], v[3:4], v[159:160], v[153:154]
	s_clause 0x2
	buffer_load_dword v170, off, s[0:3], 0 offset:700
	buffer_load_dword v160, off, s[0:3], 0 offset:676
	;; [unrolled: 1-line block ×3, first 2 shown]
	ds_read_b128 v[1:4], v192 offset:1440
	v_add_f64 v[139:140], v[139:140], v[165:166]
	v_add_f64 v[135:136], v[135:136], v[161:162]
	s_waitcnt vmcnt(58) lgkmcnt(1)
	v_mul_f64 v[165:166], v[133:134], v[177:178]
	s_waitcnt vmcnt(56)
	v_fma_f64 v[173:174], v[5:6], v[179:180], -v[172:173]
	v_mul_f64 v[161:162], v[131:132], v[177:178]
	v_add_f64 v[139:140], v[139:140], v[157:158]
	v_fma_f64 v[157:158], v[7:8], v[179:180], v[214:215]
	v_add_f64 v[135:136], v[135:136], v[153:154]
	s_clause 0x4
	buffer_load_dword v154, off, s[0:3], 0 offset:716
	buffer_load_dword v177, off, s[0:3], 0 offset:728
	;; [unrolled: 1-line block ×5, first 2 shown]
	s_waitcnt vmcnt(57) lgkmcnt(0)
	v_mul_f64 v[214:215], v[1:2], v[181:182]
	v_mul_f64 v[180:181], v[3:4], v[181:182]
	s_waitcnt vmcnt(56)
	v_fma_f64 v[165:166], v[131:132], v[167:168], -v[165:166]
	ds_read_b128 v[5:8], v192 offset:1456
	v_fma_f64 v[161:162], v[133:134], v[167:168], v[161:162]
	v_add_f64 v[139:140], v[139:140], v[173:174]
	v_add_f64 v[135:136], v[135:136], v[157:158]
	s_clause 0x2
	buffer_load_dword v178, off, s[0:3], 0 offset:732
	buffer_load_dword v158, off, s[0:3], 0 offset:708
	;; [unrolled: 1-line block ×3, first 2 shown]
	ds_read_b128 v[131:134], v192 offset:1472
	s_waitcnt vmcnt(58) lgkmcnt(1)
	v_mul_f64 v[173:174], v[7:8], v[183:184]
	s_waitcnt vmcnt(56)
	v_fma_f64 v[181:182], v[1:2], v[185:186], -v[180:181]
	v_mul_f64 v[167:168], v[5:6], v[183:184]
	v_add_f64 v[139:140], v[139:140], v[165:166]
	v_fma_f64 v[165:166], v[3:4], v[185:186], v[214:215]
	v_add_f64 v[135:136], v[135:136], v[161:162]
	s_clause 0x4
	buffer_load_dword v162, off, s[0:3], 0 offset:748
	buffer_load_dword v183, off, s[0:3], 0 offset:760
	;; [unrolled: 1-line block ×5, first 2 shown]
	s_waitcnt vmcnt(57) lgkmcnt(0)
	v_mul_f64 v[214:215], v[131:132], v[199:200]
	v_mul_f64 v[199:200], v[133:134], v[199:200]
	s_waitcnt vmcnt(56)
	v_fma_f64 v[173:174], v[5:6], v[175:176], -v[173:174]
	ds_read_b128 v[1:4], v192 offset:1488
	v_fma_f64 v[167:168], v[7:8], v[175:176], v[167:168]
	v_add_f64 v[139:140], v[139:140], v[181:182]
	v_add_f64 v[135:136], v[135:136], v[165:166]
	s_clause 0x2
	buffer_load_dword v184, off, s[0:3], 0 offset:764
	buffer_load_dword v166, off, s[0:3], 0 offset:740
	;; [unrolled: 1-line block ×3, first 2 shown]
	ds_read_b128 v[5:8], v192 offset:1504
	s_waitcnt vmcnt(58) lgkmcnt(1)
	v_mul_f64 v[181:182], v[3:4], v[201:202]
	v_mul_f64 v[175:176], v[1:2], v[201:202]
	s_waitcnt vmcnt(56)
	v_fma_f64 v[199:200], v[131:132], v[189:190], -v[199:200]
	v_add_f64 v[139:140], v[139:140], v[173:174]
	v_fma_f64 v[173:174], v[133:134], v[189:190], v[214:215]
	v_add_f64 v[135:136], v[135:136], v[167:168]
	s_clause 0x4
	buffer_load_dword v168, off, s[0:3], 0 offset:780
	buffer_load_dword v189, off, s[0:3], 0 offset:792
	;; [unrolled: 1-line block ×5, first 2 shown]
	ds_read_b128 v[131:134], v192 offset:1520
	s_waitcnt vmcnt(57) lgkmcnt(1)
	v_mul_f64 v[214:215], v[5:6], v[197:198]
	v_mul_f64 v[197:198], v[7:8], v[197:198]
	s_waitcnt vmcnt(56)
	v_fma_f64 v[181:182], v[1:2], v[203:204], -v[181:182]
	v_fma_f64 v[175:176], v[3:4], v[203:204], v[175:176]
	v_add_f64 v[139:140], v[139:140], v[199:200]
	v_add_f64 v[135:136], v[135:136], v[173:174]
	s_clause 0x2
	buffer_load_dword v190, off, s[0:3], 0 offset:796
	buffer_load_dword v174, off, s[0:3], 0 offset:772
	;; [unrolled: 1-line block ×3, first 2 shown]
	s_waitcnt vmcnt(58) lgkmcnt(0)
	v_mul_f64 v[203:204], v[133:134], v[205:206]
	ds_read_b128 v[1:4], v192 offset:1536
	v_mul_f64 v[199:200], v[131:132], v[205:206]
	s_waitcnt vmcnt(56)
	v_fma_f64 v[197:198], v[5:6], v[195:196], -v[197:198]
	v_add_f64 v[139:140], v[139:140], v[181:182]
	v_fma_f64 v[181:182], v[7:8], v[195:196], v[214:215]
	v_add_f64 v[135:136], v[135:136], v[175:176]
	s_clause 0x4
	buffer_load_dword v176, off, s[0:3], 0 offset:812
	buffer_load_dword v195, off, s[0:3], 0 offset:824
	;; [unrolled: 1-line block ×5, first 2 shown]
	ds_read_b128 v[5:8], v192 offset:1552
	s_waitcnt vmcnt(57) lgkmcnt(1)
	v_mul_f64 v[214:215], v[1:2], v[151:152]
	v_mul_f64 v[151:152], v[3:4], v[151:152]
	s_waitcnt vmcnt(56)
	v_fma_f64 v[203:204], v[131:132], v[210:211], -v[203:204]
	v_add_f64 v[139:140], v[139:140], v[197:198]
	v_fma_f64 v[197:198], v[133:134], v[210:211], v[199:200]
	v_add_f64 v[135:136], v[135:136], v[181:182]
	s_clause 0x2
	buffer_load_dword v196, off, s[0:3], 0 offset:828
	buffer_load_dword v182, off, s[0:3], 0 offset:804
	;; [unrolled: 1-line block ×3, first 2 shown]
	ds_read_b128 v[131:134], v192 offset:1568
	s_waitcnt vmcnt(58) lgkmcnt(1)
	v_mul_f64 v[199:200], v[5:6], v[193:194]
	v_mul_f64 v[193:194], v[7:8], v[193:194]
	s_waitcnt vmcnt(56)
	v_fma_f64 v[151:152], v[1:2], v[145:146], -v[151:152]
	v_fma_f64 v[145:146], v[3:4], v[145:146], v[214:215]
	v_add_f64 v[139:140], v[139:140], v[203:204]
	v_add_f64 v[135:136], v[135:136], v[197:198]
	s_clause 0x4
	buffer_load_dword v198, off, s[0:3], 0 offset:844
	buffer_load_dword v203, off, s[0:3], 0 offset:856
	;; [unrolled: 1-line block ×5, first 2 shown]
	ds_read_b128 v[1:4], v192 offset:1584
	s_waitcnt vmcnt(57) lgkmcnt(1)
	v_mul_f64 v[210:211], v[131:132], v[137:138]
	v_mul_f64 v[137:138], v[133:134], v[137:138]
	s_waitcnt vmcnt(56)
	v_fma_f64 v[193:194], v[5:6], v[212:213], -v[193:194]
	v_add_f64 v[139:140], v[139:140], v[151:152]
	v_fma_f64 v[151:152], v[7:8], v[212:213], v[199:200]
	v_add_f64 v[135:136], v[135:136], v[145:146]
	s_clause 0x2
	buffer_load_dword v204, off, s[0:3], 0 offset:860
	buffer_load_dword v146, off, s[0:3], 0 offset:836
	;; [unrolled: 1-line block ×3, first 2 shown]
	ds_read_b128 v[5:8], v192 offset:1600
	s_waitcnt vmcnt(58) lgkmcnt(1)
	v_mul_f64 v[199:200], v[1:2], v[155:156]
	v_mul_f64 v[155:156], v[3:4], v[155:156]
	s_waitcnt vmcnt(56)
	v_fma_f64 v[137:138], v[131:132], v[143:144], -v[137:138]
	v_fma_f64 v[143:144], v[133:134], v[143:144], v[210:211]
	v_add_f64 v[139:140], v[139:140], v[193:194]
	v_add_f64 v[135:136], v[135:136], v[151:152]
	s_clause 0x4
	buffer_load_dword v152, off, s[0:3], 0 offset:876
	buffer_load_dword v193, off, s[0:3], 0 offset:888
	buffer_load_dword v211, off, s[0:3], 0 offset:880
	buffer_load_dword v151, off, s[0:3], 0 offset:872
	buffer_load_dword v210, off, s[0:3], 0 offset:852
	ds_read_b128 v[131:134], v192 offset:1616
	s_waitcnt vmcnt(57) lgkmcnt(1)
	v_mul_f64 v[212:213], v[5:6], v[141:142]
	v_mul_f64 v[141:142], v[7:8], v[141:142]
	s_waitcnt vmcnt(56)
	v_fma_f64 v[155:156], v[1:2], v[207:208], -v[155:156]
	v_add_f64 v[137:138], v[139:140], v[137:138]
	v_fma_f64 v[139:140], v[3:4], v[207:208], v[199:200]
	v_add_f64 v[135:136], v[135:136], v[143:144]
	s_clause 0x2
	buffer_load_dword v194, off, s[0:3], 0 offset:892
	buffer_load_dword v144, off, s[0:3], 0 offset:868
	;; [unrolled: 1-line block ×3, first 2 shown]
	s_waitcnt vmcnt(58) lgkmcnt(0)
	v_mul_f64 v[199:200], v[131:132], v[163:164]
	v_mul_f64 v[163:164], v[133:134], v[163:164]
	ds_read_b128 v[1:4], v192 offset:1632
	s_waitcnt vmcnt(56)
	v_fma_f64 v[141:142], v[5:6], v[149:150], -v[141:142]
	v_fma_f64 v[149:150], v[7:8], v[149:150], v[212:213]
	v_add_f64 v[137:138], v[137:138], v[155:156]
	v_add_f64 v[135:136], v[135:136], v[139:140]
	s_clause 0x4
	buffer_load_dword v140, off, s[0:3], 0 offset:908
	buffer_load_dword v155, off, s[0:3], 0 offset:920
	;; [unrolled: 1-line block ×5, first 2 shown]
	ds_read_b128 v[5:8], v192 offset:1648
	s_waitcnt vmcnt(57) lgkmcnt(1)
	v_mul_f64 v[213:214], v[1:2], v[147:148]
	v_mul_f64 v[147:148], v[3:4], v[147:148]
	s_waitcnt vmcnt(56)
	v_fma_f64 v[163:164], v[131:132], v[187:188], -v[163:164]
	v_add_f64 v[137:138], v[137:138], v[141:142]
	v_fma_f64 v[141:142], v[133:134], v[187:188], v[199:200]
	v_add_f64 v[135:136], v[135:136], v[149:150]
	s_clause 0x2
	buffer_load_dword v156, off, s[0:3], 0 offset:924
	buffer_load_dword v150, off, s[0:3], 0 offset:900
	buffer_load_dword v149, off, s[0:3], 0 offset:896
	s_waitcnt vmcnt(58) lgkmcnt(0)
	v_mul_f64 v[187:188], v[5:6], v[169:170]
	v_mul_f64 v[169:170], v[7:8], v[169:170]
	ds_read_b128 v[131:134], v192 offset:1664
	s_waitcnt vmcnt(56)
	v_fma_f64 v[147:148], v[1:2], v[159:160], -v[147:148]
	v_fma_f64 v[159:160], v[3:4], v[159:160], v[213:214]
	v_add_f64 v[137:138], v[137:138], v[163:164]
	v_add_f64 v[135:136], v[135:136], v[141:142]
	s_clause 0x4
	buffer_load_dword v142, off, s[0:3], 0 offset:940
	buffer_load_dword v163, off, s[0:3], 0 offset:952
	;; [unrolled: 1-line block ×5, first 2 shown]
	ds_read_b128 v[1:4], v192 offset:1680
	s_waitcnt vmcnt(57) lgkmcnt(1)
	v_mul_f64 v[213:214], v[131:132], v[153:154]
	v_mul_f64 v[153:154], v[133:134], v[153:154]
	s_waitcnt vmcnt(56)
	v_fma_f64 v[169:170], v[5:6], v[171:172], -v[169:170]
	v_add_f64 v[137:138], v[137:138], v[147:148]
	v_fma_f64 v[147:148], v[7:8], v[171:172], v[187:188]
	v_add_f64 v[135:136], v[135:136], v[159:160]
	s_clause 0x2
	buffer_load_dword v164, off, s[0:3], 0 offset:956
	buffer_load_dword v160, off, s[0:3], 0 offset:932
	;; [unrolled: 1-line block ×3, first 2 shown]
	ds_read_b128 v[5:8], v192 offset:1696
	s_waitcnt vmcnt(58) lgkmcnt(1)
	v_mul_f64 v[171:172], v[1:2], v[177:178]
	v_mul_f64 v[177:178], v[3:4], v[177:178]
	s_waitcnt vmcnt(56)
	v_fma_f64 v[153:154], v[131:132], v[157:158], -v[153:154]
	v_fma_f64 v[157:158], v[133:134], v[157:158], v[213:214]
	v_add_f64 v[137:138], v[137:138], v[169:170]
	v_add_f64 v[135:136], v[135:136], v[147:148]
	s_clause 0x4
	buffer_load_dword v148, off, s[0:3], 0 offset:972
	buffer_load_dword v169, off, s[0:3], 0 offset:984
	;; [unrolled: 1-line block ×5, first 2 shown]
	ds_read_b128 v[131:134], v192 offset:1712
	s_waitcnt vmcnt(57) lgkmcnt(1)
	v_mul_f64 v[213:214], v[5:6], v[161:162]
	v_mul_f64 v[161:162], v[7:8], v[161:162]
	s_waitcnt vmcnt(56)
	v_fma_f64 v[177:178], v[1:2], v[179:180], -v[177:178]
	v_add_f64 v[137:138], v[137:138], v[153:154]
	v_fma_f64 v[153:154], v[3:4], v[179:180], v[171:172]
	v_add_f64 v[135:136], v[135:136], v[157:158]
	s_clause 0x2
	buffer_load_dword v170, off, s[0:3], 0 offset:988
	buffer_load_dword v158, off, s[0:3], 0 offset:964
	;; [unrolled: 1-line block ×3, first 2 shown]
	ds_read_b128 v[1:4], v192 offset:1728
	buffer_load_dword v188, off, s[0:3], 0 offset:980
	s_waitcnt vmcnt(59) lgkmcnt(1)
	v_mul_f64 v[179:180], v[133:134], v[183:184]
	v_mul_f64 v[171:172], v[131:132], v[183:184]
	s_waitcnt vmcnt(57)
	v_fma_f64 v[161:162], v[5:6], v[165:166], -v[161:162]
	v_fma_f64 v[165:166], v[7:8], v[165:166], v[213:214]
	ds_read_b128 v[5:8], v192 offset:1744
	v_add_f64 v[137:138], v[137:138], v[177:178]
	v_add_f64 v[135:136], v[135:136], v[153:154]
	s_waitcnt vmcnt(53) lgkmcnt(1)
	v_mul_f64 v[153:154], v[1:2], v[167:168]
	v_mul_f64 v[167:168], v[3:4], v[167:168]
	s_waitcnt vmcnt(52)
	v_fma_f64 v[177:178], v[131:132], v[185:186], -v[179:180]
	v_add_f64 v[137:138], v[137:138], v[161:162]
	v_fma_f64 v[161:162], v[133:134], v[185:186], v[171:172]
	v_add_f64 v[135:136], v[135:136], v[165:166]
	ds_read_b128 v[131:134], v192 offset:1760
	s_waitcnt vmcnt(51) lgkmcnt(1)
	v_mul_f64 v[171:172], v[7:8], v[189:190]
	v_mul_f64 v[165:166], v[5:6], v[189:190]
	s_waitcnt vmcnt(49)
	v_fma_f64 v[167:168], v[1:2], v[173:174], -v[167:168]
	v_fma_f64 v[153:154], v[3:4], v[173:174], v[153:154]
	v_add_f64 v[137:138], v[137:138], v[177:178]
	v_add_f64 v[135:136], v[135:136], v[161:162]
	s_clause 0x3
	buffer_load_dword v161, off, s[0:3], 0 offset:256
	buffer_load_dword v162, off, s[0:3], 0 offset:260
	;; [unrolled: 1-line block ×4, first 2 shown]
	ds_read_b128 v[1:4], v192 offset:1776
	s_waitcnt vmcnt(49) lgkmcnt(1)
	v_mul_f64 v[177:178], v[131:132], v[175:176]
	v_mul_f64 v[175:176], v[133:134], v[175:176]
	s_waitcnt vmcnt(48)
	v_fma_f64 v[171:172], v[5:6], v[201:202], -v[171:172]
	v_fma_f64 v[165:166], v[7:8], v[201:202], v[165:166]
	ds_read_b128 v[5:8], v192 offset:1792
	v_add_f64 v[137:138], v[137:138], v[167:168]
	v_add_f64 v[135:136], v[135:136], v[153:154]
	s_waitcnt vmcnt(47) lgkmcnt(1)
	v_mul_f64 v[167:168], v[3:4], v[195:196]
	v_mul_f64 v[153:154], v[1:2], v[195:196]
	s_waitcnt vmcnt(45)
	v_fma_f64 v[175:176], v[131:132], v[181:182], -v[175:176]
	v_add_f64 v[137:138], v[137:138], v[171:172]
	v_fma_f64 v[171:172], v[133:134], v[181:182], v[177:178]
	v_add_f64 v[135:136], v[135:136], v[165:166]
	ds_read_b128 v[131:134], v192 offset:1808
	s_waitcnt vmcnt(41) lgkmcnt(1)
	v_mul_f64 v[177:178], v[7:8], v[197:198]
	s_waitcnt vmcnt(40)
	v_fma_f64 v[167:168], v[1:2], v[205:206], -v[167:168]
	v_mul_f64 v[165:166], v[5:6], v[197:198]
	v_fma_f64 v[153:154], v[3:4], v[205:206], v[153:154]
	ds_read_b128 v[1:4], v192 offset:1824
	v_add_f64 v[137:138], v[137:138], v[175:176]
	v_add_f64 v[135:136], v[135:136], v[171:172]
	s_waitcnt vmcnt(39) lgkmcnt(1)
	v_mul_f64 v[175:176], v[133:134], v[203:204]
	v_mul_f64 v[171:172], v[131:132], v[203:204]
	s_waitcnt vmcnt(37)
	v_fma_f64 v[177:178], v[5:6], v[145:146], -v[177:178]
	v_fma_f64 v[145:146], v[7:8], v[145:146], v[165:166]
	ds_read_b128 v[5:8], v192 offset:1840
	v_add_f64 v[137:138], v[137:138], v[167:168]
	v_add_f64 v[135:136], v[135:136], v[153:154]
	s_waitcnt vmcnt(33) lgkmcnt(1)
	v_mul_f64 v[153:154], v[1:2], v[151:152]
	v_mul_f64 v[151:152], v[3:4], v[151:152]
	s_waitcnt vmcnt(32)
	v_fma_f64 v[165:166], v[131:132], v[209:210], -v[175:176]
	;; [unrolled: 9-line block ×6, first 2 shown]
	v_add_f64 v[137:138], v[137:138], v[139:140]
	v_fma_f64 v[139:140], v[3:4], v[207:208], v[143:144]
	v_add_f64 v[135:136], v[135:136], v[149:150]
	ds_read_b128 v[1:4], v192 offset:1920
	s_waitcnt vmcnt(15) lgkmcnt(1)
	v_mul_f64 v[149:150], v[133:134], v[163:164]
	v_mul_f64 v[143:144], v[131:132], v[163:164]
	s_waitcnt vmcnt(13)
	v_fma_f64 v[141:142], v[5:6], v[159:160], -v[141:142]
	v_fma_f64 v[145:146], v[7:8], v[159:160], v[145:146]
	ds_read_b128 v[5:8], v192 offset:1936
	v_add_f64 v[137:138], v[137:138], v[151:152]
	v_add_f64 v[135:136], v[135:136], v[139:140]
	s_waitcnt vmcnt(9) lgkmcnt(1)
	v_mul_f64 v[139:140], v[1:2], v[147:148]
	v_mul_f64 v[147:148], v[3:4], v[147:148]
	s_waitcnt vmcnt(8)
	v_fma_f64 v[131:132], v[131:132], v[199:200], -v[149:150]
	v_fma_f64 v[133:134], v[133:134], v[199:200], v[143:144]
	v_add_f64 v[137:138], v[137:138], v[141:142]
	v_add_f64 v[135:136], v[135:136], v[145:146]
	s_waitcnt vmcnt(7) lgkmcnt(0)
	v_mul_f64 v[143:144], v[7:8], v[169:170]
	v_mul_f64 v[141:142], v[5:6], v[169:170]
	s_waitcnt vmcnt(5)
	v_fma_f64 v[1:2], v[1:2], v[157:158], -v[147:148]
	v_fma_f64 v[3:4], v[3:4], v[157:158], v[139:140]
	v_add_f64 v[131:132], v[137:138], v[131:132]
	v_add_f64 v[133:134], v[135:136], v[133:134]
	s_waitcnt vmcnt(4)
	v_fma_f64 v[5:6], v[5:6], v[187:188], -v[143:144]
	v_fma_f64 v[7:8], v[7:8], v[187:188], v[141:142]
	v_add_f64 v[1:2], v[131:132], v[1:2]
	v_add_f64 v[3:4], v[133:134], v[3:4]
	;; [unrolled: 1-line block ×4, first 2 shown]
	s_waitcnt vmcnt(2)
	v_add_f64 v[1:2], v[161:162], -v[1:2]
	s_waitcnt vmcnt(0)
	v_add_f64 v[3:4], v[173:174], -v[3:4]
	buffer_store_dword v2, off, s[0:3], 0 offset:260
	buffer_store_dword v1, off, s[0:3], 0 offset:256
	;; [unrolled: 1-line block ×4, first 2 shown]
	v_cmpx_lt_u32_e32 14, v0
	s_cbranch_execz .LBB124_363
; %bb.362:
	v_mov_b32_e32 v4, s61
	s_clause 0x3
	buffer_load_dword v1, v4, s[0:3], 0 offen
	buffer_load_dword v2, v4, s[0:3], 0 offen offset:4
	buffer_load_dword v3, v4, s[0:3], 0 offen offset:8
	;; [unrolled: 1-line block ×3, first 2 shown]
	buffer_store_dword v192, off, s[0:3], 0 offset:240
	buffer_store_dword v192, off, s[0:3], 0 offset:244
	;; [unrolled: 1-line block ×4, first 2 shown]
	s_waitcnt vmcnt(0)
	ds_write_b128 v191, v[1:4]
.LBB124_363:
	s_or_b32 exec_lo, exec_lo, s4
	s_waitcnt lgkmcnt(0)
	s_waitcnt_vscnt null, 0x0
	s_barrier
	buffer_gl0_inv
	s_clause 0x37
	buffer_load_dword v139, off, s[0:3], 0 offset:264
	buffer_load_dword v140, off, s[0:3], 0 offset:268
	;; [unrolled: 1-line block ×56, first 2 shown]
	ds_read_b128 v[5:8], v192 offset:1216
	s_clause 0x2
	buffer_load_dword v188, off, s[0:3], 0 offset:492
	buffer_load_dword v190, off, s[0:3], 0 offset:468
	;; [unrolled: 1-line block ×3, first 2 shown]
	ds_read_b128 v[1:4], v192 offset:1232
	s_clause 0x4
	buffer_load_dword v200, off, s[0:3], 0 offset:508
	buffer_load_dword v201, off, s[0:3], 0 offset:520
	;; [unrolled: 1-line block ×5, first 2 shown]
	ds_read_b128 v[193:196], v192 offset:1248
	s_mov_b32 s4, exec_lo
	s_waitcnt vmcnt(62) lgkmcnt(2)
	v_mul_f64 v[197:198], v[7:8], v[139:140]
	v_mul_f64 v[139:140], v[5:6], v[139:140]
	s_waitcnt vmcnt(60) lgkmcnt(1)
	v_mul_f64 v[204:205], v[3:4], v[135:136]
	v_mul_f64 v[135:136], v[1:2], v[135:136]
	;; [unrolled: 3-line block ×3, first 2 shown]
	v_fma_f64 v[197:198], v[5:6], v[137:138], -v[197:198]
	v_fma_f64 v[137:138], v[7:8], v[137:138], v[139:140]
	s_clause 0x2
	buffer_load_dword v202, off, s[0:3], 0 offset:524
	buffer_load_dword v140, off, s[0:3], 0 offset:500
	;; [unrolled: 1-line block ×3, first 2 shown]
	s_waitcnt vmcnt(57)
	v_fma_f64 v[208:209], v[1:2], v[131:132], -v[204:205]
	ds_read_b128 v[5:8], v192 offset:1264
	v_fma_f64 v[131:132], v[3:4], v[131:132], v[135:136]
	s_waitcnt vmcnt(51)
	v_fma_f64 v[193:194], v[193:194], v[155:156], -v[133:134]
	v_fma_f64 v[155:156], v[195:196], v[155:156], v[206:207]
	v_add_f64 v[197:198], v[197:198], 0
	v_add_f64 v[135:136], v[137:138], 0
	s_clause 0x4
	buffer_load_dword v138, off, s[0:3], 0 offset:540
	buffer_load_dword v205, off, s[0:3], 0 offset:552
	;; [unrolled: 1-line block ×5, first 2 shown]
	s_waitcnt lgkmcnt(0)
	v_mul_f64 v[211:212], v[5:6], v[143:144]
	v_mul_f64 v[143:144], v[7:8], v[143:144]
	ds_read_b128 v[1:4], v192 offset:1280
	s_clause 0x2
	buffer_load_dword v206, off, s[0:3], 0 offset:556
	buffer_load_dword v196, off, s[0:3], 0 offset:532
	;; [unrolled: 1-line block ×3, first 2 shown]
	v_add_f64 v[197:198], v[197:198], v[208:209]
	v_add_f64 v[135:136], v[135:136], v[131:132]
	ds_read_b128 v[131:134], v192 offset:1296
	s_waitcnt vmcnt(58) lgkmcnt(1)
	v_mul_f64 v[207:208], v[1:2], v[147:148]
	v_mul_f64 v[147:148], v[3:4], v[147:148]
	s_waitcnt vmcnt(56)
	v_fma_f64 v[143:144], v[5:6], v[149:150], -v[143:144]
	v_fma_f64 v[149:150], v[7:8], v[149:150], v[211:212]
	s_waitcnt vmcnt(52) lgkmcnt(0)
	v_mul_f64 v[213:214], v[131:132], v[151:152]
	v_add_f64 v[193:194], v[197:198], v[193:194]
	v_add_f64 v[135:136], v[135:136], v[155:156]
	s_clause 0x4
	buffer_load_dword v156, off, s[0:3], 0 offset:572
	buffer_load_dword v197, off, s[0:3], 0 offset:584
	;; [unrolled: 1-line block ×5, first 2 shown]
	v_mul_f64 v[151:152], v[133:134], v[151:152]
	s_waitcnt vmcnt(56)
	v_fma_f64 v[147:148], v[1:2], v[141:142], -v[147:148]
	ds_read_b128 v[5:8], v192 offset:1312
	v_fma_f64 v[141:142], v[3:4], v[141:142], v[207:208]
	v_add_f64 v[143:144], v[193:194], v[143:144]
	v_add_f64 v[135:136], v[135:136], v[149:150]
	s_clause 0x2
	buffer_load_dword v198, off, s[0:3], 0 offset:588
	buffer_load_dword v150, off, s[0:3], 0 offset:564
	;; [unrolled: 1-line block ×3, first 2 shown]
	s_waitcnt vmcnt(58) lgkmcnt(0)
	v_mul_f64 v[193:194], v[5:6], v[157:158]
	v_mul_f64 v[157:158], v[7:8], v[157:158]
	s_waitcnt vmcnt(56)
	v_fma_f64 v[151:152], v[131:132], v[159:160], -v[151:152]
	ds_read_b128 v[1:4], v192 offset:1328
	v_add_f64 v[143:144], v[143:144], v[147:148]
	v_fma_f64 v[147:148], v[133:134], v[159:160], v[213:214]
	v_add_f64 v[135:136], v[135:136], v[141:142]
	s_clause 0x4
	buffer_load_dword v142, off, s[0:3], 0 offset:604
	buffer_load_dword v159, off, s[0:3], 0 offset:616
	;; [unrolled: 1-line block ×5, first 2 shown]
	s_waitcnt vmcnt(57) lgkmcnt(0)
	v_mul_f64 v[208:209], v[1:2], v[161:162]
	v_mul_f64 v[161:162], v[3:4], v[161:162]
	s_waitcnt vmcnt(56)
	v_fma_f64 v[157:158], v[5:6], v[145:146], -v[157:158]
	ds_read_b128 v[131:134], v192 offset:1344
	v_fma_f64 v[145:146], v[7:8], v[145:146], v[193:194]
	v_add_f64 v[143:144], v[143:144], v[151:152]
	v_add_f64 v[135:136], v[135:136], v[147:148]
	s_clause 0x2
	buffer_load_dword v160, off, s[0:3], 0 offset:620
	buffer_load_dword v148, off, s[0:3], 0 offset:596
	;; [unrolled: 1-line block ×3, first 2 shown]
	ds_read_b128 v[5:8], v192 offset:1360
	s_waitcnt vmcnt(58) lgkmcnt(1)
	v_mul_f64 v[151:152], v[131:132], v[165:166]
	v_mul_f64 v[165:166], v[133:134], v[165:166]
	s_waitcnt vmcnt(56)
	v_fma_f64 v[161:162], v[1:2], v[167:168], -v[161:162]
	v_add_f64 v[143:144], v[143:144], v[157:158]
	v_fma_f64 v[157:158], v[3:4], v[167:168], v[208:209]
	v_add_f64 v[135:136], v[135:136], v[145:146]
	s_clause 0x4
	buffer_load_dword v146, off, s[0:3], 0 offset:636
	buffer_load_dword v167, off, s[0:3], 0 offset:648
	;; [unrolled: 1-line block ×5, first 2 shown]
	s_waitcnt vmcnt(57) lgkmcnt(0)
	v_mul_f64 v[214:215], v[5:6], v[169:170]
	v_mul_f64 v[169:170], v[7:8], v[169:170]
	s_waitcnt vmcnt(56)
	v_fma_f64 v[165:166], v[131:132], v[153:154], -v[165:166]
	ds_read_b128 v[1:4], v192 offset:1376
	v_fma_f64 v[151:152], v[133:134], v[153:154], v[151:152]
	s_clause 0x2
	buffer_load_dword v168, off, s[0:3], 0 offset:652
	buffer_load_dword v154, off, s[0:3], 0 offset:628
	;; [unrolled: 1-line block ×3, first 2 shown]
	ds_read_b128 v[131:134], v192 offset:1392
	v_add_f64 v[143:144], v[143:144], v[161:162]
	v_add_f64 v[135:136], v[135:136], v[157:158]
	s_waitcnt vmcnt(58) lgkmcnt(1)
	v_mul_f64 v[161:162], v[3:4], v[173:174]
	s_waitcnt vmcnt(56)
	v_fma_f64 v[169:170], v[5:6], v[175:176], -v[169:170]
	v_mul_f64 v[157:158], v[1:2], v[173:174]
	v_add_f64 v[143:144], v[143:144], v[165:166]
	v_fma_f64 v[165:166], v[7:8], v[175:176], v[214:215]
	v_add_f64 v[135:136], v[135:136], v[151:152]
	s_clause 0x4
	buffer_load_dword v152, off, s[0:3], 0 offset:668
	buffer_load_dword v173, off, s[0:3], 0 offset:680
	;; [unrolled: 1-line block ×5, first 2 shown]
	s_waitcnt vmcnt(57) lgkmcnt(0)
	v_mul_f64 v[214:215], v[131:132], v[177:178]
	v_mul_f64 v[176:177], v[133:134], v[177:178]
	s_waitcnt vmcnt(56)
	v_fma_f64 v[161:162], v[1:2], v[163:164], -v[161:162]
	ds_read_b128 v[5:8], v192 offset:1408
	v_fma_f64 v[157:158], v[3:4], v[163:164], v[157:158]
	s_clause 0x2
	buffer_load_dword v174, off, s[0:3], 0 offset:684
	buffer_load_dword v164, off, s[0:3], 0 offset:660
	;; [unrolled: 1-line block ×3, first 2 shown]
	ds_read_b128 v[1:4], v192 offset:1424
	v_add_f64 v[143:144], v[143:144], v[169:170]
	v_add_f64 v[135:136], v[135:136], v[165:166]
	s_waitcnt vmcnt(58) lgkmcnt(1)
	v_mul_f64 v[169:170], v[7:8], v[181:182]
	s_waitcnt vmcnt(56)
	v_fma_f64 v[177:178], v[131:132], v[183:184], -v[176:177]
	v_mul_f64 v[165:166], v[5:6], v[181:182]
	v_add_f64 v[143:144], v[143:144], v[161:162]
	v_fma_f64 v[161:162], v[133:134], v[183:184], v[214:215]
	v_add_f64 v[135:136], v[135:136], v[157:158]
	s_clause 0x4
	buffer_load_dword v158, off, s[0:3], 0 offset:700
	buffer_load_dword v181, off, s[0:3], 0 offset:712
	;; [unrolled: 1-line block ×5, first 2 shown]
	s_waitcnt vmcnt(57) lgkmcnt(0)
	v_mul_f64 v[214:215], v[1:2], v[185:186]
	v_mul_f64 v[184:185], v[3:4], v[185:186]
	s_waitcnt vmcnt(56)
	v_fma_f64 v[169:170], v[5:6], v[171:172], -v[169:170]
	ds_read_b128 v[131:134], v192 offset:1440
	v_fma_f64 v[165:166], v[7:8], v[171:172], v[165:166]
	v_add_f64 v[143:144], v[143:144], v[177:178]
	v_add_f64 v[135:136], v[135:136], v[161:162]
	s_clause 0x2
	buffer_load_dword v182, off, s[0:3], 0 offset:716
	buffer_load_dword v162, off, s[0:3], 0 offset:692
	;; [unrolled: 1-line block ×3, first 2 shown]
	ds_read_b128 v[5:8], v192 offset:1456
	s_waitcnt vmcnt(58) lgkmcnt(1)
	v_mul_f64 v[177:178], v[133:134], v[187:188]
	s_waitcnt vmcnt(56)
	v_fma_f64 v[185:186], v[1:2], v[189:190], -v[184:185]
	v_mul_f64 v[171:172], v[131:132], v[187:188]
	v_add_f64 v[143:144], v[143:144], v[169:170]
	v_fma_f64 v[169:170], v[3:4], v[189:190], v[214:215]
	v_add_f64 v[135:136], v[135:136], v[165:166]
	s_clause 0x4
	buffer_load_dword v166, off, s[0:3], 0 offset:732
	buffer_load_dword v187, off, s[0:3], 0 offset:744
	;; [unrolled: 1-line block ×5, first 2 shown]
	s_waitcnt vmcnt(57) lgkmcnt(0)
	v_mul_f64 v[214:215], v[5:6], v[199:200]
	v_mul_f64 v[199:200], v[7:8], v[199:200]
	s_waitcnt vmcnt(56)
	v_fma_f64 v[177:178], v[131:132], v[179:180], -v[177:178]
	ds_read_b128 v[1:4], v192 offset:1472
	v_fma_f64 v[171:172], v[133:134], v[179:180], v[171:172]
	v_add_f64 v[143:144], v[143:144], v[185:186]
	v_add_f64 v[135:136], v[135:136], v[169:170]
	s_clause 0x2
	buffer_load_dword v188, off, s[0:3], 0 offset:748
	buffer_load_dword v170, off, s[0:3], 0 offset:724
	buffer_load_dword v169, off, s[0:3], 0 offset:720
	ds_read_b128 v[131:134], v192 offset:1488
	s_waitcnt vmcnt(58) lgkmcnt(1)
	v_mul_f64 v[185:186], v[3:4], v[201:202]
	v_mul_f64 v[179:180], v[1:2], v[201:202]
	s_waitcnt vmcnt(56)
	v_fma_f64 v[199:200], v[5:6], v[139:140], -v[199:200]
	v_fma_f64 v[139:140], v[7:8], v[139:140], v[214:215]
	v_add_f64 v[143:144], v[143:144], v[177:178]
	v_add_f64 v[135:136], v[135:136], v[171:172]
	s_clause 0x4
	buffer_load_dword v172, off, s[0:3], 0 offset:764
	buffer_load_dword v177, off, s[0:3], 0 offset:776
	;; [unrolled: 1-line block ×5, first 2 shown]
	ds_read_b128 v[5:8], v192 offset:1504
	s_waitcnt vmcnt(57) lgkmcnt(1)
	v_mul_f64 v[214:215], v[131:132], v[137:138]
	v_mul_f64 v[137:138], v[133:134], v[137:138]
	s_waitcnt vmcnt(56)
	v_fma_f64 v[185:186], v[1:2], v[203:204], -v[185:186]
	v_fma_f64 v[179:180], v[3:4], v[203:204], v[179:180]
	v_add_f64 v[143:144], v[143:144], v[199:200]
	v_add_f64 v[135:136], v[135:136], v[139:140]
	s_clause 0x2
	buffer_load_dword v178, off, s[0:3], 0 offset:780
	buffer_load_dword v140, off, s[0:3], 0 offset:756
	;; [unrolled: 1-line block ×3, first 2 shown]
	s_waitcnt vmcnt(58) lgkmcnt(0)
	v_mul_f64 v[203:204], v[7:8], v[205:206]
	ds_read_b128 v[1:4], v192 offset:1520
	v_mul_f64 v[199:200], v[5:6], v[205:206]
	s_waitcnt vmcnt(56)
	v_fma_f64 v[137:138], v[131:132], v[195:196], -v[137:138]
	v_add_f64 v[143:144], v[143:144], v[185:186]
	v_fma_f64 v[185:186], v[133:134], v[195:196], v[214:215]
	v_add_f64 v[135:136], v[135:136], v[179:180]
	s_clause 0x4
	buffer_load_dword v180, off, s[0:3], 0 offset:796
	buffer_load_dword v195, off, s[0:3], 0 offset:808
	;; [unrolled: 1-line block ×5, first 2 shown]
	ds_read_b128 v[131:134], v192 offset:1536
	s_waitcnt vmcnt(57) lgkmcnt(1)
	v_mul_f64 v[214:215], v[1:2], v[155:156]
	v_mul_f64 v[155:156], v[3:4], v[155:156]
	s_waitcnt vmcnt(56)
	v_fma_f64 v[203:204], v[5:6], v[210:211], -v[203:204]
	v_add_f64 v[137:138], v[143:144], v[137:138]
	v_fma_f64 v[143:144], v[7:8], v[210:211], v[199:200]
	v_add_f64 v[135:136], v[135:136], v[185:186]
	s_clause 0x2
	buffer_load_dword v196, off, s[0:3], 0 offset:812
	buffer_load_dword v186, off, s[0:3], 0 offset:788
	;; [unrolled: 1-line block ×3, first 2 shown]
	ds_read_b128 v[5:8], v192 offset:1552
	s_waitcnt vmcnt(58) lgkmcnt(1)
	v_mul_f64 v[199:200], v[131:132], v[197:198]
	v_mul_f64 v[197:198], v[133:134], v[197:198]
	s_waitcnt vmcnt(56)
	v_fma_f64 v[155:156], v[1:2], v[149:150], -v[155:156]
	v_fma_f64 v[149:150], v[3:4], v[149:150], v[214:215]
	v_add_f64 v[137:138], v[137:138], v[203:204]
	v_add_f64 v[135:136], v[135:136], v[143:144]
	s_clause 0x4
	buffer_load_dword v144, off, s[0:3], 0 offset:828
	buffer_load_dword v203, off, s[0:3], 0 offset:840
	;; [unrolled: 1-line block ×5, first 2 shown]
	ds_read_b128 v[1:4], v192 offset:1568
	s_waitcnt vmcnt(57) lgkmcnt(1)
	v_mul_f64 v[210:211], v[5:6], v[141:142]
	v_mul_f64 v[141:142], v[7:8], v[141:142]
	s_waitcnt vmcnt(56)
	v_fma_f64 v[197:198], v[131:132], v[212:213], -v[197:198]
	v_add_f64 v[137:138], v[137:138], v[155:156]
	v_fma_f64 v[155:156], v[133:134], v[212:213], v[199:200]
	v_add_f64 v[135:136], v[135:136], v[149:150]
	s_clause 0x2
	buffer_load_dword v204, off, s[0:3], 0 offset:844
	buffer_load_dword v150, off, s[0:3], 0 offset:820
	;; [unrolled: 1-line block ×3, first 2 shown]
	ds_read_b128 v[131:134], v192 offset:1584
	s_waitcnt vmcnt(58) lgkmcnt(1)
	v_mul_f64 v[199:200], v[1:2], v[159:160]
	v_mul_f64 v[159:160], v[3:4], v[159:160]
	s_waitcnt vmcnt(56)
	v_fma_f64 v[141:142], v[5:6], v[147:148], -v[141:142]
	v_fma_f64 v[147:148], v[7:8], v[147:148], v[210:211]
	v_add_f64 v[137:138], v[137:138], v[197:198]
	v_add_f64 v[135:136], v[135:136], v[155:156]
	s_clause 0x4
	buffer_load_dword v156, off, s[0:3], 0 offset:860
	buffer_load_dword v197, off, s[0:3], 0 offset:872
	;; [unrolled: 1-line block ×5, first 2 shown]
	ds_read_b128 v[5:8], v192 offset:1600
	s_waitcnt vmcnt(57) lgkmcnt(1)
	v_mul_f64 v[212:213], v[131:132], v[145:146]
	v_mul_f64 v[145:146], v[133:134], v[145:146]
	s_waitcnt vmcnt(56)
	v_fma_f64 v[159:160], v[1:2], v[207:208], -v[159:160]
	v_add_f64 v[137:138], v[137:138], v[141:142]
	v_fma_f64 v[141:142], v[3:4], v[207:208], v[199:200]
	v_add_f64 v[135:136], v[135:136], v[147:148]
	s_clause 0x2
	buffer_load_dword v198, off, s[0:3], 0 offset:876
	buffer_load_dword v148, off, s[0:3], 0 offset:852
	;; [unrolled: 1-line block ×3, first 2 shown]
	s_waitcnt vmcnt(58) lgkmcnt(0)
	v_mul_f64 v[199:200], v[5:6], v[167:168]
	v_mul_f64 v[167:168], v[7:8], v[167:168]
	ds_read_b128 v[1:4], v192 offset:1616
	s_waitcnt vmcnt(56)
	v_fma_f64 v[145:146], v[131:132], v[153:154], -v[145:146]
	v_fma_f64 v[153:154], v[133:134], v[153:154], v[212:213]
	v_add_f64 v[137:138], v[137:138], v[159:160]
	v_add_f64 v[135:136], v[135:136], v[141:142]
	s_clause 0x4
	buffer_load_dword v142, off, s[0:3], 0 offset:892
	buffer_load_dword v159, off, s[0:3], 0 offset:904
	;; [unrolled: 1-line block ×5, first 2 shown]
	ds_read_b128 v[131:134], v192 offset:1632
	s_waitcnt vmcnt(57) lgkmcnt(1)
	v_mul_f64 v[213:214], v[1:2], v[151:152]
	v_mul_f64 v[151:152], v[3:4], v[151:152]
	s_waitcnt vmcnt(56)
	v_fma_f64 v[167:168], v[5:6], v[193:194], -v[167:168]
	v_add_f64 v[137:138], v[137:138], v[145:146]
	v_fma_f64 v[145:146], v[7:8], v[193:194], v[199:200]
	v_add_f64 v[135:136], v[135:136], v[153:154]
	s_clause 0x2
	buffer_load_dword v160, off, s[0:3], 0 offset:908
	buffer_load_dword v154, off, s[0:3], 0 offset:884
	;; [unrolled: 1-line block ×3, first 2 shown]
	s_waitcnt vmcnt(58) lgkmcnt(0)
	v_mul_f64 v[193:194], v[131:132], v[173:174]
	v_mul_f64 v[173:174], v[133:134], v[173:174]
	ds_read_b128 v[5:8], v192 offset:1648
	s_waitcnt vmcnt(56)
	v_fma_f64 v[151:152], v[1:2], v[163:164], -v[151:152]
	v_fma_f64 v[163:164], v[3:4], v[163:164], v[213:214]
	v_add_f64 v[137:138], v[137:138], v[167:168]
	v_add_f64 v[135:136], v[135:136], v[145:146]
	s_clause 0x4
	buffer_load_dword v146, off, s[0:3], 0 offset:924
	buffer_load_dword v167, off, s[0:3], 0 offset:936
	;; [unrolled: 1-line block ×5, first 2 shown]
	ds_read_b128 v[1:4], v192 offset:1664
	s_waitcnt vmcnt(57) lgkmcnt(1)
	v_mul_f64 v[213:214], v[5:6], v[157:158]
	v_mul_f64 v[157:158], v[7:8], v[157:158]
	s_waitcnt vmcnt(56)
	v_fma_f64 v[173:174], v[131:132], v[175:176], -v[173:174]
	v_add_f64 v[137:138], v[137:138], v[151:152]
	v_fma_f64 v[151:152], v[133:134], v[175:176], v[193:194]
	v_add_f64 v[135:136], v[135:136], v[163:164]
	s_clause 0x2
	buffer_load_dword v168, off, s[0:3], 0 offset:940
	buffer_load_dword v164, off, s[0:3], 0 offset:916
	;; [unrolled: 1-line block ×3, first 2 shown]
	ds_read_b128 v[131:134], v192 offset:1680
	s_waitcnt vmcnt(58) lgkmcnt(1)
	v_mul_f64 v[175:176], v[1:2], v[181:182]
	v_mul_f64 v[181:182], v[3:4], v[181:182]
	s_waitcnt vmcnt(56)
	v_fma_f64 v[157:158], v[5:6], v[161:162], -v[157:158]
	v_fma_f64 v[161:162], v[7:8], v[161:162], v[213:214]
	v_add_f64 v[137:138], v[137:138], v[173:174]
	v_add_f64 v[135:136], v[135:136], v[151:152]
	s_clause 0x4
	buffer_load_dword v152, off, s[0:3], 0 offset:956
	buffer_load_dword v173, off, s[0:3], 0 offset:968
	buffer_load_dword v193, off, s[0:3], 0 offset:960
	buffer_load_dword v151, off, s[0:3], 0 offset:952
	buffer_load_dword v200, off, s[0:3], 0 offset:932
	ds_read_b128 v[5:8], v192 offset:1696
	s_waitcnt vmcnt(57) lgkmcnt(1)
	v_mul_f64 v[213:214], v[131:132], v[165:166]
	v_mul_f64 v[165:166], v[133:134], v[165:166]
	s_waitcnt vmcnt(56)
	v_fma_f64 v[181:182], v[1:2], v[183:184], -v[181:182]
	v_add_f64 v[137:138], v[137:138], v[157:158]
	v_fma_f64 v[157:158], v[3:4], v[183:184], v[175:176]
	v_add_f64 v[135:136], v[135:136], v[161:162]
	s_clause 0x2
	buffer_load_dword v174, off, s[0:3], 0 offset:972
	buffer_load_dword v162, off, s[0:3], 0 offset:948
	;; [unrolled: 1-line block ×3, first 2 shown]
	ds_read_b128 v[1:4], v192 offset:1712
	s_waitcnt vmcnt(58) lgkmcnt(1)
	v_mul_f64 v[183:184], v[7:8], v[187:188]
	v_mul_f64 v[175:176], v[5:6], v[187:188]
	s_waitcnt vmcnt(56)
	v_fma_f64 v[165:166], v[131:132], v[169:170], -v[165:166]
	v_fma_f64 v[169:170], v[133:134], v[169:170], v[213:214]
	v_add_f64 v[137:138], v[137:138], v[181:182]
	v_add_f64 v[135:136], v[135:136], v[157:158]
	s_clause 0x2
	buffer_load_dword v158, off, s[0:3], 0 offset:988
	buffer_load_dword v157, off, s[0:3], 0 offset:984
	;; [unrolled: 1-line block ×3, first 2 shown]
	ds_read_b128 v[131:134], v192 offset:1728
	s_waitcnt vmcnt(55) lgkmcnt(1)
	v_mul_f64 v[181:182], v[1:2], v[171:172]
	v_mul_f64 v[171:172], v[3:4], v[171:172]
	s_waitcnt vmcnt(54)
	v_fma_f64 v[183:184], v[5:6], v[189:190], -v[183:184]
	v_add_f64 v[137:138], v[137:138], v[165:166]
	v_fma_f64 v[165:166], v[7:8], v[189:190], v[175:176]
	v_add_f64 v[135:136], v[135:136], v[169:170]
	s_clause 0x1
	buffer_load_dword v170, off, s[0:3], 0 offset:980
	buffer_load_dword v169, off, s[0:3], 0 offset:976
	ds_read_b128 v[5:8], v192 offset:1744
	s_waitcnt vmcnt(55) lgkmcnt(1)
	v_mul_f64 v[175:176], v[131:132], v[177:178]
	v_mul_f64 v[177:178], v[133:134], v[177:178]
	s_waitcnt vmcnt(53)
	v_fma_f64 v[171:172], v[1:2], v[139:140], -v[171:172]
	v_fma_f64 v[139:140], v[3:4], v[139:140], v[181:182]
	ds_read_b128 v[1:4], v192 offset:1760
	v_add_f64 v[137:138], v[137:138], v[183:184]
	v_add_f64 v[135:136], v[135:136], v[165:166]
	s_waitcnt vmcnt(49) lgkmcnt(1)
	v_mul_f64 v[165:166], v[5:6], v[179:180]
	v_mul_f64 v[179:180], v[7:8], v[179:180]
	s_waitcnt vmcnt(48)
	v_fma_f64 v[177:178], v[131:132], v[201:202], -v[177:178]
	v_add_f64 v[137:138], v[137:138], v[171:172]
	v_fma_f64 v[171:172], v[133:134], v[201:202], v[175:176]
	v_add_f64 v[135:136], v[135:136], v[139:140]
	s_clause 0x3
	buffer_load_dword v139, off, s[0:3], 0 offset:240
	buffer_load_dword v140, off, s[0:3], 0 offset:244
	;; [unrolled: 1-line block ×4, first 2 shown]
	ds_read_b128 v[131:134], v192 offset:1776
	s_waitcnt vmcnt(51) lgkmcnt(1)
	v_mul_f64 v[183:184], v[3:4], v[195:196]
	v_mul_f64 v[181:182], v[1:2], v[195:196]
	s_waitcnt vmcnt(49)
	v_fma_f64 v[179:180], v[5:6], v[185:186], -v[179:180]
	v_fma_f64 v[165:166], v[7:8], v[185:186], v[165:166]
	ds_read_b128 v[5:8], v192 offset:1792
	v_add_f64 v[137:138], v[137:138], v[177:178]
	v_add_f64 v[135:136], v[135:136], v[171:172]
	s_waitcnt vmcnt(45) lgkmcnt(1)
	v_mul_f64 v[171:172], v[131:132], v[143:144]
	v_mul_f64 v[143:144], v[133:134], v[143:144]
	s_waitcnt vmcnt(44)
	v_fma_f64 v[177:178], v[1:2], v[205:206], -v[183:184]
	v_add_f64 v[137:138], v[137:138], v[179:180]
	v_fma_f64 v[179:180], v[3:4], v[205:206], v[181:182]
	v_add_f64 v[135:136], v[135:136], v[165:166]
	ds_read_b128 v[1:4], v192 offset:1808
	s_waitcnt vmcnt(43) lgkmcnt(1)
	v_mul_f64 v[181:182], v[7:8], v[203:204]
	v_mul_f64 v[165:166], v[5:6], v[203:204]
	s_waitcnt vmcnt(41)
	v_fma_f64 v[143:144], v[131:132], v[149:150], -v[143:144]
	v_fma_f64 v[149:150], v[133:134], v[149:150], v[171:172]
	ds_read_b128 v[131:134], v192 offset:1824
	v_add_f64 v[137:138], v[137:138], v[177:178]
	v_add_f64 v[135:136], v[135:136], v[179:180]
	s_waitcnt vmcnt(37) lgkmcnt(1)
	v_mul_f64 v[171:172], v[1:2], v[155:156]
	v_mul_f64 v[155:156], v[3:4], v[155:156]
	s_waitcnt vmcnt(36)
	v_fma_f64 v[177:178], v[5:6], v[209:210], -v[181:182]
	v_add_f64 v[137:138], v[137:138], v[143:144]
	v_fma_f64 v[143:144], v[7:8], v[209:210], v[165:166]
	v_add_f64 v[135:136], v[135:136], v[149:150]
	ds_read_b128 v[5:8], v192 offset:1840
	s_waitcnt vmcnt(35) lgkmcnt(1)
	v_mul_f64 v[165:166], v[133:134], v[197:198]
	v_mul_f64 v[149:150], v[131:132], v[197:198]
	s_waitcnt vmcnt(33)
	v_fma_f64 v[155:156], v[1:2], v[147:148], -v[155:156]
	v_fma_f64 v[147:148], v[3:4], v[147:148], v[171:172]
	ds_read_b128 v[1:4], v192 offset:1856
	v_add_f64 v[137:138], v[137:138], v[177:178]
	v_add_f64 v[135:136], v[135:136], v[143:144]
	s_waitcnt vmcnt(29) lgkmcnt(1)
	v_mul_f64 v[143:144], v[5:6], v[141:142]
	v_mul_f64 v[141:142], v[7:8], v[141:142]
	s_waitcnt vmcnt(28)
	v_fma_f64 v[165:166], v[131:132], v[211:212], -v[165:166]
	v_fma_f64 v[149:150], v[133:134], v[211:212], v[149:150]
	ds_read_b128 v[131:134], v192 offset:1872
	v_add_f64 v[137:138], v[137:138], v[155:156]
	v_add_f64 v[135:136], v[135:136], v[147:148]
	;; [unrolled: 9-line block ×3, first 2 shown]
	s_waitcnt vmcnt(21) lgkmcnt(1)
	v_mul_f64 v[149:150], v[131:132], v[145:146]
	v_mul_f64 v[145:146], v[133:134], v[145:146]
	s_waitcnt vmcnt(20)
	v_fma_f64 v[153:154], v[1:2], v[207:208], -v[155:156]
	v_add_f64 v[137:138], v[137:138], v[141:142]
	v_fma_f64 v[141:142], v[3:4], v[207:208], v[147:148]
	v_add_f64 v[135:136], v[135:136], v[143:144]
	ds_read_b128 v[1:4], v192 offset:1904
	s_waitcnt vmcnt(19) lgkmcnt(1)
	v_mul_f64 v[147:148], v[7:8], v[167:168]
	v_mul_f64 v[143:144], v[5:6], v[167:168]
	s_waitcnt vmcnt(17)
	v_fma_f64 v[145:146], v[131:132], v[163:164], -v[145:146]
	v_fma_f64 v[149:150], v[133:134], v[163:164], v[149:150]
	ds_read_b128 v[131:134], v192 offset:1920
	v_add_f64 v[137:138], v[137:138], v[153:154]
	v_add_f64 v[135:136], v[135:136], v[141:142]
	s_waitcnt vmcnt(13) lgkmcnt(1)
	v_mul_f64 v[141:142], v[1:2], v[151:152]
	v_mul_f64 v[151:152], v[3:4], v[151:152]
	s_waitcnt vmcnt(12)
	v_fma_f64 v[147:148], v[5:6], v[199:200], -v[147:148]
	v_fma_f64 v[143:144], v[7:8], v[199:200], v[143:144]
	ds_read_b128 v[5:8], v192 offset:1936
	v_add_f64 v[137:138], v[137:138], v[145:146]
	v_add_f64 v[135:136], v[135:136], v[149:150]
	s_waitcnt vmcnt(11) lgkmcnt(1)
	v_mul_f64 v[149:150], v[133:134], v[173:174]
	v_mul_f64 v[145:146], v[131:132], v[173:174]
	s_waitcnt vmcnt(9)
	v_fma_f64 v[1:2], v[1:2], v[161:162], -v[151:152]
	v_fma_f64 v[3:4], v[3:4], v[161:162], v[141:142]
	v_add_f64 v[137:138], v[137:138], v[147:148]
	v_add_f64 v[135:136], v[135:136], v[143:144]
	s_waitcnt vmcnt(7) lgkmcnt(0)
	v_mul_f64 v[143:144], v[7:8], v[157:158]
	s_waitcnt vmcnt(6)
	v_fma_f64 v[131:132], v[131:132], v[193:194], -v[149:150]
	v_mul_f64 v[141:142], v[5:6], v[157:158]
	v_fma_f64 v[133:134], v[133:134], v[193:194], v[145:146]
	v_add_f64 v[1:2], v[137:138], v[1:2]
	v_add_f64 v[3:4], v[135:136], v[3:4]
	s_waitcnt vmcnt(4)
	v_fma_f64 v[5:6], v[5:6], v[169:170], -v[143:144]
	v_fma_f64 v[7:8], v[7:8], v[169:170], v[141:142]
	v_add_f64 v[1:2], v[1:2], v[131:132]
	v_add_f64 v[3:4], v[3:4], v[133:134]
	;; [unrolled: 1-line block ×4, first 2 shown]
	s_waitcnt vmcnt(2)
	v_add_f64 v[1:2], v[139:140], -v[1:2]
	s_waitcnt vmcnt(0)
	v_add_f64 v[3:4], v[175:176], -v[3:4]
	buffer_store_dword v2, off, s[0:3], 0 offset:244
	buffer_store_dword v1, off, s[0:3], 0 offset:240
	;; [unrolled: 1-line block ×4, first 2 shown]
	v_cmpx_lt_u32_e32 13, v0
	s_cbranch_execz .LBB124_365
; %bb.364:
	v_mov_b32_e32 v4, s62
	v_mov_b32_e32 v5, 0
	s_clause 0x3
	buffer_load_dword v1, v4, s[0:3], 0 offen
	buffer_load_dword v2, v4, s[0:3], 0 offen offset:4
	buffer_load_dword v3, v4, s[0:3], 0 offen offset:8
	;; [unrolled: 1-line block ×3, first 2 shown]
	buffer_store_dword v5, off, s[0:3], 0 offset:224
	buffer_store_dword v5, off, s[0:3], 0 offset:228
	;; [unrolled: 1-line block ×4, first 2 shown]
	s_waitcnt vmcnt(0)
	ds_write_b128 v191, v[1:4]
.LBB124_365:
	s_or_b32 exec_lo, exec_lo, s4
	s_waitcnt lgkmcnt(0)
	s_waitcnt_vscnt null, 0x0
	s_barrier
	buffer_gl0_inv
	s_clause 0x37
	buffer_load_dword v139, off, s[0:3], 0 offset:248
	buffer_load_dword v140, off, s[0:3], 0 offset:252
	;; [unrolled: 1-line block ×56, first 2 shown]
	v_mov_b32_e32 v192, 0
	s_mov_b32 s4, exec_lo
	ds_read_b128 v[5:8], v192 offset:1200
	s_clause 0x2
	buffer_load_dword v188, off, s[0:3], 0 offset:476
	buffer_load_dword v190, off, s[0:3], 0 offset:452
	;; [unrolled: 1-line block ×3, first 2 shown]
	ds_read_b128 v[1:4], v192 offset:1216
	s_clause 0x4
	buffer_load_dword v200, off, s[0:3], 0 offset:492
	buffer_load_dword v201, off, s[0:3], 0 offset:504
	;; [unrolled: 1-line block ×5, first 2 shown]
	ds_read_b128 v[193:196], v192 offset:1232
	s_waitcnt vmcnt(62) lgkmcnt(2)
	v_mul_f64 v[197:198], v[7:8], v[139:140]
	v_mul_f64 v[139:140], v[5:6], v[139:140]
	s_waitcnt vmcnt(60) lgkmcnt(1)
	v_mul_f64 v[204:205], v[3:4], v[135:136]
	v_mul_f64 v[135:136], v[1:2], v[135:136]
	s_waitcnt vmcnt(56) lgkmcnt(0)
	v_mul_f64 v[206:207], v[193:194], v[133:134]
	v_mul_f64 v[133:134], v[195:196], v[133:134]
	v_fma_f64 v[197:198], v[5:6], v[137:138], -v[197:198]
	v_fma_f64 v[137:138], v[7:8], v[137:138], v[139:140]
	s_clause 0x2
	buffer_load_dword v202, off, s[0:3], 0 offset:508
	buffer_load_dword v140, off, s[0:3], 0 offset:484
	;; [unrolled: 1-line block ×3, first 2 shown]
	s_waitcnt vmcnt(57)
	v_fma_f64 v[208:209], v[1:2], v[131:132], -v[204:205]
	ds_read_b128 v[5:8], v192 offset:1248
	v_fma_f64 v[131:132], v[3:4], v[131:132], v[135:136]
	s_waitcnt vmcnt(51)
	v_fma_f64 v[193:194], v[193:194], v[155:156], -v[133:134]
	v_fma_f64 v[155:156], v[195:196], v[155:156], v[206:207]
	v_add_f64 v[197:198], v[197:198], 0
	v_add_f64 v[135:136], v[137:138], 0
	s_clause 0x4
	buffer_load_dword v138, off, s[0:3], 0 offset:524
	buffer_load_dword v205, off, s[0:3], 0 offset:536
	;; [unrolled: 1-line block ×5, first 2 shown]
	s_waitcnt lgkmcnt(0)
	v_mul_f64 v[211:212], v[5:6], v[143:144]
	v_mul_f64 v[143:144], v[7:8], v[143:144]
	ds_read_b128 v[1:4], v192 offset:1264
	s_clause 0x2
	buffer_load_dword v206, off, s[0:3], 0 offset:540
	buffer_load_dword v196, off, s[0:3], 0 offset:516
	;; [unrolled: 1-line block ×3, first 2 shown]
	v_add_f64 v[197:198], v[197:198], v[208:209]
	v_add_f64 v[135:136], v[135:136], v[131:132]
	ds_read_b128 v[131:134], v192 offset:1280
	s_waitcnt vmcnt(58) lgkmcnt(1)
	v_mul_f64 v[207:208], v[1:2], v[147:148]
	v_mul_f64 v[147:148], v[3:4], v[147:148]
	s_waitcnt vmcnt(56)
	v_fma_f64 v[143:144], v[5:6], v[149:150], -v[143:144]
	v_fma_f64 v[149:150], v[7:8], v[149:150], v[211:212]
	s_waitcnt vmcnt(52) lgkmcnt(0)
	v_mul_f64 v[213:214], v[131:132], v[151:152]
	v_add_f64 v[193:194], v[197:198], v[193:194]
	v_add_f64 v[135:136], v[135:136], v[155:156]
	s_clause 0x4
	buffer_load_dword v156, off, s[0:3], 0 offset:556
	buffer_load_dword v197, off, s[0:3], 0 offset:568
	;; [unrolled: 1-line block ×5, first 2 shown]
	v_mul_f64 v[151:152], v[133:134], v[151:152]
	s_waitcnt vmcnt(56)
	v_fma_f64 v[147:148], v[1:2], v[141:142], -v[147:148]
	ds_read_b128 v[5:8], v192 offset:1296
	v_fma_f64 v[141:142], v[3:4], v[141:142], v[207:208]
	v_add_f64 v[143:144], v[193:194], v[143:144]
	v_add_f64 v[135:136], v[135:136], v[149:150]
	s_clause 0x2
	buffer_load_dword v198, off, s[0:3], 0 offset:572
	buffer_load_dword v150, off, s[0:3], 0 offset:548
	buffer_load_dword v149, off, s[0:3], 0 offset:544
	s_waitcnt vmcnt(58) lgkmcnt(0)
	v_mul_f64 v[193:194], v[5:6], v[157:158]
	v_mul_f64 v[157:158], v[7:8], v[157:158]
	s_waitcnt vmcnt(56)
	v_fma_f64 v[151:152], v[131:132], v[159:160], -v[151:152]
	ds_read_b128 v[1:4], v192 offset:1312
	v_add_f64 v[143:144], v[143:144], v[147:148]
	v_fma_f64 v[147:148], v[133:134], v[159:160], v[213:214]
	v_add_f64 v[135:136], v[135:136], v[141:142]
	s_clause 0x4
	buffer_load_dword v142, off, s[0:3], 0 offset:588
	buffer_load_dword v159, off, s[0:3], 0 offset:600
	;; [unrolled: 1-line block ×5, first 2 shown]
	s_waitcnt vmcnt(57) lgkmcnt(0)
	v_mul_f64 v[208:209], v[1:2], v[161:162]
	v_mul_f64 v[161:162], v[3:4], v[161:162]
	s_waitcnt vmcnt(56)
	v_fma_f64 v[157:158], v[5:6], v[145:146], -v[157:158]
	ds_read_b128 v[131:134], v192 offset:1328
	v_fma_f64 v[145:146], v[7:8], v[145:146], v[193:194]
	v_add_f64 v[143:144], v[143:144], v[151:152]
	v_add_f64 v[135:136], v[135:136], v[147:148]
	s_clause 0x2
	buffer_load_dword v160, off, s[0:3], 0 offset:604
	buffer_load_dword v148, off, s[0:3], 0 offset:580
	;; [unrolled: 1-line block ×3, first 2 shown]
	ds_read_b128 v[5:8], v192 offset:1344
	s_waitcnt vmcnt(58) lgkmcnt(1)
	v_mul_f64 v[151:152], v[131:132], v[165:166]
	v_mul_f64 v[165:166], v[133:134], v[165:166]
	s_waitcnt vmcnt(56)
	v_fma_f64 v[161:162], v[1:2], v[167:168], -v[161:162]
	v_add_f64 v[143:144], v[143:144], v[157:158]
	v_fma_f64 v[157:158], v[3:4], v[167:168], v[208:209]
	v_add_f64 v[135:136], v[135:136], v[145:146]
	s_clause 0x4
	buffer_load_dword v146, off, s[0:3], 0 offset:620
	buffer_load_dword v167, off, s[0:3], 0 offset:632
	buffer_load_dword v193, off, s[0:3], 0 offset:624
	buffer_load_dword v145, off, s[0:3], 0 offset:616
	buffer_load_dword v208, off, s[0:3], 0 offset:596
	s_waitcnt vmcnt(57) lgkmcnt(0)
	v_mul_f64 v[214:215], v[5:6], v[169:170]
	v_mul_f64 v[169:170], v[7:8], v[169:170]
	s_waitcnt vmcnt(56)
	v_fma_f64 v[165:166], v[131:132], v[153:154], -v[165:166]
	ds_read_b128 v[1:4], v192 offset:1360
	v_fma_f64 v[151:152], v[133:134], v[153:154], v[151:152]
	s_clause 0x2
	buffer_load_dword v168, off, s[0:3], 0 offset:636
	buffer_load_dword v154, off, s[0:3], 0 offset:612
	;; [unrolled: 1-line block ×3, first 2 shown]
	ds_read_b128 v[131:134], v192 offset:1376
	v_add_f64 v[143:144], v[143:144], v[161:162]
	v_add_f64 v[135:136], v[135:136], v[157:158]
	s_waitcnt vmcnt(58) lgkmcnt(1)
	v_mul_f64 v[161:162], v[3:4], v[173:174]
	s_waitcnt vmcnt(56)
	v_fma_f64 v[169:170], v[5:6], v[175:176], -v[169:170]
	v_mul_f64 v[157:158], v[1:2], v[173:174]
	v_add_f64 v[143:144], v[143:144], v[165:166]
	v_fma_f64 v[165:166], v[7:8], v[175:176], v[214:215]
	v_add_f64 v[135:136], v[135:136], v[151:152]
	s_clause 0x4
	buffer_load_dword v152, off, s[0:3], 0 offset:652
	buffer_load_dword v173, off, s[0:3], 0 offset:664
	buffer_load_dword v175, off, s[0:3], 0 offset:656
	buffer_load_dword v151, off, s[0:3], 0 offset:648
	buffer_load_dword v194, off, s[0:3], 0 offset:628
	s_waitcnt vmcnt(57) lgkmcnt(0)
	v_mul_f64 v[214:215], v[131:132], v[177:178]
	v_mul_f64 v[176:177], v[133:134], v[177:178]
	s_waitcnt vmcnt(56)
	v_fma_f64 v[161:162], v[1:2], v[163:164], -v[161:162]
	ds_read_b128 v[5:8], v192 offset:1392
	v_fma_f64 v[157:158], v[3:4], v[163:164], v[157:158]
	s_clause 0x2
	buffer_load_dword v174, off, s[0:3], 0 offset:668
	buffer_load_dword v164, off, s[0:3], 0 offset:644
	;; [unrolled: 1-line block ×3, first 2 shown]
	ds_read_b128 v[1:4], v192 offset:1408
	v_add_f64 v[143:144], v[143:144], v[169:170]
	v_add_f64 v[135:136], v[135:136], v[165:166]
	s_waitcnt vmcnt(58) lgkmcnt(1)
	v_mul_f64 v[169:170], v[7:8], v[181:182]
	s_waitcnt vmcnt(56)
	v_fma_f64 v[177:178], v[131:132], v[183:184], -v[176:177]
	v_mul_f64 v[165:166], v[5:6], v[181:182]
	v_add_f64 v[143:144], v[143:144], v[161:162]
	v_fma_f64 v[161:162], v[133:134], v[183:184], v[214:215]
	v_add_f64 v[135:136], v[135:136], v[157:158]
	s_clause 0x4
	buffer_load_dword v158, off, s[0:3], 0 offset:684
	buffer_load_dword v181, off, s[0:3], 0 offset:696
	;; [unrolled: 1-line block ×5, first 2 shown]
	s_waitcnt vmcnt(57) lgkmcnt(0)
	v_mul_f64 v[214:215], v[1:2], v[185:186]
	v_mul_f64 v[184:185], v[3:4], v[185:186]
	s_waitcnt vmcnt(56)
	v_fma_f64 v[169:170], v[5:6], v[171:172], -v[169:170]
	ds_read_b128 v[131:134], v192 offset:1424
	v_fma_f64 v[165:166], v[7:8], v[171:172], v[165:166]
	v_add_f64 v[143:144], v[143:144], v[177:178]
	v_add_f64 v[135:136], v[135:136], v[161:162]
	s_clause 0x2
	buffer_load_dword v182, off, s[0:3], 0 offset:700
	buffer_load_dword v162, off, s[0:3], 0 offset:676
	;; [unrolled: 1-line block ×3, first 2 shown]
	ds_read_b128 v[5:8], v192 offset:1440
	s_waitcnt vmcnt(58) lgkmcnt(1)
	v_mul_f64 v[177:178], v[133:134], v[187:188]
	s_waitcnt vmcnt(56)
	v_fma_f64 v[185:186], v[1:2], v[189:190], -v[184:185]
	v_mul_f64 v[171:172], v[131:132], v[187:188]
	v_add_f64 v[143:144], v[143:144], v[169:170]
	v_fma_f64 v[169:170], v[3:4], v[189:190], v[214:215]
	v_add_f64 v[135:136], v[135:136], v[165:166]
	s_clause 0x4
	buffer_load_dword v166, off, s[0:3], 0 offset:716
	buffer_load_dword v187, off, s[0:3], 0 offset:728
	;; [unrolled: 1-line block ×5, first 2 shown]
	s_waitcnt vmcnt(57) lgkmcnt(0)
	v_mul_f64 v[214:215], v[5:6], v[199:200]
	v_mul_f64 v[199:200], v[7:8], v[199:200]
	s_waitcnt vmcnt(56)
	v_fma_f64 v[177:178], v[131:132], v[179:180], -v[177:178]
	ds_read_b128 v[1:4], v192 offset:1456
	v_fma_f64 v[171:172], v[133:134], v[179:180], v[171:172]
	v_add_f64 v[143:144], v[143:144], v[185:186]
	v_add_f64 v[135:136], v[135:136], v[169:170]
	s_clause 0x2
	buffer_load_dword v188, off, s[0:3], 0 offset:732
	buffer_load_dword v170, off, s[0:3], 0 offset:708
	;; [unrolled: 1-line block ×3, first 2 shown]
	ds_read_b128 v[131:134], v192 offset:1472
	s_waitcnt vmcnt(58) lgkmcnt(1)
	v_mul_f64 v[185:186], v[3:4], v[201:202]
	v_mul_f64 v[179:180], v[1:2], v[201:202]
	s_waitcnt vmcnt(56)
	v_fma_f64 v[199:200], v[5:6], v[139:140], -v[199:200]
	v_fma_f64 v[139:140], v[7:8], v[139:140], v[214:215]
	v_add_f64 v[143:144], v[143:144], v[177:178]
	v_add_f64 v[135:136], v[135:136], v[171:172]
	s_clause 0x4
	buffer_load_dword v172, off, s[0:3], 0 offset:748
	buffer_load_dword v177, off, s[0:3], 0 offset:760
	;; [unrolled: 1-line block ×5, first 2 shown]
	ds_read_b128 v[5:8], v192 offset:1488
	s_waitcnt vmcnt(57) lgkmcnt(1)
	v_mul_f64 v[214:215], v[131:132], v[137:138]
	v_mul_f64 v[137:138], v[133:134], v[137:138]
	s_waitcnt vmcnt(56)
	v_fma_f64 v[185:186], v[1:2], v[203:204], -v[185:186]
	v_fma_f64 v[179:180], v[3:4], v[203:204], v[179:180]
	v_add_f64 v[143:144], v[143:144], v[199:200]
	v_add_f64 v[135:136], v[135:136], v[139:140]
	s_clause 0x2
	buffer_load_dword v178, off, s[0:3], 0 offset:764
	buffer_load_dword v140, off, s[0:3], 0 offset:740
	;; [unrolled: 1-line block ×3, first 2 shown]
	s_waitcnt vmcnt(58) lgkmcnt(0)
	v_mul_f64 v[203:204], v[7:8], v[205:206]
	ds_read_b128 v[1:4], v192 offset:1504
	v_mul_f64 v[199:200], v[5:6], v[205:206]
	s_waitcnt vmcnt(56)
	v_fma_f64 v[137:138], v[131:132], v[195:196], -v[137:138]
	v_add_f64 v[143:144], v[143:144], v[185:186]
	v_fma_f64 v[185:186], v[133:134], v[195:196], v[214:215]
	v_add_f64 v[135:136], v[135:136], v[179:180]
	s_clause 0x4
	buffer_load_dword v180, off, s[0:3], 0 offset:780
	buffer_load_dword v195, off, s[0:3], 0 offset:792
	;; [unrolled: 1-line block ×5, first 2 shown]
	ds_read_b128 v[131:134], v192 offset:1520
	s_waitcnt vmcnt(57) lgkmcnt(1)
	v_mul_f64 v[214:215], v[1:2], v[155:156]
	v_mul_f64 v[155:156], v[3:4], v[155:156]
	s_waitcnt vmcnt(56)
	v_fma_f64 v[203:204], v[5:6], v[210:211], -v[203:204]
	v_add_f64 v[137:138], v[143:144], v[137:138]
	v_fma_f64 v[143:144], v[7:8], v[210:211], v[199:200]
	v_add_f64 v[135:136], v[135:136], v[185:186]
	s_clause 0x2
	buffer_load_dword v196, off, s[0:3], 0 offset:796
	buffer_load_dword v186, off, s[0:3], 0 offset:772
	;; [unrolled: 1-line block ×3, first 2 shown]
	ds_read_b128 v[5:8], v192 offset:1536
	s_waitcnt vmcnt(58) lgkmcnt(1)
	v_mul_f64 v[199:200], v[131:132], v[197:198]
	v_mul_f64 v[197:198], v[133:134], v[197:198]
	s_waitcnt vmcnt(56)
	v_fma_f64 v[155:156], v[1:2], v[149:150], -v[155:156]
	v_fma_f64 v[149:150], v[3:4], v[149:150], v[214:215]
	v_add_f64 v[137:138], v[137:138], v[203:204]
	v_add_f64 v[135:136], v[135:136], v[143:144]
	s_clause 0x4
	buffer_load_dword v144, off, s[0:3], 0 offset:812
	buffer_load_dword v203, off, s[0:3], 0 offset:824
	;; [unrolled: 1-line block ×5, first 2 shown]
	ds_read_b128 v[1:4], v192 offset:1552
	s_waitcnt vmcnt(57) lgkmcnt(1)
	v_mul_f64 v[210:211], v[5:6], v[141:142]
	v_mul_f64 v[141:142], v[7:8], v[141:142]
	s_waitcnt vmcnt(56)
	v_fma_f64 v[197:198], v[131:132], v[212:213], -v[197:198]
	v_add_f64 v[137:138], v[137:138], v[155:156]
	v_fma_f64 v[155:156], v[133:134], v[212:213], v[199:200]
	v_add_f64 v[135:136], v[135:136], v[149:150]
	s_clause 0x2
	buffer_load_dword v204, off, s[0:3], 0 offset:828
	buffer_load_dword v150, off, s[0:3], 0 offset:804
	;; [unrolled: 1-line block ×3, first 2 shown]
	ds_read_b128 v[131:134], v192 offset:1568
	s_waitcnt vmcnt(58) lgkmcnt(1)
	v_mul_f64 v[199:200], v[1:2], v[159:160]
	v_mul_f64 v[159:160], v[3:4], v[159:160]
	s_waitcnt vmcnt(56)
	v_fma_f64 v[141:142], v[5:6], v[147:148], -v[141:142]
	v_fma_f64 v[147:148], v[7:8], v[147:148], v[210:211]
	v_add_f64 v[137:138], v[137:138], v[197:198]
	v_add_f64 v[135:136], v[135:136], v[155:156]
	s_clause 0x4
	buffer_load_dword v156, off, s[0:3], 0 offset:844
	buffer_load_dword v197, off, s[0:3], 0 offset:856
	;; [unrolled: 1-line block ×5, first 2 shown]
	ds_read_b128 v[5:8], v192 offset:1584
	s_waitcnt vmcnt(57) lgkmcnt(1)
	v_mul_f64 v[212:213], v[131:132], v[145:146]
	v_mul_f64 v[145:146], v[133:134], v[145:146]
	s_waitcnt vmcnt(56)
	v_fma_f64 v[159:160], v[1:2], v[207:208], -v[159:160]
	v_add_f64 v[137:138], v[137:138], v[141:142]
	v_fma_f64 v[141:142], v[3:4], v[207:208], v[199:200]
	v_add_f64 v[135:136], v[135:136], v[147:148]
	s_clause 0x2
	buffer_load_dword v198, off, s[0:3], 0 offset:860
	buffer_load_dword v148, off, s[0:3], 0 offset:836
	;; [unrolled: 1-line block ×3, first 2 shown]
	s_waitcnt vmcnt(58) lgkmcnt(0)
	v_mul_f64 v[199:200], v[5:6], v[167:168]
	v_mul_f64 v[167:168], v[7:8], v[167:168]
	ds_read_b128 v[1:4], v192 offset:1600
	s_waitcnt vmcnt(56)
	v_fma_f64 v[145:146], v[131:132], v[153:154], -v[145:146]
	v_fma_f64 v[153:154], v[133:134], v[153:154], v[212:213]
	v_add_f64 v[137:138], v[137:138], v[159:160]
	v_add_f64 v[135:136], v[135:136], v[141:142]
	s_clause 0x4
	buffer_load_dword v142, off, s[0:3], 0 offset:876
	buffer_load_dword v159, off, s[0:3], 0 offset:888
	;; [unrolled: 1-line block ×5, first 2 shown]
	ds_read_b128 v[131:134], v192 offset:1616
	s_waitcnt vmcnt(57) lgkmcnt(1)
	v_mul_f64 v[213:214], v[1:2], v[151:152]
	v_mul_f64 v[151:152], v[3:4], v[151:152]
	s_waitcnt vmcnt(56)
	v_fma_f64 v[167:168], v[5:6], v[193:194], -v[167:168]
	v_add_f64 v[137:138], v[137:138], v[145:146]
	v_fma_f64 v[145:146], v[7:8], v[193:194], v[199:200]
	v_add_f64 v[135:136], v[135:136], v[153:154]
	s_clause 0x2
	buffer_load_dword v160, off, s[0:3], 0 offset:892
	buffer_load_dword v154, off, s[0:3], 0 offset:868
	;; [unrolled: 1-line block ×3, first 2 shown]
	s_waitcnt vmcnt(58) lgkmcnt(0)
	v_mul_f64 v[193:194], v[131:132], v[173:174]
	v_mul_f64 v[173:174], v[133:134], v[173:174]
	ds_read_b128 v[5:8], v192 offset:1632
	s_waitcnt vmcnt(56)
	v_fma_f64 v[151:152], v[1:2], v[163:164], -v[151:152]
	v_fma_f64 v[163:164], v[3:4], v[163:164], v[213:214]
	v_add_f64 v[137:138], v[137:138], v[167:168]
	v_add_f64 v[135:136], v[135:136], v[145:146]
	s_clause 0x4
	buffer_load_dword v146, off, s[0:3], 0 offset:908
	buffer_load_dword v167, off, s[0:3], 0 offset:920
	;; [unrolled: 1-line block ×5, first 2 shown]
	ds_read_b128 v[1:4], v192 offset:1648
	s_waitcnt vmcnt(57) lgkmcnt(1)
	v_mul_f64 v[213:214], v[5:6], v[157:158]
	v_mul_f64 v[157:158], v[7:8], v[157:158]
	s_waitcnt vmcnt(56)
	v_fma_f64 v[173:174], v[131:132], v[175:176], -v[173:174]
	v_add_f64 v[137:138], v[137:138], v[151:152]
	v_fma_f64 v[151:152], v[133:134], v[175:176], v[193:194]
	v_add_f64 v[135:136], v[135:136], v[163:164]
	s_clause 0x2
	buffer_load_dword v168, off, s[0:3], 0 offset:924
	buffer_load_dword v164, off, s[0:3], 0 offset:900
	;; [unrolled: 1-line block ×3, first 2 shown]
	ds_read_b128 v[131:134], v192 offset:1664
	s_waitcnt vmcnt(58) lgkmcnt(1)
	v_mul_f64 v[175:176], v[1:2], v[181:182]
	v_mul_f64 v[181:182], v[3:4], v[181:182]
	s_waitcnt vmcnt(56)
	v_fma_f64 v[157:158], v[5:6], v[161:162], -v[157:158]
	v_fma_f64 v[161:162], v[7:8], v[161:162], v[213:214]
	v_add_f64 v[137:138], v[137:138], v[173:174]
	v_add_f64 v[135:136], v[135:136], v[151:152]
	s_clause 0x4
	buffer_load_dword v152, off, s[0:3], 0 offset:940
	buffer_load_dword v173, off, s[0:3], 0 offset:952
	;; [unrolled: 1-line block ×5, first 2 shown]
	ds_read_b128 v[5:8], v192 offset:1680
	s_waitcnt vmcnt(57) lgkmcnt(1)
	v_mul_f64 v[213:214], v[131:132], v[165:166]
	v_mul_f64 v[165:166], v[133:134], v[165:166]
	s_waitcnt vmcnt(56)
	v_fma_f64 v[181:182], v[1:2], v[183:184], -v[181:182]
	v_add_f64 v[137:138], v[137:138], v[157:158]
	v_fma_f64 v[157:158], v[3:4], v[183:184], v[175:176]
	v_add_f64 v[135:136], v[135:136], v[161:162]
	s_clause 0x2
	buffer_load_dword v174, off, s[0:3], 0 offset:956
	buffer_load_dword v162, off, s[0:3], 0 offset:932
	;; [unrolled: 1-line block ×3, first 2 shown]
	ds_read_b128 v[1:4], v192 offset:1696
	s_waitcnt vmcnt(58) lgkmcnt(1)
	v_mul_f64 v[183:184], v[7:8], v[187:188]
	v_mul_f64 v[175:176], v[5:6], v[187:188]
	s_waitcnt vmcnt(56)
	v_fma_f64 v[165:166], v[131:132], v[169:170], -v[165:166]
	v_fma_f64 v[169:170], v[133:134], v[169:170], v[213:214]
	v_add_f64 v[137:138], v[137:138], v[181:182]
	v_add_f64 v[135:136], v[135:136], v[157:158]
	s_clause 0x4
	buffer_load_dword v158, off, s[0:3], 0 offset:972
	buffer_load_dword v181, off, s[0:3], 0 offset:984
	;; [unrolled: 1-line block ×5, first 2 shown]
	ds_read_b128 v[131:134], v192 offset:1712
	s_waitcnt vmcnt(57) lgkmcnt(1)
	v_mul_f64 v[213:214], v[1:2], v[171:172]
	v_mul_f64 v[171:172], v[3:4], v[171:172]
	s_waitcnt vmcnt(56)
	v_fma_f64 v[183:184], v[5:6], v[189:190], -v[183:184]
	v_add_f64 v[137:138], v[137:138], v[165:166]
	v_fma_f64 v[165:166], v[7:8], v[189:190], v[175:176]
	v_add_f64 v[135:136], v[135:136], v[169:170]
	s_clause 0x2
	buffer_load_dword v182, off, s[0:3], 0 offset:988
	buffer_load_dword v170, off, s[0:3], 0 offset:964
	;; [unrolled: 1-line block ×3, first 2 shown]
	ds_read_b128 v[5:8], v192 offset:1728
	buffer_load_dword v188, off, s[0:3], 0 offset:980
	s_waitcnt vmcnt(59) lgkmcnt(1)
	v_mul_f64 v[175:176], v[131:132], v[177:178]
	v_mul_f64 v[177:178], v[133:134], v[177:178]
	s_waitcnt vmcnt(57)
	v_fma_f64 v[171:172], v[1:2], v[139:140], -v[171:172]
	v_fma_f64 v[139:140], v[3:4], v[139:140], v[213:214]
	ds_read_b128 v[1:4], v192 offset:1744
	v_add_f64 v[137:138], v[137:138], v[183:184]
	v_add_f64 v[135:136], v[135:136], v[165:166]
	s_waitcnt vmcnt(53) lgkmcnt(1)
	v_mul_f64 v[165:166], v[5:6], v[179:180]
	v_mul_f64 v[179:180], v[7:8], v[179:180]
	s_waitcnt vmcnt(52)
	v_fma_f64 v[177:178], v[131:132], v[201:202], -v[177:178]
	v_add_f64 v[137:138], v[137:138], v[171:172]
	v_fma_f64 v[171:172], v[133:134], v[201:202], v[175:176]
	v_add_f64 v[135:136], v[135:136], v[139:140]
	ds_read_b128 v[131:134], v192 offset:1760
	s_waitcnt vmcnt(51) lgkmcnt(1)
	v_mul_f64 v[175:176], v[3:4], v[195:196]
	v_mul_f64 v[139:140], v[1:2], v[195:196]
	s_waitcnt vmcnt(49)
	v_fma_f64 v[179:180], v[5:6], v[185:186], -v[179:180]
	v_fma_f64 v[165:166], v[7:8], v[185:186], v[165:166]
	v_add_f64 v[137:138], v[137:138], v[177:178]
	v_add_f64 v[135:136], v[135:136], v[171:172]
	s_clause 0x3
	buffer_load_dword v171, off, s[0:3], 0 offset:224
	buffer_load_dword v172, off, s[0:3], 0 offset:228
	;; [unrolled: 1-line block ×4, first 2 shown]
	ds_read_b128 v[5:8], v192 offset:1776
	s_waitcnt vmcnt(49) lgkmcnt(1)
	v_mul_f64 v[183:184], v[131:132], v[143:144]
	v_mul_f64 v[143:144], v[133:134], v[143:144]
	s_waitcnt vmcnt(48)
	v_fma_f64 v[175:176], v[1:2], v[205:206], -v[175:176]
	v_fma_f64 v[139:140], v[3:4], v[205:206], v[139:140]
	ds_read_b128 v[1:4], v192 offset:1792
	v_add_f64 v[137:138], v[137:138], v[179:180]
	v_add_f64 v[135:136], v[135:136], v[165:166]
	s_waitcnt vmcnt(47) lgkmcnt(1)
	v_mul_f64 v[179:180], v[7:8], v[203:204]
	v_mul_f64 v[165:166], v[5:6], v[203:204]
	s_waitcnt vmcnt(45)
	v_fma_f64 v[143:144], v[131:132], v[149:150], -v[143:144]
	v_fma_f64 v[149:150], v[133:134], v[149:150], v[183:184]
	ds_read_b128 v[131:134], v192 offset:1808
	v_add_f64 v[137:138], v[137:138], v[175:176]
	v_add_f64 v[135:136], v[135:136], v[139:140]
	s_waitcnt vmcnt(41) lgkmcnt(1)
	v_mul_f64 v[139:140], v[1:2], v[155:156]
	v_mul_f64 v[155:156], v[3:4], v[155:156]
	s_waitcnt vmcnt(40)
	v_fma_f64 v[175:176], v[5:6], v[209:210], -v[179:180]
	v_add_f64 v[137:138], v[137:138], v[143:144]
	v_fma_f64 v[143:144], v[7:8], v[209:210], v[165:166]
	v_add_f64 v[135:136], v[135:136], v[149:150]
	ds_read_b128 v[5:8], v192 offset:1824
	s_waitcnt vmcnt(39) lgkmcnt(1)
	v_mul_f64 v[165:166], v[133:134], v[197:198]
	v_mul_f64 v[149:150], v[131:132], v[197:198]
	s_waitcnt vmcnt(37)
	v_fma_f64 v[155:156], v[1:2], v[147:148], -v[155:156]
	v_fma_f64 v[139:140], v[3:4], v[147:148], v[139:140]
	ds_read_b128 v[1:4], v192 offset:1840
	v_add_f64 v[137:138], v[137:138], v[175:176]
	v_add_f64 v[135:136], v[135:136], v[143:144]
	s_waitcnt vmcnt(33) lgkmcnt(1)
	v_mul_f64 v[143:144], v[5:6], v[141:142]
	v_mul_f64 v[141:142], v[7:8], v[141:142]
	s_waitcnt vmcnt(32)
	v_fma_f64 v[147:148], v[131:132], v[211:212], -v[165:166]
	v_fma_f64 v[149:150], v[133:134], v[211:212], v[149:150]
	ds_read_b128 v[131:134], v192 offset:1856
	v_add_f64 v[137:138], v[137:138], v[155:156]
	v_add_f64 v[135:136], v[135:136], v[139:140]
	;; [unrolled: 9-line block ×5, first 2 shown]
	s_waitcnt vmcnt(17) lgkmcnt(1)
	v_mul_f64 v[149:150], v[3:4], v[151:152]
	s_waitcnt vmcnt(16)
	v_fma_f64 v[143:144], v[5:6], v[199:200], -v[143:144]
	v_mul_f64 v[139:140], v[1:2], v[151:152]
	v_fma_f64 v[141:142], v[7:8], v[199:200], v[141:142]
	ds_read_b128 v[5:8], v192 offset:1920
	v_add_f64 v[137:138], v[137:138], v[145:146]
	v_add_f64 v[135:136], v[135:136], v[147:148]
	s_waitcnt vmcnt(15) lgkmcnt(1)
	v_mul_f64 v[147:148], v[133:134], v[173:174]
	v_mul_f64 v[145:146], v[131:132], v[173:174]
	s_waitcnt vmcnt(13)
	v_fma_f64 v[149:150], v[1:2], v[161:162], -v[149:150]
	v_fma_f64 v[139:140], v[3:4], v[161:162], v[139:140]
	ds_read_b128 v[1:4], v192 offset:1936
	v_add_f64 v[137:138], v[137:138], v[143:144]
	v_add_f64 v[135:136], v[135:136], v[141:142]
	s_waitcnt vmcnt(9) lgkmcnt(1)
	v_mul_f64 v[143:144], v[7:8], v[157:158]
	s_waitcnt vmcnt(8)
	v_fma_f64 v[131:132], v[131:132], v[193:194], -v[147:148]
	v_mul_f64 v[141:142], v[5:6], v[157:158]
	v_fma_f64 v[133:134], v[133:134], v[193:194], v[145:146]
	v_add_f64 v[137:138], v[137:138], v[149:150]
	v_add_f64 v[135:136], v[135:136], v[139:140]
	s_waitcnt vmcnt(7) lgkmcnt(0)
	v_mul_f64 v[145:146], v[3:4], v[181:182]
	v_mul_f64 v[139:140], v[1:2], v[181:182]
	s_waitcnt vmcnt(5)
	v_fma_f64 v[5:6], v[5:6], v[169:170], -v[143:144]
	v_fma_f64 v[7:8], v[7:8], v[169:170], v[141:142]
	v_add_f64 v[131:132], v[137:138], v[131:132]
	v_add_f64 v[133:134], v[135:136], v[133:134]
	s_waitcnt vmcnt(4)
	v_fma_f64 v[1:2], v[1:2], v[187:188], -v[145:146]
	v_fma_f64 v[3:4], v[3:4], v[187:188], v[139:140]
	v_add_f64 v[5:6], v[131:132], v[5:6]
	v_add_f64 v[7:8], v[133:134], v[7:8]
	;; [unrolled: 1-line block ×4, first 2 shown]
	s_waitcnt vmcnt(2)
	v_add_f64 v[1:2], v[171:172], -v[1:2]
	s_waitcnt vmcnt(0)
	v_add_f64 v[3:4], v[177:178], -v[3:4]
	buffer_store_dword v2, off, s[0:3], 0 offset:228
	buffer_store_dword v1, off, s[0:3], 0 offset:224
	;; [unrolled: 1-line block ×4, first 2 shown]
	v_cmpx_lt_u32_e32 12, v0
	s_cbranch_execz .LBB124_367
; %bb.366:
	v_mov_b32_e32 v4, s63
	s_clause 0x3
	buffer_load_dword v1, v4, s[0:3], 0 offen
	buffer_load_dword v2, v4, s[0:3], 0 offen offset:4
	buffer_load_dword v3, v4, s[0:3], 0 offen offset:8
	buffer_load_dword v4, v4, s[0:3], 0 offen offset:12
	buffer_store_dword v192, off, s[0:3], 0 offset:208
	buffer_store_dword v192, off, s[0:3], 0 offset:212
	;; [unrolled: 1-line block ×4, first 2 shown]
	s_waitcnt vmcnt(0)
	ds_write_b128 v191, v[1:4]
.LBB124_367:
	s_or_b32 exec_lo, exec_lo, s4
	s_waitcnt lgkmcnt(0)
	s_waitcnt_vscnt null, 0x0
	s_barrier
	buffer_gl0_inv
	s_clause 0x37
	buffer_load_dword v139, off, s[0:3], 0 offset:232
	buffer_load_dword v140, off, s[0:3], 0 offset:236
	;; [unrolled: 1-line block ×56, first 2 shown]
	ds_read_b128 v[5:8], v192 offset:1184
	s_clause 0x2
	buffer_load_dword v188, off, s[0:3], 0 offset:460
	buffer_load_dword v190, off, s[0:3], 0 offset:436
	;; [unrolled: 1-line block ×3, first 2 shown]
	ds_read_b128 v[1:4], v192 offset:1200
	s_clause 0x4
	buffer_load_dword v200, off, s[0:3], 0 offset:476
	buffer_load_dword v201, off, s[0:3], 0 offset:488
	;; [unrolled: 1-line block ×5, first 2 shown]
	ds_read_b128 v[193:196], v192 offset:1216
	s_mov_b32 s4, exec_lo
	s_waitcnt vmcnt(62) lgkmcnt(2)
	v_mul_f64 v[197:198], v[7:8], v[139:140]
	v_mul_f64 v[139:140], v[5:6], v[139:140]
	s_waitcnt vmcnt(60) lgkmcnt(1)
	v_mul_f64 v[204:205], v[3:4], v[135:136]
	v_mul_f64 v[135:136], v[1:2], v[135:136]
	;; [unrolled: 3-line block ×3, first 2 shown]
	v_fma_f64 v[197:198], v[5:6], v[137:138], -v[197:198]
	v_fma_f64 v[137:138], v[7:8], v[137:138], v[139:140]
	s_clause 0x2
	buffer_load_dword v202, off, s[0:3], 0 offset:492
	buffer_load_dword v140, off, s[0:3], 0 offset:468
	buffer_load_dword v139, off, s[0:3], 0 offset:464
	s_waitcnt vmcnt(57)
	v_fma_f64 v[208:209], v[1:2], v[131:132], -v[204:205]
	ds_read_b128 v[5:8], v192 offset:1232
	v_fma_f64 v[131:132], v[3:4], v[131:132], v[135:136]
	s_waitcnt vmcnt(51)
	v_fma_f64 v[193:194], v[193:194], v[155:156], -v[133:134]
	v_fma_f64 v[155:156], v[195:196], v[155:156], v[206:207]
	v_add_f64 v[197:198], v[197:198], 0
	v_add_f64 v[135:136], v[137:138], 0
	s_clause 0x4
	buffer_load_dword v138, off, s[0:3], 0 offset:508
	buffer_load_dword v205, off, s[0:3], 0 offset:520
	;; [unrolled: 1-line block ×5, first 2 shown]
	s_waitcnt lgkmcnt(0)
	v_mul_f64 v[211:212], v[5:6], v[143:144]
	v_mul_f64 v[143:144], v[7:8], v[143:144]
	ds_read_b128 v[1:4], v192 offset:1248
	s_clause 0x2
	buffer_load_dword v206, off, s[0:3], 0 offset:524
	buffer_load_dword v196, off, s[0:3], 0 offset:500
	;; [unrolled: 1-line block ×3, first 2 shown]
	v_add_f64 v[197:198], v[197:198], v[208:209]
	v_add_f64 v[135:136], v[135:136], v[131:132]
	ds_read_b128 v[131:134], v192 offset:1264
	s_waitcnt vmcnt(58) lgkmcnt(1)
	v_mul_f64 v[207:208], v[1:2], v[147:148]
	v_mul_f64 v[147:148], v[3:4], v[147:148]
	s_waitcnt vmcnt(56)
	v_fma_f64 v[143:144], v[5:6], v[149:150], -v[143:144]
	v_fma_f64 v[149:150], v[7:8], v[149:150], v[211:212]
	s_waitcnt vmcnt(52) lgkmcnt(0)
	v_mul_f64 v[213:214], v[131:132], v[151:152]
	v_add_f64 v[193:194], v[197:198], v[193:194]
	v_add_f64 v[135:136], v[135:136], v[155:156]
	s_clause 0x4
	buffer_load_dword v156, off, s[0:3], 0 offset:540
	buffer_load_dword v197, off, s[0:3], 0 offset:552
	;; [unrolled: 1-line block ×5, first 2 shown]
	v_mul_f64 v[151:152], v[133:134], v[151:152]
	s_waitcnt vmcnt(56)
	v_fma_f64 v[147:148], v[1:2], v[141:142], -v[147:148]
	ds_read_b128 v[5:8], v192 offset:1280
	v_fma_f64 v[141:142], v[3:4], v[141:142], v[207:208]
	v_add_f64 v[143:144], v[193:194], v[143:144]
	v_add_f64 v[135:136], v[135:136], v[149:150]
	s_clause 0x2
	buffer_load_dword v198, off, s[0:3], 0 offset:556
	buffer_load_dword v150, off, s[0:3], 0 offset:532
	;; [unrolled: 1-line block ×3, first 2 shown]
	s_waitcnt vmcnt(58) lgkmcnt(0)
	v_mul_f64 v[193:194], v[5:6], v[157:158]
	v_mul_f64 v[157:158], v[7:8], v[157:158]
	s_waitcnt vmcnt(56)
	v_fma_f64 v[151:152], v[131:132], v[159:160], -v[151:152]
	ds_read_b128 v[1:4], v192 offset:1296
	v_add_f64 v[143:144], v[143:144], v[147:148]
	v_fma_f64 v[147:148], v[133:134], v[159:160], v[213:214]
	v_add_f64 v[135:136], v[135:136], v[141:142]
	s_clause 0x4
	buffer_load_dword v142, off, s[0:3], 0 offset:572
	buffer_load_dword v159, off, s[0:3], 0 offset:584
	;; [unrolled: 1-line block ×5, first 2 shown]
	s_waitcnt vmcnt(57) lgkmcnt(0)
	v_mul_f64 v[208:209], v[1:2], v[161:162]
	v_mul_f64 v[161:162], v[3:4], v[161:162]
	s_waitcnt vmcnt(56)
	v_fma_f64 v[157:158], v[5:6], v[145:146], -v[157:158]
	ds_read_b128 v[131:134], v192 offset:1312
	v_fma_f64 v[145:146], v[7:8], v[145:146], v[193:194]
	v_add_f64 v[143:144], v[143:144], v[151:152]
	v_add_f64 v[135:136], v[135:136], v[147:148]
	s_clause 0x2
	buffer_load_dword v160, off, s[0:3], 0 offset:588
	buffer_load_dword v148, off, s[0:3], 0 offset:564
	buffer_load_dword v147, off, s[0:3], 0 offset:560
	ds_read_b128 v[5:8], v192 offset:1328
	s_waitcnt vmcnt(58) lgkmcnt(1)
	v_mul_f64 v[151:152], v[131:132], v[165:166]
	v_mul_f64 v[165:166], v[133:134], v[165:166]
	s_waitcnt vmcnt(56)
	v_fma_f64 v[161:162], v[1:2], v[167:168], -v[161:162]
	v_add_f64 v[143:144], v[143:144], v[157:158]
	v_fma_f64 v[157:158], v[3:4], v[167:168], v[208:209]
	v_add_f64 v[135:136], v[135:136], v[145:146]
	s_clause 0x4
	buffer_load_dword v146, off, s[0:3], 0 offset:604
	buffer_load_dword v167, off, s[0:3], 0 offset:616
	;; [unrolled: 1-line block ×5, first 2 shown]
	s_waitcnt vmcnt(57) lgkmcnt(0)
	v_mul_f64 v[214:215], v[5:6], v[169:170]
	v_mul_f64 v[169:170], v[7:8], v[169:170]
	s_waitcnt vmcnt(56)
	v_fma_f64 v[165:166], v[131:132], v[153:154], -v[165:166]
	ds_read_b128 v[1:4], v192 offset:1344
	v_fma_f64 v[151:152], v[133:134], v[153:154], v[151:152]
	s_clause 0x2
	buffer_load_dword v168, off, s[0:3], 0 offset:620
	buffer_load_dword v154, off, s[0:3], 0 offset:596
	;; [unrolled: 1-line block ×3, first 2 shown]
	ds_read_b128 v[131:134], v192 offset:1360
	v_add_f64 v[143:144], v[143:144], v[161:162]
	v_add_f64 v[135:136], v[135:136], v[157:158]
	s_waitcnt vmcnt(58) lgkmcnt(1)
	v_mul_f64 v[161:162], v[3:4], v[173:174]
	s_waitcnt vmcnt(56)
	v_fma_f64 v[169:170], v[5:6], v[175:176], -v[169:170]
	v_mul_f64 v[157:158], v[1:2], v[173:174]
	v_add_f64 v[143:144], v[143:144], v[165:166]
	v_fma_f64 v[165:166], v[7:8], v[175:176], v[214:215]
	v_add_f64 v[135:136], v[135:136], v[151:152]
	s_clause 0x4
	buffer_load_dword v152, off, s[0:3], 0 offset:636
	buffer_load_dword v173, off, s[0:3], 0 offset:648
	;; [unrolled: 1-line block ×5, first 2 shown]
	s_waitcnt vmcnt(57) lgkmcnt(0)
	v_mul_f64 v[214:215], v[131:132], v[177:178]
	v_mul_f64 v[176:177], v[133:134], v[177:178]
	s_waitcnt vmcnt(56)
	v_fma_f64 v[161:162], v[1:2], v[163:164], -v[161:162]
	ds_read_b128 v[5:8], v192 offset:1376
	v_fma_f64 v[157:158], v[3:4], v[163:164], v[157:158]
	s_clause 0x2
	buffer_load_dword v174, off, s[0:3], 0 offset:652
	buffer_load_dword v164, off, s[0:3], 0 offset:628
	;; [unrolled: 1-line block ×3, first 2 shown]
	ds_read_b128 v[1:4], v192 offset:1392
	v_add_f64 v[143:144], v[143:144], v[169:170]
	v_add_f64 v[135:136], v[135:136], v[165:166]
	s_waitcnt vmcnt(58) lgkmcnt(1)
	v_mul_f64 v[169:170], v[7:8], v[181:182]
	s_waitcnt vmcnt(56)
	v_fma_f64 v[177:178], v[131:132], v[183:184], -v[176:177]
	v_mul_f64 v[165:166], v[5:6], v[181:182]
	v_add_f64 v[143:144], v[143:144], v[161:162]
	v_fma_f64 v[161:162], v[133:134], v[183:184], v[214:215]
	v_add_f64 v[135:136], v[135:136], v[157:158]
	s_clause 0x4
	buffer_load_dword v158, off, s[0:3], 0 offset:668
	buffer_load_dword v181, off, s[0:3], 0 offset:680
	;; [unrolled: 1-line block ×5, first 2 shown]
	s_waitcnt vmcnt(57) lgkmcnt(0)
	v_mul_f64 v[214:215], v[1:2], v[185:186]
	v_mul_f64 v[184:185], v[3:4], v[185:186]
	s_waitcnt vmcnt(56)
	v_fma_f64 v[169:170], v[5:6], v[171:172], -v[169:170]
	ds_read_b128 v[131:134], v192 offset:1408
	v_fma_f64 v[165:166], v[7:8], v[171:172], v[165:166]
	v_add_f64 v[143:144], v[143:144], v[177:178]
	v_add_f64 v[135:136], v[135:136], v[161:162]
	s_clause 0x2
	buffer_load_dword v182, off, s[0:3], 0 offset:684
	buffer_load_dword v162, off, s[0:3], 0 offset:660
	;; [unrolled: 1-line block ×3, first 2 shown]
	ds_read_b128 v[5:8], v192 offset:1424
	s_waitcnt vmcnt(58) lgkmcnt(1)
	v_mul_f64 v[177:178], v[133:134], v[187:188]
	s_waitcnt vmcnt(56)
	v_fma_f64 v[185:186], v[1:2], v[189:190], -v[184:185]
	v_mul_f64 v[171:172], v[131:132], v[187:188]
	v_add_f64 v[143:144], v[143:144], v[169:170]
	v_fma_f64 v[169:170], v[3:4], v[189:190], v[214:215]
	v_add_f64 v[135:136], v[135:136], v[165:166]
	s_clause 0x4
	buffer_load_dword v166, off, s[0:3], 0 offset:700
	buffer_load_dword v187, off, s[0:3], 0 offset:712
	buffer_load_dword v189, off, s[0:3], 0 offset:704
	buffer_load_dword v165, off, s[0:3], 0 offset:696
	buffer_load_dword v184, off, s[0:3], 0 offset:676
	s_waitcnt vmcnt(57) lgkmcnt(0)
	v_mul_f64 v[214:215], v[5:6], v[199:200]
	v_mul_f64 v[199:200], v[7:8], v[199:200]
	s_waitcnt vmcnt(56)
	v_fma_f64 v[177:178], v[131:132], v[179:180], -v[177:178]
	ds_read_b128 v[1:4], v192 offset:1440
	v_fma_f64 v[171:172], v[133:134], v[179:180], v[171:172]
	v_add_f64 v[143:144], v[143:144], v[185:186]
	v_add_f64 v[135:136], v[135:136], v[169:170]
	s_clause 0x2
	buffer_load_dword v188, off, s[0:3], 0 offset:716
	buffer_load_dword v170, off, s[0:3], 0 offset:692
	;; [unrolled: 1-line block ×3, first 2 shown]
	ds_read_b128 v[131:134], v192 offset:1456
	s_waitcnt vmcnt(58) lgkmcnt(1)
	v_mul_f64 v[185:186], v[3:4], v[201:202]
	v_mul_f64 v[179:180], v[1:2], v[201:202]
	s_waitcnt vmcnt(56)
	v_fma_f64 v[199:200], v[5:6], v[139:140], -v[199:200]
	v_fma_f64 v[139:140], v[7:8], v[139:140], v[214:215]
	v_add_f64 v[143:144], v[143:144], v[177:178]
	v_add_f64 v[135:136], v[135:136], v[171:172]
	s_clause 0x4
	buffer_load_dword v172, off, s[0:3], 0 offset:732
	buffer_load_dword v177, off, s[0:3], 0 offset:744
	;; [unrolled: 1-line block ×5, first 2 shown]
	ds_read_b128 v[5:8], v192 offset:1472
	s_waitcnt vmcnt(57) lgkmcnt(1)
	v_mul_f64 v[214:215], v[131:132], v[137:138]
	v_mul_f64 v[137:138], v[133:134], v[137:138]
	s_waitcnt vmcnt(56)
	v_fma_f64 v[185:186], v[1:2], v[203:204], -v[185:186]
	v_fma_f64 v[179:180], v[3:4], v[203:204], v[179:180]
	v_add_f64 v[143:144], v[143:144], v[199:200]
	v_add_f64 v[135:136], v[135:136], v[139:140]
	s_clause 0x2
	buffer_load_dword v178, off, s[0:3], 0 offset:748
	buffer_load_dword v140, off, s[0:3], 0 offset:724
	;; [unrolled: 1-line block ×3, first 2 shown]
	s_waitcnt vmcnt(58) lgkmcnt(0)
	v_mul_f64 v[203:204], v[7:8], v[205:206]
	ds_read_b128 v[1:4], v192 offset:1488
	v_mul_f64 v[199:200], v[5:6], v[205:206]
	s_waitcnt vmcnt(56)
	v_fma_f64 v[137:138], v[131:132], v[195:196], -v[137:138]
	v_add_f64 v[143:144], v[143:144], v[185:186]
	v_fma_f64 v[185:186], v[133:134], v[195:196], v[214:215]
	v_add_f64 v[135:136], v[135:136], v[179:180]
	s_clause 0x4
	buffer_load_dword v180, off, s[0:3], 0 offset:764
	buffer_load_dword v195, off, s[0:3], 0 offset:776
	;; [unrolled: 1-line block ×5, first 2 shown]
	ds_read_b128 v[131:134], v192 offset:1504
	s_waitcnt vmcnt(57) lgkmcnt(1)
	v_mul_f64 v[214:215], v[1:2], v[155:156]
	v_mul_f64 v[155:156], v[3:4], v[155:156]
	s_waitcnt vmcnt(56)
	v_fma_f64 v[203:204], v[5:6], v[210:211], -v[203:204]
	v_add_f64 v[137:138], v[143:144], v[137:138]
	v_fma_f64 v[143:144], v[7:8], v[210:211], v[199:200]
	v_add_f64 v[135:136], v[135:136], v[185:186]
	s_clause 0x2
	buffer_load_dword v196, off, s[0:3], 0 offset:780
	buffer_load_dword v186, off, s[0:3], 0 offset:756
	;; [unrolled: 1-line block ×3, first 2 shown]
	ds_read_b128 v[5:8], v192 offset:1520
	s_waitcnt vmcnt(58) lgkmcnt(1)
	v_mul_f64 v[199:200], v[131:132], v[197:198]
	v_mul_f64 v[197:198], v[133:134], v[197:198]
	s_waitcnt vmcnt(56)
	v_fma_f64 v[155:156], v[1:2], v[149:150], -v[155:156]
	v_fma_f64 v[149:150], v[3:4], v[149:150], v[214:215]
	v_add_f64 v[137:138], v[137:138], v[203:204]
	v_add_f64 v[135:136], v[135:136], v[143:144]
	s_clause 0x4
	buffer_load_dword v144, off, s[0:3], 0 offset:796
	buffer_load_dword v203, off, s[0:3], 0 offset:808
	;; [unrolled: 1-line block ×5, first 2 shown]
	ds_read_b128 v[1:4], v192 offset:1536
	s_waitcnt vmcnt(57) lgkmcnt(1)
	v_mul_f64 v[210:211], v[5:6], v[141:142]
	v_mul_f64 v[141:142], v[7:8], v[141:142]
	s_waitcnt vmcnt(56)
	v_fma_f64 v[197:198], v[131:132], v[212:213], -v[197:198]
	v_add_f64 v[137:138], v[137:138], v[155:156]
	v_fma_f64 v[155:156], v[133:134], v[212:213], v[199:200]
	v_add_f64 v[135:136], v[135:136], v[149:150]
	s_clause 0x2
	buffer_load_dword v204, off, s[0:3], 0 offset:812
	buffer_load_dword v150, off, s[0:3], 0 offset:788
	;; [unrolled: 1-line block ×3, first 2 shown]
	ds_read_b128 v[131:134], v192 offset:1552
	s_waitcnt vmcnt(58) lgkmcnt(1)
	v_mul_f64 v[199:200], v[1:2], v[159:160]
	v_mul_f64 v[159:160], v[3:4], v[159:160]
	s_waitcnt vmcnt(56)
	v_fma_f64 v[141:142], v[5:6], v[147:148], -v[141:142]
	v_fma_f64 v[147:148], v[7:8], v[147:148], v[210:211]
	v_add_f64 v[137:138], v[137:138], v[197:198]
	v_add_f64 v[135:136], v[135:136], v[155:156]
	s_clause 0x4
	buffer_load_dword v156, off, s[0:3], 0 offset:828
	buffer_load_dword v197, off, s[0:3], 0 offset:840
	buffer_load_dword v211, off, s[0:3], 0 offset:832
	buffer_load_dword v155, off, s[0:3], 0 offset:824
	buffer_load_dword v210, off, s[0:3], 0 offset:804
	ds_read_b128 v[5:8], v192 offset:1568
	s_waitcnt vmcnt(57) lgkmcnt(1)
	v_mul_f64 v[212:213], v[131:132], v[145:146]
	v_mul_f64 v[145:146], v[133:134], v[145:146]
	s_waitcnt vmcnt(56)
	v_fma_f64 v[159:160], v[1:2], v[207:208], -v[159:160]
	v_add_f64 v[137:138], v[137:138], v[141:142]
	v_fma_f64 v[141:142], v[3:4], v[207:208], v[199:200]
	v_add_f64 v[135:136], v[135:136], v[147:148]
	s_clause 0x2
	buffer_load_dword v198, off, s[0:3], 0 offset:844
	buffer_load_dword v148, off, s[0:3], 0 offset:820
	;; [unrolled: 1-line block ×3, first 2 shown]
	s_waitcnt vmcnt(58) lgkmcnt(0)
	v_mul_f64 v[199:200], v[5:6], v[167:168]
	v_mul_f64 v[167:168], v[7:8], v[167:168]
	ds_read_b128 v[1:4], v192 offset:1584
	s_waitcnt vmcnt(56)
	v_fma_f64 v[145:146], v[131:132], v[153:154], -v[145:146]
	v_fma_f64 v[153:154], v[133:134], v[153:154], v[212:213]
	v_add_f64 v[137:138], v[137:138], v[159:160]
	v_add_f64 v[135:136], v[135:136], v[141:142]
	s_clause 0x4
	buffer_load_dword v142, off, s[0:3], 0 offset:860
	buffer_load_dword v159, off, s[0:3], 0 offset:872
	;; [unrolled: 1-line block ×5, first 2 shown]
	ds_read_b128 v[131:134], v192 offset:1600
	s_waitcnt vmcnt(57) lgkmcnt(1)
	v_mul_f64 v[213:214], v[1:2], v[151:152]
	v_mul_f64 v[151:152], v[3:4], v[151:152]
	s_waitcnt vmcnt(56)
	v_fma_f64 v[167:168], v[5:6], v[193:194], -v[167:168]
	v_add_f64 v[137:138], v[137:138], v[145:146]
	v_fma_f64 v[145:146], v[7:8], v[193:194], v[199:200]
	v_add_f64 v[135:136], v[135:136], v[153:154]
	s_clause 0x2
	buffer_load_dword v160, off, s[0:3], 0 offset:876
	buffer_load_dword v154, off, s[0:3], 0 offset:852
	;; [unrolled: 1-line block ×3, first 2 shown]
	s_waitcnt vmcnt(58) lgkmcnt(0)
	v_mul_f64 v[193:194], v[131:132], v[173:174]
	v_mul_f64 v[173:174], v[133:134], v[173:174]
	ds_read_b128 v[5:8], v192 offset:1616
	s_waitcnt vmcnt(56)
	v_fma_f64 v[151:152], v[1:2], v[163:164], -v[151:152]
	v_fma_f64 v[163:164], v[3:4], v[163:164], v[213:214]
	v_add_f64 v[137:138], v[137:138], v[167:168]
	v_add_f64 v[135:136], v[135:136], v[145:146]
	s_clause 0x4
	buffer_load_dword v146, off, s[0:3], 0 offset:892
	buffer_load_dword v167, off, s[0:3], 0 offset:904
	buffer_load_dword v199, off, s[0:3], 0 offset:896
	buffer_load_dword v145, off, s[0:3], 0 offset:888
	buffer_load_dword v208, off, s[0:3], 0 offset:868
	ds_read_b128 v[1:4], v192 offset:1632
	s_waitcnt vmcnt(57) lgkmcnt(1)
	v_mul_f64 v[213:214], v[5:6], v[157:158]
	v_mul_f64 v[157:158], v[7:8], v[157:158]
	s_waitcnt vmcnt(56)
	v_fma_f64 v[173:174], v[131:132], v[175:176], -v[173:174]
	v_add_f64 v[137:138], v[137:138], v[151:152]
	v_fma_f64 v[151:152], v[133:134], v[175:176], v[193:194]
	v_add_f64 v[135:136], v[135:136], v[163:164]
	s_clause 0x2
	buffer_load_dword v168, off, s[0:3], 0 offset:908
	buffer_load_dword v164, off, s[0:3], 0 offset:884
	buffer_load_dword v163, off, s[0:3], 0 offset:880
	ds_read_b128 v[131:134], v192 offset:1648
	s_waitcnt vmcnt(58) lgkmcnt(1)
	v_mul_f64 v[175:176], v[1:2], v[181:182]
	v_mul_f64 v[181:182], v[3:4], v[181:182]
	s_waitcnt vmcnt(56)
	v_fma_f64 v[157:158], v[5:6], v[161:162], -v[157:158]
	v_fma_f64 v[161:162], v[7:8], v[161:162], v[213:214]
	v_add_f64 v[137:138], v[137:138], v[173:174]
	v_add_f64 v[135:136], v[135:136], v[151:152]
	s_clause 0x4
	buffer_load_dword v152, off, s[0:3], 0 offset:924
	buffer_load_dword v173, off, s[0:3], 0 offset:936
	buffer_load_dword v193, off, s[0:3], 0 offset:928
	buffer_load_dword v151, off, s[0:3], 0 offset:920
	buffer_load_dword v200, off, s[0:3], 0 offset:900
	ds_read_b128 v[5:8], v192 offset:1664
	s_waitcnt vmcnt(57) lgkmcnt(1)
	v_mul_f64 v[213:214], v[131:132], v[165:166]
	v_mul_f64 v[165:166], v[133:134], v[165:166]
	s_waitcnt vmcnt(56)
	v_fma_f64 v[181:182], v[1:2], v[183:184], -v[181:182]
	v_add_f64 v[137:138], v[137:138], v[157:158]
	v_fma_f64 v[157:158], v[3:4], v[183:184], v[175:176]
	v_add_f64 v[135:136], v[135:136], v[161:162]
	s_clause 0x2
	buffer_load_dword v174, off, s[0:3], 0 offset:940
	buffer_load_dword v162, off, s[0:3], 0 offset:916
	buffer_load_dword v161, off, s[0:3], 0 offset:912
	ds_read_b128 v[1:4], v192 offset:1680
	s_waitcnt vmcnt(58) lgkmcnt(1)
	v_mul_f64 v[183:184], v[7:8], v[187:188]
	v_mul_f64 v[175:176], v[5:6], v[187:188]
	;; [unrolled: 28-line block ×3, first 2 shown]
	s_waitcnt vmcnt(56)
	v_fma_f64 v[171:172], v[1:2], v[139:140], -v[171:172]
	v_fma_f64 v[139:140], v[3:4], v[139:140], v[213:214]
	v_add_f64 v[137:138], v[137:138], v[183:184]
	v_add_f64 v[135:136], v[135:136], v[165:166]
	s_clause 0x2
	buffer_load_dword v166, off, s[0:3], 0 offset:988
	buffer_load_dword v165, off, s[0:3], 0 offset:984
	;; [unrolled: 1-line block ×3, first 2 shown]
	ds_read_b128 v[1:4], v192 offset:1728
	s_waitcnt vmcnt(55) lgkmcnt(1)
	v_mul_f64 v[183:184], v[5:6], v[179:180]
	v_mul_f64 v[179:180], v[7:8], v[179:180]
	s_waitcnt vmcnt(54)
	v_fma_f64 v[177:178], v[131:132], v[201:202], -v[177:178]
	v_add_f64 v[137:138], v[137:138], v[171:172]
	v_fma_f64 v[171:172], v[133:134], v[201:202], v[175:176]
	v_add_f64 v[135:136], v[135:136], v[139:140]
	s_clause 0x1
	buffer_load_dword v140, off, s[0:3], 0 offset:980
	buffer_load_dword v139, off, s[0:3], 0 offset:976
	ds_read_b128 v[131:134], v192 offset:1744
	s_waitcnt vmcnt(55) lgkmcnt(1)
	v_mul_f64 v[189:190], v[3:4], v[195:196]
	v_mul_f64 v[175:176], v[1:2], v[195:196]
	s_waitcnt vmcnt(53)
	v_fma_f64 v[179:180], v[5:6], v[185:186], -v[179:180]
	v_add_f64 v[137:138], v[137:138], v[177:178]
	v_fma_f64 v[177:178], v[7:8], v[185:186], v[183:184]
	v_add_f64 v[135:136], v[135:136], v[171:172]
	ds_read_b128 v[5:8], v192 offset:1760
	s_waitcnt vmcnt(49) lgkmcnt(1)
	v_mul_f64 v[171:172], v[131:132], v[143:144]
	v_mul_f64 v[143:144], v[133:134], v[143:144]
	s_waitcnt vmcnt(48)
	v_fma_f64 v[183:184], v[1:2], v[205:206], -v[189:190]
	v_fma_f64 v[175:176], v[3:4], v[205:206], v[175:176]
	v_add_f64 v[137:138], v[137:138], v[179:180]
	v_add_f64 v[135:136], v[135:136], v[177:178]
	s_clause 0x3
	buffer_load_dword v177, off, s[0:3], 0 offset:208
	buffer_load_dword v178, off, s[0:3], 0 offset:212
	;; [unrolled: 1-line block ×4, first 2 shown]
	ds_read_b128 v[1:4], v192 offset:1776
	s_waitcnt vmcnt(51) lgkmcnt(1)
	v_mul_f64 v[189:190], v[7:8], v[203:204]
	v_mul_f64 v[185:186], v[5:6], v[203:204]
	s_waitcnt vmcnt(49)
	v_fma_f64 v[143:144], v[131:132], v[149:150], -v[143:144]
	v_fma_f64 v[149:150], v[133:134], v[149:150], v[171:172]
	ds_read_b128 v[131:134], v192 offset:1792
	v_add_f64 v[137:138], v[137:138], v[183:184]
	v_add_f64 v[135:136], v[135:136], v[175:176]
	s_waitcnt vmcnt(45) lgkmcnt(1)
	v_mul_f64 v[171:172], v[1:2], v[155:156]
	v_mul_f64 v[155:156], v[3:4], v[155:156]
	s_waitcnt vmcnt(44)
	v_fma_f64 v[175:176], v[5:6], v[209:210], -v[189:190]
	v_add_f64 v[137:138], v[137:138], v[143:144]
	v_fma_f64 v[143:144], v[7:8], v[209:210], v[185:186]
	v_add_f64 v[135:136], v[135:136], v[149:150]
	ds_read_b128 v[5:8], v192 offset:1808
	s_waitcnt vmcnt(43) lgkmcnt(1)
	v_mul_f64 v[183:184], v[133:134], v[197:198]
	v_mul_f64 v[149:150], v[131:132], v[197:198]
	s_waitcnt vmcnt(41)
	v_fma_f64 v[155:156], v[1:2], v[147:148], -v[155:156]
	v_fma_f64 v[147:148], v[3:4], v[147:148], v[171:172]
	ds_read_b128 v[1:4], v192 offset:1824
	v_add_f64 v[137:138], v[137:138], v[175:176]
	v_add_f64 v[135:136], v[135:136], v[143:144]
	s_waitcnt vmcnt(37) lgkmcnt(1)
	v_mul_f64 v[143:144], v[5:6], v[141:142]
	v_mul_f64 v[141:142], v[7:8], v[141:142]
	s_waitcnt vmcnt(36)
	v_fma_f64 v[171:172], v[131:132], v[211:212], -v[183:184]
	v_fma_f64 v[149:150], v[133:134], v[211:212], v[149:150]
	ds_read_b128 v[131:134], v192 offset:1840
	v_add_f64 v[137:138], v[137:138], v[155:156]
	v_add_f64 v[135:136], v[135:136], v[147:148]
	;; [unrolled: 9-line block ×3, first 2 shown]
	s_waitcnt vmcnt(29) lgkmcnt(1)
	v_mul_f64 v[149:150], v[131:132], v[145:146]
	v_mul_f64 v[145:146], v[133:134], v[145:146]
	s_waitcnt vmcnt(28)
	v_fma_f64 v[153:154], v[1:2], v[207:208], -v[155:156]
	v_add_f64 v[137:138], v[137:138], v[141:142]
	v_fma_f64 v[141:142], v[3:4], v[207:208], v[147:148]
	v_add_f64 v[135:136], v[135:136], v[143:144]
	ds_read_b128 v[1:4], v192 offset:1872
	s_waitcnt vmcnt(27) lgkmcnt(1)
	v_mul_f64 v[147:148], v[7:8], v[167:168]
	v_mul_f64 v[143:144], v[5:6], v[167:168]
	s_waitcnt vmcnt(25)
	v_fma_f64 v[145:146], v[131:132], v[163:164], -v[145:146]
	v_fma_f64 v[149:150], v[133:134], v[163:164], v[149:150]
	ds_read_b128 v[131:134], v192 offset:1888
	v_add_f64 v[137:138], v[137:138], v[153:154]
	v_add_f64 v[135:136], v[135:136], v[141:142]
	s_waitcnt vmcnt(21) lgkmcnt(1)
	v_mul_f64 v[141:142], v[1:2], v[151:152]
	v_mul_f64 v[151:152], v[3:4], v[151:152]
	s_waitcnt vmcnt(20)
	v_fma_f64 v[147:148], v[5:6], v[199:200], -v[147:148]
	v_fma_f64 v[143:144], v[7:8], v[199:200], v[143:144]
	ds_read_b128 v[5:8], v192 offset:1904
	v_add_f64 v[137:138], v[137:138], v[145:146]
	v_add_f64 v[135:136], v[135:136], v[149:150]
	;; [unrolled: 9-line block ×3, first 2 shown]
	s_waitcnt vmcnt(13) lgkmcnt(1)
	v_mul_f64 v[147:148], v[7:8], v[157:158]
	s_waitcnt vmcnt(12)
	v_fma_f64 v[149:150], v[131:132], v[193:194], -v[149:150]
	v_mul_f64 v[143:144], v[5:6], v[157:158]
	v_fma_f64 v[145:146], v[133:134], v[193:194], v[145:146]
	ds_read_b128 v[131:134], v192 offset:1936
	v_add_f64 v[137:138], v[137:138], v[151:152]
	v_add_f64 v[135:136], v[135:136], v[141:142]
	s_waitcnt vmcnt(11) lgkmcnt(1)
	v_mul_f64 v[151:152], v[3:4], v[181:182]
	v_mul_f64 v[141:142], v[1:2], v[181:182]
	s_waitcnt vmcnt(9)
	v_fma_f64 v[5:6], v[5:6], v[169:170], -v[147:148]
	v_fma_f64 v[7:8], v[7:8], v[169:170], v[143:144]
	v_add_f64 v[137:138], v[137:138], v[149:150]
	v_add_f64 v[135:136], v[135:136], v[145:146]
	s_waitcnt vmcnt(7) lgkmcnt(0)
	v_mul_f64 v[145:146], v[133:134], v[165:166]
	s_waitcnt vmcnt(6)
	v_fma_f64 v[1:2], v[1:2], v[187:188], -v[151:152]
	v_mul_f64 v[143:144], v[131:132], v[165:166]
	v_fma_f64 v[3:4], v[3:4], v[187:188], v[141:142]
	v_add_f64 v[5:6], v[137:138], v[5:6]
	v_add_f64 v[7:8], v[135:136], v[7:8]
	s_waitcnt vmcnt(4)
	v_fma_f64 v[131:132], v[131:132], v[139:140], -v[145:146]
	v_add_f64 v[1:2], v[5:6], v[1:2]
	v_fma_f64 v[5:6], v[133:134], v[139:140], v[143:144]
	v_add_f64 v[3:4], v[7:8], v[3:4]
	v_add_f64 v[1:2], v[1:2], v[131:132]
	;; [unrolled: 1-line block ×3, first 2 shown]
	s_waitcnt vmcnt(2)
	v_add_f64 v[1:2], v[177:178], -v[1:2]
	s_waitcnt vmcnt(0)
	v_add_f64 v[3:4], v[179:180], -v[3:4]
	buffer_store_dword v2, off, s[0:3], 0 offset:212
	buffer_store_dword v1, off, s[0:3], 0 offset:208
	buffer_store_dword v4, off, s[0:3], 0 offset:220
	buffer_store_dword v3, off, s[0:3], 0 offset:216
	v_cmpx_lt_u32_e32 11, v0
	s_cbranch_execz .LBB124_369
; %bb.368:
	v_mov_b32_e32 v4, s64
	v_mov_b32_e32 v5, 0
	s_clause 0x3
	buffer_load_dword v1, v4, s[0:3], 0 offen
	buffer_load_dword v2, v4, s[0:3], 0 offen offset:4
	buffer_load_dword v3, v4, s[0:3], 0 offen offset:8
	;; [unrolled: 1-line block ×3, first 2 shown]
	buffer_store_dword v5, off, s[0:3], 0 offset:192
	buffer_store_dword v5, off, s[0:3], 0 offset:196
	;; [unrolled: 1-line block ×4, first 2 shown]
	s_waitcnt vmcnt(0)
	ds_write_b128 v191, v[1:4]
.LBB124_369:
	s_or_b32 exec_lo, exec_lo, s4
	s_waitcnt lgkmcnt(0)
	s_waitcnt_vscnt null, 0x0
	s_barrier
	buffer_gl0_inv
	s_clause 0x37
	buffer_load_dword v139, off, s[0:3], 0 offset:216
	buffer_load_dword v140, off, s[0:3], 0 offset:220
	;; [unrolled: 1-line block ×56, first 2 shown]
	v_mov_b32_e32 v192, 0
	s_mov_b32 s4, exec_lo
	ds_read_b128 v[5:8], v192 offset:1168
	s_clause 0x2
	buffer_load_dword v188, off, s[0:3], 0 offset:444
	buffer_load_dword v190, off, s[0:3], 0 offset:420
	;; [unrolled: 1-line block ×3, first 2 shown]
	ds_read_b128 v[1:4], v192 offset:1184
	s_clause 0x4
	buffer_load_dword v200, off, s[0:3], 0 offset:460
	buffer_load_dword v201, off, s[0:3], 0 offset:472
	;; [unrolled: 1-line block ×5, first 2 shown]
	ds_read_b128 v[193:196], v192 offset:1200
	s_waitcnt vmcnt(62) lgkmcnt(2)
	v_mul_f64 v[197:198], v[7:8], v[139:140]
	v_mul_f64 v[139:140], v[5:6], v[139:140]
	s_waitcnt vmcnt(60) lgkmcnt(1)
	v_mul_f64 v[204:205], v[3:4], v[135:136]
	v_mul_f64 v[135:136], v[1:2], v[135:136]
	;; [unrolled: 3-line block ×3, first 2 shown]
	v_fma_f64 v[197:198], v[5:6], v[137:138], -v[197:198]
	v_fma_f64 v[137:138], v[7:8], v[137:138], v[139:140]
	s_clause 0x2
	buffer_load_dword v202, off, s[0:3], 0 offset:476
	buffer_load_dword v140, off, s[0:3], 0 offset:452
	;; [unrolled: 1-line block ×3, first 2 shown]
	s_waitcnt vmcnt(57)
	v_fma_f64 v[208:209], v[1:2], v[131:132], -v[204:205]
	ds_read_b128 v[5:8], v192 offset:1216
	v_fma_f64 v[131:132], v[3:4], v[131:132], v[135:136]
	s_waitcnt vmcnt(51)
	v_fma_f64 v[193:194], v[193:194], v[155:156], -v[133:134]
	v_fma_f64 v[155:156], v[195:196], v[155:156], v[206:207]
	v_add_f64 v[197:198], v[197:198], 0
	v_add_f64 v[135:136], v[137:138], 0
	s_clause 0x4
	buffer_load_dword v138, off, s[0:3], 0 offset:492
	buffer_load_dword v205, off, s[0:3], 0 offset:504
	;; [unrolled: 1-line block ×5, first 2 shown]
	s_waitcnt lgkmcnt(0)
	v_mul_f64 v[211:212], v[5:6], v[143:144]
	v_mul_f64 v[143:144], v[7:8], v[143:144]
	ds_read_b128 v[1:4], v192 offset:1232
	s_clause 0x2
	buffer_load_dword v206, off, s[0:3], 0 offset:508
	buffer_load_dword v196, off, s[0:3], 0 offset:484
	;; [unrolled: 1-line block ×3, first 2 shown]
	v_add_f64 v[197:198], v[197:198], v[208:209]
	v_add_f64 v[135:136], v[135:136], v[131:132]
	ds_read_b128 v[131:134], v192 offset:1248
	s_waitcnt vmcnt(58) lgkmcnt(1)
	v_mul_f64 v[207:208], v[1:2], v[147:148]
	v_mul_f64 v[147:148], v[3:4], v[147:148]
	s_waitcnt vmcnt(56)
	v_fma_f64 v[143:144], v[5:6], v[149:150], -v[143:144]
	v_fma_f64 v[149:150], v[7:8], v[149:150], v[211:212]
	s_waitcnt vmcnt(52) lgkmcnt(0)
	v_mul_f64 v[213:214], v[131:132], v[151:152]
	v_add_f64 v[193:194], v[197:198], v[193:194]
	v_add_f64 v[135:136], v[135:136], v[155:156]
	s_clause 0x4
	buffer_load_dword v156, off, s[0:3], 0 offset:524
	buffer_load_dword v197, off, s[0:3], 0 offset:536
	;; [unrolled: 1-line block ×5, first 2 shown]
	v_mul_f64 v[151:152], v[133:134], v[151:152]
	s_waitcnt vmcnt(56)
	v_fma_f64 v[147:148], v[1:2], v[141:142], -v[147:148]
	ds_read_b128 v[5:8], v192 offset:1264
	v_fma_f64 v[141:142], v[3:4], v[141:142], v[207:208]
	v_add_f64 v[143:144], v[193:194], v[143:144]
	v_add_f64 v[135:136], v[135:136], v[149:150]
	s_clause 0x2
	buffer_load_dword v198, off, s[0:3], 0 offset:540
	buffer_load_dword v150, off, s[0:3], 0 offset:516
	;; [unrolled: 1-line block ×3, first 2 shown]
	s_waitcnt vmcnt(58) lgkmcnt(0)
	v_mul_f64 v[193:194], v[5:6], v[157:158]
	v_mul_f64 v[157:158], v[7:8], v[157:158]
	s_waitcnt vmcnt(56)
	v_fma_f64 v[151:152], v[131:132], v[159:160], -v[151:152]
	ds_read_b128 v[1:4], v192 offset:1280
	v_add_f64 v[143:144], v[143:144], v[147:148]
	v_fma_f64 v[147:148], v[133:134], v[159:160], v[213:214]
	v_add_f64 v[135:136], v[135:136], v[141:142]
	s_clause 0x4
	buffer_load_dword v142, off, s[0:3], 0 offset:556
	buffer_load_dword v159, off, s[0:3], 0 offset:568
	;; [unrolled: 1-line block ×5, first 2 shown]
	s_waitcnt vmcnt(57) lgkmcnt(0)
	v_mul_f64 v[208:209], v[1:2], v[161:162]
	v_mul_f64 v[161:162], v[3:4], v[161:162]
	s_waitcnt vmcnt(56)
	v_fma_f64 v[157:158], v[5:6], v[145:146], -v[157:158]
	ds_read_b128 v[131:134], v192 offset:1296
	v_fma_f64 v[145:146], v[7:8], v[145:146], v[193:194]
	v_add_f64 v[143:144], v[143:144], v[151:152]
	v_add_f64 v[135:136], v[135:136], v[147:148]
	s_clause 0x2
	buffer_load_dword v160, off, s[0:3], 0 offset:572
	buffer_load_dword v148, off, s[0:3], 0 offset:548
	;; [unrolled: 1-line block ×3, first 2 shown]
	ds_read_b128 v[5:8], v192 offset:1312
	s_waitcnt vmcnt(58) lgkmcnt(1)
	v_mul_f64 v[151:152], v[131:132], v[165:166]
	v_mul_f64 v[165:166], v[133:134], v[165:166]
	s_waitcnt vmcnt(56)
	v_fma_f64 v[161:162], v[1:2], v[167:168], -v[161:162]
	v_add_f64 v[143:144], v[143:144], v[157:158]
	v_fma_f64 v[157:158], v[3:4], v[167:168], v[208:209]
	v_add_f64 v[135:136], v[135:136], v[145:146]
	s_clause 0x4
	buffer_load_dword v146, off, s[0:3], 0 offset:588
	buffer_load_dword v167, off, s[0:3], 0 offset:600
	;; [unrolled: 1-line block ×5, first 2 shown]
	s_waitcnt vmcnt(57) lgkmcnt(0)
	v_mul_f64 v[214:215], v[5:6], v[169:170]
	v_mul_f64 v[169:170], v[7:8], v[169:170]
	s_waitcnt vmcnt(56)
	v_fma_f64 v[165:166], v[131:132], v[153:154], -v[165:166]
	ds_read_b128 v[1:4], v192 offset:1328
	v_fma_f64 v[151:152], v[133:134], v[153:154], v[151:152]
	s_clause 0x2
	buffer_load_dword v168, off, s[0:3], 0 offset:604
	buffer_load_dword v154, off, s[0:3], 0 offset:580
	;; [unrolled: 1-line block ×3, first 2 shown]
	ds_read_b128 v[131:134], v192 offset:1344
	v_add_f64 v[143:144], v[143:144], v[161:162]
	v_add_f64 v[135:136], v[135:136], v[157:158]
	s_waitcnt vmcnt(58) lgkmcnt(1)
	v_mul_f64 v[161:162], v[3:4], v[173:174]
	s_waitcnt vmcnt(56)
	v_fma_f64 v[169:170], v[5:6], v[175:176], -v[169:170]
	v_mul_f64 v[157:158], v[1:2], v[173:174]
	v_add_f64 v[143:144], v[143:144], v[165:166]
	v_fma_f64 v[165:166], v[7:8], v[175:176], v[214:215]
	v_add_f64 v[135:136], v[135:136], v[151:152]
	s_clause 0x4
	buffer_load_dword v152, off, s[0:3], 0 offset:620
	buffer_load_dword v173, off, s[0:3], 0 offset:632
	;; [unrolled: 1-line block ×5, first 2 shown]
	s_waitcnt vmcnt(57) lgkmcnt(0)
	v_mul_f64 v[214:215], v[131:132], v[177:178]
	v_mul_f64 v[176:177], v[133:134], v[177:178]
	s_waitcnt vmcnt(56)
	v_fma_f64 v[161:162], v[1:2], v[163:164], -v[161:162]
	ds_read_b128 v[5:8], v192 offset:1360
	v_fma_f64 v[157:158], v[3:4], v[163:164], v[157:158]
	s_clause 0x2
	buffer_load_dword v174, off, s[0:3], 0 offset:636
	buffer_load_dword v164, off, s[0:3], 0 offset:612
	;; [unrolled: 1-line block ×3, first 2 shown]
	ds_read_b128 v[1:4], v192 offset:1376
	v_add_f64 v[143:144], v[143:144], v[169:170]
	v_add_f64 v[135:136], v[135:136], v[165:166]
	s_waitcnt vmcnt(58) lgkmcnt(1)
	v_mul_f64 v[169:170], v[7:8], v[181:182]
	s_waitcnt vmcnt(56)
	v_fma_f64 v[177:178], v[131:132], v[183:184], -v[176:177]
	v_mul_f64 v[165:166], v[5:6], v[181:182]
	v_add_f64 v[143:144], v[143:144], v[161:162]
	v_fma_f64 v[161:162], v[133:134], v[183:184], v[214:215]
	v_add_f64 v[135:136], v[135:136], v[157:158]
	s_clause 0x4
	buffer_load_dword v158, off, s[0:3], 0 offset:652
	buffer_load_dword v181, off, s[0:3], 0 offset:664
	;; [unrolled: 1-line block ×5, first 2 shown]
	s_waitcnt vmcnt(57) lgkmcnt(0)
	v_mul_f64 v[214:215], v[1:2], v[185:186]
	v_mul_f64 v[184:185], v[3:4], v[185:186]
	s_waitcnt vmcnt(56)
	v_fma_f64 v[169:170], v[5:6], v[171:172], -v[169:170]
	ds_read_b128 v[131:134], v192 offset:1392
	v_fma_f64 v[165:166], v[7:8], v[171:172], v[165:166]
	v_add_f64 v[143:144], v[143:144], v[177:178]
	v_add_f64 v[135:136], v[135:136], v[161:162]
	s_clause 0x2
	buffer_load_dword v182, off, s[0:3], 0 offset:668
	buffer_load_dword v162, off, s[0:3], 0 offset:644
	;; [unrolled: 1-line block ×3, first 2 shown]
	ds_read_b128 v[5:8], v192 offset:1408
	s_waitcnt vmcnt(58) lgkmcnt(1)
	v_mul_f64 v[177:178], v[133:134], v[187:188]
	s_waitcnt vmcnt(56)
	v_fma_f64 v[185:186], v[1:2], v[189:190], -v[184:185]
	v_mul_f64 v[171:172], v[131:132], v[187:188]
	v_add_f64 v[143:144], v[143:144], v[169:170]
	v_fma_f64 v[169:170], v[3:4], v[189:190], v[214:215]
	v_add_f64 v[135:136], v[135:136], v[165:166]
	s_clause 0x4
	buffer_load_dword v166, off, s[0:3], 0 offset:684
	buffer_load_dword v187, off, s[0:3], 0 offset:696
	;; [unrolled: 1-line block ×5, first 2 shown]
	s_waitcnt vmcnt(57) lgkmcnt(0)
	v_mul_f64 v[214:215], v[5:6], v[199:200]
	v_mul_f64 v[199:200], v[7:8], v[199:200]
	s_waitcnt vmcnt(56)
	v_fma_f64 v[177:178], v[131:132], v[179:180], -v[177:178]
	ds_read_b128 v[1:4], v192 offset:1424
	v_fma_f64 v[171:172], v[133:134], v[179:180], v[171:172]
	v_add_f64 v[143:144], v[143:144], v[185:186]
	v_add_f64 v[135:136], v[135:136], v[169:170]
	s_clause 0x2
	buffer_load_dword v188, off, s[0:3], 0 offset:700
	buffer_load_dword v170, off, s[0:3], 0 offset:676
	;; [unrolled: 1-line block ×3, first 2 shown]
	ds_read_b128 v[131:134], v192 offset:1440
	s_waitcnt vmcnt(58) lgkmcnt(1)
	v_mul_f64 v[185:186], v[3:4], v[201:202]
	v_mul_f64 v[179:180], v[1:2], v[201:202]
	s_waitcnt vmcnt(56)
	v_fma_f64 v[199:200], v[5:6], v[139:140], -v[199:200]
	v_fma_f64 v[139:140], v[7:8], v[139:140], v[214:215]
	v_add_f64 v[143:144], v[143:144], v[177:178]
	v_add_f64 v[135:136], v[135:136], v[171:172]
	s_clause 0x4
	buffer_load_dword v172, off, s[0:3], 0 offset:716
	buffer_load_dword v177, off, s[0:3], 0 offset:728
	;; [unrolled: 1-line block ×5, first 2 shown]
	ds_read_b128 v[5:8], v192 offset:1456
	s_waitcnt vmcnt(57) lgkmcnt(1)
	v_mul_f64 v[214:215], v[131:132], v[137:138]
	v_mul_f64 v[137:138], v[133:134], v[137:138]
	s_waitcnt vmcnt(56)
	v_fma_f64 v[185:186], v[1:2], v[203:204], -v[185:186]
	v_fma_f64 v[179:180], v[3:4], v[203:204], v[179:180]
	v_add_f64 v[143:144], v[143:144], v[199:200]
	v_add_f64 v[135:136], v[135:136], v[139:140]
	s_clause 0x2
	buffer_load_dword v178, off, s[0:3], 0 offset:732
	buffer_load_dword v140, off, s[0:3], 0 offset:708
	;; [unrolled: 1-line block ×3, first 2 shown]
	s_waitcnt vmcnt(58) lgkmcnt(0)
	v_mul_f64 v[203:204], v[7:8], v[205:206]
	ds_read_b128 v[1:4], v192 offset:1472
	v_mul_f64 v[199:200], v[5:6], v[205:206]
	s_waitcnt vmcnt(56)
	v_fma_f64 v[137:138], v[131:132], v[195:196], -v[137:138]
	v_add_f64 v[143:144], v[143:144], v[185:186]
	v_fma_f64 v[185:186], v[133:134], v[195:196], v[214:215]
	v_add_f64 v[135:136], v[135:136], v[179:180]
	s_clause 0x4
	buffer_load_dword v180, off, s[0:3], 0 offset:748
	buffer_load_dword v195, off, s[0:3], 0 offset:760
	buffer_load_dword v205, off, s[0:3], 0 offset:752
	buffer_load_dword v179, off, s[0:3], 0 offset:744
	buffer_load_dword v202, off, s[0:3], 0 offset:724
	ds_read_b128 v[131:134], v192 offset:1488
	s_waitcnt vmcnt(57) lgkmcnt(1)
	v_mul_f64 v[214:215], v[1:2], v[155:156]
	v_mul_f64 v[155:156], v[3:4], v[155:156]
	s_waitcnt vmcnt(56)
	v_fma_f64 v[203:204], v[5:6], v[210:211], -v[203:204]
	v_add_f64 v[137:138], v[143:144], v[137:138]
	v_fma_f64 v[143:144], v[7:8], v[210:211], v[199:200]
	v_add_f64 v[135:136], v[135:136], v[185:186]
	s_clause 0x2
	buffer_load_dword v196, off, s[0:3], 0 offset:764
	buffer_load_dword v186, off, s[0:3], 0 offset:740
	;; [unrolled: 1-line block ×3, first 2 shown]
	ds_read_b128 v[5:8], v192 offset:1504
	s_waitcnt vmcnt(58) lgkmcnt(1)
	v_mul_f64 v[199:200], v[131:132], v[197:198]
	v_mul_f64 v[197:198], v[133:134], v[197:198]
	s_waitcnt vmcnt(56)
	v_fma_f64 v[155:156], v[1:2], v[149:150], -v[155:156]
	v_fma_f64 v[149:150], v[3:4], v[149:150], v[214:215]
	v_add_f64 v[137:138], v[137:138], v[203:204]
	v_add_f64 v[135:136], v[135:136], v[143:144]
	s_clause 0x4
	buffer_load_dword v144, off, s[0:3], 0 offset:780
	buffer_load_dword v203, off, s[0:3], 0 offset:792
	buffer_load_dword v209, off, s[0:3], 0 offset:784
	buffer_load_dword v143, off, s[0:3], 0 offset:776
	buffer_load_dword v206, off, s[0:3], 0 offset:756
	ds_read_b128 v[1:4], v192 offset:1520
	s_waitcnt vmcnt(57) lgkmcnt(1)
	v_mul_f64 v[210:211], v[5:6], v[141:142]
	v_mul_f64 v[141:142], v[7:8], v[141:142]
	s_waitcnt vmcnt(56)
	v_fma_f64 v[197:198], v[131:132], v[212:213], -v[197:198]
	v_add_f64 v[137:138], v[137:138], v[155:156]
	v_fma_f64 v[155:156], v[133:134], v[212:213], v[199:200]
	v_add_f64 v[135:136], v[135:136], v[149:150]
	s_clause 0x2
	buffer_load_dword v204, off, s[0:3], 0 offset:796
	buffer_load_dword v150, off, s[0:3], 0 offset:772
	;; [unrolled: 1-line block ×3, first 2 shown]
	ds_read_b128 v[131:134], v192 offset:1536
	s_waitcnt vmcnt(58) lgkmcnt(1)
	v_mul_f64 v[199:200], v[1:2], v[159:160]
	v_mul_f64 v[159:160], v[3:4], v[159:160]
	s_waitcnt vmcnt(56)
	v_fma_f64 v[141:142], v[5:6], v[147:148], -v[141:142]
	v_fma_f64 v[147:148], v[7:8], v[147:148], v[210:211]
	v_add_f64 v[137:138], v[137:138], v[197:198]
	v_add_f64 v[135:136], v[135:136], v[155:156]
	s_clause 0x4
	buffer_load_dword v156, off, s[0:3], 0 offset:812
	buffer_load_dword v197, off, s[0:3], 0 offset:824
	buffer_load_dword v211, off, s[0:3], 0 offset:816
	buffer_load_dword v155, off, s[0:3], 0 offset:808
	buffer_load_dword v210, off, s[0:3], 0 offset:788
	ds_read_b128 v[5:8], v192 offset:1552
	s_waitcnt vmcnt(57) lgkmcnt(1)
	v_mul_f64 v[212:213], v[131:132], v[145:146]
	v_mul_f64 v[145:146], v[133:134], v[145:146]
	s_waitcnt vmcnt(56)
	v_fma_f64 v[159:160], v[1:2], v[207:208], -v[159:160]
	v_add_f64 v[137:138], v[137:138], v[141:142]
	v_fma_f64 v[141:142], v[3:4], v[207:208], v[199:200]
	v_add_f64 v[135:136], v[135:136], v[147:148]
	s_clause 0x2
	buffer_load_dword v198, off, s[0:3], 0 offset:828
	buffer_load_dword v148, off, s[0:3], 0 offset:804
	;; [unrolled: 1-line block ×3, first 2 shown]
	s_waitcnt vmcnt(58) lgkmcnt(0)
	v_mul_f64 v[199:200], v[5:6], v[167:168]
	v_mul_f64 v[167:168], v[7:8], v[167:168]
	ds_read_b128 v[1:4], v192 offset:1568
	s_waitcnt vmcnt(56)
	v_fma_f64 v[145:146], v[131:132], v[153:154], -v[145:146]
	v_fma_f64 v[153:154], v[133:134], v[153:154], v[212:213]
	v_add_f64 v[137:138], v[137:138], v[159:160]
	v_add_f64 v[135:136], v[135:136], v[141:142]
	s_clause 0x4
	buffer_load_dword v142, off, s[0:3], 0 offset:844
	buffer_load_dword v159, off, s[0:3], 0 offset:856
	;; [unrolled: 1-line block ×5, first 2 shown]
	ds_read_b128 v[131:134], v192 offset:1584
	s_waitcnt vmcnt(57) lgkmcnt(1)
	v_mul_f64 v[213:214], v[1:2], v[151:152]
	v_mul_f64 v[151:152], v[3:4], v[151:152]
	s_waitcnt vmcnt(56)
	v_fma_f64 v[167:168], v[5:6], v[193:194], -v[167:168]
	v_add_f64 v[137:138], v[137:138], v[145:146]
	v_fma_f64 v[145:146], v[7:8], v[193:194], v[199:200]
	v_add_f64 v[135:136], v[135:136], v[153:154]
	s_clause 0x2
	buffer_load_dword v160, off, s[0:3], 0 offset:860
	buffer_load_dword v154, off, s[0:3], 0 offset:836
	buffer_load_dword v153, off, s[0:3], 0 offset:832
	s_waitcnt vmcnt(58) lgkmcnt(0)
	v_mul_f64 v[193:194], v[131:132], v[173:174]
	v_mul_f64 v[173:174], v[133:134], v[173:174]
	ds_read_b128 v[5:8], v192 offset:1600
	s_waitcnt vmcnt(56)
	v_fma_f64 v[151:152], v[1:2], v[163:164], -v[151:152]
	v_fma_f64 v[163:164], v[3:4], v[163:164], v[213:214]
	v_add_f64 v[137:138], v[137:138], v[167:168]
	v_add_f64 v[135:136], v[135:136], v[145:146]
	s_clause 0x4
	buffer_load_dword v146, off, s[0:3], 0 offset:876
	buffer_load_dword v167, off, s[0:3], 0 offset:888
	buffer_load_dword v199, off, s[0:3], 0 offset:880
	buffer_load_dword v145, off, s[0:3], 0 offset:872
	buffer_load_dword v208, off, s[0:3], 0 offset:852
	ds_read_b128 v[1:4], v192 offset:1616
	s_waitcnt vmcnt(57) lgkmcnt(1)
	v_mul_f64 v[213:214], v[5:6], v[157:158]
	v_mul_f64 v[157:158], v[7:8], v[157:158]
	s_waitcnt vmcnt(56)
	v_fma_f64 v[173:174], v[131:132], v[175:176], -v[173:174]
	v_add_f64 v[137:138], v[137:138], v[151:152]
	v_fma_f64 v[151:152], v[133:134], v[175:176], v[193:194]
	v_add_f64 v[135:136], v[135:136], v[163:164]
	s_clause 0x2
	buffer_load_dword v168, off, s[0:3], 0 offset:892
	buffer_load_dword v164, off, s[0:3], 0 offset:868
	buffer_load_dword v163, off, s[0:3], 0 offset:864
	ds_read_b128 v[131:134], v192 offset:1632
	s_waitcnt vmcnt(58) lgkmcnt(1)
	v_mul_f64 v[175:176], v[1:2], v[181:182]
	v_mul_f64 v[181:182], v[3:4], v[181:182]
	s_waitcnt vmcnt(56)
	v_fma_f64 v[157:158], v[5:6], v[161:162], -v[157:158]
	v_fma_f64 v[161:162], v[7:8], v[161:162], v[213:214]
	v_add_f64 v[137:138], v[137:138], v[173:174]
	v_add_f64 v[135:136], v[135:136], v[151:152]
	s_clause 0x4
	buffer_load_dword v152, off, s[0:3], 0 offset:908
	buffer_load_dword v173, off, s[0:3], 0 offset:920
	buffer_load_dword v193, off, s[0:3], 0 offset:912
	buffer_load_dword v151, off, s[0:3], 0 offset:904
	buffer_load_dword v200, off, s[0:3], 0 offset:884
	ds_read_b128 v[5:8], v192 offset:1648
	s_waitcnt vmcnt(57) lgkmcnt(1)
	v_mul_f64 v[213:214], v[131:132], v[165:166]
	v_mul_f64 v[165:166], v[133:134], v[165:166]
	s_waitcnt vmcnt(56)
	v_fma_f64 v[181:182], v[1:2], v[183:184], -v[181:182]
	v_add_f64 v[137:138], v[137:138], v[157:158]
	v_fma_f64 v[157:158], v[3:4], v[183:184], v[175:176]
	v_add_f64 v[135:136], v[135:136], v[161:162]
	s_clause 0x2
	buffer_load_dword v174, off, s[0:3], 0 offset:924
	buffer_load_dword v162, off, s[0:3], 0 offset:900
	buffer_load_dword v161, off, s[0:3], 0 offset:896
	ds_read_b128 v[1:4], v192 offset:1664
	s_waitcnt vmcnt(58) lgkmcnt(1)
	v_mul_f64 v[183:184], v[7:8], v[187:188]
	v_mul_f64 v[175:176], v[5:6], v[187:188]
	;; [unrolled: 28-line block ×3, first 2 shown]
	s_waitcnt vmcnt(56)
	v_fma_f64 v[171:172], v[1:2], v[139:140], -v[171:172]
	v_fma_f64 v[139:140], v[3:4], v[139:140], v[213:214]
	v_add_f64 v[137:138], v[137:138], v[183:184]
	v_add_f64 v[135:136], v[135:136], v[165:166]
	s_clause 0x4
	buffer_load_dword v166, off, s[0:3], 0 offset:972
	buffer_load_dword v183, off, s[0:3], 0 offset:984
	;; [unrolled: 1-line block ×5, first 2 shown]
	ds_read_b128 v[1:4], v192 offset:1712
	s_waitcnt vmcnt(57) lgkmcnt(1)
	v_mul_f64 v[213:214], v[5:6], v[179:180]
	v_mul_f64 v[179:180], v[7:8], v[179:180]
	s_waitcnt vmcnt(56)
	v_fma_f64 v[177:178], v[131:132], v[201:202], -v[177:178]
	v_add_f64 v[137:138], v[137:138], v[171:172]
	v_fma_f64 v[171:172], v[133:134], v[201:202], v[175:176]
	v_add_f64 v[135:136], v[135:136], v[139:140]
	s_clause 0x2
	buffer_load_dword v184, off, s[0:3], 0 offset:988
	buffer_load_dword v140, off, s[0:3], 0 offset:964
	;; [unrolled: 1-line block ×3, first 2 shown]
	ds_read_b128 v[131:134], v192 offset:1728
	buffer_load_dword v190, off, s[0:3], 0 offset:980
	s_waitcnt vmcnt(59) lgkmcnt(1)
	v_mul_f64 v[175:176], v[1:2], v[195:196]
	v_mul_f64 v[195:196], v[3:4], v[195:196]
	s_waitcnt vmcnt(57)
	v_fma_f64 v[179:180], v[5:6], v[185:186], -v[179:180]
	v_add_f64 v[137:138], v[137:138], v[177:178]
	v_fma_f64 v[177:178], v[7:8], v[185:186], v[213:214]
	v_add_f64 v[135:136], v[135:136], v[171:172]
	ds_read_b128 v[5:8], v192 offset:1744
	s_waitcnt vmcnt(53) lgkmcnt(1)
	v_mul_f64 v[171:172], v[131:132], v[143:144]
	v_mul_f64 v[143:144], v[133:134], v[143:144]
	s_waitcnt vmcnt(52)
	v_fma_f64 v[185:186], v[1:2], v[205:206], -v[195:196]
	v_fma_f64 v[175:176], v[3:4], v[205:206], v[175:176]
	ds_read_b128 v[1:4], v192 offset:1760
	v_add_f64 v[137:138], v[137:138], v[179:180]
	v_add_f64 v[135:136], v[135:136], v[177:178]
	s_waitcnt vmcnt(51) lgkmcnt(1)
	v_mul_f64 v[179:180], v[7:8], v[203:204]
	v_mul_f64 v[177:178], v[5:6], v[203:204]
	s_waitcnt vmcnt(49)
	v_fma_f64 v[143:144], v[131:132], v[149:150], -v[143:144]
	v_fma_f64 v[149:150], v[133:134], v[149:150], v[171:172]
	v_add_f64 v[137:138], v[137:138], v[185:186]
	v_add_f64 v[135:136], v[135:136], v[175:176]
	s_clause 0x3
	buffer_load_dword v171, off, s[0:3], 0 offset:192
	buffer_load_dword v172, off, s[0:3], 0 offset:196
	;; [unrolled: 1-line block ×4, first 2 shown]
	ds_read_b128 v[131:134], v192 offset:1776
	s_waitcnt vmcnt(49) lgkmcnt(1)
	v_mul_f64 v[185:186], v[1:2], v[155:156]
	v_mul_f64 v[155:156], v[3:4], v[155:156]
	s_waitcnt vmcnt(48)
	v_fma_f64 v[179:180], v[5:6], v[209:210], -v[179:180]
	v_add_f64 v[137:138], v[137:138], v[143:144]
	v_fma_f64 v[143:144], v[7:8], v[209:210], v[177:178]
	v_add_f64 v[135:136], v[135:136], v[149:150]
	ds_read_b128 v[5:8], v192 offset:1792
	s_waitcnt vmcnt(47) lgkmcnt(1)
	v_mul_f64 v[177:178], v[133:134], v[197:198]
	v_mul_f64 v[149:150], v[131:132], v[197:198]
	s_waitcnt vmcnt(45)
	v_fma_f64 v[155:156], v[1:2], v[147:148], -v[155:156]
	v_fma_f64 v[147:148], v[3:4], v[147:148], v[185:186]
	ds_read_b128 v[1:4], v192 offset:1808
	v_add_f64 v[137:138], v[137:138], v[179:180]
	v_add_f64 v[135:136], v[135:136], v[143:144]
	s_waitcnt vmcnt(41) lgkmcnt(1)
	v_mul_f64 v[143:144], v[5:6], v[141:142]
	v_mul_f64 v[141:142], v[7:8], v[141:142]
	s_waitcnt vmcnt(40)
	v_fma_f64 v[177:178], v[131:132], v[211:212], -v[177:178]
	v_fma_f64 v[149:150], v[133:134], v[211:212], v[149:150]
	ds_read_b128 v[131:134], v192 offset:1824
	v_add_f64 v[137:138], v[137:138], v[155:156]
	v_add_f64 v[135:136], v[135:136], v[147:148]
	;; [unrolled: 9-line block ×3, first 2 shown]
	s_waitcnt vmcnt(33) lgkmcnt(1)
	v_mul_f64 v[149:150], v[131:132], v[145:146]
	v_mul_f64 v[145:146], v[133:134], v[145:146]
	s_waitcnt vmcnt(32)
	v_fma_f64 v[153:154], v[1:2], v[207:208], -v[155:156]
	v_add_f64 v[137:138], v[137:138], v[141:142]
	v_fma_f64 v[141:142], v[3:4], v[207:208], v[147:148]
	v_add_f64 v[135:136], v[135:136], v[143:144]
	ds_read_b128 v[1:4], v192 offset:1856
	s_waitcnt vmcnt(31) lgkmcnt(1)
	v_mul_f64 v[147:148], v[7:8], v[167:168]
	v_mul_f64 v[143:144], v[5:6], v[167:168]
	s_waitcnt vmcnt(29)
	v_fma_f64 v[145:146], v[131:132], v[163:164], -v[145:146]
	v_fma_f64 v[149:150], v[133:134], v[163:164], v[149:150]
	ds_read_b128 v[131:134], v192 offset:1872
	v_add_f64 v[137:138], v[137:138], v[153:154]
	v_add_f64 v[135:136], v[135:136], v[141:142]
	s_waitcnt vmcnt(25) lgkmcnt(1)
	v_mul_f64 v[141:142], v[1:2], v[151:152]
	v_mul_f64 v[151:152], v[3:4], v[151:152]
	s_waitcnt vmcnt(24)
	v_fma_f64 v[147:148], v[5:6], v[199:200], -v[147:148]
	v_fma_f64 v[143:144], v[7:8], v[199:200], v[143:144]
	ds_read_b128 v[5:8], v192 offset:1888
	v_add_f64 v[137:138], v[137:138], v[145:146]
	v_add_f64 v[135:136], v[135:136], v[149:150]
	;; [unrolled: 9-line block ×3, first 2 shown]
	s_waitcnt vmcnt(17) lgkmcnt(1)
	v_mul_f64 v[147:148], v[7:8], v[157:158]
	s_waitcnt vmcnt(16)
	v_fma_f64 v[149:150], v[131:132], v[193:194], -v[149:150]
	v_mul_f64 v[143:144], v[5:6], v[157:158]
	v_fma_f64 v[145:146], v[133:134], v[193:194], v[145:146]
	ds_read_b128 v[131:134], v192 offset:1920
	v_add_f64 v[137:138], v[137:138], v[151:152]
	v_add_f64 v[135:136], v[135:136], v[141:142]
	s_waitcnt vmcnt(15) lgkmcnt(1)
	v_mul_f64 v[151:152], v[3:4], v[181:182]
	v_mul_f64 v[141:142], v[1:2], v[181:182]
	s_waitcnt vmcnt(13)
	v_fma_f64 v[147:148], v[5:6], v[169:170], -v[147:148]
	v_fma_f64 v[143:144], v[7:8], v[169:170], v[143:144]
	ds_read_b128 v[5:8], v192 offset:1936
	v_add_f64 v[137:138], v[137:138], v[149:150]
	v_add_f64 v[135:136], v[135:136], v[145:146]
	s_waitcnt vmcnt(9) lgkmcnt(1)
	v_mul_f64 v[149:150], v[133:134], v[165:166]
	s_waitcnt vmcnt(8)
	v_fma_f64 v[1:2], v[1:2], v[187:188], -v[151:152]
	v_mul_f64 v[145:146], v[131:132], v[165:166]
	v_fma_f64 v[3:4], v[3:4], v[187:188], v[141:142]
	v_add_f64 v[137:138], v[137:138], v[147:148]
	v_add_f64 v[135:136], v[135:136], v[143:144]
	s_waitcnt vmcnt(7) lgkmcnt(0)
	v_mul_f64 v[143:144], v[7:8], v[183:184]
	v_mul_f64 v[141:142], v[5:6], v[183:184]
	s_waitcnt vmcnt(5)
	v_fma_f64 v[131:132], v[131:132], v[139:140], -v[149:150]
	v_fma_f64 v[133:134], v[133:134], v[139:140], v[145:146]
	v_add_f64 v[1:2], v[137:138], v[1:2]
	v_add_f64 v[3:4], v[135:136], v[3:4]
	s_waitcnt vmcnt(4)
	v_fma_f64 v[5:6], v[5:6], v[189:190], -v[143:144]
	v_fma_f64 v[7:8], v[7:8], v[189:190], v[141:142]
	v_add_f64 v[1:2], v[1:2], v[131:132]
	v_add_f64 v[3:4], v[3:4], v[133:134]
	;; [unrolled: 1-line block ×4, first 2 shown]
	s_waitcnt vmcnt(2)
	v_add_f64 v[1:2], v[171:172], -v[1:2]
	s_waitcnt vmcnt(0)
	v_add_f64 v[3:4], v[175:176], -v[3:4]
	buffer_store_dword v2, off, s[0:3], 0 offset:196
	buffer_store_dword v1, off, s[0:3], 0 offset:192
	buffer_store_dword v4, off, s[0:3], 0 offset:204
	buffer_store_dword v3, off, s[0:3], 0 offset:200
	v_cmpx_lt_u32_e32 10, v0
	s_cbranch_execz .LBB124_371
; %bb.370:
	v_mov_b32_e32 v4, s65
	s_clause 0x3
	buffer_load_dword v1, v4, s[0:3], 0 offen
	buffer_load_dword v2, v4, s[0:3], 0 offen offset:4
	buffer_load_dword v3, v4, s[0:3], 0 offen offset:8
	;; [unrolled: 1-line block ×3, first 2 shown]
	buffer_store_dword v192, off, s[0:3], 0 offset:176
	buffer_store_dword v192, off, s[0:3], 0 offset:180
	;; [unrolled: 1-line block ×4, first 2 shown]
	s_waitcnt vmcnt(0)
	ds_write_b128 v191, v[1:4]
.LBB124_371:
	s_or_b32 exec_lo, exec_lo, s4
	s_waitcnt lgkmcnt(0)
	s_waitcnt_vscnt null, 0x0
	s_barrier
	buffer_gl0_inv
	s_clause 0x37
	buffer_load_dword v139, off, s[0:3], 0 offset:200
	buffer_load_dword v140, off, s[0:3], 0 offset:204
	buffer_load_dword v135, off, s[0:3], 0 offset:216
	buffer_load_dword v136, off, s[0:3], 0 offset:220
	buffer_load_dword v137, off, s[0:3], 0 offset:192
	buffer_load_dword v138, off, s[0:3], 0 offset:196
	buffer_load_dword v133, off, s[0:3], 0 offset:232
	buffer_load_dword v134, off, s[0:3], 0 offset:236
	buffer_load_dword v131, off, s[0:3], 0 offset:208
	buffer_load_dword v132, off, s[0:3], 0 offset:212
	buffer_load_dword v144, off, s[0:3], 0 offset:252
	buffer_load_dword v147, off, s[0:3], 0 offset:264
	buffer_load_dword v141, off, s[0:3], 0 offset:256
	buffer_load_dword v143, off, s[0:3], 0 offset:248
	buffer_load_dword v155, off, s[0:3], 0 offset:224
	buffer_load_dword v156, off, s[0:3], 0 offset:228
	buffer_load_dword v148, off, s[0:3], 0 offset:268
	buffer_load_dword v150, off, s[0:3], 0 offset:244
	buffer_load_dword v149, off, s[0:3], 0 offset:240
	buffer_load_dword v152, off, s[0:3], 0 offset:284
	buffer_load_dword v157, off, s[0:3], 0 offset:296
	buffer_load_dword v145, off, s[0:3], 0 offset:288
	buffer_load_dword v151, off, s[0:3], 0 offset:280
	buffer_load_dword v142, off, s[0:3], 0 offset:260
	buffer_load_dword v158, off, s[0:3], 0 offset:300
	buffer_load_dword v160, off, s[0:3], 0 offset:276
	buffer_load_dword v159, off, s[0:3], 0 offset:272
	buffer_load_dword v162, off, s[0:3], 0 offset:316
	buffer_load_dword v165, off, s[0:3], 0 offset:328
	buffer_load_dword v153, off, s[0:3], 0 offset:320
	buffer_load_dword v161, off, s[0:3], 0 offset:312
	buffer_load_dword v146, off, s[0:3], 0 offset:292
	buffer_load_dword v166, off, s[0:3], 0 offset:332
	buffer_load_dword v168, off, s[0:3], 0 offset:308
	buffer_load_dword v167, off, s[0:3], 0 offset:304
	buffer_load_dword v170, off, s[0:3], 0 offset:348
	buffer_load_dword v173, off, s[0:3], 0 offset:360
	buffer_load_dword v163, off, s[0:3], 0 offset:352
	buffer_load_dword v169, off, s[0:3], 0 offset:344
	buffer_load_dword v154, off, s[0:3], 0 offset:324
	buffer_load_dword v174, off, s[0:3], 0 offset:364
	buffer_load_dword v176, off, s[0:3], 0 offset:340
	buffer_load_dword v175, off, s[0:3], 0 offset:336
	buffer_load_dword v178, off, s[0:3], 0 offset:380
	buffer_load_dword v181, off, s[0:3], 0 offset:392
	buffer_load_dword v171, off, s[0:3], 0 offset:384
	buffer_load_dword v177, off, s[0:3], 0 offset:376
	buffer_load_dword v164, off, s[0:3], 0 offset:356
	buffer_load_dword v182, off, s[0:3], 0 offset:396
	buffer_load_dword v184, off, s[0:3], 0 offset:372
	buffer_load_dword v183, off, s[0:3], 0 offset:368
	buffer_load_dword v186, off, s[0:3], 0 offset:412
	buffer_load_dword v187, off, s[0:3], 0 offset:424
	buffer_load_dword v179, off, s[0:3], 0 offset:416
	buffer_load_dword v185, off, s[0:3], 0 offset:408
	buffer_load_dword v172, off, s[0:3], 0 offset:388
	ds_read_b128 v[5:8], v192 offset:1152
	s_clause 0x2
	buffer_load_dword v188, off, s[0:3], 0 offset:428
	buffer_load_dword v190, off, s[0:3], 0 offset:404
	;; [unrolled: 1-line block ×3, first 2 shown]
	ds_read_b128 v[1:4], v192 offset:1168
	s_clause 0x4
	buffer_load_dword v200, off, s[0:3], 0 offset:444
	buffer_load_dword v201, off, s[0:3], 0 offset:456
	;; [unrolled: 1-line block ×5, first 2 shown]
	ds_read_b128 v[193:196], v192 offset:1184
	s_mov_b32 s4, exec_lo
	s_waitcnt vmcnt(62) lgkmcnt(2)
	v_mul_f64 v[197:198], v[7:8], v[139:140]
	v_mul_f64 v[139:140], v[5:6], v[139:140]
	s_waitcnt vmcnt(60) lgkmcnt(1)
	v_mul_f64 v[204:205], v[3:4], v[135:136]
	v_mul_f64 v[135:136], v[1:2], v[135:136]
	;; [unrolled: 3-line block ×3, first 2 shown]
	v_fma_f64 v[197:198], v[5:6], v[137:138], -v[197:198]
	v_fma_f64 v[137:138], v[7:8], v[137:138], v[139:140]
	s_clause 0x2
	buffer_load_dword v202, off, s[0:3], 0 offset:460
	buffer_load_dword v140, off, s[0:3], 0 offset:436
	;; [unrolled: 1-line block ×3, first 2 shown]
	s_waitcnt vmcnt(57)
	v_fma_f64 v[208:209], v[1:2], v[131:132], -v[204:205]
	ds_read_b128 v[5:8], v192 offset:1200
	v_fma_f64 v[131:132], v[3:4], v[131:132], v[135:136]
	s_waitcnt vmcnt(51)
	v_fma_f64 v[193:194], v[193:194], v[155:156], -v[133:134]
	v_fma_f64 v[155:156], v[195:196], v[155:156], v[206:207]
	v_add_f64 v[197:198], v[197:198], 0
	v_add_f64 v[135:136], v[137:138], 0
	s_clause 0x4
	buffer_load_dword v138, off, s[0:3], 0 offset:476
	buffer_load_dword v205, off, s[0:3], 0 offset:488
	;; [unrolled: 1-line block ×5, first 2 shown]
	s_waitcnt lgkmcnt(0)
	v_mul_f64 v[211:212], v[5:6], v[143:144]
	v_mul_f64 v[143:144], v[7:8], v[143:144]
	ds_read_b128 v[1:4], v192 offset:1216
	s_clause 0x2
	buffer_load_dword v206, off, s[0:3], 0 offset:492
	buffer_load_dword v196, off, s[0:3], 0 offset:468
	;; [unrolled: 1-line block ×3, first 2 shown]
	v_add_f64 v[197:198], v[197:198], v[208:209]
	v_add_f64 v[135:136], v[135:136], v[131:132]
	ds_read_b128 v[131:134], v192 offset:1232
	s_waitcnt vmcnt(58) lgkmcnt(1)
	v_mul_f64 v[207:208], v[1:2], v[147:148]
	v_mul_f64 v[147:148], v[3:4], v[147:148]
	s_waitcnt vmcnt(56)
	v_fma_f64 v[143:144], v[5:6], v[149:150], -v[143:144]
	v_fma_f64 v[149:150], v[7:8], v[149:150], v[211:212]
	s_waitcnt vmcnt(52) lgkmcnt(0)
	v_mul_f64 v[213:214], v[131:132], v[151:152]
	v_add_f64 v[193:194], v[197:198], v[193:194]
	v_add_f64 v[135:136], v[135:136], v[155:156]
	s_clause 0x4
	buffer_load_dword v156, off, s[0:3], 0 offset:508
	buffer_load_dword v197, off, s[0:3], 0 offset:520
	;; [unrolled: 1-line block ×5, first 2 shown]
	v_mul_f64 v[151:152], v[133:134], v[151:152]
	s_waitcnt vmcnt(56)
	v_fma_f64 v[147:148], v[1:2], v[141:142], -v[147:148]
	ds_read_b128 v[5:8], v192 offset:1248
	v_fma_f64 v[141:142], v[3:4], v[141:142], v[207:208]
	v_add_f64 v[143:144], v[193:194], v[143:144]
	v_add_f64 v[135:136], v[135:136], v[149:150]
	s_clause 0x2
	buffer_load_dword v198, off, s[0:3], 0 offset:524
	buffer_load_dword v150, off, s[0:3], 0 offset:500
	;; [unrolled: 1-line block ×3, first 2 shown]
	s_waitcnt vmcnt(58) lgkmcnt(0)
	v_mul_f64 v[193:194], v[5:6], v[157:158]
	v_mul_f64 v[157:158], v[7:8], v[157:158]
	s_waitcnt vmcnt(56)
	v_fma_f64 v[151:152], v[131:132], v[159:160], -v[151:152]
	ds_read_b128 v[1:4], v192 offset:1264
	v_add_f64 v[143:144], v[143:144], v[147:148]
	v_fma_f64 v[147:148], v[133:134], v[159:160], v[213:214]
	v_add_f64 v[135:136], v[135:136], v[141:142]
	s_clause 0x4
	buffer_load_dword v142, off, s[0:3], 0 offset:540
	buffer_load_dword v159, off, s[0:3], 0 offset:552
	;; [unrolled: 1-line block ×5, first 2 shown]
	s_waitcnt vmcnt(57) lgkmcnt(0)
	v_mul_f64 v[208:209], v[1:2], v[161:162]
	v_mul_f64 v[161:162], v[3:4], v[161:162]
	s_waitcnt vmcnt(56)
	v_fma_f64 v[157:158], v[5:6], v[145:146], -v[157:158]
	ds_read_b128 v[131:134], v192 offset:1280
	v_fma_f64 v[145:146], v[7:8], v[145:146], v[193:194]
	v_add_f64 v[143:144], v[143:144], v[151:152]
	v_add_f64 v[135:136], v[135:136], v[147:148]
	s_clause 0x2
	buffer_load_dword v160, off, s[0:3], 0 offset:556
	buffer_load_dword v148, off, s[0:3], 0 offset:532
	;; [unrolled: 1-line block ×3, first 2 shown]
	ds_read_b128 v[5:8], v192 offset:1296
	s_waitcnt vmcnt(58) lgkmcnt(1)
	v_mul_f64 v[151:152], v[131:132], v[165:166]
	v_mul_f64 v[165:166], v[133:134], v[165:166]
	s_waitcnt vmcnt(56)
	v_fma_f64 v[161:162], v[1:2], v[167:168], -v[161:162]
	v_add_f64 v[143:144], v[143:144], v[157:158]
	v_fma_f64 v[157:158], v[3:4], v[167:168], v[208:209]
	v_add_f64 v[135:136], v[135:136], v[145:146]
	s_clause 0x4
	buffer_load_dword v146, off, s[0:3], 0 offset:572
	buffer_load_dword v167, off, s[0:3], 0 offset:584
	;; [unrolled: 1-line block ×5, first 2 shown]
	s_waitcnt vmcnt(57) lgkmcnt(0)
	v_mul_f64 v[214:215], v[5:6], v[169:170]
	v_mul_f64 v[169:170], v[7:8], v[169:170]
	s_waitcnt vmcnt(56)
	v_fma_f64 v[165:166], v[131:132], v[153:154], -v[165:166]
	ds_read_b128 v[1:4], v192 offset:1312
	v_fma_f64 v[151:152], v[133:134], v[153:154], v[151:152]
	s_clause 0x2
	buffer_load_dword v168, off, s[0:3], 0 offset:588
	buffer_load_dword v154, off, s[0:3], 0 offset:564
	;; [unrolled: 1-line block ×3, first 2 shown]
	ds_read_b128 v[131:134], v192 offset:1328
	v_add_f64 v[143:144], v[143:144], v[161:162]
	v_add_f64 v[135:136], v[135:136], v[157:158]
	s_waitcnt vmcnt(58) lgkmcnt(1)
	v_mul_f64 v[161:162], v[3:4], v[173:174]
	s_waitcnt vmcnt(56)
	v_fma_f64 v[169:170], v[5:6], v[175:176], -v[169:170]
	v_mul_f64 v[157:158], v[1:2], v[173:174]
	v_add_f64 v[143:144], v[143:144], v[165:166]
	v_fma_f64 v[165:166], v[7:8], v[175:176], v[214:215]
	v_add_f64 v[135:136], v[135:136], v[151:152]
	s_clause 0x4
	buffer_load_dword v152, off, s[0:3], 0 offset:604
	buffer_load_dword v173, off, s[0:3], 0 offset:616
	;; [unrolled: 1-line block ×5, first 2 shown]
	s_waitcnt vmcnt(57) lgkmcnt(0)
	v_mul_f64 v[214:215], v[131:132], v[177:178]
	v_mul_f64 v[176:177], v[133:134], v[177:178]
	s_waitcnt vmcnt(56)
	v_fma_f64 v[161:162], v[1:2], v[163:164], -v[161:162]
	ds_read_b128 v[5:8], v192 offset:1344
	v_fma_f64 v[157:158], v[3:4], v[163:164], v[157:158]
	s_clause 0x2
	buffer_load_dword v174, off, s[0:3], 0 offset:620
	buffer_load_dword v164, off, s[0:3], 0 offset:596
	;; [unrolled: 1-line block ×3, first 2 shown]
	ds_read_b128 v[1:4], v192 offset:1360
	v_add_f64 v[143:144], v[143:144], v[169:170]
	v_add_f64 v[135:136], v[135:136], v[165:166]
	s_waitcnt vmcnt(58) lgkmcnt(1)
	v_mul_f64 v[169:170], v[7:8], v[181:182]
	s_waitcnt vmcnt(56)
	v_fma_f64 v[177:178], v[131:132], v[183:184], -v[176:177]
	v_mul_f64 v[165:166], v[5:6], v[181:182]
	v_add_f64 v[143:144], v[143:144], v[161:162]
	v_fma_f64 v[161:162], v[133:134], v[183:184], v[214:215]
	v_add_f64 v[135:136], v[135:136], v[157:158]
	s_clause 0x4
	buffer_load_dword v158, off, s[0:3], 0 offset:636
	buffer_load_dword v181, off, s[0:3], 0 offset:648
	;; [unrolled: 1-line block ×5, first 2 shown]
	s_waitcnt vmcnt(57) lgkmcnt(0)
	v_mul_f64 v[214:215], v[1:2], v[185:186]
	v_mul_f64 v[184:185], v[3:4], v[185:186]
	s_waitcnt vmcnt(56)
	v_fma_f64 v[169:170], v[5:6], v[171:172], -v[169:170]
	ds_read_b128 v[131:134], v192 offset:1376
	v_fma_f64 v[165:166], v[7:8], v[171:172], v[165:166]
	v_add_f64 v[143:144], v[143:144], v[177:178]
	v_add_f64 v[135:136], v[135:136], v[161:162]
	s_clause 0x2
	buffer_load_dword v182, off, s[0:3], 0 offset:652
	buffer_load_dword v162, off, s[0:3], 0 offset:628
	;; [unrolled: 1-line block ×3, first 2 shown]
	ds_read_b128 v[5:8], v192 offset:1392
	s_waitcnt vmcnt(58) lgkmcnt(1)
	v_mul_f64 v[177:178], v[133:134], v[187:188]
	s_waitcnt vmcnt(56)
	v_fma_f64 v[185:186], v[1:2], v[189:190], -v[184:185]
	v_mul_f64 v[171:172], v[131:132], v[187:188]
	v_add_f64 v[143:144], v[143:144], v[169:170]
	v_fma_f64 v[169:170], v[3:4], v[189:190], v[214:215]
	v_add_f64 v[135:136], v[135:136], v[165:166]
	s_clause 0x4
	buffer_load_dword v166, off, s[0:3], 0 offset:668
	buffer_load_dword v187, off, s[0:3], 0 offset:680
	buffer_load_dword v189, off, s[0:3], 0 offset:672
	buffer_load_dword v165, off, s[0:3], 0 offset:664
	buffer_load_dword v184, off, s[0:3], 0 offset:644
	s_waitcnt vmcnt(57) lgkmcnt(0)
	v_mul_f64 v[214:215], v[5:6], v[199:200]
	v_mul_f64 v[199:200], v[7:8], v[199:200]
	s_waitcnt vmcnt(56)
	v_fma_f64 v[177:178], v[131:132], v[179:180], -v[177:178]
	ds_read_b128 v[1:4], v192 offset:1408
	v_fma_f64 v[171:172], v[133:134], v[179:180], v[171:172]
	v_add_f64 v[143:144], v[143:144], v[185:186]
	v_add_f64 v[135:136], v[135:136], v[169:170]
	s_clause 0x2
	buffer_load_dword v188, off, s[0:3], 0 offset:684
	buffer_load_dword v170, off, s[0:3], 0 offset:660
	;; [unrolled: 1-line block ×3, first 2 shown]
	ds_read_b128 v[131:134], v192 offset:1424
	s_waitcnt vmcnt(58) lgkmcnt(1)
	v_mul_f64 v[185:186], v[3:4], v[201:202]
	v_mul_f64 v[179:180], v[1:2], v[201:202]
	s_waitcnt vmcnt(56)
	v_fma_f64 v[199:200], v[5:6], v[139:140], -v[199:200]
	v_fma_f64 v[139:140], v[7:8], v[139:140], v[214:215]
	v_add_f64 v[143:144], v[143:144], v[177:178]
	v_add_f64 v[135:136], v[135:136], v[171:172]
	s_clause 0x4
	buffer_load_dword v172, off, s[0:3], 0 offset:700
	buffer_load_dword v177, off, s[0:3], 0 offset:712
	;; [unrolled: 1-line block ×5, first 2 shown]
	ds_read_b128 v[5:8], v192 offset:1440
	s_waitcnt vmcnt(57) lgkmcnt(1)
	v_mul_f64 v[214:215], v[131:132], v[137:138]
	v_mul_f64 v[137:138], v[133:134], v[137:138]
	s_waitcnt vmcnt(56)
	v_fma_f64 v[185:186], v[1:2], v[203:204], -v[185:186]
	v_fma_f64 v[179:180], v[3:4], v[203:204], v[179:180]
	v_add_f64 v[143:144], v[143:144], v[199:200]
	v_add_f64 v[135:136], v[135:136], v[139:140]
	s_clause 0x2
	buffer_load_dword v178, off, s[0:3], 0 offset:716
	buffer_load_dword v140, off, s[0:3], 0 offset:692
	;; [unrolled: 1-line block ×3, first 2 shown]
	s_waitcnt vmcnt(58) lgkmcnt(0)
	v_mul_f64 v[203:204], v[7:8], v[205:206]
	ds_read_b128 v[1:4], v192 offset:1456
	v_mul_f64 v[199:200], v[5:6], v[205:206]
	s_waitcnt vmcnt(56)
	v_fma_f64 v[137:138], v[131:132], v[195:196], -v[137:138]
	v_add_f64 v[143:144], v[143:144], v[185:186]
	v_fma_f64 v[185:186], v[133:134], v[195:196], v[214:215]
	v_add_f64 v[135:136], v[135:136], v[179:180]
	s_clause 0x4
	buffer_load_dword v180, off, s[0:3], 0 offset:732
	buffer_load_dword v195, off, s[0:3], 0 offset:744
	;; [unrolled: 1-line block ×5, first 2 shown]
	ds_read_b128 v[131:134], v192 offset:1472
	s_waitcnt vmcnt(57) lgkmcnt(1)
	v_mul_f64 v[214:215], v[1:2], v[155:156]
	v_mul_f64 v[155:156], v[3:4], v[155:156]
	s_waitcnt vmcnt(56)
	v_fma_f64 v[203:204], v[5:6], v[210:211], -v[203:204]
	v_add_f64 v[137:138], v[143:144], v[137:138]
	v_fma_f64 v[143:144], v[7:8], v[210:211], v[199:200]
	v_add_f64 v[135:136], v[135:136], v[185:186]
	s_clause 0x2
	buffer_load_dword v196, off, s[0:3], 0 offset:748
	buffer_load_dword v186, off, s[0:3], 0 offset:724
	;; [unrolled: 1-line block ×3, first 2 shown]
	ds_read_b128 v[5:8], v192 offset:1488
	s_waitcnt vmcnt(58) lgkmcnt(1)
	v_mul_f64 v[199:200], v[131:132], v[197:198]
	v_mul_f64 v[197:198], v[133:134], v[197:198]
	s_waitcnt vmcnt(56)
	v_fma_f64 v[155:156], v[1:2], v[149:150], -v[155:156]
	v_fma_f64 v[149:150], v[3:4], v[149:150], v[214:215]
	v_add_f64 v[137:138], v[137:138], v[203:204]
	v_add_f64 v[135:136], v[135:136], v[143:144]
	s_clause 0x4
	buffer_load_dword v144, off, s[0:3], 0 offset:764
	buffer_load_dword v203, off, s[0:3], 0 offset:776
	;; [unrolled: 1-line block ×5, first 2 shown]
	ds_read_b128 v[1:4], v192 offset:1504
	s_waitcnt vmcnt(57) lgkmcnt(1)
	v_mul_f64 v[210:211], v[5:6], v[141:142]
	v_mul_f64 v[141:142], v[7:8], v[141:142]
	s_waitcnt vmcnt(56)
	v_fma_f64 v[197:198], v[131:132], v[212:213], -v[197:198]
	v_add_f64 v[137:138], v[137:138], v[155:156]
	v_fma_f64 v[155:156], v[133:134], v[212:213], v[199:200]
	v_add_f64 v[135:136], v[135:136], v[149:150]
	s_clause 0x2
	buffer_load_dword v204, off, s[0:3], 0 offset:780
	buffer_load_dword v150, off, s[0:3], 0 offset:756
	buffer_load_dword v149, off, s[0:3], 0 offset:752
	ds_read_b128 v[131:134], v192 offset:1520
	s_waitcnt vmcnt(58) lgkmcnt(1)
	v_mul_f64 v[199:200], v[1:2], v[159:160]
	v_mul_f64 v[159:160], v[3:4], v[159:160]
	s_waitcnt vmcnt(56)
	v_fma_f64 v[141:142], v[5:6], v[147:148], -v[141:142]
	v_fma_f64 v[147:148], v[7:8], v[147:148], v[210:211]
	v_add_f64 v[137:138], v[137:138], v[197:198]
	v_add_f64 v[135:136], v[135:136], v[155:156]
	s_clause 0x4
	buffer_load_dword v156, off, s[0:3], 0 offset:796
	buffer_load_dword v197, off, s[0:3], 0 offset:808
	;; [unrolled: 1-line block ×5, first 2 shown]
	ds_read_b128 v[5:8], v192 offset:1536
	s_waitcnt vmcnt(57) lgkmcnt(1)
	v_mul_f64 v[212:213], v[131:132], v[145:146]
	v_mul_f64 v[145:146], v[133:134], v[145:146]
	s_waitcnt vmcnt(56)
	v_fma_f64 v[159:160], v[1:2], v[207:208], -v[159:160]
	v_add_f64 v[137:138], v[137:138], v[141:142]
	v_fma_f64 v[141:142], v[3:4], v[207:208], v[199:200]
	v_add_f64 v[135:136], v[135:136], v[147:148]
	s_clause 0x2
	buffer_load_dword v198, off, s[0:3], 0 offset:812
	buffer_load_dword v148, off, s[0:3], 0 offset:788
	;; [unrolled: 1-line block ×3, first 2 shown]
	s_waitcnt vmcnt(58) lgkmcnt(0)
	v_mul_f64 v[199:200], v[5:6], v[167:168]
	v_mul_f64 v[167:168], v[7:8], v[167:168]
	ds_read_b128 v[1:4], v192 offset:1552
	s_waitcnt vmcnt(56)
	v_fma_f64 v[145:146], v[131:132], v[153:154], -v[145:146]
	v_fma_f64 v[153:154], v[133:134], v[153:154], v[212:213]
	v_add_f64 v[137:138], v[137:138], v[159:160]
	v_add_f64 v[135:136], v[135:136], v[141:142]
	s_clause 0x4
	buffer_load_dword v142, off, s[0:3], 0 offset:828
	buffer_load_dword v159, off, s[0:3], 0 offset:840
	;; [unrolled: 1-line block ×5, first 2 shown]
	ds_read_b128 v[131:134], v192 offset:1568
	s_waitcnt vmcnt(57) lgkmcnt(1)
	v_mul_f64 v[213:214], v[1:2], v[151:152]
	v_mul_f64 v[151:152], v[3:4], v[151:152]
	s_waitcnt vmcnt(56)
	v_fma_f64 v[167:168], v[5:6], v[193:194], -v[167:168]
	v_add_f64 v[137:138], v[137:138], v[145:146]
	v_fma_f64 v[145:146], v[7:8], v[193:194], v[199:200]
	v_add_f64 v[135:136], v[135:136], v[153:154]
	s_clause 0x2
	buffer_load_dword v160, off, s[0:3], 0 offset:844
	buffer_load_dword v154, off, s[0:3], 0 offset:820
	;; [unrolled: 1-line block ×3, first 2 shown]
	s_waitcnt vmcnt(58) lgkmcnt(0)
	v_mul_f64 v[193:194], v[131:132], v[173:174]
	v_mul_f64 v[173:174], v[133:134], v[173:174]
	ds_read_b128 v[5:8], v192 offset:1584
	s_waitcnt vmcnt(56)
	v_fma_f64 v[151:152], v[1:2], v[163:164], -v[151:152]
	v_fma_f64 v[163:164], v[3:4], v[163:164], v[213:214]
	v_add_f64 v[137:138], v[137:138], v[167:168]
	v_add_f64 v[135:136], v[135:136], v[145:146]
	s_clause 0x4
	buffer_load_dword v146, off, s[0:3], 0 offset:860
	buffer_load_dword v167, off, s[0:3], 0 offset:872
	buffer_load_dword v199, off, s[0:3], 0 offset:864
	buffer_load_dword v145, off, s[0:3], 0 offset:856
	buffer_load_dword v208, off, s[0:3], 0 offset:836
	ds_read_b128 v[1:4], v192 offset:1600
	s_waitcnt vmcnt(57) lgkmcnt(1)
	v_mul_f64 v[213:214], v[5:6], v[157:158]
	v_mul_f64 v[157:158], v[7:8], v[157:158]
	s_waitcnt vmcnt(56)
	v_fma_f64 v[173:174], v[131:132], v[175:176], -v[173:174]
	v_add_f64 v[137:138], v[137:138], v[151:152]
	v_fma_f64 v[151:152], v[133:134], v[175:176], v[193:194]
	v_add_f64 v[135:136], v[135:136], v[163:164]
	s_clause 0x2
	buffer_load_dword v168, off, s[0:3], 0 offset:876
	buffer_load_dword v164, off, s[0:3], 0 offset:852
	buffer_load_dword v163, off, s[0:3], 0 offset:848
	ds_read_b128 v[131:134], v192 offset:1616
	s_waitcnt vmcnt(58) lgkmcnt(1)
	v_mul_f64 v[175:176], v[1:2], v[181:182]
	v_mul_f64 v[181:182], v[3:4], v[181:182]
	s_waitcnt vmcnt(56)
	v_fma_f64 v[157:158], v[5:6], v[161:162], -v[157:158]
	v_fma_f64 v[161:162], v[7:8], v[161:162], v[213:214]
	v_add_f64 v[137:138], v[137:138], v[173:174]
	v_add_f64 v[135:136], v[135:136], v[151:152]
	s_clause 0x4
	buffer_load_dword v152, off, s[0:3], 0 offset:892
	buffer_load_dword v173, off, s[0:3], 0 offset:904
	buffer_load_dword v193, off, s[0:3], 0 offset:896
	buffer_load_dword v151, off, s[0:3], 0 offset:888
	buffer_load_dword v200, off, s[0:3], 0 offset:868
	ds_read_b128 v[5:8], v192 offset:1632
	s_waitcnt vmcnt(57) lgkmcnt(1)
	v_mul_f64 v[213:214], v[131:132], v[165:166]
	v_mul_f64 v[165:166], v[133:134], v[165:166]
	s_waitcnt vmcnt(56)
	v_fma_f64 v[181:182], v[1:2], v[183:184], -v[181:182]
	v_add_f64 v[137:138], v[137:138], v[157:158]
	v_fma_f64 v[157:158], v[3:4], v[183:184], v[175:176]
	v_add_f64 v[135:136], v[135:136], v[161:162]
	s_clause 0x2
	buffer_load_dword v174, off, s[0:3], 0 offset:908
	buffer_load_dword v162, off, s[0:3], 0 offset:884
	buffer_load_dword v161, off, s[0:3], 0 offset:880
	ds_read_b128 v[1:4], v192 offset:1648
	s_waitcnt vmcnt(58) lgkmcnt(1)
	v_mul_f64 v[183:184], v[7:8], v[187:188]
	v_mul_f64 v[175:176], v[5:6], v[187:188]
	;; [unrolled: 28-line block ×4, first 2 shown]
	s_waitcnt vmcnt(56)
	v_fma_f64 v[179:180], v[5:6], v[185:186], -v[179:180]
	v_add_f64 v[137:138], v[137:138], v[177:178]
	v_fma_f64 v[177:178], v[7:8], v[185:186], v[213:214]
	v_add_f64 v[135:136], v[135:136], v[171:172]
	s_clause 0x2
	buffer_load_dword v172, off, s[0:3], 0 offset:988
	buffer_load_dword v171, off, s[0:3], 0 offset:984
	;; [unrolled: 1-line block ×3, first 2 shown]
	ds_read_b128 v[5:8], v192 offset:1728
	s_waitcnt vmcnt(55) lgkmcnt(1)
	v_mul_f64 v[185:186], v[131:132], v[143:144]
	v_mul_f64 v[143:144], v[133:134], v[143:144]
	s_waitcnt vmcnt(54)
	v_fma_f64 v[195:196], v[1:2], v[205:206], -v[195:196]
	v_fma_f64 v[175:176], v[3:4], v[205:206], v[175:176]
	v_add_f64 v[137:138], v[137:138], v[179:180]
	v_add_f64 v[135:136], v[135:136], v[177:178]
	s_clause 0x1
	buffer_load_dword v178, off, s[0:3], 0 offset:980
	buffer_load_dword v177, off, s[0:3], 0 offset:976
	ds_read_b128 v[1:4], v192 offset:1744
	s_waitcnt vmcnt(55) lgkmcnt(1)
	v_mul_f64 v[201:202], v[7:8], v[203:204]
	v_mul_f64 v[179:180], v[5:6], v[203:204]
	s_waitcnt vmcnt(53)
	v_fma_f64 v[143:144], v[131:132], v[149:150], -v[143:144]
	v_fma_f64 v[149:150], v[133:134], v[149:150], v[185:186]
	ds_read_b128 v[131:134], v192 offset:1760
	v_add_f64 v[137:138], v[137:138], v[195:196]
	v_add_f64 v[135:136], v[135:136], v[175:176]
	s_waitcnt vmcnt(49) lgkmcnt(1)
	v_mul_f64 v[175:176], v[1:2], v[155:156]
	v_mul_f64 v[155:156], v[3:4], v[155:156]
	s_waitcnt vmcnt(48)
	v_fma_f64 v[185:186], v[5:6], v[209:210], -v[201:202]
	v_add_f64 v[137:138], v[137:138], v[143:144]
	v_fma_f64 v[143:144], v[7:8], v[209:210], v[179:180]
	v_add_f64 v[135:136], v[135:136], v[149:150]
	s_clause 0x3
	buffer_load_dword v149, off, s[0:3], 0 offset:176
	buffer_load_dword v150, off, s[0:3], 0 offset:180
	;; [unrolled: 1-line block ×4, first 2 shown]
	ds_read_b128 v[5:8], v192 offset:1776
	s_waitcnt vmcnt(51) lgkmcnt(1)
	v_mul_f64 v[195:196], v[131:132], v[197:198]
	v_mul_f64 v[197:198], v[133:134], v[197:198]
	s_waitcnt vmcnt(49)
	v_fma_f64 v[155:156], v[1:2], v[147:148], -v[155:156]
	v_fma_f64 v[147:148], v[3:4], v[147:148], v[175:176]
	ds_read_b128 v[1:4], v192 offset:1792
	v_add_f64 v[137:138], v[137:138], v[185:186]
	v_add_f64 v[135:136], v[135:136], v[143:144]
	s_waitcnt vmcnt(45) lgkmcnt(1)
	v_mul_f64 v[143:144], v[5:6], v[141:142]
	v_mul_f64 v[141:142], v[7:8], v[141:142]
	s_waitcnt vmcnt(44)
	v_fma_f64 v[175:176], v[131:132], v[211:212], -v[197:198]
	v_add_f64 v[137:138], v[137:138], v[155:156]
	v_fma_f64 v[155:156], v[133:134], v[211:212], v[195:196]
	v_add_f64 v[135:136], v[135:136], v[147:148]
	ds_read_b128 v[131:134], v192 offset:1808
	s_waitcnt vmcnt(43) lgkmcnt(1)
	v_mul_f64 v[147:148], v[1:2], v[159:160]
	v_mul_f64 v[159:160], v[3:4], v[159:160]
	s_waitcnt vmcnt(41)
	v_fma_f64 v[141:142], v[5:6], v[153:154], -v[141:142]
	v_fma_f64 v[143:144], v[7:8], v[153:154], v[143:144]
	ds_read_b128 v[5:8], v192 offset:1824
	v_add_f64 v[137:138], v[137:138], v[175:176]
	v_add_f64 v[135:136], v[135:136], v[155:156]
	s_waitcnt vmcnt(37) lgkmcnt(1)
	v_mul_f64 v[153:154], v[131:132], v[145:146]
	v_mul_f64 v[145:146], v[133:134], v[145:146]
	s_waitcnt vmcnt(36)
	v_fma_f64 v[155:156], v[1:2], v[207:208], -v[159:160]
	v_add_f64 v[137:138], v[137:138], v[141:142]
	v_fma_f64 v[141:142], v[3:4], v[207:208], v[147:148]
	v_add_f64 v[135:136], v[135:136], v[143:144]
	ds_read_b128 v[1:4], v192 offset:1840
	s_waitcnt vmcnt(35) lgkmcnt(1)
	v_mul_f64 v[147:148], v[7:8], v[167:168]
	v_mul_f64 v[143:144], v[5:6], v[167:168]
	s_waitcnt vmcnt(33)
	v_fma_f64 v[145:146], v[131:132], v[163:164], -v[145:146]
	v_fma_f64 v[153:154], v[133:134], v[163:164], v[153:154]
	ds_read_b128 v[131:134], v192 offset:1856
	v_add_f64 v[137:138], v[137:138], v[155:156]
	v_add_f64 v[135:136], v[135:136], v[141:142]
	s_waitcnt vmcnt(29) lgkmcnt(1)
	v_mul_f64 v[141:142], v[1:2], v[151:152]
	v_mul_f64 v[151:152], v[3:4], v[151:152]
	s_waitcnt vmcnt(28)
	v_fma_f64 v[147:148], v[5:6], v[199:200], -v[147:148]
	v_fma_f64 v[143:144], v[7:8], v[199:200], v[143:144]
	ds_read_b128 v[5:8], v192 offset:1872
	v_add_f64 v[137:138], v[137:138], v[145:146]
	v_add_f64 v[135:136], v[135:136], v[153:154]
	;; [unrolled: 9-line block ×3, first 2 shown]
	s_waitcnt vmcnt(21) lgkmcnt(1)
	v_mul_f64 v[147:148], v[7:8], v[157:158]
	s_waitcnt vmcnt(20)
	v_fma_f64 v[153:154], v[131:132], v[193:194], -v[153:154]
	v_mul_f64 v[143:144], v[5:6], v[157:158]
	v_fma_f64 v[145:146], v[133:134], v[193:194], v[145:146]
	ds_read_b128 v[131:134], v192 offset:1904
	v_add_f64 v[137:138], v[137:138], v[151:152]
	v_add_f64 v[135:136], v[135:136], v[141:142]
	s_waitcnt vmcnt(19) lgkmcnt(1)
	v_mul_f64 v[151:152], v[3:4], v[181:182]
	v_mul_f64 v[141:142], v[1:2], v[181:182]
	s_waitcnt vmcnt(17)
	v_fma_f64 v[147:148], v[5:6], v[169:170], -v[147:148]
	v_fma_f64 v[143:144], v[7:8], v[169:170], v[143:144]
	ds_read_b128 v[5:8], v192 offset:1920
	v_add_f64 v[137:138], v[137:138], v[153:154]
	v_add_f64 v[135:136], v[135:136], v[145:146]
	s_waitcnt vmcnt(13) lgkmcnt(1)
	v_mul_f64 v[153:154], v[133:134], v[165:166]
	s_waitcnt vmcnt(12)
	v_fma_f64 v[151:152], v[1:2], v[187:188], -v[151:152]
	v_mul_f64 v[145:146], v[131:132], v[165:166]
	v_fma_f64 v[141:142], v[3:4], v[187:188], v[141:142]
	ds_read_b128 v[1:4], v192 offset:1936
	v_add_f64 v[137:138], v[137:138], v[147:148]
	v_add_f64 v[135:136], v[135:136], v[143:144]
	s_waitcnt vmcnt(11) lgkmcnt(1)
	v_mul_f64 v[147:148], v[7:8], v[183:184]
	v_mul_f64 v[143:144], v[5:6], v[183:184]
	s_waitcnt vmcnt(9)
	v_fma_f64 v[131:132], v[131:132], v[139:140], -v[153:154]
	v_fma_f64 v[133:134], v[133:134], v[139:140], v[145:146]
	v_add_f64 v[137:138], v[137:138], v[151:152]
	v_add_f64 v[135:136], v[135:136], v[141:142]
	s_waitcnt vmcnt(7) lgkmcnt(0)
	v_mul_f64 v[141:142], v[3:4], v[171:172]
	s_waitcnt vmcnt(6)
	v_fma_f64 v[5:6], v[5:6], v[189:190], -v[147:148]
	v_mul_f64 v[139:140], v[1:2], v[171:172]
	v_fma_f64 v[7:8], v[7:8], v[189:190], v[143:144]
	v_add_f64 v[131:132], v[137:138], v[131:132]
	v_add_f64 v[133:134], v[135:136], v[133:134]
	s_waitcnt vmcnt(4)
	v_fma_f64 v[1:2], v[1:2], v[177:178], -v[141:142]
	v_fma_f64 v[3:4], v[3:4], v[177:178], v[139:140]
	v_add_f64 v[5:6], v[131:132], v[5:6]
	v_add_f64 v[7:8], v[133:134], v[7:8]
	;; [unrolled: 1-line block ×4, first 2 shown]
	s_waitcnt vmcnt(2)
	v_add_f64 v[1:2], v[149:150], -v[1:2]
	s_waitcnt vmcnt(0)
	v_add_f64 v[3:4], v[179:180], -v[3:4]
	buffer_store_dword v2, off, s[0:3], 0 offset:180
	buffer_store_dword v1, off, s[0:3], 0 offset:176
	;; [unrolled: 1-line block ×4, first 2 shown]
	v_cmpx_lt_u32_e32 9, v0
	s_cbranch_execz .LBB124_373
; %bb.372:
	v_mov_b32_e32 v4, s66
	v_mov_b32_e32 v5, 0
	s_clause 0x3
	buffer_load_dword v1, v4, s[0:3], 0 offen
	buffer_load_dword v2, v4, s[0:3], 0 offen offset:4
	buffer_load_dword v3, v4, s[0:3], 0 offen offset:8
	;; [unrolled: 1-line block ×3, first 2 shown]
	buffer_store_dword v5, off, s[0:3], 0 offset:160
	buffer_store_dword v5, off, s[0:3], 0 offset:164
	;; [unrolled: 1-line block ×4, first 2 shown]
	s_waitcnt vmcnt(0)
	ds_write_b128 v191, v[1:4]
.LBB124_373:
	s_or_b32 exec_lo, exec_lo, s4
	s_waitcnt lgkmcnt(0)
	s_waitcnt_vscnt null, 0x0
	s_barrier
	buffer_gl0_inv
	s_clause 0x37
	buffer_load_dword v139, off, s[0:3], 0 offset:184
	buffer_load_dword v140, off, s[0:3], 0 offset:188
	;; [unrolled: 1-line block ×56, first 2 shown]
	v_mov_b32_e32 v192, 0
	s_mov_b32 s4, exec_lo
	ds_read_b128 v[5:8], v192 offset:1136
	s_clause 0x2
	buffer_load_dword v188, off, s[0:3], 0 offset:412
	buffer_load_dword v190, off, s[0:3], 0 offset:388
	;; [unrolled: 1-line block ×3, first 2 shown]
	ds_read_b128 v[1:4], v192 offset:1152
	s_clause 0x4
	buffer_load_dword v200, off, s[0:3], 0 offset:428
	buffer_load_dword v201, off, s[0:3], 0 offset:440
	;; [unrolled: 1-line block ×5, first 2 shown]
	ds_read_b128 v[193:196], v192 offset:1168
	s_waitcnt vmcnt(62) lgkmcnt(2)
	v_mul_f64 v[197:198], v[7:8], v[139:140]
	v_mul_f64 v[139:140], v[5:6], v[139:140]
	s_waitcnt vmcnt(60) lgkmcnt(1)
	v_mul_f64 v[204:205], v[3:4], v[135:136]
	v_mul_f64 v[135:136], v[1:2], v[135:136]
	;; [unrolled: 3-line block ×3, first 2 shown]
	v_fma_f64 v[197:198], v[5:6], v[137:138], -v[197:198]
	v_fma_f64 v[137:138], v[7:8], v[137:138], v[139:140]
	s_clause 0x2
	buffer_load_dword v202, off, s[0:3], 0 offset:444
	buffer_load_dword v140, off, s[0:3], 0 offset:420
	;; [unrolled: 1-line block ×3, first 2 shown]
	s_waitcnt vmcnt(57)
	v_fma_f64 v[208:209], v[1:2], v[131:132], -v[204:205]
	ds_read_b128 v[5:8], v192 offset:1184
	v_fma_f64 v[131:132], v[3:4], v[131:132], v[135:136]
	s_waitcnt vmcnt(51)
	v_fma_f64 v[193:194], v[193:194], v[155:156], -v[133:134]
	v_fma_f64 v[155:156], v[195:196], v[155:156], v[206:207]
	v_add_f64 v[197:198], v[197:198], 0
	v_add_f64 v[135:136], v[137:138], 0
	s_clause 0x4
	buffer_load_dword v138, off, s[0:3], 0 offset:460
	buffer_load_dword v205, off, s[0:3], 0 offset:472
	;; [unrolled: 1-line block ×5, first 2 shown]
	s_waitcnt lgkmcnt(0)
	v_mul_f64 v[211:212], v[5:6], v[143:144]
	v_mul_f64 v[143:144], v[7:8], v[143:144]
	ds_read_b128 v[1:4], v192 offset:1200
	s_clause 0x2
	buffer_load_dword v206, off, s[0:3], 0 offset:476
	buffer_load_dword v196, off, s[0:3], 0 offset:452
	;; [unrolled: 1-line block ×3, first 2 shown]
	v_add_f64 v[197:198], v[197:198], v[208:209]
	v_add_f64 v[135:136], v[135:136], v[131:132]
	ds_read_b128 v[131:134], v192 offset:1216
	s_waitcnt vmcnt(58) lgkmcnt(1)
	v_mul_f64 v[207:208], v[1:2], v[147:148]
	v_mul_f64 v[147:148], v[3:4], v[147:148]
	s_waitcnt vmcnt(56)
	v_fma_f64 v[143:144], v[5:6], v[149:150], -v[143:144]
	v_fma_f64 v[149:150], v[7:8], v[149:150], v[211:212]
	s_waitcnt vmcnt(52) lgkmcnt(0)
	v_mul_f64 v[213:214], v[131:132], v[151:152]
	v_add_f64 v[193:194], v[197:198], v[193:194]
	v_add_f64 v[135:136], v[135:136], v[155:156]
	s_clause 0x4
	buffer_load_dword v156, off, s[0:3], 0 offset:492
	buffer_load_dword v197, off, s[0:3], 0 offset:504
	;; [unrolled: 1-line block ×5, first 2 shown]
	v_mul_f64 v[151:152], v[133:134], v[151:152]
	s_waitcnt vmcnt(56)
	v_fma_f64 v[147:148], v[1:2], v[141:142], -v[147:148]
	ds_read_b128 v[5:8], v192 offset:1232
	v_fma_f64 v[141:142], v[3:4], v[141:142], v[207:208]
	v_add_f64 v[143:144], v[193:194], v[143:144]
	v_add_f64 v[135:136], v[135:136], v[149:150]
	s_clause 0x2
	buffer_load_dword v198, off, s[0:3], 0 offset:508
	buffer_load_dword v150, off, s[0:3], 0 offset:484
	;; [unrolled: 1-line block ×3, first 2 shown]
	s_waitcnt vmcnt(58) lgkmcnt(0)
	v_mul_f64 v[193:194], v[5:6], v[157:158]
	v_mul_f64 v[157:158], v[7:8], v[157:158]
	s_waitcnt vmcnt(56)
	v_fma_f64 v[151:152], v[131:132], v[159:160], -v[151:152]
	ds_read_b128 v[1:4], v192 offset:1248
	v_add_f64 v[143:144], v[143:144], v[147:148]
	v_fma_f64 v[147:148], v[133:134], v[159:160], v[213:214]
	v_add_f64 v[135:136], v[135:136], v[141:142]
	s_clause 0x4
	buffer_load_dword v142, off, s[0:3], 0 offset:524
	buffer_load_dword v159, off, s[0:3], 0 offset:536
	;; [unrolled: 1-line block ×5, first 2 shown]
	s_waitcnt vmcnt(57) lgkmcnt(0)
	v_mul_f64 v[208:209], v[1:2], v[161:162]
	v_mul_f64 v[161:162], v[3:4], v[161:162]
	s_waitcnt vmcnt(56)
	v_fma_f64 v[157:158], v[5:6], v[145:146], -v[157:158]
	ds_read_b128 v[131:134], v192 offset:1264
	v_fma_f64 v[145:146], v[7:8], v[145:146], v[193:194]
	v_add_f64 v[143:144], v[143:144], v[151:152]
	v_add_f64 v[135:136], v[135:136], v[147:148]
	s_clause 0x2
	buffer_load_dword v160, off, s[0:3], 0 offset:540
	buffer_load_dword v148, off, s[0:3], 0 offset:516
	;; [unrolled: 1-line block ×3, first 2 shown]
	ds_read_b128 v[5:8], v192 offset:1280
	s_waitcnt vmcnt(58) lgkmcnt(1)
	v_mul_f64 v[151:152], v[131:132], v[165:166]
	v_mul_f64 v[165:166], v[133:134], v[165:166]
	s_waitcnt vmcnt(56)
	v_fma_f64 v[161:162], v[1:2], v[167:168], -v[161:162]
	v_add_f64 v[143:144], v[143:144], v[157:158]
	v_fma_f64 v[157:158], v[3:4], v[167:168], v[208:209]
	v_add_f64 v[135:136], v[135:136], v[145:146]
	s_clause 0x4
	buffer_load_dword v146, off, s[0:3], 0 offset:556
	buffer_load_dword v167, off, s[0:3], 0 offset:568
	;; [unrolled: 1-line block ×5, first 2 shown]
	s_waitcnt vmcnt(57) lgkmcnt(0)
	v_mul_f64 v[214:215], v[5:6], v[169:170]
	v_mul_f64 v[169:170], v[7:8], v[169:170]
	s_waitcnt vmcnt(56)
	v_fma_f64 v[165:166], v[131:132], v[153:154], -v[165:166]
	ds_read_b128 v[1:4], v192 offset:1296
	v_fma_f64 v[151:152], v[133:134], v[153:154], v[151:152]
	s_clause 0x2
	buffer_load_dword v168, off, s[0:3], 0 offset:572
	buffer_load_dword v154, off, s[0:3], 0 offset:548
	;; [unrolled: 1-line block ×3, first 2 shown]
	ds_read_b128 v[131:134], v192 offset:1312
	v_add_f64 v[143:144], v[143:144], v[161:162]
	v_add_f64 v[135:136], v[135:136], v[157:158]
	s_waitcnt vmcnt(58) lgkmcnt(1)
	v_mul_f64 v[161:162], v[3:4], v[173:174]
	s_waitcnt vmcnt(56)
	v_fma_f64 v[169:170], v[5:6], v[175:176], -v[169:170]
	v_mul_f64 v[157:158], v[1:2], v[173:174]
	v_add_f64 v[143:144], v[143:144], v[165:166]
	v_fma_f64 v[165:166], v[7:8], v[175:176], v[214:215]
	v_add_f64 v[135:136], v[135:136], v[151:152]
	s_clause 0x4
	buffer_load_dword v152, off, s[0:3], 0 offset:588
	buffer_load_dword v173, off, s[0:3], 0 offset:600
	;; [unrolled: 1-line block ×5, first 2 shown]
	s_waitcnt vmcnt(57) lgkmcnt(0)
	v_mul_f64 v[214:215], v[131:132], v[177:178]
	v_mul_f64 v[176:177], v[133:134], v[177:178]
	s_waitcnt vmcnt(56)
	v_fma_f64 v[161:162], v[1:2], v[163:164], -v[161:162]
	ds_read_b128 v[5:8], v192 offset:1328
	v_fma_f64 v[157:158], v[3:4], v[163:164], v[157:158]
	s_clause 0x2
	buffer_load_dword v174, off, s[0:3], 0 offset:604
	buffer_load_dword v164, off, s[0:3], 0 offset:580
	buffer_load_dword v163, off, s[0:3], 0 offset:576
	ds_read_b128 v[1:4], v192 offset:1344
	v_add_f64 v[143:144], v[143:144], v[169:170]
	v_add_f64 v[135:136], v[135:136], v[165:166]
	s_waitcnt vmcnt(58) lgkmcnt(1)
	v_mul_f64 v[169:170], v[7:8], v[181:182]
	s_waitcnt vmcnt(56)
	v_fma_f64 v[177:178], v[131:132], v[183:184], -v[176:177]
	v_mul_f64 v[165:166], v[5:6], v[181:182]
	v_add_f64 v[143:144], v[143:144], v[161:162]
	v_fma_f64 v[161:162], v[133:134], v[183:184], v[214:215]
	v_add_f64 v[135:136], v[135:136], v[157:158]
	s_clause 0x4
	buffer_load_dword v158, off, s[0:3], 0 offset:620
	buffer_load_dword v181, off, s[0:3], 0 offset:632
	;; [unrolled: 1-line block ×5, first 2 shown]
	s_waitcnt vmcnt(57) lgkmcnt(0)
	v_mul_f64 v[214:215], v[1:2], v[185:186]
	v_mul_f64 v[184:185], v[3:4], v[185:186]
	s_waitcnt vmcnt(56)
	v_fma_f64 v[169:170], v[5:6], v[171:172], -v[169:170]
	ds_read_b128 v[131:134], v192 offset:1360
	v_fma_f64 v[165:166], v[7:8], v[171:172], v[165:166]
	v_add_f64 v[143:144], v[143:144], v[177:178]
	v_add_f64 v[135:136], v[135:136], v[161:162]
	s_clause 0x2
	buffer_load_dword v182, off, s[0:3], 0 offset:636
	buffer_load_dword v162, off, s[0:3], 0 offset:612
	buffer_load_dword v161, off, s[0:3], 0 offset:608
	ds_read_b128 v[5:8], v192 offset:1376
	s_waitcnt vmcnt(58) lgkmcnt(1)
	v_mul_f64 v[177:178], v[133:134], v[187:188]
	s_waitcnt vmcnt(56)
	v_fma_f64 v[185:186], v[1:2], v[189:190], -v[184:185]
	v_mul_f64 v[171:172], v[131:132], v[187:188]
	v_add_f64 v[143:144], v[143:144], v[169:170]
	v_fma_f64 v[169:170], v[3:4], v[189:190], v[214:215]
	v_add_f64 v[135:136], v[135:136], v[165:166]
	s_clause 0x4
	buffer_load_dword v166, off, s[0:3], 0 offset:652
	buffer_load_dword v187, off, s[0:3], 0 offset:664
	;; [unrolled: 1-line block ×5, first 2 shown]
	s_waitcnt vmcnt(57) lgkmcnt(0)
	v_mul_f64 v[214:215], v[5:6], v[199:200]
	v_mul_f64 v[199:200], v[7:8], v[199:200]
	s_waitcnt vmcnt(56)
	v_fma_f64 v[177:178], v[131:132], v[179:180], -v[177:178]
	ds_read_b128 v[1:4], v192 offset:1392
	v_fma_f64 v[171:172], v[133:134], v[179:180], v[171:172]
	v_add_f64 v[143:144], v[143:144], v[185:186]
	v_add_f64 v[135:136], v[135:136], v[169:170]
	s_clause 0x2
	buffer_load_dword v188, off, s[0:3], 0 offset:668
	buffer_load_dword v170, off, s[0:3], 0 offset:644
	;; [unrolled: 1-line block ×3, first 2 shown]
	ds_read_b128 v[131:134], v192 offset:1408
	s_waitcnt vmcnt(58) lgkmcnt(1)
	v_mul_f64 v[185:186], v[3:4], v[201:202]
	v_mul_f64 v[179:180], v[1:2], v[201:202]
	s_waitcnt vmcnt(56)
	v_fma_f64 v[199:200], v[5:6], v[139:140], -v[199:200]
	v_fma_f64 v[139:140], v[7:8], v[139:140], v[214:215]
	v_add_f64 v[143:144], v[143:144], v[177:178]
	v_add_f64 v[135:136], v[135:136], v[171:172]
	s_clause 0x4
	buffer_load_dword v172, off, s[0:3], 0 offset:684
	buffer_load_dword v177, off, s[0:3], 0 offset:696
	;; [unrolled: 1-line block ×5, first 2 shown]
	ds_read_b128 v[5:8], v192 offset:1424
	s_waitcnt vmcnt(57) lgkmcnt(1)
	v_mul_f64 v[214:215], v[131:132], v[137:138]
	v_mul_f64 v[137:138], v[133:134], v[137:138]
	s_waitcnt vmcnt(56)
	v_fma_f64 v[185:186], v[1:2], v[203:204], -v[185:186]
	v_fma_f64 v[179:180], v[3:4], v[203:204], v[179:180]
	v_add_f64 v[143:144], v[143:144], v[199:200]
	v_add_f64 v[135:136], v[135:136], v[139:140]
	s_clause 0x2
	buffer_load_dword v178, off, s[0:3], 0 offset:700
	buffer_load_dword v140, off, s[0:3], 0 offset:676
	;; [unrolled: 1-line block ×3, first 2 shown]
	s_waitcnt vmcnt(58) lgkmcnt(0)
	v_mul_f64 v[203:204], v[7:8], v[205:206]
	ds_read_b128 v[1:4], v192 offset:1440
	v_mul_f64 v[199:200], v[5:6], v[205:206]
	s_waitcnt vmcnt(56)
	v_fma_f64 v[137:138], v[131:132], v[195:196], -v[137:138]
	v_add_f64 v[143:144], v[143:144], v[185:186]
	v_fma_f64 v[185:186], v[133:134], v[195:196], v[214:215]
	v_add_f64 v[135:136], v[135:136], v[179:180]
	s_clause 0x4
	buffer_load_dword v180, off, s[0:3], 0 offset:716
	buffer_load_dword v195, off, s[0:3], 0 offset:728
	;; [unrolled: 1-line block ×5, first 2 shown]
	ds_read_b128 v[131:134], v192 offset:1456
	s_waitcnt vmcnt(57) lgkmcnt(1)
	v_mul_f64 v[214:215], v[1:2], v[155:156]
	v_mul_f64 v[155:156], v[3:4], v[155:156]
	s_waitcnt vmcnt(56)
	v_fma_f64 v[203:204], v[5:6], v[210:211], -v[203:204]
	v_add_f64 v[137:138], v[143:144], v[137:138]
	v_fma_f64 v[143:144], v[7:8], v[210:211], v[199:200]
	v_add_f64 v[135:136], v[135:136], v[185:186]
	s_clause 0x2
	buffer_load_dword v196, off, s[0:3], 0 offset:732
	buffer_load_dword v186, off, s[0:3], 0 offset:708
	;; [unrolled: 1-line block ×3, first 2 shown]
	ds_read_b128 v[5:8], v192 offset:1472
	s_waitcnt vmcnt(58) lgkmcnt(1)
	v_mul_f64 v[199:200], v[131:132], v[197:198]
	v_mul_f64 v[197:198], v[133:134], v[197:198]
	s_waitcnt vmcnt(56)
	v_fma_f64 v[155:156], v[1:2], v[149:150], -v[155:156]
	v_fma_f64 v[149:150], v[3:4], v[149:150], v[214:215]
	v_add_f64 v[137:138], v[137:138], v[203:204]
	v_add_f64 v[135:136], v[135:136], v[143:144]
	s_clause 0x4
	buffer_load_dword v144, off, s[0:3], 0 offset:748
	buffer_load_dword v203, off, s[0:3], 0 offset:760
	;; [unrolled: 1-line block ×5, first 2 shown]
	ds_read_b128 v[1:4], v192 offset:1488
	s_waitcnt vmcnt(57) lgkmcnt(1)
	v_mul_f64 v[210:211], v[5:6], v[141:142]
	v_mul_f64 v[141:142], v[7:8], v[141:142]
	s_waitcnt vmcnt(56)
	v_fma_f64 v[197:198], v[131:132], v[212:213], -v[197:198]
	v_add_f64 v[137:138], v[137:138], v[155:156]
	v_fma_f64 v[155:156], v[133:134], v[212:213], v[199:200]
	v_add_f64 v[135:136], v[135:136], v[149:150]
	s_clause 0x2
	buffer_load_dword v204, off, s[0:3], 0 offset:764
	buffer_load_dword v150, off, s[0:3], 0 offset:740
	;; [unrolled: 1-line block ×3, first 2 shown]
	ds_read_b128 v[131:134], v192 offset:1504
	s_waitcnt vmcnt(58) lgkmcnt(1)
	v_mul_f64 v[199:200], v[1:2], v[159:160]
	v_mul_f64 v[159:160], v[3:4], v[159:160]
	s_waitcnt vmcnt(56)
	v_fma_f64 v[141:142], v[5:6], v[147:148], -v[141:142]
	v_fma_f64 v[147:148], v[7:8], v[147:148], v[210:211]
	v_add_f64 v[137:138], v[137:138], v[197:198]
	v_add_f64 v[135:136], v[135:136], v[155:156]
	s_clause 0x4
	buffer_load_dword v156, off, s[0:3], 0 offset:780
	buffer_load_dword v197, off, s[0:3], 0 offset:792
	;; [unrolled: 1-line block ×5, first 2 shown]
	ds_read_b128 v[5:8], v192 offset:1520
	s_waitcnt vmcnt(57) lgkmcnt(1)
	v_mul_f64 v[212:213], v[131:132], v[145:146]
	v_mul_f64 v[145:146], v[133:134], v[145:146]
	s_waitcnt vmcnt(56)
	v_fma_f64 v[159:160], v[1:2], v[207:208], -v[159:160]
	v_add_f64 v[137:138], v[137:138], v[141:142]
	v_fma_f64 v[141:142], v[3:4], v[207:208], v[199:200]
	v_add_f64 v[135:136], v[135:136], v[147:148]
	s_clause 0x2
	buffer_load_dword v198, off, s[0:3], 0 offset:796
	buffer_load_dword v148, off, s[0:3], 0 offset:772
	;; [unrolled: 1-line block ×3, first 2 shown]
	s_waitcnt vmcnt(58) lgkmcnt(0)
	v_mul_f64 v[199:200], v[5:6], v[167:168]
	v_mul_f64 v[167:168], v[7:8], v[167:168]
	ds_read_b128 v[1:4], v192 offset:1536
	s_waitcnt vmcnt(56)
	v_fma_f64 v[145:146], v[131:132], v[153:154], -v[145:146]
	v_fma_f64 v[153:154], v[133:134], v[153:154], v[212:213]
	v_add_f64 v[137:138], v[137:138], v[159:160]
	v_add_f64 v[135:136], v[135:136], v[141:142]
	s_clause 0x4
	buffer_load_dword v142, off, s[0:3], 0 offset:812
	buffer_load_dword v159, off, s[0:3], 0 offset:824
	;; [unrolled: 1-line block ×5, first 2 shown]
	ds_read_b128 v[131:134], v192 offset:1552
	s_waitcnt vmcnt(57) lgkmcnt(1)
	v_mul_f64 v[213:214], v[1:2], v[151:152]
	v_mul_f64 v[151:152], v[3:4], v[151:152]
	s_waitcnt vmcnt(56)
	v_fma_f64 v[167:168], v[5:6], v[193:194], -v[167:168]
	v_add_f64 v[137:138], v[137:138], v[145:146]
	v_fma_f64 v[145:146], v[7:8], v[193:194], v[199:200]
	v_add_f64 v[135:136], v[135:136], v[153:154]
	s_clause 0x2
	buffer_load_dword v160, off, s[0:3], 0 offset:828
	buffer_load_dword v154, off, s[0:3], 0 offset:804
	;; [unrolled: 1-line block ×3, first 2 shown]
	s_waitcnt vmcnt(58) lgkmcnt(0)
	v_mul_f64 v[193:194], v[131:132], v[173:174]
	v_mul_f64 v[173:174], v[133:134], v[173:174]
	ds_read_b128 v[5:8], v192 offset:1568
	s_waitcnt vmcnt(56)
	v_fma_f64 v[151:152], v[1:2], v[163:164], -v[151:152]
	v_fma_f64 v[163:164], v[3:4], v[163:164], v[213:214]
	v_add_f64 v[137:138], v[137:138], v[167:168]
	v_add_f64 v[135:136], v[135:136], v[145:146]
	s_clause 0x4
	buffer_load_dword v146, off, s[0:3], 0 offset:844
	buffer_load_dword v167, off, s[0:3], 0 offset:856
	buffer_load_dword v199, off, s[0:3], 0 offset:848
	buffer_load_dword v145, off, s[0:3], 0 offset:840
	buffer_load_dword v208, off, s[0:3], 0 offset:820
	ds_read_b128 v[1:4], v192 offset:1584
	s_waitcnt vmcnt(57) lgkmcnt(1)
	v_mul_f64 v[213:214], v[5:6], v[157:158]
	v_mul_f64 v[157:158], v[7:8], v[157:158]
	s_waitcnt vmcnt(56)
	v_fma_f64 v[173:174], v[131:132], v[175:176], -v[173:174]
	v_add_f64 v[137:138], v[137:138], v[151:152]
	v_fma_f64 v[151:152], v[133:134], v[175:176], v[193:194]
	v_add_f64 v[135:136], v[135:136], v[163:164]
	s_clause 0x2
	buffer_load_dword v168, off, s[0:3], 0 offset:860
	buffer_load_dword v164, off, s[0:3], 0 offset:836
	buffer_load_dword v163, off, s[0:3], 0 offset:832
	ds_read_b128 v[131:134], v192 offset:1600
	s_waitcnt vmcnt(58) lgkmcnt(1)
	v_mul_f64 v[175:176], v[1:2], v[181:182]
	v_mul_f64 v[181:182], v[3:4], v[181:182]
	s_waitcnt vmcnt(56)
	v_fma_f64 v[157:158], v[5:6], v[161:162], -v[157:158]
	v_fma_f64 v[161:162], v[7:8], v[161:162], v[213:214]
	v_add_f64 v[137:138], v[137:138], v[173:174]
	v_add_f64 v[135:136], v[135:136], v[151:152]
	s_clause 0x4
	buffer_load_dword v152, off, s[0:3], 0 offset:876
	buffer_load_dword v173, off, s[0:3], 0 offset:888
	buffer_load_dword v193, off, s[0:3], 0 offset:880
	buffer_load_dword v151, off, s[0:3], 0 offset:872
	buffer_load_dword v200, off, s[0:3], 0 offset:852
	ds_read_b128 v[5:8], v192 offset:1616
	s_waitcnt vmcnt(57) lgkmcnt(1)
	v_mul_f64 v[213:214], v[131:132], v[165:166]
	v_mul_f64 v[165:166], v[133:134], v[165:166]
	s_waitcnt vmcnt(56)
	v_fma_f64 v[181:182], v[1:2], v[183:184], -v[181:182]
	v_add_f64 v[137:138], v[137:138], v[157:158]
	v_fma_f64 v[157:158], v[3:4], v[183:184], v[175:176]
	v_add_f64 v[135:136], v[135:136], v[161:162]
	s_clause 0x2
	buffer_load_dword v174, off, s[0:3], 0 offset:892
	buffer_load_dword v162, off, s[0:3], 0 offset:868
	buffer_load_dword v161, off, s[0:3], 0 offset:864
	ds_read_b128 v[1:4], v192 offset:1632
	s_waitcnt vmcnt(58) lgkmcnt(1)
	v_mul_f64 v[183:184], v[7:8], v[187:188]
	v_mul_f64 v[175:176], v[5:6], v[187:188]
	;; [unrolled: 28-line block ×4, first 2 shown]
	s_waitcnt vmcnt(56)
	v_fma_f64 v[179:180], v[5:6], v[185:186], -v[179:180]
	v_add_f64 v[137:138], v[137:138], v[177:178]
	v_fma_f64 v[177:178], v[7:8], v[185:186], v[213:214]
	v_add_f64 v[135:136], v[135:136], v[171:172]
	s_clause 0x4
	buffer_load_dword v172, off, s[0:3], 0 offset:972
	buffer_load_dword v185, off, s[0:3], 0 offset:984
	;; [unrolled: 1-line block ×5, first 2 shown]
	ds_read_b128 v[5:8], v192 offset:1712
	s_waitcnt vmcnt(57) lgkmcnt(1)
	v_mul_f64 v[213:214], v[131:132], v[143:144]
	v_mul_f64 v[143:144], v[133:134], v[143:144]
	s_waitcnt vmcnt(56)
	v_fma_f64 v[195:196], v[1:2], v[205:206], -v[195:196]
	v_fma_f64 v[175:176], v[3:4], v[205:206], v[175:176]
	v_add_f64 v[137:138], v[137:138], v[179:180]
	v_add_f64 v[135:136], v[135:136], v[177:178]
	s_clause 0x2
	buffer_load_dword v186, off, s[0:3], 0 offset:988
	buffer_load_dword v178, off, s[0:3], 0 offset:964
	;; [unrolled: 1-line block ×3, first 2 shown]
	ds_read_b128 v[1:4], v192 offset:1728
	buffer_load_dword v202, off, s[0:3], 0 offset:980
	s_waitcnt vmcnt(59) lgkmcnt(1)
	v_mul_f64 v[179:180], v[5:6], v[203:204]
	v_mul_f64 v[203:204], v[7:8], v[203:204]
	s_waitcnt vmcnt(57)
	v_fma_f64 v[143:144], v[131:132], v[149:150], -v[143:144]
	v_fma_f64 v[149:150], v[133:134], v[149:150], v[213:214]
	ds_read_b128 v[131:134], v192 offset:1744
	v_add_f64 v[137:138], v[137:138], v[195:196]
	v_add_f64 v[135:136], v[135:136], v[175:176]
	s_waitcnt vmcnt(53) lgkmcnt(1)
	v_mul_f64 v[175:176], v[1:2], v[155:156]
	v_mul_f64 v[155:156], v[3:4], v[155:156]
	s_waitcnt vmcnt(52)
	v_fma_f64 v[195:196], v[5:6], v[209:210], -v[203:204]
	v_add_f64 v[137:138], v[137:138], v[143:144]
	v_fma_f64 v[143:144], v[7:8], v[209:210], v[179:180]
	v_add_f64 v[135:136], v[135:136], v[149:150]
	ds_read_b128 v[5:8], v192 offset:1760
	s_waitcnt vmcnt(51) lgkmcnt(1)
	v_mul_f64 v[179:180], v[133:134], v[197:198]
	v_mul_f64 v[149:150], v[131:132], v[197:198]
	s_waitcnt vmcnt(49)
	v_fma_f64 v[155:156], v[1:2], v[147:148], -v[155:156]
	v_fma_f64 v[147:148], v[3:4], v[147:148], v[175:176]
	v_add_f64 v[137:138], v[137:138], v[195:196]
	v_add_f64 v[135:136], v[135:136], v[143:144]
	s_clause 0x3
	buffer_load_dword v143, off, s[0:3], 0 offset:160
	buffer_load_dword v144, off, s[0:3], 0 offset:164
	;; [unrolled: 1-line block ×4, first 2 shown]
	ds_read_b128 v[1:4], v192 offset:1776
	s_waitcnt vmcnt(49) lgkmcnt(1)
	v_mul_f64 v[195:196], v[5:6], v[141:142]
	v_mul_f64 v[141:142], v[7:8], v[141:142]
	s_waitcnt vmcnt(48)
	v_fma_f64 v[179:180], v[131:132], v[211:212], -v[179:180]
	v_fma_f64 v[149:150], v[133:134], v[211:212], v[149:150]
	ds_read_b128 v[131:134], v192 offset:1792
	v_add_f64 v[137:138], v[137:138], v[155:156]
	v_add_f64 v[135:136], v[135:136], v[147:148]
	s_waitcnt vmcnt(47) lgkmcnt(1)
	v_mul_f64 v[155:156], v[3:4], v[159:160]
	v_mul_f64 v[147:148], v[1:2], v[159:160]
	s_waitcnt vmcnt(45)
	v_fma_f64 v[141:142], v[5:6], v[153:154], -v[141:142]
	v_fma_f64 v[153:154], v[7:8], v[153:154], v[195:196]
	ds_read_b128 v[5:8], v192 offset:1808
	v_add_f64 v[137:138], v[137:138], v[179:180]
	v_add_f64 v[135:136], v[135:136], v[149:150]
	s_waitcnt vmcnt(41) lgkmcnt(1)
	v_mul_f64 v[149:150], v[131:132], v[145:146]
	v_mul_f64 v[145:146], v[133:134], v[145:146]
	s_waitcnt vmcnt(40)
	v_fma_f64 v[155:156], v[1:2], v[207:208], -v[155:156]
	v_add_f64 v[137:138], v[137:138], v[141:142]
	v_fma_f64 v[141:142], v[3:4], v[207:208], v[147:148]
	v_add_f64 v[135:136], v[135:136], v[153:154]
	ds_read_b128 v[1:4], v192 offset:1824
	s_waitcnt vmcnt(39) lgkmcnt(1)
	v_mul_f64 v[153:154], v[7:8], v[167:168]
	v_mul_f64 v[147:148], v[5:6], v[167:168]
	s_waitcnt vmcnt(37)
	v_fma_f64 v[145:146], v[131:132], v[163:164], -v[145:146]
	v_fma_f64 v[149:150], v[133:134], v[163:164], v[149:150]
	ds_read_b128 v[131:134], v192 offset:1840
	v_add_f64 v[137:138], v[137:138], v[155:156]
	v_add_f64 v[135:136], v[135:136], v[141:142]
	s_waitcnt vmcnt(33) lgkmcnt(1)
	v_mul_f64 v[141:142], v[1:2], v[151:152]
	v_mul_f64 v[151:152], v[3:4], v[151:152]
	s_waitcnt vmcnt(32)
	v_fma_f64 v[153:154], v[5:6], v[199:200], -v[153:154]
	v_add_f64 v[137:138], v[137:138], v[145:146]
	v_fma_f64 v[145:146], v[7:8], v[199:200], v[147:148]
	v_add_f64 v[135:136], v[135:136], v[149:150]
	ds_read_b128 v[5:8], v192 offset:1856
	s_waitcnt vmcnt(31) lgkmcnt(1)
	v_mul_f64 v[149:150], v[133:134], v[173:174]
	v_mul_f64 v[147:148], v[131:132], v[173:174]
	s_waitcnt vmcnt(29)
	v_fma_f64 v[151:152], v[1:2], v[161:162], -v[151:152]
	v_fma_f64 v[141:142], v[3:4], v[161:162], v[141:142]
	ds_read_b128 v[1:4], v192 offset:1872
	v_add_f64 v[137:138], v[137:138], v[153:154]
	v_add_f64 v[135:136], v[135:136], v[145:146]
	s_waitcnt vmcnt(25) lgkmcnt(1)
	v_mul_f64 v[153:154], v[7:8], v[157:158]
	s_waitcnt vmcnt(24)
	v_fma_f64 v[149:150], v[131:132], v[193:194], -v[149:150]
	v_mul_f64 v[145:146], v[5:6], v[157:158]
	v_fma_f64 v[147:148], v[133:134], v[193:194], v[147:148]
	ds_read_b128 v[131:134], v192 offset:1888
	v_add_f64 v[137:138], v[137:138], v[151:152]
	v_add_f64 v[135:136], v[135:136], v[141:142]
	s_waitcnt vmcnt(23) lgkmcnt(1)
	v_mul_f64 v[151:152], v[3:4], v[181:182]
	v_mul_f64 v[141:142], v[1:2], v[181:182]
	s_waitcnt vmcnt(21)
	v_fma_f64 v[153:154], v[5:6], v[169:170], -v[153:154]
	v_fma_f64 v[145:146], v[7:8], v[169:170], v[145:146]
	ds_read_b128 v[5:8], v192 offset:1904
	v_add_f64 v[137:138], v[137:138], v[149:150]
	v_add_f64 v[135:136], v[135:136], v[147:148]
	s_waitcnt vmcnt(17) lgkmcnt(1)
	v_mul_f64 v[149:150], v[133:134], v[165:166]
	s_waitcnt vmcnt(16)
	v_fma_f64 v[151:152], v[1:2], v[187:188], -v[151:152]
	v_mul_f64 v[147:148], v[131:132], v[165:166]
	v_fma_f64 v[141:142], v[3:4], v[187:188], v[141:142]
	ds_read_b128 v[1:4], v192 offset:1920
	v_add_f64 v[137:138], v[137:138], v[153:154]
	v_add_f64 v[135:136], v[135:136], v[145:146]
	s_waitcnt vmcnt(15) lgkmcnt(1)
	v_mul_f64 v[153:154], v[7:8], v[183:184]
	v_mul_f64 v[145:146], v[5:6], v[183:184]
	s_waitcnt vmcnt(13)
	v_fma_f64 v[149:150], v[131:132], v[139:140], -v[149:150]
	v_fma_f64 v[139:140], v[133:134], v[139:140], v[147:148]
	ds_read_b128 v[131:134], v192 offset:1936
	v_add_f64 v[137:138], v[137:138], v[151:152]
	v_add_f64 v[135:136], v[135:136], v[141:142]
	s_waitcnt vmcnt(9) lgkmcnt(1)
	v_mul_f64 v[147:148], v[3:4], v[171:172]
	s_waitcnt vmcnt(8)
	v_fma_f64 v[5:6], v[5:6], v[189:190], -v[153:154]
	v_mul_f64 v[141:142], v[1:2], v[171:172]
	v_fma_f64 v[7:8], v[7:8], v[189:190], v[145:146]
	v_add_f64 v[137:138], v[137:138], v[149:150]
	v_add_f64 v[135:136], v[135:136], v[139:140]
	s_waitcnt vmcnt(7) lgkmcnt(0)
	v_mul_f64 v[145:146], v[133:134], v[185:186]
	v_mul_f64 v[139:140], v[131:132], v[185:186]
	s_waitcnt vmcnt(5)
	v_fma_f64 v[1:2], v[1:2], v[177:178], -v[147:148]
	v_fma_f64 v[3:4], v[3:4], v[177:178], v[141:142]
	v_add_f64 v[5:6], v[137:138], v[5:6]
	v_add_f64 v[7:8], v[135:136], v[7:8]
	s_waitcnt vmcnt(4)
	v_fma_f64 v[131:132], v[131:132], v[201:202], -v[145:146]
	v_add_f64 v[1:2], v[5:6], v[1:2]
	v_fma_f64 v[5:6], v[133:134], v[201:202], v[139:140]
	v_add_f64 v[3:4], v[7:8], v[3:4]
	v_add_f64 v[1:2], v[1:2], v[131:132]
	;; [unrolled: 1-line block ×3, first 2 shown]
	s_waitcnt vmcnt(2)
	v_add_f64 v[1:2], v[143:144], -v[1:2]
	s_waitcnt vmcnt(0)
	v_add_f64 v[3:4], v[175:176], -v[3:4]
	buffer_store_dword v2, off, s[0:3], 0 offset:164
	buffer_store_dword v1, off, s[0:3], 0 offset:160
	;; [unrolled: 1-line block ×4, first 2 shown]
	v_cmpx_lt_u32_e32 8, v0
	s_cbranch_execz .LBB124_375
; %bb.374:
	v_mov_b32_e32 v4, s67
	s_clause 0x3
	buffer_load_dword v1, v4, s[0:3], 0 offen
	buffer_load_dword v2, v4, s[0:3], 0 offen offset:4
	buffer_load_dword v3, v4, s[0:3], 0 offen offset:8
	buffer_load_dword v4, v4, s[0:3], 0 offen offset:12
	buffer_store_dword v192, off, s[0:3], 0 offset:144
	buffer_store_dword v192, off, s[0:3], 0 offset:148
	;; [unrolled: 1-line block ×4, first 2 shown]
	s_waitcnt vmcnt(0)
	ds_write_b128 v191, v[1:4]
.LBB124_375:
	s_or_b32 exec_lo, exec_lo, s4
	s_waitcnt lgkmcnt(0)
	s_waitcnt_vscnt null, 0x0
	s_barrier
	buffer_gl0_inv
	s_clause 0x37
	buffer_load_dword v139, off, s[0:3], 0 offset:168
	buffer_load_dword v140, off, s[0:3], 0 offset:172
	;; [unrolled: 1-line block ×56, first 2 shown]
	ds_read_b128 v[5:8], v192 offset:1120
	s_clause 0x2
	buffer_load_dword v188, off, s[0:3], 0 offset:396
	buffer_load_dword v190, off, s[0:3], 0 offset:372
	;; [unrolled: 1-line block ×3, first 2 shown]
	ds_read_b128 v[1:4], v192 offset:1136
	s_clause 0x4
	buffer_load_dword v200, off, s[0:3], 0 offset:412
	buffer_load_dword v201, off, s[0:3], 0 offset:424
	;; [unrolled: 1-line block ×5, first 2 shown]
	ds_read_b128 v[193:196], v192 offset:1152
	s_mov_b32 s4, exec_lo
	s_waitcnt vmcnt(62) lgkmcnt(2)
	v_mul_f64 v[197:198], v[7:8], v[139:140]
	v_mul_f64 v[139:140], v[5:6], v[139:140]
	s_waitcnt vmcnt(60) lgkmcnt(1)
	v_mul_f64 v[204:205], v[3:4], v[135:136]
	v_mul_f64 v[135:136], v[1:2], v[135:136]
	;; [unrolled: 3-line block ×3, first 2 shown]
	v_fma_f64 v[197:198], v[5:6], v[137:138], -v[197:198]
	v_fma_f64 v[137:138], v[7:8], v[137:138], v[139:140]
	s_clause 0x2
	buffer_load_dword v202, off, s[0:3], 0 offset:428
	buffer_load_dword v140, off, s[0:3], 0 offset:404
	;; [unrolled: 1-line block ×3, first 2 shown]
	s_waitcnt vmcnt(57)
	v_fma_f64 v[208:209], v[1:2], v[131:132], -v[204:205]
	ds_read_b128 v[5:8], v192 offset:1168
	v_fma_f64 v[131:132], v[3:4], v[131:132], v[135:136]
	s_waitcnt vmcnt(51)
	v_fma_f64 v[193:194], v[193:194], v[155:156], -v[133:134]
	v_fma_f64 v[155:156], v[195:196], v[155:156], v[206:207]
	v_add_f64 v[197:198], v[197:198], 0
	v_add_f64 v[135:136], v[137:138], 0
	s_clause 0x4
	buffer_load_dword v138, off, s[0:3], 0 offset:444
	buffer_load_dword v205, off, s[0:3], 0 offset:456
	;; [unrolled: 1-line block ×5, first 2 shown]
	s_waitcnt lgkmcnt(0)
	v_mul_f64 v[211:212], v[5:6], v[143:144]
	v_mul_f64 v[143:144], v[7:8], v[143:144]
	ds_read_b128 v[1:4], v192 offset:1184
	s_clause 0x2
	buffer_load_dword v206, off, s[0:3], 0 offset:460
	buffer_load_dword v196, off, s[0:3], 0 offset:436
	;; [unrolled: 1-line block ×3, first 2 shown]
	v_add_f64 v[197:198], v[197:198], v[208:209]
	v_add_f64 v[135:136], v[135:136], v[131:132]
	ds_read_b128 v[131:134], v192 offset:1200
	s_waitcnt vmcnt(58) lgkmcnt(1)
	v_mul_f64 v[207:208], v[1:2], v[147:148]
	v_mul_f64 v[147:148], v[3:4], v[147:148]
	s_waitcnt vmcnt(56)
	v_fma_f64 v[143:144], v[5:6], v[149:150], -v[143:144]
	v_fma_f64 v[149:150], v[7:8], v[149:150], v[211:212]
	s_waitcnt vmcnt(52) lgkmcnt(0)
	v_mul_f64 v[213:214], v[131:132], v[151:152]
	v_add_f64 v[193:194], v[197:198], v[193:194]
	v_add_f64 v[135:136], v[135:136], v[155:156]
	s_clause 0x4
	buffer_load_dword v156, off, s[0:3], 0 offset:476
	buffer_load_dword v197, off, s[0:3], 0 offset:488
	buffer_load_dword v212, off, s[0:3], 0 offset:480
	buffer_load_dword v155, off, s[0:3], 0 offset:472
	buffer_load_dword v211, off, s[0:3], 0 offset:452
	v_mul_f64 v[151:152], v[133:134], v[151:152]
	s_waitcnt vmcnt(56)
	v_fma_f64 v[147:148], v[1:2], v[141:142], -v[147:148]
	ds_read_b128 v[5:8], v192 offset:1216
	v_fma_f64 v[141:142], v[3:4], v[141:142], v[207:208]
	v_add_f64 v[143:144], v[193:194], v[143:144]
	v_add_f64 v[135:136], v[135:136], v[149:150]
	s_clause 0x2
	buffer_load_dword v198, off, s[0:3], 0 offset:492
	buffer_load_dword v150, off, s[0:3], 0 offset:468
	;; [unrolled: 1-line block ×3, first 2 shown]
	s_waitcnt vmcnt(58) lgkmcnt(0)
	v_mul_f64 v[193:194], v[5:6], v[157:158]
	v_mul_f64 v[157:158], v[7:8], v[157:158]
	s_waitcnt vmcnt(56)
	v_fma_f64 v[151:152], v[131:132], v[159:160], -v[151:152]
	ds_read_b128 v[1:4], v192 offset:1232
	v_add_f64 v[143:144], v[143:144], v[147:148]
	v_fma_f64 v[147:148], v[133:134], v[159:160], v[213:214]
	v_add_f64 v[135:136], v[135:136], v[141:142]
	s_clause 0x4
	buffer_load_dword v142, off, s[0:3], 0 offset:508
	buffer_load_dword v159, off, s[0:3], 0 offset:520
	;; [unrolled: 1-line block ×5, first 2 shown]
	s_waitcnt vmcnt(57) lgkmcnt(0)
	v_mul_f64 v[208:209], v[1:2], v[161:162]
	v_mul_f64 v[161:162], v[3:4], v[161:162]
	s_waitcnt vmcnt(56)
	v_fma_f64 v[157:158], v[5:6], v[145:146], -v[157:158]
	ds_read_b128 v[131:134], v192 offset:1248
	v_fma_f64 v[145:146], v[7:8], v[145:146], v[193:194]
	v_add_f64 v[143:144], v[143:144], v[151:152]
	v_add_f64 v[135:136], v[135:136], v[147:148]
	s_clause 0x2
	buffer_load_dword v160, off, s[0:3], 0 offset:524
	buffer_load_dword v148, off, s[0:3], 0 offset:500
	;; [unrolled: 1-line block ×3, first 2 shown]
	ds_read_b128 v[5:8], v192 offset:1264
	s_waitcnt vmcnt(58) lgkmcnt(1)
	v_mul_f64 v[151:152], v[131:132], v[165:166]
	v_mul_f64 v[165:166], v[133:134], v[165:166]
	s_waitcnt vmcnt(56)
	v_fma_f64 v[161:162], v[1:2], v[167:168], -v[161:162]
	v_add_f64 v[143:144], v[143:144], v[157:158]
	v_fma_f64 v[157:158], v[3:4], v[167:168], v[208:209]
	v_add_f64 v[135:136], v[135:136], v[145:146]
	s_clause 0x4
	buffer_load_dword v146, off, s[0:3], 0 offset:540
	buffer_load_dword v167, off, s[0:3], 0 offset:552
	buffer_load_dword v193, off, s[0:3], 0 offset:544
	buffer_load_dword v145, off, s[0:3], 0 offset:536
	buffer_load_dword v208, off, s[0:3], 0 offset:516
	s_waitcnt vmcnt(57) lgkmcnt(0)
	v_mul_f64 v[214:215], v[5:6], v[169:170]
	v_mul_f64 v[169:170], v[7:8], v[169:170]
	s_waitcnt vmcnt(56)
	v_fma_f64 v[165:166], v[131:132], v[153:154], -v[165:166]
	ds_read_b128 v[1:4], v192 offset:1280
	v_fma_f64 v[151:152], v[133:134], v[153:154], v[151:152]
	s_clause 0x2
	buffer_load_dword v168, off, s[0:3], 0 offset:556
	buffer_load_dword v154, off, s[0:3], 0 offset:532
	;; [unrolled: 1-line block ×3, first 2 shown]
	ds_read_b128 v[131:134], v192 offset:1296
	v_add_f64 v[143:144], v[143:144], v[161:162]
	v_add_f64 v[135:136], v[135:136], v[157:158]
	s_waitcnt vmcnt(58) lgkmcnt(1)
	v_mul_f64 v[161:162], v[3:4], v[173:174]
	s_waitcnt vmcnt(56)
	v_fma_f64 v[169:170], v[5:6], v[175:176], -v[169:170]
	v_mul_f64 v[157:158], v[1:2], v[173:174]
	v_add_f64 v[143:144], v[143:144], v[165:166]
	v_fma_f64 v[165:166], v[7:8], v[175:176], v[214:215]
	v_add_f64 v[135:136], v[135:136], v[151:152]
	s_clause 0x4
	buffer_load_dword v152, off, s[0:3], 0 offset:572
	buffer_load_dword v173, off, s[0:3], 0 offset:584
	;; [unrolled: 1-line block ×5, first 2 shown]
	s_waitcnt vmcnt(57) lgkmcnt(0)
	v_mul_f64 v[214:215], v[131:132], v[177:178]
	v_mul_f64 v[176:177], v[133:134], v[177:178]
	s_waitcnt vmcnt(56)
	v_fma_f64 v[161:162], v[1:2], v[163:164], -v[161:162]
	ds_read_b128 v[5:8], v192 offset:1312
	v_fma_f64 v[157:158], v[3:4], v[163:164], v[157:158]
	s_clause 0x2
	buffer_load_dword v174, off, s[0:3], 0 offset:588
	buffer_load_dword v164, off, s[0:3], 0 offset:564
	;; [unrolled: 1-line block ×3, first 2 shown]
	ds_read_b128 v[1:4], v192 offset:1328
	v_add_f64 v[143:144], v[143:144], v[169:170]
	v_add_f64 v[135:136], v[135:136], v[165:166]
	s_waitcnt vmcnt(58) lgkmcnt(1)
	v_mul_f64 v[169:170], v[7:8], v[181:182]
	s_waitcnt vmcnt(56)
	v_fma_f64 v[177:178], v[131:132], v[183:184], -v[176:177]
	v_mul_f64 v[165:166], v[5:6], v[181:182]
	v_add_f64 v[143:144], v[143:144], v[161:162]
	v_fma_f64 v[161:162], v[133:134], v[183:184], v[214:215]
	v_add_f64 v[135:136], v[135:136], v[157:158]
	s_clause 0x4
	buffer_load_dword v158, off, s[0:3], 0 offset:604
	buffer_load_dword v181, off, s[0:3], 0 offset:616
	buffer_load_dword v183, off, s[0:3], 0 offset:608
	buffer_load_dword v157, off, s[0:3], 0 offset:600
	buffer_load_dword v176, off, s[0:3], 0 offset:580
	s_waitcnt vmcnt(57) lgkmcnt(0)
	v_mul_f64 v[214:215], v[1:2], v[185:186]
	v_mul_f64 v[184:185], v[3:4], v[185:186]
	s_waitcnt vmcnt(56)
	v_fma_f64 v[169:170], v[5:6], v[171:172], -v[169:170]
	ds_read_b128 v[131:134], v192 offset:1344
	v_fma_f64 v[165:166], v[7:8], v[171:172], v[165:166]
	v_add_f64 v[143:144], v[143:144], v[177:178]
	v_add_f64 v[135:136], v[135:136], v[161:162]
	s_clause 0x2
	buffer_load_dword v182, off, s[0:3], 0 offset:620
	buffer_load_dword v162, off, s[0:3], 0 offset:596
	;; [unrolled: 1-line block ×3, first 2 shown]
	ds_read_b128 v[5:8], v192 offset:1360
	s_waitcnt vmcnt(58) lgkmcnt(1)
	v_mul_f64 v[177:178], v[133:134], v[187:188]
	s_waitcnt vmcnt(56)
	v_fma_f64 v[185:186], v[1:2], v[189:190], -v[184:185]
	v_mul_f64 v[171:172], v[131:132], v[187:188]
	v_add_f64 v[143:144], v[143:144], v[169:170]
	v_fma_f64 v[169:170], v[3:4], v[189:190], v[214:215]
	v_add_f64 v[135:136], v[135:136], v[165:166]
	s_clause 0x4
	buffer_load_dword v166, off, s[0:3], 0 offset:636
	buffer_load_dword v187, off, s[0:3], 0 offset:648
	;; [unrolled: 1-line block ×5, first 2 shown]
	s_waitcnt vmcnt(57) lgkmcnt(0)
	v_mul_f64 v[214:215], v[5:6], v[199:200]
	v_mul_f64 v[199:200], v[7:8], v[199:200]
	s_waitcnt vmcnt(56)
	v_fma_f64 v[177:178], v[131:132], v[179:180], -v[177:178]
	ds_read_b128 v[1:4], v192 offset:1376
	v_fma_f64 v[171:172], v[133:134], v[179:180], v[171:172]
	v_add_f64 v[143:144], v[143:144], v[185:186]
	v_add_f64 v[135:136], v[135:136], v[169:170]
	s_clause 0x2
	buffer_load_dword v188, off, s[0:3], 0 offset:652
	buffer_load_dword v170, off, s[0:3], 0 offset:628
	;; [unrolled: 1-line block ×3, first 2 shown]
	ds_read_b128 v[131:134], v192 offset:1392
	s_waitcnt vmcnt(58) lgkmcnt(1)
	v_mul_f64 v[185:186], v[3:4], v[201:202]
	v_mul_f64 v[179:180], v[1:2], v[201:202]
	s_waitcnt vmcnt(56)
	v_fma_f64 v[199:200], v[5:6], v[139:140], -v[199:200]
	v_fma_f64 v[139:140], v[7:8], v[139:140], v[214:215]
	v_add_f64 v[143:144], v[143:144], v[177:178]
	v_add_f64 v[135:136], v[135:136], v[171:172]
	s_clause 0x4
	buffer_load_dword v172, off, s[0:3], 0 offset:668
	buffer_load_dword v177, off, s[0:3], 0 offset:680
	;; [unrolled: 1-line block ×5, first 2 shown]
	ds_read_b128 v[5:8], v192 offset:1408
	s_waitcnt vmcnt(57) lgkmcnt(1)
	v_mul_f64 v[214:215], v[131:132], v[137:138]
	v_mul_f64 v[137:138], v[133:134], v[137:138]
	s_waitcnt vmcnt(56)
	v_fma_f64 v[185:186], v[1:2], v[203:204], -v[185:186]
	v_fma_f64 v[179:180], v[3:4], v[203:204], v[179:180]
	v_add_f64 v[143:144], v[143:144], v[199:200]
	v_add_f64 v[135:136], v[135:136], v[139:140]
	s_clause 0x2
	buffer_load_dword v178, off, s[0:3], 0 offset:684
	buffer_load_dword v140, off, s[0:3], 0 offset:660
	;; [unrolled: 1-line block ×3, first 2 shown]
	s_waitcnt vmcnt(58) lgkmcnt(0)
	v_mul_f64 v[203:204], v[7:8], v[205:206]
	ds_read_b128 v[1:4], v192 offset:1424
	v_mul_f64 v[199:200], v[5:6], v[205:206]
	s_waitcnt vmcnt(56)
	v_fma_f64 v[137:138], v[131:132], v[195:196], -v[137:138]
	v_add_f64 v[143:144], v[143:144], v[185:186]
	v_fma_f64 v[185:186], v[133:134], v[195:196], v[214:215]
	v_add_f64 v[135:136], v[135:136], v[179:180]
	s_clause 0x4
	buffer_load_dword v180, off, s[0:3], 0 offset:700
	buffer_load_dword v195, off, s[0:3], 0 offset:712
	;; [unrolled: 1-line block ×5, first 2 shown]
	ds_read_b128 v[131:134], v192 offset:1440
	s_waitcnt vmcnt(57) lgkmcnt(1)
	v_mul_f64 v[214:215], v[1:2], v[155:156]
	v_mul_f64 v[155:156], v[3:4], v[155:156]
	s_waitcnt vmcnt(56)
	v_fma_f64 v[203:204], v[5:6], v[210:211], -v[203:204]
	v_add_f64 v[137:138], v[143:144], v[137:138]
	v_fma_f64 v[143:144], v[7:8], v[210:211], v[199:200]
	v_add_f64 v[135:136], v[135:136], v[185:186]
	s_clause 0x2
	buffer_load_dword v196, off, s[0:3], 0 offset:716
	buffer_load_dword v186, off, s[0:3], 0 offset:692
	;; [unrolled: 1-line block ×3, first 2 shown]
	ds_read_b128 v[5:8], v192 offset:1456
	s_waitcnt vmcnt(58) lgkmcnt(1)
	v_mul_f64 v[199:200], v[131:132], v[197:198]
	v_mul_f64 v[197:198], v[133:134], v[197:198]
	s_waitcnt vmcnt(56)
	v_fma_f64 v[155:156], v[1:2], v[149:150], -v[155:156]
	v_fma_f64 v[149:150], v[3:4], v[149:150], v[214:215]
	v_add_f64 v[137:138], v[137:138], v[203:204]
	v_add_f64 v[135:136], v[135:136], v[143:144]
	s_clause 0x4
	buffer_load_dword v144, off, s[0:3], 0 offset:732
	buffer_load_dword v203, off, s[0:3], 0 offset:744
	;; [unrolled: 1-line block ×5, first 2 shown]
	ds_read_b128 v[1:4], v192 offset:1472
	s_waitcnt vmcnt(57) lgkmcnt(1)
	v_mul_f64 v[210:211], v[5:6], v[141:142]
	v_mul_f64 v[141:142], v[7:8], v[141:142]
	s_waitcnt vmcnt(56)
	v_fma_f64 v[197:198], v[131:132], v[212:213], -v[197:198]
	v_add_f64 v[137:138], v[137:138], v[155:156]
	v_fma_f64 v[155:156], v[133:134], v[212:213], v[199:200]
	v_add_f64 v[135:136], v[135:136], v[149:150]
	s_clause 0x2
	buffer_load_dword v204, off, s[0:3], 0 offset:748
	buffer_load_dword v150, off, s[0:3], 0 offset:724
	;; [unrolled: 1-line block ×3, first 2 shown]
	ds_read_b128 v[131:134], v192 offset:1488
	s_waitcnt vmcnt(58) lgkmcnt(1)
	v_mul_f64 v[199:200], v[1:2], v[159:160]
	v_mul_f64 v[159:160], v[3:4], v[159:160]
	s_waitcnt vmcnt(56)
	v_fma_f64 v[141:142], v[5:6], v[147:148], -v[141:142]
	v_fma_f64 v[147:148], v[7:8], v[147:148], v[210:211]
	v_add_f64 v[137:138], v[137:138], v[197:198]
	v_add_f64 v[135:136], v[135:136], v[155:156]
	s_clause 0x4
	buffer_load_dword v156, off, s[0:3], 0 offset:764
	buffer_load_dword v197, off, s[0:3], 0 offset:776
	;; [unrolled: 1-line block ×5, first 2 shown]
	ds_read_b128 v[5:8], v192 offset:1504
	s_waitcnt vmcnt(57) lgkmcnt(1)
	v_mul_f64 v[212:213], v[131:132], v[145:146]
	v_mul_f64 v[145:146], v[133:134], v[145:146]
	s_waitcnt vmcnt(56)
	v_fma_f64 v[159:160], v[1:2], v[207:208], -v[159:160]
	v_add_f64 v[137:138], v[137:138], v[141:142]
	v_fma_f64 v[141:142], v[3:4], v[207:208], v[199:200]
	v_add_f64 v[135:136], v[135:136], v[147:148]
	s_clause 0x2
	buffer_load_dword v198, off, s[0:3], 0 offset:780
	buffer_load_dword v148, off, s[0:3], 0 offset:756
	;; [unrolled: 1-line block ×3, first 2 shown]
	s_waitcnt vmcnt(58) lgkmcnt(0)
	v_mul_f64 v[199:200], v[5:6], v[167:168]
	v_mul_f64 v[167:168], v[7:8], v[167:168]
	ds_read_b128 v[1:4], v192 offset:1520
	s_waitcnt vmcnt(56)
	v_fma_f64 v[145:146], v[131:132], v[153:154], -v[145:146]
	v_fma_f64 v[153:154], v[133:134], v[153:154], v[212:213]
	v_add_f64 v[137:138], v[137:138], v[159:160]
	v_add_f64 v[135:136], v[135:136], v[141:142]
	s_clause 0x4
	buffer_load_dword v142, off, s[0:3], 0 offset:796
	buffer_load_dword v159, off, s[0:3], 0 offset:808
	;; [unrolled: 1-line block ×5, first 2 shown]
	ds_read_b128 v[131:134], v192 offset:1536
	s_waitcnt vmcnt(57) lgkmcnt(1)
	v_mul_f64 v[213:214], v[1:2], v[151:152]
	v_mul_f64 v[151:152], v[3:4], v[151:152]
	s_waitcnt vmcnt(56)
	v_fma_f64 v[167:168], v[5:6], v[193:194], -v[167:168]
	v_add_f64 v[137:138], v[137:138], v[145:146]
	v_fma_f64 v[145:146], v[7:8], v[193:194], v[199:200]
	v_add_f64 v[135:136], v[135:136], v[153:154]
	s_clause 0x2
	buffer_load_dword v160, off, s[0:3], 0 offset:812
	buffer_load_dword v154, off, s[0:3], 0 offset:788
	;; [unrolled: 1-line block ×3, first 2 shown]
	s_waitcnt vmcnt(58) lgkmcnt(0)
	v_mul_f64 v[193:194], v[131:132], v[173:174]
	v_mul_f64 v[173:174], v[133:134], v[173:174]
	ds_read_b128 v[5:8], v192 offset:1552
	s_waitcnt vmcnt(56)
	v_fma_f64 v[151:152], v[1:2], v[163:164], -v[151:152]
	v_fma_f64 v[163:164], v[3:4], v[163:164], v[213:214]
	v_add_f64 v[137:138], v[137:138], v[167:168]
	v_add_f64 v[135:136], v[135:136], v[145:146]
	s_clause 0x4
	buffer_load_dword v146, off, s[0:3], 0 offset:828
	buffer_load_dword v167, off, s[0:3], 0 offset:840
	buffer_load_dword v199, off, s[0:3], 0 offset:832
	buffer_load_dword v145, off, s[0:3], 0 offset:824
	buffer_load_dword v208, off, s[0:3], 0 offset:804
	ds_read_b128 v[1:4], v192 offset:1568
	s_waitcnt vmcnt(57) lgkmcnt(1)
	v_mul_f64 v[213:214], v[5:6], v[157:158]
	v_mul_f64 v[157:158], v[7:8], v[157:158]
	s_waitcnt vmcnt(56)
	v_fma_f64 v[173:174], v[131:132], v[175:176], -v[173:174]
	v_add_f64 v[137:138], v[137:138], v[151:152]
	v_fma_f64 v[151:152], v[133:134], v[175:176], v[193:194]
	v_add_f64 v[135:136], v[135:136], v[163:164]
	s_clause 0x2
	buffer_load_dword v168, off, s[0:3], 0 offset:844
	buffer_load_dword v164, off, s[0:3], 0 offset:820
	buffer_load_dword v163, off, s[0:3], 0 offset:816
	ds_read_b128 v[131:134], v192 offset:1584
	s_waitcnt vmcnt(58) lgkmcnt(1)
	v_mul_f64 v[175:176], v[1:2], v[181:182]
	v_mul_f64 v[181:182], v[3:4], v[181:182]
	s_waitcnt vmcnt(56)
	v_fma_f64 v[157:158], v[5:6], v[161:162], -v[157:158]
	v_fma_f64 v[161:162], v[7:8], v[161:162], v[213:214]
	v_add_f64 v[137:138], v[137:138], v[173:174]
	v_add_f64 v[135:136], v[135:136], v[151:152]
	s_clause 0x4
	buffer_load_dword v152, off, s[0:3], 0 offset:860
	buffer_load_dword v173, off, s[0:3], 0 offset:872
	buffer_load_dword v193, off, s[0:3], 0 offset:864
	buffer_load_dword v151, off, s[0:3], 0 offset:856
	buffer_load_dword v200, off, s[0:3], 0 offset:836
	ds_read_b128 v[5:8], v192 offset:1600
	s_waitcnt vmcnt(57) lgkmcnt(1)
	v_mul_f64 v[213:214], v[131:132], v[165:166]
	v_mul_f64 v[165:166], v[133:134], v[165:166]
	s_waitcnt vmcnt(56)
	v_fma_f64 v[181:182], v[1:2], v[183:184], -v[181:182]
	v_add_f64 v[137:138], v[137:138], v[157:158]
	v_fma_f64 v[157:158], v[3:4], v[183:184], v[175:176]
	v_add_f64 v[135:136], v[135:136], v[161:162]
	s_clause 0x2
	buffer_load_dword v174, off, s[0:3], 0 offset:876
	buffer_load_dword v162, off, s[0:3], 0 offset:852
	buffer_load_dword v161, off, s[0:3], 0 offset:848
	ds_read_b128 v[1:4], v192 offset:1616
	s_waitcnt vmcnt(58) lgkmcnt(1)
	v_mul_f64 v[183:184], v[7:8], v[187:188]
	v_mul_f64 v[175:176], v[5:6], v[187:188]
	;; [unrolled: 28-line block ×4, first 2 shown]
	s_waitcnt vmcnt(56)
	v_fma_f64 v[179:180], v[5:6], v[185:186], -v[179:180]
	v_add_f64 v[137:138], v[137:138], v[177:178]
	v_fma_f64 v[177:178], v[7:8], v[185:186], v[213:214]
	v_add_f64 v[135:136], v[135:136], v[171:172]
	s_clause 0x4
	buffer_load_dword v172, off, s[0:3], 0 offset:956
	buffer_load_dword v185, off, s[0:3], 0 offset:968
	;; [unrolled: 1-line block ×5, first 2 shown]
	ds_read_b128 v[5:8], v192 offset:1696
	s_waitcnt vmcnt(57) lgkmcnt(1)
	v_mul_f64 v[213:214], v[131:132], v[143:144]
	v_mul_f64 v[143:144], v[133:134], v[143:144]
	s_waitcnt vmcnt(56)
	v_fma_f64 v[195:196], v[1:2], v[205:206], -v[195:196]
	v_fma_f64 v[175:176], v[3:4], v[205:206], v[175:176]
	v_add_f64 v[137:138], v[137:138], v[179:180]
	v_add_f64 v[135:136], v[135:136], v[177:178]
	s_clause 0x2
	buffer_load_dword v186, off, s[0:3], 0 offset:972
	buffer_load_dword v178, off, s[0:3], 0 offset:948
	;; [unrolled: 1-line block ×3, first 2 shown]
	ds_read_b128 v[1:4], v192 offset:1712
	s_waitcnt vmcnt(58) lgkmcnt(1)
	v_mul_f64 v[179:180], v[5:6], v[203:204]
	v_mul_f64 v[203:204], v[7:8], v[203:204]
	s_waitcnt vmcnt(56)
	v_fma_f64 v[143:144], v[131:132], v[149:150], -v[143:144]
	v_fma_f64 v[149:150], v[133:134], v[149:150], v[213:214]
	v_add_f64 v[137:138], v[137:138], v[195:196]
	v_add_f64 v[135:136], v[135:136], v[175:176]
	s_clause 0x2
	buffer_load_dword v176, off, s[0:3], 0 offset:988
	buffer_load_dword v175, off, s[0:3], 0 offset:984
	;; [unrolled: 1-line block ×3, first 2 shown]
	ds_read_b128 v[131:134], v192 offset:1728
	s_waitcnt vmcnt(55) lgkmcnt(1)
	v_mul_f64 v[195:196], v[1:2], v[155:156]
	v_mul_f64 v[155:156], v[3:4], v[155:156]
	s_waitcnt vmcnt(54)
	v_fma_f64 v[203:204], v[5:6], v[209:210], -v[203:204]
	v_add_f64 v[137:138], v[137:138], v[143:144]
	v_fma_f64 v[143:144], v[7:8], v[209:210], v[179:180]
	v_add_f64 v[135:136], v[135:136], v[149:150]
	s_clause 0x1
	buffer_load_dword v150, off, s[0:3], 0 offset:980
	buffer_load_dword v149, off, s[0:3], 0 offset:976
	ds_read_b128 v[5:8], v192 offset:1744
	s_waitcnt vmcnt(55) lgkmcnt(1)
	v_mul_f64 v[179:180], v[131:132], v[197:198]
	v_mul_f64 v[197:198], v[133:134], v[197:198]
	s_waitcnt vmcnt(53)
	v_fma_f64 v[155:156], v[1:2], v[147:148], -v[155:156]
	v_fma_f64 v[147:148], v[3:4], v[147:148], v[195:196]
	ds_read_b128 v[1:4], v192 offset:1760
	v_add_f64 v[137:138], v[137:138], v[203:204]
	v_add_f64 v[135:136], v[135:136], v[143:144]
	s_waitcnt vmcnt(49) lgkmcnt(1)
	v_mul_f64 v[143:144], v[5:6], v[141:142]
	v_mul_f64 v[141:142], v[7:8], v[141:142]
	s_waitcnt vmcnt(48)
	v_fma_f64 v[195:196], v[131:132], v[211:212], -v[197:198]
	v_add_f64 v[137:138], v[137:138], v[155:156]
	v_fma_f64 v[155:156], v[133:134], v[211:212], v[179:180]
	v_add_f64 v[135:136], v[135:136], v[147:148]
	s_clause 0x3
	buffer_load_dword v147, off, s[0:3], 0 offset:144
	buffer_load_dword v148, off, s[0:3], 0 offset:148
	;; [unrolled: 1-line block ×4, first 2 shown]
	ds_read_b128 v[131:134], v192 offset:1776
	s_waitcnt vmcnt(51) lgkmcnt(1)
	v_mul_f64 v[197:198], v[1:2], v[159:160]
	v_mul_f64 v[159:160], v[3:4], v[159:160]
	s_waitcnt vmcnt(49)
	v_fma_f64 v[141:142], v[5:6], v[153:154], -v[141:142]
	v_fma_f64 v[143:144], v[7:8], v[153:154], v[143:144]
	ds_read_b128 v[5:8], v192 offset:1792
	v_add_f64 v[137:138], v[137:138], v[195:196]
	v_add_f64 v[135:136], v[135:136], v[155:156]
	s_waitcnt vmcnt(45) lgkmcnt(1)
	v_mul_f64 v[153:154], v[131:132], v[145:146]
	v_mul_f64 v[145:146], v[133:134], v[145:146]
	s_waitcnt vmcnt(44)
	v_fma_f64 v[155:156], v[1:2], v[207:208], -v[159:160]
	v_add_f64 v[137:138], v[137:138], v[141:142]
	v_fma_f64 v[141:142], v[3:4], v[207:208], v[197:198]
	v_add_f64 v[135:136], v[135:136], v[143:144]
	ds_read_b128 v[1:4], v192 offset:1808
	s_waitcnt vmcnt(43) lgkmcnt(1)
	v_mul_f64 v[159:160], v[7:8], v[167:168]
	v_mul_f64 v[143:144], v[5:6], v[167:168]
	s_waitcnt vmcnt(41)
	v_fma_f64 v[145:146], v[131:132], v[163:164], -v[145:146]
	v_fma_f64 v[153:154], v[133:134], v[163:164], v[153:154]
	ds_read_b128 v[131:134], v192 offset:1824
	v_add_f64 v[137:138], v[137:138], v[155:156]
	v_add_f64 v[135:136], v[135:136], v[141:142]
	s_waitcnt vmcnt(37) lgkmcnt(1)
	v_mul_f64 v[141:142], v[1:2], v[151:152]
	v_mul_f64 v[151:152], v[3:4], v[151:152]
	s_waitcnt vmcnt(36)
	v_fma_f64 v[155:156], v[5:6], v[199:200], -v[159:160]
	v_fma_f64 v[143:144], v[7:8], v[199:200], v[143:144]
	ds_read_b128 v[5:8], v192 offset:1840
	v_add_f64 v[137:138], v[137:138], v[145:146]
	v_add_f64 v[135:136], v[135:136], v[153:154]
	;; [unrolled: 9-line block ×3, first 2 shown]
	s_waitcnt vmcnt(29) lgkmcnt(1)
	v_mul_f64 v[155:156], v[7:8], v[157:158]
	s_waitcnt vmcnt(28)
	v_fma_f64 v[153:154], v[131:132], v[193:194], -v[153:154]
	v_mul_f64 v[143:144], v[5:6], v[157:158]
	v_fma_f64 v[145:146], v[133:134], v[193:194], v[145:146]
	ds_read_b128 v[131:134], v192 offset:1872
	v_add_f64 v[137:138], v[137:138], v[151:152]
	v_add_f64 v[135:136], v[135:136], v[141:142]
	s_waitcnt vmcnt(27) lgkmcnt(1)
	v_mul_f64 v[151:152], v[3:4], v[181:182]
	v_mul_f64 v[141:142], v[1:2], v[181:182]
	s_waitcnt vmcnt(25)
	v_fma_f64 v[155:156], v[5:6], v[169:170], -v[155:156]
	v_fma_f64 v[143:144], v[7:8], v[169:170], v[143:144]
	ds_read_b128 v[5:8], v192 offset:1888
	v_add_f64 v[137:138], v[137:138], v[153:154]
	v_add_f64 v[135:136], v[135:136], v[145:146]
	s_waitcnt vmcnt(21) lgkmcnt(1)
	v_mul_f64 v[153:154], v[133:134], v[165:166]
	s_waitcnt vmcnt(20)
	v_fma_f64 v[151:152], v[1:2], v[187:188], -v[151:152]
	v_mul_f64 v[145:146], v[131:132], v[165:166]
	v_fma_f64 v[141:142], v[3:4], v[187:188], v[141:142]
	ds_read_b128 v[1:4], v192 offset:1904
	v_add_f64 v[137:138], v[137:138], v[155:156]
	v_add_f64 v[135:136], v[135:136], v[143:144]
	s_waitcnt vmcnt(19) lgkmcnt(1)
	v_mul_f64 v[155:156], v[7:8], v[183:184]
	v_mul_f64 v[143:144], v[5:6], v[183:184]
	s_waitcnt vmcnt(17)
	v_fma_f64 v[153:154], v[131:132], v[139:140], -v[153:154]
	v_fma_f64 v[139:140], v[133:134], v[139:140], v[145:146]
	ds_read_b128 v[131:134], v192 offset:1920
	v_add_f64 v[137:138], v[137:138], v[151:152]
	v_add_f64 v[135:136], v[135:136], v[141:142]
	s_waitcnt vmcnt(13) lgkmcnt(1)
	v_mul_f64 v[145:146], v[3:4], v[171:172]
	s_waitcnt vmcnt(12)
	v_fma_f64 v[151:152], v[5:6], v[189:190], -v[155:156]
	v_mul_f64 v[141:142], v[1:2], v[171:172]
	v_fma_f64 v[143:144], v[7:8], v[189:190], v[143:144]
	ds_read_b128 v[5:8], v192 offset:1936
	v_add_f64 v[137:138], v[137:138], v[153:154]
	v_add_f64 v[135:136], v[135:136], v[139:140]
	s_waitcnt vmcnt(11) lgkmcnt(1)
	v_mul_f64 v[153:154], v[133:134], v[185:186]
	v_mul_f64 v[139:140], v[131:132], v[185:186]
	s_waitcnt vmcnt(9)
	v_fma_f64 v[1:2], v[1:2], v[177:178], -v[145:146]
	v_fma_f64 v[3:4], v[3:4], v[177:178], v[141:142]
	v_add_f64 v[137:138], v[137:138], v[151:152]
	v_add_f64 v[135:136], v[135:136], v[143:144]
	s_waitcnt vmcnt(7) lgkmcnt(0)
	v_mul_f64 v[143:144], v[7:8], v[175:176]
	s_waitcnt vmcnt(6)
	v_fma_f64 v[131:132], v[131:132], v[201:202], -v[153:154]
	v_mul_f64 v[141:142], v[5:6], v[175:176]
	v_fma_f64 v[133:134], v[133:134], v[201:202], v[139:140]
	v_add_f64 v[1:2], v[137:138], v[1:2]
	v_add_f64 v[3:4], v[135:136], v[3:4]
	s_waitcnt vmcnt(4)
	v_fma_f64 v[5:6], v[5:6], v[149:150], -v[143:144]
	v_fma_f64 v[7:8], v[7:8], v[149:150], v[141:142]
	v_add_f64 v[1:2], v[1:2], v[131:132]
	v_add_f64 v[3:4], v[3:4], v[133:134]
	;; [unrolled: 1-line block ×4, first 2 shown]
	s_waitcnt vmcnt(2)
	v_add_f64 v[1:2], v[147:148], -v[1:2]
	s_waitcnt vmcnt(0)
	v_add_f64 v[3:4], v[179:180], -v[3:4]
	buffer_store_dword v2, off, s[0:3], 0 offset:148
	buffer_store_dword v1, off, s[0:3], 0 offset:144
	;; [unrolled: 1-line block ×4, first 2 shown]
	v_cmpx_lt_u32_e32 7, v0
	s_cbranch_execz .LBB124_377
; %bb.376:
	v_mov_b32_e32 v4, s68
	v_mov_b32_e32 v5, 0
	s_clause 0x3
	buffer_load_dword v1, v4, s[0:3], 0 offen
	buffer_load_dword v2, v4, s[0:3], 0 offen offset:4
	buffer_load_dword v3, v4, s[0:3], 0 offen offset:8
	buffer_load_dword v4, v4, s[0:3], 0 offen offset:12
	buffer_store_dword v5, off, s[0:3], 0 offset:128
	buffer_store_dword v5, off, s[0:3], 0 offset:132
	buffer_store_dword v5, off, s[0:3], 0 offset:136
	buffer_store_dword v5, off, s[0:3], 0 offset:140
	s_waitcnt vmcnt(0)
	ds_write_b128 v191, v[1:4]
.LBB124_377:
	s_or_b32 exec_lo, exec_lo, s4
	s_waitcnt lgkmcnt(0)
	s_waitcnt_vscnt null, 0x0
	s_barrier
	buffer_gl0_inv
	s_clause 0x37
	buffer_load_dword v139, off, s[0:3], 0 offset:152
	buffer_load_dword v140, off, s[0:3], 0 offset:156
	;; [unrolled: 1-line block ×56, first 2 shown]
	v_mov_b32_e32 v192, 0
	s_mov_b32 s4, exec_lo
	ds_read_b128 v[5:8], v192 offset:1104
	s_clause 0x2
	buffer_load_dword v188, off, s[0:3], 0 offset:380
	buffer_load_dword v190, off, s[0:3], 0 offset:356
	;; [unrolled: 1-line block ×3, first 2 shown]
	ds_read_b128 v[1:4], v192 offset:1120
	s_clause 0x4
	buffer_load_dword v200, off, s[0:3], 0 offset:396
	buffer_load_dword v201, off, s[0:3], 0 offset:408
	;; [unrolled: 1-line block ×5, first 2 shown]
	ds_read_b128 v[193:196], v192 offset:1136
	s_waitcnt vmcnt(62) lgkmcnt(2)
	v_mul_f64 v[197:198], v[7:8], v[139:140]
	v_mul_f64 v[139:140], v[5:6], v[139:140]
	s_waitcnt vmcnt(60) lgkmcnt(1)
	v_mul_f64 v[204:205], v[3:4], v[135:136]
	v_mul_f64 v[135:136], v[1:2], v[135:136]
	;; [unrolled: 3-line block ×3, first 2 shown]
	v_fma_f64 v[197:198], v[5:6], v[137:138], -v[197:198]
	v_fma_f64 v[137:138], v[7:8], v[137:138], v[139:140]
	s_clause 0x2
	buffer_load_dword v202, off, s[0:3], 0 offset:412
	buffer_load_dword v140, off, s[0:3], 0 offset:388
	;; [unrolled: 1-line block ×3, first 2 shown]
	s_waitcnt vmcnt(57)
	v_fma_f64 v[208:209], v[1:2], v[131:132], -v[204:205]
	ds_read_b128 v[5:8], v192 offset:1152
	v_fma_f64 v[131:132], v[3:4], v[131:132], v[135:136]
	s_waitcnt vmcnt(51)
	v_fma_f64 v[193:194], v[193:194], v[155:156], -v[133:134]
	v_fma_f64 v[155:156], v[195:196], v[155:156], v[206:207]
	v_add_f64 v[197:198], v[197:198], 0
	v_add_f64 v[135:136], v[137:138], 0
	s_clause 0x4
	buffer_load_dword v138, off, s[0:3], 0 offset:428
	buffer_load_dword v205, off, s[0:3], 0 offset:440
	;; [unrolled: 1-line block ×5, first 2 shown]
	s_waitcnt lgkmcnt(0)
	v_mul_f64 v[211:212], v[5:6], v[143:144]
	v_mul_f64 v[143:144], v[7:8], v[143:144]
	ds_read_b128 v[1:4], v192 offset:1168
	s_clause 0x2
	buffer_load_dword v206, off, s[0:3], 0 offset:444
	buffer_load_dword v196, off, s[0:3], 0 offset:420
	;; [unrolled: 1-line block ×3, first 2 shown]
	v_add_f64 v[197:198], v[197:198], v[208:209]
	v_add_f64 v[135:136], v[135:136], v[131:132]
	ds_read_b128 v[131:134], v192 offset:1184
	s_waitcnt vmcnt(58) lgkmcnt(1)
	v_mul_f64 v[207:208], v[1:2], v[147:148]
	v_mul_f64 v[147:148], v[3:4], v[147:148]
	s_waitcnt vmcnt(56)
	v_fma_f64 v[143:144], v[5:6], v[149:150], -v[143:144]
	v_fma_f64 v[149:150], v[7:8], v[149:150], v[211:212]
	s_waitcnt vmcnt(52) lgkmcnt(0)
	v_mul_f64 v[213:214], v[131:132], v[151:152]
	v_add_f64 v[193:194], v[197:198], v[193:194]
	v_add_f64 v[135:136], v[135:136], v[155:156]
	s_clause 0x4
	buffer_load_dword v156, off, s[0:3], 0 offset:460
	buffer_load_dword v197, off, s[0:3], 0 offset:472
	;; [unrolled: 1-line block ×5, first 2 shown]
	v_mul_f64 v[151:152], v[133:134], v[151:152]
	s_waitcnt vmcnt(56)
	v_fma_f64 v[147:148], v[1:2], v[141:142], -v[147:148]
	ds_read_b128 v[5:8], v192 offset:1200
	v_fma_f64 v[141:142], v[3:4], v[141:142], v[207:208]
	v_add_f64 v[143:144], v[193:194], v[143:144]
	v_add_f64 v[135:136], v[135:136], v[149:150]
	s_clause 0x2
	buffer_load_dword v198, off, s[0:3], 0 offset:476
	buffer_load_dword v150, off, s[0:3], 0 offset:452
	;; [unrolled: 1-line block ×3, first 2 shown]
	s_waitcnt vmcnt(58) lgkmcnt(0)
	v_mul_f64 v[193:194], v[5:6], v[157:158]
	v_mul_f64 v[157:158], v[7:8], v[157:158]
	s_waitcnt vmcnt(56)
	v_fma_f64 v[151:152], v[131:132], v[159:160], -v[151:152]
	ds_read_b128 v[1:4], v192 offset:1216
	v_add_f64 v[143:144], v[143:144], v[147:148]
	v_fma_f64 v[147:148], v[133:134], v[159:160], v[213:214]
	v_add_f64 v[135:136], v[135:136], v[141:142]
	s_clause 0x4
	buffer_load_dword v142, off, s[0:3], 0 offset:492
	buffer_load_dword v159, off, s[0:3], 0 offset:504
	;; [unrolled: 1-line block ×5, first 2 shown]
	s_waitcnt vmcnt(57) lgkmcnt(0)
	v_mul_f64 v[208:209], v[1:2], v[161:162]
	v_mul_f64 v[161:162], v[3:4], v[161:162]
	s_waitcnt vmcnt(56)
	v_fma_f64 v[157:158], v[5:6], v[145:146], -v[157:158]
	ds_read_b128 v[131:134], v192 offset:1232
	v_fma_f64 v[145:146], v[7:8], v[145:146], v[193:194]
	v_add_f64 v[143:144], v[143:144], v[151:152]
	v_add_f64 v[135:136], v[135:136], v[147:148]
	s_clause 0x2
	buffer_load_dword v160, off, s[0:3], 0 offset:508
	buffer_load_dword v148, off, s[0:3], 0 offset:484
	;; [unrolled: 1-line block ×3, first 2 shown]
	ds_read_b128 v[5:8], v192 offset:1248
	s_waitcnt vmcnt(58) lgkmcnt(1)
	v_mul_f64 v[151:152], v[131:132], v[165:166]
	v_mul_f64 v[165:166], v[133:134], v[165:166]
	s_waitcnt vmcnt(56)
	v_fma_f64 v[161:162], v[1:2], v[167:168], -v[161:162]
	v_add_f64 v[143:144], v[143:144], v[157:158]
	v_fma_f64 v[157:158], v[3:4], v[167:168], v[208:209]
	v_add_f64 v[135:136], v[135:136], v[145:146]
	s_clause 0x4
	buffer_load_dword v146, off, s[0:3], 0 offset:524
	buffer_load_dword v167, off, s[0:3], 0 offset:536
	;; [unrolled: 1-line block ×5, first 2 shown]
	s_waitcnt vmcnt(57) lgkmcnt(0)
	v_mul_f64 v[214:215], v[5:6], v[169:170]
	v_mul_f64 v[169:170], v[7:8], v[169:170]
	s_waitcnt vmcnt(56)
	v_fma_f64 v[165:166], v[131:132], v[153:154], -v[165:166]
	ds_read_b128 v[1:4], v192 offset:1264
	v_fma_f64 v[151:152], v[133:134], v[153:154], v[151:152]
	s_clause 0x2
	buffer_load_dword v168, off, s[0:3], 0 offset:540
	buffer_load_dword v154, off, s[0:3], 0 offset:516
	;; [unrolled: 1-line block ×3, first 2 shown]
	ds_read_b128 v[131:134], v192 offset:1280
	v_add_f64 v[143:144], v[143:144], v[161:162]
	v_add_f64 v[135:136], v[135:136], v[157:158]
	s_waitcnt vmcnt(58) lgkmcnt(1)
	v_mul_f64 v[161:162], v[3:4], v[173:174]
	s_waitcnt vmcnt(56)
	v_fma_f64 v[169:170], v[5:6], v[175:176], -v[169:170]
	v_mul_f64 v[157:158], v[1:2], v[173:174]
	v_add_f64 v[143:144], v[143:144], v[165:166]
	v_fma_f64 v[165:166], v[7:8], v[175:176], v[214:215]
	v_add_f64 v[135:136], v[135:136], v[151:152]
	s_clause 0x4
	buffer_load_dword v152, off, s[0:3], 0 offset:556
	buffer_load_dword v173, off, s[0:3], 0 offset:568
	;; [unrolled: 1-line block ×5, first 2 shown]
	s_waitcnt vmcnt(57) lgkmcnt(0)
	v_mul_f64 v[214:215], v[131:132], v[177:178]
	v_mul_f64 v[176:177], v[133:134], v[177:178]
	s_waitcnt vmcnt(56)
	v_fma_f64 v[161:162], v[1:2], v[163:164], -v[161:162]
	ds_read_b128 v[5:8], v192 offset:1296
	v_fma_f64 v[157:158], v[3:4], v[163:164], v[157:158]
	s_clause 0x2
	buffer_load_dword v174, off, s[0:3], 0 offset:572
	buffer_load_dword v164, off, s[0:3], 0 offset:548
	;; [unrolled: 1-line block ×3, first 2 shown]
	ds_read_b128 v[1:4], v192 offset:1312
	v_add_f64 v[143:144], v[143:144], v[169:170]
	v_add_f64 v[135:136], v[135:136], v[165:166]
	s_waitcnt vmcnt(58) lgkmcnt(1)
	v_mul_f64 v[169:170], v[7:8], v[181:182]
	s_waitcnt vmcnt(56)
	v_fma_f64 v[177:178], v[131:132], v[183:184], -v[176:177]
	v_mul_f64 v[165:166], v[5:6], v[181:182]
	v_add_f64 v[143:144], v[143:144], v[161:162]
	v_fma_f64 v[161:162], v[133:134], v[183:184], v[214:215]
	v_add_f64 v[135:136], v[135:136], v[157:158]
	s_clause 0x4
	buffer_load_dword v158, off, s[0:3], 0 offset:588
	buffer_load_dword v181, off, s[0:3], 0 offset:600
	buffer_load_dword v183, off, s[0:3], 0 offset:592
	buffer_load_dword v157, off, s[0:3], 0 offset:584
	buffer_load_dword v176, off, s[0:3], 0 offset:564
	s_waitcnt vmcnt(57) lgkmcnt(0)
	v_mul_f64 v[214:215], v[1:2], v[185:186]
	v_mul_f64 v[184:185], v[3:4], v[185:186]
	s_waitcnt vmcnt(56)
	v_fma_f64 v[169:170], v[5:6], v[171:172], -v[169:170]
	ds_read_b128 v[131:134], v192 offset:1328
	v_fma_f64 v[165:166], v[7:8], v[171:172], v[165:166]
	v_add_f64 v[143:144], v[143:144], v[177:178]
	v_add_f64 v[135:136], v[135:136], v[161:162]
	s_clause 0x2
	buffer_load_dword v182, off, s[0:3], 0 offset:604
	buffer_load_dword v162, off, s[0:3], 0 offset:580
	buffer_load_dword v161, off, s[0:3], 0 offset:576
	ds_read_b128 v[5:8], v192 offset:1344
	s_waitcnt vmcnt(58) lgkmcnt(1)
	v_mul_f64 v[177:178], v[133:134], v[187:188]
	s_waitcnt vmcnt(56)
	v_fma_f64 v[185:186], v[1:2], v[189:190], -v[184:185]
	v_mul_f64 v[171:172], v[131:132], v[187:188]
	v_add_f64 v[143:144], v[143:144], v[169:170]
	v_fma_f64 v[169:170], v[3:4], v[189:190], v[214:215]
	v_add_f64 v[135:136], v[135:136], v[165:166]
	s_clause 0x4
	buffer_load_dword v166, off, s[0:3], 0 offset:620
	buffer_load_dword v187, off, s[0:3], 0 offset:632
	buffer_load_dword v189, off, s[0:3], 0 offset:624
	buffer_load_dword v165, off, s[0:3], 0 offset:616
	buffer_load_dword v184, off, s[0:3], 0 offset:596
	s_waitcnt vmcnt(57) lgkmcnt(0)
	v_mul_f64 v[214:215], v[5:6], v[199:200]
	v_mul_f64 v[199:200], v[7:8], v[199:200]
	s_waitcnt vmcnt(56)
	v_fma_f64 v[177:178], v[131:132], v[179:180], -v[177:178]
	ds_read_b128 v[1:4], v192 offset:1360
	v_fma_f64 v[171:172], v[133:134], v[179:180], v[171:172]
	v_add_f64 v[143:144], v[143:144], v[185:186]
	v_add_f64 v[135:136], v[135:136], v[169:170]
	s_clause 0x2
	buffer_load_dword v188, off, s[0:3], 0 offset:636
	buffer_load_dword v170, off, s[0:3], 0 offset:612
	;; [unrolled: 1-line block ×3, first 2 shown]
	ds_read_b128 v[131:134], v192 offset:1376
	s_waitcnt vmcnt(58) lgkmcnt(1)
	v_mul_f64 v[185:186], v[3:4], v[201:202]
	v_mul_f64 v[179:180], v[1:2], v[201:202]
	s_waitcnt vmcnt(56)
	v_fma_f64 v[199:200], v[5:6], v[139:140], -v[199:200]
	v_fma_f64 v[139:140], v[7:8], v[139:140], v[214:215]
	v_add_f64 v[143:144], v[143:144], v[177:178]
	v_add_f64 v[135:136], v[135:136], v[171:172]
	s_clause 0x4
	buffer_load_dword v172, off, s[0:3], 0 offset:652
	buffer_load_dword v177, off, s[0:3], 0 offset:664
	buffer_load_dword v201, off, s[0:3], 0 offset:656
	buffer_load_dword v171, off, s[0:3], 0 offset:648
	buffer_load_dword v190, off, s[0:3], 0 offset:628
	ds_read_b128 v[5:8], v192 offset:1392
	s_waitcnt vmcnt(57) lgkmcnt(1)
	v_mul_f64 v[214:215], v[131:132], v[137:138]
	v_mul_f64 v[137:138], v[133:134], v[137:138]
	s_waitcnt vmcnt(56)
	v_fma_f64 v[185:186], v[1:2], v[203:204], -v[185:186]
	v_fma_f64 v[179:180], v[3:4], v[203:204], v[179:180]
	v_add_f64 v[143:144], v[143:144], v[199:200]
	v_add_f64 v[135:136], v[135:136], v[139:140]
	s_clause 0x2
	buffer_load_dword v178, off, s[0:3], 0 offset:668
	buffer_load_dword v140, off, s[0:3], 0 offset:644
	;; [unrolled: 1-line block ×3, first 2 shown]
	s_waitcnt vmcnt(58) lgkmcnt(0)
	v_mul_f64 v[203:204], v[7:8], v[205:206]
	ds_read_b128 v[1:4], v192 offset:1408
	v_mul_f64 v[199:200], v[5:6], v[205:206]
	s_waitcnt vmcnt(56)
	v_fma_f64 v[137:138], v[131:132], v[195:196], -v[137:138]
	v_add_f64 v[143:144], v[143:144], v[185:186]
	v_fma_f64 v[185:186], v[133:134], v[195:196], v[214:215]
	v_add_f64 v[135:136], v[135:136], v[179:180]
	s_clause 0x4
	buffer_load_dword v180, off, s[0:3], 0 offset:684
	buffer_load_dword v195, off, s[0:3], 0 offset:696
	buffer_load_dword v205, off, s[0:3], 0 offset:688
	buffer_load_dword v179, off, s[0:3], 0 offset:680
	buffer_load_dword v202, off, s[0:3], 0 offset:660
	ds_read_b128 v[131:134], v192 offset:1424
	s_waitcnt vmcnt(57) lgkmcnt(1)
	v_mul_f64 v[214:215], v[1:2], v[155:156]
	v_mul_f64 v[155:156], v[3:4], v[155:156]
	s_waitcnt vmcnt(56)
	v_fma_f64 v[203:204], v[5:6], v[210:211], -v[203:204]
	v_add_f64 v[137:138], v[143:144], v[137:138]
	v_fma_f64 v[143:144], v[7:8], v[210:211], v[199:200]
	v_add_f64 v[135:136], v[135:136], v[185:186]
	s_clause 0x2
	buffer_load_dword v196, off, s[0:3], 0 offset:700
	buffer_load_dword v186, off, s[0:3], 0 offset:676
	;; [unrolled: 1-line block ×3, first 2 shown]
	ds_read_b128 v[5:8], v192 offset:1440
	s_waitcnt vmcnt(58) lgkmcnt(1)
	v_mul_f64 v[199:200], v[131:132], v[197:198]
	v_mul_f64 v[197:198], v[133:134], v[197:198]
	s_waitcnt vmcnt(56)
	v_fma_f64 v[155:156], v[1:2], v[149:150], -v[155:156]
	v_fma_f64 v[149:150], v[3:4], v[149:150], v[214:215]
	v_add_f64 v[137:138], v[137:138], v[203:204]
	v_add_f64 v[135:136], v[135:136], v[143:144]
	s_clause 0x4
	buffer_load_dword v144, off, s[0:3], 0 offset:716
	buffer_load_dword v203, off, s[0:3], 0 offset:728
	;; [unrolled: 1-line block ×5, first 2 shown]
	ds_read_b128 v[1:4], v192 offset:1456
	s_waitcnt vmcnt(57) lgkmcnt(1)
	v_mul_f64 v[210:211], v[5:6], v[141:142]
	v_mul_f64 v[141:142], v[7:8], v[141:142]
	s_waitcnt vmcnt(56)
	v_fma_f64 v[197:198], v[131:132], v[212:213], -v[197:198]
	v_add_f64 v[137:138], v[137:138], v[155:156]
	v_fma_f64 v[155:156], v[133:134], v[212:213], v[199:200]
	v_add_f64 v[135:136], v[135:136], v[149:150]
	s_clause 0x2
	buffer_load_dword v204, off, s[0:3], 0 offset:732
	buffer_load_dword v150, off, s[0:3], 0 offset:708
	;; [unrolled: 1-line block ×3, first 2 shown]
	ds_read_b128 v[131:134], v192 offset:1472
	s_waitcnt vmcnt(58) lgkmcnt(1)
	v_mul_f64 v[199:200], v[1:2], v[159:160]
	v_mul_f64 v[159:160], v[3:4], v[159:160]
	s_waitcnt vmcnt(56)
	v_fma_f64 v[141:142], v[5:6], v[147:148], -v[141:142]
	v_fma_f64 v[147:148], v[7:8], v[147:148], v[210:211]
	v_add_f64 v[137:138], v[137:138], v[197:198]
	v_add_f64 v[135:136], v[135:136], v[155:156]
	s_clause 0x4
	buffer_load_dword v156, off, s[0:3], 0 offset:748
	buffer_load_dword v197, off, s[0:3], 0 offset:760
	;; [unrolled: 1-line block ×5, first 2 shown]
	ds_read_b128 v[5:8], v192 offset:1488
	s_waitcnt vmcnt(57) lgkmcnt(1)
	v_mul_f64 v[212:213], v[131:132], v[145:146]
	v_mul_f64 v[145:146], v[133:134], v[145:146]
	s_waitcnt vmcnt(56)
	v_fma_f64 v[159:160], v[1:2], v[207:208], -v[159:160]
	v_add_f64 v[137:138], v[137:138], v[141:142]
	v_fma_f64 v[141:142], v[3:4], v[207:208], v[199:200]
	v_add_f64 v[135:136], v[135:136], v[147:148]
	s_clause 0x2
	buffer_load_dword v198, off, s[0:3], 0 offset:764
	buffer_load_dword v148, off, s[0:3], 0 offset:740
	;; [unrolled: 1-line block ×3, first 2 shown]
	s_waitcnt vmcnt(58) lgkmcnt(0)
	v_mul_f64 v[199:200], v[5:6], v[167:168]
	v_mul_f64 v[167:168], v[7:8], v[167:168]
	ds_read_b128 v[1:4], v192 offset:1504
	s_waitcnt vmcnt(56)
	v_fma_f64 v[145:146], v[131:132], v[153:154], -v[145:146]
	v_fma_f64 v[153:154], v[133:134], v[153:154], v[212:213]
	v_add_f64 v[137:138], v[137:138], v[159:160]
	v_add_f64 v[135:136], v[135:136], v[141:142]
	s_clause 0x4
	buffer_load_dword v142, off, s[0:3], 0 offset:780
	buffer_load_dword v159, off, s[0:3], 0 offset:792
	;; [unrolled: 1-line block ×5, first 2 shown]
	ds_read_b128 v[131:134], v192 offset:1520
	s_waitcnt vmcnt(57) lgkmcnt(1)
	v_mul_f64 v[213:214], v[1:2], v[151:152]
	v_mul_f64 v[151:152], v[3:4], v[151:152]
	s_waitcnt vmcnt(56)
	v_fma_f64 v[167:168], v[5:6], v[193:194], -v[167:168]
	v_add_f64 v[137:138], v[137:138], v[145:146]
	v_fma_f64 v[145:146], v[7:8], v[193:194], v[199:200]
	v_add_f64 v[135:136], v[135:136], v[153:154]
	s_clause 0x2
	buffer_load_dword v160, off, s[0:3], 0 offset:796
	buffer_load_dword v154, off, s[0:3], 0 offset:772
	;; [unrolled: 1-line block ×3, first 2 shown]
	s_waitcnt vmcnt(58) lgkmcnt(0)
	v_mul_f64 v[193:194], v[131:132], v[173:174]
	v_mul_f64 v[173:174], v[133:134], v[173:174]
	ds_read_b128 v[5:8], v192 offset:1536
	s_waitcnt vmcnt(56)
	v_fma_f64 v[151:152], v[1:2], v[163:164], -v[151:152]
	v_fma_f64 v[163:164], v[3:4], v[163:164], v[213:214]
	v_add_f64 v[137:138], v[137:138], v[167:168]
	v_add_f64 v[135:136], v[135:136], v[145:146]
	s_clause 0x4
	buffer_load_dword v146, off, s[0:3], 0 offset:812
	buffer_load_dword v167, off, s[0:3], 0 offset:824
	buffer_load_dword v199, off, s[0:3], 0 offset:816
	buffer_load_dword v145, off, s[0:3], 0 offset:808
	buffer_load_dword v208, off, s[0:3], 0 offset:788
	ds_read_b128 v[1:4], v192 offset:1552
	s_waitcnt vmcnt(57) lgkmcnt(1)
	v_mul_f64 v[213:214], v[5:6], v[157:158]
	v_mul_f64 v[157:158], v[7:8], v[157:158]
	s_waitcnt vmcnt(56)
	v_fma_f64 v[173:174], v[131:132], v[175:176], -v[173:174]
	v_add_f64 v[137:138], v[137:138], v[151:152]
	v_fma_f64 v[151:152], v[133:134], v[175:176], v[193:194]
	v_add_f64 v[135:136], v[135:136], v[163:164]
	s_clause 0x2
	buffer_load_dword v168, off, s[0:3], 0 offset:828
	buffer_load_dword v164, off, s[0:3], 0 offset:804
	buffer_load_dword v163, off, s[0:3], 0 offset:800
	ds_read_b128 v[131:134], v192 offset:1568
	s_waitcnt vmcnt(58) lgkmcnt(1)
	v_mul_f64 v[175:176], v[1:2], v[181:182]
	v_mul_f64 v[181:182], v[3:4], v[181:182]
	s_waitcnt vmcnt(56)
	v_fma_f64 v[157:158], v[5:6], v[161:162], -v[157:158]
	v_fma_f64 v[161:162], v[7:8], v[161:162], v[213:214]
	v_add_f64 v[137:138], v[137:138], v[173:174]
	v_add_f64 v[135:136], v[135:136], v[151:152]
	s_clause 0x4
	buffer_load_dword v152, off, s[0:3], 0 offset:844
	buffer_load_dword v173, off, s[0:3], 0 offset:856
	buffer_load_dword v193, off, s[0:3], 0 offset:848
	buffer_load_dword v151, off, s[0:3], 0 offset:840
	buffer_load_dword v200, off, s[0:3], 0 offset:820
	ds_read_b128 v[5:8], v192 offset:1584
	s_waitcnt vmcnt(57) lgkmcnt(1)
	v_mul_f64 v[213:214], v[131:132], v[165:166]
	v_mul_f64 v[165:166], v[133:134], v[165:166]
	s_waitcnt vmcnt(56)
	v_fma_f64 v[181:182], v[1:2], v[183:184], -v[181:182]
	v_add_f64 v[137:138], v[137:138], v[157:158]
	v_fma_f64 v[157:158], v[3:4], v[183:184], v[175:176]
	v_add_f64 v[135:136], v[135:136], v[161:162]
	s_clause 0x2
	buffer_load_dword v174, off, s[0:3], 0 offset:860
	buffer_load_dword v162, off, s[0:3], 0 offset:836
	buffer_load_dword v161, off, s[0:3], 0 offset:832
	ds_read_b128 v[1:4], v192 offset:1600
	s_waitcnt vmcnt(58) lgkmcnt(1)
	v_mul_f64 v[183:184], v[7:8], v[187:188]
	v_mul_f64 v[175:176], v[5:6], v[187:188]
	;; [unrolled: 28-line block ×4, first 2 shown]
	s_waitcnt vmcnt(56)
	v_fma_f64 v[179:180], v[5:6], v[185:186], -v[179:180]
	v_add_f64 v[137:138], v[137:138], v[177:178]
	v_fma_f64 v[177:178], v[7:8], v[185:186], v[213:214]
	v_add_f64 v[135:136], v[135:136], v[171:172]
	s_clause 0x4
	buffer_load_dword v172, off, s[0:3], 0 offset:940
	buffer_load_dword v185, off, s[0:3], 0 offset:952
	;; [unrolled: 1-line block ×5, first 2 shown]
	ds_read_b128 v[5:8], v192 offset:1680
	s_waitcnt vmcnt(57) lgkmcnt(1)
	v_mul_f64 v[213:214], v[131:132], v[143:144]
	v_mul_f64 v[143:144], v[133:134], v[143:144]
	s_waitcnt vmcnt(56)
	v_fma_f64 v[195:196], v[1:2], v[205:206], -v[195:196]
	v_fma_f64 v[175:176], v[3:4], v[205:206], v[175:176]
	v_add_f64 v[137:138], v[137:138], v[179:180]
	v_add_f64 v[135:136], v[135:136], v[177:178]
	s_clause 0x2
	buffer_load_dword v186, off, s[0:3], 0 offset:956
	buffer_load_dword v178, off, s[0:3], 0 offset:932
	;; [unrolled: 1-line block ×3, first 2 shown]
	ds_read_b128 v[1:4], v192 offset:1696
	s_waitcnt vmcnt(58) lgkmcnt(1)
	v_mul_f64 v[179:180], v[5:6], v[203:204]
	v_mul_f64 v[203:204], v[7:8], v[203:204]
	s_waitcnt vmcnt(56)
	v_fma_f64 v[143:144], v[131:132], v[149:150], -v[143:144]
	v_fma_f64 v[149:150], v[133:134], v[149:150], v[213:214]
	v_add_f64 v[137:138], v[137:138], v[195:196]
	v_add_f64 v[135:136], v[135:136], v[175:176]
	s_clause 0x4
	buffer_load_dword v176, off, s[0:3], 0 offset:972
	buffer_load_dword v195, off, s[0:3], 0 offset:984
	;; [unrolled: 1-line block ×5, first 2 shown]
	ds_read_b128 v[131:134], v192 offset:1712
	s_waitcnt vmcnt(57) lgkmcnt(1)
	v_mul_f64 v[213:214], v[1:2], v[155:156]
	v_mul_f64 v[155:156], v[3:4], v[155:156]
	s_waitcnt vmcnt(56)
	v_fma_f64 v[203:204], v[5:6], v[209:210], -v[203:204]
	v_add_f64 v[137:138], v[137:138], v[143:144]
	v_fma_f64 v[143:144], v[7:8], v[209:210], v[179:180]
	v_add_f64 v[135:136], v[135:136], v[149:150]
	s_clause 0x2
	buffer_load_dword v196, off, s[0:3], 0 offset:988
	buffer_load_dword v150, off, s[0:3], 0 offset:964
	;; [unrolled: 1-line block ×3, first 2 shown]
	ds_read_b128 v[5:8], v192 offset:1728
	buffer_load_dword v206, off, s[0:3], 0 offset:980
	s_waitcnt vmcnt(59) lgkmcnt(1)
	v_mul_f64 v[179:180], v[131:132], v[197:198]
	v_mul_f64 v[197:198], v[133:134], v[197:198]
	s_waitcnt vmcnt(57)
	v_fma_f64 v[155:156], v[1:2], v[147:148], -v[155:156]
	v_fma_f64 v[147:148], v[3:4], v[147:148], v[213:214]
	ds_read_b128 v[1:4], v192 offset:1744
	v_add_f64 v[137:138], v[137:138], v[203:204]
	v_add_f64 v[135:136], v[135:136], v[143:144]
	s_waitcnt vmcnt(53) lgkmcnt(1)
	v_mul_f64 v[143:144], v[5:6], v[141:142]
	v_mul_f64 v[141:142], v[7:8], v[141:142]
	s_waitcnt vmcnt(52)
	v_fma_f64 v[197:198], v[131:132], v[211:212], -v[197:198]
	v_add_f64 v[137:138], v[137:138], v[155:156]
	v_fma_f64 v[155:156], v[133:134], v[211:212], v[179:180]
	v_add_f64 v[135:136], v[135:136], v[147:148]
	ds_read_b128 v[131:134], v192 offset:1760
	s_waitcnt vmcnt(51) lgkmcnt(1)
	v_mul_f64 v[147:148], v[1:2], v[159:160]
	v_mul_f64 v[159:160], v[3:4], v[159:160]
	s_waitcnt vmcnt(49)
	v_fma_f64 v[141:142], v[5:6], v[153:154], -v[141:142]
	v_fma_f64 v[143:144], v[7:8], v[153:154], v[143:144]
	v_add_f64 v[137:138], v[137:138], v[197:198]
	v_add_f64 v[135:136], v[135:136], v[155:156]
	s_clause 0x3
	buffer_load_dword v153, off, s[0:3], 0 offset:128
	buffer_load_dword v154, off, s[0:3], 0 offset:132
	;; [unrolled: 1-line block ×4, first 2 shown]
	ds_read_b128 v[5:8], v192 offset:1776
	s_waitcnt vmcnt(49) lgkmcnt(1)
	v_mul_f64 v[179:180], v[131:132], v[145:146]
	v_mul_f64 v[145:146], v[133:134], v[145:146]
	s_waitcnt vmcnt(48)
	v_fma_f64 v[159:160], v[1:2], v[207:208], -v[159:160]
	v_add_f64 v[137:138], v[137:138], v[141:142]
	v_fma_f64 v[141:142], v[3:4], v[207:208], v[147:148]
	v_add_f64 v[135:136], v[135:136], v[143:144]
	ds_read_b128 v[1:4], v192 offset:1792
	s_waitcnt vmcnt(47) lgkmcnt(1)
	v_mul_f64 v[147:148], v[7:8], v[167:168]
	v_mul_f64 v[143:144], v[5:6], v[167:168]
	s_waitcnt vmcnt(45)
	v_fma_f64 v[145:146], v[131:132], v[163:164], -v[145:146]
	v_add_f64 v[137:138], v[137:138], v[159:160]
	v_fma_f64 v[159:160], v[133:134], v[163:164], v[179:180]
	v_add_f64 v[135:136], v[135:136], v[141:142]
	ds_read_b128 v[131:134], v192 offset:1808
	s_waitcnt vmcnt(41) lgkmcnt(1)
	v_mul_f64 v[141:142], v[1:2], v[151:152]
	v_mul_f64 v[151:152], v[3:4], v[151:152]
	s_waitcnt vmcnt(40)
	v_fma_f64 v[147:148], v[5:6], v[199:200], -v[147:148]
	v_fma_f64 v[143:144], v[7:8], v[199:200], v[143:144]
	ds_read_b128 v[5:8], v192 offset:1824
	v_add_f64 v[137:138], v[137:138], v[145:146]
	v_add_f64 v[135:136], v[135:136], v[159:160]
	s_waitcnt vmcnt(39) lgkmcnt(1)
	v_mul_f64 v[159:160], v[133:134], v[173:174]
	v_mul_f64 v[145:146], v[131:132], v[173:174]
	s_waitcnt vmcnt(37)
	v_fma_f64 v[151:152], v[1:2], v[161:162], -v[151:152]
	v_fma_f64 v[141:142], v[3:4], v[161:162], v[141:142]
	ds_read_b128 v[1:4], v192 offset:1840
	v_add_f64 v[137:138], v[137:138], v[147:148]
	v_add_f64 v[135:136], v[135:136], v[143:144]
	;; [unrolled: 9-line block ×4, first 2 shown]
	s_waitcnt vmcnt(25) lgkmcnt(1)
	v_mul_f64 v[157:158], v[133:134], v[165:166]
	s_waitcnt vmcnt(24)
	v_fma_f64 v[151:152], v[1:2], v[187:188], -v[151:152]
	v_mul_f64 v[145:146], v[131:132], v[165:166]
	v_fma_f64 v[141:142], v[3:4], v[187:188], v[141:142]
	ds_read_b128 v[1:4], v192 offset:1888
	v_add_f64 v[137:138], v[137:138], v[147:148]
	v_add_f64 v[135:136], v[135:136], v[143:144]
	s_waitcnt vmcnt(23) lgkmcnt(1)
	v_mul_f64 v[147:148], v[7:8], v[183:184]
	v_mul_f64 v[143:144], v[5:6], v[183:184]
	s_waitcnt vmcnt(21)
	v_fma_f64 v[157:158], v[131:132], v[139:140], -v[157:158]
	v_fma_f64 v[139:140], v[133:134], v[139:140], v[145:146]
	ds_read_b128 v[131:134], v192 offset:1904
	v_add_f64 v[137:138], v[137:138], v[151:152]
	v_add_f64 v[135:136], v[135:136], v[141:142]
	s_waitcnt vmcnt(17) lgkmcnt(1)
	v_mul_f64 v[145:146], v[3:4], v[171:172]
	s_waitcnt vmcnt(16)
	v_fma_f64 v[147:148], v[5:6], v[189:190], -v[147:148]
	v_mul_f64 v[141:142], v[1:2], v[171:172]
	v_fma_f64 v[143:144], v[7:8], v[189:190], v[143:144]
	ds_read_b128 v[5:8], v192 offset:1920
	v_add_f64 v[137:138], v[137:138], v[157:158]
	v_add_f64 v[135:136], v[135:136], v[139:140]
	s_waitcnt vmcnt(15) lgkmcnt(1)
	v_mul_f64 v[151:152], v[133:134], v[185:186]
	v_mul_f64 v[139:140], v[131:132], v[185:186]
	s_waitcnt vmcnt(13)
	v_fma_f64 v[145:146], v[1:2], v[177:178], -v[145:146]
	v_fma_f64 v[141:142], v[3:4], v[177:178], v[141:142]
	ds_read_b128 v[1:4], v192 offset:1936
	v_add_f64 v[137:138], v[137:138], v[147:148]
	v_add_f64 v[135:136], v[135:136], v[143:144]
	s_waitcnt vmcnt(9) lgkmcnt(1)
	v_mul_f64 v[147:148], v[7:8], v[175:176]
	s_waitcnt vmcnt(8)
	v_fma_f64 v[131:132], v[131:132], v[201:202], -v[151:152]
	v_mul_f64 v[143:144], v[5:6], v[175:176]
	v_fma_f64 v[133:134], v[133:134], v[201:202], v[139:140]
	v_add_f64 v[137:138], v[137:138], v[145:146]
	v_add_f64 v[135:136], v[135:136], v[141:142]
	s_waitcnt vmcnt(7) lgkmcnt(0)
	v_mul_f64 v[141:142], v[3:4], v[195:196]
	v_mul_f64 v[139:140], v[1:2], v[195:196]
	s_waitcnt vmcnt(5)
	v_fma_f64 v[5:6], v[5:6], v[149:150], -v[147:148]
	v_fma_f64 v[7:8], v[7:8], v[149:150], v[143:144]
	v_add_f64 v[131:132], v[137:138], v[131:132]
	v_add_f64 v[133:134], v[135:136], v[133:134]
	s_waitcnt vmcnt(4)
	v_fma_f64 v[1:2], v[1:2], v[205:206], -v[141:142]
	v_fma_f64 v[3:4], v[3:4], v[205:206], v[139:140]
	v_add_f64 v[5:6], v[131:132], v[5:6]
	v_add_f64 v[7:8], v[133:134], v[7:8]
	;; [unrolled: 1-line block ×4, first 2 shown]
	s_waitcnt vmcnt(2)
	v_add_f64 v[1:2], v[153:154], -v[1:2]
	s_waitcnt vmcnt(0)
	v_add_f64 v[3:4], v[155:156], -v[3:4]
	buffer_store_dword v2, off, s[0:3], 0 offset:132
	buffer_store_dword v1, off, s[0:3], 0 offset:128
	;; [unrolled: 1-line block ×4, first 2 shown]
	v_cmpx_lt_u32_e32 6, v0
	s_cbranch_execz .LBB124_379
; %bb.378:
	v_mov_b32_e32 v4, s69
	s_clause 0x3
	buffer_load_dword v1, v4, s[0:3], 0 offen
	buffer_load_dword v2, v4, s[0:3], 0 offen offset:4
	buffer_load_dword v3, v4, s[0:3], 0 offen offset:8
	;; [unrolled: 1-line block ×3, first 2 shown]
	buffer_store_dword v192, off, s[0:3], 0 offset:112
	buffer_store_dword v192, off, s[0:3], 0 offset:116
	;; [unrolled: 1-line block ×4, first 2 shown]
	s_waitcnt vmcnt(0)
	ds_write_b128 v191, v[1:4]
.LBB124_379:
	s_or_b32 exec_lo, exec_lo, s4
	s_waitcnt lgkmcnt(0)
	s_waitcnt_vscnt null, 0x0
	s_barrier
	buffer_gl0_inv
	s_clause 0x37
	buffer_load_dword v139, off, s[0:3], 0 offset:136
	buffer_load_dword v140, off, s[0:3], 0 offset:140
	;; [unrolled: 1-line block ×56, first 2 shown]
	ds_read_b128 v[5:8], v192 offset:1088
	s_clause 0x2
	buffer_load_dword v188, off, s[0:3], 0 offset:364
	buffer_load_dword v190, off, s[0:3], 0 offset:340
	;; [unrolled: 1-line block ×3, first 2 shown]
	ds_read_b128 v[1:4], v192 offset:1104
	s_clause 0x4
	buffer_load_dword v200, off, s[0:3], 0 offset:380
	buffer_load_dword v201, off, s[0:3], 0 offset:392
	;; [unrolled: 1-line block ×5, first 2 shown]
	ds_read_b128 v[193:196], v192 offset:1120
	s_mov_b32 s4, exec_lo
	s_waitcnt vmcnt(62) lgkmcnt(2)
	v_mul_f64 v[197:198], v[7:8], v[139:140]
	v_mul_f64 v[139:140], v[5:6], v[139:140]
	s_waitcnt vmcnt(60) lgkmcnt(1)
	v_mul_f64 v[204:205], v[3:4], v[135:136]
	v_mul_f64 v[135:136], v[1:2], v[135:136]
	;; [unrolled: 3-line block ×3, first 2 shown]
	v_fma_f64 v[197:198], v[5:6], v[137:138], -v[197:198]
	v_fma_f64 v[137:138], v[7:8], v[137:138], v[139:140]
	s_clause 0x2
	buffer_load_dword v202, off, s[0:3], 0 offset:396
	buffer_load_dword v140, off, s[0:3], 0 offset:372
	;; [unrolled: 1-line block ×3, first 2 shown]
	s_waitcnt vmcnt(57)
	v_fma_f64 v[208:209], v[1:2], v[131:132], -v[204:205]
	ds_read_b128 v[5:8], v192 offset:1136
	v_fma_f64 v[131:132], v[3:4], v[131:132], v[135:136]
	s_waitcnt vmcnt(51)
	v_fma_f64 v[193:194], v[193:194], v[155:156], -v[133:134]
	v_fma_f64 v[155:156], v[195:196], v[155:156], v[206:207]
	v_add_f64 v[197:198], v[197:198], 0
	v_add_f64 v[135:136], v[137:138], 0
	s_clause 0x4
	buffer_load_dword v138, off, s[0:3], 0 offset:412
	buffer_load_dword v205, off, s[0:3], 0 offset:424
	;; [unrolled: 1-line block ×5, first 2 shown]
	s_waitcnt lgkmcnt(0)
	v_mul_f64 v[211:212], v[5:6], v[143:144]
	v_mul_f64 v[143:144], v[7:8], v[143:144]
	ds_read_b128 v[1:4], v192 offset:1152
	s_clause 0x2
	buffer_load_dword v206, off, s[0:3], 0 offset:428
	buffer_load_dword v196, off, s[0:3], 0 offset:404
	;; [unrolled: 1-line block ×3, first 2 shown]
	v_add_f64 v[197:198], v[197:198], v[208:209]
	v_add_f64 v[135:136], v[135:136], v[131:132]
	ds_read_b128 v[131:134], v192 offset:1168
	s_waitcnt vmcnt(58) lgkmcnt(1)
	v_mul_f64 v[207:208], v[1:2], v[147:148]
	v_mul_f64 v[147:148], v[3:4], v[147:148]
	s_waitcnt vmcnt(56)
	v_fma_f64 v[143:144], v[5:6], v[149:150], -v[143:144]
	v_fma_f64 v[149:150], v[7:8], v[149:150], v[211:212]
	s_waitcnt vmcnt(52) lgkmcnt(0)
	v_mul_f64 v[213:214], v[131:132], v[151:152]
	v_add_f64 v[193:194], v[197:198], v[193:194]
	v_add_f64 v[135:136], v[135:136], v[155:156]
	s_clause 0x4
	buffer_load_dword v156, off, s[0:3], 0 offset:444
	buffer_load_dword v197, off, s[0:3], 0 offset:456
	;; [unrolled: 1-line block ×5, first 2 shown]
	v_mul_f64 v[151:152], v[133:134], v[151:152]
	s_waitcnt vmcnt(56)
	v_fma_f64 v[147:148], v[1:2], v[141:142], -v[147:148]
	ds_read_b128 v[5:8], v192 offset:1184
	v_fma_f64 v[141:142], v[3:4], v[141:142], v[207:208]
	v_add_f64 v[143:144], v[193:194], v[143:144]
	v_add_f64 v[135:136], v[135:136], v[149:150]
	s_clause 0x2
	buffer_load_dword v198, off, s[0:3], 0 offset:460
	buffer_load_dword v150, off, s[0:3], 0 offset:436
	;; [unrolled: 1-line block ×3, first 2 shown]
	s_waitcnt vmcnt(58) lgkmcnt(0)
	v_mul_f64 v[193:194], v[5:6], v[157:158]
	v_mul_f64 v[157:158], v[7:8], v[157:158]
	s_waitcnt vmcnt(56)
	v_fma_f64 v[151:152], v[131:132], v[159:160], -v[151:152]
	ds_read_b128 v[1:4], v192 offset:1200
	v_add_f64 v[143:144], v[143:144], v[147:148]
	v_fma_f64 v[147:148], v[133:134], v[159:160], v[213:214]
	v_add_f64 v[135:136], v[135:136], v[141:142]
	s_clause 0x4
	buffer_load_dword v142, off, s[0:3], 0 offset:476
	buffer_load_dword v159, off, s[0:3], 0 offset:488
	;; [unrolled: 1-line block ×5, first 2 shown]
	s_waitcnt vmcnt(57) lgkmcnt(0)
	v_mul_f64 v[208:209], v[1:2], v[161:162]
	v_mul_f64 v[161:162], v[3:4], v[161:162]
	s_waitcnt vmcnt(56)
	v_fma_f64 v[157:158], v[5:6], v[145:146], -v[157:158]
	ds_read_b128 v[131:134], v192 offset:1216
	v_fma_f64 v[145:146], v[7:8], v[145:146], v[193:194]
	v_add_f64 v[143:144], v[143:144], v[151:152]
	v_add_f64 v[135:136], v[135:136], v[147:148]
	s_clause 0x2
	buffer_load_dword v160, off, s[0:3], 0 offset:492
	buffer_load_dword v148, off, s[0:3], 0 offset:468
	;; [unrolled: 1-line block ×3, first 2 shown]
	ds_read_b128 v[5:8], v192 offset:1232
	s_waitcnt vmcnt(58) lgkmcnt(1)
	v_mul_f64 v[151:152], v[131:132], v[165:166]
	v_mul_f64 v[165:166], v[133:134], v[165:166]
	s_waitcnt vmcnt(56)
	v_fma_f64 v[161:162], v[1:2], v[167:168], -v[161:162]
	v_add_f64 v[143:144], v[143:144], v[157:158]
	v_fma_f64 v[157:158], v[3:4], v[167:168], v[208:209]
	v_add_f64 v[135:136], v[135:136], v[145:146]
	s_clause 0x4
	buffer_load_dword v146, off, s[0:3], 0 offset:508
	buffer_load_dword v167, off, s[0:3], 0 offset:520
	;; [unrolled: 1-line block ×5, first 2 shown]
	s_waitcnt vmcnt(57) lgkmcnt(0)
	v_mul_f64 v[214:215], v[5:6], v[169:170]
	v_mul_f64 v[169:170], v[7:8], v[169:170]
	s_waitcnt vmcnt(56)
	v_fma_f64 v[165:166], v[131:132], v[153:154], -v[165:166]
	ds_read_b128 v[1:4], v192 offset:1248
	v_fma_f64 v[151:152], v[133:134], v[153:154], v[151:152]
	s_clause 0x2
	buffer_load_dword v168, off, s[0:3], 0 offset:524
	buffer_load_dword v154, off, s[0:3], 0 offset:500
	;; [unrolled: 1-line block ×3, first 2 shown]
	ds_read_b128 v[131:134], v192 offset:1264
	v_add_f64 v[143:144], v[143:144], v[161:162]
	v_add_f64 v[135:136], v[135:136], v[157:158]
	s_waitcnt vmcnt(58) lgkmcnt(1)
	v_mul_f64 v[161:162], v[3:4], v[173:174]
	s_waitcnt vmcnt(56)
	v_fma_f64 v[169:170], v[5:6], v[175:176], -v[169:170]
	v_mul_f64 v[157:158], v[1:2], v[173:174]
	v_add_f64 v[143:144], v[143:144], v[165:166]
	v_fma_f64 v[165:166], v[7:8], v[175:176], v[214:215]
	v_add_f64 v[135:136], v[135:136], v[151:152]
	s_clause 0x4
	buffer_load_dword v152, off, s[0:3], 0 offset:540
	buffer_load_dword v173, off, s[0:3], 0 offset:552
	;; [unrolled: 1-line block ×5, first 2 shown]
	s_waitcnt vmcnt(57) lgkmcnt(0)
	v_mul_f64 v[214:215], v[131:132], v[177:178]
	v_mul_f64 v[176:177], v[133:134], v[177:178]
	s_waitcnt vmcnt(56)
	v_fma_f64 v[161:162], v[1:2], v[163:164], -v[161:162]
	ds_read_b128 v[5:8], v192 offset:1280
	v_fma_f64 v[157:158], v[3:4], v[163:164], v[157:158]
	s_clause 0x2
	buffer_load_dword v174, off, s[0:3], 0 offset:556
	buffer_load_dword v164, off, s[0:3], 0 offset:532
	;; [unrolled: 1-line block ×3, first 2 shown]
	ds_read_b128 v[1:4], v192 offset:1296
	v_add_f64 v[143:144], v[143:144], v[169:170]
	v_add_f64 v[135:136], v[135:136], v[165:166]
	s_waitcnt vmcnt(58) lgkmcnt(1)
	v_mul_f64 v[169:170], v[7:8], v[181:182]
	s_waitcnt vmcnt(56)
	v_fma_f64 v[177:178], v[131:132], v[183:184], -v[176:177]
	v_mul_f64 v[165:166], v[5:6], v[181:182]
	v_add_f64 v[143:144], v[143:144], v[161:162]
	v_fma_f64 v[161:162], v[133:134], v[183:184], v[214:215]
	v_add_f64 v[135:136], v[135:136], v[157:158]
	s_clause 0x4
	buffer_load_dword v158, off, s[0:3], 0 offset:572
	buffer_load_dword v181, off, s[0:3], 0 offset:584
	;; [unrolled: 1-line block ×5, first 2 shown]
	s_waitcnt vmcnt(57) lgkmcnt(0)
	v_mul_f64 v[214:215], v[1:2], v[185:186]
	v_mul_f64 v[184:185], v[3:4], v[185:186]
	s_waitcnt vmcnt(56)
	v_fma_f64 v[169:170], v[5:6], v[171:172], -v[169:170]
	ds_read_b128 v[131:134], v192 offset:1312
	v_fma_f64 v[165:166], v[7:8], v[171:172], v[165:166]
	v_add_f64 v[143:144], v[143:144], v[177:178]
	v_add_f64 v[135:136], v[135:136], v[161:162]
	s_clause 0x2
	buffer_load_dword v182, off, s[0:3], 0 offset:588
	buffer_load_dword v162, off, s[0:3], 0 offset:564
	;; [unrolled: 1-line block ×3, first 2 shown]
	ds_read_b128 v[5:8], v192 offset:1328
	s_waitcnt vmcnt(58) lgkmcnt(1)
	v_mul_f64 v[177:178], v[133:134], v[187:188]
	s_waitcnt vmcnt(56)
	v_fma_f64 v[185:186], v[1:2], v[189:190], -v[184:185]
	v_mul_f64 v[171:172], v[131:132], v[187:188]
	v_add_f64 v[143:144], v[143:144], v[169:170]
	v_fma_f64 v[169:170], v[3:4], v[189:190], v[214:215]
	v_add_f64 v[135:136], v[135:136], v[165:166]
	s_clause 0x4
	buffer_load_dword v166, off, s[0:3], 0 offset:604
	buffer_load_dword v187, off, s[0:3], 0 offset:616
	;; [unrolled: 1-line block ×5, first 2 shown]
	s_waitcnt vmcnt(57) lgkmcnt(0)
	v_mul_f64 v[214:215], v[5:6], v[199:200]
	v_mul_f64 v[199:200], v[7:8], v[199:200]
	s_waitcnt vmcnt(56)
	v_fma_f64 v[177:178], v[131:132], v[179:180], -v[177:178]
	ds_read_b128 v[1:4], v192 offset:1344
	v_fma_f64 v[171:172], v[133:134], v[179:180], v[171:172]
	v_add_f64 v[143:144], v[143:144], v[185:186]
	v_add_f64 v[135:136], v[135:136], v[169:170]
	s_clause 0x2
	buffer_load_dword v188, off, s[0:3], 0 offset:620
	buffer_load_dword v170, off, s[0:3], 0 offset:596
	buffer_load_dword v169, off, s[0:3], 0 offset:592
	ds_read_b128 v[131:134], v192 offset:1360
	s_waitcnt vmcnt(58) lgkmcnt(1)
	v_mul_f64 v[185:186], v[3:4], v[201:202]
	v_mul_f64 v[179:180], v[1:2], v[201:202]
	s_waitcnt vmcnt(56)
	v_fma_f64 v[199:200], v[5:6], v[139:140], -v[199:200]
	v_fma_f64 v[139:140], v[7:8], v[139:140], v[214:215]
	v_add_f64 v[143:144], v[143:144], v[177:178]
	v_add_f64 v[135:136], v[135:136], v[171:172]
	s_clause 0x4
	buffer_load_dword v172, off, s[0:3], 0 offset:636
	buffer_load_dword v177, off, s[0:3], 0 offset:648
	;; [unrolled: 1-line block ×5, first 2 shown]
	ds_read_b128 v[5:8], v192 offset:1376
	s_waitcnt vmcnt(57) lgkmcnt(1)
	v_mul_f64 v[214:215], v[131:132], v[137:138]
	v_mul_f64 v[137:138], v[133:134], v[137:138]
	s_waitcnt vmcnt(56)
	v_fma_f64 v[185:186], v[1:2], v[203:204], -v[185:186]
	v_fma_f64 v[179:180], v[3:4], v[203:204], v[179:180]
	v_add_f64 v[143:144], v[143:144], v[199:200]
	v_add_f64 v[135:136], v[135:136], v[139:140]
	s_clause 0x2
	buffer_load_dword v178, off, s[0:3], 0 offset:652
	buffer_load_dword v140, off, s[0:3], 0 offset:628
	;; [unrolled: 1-line block ×3, first 2 shown]
	s_waitcnt vmcnt(58) lgkmcnt(0)
	v_mul_f64 v[203:204], v[7:8], v[205:206]
	ds_read_b128 v[1:4], v192 offset:1392
	v_mul_f64 v[199:200], v[5:6], v[205:206]
	s_waitcnt vmcnt(56)
	v_fma_f64 v[137:138], v[131:132], v[195:196], -v[137:138]
	v_add_f64 v[143:144], v[143:144], v[185:186]
	v_fma_f64 v[185:186], v[133:134], v[195:196], v[214:215]
	v_add_f64 v[135:136], v[135:136], v[179:180]
	s_clause 0x4
	buffer_load_dword v180, off, s[0:3], 0 offset:668
	buffer_load_dword v195, off, s[0:3], 0 offset:680
	;; [unrolled: 1-line block ×5, first 2 shown]
	ds_read_b128 v[131:134], v192 offset:1408
	s_waitcnt vmcnt(57) lgkmcnt(1)
	v_mul_f64 v[214:215], v[1:2], v[155:156]
	v_mul_f64 v[155:156], v[3:4], v[155:156]
	s_waitcnt vmcnt(56)
	v_fma_f64 v[203:204], v[5:6], v[210:211], -v[203:204]
	v_add_f64 v[137:138], v[143:144], v[137:138]
	v_fma_f64 v[143:144], v[7:8], v[210:211], v[199:200]
	v_add_f64 v[135:136], v[135:136], v[185:186]
	s_clause 0x2
	buffer_load_dword v196, off, s[0:3], 0 offset:684
	buffer_load_dword v186, off, s[0:3], 0 offset:660
	;; [unrolled: 1-line block ×3, first 2 shown]
	ds_read_b128 v[5:8], v192 offset:1424
	s_waitcnt vmcnt(58) lgkmcnt(1)
	v_mul_f64 v[199:200], v[131:132], v[197:198]
	v_mul_f64 v[197:198], v[133:134], v[197:198]
	s_waitcnt vmcnt(56)
	v_fma_f64 v[155:156], v[1:2], v[149:150], -v[155:156]
	v_fma_f64 v[149:150], v[3:4], v[149:150], v[214:215]
	v_add_f64 v[137:138], v[137:138], v[203:204]
	v_add_f64 v[135:136], v[135:136], v[143:144]
	s_clause 0x4
	buffer_load_dword v144, off, s[0:3], 0 offset:700
	buffer_load_dword v203, off, s[0:3], 0 offset:712
	buffer_load_dword v209, off, s[0:3], 0 offset:704
	buffer_load_dword v143, off, s[0:3], 0 offset:696
	buffer_load_dword v206, off, s[0:3], 0 offset:676
	ds_read_b128 v[1:4], v192 offset:1440
	s_waitcnt vmcnt(57) lgkmcnt(1)
	v_mul_f64 v[210:211], v[5:6], v[141:142]
	v_mul_f64 v[141:142], v[7:8], v[141:142]
	s_waitcnt vmcnt(56)
	v_fma_f64 v[197:198], v[131:132], v[212:213], -v[197:198]
	v_add_f64 v[137:138], v[137:138], v[155:156]
	v_fma_f64 v[155:156], v[133:134], v[212:213], v[199:200]
	v_add_f64 v[135:136], v[135:136], v[149:150]
	s_clause 0x2
	buffer_load_dword v204, off, s[0:3], 0 offset:716
	buffer_load_dword v150, off, s[0:3], 0 offset:692
	buffer_load_dword v149, off, s[0:3], 0 offset:688
	ds_read_b128 v[131:134], v192 offset:1456
	s_waitcnt vmcnt(58) lgkmcnt(1)
	v_mul_f64 v[199:200], v[1:2], v[159:160]
	v_mul_f64 v[159:160], v[3:4], v[159:160]
	s_waitcnt vmcnt(56)
	v_fma_f64 v[141:142], v[5:6], v[147:148], -v[141:142]
	v_fma_f64 v[147:148], v[7:8], v[147:148], v[210:211]
	v_add_f64 v[137:138], v[137:138], v[197:198]
	v_add_f64 v[135:136], v[135:136], v[155:156]
	s_clause 0x4
	buffer_load_dword v156, off, s[0:3], 0 offset:732
	buffer_load_dword v197, off, s[0:3], 0 offset:744
	;; [unrolled: 1-line block ×5, first 2 shown]
	ds_read_b128 v[5:8], v192 offset:1472
	s_waitcnt vmcnt(57) lgkmcnt(1)
	v_mul_f64 v[212:213], v[131:132], v[145:146]
	v_mul_f64 v[145:146], v[133:134], v[145:146]
	s_waitcnt vmcnt(56)
	v_fma_f64 v[159:160], v[1:2], v[207:208], -v[159:160]
	v_add_f64 v[137:138], v[137:138], v[141:142]
	v_fma_f64 v[141:142], v[3:4], v[207:208], v[199:200]
	v_add_f64 v[135:136], v[135:136], v[147:148]
	s_clause 0x2
	buffer_load_dword v198, off, s[0:3], 0 offset:748
	buffer_load_dword v148, off, s[0:3], 0 offset:724
	;; [unrolled: 1-line block ×3, first 2 shown]
	s_waitcnt vmcnt(58) lgkmcnt(0)
	v_mul_f64 v[199:200], v[5:6], v[167:168]
	v_mul_f64 v[167:168], v[7:8], v[167:168]
	ds_read_b128 v[1:4], v192 offset:1488
	s_waitcnt vmcnt(56)
	v_fma_f64 v[145:146], v[131:132], v[153:154], -v[145:146]
	v_fma_f64 v[153:154], v[133:134], v[153:154], v[212:213]
	v_add_f64 v[137:138], v[137:138], v[159:160]
	v_add_f64 v[135:136], v[135:136], v[141:142]
	s_clause 0x4
	buffer_load_dword v142, off, s[0:3], 0 offset:764
	buffer_load_dword v159, off, s[0:3], 0 offset:776
	;; [unrolled: 1-line block ×5, first 2 shown]
	ds_read_b128 v[131:134], v192 offset:1504
	s_waitcnt vmcnt(57) lgkmcnt(1)
	v_mul_f64 v[213:214], v[1:2], v[151:152]
	v_mul_f64 v[151:152], v[3:4], v[151:152]
	s_waitcnt vmcnt(56)
	v_fma_f64 v[167:168], v[5:6], v[193:194], -v[167:168]
	v_add_f64 v[137:138], v[137:138], v[145:146]
	v_fma_f64 v[145:146], v[7:8], v[193:194], v[199:200]
	v_add_f64 v[135:136], v[135:136], v[153:154]
	s_clause 0x2
	buffer_load_dword v160, off, s[0:3], 0 offset:780
	buffer_load_dword v154, off, s[0:3], 0 offset:756
	;; [unrolled: 1-line block ×3, first 2 shown]
	s_waitcnt vmcnt(58) lgkmcnt(0)
	v_mul_f64 v[193:194], v[131:132], v[173:174]
	v_mul_f64 v[173:174], v[133:134], v[173:174]
	ds_read_b128 v[5:8], v192 offset:1520
	s_waitcnt vmcnt(56)
	v_fma_f64 v[151:152], v[1:2], v[163:164], -v[151:152]
	v_fma_f64 v[163:164], v[3:4], v[163:164], v[213:214]
	v_add_f64 v[137:138], v[137:138], v[167:168]
	v_add_f64 v[135:136], v[135:136], v[145:146]
	s_clause 0x4
	buffer_load_dword v146, off, s[0:3], 0 offset:796
	buffer_load_dword v167, off, s[0:3], 0 offset:808
	buffer_load_dword v199, off, s[0:3], 0 offset:800
	buffer_load_dword v145, off, s[0:3], 0 offset:792
	buffer_load_dword v208, off, s[0:3], 0 offset:772
	ds_read_b128 v[1:4], v192 offset:1536
	s_waitcnt vmcnt(57) lgkmcnt(1)
	v_mul_f64 v[213:214], v[5:6], v[157:158]
	v_mul_f64 v[157:158], v[7:8], v[157:158]
	s_waitcnt vmcnt(56)
	v_fma_f64 v[173:174], v[131:132], v[175:176], -v[173:174]
	v_add_f64 v[137:138], v[137:138], v[151:152]
	v_fma_f64 v[151:152], v[133:134], v[175:176], v[193:194]
	v_add_f64 v[135:136], v[135:136], v[163:164]
	s_clause 0x2
	buffer_load_dword v168, off, s[0:3], 0 offset:812
	buffer_load_dword v164, off, s[0:3], 0 offset:788
	buffer_load_dword v163, off, s[0:3], 0 offset:784
	ds_read_b128 v[131:134], v192 offset:1552
	s_waitcnt vmcnt(58) lgkmcnt(1)
	v_mul_f64 v[175:176], v[1:2], v[181:182]
	v_mul_f64 v[181:182], v[3:4], v[181:182]
	s_waitcnt vmcnt(56)
	v_fma_f64 v[157:158], v[5:6], v[161:162], -v[157:158]
	v_fma_f64 v[161:162], v[7:8], v[161:162], v[213:214]
	v_add_f64 v[137:138], v[137:138], v[173:174]
	v_add_f64 v[135:136], v[135:136], v[151:152]
	s_clause 0x4
	buffer_load_dword v152, off, s[0:3], 0 offset:828
	buffer_load_dword v173, off, s[0:3], 0 offset:840
	buffer_load_dword v193, off, s[0:3], 0 offset:832
	buffer_load_dword v151, off, s[0:3], 0 offset:824
	buffer_load_dword v200, off, s[0:3], 0 offset:804
	ds_read_b128 v[5:8], v192 offset:1568
	s_waitcnt vmcnt(57) lgkmcnt(1)
	v_mul_f64 v[213:214], v[131:132], v[165:166]
	v_mul_f64 v[165:166], v[133:134], v[165:166]
	s_waitcnt vmcnt(56)
	v_fma_f64 v[181:182], v[1:2], v[183:184], -v[181:182]
	v_add_f64 v[137:138], v[137:138], v[157:158]
	v_fma_f64 v[157:158], v[3:4], v[183:184], v[175:176]
	v_add_f64 v[135:136], v[135:136], v[161:162]
	s_clause 0x2
	buffer_load_dword v174, off, s[0:3], 0 offset:844
	buffer_load_dword v162, off, s[0:3], 0 offset:820
	buffer_load_dword v161, off, s[0:3], 0 offset:816
	ds_read_b128 v[1:4], v192 offset:1584
	s_waitcnt vmcnt(58) lgkmcnt(1)
	v_mul_f64 v[183:184], v[7:8], v[187:188]
	v_mul_f64 v[175:176], v[5:6], v[187:188]
	;; [unrolled: 28-line block ×4, first 2 shown]
	s_waitcnt vmcnt(56)
	v_fma_f64 v[179:180], v[5:6], v[185:186], -v[179:180]
	v_add_f64 v[137:138], v[137:138], v[177:178]
	v_fma_f64 v[177:178], v[7:8], v[185:186], v[213:214]
	v_add_f64 v[135:136], v[135:136], v[171:172]
	s_clause 0x4
	buffer_load_dword v172, off, s[0:3], 0 offset:924
	buffer_load_dword v185, off, s[0:3], 0 offset:936
	;; [unrolled: 1-line block ×5, first 2 shown]
	ds_read_b128 v[5:8], v192 offset:1664
	s_waitcnt vmcnt(57) lgkmcnt(1)
	v_mul_f64 v[213:214], v[131:132], v[143:144]
	v_mul_f64 v[143:144], v[133:134], v[143:144]
	s_waitcnt vmcnt(56)
	v_fma_f64 v[195:196], v[1:2], v[205:206], -v[195:196]
	v_fma_f64 v[175:176], v[3:4], v[205:206], v[175:176]
	v_add_f64 v[137:138], v[137:138], v[179:180]
	v_add_f64 v[135:136], v[135:136], v[177:178]
	s_clause 0x2
	buffer_load_dword v186, off, s[0:3], 0 offset:940
	buffer_load_dword v178, off, s[0:3], 0 offset:916
	;; [unrolled: 1-line block ×3, first 2 shown]
	ds_read_b128 v[1:4], v192 offset:1680
	s_waitcnt vmcnt(58) lgkmcnt(1)
	v_mul_f64 v[179:180], v[5:6], v[203:204]
	v_mul_f64 v[203:204], v[7:8], v[203:204]
	s_waitcnt vmcnt(56)
	v_fma_f64 v[143:144], v[131:132], v[149:150], -v[143:144]
	v_fma_f64 v[149:150], v[133:134], v[149:150], v[213:214]
	v_add_f64 v[137:138], v[137:138], v[195:196]
	v_add_f64 v[135:136], v[135:136], v[175:176]
	s_clause 0x4
	buffer_load_dword v176, off, s[0:3], 0 offset:956
	buffer_load_dword v195, off, s[0:3], 0 offset:968
	;; [unrolled: 1-line block ×5, first 2 shown]
	ds_read_b128 v[131:134], v192 offset:1696
	s_waitcnt vmcnt(57) lgkmcnt(1)
	v_mul_f64 v[213:214], v[1:2], v[155:156]
	v_mul_f64 v[155:156], v[3:4], v[155:156]
	s_waitcnt vmcnt(56)
	v_fma_f64 v[203:204], v[5:6], v[209:210], -v[203:204]
	v_add_f64 v[137:138], v[137:138], v[143:144]
	v_fma_f64 v[143:144], v[7:8], v[209:210], v[179:180]
	v_add_f64 v[135:136], v[135:136], v[149:150]
	s_clause 0x2
	buffer_load_dword v196, off, s[0:3], 0 offset:972
	buffer_load_dword v150, off, s[0:3], 0 offset:948
	;; [unrolled: 1-line block ×3, first 2 shown]
	ds_read_b128 v[5:8], v192 offset:1712
	s_waitcnt vmcnt(58) lgkmcnt(1)
	v_mul_f64 v[179:180], v[131:132], v[197:198]
	v_mul_f64 v[197:198], v[133:134], v[197:198]
	s_waitcnt vmcnt(56)
	v_fma_f64 v[155:156], v[1:2], v[147:148], -v[155:156]
	v_fma_f64 v[147:148], v[3:4], v[147:148], v[213:214]
	v_add_f64 v[137:138], v[137:138], v[203:204]
	v_add_f64 v[135:136], v[135:136], v[143:144]
	s_clause 0x2
	buffer_load_dword v144, off, s[0:3], 0 offset:988
	buffer_load_dword v143, off, s[0:3], 0 offset:984
	;; [unrolled: 1-line block ×3, first 2 shown]
	ds_read_b128 v[1:4], v192 offset:1728
	s_waitcnt vmcnt(55) lgkmcnt(1)
	v_mul_f64 v[203:204], v[5:6], v[141:142]
	v_mul_f64 v[141:142], v[7:8], v[141:142]
	s_waitcnt vmcnt(54)
	v_fma_f64 v[197:198], v[131:132], v[211:212], -v[197:198]
	v_add_f64 v[137:138], v[137:138], v[155:156]
	v_fma_f64 v[155:156], v[133:134], v[211:212], v[179:180]
	v_add_f64 v[135:136], v[135:136], v[147:148]
	s_clause 0x1
	buffer_load_dword v148, off, s[0:3], 0 offset:980
	buffer_load_dword v147, off, s[0:3], 0 offset:976
	ds_read_b128 v[131:134], v192 offset:1744
	s_waitcnt vmcnt(55) lgkmcnt(1)
	v_mul_f64 v[179:180], v[1:2], v[159:160]
	v_mul_f64 v[159:160], v[3:4], v[159:160]
	s_waitcnt vmcnt(53)
	v_fma_f64 v[141:142], v[5:6], v[153:154], -v[141:142]
	v_fma_f64 v[153:154], v[7:8], v[153:154], v[203:204]
	ds_read_b128 v[5:8], v192 offset:1760
	v_add_f64 v[137:138], v[137:138], v[197:198]
	v_add_f64 v[135:136], v[135:136], v[155:156]
	s_waitcnt vmcnt(49) lgkmcnt(1)
	v_mul_f64 v[155:156], v[131:132], v[145:146]
	v_mul_f64 v[145:146], v[133:134], v[145:146]
	s_waitcnt vmcnt(48)
	v_fma_f64 v[159:160], v[1:2], v[207:208], -v[159:160]
	v_add_f64 v[137:138], v[137:138], v[141:142]
	v_fma_f64 v[141:142], v[3:4], v[207:208], v[179:180]
	v_add_f64 v[135:136], v[135:136], v[153:154]
	s_clause 0x3
	buffer_load_dword v153, off, s[0:3], 0 offset:112
	buffer_load_dword v154, off, s[0:3], 0 offset:116
	buffer_load_dword v179, off, s[0:3], 0 offset:120
	buffer_load_dword v180, off, s[0:3], 0 offset:124
	ds_read_b128 v[1:4], v192 offset:1776
	s_waitcnt vmcnt(51) lgkmcnt(1)
	v_mul_f64 v[197:198], v[5:6], v[167:168]
	v_mul_f64 v[167:168], v[7:8], v[167:168]
	s_waitcnt vmcnt(49)
	v_fma_f64 v[145:146], v[131:132], v[163:164], -v[145:146]
	v_fma_f64 v[155:156], v[133:134], v[163:164], v[155:156]
	ds_read_b128 v[131:134], v192 offset:1792
	v_add_f64 v[137:138], v[137:138], v[159:160]
	v_add_f64 v[135:136], v[135:136], v[141:142]
	s_waitcnt vmcnt(45) lgkmcnt(1)
	v_mul_f64 v[141:142], v[1:2], v[151:152]
	v_mul_f64 v[151:152], v[3:4], v[151:152]
	s_waitcnt vmcnt(44)
	v_fma_f64 v[159:160], v[5:6], v[199:200], -v[167:168]
	v_add_f64 v[137:138], v[137:138], v[145:146]
	v_fma_f64 v[145:146], v[7:8], v[199:200], v[197:198]
	v_add_f64 v[135:136], v[135:136], v[155:156]
	ds_read_b128 v[5:8], v192 offset:1808
	s_waitcnt vmcnt(43) lgkmcnt(1)
	v_mul_f64 v[163:164], v[133:134], v[173:174]
	v_mul_f64 v[155:156], v[131:132], v[173:174]
	s_waitcnt vmcnt(41)
	v_fma_f64 v[151:152], v[1:2], v[161:162], -v[151:152]
	v_fma_f64 v[141:142], v[3:4], v[161:162], v[141:142]
	ds_read_b128 v[1:4], v192 offset:1824
	v_add_f64 v[137:138], v[137:138], v[159:160]
	v_add_f64 v[135:136], v[135:136], v[145:146]
	s_waitcnt vmcnt(37) lgkmcnt(1)
	v_mul_f64 v[145:146], v[5:6], v[157:158]
	v_mul_f64 v[157:158], v[7:8], v[157:158]
	s_waitcnt vmcnt(36)
	v_fma_f64 v[159:160], v[131:132], v[193:194], -v[163:164]
	v_add_f64 v[137:138], v[137:138], v[151:152]
	v_fma_f64 v[151:152], v[133:134], v[193:194], v[155:156]
	v_add_f64 v[135:136], v[135:136], v[141:142]
	ds_read_b128 v[131:134], v192 offset:1840
	s_waitcnt vmcnt(35) lgkmcnt(1)
	v_mul_f64 v[155:156], v[3:4], v[181:182]
	v_mul_f64 v[141:142], v[1:2], v[181:182]
	s_waitcnt vmcnt(33)
	v_fma_f64 v[157:158], v[5:6], v[169:170], -v[157:158]
	v_fma_f64 v[145:146], v[7:8], v[169:170], v[145:146]
	ds_read_b128 v[5:8], v192 offset:1856
	v_add_f64 v[137:138], v[137:138], v[159:160]
	v_add_f64 v[135:136], v[135:136], v[151:152]
	s_waitcnt vmcnt(29) lgkmcnt(1)
	v_mul_f64 v[159:160], v[133:134], v[165:166]
	s_waitcnt vmcnt(28)
	v_fma_f64 v[155:156], v[1:2], v[187:188], -v[155:156]
	v_mul_f64 v[151:152], v[131:132], v[165:166]
	v_fma_f64 v[141:142], v[3:4], v[187:188], v[141:142]
	ds_read_b128 v[1:4], v192 offset:1872
	v_add_f64 v[137:138], v[137:138], v[157:158]
	v_add_f64 v[135:136], v[135:136], v[145:146]
	s_waitcnt vmcnt(27) lgkmcnt(1)
	v_mul_f64 v[157:158], v[7:8], v[183:184]
	v_mul_f64 v[145:146], v[5:6], v[183:184]
	s_waitcnt vmcnt(25)
	v_fma_f64 v[159:160], v[131:132], v[139:140], -v[159:160]
	v_fma_f64 v[139:140], v[133:134], v[139:140], v[151:152]
	ds_read_b128 v[131:134], v192 offset:1888
	v_add_f64 v[137:138], v[137:138], v[155:156]
	v_add_f64 v[135:136], v[135:136], v[141:142]
	s_waitcnt vmcnt(21) lgkmcnt(1)
	v_mul_f64 v[151:152], v[3:4], v[171:172]
	s_waitcnt vmcnt(20)
	v_fma_f64 v[155:156], v[5:6], v[189:190], -v[157:158]
	v_mul_f64 v[141:142], v[1:2], v[171:172]
	v_fma_f64 v[145:146], v[7:8], v[189:190], v[145:146]
	ds_read_b128 v[5:8], v192 offset:1904
	v_add_f64 v[137:138], v[137:138], v[159:160]
	v_add_f64 v[135:136], v[135:136], v[139:140]
	;; [unrolled: 18-line block ×3, first 2 shown]
	s_waitcnt vmcnt(11) lgkmcnt(1)
	v_mul_f64 v[151:152], v[3:4], v[195:196]
	v_mul_f64 v[141:142], v[1:2], v[195:196]
	s_waitcnt vmcnt(9)
	v_fma_f64 v[5:6], v[5:6], v[149:150], -v[155:156]
	v_fma_f64 v[7:8], v[7:8], v[149:150], v[145:146]
	v_add_f64 v[137:138], v[137:138], v[157:158]
	v_add_f64 v[135:136], v[135:136], v[139:140]
	s_waitcnt vmcnt(7) lgkmcnt(0)
	v_mul_f64 v[139:140], v[131:132], v[143:144]
	v_mul_f64 v[143:144], v[133:134], v[143:144]
	s_waitcnt vmcnt(6)
	v_fma_f64 v[1:2], v[1:2], v[205:206], -v[151:152]
	v_fma_f64 v[3:4], v[3:4], v[205:206], v[141:142]
	v_add_f64 v[5:6], v[137:138], v[5:6]
	v_add_f64 v[7:8], v[135:136], v[7:8]
	s_waitcnt vmcnt(4)
	v_fma_f64 v[131:132], v[131:132], v[147:148], -v[143:144]
	v_add_f64 v[1:2], v[5:6], v[1:2]
	v_fma_f64 v[5:6], v[133:134], v[147:148], v[139:140]
	v_add_f64 v[3:4], v[7:8], v[3:4]
	v_add_f64 v[1:2], v[1:2], v[131:132]
	;; [unrolled: 1-line block ×3, first 2 shown]
	s_waitcnt vmcnt(2)
	v_add_f64 v[1:2], v[153:154], -v[1:2]
	s_waitcnt vmcnt(0)
	v_add_f64 v[3:4], v[179:180], -v[3:4]
	buffer_store_dword v2, off, s[0:3], 0 offset:116
	buffer_store_dword v1, off, s[0:3], 0 offset:112
	;; [unrolled: 1-line block ×4, first 2 shown]
	v_cmpx_lt_u32_e32 5, v0
	s_cbranch_execz .LBB124_381
; %bb.380:
	v_mov_b32_e32 v4, s70
	v_mov_b32_e32 v5, 0
	s_clause 0x3
	buffer_load_dword v1, v4, s[0:3], 0 offen
	buffer_load_dword v2, v4, s[0:3], 0 offen offset:4
	buffer_load_dword v3, v4, s[0:3], 0 offen offset:8
	;; [unrolled: 1-line block ×3, first 2 shown]
	buffer_store_dword v5, off, s[0:3], 0 offset:96
	buffer_store_dword v5, off, s[0:3], 0 offset:100
	;; [unrolled: 1-line block ×4, first 2 shown]
	s_waitcnt vmcnt(0)
	ds_write_b128 v191, v[1:4]
.LBB124_381:
	s_or_b32 exec_lo, exec_lo, s4
	s_waitcnt lgkmcnt(0)
	s_waitcnt_vscnt null, 0x0
	s_barrier
	buffer_gl0_inv
	s_clause 0x37
	buffer_load_dword v139, off, s[0:3], 0 offset:120
	buffer_load_dword v140, off, s[0:3], 0 offset:124
	;; [unrolled: 1-line block ×56, first 2 shown]
	v_mov_b32_e32 v192, 0
	s_mov_b32 s4, exec_lo
	ds_read_b128 v[5:8], v192 offset:1072
	s_clause 0x2
	buffer_load_dword v188, off, s[0:3], 0 offset:348
	buffer_load_dword v190, off, s[0:3], 0 offset:324
	buffer_load_dword v189, off, s[0:3], 0 offset:320
	ds_read_b128 v[1:4], v192 offset:1088
	s_clause 0x4
	buffer_load_dword v200, off, s[0:3], 0 offset:364
	buffer_load_dword v201, off, s[0:3], 0 offset:376
	;; [unrolled: 1-line block ×5, first 2 shown]
	ds_read_b128 v[193:196], v192 offset:1104
	s_waitcnt vmcnt(62) lgkmcnt(2)
	v_mul_f64 v[197:198], v[7:8], v[139:140]
	v_mul_f64 v[139:140], v[5:6], v[139:140]
	s_waitcnt vmcnt(60) lgkmcnt(1)
	v_mul_f64 v[204:205], v[3:4], v[135:136]
	v_mul_f64 v[135:136], v[1:2], v[135:136]
	;; [unrolled: 3-line block ×3, first 2 shown]
	v_fma_f64 v[197:198], v[5:6], v[137:138], -v[197:198]
	v_fma_f64 v[137:138], v[7:8], v[137:138], v[139:140]
	s_clause 0x2
	buffer_load_dword v202, off, s[0:3], 0 offset:380
	buffer_load_dword v140, off, s[0:3], 0 offset:356
	;; [unrolled: 1-line block ×3, first 2 shown]
	s_waitcnt vmcnt(57)
	v_fma_f64 v[208:209], v[1:2], v[131:132], -v[204:205]
	ds_read_b128 v[5:8], v192 offset:1120
	v_fma_f64 v[131:132], v[3:4], v[131:132], v[135:136]
	s_waitcnt vmcnt(51)
	v_fma_f64 v[193:194], v[193:194], v[155:156], -v[133:134]
	v_fma_f64 v[155:156], v[195:196], v[155:156], v[206:207]
	v_add_f64 v[197:198], v[197:198], 0
	v_add_f64 v[135:136], v[137:138], 0
	s_clause 0x4
	buffer_load_dword v138, off, s[0:3], 0 offset:396
	buffer_load_dword v205, off, s[0:3], 0 offset:408
	buffer_load_dword v210, off, s[0:3], 0 offset:400
	buffer_load_dword v137, off, s[0:3], 0 offset:392
	buffer_load_dword v204, off, s[0:3], 0 offset:372
	s_waitcnt lgkmcnt(0)
	v_mul_f64 v[211:212], v[5:6], v[143:144]
	v_mul_f64 v[143:144], v[7:8], v[143:144]
	ds_read_b128 v[1:4], v192 offset:1136
	s_clause 0x2
	buffer_load_dword v206, off, s[0:3], 0 offset:412
	buffer_load_dword v196, off, s[0:3], 0 offset:388
	;; [unrolled: 1-line block ×3, first 2 shown]
	v_add_f64 v[197:198], v[197:198], v[208:209]
	v_add_f64 v[135:136], v[135:136], v[131:132]
	ds_read_b128 v[131:134], v192 offset:1152
	s_waitcnt vmcnt(58) lgkmcnt(1)
	v_mul_f64 v[207:208], v[1:2], v[147:148]
	v_mul_f64 v[147:148], v[3:4], v[147:148]
	s_waitcnt vmcnt(56)
	v_fma_f64 v[143:144], v[5:6], v[149:150], -v[143:144]
	v_fma_f64 v[149:150], v[7:8], v[149:150], v[211:212]
	s_waitcnt vmcnt(52) lgkmcnt(0)
	v_mul_f64 v[213:214], v[131:132], v[151:152]
	v_add_f64 v[193:194], v[197:198], v[193:194]
	v_add_f64 v[135:136], v[135:136], v[155:156]
	s_clause 0x4
	buffer_load_dword v156, off, s[0:3], 0 offset:428
	buffer_load_dword v197, off, s[0:3], 0 offset:440
	;; [unrolled: 1-line block ×5, first 2 shown]
	v_mul_f64 v[151:152], v[133:134], v[151:152]
	s_waitcnt vmcnt(56)
	v_fma_f64 v[147:148], v[1:2], v[141:142], -v[147:148]
	ds_read_b128 v[5:8], v192 offset:1168
	v_fma_f64 v[141:142], v[3:4], v[141:142], v[207:208]
	v_add_f64 v[143:144], v[193:194], v[143:144]
	v_add_f64 v[135:136], v[135:136], v[149:150]
	s_clause 0x2
	buffer_load_dword v198, off, s[0:3], 0 offset:444
	buffer_load_dword v150, off, s[0:3], 0 offset:420
	;; [unrolled: 1-line block ×3, first 2 shown]
	s_waitcnt vmcnt(58) lgkmcnt(0)
	v_mul_f64 v[193:194], v[5:6], v[157:158]
	v_mul_f64 v[157:158], v[7:8], v[157:158]
	s_waitcnt vmcnt(56)
	v_fma_f64 v[151:152], v[131:132], v[159:160], -v[151:152]
	ds_read_b128 v[1:4], v192 offset:1184
	v_add_f64 v[143:144], v[143:144], v[147:148]
	v_fma_f64 v[147:148], v[133:134], v[159:160], v[213:214]
	v_add_f64 v[135:136], v[135:136], v[141:142]
	s_clause 0x4
	buffer_load_dword v142, off, s[0:3], 0 offset:460
	buffer_load_dword v159, off, s[0:3], 0 offset:472
	;; [unrolled: 1-line block ×5, first 2 shown]
	s_waitcnt vmcnt(57) lgkmcnt(0)
	v_mul_f64 v[208:209], v[1:2], v[161:162]
	v_mul_f64 v[161:162], v[3:4], v[161:162]
	s_waitcnt vmcnt(56)
	v_fma_f64 v[157:158], v[5:6], v[145:146], -v[157:158]
	ds_read_b128 v[131:134], v192 offset:1200
	v_fma_f64 v[145:146], v[7:8], v[145:146], v[193:194]
	v_add_f64 v[143:144], v[143:144], v[151:152]
	v_add_f64 v[135:136], v[135:136], v[147:148]
	s_clause 0x2
	buffer_load_dword v160, off, s[0:3], 0 offset:476
	buffer_load_dword v148, off, s[0:3], 0 offset:452
	;; [unrolled: 1-line block ×3, first 2 shown]
	ds_read_b128 v[5:8], v192 offset:1216
	s_waitcnt vmcnt(58) lgkmcnt(1)
	v_mul_f64 v[151:152], v[131:132], v[165:166]
	v_mul_f64 v[165:166], v[133:134], v[165:166]
	s_waitcnt vmcnt(56)
	v_fma_f64 v[161:162], v[1:2], v[167:168], -v[161:162]
	v_add_f64 v[143:144], v[143:144], v[157:158]
	v_fma_f64 v[157:158], v[3:4], v[167:168], v[208:209]
	v_add_f64 v[135:136], v[135:136], v[145:146]
	s_clause 0x4
	buffer_load_dword v146, off, s[0:3], 0 offset:492
	buffer_load_dword v167, off, s[0:3], 0 offset:504
	;; [unrolled: 1-line block ×5, first 2 shown]
	s_waitcnt vmcnt(57) lgkmcnt(0)
	v_mul_f64 v[214:215], v[5:6], v[169:170]
	v_mul_f64 v[169:170], v[7:8], v[169:170]
	s_waitcnt vmcnt(56)
	v_fma_f64 v[165:166], v[131:132], v[153:154], -v[165:166]
	ds_read_b128 v[1:4], v192 offset:1232
	v_fma_f64 v[151:152], v[133:134], v[153:154], v[151:152]
	s_clause 0x2
	buffer_load_dword v168, off, s[0:3], 0 offset:508
	buffer_load_dword v154, off, s[0:3], 0 offset:484
	buffer_load_dword v153, off, s[0:3], 0 offset:480
	ds_read_b128 v[131:134], v192 offset:1248
	v_add_f64 v[143:144], v[143:144], v[161:162]
	v_add_f64 v[135:136], v[135:136], v[157:158]
	s_waitcnt vmcnt(58) lgkmcnt(1)
	v_mul_f64 v[161:162], v[3:4], v[173:174]
	s_waitcnt vmcnt(56)
	v_fma_f64 v[169:170], v[5:6], v[175:176], -v[169:170]
	v_mul_f64 v[157:158], v[1:2], v[173:174]
	v_add_f64 v[143:144], v[143:144], v[165:166]
	v_fma_f64 v[165:166], v[7:8], v[175:176], v[214:215]
	v_add_f64 v[135:136], v[135:136], v[151:152]
	s_clause 0x4
	buffer_load_dword v152, off, s[0:3], 0 offset:524
	buffer_load_dword v173, off, s[0:3], 0 offset:536
	;; [unrolled: 1-line block ×5, first 2 shown]
	s_waitcnt vmcnt(57) lgkmcnt(0)
	v_mul_f64 v[214:215], v[131:132], v[177:178]
	v_mul_f64 v[176:177], v[133:134], v[177:178]
	s_waitcnt vmcnt(56)
	v_fma_f64 v[161:162], v[1:2], v[163:164], -v[161:162]
	ds_read_b128 v[5:8], v192 offset:1264
	v_fma_f64 v[157:158], v[3:4], v[163:164], v[157:158]
	s_clause 0x2
	buffer_load_dword v174, off, s[0:3], 0 offset:540
	buffer_load_dword v164, off, s[0:3], 0 offset:516
	;; [unrolled: 1-line block ×3, first 2 shown]
	ds_read_b128 v[1:4], v192 offset:1280
	v_add_f64 v[143:144], v[143:144], v[169:170]
	v_add_f64 v[135:136], v[135:136], v[165:166]
	s_waitcnt vmcnt(58) lgkmcnt(1)
	v_mul_f64 v[169:170], v[7:8], v[181:182]
	s_waitcnt vmcnt(56)
	v_fma_f64 v[177:178], v[131:132], v[183:184], -v[176:177]
	v_mul_f64 v[165:166], v[5:6], v[181:182]
	v_add_f64 v[143:144], v[143:144], v[161:162]
	v_fma_f64 v[161:162], v[133:134], v[183:184], v[214:215]
	v_add_f64 v[135:136], v[135:136], v[157:158]
	s_clause 0x4
	buffer_load_dword v158, off, s[0:3], 0 offset:556
	buffer_load_dword v181, off, s[0:3], 0 offset:568
	;; [unrolled: 1-line block ×5, first 2 shown]
	s_waitcnt vmcnt(57) lgkmcnt(0)
	v_mul_f64 v[214:215], v[1:2], v[185:186]
	v_mul_f64 v[184:185], v[3:4], v[185:186]
	s_waitcnt vmcnt(56)
	v_fma_f64 v[169:170], v[5:6], v[171:172], -v[169:170]
	ds_read_b128 v[131:134], v192 offset:1296
	v_fma_f64 v[165:166], v[7:8], v[171:172], v[165:166]
	v_add_f64 v[143:144], v[143:144], v[177:178]
	v_add_f64 v[135:136], v[135:136], v[161:162]
	s_clause 0x2
	buffer_load_dword v182, off, s[0:3], 0 offset:572
	buffer_load_dword v162, off, s[0:3], 0 offset:548
	;; [unrolled: 1-line block ×3, first 2 shown]
	ds_read_b128 v[5:8], v192 offset:1312
	s_waitcnt vmcnt(58) lgkmcnt(1)
	v_mul_f64 v[177:178], v[133:134], v[187:188]
	s_waitcnt vmcnt(56)
	v_fma_f64 v[185:186], v[1:2], v[189:190], -v[184:185]
	v_mul_f64 v[171:172], v[131:132], v[187:188]
	v_add_f64 v[143:144], v[143:144], v[169:170]
	v_fma_f64 v[169:170], v[3:4], v[189:190], v[214:215]
	v_add_f64 v[135:136], v[135:136], v[165:166]
	s_clause 0x4
	buffer_load_dword v166, off, s[0:3], 0 offset:588
	buffer_load_dword v187, off, s[0:3], 0 offset:600
	;; [unrolled: 1-line block ×5, first 2 shown]
	s_waitcnt vmcnt(57) lgkmcnt(0)
	v_mul_f64 v[214:215], v[5:6], v[199:200]
	v_mul_f64 v[199:200], v[7:8], v[199:200]
	s_waitcnt vmcnt(56)
	v_fma_f64 v[177:178], v[131:132], v[179:180], -v[177:178]
	ds_read_b128 v[1:4], v192 offset:1328
	v_fma_f64 v[171:172], v[133:134], v[179:180], v[171:172]
	v_add_f64 v[143:144], v[143:144], v[185:186]
	v_add_f64 v[135:136], v[135:136], v[169:170]
	s_clause 0x2
	buffer_load_dword v188, off, s[0:3], 0 offset:604
	buffer_load_dword v170, off, s[0:3], 0 offset:580
	buffer_load_dword v169, off, s[0:3], 0 offset:576
	ds_read_b128 v[131:134], v192 offset:1344
	s_waitcnt vmcnt(58) lgkmcnt(1)
	v_mul_f64 v[185:186], v[3:4], v[201:202]
	v_mul_f64 v[179:180], v[1:2], v[201:202]
	s_waitcnt vmcnt(56)
	v_fma_f64 v[199:200], v[5:6], v[139:140], -v[199:200]
	v_fma_f64 v[139:140], v[7:8], v[139:140], v[214:215]
	v_add_f64 v[143:144], v[143:144], v[177:178]
	v_add_f64 v[135:136], v[135:136], v[171:172]
	s_clause 0x4
	buffer_load_dword v172, off, s[0:3], 0 offset:620
	buffer_load_dword v177, off, s[0:3], 0 offset:632
	;; [unrolled: 1-line block ×5, first 2 shown]
	ds_read_b128 v[5:8], v192 offset:1360
	s_waitcnt vmcnt(57) lgkmcnt(1)
	v_mul_f64 v[214:215], v[131:132], v[137:138]
	v_mul_f64 v[137:138], v[133:134], v[137:138]
	s_waitcnt vmcnt(56)
	v_fma_f64 v[185:186], v[1:2], v[203:204], -v[185:186]
	v_fma_f64 v[179:180], v[3:4], v[203:204], v[179:180]
	v_add_f64 v[143:144], v[143:144], v[199:200]
	v_add_f64 v[135:136], v[135:136], v[139:140]
	s_clause 0x2
	buffer_load_dword v178, off, s[0:3], 0 offset:636
	buffer_load_dword v140, off, s[0:3], 0 offset:612
	;; [unrolled: 1-line block ×3, first 2 shown]
	s_waitcnt vmcnt(58) lgkmcnt(0)
	v_mul_f64 v[203:204], v[7:8], v[205:206]
	ds_read_b128 v[1:4], v192 offset:1376
	v_mul_f64 v[199:200], v[5:6], v[205:206]
	s_waitcnt vmcnt(56)
	v_fma_f64 v[137:138], v[131:132], v[195:196], -v[137:138]
	v_add_f64 v[143:144], v[143:144], v[185:186]
	v_fma_f64 v[185:186], v[133:134], v[195:196], v[214:215]
	v_add_f64 v[135:136], v[135:136], v[179:180]
	s_clause 0x4
	buffer_load_dword v180, off, s[0:3], 0 offset:652
	buffer_load_dword v195, off, s[0:3], 0 offset:664
	;; [unrolled: 1-line block ×5, first 2 shown]
	ds_read_b128 v[131:134], v192 offset:1392
	s_waitcnt vmcnt(57) lgkmcnt(1)
	v_mul_f64 v[214:215], v[1:2], v[155:156]
	v_mul_f64 v[155:156], v[3:4], v[155:156]
	s_waitcnt vmcnt(56)
	v_fma_f64 v[203:204], v[5:6], v[210:211], -v[203:204]
	v_add_f64 v[137:138], v[143:144], v[137:138]
	v_fma_f64 v[143:144], v[7:8], v[210:211], v[199:200]
	v_add_f64 v[135:136], v[135:136], v[185:186]
	s_clause 0x2
	buffer_load_dword v196, off, s[0:3], 0 offset:668
	buffer_load_dword v186, off, s[0:3], 0 offset:644
	;; [unrolled: 1-line block ×3, first 2 shown]
	ds_read_b128 v[5:8], v192 offset:1408
	s_waitcnt vmcnt(58) lgkmcnt(1)
	v_mul_f64 v[199:200], v[131:132], v[197:198]
	v_mul_f64 v[197:198], v[133:134], v[197:198]
	s_waitcnt vmcnt(56)
	v_fma_f64 v[155:156], v[1:2], v[149:150], -v[155:156]
	v_fma_f64 v[149:150], v[3:4], v[149:150], v[214:215]
	v_add_f64 v[137:138], v[137:138], v[203:204]
	v_add_f64 v[135:136], v[135:136], v[143:144]
	s_clause 0x4
	buffer_load_dword v144, off, s[0:3], 0 offset:684
	buffer_load_dword v203, off, s[0:3], 0 offset:696
	buffer_load_dword v209, off, s[0:3], 0 offset:688
	buffer_load_dword v143, off, s[0:3], 0 offset:680
	buffer_load_dword v206, off, s[0:3], 0 offset:660
	ds_read_b128 v[1:4], v192 offset:1424
	s_waitcnt vmcnt(57) lgkmcnt(1)
	v_mul_f64 v[210:211], v[5:6], v[141:142]
	v_mul_f64 v[141:142], v[7:8], v[141:142]
	s_waitcnt vmcnt(56)
	v_fma_f64 v[197:198], v[131:132], v[212:213], -v[197:198]
	v_add_f64 v[137:138], v[137:138], v[155:156]
	v_fma_f64 v[155:156], v[133:134], v[212:213], v[199:200]
	v_add_f64 v[135:136], v[135:136], v[149:150]
	s_clause 0x2
	buffer_load_dword v204, off, s[0:3], 0 offset:700
	buffer_load_dword v150, off, s[0:3], 0 offset:676
	;; [unrolled: 1-line block ×3, first 2 shown]
	ds_read_b128 v[131:134], v192 offset:1440
	s_waitcnt vmcnt(58) lgkmcnt(1)
	v_mul_f64 v[199:200], v[1:2], v[159:160]
	v_mul_f64 v[159:160], v[3:4], v[159:160]
	s_waitcnt vmcnt(56)
	v_fma_f64 v[141:142], v[5:6], v[147:148], -v[141:142]
	v_fma_f64 v[147:148], v[7:8], v[147:148], v[210:211]
	v_add_f64 v[137:138], v[137:138], v[197:198]
	v_add_f64 v[135:136], v[135:136], v[155:156]
	s_clause 0x4
	buffer_load_dword v156, off, s[0:3], 0 offset:716
	buffer_load_dword v197, off, s[0:3], 0 offset:728
	;; [unrolled: 1-line block ×5, first 2 shown]
	ds_read_b128 v[5:8], v192 offset:1456
	s_waitcnt vmcnt(57) lgkmcnt(1)
	v_mul_f64 v[212:213], v[131:132], v[145:146]
	v_mul_f64 v[145:146], v[133:134], v[145:146]
	s_waitcnt vmcnt(56)
	v_fma_f64 v[159:160], v[1:2], v[207:208], -v[159:160]
	v_add_f64 v[137:138], v[137:138], v[141:142]
	v_fma_f64 v[141:142], v[3:4], v[207:208], v[199:200]
	v_add_f64 v[135:136], v[135:136], v[147:148]
	s_clause 0x2
	buffer_load_dword v198, off, s[0:3], 0 offset:732
	buffer_load_dword v148, off, s[0:3], 0 offset:708
	;; [unrolled: 1-line block ×3, first 2 shown]
	s_waitcnt vmcnt(58) lgkmcnt(0)
	v_mul_f64 v[199:200], v[5:6], v[167:168]
	v_mul_f64 v[167:168], v[7:8], v[167:168]
	ds_read_b128 v[1:4], v192 offset:1472
	s_waitcnt vmcnt(56)
	v_fma_f64 v[145:146], v[131:132], v[153:154], -v[145:146]
	v_fma_f64 v[153:154], v[133:134], v[153:154], v[212:213]
	v_add_f64 v[137:138], v[137:138], v[159:160]
	v_add_f64 v[135:136], v[135:136], v[141:142]
	s_clause 0x4
	buffer_load_dword v142, off, s[0:3], 0 offset:748
	buffer_load_dword v159, off, s[0:3], 0 offset:760
	;; [unrolled: 1-line block ×5, first 2 shown]
	ds_read_b128 v[131:134], v192 offset:1488
	s_waitcnt vmcnt(57) lgkmcnt(1)
	v_mul_f64 v[213:214], v[1:2], v[151:152]
	v_mul_f64 v[151:152], v[3:4], v[151:152]
	s_waitcnt vmcnt(56)
	v_fma_f64 v[167:168], v[5:6], v[193:194], -v[167:168]
	v_add_f64 v[137:138], v[137:138], v[145:146]
	v_fma_f64 v[145:146], v[7:8], v[193:194], v[199:200]
	v_add_f64 v[135:136], v[135:136], v[153:154]
	s_clause 0x2
	buffer_load_dword v160, off, s[0:3], 0 offset:764
	buffer_load_dword v154, off, s[0:3], 0 offset:740
	;; [unrolled: 1-line block ×3, first 2 shown]
	s_waitcnt vmcnt(58) lgkmcnt(0)
	v_mul_f64 v[193:194], v[131:132], v[173:174]
	v_mul_f64 v[173:174], v[133:134], v[173:174]
	ds_read_b128 v[5:8], v192 offset:1504
	s_waitcnt vmcnt(56)
	v_fma_f64 v[151:152], v[1:2], v[163:164], -v[151:152]
	v_fma_f64 v[163:164], v[3:4], v[163:164], v[213:214]
	v_add_f64 v[137:138], v[137:138], v[167:168]
	v_add_f64 v[135:136], v[135:136], v[145:146]
	s_clause 0x4
	buffer_load_dword v146, off, s[0:3], 0 offset:780
	buffer_load_dword v167, off, s[0:3], 0 offset:792
	buffer_load_dword v199, off, s[0:3], 0 offset:784
	buffer_load_dword v145, off, s[0:3], 0 offset:776
	buffer_load_dword v208, off, s[0:3], 0 offset:756
	ds_read_b128 v[1:4], v192 offset:1520
	s_waitcnt vmcnt(57) lgkmcnt(1)
	v_mul_f64 v[213:214], v[5:6], v[157:158]
	v_mul_f64 v[157:158], v[7:8], v[157:158]
	s_waitcnt vmcnt(56)
	v_fma_f64 v[173:174], v[131:132], v[175:176], -v[173:174]
	v_add_f64 v[137:138], v[137:138], v[151:152]
	v_fma_f64 v[151:152], v[133:134], v[175:176], v[193:194]
	v_add_f64 v[135:136], v[135:136], v[163:164]
	s_clause 0x2
	buffer_load_dword v168, off, s[0:3], 0 offset:796
	buffer_load_dword v164, off, s[0:3], 0 offset:772
	buffer_load_dword v163, off, s[0:3], 0 offset:768
	ds_read_b128 v[131:134], v192 offset:1536
	s_waitcnt vmcnt(58) lgkmcnt(1)
	v_mul_f64 v[175:176], v[1:2], v[181:182]
	v_mul_f64 v[181:182], v[3:4], v[181:182]
	s_waitcnt vmcnt(56)
	v_fma_f64 v[157:158], v[5:6], v[161:162], -v[157:158]
	v_fma_f64 v[161:162], v[7:8], v[161:162], v[213:214]
	v_add_f64 v[137:138], v[137:138], v[173:174]
	v_add_f64 v[135:136], v[135:136], v[151:152]
	s_clause 0x4
	buffer_load_dword v152, off, s[0:3], 0 offset:812
	buffer_load_dword v173, off, s[0:3], 0 offset:824
	buffer_load_dword v193, off, s[0:3], 0 offset:816
	buffer_load_dword v151, off, s[0:3], 0 offset:808
	buffer_load_dword v200, off, s[0:3], 0 offset:788
	ds_read_b128 v[5:8], v192 offset:1552
	s_waitcnt vmcnt(57) lgkmcnt(1)
	v_mul_f64 v[213:214], v[131:132], v[165:166]
	v_mul_f64 v[165:166], v[133:134], v[165:166]
	s_waitcnt vmcnt(56)
	v_fma_f64 v[181:182], v[1:2], v[183:184], -v[181:182]
	v_add_f64 v[137:138], v[137:138], v[157:158]
	v_fma_f64 v[157:158], v[3:4], v[183:184], v[175:176]
	v_add_f64 v[135:136], v[135:136], v[161:162]
	s_clause 0x2
	buffer_load_dword v174, off, s[0:3], 0 offset:828
	buffer_load_dword v162, off, s[0:3], 0 offset:804
	buffer_load_dword v161, off, s[0:3], 0 offset:800
	ds_read_b128 v[1:4], v192 offset:1568
	s_waitcnt vmcnt(58) lgkmcnt(1)
	v_mul_f64 v[183:184], v[7:8], v[187:188]
	v_mul_f64 v[175:176], v[5:6], v[187:188]
	;; [unrolled: 28-line block ×4, first 2 shown]
	s_waitcnt vmcnt(56)
	v_fma_f64 v[179:180], v[5:6], v[185:186], -v[179:180]
	v_add_f64 v[137:138], v[137:138], v[177:178]
	v_fma_f64 v[177:178], v[7:8], v[185:186], v[213:214]
	v_add_f64 v[135:136], v[135:136], v[171:172]
	s_clause 0x4
	buffer_load_dword v172, off, s[0:3], 0 offset:908
	buffer_load_dword v185, off, s[0:3], 0 offset:920
	;; [unrolled: 1-line block ×5, first 2 shown]
	ds_read_b128 v[5:8], v192 offset:1648
	s_waitcnt vmcnt(57) lgkmcnt(1)
	v_mul_f64 v[213:214], v[131:132], v[143:144]
	v_mul_f64 v[143:144], v[133:134], v[143:144]
	s_waitcnt vmcnt(56)
	v_fma_f64 v[195:196], v[1:2], v[205:206], -v[195:196]
	v_fma_f64 v[175:176], v[3:4], v[205:206], v[175:176]
	v_add_f64 v[137:138], v[137:138], v[179:180]
	v_add_f64 v[135:136], v[135:136], v[177:178]
	s_clause 0x2
	buffer_load_dword v186, off, s[0:3], 0 offset:924
	buffer_load_dword v178, off, s[0:3], 0 offset:900
	;; [unrolled: 1-line block ×3, first 2 shown]
	ds_read_b128 v[1:4], v192 offset:1664
	s_waitcnt vmcnt(58) lgkmcnt(1)
	v_mul_f64 v[179:180], v[5:6], v[203:204]
	v_mul_f64 v[203:204], v[7:8], v[203:204]
	s_waitcnt vmcnt(56)
	v_fma_f64 v[143:144], v[131:132], v[149:150], -v[143:144]
	v_fma_f64 v[149:150], v[133:134], v[149:150], v[213:214]
	v_add_f64 v[137:138], v[137:138], v[195:196]
	v_add_f64 v[135:136], v[135:136], v[175:176]
	s_clause 0x4
	buffer_load_dword v176, off, s[0:3], 0 offset:940
	buffer_load_dword v195, off, s[0:3], 0 offset:952
	;; [unrolled: 1-line block ×5, first 2 shown]
	ds_read_b128 v[131:134], v192 offset:1680
	s_waitcnt vmcnt(57) lgkmcnt(1)
	v_mul_f64 v[213:214], v[1:2], v[155:156]
	v_mul_f64 v[155:156], v[3:4], v[155:156]
	s_waitcnt vmcnt(56)
	v_fma_f64 v[203:204], v[5:6], v[209:210], -v[203:204]
	v_add_f64 v[137:138], v[137:138], v[143:144]
	v_fma_f64 v[143:144], v[7:8], v[209:210], v[179:180]
	v_add_f64 v[135:136], v[135:136], v[149:150]
	s_clause 0x2
	buffer_load_dword v196, off, s[0:3], 0 offset:956
	buffer_load_dword v150, off, s[0:3], 0 offset:932
	buffer_load_dword v149, off, s[0:3], 0 offset:928
	ds_read_b128 v[5:8], v192 offset:1696
	s_waitcnt vmcnt(58) lgkmcnt(1)
	v_mul_f64 v[179:180], v[131:132], v[197:198]
	v_mul_f64 v[197:198], v[133:134], v[197:198]
	s_waitcnt vmcnt(56)
	v_fma_f64 v[155:156], v[1:2], v[147:148], -v[155:156]
	v_fma_f64 v[147:148], v[3:4], v[147:148], v[213:214]
	v_add_f64 v[137:138], v[137:138], v[203:204]
	v_add_f64 v[135:136], v[135:136], v[143:144]
	s_clause 0x4
	buffer_load_dword v144, off, s[0:3], 0 offset:972
	buffer_load_dword v203, off, s[0:3], 0 offset:984
	buffer_load_dword v209, off, s[0:3], 0 offset:976
	buffer_load_dword v143, off, s[0:3], 0 offset:968
	buffer_load_dword v206, off, s[0:3], 0 offset:948
	ds_read_b128 v[1:4], v192 offset:1712
	s_waitcnt vmcnt(57) lgkmcnt(1)
	v_mul_f64 v[213:214], v[5:6], v[141:142]
	v_mul_f64 v[141:142], v[7:8], v[141:142]
	s_waitcnt vmcnt(56)
	v_fma_f64 v[197:198], v[131:132], v[211:212], -v[197:198]
	v_add_f64 v[137:138], v[137:138], v[155:156]
	v_fma_f64 v[155:156], v[133:134], v[211:212], v[179:180]
	v_add_f64 v[135:136], v[135:136], v[147:148]
	s_clause 0x2
	buffer_load_dword v204, off, s[0:3], 0 offset:988
	buffer_load_dword v148, off, s[0:3], 0 offset:964
	;; [unrolled: 1-line block ×3, first 2 shown]
	ds_read_b128 v[131:134], v192 offset:1728
	buffer_load_dword v210, off, s[0:3], 0 offset:980
	s_waitcnt vmcnt(59) lgkmcnt(1)
	v_mul_f64 v[179:180], v[1:2], v[159:160]
	v_mul_f64 v[159:160], v[3:4], v[159:160]
	s_waitcnt vmcnt(57)
	v_fma_f64 v[141:142], v[5:6], v[153:154], -v[141:142]
	v_fma_f64 v[153:154], v[7:8], v[153:154], v[213:214]
	ds_read_b128 v[5:8], v192 offset:1744
	v_add_f64 v[137:138], v[137:138], v[197:198]
	v_add_f64 v[135:136], v[135:136], v[155:156]
	s_waitcnt vmcnt(53) lgkmcnt(1)
	v_mul_f64 v[155:156], v[131:132], v[145:146]
	v_mul_f64 v[145:146], v[133:134], v[145:146]
	s_waitcnt vmcnt(52)
	v_fma_f64 v[159:160], v[1:2], v[207:208], -v[159:160]
	v_add_f64 v[137:138], v[137:138], v[141:142]
	v_fma_f64 v[141:142], v[3:4], v[207:208], v[179:180]
	v_add_f64 v[135:136], v[135:136], v[153:154]
	ds_read_b128 v[1:4], v192 offset:1760
	s_waitcnt vmcnt(51) lgkmcnt(1)
	v_mul_f64 v[153:154], v[5:6], v[167:168]
	v_mul_f64 v[167:168], v[7:8], v[167:168]
	s_waitcnt vmcnt(49)
	v_fma_f64 v[145:146], v[131:132], v[163:164], -v[145:146]
	v_fma_f64 v[155:156], v[133:134], v[163:164], v[155:156]
	v_add_f64 v[137:138], v[137:138], v[159:160]
	v_add_f64 v[135:136], v[135:136], v[141:142]
	s_clause 0x3
	buffer_load_dword v141, off, s[0:3], 0 offset:96
	buffer_load_dword v142, off, s[0:3], 0 offset:100
	buffer_load_dword v159, off, s[0:3], 0 offset:104
	buffer_load_dword v160, off, s[0:3], 0 offset:108
	ds_read_b128 v[131:134], v192 offset:1776
	s_waitcnt vmcnt(49) lgkmcnt(1)
	v_mul_f64 v[163:164], v[1:2], v[151:152]
	v_mul_f64 v[151:152], v[3:4], v[151:152]
	s_waitcnt vmcnt(48)
	v_fma_f64 v[167:168], v[5:6], v[199:200], -v[167:168]
	v_add_f64 v[137:138], v[137:138], v[145:146]
	v_fma_f64 v[145:146], v[7:8], v[199:200], v[153:154]
	v_add_f64 v[135:136], v[135:136], v[155:156]
	ds_read_b128 v[5:8], v192 offset:1792
	s_waitcnt vmcnt(47) lgkmcnt(1)
	v_mul_f64 v[155:156], v[133:134], v[173:174]
	v_mul_f64 v[153:154], v[131:132], v[173:174]
	s_waitcnt vmcnt(45)
	v_fma_f64 v[151:152], v[1:2], v[161:162], -v[151:152]
	v_fma_f64 v[161:162], v[3:4], v[161:162], v[163:164]
	ds_read_b128 v[1:4], v192 offset:1808
	v_add_f64 v[137:138], v[137:138], v[167:168]
	v_add_f64 v[135:136], v[135:136], v[145:146]
	s_waitcnt vmcnt(41) lgkmcnt(1)
	v_mul_f64 v[145:146], v[5:6], v[157:158]
	v_mul_f64 v[157:158], v[7:8], v[157:158]
	s_waitcnt vmcnt(40)
	v_fma_f64 v[155:156], v[131:132], v[193:194], -v[155:156]
	v_add_f64 v[137:138], v[137:138], v[151:152]
	v_fma_f64 v[151:152], v[133:134], v[193:194], v[153:154]
	v_add_f64 v[135:136], v[135:136], v[161:162]
	ds_read_b128 v[131:134], v192 offset:1824
	s_waitcnt vmcnt(39) lgkmcnt(1)
	v_mul_f64 v[161:162], v[3:4], v[181:182]
	v_mul_f64 v[153:154], v[1:2], v[181:182]
	s_waitcnt vmcnt(37)
	v_fma_f64 v[157:158], v[5:6], v[169:170], -v[157:158]
	v_fma_f64 v[145:146], v[7:8], v[169:170], v[145:146]
	ds_read_b128 v[5:8], v192 offset:1840
	v_add_f64 v[137:138], v[137:138], v[155:156]
	v_add_f64 v[135:136], v[135:136], v[151:152]
	s_waitcnt vmcnt(33) lgkmcnt(1)
	v_mul_f64 v[155:156], v[133:134], v[165:166]
	s_waitcnt vmcnt(32)
	v_fma_f64 v[161:162], v[1:2], v[187:188], -v[161:162]
	v_mul_f64 v[151:152], v[131:132], v[165:166]
	v_fma_f64 v[153:154], v[3:4], v[187:188], v[153:154]
	ds_read_b128 v[1:4], v192 offset:1856
	v_add_f64 v[137:138], v[137:138], v[157:158]
	v_add_f64 v[135:136], v[135:136], v[145:146]
	s_waitcnt vmcnt(31) lgkmcnt(1)
	v_mul_f64 v[157:158], v[7:8], v[183:184]
	v_mul_f64 v[145:146], v[5:6], v[183:184]
	s_waitcnt vmcnt(29)
	v_fma_f64 v[155:156], v[131:132], v[139:140], -v[155:156]
	v_fma_f64 v[139:140], v[133:134], v[139:140], v[151:152]
	ds_read_b128 v[131:134], v192 offset:1872
	v_add_f64 v[137:138], v[137:138], v[161:162]
	v_add_f64 v[135:136], v[135:136], v[153:154]
	s_waitcnt vmcnt(25) lgkmcnt(1)
	v_mul_f64 v[153:154], v[3:4], v[171:172]
	s_waitcnt vmcnt(24)
	v_fma_f64 v[157:158], v[5:6], v[189:190], -v[157:158]
	v_mul_f64 v[151:152], v[1:2], v[171:172]
	v_fma_f64 v[145:146], v[7:8], v[189:190], v[145:146]
	ds_read_b128 v[5:8], v192 offset:1888
	v_add_f64 v[137:138], v[137:138], v[155:156]
	v_add_f64 v[135:136], v[135:136], v[139:140]
	s_waitcnt vmcnt(23) lgkmcnt(1)
	v_mul_f64 v[155:156], v[133:134], v[185:186]
	v_mul_f64 v[139:140], v[131:132], v[185:186]
	s_waitcnt vmcnt(21)
	v_fma_f64 v[153:154], v[1:2], v[177:178], -v[153:154]
	v_fma_f64 v[151:152], v[3:4], v[177:178], v[151:152]
	ds_read_b128 v[1:4], v192 offset:1904
	v_add_f64 v[137:138], v[137:138], v[157:158]
	v_add_f64 v[135:136], v[135:136], v[145:146]
	s_waitcnt vmcnt(17) lgkmcnt(1)
	v_mul_f64 v[157:158], v[7:8], v[175:176]
	s_waitcnt vmcnt(16)
	v_fma_f64 v[155:156], v[131:132], v[201:202], -v[155:156]
	v_mul_f64 v[145:146], v[5:6], v[175:176]
	v_fma_f64 v[139:140], v[133:134], v[201:202], v[139:140]
	ds_read_b128 v[131:134], v192 offset:1920
	v_add_f64 v[137:138], v[137:138], v[153:154]
	v_add_f64 v[135:136], v[135:136], v[151:152]
	s_waitcnt vmcnt(15) lgkmcnt(1)
	v_mul_f64 v[153:154], v[3:4], v[195:196]
	v_mul_f64 v[151:152], v[1:2], v[195:196]
	s_waitcnt vmcnt(13)
	v_fma_f64 v[157:158], v[5:6], v[149:150], -v[157:158]
	v_fma_f64 v[145:146], v[7:8], v[149:150], v[145:146]
	ds_read_b128 v[5:8], v192 offset:1936
	v_add_f64 v[137:138], v[137:138], v[155:156]
	v_add_f64 v[135:136], v[135:136], v[139:140]
	s_waitcnt vmcnt(9) lgkmcnt(1)
	v_mul_f64 v[139:140], v[131:132], v[143:144]
	v_mul_f64 v[143:144], v[133:134], v[143:144]
	s_waitcnt vmcnt(8)
	v_fma_f64 v[1:2], v[1:2], v[205:206], -v[153:154]
	v_fma_f64 v[3:4], v[3:4], v[205:206], v[151:152]
	v_add_f64 v[137:138], v[137:138], v[157:158]
	v_add_f64 v[135:136], v[135:136], v[145:146]
	s_waitcnt vmcnt(7) lgkmcnt(0)
	v_mul_f64 v[149:150], v[7:8], v[203:204]
	v_mul_f64 v[145:146], v[5:6], v[203:204]
	s_waitcnt vmcnt(5)
	v_fma_f64 v[131:132], v[131:132], v[147:148], -v[143:144]
	v_fma_f64 v[133:134], v[133:134], v[147:148], v[139:140]
	v_add_f64 v[1:2], v[137:138], v[1:2]
	v_add_f64 v[3:4], v[135:136], v[3:4]
	s_waitcnt vmcnt(4)
	v_fma_f64 v[5:6], v[5:6], v[209:210], -v[149:150]
	v_fma_f64 v[7:8], v[7:8], v[209:210], v[145:146]
	v_add_f64 v[1:2], v[1:2], v[131:132]
	v_add_f64 v[3:4], v[3:4], v[133:134]
	;; [unrolled: 1-line block ×4, first 2 shown]
	s_waitcnt vmcnt(2)
	v_add_f64 v[1:2], v[141:142], -v[1:2]
	s_waitcnt vmcnt(0)
	v_add_f64 v[3:4], v[159:160], -v[3:4]
	buffer_store_dword v2, off, s[0:3], 0 offset:100
	buffer_store_dword v1, off, s[0:3], 0 offset:96
	;; [unrolled: 1-line block ×4, first 2 shown]
	v_cmpx_lt_u32_e32 4, v0
	s_cbranch_execz .LBB124_383
; %bb.382:
	v_mov_b32_e32 v4, s71
	s_clause 0x3
	buffer_load_dword v1, v4, s[0:3], 0 offen
	buffer_load_dword v2, v4, s[0:3], 0 offen offset:4
	buffer_load_dword v3, v4, s[0:3], 0 offen offset:8
	buffer_load_dword v4, v4, s[0:3], 0 offen offset:12
	buffer_store_dword v192, off, s[0:3], 0 offset:80
	buffer_store_dword v192, off, s[0:3], 0 offset:84
	;; [unrolled: 1-line block ×4, first 2 shown]
	s_waitcnt vmcnt(0)
	ds_write_b128 v191, v[1:4]
.LBB124_383:
	s_or_b32 exec_lo, exec_lo, s4
	s_waitcnt lgkmcnt(0)
	s_waitcnt_vscnt null, 0x0
	s_barrier
	buffer_gl0_inv
	s_clause 0x37
	buffer_load_dword v139, off, s[0:3], 0 offset:104
	buffer_load_dword v140, off, s[0:3], 0 offset:108
	;; [unrolled: 1-line block ×56, first 2 shown]
	ds_read_b128 v[5:8], v192 offset:1056
	s_clause 0x2
	buffer_load_dword v188, off, s[0:3], 0 offset:332
	buffer_load_dword v190, off, s[0:3], 0 offset:308
	;; [unrolled: 1-line block ×3, first 2 shown]
	ds_read_b128 v[1:4], v192 offset:1072
	s_clause 0x4
	buffer_load_dword v200, off, s[0:3], 0 offset:348
	buffer_load_dword v201, off, s[0:3], 0 offset:360
	;; [unrolled: 1-line block ×5, first 2 shown]
	ds_read_b128 v[193:196], v192 offset:1088
	s_mov_b32 s4, exec_lo
	s_waitcnt vmcnt(62) lgkmcnt(2)
	v_mul_f64 v[197:198], v[7:8], v[139:140]
	v_mul_f64 v[139:140], v[5:6], v[139:140]
	s_waitcnt vmcnt(60) lgkmcnt(1)
	v_mul_f64 v[204:205], v[3:4], v[135:136]
	v_mul_f64 v[135:136], v[1:2], v[135:136]
	;; [unrolled: 3-line block ×3, first 2 shown]
	v_fma_f64 v[197:198], v[5:6], v[137:138], -v[197:198]
	v_fma_f64 v[137:138], v[7:8], v[137:138], v[139:140]
	s_clause 0x2
	buffer_load_dword v202, off, s[0:3], 0 offset:364
	buffer_load_dword v140, off, s[0:3], 0 offset:340
	;; [unrolled: 1-line block ×3, first 2 shown]
	s_waitcnt vmcnt(57)
	v_fma_f64 v[208:209], v[1:2], v[131:132], -v[204:205]
	ds_read_b128 v[5:8], v192 offset:1104
	v_fma_f64 v[131:132], v[3:4], v[131:132], v[135:136]
	s_waitcnt vmcnt(51)
	v_fma_f64 v[193:194], v[193:194], v[155:156], -v[133:134]
	v_fma_f64 v[155:156], v[195:196], v[155:156], v[206:207]
	v_add_f64 v[197:198], v[197:198], 0
	v_add_f64 v[135:136], v[137:138], 0
	s_clause 0x4
	buffer_load_dword v138, off, s[0:3], 0 offset:380
	buffer_load_dword v205, off, s[0:3], 0 offset:392
	;; [unrolled: 1-line block ×5, first 2 shown]
	s_waitcnt lgkmcnt(0)
	v_mul_f64 v[211:212], v[5:6], v[143:144]
	v_mul_f64 v[143:144], v[7:8], v[143:144]
	ds_read_b128 v[1:4], v192 offset:1120
	s_clause 0x2
	buffer_load_dword v206, off, s[0:3], 0 offset:396
	buffer_load_dword v196, off, s[0:3], 0 offset:372
	;; [unrolled: 1-line block ×3, first 2 shown]
	v_add_f64 v[197:198], v[197:198], v[208:209]
	v_add_f64 v[135:136], v[135:136], v[131:132]
	ds_read_b128 v[131:134], v192 offset:1136
	s_waitcnt vmcnt(58) lgkmcnt(1)
	v_mul_f64 v[207:208], v[1:2], v[147:148]
	v_mul_f64 v[147:148], v[3:4], v[147:148]
	s_waitcnt vmcnt(56)
	v_fma_f64 v[143:144], v[5:6], v[149:150], -v[143:144]
	v_fma_f64 v[149:150], v[7:8], v[149:150], v[211:212]
	s_waitcnt vmcnt(52) lgkmcnt(0)
	v_mul_f64 v[213:214], v[131:132], v[151:152]
	v_add_f64 v[193:194], v[197:198], v[193:194]
	v_add_f64 v[135:136], v[135:136], v[155:156]
	s_clause 0x4
	buffer_load_dword v156, off, s[0:3], 0 offset:412
	buffer_load_dword v197, off, s[0:3], 0 offset:424
	;; [unrolled: 1-line block ×5, first 2 shown]
	v_mul_f64 v[151:152], v[133:134], v[151:152]
	s_waitcnt vmcnt(56)
	v_fma_f64 v[147:148], v[1:2], v[141:142], -v[147:148]
	ds_read_b128 v[5:8], v192 offset:1152
	v_fma_f64 v[141:142], v[3:4], v[141:142], v[207:208]
	v_add_f64 v[143:144], v[193:194], v[143:144]
	v_add_f64 v[135:136], v[135:136], v[149:150]
	s_clause 0x2
	buffer_load_dword v198, off, s[0:3], 0 offset:428
	buffer_load_dword v150, off, s[0:3], 0 offset:404
	;; [unrolled: 1-line block ×3, first 2 shown]
	s_waitcnt vmcnt(58) lgkmcnt(0)
	v_mul_f64 v[193:194], v[5:6], v[157:158]
	v_mul_f64 v[157:158], v[7:8], v[157:158]
	s_waitcnt vmcnt(56)
	v_fma_f64 v[151:152], v[131:132], v[159:160], -v[151:152]
	ds_read_b128 v[1:4], v192 offset:1168
	v_add_f64 v[143:144], v[143:144], v[147:148]
	v_fma_f64 v[147:148], v[133:134], v[159:160], v[213:214]
	v_add_f64 v[135:136], v[135:136], v[141:142]
	s_clause 0x4
	buffer_load_dword v142, off, s[0:3], 0 offset:444
	buffer_load_dword v159, off, s[0:3], 0 offset:456
	;; [unrolled: 1-line block ×5, first 2 shown]
	s_waitcnt vmcnt(57) lgkmcnt(0)
	v_mul_f64 v[208:209], v[1:2], v[161:162]
	v_mul_f64 v[161:162], v[3:4], v[161:162]
	s_waitcnt vmcnt(56)
	v_fma_f64 v[157:158], v[5:6], v[145:146], -v[157:158]
	ds_read_b128 v[131:134], v192 offset:1184
	v_fma_f64 v[145:146], v[7:8], v[145:146], v[193:194]
	v_add_f64 v[143:144], v[143:144], v[151:152]
	v_add_f64 v[135:136], v[135:136], v[147:148]
	s_clause 0x2
	buffer_load_dword v160, off, s[0:3], 0 offset:460
	buffer_load_dword v148, off, s[0:3], 0 offset:436
	buffer_load_dword v147, off, s[0:3], 0 offset:432
	ds_read_b128 v[5:8], v192 offset:1200
	s_waitcnt vmcnt(58) lgkmcnt(1)
	v_mul_f64 v[151:152], v[131:132], v[165:166]
	v_mul_f64 v[165:166], v[133:134], v[165:166]
	s_waitcnt vmcnt(56)
	v_fma_f64 v[161:162], v[1:2], v[167:168], -v[161:162]
	v_add_f64 v[143:144], v[143:144], v[157:158]
	v_fma_f64 v[157:158], v[3:4], v[167:168], v[208:209]
	v_add_f64 v[135:136], v[135:136], v[145:146]
	s_clause 0x4
	buffer_load_dword v146, off, s[0:3], 0 offset:476
	buffer_load_dword v167, off, s[0:3], 0 offset:488
	buffer_load_dword v193, off, s[0:3], 0 offset:480
	buffer_load_dword v145, off, s[0:3], 0 offset:472
	buffer_load_dword v208, off, s[0:3], 0 offset:452
	s_waitcnt vmcnt(57) lgkmcnt(0)
	v_mul_f64 v[214:215], v[5:6], v[169:170]
	v_mul_f64 v[169:170], v[7:8], v[169:170]
	s_waitcnt vmcnt(56)
	v_fma_f64 v[165:166], v[131:132], v[153:154], -v[165:166]
	ds_read_b128 v[1:4], v192 offset:1216
	v_fma_f64 v[151:152], v[133:134], v[153:154], v[151:152]
	s_clause 0x2
	buffer_load_dword v168, off, s[0:3], 0 offset:492
	buffer_load_dword v154, off, s[0:3], 0 offset:468
	;; [unrolled: 1-line block ×3, first 2 shown]
	ds_read_b128 v[131:134], v192 offset:1232
	v_add_f64 v[143:144], v[143:144], v[161:162]
	v_add_f64 v[135:136], v[135:136], v[157:158]
	s_waitcnt vmcnt(58) lgkmcnt(1)
	v_mul_f64 v[161:162], v[3:4], v[173:174]
	s_waitcnt vmcnt(56)
	v_fma_f64 v[169:170], v[5:6], v[175:176], -v[169:170]
	v_mul_f64 v[157:158], v[1:2], v[173:174]
	v_add_f64 v[143:144], v[143:144], v[165:166]
	v_fma_f64 v[165:166], v[7:8], v[175:176], v[214:215]
	v_add_f64 v[135:136], v[135:136], v[151:152]
	s_clause 0x4
	buffer_load_dword v152, off, s[0:3], 0 offset:508
	buffer_load_dword v173, off, s[0:3], 0 offset:520
	;; [unrolled: 1-line block ×5, first 2 shown]
	s_waitcnt vmcnt(57) lgkmcnt(0)
	v_mul_f64 v[214:215], v[131:132], v[177:178]
	v_mul_f64 v[176:177], v[133:134], v[177:178]
	s_waitcnt vmcnt(56)
	v_fma_f64 v[161:162], v[1:2], v[163:164], -v[161:162]
	ds_read_b128 v[5:8], v192 offset:1248
	v_fma_f64 v[157:158], v[3:4], v[163:164], v[157:158]
	s_clause 0x2
	buffer_load_dword v174, off, s[0:3], 0 offset:524
	buffer_load_dword v164, off, s[0:3], 0 offset:500
	buffer_load_dword v163, off, s[0:3], 0 offset:496
	ds_read_b128 v[1:4], v192 offset:1264
	v_add_f64 v[143:144], v[143:144], v[169:170]
	v_add_f64 v[135:136], v[135:136], v[165:166]
	s_waitcnt vmcnt(58) lgkmcnt(1)
	v_mul_f64 v[169:170], v[7:8], v[181:182]
	s_waitcnt vmcnt(56)
	v_fma_f64 v[177:178], v[131:132], v[183:184], -v[176:177]
	v_mul_f64 v[165:166], v[5:6], v[181:182]
	v_add_f64 v[143:144], v[143:144], v[161:162]
	v_fma_f64 v[161:162], v[133:134], v[183:184], v[214:215]
	v_add_f64 v[135:136], v[135:136], v[157:158]
	s_clause 0x4
	buffer_load_dword v158, off, s[0:3], 0 offset:540
	buffer_load_dword v181, off, s[0:3], 0 offset:552
	;; [unrolled: 1-line block ×5, first 2 shown]
	s_waitcnt vmcnt(57) lgkmcnt(0)
	v_mul_f64 v[214:215], v[1:2], v[185:186]
	v_mul_f64 v[184:185], v[3:4], v[185:186]
	s_waitcnt vmcnt(56)
	v_fma_f64 v[169:170], v[5:6], v[171:172], -v[169:170]
	ds_read_b128 v[131:134], v192 offset:1280
	v_fma_f64 v[165:166], v[7:8], v[171:172], v[165:166]
	v_add_f64 v[143:144], v[143:144], v[177:178]
	v_add_f64 v[135:136], v[135:136], v[161:162]
	s_clause 0x2
	buffer_load_dword v182, off, s[0:3], 0 offset:556
	buffer_load_dword v162, off, s[0:3], 0 offset:532
	;; [unrolled: 1-line block ×3, first 2 shown]
	ds_read_b128 v[5:8], v192 offset:1296
	s_waitcnt vmcnt(58) lgkmcnt(1)
	v_mul_f64 v[177:178], v[133:134], v[187:188]
	s_waitcnt vmcnt(56)
	v_fma_f64 v[185:186], v[1:2], v[189:190], -v[184:185]
	v_mul_f64 v[171:172], v[131:132], v[187:188]
	v_add_f64 v[143:144], v[143:144], v[169:170]
	v_fma_f64 v[169:170], v[3:4], v[189:190], v[214:215]
	v_add_f64 v[135:136], v[135:136], v[165:166]
	s_clause 0x4
	buffer_load_dword v166, off, s[0:3], 0 offset:572
	buffer_load_dword v187, off, s[0:3], 0 offset:584
	;; [unrolled: 1-line block ×5, first 2 shown]
	s_waitcnt vmcnt(57) lgkmcnt(0)
	v_mul_f64 v[214:215], v[5:6], v[199:200]
	v_mul_f64 v[199:200], v[7:8], v[199:200]
	s_waitcnt vmcnt(56)
	v_fma_f64 v[177:178], v[131:132], v[179:180], -v[177:178]
	ds_read_b128 v[1:4], v192 offset:1312
	v_fma_f64 v[171:172], v[133:134], v[179:180], v[171:172]
	v_add_f64 v[143:144], v[143:144], v[185:186]
	v_add_f64 v[135:136], v[135:136], v[169:170]
	s_clause 0x2
	buffer_load_dword v188, off, s[0:3], 0 offset:588
	buffer_load_dword v170, off, s[0:3], 0 offset:564
	;; [unrolled: 1-line block ×3, first 2 shown]
	ds_read_b128 v[131:134], v192 offset:1328
	s_waitcnt vmcnt(58) lgkmcnt(1)
	v_mul_f64 v[185:186], v[3:4], v[201:202]
	v_mul_f64 v[179:180], v[1:2], v[201:202]
	s_waitcnt vmcnt(56)
	v_fma_f64 v[199:200], v[5:6], v[139:140], -v[199:200]
	v_fma_f64 v[139:140], v[7:8], v[139:140], v[214:215]
	v_add_f64 v[143:144], v[143:144], v[177:178]
	v_add_f64 v[135:136], v[135:136], v[171:172]
	s_clause 0x4
	buffer_load_dword v172, off, s[0:3], 0 offset:604
	buffer_load_dword v177, off, s[0:3], 0 offset:616
	;; [unrolled: 1-line block ×5, first 2 shown]
	ds_read_b128 v[5:8], v192 offset:1344
	s_waitcnt vmcnt(57) lgkmcnt(1)
	v_mul_f64 v[214:215], v[131:132], v[137:138]
	v_mul_f64 v[137:138], v[133:134], v[137:138]
	s_waitcnt vmcnt(56)
	v_fma_f64 v[185:186], v[1:2], v[203:204], -v[185:186]
	v_fma_f64 v[179:180], v[3:4], v[203:204], v[179:180]
	v_add_f64 v[143:144], v[143:144], v[199:200]
	v_add_f64 v[135:136], v[135:136], v[139:140]
	s_clause 0x2
	buffer_load_dword v178, off, s[0:3], 0 offset:620
	buffer_load_dword v140, off, s[0:3], 0 offset:596
	;; [unrolled: 1-line block ×3, first 2 shown]
	s_waitcnt vmcnt(58) lgkmcnt(0)
	v_mul_f64 v[203:204], v[7:8], v[205:206]
	ds_read_b128 v[1:4], v192 offset:1360
	v_mul_f64 v[199:200], v[5:6], v[205:206]
	s_waitcnt vmcnt(56)
	v_fma_f64 v[137:138], v[131:132], v[195:196], -v[137:138]
	v_add_f64 v[143:144], v[143:144], v[185:186]
	v_fma_f64 v[185:186], v[133:134], v[195:196], v[214:215]
	v_add_f64 v[135:136], v[135:136], v[179:180]
	s_clause 0x4
	buffer_load_dword v180, off, s[0:3], 0 offset:636
	buffer_load_dword v195, off, s[0:3], 0 offset:648
	;; [unrolled: 1-line block ×5, first 2 shown]
	ds_read_b128 v[131:134], v192 offset:1376
	s_waitcnt vmcnt(57) lgkmcnt(1)
	v_mul_f64 v[214:215], v[1:2], v[155:156]
	v_mul_f64 v[155:156], v[3:4], v[155:156]
	s_waitcnt vmcnt(56)
	v_fma_f64 v[203:204], v[5:6], v[210:211], -v[203:204]
	v_add_f64 v[137:138], v[143:144], v[137:138]
	v_fma_f64 v[143:144], v[7:8], v[210:211], v[199:200]
	v_add_f64 v[135:136], v[135:136], v[185:186]
	s_clause 0x2
	buffer_load_dword v196, off, s[0:3], 0 offset:652
	buffer_load_dword v186, off, s[0:3], 0 offset:628
	buffer_load_dword v185, off, s[0:3], 0 offset:624
	ds_read_b128 v[5:8], v192 offset:1392
	s_waitcnt vmcnt(58) lgkmcnt(1)
	v_mul_f64 v[199:200], v[131:132], v[197:198]
	v_mul_f64 v[197:198], v[133:134], v[197:198]
	s_waitcnt vmcnt(56)
	v_fma_f64 v[155:156], v[1:2], v[149:150], -v[155:156]
	v_fma_f64 v[149:150], v[3:4], v[149:150], v[214:215]
	v_add_f64 v[137:138], v[137:138], v[203:204]
	v_add_f64 v[135:136], v[135:136], v[143:144]
	s_clause 0x4
	buffer_load_dword v144, off, s[0:3], 0 offset:668
	buffer_load_dword v203, off, s[0:3], 0 offset:680
	;; [unrolled: 1-line block ×5, first 2 shown]
	ds_read_b128 v[1:4], v192 offset:1408
	s_waitcnt vmcnt(57) lgkmcnt(1)
	v_mul_f64 v[210:211], v[5:6], v[141:142]
	v_mul_f64 v[141:142], v[7:8], v[141:142]
	s_waitcnt vmcnt(56)
	v_fma_f64 v[197:198], v[131:132], v[212:213], -v[197:198]
	v_add_f64 v[137:138], v[137:138], v[155:156]
	v_fma_f64 v[155:156], v[133:134], v[212:213], v[199:200]
	v_add_f64 v[135:136], v[135:136], v[149:150]
	s_clause 0x2
	buffer_load_dword v204, off, s[0:3], 0 offset:684
	buffer_load_dword v150, off, s[0:3], 0 offset:660
	;; [unrolled: 1-line block ×3, first 2 shown]
	ds_read_b128 v[131:134], v192 offset:1424
	s_waitcnt vmcnt(58) lgkmcnt(1)
	v_mul_f64 v[199:200], v[1:2], v[159:160]
	v_mul_f64 v[159:160], v[3:4], v[159:160]
	s_waitcnt vmcnt(56)
	v_fma_f64 v[141:142], v[5:6], v[147:148], -v[141:142]
	v_fma_f64 v[147:148], v[7:8], v[147:148], v[210:211]
	v_add_f64 v[137:138], v[137:138], v[197:198]
	v_add_f64 v[135:136], v[135:136], v[155:156]
	s_clause 0x4
	buffer_load_dword v156, off, s[0:3], 0 offset:700
	buffer_load_dword v197, off, s[0:3], 0 offset:712
	;; [unrolled: 1-line block ×5, first 2 shown]
	ds_read_b128 v[5:8], v192 offset:1440
	s_waitcnt vmcnt(57) lgkmcnt(1)
	v_mul_f64 v[212:213], v[131:132], v[145:146]
	v_mul_f64 v[145:146], v[133:134], v[145:146]
	s_waitcnt vmcnt(56)
	v_fma_f64 v[159:160], v[1:2], v[207:208], -v[159:160]
	v_add_f64 v[137:138], v[137:138], v[141:142]
	v_fma_f64 v[141:142], v[3:4], v[207:208], v[199:200]
	v_add_f64 v[135:136], v[135:136], v[147:148]
	s_clause 0x2
	buffer_load_dword v198, off, s[0:3], 0 offset:716
	buffer_load_dword v148, off, s[0:3], 0 offset:692
	buffer_load_dword v147, off, s[0:3], 0 offset:688
	s_waitcnt vmcnt(58) lgkmcnt(0)
	v_mul_f64 v[199:200], v[5:6], v[167:168]
	v_mul_f64 v[167:168], v[7:8], v[167:168]
	ds_read_b128 v[1:4], v192 offset:1456
	s_waitcnt vmcnt(56)
	v_fma_f64 v[145:146], v[131:132], v[153:154], -v[145:146]
	v_fma_f64 v[153:154], v[133:134], v[153:154], v[212:213]
	v_add_f64 v[137:138], v[137:138], v[159:160]
	v_add_f64 v[135:136], v[135:136], v[141:142]
	s_clause 0x4
	buffer_load_dword v142, off, s[0:3], 0 offset:732
	buffer_load_dword v159, off, s[0:3], 0 offset:744
	;; [unrolled: 1-line block ×5, first 2 shown]
	ds_read_b128 v[131:134], v192 offset:1472
	s_waitcnt vmcnt(57) lgkmcnt(1)
	v_mul_f64 v[213:214], v[1:2], v[151:152]
	v_mul_f64 v[151:152], v[3:4], v[151:152]
	s_waitcnt vmcnt(56)
	v_fma_f64 v[167:168], v[5:6], v[193:194], -v[167:168]
	v_add_f64 v[137:138], v[137:138], v[145:146]
	v_fma_f64 v[145:146], v[7:8], v[193:194], v[199:200]
	v_add_f64 v[135:136], v[135:136], v[153:154]
	s_clause 0x2
	buffer_load_dword v160, off, s[0:3], 0 offset:748
	buffer_load_dword v154, off, s[0:3], 0 offset:724
	;; [unrolled: 1-line block ×3, first 2 shown]
	s_waitcnt vmcnt(58) lgkmcnt(0)
	v_mul_f64 v[193:194], v[131:132], v[173:174]
	v_mul_f64 v[173:174], v[133:134], v[173:174]
	ds_read_b128 v[5:8], v192 offset:1488
	s_waitcnt vmcnt(56)
	v_fma_f64 v[151:152], v[1:2], v[163:164], -v[151:152]
	v_fma_f64 v[163:164], v[3:4], v[163:164], v[213:214]
	v_add_f64 v[137:138], v[137:138], v[167:168]
	v_add_f64 v[135:136], v[135:136], v[145:146]
	s_clause 0x4
	buffer_load_dword v146, off, s[0:3], 0 offset:764
	buffer_load_dword v167, off, s[0:3], 0 offset:776
	buffer_load_dword v199, off, s[0:3], 0 offset:768
	buffer_load_dword v145, off, s[0:3], 0 offset:760
	buffer_load_dword v208, off, s[0:3], 0 offset:740
	ds_read_b128 v[1:4], v192 offset:1504
	s_waitcnt vmcnt(57) lgkmcnt(1)
	v_mul_f64 v[213:214], v[5:6], v[157:158]
	v_mul_f64 v[157:158], v[7:8], v[157:158]
	s_waitcnt vmcnt(56)
	v_fma_f64 v[173:174], v[131:132], v[175:176], -v[173:174]
	v_add_f64 v[137:138], v[137:138], v[151:152]
	v_fma_f64 v[151:152], v[133:134], v[175:176], v[193:194]
	v_add_f64 v[135:136], v[135:136], v[163:164]
	s_clause 0x2
	buffer_load_dword v168, off, s[0:3], 0 offset:780
	buffer_load_dword v164, off, s[0:3], 0 offset:756
	buffer_load_dword v163, off, s[0:3], 0 offset:752
	ds_read_b128 v[131:134], v192 offset:1520
	s_waitcnt vmcnt(58) lgkmcnt(1)
	v_mul_f64 v[175:176], v[1:2], v[181:182]
	v_mul_f64 v[181:182], v[3:4], v[181:182]
	s_waitcnt vmcnt(56)
	v_fma_f64 v[157:158], v[5:6], v[161:162], -v[157:158]
	v_fma_f64 v[161:162], v[7:8], v[161:162], v[213:214]
	v_add_f64 v[137:138], v[137:138], v[173:174]
	v_add_f64 v[135:136], v[135:136], v[151:152]
	s_clause 0x4
	buffer_load_dword v152, off, s[0:3], 0 offset:796
	buffer_load_dword v173, off, s[0:3], 0 offset:808
	buffer_load_dword v193, off, s[0:3], 0 offset:800
	buffer_load_dword v151, off, s[0:3], 0 offset:792
	buffer_load_dword v200, off, s[0:3], 0 offset:772
	ds_read_b128 v[5:8], v192 offset:1536
	s_waitcnt vmcnt(57) lgkmcnt(1)
	v_mul_f64 v[213:214], v[131:132], v[165:166]
	v_mul_f64 v[165:166], v[133:134], v[165:166]
	s_waitcnt vmcnt(56)
	v_fma_f64 v[181:182], v[1:2], v[183:184], -v[181:182]
	v_add_f64 v[137:138], v[137:138], v[157:158]
	v_fma_f64 v[157:158], v[3:4], v[183:184], v[175:176]
	v_add_f64 v[135:136], v[135:136], v[161:162]
	s_clause 0x2
	buffer_load_dword v174, off, s[0:3], 0 offset:812
	buffer_load_dword v162, off, s[0:3], 0 offset:788
	buffer_load_dword v161, off, s[0:3], 0 offset:784
	ds_read_b128 v[1:4], v192 offset:1552
	s_waitcnt vmcnt(58) lgkmcnt(1)
	v_mul_f64 v[183:184], v[7:8], v[187:188]
	v_mul_f64 v[175:176], v[5:6], v[187:188]
	;; [unrolled: 28-line block ×4, first 2 shown]
	s_waitcnt vmcnt(56)
	v_fma_f64 v[179:180], v[5:6], v[185:186], -v[179:180]
	v_add_f64 v[137:138], v[137:138], v[177:178]
	v_fma_f64 v[177:178], v[7:8], v[185:186], v[213:214]
	v_add_f64 v[135:136], v[135:136], v[171:172]
	s_clause 0x4
	buffer_load_dword v172, off, s[0:3], 0 offset:892
	buffer_load_dword v185, off, s[0:3], 0 offset:904
	;; [unrolled: 1-line block ×5, first 2 shown]
	ds_read_b128 v[5:8], v192 offset:1632
	s_waitcnt vmcnt(57) lgkmcnt(1)
	v_mul_f64 v[213:214], v[131:132], v[143:144]
	v_mul_f64 v[143:144], v[133:134], v[143:144]
	s_waitcnt vmcnt(56)
	v_fma_f64 v[195:196], v[1:2], v[205:206], -v[195:196]
	v_fma_f64 v[175:176], v[3:4], v[205:206], v[175:176]
	v_add_f64 v[137:138], v[137:138], v[179:180]
	v_add_f64 v[135:136], v[135:136], v[177:178]
	s_clause 0x2
	buffer_load_dword v186, off, s[0:3], 0 offset:908
	buffer_load_dword v178, off, s[0:3], 0 offset:884
	;; [unrolled: 1-line block ×3, first 2 shown]
	ds_read_b128 v[1:4], v192 offset:1648
	s_waitcnt vmcnt(58) lgkmcnt(1)
	v_mul_f64 v[179:180], v[5:6], v[203:204]
	v_mul_f64 v[203:204], v[7:8], v[203:204]
	s_waitcnt vmcnt(56)
	v_fma_f64 v[143:144], v[131:132], v[149:150], -v[143:144]
	v_fma_f64 v[149:150], v[133:134], v[149:150], v[213:214]
	v_add_f64 v[137:138], v[137:138], v[195:196]
	v_add_f64 v[135:136], v[135:136], v[175:176]
	s_clause 0x4
	buffer_load_dword v176, off, s[0:3], 0 offset:924
	buffer_load_dword v195, off, s[0:3], 0 offset:936
	;; [unrolled: 1-line block ×5, first 2 shown]
	ds_read_b128 v[131:134], v192 offset:1664
	s_waitcnt vmcnt(57) lgkmcnt(1)
	v_mul_f64 v[213:214], v[1:2], v[155:156]
	v_mul_f64 v[155:156], v[3:4], v[155:156]
	s_waitcnt vmcnt(56)
	v_fma_f64 v[203:204], v[5:6], v[209:210], -v[203:204]
	v_add_f64 v[137:138], v[137:138], v[143:144]
	v_fma_f64 v[143:144], v[7:8], v[209:210], v[179:180]
	v_add_f64 v[135:136], v[135:136], v[149:150]
	s_clause 0x2
	buffer_load_dword v196, off, s[0:3], 0 offset:940
	buffer_load_dword v150, off, s[0:3], 0 offset:916
	buffer_load_dword v149, off, s[0:3], 0 offset:912
	ds_read_b128 v[5:8], v192 offset:1680
	s_waitcnt vmcnt(58) lgkmcnt(1)
	v_mul_f64 v[179:180], v[131:132], v[197:198]
	v_mul_f64 v[197:198], v[133:134], v[197:198]
	s_waitcnt vmcnt(56)
	v_fma_f64 v[155:156], v[1:2], v[147:148], -v[155:156]
	v_fma_f64 v[147:148], v[3:4], v[147:148], v[213:214]
	v_add_f64 v[137:138], v[137:138], v[203:204]
	v_add_f64 v[135:136], v[135:136], v[143:144]
	s_clause 0x4
	buffer_load_dword v144, off, s[0:3], 0 offset:956
	buffer_load_dword v203, off, s[0:3], 0 offset:968
	;; [unrolled: 1-line block ×5, first 2 shown]
	ds_read_b128 v[1:4], v192 offset:1696
	s_waitcnt vmcnt(57) lgkmcnt(1)
	v_mul_f64 v[213:214], v[5:6], v[141:142]
	v_mul_f64 v[141:142], v[7:8], v[141:142]
	s_waitcnt vmcnt(56)
	v_fma_f64 v[197:198], v[131:132], v[211:212], -v[197:198]
	v_add_f64 v[137:138], v[137:138], v[155:156]
	v_fma_f64 v[155:156], v[133:134], v[211:212], v[179:180]
	v_add_f64 v[135:136], v[135:136], v[147:148]
	s_clause 0x2
	buffer_load_dword v204, off, s[0:3], 0 offset:972
	buffer_load_dword v148, off, s[0:3], 0 offset:948
	;; [unrolled: 1-line block ×3, first 2 shown]
	ds_read_b128 v[131:134], v192 offset:1712
	s_waitcnt vmcnt(58) lgkmcnt(1)
	v_mul_f64 v[179:180], v[1:2], v[159:160]
	v_mul_f64 v[159:160], v[3:4], v[159:160]
	s_waitcnt vmcnt(56)
	v_fma_f64 v[141:142], v[5:6], v[153:154], -v[141:142]
	v_fma_f64 v[153:154], v[7:8], v[153:154], v[213:214]
	v_add_f64 v[137:138], v[137:138], v[197:198]
	v_add_f64 v[135:136], v[135:136], v[155:156]
	s_clause 0x2
	buffer_load_dword v156, off, s[0:3], 0 offset:988
	buffer_load_dword v155, off, s[0:3], 0 offset:984
	;; [unrolled: 1-line block ×3, first 2 shown]
	ds_read_b128 v[5:8], v192 offset:1728
	s_waitcnt vmcnt(55) lgkmcnt(1)
	v_mul_f64 v[197:198], v[131:132], v[145:146]
	v_mul_f64 v[145:146], v[133:134], v[145:146]
	s_waitcnt vmcnt(54)
	v_fma_f64 v[159:160], v[1:2], v[207:208], -v[159:160]
	v_add_f64 v[137:138], v[137:138], v[141:142]
	v_fma_f64 v[141:142], v[3:4], v[207:208], v[179:180]
	v_add_f64 v[135:136], v[135:136], v[153:154]
	s_clause 0x1
	buffer_load_dword v154, off, s[0:3], 0 offset:980
	buffer_load_dword v153, off, s[0:3], 0 offset:976
	ds_read_b128 v[1:4], v192 offset:1744
	s_waitcnt vmcnt(55) lgkmcnt(1)
	v_mul_f64 v[179:180], v[5:6], v[167:168]
	v_mul_f64 v[167:168], v[7:8], v[167:168]
	s_waitcnt vmcnt(53)
	v_fma_f64 v[145:146], v[131:132], v[163:164], -v[145:146]
	v_add_f64 v[137:138], v[137:138], v[159:160]
	v_fma_f64 v[159:160], v[133:134], v[163:164], v[197:198]
	v_add_f64 v[135:136], v[135:136], v[141:142]
	ds_read_b128 v[131:134], v192 offset:1760
	s_waitcnt vmcnt(49) lgkmcnt(1)
	v_mul_f64 v[141:142], v[1:2], v[151:152]
	v_mul_f64 v[151:152], v[3:4], v[151:152]
	s_waitcnt vmcnt(48)
	v_fma_f64 v[163:164], v[5:6], v[199:200], -v[167:168]
	v_add_f64 v[137:138], v[137:138], v[145:146]
	v_fma_f64 v[145:146], v[7:8], v[199:200], v[179:180]
	v_add_f64 v[135:136], v[135:136], v[159:160]
	s_clause 0x3
	buffer_load_dword v159, off, s[0:3], 0 offset:80
	buffer_load_dword v160, off, s[0:3], 0 offset:84
	;; [unrolled: 1-line block ×4, first 2 shown]
	ds_read_b128 v[5:8], v192 offset:1776
	s_waitcnt vmcnt(51) lgkmcnt(1)
	v_mul_f64 v[179:180], v[131:132], v[173:174]
	v_mul_f64 v[173:174], v[133:134], v[173:174]
	s_waitcnt vmcnt(49)
	v_fma_f64 v[151:152], v[1:2], v[161:162], -v[151:152]
	v_fma_f64 v[141:142], v[3:4], v[161:162], v[141:142]
	ds_read_b128 v[1:4], v192 offset:1792
	v_add_f64 v[137:138], v[137:138], v[163:164]
	v_add_f64 v[135:136], v[135:136], v[145:146]
	s_waitcnt vmcnt(45) lgkmcnt(1)
	v_mul_f64 v[145:146], v[5:6], v[157:158]
	v_mul_f64 v[157:158], v[7:8], v[157:158]
	s_waitcnt vmcnt(44)
	v_fma_f64 v[161:162], v[131:132], v[193:194], -v[173:174]
	v_add_f64 v[137:138], v[137:138], v[151:152]
	v_fma_f64 v[151:152], v[133:134], v[193:194], v[179:180]
	v_add_f64 v[135:136], v[135:136], v[141:142]
	ds_read_b128 v[131:134], v192 offset:1808
	s_waitcnt vmcnt(43) lgkmcnt(1)
	v_mul_f64 v[163:164], v[3:4], v[181:182]
	v_mul_f64 v[141:142], v[1:2], v[181:182]
	s_waitcnt vmcnt(41)
	v_fma_f64 v[157:158], v[5:6], v[169:170], -v[157:158]
	v_fma_f64 v[145:146], v[7:8], v[169:170], v[145:146]
	ds_read_b128 v[5:8], v192 offset:1824
	v_add_f64 v[137:138], v[137:138], v[161:162]
	v_add_f64 v[135:136], v[135:136], v[151:152]
	s_waitcnt vmcnt(37) lgkmcnt(1)
	v_mul_f64 v[161:162], v[133:134], v[165:166]
	s_waitcnt vmcnt(36)
	v_fma_f64 v[163:164], v[1:2], v[187:188], -v[163:164]
	v_mul_f64 v[151:152], v[131:132], v[165:166]
	v_fma_f64 v[141:142], v[3:4], v[187:188], v[141:142]
	ds_read_b128 v[1:4], v192 offset:1840
	v_add_f64 v[137:138], v[137:138], v[157:158]
	v_add_f64 v[135:136], v[135:136], v[145:146]
	s_waitcnt vmcnt(35) lgkmcnt(1)
	v_mul_f64 v[157:158], v[7:8], v[183:184]
	v_mul_f64 v[145:146], v[5:6], v[183:184]
	s_waitcnt vmcnt(33)
	v_fma_f64 v[161:162], v[131:132], v[139:140], -v[161:162]
	v_fma_f64 v[139:140], v[133:134], v[139:140], v[151:152]
	ds_read_b128 v[131:134], v192 offset:1856
	v_add_f64 v[137:138], v[137:138], v[163:164]
	v_add_f64 v[135:136], v[135:136], v[141:142]
	s_waitcnt vmcnt(29) lgkmcnt(1)
	v_mul_f64 v[151:152], v[3:4], v[171:172]
	s_waitcnt vmcnt(28)
	v_fma_f64 v[157:158], v[5:6], v[189:190], -v[157:158]
	v_mul_f64 v[141:142], v[1:2], v[171:172]
	v_fma_f64 v[145:146], v[7:8], v[189:190], v[145:146]
	ds_read_b128 v[5:8], v192 offset:1872
	v_add_f64 v[137:138], v[137:138], v[161:162]
	v_add_f64 v[135:136], v[135:136], v[139:140]
	s_waitcnt vmcnt(27) lgkmcnt(1)
	v_mul_f64 v[161:162], v[133:134], v[185:186]
	v_mul_f64 v[139:140], v[131:132], v[185:186]
	s_waitcnt vmcnt(25)
	v_fma_f64 v[151:152], v[1:2], v[177:178], -v[151:152]
	v_fma_f64 v[141:142], v[3:4], v[177:178], v[141:142]
	ds_read_b128 v[1:4], v192 offset:1888
	v_add_f64 v[137:138], v[137:138], v[157:158]
	v_add_f64 v[135:136], v[135:136], v[145:146]
	s_waitcnt vmcnt(21) lgkmcnt(1)
	v_mul_f64 v[157:158], v[7:8], v[175:176]
	s_waitcnt vmcnt(20)
	v_fma_f64 v[161:162], v[131:132], v[201:202], -v[161:162]
	v_mul_f64 v[145:146], v[5:6], v[175:176]
	v_fma_f64 v[139:140], v[133:134], v[201:202], v[139:140]
	ds_read_b128 v[131:134], v192 offset:1904
	v_add_f64 v[137:138], v[137:138], v[151:152]
	v_add_f64 v[135:136], v[135:136], v[141:142]
	s_waitcnt vmcnt(19) lgkmcnt(1)
	v_mul_f64 v[151:152], v[3:4], v[195:196]
	v_mul_f64 v[141:142], v[1:2], v[195:196]
	s_waitcnt vmcnt(17)
	v_fma_f64 v[157:158], v[5:6], v[149:150], -v[157:158]
	v_fma_f64 v[145:146], v[7:8], v[149:150], v[145:146]
	ds_read_b128 v[5:8], v192 offset:1920
	v_add_f64 v[137:138], v[137:138], v[161:162]
	v_add_f64 v[135:136], v[135:136], v[139:140]
	s_waitcnt vmcnt(13) lgkmcnt(1)
	v_mul_f64 v[139:140], v[131:132], v[143:144]
	v_mul_f64 v[143:144], v[133:134], v[143:144]
	s_waitcnt vmcnt(12)
	v_fma_f64 v[149:150], v[1:2], v[205:206], -v[151:152]
	v_fma_f64 v[141:142], v[3:4], v[205:206], v[141:142]
	ds_read_b128 v[1:4], v192 offset:1936
	v_add_f64 v[137:138], v[137:138], v[157:158]
	v_add_f64 v[135:136], v[135:136], v[145:146]
	s_waitcnt vmcnt(11) lgkmcnt(1)
	v_mul_f64 v[151:152], v[7:8], v[203:204]
	v_mul_f64 v[145:146], v[5:6], v[203:204]
	s_waitcnt vmcnt(9)
	v_fma_f64 v[131:132], v[131:132], v[147:148], -v[143:144]
	v_fma_f64 v[133:134], v[133:134], v[147:148], v[139:140]
	v_add_f64 v[137:138], v[137:138], v[149:150]
	v_add_f64 v[135:136], v[135:136], v[141:142]
	s_waitcnt vmcnt(7) lgkmcnt(0)
	v_mul_f64 v[141:142], v[3:4], v[155:156]
	s_waitcnt vmcnt(6)
	v_fma_f64 v[5:6], v[5:6], v[209:210], -v[151:152]
	v_mul_f64 v[139:140], v[1:2], v[155:156]
	v_fma_f64 v[7:8], v[7:8], v[209:210], v[145:146]
	v_add_f64 v[131:132], v[137:138], v[131:132]
	v_add_f64 v[133:134], v[135:136], v[133:134]
	s_waitcnt vmcnt(4)
	v_fma_f64 v[1:2], v[1:2], v[153:154], -v[141:142]
	v_fma_f64 v[3:4], v[3:4], v[153:154], v[139:140]
	v_add_f64 v[5:6], v[131:132], v[5:6]
	v_add_f64 v[7:8], v[133:134], v[7:8]
	;; [unrolled: 1-line block ×4, first 2 shown]
	s_waitcnt vmcnt(2)
	v_add_f64 v[1:2], v[159:160], -v[1:2]
	s_waitcnt vmcnt(0)
	v_add_f64 v[3:4], v[167:168], -v[3:4]
	buffer_store_dword v2, off, s[0:3], 0 offset:84
	buffer_store_dword v1, off, s[0:3], 0 offset:80
	buffer_store_dword v4, off, s[0:3], 0 offset:92
	buffer_store_dword v3, off, s[0:3], 0 offset:88
	v_cmpx_lt_u32_e32 3, v0
	s_cbranch_execz .LBB124_385
; %bb.384:
	v_mov_b32_e32 v4, s72
	v_mov_b32_e32 v5, 0
	s_clause 0x3
	buffer_load_dword v1, v4, s[0:3], 0 offen
	buffer_load_dword v2, v4, s[0:3], 0 offen offset:4
	buffer_load_dword v3, v4, s[0:3], 0 offen offset:8
	;; [unrolled: 1-line block ×3, first 2 shown]
	buffer_store_dword v5, off, s[0:3], 0 offset:64
	buffer_store_dword v5, off, s[0:3], 0 offset:68
	;; [unrolled: 1-line block ×4, first 2 shown]
	s_waitcnt vmcnt(0)
	ds_write_b128 v191, v[1:4]
.LBB124_385:
	s_or_b32 exec_lo, exec_lo, s4
	s_waitcnt lgkmcnt(0)
	s_waitcnt_vscnt null, 0x0
	s_barrier
	buffer_gl0_inv
	s_clause 0x37
	buffer_load_dword v139, off, s[0:3], 0 offset:88
	buffer_load_dword v140, off, s[0:3], 0 offset:92
	;; [unrolled: 1-line block ×56, first 2 shown]
	v_mov_b32_e32 v192, 0
	s_mov_b32 s4, exec_lo
	ds_read_b128 v[5:8], v192 offset:1040
	s_clause 0x2
	buffer_load_dword v188, off, s[0:3], 0 offset:316
	buffer_load_dword v190, off, s[0:3], 0 offset:292
	;; [unrolled: 1-line block ×3, first 2 shown]
	ds_read_b128 v[1:4], v192 offset:1056
	s_clause 0x4
	buffer_load_dword v200, off, s[0:3], 0 offset:332
	buffer_load_dword v201, off, s[0:3], 0 offset:344
	;; [unrolled: 1-line block ×5, first 2 shown]
	ds_read_b128 v[193:196], v192 offset:1072
	s_waitcnt vmcnt(62) lgkmcnt(2)
	v_mul_f64 v[197:198], v[7:8], v[139:140]
	v_mul_f64 v[139:140], v[5:6], v[139:140]
	s_waitcnt vmcnt(60) lgkmcnt(1)
	v_mul_f64 v[204:205], v[3:4], v[135:136]
	v_mul_f64 v[135:136], v[1:2], v[135:136]
	;; [unrolled: 3-line block ×3, first 2 shown]
	v_fma_f64 v[197:198], v[5:6], v[137:138], -v[197:198]
	v_fma_f64 v[137:138], v[7:8], v[137:138], v[139:140]
	s_clause 0x2
	buffer_load_dword v202, off, s[0:3], 0 offset:348
	buffer_load_dword v140, off, s[0:3], 0 offset:324
	;; [unrolled: 1-line block ×3, first 2 shown]
	s_waitcnt vmcnt(57)
	v_fma_f64 v[208:209], v[1:2], v[131:132], -v[204:205]
	ds_read_b128 v[5:8], v192 offset:1088
	v_fma_f64 v[131:132], v[3:4], v[131:132], v[135:136]
	s_waitcnt vmcnt(51)
	v_fma_f64 v[193:194], v[193:194], v[155:156], -v[133:134]
	v_fma_f64 v[155:156], v[195:196], v[155:156], v[206:207]
	v_add_f64 v[197:198], v[197:198], 0
	v_add_f64 v[135:136], v[137:138], 0
	s_clause 0x4
	buffer_load_dword v138, off, s[0:3], 0 offset:364
	buffer_load_dword v205, off, s[0:3], 0 offset:376
	;; [unrolled: 1-line block ×5, first 2 shown]
	s_waitcnt lgkmcnt(0)
	v_mul_f64 v[211:212], v[5:6], v[143:144]
	v_mul_f64 v[143:144], v[7:8], v[143:144]
	ds_read_b128 v[1:4], v192 offset:1104
	s_clause 0x2
	buffer_load_dword v206, off, s[0:3], 0 offset:380
	buffer_load_dword v196, off, s[0:3], 0 offset:356
	;; [unrolled: 1-line block ×3, first 2 shown]
	v_add_f64 v[197:198], v[197:198], v[208:209]
	v_add_f64 v[135:136], v[135:136], v[131:132]
	ds_read_b128 v[131:134], v192 offset:1120
	s_waitcnt vmcnt(58) lgkmcnt(1)
	v_mul_f64 v[207:208], v[1:2], v[147:148]
	v_mul_f64 v[147:148], v[3:4], v[147:148]
	s_waitcnt vmcnt(56)
	v_fma_f64 v[143:144], v[5:6], v[149:150], -v[143:144]
	v_fma_f64 v[149:150], v[7:8], v[149:150], v[211:212]
	s_waitcnt vmcnt(52) lgkmcnt(0)
	v_mul_f64 v[213:214], v[131:132], v[151:152]
	v_add_f64 v[193:194], v[197:198], v[193:194]
	v_add_f64 v[135:136], v[135:136], v[155:156]
	s_clause 0x4
	buffer_load_dword v156, off, s[0:3], 0 offset:396
	buffer_load_dword v197, off, s[0:3], 0 offset:408
	;; [unrolled: 1-line block ×5, first 2 shown]
	v_mul_f64 v[151:152], v[133:134], v[151:152]
	s_waitcnt vmcnt(56)
	v_fma_f64 v[147:148], v[1:2], v[141:142], -v[147:148]
	ds_read_b128 v[5:8], v192 offset:1136
	v_fma_f64 v[141:142], v[3:4], v[141:142], v[207:208]
	v_add_f64 v[143:144], v[193:194], v[143:144]
	v_add_f64 v[135:136], v[135:136], v[149:150]
	s_clause 0x2
	buffer_load_dword v198, off, s[0:3], 0 offset:412
	buffer_load_dword v150, off, s[0:3], 0 offset:388
	;; [unrolled: 1-line block ×3, first 2 shown]
	s_waitcnt vmcnt(58) lgkmcnt(0)
	v_mul_f64 v[193:194], v[5:6], v[157:158]
	v_mul_f64 v[157:158], v[7:8], v[157:158]
	s_waitcnt vmcnt(56)
	v_fma_f64 v[151:152], v[131:132], v[159:160], -v[151:152]
	ds_read_b128 v[1:4], v192 offset:1152
	v_add_f64 v[143:144], v[143:144], v[147:148]
	v_fma_f64 v[147:148], v[133:134], v[159:160], v[213:214]
	v_add_f64 v[135:136], v[135:136], v[141:142]
	s_clause 0x4
	buffer_load_dword v142, off, s[0:3], 0 offset:428
	buffer_load_dword v159, off, s[0:3], 0 offset:440
	;; [unrolled: 1-line block ×5, first 2 shown]
	s_waitcnt vmcnt(57) lgkmcnt(0)
	v_mul_f64 v[208:209], v[1:2], v[161:162]
	v_mul_f64 v[161:162], v[3:4], v[161:162]
	s_waitcnt vmcnt(56)
	v_fma_f64 v[157:158], v[5:6], v[145:146], -v[157:158]
	ds_read_b128 v[131:134], v192 offset:1168
	v_fma_f64 v[145:146], v[7:8], v[145:146], v[193:194]
	v_add_f64 v[143:144], v[143:144], v[151:152]
	v_add_f64 v[135:136], v[135:136], v[147:148]
	s_clause 0x2
	buffer_load_dword v160, off, s[0:3], 0 offset:444
	buffer_load_dword v148, off, s[0:3], 0 offset:420
	;; [unrolled: 1-line block ×3, first 2 shown]
	ds_read_b128 v[5:8], v192 offset:1184
	s_waitcnt vmcnt(58) lgkmcnt(1)
	v_mul_f64 v[151:152], v[131:132], v[165:166]
	v_mul_f64 v[165:166], v[133:134], v[165:166]
	s_waitcnt vmcnt(56)
	v_fma_f64 v[161:162], v[1:2], v[167:168], -v[161:162]
	v_add_f64 v[143:144], v[143:144], v[157:158]
	v_fma_f64 v[157:158], v[3:4], v[167:168], v[208:209]
	v_add_f64 v[135:136], v[135:136], v[145:146]
	s_clause 0x4
	buffer_load_dword v146, off, s[0:3], 0 offset:460
	buffer_load_dword v167, off, s[0:3], 0 offset:472
	;; [unrolled: 1-line block ×5, first 2 shown]
	s_waitcnt vmcnt(57) lgkmcnt(0)
	v_mul_f64 v[214:215], v[5:6], v[169:170]
	v_mul_f64 v[169:170], v[7:8], v[169:170]
	s_waitcnt vmcnt(56)
	v_fma_f64 v[165:166], v[131:132], v[153:154], -v[165:166]
	ds_read_b128 v[1:4], v192 offset:1200
	v_fma_f64 v[151:152], v[133:134], v[153:154], v[151:152]
	s_clause 0x2
	buffer_load_dword v168, off, s[0:3], 0 offset:476
	buffer_load_dword v154, off, s[0:3], 0 offset:452
	;; [unrolled: 1-line block ×3, first 2 shown]
	ds_read_b128 v[131:134], v192 offset:1216
	v_add_f64 v[143:144], v[143:144], v[161:162]
	v_add_f64 v[135:136], v[135:136], v[157:158]
	s_waitcnt vmcnt(58) lgkmcnt(1)
	v_mul_f64 v[161:162], v[3:4], v[173:174]
	s_waitcnt vmcnt(56)
	v_fma_f64 v[169:170], v[5:6], v[175:176], -v[169:170]
	v_mul_f64 v[157:158], v[1:2], v[173:174]
	v_add_f64 v[143:144], v[143:144], v[165:166]
	v_fma_f64 v[165:166], v[7:8], v[175:176], v[214:215]
	v_add_f64 v[135:136], v[135:136], v[151:152]
	s_clause 0x4
	buffer_load_dword v152, off, s[0:3], 0 offset:492
	buffer_load_dword v173, off, s[0:3], 0 offset:504
	;; [unrolled: 1-line block ×5, first 2 shown]
	s_waitcnt vmcnt(57) lgkmcnt(0)
	v_mul_f64 v[214:215], v[131:132], v[177:178]
	v_mul_f64 v[176:177], v[133:134], v[177:178]
	s_waitcnt vmcnt(56)
	v_fma_f64 v[161:162], v[1:2], v[163:164], -v[161:162]
	ds_read_b128 v[5:8], v192 offset:1232
	v_fma_f64 v[157:158], v[3:4], v[163:164], v[157:158]
	s_clause 0x2
	buffer_load_dword v174, off, s[0:3], 0 offset:508
	buffer_load_dword v164, off, s[0:3], 0 offset:484
	;; [unrolled: 1-line block ×3, first 2 shown]
	ds_read_b128 v[1:4], v192 offset:1248
	v_add_f64 v[143:144], v[143:144], v[169:170]
	v_add_f64 v[135:136], v[135:136], v[165:166]
	s_waitcnt vmcnt(58) lgkmcnt(1)
	v_mul_f64 v[169:170], v[7:8], v[181:182]
	s_waitcnt vmcnt(56)
	v_fma_f64 v[177:178], v[131:132], v[183:184], -v[176:177]
	v_mul_f64 v[165:166], v[5:6], v[181:182]
	v_add_f64 v[143:144], v[143:144], v[161:162]
	v_fma_f64 v[161:162], v[133:134], v[183:184], v[214:215]
	v_add_f64 v[135:136], v[135:136], v[157:158]
	s_clause 0x4
	buffer_load_dword v158, off, s[0:3], 0 offset:524
	buffer_load_dword v181, off, s[0:3], 0 offset:536
	buffer_load_dword v183, off, s[0:3], 0 offset:528
	buffer_load_dword v157, off, s[0:3], 0 offset:520
	buffer_load_dword v176, off, s[0:3], 0 offset:500
	s_waitcnt vmcnt(57) lgkmcnt(0)
	v_mul_f64 v[214:215], v[1:2], v[185:186]
	v_mul_f64 v[184:185], v[3:4], v[185:186]
	s_waitcnt vmcnt(56)
	v_fma_f64 v[169:170], v[5:6], v[171:172], -v[169:170]
	ds_read_b128 v[131:134], v192 offset:1264
	v_fma_f64 v[165:166], v[7:8], v[171:172], v[165:166]
	v_add_f64 v[143:144], v[143:144], v[177:178]
	v_add_f64 v[135:136], v[135:136], v[161:162]
	s_clause 0x2
	buffer_load_dword v182, off, s[0:3], 0 offset:540
	buffer_load_dword v162, off, s[0:3], 0 offset:516
	;; [unrolled: 1-line block ×3, first 2 shown]
	ds_read_b128 v[5:8], v192 offset:1280
	s_waitcnt vmcnt(58) lgkmcnt(1)
	v_mul_f64 v[177:178], v[133:134], v[187:188]
	s_waitcnt vmcnt(56)
	v_fma_f64 v[185:186], v[1:2], v[189:190], -v[184:185]
	v_mul_f64 v[171:172], v[131:132], v[187:188]
	v_add_f64 v[143:144], v[143:144], v[169:170]
	v_fma_f64 v[169:170], v[3:4], v[189:190], v[214:215]
	v_add_f64 v[135:136], v[135:136], v[165:166]
	s_clause 0x4
	buffer_load_dword v166, off, s[0:3], 0 offset:556
	buffer_load_dword v187, off, s[0:3], 0 offset:568
	;; [unrolled: 1-line block ×5, first 2 shown]
	s_waitcnt vmcnt(57) lgkmcnt(0)
	v_mul_f64 v[214:215], v[5:6], v[199:200]
	v_mul_f64 v[199:200], v[7:8], v[199:200]
	s_waitcnt vmcnt(56)
	v_fma_f64 v[177:178], v[131:132], v[179:180], -v[177:178]
	ds_read_b128 v[1:4], v192 offset:1296
	v_fma_f64 v[171:172], v[133:134], v[179:180], v[171:172]
	v_add_f64 v[143:144], v[143:144], v[185:186]
	v_add_f64 v[135:136], v[135:136], v[169:170]
	s_clause 0x2
	buffer_load_dword v188, off, s[0:3], 0 offset:572
	buffer_load_dword v170, off, s[0:3], 0 offset:548
	;; [unrolled: 1-line block ×3, first 2 shown]
	ds_read_b128 v[131:134], v192 offset:1312
	s_waitcnt vmcnt(58) lgkmcnt(1)
	v_mul_f64 v[185:186], v[3:4], v[201:202]
	v_mul_f64 v[179:180], v[1:2], v[201:202]
	s_waitcnt vmcnt(56)
	v_fma_f64 v[199:200], v[5:6], v[139:140], -v[199:200]
	v_fma_f64 v[139:140], v[7:8], v[139:140], v[214:215]
	v_add_f64 v[143:144], v[143:144], v[177:178]
	v_add_f64 v[135:136], v[135:136], v[171:172]
	s_clause 0x4
	buffer_load_dword v172, off, s[0:3], 0 offset:588
	buffer_load_dword v177, off, s[0:3], 0 offset:600
	;; [unrolled: 1-line block ×5, first 2 shown]
	ds_read_b128 v[5:8], v192 offset:1328
	s_waitcnt vmcnt(57) lgkmcnt(1)
	v_mul_f64 v[214:215], v[131:132], v[137:138]
	v_mul_f64 v[137:138], v[133:134], v[137:138]
	s_waitcnt vmcnt(56)
	v_fma_f64 v[185:186], v[1:2], v[203:204], -v[185:186]
	v_fma_f64 v[179:180], v[3:4], v[203:204], v[179:180]
	v_add_f64 v[143:144], v[143:144], v[199:200]
	v_add_f64 v[135:136], v[135:136], v[139:140]
	s_clause 0x2
	buffer_load_dword v178, off, s[0:3], 0 offset:604
	buffer_load_dword v140, off, s[0:3], 0 offset:580
	;; [unrolled: 1-line block ×3, first 2 shown]
	s_waitcnt vmcnt(58) lgkmcnt(0)
	v_mul_f64 v[203:204], v[7:8], v[205:206]
	ds_read_b128 v[1:4], v192 offset:1344
	v_mul_f64 v[199:200], v[5:6], v[205:206]
	s_waitcnt vmcnt(56)
	v_fma_f64 v[137:138], v[131:132], v[195:196], -v[137:138]
	v_add_f64 v[143:144], v[143:144], v[185:186]
	v_fma_f64 v[185:186], v[133:134], v[195:196], v[214:215]
	v_add_f64 v[135:136], v[135:136], v[179:180]
	s_clause 0x4
	buffer_load_dword v180, off, s[0:3], 0 offset:620
	buffer_load_dword v195, off, s[0:3], 0 offset:632
	;; [unrolled: 1-line block ×5, first 2 shown]
	ds_read_b128 v[131:134], v192 offset:1360
	s_waitcnt vmcnt(57) lgkmcnt(1)
	v_mul_f64 v[214:215], v[1:2], v[155:156]
	v_mul_f64 v[155:156], v[3:4], v[155:156]
	s_waitcnt vmcnt(56)
	v_fma_f64 v[203:204], v[5:6], v[210:211], -v[203:204]
	v_add_f64 v[137:138], v[143:144], v[137:138]
	v_fma_f64 v[143:144], v[7:8], v[210:211], v[199:200]
	v_add_f64 v[135:136], v[135:136], v[185:186]
	s_clause 0x2
	buffer_load_dword v196, off, s[0:3], 0 offset:636
	buffer_load_dword v186, off, s[0:3], 0 offset:612
	;; [unrolled: 1-line block ×3, first 2 shown]
	ds_read_b128 v[5:8], v192 offset:1376
	s_waitcnt vmcnt(58) lgkmcnt(1)
	v_mul_f64 v[199:200], v[131:132], v[197:198]
	v_mul_f64 v[197:198], v[133:134], v[197:198]
	s_waitcnt vmcnt(56)
	v_fma_f64 v[155:156], v[1:2], v[149:150], -v[155:156]
	v_fma_f64 v[149:150], v[3:4], v[149:150], v[214:215]
	v_add_f64 v[137:138], v[137:138], v[203:204]
	v_add_f64 v[135:136], v[135:136], v[143:144]
	s_clause 0x4
	buffer_load_dword v144, off, s[0:3], 0 offset:652
	buffer_load_dword v203, off, s[0:3], 0 offset:664
	;; [unrolled: 1-line block ×5, first 2 shown]
	ds_read_b128 v[1:4], v192 offset:1392
	s_waitcnt vmcnt(57) lgkmcnt(1)
	v_mul_f64 v[210:211], v[5:6], v[141:142]
	v_mul_f64 v[141:142], v[7:8], v[141:142]
	s_waitcnt vmcnt(56)
	v_fma_f64 v[197:198], v[131:132], v[212:213], -v[197:198]
	v_add_f64 v[137:138], v[137:138], v[155:156]
	v_fma_f64 v[155:156], v[133:134], v[212:213], v[199:200]
	v_add_f64 v[135:136], v[135:136], v[149:150]
	s_clause 0x2
	buffer_load_dword v204, off, s[0:3], 0 offset:668
	buffer_load_dword v150, off, s[0:3], 0 offset:644
	;; [unrolled: 1-line block ×3, first 2 shown]
	ds_read_b128 v[131:134], v192 offset:1408
	s_waitcnt vmcnt(58) lgkmcnt(1)
	v_mul_f64 v[199:200], v[1:2], v[159:160]
	v_mul_f64 v[159:160], v[3:4], v[159:160]
	s_waitcnt vmcnt(56)
	v_fma_f64 v[141:142], v[5:6], v[147:148], -v[141:142]
	v_fma_f64 v[147:148], v[7:8], v[147:148], v[210:211]
	v_add_f64 v[137:138], v[137:138], v[197:198]
	v_add_f64 v[135:136], v[135:136], v[155:156]
	s_clause 0x4
	buffer_load_dword v156, off, s[0:3], 0 offset:684
	buffer_load_dword v197, off, s[0:3], 0 offset:696
	;; [unrolled: 1-line block ×5, first 2 shown]
	ds_read_b128 v[5:8], v192 offset:1424
	s_waitcnt vmcnt(57) lgkmcnt(1)
	v_mul_f64 v[212:213], v[131:132], v[145:146]
	v_mul_f64 v[145:146], v[133:134], v[145:146]
	s_waitcnt vmcnt(56)
	v_fma_f64 v[159:160], v[1:2], v[207:208], -v[159:160]
	v_add_f64 v[137:138], v[137:138], v[141:142]
	v_fma_f64 v[141:142], v[3:4], v[207:208], v[199:200]
	v_add_f64 v[135:136], v[135:136], v[147:148]
	s_clause 0x2
	buffer_load_dword v198, off, s[0:3], 0 offset:700
	buffer_load_dword v148, off, s[0:3], 0 offset:676
	;; [unrolled: 1-line block ×3, first 2 shown]
	s_waitcnt vmcnt(58) lgkmcnt(0)
	v_mul_f64 v[199:200], v[5:6], v[167:168]
	v_mul_f64 v[167:168], v[7:8], v[167:168]
	ds_read_b128 v[1:4], v192 offset:1440
	s_waitcnt vmcnt(56)
	v_fma_f64 v[145:146], v[131:132], v[153:154], -v[145:146]
	v_fma_f64 v[153:154], v[133:134], v[153:154], v[212:213]
	v_add_f64 v[137:138], v[137:138], v[159:160]
	v_add_f64 v[135:136], v[135:136], v[141:142]
	s_clause 0x4
	buffer_load_dword v142, off, s[0:3], 0 offset:716
	buffer_load_dword v159, off, s[0:3], 0 offset:728
	;; [unrolled: 1-line block ×5, first 2 shown]
	ds_read_b128 v[131:134], v192 offset:1456
	s_waitcnt vmcnt(57) lgkmcnt(1)
	v_mul_f64 v[213:214], v[1:2], v[151:152]
	v_mul_f64 v[151:152], v[3:4], v[151:152]
	s_waitcnt vmcnt(56)
	v_fma_f64 v[167:168], v[5:6], v[193:194], -v[167:168]
	v_add_f64 v[137:138], v[137:138], v[145:146]
	v_fma_f64 v[145:146], v[7:8], v[193:194], v[199:200]
	v_add_f64 v[135:136], v[135:136], v[153:154]
	s_clause 0x2
	buffer_load_dword v160, off, s[0:3], 0 offset:732
	buffer_load_dword v154, off, s[0:3], 0 offset:708
	;; [unrolled: 1-line block ×3, first 2 shown]
	s_waitcnt vmcnt(58) lgkmcnt(0)
	v_mul_f64 v[193:194], v[131:132], v[173:174]
	v_mul_f64 v[173:174], v[133:134], v[173:174]
	ds_read_b128 v[5:8], v192 offset:1472
	s_waitcnt vmcnt(56)
	v_fma_f64 v[151:152], v[1:2], v[163:164], -v[151:152]
	v_fma_f64 v[163:164], v[3:4], v[163:164], v[213:214]
	v_add_f64 v[137:138], v[137:138], v[167:168]
	v_add_f64 v[135:136], v[135:136], v[145:146]
	s_clause 0x4
	buffer_load_dword v146, off, s[0:3], 0 offset:748
	buffer_load_dword v167, off, s[0:3], 0 offset:760
	buffer_load_dword v199, off, s[0:3], 0 offset:752
	buffer_load_dword v145, off, s[0:3], 0 offset:744
	buffer_load_dword v208, off, s[0:3], 0 offset:724
	ds_read_b128 v[1:4], v192 offset:1488
	s_waitcnt vmcnt(57) lgkmcnt(1)
	v_mul_f64 v[213:214], v[5:6], v[157:158]
	v_mul_f64 v[157:158], v[7:8], v[157:158]
	s_waitcnt vmcnt(56)
	v_fma_f64 v[173:174], v[131:132], v[175:176], -v[173:174]
	v_add_f64 v[137:138], v[137:138], v[151:152]
	v_fma_f64 v[151:152], v[133:134], v[175:176], v[193:194]
	v_add_f64 v[135:136], v[135:136], v[163:164]
	s_clause 0x2
	buffer_load_dword v168, off, s[0:3], 0 offset:764
	buffer_load_dword v164, off, s[0:3], 0 offset:740
	buffer_load_dword v163, off, s[0:3], 0 offset:736
	ds_read_b128 v[131:134], v192 offset:1504
	s_waitcnt vmcnt(58) lgkmcnt(1)
	v_mul_f64 v[175:176], v[1:2], v[181:182]
	v_mul_f64 v[181:182], v[3:4], v[181:182]
	s_waitcnt vmcnt(56)
	v_fma_f64 v[157:158], v[5:6], v[161:162], -v[157:158]
	v_fma_f64 v[161:162], v[7:8], v[161:162], v[213:214]
	v_add_f64 v[137:138], v[137:138], v[173:174]
	v_add_f64 v[135:136], v[135:136], v[151:152]
	s_clause 0x4
	buffer_load_dword v152, off, s[0:3], 0 offset:780
	buffer_load_dword v173, off, s[0:3], 0 offset:792
	buffer_load_dword v193, off, s[0:3], 0 offset:784
	buffer_load_dword v151, off, s[0:3], 0 offset:776
	buffer_load_dword v200, off, s[0:3], 0 offset:756
	ds_read_b128 v[5:8], v192 offset:1520
	s_waitcnt vmcnt(57) lgkmcnt(1)
	v_mul_f64 v[213:214], v[131:132], v[165:166]
	v_mul_f64 v[165:166], v[133:134], v[165:166]
	s_waitcnt vmcnt(56)
	v_fma_f64 v[181:182], v[1:2], v[183:184], -v[181:182]
	v_add_f64 v[137:138], v[137:138], v[157:158]
	v_fma_f64 v[157:158], v[3:4], v[183:184], v[175:176]
	v_add_f64 v[135:136], v[135:136], v[161:162]
	s_clause 0x2
	buffer_load_dword v174, off, s[0:3], 0 offset:796
	buffer_load_dword v162, off, s[0:3], 0 offset:772
	buffer_load_dword v161, off, s[0:3], 0 offset:768
	ds_read_b128 v[1:4], v192 offset:1536
	s_waitcnt vmcnt(58) lgkmcnt(1)
	v_mul_f64 v[183:184], v[7:8], v[187:188]
	v_mul_f64 v[175:176], v[5:6], v[187:188]
	;; [unrolled: 28-line block ×4, first 2 shown]
	s_waitcnt vmcnt(56)
	v_fma_f64 v[179:180], v[5:6], v[185:186], -v[179:180]
	v_add_f64 v[137:138], v[137:138], v[177:178]
	v_fma_f64 v[177:178], v[7:8], v[185:186], v[213:214]
	v_add_f64 v[135:136], v[135:136], v[171:172]
	s_clause 0x4
	buffer_load_dword v172, off, s[0:3], 0 offset:876
	buffer_load_dword v185, off, s[0:3], 0 offset:888
	;; [unrolled: 1-line block ×5, first 2 shown]
	ds_read_b128 v[5:8], v192 offset:1616
	s_waitcnt vmcnt(57) lgkmcnt(1)
	v_mul_f64 v[213:214], v[131:132], v[143:144]
	v_mul_f64 v[143:144], v[133:134], v[143:144]
	s_waitcnt vmcnt(56)
	v_fma_f64 v[195:196], v[1:2], v[205:206], -v[195:196]
	v_fma_f64 v[175:176], v[3:4], v[205:206], v[175:176]
	v_add_f64 v[137:138], v[137:138], v[179:180]
	v_add_f64 v[135:136], v[135:136], v[177:178]
	s_clause 0x2
	buffer_load_dword v186, off, s[0:3], 0 offset:892
	buffer_load_dword v178, off, s[0:3], 0 offset:868
	buffer_load_dword v177, off, s[0:3], 0 offset:864
	ds_read_b128 v[1:4], v192 offset:1632
	s_waitcnt vmcnt(58) lgkmcnt(1)
	v_mul_f64 v[179:180], v[5:6], v[203:204]
	v_mul_f64 v[203:204], v[7:8], v[203:204]
	s_waitcnt vmcnt(56)
	v_fma_f64 v[143:144], v[131:132], v[149:150], -v[143:144]
	v_fma_f64 v[149:150], v[133:134], v[149:150], v[213:214]
	v_add_f64 v[137:138], v[137:138], v[195:196]
	v_add_f64 v[135:136], v[135:136], v[175:176]
	s_clause 0x4
	buffer_load_dword v176, off, s[0:3], 0 offset:908
	buffer_load_dword v195, off, s[0:3], 0 offset:920
	buffer_load_dword v205, off, s[0:3], 0 offset:912
	buffer_load_dword v175, off, s[0:3], 0 offset:904
	buffer_load_dword v202, off, s[0:3], 0 offset:884
	ds_read_b128 v[131:134], v192 offset:1648
	s_waitcnt vmcnt(57) lgkmcnt(1)
	v_mul_f64 v[213:214], v[1:2], v[155:156]
	v_mul_f64 v[155:156], v[3:4], v[155:156]
	s_waitcnt vmcnt(56)
	v_fma_f64 v[203:204], v[5:6], v[209:210], -v[203:204]
	v_add_f64 v[137:138], v[137:138], v[143:144]
	v_fma_f64 v[143:144], v[7:8], v[209:210], v[179:180]
	v_add_f64 v[135:136], v[135:136], v[149:150]
	s_clause 0x2
	buffer_load_dword v196, off, s[0:3], 0 offset:924
	buffer_load_dword v150, off, s[0:3], 0 offset:900
	buffer_load_dword v149, off, s[0:3], 0 offset:896
	ds_read_b128 v[5:8], v192 offset:1664
	s_waitcnt vmcnt(58) lgkmcnt(1)
	v_mul_f64 v[179:180], v[131:132], v[197:198]
	v_mul_f64 v[197:198], v[133:134], v[197:198]
	s_waitcnt vmcnt(56)
	v_fma_f64 v[155:156], v[1:2], v[147:148], -v[155:156]
	v_fma_f64 v[147:148], v[3:4], v[147:148], v[213:214]
	v_add_f64 v[137:138], v[137:138], v[203:204]
	v_add_f64 v[135:136], v[135:136], v[143:144]
	s_clause 0x4
	buffer_load_dword v144, off, s[0:3], 0 offset:940
	buffer_load_dword v203, off, s[0:3], 0 offset:952
	buffer_load_dword v209, off, s[0:3], 0 offset:944
	buffer_load_dword v143, off, s[0:3], 0 offset:936
	buffer_load_dword v206, off, s[0:3], 0 offset:916
	ds_read_b128 v[1:4], v192 offset:1680
	s_waitcnt vmcnt(57) lgkmcnt(1)
	v_mul_f64 v[213:214], v[5:6], v[141:142]
	v_mul_f64 v[141:142], v[7:8], v[141:142]
	s_waitcnt vmcnt(56)
	v_fma_f64 v[197:198], v[131:132], v[211:212], -v[197:198]
	v_add_f64 v[137:138], v[137:138], v[155:156]
	v_fma_f64 v[155:156], v[133:134], v[211:212], v[179:180]
	;; [unrolled: 28-line block ×3, first 2 shown]
	v_add_f64 v[135:136], v[135:136], v[153:154]
	s_clause 0x2
	buffer_load_dword v198, off, s[0:3], 0 offset:988
	buffer_load_dword v154, off, s[0:3], 0 offset:964
	;; [unrolled: 1-line block ×3, first 2 shown]
	ds_read_b128 v[1:4], v192 offset:1728
	s_waitcnt vmcnt(58) lgkmcnt(1)
	v_mul_f64 v[179:180], v[5:6], v[167:168]
	v_mul_f64 v[167:168], v[7:8], v[167:168]
	s_waitcnt vmcnt(56)
	v_fma_f64 v[145:146], v[131:132], v[163:164], -v[145:146]
	v_add_f64 v[137:138], v[137:138], v[159:160]
	v_fma_f64 v[159:160], v[133:134], v[163:164], v[212:213]
	v_add_f64 v[135:136], v[135:136], v[141:142]
	buffer_load_dword v212, off, s[0:3], 0 offset:980
	ds_read_b128 v[131:134], v192 offset:1744
	s_waitcnt vmcnt(53) lgkmcnt(1)
	v_mul_f64 v[141:142], v[1:2], v[151:152]
	v_mul_f64 v[151:152], v[3:4], v[151:152]
	s_waitcnt vmcnt(52)
	v_fma_f64 v[163:164], v[5:6], v[199:200], -v[167:168]
	v_add_f64 v[137:138], v[137:138], v[145:146]
	v_fma_f64 v[145:146], v[7:8], v[199:200], v[179:180]
	v_add_f64 v[135:136], v[135:136], v[159:160]
	ds_read_b128 v[5:8], v192 offset:1760
	s_waitcnt vmcnt(51) lgkmcnt(1)
	v_mul_f64 v[167:168], v[133:134], v[173:174]
	v_mul_f64 v[159:160], v[131:132], v[173:174]
	s_waitcnt vmcnt(49)
	v_fma_f64 v[151:152], v[1:2], v[161:162], -v[151:152]
	v_fma_f64 v[141:142], v[3:4], v[161:162], v[141:142]
	v_add_f64 v[137:138], v[137:138], v[163:164]
	v_add_f64 v[135:136], v[135:136], v[145:146]
	s_clause 0x3
	buffer_load_dword v145, off, s[0:3], 0 offset:64
	buffer_load_dword v146, off, s[0:3], 0 offset:68
	;; [unrolled: 1-line block ×4, first 2 shown]
	ds_read_b128 v[1:4], v192 offset:1776
	s_waitcnt vmcnt(49) lgkmcnt(1)
	v_mul_f64 v[163:164], v[5:6], v[157:158]
	v_mul_f64 v[157:158], v[7:8], v[157:158]
	s_waitcnt vmcnt(48)
	v_fma_f64 v[167:168], v[131:132], v[193:194], -v[167:168]
	v_add_f64 v[137:138], v[137:138], v[151:152]
	v_fma_f64 v[151:152], v[133:134], v[193:194], v[159:160]
	v_add_f64 v[135:136], v[135:136], v[141:142]
	ds_read_b128 v[131:134], v192 offset:1792
	s_waitcnt vmcnt(47) lgkmcnt(1)
	v_mul_f64 v[159:160], v[3:4], v[181:182]
	v_mul_f64 v[141:142], v[1:2], v[181:182]
	s_waitcnt vmcnt(45)
	v_fma_f64 v[157:158], v[5:6], v[169:170], -v[157:158]
	v_fma_f64 v[163:164], v[7:8], v[169:170], v[163:164]
	ds_read_b128 v[5:8], v192 offset:1808
	v_add_f64 v[137:138], v[137:138], v[167:168]
	v_add_f64 v[135:136], v[135:136], v[151:152]
	s_waitcnt vmcnt(41) lgkmcnt(1)
	v_mul_f64 v[151:152], v[131:132], v[165:166]
	v_mul_f64 v[165:166], v[133:134], v[165:166]
	s_waitcnt vmcnt(40)
	v_fma_f64 v[159:160], v[1:2], v[187:188], -v[159:160]
	v_fma_f64 v[141:142], v[3:4], v[187:188], v[141:142]
	ds_read_b128 v[1:4], v192 offset:1824
	v_add_f64 v[137:138], v[137:138], v[157:158]
	v_add_f64 v[135:136], v[135:136], v[163:164]
	s_waitcnt vmcnt(39) lgkmcnt(1)
	v_mul_f64 v[163:164], v[7:8], v[183:184]
	v_mul_f64 v[157:158], v[5:6], v[183:184]
	s_waitcnt vmcnt(37)
	v_fma_f64 v[165:166], v[131:132], v[139:140], -v[165:166]
	v_fma_f64 v[139:140], v[133:134], v[139:140], v[151:152]
	ds_read_b128 v[131:134], v192 offset:1840
	v_add_f64 v[137:138], v[137:138], v[159:160]
	v_add_f64 v[135:136], v[135:136], v[141:142]
	s_waitcnt vmcnt(33) lgkmcnt(1)
	v_mul_f64 v[151:152], v[3:4], v[171:172]
	s_waitcnt vmcnt(32)
	v_fma_f64 v[159:160], v[5:6], v[189:190], -v[163:164]
	v_mul_f64 v[141:142], v[1:2], v[171:172]
	v_fma_f64 v[157:158], v[7:8], v[189:190], v[157:158]
	ds_read_b128 v[5:8], v192 offset:1856
	v_add_f64 v[137:138], v[137:138], v[165:166]
	v_add_f64 v[135:136], v[135:136], v[139:140]
	s_waitcnt vmcnt(31) lgkmcnt(1)
	v_mul_f64 v[163:164], v[133:134], v[185:186]
	v_mul_f64 v[139:140], v[131:132], v[185:186]
	s_waitcnt vmcnt(29)
	v_fma_f64 v[151:152], v[1:2], v[177:178], -v[151:152]
	v_fma_f64 v[141:142], v[3:4], v[177:178], v[141:142]
	ds_read_b128 v[1:4], v192 offset:1872
	v_add_f64 v[137:138], v[137:138], v[159:160]
	v_add_f64 v[135:136], v[135:136], v[157:158]
	s_waitcnt vmcnt(25) lgkmcnt(1)
	v_mul_f64 v[159:160], v[7:8], v[175:176]
	s_waitcnt vmcnt(24)
	v_fma_f64 v[163:164], v[131:132], v[201:202], -v[163:164]
	v_mul_f64 v[157:158], v[5:6], v[175:176]
	v_fma_f64 v[139:140], v[133:134], v[201:202], v[139:140]
	ds_read_b128 v[131:134], v192 offset:1888
	v_add_f64 v[137:138], v[137:138], v[151:152]
	v_add_f64 v[135:136], v[135:136], v[141:142]
	s_waitcnt vmcnt(23) lgkmcnt(1)
	v_mul_f64 v[151:152], v[3:4], v[195:196]
	v_mul_f64 v[141:142], v[1:2], v[195:196]
	s_waitcnt vmcnt(21)
	v_fma_f64 v[159:160], v[5:6], v[149:150], -v[159:160]
	v_fma_f64 v[149:150], v[7:8], v[149:150], v[157:158]
	ds_read_b128 v[5:8], v192 offset:1904
	v_add_f64 v[137:138], v[137:138], v[163:164]
	v_add_f64 v[135:136], v[135:136], v[139:140]
	s_waitcnt vmcnt(17) lgkmcnt(1)
	v_mul_f64 v[139:140], v[131:132], v[143:144]
	v_mul_f64 v[143:144], v[133:134], v[143:144]
	s_waitcnt vmcnt(16)
	v_fma_f64 v[151:152], v[1:2], v[205:206], -v[151:152]
	;; [unrolled: 9-line block ×3, first 2 shown]
	v_fma_f64 v[139:140], v[133:134], v[147:148], v[139:140]
	ds_read_b128 v[131:134], v192 offset:1936
	v_add_f64 v[137:138], v[137:138], v[151:152]
	v_add_f64 v[135:136], v[135:136], v[141:142]
	s_waitcnt vmcnt(9) lgkmcnt(1)
	v_mul_f64 v[147:148], v[3:4], v[155:156]
	s_waitcnt vmcnt(8)
	v_fma_f64 v[5:6], v[5:6], v[209:210], -v[157:158]
	v_mul_f64 v[141:142], v[1:2], v[155:156]
	v_fma_f64 v[7:8], v[7:8], v[209:210], v[149:150]
	v_add_f64 v[137:138], v[137:138], v[143:144]
	v_add_f64 v[135:136], v[135:136], v[139:140]
	s_waitcnt vmcnt(7) lgkmcnt(0)
	v_mul_f64 v[143:144], v[133:134], v[197:198]
	v_mul_f64 v[139:140], v[131:132], v[197:198]
	s_waitcnt vmcnt(5)
	v_fma_f64 v[1:2], v[1:2], v[153:154], -v[147:148]
	v_fma_f64 v[3:4], v[3:4], v[153:154], v[141:142]
	v_add_f64 v[5:6], v[137:138], v[5:6]
	v_add_f64 v[7:8], v[135:136], v[7:8]
	s_waitcnt vmcnt(4)
	v_fma_f64 v[131:132], v[131:132], v[211:212], -v[143:144]
	v_add_f64 v[1:2], v[5:6], v[1:2]
	v_fma_f64 v[5:6], v[133:134], v[211:212], v[139:140]
	v_add_f64 v[3:4], v[7:8], v[3:4]
	v_add_f64 v[1:2], v[1:2], v[131:132]
	;; [unrolled: 1-line block ×3, first 2 shown]
	s_waitcnt vmcnt(2)
	v_add_f64 v[1:2], v[145:146], -v[1:2]
	s_waitcnt vmcnt(0)
	v_add_f64 v[3:4], v[161:162], -v[3:4]
	buffer_store_dword v2, off, s[0:3], 0 offset:68
	buffer_store_dword v1, off, s[0:3], 0 offset:64
	;; [unrolled: 1-line block ×4, first 2 shown]
	v_cmpx_lt_u32_e32 2, v0
	s_cbranch_execz .LBB124_387
; %bb.386:
	v_mov_b32_e32 v4, s73
	s_clause 0x3
	buffer_load_dword v1, v4, s[0:3], 0 offen
	buffer_load_dword v2, v4, s[0:3], 0 offen offset:4
	buffer_load_dword v3, v4, s[0:3], 0 offen offset:8
	;; [unrolled: 1-line block ×3, first 2 shown]
	buffer_store_dword v192, off, s[0:3], 0 offset:48
	buffer_store_dword v192, off, s[0:3], 0 offset:52
	;; [unrolled: 1-line block ×4, first 2 shown]
	s_waitcnt vmcnt(0)
	ds_write_b128 v191, v[1:4]
.LBB124_387:
	s_or_b32 exec_lo, exec_lo, s4
	s_waitcnt lgkmcnt(0)
	s_waitcnt_vscnt null, 0x0
	s_barrier
	buffer_gl0_inv
	s_clause 0x37
	buffer_load_dword v139, off, s[0:3], 0 offset:72
	buffer_load_dword v140, off, s[0:3], 0 offset:76
	;; [unrolled: 1-line block ×56, first 2 shown]
	ds_read_b128 v[5:8], v192 offset:1024
	s_clause 0x2
	buffer_load_dword v188, off, s[0:3], 0 offset:300
	buffer_load_dword v190, off, s[0:3], 0 offset:276
	;; [unrolled: 1-line block ×3, first 2 shown]
	ds_read_b128 v[1:4], v192 offset:1040
	s_clause 0x4
	buffer_load_dword v200, off, s[0:3], 0 offset:316
	buffer_load_dword v201, off, s[0:3], 0 offset:328
	;; [unrolled: 1-line block ×5, first 2 shown]
	ds_read_b128 v[193:196], v192 offset:1056
	s_mov_b32 s4, exec_lo
	s_waitcnt vmcnt(62) lgkmcnt(2)
	v_mul_f64 v[197:198], v[7:8], v[139:140]
	v_mul_f64 v[139:140], v[5:6], v[139:140]
	s_waitcnt vmcnt(60) lgkmcnt(1)
	v_mul_f64 v[204:205], v[3:4], v[135:136]
	v_mul_f64 v[135:136], v[1:2], v[135:136]
	;; [unrolled: 3-line block ×3, first 2 shown]
	v_fma_f64 v[197:198], v[5:6], v[137:138], -v[197:198]
	v_fma_f64 v[137:138], v[7:8], v[137:138], v[139:140]
	s_clause 0x2
	buffer_load_dword v202, off, s[0:3], 0 offset:332
	buffer_load_dword v140, off, s[0:3], 0 offset:308
	;; [unrolled: 1-line block ×3, first 2 shown]
	s_waitcnt vmcnt(57)
	v_fma_f64 v[208:209], v[1:2], v[131:132], -v[204:205]
	ds_read_b128 v[5:8], v192 offset:1072
	v_fma_f64 v[131:132], v[3:4], v[131:132], v[135:136]
	s_waitcnt vmcnt(51)
	v_fma_f64 v[193:194], v[193:194], v[155:156], -v[133:134]
	v_fma_f64 v[155:156], v[195:196], v[155:156], v[206:207]
	v_add_f64 v[197:198], v[197:198], 0
	v_add_f64 v[135:136], v[137:138], 0
	s_clause 0x4
	buffer_load_dword v138, off, s[0:3], 0 offset:348
	buffer_load_dword v205, off, s[0:3], 0 offset:360
	;; [unrolled: 1-line block ×5, first 2 shown]
	s_waitcnt lgkmcnt(0)
	v_mul_f64 v[211:212], v[5:6], v[143:144]
	v_mul_f64 v[143:144], v[7:8], v[143:144]
	ds_read_b128 v[1:4], v192 offset:1088
	s_clause 0x2
	buffer_load_dword v206, off, s[0:3], 0 offset:364
	buffer_load_dword v196, off, s[0:3], 0 offset:340
	;; [unrolled: 1-line block ×3, first 2 shown]
	v_add_f64 v[197:198], v[197:198], v[208:209]
	v_add_f64 v[135:136], v[135:136], v[131:132]
	ds_read_b128 v[131:134], v192 offset:1104
	s_waitcnt vmcnt(58) lgkmcnt(1)
	v_mul_f64 v[207:208], v[1:2], v[147:148]
	v_mul_f64 v[147:148], v[3:4], v[147:148]
	s_waitcnt vmcnt(56)
	v_fma_f64 v[143:144], v[5:6], v[149:150], -v[143:144]
	v_fma_f64 v[149:150], v[7:8], v[149:150], v[211:212]
	s_waitcnt vmcnt(52) lgkmcnt(0)
	v_mul_f64 v[213:214], v[131:132], v[151:152]
	v_add_f64 v[193:194], v[197:198], v[193:194]
	v_add_f64 v[135:136], v[135:136], v[155:156]
	s_clause 0x4
	buffer_load_dword v156, off, s[0:3], 0 offset:380
	buffer_load_dword v197, off, s[0:3], 0 offset:392
	;; [unrolled: 1-line block ×5, first 2 shown]
	v_mul_f64 v[151:152], v[133:134], v[151:152]
	s_waitcnt vmcnt(56)
	v_fma_f64 v[147:148], v[1:2], v[141:142], -v[147:148]
	ds_read_b128 v[5:8], v192 offset:1120
	v_fma_f64 v[141:142], v[3:4], v[141:142], v[207:208]
	v_add_f64 v[143:144], v[193:194], v[143:144]
	v_add_f64 v[135:136], v[135:136], v[149:150]
	s_clause 0x2
	buffer_load_dword v198, off, s[0:3], 0 offset:396
	buffer_load_dword v150, off, s[0:3], 0 offset:372
	;; [unrolled: 1-line block ×3, first 2 shown]
	s_waitcnt vmcnt(58) lgkmcnt(0)
	v_mul_f64 v[193:194], v[5:6], v[157:158]
	v_mul_f64 v[157:158], v[7:8], v[157:158]
	s_waitcnt vmcnt(56)
	v_fma_f64 v[151:152], v[131:132], v[159:160], -v[151:152]
	ds_read_b128 v[1:4], v192 offset:1136
	v_add_f64 v[143:144], v[143:144], v[147:148]
	v_fma_f64 v[147:148], v[133:134], v[159:160], v[213:214]
	v_add_f64 v[135:136], v[135:136], v[141:142]
	s_clause 0x4
	buffer_load_dword v142, off, s[0:3], 0 offset:412
	buffer_load_dword v159, off, s[0:3], 0 offset:424
	;; [unrolled: 1-line block ×5, first 2 shown]
	s_waitcnt vmcnt(57) lgkmcnt(0)
	v_mul_f64 v[208:209], v[1:2], v[161:162]
	v_mul_f64 v[161:162], v[3:4], v[161:162]
	s_waitcnt vmcnt(56)
	v_fma_f64 v[157:158], v[5:6], v[145:146], -v[157:158]
	ds_read_b128 v[131:134], v192 offset:1152
	v_fma_f64 v[145:146], v[7:8], v[145:146], v[193:194]
	v_add_f64 v[143:144], v[143:144], v[151:152]
	v_add_f64 v[135:136], v[135:136], v[147:148]
	s_clause 0x2
	buffer_load_dword v160, off, s[0:3], 0 offset:428
	buffer_load_dword v148, off, s[0:3], 0 offset:404
	;; [unrolled: 1-line block ×3, first 2 shown]
	ds_read_b128 v[5:8], v192 offset:1168
	s_waitcnt vmcnt(58) lgkmcnt(1)
	v_mul_f64 v[151:152], v[131:132], v[165:166]
	v_mul_f64 v[165:166], v[133:134], v[165:166]
	s_waitcnt vmcnt(56)
	v_fma_f64 v[161:162], v[1:2], v[167:168], -v[161:162]
	v_add_f64 v[143:144], v[143:144], v[157:158]
	v_fma_f64 v[157:158], v[3:4], v[167:168], v[208:209]
	v_add_f64 v[135:136], v[135:136], v[145:146]
	s_clause 0x4
	buffer_load_dword v146, off, s[0:3], 0 offset:444
	buffer_load_dword v167, off, s[0:3], 0 offset:456
	;; [unrolled: 1-line block ×5, first 2 shown]
	s_waitcnt vmcnt(57) lgkmcnt(0)
	v_mul_f64 v[214:215], v[5:6], v[169:170]
	v_mul_f64 v[169:170], v[7:8], v[169:170]
	s_waitcnt vmcnt(56)
	v_fma_f64 v[165:166], v[131:132], v[153:154], -v[165:166]
	ds_read_b128 v[1:4], v192 offset:1184
	v_fma_f64 v[151:152], v[133:134], v[153:154], v[151:152]
	s_clause 0x2
	buffer_load_dword v168, off, s[0:3], 0 offset:460
	buffer_load_dword v154, off, s[0:3], 0 offset:436
	;; [unrolled: 1-line block ×3, first 2 shown]
	ds_read_b128 v[131:134], v192 offset:1200
	v_add_f64 v[143:144], v[143:144], v[161:162]
	v_add_f64 v[135:136], v[135:136], v[157:158]
	s_waitcnt vmcnt(58) lgkmcnt(1)
	v_mul_f64 v[161:162], v[3:4], v[173:174]
	s_waitcnt vmcnt(56)
	v_fma_f64 v[169:170], v[5:6], v[175:176], -v[169:170]
	v_mul_f64 v[157:158], v[1:2], v[173:174]
	v_add_f64 v[143:144], v[143:144], v[165:166]
	v_fma_f64 v[165:166], v[7:8], v[175:176], v[214:215]
	v_add_f64 v[135:136], v[135:136], v[151:152]
	s_clause 0x4
	buffer_load_dword v152, off, s[0:3], 0 offset:476
	buffer_load_dword v173, off, s[0:3], 0 offset:488
	;; [unrolled: 1-line block ×5, first 2 shown]
	s_waitcnt vmcnt(57) lgkmcnt(0)
	v_mul_f64 v[214:215], v[131:132], v[177:178]
	v_mul_f64 v[176:177], v[133:134], v[177:178]
	s_waitcnt vmcnt(56)
	v_fma_f64 v[161:162], v[1:2], v[163:164], -v[161:162]
	ds_read_b128 v[5:8], v192 offset:1216
	v_fma_f64 v[157:158], v[3:4], v[163:164], v[157:158]
	s_clause 0x2
	buffer_load_dword v174, off, s[0:3], 0 offset:492
	buffer_load_dword v164, off, s[0:3], 0 offset:468
	;; [unrolled: 1-line block ×3, first 2 shown]
	ds_read_b128 v[1:4], v192 offset:1232
	v_add_f64 v[143:144], v[143:144], v[169:170]
	v_add_f64 v[135:136], v[135:136], v[165:166]
	s_waitcnt vmcnt(58) lgkmcnt(1)
	v_mul_f64 v[169:170], v[7:8], v[181:182]
	s_waitcnt vmcnt(56)
	v_fma_f64 v[177:178], v[131:132], v[183:184], -v[176:177]
	v_mul_f64 v[165:166], v[5:6], v[181:182]
	v_add_f64 v[143:144], v[143:144], v[161:162]
	v_fma_f64 v[161:162], v[133:134], v[183:184], v[214:215]
	v_add_f64 v[135:136], v[135:136], v[157:158]
	s_clause 0x4
	buffer_load_dword v158, off, s[0:3], 0 offset:508
	buffer_load_dword v181, off, s[0:3], 0 offset:520
	;; [unrolled: 1-line block ×5, first 2 shown]
	s_waitcnt vmcnt(57) lgkmcnt(0)
	v_mul_f64 v[214:215], v[1:2], v[185:186]
	v_mul_f64 v[184:185], v[3:4], v[185:186]
	s_waitcnt vmcnt(56)
	v_fma_f64 v[169:170], v[5:6], v[171:172], -v[169:170]
	ds_read_b128 v[131:134], v192 offset:1248
	v_fma_f64 v[165:166], v[7:8], v[171:172], v[165:166]
	v_add_f64 v[143:144], v[143:144], v[177:178]
	v_add_f64 v[135:136], v[135:136], v[161:162]
	s_clause 0x2
	buffer_load_dword v182, off, s[0:3], 0 offset:524
	buffer_load_dword v162, off, s[0:3], 0 offset:500
	buffer_load_dword v161, off, s[0:3], 0 offset:496
	ds_read_b128 v[5:8], v192 offset:1264
	s_waitcnt vmcnt(58) lgkmcnt(1)
	v_mul_f64 v[177:178], v[133:134], v[187:188]
	s_waitcnt vmcnt(56)
	v_fma_f64 v[185:186], v[1:2], v[189:190], -v[184:185]
	v_mul_f64 v[171:172], v[131:132], v[187:188]
	v_add_f64 v[143:144], v[143:144], v[169:170]
	v_fma_f64 v[169:170], v[3:4], v[189:190], v[214:215]
	v_add_f64 v[135:136], v[135:136], v[165:166]
	s_clause 0x4
	buffer_load_dword v166, off, s[0:3], 0 offset:540
	buffer_load_dword v187, off, s[0:3], 0 offset:552
	buffer_load_dword v189, off, s[0:3], 0 offset:544
	buffer_load_dword v165, off, s[0:3], 0 offset:536
	buffer_load_dword v184, off, s[0:3], 0 offset:516
	s_waitcnt vmcnt(57) lgkmcnt(0)
	v_mul_f64 v[214:215], v[5:6], v[199:200]
	v_mul_f64 v[199:200], v[7:8], v[199:200]
	s_waitcnt vmcnt(56)
	v_fma_f64 v[177:178], v[131:132], v[179:180], -v[177:178]
	ds_read_b128 v[1:4], v192 offset:1280
	v_fma_f64 v[171:172], v[133:134], v[179:180], v[171:172]
	v_add_f64 v[143:144], v[143:144], v[185:186]
	v_add_f64 v[135:136], v[135:136], v[169:170]
	s_clause 0x2
	buffer_load_dword v188, off, s[0:3], 0 offset:556
	buffer_load_dword v170, off, s[0:3], 0 offset:532
	buffer_load_dword v169, off, s[0:3], 0 offset:528
	ds_read_b128 v[131:134], v192 offset:1296
	s_waitcnt vmcnt(58) lgkmcnt(1)
	v_mul_f64 v[185:186], v[3:4], v[201:202]
	v_mul_f64 v[179:180], v[1:2], v[201:202]
	s_waitcnt vmcnt(56)
	v_fma_f64 v[199:200], v[5:6], v[139:140], -v[199:200]
	v_fma_f64 v[139:140], v[7:8], v[139:140], v[214:215]
	v_add_f64 v[143:144], v[143:144], v[177:178]
	v_add_f64 v[135:136], v[135:136], v[171:172]
	s_clause 0x4
	buffer_load_dword v172, off, s[0:3], 0 offset:572
	buffer_load_dword v177, off, s[0:3], 0 offset:584
	;; [unrolled: 1-line block ×5, first 2 shown]
	ds_read_b128 v[5:8], v192 offset:1312
	s_waitcnt vmcnt(57) lgkmcnt(1)
	v_mul_f64 v[214:215], v[131:132], v[137:138]
	v_mul_f64 v[137:138], v[133:134], v[137:138]
	s_waitcnt vmcnt(56)
	v_fma_f64 v[185:186], v[1:2], v[203:204], -v[185:186]
	v_fma_f64 v[179:180], v[3:4], v[203:204], v[179:180]
	v_add_f64 v[143:144], v[143:144], v[199:200]
	v_add_f64 v[135:136], v[135:136], v[139:140]
	s_clause 0x2
	buffer_load_dword v178, off, s[0:3], 0 offset:588
	buffer_load_dword v140, off, s[0:3], 0 offset:564
	;; [unrolled: 1-line block ×3, first 2 shown]
	s_waitcnt vmcnt(58) lgkmcnt(0)
	v_mul_f64 v[203:204], v[7:8], v[205:206]
	ds_read_b128 v[1:4], v192 offset:1328
	v_mul_f64 v[199:200], v[5:6], v[205:206]
	s_waitcnt vmcnt(56)
	v_fma_f64 v[137:138], v[131:132], v[195:196], -v[137:138]
	v_add_f64 v[143:144], v[143:144], v[185:186]
	v_fma_f64 v[185:186], v[133:134], v[195:196], v[214:215]
	v_add_f64 v[135:136], v[135:136], v[179:180]
	s_clause 0x4
	buffer_load_dword v180, off, s[0:3], 0 offset:604
	buffer_load_dword v195, off, s[0:3], 0 offset:616
	;; [unrolled: 1-line block ×5, first 2 shown]
	ds_read_b128 v[131:134], v192 offset:1344
	s_waitcnt vmcnt(57) lgkmcnt(1)
	v_mul_f64 v[214:215], v[1:2], v[155:156]
	v_mul_f64 v[155:156], v[3:4], v[155:156]
	s_waitcnt vmcnt(56)
	v_fma_f64 v[203:204], v[5:6], v[210:211], -v[203:204]
	v_add_f64 v[137:138], v[143:144], v[137:138]
	v_fma_f64 v[143:144], v[7:8], v[210:211], v[199:200]
	v_add_f64 v[135:136], v[135:136], v[185:186]
	s_clause 0x2
	buffer_load_dword v196, off, s[0:3], 0 offset:620
	buffer_load_dword v186, off, s[0:3], 0 offset:596
	;; [unrolled: 1-line block ×3, first 2 shown]
	ds_read_b128 v[5:8], v192 offset:1360
	s_waitcnt vmcnt(58) lgkmcnt(1)
	v_mul_f64 v[199:200], v[131:132], v[197:198]
	v_mul_f64 v[197:198], v[133:134], v[197:198]
	s_waitcnt vmcnt(56)
	v_fma_f64 v[155:156], v[1:2], v[149:150], -v[155:156]
	v_fma_f64 v[149:150], v[3:4], v[149:150], v[214:215]
	v_add_f64 v[137:138], v[137:138], v[203:204]
	v_add_f64 v[135:136], v[135:136], v[143:144]
	s_clause 0x4
	buffer_load_dword v144, off, s[0:3], 0 offset:636
	buffer_load_dword v203, off, s[0:3], 0 offset:648
	;; [unrolled: 1-line block ×5, first 2 shown]
	ds_read_b128 v[1:4], v192 offset:1376
	s_waitcnt vmcnt(57) lgkmcnt(1)
	v_mul_f64 v[210:211], v[5:6], v[141:142]
	v_mul_f64 v[141:142], v[7:8], v[141:142]
	s_waitcnt vmcnt(56)
	v_fma_f64 v[197:198], v[131:132], v[212:213], -v[197:198]
	v_add_f64 v[137:138], v[137:138], v[155:156]
	v_fma_f64 v[155:156], v[133:134], v[212:213], v[199:200]
	v_add_f64 v[135:136], v[135:136], v[149:150]
	s_clause 0x2
	buffer_load_dword v204, off, s[0:3], 0 offset:652
	buffer_load_dword v150, off, s[0:3], 0 offset:628
	;; [unrolled: 1-line block ×3, first 2 shown]
	ds_read_b128 v[131:134], v192 offset:1392
	s_waitcnt vmcnt(58) lgkmcnt(1)
	v_mul_f64 v[199:200], v[1:2], v[159:160]
	v_mul_f64 v[159:160], v[3:4], v[159:160]
	s_waitcnt vmcnt(56)
	v_fma_f64 v[141:142], v[5:6], v[147:148], -v[141:142]
	v_fma_f64 v[147:148], v[7:8], v[147:148], v[210:211]
	v_add_f64 v[137:138], v[137:138], v[197:198]
	v_add_f64 v[135:136], v[135:136], v[155:156]
	s_clause 0x4
	buffer_load_dword v156, off, s[0:3], 0 offset:668
	buffer_load_dword v197, off, s[0:3], 0 offset:680
	;; [unrolled: 1-line block ×5, first 2 shown]
	ds_read_b128 v[5:8], v192 offset:1408
	s_waitcnt vmcnt(57) lgkmcnt(1)
	v_mul_f64 v[212:213], v[131:132], v[145:146]
	v_mul_f64 v[145:146], v[133:134], v[145:146]
	s_waitcnt vmcnt(56)
	v_fma_f64 v[159:160], v[1:2], v[207:208], -v[159:160]
	v_add_f64 v[137:138], v[137:138], v[141:142]
	v_fma_f64 v[141:142], v[3:4], v[207:208], v[199:200]
	v_add_f64 v[135:136], v[135:136], v[147:148]
	s_clause 0x2
	buffer_load_dword v198, off, s[0:3], 0 offset:684
	buffer_load_dword v148, off, s[0:3], 0 offset:660
	;; [unrolled: 1-line block ×3, first 2 shown]
	s_waitcnt vmcnt(58) lgkmcnt(0)
	v_mul_f64 v[199:200], v[5:6], v[167:168]
	v_mul_f64 v[167:168], v[7:8], v[167:168]
	ds_read_b128 v[1:4], v192 offset:1424
	s_waitcnt vmcnt(56)
	v_fma_f64 v[145:146], v[131:132], v[153:154], -v[145:146]
	v_fma_f64 v[153:154], v[133:134], v[153:154], v[212:213]
	v_add_f64 v[137:138], v[137:138], v[159:160]
	v_add_f64 v[135:136], v[135:136], v[141:142]
	s_clause 0x4
	buffer_load_dword v142, off, s[0:3], 0 offset:700
	buffer_load_dword v159, off, s[0:3], 0 offset:712
	;; [unrolled: 1-line block ×5, first 2 shown]
	ds_read_b128 v[131:134], v192 offset:1440
	s_waitcnt vmcnt(57) lgkmcnt(1)
	v_mul_f64 v[213:214], v[1:2], v[151:152]
	v_mul_f64 v[151:152], v[3:4], v[151:152]
	s_waitcnt vmcnt(56)
	v_fma_f64 v[167:168], v[5:6], v[193:194], -v[167:168]
	v_add_f64 v[137:138], v[137:138], v[145:146]
	v_fma_f64 v[145:146], v[7:8], v[193:194], v[199:200]
	v_add_f64 v[135:136], v[135:136], v[153:154]
	s_clause 0x2
	buffer_load_dword v160, off, s[0:3], 0 offset:716
	buffer_load_dword v154, off, s[0:3], 0 offset:692
	;; [unrolled: 1-line block ×3, first 2 shown]
	s_waitcnt vmcnt(58) lgkmcnt(0)
	v_mul_f64 v[193:194], v[131:132], v[173:174]
	v_mul_f64 v[173:174], v[133:134], v[173:174]
	ds_read_b128 v[5:8], v192 offset:1456
	s_waitcnt vmcnt(56)
	v_fma_f64 v[151:152], v[1:2], v[163:164], -v[151:152]
	v_fma_f64 v[163:164], v[3:4], v[163:164], v[213:214]
	v_add_f64 v[137:138], v[137:138], v[167:168]
	v_add_f64 v[135:136], v[135:136], v[145:146]
	s_clause 0x4
	buffer_load_dword v146, off, s[0:3], 0 offset:732
	buffer_load_dword v167, off, s[0:3], 0 offset:744
	buffer_load_dword v199, off, s[0:3], 0 offset:736
	buffer_load_dword v145, off, s[0:3], 0 offset:728
	buffer_load_dword v208, off, s[0:3], 0 offset:708
	ds_read_b128 v[1:4], v192 offset:1472
	s_waitcnt vmcnt(57) lgkmcnt(1)
	v_mul_f64 v[213:214], v[5:6], v[157:158]
	v_mul_f64 v[157:158], v[7:8], v[157:158]
	s_waitcnt vmcnt(56)
	v_fma_f64 v[173:174], v[131:132], v[175:176], -v[173:174]
	v_add_f64 v[137:138], v[137:138], v[151:152]
	v_fma_f64 v[151:152], v[133:134], v[175:176], v[193:194]
	v_add_f64 v[135:136], v[135:136], v[163:164]
	s_clause 0x2
	buffer_load_dword v168, off, s[0:3], 0 offset:748
	buffer_load_dword v164, off, s[0:3], 0 offset:724
	buffer_load_dword v163, off, s[0:3], 0 offset:720
	ds_read_b128 v[131:134], v192 offset:1488
	s_waitcnt vmcnt(58) lgkmcnt(1)
	v_mul_f64 v[175:176], v[1:2], v[181:182]
	v_mul_f64 v[181:182], v[3:4], v[181:182]
	s_waitcnt vmcnt(56)
	v_fma_f64 v[157:158], v[5:6], v[161:162], -v[157:158]
	v_fma_f64 v[161:162], v[7:8], v[161:162], v[213:214]
	v_add_f64 v[137:138], v[137:138], v[173:174]
	v_add_f64 v[135:136], v[135:136], v[151:152]
	s_clause 0x4
	buffer_load_dword v152, off, s[0:3], 0 offset:764
	buffer_load_dword v173, off, s[0:3], 0 offset:776
	buffer_load_dword v193, off, s[0:3], 0 offset:768
	buffer_load_dword v151, off, s[0:3], 0 offset:760
	buffer_load_dword v200, off, s[0:3], 0 offset:740
	ds_read_b128 v[5:8], v192 offset:1504
	s_waitcnt vmcnt(57) lgkmcnt(1)
	v_mul_f64 v[213:214], v[131:132], v[165:166]
	v_mul_f64 v[165:166], v[133:134], v[165:166]
	s_waitcnt vmcnt(56)
	v_fma_f64 v[181:182], v[1:2], v[183:184], -v[181:182]
	v_add_f64 v[137:138], v[137:138], v[157:158]
	v_fma_f64 v[157:158], v[3:4], v[183:184], v[175:176]
	v_add_f64 v[135:136], v[135:136], v[161:162]
	s_clause 0x2
	buffer_load_dword v174, off, s[0:3], 0 offset:780
	buffer_load_dword v162, off, s[0:3], 0 offset:756
	buffer_load_dword v161, off, s[0:3], 0 offset:752
	ds_read_b128 v[1:4], v192 offset:1520
	s_waitcnt vmcnt(58) lgkmcnt(1)
	v_mul_f64 v[183:184], v[7:8], v[187:188]
	v_mul_f64 v[175:176], v[5:6], v[187:188]
	;; [unrolled: 28-line block ×4, first 2 shown]
	s_waitcnt vmcnt(56)
	v_fma_f64 v[179:180], v[5:6], v[185:186], -v[179:180]
	v_add_f64 v[137:138], v[137:138], v[177:178]
	v_fma_f64 v[177:178], v[7:8], v[185:186], v[213:214]
	v_add_f64 v[135:136], v[135:136], v[171:172]
	s_clause 0x4
	buffer_load_dword v172, off, s[0:3], 0 offset:860
	buffer_load_dword v185, off, s[0:3], 0 offset:872
	;; [unrolled: 1-line block ×5, first 2 shown]
	ds_read_b128 v[5:8], v192 offset:1600
	s_waitcnt vmcnt(57) lgkmcnt(1)
	v_mul_f64 v[213:214], v[131:132], v[143:144]
	v_mul_f64 v[143:144], v[133:134], v[143:144]
	s_waitcnt vmcnt(56)
	v_fma_f64 v[195:196], v[1:2], v[205:206], -v[195:196]
	v_fma_f64 v[175:176], v[3:4], v[205:206], v[175:176]
	v_add_f64 v[137:138], v[137:138], v[179:180]
	v_add_f64 v[135:136], v[135:136], v[177:178]
	s_clause 0x2
	buffer_load_dword v186, off, s[0:3], 0 offset:876
	buffer_load_dword v178, off, s[0:3], 0 offset:852
	buffer_load_dword v177, off, s[0:3], 0 offset:848
	ds_read_b128 v[1:4], v192 offset:1616
	s_waitcnt vmcnt(58) lgkmcnt(1)
	v_mul_f64 v[179:180], v[5:6], v[203:204]
	v_mul_f64 v[203:204], v[7:8], v[203:204]
	s_waitcnt vmcnt(56)
	v_fma_f64 v[143:144], v[131:132], v[149:150], -v[143:144]
	v_fma_f64 v[149:150], v[133:134], v[149:150], v[213:214]
	v_add_f64 v[137:138], v[137:138], v[195:196]
	v_add_f64 v[135:136], v[135:136], v[175:176]
	s_clause 0x4
	buffer_load_dword v176, off, s[0:3], 0 offset:892
	buffer_load_dword v195, off, s[0:3], 0 offset:904
	buffer_load_dword v205, off, s[0:3], 0 offset:896
	buffer_load_dword v175, off, s[0:3], 0 offset:888
	buffer_load_dword v202, off, s[0:3], 0 offset:868
	ds_read_b128 v[131:134], v192 offset:1632
	s_waitcnt vmcnt(57) lgkmcnt(1)
	v_mul_f64 v[213:214], v[1:2], v[155:156]
	v_mul_f64 v[155:156], v[3:4], v[155:156]
	s_waitcnt vmcnt(56)
	v_fma_f64 v[203:204], v[5:6], v[209:210], -v[203:204]
	v_add_f64 v[137:138], v[137:138], v[143:144]
	v_fma_f64 v[143:144], v[7:8], v[209:210], v[179:180]
	v_add_f64 v[135:136], v[135:136], v[149:150]
	s_clause 0x2
	buffer_load_dword v196, off, s[0:3], 0 offset:908
	buffer_load_dword v150, off, s[0:3], 0 offset:884
	buffer_load_dword v149, off, s[0:3], 0 offset:880
	ds_read_b128 v[5:8], v192 offset:1648
	s_waitcnt vmcnt(58) lgkmcnt(1)
	v_mul_f64 v[179:180], v[131:132], v[197:198]
	v_mul_f64 v[197:198], v[133:134], v[197:198]
	s_waitcnt vmcnt(56)
	v_fma_f64 v[155:156], v[1:2], v[147:148], -v[155:156]
	v_fma_f64 v[147:148], v[3:4], v[147:148], v[213:214]
	v_add_f64 v[137:138], v[137:138], v[203:204]
	v_add_f64 v[135:136], v[135:136], v[143:144]
	s_clause 0x4
	buffer_load_dword v144, off, s[0:3], 0 offset:924
	buffer_load_dword v203, off, s[0:3], 0 offset:936
	buffer_load_dword v209, off, s[0:3], 0 offset:928
	buffer_load_dword v143, off, s[0:3], 0 offset:920
	buffer_load_dword v206, off, s[0:3], 0 offset:900
	ds_read_b128 v[1:4], v192 offset:1664
	s_waitcnt vmcnt(57) lgkmcnt(1)
	v_mul_f64 v[213:214], v[5:6], v[141:142]
	v_mul_f64 v[141:142], v[7:8], v[141:142]
	s_waitcnt vmcnt(56)
	v_fma_f64 v[197:198], v[131:132], v[211:212], -v[197:198]
	v_add_f64 v[137:138], v[137:138], v[155:156]
	v_fma_f64 v[155:156], v[133:134], v[211:212], v[179:180]
	;; [unrolled: 28-line block ×3, first 2 shown]
	v_add_f64 v[135:136], v[135:136], v[153:154]
	s_clause 0x2
	buffer_load_dword v198, off, s[0:3], 0 offset:972
	buffer_load_dword v154, off, s[0:3], 0 offset:948
	;; [unrolled: 1-line block ×3, first 2 shown]
	ds_read_b128 v[1:4], v192 offset:1712
	s_waitcnt vmcnt(58) lgkmcnt(1)
	v_mul_f64 v[179:180], v[5:6], v[167:168]
	v_mul_f64 v[167:168], v[7:8], v[167:168]
	s_waitcnt vmcnt(56)
	v_fma_f64 v[145:146], v[131:132], v[163:164], -v[145:146]
	v_add_f64 v[137:138], v[137:138], v[159:160]
	v_fma_f64 v[159:160], v[133:134], v[163:164], v[212:213]
	v_add_f64 v[135:136], v[135:136], v[141:142]
	s_clause 0x2
	buffer_load_dword v142, off, s[0:3], 0 offset:988
	buffer_load_dword v141, off, s[0:3], 0 offset:984
	;; [unrolled: 1-line block ×3, first 2 shown]
	ds_read_b128 v[131:134], v192 offset:1728
	s_waitcnt vmcnt(55) lgkmcnt(1)
	v_mul_f64 v[163:164], v[1:2], v[151:152]
	v_mul_f64 v[151:152], v[3:4], v[151:152]
	s_waitcnt vmcnt(54)
	v_fma_f64 v[167:168], v[5:6], v[199:200], -v[167:168]
	v_add_f64 v[137:138], v[137:138], v[145:146]
	v_fma_f64 v[145:146], v[7:8], v[199:200], v[179:180]
	v_add_f64 v[135:136], v[135:136], v[159:160]
	s_clause 0x1
	buffer_load_dword v160, off, s[0:3], 0 offset:980
	buffer_load_dword v159, off, s[0:3], 0 offset:976
	ds_read_b128 v[5:8], v192 offset:1744
	s_waitcnt vmcnt(55) lgkmcnt(1)
	v_mul_f64 v[179:180], v[131:132], v[173:174]
	v_mul_f64 v[173:174], v[133:134], v[173:174]
	s_waitcnt vmcnt(53)
	v_fma_f64 v[151:152], v[1:2], v[161:162], -v[151:152]
	v_fma_f64 v[161:162], v[3:4], v[161:162], v[163:164]
	ds_read_b128 v[1:4], v192 offset:1760
	v_add_f64 v[137:138], v[137:138], v[167:168]
	v_add_f64 v[135:136], v[135:136], v[145:146]
	s_waitcnt vmcnt(49) lgkmcnt(1)
	v_mul_f64 v[145:146], v[5:6], v[157:158]
	v_mul_f64 v[157:158], v[7:8], v[157:158]
	s_waitcnt vmcnt(48)
	v_fma_f64 v[163:164], v[131:132], v[193:194], -v[173:174]
	v_add_f64 v[137:138], v[137:138], v[151:152]
	v_fma_f64 v[151:152], v[133:134], v[193:194], v[179:180]
	v_add_f64 v[135:136], v[135:136], v[161:162]
	s_clause 0x3
	buffer_load_dword v161, off, s[0:3], 0 offset:48
	buffer_load_dword v162, off, s[0:3], 0 offset:52
	;; [unrolled: 1-line block ×4, first 2 shown]
	ds_read_b128 v[131:134], v192 offset:1776
	s_waitcnt vmcnt(51) lgkmcnt(1)
	v_mul_f64 v[179:180], v[3:4], v[181:182]
	v_mul_f64 v[173:174], v[1:2], v[181:182]
	s_waitcnt vmcnt(49)
	v_fma_f64 v[157:158], v[5:6], v[169:170], -v[157:158]
	v_fma_f64 v[145:146], v[7:8], v[169:170], v[145:146]
	ds_read_b128 v[5:8], v192 offset:1792
	v_add_f64 v[137:138], v[137:138], v[163:164]
	v_add_f64 v[135:136], v[135:136], v[151:152]
	s_waitcnt vmcnt(45) lgkmcnt(1)
	v_mul_f64 v[151:152], v[131:132], v[165:166]
	v_mul_f64 v[163:164], v[133:134], v[165:166]
	s_waitcnt vmcnt(44)
	v_fma_f64 v[165:166], v[1:2], v[187:188], -v[179:180]
	v_add_f64 v[137:138], v[137:138], v[157:158]
	v_fma_f64 v[157:158], v[3:4], v[187:188], v[173:174]
	v_add_f64 v[135:136], v[135:136], v[145:146]
	ds_read_b128 v[1:4], v192 offset:1808
	s_waitcnt vmcnt(43) lgkmcnt(1)
	v_mul_f64 v[169:170], v[7:8], v[183:184]
	v_mul_f64 v[145:146], v[5:6], v[183:184]
	s_waitcnt vmcnt(41)
	v_fma_f64 v[163:164], v[131:132], v[139:140], -v[163:164]
	v_fma_f64 v[139:140], v[133:134], v[139:140], v[151:152]
	ds_read_b128 v[131:134], v192 offset:1824
	v_add_f64 v[137:138], v[137:138], v[165:166]
	v_add_f64 v[135:136], v[135:136], v[157:158]
	s_waitcnt vmcnt(37) lgkmcnt(1)
	v_mul_f64 v[157:158], v[3:4], v[171:172]
	s_waitcnt vmcnt(36)
	v_fma_f64 v[165:166], v[5:6], v[189:190], -v[169:170]
	v_mul_f64 v[151:152], v[1:2], v[171:172]
	v_fma_f64 v[145:146], v[7:8], v[189:190], v[145:146]
	ds_read_b128 v[5:8], v192 offset:1840
	v_add_f64 v[137:138], v[137:138], v[163:164]
	v_add_f64 v[135:136], v[135:136], v[139:140]
	s_waitcnt vmcnt(35) lgkmcnt(1)
	v_mul_f64 v[163:164], v[133:134], v[185:186]
	v_mul_f64 v[139:140], v[131:132], v[185:186]
	s_waitcnt vmcnt(33)
	v_fma_f64 v[157:158], v[1:2], v[177:178], -v[157:158]
	v_fma_f64 v[151:152], v[3:4], v[177:178], v[151:152]
	ds_read_b128 v[1:4], v192 offset:1856
	v_add_f64 v[137:138], v[137:138], v[165:166]
	v_add_f64 v[135:136], v[135:136], v[145:146]
	s_waitcnt vmcnt(29) lgkmcnt(1)
	v_mul_f64 v[165:166], v[7:8], v[175:176]
	s_waitcnt vmcnt(28)
	v_fma_f64 v[163:164], v[131:132], v[201:202], -v[163:164]
	v_mul_f64 v[145:146], v[5:6], v[175:176]
	v_fma_f64 v[139:140], v[133:134], v[201:202], v[139:140]
	ds_read_b128 v[131:134], v192 offset:1872
	v_add_f64 v[137:138], v[137:138], v[157:158]
	v_add_f64 v[135:136], v[135:136], v[151:152]
	s_waitcnt vmcnt(27) lgkmcnt(1)
	v_mul_f64 v[157:158], v[3:4], v[195:196]
	v_mul_f64 v[151:152], v[1:2], v[195:196]
	s_waitcnt vmcnt(25)
	v_fma_f64 v[165:166], v[5:6], v[149:150], -v[165:166]
	v_fma_f64 v[145:146], v[7:8], v[149:150], v[145:146]
	ds_read_b128 v[5:8], v192 offset:1888
	v_add_f64 v[137:138], v[137:138], v[163:164]
	v_add_f64 v[135:136], v[135:136], v[139:140]
	s_waitcnt vmcnt(21) lgkmcnt(1)
	v_mul_f64 v[139:140], v[131:132], v[143:144]
	v_mul_f64 v[143:144], v[133:134], v[143:144]
	s_waitcnt vmcnt(20)
	v_fma_f64 v[149:150], v[1:2], v[205:206], -v[157:158]
	;; [unrolled: 9-line block ×3, first 2 shown]
	v_fma_f64 v[139:140], v[133:134], v[147:148], v[139:140]
	ds_read_b128 v[131:134], v192 offset:1920
	v_add_f64 v[137:138], v[137:138], v[149:150]
	v_add_f64 v[135:136], v[135:136], v[151:152]
	s_waitcnt vmcnt(13) lgkmcnt(1)
	v_mul_f64 v[149:150], v[3:4], v[155:156]
	s_waitcnt vmcnt(12)
	v_fma_f64 v[151:152], v[5:6], v[209:210], -v[157:158]
	v_mul_f64 v[147:148], v[1:2], v[155:156]
	v_add_f64 v[137:138], v[137:138], v[143:144]
	v_fma_f64 v[143:144], v[7:8], v[209:210], v[145:146]
	v_add_f64 v[135:136], v[135:136], v[139:140]
	ds_read_b128 v[5:8], v192 offset:1936
	s_waitcnt vmcnt(11) lgkmcnt(1)
	v_mul_f64 v[145:146], v[133:134], v[197:198]
	v_mul_f64 v[139:140], v[131:132], v[197:198]
	s_waitcnt vmcnt(9)
	v_fma_f64 v[1:2], v[1:2], v[153:154], -v[149:150]
	v_fma_f64 v[3:4], v[3:4], v[153:154], v[147:148]
	v_add_f64 v[137:138], v[137:138], v[151:152]
	v_add_f64 v[135:136], v[135:136], v[143:144]
	s_waitcnt vmcnt(7) lgkmcnt(0)
	v_mul_f64 v[143:144], v[5:6], v[141:142]
	v_mul_f64 v[141:142], v[7:8], v[141:142]
	s_waitcnt vmcnt(6)
	v_fma_f64 v[131:132], v[131:132], v[211:212], -v[145:146]
	v_fma_f64 v[133:134], v[133:134], v[211:212], v[139:140]
	v_add_f64 v[1:2], v[137:138], v[1:2]
	v_add_f64 v[3:4], v[135:136], v[3:4]
	s_waitcnt vmcnt(4)
	v_fma_f64 v[5:6], v[5:6], v[159:160], -v[141:142]
	v_fma_f64 v[7:8], v[7:8], v[159:160], v[143:144]
	v_add_f64 v[1:2], v[1:2], v[131:132]
	v_add_f64 v[3:4], v[3:4], v[133:134]
	;; [unrolled: 1-line block ×4, first 2 shown]
	s_waitcnt vmcnt(2)
	v_add_f64 v[1:2], v[161:162], -v[1:2]
	s_waitcnt vmcnt(0)
	v_add_f64 v[3:4], v[167:168], -v[3:4]
	buffer_store_dword v2, off, s[0:3], 0 offset:52
	buffer_store_dword v1, off, s[0:3], 0 offset:48
	;; [unrolled: 1-line block ×4, first 2 shown]
	v_cmpx_lt_u32_e32 1, v0
	s_cbranch_execz .LBB124_389
; %bb.388:
	v_mov_b32_e32 v4, s74
	v_mov_b32_e32 v5, 0
	s_clause 0x3
	buffer_load_dword v1, v4, s[0:3], 0 offen
	buffer_load_dword v2, v4, s[0:3], 0 offen offset:4
	buffer_load_dword v3, v4, s[0:3], 0 offen offset:8
	;; [unrolled: 1-line block ×3, first 2 shown]
	buffer_store_dword v5, off, s[0:3], 0 offset:32
	buffer_store_dword v5, off, s[0:3], 0 offset:36
	;; [unrolled: 1-line block ×4, first 2 shown]
	s_waitcnt vmcnt(0)
	ds_write_b128 v191, v[1:4]
.LBB124_389:
	s_or_b32 exec_lo, exec_lo, s4
	s_waitcnt lgkmcnt(0)
	s_waitcnt_vscnt null, 0x0
	s_barrier
	buffer_gl0_inv
	s_clause 0x37
	buffer_load_dword v139, off, s[0:3], 0 offset:56
	buffer_load_dword v140, off, s[0:3], 0 offset:60
	buffer_load_dword v135, off, s[0:3], 0 offset:72
	buffer_load_dword v136, off, s[0:3], 0 offset:76
	buffer_load_dword v137, off, s[0:3], 0 offset:48
	buffer_load_dword v138, off, s[0:3], 0 offset:52
	buffer_load_dword v133, off, s[0:3], 0 offset:88
	buffer_load_dword v134, off, s[0:3], 0 offset:92
	buffer_load_dword v131, off, s[0:3], 0 offset:64
	buffer_load_dword v132, off, s[0:3], 0 offset:68
	buffer_load_dword v144, off, s[0:3], 0 offset:108
	buffer_load_dword v147, off, s[0:3], 0 offset:120
	buffer_load_dword v141, off, s[0:3], 0 offset:112
	buffer_load_dword v143, off, s[0:3], 0 offset:104
	buffer_load_dword v155, off, s[0:3], 0 offset:80
	buffer_load_dword v156, off, s[0:3], 0 offset:84
	buffer_load_dword v148, off, s[0:3], 0 offset:124
	buffer_load_dword v150, off, s[0:3], 0 offset:100
	buffer_load_dword v149, off, s[0:3], 0 offset:96
	buffer_load_dword v152, off, s[0:3], 0 offset:140
	buffer_load_dword v157, off, s[0:3], 0 offset:152
	buffer_load_dword v145, off, s[0:3], 0 offset:144
	buffer_load_dword v151, off, s[0:3], 0 offset:136
	buffer_load_dword v142, off, s[0:3], 0 offset:116
	buffer_load_dword v158, off, s[0:3], 0 offset:156
	buffer_load_dword v160, off, s[0:3], 0 offset:132
	buffer_load_dword v159, off, s[0:3], 0 offset:128
	buffer_load_dword v162, off, s[0:3], 0 offset:172
	buffer_load_dword v165, off, s[0:3], 0 offset:184
	buffer_load_dword v153, off, s[0:3], 0 offset:176
	buffer_load_dword v161, off, s[0:3], 0 offset:168
	buffer_load_dword v146, off, s[0:3], 0 offset:148
	buffer_load_dword v166, off, s[0:3], 0 offset:188
	buffer_load_dword v168, off, s[0:3], 0 offset:164
	buffer_load_dword v167, off, s[0:3], 0 offset:160
	buffer_load_dword v170, off, s[0:3], 0 offset:204
	buffer_load_dword v173, off, s[0:3], 0 offset:216
	buffer_load_dword v163, off, s[0:3], 0 offset:208
	buffer_load_dword v169, off, s[0:3], 0 offset:200
	buffer_load_dword v154, off, s[0:3], 0 offset:180
	buffer_load_dword v174, off, s[0:3], 0 offset:220
	buffer_load_dword v176, off, s[0:3], 0 offset:196
	buffer_load_dword v175, off, s[0:3], 0 offset:192
	buffer_load_dword v178, off, s[0:3], 0 offset:236
	buffer_load_dword v181, off, s[0:3], 0 offset:248
	buffer_load_dword v171, off, s[0:3], 0 offset:240
	buffer_load_dword v177, off, s[0:3], 0 offset:232
	buffer_load_dword v164, off, s[0:3], 0 offset:212
	buffer_load_dword v182, off, s[0:3], 0 offset:252
	buffer_load_dword v184, off, s[0:3], 0 offset:228
	buffer_load_dword v183, off, s[0:3], 0 offset:224
	buffer_load_dword v186, off, s[0:3], 0 offset:268
	buffer_load_dword v187, off, s[0:3], 0 offset:280
	buffer_load_dword v179, off, s[0:3], 0 offset:272
	buffer_load_dword v185, off, s[0:3], 0 offset:264
	buffer_load_dword v172, off, s[0:3], 0 offset:244
	v_mov_b32_e32 v192, 0
	s_mov_b32 s4, exec_lo
	ds_read_b128 v[5:8], v192 offset:1008
	s_clause 0x2
	buffer_load_dword v188, off, s[0:3], 0 offset:284
	buffer_load_dword v190, off, s[0:3], 0 offset:260
	;; [unrolled: 1-line block ×3, first 2 shown]
	ds_read_b128 v[1:4], v192 offset:1024
	s_clause 0x4
	buffer_load_dword v200, off, s[0:3], 0 offset:300
	buffer_load_dword v201, off, s[0:3], 0 offset:312
	;; [unrolled: 1-line block ×5, first 2 shown]
	ds_read_b128 v[193:196], v192 offset:1040
	s_waitcnt vmcnt(62) lgkmcnt(2)
	v_mul_f64 v[197:198], v[7:8], v[139:140]
	v_mul_f64 v[139:140], v[5:6], v[139:140]
	s_waitcnt vmcnt(60) lgkmcnt(1)
	v_mul_f64 v[204:205], v[3:4], v[135:136]
	v_mul_f64 v[135:136], v[1:2], v[135:136]
	;; [unrolled: 3-line block ×3, first 2 shown]
	v_fma_f64 v[197:198], v[5:6], v[137:138], -v[197:198]
	v_fma_f64 v[137:138], v[7:8], v[137:138], v[139:140]
	s_clause 0x2
	buffer_load_dword v202, off, s[0:3], 0 offset:316
	buffer_load_dword v140, off, s[0:3], 0 offset:292
	;; [unrolled: 1-line block ×3, first 2 shown]
	s_waitcnt vmcnt(57)
	v_fma_f64 v[208:209], v[1:2], v[131:132], -v[204:205]
	ds_read_b128 v[5:8], v192 offset:1056
	v_fma_f64 v[131:132], v[3:4], v[131:132], v[135:136]
	s_waitcnt vmcnt(51)
	v_fma_f64 v[193:194], v[193:194], v[155:156], -v[133:134]
	v_fma_f64 v[155:156], v[195:196], v[155:156], v[206:207]
	v_add_f64 v[197:198], v[197:198], 0
	v_add_f64 v[135:136], v[137:138], 0
	s_clause 0x4
	buffer_load_dword v138, off, s[0:3], 0 offset:332
	buffer_load_dword v205, off, s[0:3], 0 offset:344
	;; [unrolled: 1-line block ×5, first 2 shown]
	s_waitcnt lgkmcnt(0)
	v_mul_f64 v[211:212], v[5:6], v[143:144]
	v_mul_f64 v[143:144], v[7:8], v[143:144]
	ds_read_b128 v[1:4], v192 offset:1072
	s_clause 0x2
	buffer_load_dword v206, off, s[0:3], 0 offset:348
	buffer_load_dword v196, off, s[0:3], 0 offset:324
	;; [unrolled: 1-line block ×3, first 2 shown]
	v_add_f64 v[197:198], v[197:198], v[208:209]
	v_add_f64 v[135:136], v[135:136], v[131:132]
	ds_read_b128 v[131:134], v192 offset:1088
	s_waitcnt vmcnt(58) lgkmcnt(1)
	v_mul_f64 v[207:208], v[1:2], v[147:148]
	v_mul_f64 v[147:148], v[3:4], v[147:148]
	s_waitcnt vmcnt(56)
	v_fma_f64 v[143:144], v[5:6], v[149:150], -v[143:144]
	v_fma_f64 v[149:150], v[7:8], v[149:150], v[211:212]
	s_waitcnt vmcnt(52) lgkmcnt(0)
	v_mul_f64 v[213:214], v[131:132], v[151:152]
	v_add_f64 v[193:194], v[197:198], v[193:194]
	v_add_f64 v[135:136], v[135:136], v[155:156]
	s_clause 0x4
	buffer_load_dword v156, off, s[0:3], 0 offset:364
	buffer_load_dword v197, off, s[0:3], 0 offset:376
	;; [unrolled: 1-line block ×5, first 2 shown]
	v_mul_f64 v[151:152], v[133:134], v[151:152]
	s_waitcnt vmcnt(56)
	v_fma_f64 v[147:148], v[1:2], v[141:142], -v[147:148]
	ds_read_b128 v[5:8], v192 offset:1104
	v_fma_f64 v[141:142], v[3:4], v[141:142], v[207:208]
	v_add_f64 v[143:144], v[193:194], v[143:144]
	v_add_f64 v[135:136], v[135:136], v[149:150]
	s_clause 0x2
	buffer_load_dword v198, off, s[0:3], 0 offset:380
	buffer_load_dword v150, off, s[0:3], 0 offset:356
	;; [unrolled: 1-line block ×3, first 2 shown]
	s_waitcnt vmcnt(58) lgkmcnt(0)
	v_mul_f64 v[193:194], v[5:6], v[157:158]
	v_mul_f64 v[157:158], v[7:8], v[157:158]
	s_waitcnt vmcnt(56)
	v_fma_f64 v[151:152], v[131:132], v[159:160], -v[151:152]
	ds_read_b128 v[1:4], v192 offset:1120
	v_add_f64 v[143:144], v[143:144], v[147:148]
	v_fma_f64 v[147:148], v[133:134], v[159:160], v[213:214]
	v_add_f64 v[135:136], v[135:136], v[141:142]
	s_clause 0x4
	buffer_load_dword v142, off, s[0:3], 0 offset:396
	buffer_load_dword v159, off, s[0:3], 0 offset:408
	;; [unrolled: 1-line block ×5, first 2 shown]
	s_waitcnt vmcnt(57) lgkmcnt(0)
	v_mul_f64 v[208:209], v[1:2], v[161:162]
	v_mul_f64 v[161:162], v[3:4], v[161:162]
	s_waitcnt vmcnt(56)
	v_fma_f64 v[157:158], v[5:6], v[145:146], -v[157:158]
	ds_read_b128 v[131:134], v192 offset:1136
	v_fma_f64 v[145:146], v[7:8], v[145:146], v[193:194]
	v_add_f64 v[143:144], v[143:144], v[151:152]
	v_add_f64 v[135:136], v[135:136], v[147:148]
	s_clause 0x2
	buffer_load_dword v160, off, s[0:3], 0 offset:412
	buffer_load_dword v148, off, s[0:3], 0 offset:388
	;; [unrolled: 1-line block ×3, first 2 shown]
	ds_read_b128 v[5:8], v192 offset:1152
	s_waitcnt vmcnt(58) lgkmcnt(1)
	v_mul_f64 v[151:152], v[131:132], v[165:166]
	v_mul_f64 v[165:166], v[133:134], v[165:166]
	s_waitcnt vmcnt(56)
	v_fma_f64 v[161:162], v[1:2], v[167:168], -v[161:162]
	v_add_f64 v[143:144], v[143:144], v[157:158]
	v_fma_f64 v[157:158], v[3:4], v[167:168], v[208:209]
	v_add_f64 v[135:136], v[135:136], v[145:146]
	s_clause 0x4
	buffer_load_dword v146, off, s[0:3], 0 offset:428
	buffer_load_dword v167, off, s[0:3], 0 offset:440
	;; [unrolled: 1-line block ×5, first 2 shown]
	s_waitcnt vmcnt(57) lgkmcnt(0)
	v_mul_f64 v[214:215], v[5:6], v[169:170]
	v_mul_f64 v[169:170], v[7:8], v[169:170]
	s_waitcnt vmcnt(56)
	v_fma_f64 v[165:166], v[131:132], v[153:154], -v[165:166]
	ds_read_b128 v[1:4], v192 offset:1168
	v_fma_f64 v[151:152], v[133:134], v[153:154], v[151:152]
	s_clause 0x2
	buffer_load_dword v168, off, s[0:3], 0 offset:444
	buffer_load_dword v154, off, s[0:3], 0 offset:420
	;; [unrolled: 1-line block ×3, first 2 shown]
	ds_read_b128 v[131:134], v192 offset:1184
	v_add_f64 v[143:144], v[143:144], v[161:162]
	v_add_f64 v[135:136], v[135:136], v[157:158]
	s_waitcnt vmcnt(58) lgkmcnt(1)
	v_mul_f64 v[161:162], v[3:4], v[173:174]
	s_waitcnt vmcnt(56)
	v_fma_f64 v[169:170], v[5:6], v[175:176], -v[169:170]
	v_mul_f64 v[157:158], v[1:2], v[173:174]
	v_add_f64 v[143:144], v[143:144], v[165:166]
	v_fma_f64 v[165:166], v[7:8], v[175:176], v[214:215]
	v_add_f64 v[135:136], v[135:136], v[151:152]
	s_clause 0x4
	buffer_load_dword v152, off, s[0:3], 0 offset:460
	buffer_load_dword v173, off, s[0:3], 0 offset:472
	;; [unrolled: 1-line block ×5, first 2 shown]
	s_waitcnt vmcnt(57) lgkmcnt(0)
	v_mul_f64 v[214:215], v[131:132], v[177:178]
	v_mul_f64 v[176:177], v[133:134], v[177:178]
	s_waitcnt vmcnt(56)
	v_fma_f64 v[161:162], v[1:2], v[163:164], -v[161:162]
	ds_read_b128 v[5:8], v192 offset:1200
	v_fma_f64 v[157:158], v[3:4], v[163:164], v[157:158]
	s_clause 0x2
	buffer_load_dword v174, off, s[0:3], 0 offset:476
	buffer_load_dword v164, off, s[0:3], 0 offset:452
	;; [unrolled: 1-line block ×3, first 2 shown]
	ds_read_b128 v[1:4], v192 offset:1216
	v_add_f64 v[143:144], v[143:144], v[169:170]
	v_add_f64 v[135:136], v[135:136], v[165:166]
	s_waitcnt vmcnt(58) lgkmcnt(1)
	v_mul_f64 v[169:170], v[7:8], v[181:182]
	s_waitcnt vmcnt(56)
	v_fma_f64 v[177:178], v[131:132], v[183:184], -v[176:177]
	v_mul_f64 v[165:166], v[5:6], v[181:182]
	v_add_f64 v[143:144], v[143:144], v[161:162]
	v_fma_f64 v[161:162], v[133:134], v[183:184], v[214:215]
	v_add_f64 v[135:136], v[135:136], v[157:158]
	s_clause 0x4
	buffer_load_dword v158, off, s[0:3], 0 offset:492
	buffer_load_dword v181, off, s[0:3], 0 offset:504
	;; [unrolled: 1-line block ×5, first 2 shown]
	s_waitcnt vmcnt(57) lgkmcnt(0)
	v_mul_f64 v[214:215], v[1:2], v[185:186]
	v_mul_f64 v[184:185], v[3:4], v[185:186]
	s_waitcnt vmcnt(56)
	v_fma_f64 v[169:170], v[5:6], v[171:172], -v[169:170]
	ds_read_b128 v[131:134], v192 offset:1232
	v_fma_f64 v[165:166], v[7:8], v[171:172], v[165:166]
	v_add_f64 v[143:144], v[143:144], v[177:178]
	v_add_f64 v[135:136], v[135:136], v[161:162]
	s_clause 0x2
	buffer_load_dword v182, off, s[0:3], 0 offset:508
	buffer_load_dword v162, off, s[0:3], 0 offset:484
	buffer_load_dword v161, off, s[0:3], 0 offset:480
	ds_read_b128 v[5:8], v192 offset:1248
	s_waitcnt vmcnt(58) lgkmcnt(1)
	v_mul_f64 v[177:178], v[133:134], v[187:188]
	s_waitcnt vmcnt(56)
	v_fma_f64 v[185:186], v[1:2], v[189:190], -v[184:185]
	v_mul_f64 v[171:172], v[131:132], v[187:188]
	v_add_f64 v[143:144], v[143:144], v[169:170]
	v_fma_f64 v[169:170], v[3:4], v[189:190], v[214:215]
	v_add_f64 v[135:136], v[135:136], v[165:166]
	s_clause 0x4
	buffer_load_dword v166, off, s[0:3], 0 offset:524
	buffer_load_dword v187, off, s[0:3], 0 offset:536
	;; [unrolled: 1-line block ×5, first 2 shown]
	s_waitcnt vmcnt(57) lgkmcnt(0)
	v_mul_f64 v[214:215], v[5:6], v[199:200]
	v_mul_f64 v[199:200], v[7:8], v[199:200]
	s_waitcnt vmcnt(56)
	v_fma_f64 v[177:178], v[131:132], v[179:180], -v[177:178]
	ds_read_b128 v[1:4], v192 offset:1264
	v_fma_f64 v[171:172], v[133:134], v[179:180], v[171:172]
	v_add_f64 v[143:144], v[143:144], v[185:186]
	v_add_f64 v[135:136], v[135:136], v[169:170]
	s_clause 0x2
	buffer_load_dword v188, off, s[0:3], 0 offset:540
	buffer_load_dword v170, off, s[0:3], 0 offset:516
	;; [unrolled: 1-line block ×3, first 2 shown]
	ds_read_b128 v[131:134], v192 offset:1280
	s_waitcnt vmcnt(58) lgkmcnt(1)
	v_mul_f64 v[185:186], v[3:4], v[201:202]
	v_mul_f64 v[179:180], v[1:2], v[201:202]
	s_waitcnt vmcnt(56)
	v_fma_f64 v[199:200], v[5:6], v[139:140], -v[199:200]
	v_fma_f64 v[139:140], v[7:8], v[139:140], v[214:215]
	v_add_f64 v[143:144], v[143:144], v[177:178]
	v_add_f64 v[135:136], v[135:136], v[171:172]
	s_clause 0x4
	buffer_load_dword v172, off, s[0:3], 0 offset:556
	buffer_load_dword v177, off, s[0:3], 0 offset:568
	;; [unrolled: 1-line block ×5, first 2 shown]
	ds_read_b128 v[5:8], v192 offset:1296
	s_waitcnt vmcnt(57) lgkmcnt(1)
	v_mul_f64 v[214:215], v[131:132], v[137:138]
	v_mul_f64 v[137:138], v[133:134], v[137:138]
	s_waitcnt vmcnt(56)
	v_fma_f64 v[185:186], v[1:2], v[203:204], -v[185:186]
	v_fma_f64 v[179:180], v[3:4], v[203:204], v[179:180]
	v_add_f64 v[143:144], v[143:144], v[199:200]
	v_add_f64 v[135:136], v[135:136], v[139:140]
	s_clause 0x2
	buffer_load_dword v178, off, s[0:3], 0 offset:572
	buffer_load_dword v140, off, s[0:3], 0 offset:548
	;; [unrolled: 1-line block ×3, first 2 shown]
	s_waitcnt vmcnt(58) lgkmcnt(0)
	v_mul_f64 v[203:204], v[7:8], v[205:206]
	ds_read_b128 v[1:4], v192 offset:1312
	v_mul_f64 v[199:200], v[5:6], v[205:206]
	s_waitcnt vmcnt(56)
	v_fma_f64 v[137:138], v[131:132], v[195:196], -v[137:138]
	v_add_f64 v[143:144], v[143:144], v[185:186]
	v_fma_f64 v[185:186], v[133:134], v[195:196], v[214:215]
	v_add_f64 v[135:136], v[135:136], v[179:180]
	s_clause 0x4
	buffer_load_dword v180, off, s[0:3], 0 offset:588
	buffer_load_dword v195, off, s[0:3], 0 offset:600
	;; [unrolled: 1-line block ×5, first 2 shown]
	ds_read_b128 v[131:134], v192 offset:1328
	s_waitcnt vmcnt(57) lgkmcnt(1)
	v_mul_f64 v[214:215], v[1:2], v[155:156]
	v_mul_f64 v[155:156], v[3:4], v[155:156]
	s_waitcnt vmcnt(56)
	v_fma_f64 v[203:204], v[5:6], v[210:211], -v[203:204]
	v_add_f64 v[137:138], v[143:144], v[137:138]
	v_fma_f64 v[143:144], v[7:8], v[210:211], v[199:200]
	v_add_f64 v[135:136], v[135:136], v[185:186]
	s_clause 0x2
	buffer_load_dword v196, off, s[0:3], 0 offset:604
	buffer_load_dword v186, off, s[0:3], 0 offset:580
	;; [unrolled: 1-line block ×3, first 2 shown]
	ds_read_b128 v[5:8], v192 offset:1344
	s_waitcnt vmcnt(58) lgkmcnt(1)
	v_mul_f64 v[199:200], v[131:132], v[197:198]
	v_mul_f64 v[197:198], v[133:134], v[197:198]
	s_waitcnt vmcnt(56)
	v_fma_f64 v[155:156], v[1:2], v[149:150], -v[155:156]
	v_fma_f64 v[149:150], v[3:4], v[149:150], v[214:215]
	v_add_f64 v[137:138], v[137:138], v[203:204]
	v_add_f64 v[135:136], v[135:136], v[143:144]
	s_clause 0x4
	buffer_load_dword v144, off, s[0:3], 0 offset:620
	buffer_load_dword v203, off, s[0:3], 0 offset:632
	buffer_load_dword v209, off, s[0:3], 0 offset:624
	buffer_load_dword v143, off, s[0:3], 0 offset:616
	buffer_load_dword v206, off, s[0:3], 0 offset:596
	ds_read_b128 v[1:4], v192 offset:1360
	s_waitcnt vmcnt(57) lgkmcnt(1)
	v_mul_f64 v[210:211], v[5:6], v[141:142]
	v_mul_f64 v[141:142], v[7:8], v[141:142]
	s_waitcnt vmcnt(56)
	v_fma_f64 v[197:198], v[131:132], v[212:213], -v[197:198]
	v_add_f64 v[137:138], v[137:138], v[155:156]
	v_fma_f64 v[155:156], v[133:134], v[212:213], v[199:200]
	v_add_f64 v[135:136], v[135:136], v[149:150]
	s_clause 0x2
	buffer_load_dword v204, off, s[0:3], 0 offset:636
	buffer_load_dword v150, off, s[0:3], 0 offset:612
	;; [unrolled: 1-line block ×3, first 2 shown]
	ds_read_b128 v[131:134], v192 offset:1376
	s_waitcnt vmcnt(58) lgkmcnt(1)
	v_mul_f64 v[199:200], v[1:2], v[159:160]
	v_mul_f64 v[159:160], v[3:4], v[159:160]
	s_waitcnt vmcnt(56)
	v_fma_f64 v[141:142], v[5:6], v[147:148], -v[141:142]
	v_fma_f64 v[147:148], v[7:8], v[147:148], v[210:211]
	v_add_f64 v[137:138], v[137:138], v[197:198]
	v_add_f64 v[135:136], v[135:136], v[155:156]
	s_clause 0x4
	buffer_load_dword v156, off, s[0:3], 0 offset:652
	buffer_load_dword v197, off, s[0:3], 0 offset:664
	;; [unrolled: 1-line block ×5, first 2 shown]
	ds_read_b128 v[5:8], v192 offset:1392
	s_waitcnt vmcnt(57) lgkmcnt(1)
	v_mul_f64 v[212:213], v[131:132], v[145:146]
	v_mul_f64 v[145:146], v[133:134], v[145:146]
	s_waitcnt vmcnt(56)
	v_fma_f64 v[159:160], v[1:2], v[207:208], -v[159:160]
	v_add_f64 v[137:138], v[137:138], v[141:142]
	v_fma_f64 v[141:142], v[3:4], v[207:208], v[199:200]
	v_add_f64 v[135:136], v[135:136], v[147:148]
	s_clause 0x2
	buffer_load_dword v198, off, s[0:3], 0 offset:668
	buffer_load_dword v148, off, s[0:3], 0 offset:644
	;; [unrolled: 1-line block ×3, first 2 shown]
	s_waitcnt vmcnt(58) lgkmcnt(0)
	v_mul_f64 v[199:200], v[5:6], v[167:168]
	v_mul_f64 v[167:168], v[7:8], v[167:168]
	ds_read_b128 v[1:4], v192 offset:1408
	s_waitcnt vmcnt(56)
	v_fma_f64 v[145:146], v[131:132], v[153:154], -v[145:146]
	v_fma_f64 v[153:154], v[133:134], v[153:154], v[212:213]
	v_add_f64 v[137:138], v[137:138], v[159:160]
	v_add_f64 v[135:136], v[135:136], v[141:142]
	s_clause 0x4
	buffer_load_dword v142, off, s[0:3], 0 offset:684
	buffer_load_dword v159, off, s[0:3], 0 offset:696
	;; [unrolled: 1-line block ×5, first 2 shown]
	ds_read_b128 v[131:134], v192 offset:1424
	s_waitcnt vmcnt(57) lgkmcnt(1)
	v_mul_f64 v[213:214], v[1:2], v[151:152]
	v_mul_f64 v[151:152], v[3:4], v[151:152]
	s_waitcnt vmcnt(56)
	v_fma_f64 v[167:168], v[5:6], v[193:194], -v[167:168]
	v_add_f64 v[137:138], v[137:138], v[145:146]
	v_fma_f64 v[145:146], v[7:8], v[193:194], v[199:200]
	v_add_f64 v[135:136], v[135:136], v[153:154]
	s_clause 0x2
	buffer_load_dword v160, off, s[0:3], 0 offset:700
	buffer_load_dword v154, off, s[0:3], 0 offset:676
	;; [unrolled: 1-line block ×3, first 2 shown]
	s_waitcnt vmcnt(58) lgkmcnt(0)
	v_mul_f64 v[193:194], v[131:132], v[173:174]
	v_mul_f64 v[173:174], v[133:134], v[173:174]
	ds_read_b128 v[5:8], v192 offset:1440
	s_waitcnt vmcnt(56)
	v_fma_f64 v[151:152], v[1:2], v[163:164], -v[151:152]
	v_fma_f64 v[163:164], v[3:4], v[163:164], v[213:214]
	v_add_f64 v[137:138], v[137:138], v[167:168]
	v_add_f64 v[135:136], v[135:136], v[145:146]
	s_clause 0x4
	buffer_load_dword v146, off, s[0:3], 0 offset:716
	buffer_load_dword v167, off, s[0:3], 0 offset:728
	buffer_load_dword v199, off, s[0:3], 0 offset:720
	buffer_load_dword v145, off, s[0:3], 0 offset:712
	buffer_load_dword v208, off, s[0:3], 0 offset:692
	ds_read_b128 v[1:4], v192 offset:1456
	s_waitcnt vmcnt(57) lgkmcnt(1)
	v_mul_f64 v[213:214], v[5:6], v[157:158]
	v_mul_f64 v[157:158], v[7:8], v[157:158]
	s_waitcnt vmcnt(56)
	v_fma_f64 v[173:174], v[131:132], v[175:176], -v[173:174]
	v_add_f64 v[137:138], v[137:138], v[151:152]
	v_fma_f64 v[151:152], v[133:134], v[175:176], v[193:194]
	v_add_f64 v[135:136], v[135:136], v[163:164]
	s_clause 0x2
	buffer_load_dword v168, off, s[0:3], 0 offset:732
	buffer_load_dword v164, off, s[0:3], 0 offset:708
	buffer_load_dword v163, off, s[0:3], 0 offset:704
	ds_read_b128 v[131:134], v192 offset:1472
	s_waitcnt vmcnt(58) lgkmcnt(1)
	v_mul_f64 v[175:176], v[1:2], v[181:182]
	v_mul_f64 v[181:182], v[3:4], v[181:182]
	s_waitcnt vmcnt(56)
	v_fma_f64 v[157:158], v[5:6], v[161:162], -v[157:158]
	v_fma_f64 v[161:162], v[7:8], v[161:162], v[213:214]
	v_add_f64 v[137:138], v[137:138], v[173:174]
	v_add_f64 v[135:136], v[135:136], v[151:152]
	s_clause 0x4
	buffer_load_dword v152, off, s[0:3], 0 offset:748
	buffer_load_dword v173, off, s[0:3], 0 offset:760
	buffer_load_dword v193, off, s[0:3], 0 offset:752
	buffer_load_dword v151, off, s[0:3], 0 offset:744
	buffer_load_dword v200, off, s[0:3], 0 offset:724
	ds_read_b128 v[5:8], v192 offset:1488
	s_waitcnt vmcnt(57) lgkmcnt(1)
	v_mul_f64 v[213:214], v[131:132], v[165:166]
	v_mul_f64 v[165:166], v[133:134], v[165:166]
	s_waitcnt vmcnt(56)
	v_fma_f64 v[181:182], v[1:2], v[183:184], -v[181:182]
	v_add_f64 v[137:138], v[137:138], v[157:158]
	v_fma_f64 v[157:158], v[3:4], v[183:184], v[175:176]
	v_add_f64 v[135:136], v[135:136], v[161:162]
	s_clause 0x2
	buffer_load_dword v174, off, s[0:3], 0 offset:764
	buffer_load_dword v162, off, s[0:3], 0 offset:740
	buffer_load_dword v161, off, s[0:3], 0 offset:736
	ds_read_b128 v[1:4], v192 offset:1504
	s_waitcnt vmcnt(58) lgkmcnt(1)
	v_mul_f64 v[183:184], v[7:8], v[187:188]
	v_mul_f64 v[175:176], v[5:6], v[187:188]
	;; [unrolled: 28-line block ×4, first 2 shown]
	s_waitcnt vmcnt(56)
	v_fma_f64 v[179:180], v[5:6], v[185:186], -v[179:180]
	v_add_f64 v[137:138], v[137:138], v[177:178]
	v_fma_f64 v[177:178], v[7:8], v[185:186], v[213:214]
	v_add_f64 v[135:136], v[135:136], v[171:172]
	s_clause 0x4
	buffer_load_dword v172, off, s[0:3], 0 offset:844
	buffer_load_dword v185, off, s[0:3], 0 offset:856
	;; [unrolled: 1-line block ×5, first 2 shown]
	ds_read_b128 v[5:8], v192 offset:1584
	s_waitcnt vmcnt(57) lgkmcnt(1)
	v_mul_f64 v[213:214], v[131:132], v[143:144]
	v_mul_f64 v[143:144], v[133:134], v[143:144]
	s_waitcnt vmcnt(56)
	v_fma_f64 v[195:196], v[1:2], v[205:206], -v[195:196]
	v_fma_f64 v[175:176], v[3:4], v[205:206], v[175:176]
	v_add_f64 v[137:138], v[137:138], v[179:180]
	v_add_f64 v[135:136], v[135:136], v[177:178]
	s_clause 0x2
	buffer_load_dword v186, off, s[0:3], 0 offset:860
	buffer_load_dword v178, off, s[0:3], 0 offset:836
	buffer_load_dword v177, off, s[0:3], 0 offset:832
	ds_read_b128 v[1:4], v192 offset:1600
	s_waitcnt vmcnt(58) lgkmcnt(1)
	v_mul_f64 v[179:180], v[5:6], v[203:204]
	v_mul_f64 v[203:204], v[7:8], v[203:204]
	s_waitcnt vmcnt(56)
	v_fma_f64 v[143:144], v[131:132], v[149:150], -v[143:144]
	v_fma_f64 v[149:150], v[133:134], v[149:150], v[213:214]
	v_add_f64 v[137:138], v[137:138], v[195:196]
	v_add_f64 v[135:136], v[135:136], v[175:176]
	s_clause 0x4
	buffer_load_dword v176, off, s[0:3], 0 offset:876
	buffer_load_dword v195, off, s[0:3], 0 offset:888
	buffer_load_dword v205, off, s[0:3], 0 offset:880
	buffer_load_dword v175, off, s[0:3], 0 offset:872
	buffer_load_dword v202, off, s[0:3], 0 offset:852
	ds_read_b128 v[131:134], v192 offset:1616
	s_waitcnt vmcnt(57) lgkmcnt(1)
	v_mul_f64 v[213:214], v[1:2], v[155:156]
	v_mul_f64 v[155:156], v[3:4], v[155:156]
	s_waitcnt vmcnt(56)
	v_fma_f64 v[203:204], v[5:6], v[209:210], -v[203:204]
	v_add_f64 v[137:138], v[137:138], v[143:144]
	v_fma_f64 v[143:144], v[7:8], v[209:210], v[179:180]
	v_add_f64 v[135:136], v[135:136], v[149:150]
	s_clause 0x2
	buffer_load_dword v196, off, s[0:3], 0 offset:892
	buffer_load_dword v150, off, s[0:3], 0 offset:868
	buffer_load_dword v149, off, s[0:3], 0 offset:864
	ds_read_b128 v[5:8], v192 offset:1632
	s_waitcnt vmcnt(58) lgkmcnt(1)
	v_mul_f64 v[179:180], v[131:132], v[197:198]
	v_mul_f64 v[197:198], v[133:134], v[197:198]
	s_waitcnt vmcnt(56)
	v_fma_f64 v[155:156], v[1:2], v[147:148], -v[155:156]
	v_fma_f64 v[147:148], v[3:4], v[147:148], v[213:214]
	v_add_f64 v[137:138], v[137:138], v[203:204]
	v_add_f64 v[135:136], v[135:136], v[143:144]
	s_clause 0x4
	buffer_load_dword v144, off, s[0:3], 0 offset:908
	buffer_load_dword v203, off, s[0:3], 0 offset:920
	buffer_load_dword v209, off, s[0:3], 0 offset:912
	buffer_load_dword v143, off, s[0:3], 0 offset:904
	buffer_load_dword v206, off, s[0:3], 0 offset:884
	ds_read_b128 v[1:4], v192 offset:1648
	s_waitcnt vmcnt(57) lgkmcnt(1)
	v_mul_f64 v[213:214], v[5:6], v[141:142]
	v_mul_f64 v[141:142], v[7:8], v[141:142]
	s_waitcnt vmcnt(56)
	v_fma_f64 v[197:198], v[131:132], v[211:212], -v[197:198]
	v_add_f64 v[137:138], v[137:138], v[155:156]
	v_fma_f64 v[155:156], v[133:134], v[211:212], v[179:180]
	;; [unrolled: 28-line block ×3, first 2 shown]
	v_add_f64 v[135:136], v[135:136], v[153:154]
	s_clause 0x2
	buffer_load_dword v198, off, s[0:3], 0 offset:956
	buffer_load_dword v154, off, s[0:3], 0 offset:932
	;; [unrolled: 1-line block ×3, first 2 shown]
	ds_read_b128 v[1:4], v192 offset:1696
	s_waitcnt vmcnt(58) lgkmcnt(1)
	v_mul_f64 v[179:180], v[5:6], v[167:168]
	v_mul_f64 v[167:168], v[7:8], v[167:168]
	s_waitcnt vmcnt(56)
	v_fma_f64 v[145:146], v[131:132], v[163:164], -v[145:146]
	v_add_f64 v[137:138], v[137:138], v[159:160]
	v_fma_f64 v[159:160], v[133:134], v[163:164], v[212:213]
	v_add_f64 v[135:136], v[135:136], v[141:142]
	s_clause 0x4
	buffer_load_dword v142, off, s[0:3], 0 offset:972
	buffer_load_dword v163, off, s[0:3], 0 offset:984
	;; [unrolled: 1-line block ×5, first 2 shown]
	ds_read_b128 v[131:134], v192 offset:1712
	s_waitcnt vmcnt(57) lgkmcnt(1)
	v_mul_f64 v[213:214], v[1:2], v[151:152]
	v_mul_f64 v[151:152], v[3:4], v[151:152]
	s_waitcnt vmcnt(56)
	v_fma_f64 v[167:168], v[5:6], v[199:200], -v[167:168]
	v_add_f64 v[137:138], v[137:138], v[145:146]
	v_fma_f64 v[145:146], v[7:8], v[199:200], v[179:180]
	v_add_f64 v[135:136], v[135:136], v[159:160]
	s_clause 0x2
	buffer_load_dword v164, off, s[0:3], 0 offset:988
	buffer_load_dword v160, off, s[0:3], 0 offset:964
	;; [unrolled: 1-line block ×3, first 2 shown]
	ds_read_b128 v[5:8], v192 offset:1728
	buffer_load_dword v208, off, s[0:3], 0 offset:980
	s_waitcnt vmcnt(59) lgkmcnt(1)
	v_mul_f64 v[179:180], v[131:132], v[173:174]
	v_mul_f64 v[173:174], v[133:134], v[173:174]
	s_waitcnt vmcnt(57)
	v_fma_f64 v[151:152], v[1:2], v[161:162], -v[151:152]
	v_fma_f64 v[161:162], v[3:4], v[161:162], v[213:214]
	ds_read_b128 v[1:4], v192 offset:1744
	v_add_f64 v[137:138], v[137:138], v[167:168]
	v_add_f64 v[135:136], v[135:136], v[145:146]
	s_waitcnt vmcnt(53) lgkmcnt(1)
	v_mul_f64 v[145:146], v[5:6], v[157:158]
	v_mul_f64 v[157:158], v[7:8], v[157:158]
	s_waitcnt vmcnt(52)
	v_fma_f64 v[167:168], v[131:132], v[193:194], -v[173:174]
	v_add_f64 v[137:138], v[137:138], v[151:152]
	v_fma_f64 v[151:152], v[133:134], v[193:194], v[179:180]
	v_add_f64 v[135:136], v[135:136], v[161:162]
	ds_read_b128 v[131:134], v192 offset:1760
	s_waitcnt vmcnt(51) lgkmcnt(1)
	v_mul_f64 v[173:174], v[3:4], v[181:182]
	v_mul_f64 v[161:162], v[1:2], v[181:182]
	s_waitcnt vmcnt(49)
	v_fma_f64 v[157:158], v[5:6], v[169:170], -v[157:158]
	v_fma_f64 v[145:146], v[7:8], v[169:170], v[145:146]
	v_add_f64 v[137:138], v[137:138], v[167:168]
	v_add_f64 v[135:136], v[135:136], v[151:152]
	s_clause 0x3
	buffer_load_dword v151, off, s[0:3], 0 offset:32
	buffer_load_dword v152, off, s[0:3], 0 offset:36
	;; [unrolled: 1-line block ×4, first 2 shown]
	ds_read_b128 v[5:8], v192 offset:1776
	s_waitcnt vmcnt(49) lgkmcnt(1)
	v_mul_f64 v[169:170], v[131:132], v[165:166]
	v_mul_f64 v[165:166], v[133:134], v[165:166]
	s_waitcnt vmcnt(48)
	v_fma_f64 v[173:174], v[1:2], v[187:188], -v[173:174]
	v_add_f64 v[137:138], v[137:138], v[157:158]
	v_fma_f64 v[157:158], v[3:4], v[187:188], v[161:162]
	v_add_f64 v[135:136], v[135:136], v[145:146]
	ds_read_b128 v[1:4], v192 offset:1792
	s_waitcnt vmcnt(47) lgkmcnt(1)
	v_mul_f64 v[161:162], v[7:8], v[183:184]
	v_mul_f64 v[145:146], v[5:6], v[183:184]
	s_waitcnt vmcnt(45)
	v_fma_f64 v[165:166], v[131:132], v[139:140], -v[165:166]
	v_fma_f64 v[139:140], v[133:134], v[139:140], v[169:170]
	ds_read_b128 v[131:134], v192 offset:1808
	v_add_f64 v[137:138], v[137:138], v[173:174]
	v_add_f64 v[135:136], v[135:136], v[157:158]
	s_waitcnt vmcnt(41) lgkmcnt(1)
	v_mul_f64 v[169:170], v[3:4], v[171:172]
	s_waitcnt vmcnt(40)
	v_fma_f64 v[161:162], v[5:6], v[189:190], -v[161:162]
	v_mul_f64 v[157:158], v[1:2], v[171:172]
	v_fma_f64 v[145:146], v[7:8], v[189:190], v[145:146]
	ds_read_b128 v[5:8], v192 offset:1824
	v_add_f64 v[137:138], v[137:138], v[165:166]
	v_add_f64 v[135:136], v[135:136], v[139:140]
	s_waitcnt vmcnt(39) lgkmcnt(1)
	v_mul_f64 v[165:166], v[133:134], v[185:186]
	v_mul_f64 v[139:140], v[131:132], v[185:186]
	s_waitcnt vmcnt(37)
	v_fma_f64 v[169:170], v[1:2], v[177:178], -v[169:170]
	v_fma_f64 v[157:158], v[3:4], v[177:178], v[157:158]
	ds_read_b128 v[1:4], v192 offset:1840
	v_add_f64 v[137:138], v[137:138], v[161:162]
	v_add_f64 v[135:136], v[135:136], v[145:146]
	s_waitcnt vmcnt(33) lgkmcnt(1)
	v_mul_f64 v[161:162], v[7:8], v[175:176]
	s_waitcnt vmcnt(32)
	v_fma_f64 v[165:166], v[131:132], v[201:202], -v[165:166]
	v_mul_f64 v[145:146], v[5:6], v[175:176]
	v_fma_f64 v[139:140], v[133:134], v[201:202], v[139:140]
	ds_read_b128 v[131:134], v192 offset:1856
	v_add_f64 v[137:138], v[137:138], v[169:170]
	v_add_f64 v[135:136], v[135:136], v[157:158]
	s_waitcnt vmcnt(31) lgkmcnt(1)
	v_mul_f64 v[169:170], v[3:4], v[195:196]
	v_mul_f64 v[157:158], v[1:2], v[195:196]
	s_waitcnt vmcnt(29)
	v_fma_f64 v[161:162], v[5:6], v[149:150], -v[161:162]
	v_fma_f64 v[145:146], v[7:8], v[149:150], v[145:146]
	ds_read_b128 v[5:8], v192 offset:1872
	v_add_f64 v[137:138], v[137:138], v[165:166]
	v_add_f64 v[135:136], v[135:136], v[139:140]
	s_waitcnt vmcnt(25) lgkmcnt(1)
	v_mul_f64 v[139:140], v[131:132], v[143:144]
	v_mul_f64 v[143:144], v[133:134], v[143:144]
	s_waitcnt vmcnt(24)
	v_fma_f64 v[149:150], v[1:2], v[205:206], -v[169:170]
	;; [unrolled: 9-line block ×4, first 2 shown]
	v_add_f64 v[137:138], v[137:138], v[143:144]
	v_fma_f64 v[143:144], v[7:8], v[209:210], v[145:146]
	v_add_f64 v[135:136], v[135:136], v[139:140]
	ds_read_b128 v[5:8], v192 offset:1920
	s_waitcnt vmcnt(15) lgkmcnt(1)
	v_mul_f64 v[145:146], v[133:134], v[197:198]
	v_mul_f64 v[139:140], v[131:132], v[197:198]
	s_waitcnt vmcnt(13)
	v_fma_f64 v[149:150], v[1:2], v[153:154], -v[149:150]
	v_fma_f64 v[147:148], v[3:4], v[153:154], v[147:148]
	ds_read_b128 v[1:4], v192 offset:1936
	v_add_f64 v[137:138], v[137:138], v[155:156]
	v_add_f64 v[135:136], v[135:136], v[143:144]
	s_waitcnt vmcnt(9) lgkmcnt(1)
	v_mul_f64 v[143:144], v[5:6], v[141:142]
	v_mul_f64 v[141:142], v[7:8], v[141:142]
	s_waitcnt vmcnt(8)
	v_fma_f64 v[131:132], v[131:132], v[211:212], -v[145:146]
	v_fma_f64 v[133:134], v[133:134], v[211:212], v[139:140]
	v_add_f64 v[137:138], v[137:138], v[149:150]
	v_add_f64 v[135:136], v[135:136], v[147:148]
	s_waitcnt vmcnt(7) lgkmcnt(0)
	v_mul_f64 v[145:146], v[3:4], v[163:164]
	v_mul_f64 v[139:140], v[1:2], v[163:164]
	s_waitcnt vmcnt(5)
	v_fma_f64 v[5:6], v[5:6], v[159:160], -v[141:142]
	v_fma_f64 v[7:8], v[7:8], v[159:160], v[143:144]
	v_add_f64 v[131:132], v[137:138], v[131:132]
	v_add_f64 v[133:134], v[135:136], v[133:134]
	s_waitcnt vmcnt(4)
	v_fma_f64 v[1:2], v[1:2], v[207:208], -v[145:146]
	v_fma_f64 v[3:4], v[3:4], v[207:208], v[139:140]
	v_add_f64 v[5:6], v[131:132], v[5:6]
	v_add_f64 v[7:8], v[133:134], v[7:8]
	;; [unrolled: 1-line block ×4, first 2 shown]
	s_waitcnt vmcnt(2)
	v_add_f64 v[1:2], v[151:152], -v[1:2]
	s_waitcnt vmcnt(0)
	v_add_f64 v[3:4], v[167:168], -v[3:4]
	buffer_store_dword v2, off, s[0:3], 0 offset:36
	buffer_store_dword v1, off, s[0:3], 0 offset:32
	buffer_store_dword v4, off, s[0:3], 0 offset:44
	buffer_store_dword v3, off, s[0:3], 0 offset:40
	v_cmpx_ne_u32_e32 0, v0
	s_cbranch_execz .LBB124_391
; %bb.390:
	s_clause 0x3
	buffer_load_dword v0, off, s[0:3], 0 offset:16
	buffer_load_dword v1, off, s[0:3], 0 offset:20
	;; [unrolled: 1-line block ×4, first 2 shown]
	buffer_store_dword v192, off, s[0:3], 0 offset:16
	buffer_store_dword v192, off, s[0:3], 0 offset:20
	buffer_store_dword v192, off, s[0:3], 0 offset:24
	buffer_store_dword v192, off, s[0:3], 0 offset:28
	s_waitcnt vmcnt(0)
	ds_write_b128 v191, v[0:3]
.LBB124_391:
	s_or_b32 exec_lo, exec_lo, s4
	s_waitcnt lgkmcnt(0)
	s_waitcnt_vscnt null, 0x0
	s_barrier
	buffer_gl0_inv
	s_clause 0x37
	buffer_load_dword v139, off, s[0:3], 0 offset:40
	buffer_load_dword v140, off, s[0:3], 0 offset:44
	;; [unrolled: 1-line block ×56, first 2 shown]
	ds_read_b128 v[4:7], v192 offset:992
	s_clause 0x2
	buffer_load_dword v188, off, s[0:3], 0 offset:268
	buffer_load_dword v190, off, s[0:3], 0 offset:244
	;; [unrolled: 1-line block ×3, first 2 shown]
	ds_read_b128 v[0:3], v192 offset:1008
	s_clause 0x4
	buffer_load_dword v200, off, s[0:3], 0 offset:284
	buffer_load_dword v201, off, s[0:3], 0 offset:296
	;; [unrolled: 1-line block ×5, first 2 shown]
	ds_read_b128 v[193:196], v192 offset:1024
	s_and_b32 vcc_lo, exec_lo, s75
	s_waitcnt vmcnt(62) lgkmcnt(2)
	v_mul_f64 v[197:198], v[6:7], v[139:140]
	v_mul_f64 v[139:140], v[4:5], v[139:140]
	s_waitcnt vmcnt(60) lgkmcnt(1)
	v_mul_f64 v[204:205], v[2:3], v[135:136]
	v_mul_f64 v[135:136], v[0:1], v[135:136]
	;; [unrolled: 3-line block ×3, first 2 shown]
	v_fma_f64 v[197:198], v[4:5], v[137:138], -v[197:198]
	v_fma_f64 v[137:138], v[6:7], v[137:138], v[139:140]
	s_clause 0x2
	buffer_load_dword v202, off, s[0:3], 0 offset:300
	buffer_load_dword v140, off, s[0:3], 0 offset:276
	;; [unrolled: 1-line block ×3, first 2 shown]
	s_waitcnt vmcnt(57)
	v_fma_f64 v[208:209], v[0:1], v[131:132], -v[204:205]
	ds_read_b128 v[4:7], v192 offset:1040
	v_fma_f64 v[131:132], v[2:3], v[131:132], v[135:136]
	s_waitcnt vmcnt(51)
	v_fma_f64 v[193:194], v[193:194], v[155:156], -v[133:134]
	v_fma_f64 v[155:156], v[195:196], v[155:156], v[206:207]
	v_add_f64 v[197:198], v[197:198], 0
	v_add_f64 v[135:136], v[137:138], 0
	s_clause 0x4
	buffer_load_dword v138, off, s[0:3], 0 offset:316
	buffer_load_dword v205, off, s[0:3], 0 offset:328
	;; [unrolled: 1-line block ×5, first 2 shown]
	s_waitcnt lgkmcnt(0)
	v_mul_f64 v[211:212], v[4:5], v[143:144]
	v_mul_f64 v[143:144], v[6:7], v[143:144]
	ds_read_b128 v[0:3], v192 offset:1056
	s_clause 0x2
	buffer_load_dword v206, off, s[0:3], 0 offset:332
	buffer_load_dword v196, off, s[0:3], 0 offset:308
	;; [unrolled: 1-line block ×3, first 2 shown]
	v_add_f64 v[197:198], v[197:198], v[208:209]
	v_add_f64 v[135:136], v[135:136], v[131:132]
	ds_read_b128 v[131:134], v192 offset:1072
	s_waitcnt vmcnt(58) lgkmcnt(1)
	v_mul_f64 v[207:208], v[0:1], v[147:148]
	v_mul_f64 v[147:148], v[2:3], v[147:148]
	s_waitcnt vmcnt(56)
	v_fma_f64 v[143:144], v[4:5], v[149:150], -v[143:144]
	v_fma_f64 v[149:150], v[6:7], v[149:150], v[211:212]
	s_waitcnt vmcnt(52) lgkmcnt(0)
	v_mul_f64 v[213:214], v[131:132], v[151:152]
	v_add_f64 v[193:194], v[197:198], v[193:194]
	v_add_f64 v[135:136], v[135:136], v[155:156]
	s_clause 0x4
	buffer_load_dword v156, off, s[0:3], 0 offset:348
	buffer_load_dword v197, off, s[0:3], 0 offset:360
	;; [unrolled: 1-line block ×5, first 2 shown]
	v_mul_f64 v[151:152], v[133:134], v[151:152]
	s_waitcnt vmcnt(56)
	v_fma_f64 v[147:148], v[0:1], v[141:142], -v[147:148]
	ds_read_b128 v[4:7], v192 offset:1088
	v_fma_f64 v[141:142], v[2:3], v[141:142], v[207:208]
	v_add_f64 v[143:144], v[193:194], v[143:144]
	v_add_f64 v[135:136], v[135:136], v[149:150]
	s_clause 0x2
	buffer_load_dword v198, off, s[0:3], 0 offset:364
	buffer_load_dword v150, off, s[0:3], 0 offset:340
	;; [unrolled: 1-line block ×3, first 2 shown]
	s_waitcnt vmcnt(58) lgkmcnt(0)
	v_mul_f64 v[193:194], v[4:5], v[157:158]
	v_mul_f64 v[157:158], v[6:7], v[157:158]
	s_waitcnt vmcnt(56)
	v_fma_f64 v[151:152], v[131:132], v[159:160], -v[151:152]
	ds_read_b128 v[0:3], v192 offset:1104
	v_add_f64 v[143:144], v[143:144], v[147:148]
	v_fma_f64 v[147:148], v[133:134], v[159:160], v[213:214]
	v_add_f64 v[135:136], v[135:136], v[141:142]
	s_clause 0x4
	buffer_load_dword v142, off, s[0:3], 0 offset:380
	buffer_load_dword v159, off, s[0:3], 0 offset:392
	;; [unrolled: 1-line block ×5, first 2 shown]
	s_waitcnt vmcnt(57) lgkmcnt(0)
	v_mul_f64 v[208:209], v[0:1], v[161:162]
	v_mul_f64 v[161:162], v[2:3], v[161:162]
	s_waitcnt vmcnt(56)
	v_fma_f64 v[157:158], v[4:5], v[145:146], -v[157:158]
	ds_read_b128 v[131:134], v192 offset:1120
	v_fma_f64 v[145:146], v[6:7], v[145:146], v[193:194]
	v_add_f64 v[143:144], v[143:144], v[151:152]
	v_add_f64 v[135:136], v[135:136], v[147:148]
	s_clause 0x2
	buffer_load_dword v160, off, s[0:3], 0 offset:396
	buffer_load_dword v148, off, s[0:3], 0 offset:372
	;; [unrolled: 1-line block ×3, first 2 shown]
	ds_read_b128 v[4:7], v192 offset:1136
	s_waitcnt vmcnt(58) lgkmcnt(1)
	v_mul_f64 v[151:152], v[131:132], v[165:166]
	v_mul_f64 v[165:166], v[133:134], v[165:166]
	s_waitcnt vmcnt(56)
	v_fma_f64 v[161:162], v[0:1], v[167:168], -v[161:162]
	v_add_f64 v[143:144], v[143:144], v[157:158]
	v_fma_f64 v[157:158], v[2:3], v[167:168], v[208:209]
	v_add_f64 v[135:136], v[135:136], v[145:146]
	s_clause 0x4
	buffer_load_dword v146, off, s[0:3], 0 offset:412
	buffer_load_dword v167, off, s[0:3], 0 offset:424
	;; [unrolled: 1-line block ×5, first 2 shown]
	s_waitcnt vmcnt(57) lgkmcnt(0)
	v_mul_f64 v[214:215], v[4:5], v[169:170]
	v_mul_f64 v[169:170], v[6:7], v[169:170]
	s_waitcnt vmcnt(56)
	v_fma_f64 v[165:166], v[131:132], v[153:154], -v[165:166]
	ds_read_b128 v[0:3], v192 offset:1152
	v_fma_f64 v[151:152], v[133:134], v[153:154], v[151:152]
	s_clause 0x2
	buffer_load_dword v168, off, s[0:3], 0 offset:428
	buffer_load_dword v154, off, s[0:3], 0 offset:404
	;; [unrolled: 1-line block ×3, first 2 shown]
	ds_read_b128 v[131:134], v192 offset:1168
	v_add_f64 v[143:144], v[143:144], v[161:162]
	v_add_f64 v[135:136], v[135:136], v[157:158]
	s_waitcnt vmcnt(58) lgkmcnt(1)
	v_mul_f64 v[161:162], v[2:3], v[173:174]
	s_waitcnt vmcnt(56)
	v_fma_f64 v[169:170], v[4:5], v[175:176], -v[169:170]
	v_mul_f64 v[157:158], v[0:1], v[173:174]
	v_add_f64 v[143:144], v[143:144], v[165:166]
	v_fma_f64 v[165:166], v[6:7], v[175:176], v[214:215]
	v_add_f64 v[135:136], v[135:136], v[151:152]
	s_clause 0x4
	buffer_load_dword v152, off, s[0:3], 0 offset:444
	buffer_load_dword v173, off, s[0:3], 0 offset:456
	;; [unrolled: 1-line block ×5, first 2 shown]
	s_waitcnt vmcnt(57) lgkmcnt(0)
	v_mul_f64 v[214:215], v[131:132], v[177:178]
	v_mul_f64 v[176:177], v[133:134], v[177:178]
	s_waitcnt vmcnt(56)
	v_fma_f64 v[161:162], v[0:1], v[163:164], -v[161:162]
	ds_read_b128 v[4:7], v192 offset:1184
	v_fma_f64 v[157:158], v[2:3], v[163:164], v[157:158]
	s_clause 0x2
	buffer_load_dword v174, off, s[0:3], 0 offset:460
	buffer_load_dword v164, off, s[0:3], 0 offset:436
	;; [unrolled: 1-line block ×3, first 2 shown]
	ds_read_b128 v[0:3], v192 offset:1200
	v_add_f64 v[143:144], v[143:144], v[169:170]
	v_add_f64 v[135:136], v[135:136], v[165:166]
	s_waitcnt vmcnt(58) lgkmcnt(1)
	v_mul_f64 v[169:170], v[6:7], v[181:182]
	s_waitcnt vmcnt(56)
	v_fma_f64 v[177:178], v[131:132], v[183:184], -v[176:177]
	v_mul_f64 v[165:166], v[4:5], v[181:182]
	v_add_f64 v[143:144], v[143:144], v[161:162]
	v_fma_f64 v[161:162], v[133:134], v[183:184], v[214:215]
	v_add_f64 v[135:136], v[135:136], v[157:158]
	s_clause 0x4
	buffer_load_dword v158, off, s[0:3], 0 offset:476
	buffer_load_dword v181, off, s[0:3], 0 offset:488
	;; [unrolled: 1-line block ×5, first 2 shown]
	s_waitcnt vmcnt(57) lgkmcnt(0)
	v_mul_f64 v[214:215], v[0:1], v[185:186]
	v_mul_f64 v[184:185], v[2:3], v[185:186]
	s_waitcnt vmcnt(56)
	v_fma_f64 v[169:170], v[4:5], v[171:172], -v[169:170]
	ds_read_b128 v[131:134], v192 offset:1216
	v_fma_f64 v[165:166], v[6:7], v[171:172], v[165:166]
	v_add_f64 v[143:144], v[143:144], v[177:178]
	v_add_f64 v[135:136], v[135:136], v[161:162]
	s_clause 0x2
	buffer_load_dword v182, off, s[0:3], 0 offset:492
	buffer_load_dword v162, off, s[0:3], 0 offset:468
	;; [unrolled: 1-line block ×3, first 2 shown]
	ds_read_b128 v[4:7], v192 offset:1232
	s_waitcnt vmcnt(58) lgkmcnt(1)
	v_mul_f64 v[177:178], v[133:134], v[187:188]
	s_waitcnt vmcnt(56)
	v_fma_f64 v[185:186], v[0:1], v[189:190], -v[184:185]
	v_mul_f64 v[171:172], v[131:132], v[187:188]
	v_add_f64 v[143:144], v[143:144], v[169:170]
	v_fma_f64 v[169:170], v[2:3], v[189:190], v[214:215]
	v_add_f64 v[135:136], v[135:136], v[165:166]
	s_clause 0x4
	buffer_load_dword v166, off, s[0:3], 0 offset:508
	buffer_load_dword v187, off, s[0:3], 0 offset:520
	;; [unrolled: 1-line block ×5, first 2 shown]
	s_waitcnt vmcnt(57) lgkmcnt(0)
	v_mul_f64 v[190:191], v[4:5], v[199:200]
	v_mul_f64 v[199:200], v[6:7], v[199:200]
	s_waitcnt vmcnt(56)
	v_fma_f64 v[177:178], v[131:132], v[179:180], -v[177:178]
	ds_read_b128 v[0:3], v192 offset:1248
	v_fma_f64 v[171:172], v[133:134], v[179:180], v[171:172]
	v_add_f64 v[143:144], v[143:144], v[185:186]
	v_add_f64 v[135:136], v[135:136], v[169:170]
	s_clause 0x2
	buffer_load_dword v188, off, s[0:3], 0 offset:524
	buffer_load_dword v170, off, s[0:3], 0 offset:500
	;; [unrolled: 1-line block ×3, first 2 shown]
	ds_read_b128 v[131:134], v192 offset:1264
	s_waitcnt vmcnt(58) lgkmcnt(1)
	v_mul_f64 v[185:186], v[2:3], v[201:202]
	v_mul_f64 v[179:180], v[0:1], v[201:202]
	s_waitcnt vmcnt(56)
	v_fma_f64 v[199:200], v[4:5], v[139:140], -v[199:200]
	v_fma_f64 v[139:140], v[6:7], v[139:140], v[190:191]
	v_add_f64 v[143:144], v[143:144], v[177:178]
	v_add_f64 v[135:136], v[135:136], v[171:172]
	s_clause 0x4
	buffer_load_dword v172, off, s[0:3], 0 offset:540
	buffer_load_dword v177, off, s[0:3], 0 offset:552
	;; [unrolled: 1-line block ×5, first 2 shown]
	ds_read_b128 v[4:7], v192 offset:1280
	s_waitcnt vmcnt(57) lgkmcnt(1)
	v_mul_f64 v[214:215], v[131:132], v[137:138]
	v_mul_f64 v[137:138], v[133:134], v[137:138]
	s_waitcnt vmcnt(56)
	v_fma_f64 v[185:186], v[0:1], v[203:204], -v[185:186]
	v_fma_f64 v[179:180], v[2:3], v[203:204], v[179:180]
	v_add_f64 v[143:144], v[143:144], v[199:200]
	v_add_f64 v[135:136], v[135:136], v[139:140]
	s_clause 0x2
	buffer_load_dword v178, off, s[0:3], 0 offset:556
	buffer_load_dword v140, off, s[0:3], 0 offset:532
	;; [unrolled: 1-line block ×3, first 2 shown]
	s_waitcnt vmcnt(58) lgkmcnt(0)
	v_mul_f64 v[203:204], v[6:7], v[205:206]
	ds_read_b128 v[0:3], v192 offset:1296
	v_mul_f64 v[199:200], v[4:5], v[205:206]
	s_waitcnt vmcnt(56)
	v_fma_f64 v[137:138], v[131:132], v[195:196], -v[137:138]
	v_add_f64 v[143:144], v[143:144], v[185:186]
	v_fma_f64 v[185:186], v[133:134], v[195:196], v[214:215]
	v_add_f64 v[135:136], v[135:136], v[179:180]
	s_clause 0x4
	buffer_load_dword v180, off, s[0:3], 0 offset:572
	buffer_load_dword v195, off, s[0:3], 0 offset:584
	;; [unrolled: 1-line block ×5, first 2 shown]
	ds_read_b128 v[131:134], v192 offset:1312
	s_waitcnt vmcnt(57) lgkmcnt(1)
	v_mul_f64 v[214:215], v[0:1], v[155:156]
	v_mul_f64 v[155:156], v[2:3], v[155:156]
	s_waitcnt vmcnt(56)
	v_fma_f64 v[203:204], v[4:5], v[210:211], -v[203:204]
	v_add_f64 v[137:138], v[143:144], v[137:138]
	v_fma_f64 v[143:144], v[6:7], v[210:211], v[199:200]
	v_add_f64 v[135:136], v[135:136], v[185:186]
	s_clause 0x2
	buffer_load_dword v196, off, s[0:3], 0 offset:588
	buffer_load_dword v186, off, s[0:3], 0 offset:564
	buffer_load_dword v185, off, s[0:3], 0 offset:560
	ds_read_b128 v[4:7], v192 offset:1328
	s_waitcnt vmcnt(58) lgkmcnt(1)
	v_mul_f64 v[199:200], v[131:132], v[197:198]
	v_mul_f64 v[197:198], v[133:134], v[197:198]
	s_waitcnt vmcnt(56)
	v_fma_f64 v[155:156], v[0:1], v[149:150], -v[155:156]
	v_fma_f64 v[149:150], v[2:3], v[149:150], v[214:215]
	v_add_f64 v[137:138], v[137:138], v[203:204]
	v_add_f64 v[135:136], v[135:136], v[143:144]
	s_clause 0x4
	buffer_load_dword v144, off, s[0:3], 0 offset:604
	buffer_load_dword v203, off, s[0:3], 0 offset:616
	;; [unrolled: 1-line block ×5, first 2 shown]
	ds_read_b128 v[0:3], v192 offset:1344
	s_waitcnt vmcnt(57) lgkmcnt(1)
	v_mul_f64 v[210:211], v[4:5], v[141:142]
	v_mul_f64 v[141:142], v[6:7], v[141:142]
	s_waitcnt vmcnt(56)
	v_fma_f64 v[197:198], v[131:132], v[212:213], -v[197:198]
	v_add_f64 v[137:138], v[137:138], v[155:156]
	v_fma_f64 v[155:156], v[133:134], v[212:213], v[199:200]
	v_add_f64 v[135:136], v[135:136], v[149:150]
	s_clause 0x2
	buffer_load_dword v204, off, s[0:3], 0 offset:620
	buffer_load_dword v150, off, s[0:3], 0 offset:596
	buffer_load_dword v149, off, s[0:3], 0 offset:592
	ds_read_b128 v[131:134], v192 offset:1360
	s_waitcnt vmcnt(58) lgkmcnt(1)
	v_mul_f64 v[199:200], v[0:1], v[159:160]
	v_mul_f64 v[159:160], v[2:3], v[159:160]
	s_waitcnt vmcnt(56)
	v_fma_f64 v[141:142], v[4:5], v[147:148], -v[141:142]
	v_fma_f64 v[147:148], v[6:7], v[147:148], v[210:211]
	v_add_f64 v[137:138], v[137:138], v[197:198]
	v_add_f64 v[135:136], v[135:136], v[155:156]
	s_clause 0x4
	buffer_load_dword v156, off, s[0:3], 0 offset:636
	buffer_load_dword v197, off, s[0:3], 0 offset:648
	;; [unrolled: 1-line block ×5, first 2 shown]
	ds_read_b128 v[4:7], v192 offset:1376
	s_waitcnt vmcnt(57) lgkmcnt(1)
	v_mul_f64 v[212:213], v[131:132], v[145:146]
	v_mul_f64 v[145:146], v[133:134], v[145:146]
	s_waitcnt vmcnt(56)
	v_fma_f64 v[159:160], v[0:1], v[207:208], -v[159:160]
	v_add_f64 v[137:138], v[137:138], v[141:142]
	v_fma_f64 v[141:142], v[2:3], v[207:208], v[199:200]
	v_add_f64 v[135:136], v[135:136], v[147:148]
	s_clause 0x2
	buffer_load_dword v198, off, s[0:3], 0 offset:652
	buffer_load_dword v148, off, s[0:3], 0 offset:628
	;; [unrolled: 1-line block ×3, first 2 shown]
	s_waitcnt vmcnt(58) lgkmcnt(0)
	v_mul_f64 v[199:200], v[4:5], v[167:168]
	v_mul_f64 v[167:168], v[6:7], v[167:168]
	ds_read_b128 v[0:3], v192 offset:1392
	s_waitcnt vmcnt(56)
	v_fma_f64 v[145:146], v[131:132], v[153:154], -v[145:146]
	v_fma_f64 v[153:154], v[133:134], v[153:154], v[212:213]
	v_add_f64 v[137:138], v[137:138], v[159:160]
	v_add_f64 v[135:136], v[135:136], v[141:142]
	s_clause 0x4
	buffer_load_dword v142, off, s[0:3], 0 offset:668
	buffer_load_dword v159, off, s[0:3], 0 offset:680
	;; [unrolled: 1-line block ×5, first 2 shown]
	ds_read_b128 v[131:134], v192 offset:1408
	s_waitcnt vmcnt(57) lgkmcnt(1)
	v_mul_f64 v[213:214], v[0:1], v[151:152]
	v_mul_f64 v[151:152], v[2:3], v[151:152]
	s_waitcnt vmcnt(56)
	v_fma_f64 v[167:168], v[4:5], v[193:194], -v[167:168]
	v_add_f64 v[137:138], v[137:138], v[145:146]
	v_fma_f64 v[145:146], v[6:7], v[193:194], v[199:200]
	v_add_f64 v[135:136], v[135:136], v[153:154]
	s_clause 0x2
	buffer_load_dword v160, off, s[0:3], 0 offset:684
	buffer_load_dword v154, off, s[0:3], 0 offset:660
	;; [unrolled: 1-line block ×3, first 2 shown]
	s_waitcnt vmcnt(58) lgkmcnt(0)
	v_mul_f64 v[193:194], v[131:132], v[173:174]
	v_mul_f64 v[173:174], v[133:134], v[173:174]
	ds_read_b128 v[4:7], v192 offset:1424
	s_waitcnt vmcnt(56)
	v_fma_f64 v[151:152], v[0:1], v[163:164], -v[151:152]
	v_fma_f64 v[163:164], v[2:3], v[163:164], v[213:214]
	v_add_f64 v[137:138], v[137:138], v[167:168]
	v_add_f64 v[135:136], v[135:136], v[145:146]
	s_clause 0x4
	buffer_load_dword v146, off, s[0:3], 0 offset:700
	buffer_load_dword v167, off, s[0:3], 0 offset:712
	buffer_load_dword v199, off, s[0:3], 0 offset:704
	buffer_load_dword v145, off, s[0:3], 0 offset:696
	buffer_load_dword v208, off, s[0:3], 0 offset:676
	ds_read_b128 v[0:3], v192 offset:1440
	s_waitcnt vmcnt(57) lgkmcnt(1)
	v_mul_f64 v[213:214], v[4:5], v[157:158]
	v_mul_f64 v[157:158], v[6:7], v[157:158]
	s_waitcnt vmcnt(56)
	v_fma_f64 v[173:174], v[131:132], v[175:176], -v[173:174]
	v_add_f64 v[137:138], v[137:138], v[151:152]
	v_fma_f64 v[151:152], v[133:134], v[175:176], v[193:194]
	v_add_f64 v[135:136], v[135:136], v[163:164]
	s_clause 0x2
	buffer_load_dword v168, off, s[0:3], 0 offset:716
	buffer_load_dword v164, off, s[0:3], 0 offset:692
	buffer_load_dword v163, off, s[0:3], 0 offset:688
	ds_read_b128 v[131:134], v192 offset:1456
	s_waitcnt vmcnt(58) lgkmcnt(1)
	v_mul_f64 v[175:176], v[0:1], v[181:182]
	v_mul_f64 v[181:182], v[2:3], v[181:182]
	s_waitcnt vmcnt(56)
	v_fma_f64 v[157:158], v[4:5], v[161:162], -v[157:158]
	v_fma_f64 v[161:162], v[6:7], v[161:162], v[213:214]
	v_add_f64 v[137:138], v[137:138], v[173:174]
	v_add_f64 v[135:136], v[135:136], v[151:152]
	s_clause 0x4
	buffer_load_dword v152, off, s[0:3], 0 offset:732
	buffer_load_dword v173, off, s[0:3], 0 offset:744
	buffer_load_dword v193, off, s[0:3], 0 offset:736
	buffer_load_dword v151, off, s[0:3], 0 offset:728
	buffer_load_dword v200, off, s[0:3], 0 offset:708
	ds_read_b128 v[4:7], v192 offset:1472
	s_waitcnt vmcnt(57) lgkmcnt(1)
	v_mul_f64 v[213:214], v[131:132], v[165:166]
	v_mul_f64 v[165:166], v[133:134], v[165:166]
	s_waitcnt vmcnt(56)
	v_fma_f64 v[181:182], v[0:1], v[183:184], -v[181:182]
	v_add_f64 v[137:138], v[137:138], v[157:158]
	v_fma_f64 v[157:158], v[2:3], v[183:184], v[175:176]
	v_add_f64 v[135:136], v[135:136], v[161:162]
	s_clause 0x2
	buffer_load_dword v174, off, s[0:3], 0 offset:748
	buffer_load_dword v162, off, s[0:3], 0 offset:724
	buffer_load_dword v161, off, s[0:3], 0 offset:720
	ds_read_b128 v[0:3], v192 offset:1488
	s_waitcnt vmcnt(58) lgkmcnt(1)
	v_mul_f64 v[183:184], v[6:7], v[187:188]
	v_mul_f64 v[175:176], v[4:5], v[187:188]
	;; [unrolled: 28-line block ×4, first 2 shown]
	s_waitcnt vmcnt(56)
	v_fma_f64 v[179:180], v[4:5], v[185:186], -v[179:180]
	v_add_f64 v[137:138], v[137:138], v[177:178]
	v_fma_f64 v[177:178], v[6:7], v[185:186], v[190:191]
	v_add_f64 v[135:136], v[135:136], v[171:172]
	s_clause 0x4
	buffer_load_dword v172, off, s[0:3], 0 offset:828
	buffer_load_dword v185, off, s[0:3], 0 offset:840
	;; [unrolled: 1-line block ×5, first 2 shown]
	ds_read_b128 v[4:7], v192 offset:1568
	s_waitcnt vmcnt(57) lgkmcnt(1)
	v_mul_f64 v[213:214], v[131:132], v[143:144]
	v_mul_f64 v[143:144], v[133:134], v[143:144]
	s_waitcnt vmcnt(56)
	v_fma_f64 v[195:196], v[0:1], v[205:206], -v[195:196]
	v_fma_f64 v[175:176], v[2:3], v[205:206], v[175:176]
	v_add_f64 v[137:138], v[137:138], v[179:180]
	v_add_f64 v[135:136], v[135:136], v[177:178]
	s_clause 0x2
	buffer_load_dword v186, off, s[0:3], 0 offset:844
	buffer_load_dword v178, off, s[0:3], 0 offset:820
	buffer_load_dword v177, off, s[0:3], 0 offset:816
	ds_read_b128 v[0:3], v192 offset:1584
	s_waitcnt vmcnt(58) lgkmcnt(1)
	v_mul_f64 v[179:180], v[4:5], v[203:204]
	v_mul_f64 v[203:204], v[6:7], v[203:204]
	s_waitcnt vmcnt(56)
	v_fma_f64 v[143:144], v[131:132], v[149:150], -v[143:144]
	v_fma_f64 v[149:150], v[133:134], v[149:150], v[213:214]
	v_add_f64 v[137:138], v[137:138], v[195:196]
	v_add_f64 v[135:136], v[135:136], v[175:176]
	s_clause 0x4
	buffer_load_dword v176, off, s[0:3], 0 offset:860
	buffer_load_dword v195, off, s[0:3], 0 offset:872
	buffer_load_dword v205, off, s[0:3], 0 offset:864
	buffer_load_dword v175, off, s[0:3], 0 offset:856
	buffer_load_dword v202, off, s[0:3], 0 offset:836
	ds_read_b128 v[131:134], v192 offset:1600
	s_waitcnt vmcnt(57) lgkmcnt(1)
	v_mul_f64 v[213:214], v[0:1], v[155:156]
	v_mul_f64 v[155:156], v[2:3], v[155:156]
	s_waitcnt vmcnt(56)
	v_fma_f64 v[203:204], v[4:5], v[209:210], -v[203:204]
	v_add_f64 v[137:138], v[137:138], v[143:144]
	v_fma_f64 v[143:144], v[6:7], v[209:210], v[179:180]
	v_add_f64 v[135:136], v[135:136], v[149:150]
	s_clause 0x2
	buffer_load_dword v196, off, s[0:3], 0 offset:876
	buffer_load_dword v150, off, s[0:3], 0 offset:852
	buffer_load_dword v149, off, s[0:3], 0 offset:848
	ds_read_b128 v[4:7], v192 offset:1616
	s_waitcnt vmcnt(58) lgkmcnt(1)
	v_mul_f64 v[179:180], v[131:132], v[197:198]
	v_mul_f64 v[197:198], v[133:134], v[197:198]
	s_waitcnt vmcnt(56)
	v_fma_f64 v[155:156], v[0:1], v[147:148], -v[155:156]
	v_fma_f64 v[147:148], v[2:3], v[147:148], v[213:214]
	v_add_f64 v[137:138], v[137:138], v[203:204]
	v_add_f64 v[135:136], v[135:136], v[143:144]
	s_clause 0x4
	buffer_load_dword v144, off, s[0:3], 0 offset:892
	buffer_load_dword v203, off, s[0:3], 0 offset:904
	buffer_load_dword v209, off, s[0:3], 0 offset:896
	buffer_load_dword v143, off, s[0:3], 0 offset:888
	buffer_load_dword v206, off, s[0:3], 0 offset:868
	ds_read_b128 v[0:3], v192 offset:1632
	s_waitcnt vmcnt(57) lgkmcnt(1)
	v_mul_f64 v[213:214], v[4:5], v[141:142]
	v_mul_f64 v[141:142], v[6:7], v[141:142]
	s_waitcnt vmcnt(56)
	v_fma_f64 v[197:198], v[131:132], v[211:212], -v[197:198]
	v_add_f64 v[137:138], v[137:138], v[155:156]
	v_fma_f64 v[155:156], v[133:134], v[211:212], v[179:180]
	;; [unrolled: 28-line block ×3, first 2 shown]
	v_add_f64 v[135:136], v[135:136], v[153:154]
	s_clause 0x2
	buffer_load_dword v198, off, s[0:3], 0 offset:940
	buffer_load_dword v154, off, s[0:3], 0 offset:916
	;; [unrolled: 1-line block ×3, first 2 shown]
	ds_read_b128 v[0:3], v192 offset:1680
	s_waitcnt vmcnt(58) lgkmcnt(1)
	v_mul_f64 v[179:180], v[4:5], v[167:168]
	v_mul_f64 v[167:168], v[6:7], v[167:168]
	s_waitcnt vmcnt(56)
	v_fma_f64 v[145:146], v[131:132], v[163:164], -v[145:146]
	v_add_f64 v[137:138], v[137:138], v[159:160]
	v_fma_f64 v[159:160], v[133:134], v[163:164], v[212:213]
	v_add_f64 v[135:136], v[135:136], v[141:142]
	s_clause 0x4
	buffer_load_dword v142, off, s[0:3], 0 offset:956
	buffer_load_dword v163, off, s[0:3], 0 offset:968
	;; [unrolled: 1-line block ×5, first 2 shown]
	ds_read_b128 v[131:134], v192 offset:1696
	s_waitcnt vmcnt(57) lgkmcnt(1)
	v_mul_f64 v[213:214], v[0:1], v[151:152]
	v_mul_f64 v[151:152], v[2:3], v[151:152]
	s_waitcnt vmcnt(56)
	v_fma_f64 v[167:168], v[4:5], v[199:200], -v[167:168]
	v_add_f64 v[137:138], v[137:138], v[145:146]
	v_fma_f64 v[145:146], v[6:7], v[199:200], v[179:180]
	v_add_f64 v[135:136], v[135:136], v[159:160]
	s_clause 0x2
	buffer_load_dword v164, off, s[0:3], 0 offset:972
	buffer_load_dword v160, off, s[0:3], 0 offset:948
	;; [unrolled: 1-line block ×3, first 2 shown]
	ds_read_b128 v[4:7], v192 offset:1712
	s_waitcnt vmcnt(58) lgkmcnt(1)
	v_mul_f64 v[179:180], v[131:132], v[173:174]
	v_mul_f64 v[173:174], v[133:134], v[173:174]
	s_waitcnt vmcnt(56)
	v_fma_f64 v[151:152], v[0:1], v[161:162], -v[151:152]
	v_fma_f64 v[161:162], v[2:3], v[161:162], v[213:214]
	v_add_f64 v[137:138], v[137:138], v[167:168]
	v_add_f64 v[135:136], v[135:136], v[145:146]
	s_clause 0x2
	buffer_load_dword v146, off, s[0:3], 0 offset:988
	buffer_load_dword v145, off, s[0:3], 0 offset:984
	;; [unrolled: 1-line block ×3, first 2 shown]
	ds_read_b128 v[0:3], v192 offset:1728
	s_waitcnt vmcnt(55) lgkmcnt(1)
	v_mul_f64 v[167:168], v[4:5], v[157:158]
	v_mul_f64 v[157:158], v[6:7], v[157:158]
	s_waitcnt vmcnt(54)
	v_fma_f64 v[173:174], v[131:132], v[193:194], -v[173:174]
	v_add_f64 v[137:138], v[137:138], v[151:152]
	v_fma_f64 v[151:152], v[133:134], v[193:194], v[179:180]
	v_add_f64 v[135:136], v[135:136], v[161:162]
	s_clause 0x1
	buffer_load_dword v162, off, s[0:3], 0 offset:980
	buffer_load_dword v161, off, s[0:3], 0 offset:976
	ds_read_b128 v[131:134], v192 offset:1744
	s_waitcnt vmcnt(55) lgkmcnt(1)
	v_mul_f64 v[179:180], v[0:1], v[181:182]
	v_mul_f64 v[181:182], v[2:3], v[181:182]
	s_waitcnt vmcnt(53)
	v_fma_f64 v[157:158], v[4:5], v[169:170], -v[157:158]
	v_fma_f64 v[167:168], v[6:7], v[169:170], v[167:168]
	ds_read_b128 v[4:7], v192 offset:1760
	v_add_f64 v[137:138], v[137:138], v[173:174]
	v_add_f64 v[135:136], v[135:136], v[151:152]
	s_waitcnt vmcnt(49) lgkmcnt(1)
	v_mul_f64 v[151:152], v[131:132], v[165:166]
	v_mul_f64 v[165:166], v[133:134], v[165:166]
	s_waitcnt vmcnt(48)
	v_fma_f64 v[169:170], v[0:1], v[187:188], -v[181:182]
	v_add_f64 v[137:138], v[137:138], v[157:158]
	v_fma_f64 v[157:158], v[2:3], v[187:188], v[179:180]
	v_add_f64 v[135:136], v[135:136], v[167:168]
	s_clause 0x3
	buffer_load_dword v167, off, s[0:3], 0 offset:16
	buffer_load_dword v168, off, s[0:3], 0 offset:20
	;; [unrolled: 1-line block ×4, first 2 shown]
	ds_read_b128 v[0:3], v192 offset:1776
	s_waitcnt vmcnt(51) lgkmcnt(1)
	v_mul_f64 v[181:182], v[6:7], v[183:184]
	v_mul_f64 v[179:180], v[4:5], v[183:184]
	s_waitcnt vmcnt(49)
	v_fma_f64 v[165:166], v[131:132], v[139:140], -v[165:166]
	v_fma_f64 v[139:140], v[133:134], v[139:140], v[151:152]
	ds_read_b128 v[131:134], v192 offset:1792
	v_add_f64 v[137:138], v[137:138], v[169:170]
	v_add_f64 v[135:136], v[135:136], v[157:158]
	s_waitcnt vmcnt(45) lgkmcnt(1)
	v_mul_f64 v[157:158], v[2:3], v[171:172]
	s_waitcnt vmcnt(44)
	v_fma_f64 v[169:170], v[4:5], v[189:190], -v[181:182]
	v_mul_f64 v[151:152], v[0:1], v[171:172]
	v_add_f64 v[137:138], v[137:138], v[165:166]
	v_fma_f64 v[165:166], v[6:7], v[189:190], v[179:180]
	v_add_f64 v[135:136], v[135:136], v[139:140]
	ds_read_b128 v[4:7], v192 offset:1808
	s_waitcnt vmcnt(43) lgkmcnt(1)
	v_mul_f64 v[171:172], v[133:134], v[185:186]
	v_mul_f64 v[139:140], v[131:132], v[185:186]
	s_waitcnt vmcnt(41)
	v_fma_f64 v[157:158], v[0:1], v[177:178], -v[157:158]
	v_fma_f64 v[151:152], v[2:3], v[177:178], v[151:152]
	ds_read_b128 v[0:3], v192 offset:1824
	v_add_f64 v[137:138], v[137:138], v[169:170]
	v_add_f64 v[135:136], v[135:136], v[165:166]
	s_waitcnt vmcnt(37) lgkmcnt(1)
	v_mul_f64 v[169:170], v[6:7], v[175:176]
	s_waitcnt vmcnt(36)
	v_fma_f64 v[171:172], v[131:132], v[201:202], -v[171:172]
	v_mul_f64 v[165:166], v[4:5], v[175:176]
	v_fma_f64 v[139:140], v[133:134], v[201:202], v[139:140]
	ds_read_b128 v[131:134], v192 offset:1840
	v_add_f64 v[137:138], v[137:138], v[157:158]
	v_add_f64 v[135:136], v[135:136], v[151:152]
	s_waitcnt vmcnt(35) lgkmcnt(1)
	v_mul_f64 v[157:158], v[2:3], v[195:196]
	v_mul_f64 v[151:152], v[0:1], v[195:196]
	s_waitcnt vmcnt(33)
	v_fma_f64 v[169:170], v[4:5], v[149:150], -v[169:170]
	v_fma_f64 v[149:150], v[6:7], v[149:150], v[165:166]
	ds_read_b128 v[4:7], v192 offset:1856
	v_add_f64 v[137:138], v[137:138], v[171:172]
	v_add_f64 v[135:136], v[135:136], v[139:140]
	s_waitcnt vmcnt(29) lgkmcnt(1)
	v_mul_f64 v[139:140], v[131:132], v[143:144]
	v_mul_f64 v[143:144], v[133:134], v[143:144]
	s_waitcnt vmcnt(28)
	v_fma_f64 v[157:158], v[0:1], v[205:206], -v[157:158]
	;; [unrolled: 9-line block ×4, first 2 shown]
	v_add_f64 v[137:138], v[137:138], v[143:144]
	v_fma_f64 v[143:144], v[6:7], v[209:210], v[149:150]
	v_add_f64 v[135:136], v[135:136], v[139:140]
	ds_read_b128 v[4:7], v192 offset:1904
	s_waitcnt vmcnt(19) lgkmcnt(1)
	v_mul_f64 v[149:150], v[133:134], v[197:198]
	v_mul_f64 v[139:140], v[131:132], v[197:198]
	s_waitcnt vmcnt(17)
	v_fma_f64 v[151:152], v[0:1], v[153:154], -v[151:152]
	v_fma_f64 v[147:148], v[2:3], v[153:154], v[147:148]
	ds_read_b128 v[0:3], v192 offset:1920
	v_add_f64 v[137:138], v[137:138], v[155:156]
	v_add_f64 v[135:136], v[135:136], v[143:144]
	s_waitcnt vmcnt(13) lgkmcnt(1)
	v_mul_f64 v[143:144], v[4:5], v[141:142]
	v_mul_f64 v[141:142], v[6:7], v[141:142]
	s_waitcnt vmcnt(12)
	v_fma_f64 v[149:150], v[131:132], v[211:212], -v[149:150]
	v_fma_f64 v[139:140], v[133:134], v[211:212], v[139:140]
	ds_read_b128 v[131:134], v192 offset:1936
	v_add_f64 v[137:138], v[137:138], v[151:152]
	v_add_f64 v[135:136], v[135:136], v[147:148]
	s_waitcnt vmcnt(11) lgkmcnt(1)
	v_mul_f64 v[151:152], v[2:3], v[163:164]
	v_mul_f64 v[147:148], v[0:1], v[163:164]
	s_waitcnt vmcnt(9)
	v_fma_f64 v[4:5], v[4:5], v[159:160], -v[141:142]
	v_fma_f64 v[6:7], v[6:7], v[159:160], v[143:144]
	v_add_f64 v[137:138], v[137:138], v[149:150]
	v_add_f64 v[135:136], v[135:136], v[139:140]
	s_waitcnt vmcnt(7) lgkmcnt(0)
	v_mul_f64 v[141:142], v[133:134], v[145:146]
	s_waitcnt vmcnt(6)
	v_fma_f64 v[0:1], v[0:1], v[207:208], -v[151:152]
	v_mul_f64 v[139:140], v[131:132], v[145:146]
	v_fma_f64 v[2:3], v[2:3], v[207:208], v[147:148]
	v_add_f64 v[4:5], v[137:138], v[4:5]
	v_add_f64 v[6:7], v[135:136], v[6:7]
	s_waitcnt vmcnt(4)
	v_fma_f64 v[131:132], v[131:132], v[161:162], -v[141:142]
	v_add_f64 v[0:1], v[4:5], v[0:1]
	v_fma_f64 v[4:5], v[133:134], v[161:162], v[139:140]
	v_add_f64 v[2:3], v[6:7], v[2:3]
	v_add_f64 v[0:1], v[0:1], v[131:132]
	;; [unrolled: 1-line block ×3, first 2 shown]
	s_waitcnt vmcnt(2)
	v_add_f64 v[0:1], v[167:168], -v[0:1]
	s_waitcnt vmcnt(0)
	v_add_f64 v[2:3], v[173:174], -v[2:3]
	buffer_store_dword v1, off, s[0:3], 0 offset:20
	buffer_store_dword v0, off, s[0:3], 0 offset:16
	;; [unrolled: 1-line block ×4, first 2 shown]
	s_cbranch_vccz .LBB124_512
; %bb.392:
	v_mov_b32_e32 v0, 0
	global_load_dword v1, v0, s[12:13] offset:236
	s_waitcnt vmcnt(0)
	v_add_nc_u32_e32 v1, -1, v1
	v_cmp_ne_u32_e32 vcc_lo, 59, v1
	s_cbranch_vccz .LBB124_394
; %bb.393:
	v_lshlrev_b32_e32 v1, 4, v1
	v_mov_b32_e32 v2, s15
	v_add_nc_u32_e32 v1, 16, v1
	s_clause 0x7
	buffer_load_dword v3, v1, s[0:3], 0 offen
	buffer_load_dword v4, v1, s[0:3], 0 offen offset:4
	buffer_load_dword v5, v1, s[0:3], 0 offen offset:8
	;; [unrolled: 1-line block ×6, first 2 shown]
	buffer_load_dword v132, v2, s[0:3], 0 offen
	s_waitcnt vmcnt(7)
	buffer_store_dword v3, v2, s[0:3], 0 offen
	s_waitcnt vmcnt(6)
	buffer_store_dword v4, v2, s[0:3], 0 offen offset:4
	s_waitcnt vmcnt(5)
	buffer_store_dword v5, v2, s[0:3], 0 offen offset:8
	s_waitcnt vmcnt(4)
	buffer_store_dword v6, v2, s[0:3], 0 offen offset:12
	s_waitcnt vmcnt(3)
	buffer_store_dword v7, v1, s[0:3], 0 offen offset:12
	s_waitcnt vmcnt(2)
	buffer_store_dword v8, v1, s[0:3], 0 offen offset:8
	s_waitcnt vmcnt(1)
	buffer_store_dword v131, v1, s[0:3], 0 offen offset:4
	s_waitcnt vmcnt(0)
	buffer_store_dword v132, v1, s[0:3], 0 offen
.LBB124_394:
	global_load_dword v0, v0, s[12:13] offset:232
	s_waitcnt vmcnt(0)
	v_add_nc_u32_e32 v0, -1, v0
	v_cmp_eq_u32_e32 vcc_lo, 58, v0
	s_cbranch_vccnz .LBB124_396
; %bb.395:
	v_lshlrev_b32_e32 v0, 4, v0
	v_mov_b32_e32 v1, s16
	v_add_nc_u32_e32 v0, 16, v0
	s_clause 0x7
	buffer_load_dword v2, v0, s[0:3], 0 offen
	buffer_load_dword v3, v0, s[0:3], 0 offen offset:4
	buffer_load_dword v4, v0, s[0:3], 0 offen offset:8
	;; [unrolled: 1-line block ×6, first 2 shown]
	buffer_load_dword v131, v1, s[0:3], 0 offen
	s_waitcnt vmcnt(7)
	buffer_store_dword v2, v1, s[0:3], 0 offen
	s_waitcnt vmcnt(6)
	buffer_store_dword v3, v1, s[0:3], 0 offen offset:4
	s_waitcnt vmcnt(5)
	buffer_store_dword v4, v1, s[0:3], 0 offen offset:8
	;; [unrolled: 2-line block ×6, first 2 shown]
	s_waitcnt vmcnt(0)
	buffer_store_dword v131, v0, s[0:3], 0 offen
.LBB124_396:
	v_mov_b32_e32 v0, 0
	global_load_dword v1, v0, s[12:13] offset:228
	s_waitcnt vmcnt(0)
	v_add_nc_u32_e32 v1, -1, v1
	v_cmp_eq_u32_e32 vcc_lo, 57, v1
	s_cbranch_vccnz .LBB124_398
; %bb.397:
	v_lshlrev_b32_e32 v1, 4, v1
	v_mov_b32_e32 v2, s17
	v_add_nc_u32_e32 v1, 16, v1
	s_clause 0x7
	buffer_load_dword v3, v1, s[0:3], 0 offen
	buffer_load_dword v4, v1, s[0:3], 0 offen offset:4
	buffer_load_dword v5, v1, s[0:3], 0 offen offset:8
	;; [unrolled: 1-line block ×6, first 2 shown]
	buffer_load_dword v132, v2, s[0:3], 0 offen
	s_waitcnt vmcnt(7)
	buffer_store_dword v3, v2, s[0:3], 0 offen
	s_waitcnt vmcnt(6)
	buffer_store_dword v4, v2, s[0:3], 0 offen offset:4
	s_waitcnt vmcnt(5)
	buffer_store_dword v5, v2, s[0:3], 0 offen offset:8
	s_waitcnt vmcnt(4)
	buffer_store_dword v6, v2, s[0:3], 0 offen offset:12
	s_waitcnt vmcnt(3)
	buffer_store_dword v7, v1, s[0:3], 0 offen offset:12
	s_waitcnt vmcnt(2)
	buffer_store_dword v8, v1, s[0:3], 0 offen offset:8
	s_waitcnt vmcnt(1)
	buffer_store_dword v131, v1, s[0:3], 0 offen offset:4
	s_waitcnt vmcnt(0)
	buffer_store_dword v132, v1, s[0:3], 0 offen
.LBB124_398:
	global_load_dword v0, v0, s[12:13] offset:224
	s_waitcnt vmcnt(0)
	v_add_nc_u32_e32 v0, -1, v0
	v_cmp_eq_u32_e32 vcc_lo, 56, v0
	s_cbranch_vccnz .LBB124_400
; %bb.399:
	v_lshlrev_b32_e32 v0, 4, v0
	v_mov_b32_e32 v1, s18
	v_add_nc_u32_e32 v0, 16, v0
	s_clause 0x7
	buffer_load_dword v2, v0, s[0:3], 0 offen
	buffer_load_dword v3, v0, s[0:3], 0 offen offset:4
	buffer_load_dword v4, v0, s[0:3], 0 offen offset:8
	;; [unrolled: 1-line block ×6, first 2 shown]
	buffer_load_dword v131, v1, s[0:3], 0 offen
	s_waitcnt vmcnt(7)
	buffer_store_dword v2, v1, s[0:3], 0 offen
	s_waitcnt vmcnt(6)
	buffer_store_dword v3, v1, s[0:3], 0 offen offset:4
	s_waitcnt vmcnt(5)
	buffer_store_dword v4, v1, s[0:3], 0 offen offset:8
	;; [unrolled: 2-line block ×6, first 2 shown]
	s_waitcnt vmcnt(0)
	buffer_store_dword v131, v0, s[0:3], 0 offen
.LBB124_400:
	v_mov_b32_e32 v0, 0
	global_load_dword v1, v0, s[12:13] offset:220
	s_waitcnt vmcnt(0)
	v_add_nc_u32_e32 v1, -1, v1
	v_cmp_eq_u32_e32 vcc_lo, 55, v1
	s_cbranch_vccnz .LBB124_402
; %bb.401:
	v_lshlrev_b32_e32 v1, 4, v1
	v_mov_b32_e32 v2, s19
	v_add_nc_u32_e32 v1, 16, v1
	s_clause 0x7
	buffer_load_dword v3, v1, s[0:3], 0 offen
	buffer_load_dword v4, v1, s[0:3], 0 offen offset:4
	buffer_load_dword v5, v1, s[0:3], 0 offen offset:8
	;; [unrolled: 1-line block ×6, first 2 shown]
	buffer_load_dword v132, v2, s[0:3], 0 offen
	s_waitcnt vmcnt(7)
	buffer_store_dword v3, v2, s[0:3], 0 offen
	s_waitcnt vmcnt(6)
	buffer_store_dword v4, v2, s[0:3], 0 offen offset:4
	s_waitcnt vmcnt(5)
	buffer_store_dword v5, v2, s[0:3], 0 offen offset:8
	;; [unrolled: 2-line block ×6, first 2 shown]
	s_waitcnt vmcnt(0)
	buffer_store_dword v132, v1, s[0:3], 0 offen
.LBB124_402:
	global_load_dword v0, v0, s[12:13] offset:216
	s_waitcnt vmcnt(0)
	v_add_nc_u32_e32 v0, -1, v0
	v_cmp_eq_u32_e32 vcc_lo, 54, v0
	s_cbranch_vccnz .LBB124_404
; %bb.403:
	v_lshlrev_b32_e32 v0, 4, v0
	v_mov_b32_e32 v1, s20
	v_add_nc_u32_e32 v0, 16, v0
	s_clause 0x7
	buffer_load_dword v2, v0, s[0:3], 0 offen
	buffer_load_dword v3, v0, s[0:3], 0 offen offset:4
	buffer_load_dword v4, v0, s[0:3], 0 offen offset:8
	;; [unrolled: 1-line block ×6, first 2 shown]
	buffer_load_dword v131, v1, s[0:3], 0 offen
	s_waitcnt vmcnt(7)
	buffer_store_dword v2, v1, s[0:3], 0 offen
	s_waitcnt vmcnt(6)
	buffer_store_dword v3, v1, s[0:3], 0 offen offset:4
	s_waitcnt vmcnt(5)
	buffer_store_dword v4, v1, s[0:3], 0 offen offset:8
	;; [unrolled: 2-line block ×6, first 2 shown]
	s_waitcnt vmcnt(0)
	buffer_store_dword v131, v0, s[0:3], 0 offen
.LBB124_404:
	v_mov_b32_e32 v0, 0
	global_load_dword v1, v0, s[12:13] offset:212
	s_waitcnt vmcnt(0)
	v_add_nc_u32_e32 v1, -1, v1
	v_cmp_eq_u32_e32 vcc_lo, 53, v1
	s_cbranch_vccnz .LBB124_406
; %bb.405:
	v_lshlrev_b32_e32 v1, 4, v1
	v_mov_b32_e32 v2, s21
	v_add_nc_u32_e32 v1, 16, v1
	s_clause 0x7
	buffer_load_dword v3, v1, s[0:3], 0 offen
	buffer_load_dword v4, v1, s[0:3], 0 offen offset:4
	buffer_load_dword v5, v1, s[0:3], 0 offen offset:8
	;; [unrolled: 1-line block ×6, first 2 shown]
	buffer_load_dword v132, v2, s[0:3], 0 offen
	s_waitcnt vmcnt(7)
	buffer_store_dword v3, v2, s[0:3], 0 offen
	s_waitcnt vmcnt(6)
	buffer_store_dword v4, v2, s[0:3], 0 offen offset:4
	s_waitcnt vmcnt(5)
	buffer_store_dword v5, v2, s[0:3], 0 offen offset:8
	;; [unrolled: 2-line block ×6, first 2 shown]
	s_waitcnt vmcnt(0)
	buffer_store_dword v132, v1, s[0:3], 0 offen
.LBB124_406:
	global_load_dword v0, v0, s[12:13] offset:208
	s_waitcnt vmcnt(0)
	v_add_nc_u32_e32 v0, -1, v0
	v_cmp_eq_u32_e32 vcc_lo, 52, v0
	s_cbranch_vccnz .LBB124_408
; %bb.407:
	v_lshlrev_b32_e32 v0, 4, v0
	v_mov_b32_e32 v1, s22
	v_add_nc_u32_e32 v0, 16, v0
	s_clause 0x7
	buffer_load_dword v2, v0, s[0:3], 0 offen
	buffer_load_dword v3, v0, s[0:3], 0 offen offset:4
	buffer_load_dword v4, v0, s[0:3], 0 offen offset:8
	;; [unrolled: 1-line block ×6, first 2 shown]
	buffer_load_dword v131, v1, s[0:3], 0 offen
	s_waitcnt vmcnt(7)
	buffer_store_dword v2, v1, s[0:3], 0 offen
	s_waitcnt vmcnt(6)
	buffer_store_dword v3, v1, s[0:3], 0 offen offset:4
	s_waitcnt vmcnt(5)
	buffer_store_dword v4, v1, s[0:3], 0 offen offset:8
	;; [unrolled: 2-line block ×6, first 2 shown]
	s_waitcnt vmcnt(0)
	buffer_store_dword v131, v0, s[0:3], 0 offen
.LBB124_408:
	v_mov_b32_e32 v0, 0
	global_load_dword v1, v0, s[12:13] offset:204
	s_waitcnt vmcnt(0)
	v_add_nc_u32_e32 v1, -1, v1
	v_cmp_eq_u32_e32 vcc_lo, 51, v1
	s_cbranch_vccnz .LBB124_410
; %bb.409:
	v_lshlrev_b32_e32 v1, 4, v1
	v_mov_b32_e32 v2, s23
	v_add_nc_u32_e32 v1, 16, v1
	s_clause 0x7
	buffer_load_dword v3, v1, s[0:3], 0 offen
	buffer_load_dword v4, v1, s[0:3], 0 offen offset:4
	buffer_load_dword v5, v1, s[0:3], 0 offen offset:8
	;; [unrolled: 1-line block ×6, first 2 shown]
	buffer_load_dword v132, v2, s[0:3], 0 offen
	s_waitcnt vmcnt(7)
	buffer_store_dword v3, v2, s[0:3], 0 offen
	s_waitcnt vmcnt(6)
	buffer_store_dword v4, v2, s[0:3], 0 offen offset:4
	s_waitcnt vmcnt(5)
	buffer_store_dword v5, v2, s[0:3], 0 offen offset:8
	;; [unrolled: 2-line block ×6, first 2 shown]
	s_waitcnt vmcnt(0)
	buffer_store_dword v132, v1, s[0:3], 0 offen
.LBB124_410:
	global_load_dword v0, v0, s[12:13] offset:200
	s_waitcnt vmcnt(0)
	v_add_nc_u32_e32 v0, -1, v0
	v_cmp_eq_u32_e32 vcc_lo, 50, v0
	s_cbranch_vccnz .LBB124_412
; %bb.411:
	v_lshlrev_b32_e32 v0, 4, v0
	v_mov_b32_e32 v1, s24
	v_add_nc_u32_e32 v0, 16, v0
	s_clause 0x7
	buffer_load_dword v2, v0, s[0:3], 0 offen
	buffer_load_dword v3, v0, s[0:3], 0 offen offset:4
	buffer_load_dword v4, v0, s[0:3], 0 offen offset:8
	;; [unrolled: 1-line block ×6, first 2 shown]
	buffer_load_dword v131, v1, s[0:3], 0 offen
	s_waitcnt vmcnt(7)
	buffer_store_dword v2, v1, s[0:3], 0 offen
	s_waitcnt vmcnt(6)
	buffer_store_dword v3, v1, s[0:3], 0 offen offset:4
	s_waitcnt vmcnt(5)
	buffer_store_dword v4, v1, s[0:3], 0 offen offset:8
	;; [unrolled: 2-line block ×6, first 2 shown]
	s_waitcnt vmcnt(0)
	buffer_store_dword v131, v0, s[0:3], 0 offen
.LBB124_412:
	v_mov_b32_e32 v0, 0
	global_load_dword v1, v0, s[12:13] offset:196
	s_waitcnt vmcnt(0)
	v_add_nc_u32_e32 v1, -1, v1
	v_cmp_eq_u32_e32 vcc_lo, 49, v1
	s_cbranch_vccnz .LBB124_414
; %bb.413:
	v_lshlrev_b32_e32 v1, 4, v1
	v_mov_b32_e32 v2, s25
	v_add_nc_u32_e32 v1, 16, v1
	s_clause 0x7
	buffer_load_dword v3, v1, s[0:3], 0 offen
	buffer_load_dword v4, v1, s[0:3], 0 offen offset:4
	buffer_load_dword v5, v1, s[0:3], 0 offen offset:8
	;; [unrolled: 1-line block ×6, first 2 shown]
	buffer_load_dword v132, v2, s[0:3], 0 offen
	s_waitcnt vmcnt(7)
	buffer_store_dword v3, v2, s[0:3], 0 offen
	s_waitcnt vmcnt(6)
	buffer_store_dword v4, v2, s[0:3], 0 offen offset:4
	s_waitcnt vmcnt(5)
	buffer_store_dword v5, v2, s[0:3], 0 offen offset:8
	;; [unrolled: 2-line block ×6, first 2 shown]
	s_waitcnt vmcnt(0)
	buffer_store_dword v132, v1, s[0:3], 0 offen
.LBB124_414:
	global_load_dword v0, v0, s[12:13] offset:192
	s_waitcnt vmcnt(0)
	v_add_nc_u32_e32 v0, -1, v0
	v_cmp_eq_u32_e32 vcc_lo, 48, v0
	s_cbranch_vccnz .LBB124_416
; %bb.415:
	v_lshlrev_b32_e32 v0, 4, v0
	v_mov_b32_e32 v1, s26
	v_add_nc_u32_e32 v0, 16, v0
	s_clause 0x7
	buffer_load_dword v2, v0, s[0:3], 0 offen
	buffer_load_dword v3, v0, s[0:3], 0 offen offset:4
	buffer_load_dword v4, v0, s[0:3], 0 offen offset:8
	;; [unrolled: 1-line block ×6, first 2 shown]
	buffer_load_dword v131, v1, s[0:3], 0 offen
	s_waitcnt vmcnt(7)
	buffer_store_dword v2, v1, s[0:3], 0 offen
	s_waitcnt vmcnt(6)
	buffer_store_dword v3, v1, s[0:3], 0 offen offset:4
	s_waitcnt vmcnt(5)
	buffer_store_dword v4, v1, s[0:3], 0 offen offset:8
	;; [unrolled: 2-line block ×6, first 2 shown]
	s_waitcnt vmcnt(0)
	buffer_store_dword v131, v0, s[0:3], 0 offen
.LBB124_416:
	v_mov_b32_e32 v0, 0
	global_load_dword v1, v0, s[12:13] offset:188
	s_waitcnt vmcnt(0)
	v_add_nc_u32_e32 v1, -1, v1
	v_cmp_eq_u32_e32 vcc_lo, 47, v1
	s_cbranch_vccnz .LBB124_418
; %bb.417:
	v_lshlrev_b32_e32 v1, 4, v1
	v_mov_b32_e32 v2, s27
	v_add_nc_u32_e32 v1, 16, v1
	s_clause 0x7
	buffer_load_dword v3, v1, s[0:3], 0 offen
	buffer_load_dword v4, v1, s[0:3], 0 offen offset:4
	buffer_load_dword v5, v1, s[0:3], 0 offen offset:8
	;; [unrolled: 1-line block ×6, first 2 shown]
	buffer_load_dword v132, v2, s[0:3], 0 offen
	s_waitcnt vmcnt(7)
	buffer_store_dword v3, v2, s[0:3], 0 offen
	s_waitcnt vmcnt(6)
	buffer_store_dword v4, v2, s[0:3], 0 offen offset:4
	s_waitcnt vmcnt(5)
	buffer_store_dword v5, v2, s[0:3], 0 offen offset:8
	;; [unrolled: 2-line block ×6, first 2 shown]
	s_waitcnt vmcnt(0)
	buffer_store_dword v132, v1, s[0:3], 0 offen
.LBB124_418:
	global_load_dword v0, v0, s[12:13] offset:184
	s_waitcnt vmcnt(0)
	v_add_nc_u32_e32 v0, -1, v0
	v_cmp_eq_u32_e32 vcc_lo, 46, v0
	s_cbranch_vccnz .LBB124_420
; %bb.419:
	v_lshlrev_b32_e32 v0, 4, v0
	v_mov_b32_e32 v1, s28
	v_add_nc_u32_e32 v0, 16, v0
	s_clause 0x7
	buffer_load_dword v2, v0, s[0:3], 0 offen
	buffer_load_dword v3, v0, s[0:3], 0 offen offset:4
	buffer_load_dword v4, v0, s[0:3], 0 offen offset:8
	;; [unrolled: 1-line block ×6, first 2 shown]
	buffer_load_dword v131, v1, s[0:3], 0 offen
	s_waitcnt vmcnt(7)
	buffer_store_dword v2, v1, s[0:3], 0 offen
	s_waitcnt vmcnt(6)
	buffer_store_dword v3, v1, s[0:3], 0 offen offset:4
	s_waitcnt vmcnt(5)
	buffer_store_dword v4, v1, s[0:3], 0 offen offset:8
	s_waitcnt vmcnt(4)
	buffer_store_dword v5, v1, s[0:3], 0 offen offset:12
	s_waitcnt vmcnt(3)
	buffer_store_dword v6, v0, s[0:3], 0 offen offset:12
	s_waitcnt vmcnt(2)
	buffer_store_dword v7, v0, s[0:3], 0 offen offset:8
	s_waitcnt vmcnt(1)
	buffer_store_dword v8, v0, s[0:3], 0 offen offset:4
	s_waitcnt vmcnt(0)
	buffer_store_dword v131, v0, s[0:3], 0 offen
.LBB124_420:
	v_mov_b32_e32 v0, 0
	global_load_dword v1, v0, s[12:13] offset:180
	s_waitcnt vmcnt(0)
	v_add_nc_u32_e32 v1, -1, v1
	v_cmp_eq_u32_e32 vcc_lo, 45, v1
	s_cbranch_vccnz .LBB124_422
; %bb.421:
	v_lshlrev_b32_e32 v1, 4, v1
	v_mov_b32_e32 v2, s29
	v_add_nc_u32_e32 v1, 16, v1
	s_clause 0x7
	buffer_load_dword v3, v1, s[0:3], 0 offen
	buffer_load_dword v4, v1, s[0:3], 0 offen offset:4
	buffer_load_dword v5, v1, s[0:3], 0 offen offset:8
	;; [unrolled: 1-line block ×6, first 2 shown]
	buffer_load_dword v132, v2, s[0:3], 0 offen
	s_waitcnt vmcnt(7)
	buffer_store_dword v3, v2, s[0:3], 0 offen
	s_waitcnt vmcnt(6)
	buffer_store_dword v4, v2, s[0:3], 0 offen offset:4
	s_waitcnt vmcnt(5)
	buffer_store_dword v5, v2, s[0:3], 0 offen offset:8
	;; [unrolled: 2-line block ×6, first 2 shown]
	s_waitcnt vmcnt(0)
	buffer_store_dword v132, v1, s[0:3], 0 offen
.LBB124_422:
	global_load_dword v0, v0, s[12:13] offset:176
	s_waitcnt vmcnt(0)
	v_add_nc_u32_e32 v0, -1, v0
	v_cmp_eq_u32_e32 vcc_lo, 44, v0
	s_cbranch_vccnz .LBB124_424
; %bb.423:
	v_lshlrev_b32_e32 v0, 4, v0
	v_mov_b32_e32 v1, s30
	v_add_nc_u32_e32 v0, 16, v0
	s_clause 0x7
	buffer_load_dword v2, v0, s[0:3], 0 offen
	buffer_load_dword v3, v0, s[0:3], 0 offen offset:4
	buffer_load_dword v4, v0, s[0:3], 0 offen offset:8
	;; [unrolled: 1-line block ×6, first 2 shown]
	buffer_load_dword v131, v1, s[0:3], 0 offen
	s_waitcnt vmcnt(7)
	buffer_store_dword v2, v1, s[0:3], 0 offen
	s_waitcnt vmcnt(6)
	buffer_store_dword v3, v1, s[0:3], 0 offen offset:4
	s_waitcnt vmcnt(5)
	buffer_store_dword v4, v1, s[0:3], 0 offen offset:8
	;; [unrolled: 2-line block ×6, first 2 shown]
	s_waitcnt vmcnt(0)
	buffer_store_dword v131, v0, s[0:3], 0 offen
.LBB124_424:
	v_mov_b32_e32 v0, 0
	global_load_dword v1, v0, s[12:13] offset:172
	s_waitcnt vmcnt(0)
	v_add_nc_u32_e32 v1, -1, v1
	v_cmp_eq_u32_e32 vcc_lo, 43, v1
	s_cbranch_vccnz .LBB124_426
; %bb.425:
	v_lshlrev_b32_e32 v1, 4, v1
	v_mov_b32_e32 v2, s31
	v_add_nc_u32_e32 v1, 16, v1
	s_clause 0x7
	buffer_load_dword v3, v1, s[0:3], 0 offen
	buffer_load_dword v4, v1, s[0:3], 0 offen offset:4
	buffer_load_dword v5, v1, s[0:3], 0 offen offset:8
	;; [unrolled: 1-line block ×6, first 2 shown]
	buffer_load_dword v132, v2, s[0:3], 0 offen
	s_waitcnt vmcnt(7)
	buffer_store_dword v3, v2, s[0:3], 0 offen
	s_waitcnt vmcnt(6)
	buffer_store_dword v4, v2, s[0:3], 0 offen offset:4
	s_waitcnt vmcnt(5)
	buffer_store_dword v5, v2, s[0:3], 0 offen offset:8
	;; [unrolled: 2-line block ×6, first 2 shown]
	s_waitcnt vmcnt(0)
	buffer_store_dword v132, v1, s[0:3], 0 offen
.LBB124_426:
	global_load_dword v0, v0, s[12:13] offset:168
	s_waitcnt vmcnt(0)
	v_add_nc_u32_e32 v0, -1, v0
	v_cmp_eq_u32_e32 vcc_lo, 42, v0
	s_cbranch_vccnz .LBB124_428
; %bb.427:
	v_lshlrev_b32_e32 v0, 4, v0
	v_mov_b32_e32 v1, s33
	v_add_nc_u32_e32 v0, 16, v0
	s_clause 0x7
	buffer_load_dword v2, v0, s[0:3], 0 offen
	buffer_load_dword v3, v0, s[0:3], 0 offen offset:4
	buffer_load_dword v4, v0, s[0:3], 0 offen offset:8
	;; [unrolled: 1-line block ×6, first 2 shown]
	buffer_load_dword v131, v1, s[0:3], 0 offen
	s_waitcnt vmcnt(7)
	buffer_store_dword v2, v1, s[0:3], 0 offen
	s_waitcnt vmcnt(6)
	buffer_store_dword v3, v1, s[0:3], 0 offen offset:4
	s_waitcnt vmcnt(5)
	buffer_store_dword v4, v1, s[0:3], 0 offen offset:8
	;; [unrolled: 2-line block ×6, first 2 shown]
	s_waitcnt vmcnt(0)
	buffer_store_dword v131, v0, s[0:3], 0 offen
.LBB124_428:
	v_mov_b32_e32 v0, 0
	global_load_dword v1, v0, s[12:13] offset:164
	s_waitcnt vmcnt(0)
	v_add_nc_u32_e32 v1, -1, v1
	v_cmp_eq_u32_e32 vcc_lo, 41, v1
	s_cbranch_vccnz .LBB124_430
; %bb.429:
	v_lshlrev_b32_e32 v1, 4, v1
	v_mov_b32_e32 v2, s34
	v_add_nc_u32_e32 v1, 16, v1
	s_clause 0x7
	buffer_load_dword v3, v1, s[0:3], 0 offen
	buffer_load_dword v4, v1, s[0:3], 0 offen offset:4
	buffer_load_dword v5, v1, s[0:3], 0 offen offset:8
	buffer_load_dword v6, v1, s[0:3], 0 offen offset:12
	buffer_load_dword v7, v2, s[0:3], 0 offen offset:12
	buffer_load_dword v8, v2, s[0:3], 0 offen offset:8
	buffer_load_dword v131, v2, s[0:3], 0 offen offset:4
	buffer_load_dword v132, v2, s[0:3], 0 offen
	s_waitcnt vmcnt(7)
	buffer_store_dword v3, v2, s[0:3], 0 offen
	s_waitcnt vmcnt(6)
	buffer_store_dword v4, v2, s[0:3], 0 offen offset:4
	s_waitcnt vmcnt(5)
	buffer_store_dword v5, v2, s[0:3], 0 offen offset:8
	;; [unrolled: 2-line block ×6, first 2 shown]
	s_waitcnt vmcnt(0)
	buffer_store_dword v132, v1, s[0:3], 0 offen
.LBB124_430:
	global_load_dword v0, v0, s[12:13] offset:160
	s_waitcnt vmcnt(0)
	v_add_nc_u32_e32 v0, -1, v0
	v_cmp_eq_u32_e32 vcc_lo, 40, v0
	s_cbranch_vccnz .LBB124_432
; %bb.431:
	v_lshlrev_b32_e32 v0, 4, v0
	v_mov_b32_e32 v1, s35
	v_add_nc_u32_e32 v0, 16, v0
	s_clause 0x7
	buffer_load_dword v2, v0, s[0:3], 0 offen
	buffer_load_dword v3, v0, s[0:3], 0 offen offset:4
	buffer_load_dword v4, v0, s[0:3], 0 offen offset:8
	;; [unrolled: 1-line block ×6, first 2 shown]
	buffer_load_dword v131, v1, s[0:3], 0 offen
	s_waitcnt vmcnt(7)
	buffer_store_dword v2, v1, s[0:3], 0 offen
	s_waitcnt vmcnt(6)
	buffer_store_dword v3, v1, s[0:3], 0 offen offset:4
	s_waitcnt vmcnt(5)
	buffer_store_dword v4, v1, s[0:3], 0 offen offset:8
	;; [unrolled: 2-line block ×6, first 2 shown]
	s_waitcnt vmcnt(0)
	buffer_store_dword v131, v0, s[0:3], 0 offen
.LBB124_432:
	v_mov_b32_e32 v0, 0
	global_load_dword v1, v0, s[12:13] offset:156
	s_waitcnt vmcnt(0)
	v_add_nc_u32_e32 v1, -1, v1
	v_cmp_eq_u32_e32 vcc_lo, 39, v1
	s_cbranch_vccnz .LBB124_434
; %bb.433:
	v_lshlrev_b32_e32 v1, 4, v1
	v_mov_b32_e32 v2, s36
	v_add_nc_u32_e32 v1, 16, v1
	s_clause 0x7
	buffer_load_dword v3, v1, s[0:3], 0 offen
	buffer_load_dword v4, v1, s[0:3], 0 offen offset:4
	buffer_load_dword v5, v1, s[0:3], 0 offen offset:8
	;; [unrolled: 1-line block ×6, first 2 shown]
	buffer_load_dword v132, v2, s[0:3], 0 offen
	s_waitcnt vmcnt(7)
	buffer_store_dword v3, v2, s[0:3], 0 offen
	s_waitcnt vmcnt(6)
	buffer_store_dword v4, v2, s[0:3], 0 offen offset:4
	s_waitcnt vmcnt(5)
	buffer_store_dword v5, v2, s[0:3], 0 offen offset:8
	;; [unrolled: 2-line block ×6, first 2 shown]
	s_waitcnt vmcnt(0)
	buffer_store_dword v132, v1, s[0:3], 0 offen
.LBB124_434:
	global_load_dword v0, v0, s[12:13] offset:152
	s_waitcnt vmcnt(0)
	v_add_nc_u32_e32 v0, -1, v0
	v_cmp_eq_u32_e32 vcc_lo, 38, v0
	s_cbranch_vccnz .LBB124_436
; %bb.435:
	v_lshlrev_b32_e32 v0, 4, v0
	v_mov_b32_e32 v1, s37
	v_add_nc_u32_e32 v0, 16, v0
	s_clause 0x7
	buffer_load_dword v2, v0, s[0:3], 0 offen
	buffer_load_dword v3, v0, s[0:3], 0 offen offset:4
	buffer_load_dword v4, v0, s[0:3], 0 offen offset:8
	;; [unrolled: 1-line block ×6, first 2 shown]
	buffer_load_dword v131, v1, s[0:3], 0 offen
	s_waitcnt vmcnt(7)
	buffer_store_dword v2, v1, s[0:3], 0 offen
	s_waitcnt vmcnt(6)
	buffer_store_dword v3, v1, s[0:3], 0 offen offset:4
	s_waitcnt vmcnt(5)
	buffer_store_dword v4, v1, s[0:3], 0 offen offset:8
	;; [unrolled: 2-line block ×6, first 2 shown]
	s_waitcnt vmcnt(0)
	buffer_store_dword v131, v0, s[0:3], 0 offen
.LBB124_436:
	v_mov_b32_e32 v0, 0
	global_load_dword v1, v0, s[12:13] offset:148
	s_waitcnt vmcnt(0)
	v_add_nc_u32_e32 v1, -1, v1
	v_cmp_eq_u32_e32 vcc_lo, 37, v1
	s_cbranch_vccnz .LBB124_438
; %bb.437:
	v_lshlrev_b32_e32 v1, 4, v1
	v_mov_b32_e32 v2, s38
	v_add_nc_u32_e32 v1, 16, v1
	s_clause 0x7
	buffer_load_dword v3, v1, s[0:3], 0 offen
	buffer_load_dword v4, v1, s[0:3], 0 offen offset:4
	buffer_load_dword v5, v1, s[0:3], 0 offen offset:8
	;; [unrolled: 1-line block ×6, first 2 shown]
	buffer_load_dword v132, v2, s[0:3], 0 offen
	s_waitcnt vmcnt(7)
	buffer_store_dword v3, v2, s[0:3], 0 offen
	s_waitcnt vmcnt(6)
	buffer_store_dword v4, v2, s[0:3], 0 offen offset:4
	s_waitcnt vmcnt(5)
	buffer_store_dword v5, v2, s[0:3], 0 offen offset:8
	s_waitcnt vmcnt(4)
	buffer_store_dword v6, v2, s[0:3], 0 offen offset:12
	s_waitcnt vmcnt(3)
	buffer_store_dword v7, v1, s[0:3], 0 offen offset:12
	s_waitcnt vmcnt(2)
	buffer_store_dword v8, v1, s[0:3], 0 offen offset:8
	s_waitcnt vmcnt(1)
	buffer_store_dword v131, v1, s[0:3], 0 offen offset:4
	s_waitcnt vmcnt(0)
	buffer_store_dword v132, v1, s[0:3], 0 offen
.LBB124_438:
	global_load_dword v0, v0, s[12:13] offset:144
	s_waitcnt vmcnt(0)
	v_add_nc_u32_e32 v0, -1, v0
	v_cmp_eq_u32_e32 vcc_lo, 36, v0
	s_cbranch_vccnz .LBB124_440
; %bb.439:
	v_lshlrev_b32_e32 v0, 4, v0
	v_mov_b32_e32 v1, s39
	v_add_nc_u32_e32 v0, 16, v0
	s_clause 0x7
	buffer_load_dword v2, v0, s[0:3], 0 offen
	buffer_load_dword v3, v0, s[0:3], 0 offen offset:4
	buffer_load_dword v4, v0, s[0:3], 0 offen offset:8
	;; [unrolled: 1-line block ×6, first 2 shown]
	buffer_load_dword v131, v1, s[0:3], 0 offen
	s_waitcnt vmcnt(7)
	buffer_store_dword v2, v1, s[0:3], 0 offen
	s_waitcnt vmcnt(6)
	buffer_store_dword v3, v1, s[0:3], 0 offen offset:4
	s_waitcnt vmcnt(5)
	buffer_store_dword v4, v1, s[0:3], 0 offen offset:8
	;; [unrolled: 2-line block ×6, first 2 shown]
	s_waitcnt vmcnt(0)
	buffer_store_dword v131, v0, s[0:3], 0 offen
.LBB124_440:
	v_mov_b32_e32 v0, 0
	global_load_dword v1, v0, s[12:13] offset:140
	s_waitcnt vmcnt(0)
	v_add_nc_u32_e32 v1, -1, v1
	v_cmp_eq_u32_e32 vcc_lo, 35, v1
	s_cbranch_vccnz .LBB124_442
; %bb.441:
	v_lshlrev_b32_e32 v1, 4, v1
	v_mov_b32_e32 v2, s40
	v_add_nc_u32_e32 v1, 16, v1
	s_clause 0x7
	buffer_load_dword v3, v1, s[0:3], 0 offen
	buffer_load_dword v4, v1, s[0:3], 0 offen offset:4
	buffer_load_dword v5, v1, s[0:3], 0 offen offset:8
	;; [unrolled: 1-line block ×6, first 2 shown]
	buffer_load_dword v132, v2, s[0:3], 0 offen
	s_waitcnt vmcnt(7)
	buffer_store_dword v3, v2, s[0:3], 0 offen
	s_waitcnt vmcnt(6)
	buffer_store_dword v4, v2, s[0:3], 0 offen offset:4
	s_waitcnt vmcnt(5)
	buffer_store_dword v5, v2, s[0:3], 0 offen offset:8
	s_waitcnt vmcnt(4)
	buffer_store_dword v6, v2, s[0:3], 0 offen offset:12
	s_waitcnt vmcnt(3)
	buffer_store_dword v7, v1, s[0:3], 0 offen offset:12
	s_waitcnt vmcnt(2)
	buffer_store_dword v8, v1, s[0:3], 0 offen offset:8
	s_waitcnt vmcnt(1)
	buffer_store_dword v131, v1, s[0:3], 0 offen offset:4
	s_waitcnt vmcnt(0)
	buffer_store_dword v132, v1, s[0:3], 0 offen
.LBB124_442:
	global_load_dword v0, v0, s[12:13] offset:136
	s_waitcnt vmcnt(0)
	v_add_nc_u32_e32 v0, -1, v0
	v_cmp_eq_u32_e32 vcc_lo, 34, v0
	s_cbranch_vccnz .LBB124_444
; %bb.443:
	v_lshlrev_b32_e32 v0, 4, v0
	v_mov_b32_e32 v1, s41
	v_add_nc_u32_e32 v0, 16, v0
	s_clause 0x7
	buffer_load_dword v2, v0, s[0:3], 0 offen
	buffer_load_dword v3, v0, s[0:3], 0 offen offset:4
	buffer_load_dword v4, v0, s[0:3], 0 offen offset:8
	;; [unrolled: 1-line block ×6, first 2 shown]
	buffer_load_dword v131, v1, s[0:3], 0 offen
	s_waitcnt vmcnt(7)
	buffer_store_dword v2, v1, s[0:3], 0 offen
	s_waitcnt vmcnt(6)
	buffer_store_dword v3, v1, s[0:3], 0 offen offset:4
	s_waitcnt vmcnt(5)
	buffer_store_dword v4, v1, s[0:3], 0 offen offset:8
	;; [unrolled: 2-line block ×6, first 2 shown]
	s_waitcnt vmcnt(0)
	buffer_store_dword v131, v0, s[0:3], 0 offen
.LBB124_444:
	v_mov_b32_e32 v0, 0
	global_load_dword v1, v0, s[12:13] offset:132
	s_waitcnt vmcnt(0)
	v_add_nc_u32_e32 v1, -1, v1
	v_cmp_eq_u32_e32 vcc_lo, 33, v1
	s_cbranch_vccnz .LBB124_446
; %bb.445:
	v_lshlrev_b32_e32 v1, 4, v1
	v_mov_b32_e32 v2, s42
	v_add_nc_u32_e32 v1, 16, v1
	s_clause 0x7
	buffer_load_dword v3, v1, s[0:3], 0 offen
	buffer_load_dword v4, v1, s[0:3], 0 offen offset:4
	buffer_load_dword v5, v1, s[0:3], 0 offen offset:8
	;; [unrolled: 1-line block ×6, first 2 shown]
	buffer_load_dword v132, v2, s[0:3], 0 offen
	s_waitcnt vmcnt(7)
	buffer_store_dword v3, v2, s[0:3], 0 offen
	s_waitcnt vmcnt(6)
	buffer_store_dword v4, v2, s[0:3], 0 offen offset:4
	s_waitcnt vmcnt(5)
	buffer_store_dword v5, v2, s[0:3], 0 offen offset:8
	;; [unrolled: 2-line block ×6, first 2 shown]
	s_waitcnt vmcnt(0)
	buffer_store_dword v132, v1, s[0:3], 0 offen
.LBB124_446:
	global_load_dword v0, v0, s[12:13] offset:128
	s_waitcnt vmcnt(0)
	v_add_nc_u32_e32 v0, -1, v0
	v_cmp_eq_u32_e32 vcc_lo, 32, v0
	s_cbranch_vccnz .LBB124_448
; %bb.447:
	v_lshlrev_b32_e32 v0, 4, v0
	v_mov_b32_e32 v1, s43
	v_add_nc_u32_e32 v0, 16, v0
	s_clause 0x7
	buffer_load_dword v2, v0, s[0:3], 0 offen
	buffer_load_dword v3, v0, s[0:3], 0 offen offset:4
	buffer_load_dword v4, v0, s[0:3], 0 offen offset:8
	;; [unrolled: 1-line block ×6, first 2 shown]
	buffer_load_dword v131, v1, s[0:3], 0 offen
	s_waitcnt vmcnt(7)
	buffer_store_dword v2, v1, s[0:3], 0 offen
	s_waitcnt vmcnt(6)
	buffer_store_dword v3, v1, s[0:3], 0 offen offset:4
	s_waitcnt vmcnt(5)
	buffer_store_dword v4, v1, s[0:3], 0 offen offset:8
	;; [unrolled: 2-line block ×6, first 2 shown]
	s_waitcnt vmcnt(0)
	buffer_store_dword v131, v0, s[0:3], 0 offen
.LBB124_448:
	v_mov_b32_e32 v0, 0
	global_load_dword v1, v0, s[12:13] offset:124
	s_waitcnt vmcnt(0)
	v_add_nc_u32_e32 v1, -1, v1
	v_cmp_eq_u32_e32 vcc_lo, 31, v1
	s_cbranch_vccnz .LBB124_450
; %bb.449:
	v_lshlrev_b32_e32 v1, 4, v1
	v_mov_b32_e32 v2, s44
	v_add_nc_u32_e32 v1, 16, v1
	s_clause 0x7
	buffer_load_dword v3, v1, s[0:3], 0 offen
	buffer_load_dword v4, v1, s[0:3], 0 offen offset:4
	buffer_load_dword v5, v1, s[0:3], 0 offen offset:8
	;; [unrolled: 1-line block ×6, first 2 shown]
	buffer_load_dword v132, v2, s[0:3], 0 offen
	s_waitcnt vmcnt(7)
	buffer_store_dword v3, v2, s[0:3], 0 offen
	s_waitcnt vmcnt(6)
	buffer_store_dword v4, v2, s[0:3], 0 offen offset:4
	s_waitcnt vmcnt(5)
	buffer_store_dword v5, v2, s[0:3], 0 offen offset:8
	s_waitcnt vmcnt(4)
	buffer_store_dword v6, v2, s[0:3], 0 offen offset:12
	s_waitcnt vmcnt(3)
	buffer_store_dword v7, v1, s[0:3], 0 offen offset:12
	s_waitcnt vmcnt(2)
	buffer_store_dword v8, v1, s[0:3], 0 offen offset:8
	s_waitcnt vmcnt(1)
	buffer_store_dword v131, v1, s[0:3], 0 offen offset:4
	s_waitcnt vmcnt(0)
	buffer_store_dword v132, v1, s[0:3], 0 offen
.LBB124_450:
	global_load_dword v0, v0, s[12:13] offset:120
	s_waitcnt vmcnt(0)
	v_add_nc_u32_e32 v0, -1, v0
	v_cmp_eq_u32_e32 vcc_lo, 30, v0
	s_cbranch_vccnz .LBB124_452
; %bb.451:
	v_lshlrev_b32_e32 v0, 4, v0
	v_mov_b32_e32 v1, s45
	v_add_nc_u32_e32 v0, 16, v0
	s_clause 0x7
	buffer_load_dword v2, v0, s[0:3], 0 offen
	buffer_load_dword v3, v0, s[0:3], 0 offen offset:4
	buffer_load_dword v4, v0, s[0:3], 0 offen offset:8
	;; [unrolled: 1-line block ×6, first 2 shown]
	buffer_load_dword v131, v1, s[0:3], 0 offen
	s_waitcnt vmcnt(7)
	buffer_store_dword v2, v1, s[0:3], 0 offen
	s_waitcnt vmcnt(6)
	buffer_store_dword v3, v1, s[0:3], 0 offen offset:4
	s_waitcnt vmcnt(5)
	buffer_store_dword v4, v1, s[0:3], 0 offen offset:8
	;; [unrolled: 2-line block ×6, first 2 shown]
	s_waitcnt vmcnt(0)
	buffer_store_dword v131, v0, s[0:3], 0 offen
.LBB124_452:
	v_mov_b32_e32 v0, 0
	global_load_dword v1, v0, s[12:13] offset:116
	s_waitcnt vmcnt(0)
	v_add_nc_u32_e32 v1, -1, v1
	v_cmp_eq_u32_e32 vcc_lo, 29, v1
	s_cbranch_vccnz .LBB124_454
; %bb.453:
	v_lshlrev_b32_e32 v1, 4, v1
	v_mov_b32_e32 v2, s46
	v_add_nc_u32_e32 v1, 16, v1
	s_clause 0x7
	buffer_load_dword v3, v1, s[0:3], 0 offen
	buffer_load_dword v4, v1, s[0:3], 0 offen offset:4
	buffer_load_dword v5, v1, s[0:3], 0 offen offset:8
	;; [unrolled: 1-line block ×6, first 2 shown]
	buffer_load_dword v132, v2, s[0:3], 0 offen
	s_waitcnt vmcnt(7)
	buffer_store_dword v3, v2, s[0:3], 0 offen
	s_waitcnt vmcnt(6)
	buffer_store_dword v4, v2, s[0:3], 0 offen offset:4
	s_waitcnt vmcnt(5)
	buffer_store_dword v5, v2, s[0:3], 0 offen offset:8
	;; [unrolled: 2-line block ×6, first 2 shown]
	s_waitcnt vmcnt(0)
	buffer_store_dword v132, v1, s[0:3], 0 offen
.LBB124_454:
	global_load_dword v0, v0, s[12:13] offset:112
	s_waitcnt vmcnt(0)
	v_add_nc_u32_e32 v0, -1, v0
	v_cmp_eq_u32_e32 vcc_lo, 28, v0
	s_cbranch_vccnz .LBB124_456
; %bb.455:
	v_lshlrev_b32_e32 v0, 4, v0
	v_mov_b32_e32 v1, s47
	v_add_nc_u32_e32 v0, 16, v0
	s_clause 0x7
	buffer_load_dword v2, v0, s[0:3], 0 offen
	buffer_load_dword v3, v0, s[0:3], 0 offen offset:4
	buffer_load_dword v4, v0, s[0:3], 0 offen offset:8
	;; [unrolled: 1-line block ×6, first 2 shown]
	buffer_load_dword v131, v1, s[0:3], 0 offen
	s_waitcnt vmcnt(7)
	buffer_store_dword v2, v1, s[0:3], 0 offen
	s_waitcnt vmcnt(6)
	buffer_store_dword v3, v1, s[0:3], 0 offen offset:4
	s_waitcnt vmcnt(5)
	buffer_store_dword v4, v1, s[0:3], 0 offen offset:8
	;; [unrolled: 2-line block ×6, first 2 shown]
	s_waitcnt vmcnt(0)
	buffer_store_dword v131, v0, s[0:3], 0 offen
.LBB124_456:
	v_mov_b32_e32 v0, 0
	global_load_dword v1, v0, s[12:13] offset:108
	s_waitcnt vmcnt(0)
	v_add_nc_u32_e32 v1, -1, v1
	v_cmp_eq_u32_e32 vcc_lo, 27, v1
	s_cbranch_vccnz .LBB124_458
; %bb.457:
	v_lshlrev_b32_e32 v1, 4, v1
	v_mov_b32_e32 v2, s48
	v_add_nc_u32_e32 v1, 16, v1
	s_clause 0x7
	buffer_load_dword v3, v1, s[0:3], 0 offen
	buffer_load_dword v4, v1, s[0:3], 0 offen offset:4
	buffer_load_dword v5, v1, s[0:3], 0 offen offset:8
	;; [unrolled: 1-line block ×6, first 2 shown]
	buffer_load_dword v132, v2, s[0:3], 0 offen
	s_waitcnt vmcnt(7)
	buffer_store_dword v3, v2, s[0:3], 0 offen
	s_waitcnt vmcnt(6)
	buffer_store_dword v4, v2, s[0:3], 0 offen offset:4
	s_waitcnt vmcnt(5)
	buffer_store_dword v5, v2, s[0:3], 0 offen offset:8
	;; [unrolled: 2-line block ×6, first 2 shown]
	s_waitcnt vmcnt(0)
	buffer_store_dword v132, v1, s[0:3], 0 offen
.LBB124_458:
	global_load_dword v0, v0, s[12:13] offset:104
	s_waitcnt vmcnt(0)
	v_add_nc_u32_e32 v0, -1, v0
	v_cmp_eq_u32_e32 vcc_lo, 26, v0
	s_cbranch_vccnz .LBB124_460
; %bb.459:
	v_lshlrev_b32_e32 v0, 4, v0
	v_mov_b32_e32 v1, s49
	v_add_nc_u32_e32 v0, 16, v0
	s_clause 0x7
	buffer_load_dword v2, v0, s[0:3], 0 offen
	buffer_load_dword v3, v0, s[0:3], 0 offen offset:4
	buffer_load_dword v4, v0, s[0:3], 0 offen offset:8
	;; [unrolled: 1-line block ×6, first 2 shown]
	buffer_load_dword v131, v1, s[0:3], 0 offen
	s_waitcnt vmcnt(7)
	buffer_store_dword v2, v1, s[0:3], 0 offen
	s_waitcnt vmcnt(6)
	buffer_store_dword v3, v1, s[0:3], 0 offen offset:4
	s_waitcnt vmcnt(5)
	buffer_store_dword v4, v1, s[0:3], 0 offen offset:8
	;; [unrolled: 2-line block ×6, first 2 shown]
	s_waitcnt vmcnt(0)
	buffer_store_dword v131, v0, s[0:3], 0 offen
.LBB124_460:
	v_mov_b32_e32 v0, 0
	global_load_dword v1, v0, s[12:13] offset:100
	s_waitcnt vmcnt(0)
	v_add_nc_u32_e32 v1, -1, v1
	v_cmp_eq_u32_e32 vcc_lo, 25, v1
	s_cbranch_vccnz .LBB124_462
; %bb.461:
	v_lshlrev_b32_e32 v1, 4, v1
	v_mov_b32_e32 v2, s50
	v_add_nc_u32_e32 v1, 16, v1
	s_clause 0x7
	buffer_load_dword v3, v1, s[0:3], 0 offen
	buffer_load_dword v4, v1, s[0:3], 0 offen offset:4
	buffer_load_dword v5, v1, s[0:3], 0 offen offset:8
	;; [unrolled: 1-line block ×6, first 2 shown]
	buffer_load_dword v132, v2, s[0:3], 0 offen
	s_waitcnt vmcnt(7)
	buffer_store_dword v3, v2, s[0:3], 0 offen
	s_waitcnt vmcnt(6)
	buffer_store_dword v4, v2, s[0:3], 0 offen offset:4
	s_waitcnt vmcnt(5)
	buffer_store_dword v5, v2, s[0:3], 0 offen offset:8
	;; [unrolled: 2-line block ×6, first 2 shown]
	s_waitcnt vmcnt(0)
	buffer_store_dword v132, v1, s[0:3], 0 offen
.LBB124_462:
	global_load_dword v0, v0, s[12:13] offset:96
	s_waitcnt vmcnt(0)
	v_add_nc_u32_e32 v0, -1, v0
	v_cmp_eq_u32_e32 vcc_lo, 24, v0
	s_cbranch_vccnz .LBB124_464
; %bb.463:
	v_lshlrev_b32_e32 v0, 4, v0
	v_mov_b32_e32 v1, s51
	v_add_nc_u32_e32 v0, 16, v0
	s_clause 0x7
	buffer_load_dword v2, v0, s[0:3], 0 offen
	buffer_load_dword v3, v0, s[0:3], 0 offen offset:4
	buffer_load_dword v4, v0, s[0:3], 0 offen offset:8
	;; [unrolled: 1-line block ×6, first 2 shown]
	buffer_load_dword v131, v1, s[0:3], 0 offen
	s_waitcnt vmcnt(7)
	buffer_store_dword v2, v1, s[0:3], 0 offen
	s_waitcnt vmcnt(6)
	buffer_store_dword v3, v1, s[0:3], 0 offen offset:4
	s_waitcnt vmcnt(5)
	buffer_store_dword v4, v1, s[0:3], 0 offen offset:8
	;; [unrolled: 2-line block ×6, first 2 shown]
	s_waitcnt vmcnt(0)
	buffer_store_dword v131, v0, s[0:3], 0 offen
.LBB124_464:
	v_mov_b32_e32 v0, 0
	global_load_dword v1, v0, s[12:13] offset:92
	s_waitcnt vmcnt(0)
	v_add_nc_u32_e32 v1, -1, v1
	v_cmp_eq_u32_e32 vcc_lo, 23, v1
	s_cbranch_vccnz .LBB124_466
; %bb.465:
	v_lshlrev_b32_e32 v1, 4, v1
	v_mov_b32_e32 v2, s52
	v_add_nc_u32_e32 v1, 16, v1
	s_clause 0x7
	buffer_load_dword v3, v1, s[0:3], 0 offen
	buffer_load_dword v4, v1, s[0:3], 0 offen offset:4
	buffer_load_dword v5, v1, s[0:3], 0 offen offset:8
	;; [unrolled: 1-line block ×6, first 2 shown]
	buffer_load_dword v132, v2, s[0:3], 0 offen
	s_waitcnt vmcnt(7)
	buffer_store_dword v3, v2, s[0:3], 0 offen
	s_waitcnt vmcnt(6)
	buffer_store_dword v4, v2, s[0:3], 0 offen offset:4
	s_waitcnt vmcnt(5)
	buffer_store_dword v5, v2, s[0:3], 0 offen offset:8
	;; [unrolled: 2-line block ×6, first 2 shown]
	s_waitcnt vmcnt(0)
	buffer_store_dword v132, v1, s[0:3], 0 offen
.LBB124_466:
	global_load_dword v0, v0, s[12:13] offset:88
	s_waitcnt vmcnt(0)
	v_add_nc_u32_e32 v0, -1, v0
	v_cmp_eq_u32_e32 vcc_lo, 22, v0
	s_cbranch_vccnz .LBB124_468
; %bb.467:
	v_lshlrev_b32_e32 v0, 4, v0
	v_mov_b32_e32 v1, s53
	v_add_nc_u32_e32 v0, 16, v0
	s_clause 0x7
	buffer_load_dword v2, v0, s[0:3], 0 offen
	buffer_load_dword v3, v0, s[0:3], 0 offen offset:4
	buffer_load_dword v4, v0, s[0:3], 0 offen offset:8
	;; [unrolled: 1-line block ×6, first 2 shown]
	buffer_load_dword v131, v1, s[0:3], 0 offen
	s_waitcnt vmcnt(7)
	buffer_store_dword v2, v1, s[0:3], 0 offen
	s_waitcnt vmcnt(6)
	buffer_store_dword v3, v1, s[0:3], 0 offen offset:4
	s_waitcnt vmcnt(5)
	buffer_store_dword v4, v1, s[0:3], 0 offen offset:8
	;; [unrolled: 2-line block ×6, first 2 shown]
	s_waitcnt vmcnt(0)
	buffer_store_dword v131, v0, s[0:3], 0 offen
.LBB124_468:
	v_mov_b32_e32 v0, 0
	global_load_dword v1, v0, s[12:13] offset:84
	s_waitcnt vmcnt(0)
	v_add_nc_u32_e32 v1, -1, v1
	v_cmp_eq_u32_e32 vcc_lo, 21, v1
	s_cbranch_vccnz .LBB124_470
; %bb.469:
	v_lshlrev_b32_e32 v1, 4, v1
	v_mov_b32_e32 v2, s54
	v_add_nc_u32_e32 v1, 16, v1
	s_clause 0x7
	buffer_load_dword v3, v1, s[0:3], 0 offen
	buffer_load_dword v4, v1, s[0:3], 0 offen offset:4
	buffer_load_dword v5, v1, s[0:3], 0 offen offset:8
	buffer_load_dword v6, v1, s[0:3], 0 offen offset:12
	buffer_load_dword v7, v2, s[0:3], 0 offen offset:12
	buffer_load_dword v8, v2, s[0:3], 0 offen offset:8
	buffer_load_dword v131, v2, s[0:3], 0 offen offset:4
	buffer_load_dword v132, v2, s[0:3], 0 offen
	s_waitcnt vmcnt(7)
	buffer_store_dword v3, v2, s[0:3], 0 offen
	s_waitcnt vmcnt(6)
	buffer_store_dword v4, v2, s[0:3], 0 offen offset:4
	s_waitcnt vmcnt(5)
	buffer_store_dword v5, v2, s[0:3], 0 offen offset:8
	s_waitcnt vmcnt(4)
	buffer_store_dword v6, v2, s[0:3], 0 offen offset:12
	s_waitcnt vmcnt(3)
	buffer_store_dword v7, v1, s[0:3], 0 offen offset:12
	s_waitcnt vmcnt(2)
	buffer_store_dword v8, v1, s[0:3], 0 offen offset:8
	s_waitcnt vmcnt(1)
	buffer_store_dword v131, v1, s[0:3], 0 offen offset:4
	s_waitcnt vmcnt(0)
	buffer_store_dword v132, v1, s[0:3], 0 offen
.LBB124_470:
	global_load_dword v0, v0, s[12:13] offset:80
	s_waitcnt vmcnt(0)
	v_add_nc_u32_e32 v0, -1, v0
	v_cmp_eq_u32_e32 vcc_lo, 20, v0
	s_cbranch_vccnz .LBB124_472
; %bb.471:
	v_lshlrev_b32_e32 v0, 4, v0
	v_mov_b32_e32 v1, s55
	v_add_nc_u32_e32 v0, 16, v0
	s_clause 0x7
	buffer_load_dword v2, v0, s[0:3], 0 offen
	buffer_load_dword v3, v0, s[0:3], 0 offen offset:4
	buffer_load_dword v4, v0, s[0:3], 0 offen offset:8
	buffer_load_dword v5, v0, s[0:3], 0 offen offset:12
	buffer_load_dword v6, v1, s[0:3], 0 offen offset:12
	buffer_load_dword v7, v1, s[0:3], 0 offen offset:8
	buffer_load_dword v8, v1, s[0:3], 0 offen offset:4
	buffer_load_dword v131, v1, s[0:3], 0 offen
	s_waitcnt vmcnt(7)
	buffer_store_dword v2, v1, s[0:3], 0 offen
	s_waitcnt vmcnt(6)
	buffer_store_dword v3, v1, s[0:3], 0 offen offset:4
	s_waitcnt vmcnt(5)
	buffer_store_dword v4, v1, s[0:3], 0 offen offset:8
	;; [unrolled: 2-line block ×6, first 2 shown]
	s_waitcnt vmcnt(0)
	buffer_store_dword v131, v0, s[0:3], 0 offen
.LBB124_472:
	v_mov_b32_e32 v0, 0
	global_load_dword v1, v0, s[12:13] offset:76
	s_waitcnt vmcnt(0)
	v_add_nc_u32_e32 v1, -1, v1
	v_cmp_eq_u32_e32 vcc_lo, 19, v1
	s_cbranch_vccnz .LBB124_474
; %bb.473:
	v_lshlrev_b32_e32 v1, 4, v1
	v_mov_b32_e32 v2, s56
	v_add_nc_u32_e32 v1, 16, v1
	s_clause 0x7
	buffer_load_dword v3, v1, s[0:3], 0 offen
	buffer_load_dword v4, v1, s[0:3], 0 offen offset:4
	buffer_load_dword v5, v1, s[0:3], 0 offen offset:8
	;; [unrolled: 1-line block ×6, first 2 shown]
	buffer_load_dword v132, v2, s[0:3], 0 offen
	s_waitcnt vmcnt(7)
	buffer_store_dword v3, v2, s[0:3], 0 offen
	s_waitcnt vmcnt(6)
	buffer_store_dword v4, v2, s[0:3], 0 offen offset:4
	s_waitcnt vmcnt(5)
	buffer_store_dword v5, v2, s[0:3], 0 offen offset:8
	s_waitcnt vmcnt(4)
	buffer_store_dword v6, v2, s[0:3], 0 offen offset:12
	s_waitcnt vmcnt(3)
	buffer_store_dword v7, v1, s[0:3], 0 offen offset:12
	s_waitcnt vmcnt(2)
	buffer_store_dword v8, v1, s[0:3], 0 offen offset:8
	s_waitcnt vmcnt(1)
	buffer_store_dword v131, v1, s[0:3], 0 offen offset:4
	s_waitcnt vmcnt(0)
	buffer_store_dword v132, v1, s[0:3], 0 offen
.LBB124_474:
	global_load_dword v0, v0, s[12:13] offset:72
	s_waitcnt vmcnt(0)
	v_add_nc_u32_e32 v0, -1, v0
	v_cmp_eq_u32_e32 vcc_lo, 18, v0
	s_cbranch_vccnz .LBB124_476
; %bb.475:
	v_lshlrev_b32_e32 v0, 4, v0
	v_mov_b32_e32 v1, s57
	v_add_nc_u32_e32 v0, 16, v0
	s_clause 0x7
	buffer_load_dword v2, v0, s[0:3], 0 offen
	buffer_load_dword v3, v0, s[0:3], 0 offen offset:4
	buffer_load_dword v4, v0, s[0:3], 0 offen offset:8
	;; [unrolled: 1-line block ×6, first 2 shown]
	buffer_load_dword v131, v1, s[0:3], 0 offen
	s_waitcnt vmcnt(7)
	buffer_store_dword v2, v1, s[0:3], 0 offen
	s_waitcnt vmcnt(6)
	buffer_store_dword v3, v1, s[0:3], 0 offen offset:4
	s_waitcnt vmcnt(5)
	buffer_store_dword v4, v1, s[0:3], 0 offen offset:8
	s_waitcnt vmcnt(4)
	buffer_store_dword v5, v1, s[0:3], 0 offen offset:12
	s_waitcnt vmcnt(3)
	buffer_store_dword v6, v0, s[0:3], 0 offen offset:12
	s_waitcnt vmcnt(2)
	buffer_store_dword v7, v0, s[0:3], 0 offen offset:8
	s_waitcnt vmcnt(1)
	buffer_store_dword v8, v0, s[0:3], 0 offen offset:4
	s_waitcnt vmcnt(0)
	buffer_store_dword v131, v0, s[0:3], 0 offen
.LBB124_476:
	v_mov_b32_e32 v0, 0
	global_load_dword v1, v0, s[12:13] offset:68
	s_waitcnt vmcnt(0)
	v_add_nc_u32_e32 v1, -1, v1
	v_cmp_eq_u32_e32 vcc_lo, 17, v1
	s_cbranch_vccnz .LBB124_478
; %bb.477:
	v_lshlrev_b32_e32 v1, 4, v1
	v_mov_b32_e32 v2, s58
	v_add_nc_u32_e32 v1, 16, v1
	s_clause 0x7
	buffer_load_dword v3, v1, s[0:3], 0 offen
	buffer_load_dword v4, v1, s[0:3], 0 offen offset:4
	buffer_load_dword v5, v1, s[0:3], 0 offen offset:8
	;; [unrolled: 1-line block ×6, first 2 shown]
	buffer_load_dword v132, v2, s[0:3], 0 offen
	s_waitcnt vmcnt(7)
	buffer_store_dword v3, v2, s[0:3], 0 offen
	s_waitcnt vmcnt(6)
	buffer_store_dword v4, v2, s[0:3], 0 offen offset:4
	s_waitcnt vmcnt(5)
	buffer_store_dword v5, v2, s[0:3], 0 offen offset:8
	;; [unrolled: 2-line block ×6, first 2 shown]
	s_waitcnt vmcnt(0)
	buffer_store_dword v132, v1, s[0:3], 0 offen
.LBB124_478:
	global_load_dword v0, v0, s[12:13] offset:64
	s_waitcnt vmcnt(0)
	v_add_nc_u32_e32 v0, -1, v0
	v_cmp_eq_u32_e32 vcc_lo, 16, v0
	s_cbranch_vccnz .LBB124_480
; %bb.479:
	v_lshlrev_b32_e32 v0, 4, v0
	v_mov_b32_e32 v1, s59
	v_add_nc_u32_e32 v0, 16, v0
	s_clause 0x7
	buffer_load_dword v2, v0, s[0:3], 0 offen
	buffer_load_dword v3, v0, s[0:3], 0 offen offset:4
	buffer_load_dword v4, v0, s[0:3], 0 offen offset:8
	;; [unrolled: 1-line block ×6, first 2 shown]
	buffer_load_dword v131, v1, s[0:3], 0 offen
	s_waitcnt vmcnt(7)
	buffer_store_dword v2, v1, s[0:3], 0 offen
	s_waitcnt vmcnt(6)
	buffer_store_dword v3, v1, s[0:3], 0 offen offset:4
	s_waitcnt vmcnt(5)
	buffer_store_dword v4, v1, s[0:3], 0 offen offset:8
	s_waitcnt vmcnt(4)
	buffer_store_dword v5, v1, s[0:3], 0 offen offset:12
	s_waitcnt vmcnt(3)
	buffer_store_dword v6, v0, s[0:3], 0 offen offset:12
	s_waitcnt vmcnt(2)
	buffer_store_dword v7, v0, s[0:3], 0 offen offset:8
	s_waitcnt vmcnt(1)
	buffer_store_dword v8, v0, s[0:3], 0 offen offset:4
	s_waitcnt vmcnt(0)
	buffer_store_dword v131, v0, s[0:3], 0 offen
.LBB124_480:
	v_mov_b32_e32 v0, 0
	global_load_dword v1, v0, s[12:13] offset:60
	s_waitcnt vmcnt(0)
	v_add_nc_u32_e32 v1, -1, v1
	v_cmp_eq_u32_e32 vcc_lo, 15, v1
	s_cbranch_vccnz .LBB124_482
; %bb.481:
	v_lshlrev_b32_e32 v1, 4, v1
	v_mov_b32_e32 v2, s60
	v_add_nc_u32_e32 v1, 16, v1
	s_clause 0x7
	buffer_load_dword v3, v1, s[0:3], 0 offen
	buffer_load_dword v4, v1, s[0:3], 0 offen offset:4
	buffer_load_dword v5, v1, s[0:3], 0 offen offset:8
	;; [unrolled: 1-line block ×6, first 2 shown]
	buffer_load_dword v132, v2, s[0:3], 0 offen
	s_waitcnt vmcnt(7)
	buffer_store_dword v3, v2, s[0:3], 0 offen
	s_waitcnt vmcnt(6)
	buffer_store_dword v4, v2, s[0:3], 0 offen offset:4
	s_waitcnt vmcnt(5)
	buffer_store_dword v5, v2, s[0:3], 0 offen offset:8
	;; [unrolled: 2-line block ×6, first 2 shown]
	s_waitcnt vmcnt(0)
	buffer_store_dword v132, v1, s[0:3], 0 offen
.LBB124_482:
	global_load_dword v0, v0, s[12:13] offset:56
	s_waitcnt vmcnt(0)
	v_add_nc_u32_e32 v0, -1, v0
	v_cmp_eq_u32_e32 vcc_lo, 14, v0
	s_cbranch_vccnz .LBB124_484
; %bb.483:
	v_lshlrev_b32_e32 v0, 4, v0
	v_mov_b32_e32 v1, s61
	v_add_nc_u32_e32 v0, 16, v0
	s_clause 0x7
	buffer_load_dword v2, v0, s[0:3], 0 offen
	buffer_load_dword v3, v0, s[0:3], 0 offen offset:4
	buffer_load_dword v4, v0, s[0:3], 0 offen offset:8
	;; [unrolled: 1-line block ×6, first 2 shown]
	buffer_load_dword v131, v1, s[0:3], 0 offen
	s_waitcnt vmcnt(7)
	buffer_store_dword v2, v1, s[0:3], 0 offen
	s_waitcnt vmcnt(6)
	buffer_store_dword v3, v1, s[0:3], 0 offen offset:4
	s_waitcnt vmcnt(5)
	buffer_store_dword v4, v1, s[0:3], 0 offen offset:8
	;; [unrolled: 2-line block ×6, first 2 shown]
	s_waitcnt vmcnt(0)
	buffer_store_dword v131, v0, s[0:3], 0 offen
.LBB124_484:
	v_mov_b32_e32 v0, 0
	global_load_dword v1, v0, s[12:13] offset:52
	s_waitcnt vmcnt(0)
	v_add_nc_u32_e32 v1, -1, v1
	v_cmp_eq_u32_e32 vcc_lo, 13, v1
	s_cbranch_vccnz .LBB124_486
; %bb.485:
	v_lshlrev_b32_e32 v1, 4, v1
	v_mov_b32_e32 v2, s62
	v_add_nc_u32_e32 v1, 16, v1
	s_clause 0x7
	buffer_load_dword v3, v1, s[0:3], 0 offen
	buffer_load_dword v4, v1, s[0:3], 0 offen offset:4
	buffer_load_dword v5, v1, s[0:3], 0 offen offset:8
	;; [unrolled: 1-line block ×6, first 2 shown]
	buffer_load_dword v132, v2, s[0:3], 0 offen
	s_waitcnt vmcnt(7)
	buffer_store_dword v3, v2, s[0:3], 0 offen
	s_waitcnt vmcnt(6)
	buffer_store_dword v4, v2, s[0:3], 0 offen offset:4
	s_waitcnt vmcnt(5)
	buffer_store_dword v5, v2, s[0:3], 0 offen offset:8
	;; [unrolled: 2-line block ×6, first 2 shown]
	s_waitcnt vmcnt(0)
	buffer_store_dword v132, v1, s[0:3], 0 offen
.LBB124_486:
	global_load_dword v0, v0, s[12:13] offset:48
	s_waitcnt vmcnt(0)
	v_add_nc_u32_e32 v0, -1, v0
	v_cmp_eq_u32_e32 vcc_lo, 12, v0
	s_cbranch_vccnz .LBB124_488
; %bb.487:
	v_lshlrev_b32_e32 v0, 4, v0
	v_mov_b32_e32 v1, s63
	v_add_nc_u32_e32 v0, 16, v0
	s_clause 0x7
	buffer_load_dword v2, v0, s[0:3], 0 offen
	buffer_load_dword v3, v0, s[0:3], 0 offen offset:4
	buffer_load_dword v4, v0, s[0:3], 0 offen offset:8
	;; [unrolled: 1-line block ×6, first 2 shown]
	buffer_load_dword v131, v1, s[0:3], 0 offen
	s_waitcnt vmcnt(7)
	buffer_store_dword v2, v1, s[0:3], 0 offen
	s_waitcnt vmcnt(6)
	buffer_store_dword v3, v1, s[0:3], 0 offen offset:4
	s_waitcnt vmcnt(5)
	buffer_store_dword v4, v1, s[0:3], 0 offen offset:8
	;; [unrolled: 2-line block ×6, first 2 shown]
	s_waitcnt vmcnt(0)
	buffer_store_dword v131, v0, s[0:3], 0 offen
.LBB124_488:
	v_mov_b32_e32 v0, 0
	global_load_dword v1, v0, s[12:13] offset:44
	s_waitcnt vmcnt(0)
	v_add_nc_u32_e32 v1, -1, v1
	v_cmp_eq_u32_e32 vcc_lo, 11, v1
	s_cbranch_vccnz .LBB124_490
; %bb.489:
	v_lshlrev_b32_e32 v1, 4, v1
	v_mov_b32_e32 v2, s64
	v_add_nc_u32_e32 v1, 16, v1
	s_clause 0x7
	buffer_load_dword v3, v1, s[0:3], 0 offen
	buffer_load_dword v4, v1, s[0:3], 0 offen offset:4
	buffer_load_dword v5, v1, s[0:3], 0 offen offset:8
	;; [unrolled: 1-line block ×6, first 2 shown]
	buffer_load_dword v132, v2, s[0:3], 0 offen
	s_waitcnt vmcnt(7)
	buffer_store_dword v3, v2, s[0:3], 0 offen
	s_waitcnt vmcnt(6)
	buffer_store_dword v4, v2, s[0:3], 0 offen offset:4
	s_waitcnt vmcnt(5)
	buffer_store_dword v5, v2, s[0:3], 0 offen offset:8
	s_waitcnt vmcnt(4)
	buffer_store_dword v6, v2, s[0:3], 0 offen offset:12
	s_waitcnt vmcnt(3)
	buffer_store_dword v7, v1, s[0:3], 0 offen offset:12
	s_waitcnt vmcnt(2)
	buffer_store_dword v8, v1, s[0:3], 0 offen offset:8
	s_waitcnt vmcnt(1)
	buffer_store_dword v131, v1, s[0:3], 0 offen offset:4
	s_waitcnt vmcnt(0)
	buffer_store_dword v132, v1, s[0:3], 0 offen
.LBB124_490:
	global_load_dword v0, v0, s[12:13] offset:40
	s_waitcnt vmcnt(0)
	v_add_nc_u32_e32 v0, -1, v0
	v_cmp_eq_u32_e32 vcc_lo, 10, v0
	s_cbranch_vccnz .LBB124_492
; %bb.491:
	v_lshlrev_b32_e32 v0, 4, v0
	v_mov_b32_e32 v1, s65
	v_add_nc_u32_e32 v0, 16, v0
	s_clause 0x7
	buffer_load_dword v2, v0, s[0:3], 0 offen
	buffer_load_dword v3, v0, s[0:3], 0 offen offset:4
	buffer_load_dword v4, v0, s[0:3], 0 offen offset:8
	;; [unrolled: 1-line block ×6, first 2 shown]
	buffer_load_dword v131, v1, s[0:3], 0 offen
	s_waitcnt vmcnt(7)
	buffer_store_dword v2, v1, s[0:3], 0 offen
	s_waitcnt vmcnt(6)
	buffer_store_dword v3, v1, s[0:3], 0 offen offset:4
	s_waitcnt vmcnt(5)
	buffer_store_dword v4, v1, s[0:3], 0 offen offset:8
	;; [unrolled: 2-line block ×6, first 2 shown]
	s_waitcnt vmcnt(0)
	buffer_store_dword v131, v0, s[0:3], 0 offen
.LBB124_492:
	v_mov_b32_e32 v0, 0
	global_load_dword v1, v0, s[12:13] offset:36
	s_waitcnt vmcnt(0)
	v_add_nc_u32_e32 v1, -1, v1
	v_cmp_eq_u32_e32 vcc_lo, 9, v1
	s_cbranch_vccnz .LBB124_494
; %bb.493:
	v_lshlrev_b32_e32 v1, 4, v1
	v_mov_b32_e32 v2, s66
	v_add_nc_u32_e32 v1, 16, v1
	s_clause 0x7
	buffer_load_dword v3, v1, s[0:3], 0 offen
	buffer_load_dword v4, v1, s[0:3], 0 offen offset:4
	buffer_load_dword v5, v1, s[0:3], 0 offen offset:8
	;; [unrolled: 1-line block ×6, first 2 shown]
	buffer_load_dword v132, v2, s[0:3], 0 offen
	s_waitcnt vmcnt(7)
	buffer_store_dword v3, v2, s[0:3], 0 offen
	s_waitcnt vmcnt(6)
	buffer_store_dword v4, v2, s[0:3], 0 offen offset:4
	s_waitcnt vmcnt(5)
	buffer_store_dword v5, v2, s[0:3], 0 offen offset:8
	;; [unrolled: 2-line block ×6, first 2 shown]
	s_waitcnt vmcnt(0)
	buffer_store_dword v132, v1, s[0:3], 0 offen
.LBB124_494:
	global_load_dword v0, v0, s[12:13] offset:32
	s_waitcnt vmcnt(0)
	v_add_nc_u32_e32 v0, -1, v0
	v_cmp_eq_u32_e32 vcc_lo, 8, v0
	s_cbranch_vccnz .LBB124_496
; %bb.495:
	v_lshlrev_b32_e32 v0, 4, v0
	v_mov_b32_e32 v1, s67
	v_add_nc_u32_e32 v0, 16, v0
	s_clause 0x7
	buffer_load_dword v2, v0, s[0:3], 0 offen
	buffer_load_dword v3, v0, s[0:3], 0 offen offset:4
	buffer_load_dword v4, v0, s[0:3], 0 offen offset:8
	;; [unrolled: 1-line block ×6, first 2 shown]
	buffer_load_dword v131, v1, s[0:3], 0 offen
	s_waitcnt vmcnt(7)
	buffer_store_dword v2, v1, s[0:3], 0 offen
	s_waitcnt vmcnt(6)
	buffer_store_dword v3, v1, s[0:3], 0 offen offset:4
	s_waitcnt vmcnt(5)
	buffer_store_dword v4, v1, s[0:3], 0 offen offset:8
	;; [unrolled: 2-line block ×6, first 2 shown]
	s_waitcnt vmcnt(0)
	buffer_store_dword v131, v0, s[0:3], 0 offen
.LBB124_496:
	v_mov_b32_e32 v0, 0
	global_load_dword v1, v0, s[12:13] offset:28
	s_waitcnt vmcnt(0)
	v_add_nc_u32_e32 v1, -1, v1
	v_cmp_eq_u32_e32 vcc_lo, 7, v1
	s_cbranch_vccnz .LBB124_498
; %bb.497:
	v_lshlrev_b32_e32 v1, 4, v1
	v_mov_b32_e32 v2, s68
	v_add_nc_u32_e32 v1, 16, v1
	s_clause 0x7
	buffer_load_dword v3, v1, s[0:3], 0 offen
	buffer_load_dword v4, v1, s[0:3], 0 offen offset:4
	buffer_load_dword v5, v1, s[0:3], 0 offen offset:8
	;; [unrolled: 1-line block ×6, first 2 shown]
	buffer_load_dword v132, v2, s[0:3], 0 offen
	s_waitcnt vmcnt(7)
	buffer_store_dword v3, v2, s[0:3], 0 offen
	s_waitcnt vmcnt(6)
	buffer_store_dword v4, v2, s[0:3], 0 offen offset:4
	s_waitcnt vmcnt(5)
	buffer_store_dword v5, v2, s[0:3], 0 offen offset:8
	;; [unrolled: 2-line block ×6, first 2 shown]
	s_waitcnt vmcnt(0)
	buffer_store_dword v132, v1, s[0:3], 0 offen
.LBB124_498:
	global_load_dword v0, v0, s[12:13] offset:24
	s_waitcnt vmcnt(0)
	v_add_nc_u32_e32 v0, -1, v0
	v_cmp_eq_u32_e32 vcc_lo, 6, v0
	s_cbranch_vccnz .LBB124_500
; %bb.499:
	v_lshlrev_b32_e32 v0, 4, v0
	v_mov_b32_e32 v1, s69
	v_add_nc_u32_e32 v0, 16, v0
	s_clause 0x7
	buffer_load_dword v2, v0, s[0:3], 0 offen
	buffer_load_dword v3, v0, s[0:3], 0 offen offset:4
	buffer_load_dword v4, v0, s[0:3], 0 offen offset:8
	;; [unrolled: 1-line block ×6, first 2 shown]
	buffer_load_dword v131, v1, s[0:3], 0 offen
	s_waitcnt vmcnt(7)
	buffer_store_dword v2, v1, s[0:3], 0 offen
	s_waitcnt vmcnt(6)
	buffer_store_dword v3, v1, s[0:3], 0 offen offset:4
	s_waitcnt vmcnt(5)
	buffer_store_dword v4, v1, s[0:3], 0 offen offset:8
	;; [unrolled: 2-line block ×6, first 2 shown]
	s_waitcnt vmcnt(0)
	buffer_store_dword v131, v0, s[0:3], 0 offen
.LBB124_500:
	v_mov_b32_e32 v0, 0
	global_load_dword v1, v0, s[12:13] offset:20
	s_waitcnt vmcnt(0)
	v_add_nc_u32_e32 v1, -1, v1
	v_cmp_eq_u32_e32 vcc_lo, 5, v1
	s_cbranch_vccnz .LBB124_502
; %bb.501:
	v_lshlrev_b32_e32 v1, 4, v1
	v_mov_b32_e32 v2, s70
	v_add_nc_u32_e32 v1, 16, v1
	s_clause 0x7
	buffer_load_dword v3, v1, s[0:3], 0 offen
	buffer_load_dword v4, v1, s[0:3], 0 offen offset:4
	buffer_load_dword v5, v1, s[0:3], 0 offen offset:8
	;; [unrolled: 1-line block ×6, first 2 shown]
	buffer_load_dword v132, v2, s[0:3], 0 offen
	s_waitcnt vmcnt(7)
	buffer_store_dword v3, v2, s[0:3], 0 offen
	s_waitcnt vmcnt(6)
	buffer_store_dword v4, v2, s[0:3], 0 offen offset:4
	s_waitcnt vmcnt(5)
	buffer_store_dword v5, v2, s[0:3], 0 offen offset:8
	;; [unrolled: 2-line block ×6, first 2 shown]
	s_waitcnt vmcnt(0)
	buffer_store_dword v132, v1, s[0:3], 0 offen
.LBB124_502:
	global_load_dword v0, v0, s[12:13] offset:16
	s_waitcnt vmcnt(0)
	v_add_nc_u32_e32 v0, -1, v0
	v_cmp_eq_u32_e32 vcc_lo, 4, v0
	s_cbranch_vccnz .LBB124_504
; %bb.503:
	v_lshlrev_b32_e32 v0, 4, v0
	v_mov_b32_e32 v1, s71
	v_add_nc_u32_e32 v0, 16, v0
	s_clause 0x7
	buffer_load_dword v2, v0, s[0:3], 0 offen
	buffer_load_dword v3, v0, s[0:3], 0 offen offset:4
	buffer_load_dword v4, v0, s[0:3], 0 offen offset:8
	;; [unrolled: 1-line block ×6, first 2 shown]
	buffer_load_dword v131, v1, s[0:3], 0 offen
	s_waitcnt vmcnt(7)
	buffer_store_dword v2, v1, s[0:3], 0 offen
	s_waitcnt vmcnt(6)
	buffer_store_dword v3, v1, s[0:3], 0 offen offset:4
	s_waitcnt vmcnt(5)
	buffer_store_dword v4, v1, s[0:3], 0 offen offset:8
	;; [unrolled: 2-line block ×6, first 2 shown]
	s_waitcnt vmcnt(0)
	buffer_store_dword v131, v0, s[0:3], 0 offen
.LBB124_504:
	v_mov_b32_e32 v0, 0
	global_load_dword v1, v0, s[12:13] offset:12
	s_waitcnt vmcnt(0)
	v_add_nc_u32_e32 v1, -1, v1
	v_cmp_eq_u32_e32 vcc_lo, 3, v1
	s_cbranch_vccnz .LBB124_506
; %bb.505:
	v_lshlrev_b32_e32 v1, 4, v1
	v_mov_b32_e32 v2, s72
	v_add_nc_u32_e32 v1, 16, v1
	s_clause 0x7
	buffer_load_dword v3, v1, s[0:3], 0 offen
	buffer_load_dword v4, v1, s[0:3], 0 offen offset:4
	buffer_load_dword v5, v1, s[0:3], 0 offen offset:8
	buffer_load_dword v6, v1, s[0:3], 0 offen offset:12
	buffer_load_dword v7, v2, s[0:3], 0 offen offset:12
	buffer_load_dword v8, v2, s[0:3], 0 offen offset:8
	buffer_load_dword v131, v2, s[0:3], 0 offen offset:4
	buffer_load_dword v132, v2, s[0:3], 0 offen
	s_waitcnt vmcnt(7)
	buffer_store_dword v3, v2, s[0:3], 0 offen
	s_waitcnt vmcnt(6)
	buffer_store_dword v4, v2, s[0:3], 0 offen offset:4
	s_waitcnt vmcnt(5)
	buffer_store_dword v5, v2, s[0:3], 0 offen offset:8
	;; [unrolled: 2-line block ×6, first 2 shown]
	s_waitcnt vmcnt(0)
	buffer_store_dword v132, v1, s[0:3], 0 offen
.LBB124_506:
	global_load_dword v0, v0, s[12:13] offset:8
	s_waitcnt vmcnt(0)
	v_add_nc_u32_e32 v0, -1, v0
	v_cmp_eq_u32_e32 vcc_lo, 2, v0
	s_cbranch_vccnz .LBB124_508
; %bb.507:
	v_lshlrev_b32_e32 v0, 4, v0
	v_mov_b32_e32 v1, s73
	v_add_nc_u32_e32 v0, 16, v0
	s_clause 0x7
	buffer_load_dword v2, v0, s[0:3], 0 offen
	buffer_load_dword v3, v0, s[0:3], 0 offen offset:4
	buffer_load_dword v4, v0, s[0:3], 0 offen offset:8
	buffer_load_dword v5, v0, s[0:3], 0 offen offset:12
	buffer_load_dword v6, v1, s[0:3], 0 offen offset:12
	buffer_load_dword v7, v1, s[0:3], 0 offen offset:8
	buffer_load_dword v8, v1, s[0:3], 0 offen offset:4
	buffer_load_dword v131, v1, s[0:3], 0 offen
	s_waitcnt vmcnt(7)
	buffer_store_dword v2, v1, s[0:3], 0 offen
	s_waitcnt vmcnt(6)
	buffer_store_dword v3, v1, s[0:3], 0 offen offset:4
	s_waitcnt vmcnt(5)
	buffer_store_dword v4, v1, s[0:3], 0 offen offset:8
	;; [unrolled: 2-line block ×6, first 2 shown]
	s_waitcnt vmcnt(0)
	buffer_store_dword v131, v0, s[0:3], 0 offen
.LBB124_508:
	v_mov_b32_e32 v0, 0
	global_load_dword v1, v0, s[12:13] offset:4
	s_waitcnt vmcnt(0)
	v_add_nc_u32_e32 v1, -1, v1
	v_cmp_eq_u32_e32 vcc_lo, 1, v1
	s_cbranch_vccnz .LBB124_510
; %bb.509:
	v_lshlrev_b32_e32 v1, 4, v1
	v_mov_b32_e32 v2, s74
	v_add_nc_u32_e32 v1, 16, v1
	s_clause 0x7
	buffer_load_dword v3, v1, s[0:3], 0 offen
	buffer_load_dword v4, v1, s[0:3], 0 offen offset:4
	buffer_load_dword v5, v1, s[0:3], 0 offen offset:8
	;; [unrolled: 1-line block ×6, first 2 shown]
	buffer_load_dword v132, v2, s[0:3], 0 offen
	s_waitcnt vmcnt(7)
	buffer_store_dword v3, v2, s[0:3], 0 offen
	s_waitcnt vmcnt(6)
	buffer_store_dword v4, v2, s[0:3], 0 offen offset:4
	s_waitcnt vmcnt(5)
	buffer_store_dword v5, v2, s[0:3], 0 offen offset:8
	;; [unrolled: 2-line block ×6, first 2 shown]
	s_waitcnt vmcnt(0)
	buffer_store_dword v132, v1, s[0:3], 0 offen
.LBB124_510:
	global_load_dword v0, v0, s[12:13]
	s_waitcnt vmcnt(0)
	v_add_nc_u32_e32 v0, -1, v0
	v_cmp_eq_u32_e32 vcc_lo, 0, v0
	s_cbranch_vccnz .LBB124_512
; %bb.511:
	v_lshlrev_b32_e32 v0, 4, v0
	v_add_nc_u32_e32 v0, 16, v0
	s_clause 0x7
	buffer_load_dword v1, v0, s[0:3], 0 offen
	buffer_load_dword v2, v0, s[0:3], 0 offen offset:4
	buffer_load_dword v3, v0, s[0:3], 0 offen offset:8
	;; [unrolled: 1-line block ×3, first 2 shown]
	buffer_load_dword v5, off, s[0:3], 0 offset:28
	buffer_load_dword v6, off, s[0:3], 0 offset:24
	buffer_load_dword v7, off, s[0:3], 0 offset:20
	buffer_load_dword v8, off, s[0:3], 0 offset:16
	s_waitcnt vmcnt(7)
	buffer_store_dword v1, off, s[0:3], 0 offset:16
	s_waitcnt vmcnt(6)
	buffer_store_dword v2, off, s[0:3], 0 offset:20
	;; [unrolled: 2-line block ×4, first 2 shown]
	s_waitcnt vmcnt(3)
	buffer_store_dword v5, v0, s[0:3], 0 offen offset:12
	s_waitcnt vmcnt(2)
	buffer_store_dword v6, v0, s[0:3], 0 offen offset:8
	;; [unrolled: 2-line block ×3, first 2 shown]
	s_waitcnt vmcnt(0)
	buffer_store_dword v8, v0, s[0:3], 0 offen
.LBB124_512:
	s_clause 0x3
	buffer_load_dword v0, off, s[0:3], 0 offset:16
	buffer_load_dword v1, off, s[0:3], 0 offset:20
	;; [unrolled: 1-line block ×4, first 2 shown]
	v_mov_b32_e32 v4, s74
	s_waitcnt vmcnt(0)
	flat_store_dwordx4 v[9:10], v[0:3]
	s_clause 0x3
	buffer_load_dword v0, v4, s[0:3], 0 offen
	buffer_load_dword v1, v4, s[0:3], 0 offen offset:4
	buffer_load_dword v2, v4, s[0:3], 0 offen offset:8
	buffer_load_dword v3, v4, s[0:3], 0 offen offset:12
	v_mov_b32_e32 v4, s73
	s_waitcnt vmcnt(0)
	flat_store_dwordx4 v[63:64], v[0:3]
	s_clause 0x3
	buffer_load_dword v0, v4, s[0:3], 0 offen
	buffer_load_dword v1, v4, s[0:3], 0 offen offset:4
	buffer_load_dword v2, v4, s[0:3], 0 offen offset:8
	buffer_load_dword v3, v4, s[0:3], 0 offen offset:12
	;; [unrolled: 8-line block ×60, first 2 shown]
	s_waitcnt vmcnt(0)
	flat_store_dwordx4 v[129:130], v[0:3]
	s_endpgm
	.section	.rodata,"a",@progbits
	.p2align	6, 0x0
	.amdhsa_kernel _ZN9rocsolver6v33100L18getri_kernel_smallILi61E19rocblas_complex_numIdEPKPS3_EEvT1_iilPiilS8_bb
		.amdhsa_group_segment_fixed_size 1960
		.amdhsa_private_segment_fixed_size 1008
		.amdhsa_kernarg_size 60
		.amdhsa_user_sgpr_count 6
		.amdhsa_user_sgpr_private_segment_buffer 1
		.amdhsa_user_sgpr_dispatch_ptr 0
		.amdhsa_user_sgpr_queue_ptr 0
		.amdhsa_user_sgpr_kernarg_segment_ptr 1
		.amdhsa_user_sgpr_dispatch_id 0
		.amdhsa_user_sgpr_flat_scratch_init 0
		.amdhsa_user_sgpr_private_segment_size 0
		.amdhsa_wavefront_size32 1
		.amdhsa_uses_dynamic_stack 0
		.amdhsa_system_sgpr_private_segment_wavefront_offset 1
		.amdhsa_system_sgpr_workgroup_id_x 1
		.amdhsa_system_sgpr_workgroup_id_y 0
		.amdhsa_system_sgpr_workgroup_id_z 0
		.amdhsa_system_sgpr_workgroup_info 0
		.amdhsa_system_vgpr_workitem_id 0
		.amdhsa_next_free_vgpr 217
		.amdhsa_next_free_sgpr 105
		.amdhsa_reserve_vcc 1
		.amdhsa_reserve_flat_scratch 0
		.amdhsa_float_round_mode_32 0
		.amdhsa_float_round_mode_16_64 0
		.amdhsa_float_denorm_mode_32 3
		.amdhsa_float_denorm_mode_16_64 3
		.amdhsa_dx10_clamp 1
		.amdhsa_ieee_mode 1
		.amdhsa_fp16_overflow 0
		.amdhsa_workgroup_processor_mode 1
		.amdhsa_memory_ordered 1
		.amdhsa_forward_progress 1
		.amdhsa_shared_vgpr_count 0
		.amdhsa_exception_fp_ieee_invalid_op 0
		.amdhsa_exception_fp_denorm_src 0
		.amdhsa_exception_fp_ieee_div_zero 0
		.amdhsa_exception_fp_ieee_overflow 0
		.amdhsa_exception_fp_ieee_underflow 0
		.amdhsa_exception_fp_ieee_inexact 0
		.amdhsa_exception_int_div_zero 0
	.end_amdhsa_kernel
	.section	.text._ZN9rocsolver6v33100L18getri_kernel_smallILi61E19rocblas_complex_numIdEPKPS3_EEvT1_iilPiilS8_bb,"axG",@progbits,_ZN9rocsolver6v33100L18getri_kernel_smallILi61E19rocblas_complex_numIdEPKPS3_EEvT1_iilPiilS8_bb,comdat
.Lfunc_end124:
	.size	_ZN9rocsolver6v33100L18getri_kernel_smallILi61E19rocblas_complex_numIdEPKPS3_EEvT1_iilPiilS8_bb, .Lfunc_end124-_ZN9rocsolver6v33100L18getri_kernel_smallILi61E19rocblas_complex_numIdEPKPS3_EEvT1_iilPiilS8_bb
                                        ; -- End function
	.set _ZN9rocsolver6v33100L18getri_kernel_smallILi61E19rocblas_complex_numIdEPKPS3_EEvT1_iilPiilS8_bb.num_vgpr, 217
	.set _ZN9rocsolver6v33100L18getri_kernel_smallILi61E19rocblas_complex_numIdEPKPS3_EEvT1_iilPiilS8_bb.num_agpr, 0
	.set _ZN9rocsolver6v33100L18getri_kernel_smallILi61E19rocblas_complex_numIdEPKPS3_EEvT1_iilPiilS8_bb.numbered_sgpr, 105
	.set _ZN9rocsolver6v33100L18getri_kernel_smallILi61E19rocblas_complex_numIdEPKPS3_EEvT1_iilPiilS8_bb.num_named_barrier, 0
	.set _ZN9rocsolver6v33100L18getri_kernel_smallILi61E19rocblas_complex_numIdEPKPS3_EEvT1_iilPiilS8_bb.private_seg_size, 1008
	.set _ZN9rocsolver6v33100L18getri_kernel_smallILi61E19rocblas_complex_numIdEPKPS3_EEvT1_iilPiilS8_bb.uses_vcc, 1
	.set _ZN9rocsolver6v33100L18getri_kernel_smallILi61E19rocblas_complex_numIdEPKPS3_EEvT1_iilPiilS8_bb.uses_flat_scratch, 0
	.set _ZN9rocsolver6v33100L18getri_kernel_smallILi61E19rocblas_complex_numIdEPKPS3_EEvT1_iilPiilS8_bb.has_dyn_sized_stack, 0
	.set _ZN9rocsolver6v33100L18getri_kernel_smallILi61E19rocblas_complex_numIdEPKPS3_EEvT1_iilPiilS8_bb.has_recursion, 0
	.set _ZN9rocsolver6v33100L18getri_kernel_smallILi61E19rocblas_complex_numIdEPKPS3_EEvT1_iilPiilS8_bb.has_indirect_call, 0
	.section	.AMDGPU.csdata,"",@progbits
; Kernel info:
; codeLenInByte = 238228
; TotalNumSgprs: 107
; NumVgprs: 217
; ScratchSize: 1008
; MemoryBound: 0
; FloatMode: 240
; IeeeMode: 1
; LDSByteSize: 1960 bytes/workgroup (compile time only)
; SGPRBlocks: 0
; VGPRBlocks: 27
; NumSGPRsForWavesPerEU: 107
; NumVGPRsForWavesPerEU: 217
; Occupancy: 4
; WaveLimiterHint : 1
; COMPUTE_PGM_RSRC2:SCRATCH_EN: 1
; COMPUTE_PGM_RSRC2:USER_SGPR: 6
; COMPUTE_PGM_RSRC2:TRAP_HANDLER: 0
; COMPUTE_PGM_RSRC2:TGID_X_EN: 1
; COMPUTE_PGM_RSRC2:TGID_Y_EN: 0
; COMPUTE_PGM_RSRC2:TGID_Z_EN: 0
; COMPUTE_PGM_RSRC2:TIDIG_COMP_CNT: 0
	.section	.text._ZN9rocsolver6v33100L18getri_kernel_smallILi62E19rocblas_complex_numIdEPKPS3_EEvT1_iilPiilS8_bb,"axG",@progbits,_ZN9rocsolver6v33100L18getri_kernel_smallILi62E19rocblas_complex_numIdEPKPS3_EEvT1_iilPiilS8_bb,comdat
	.globl	_ZN9rocsolver6v33100L18getri_kernel_smallILi62E19rocblas_complex_numIdEPKPS3_EEvT1_iilPiilS8_bb ; -- Begin function _ZN9rocsolver6v33100L18getri_kernel_smallILi62E19rocblas_complex_numIdEPKPS3_EEvT1_iilPiilS8_bb
	.p2align	8
	.type	_ZN9rocsolver6v33100L18getri_kernel_smallILi62E19rocblas_complex_numIdEPKPS3_EEvT1_iilPiilS8_bb,@function
_ZN9rocsolver6v33100L18getri_kernel_smallILi62E19rocblas_complex_numIdEPKPS3_EEvT1_iilPiilS8_bb: ; @_ZN9rocsolver6v33100L18getri_kernel_smallILi62E19rocblas_complex_numIdEPKPS3_EEvT1_iilPiilS8_bb
; %bb.0:
	s_add_u32 s0, s0, s7
	s_addc_u32 s1, s1, 0
	s_mov_b32 s7, exec_lo
	v_cmpx_gt_u32_e32 62, v0
	s_cbranch_execz .LBB125_274
; %bb.1:
	s_clause 0x2
	s_load_dword s16, s[4:5], 0x38
	s_load_dwordx2 s[12:13], s[4:5], 0x0
	s_load_dwordx4 s[8:11], s[4:5], 0x28
	s_waitcnt lgkmcnt(0)
	s_bitcmp1_b32 s16, 8
	s_cselect_b32 s76, -1, 0
	s_ashr_i32 s7, s6, 31
	s_lshl_b64 s[14:15], s[6:7], 3
	s_add_u32 s12, s12, s14
	s_addc_u32 s13, s13, s15
	s_load_dwordx2 s[14:15], s[12:13], 0x0
	s_bfe_u32 s12, s16, 0x10008
	s_cmp_eq_u32 s12, 0
                                        ; implicit-def: $sgpr12_sgpr13
	s_cbranch_scc1 .LBB125_3
; %bb.2:
	s_clause 0x1
	s_load_dword s12, s[4:5], 0x20
	s_load_dwordx2 s[16:17], s[4:5], 0x18
	s_mul_i32 s13, s8, s7
	s_mul_hi_u32 s18, s8, s6
	s_mul_i32 s9, s9, s6
	s_add_i32 s13, s18, s13
	s_mul_i32 s8, s8, s6
	s_add_i32 s9, s13, s9
	s_lshl_b64 s[8:9], s[8:9], 2
	s_waitcnt lgkmcnt(0)
	s_ashr_i32 s13, s12, 31
	s_add_u32 s16, s16, s8
	s_addc_u32 s17, s17, s9
	s_lshl_b64 s[8:9], s[12:13], 2
	s_add_u32 s12, s16, s8
	s_addc_u32 s13, s17, s9
.LBB125_3:
	s_clause 0x1
	s_load_dwordx2 s[8:9], s[4:5], 0x8
	s_load_dword s77, s[4:5], 0x38
	v_lshlrev_b32_e32 v135, 4, v0
	s_movk_i32 s16, 0xa0
	s_movk_i32 s17, 0xb0
	s_movk_i32 s18, 0xc0
	s_movk_i32 s19, 0xd0
	s_movk_i32 s20, 0xe0
	s_movk_i32 s21, 0xf0
	s_movk_i32 s22, 0x100
	s_movk_i32 s23, 0x110
	s_movk_i32 s24, 0x120
	s_movk_i32 s25, 0x130
	s_movk_i32 s26, 0x140
	s_movk_i32 s27, 0x150
	s_movk_i32 s28, 0x160
	s_movk_i32 s29, 0x170
	s_movk_i32 s30, 0x180
	s_movk_i32 s31, 0x190
	s_movk_i32 s33, 0x1a0
	s_waitcnt lgkmcnt(0)
	s_ashr_i32 s5, s8, 31
	s_mov_b32 s4, s8
	v_add3_u32 v5, s9, s9, v0
	s_lshl_b64 s[4:5], s[4:5], 4
	s_movk_i32 s34, 0x1b0
	s_add_u32 s8, s14, s4
	s_addc_u32 s14, s15, s5
	v_add_co_u32 v9, s4, s8, v135
	v_add_co_ci_u32_e64 v10, null, s14, 0, s4
	s_mov_b32 s4, s9
	s_ashr_i32 s5, s9, 31
	v_ashrrev_i32_e32 v6, 31, v5
	flat_load_dwordx4 v[1:4], v[9:10]
	s_lshl_b64 s[4:5], s[4:5], 4
	s_movk_i32 s15, 0x90
	v_add_co_u32 v63, vcc_lo, v9, s4
	v_add_co_ci_u32_e64 v64, null, s5, v10, vcc_lo
	v_lshlrev_b64 v[6:7], 4, v[5:6]
	v_add_nc_u32_e32 v5, s9, v5
	s_movk_i32 s4, 0x50
	s_movk_i32 s35, 0x1c0
	s_movk_i32 s36, 0x1d0
	s_movk_i32 s37, 0x1e0
	v_add_co_u32 v61, vcc_lo, s8, v6
	v_add_co_ci_u32_e64 v62, null, s14, v7, vcc_lo
	v_ashrrev_i32_e32 v6, 31, v5
	s_movk_i32 s38, 0x1f0
	s_movk_i32 s39, 0x200
	s_movk_i32 s40, 0x210
	s_movk_i32 s41, 0x220
	v_lshlrev_b64 v[6:7], 4, v[5:6]
	v_add_nc_u32_e32 v5, s9, v5
	s_movk_i32 s78, 0x230
	s_movk_i32 s79, 0x240
	s_movk_i32 s80, 0x250
	s_movk_i32 s81, 0x260
	v_add_co_u32 v57, vcc_lo, s8, v6
	v_add_co_ci_u32_e64 v58, null, s14, v7, vcc_lo
	v_ashrrev_i32_e32 v6, 31, v5
	s_movk_i32 s82, 0x270
	s_movk_i32 s83, 0x280
	s_movk_i32 s84, 0x290
	s_movk_i32 s85, 0x2a0
	;; [unrolled: 13-line block ×4, first 2 shown]
	v_lshlrev_b64 v[6:7], 4, v[5:6]
	v_add_nc_u32_e32 v5, s9, v5
	s_movk_i32 s104, 0x3b0
	s_movk_i32 vcc_hi, 0x3d0
	s_add_i32 s71, s4, 16
	s_add_i32 s67, s15, 16
	v_add_co_u32 v51, vcc_lo, s8, v6
	v_add_co_ci_u32_e64 v52, null, s14, v7, vcc_lo
	v_ashrrev_i32_e32 v6, 31, v5
	s_add_i32 s66, s16, 16
	s_add_i32 s65, s17, 16
	s_add_i32 s64, s18, 16
	s_add_i32 s63, s19, 16
	v_lshlrev_b64 v[6:7], 4, v[5:6]
	v_add_nc_u32_e32 v5, s9, v5
	s_add_i32 s62, s20, 16
	s_add_i32 s61, s21, 16
	s_add_i32 s60, s22, 16
	s_add_i32 s59, s23, 16
	v_add_co_u32 v49, vcc_lo, s8, v6
	v_add_co_ci_u32_e64 v50, null, s14, v7, vcc_lo
	v_ashrrev_i32_e32 v6, 31, v5
	s_add_i32 s58, s24, 16
	s_add_i32 s57, s25, 16
	s_add_i32 s56, s26, 16
	s_add_i32 s55, s27, 16
	v_lshlrev_b64 v[6:7], 4, v[5:6]
	v_add_nc_u32_e32 v5, s9, v5
	s_add_i32 s54, s28, 16
	s_add_i32 s53, s29, 16
	;; [unrolled: 13-line block ×6, first 2 shown]
	s_add_i32 s19, s99, 16
	s_add_i32 s18, s100, 16
	v_add_co_u32 v37, vcc_lo, s8, v6
	v_add_co_ci_u32_e64 v38, null, s14, v7, vcc_lo
	v_ashrrev_i32_e32 v6, 31, v5
	s_add_i32 s17, s101, 16
	s_add_i32 s16, s104, 16
	s_mov_b32 s5, -1
	s_mov_b32 s75, 32
	v_lshlrev_b64 v[6:7], 4, v[5:6]
	v_add_nc_u32_e32 v5, s9, v5
	s_mov_b32 s74, 48
	s_mov_b32 s73, 64
	s_movk_i32 s72, 0x50
	s_waitcnt vmcnt(0) lgkmcnt(0)
	buffer_store_dword v4, off, s[0:3], 0 offset:28
	buffer_store_dword v3, off, s[0:3], 0 offset:24
	buffer_store_dword v2, off, s[0:3], 0 offset:20
	buffer_store_dword v1, off, s[0:3], 0 offset:16
	flat_load_dwordx4 v[1:4], v[63:64]
	v_add_co_u32 v35, vcc_lo, s8, v6
	v_add_co_ci_u32_e64 v36, null, s14, v7, vcc_lo
	v_ashrrev_i32_e32 v6, 31, v5
	s_waitcnt vmcnt(0) lgkmcnt(0)
	buffer_store_dword v4, off, s[0:3], 0 offset:44
	buffer_store_dword v3, off, s[0:3], 0 offset:40
	buffer_store_dword v2, off, s[0:3], 0 offset:36
	buffer_store_dword v1, off, s[0:3], 0 offset:32
	flat_load_dwordx4 v[1:4], v[61:62]
	v_lshlrev_b64 v[6:7], 4, v[5:6]
	v_add_nc_u32_e32 v5, s9, v5
	s_waitcnt vmcnt(0) lgkmcnt(0)
	buffer_store_dword v4, off, s[0:3], 0 offset:60
	buffer_store_dword v3, off, s[0:3], 0 offset:56
	buffer_store_dword v2, off, s[0:3], 0 offset:52
	buffer_store_dword v1, off, s[0:3], 0 offset:48
	flat_load_dwordx4 v[1:4], v[57:58]
	v_add_co_u32 v33, vcc_lo, s8, v6
	v_add_co_ci_u32_e64 v34, null, s14, v7, vcc_lo
	v_ashrrev_i32_e32 v6, 31, v5
	s_waitcnt vmcnt(0) lgkmcnt(0)
	buffer_store_dword v4, off, s[0:3], 0 offset:76
	buffer_store_dword v3, off, s[0:3], 0 offset:72
	buffer_store_dword v2, off, s[0:3], 0 offset:68
	buffer_store_dword v1, off, s[0:3], 0 offset:64
	flat_load_dwordx4 v[1:4], v[55:56]
	v_lshlrev_b64 v[6:7], 4, v[5:6]
	v_add_nc_u32_e32 v5, s9, v5
	s_waitcnt vmcnt(0) lgkmcnt(0)
	buffer_store_dword v4, off, s[0:3], 0 offset:92
	buffer_store_dword v3, off, s[0:3], 0 offset:88
	buffer_store_dword v2, off, s[0:3], 0 offset:84
	buffer_store_dword v1, off, s[0:3], 0 offset:80
	flat_load_dwordx4 v[1:4], v[53:54]
	v_add_co_u32 v31, vcc_lo, s8, v6
	v_add_co_ci_u32_e64 v32, null, s14, v7, vcc_lo
	v_ashrrev_i32_e32 v6, 31, v5
	s_waitcnt vmcnt(0) lgkmcnt(0)
	buffer_store_dword v4, off, s[0:3], 0 offset:108
	buffer_store_dword v3, off, s[0:3], 0 offset:104
	buffer_store_dword v2, off, s[0:3], 0 offset:100
	buffer_store_dword v1, off, s[0:3], 0 offset:96
	flat_load_dwordx4 v[1:4], v[51:52]
	v_lshlrev_b64 v[6:7], 4, v[5:6]
	v_add_nc_u32_e32 v5, s9, v5
	s_waitcnt vmcnt(0) lgkmcnt(0)
	buffer_store_dword v4, off, s[0:3], 0 offset:124
	buffer_store_dword v3, off, s[0:3], 0 offset:120
	buffer_store_dword v2, off, s[0:3], 0 offset:116
	buffer_store_dword v1, off, s[0:3], 0 offset:112
	flat_load_dwordx4 v[1:4], v[49:50]
	v_add_co_u32 v29, vcc_lo, s8, v6
	v_add_co_ci_u32_e64 v30, null, s14, v7, vcc_lo
	v_ashrrev_i32_e32 v6, 31, v5
	s_waitcnt vmcnt(0) lgkmcnt(0)
	buffer_store_dword v4, off, s[0:3], 0 offset:140
	buffer_store_dword v3, off, s[0:3], 0 offset:136
	buffer_store_dword v2, off, s[0:3], 0 offset:132
	buffer_store_dword v1, off, s[0:3], 0 offset:128
	flat_load_dwordx4 v[1:4], v[47:48]
	v_lshlrev_b64 v[6:7], 4, v[5:6]
	v_add_nc_u32_e32 v5, s9, v5
	s_waitcnt vmcnt(0) lgkmcnt(0)
	buffer_store_dword v4, off, s[0:3], 0 offset:156
	buffer_store_dword v3, off, s[0:3], 0 offset:152
	buffer_store_dword v2, off, s[0:3], 0 offset:148
	buffer_store_dword v1, off, s[0:3], 0 offset:144
	flat_load_dwordx4 v[1:4], v[45:46]
	v_add_co_u32 v27, vcc_lo, s8, v6
	v_add_co_ci_u32_e64 v28, null, s14, v7, vcc_lo
	v_ashrrev_i32_e32 v6, 31, v5
	s_waitcnt vmcnt(0) lgkmcnt(0)
	buffer_store_dword v4, off, s[0:3], 0 offset:172
	buffer_store_dword v3, off, s[0:3], 0 offset:168
	buffer_store_dword v2, off, s[0:3], 0 offset:164
	buffer_store_dword v1, off, s[0:3], 0 offset:160
	flat_load_dwordx4 v[1:4], v[43:44]
	v_lshlrev_b64 v[6:7], 4, v[5:6]
	v_add_nc_u32_e32 v5, s9, v5
	s_waitcnt vmcnt(0) lgkmcnt(0)
	buffer_store_dword v4, off, s[0:3], 0 offset:188
	buffer_store_dword v3, off, s[0:3], 0 offset:184
	buffer_store_dword v2, off, s[0:3], 0 offset:180
	buffer_store_dword v1, off, s[0:3], 0 offset:176
	flat_load_dwordx4 v[1:4], v[41:42]
	v_add_co_u32 v25, vcc_lo, s8, v6
	v_add_co_ci_u32_e64 v26, null, s14, v7, vcc_lo
	v_ashrrev_i32_e32 v6, 31, v5
	s_waitcnt vmcnt(0) lgkmcnt(0)
	buffer_store_dword v4, off, s[0:3], 0 offset:204
	buffer_store_dword v3, off, s[0:3], 0 offset:200
	buffer_store_dword v2, off, s[0:3], 0 offset:196
	buffer_store_dword v1, off, s[0:3], 0 offset:192
	flat_load_dwordx4 v[1:4], v[37:38]
	v_lshlrev_b64 v[6:7], 4, v[5:6]
	v_add_nc_u32_e32 v5, s9, v5
	s_waitcnt vmcnt(0) lgkmcnt(0)
	buffer_store_dword v4, off, s[0:3], 0 offset:220
	buffer_store_dword v3, off, s[0:3], 0 offset:216
	buffer_store_dword v2, off, s[0:3], 0 offset:212
	buffer_store_dword v1, off, s[0:3], 0 offset:208
	flat_load_dwordx4 v[1:4], v[35:36]
	v_add_co_u32 v23, vcc_lo, s8, v6
	v_add_co_ci_u32_e64 v24, null, s14, v7, vcc_lo
	v_ashrrev_i32_e32 v6, 31, v5
	s_waitcnt vmcnt(0) lgkmcnt(0)
	buffer_store_dword v4, off, s[0:3], 0 offset:236
	buffer_store_dword v3, off, s[0:3], 0 offset:232
	buffer_store_dword v2, off, s[0:3], 0 offset:228
	buffer_store_dword v1, off, s[0:3], 0 offset:224
	flat_load_dwordx4 v[1:4], v[33:34]
	v_lshlrev_b64 v[6:7], 4, v[5:6]
	v_add_nc_u32_e32 v5, s9, v5
	s_waitcnt vmcnt(0) lgkmcnt(0)
	buffer_store_dword v4, off, s[0:3], 0 offset:252
	buffer_store_dword v3, off, s[0:3], 0 offset:248
	buffer_store_dword v2, off, s[0:3], 0 offset:244
	buffer_store_dword v1, off, s[0:3], 0 offset:240
	flat_load_dwordx4 v[1:4], v[31:32]
	v_add_co_u32 v21, vcc_lo, s8, v6
	v_add_co_ci_u32_e64 v22, null, s14, v7, vcc_lo
	v_ashrrev_i32_e32 v6, 31, v5
	s_waitcnt vmcnt(0) lgkmcnt(0)
	buffer_store_dword v4, off, s[0:3], 0 offset:268
	buffer_store_dword v3, off, s[0:3], 0 offset:264
	buffer_store_dword v2, off, s[0:3], 0 offset:260
	buffer_store_dword v1, off, s[0:3], 0 offset:256
	flat_load_dwordx4 v[1:4], v[29:30]
	v_lshlrev_b64 v[6:7], 4, v[5:6]
	v_add_nc_u32_e32 v5, s9, v5
	s_waitcnt vmcnt(0) lgkmcnt(0)
	buffer_store_dword v4, off, s[0:3], 0 offset:284
	buffer_store_dword v3, off, s[0:3], 0 offset:280
	buffer_store_dword v2, off, s[0:3], 0 offset:276
	buffer_store_dword v1, off, s[0:3], 0 offset:272
	flat_load_dwordx4 v[1:4], v[27:28]
	v_add_co_u32 v19, vcc_lo, s8, v6
	v_add_co_ci_u32_e64 v20, null, s14, v7, vcc_lo
	v_ashrrev_i32_e32 v6, 31, v5
	s_waitcnt vmcnt(0) lgkmcnt(0)
	buffer_store_dword v4, off, s[0:3], 0 offset:300
	buffer_store_dword v3, off, s[0:3], 0 offset:296
	buffer_store_dword v2, off, s[0:3], 0 offset:292
	buffer_store_dword v1, off, s[0:3], 0 offset:288
	flat_load_dwordx4 v[1:4], v[25:26]
	v_lshlrev_b64 v[6:7], 4, v[5:6]
	v_add_nc_u32_e32 v5, s9, v5
	s_waitcnt vmcnt(0) lgkmcnt(0)
	buffer_store_dword v4, off, s[0:3], 0 offset:316
	buffer_store_dword v3, off, s[0:3], 0 offset:312
	buffer_store_dword v2, off, s[0:3], 0 offset:308
	buffer_store_dword v1, off, s[0:3], 0 offset:304
	flat_load_dwordx4 v[1:4], v[23:24]
	v_add_co_u32 v17, vcc_lo, s8, v6
	v_add_co_ci_u32_e64 v18, null, s14, v7, vcc_lo
	v_ashrrev_i32_e32 v6, 31, v5
	s_waitcnt vmcnt(0) lgkmcnt(0)
	buffer_store_dword v4, off, s[0:3], 0 offset:332
	buffer_store_dword v3, off, s[0:3], 0 offset:328
	buffer_store_dword v2, off, s[0:3], 0 offset:324
	buffer_store_dword v1, off, s[0:3], 0 offset:320
	flat_load_dwordx4 v[1:4], v[21:22]
	v_lshlrev_b64 v[6:7], 4, v[5:6]
	v_add_nc_u32_e32 v5, s9, v5
	s_waitcnt vmcnt(0) lgkmcnt(0)
	buffer_store_dword v4, off, s[0:3], 0 offset:348
	buffer_store_dword v3, off, s[0:3], 0 offset:344
	buffer_store_dword v2, off, s[0:3], 0 offset:340
	buffer_store_dword v1, off, s[0:3], 0 offset:336
	flat_load_dwordx4 v[1:4], v[19:20]
	v_add_co_u32 v15, vcc_lo, s8, v6
	v_add_co_ci_u32_e64 v16, null, s14, v7, vcc_lo
	v_ashrrev_i32_e32 v6, 31, v5
	s_waitcnt vmcnt(0) lgkmcnt(0)
	buffer_store_dword v4, off, s[0:3], 0 offset:364
	buffer_store_dword v3, off, s[0:3], 0 offset:360
	buffer_store_dword v2, off, s[0:3], 0 offset:356
	buffer_store_dword v1, off, s[0:3], 0 offset:352
	flat_load_dwordx4 v[1:4], v[17:18]
	v_lshlrev_b64 v[6:7], 4, v[5:6]
	v_add_nc_u32_e32 v5, s9, v5
	s_waitcnt vmcnt(0) lgkmcnt(0)
	buffer_store_dword v4, off, s[0:3], 0 offset:380
	buffer_store_dword v3, off, s[0:3], 0 offset:376
	buffer_store_dword v2, off, s[0:3], 0 offset:372
	buffer_store_dword v1, off, s[0:3], 0 offset:368
	flat_load_dwordx4 v[1:4], v[15:16]
	v_add_co_u32 v13, vcc_lo, s8, v6
	v_add_co_ci_u32_e64 v14, null, s14, v7, vcc_lo
	v_ashrrev_i32_e32 v6, 31, v5
	s_waitcnt vmcnt(0) lgkmcnt(0)
	buffer_store_dword v4, off, s[0:3], 0 offset:396
	buffer_store_dword v3, off, s[0:3], 0 offset:392
	buffer_store_dword v2, off, s[0:3], 0 offset:388
	buffer_store_dword v1, off, s[0:3], 0 offset:384
	flat_load_dwordx4 v[1:4], v[13:14]
	v_lshlrev_b64 v[6:7], 4, v[5:6]
	v_add_nc_u32_e32 v5, s9, v5
	s_waitcnt vmcnt(0) lgkmcnt(0)
	buffer_store_dword v4, off, s[0:3], 0 offset:412
	buffer_store_dword v3, off, s[0:3], 0 offset:408
	;; [unrolled: 1-line block ×4, first 2 shown]
	v_add_co_u32 v11, vcc_lo, s8, v6
	v_add_co_ci_u32_e64 v12, null, s14, v7, vcc_lo
	v_ashrrev_i32_e32 v6, 31, v5
	flat_load_dwordx4 v[1:4], v[11:12]
	s_waitcnt vmcnt(0) lgkmcnt(0)
	buffer_store_dword v4, off, s[0:3], 0 offset:428
	buffer_store_dword v3, off, s[0:3], 0 offset:424
	buffer_store_dword v2, off, s[0:3], 0 offset:420
	buffer_store_dword v1, off, s[0:3], 0 offset:416
	v_lshlrev_b64 v[6:7], 4, v[5:6]
	v_add_nc_u32_e32 v5, s9, v5
	v_add_co_u32 v39, vcc_lo, s8, v6
	v_add_co_ci_u32_e64 v40, null, s14, v7, vcc_lo
	v_ashrrev_i32_e32 v6, 31, v5
	flat_load_dwordx4 v[1:4], v[39:40]
	s_waitcnt vmcnt(0) lgkmcnt(0)
	buffer_store_dword v4, off, s[0:3], 0 offset:444
	buffer_store_dword v3, off, s[0:3], 0 offset:440
	buffer_store_dword v2, off, s[0:3], 0 offset:436
	buffer_store_dword v1, off, s[0:3], 0 offset:432
	v_lshlrev_b64 v[6:7], 4, v[5:6]
	v_add_nc_u32_e32 v5, s9, v5
	;; [unrolled: 11-line block ×35, first 2 shown]
	s_movk_i32 s9, 0x70
	s_add_i32 s69, s9, 16
	v_add_co_u32 v129, vcc_lo, s8, v6
	v_add_co_ci_u32_e64 v130, null, s14, v7, vcc_lo
	v_ashrrev_i32_e32 v6, 31, v5
	flat_load_dwordx4 v[1:4], v[129:130]
	s_waitcnt vmcnt(0) lgkmcnt(0)
	buffer_store_dword v4, off, s[0:3], 0 offset:988
	buffer_store_dword v3, off, s[0:3], 0 offset:984
	buffer_store_dword v2, off, s[0:3], 0 offset:980
	buffer_store_dword v1, off, s[0:3], 0 offset:976
	v_lshlrev_b64 v[5:6], 4, v[5:6]
	v_add_co_u32 v131, vcc_lo, s8, v5
	v_add_co_ci_u32_e64 v132, null, s14, v6, vcc_lo
	s_movk_i32 s8, 0x60
	s_movk_i32 s14, 0x80
	s_movk_i32 vcc_lo, 0x3c0
	flat_load_dwordx4 v[1:4], v[131:132]
	s_add_i32 s70, s8, 16
	s_add_i32 s68, s14, 16
	s_add_i32 s15, vcc_lo, 16
	s_add_i32 s14, vcc_hi, 16
	s_bitcmp0_b32 s77, 0
	s_waitcnt vmcnt(0) lgkmcnt(0)
	buffer_store_dword v4, off, s[0:3], 0 offset:1004
	buffer_store_dword v3, off, s[0:3], 0 offset:1000
	;; [unrolled: 1-line block ×4, first 2 shown]
	s_cbranch_scc1 .LBB125_272
; %bb.4:
	v_cmp_eq_u32_e64 s4, 0, v0
	s_and_saveexec_b32 s5, s4
; %bb.5:
	v_mov_b32_e32 v1, 0
	ds_write_b32 v1, v1 offset:1984
; %bb.6:
	s_or_b32 exec_lo, exec_lo, s5
	v_lshl_add_u32 v136, v0, 4, 16
	s_waitcnt lgkmcnt(0)
	s_waitcnt_vscnt null, 0x0
	s_barrier
	buffer_gl0_inv
	s_clause 0x3
	buffer_load_dword v1, v136, s[0:3], 0 offen
	buffer_load_dword v2, v136, s[0:3], 0 offen offset:4
	buffer_load_dword v3, v136, s[0:3], 0 offen offset:8
	;; [unrolled: 1-line block ×3, first 2 shown]
	s_waitcnt vmcnt(2)
	v_cmp_eq_f64_e32 vcc_lo, 0, v[1:2]
	s_waitcnt vmcnt(0)
	v_cmp_eq_f64_e64 s5, 0, v[3:4]
	s_and_b32 s5, vcc_lo, s5
	s_and_saveexec_b32 s8, s5
	s_cbranch_execz .LBB125_10
; %bb.7:
	v_mov_b32_e32 v1, 0
	s_mov_b32 s9, 0
	ds_read_b32 v2, v1 offset:1984
	s_waitcnt lgkmcnt(0)
	v_readfirstlane_b32 s5, v2
	v_add_nc_u32_e32 v2, 1, v0
	s_cmp_eq_u32 s5, 0
	v_cmp_gt_i32_e32 vcc_lo, s5, v2
	s_cselect_b32 s77, -1, 0
	s_or_b32 s77, s77, vcc_lo
	s_and_b32 exec_lo, exec_lo, s77
	s_cbranch_execz .LBB125_10
; %bb.8:
	v_mov_b32_e32 v3, s5
.LBB125_9:                              ; =>This Inner Loop Header: Depth=1
	ds_cmpst_rtn_b32 v3, v1, v3, v2 offset:1984
	s_waitcnt lgkmcnt(0)
	v_cmp_ne_u32_e32 vcc_lo, 0, v3
	v_cmp_le_i32_e64 s5, v3, v2
	s_and_b32 s5, vcc_lo, s5
	s_and_b32 s5, exec_lo, s5
	s_or_b32 s9, s5, s9
	s_andn2_b32 exec_lo, exec_lo, s9
	s_cbranch_execnz .LBB125_9
.LBB125_10:
	s_or_b32 exec_lo, exec_lo, s8
	v_mov_b32_e32 v1, 0
	s_barrier
	buffer_gl0_inv
	ds_read_b32 v2, v1 offset:1984
	s_and_saveexec_b32 s5, s4
	s_cbranch_execz .LBB125_12
; %bb.11:
	s_lshl_b64 s[8:9], s[6:7], 2
	s_add_u32 s8, s10, s8
	s_addc_u32 s9, s11, s9
	s_waitcnt lgkmcnt(0)
	global_store_dword v1, v2, s[8:9]
.LBB125_12:
	s_or_b32 exec_lo, exec_lo, s5
	s_waitcnt lgkmcnt(0)
	v_cmp_ne_u32_e32 vcc_lo, 0, v2
	s_mov_b32 s5, 0
	s_cbranch_vccnz .LBB125_272
; %bb.13:
	s_clause 0x3
	buffer_load_dword v7, v136, s[0:3], 0 offen
	buffer_load_dword v8, v136, s[0:3], 0 offen offset:4
	buffer_load_dword v133, v136, s[0:3], 0 offen offset:8
	buffer_load_dword v134, v136, s[0:3], 0 offen offset:12
                                        ; implicit-def: $vgpr5_vgpr6
                                        ; implicit-def: $vgpr3_vgpr4
	s_waitcnt vmcnt(0)
	v_cmp_ngt_f64_e64 s5, |v[7:8]|, |v[133:134]|
	s_and_saveexec_b32 s8, s5
	s_xor_b32 s5, exec_lo, s8
	s_cbranch_execz .LBB125_15
; %bb.14:
	v_div_scale_f64 v[1:2], null, v[133:134], v[133:134], v[7:8]
	v_div_scale_f64 v[137:138], vcc_lo, v[7:8], v[133:134], v[7:8]
	v_rcp_f64_e32 v[3:4], v[1:2]
	v_fma_f64 v[5:6], -v[1:2], v[3:4], 1.0
	v_fma_f64 v[3:4], v[3:4], v[5:6], v[3:4]
	v_fma_f64 v[5:6], -v[1:2], v[3:4], 1.0
	v_fma_f64 v[3:4], v[3:4], v[5:6], v[3:4]
	v_mul_f64 v[5:6], v[137:138], v[3:4]
	v_fma_f64 v[1:2], -v[1:2], v[5:6], v[137:138]
	v_div_fmas_f64 v[1:2], v[1:2], v[3:4], v[5:6]
	v_div_fixup_f64 v[1:2], v[1:2], v[133:134], v[7:8]
	v_fma_f64 v[3:4], v[7:8], v[1:2], v[133:134]
	v_div_scale_f64 v[5:6], null, v[3:4], v[3:4], 1.0
	v_div_scale_f64 v[137:138], vcc_lo, 1.0, v[3:4], 1.0
	v_rcp_f64_e32 v[7:8], v[5:6]
	v_fma_f64 v[133:134], -v[5:6], v[7:8], 1.0
	v_fma_f64 v[7:8], v[7:8], v[133:134], v[7:8]
	v_fma_f64 v[133:134], -v[5:6], v[7:8], 1.0
	v_fma_f64 v[7:8], v[7:8], v[133:134], v[7:8]
	v_mul_f64 v[133:134], v[137:138], v[7:8]
	v_fma_f64 v[5:6], -v[5:6], v[133:134], v[137:138]
	v_div_fmas_f64 v[5:6], v[5:6], v[7:8], v[133:134]
                                        ; implicit-def: $vgpr7_vgpr8
                                        ; implicit-def: $vgpr133_vgpr134
	v_div_fixup_f64 v[3:4], v[5:6], v[3:4], 1.0
	v_mul_f64 v[5:6], v[1:2], v[3:4]
	v_xor_b32_e32 v4, 0x80000000, v4
	v_xor_b32_e32 v2, 0x80000000, v6
	v_mov_b32_e32 v1, v5
.LBB125_15:
	s_andn2_saveexec_b32 s5, s5
	s_cbranch_execz .LBB125_17
; %bb.16:
	v_div_scale_f64 v[1:2], null, v[7:8], v[7:8], v[133:134]
	v_div_scale_f64 v[137:138], vcc_lo, v[133:134], v[7:8], v[133:134]
	v_rcp_f64_e32 v[3:4], v[1:2]
	v_fma_f64 v[5:6], -v[1:2], v[3:4], 1.0
	v_fma_f64 v[3:4], v[3:4], v[5:6], v[3:4]
	v_fma_f64 v[5:6], -v[1:2], v[3:4], 1.0
	v_fma_f64 v[3:4], v[3:4], v[5:6], v[3:4]
	v_mul_f64 v[5:6], v[137:138], v[3:4]
	v_fma_f64 v[1:2], -v[1:2], v[5:6], v[137:138]
	v_div_fmas_f64 v[1:2], v[1:2], v[3:4], v[5:6]
	v_div_fixup_f64 v[1:2], v[1:2], v[7:8], v[133:134]
	v_fma_f64 v[3:4], v[133:134], v[1:2], v[7:8]
	v_div_scale_f64 v[5:6], null, v[3:4], v[3:4], 1.0
	v_rcp_f64_e32 v[7:8], v[5:6]
	v_fma_f64 v[133:134], -v[5:6], v[7:8], 1.0
	v_fma_f64 v[7:8], v[7:8], v[133:134], v[7:8]
	v_fma_f64 v[133:134], -v[5:6], v[7:8], 1.0
	v_fma_f64 v[7:8], v[7:8], v[133:134], v[7:8]
	v_div_scale_f64 v[133:134], vcc_lo, 1.0, v[3:4], 1.0
	v_mul_f64 v[137:138], v[133:134], v[7:8]
	v_fma_f64 v[5:6], -v[5:6], v[137:138], v[133:134]
	v_div_fmas_f64 v[5:6], v[5:6], v[7:8], v[137:138]
	v_div_fixup_f64 v[5:6], v[5:6], v[3:4], 1.0
	v_mul_f64 v[3:4], v[1:2], -v[5:6]
	v_xor_b32_e32 v2, 0x80000000, v6
	v_mov_b32_e32 v1, v5
.LBB125_17:
	s_or_b32 exec_lo, exec_lo, s5
	v_mov_b32_e32 v7, s75
	buffer_store_dword v6, v136, s[0:3], 0 offen offset:4
	buffer_store_dword v5, v136, s[0:3], 0 offen
	buffer_store_dword v4, v136, s[0:3], 0 offen offset:12
	buffer_store_dword v3, v136, s[0:3], 0 offen offset:8
	v_xor_b32_e32 v4, 0x80000000, v4
	v_add_nc_u32_e32 v5, 0x3e0, v135
	s_clause 0x3
	buffer_load_dword v140, v7, s[0:3], 0 offen offset:12
	buffer_load_dword v139, v7, s[0:3], 0 offen offset:8
	;; [unrolled: 1-line block ×3, first 2 shown]
	buffer_load_dword v137, v7, s[0:3], 0 offen
	ds_write_b128 v135, v[1:4]
	s_waitcnt vmcnt(0)
	ds_write_b128 v135, v[137:140] offset:992
	s_waitcnt lgkmcnt(0)
	s_waitcnt_vscnt null, 0x0
	s_barrier
	buffer_gl0_inv
	s_and_saveexec_b32 s5, s4
	s_cbranch_execz .LBB125_19
; %bb.18:
	s_clause 0x3
	buffer_load_dword v6, v136, s[0:3], 0 offen offset:8
	buffer_load_dword v7, v136, s[0:3], 0 offen offset:12
	buffer_load_dword v133, v136, s[0:3], 0 offen
	buffer_load_dword v134, v136, s[0:3], 0 offen offset:4
	ds_read_b128 v[1:4], v5
	v_mov_b32_e32 v8, 0
	ds_read_b128 v[137:140], v8 offset:16
	s_waitcnt vmcnt(2) lgkmcnt(1)
	v_mul_f64 v[141:142], v[1:2], v[6:7]
	v_mul_f64 v[6:7], v[3:4], v[6:7]
	s_waitcnt vmcnt(0)
	v_fma_f64 v[3:4], v[3:4], v[133:134], v[141:142]
	v_fma_f64 v[1:2], v[1:2], v[133:134], -v[6:7]
	v_add_f64 v[3:4], v[3:4], 0
	v_add_f64 v[1:2], v[1:2], 0
	s_waitcnt lgkmcnt(0)
	v_mul_f64 v[6:7], v[3:4], v[139:140]
	v_mul_f64 v[133:134], v[1:2], v[139:140]
	v_fma_f64 v[1:2], v[1:2], v[137:138], -v[6:7]
	v_fma_f64 v[3:4], v[3:4], v[137:138], v[133:134]
	buffer_store_dword v1, off, s[0:3], 0 offset:32
	buffer_store_dword v2, off, s[0:3], 0 offset:36
	;; [unrolled: 1-line block ×4, first 2 shown]
.LBB125_19:
	s_or_b32 exec_lo, exec_lo, s5
	v_mov_b32_e32 v4, s74
	s_waitcnt_vscnt null, 0x0
	s_barrier
	buffer_gl0_inv
	v_cmp_gt_u32_e32 vcc_lo, 2, v0
	s_clause 0x3
	buffer_load_dword v1, v4, s[0:3], 0 offen
	buffer_load_dword v2, v4, s[0:3], 0 offen offset:4
	buffer_load_dword v3, v4, s[0:3], 0 offen offset:8
	buffer_load_dword v4, v4, s[0:3], 0 offen offset:12
	s_waitcnt vmcnt(0)
	ds_write_b128 v5, v[1:4]
	s_waitcnt lgkmcnt(0)
	s_barrier
	buffer_gl0_inv
	s_and_saveexec_b32 s5, vcc_lo
	s_cbranch_execz .LBB125_23
; %bb.20:
	s_clause 0x3
	buffer_load_dword v6, v136, s[0:3], 0 offen offset:8
	buffer_load_dword v7, v136, s[0:3], 0 offen offset:12
	buffer_load_dword v133, v136, s[0:3], 0 offen
	buffer_load_dword v134, v136, s[0:3], 0 offen offset:4
	ds_read_b128 v[1:4], v5
	s_waitcnt vmcnt(2) lgkmcnt(0)
	v_mul_f64 v[137:138], v[3:4], v[6:7]
	v_mul_f64 v[6:7], v[1:2], v[6:7]
	s_waitcnt vmcnt(0)
	v_fma_f64 v[1:2], v[1:2], v[133:134], -v[137:138]
	v_fma_f64 v[3:4], v[3:4], v[133:134], v[6:7]
	v_add_f64 v[1:2], v[1:2], 0
	v_add_f64 v[3:4], v[3:4], 0
	s_and_saveexec_b32 s8, s4
	s_cbranch_execz .LBB125_22
; %bb.21:
	s_clause 0x3
	buffer_load_dword v6, off, s[0:3], 0 offset:40
	buffer_load_dword v7, off, s[0:3], 0 offset:44
	;; [unrolled: 1-line block ×4, first 2 shown]
	v_mov_b32_e32 v8, 0
	ds_read_b128 v[137:140], v8 offset:1008
	s_waitcnt vmcnt(2) lgkmcnt(0)
	v_mul_f64 v[141:142], v[137:138], v[6:7]
	v_mul_f64 v[6:7], v[139:140], v[6:7]
	s_waitcnt vmcnt(0)
	v_fma_f64 v[139:140], v[139:140], v[133:134], v[141:142]
	v_fma_f64 v[6:7], v[137:138], v[133:134], -v[6:7]
	v_add_f64 v[3:4], v[3:4], v[139:140]
	v_add_f64 v[1:2], v[1:2], v[6:7]
.LBB125_22:
	s_or_b32 exec_lo, exec_lo, s8
	v_mov_b32_e32 v6, 0
	ds_read_b128 v[137:140], v6 offset:32
	s_waitcnt lgkmcnt(0)
	v_mul_f64 v[6:7], v[3:4], v[139:140]
	v_mul_f64 v[133:134], v[1:2], v[139:140]
	v_fma_f64 v[1:2], v[1:2], v[137:138], -v[6:7]
	v_fma_f64 v[3:4], v[3:4], v[137:138], v[133:134]
	buffer_store_dword v2, off, s[0:3], 0 offset:52
	buffer_store_dword v1, off, s[0:3], 0 offset:48
	;; [unrolled: 1-line block ×4, first 2 shown]
.LBB125_23:
	s_or_b32 exec_lo, exec_lo, s5
	v_mov_b32_e32 v4, s73
	s_waitcnt_vscnt null, 0x0
	s_barrier
	buffer_gl0_inv
	v_add_nc_u32_e32 v6, -1, v0
	s_clause 0x3
	buffer_load_dword v1, v4, s[0:3], 0 offen
	buffer_load_dword v2, v4, s[0:3], 0 offen offset:4
	buffer_load_dword v3, v4, s[0:3], 0 offen offset:8
	;; [unrolled: 1-line block ×3, first 2 shown]
	s_mov_b32 s8, exec_lo
	s_waitcnt vmcnt(0)
	ds_write_b128 v5, v[1:4]
	s_waitcnt lgkmcnt(0)
	s_barrier
	buffer_gl0_inv
	v_cmpx_gt_u32_e32 3, v0
	s_cbranch_execz .LBB125_27
; %bb.24:
	v_mov_b32_e32 v1, 0
	v_mov_b32_e32 v3, 0
	v_add_nc_u32_e32 v7, -1, v0
	v_add_nc_u32_e32 v8, 0x3e0, v135
	v_mov_b32_e32 v2, 0
	v_mov_b32_e32 v4, 0
	v_add_nc_u32_e32 v133, 16, v135
	s_mov_b32 s9, 0
	.p2align	6
.LBB125_25:                             ; =>This Inner Loop Header: Depth=1
	s_clause 0x3
	buffer_load_dword v141, v133, s[0:3], 0 offen offset:8
	buffer_load_dword v142, v133, s[0:3], 0 offen offset:12
	buffer_load_dword v143, v133, s[0:3], 0 offen
	buffer_load_dword v144, v133, s[0:3], 0 offen offset:4
	ds_read_b128 v[137:140], v8
	v_add_nc_u32_e32 v7, 1, v7
	v_add_nc_u32_e32 v8, 16, v8
	;; [unrolled: 1-line block ×3, first 2 shown]
	v_cmp_lt_u32_e64 s5, 1, v7
	s_or_b32 s9, s5, s9
	s_waitcnt vmcnt(2) lgkmcnt(0)
	v_mul_f64 v[145:146], v[139:140], v[141:142]
	v_mul_f64 v[141:142], v[137:138], v[141:142]
	s_waitcnt vmcnt(0)
	v_fma_f64 v[137:138], v[137:138], v[143:144], -v[145:146]
	v_fma_f64 v[139:140], v[139:140], v[143:144], v[141:142]
	v_add_f64 v[3:4], v[3:4], v[137:138]
	v_add_f64 v[1:2], v[1:2], v[139:140]
	s_andn2_b32 exec_lo, exec_lo, s9
	s_cbranch_execnz .LBB125_25
; %bb.26:
	s_or_b32 exec_lo, exec_lo, s9
	v_mov_b32_e32 v7, 0
	ds_read_b128 v[137:140], v7 offset:48
	s_waitcnt lgkmcnt(0)
	v_mul_f64 v[7:8], v[1:2], v[139:140]
	v_mul_f64 v[133:134], v[3:4], v[139:140]
	v_fma_f64 v[3:4], v[3:4], v[137:138], -v[7:8]
	v_fma_f64 v[1:2], v[1:2], v[137:138], v[133:134]
	buffer_store_dword v4, off, s[0:3], 0 offset:68
	buffer_store_dword v3, off, s[0:3], 0 offset:64
	;; [unrolled: 1-line block ×4, first 2 shown]
.LBB125_27:
	s_or_b32 exec_lo, exec_lo, s8
	v_mov_b32_e32 v4, s72
	s_waitcnt_vscnt null, 0x0
	s_barrier
	buffer_gl0_inv
	v_cmp_gt_u32_e64 s5, 4, v0
	s_clause 0x3
	buffer_load_dword v1, v4, s[0:3], 0 offen
	buffer_load_dword v2, v4, s[0:3], 0 offen offset:4
	buffer_load_dword v3, v4, s[0:3], 0 offen offset:8
	buffer_load_dword v4, v4, s[0:3], 0 offen offset:12
	s_waitcnt vmcnt(0)
	ds_write_b128 v5, v[1:4]
	s_waitcnt lgkmcnt(0)
	s_barrier
	buffer_gl0_inv
	s_and_saveexec_b32 s9, s5
	s_cbranch_execz .LBB125_31
; %bb.28:
	v_mov_b32_e32 v1, 0
	v_mov_b32_e32 v3, 0
	v_add_nc_u32_e32 v7, -1, v0
	v_add_nc_u32_e32 v8, 0x3e0, v135
	v_mov_b32_e32 v2, 0
	v_mov_b32_e32 v4, 0
	v_add_nc_u32_e32 v133, 16, v135
	s_mov_b32 s77, 0
	.p2align	6
.LBB125_29:                             ; =>This Inner Loop Header: Depth=1
	s_clause 0x3
	buffer_load_dword v141, v133, s[0:3], 0 offen offset:8
	buffer_load_dword v142, v133, s[0:3], 0 offen offset:12
	buffer_load_dword v143, v133, s[0:3], 0 offen
	buffer_load_dword v144, v133, s[0:3], 0 offen offset:4
	ds_read_b128 v[137:140], v8
	v_add_nc_u32_e32 v7, 1, v7
	v_add_nc_u32_e32 v8, 16, v8
	;; [unrolled: 1-line block ×3, first 2 shown]
	v_cmp_lt_u32_e64 s8, 2, v7
	s_or_b32 s77, s8, s77
	s_waitcnt vmcnt(2) lgkmcnt(0)
	v_mul_f64 v[145:146], v[139:140], v[141:142]
	v_mul_f64 v[141:142], v[137:138], v[141:142]
	s_waitcnt vmcnt(0)
	v_fma_f64 v[137:138], v[137:138], v[143:144], -v[145:146]
	v_fma_f64 v[139:140], v[139:140], v[143:144], v[141:142]
	v_add_f64 v[3:4], v[3:4], v[137:138]
	v_add_f64 v[1:2], v[1:2], v[139:140]
	s_andn2_b32 exec_lo, exec_lo, s77
	s_cbranch_execnz .LBB125_29
; %bb.30:
	s_or_b32 exec_lo, exec_lo, s77
	v_mov_b32_e32 v7, 0
	ds_read_b128 v[137:140], v7 offset:64
	s_waitcnt lgkmcnt(0)
	v_mul_f64 v[7:8], v[1:2], v[139:140]
	v_mul_f64 v[133:134], v[3:4], v[139:140]
	v_fma_f64 v[3:4], v[3:4], v[137:138], -v[7:8]
	v_fma_f64 v[1:2], v[1:2], v[137:138], v[133:134]
	buffer_store_dword v4, off, s[0:3], 0 offset:84
	buffer_store_dword v3, off, s[0:3], 0 offset:80
	;; [unrolled: 1-line block ×4, first 2 shown]
.LBB125_31:
	s_or_b32 exec_lo, exec_lo, s9
	v_mov_b32_e32 v4, s71
	s_waitcnt_vscnt null, 0x0
	s_barrier
	buffer_gl0_inv
	s_mov_b32 s9, exec_lo
	s_clause 0x3
	buffer_load_dword v1, v4, s[0:3], 0 offen
	buffer_load_dword v2, v4, s[0:3], 0 offen offset:4
	buffer_load_dword v3, v4, s[0:3], 0 offen offset:8
	;; [unrolled: 1-line block ×3, first 2 shown]
	s_waitcnt vmcnt(0)
	ds_write_b128 v5, v[1:4]
	s_waitcnt lgkmcnt(0)
	s_barrier
	buffer_gl0_inv
	v_cmpx_gt_u32_e32 5, v0
	s_cbranch_execz .LBB125_35
; %bb.32:
	v_mov_b32_e32 v1, 0
	v_mov_b32_e32 v3, 0
	v_add_nc_u32_e32 v7, -1, v0
	v_add_nc_u32_e32 v8, 0x3e0, v135
	v_mov_b32_e32 v2, 0
	v_mov_b32_e32 v4, 0
	v_add_nc_u32_e32 v133, 16, v135
	s_mov_b32 s77, 0
	.p2align	6
.LBB125_33:                             ; =>This Inner Loop Header: Depth=1
	s_clause 0x3
	buffer_load_dword v141, v133, s[0:3], 0 offen offset:8
	buffer_load_dword v142, v133, s[0:3], 0 offen offset:12
	buffer_load_dword v143, v133, s[0:3], 0 offen
	buffer_load_dword v144, v133, s[0:3], 0 offen offset:4
	ds_read_b128 v[137:140], v8
	v_add_nc_u32_e32 v7, 1, v7
	v_add_nc_u32_e32 v8, 16, v8
	;; [unrolled: 1-line block ×3, first 2 shown]
	v_cmp_lt_u32_e64 s8, 3, v7
	s_or_b32 s77, s8, s77
	s_waitcnt vmcnt(2) lgkmcnt(0)
	v_mul_f64 v[145:146], v[139:140], v[141:142]
	v_mul_f64 v[141:142], v[137:138], v[141:142]
	s_waitcnt vmcnt(0)
	v_fma_f64 v[137:138], v[137:138], v[143:144], -v[145:146]
	v_fma_f64 v[139:140], v[139:140], v[143:144], v[141:142]
	v_add_f64 v[3:4], v[3:4], v[137:138]
	v_add_f64 v[1:2], v[1:2], v[139:140]
	s_andn2_b32 exec_lo, exec_lo, s77
	s_cbranch_execnz .LBB125_33
; %bb.34:
	s_or_b32 exec_lo, exec_lo, s77
	v_mov_b32_e32 v7, 0
	ds_read_b128 v[137:140], v7 offset:80
	s_waitcnt lgkmcnt(0)
	v_mul_f64 v[7:8], v[1:2], v[139:140]
	v_mul_f64 v[133:134], v[3:4], v[139:140]
	v_fma_f64 v[3:4], v[3:4], v[137:138], -v[7:8]
	v_fma_f64 v[1:2], v[1:2], v[137:138], v[133:134]
	buffer_store_dword v4, off, s[0:3], 0 offset:100
	buffer_store_dword v3, off, s[0:3], 0 offset:96
	;; [unrolled: 1-line block ×4, first 2 shown]
.LBB125_35:
	s_or_b32 exec_lo, exec_lo, s9
	v_mov_b32_e32 v4, s70
	s_waitcnt_vscnt null, 0x0
	s_barrier
	buffer_gl0_inv
	v_cmp_gt_u32_e64 s8, 6, v0
	s_clause 0x3
	buffer_load_dword v1, v4, s[0:3], 0 offen
	buffer_load_dword v2, v4, s[0:3], 0 offen offset:4
	buffer_load_dword v3, v4, s[0:3], 0 offen offset:8
	;; [unrolled: 1-line block ×3, first 2 shown]
	s_waitcnt vmcnt(0)
	ds_write_b128 v5, v[1:4]
	s_waitcnt lgkmcnt(0)
	s_barrier
	buffer_gl0_inv
	s_and_saveexec_b32 s77, s8
	s_cbranch_execz .LBB125_39
; %bb.36:
	v_mov_b32_e32 v1, 0
	v_mov_b32_e32 v3, 0
	v_add_nc_u32_e32 v7, -1, v0
	v_add_nc_u32_e32 v8, 0x3e0, v135
	v_mov_b32_e32 v2, 0
	v_mov_b32_e32 v4, 0
	v_add_nc_u32_e32 v133, 16, v135
	s_mov_b32 s78, 0
	.p2align	6
.LBB125_37:                             ; =>This Inner Loop Header: Depth=1
	s_clause 0x3
	buffer_load_dword v141, v133, s[0:3], 0 offen offset:8
	buffer_load_dword v142, v133, s[0:3], 0 offen offset:12
	buffer_load_dword v143, v133, s[0:3], 0 offen
	buffer_load_dword v144, v133, s[0:3], 0 offen offset:4
	ds_read_b128 v[137:140], v8
	v_add_nc_u32_e32 v7, 1, v7
	v_add_nc_u32_e32 v8, 16, v8
	;; [unrolled: 1-line block ×3, first 2 shown]
	v_cmp_lt_u32_e64 s9, 4, v7
	s_or_b32 s78, s9, s78
	s_waitcnt vmcnt(2) lgkmcnt(0)
	v_mul_f64 v[145:146], v[139:140], v[141:142]
	v_mul_f64 v[141:142], v[137:138], v[141:142]
	s_waitcnt vmcnt(0)
	v_fma_f64 v[137:138], v[137:138], v[143:144], -v[145:146]
	v_fma_f64 v[139:140], v[139:140], v[143:144], v[141:142]
	v_add_f64 v[3:4], v[3:4], v[137:138]
	v_add_f64 v[1:2], v[1:2], v[139:140]
	s_andn2_b32 exec_lo, exec_lo, s78
	s_cbranch_execnz .LBB125_37
; %bb.38:
	s_or_b32 exec_lo, exec_lo, s78
	v_mov_b32_e32 v7, 0
	ds_read_b128 v[137:140], v7 offset:96
	s_waitcnt lgkmcnt(0)
	v_mul_f64 v[7:8], v[1:2], v[139:140]
	v_mul_f64 v[133:134], v[3:4], v[139:140]
	v_fma_f64 v[3:4], v[3:4], v[137:138], -v[7:8]
	v_fma_f64 v[1:2], v[1:2], v[137:138], v[133:134]
	buffer_store_dword v4, off, s[0:3], 0 offset:116
	buffer_store_dword v3, off, s[0:3], 0 offset:112
	;; [unrolled: 1-line block ×4, first 2 shown]
.LBB125_39:
	s_or_b32 exec_lo, exec_lo, s77
	v_mov_b32_e32 v4, s69
	s_waitcnt_vscnt null, 0x0
	s_barrier
	buffer_gl0_inv
	s_mov_b32 s77, exec_lo
	s_clause 0x3
	buffer_load_dword v1, v4, s[0:3], 0 offen
	buffer_load_dword v2, v4, s[0:3], 0 offen offset:4
	buffer_load_dword v3, v4, s[0:3], 0 offen offset:8
	;; [unrolled: 1-line block ×3, first 2 shown]
	s_waitcnt vmcnt(0)
	ds_write_b128 v5, v[1:4]
	s_waitcnt lgkmcnt(0)
	s_barrier
	buffer_gl0_inv
	v_cmpx_gt_u32_e32 7, v0
	s_cbranch_execz .LBB125_43
; %bb.40:
	v_mov_b32_e32 v1, 0
	v_mov_b32_e32 v3, 0
	v_add_nc_u32_e32 v7, -1, v0
	v_add_nc_u32_e32 v8, 0x3e0, v135
	v_mov_b32_e32 v2, 0
	v_mov_b32_e32 v4, 0
	v_add_nc_u32_e32 v133, 16, v135
	s_mov_b32 s78, 0
	.p2align	6
.LBB125_41:                             ; =>This Inner Loop Header: Depth=1
	s_clause 0x3
	buffer_load_dword v141, v133, s[0:3], 0 offen offset:8
	buffer_load_dword v142, v133, s[0:3], 0 offen offset:12
	buffer_load_dword v143, v133, s[0:3], 0 offen
	buffer_load_dword v144, v133, s[0:3], 0 offen offset:4
	ds_read_b128 v[137:140], v8
	v_add_nc_u32_e32 v7, 1, v7
	v_add_nc_u32_e32 v8, 16, v8
	;; [unrolled: 1-line block ×3, first 2 shown]
	v_cmp_lt_u32_e64 s9, 5, v7
	s_or_b32 s78, s9, s78
	s_waitcnt vmcnt(2) lgkmcnt(0)
	v_mul_f64 v[145:146], v[139:140], v[141:142]
	v_mul_f64 v[141:142], v[137:138], v[141:142]
	s_waitcnt vmcnt(0)
	v_fma_f64 v[137:138], v[137:138], v[143:144], -v[145:146]
	v_fma_f64 v[139:140], v[139:140], v[143:144], v[141:142]
	v_add_f64 v[3:4], v[3:4], v[137:138]
	v_add_f64 v[1:2], v[1:2], v[139:140]
	s_andn2_b32 exec_lo, exec_lo, s78
	s_cbranch_execnz .LBB125_41
; %bb.42:
	s_or_b32 exec_lo, exec_lo, s78
	v_mov_b32_e32 v7, 0
	ds_read_b128 v[137:140], v7 offset:112
	s_waitcnt lgkmcnt(0)
	v_mul_f64 v[7:8], v[1:2], v[139:140]
	v_mul_f64 v[133:134], v[3:4], v[139:140]
	v_fma_f64 v[3:4], v[3:4], v[137:138], -v[7:8]
	v_fma_f64 v[1:2], v[1:2], v[137:138], v[133:134]
	buffer_store_dword v4, off, s[0:3], 0 offset:132
	buffer_store_dword v3, off, s[0:3], 0 offset:128
	;; [unrolled: 1-line block ×4, first 2 shown]
.LBB125_43:
	s_or_b32 exec_lo, exec_lo, s77
	v_mov_b32_e32 v4, s68
	s_waitcnt_vscnt null, 0x0
	s_barrier
	buffer_gl0_inv
	s_mov_b32 s77, exec_lo
	s_clause 0x3
	buffer_load_dword v1, v4, s[0:3], 0 offen
	buffer_load_dword v2, v4, s[0:3], 0 offen offset:4
	buffer_load_dword v3, v4, s[0:3], 0 offen offset:8
	buffer_load_dword v4, v4, s[0:3], 0 offen offset:12
	s_waitcnt vmcnt(0)
	ds_write_b128 v5, v[1:4]
	s_waitcnt lgkmcnt(0)
	s_barrier
	buffer_gl0_inv
	v_cmpx_gt_u32_e32 8, v0
	s_cbranch_execz .LBB125_59
; %bb.44:
	s_clause 0x3
	buffer_load_dword v7, v136, s[0:3], 0 offen offset:8
	buffer_load_dword v8, v136, s[0:3], 0 offen offset:12
	buffer_load_dword v133, v136, s[0:3], 0 offen
	buffer_load_dword v134, v136, s[0:3], 0 offen offset:4
	ds_read_b128 v[1:4], v5
	s_mov_b32 s78, exec_lo
	s_waitcnt vmcnt(2) lgkmcnt(0)
	v_mul_f64 v[137:138], v[3:4], v[7:8]
	v_mul_f64 v[7:8], v[1:2], v[7:8]
	s_waitcnt vmcnt(0)
	v_fma_f64 v[1:2], v[1:2], v[133:134], -v[137:138]
	v_fma_f64 v[7:8], v[3:4], v[133:134], v[7:8]
	v_add_f64 v[3:4], v[1:2], 0
	v_add_f64 v[1:2], v[7:8], 0
	v_cmpx_ne_u32_e32 7, v0
	s_cbranch_execz .LBB125_58
; %bb.45:
	s_clause 0x3
	buffer_load_dword v7, v136, s[0:3], 0 offen offset:24
	buffer_load_dword v8, v136, s[0:3], 0 offen offset:28
	;; [unrolled: 1-line block ×4, first 2 shown]
	ds_read_b128 v[137:140], v5 offset:16
	s_waitcnt vmcnt(2) lgkmcnt(0)
	v_mul_f64 v[141:142], v[139:140], v[7:8]
	v_mul_f64 v[7:8], v[137:138], v[7:8]
	s_waitcnt vmcnt(0)
	v_fma_f64 v[137:138], v[137:138], v[133:134], -v[141:142]
	v_fma_f64 v[7:8], v[139:140], v[133:134], v[7:8]
	v_add_f64 v[3:4], v[3:4], v[137:138]
	v_add_f64 v[1:2], v[1:2], v[7:8]
	s_and_saveexec_b32 s9, s8
	s_cbranch_execz .LBB125_57
; %bb.46:
	s_clause 0x3
	buffer_load_dword v7, v136, s[0:3], 0 offen offset:40
	buffer_load_dword v8, v136, s[0:3], 0 offen offset:44
	;; [unrolled: 1-line block ×4, first 2 shown]
	ds_read_b128 v[137:140], v5 offset:32
	s_mov_b32 s79, exec_lo
	s_waitcnt vmcnt(2) lgkmcnt(0)
	v_mul_f64 v[141:142], v[139:140], v[7:8]
	v_mul_f64 v[7:8], v[137:138], v[7:8]
	s_waitcnt vmcnt(0)
	v_fma_f64 v[137:138], v[137:138], v[133:134], -v[141:142]
	v_fma_f64 v[7:8], v[139:140], v[133:134], v[7:8]
	v_add_f64 v[3:4], v[3:4], v[137:138]
	v_add_f64 v[1:2], v[1:2], v[7:8]
	v_cmpx_ne_u32_e32 5, v0
	s_cbranch_execz .LBB125_56
; %bb.47:
	s_clause 0x3
	buffer_load_dword v7, v136, s[0:3], 0 offen offset:56
	buffer_load_dword v8, v136, s[0:3], 0 offen offset:60
	;; [unrolled: 1-line block ×4, first 2 shown]
	ds_read_b128 v[137:140], v5 offset:48
	s_waitcnt vmcnt(2) lgkmcnt(0)
	v_mul_f64 v[141:142], v[139:140], v[7:8]
	v_mul_f64 v[7:8], v[137:138], v[7:8]
	s_waitcnt vmcnt(0)
	v_fma_f64 v[137:138], v[137:138], v[133:134], -v[141:142]
	v_fma_f64 v[7:8], v[139:140], v[133:134], v[7:8]
	v_add_f64 v[3:4], v[3:4], v[137:138]
	v_add_f64 v[1:2], v[1:2], v[7:8]
	s_and_saveexec_b32 s8, s5
	s_cbranch_execz .LBB125_55
; %bb.48:
	s_clause 0x3
	buffer_load_dword v7, v136, s[0:3], 0 offen offset:72
	buffer_load_dword v8, v136, s[0:3], 0 offen offset:76
	;; [unrolled: 1-line block ×4, first 2 shown]
	ds_read_b128 v[137:140], v5 offset:64
	s_mov_b32 s80, exec_lo
	s_waitcnt vmcnt(2) lgkmcnt(0)
	v_mul_f64 v[141:142], v[139:140], v[7:8]
	v_mul_f64 v[7:8], v[137:138], v[7:8]
	s_waitcnt vmcnt(0)
	v_fma_f64 v[137:138], v[137:138], v[133:134], -v[141:142]
	v_fma_f64 v[7:8], v[139:140], v[133:134], v[7:8]
	v_add_f64 v[3:4], v[3:4], v[137:138]
	v_add_f64 v[1:2], v[1:2], v[7:8]
	v_cmpx_ne_u32_e32 3, v0
	s_cbranch_execz .LBB125_54
; %bb.49:
	s_clause 0x3
	buffer_load_dword v7, v136, s[0:3], 0 offen offset:88
	buffer_load_dword v8, v136, s[0:3], 0 offen offset:92
	;; [unrolled: 1-line block ×4, first 2 shown]
	ds_read_b128 v[137:140], v5 offset:80
	s_waitcnt vmcnt(2) lgkmcnt(0)
	v_mul_f64 v[141:142], v[139:140], v[7:8]
	v_mul_f64 v[7:8], v[137:138], v[7:8]
	s_waitcnt vmcnt(0)
	v_fma_f64 v[137:138], v[137:138], v[133:134], -v[141:142]
	v_fma_f64 v[7:8], v[139:140], v[133:134], v[7:8]
	v_add_f64 v[3:4], v[3:4], v[137:138]
	v_add_f64 v[1:2], v[1:2], v[7:8]
	s_and_saveexec_b32 s5, vcc_lo
	s_cbranch_execz .LBB125_53
; %bb.50:
	s_clause 0x3
	buffer_load_dword v7, v136, s[0:3], 0 offen offset:104
	buffer_load_dword v8, v136, s[0:3], 0 offen offset:108
	;; [unrolled: 1-line block ×4, first 2 shown]
	ds_read_b128 v[137:140], v5 offset:96
	s_waitcnt vmcnt(2) lgkmcnt(0)
	v_mul_f64 v[141:142], v[139:140], v[7:8]
	v_mul_f64 v[7:8], v[137:138], v[7:8]
	s_waitcnt vmcnt(0)
	v_fma_f64 v[137:138], v[137:138], v[133:134], -v[141:142]
	v_fma_f64 v[7:8], v[139:140], v[133:134], v[7:8]
	v_add_f64 v[3:4], v[3:4], v[137:138]
	v_add_f64 v[1:2], v[1:2], v[7:8]
	s_and_saveexec_b32 s81, s4
	s_cbranch_execz .LBB125_52
; %bb.51:
	s_clause 0x3
	buffer_load_dword v7, v136, s[0:3], 0 offen offset:120
	buffer_load_dword v8, v136, s[0:3], 0 offen offset:124
	;; [unrolled: 1-line block ×4, first 2 shown]
	ds_read_b128 v[136:139], v5 offset:112
	s_waitcnt vmcnt(2) lgkmcnt(0)
	v_mul_f64 v[140:141], v[138:139], v[7:8]
	v_mul_f64 v[7:8], v[136:137], v[7:8]
	s_waitcnt vmcnt(0)
	v_fma_f64 v[136:137], v[136:137], v[133:134], -v[140:141]
	v_fma_f64 v[7:8], v[138:139], v[133:134], v[7:8]
	v_add_f64 v[3:4], v[3:4], v[136:137]
	v_add_f64 v[1:2], v[1:2], v[7:8]
.LBB125_52:
	s_or_b32 exec_lo, exec_lo, s81
.LBB125_53:
	s_or_b32 exec_lo, exec_lo, s5
.LBB125_54:
	s_or_b32 exec_lo, exec_lo, s80
.LBB125_55:
	s_or_b32 exec_lo, exec_lo, s8
.LBB125_56:
	s_or_b32 exec_lo, exec_lo, s79
.LBB125_57:
	s_or_b32 exec_lo, exec_lo, s9
.LBB125_58:
	s_or_b32 exec_lo, exec_lo, s78
	v_mov_b32_e32 v7, 0
	ds_read_b128 v[136:139], v7 offset:128
	s_waitcnt lgkmcnt(0)
	v_mul_f64 v[7:8], v[1:2], v[138:139]
	v_mul_f64 v[133:134], v[3:4], v[138:139]
	v_fma_f64 v[3:4], v[3:4], v[136:137], -v[7:8]
	v_fma_f64 v[1:2], v[1:2], v[136:137], v[133:134]
	buffer_store_dword v4, off, s[0:3], 0 offset:148
	buffer_store_dword v3, off, s[0:3], 0 offset:144
	;; [unrolled: 1-line block ×4, first 2 shown]
.LBB125_59:
	s_or_b32 exec_lo, exec_lo, s77
	v_mov_b32_e32 v4, s67
	s_waitcnt_vscnt null, 0x0
	s_barrier
	buffer_gl0_inv
	s_mov_b32 s4, exec_lo
	s_clause 0x3
	buffer_load_dword v1, v4, s[0:3], 0 offen
	buffer_load_dword v2, v4, s[0:3], 0 offen offset:4
	buffer_load_dword v3, v4, s[0:3], 0 offen offset:8
	;; [unrolled: 1-line block ×3, first 2 shown]
	s_waitcnt vmcnt(0)
	ds_write_b128 v5, v[1:4]
	s_waitcnt lgkmcnt(0)
	s_barrier
	buffer_gl0_inv
	v_cmpx_gt_u32_e32 9, v0
	s_cbranch_execz .LBB125_63
; %bb.60:
	v_mov_b32_e32 v1, 0
	v_mov_b32_e32 v3, 0
	v_add_nc_u32_e32 v7, -1, v0
	v_add_nc_u32_e32 v8, 0x3e0, v135
	v_mov_b32_e32 v2, 0
	v_mov_b32_e32 v4, 0
	v_add_nc_u32_e32 v133, 16, v135
	s_mov_b32 s5, 0
	.p2align	6
.LBB125_61:                             ; =>This Inner Loop Header: Depth=1
	s_clause 0x3
	buffer_load_dword v140, v133, s[0:3], 0 offen offset:8
	buffer_load_dword v141, v133, s[0:3], 0 offen offset:12
	buffer_load_dword v142, v133, s[0:3], 0 offen
	buffer_load_dword v143, v133, s[0:3], 0 offen offset:4
	ds_read_b128 v[136:139], v8
	v_add_nc_u32_e32 v7, 1, v7
	v_add_nc_u32_e32 v8, 16, v8
	;; [unrolled: 1-line block ×3, first 2 shown]
	v_cmp_lt_u32_e32 vcc_lo, 7, v7
	s_or_b32 s5, vcc_lo, s5
	s_waitcnt vmcnt(2) lgkmcnt(0)
	v_mul_f64 v[144:145], v[138:139], v[140:141]
	v_mul_f64 v[140:141], v[136:137], v[140:141]
	s_waitcnt vmcnt(0)
	v_fma_f64 v[136:137], v[136:137], v[142:143], -v[144:145]
	v_fma_f64 v[138:139], v[138:139], v[142:143], v[140:141]
	v_add_f64 v[3:4], v[3:4], v[136:137]
	v_add_f64 v[1:2], v[1:2], v[138:139]
	s_andn2_b32 exec_lo, exec_lo, s5
	s_cbranch_execnz .LBB125_61
; %bb.62:
	s_or_b32 exec_lo, exec_lo, s5
	v_mov_b32_e32 v7, 0
	ds_read_b128 v[136:139], v7 offset:144
	s_waitcnt lgkmcnt(0)
	v_mul_f64 v[7:8], v[1:2], v[138:139]
	v_mul_f64 v[133:134], v[3:4], v[138:139]
	v_fma_f64 v[3:4], v[3:4], v[136:137], -v[7:8]
	v_fma_f64 v[1:2], v[1:2], v[136:137], v[133:134]
	buffer_store_dword v4, off, s[0:3], 0 offset:164
	buffer_store_dword v3, off, s[0:3], 0 offset:160
	buffer_store_dword v2, off, s[0:3], 0 offset:172
	buffer_store_dword v1, off, s[0:3], 0 offset:168
.LBB125_63:
	s_or_b32 exec_lo, exec_lo, s4
	v_mov_b32_e32 v4, s66
	s_waitcnt_vscnt null, 0x0
	s_barrier
	buffer_gl0_inv
	s_mov_b32 s4, exec_lo
	s_clause 0x3
	buffer_load_dword v1, v4, s[0:3], 0 offen
	buffer_load_dword v2, v4, s[0:3], 0 offen offset:4
	buffer_load_dword v3, v4, s[0:3], 0 offen offset:8
	;; [unrolled: 1-line block ×3, first 2 shown]
	s_waitcnt vmcnt(0)
	ds_write_b128 v5, v[1:4]
	s_waitcnt lgkmcnt(0)
	s_barrier
	buffer_gl0_inv
	v_cmpx_gt_u32_e32 10, v0
	s_cbranch_execz .LBB125_67
; %bb.64:
	v_mov_b32_e32 v1, 0
	v_mov_b32_e32 v3, 0
	v_add_nc_u32_e32 v7, -1, v0
	v_add_nc_u32_e32 v8, 0x3e0, v135
	v_mov_b32_e32 v2, 0
	v_mov_b32_e32 v4, 0
	v_add_nc_u32_e32 v133, 16, v135
	s_mov_b32 s5, 0
	.p2align	6
.LBB125_65:                             ; =>This Inner Loop Header: Depth=1
	s_clause 0x3
	buffer_load_dword v140, v133, s[0:3], 0 offen offset:8
	buffer_load_dword v141, v133, s[0:3], 0 offen offset:12
	buffer_load_dword v142, v133, s[0:3], 0 offen
	buffer_load_dword v143, v133, s[0:3], 0 offen offset:4
	ds_read_b128 v[136:139], v8
	v_add_nc_u32_e32 v7, 1, v7
	v_add_nc_u32_e32 v8, 16, v8
	;; [unrolled: 1-line block ×3, first 2 shown]
	v_cmp_lt_u32_e32 vcc_lo, 8, v7
	s_or_b32 s5, vcc_lo, s5
	s_waitcnt vmcnt(2) lgkmcnt(0)
	v_mul_f64 v[144:145], v[138:139], v[140:141]
	v_mul_f64 v[140:141], v[136:137], v[140:141]
	s_waitcnt vmcnt(0)
	v_fma_f64 v[136:137], v[136:137], v[142:143], -v[144:145]
	v_fma_f64 v[138:139], v[138:139], v[142:143], v[140:141]
	v_add_f64 v[3:4], v[3:4], v[136:137]
	v_add_f64 v[1:2], v[1:2], v[138:139]
	s_andn2_b32 exec_lo, exec_lo, s5
	s_cbranch_execnz .LBB125_65
; %bb.66:
	s_or_b32 exec_lo, exec_lo, s5
	v_mov_b32_e32 v7, 0
	ds_read_b128 v[136:139], v7 offset:160
	s_waitcnt lgkmcnt(0)
	v_mul_f64 v[7:8], v[1:2], v[138:139]
	v_mul_f64 v[133:134], v[3:4], v[138:139]
	v_fma_f64 v[3:4], v[3:4], v[136:137], -v[7:8]
	v_fma_f64 v[1:2], v[1:2], v[136:137], v[133:134]
	buffer_store_dword v4, off, s[0:3], 0 offset:180
	buffer_store_dword v3, off, s[0:3], 0 offset:176
	;; [unrolled: 1-line block ×4, first 2 shown]
.LBB125_67:
	s_or_b32 exec_lo, exec_lo, s4
	v_mov_b32_e32 v4, s65
	s_waitcnt_vscnt null, 0x0
	s_barrier
	buffer_gl0_inv
	s_mov_b32 s4, exec_lo
	s_clause 0x3
	buffer_load_dword v1, v4, s[0:3], 0 offen
	buffer_load_dword v2, v4, s[0:3], 0 offen offset:4
	buffer_load_dword v3, v4, s[0:3], 0 offen offset:8
	;; [unrolled: 1-line block ×3, first 2 shown]
	s_waitcnt vmcnt(0)
	ds_write_b128 v5, v[1:4]
	s_waitcnt lgkmcnt(0)
	s_barrier
	buffer_gl0_inv
	v_cmpx_gt_u32_e32 11, v0
	s_cbranch_execz .LBB125_71
; %bb.68:
	v_mov_b32_e32 v1, 0
	v_mov_b32_e32 v3, 0
	v_add_nc_u32_e32 v7, -1, v0
	v_add_nc_u32_e32 v8, 0x3e0, v135
	v_mov_b32_e32 v2, 0
	v_mov_b32_e32 v4, 0
	v_add_nc_u32_e32 v133, 16, v135
	s_mov_b32 s5, 0
	.p2align	6
.LBB125_69:                             ; =>This Inner Loop Header: Depth=1
	s_clause 0x3
	buffer_load_dword v140, v133, s[0:3], 0 offen offset:8
	buffer_load_dword v141, v133, s[0:3], 0 offen offset:12
	buffer_load_dword v142, v133, s[0:3], 0 offen
	buffer_load_dword v143, v133, s[0:3], 0 offen offset:4
	ds_read_b128 v[136:139], v8
	v_add_nc_u32_e32 v7, 1, v7
	v_add_nc_u32_e32 v8, 16, v8
	;; [unrolled: 1-line block ×3, first 2 shown]
	v_cmp_lt_u32_e32 vcc_lo, 9, v7
	s_or_b32 s5, vcc_lo, s5
	s_waitcnt vmcnt(2) lgkmcnt(0)
	v_mul_f64 v[144:145], v[138:139], v[140:141]
	v_mul_f64 v[140:141], v[136:137], v[140:141]
	s_waitcnt vmcnt(0)
	v_fma_f64 v[136:137], v[136:137], v[142:143], -v[144:145]
	v_fma_f64 v[138:139], v[138:139], v[142:143], v[140:141]
	v_add_f64 v[3:4], v[3:4], v[136:137]
	v_add_f64 v[1:2], v[1:2], v[138:139]
	s_andn2_b32 exec_lo, exec_lo, s5
	s_cbranch_execnz .LBB125_69
; %bb.70:
	s_or_b32 exec_lo, exec_lo, s5
	v_mov_b32_e32 v7, 0
	ds_read_b128 v[136:139], v7 offset:176
	s_waitcnt lgkmcnt(0)
	v_mul_f64 v[7:8], v[1:2], v[138:139]
	v_mul_f64 v[133:134], v[3:4], v[138:139]
	v_fma_f64 v[3:4], v[3:4], v[136:137], -v[7:8]
	v_fma_f64 v[1:2], v[1:2], v[136:137], v[133:134]
	buffer_store_dword v4, off, s[0:3], 0 offset:196
	buffer_store_dword v3, off, s[0:3], 0 offset:192
	;; [unrolled: 1-line block ×4, first 2 shown]
.LBB125_71:
	s_or_b32 exec_lo, exec_lo, s4
	v_mov_b32_e32 v4, s64
	s_waitcnt_vscnt null, 0x0
	s_barrier
	buffer_gl0_inv
	s_mov_b32 s4, exec_lo
	s_clause 0x3
	buffer_load_dword v1, v4, s[0:3], 0 offen
	buffer_load_dword v2, v4, s[0:3], 0 offen offset:4
	buffer_load_dword v3, v4, s[0:3], 0 offen offset:8
	;; [unrolled: 1-line block ×3, first 2 shown]
	s_waitcnt vmcnt(0)
	ds_write_b128 v5, v[1:4]
	s_waitcnt lgkmcnt(0)
	s_barrier
	buffer_gl0_inv
	v_cmpx_gt_u32_e32 12, v0
	s_cbranch_execz .LBB125_75
; %bb.72:
	v_mov_b32_e32 v1, 0
	v_mov_b32_e32 v3, 0
	v_add_nc_u32_e32 v7, -1, v0
	v_add_nc_u32_e32 v8, 0x3e0, v135
	v_mov_b32_e32 v2, 0
	v_mov_b32_e32 v4, 0
	v_add_nc_u32_e32 v133, 16, v135
	s_mov_b32 s5, 0
	.p2align	6
.LBB125_73:                             ; =>This Inner Loop Header: Depth=1
	s_clause 0x3
	buffer_load_dword v140, v133, s[0:3], 0 offen offset:8
	buffer_load_dword v141, v133, s[0:3], 0 offen offset:12
	buffer_load_dword v142, v133, s[0:3], 0 offen
	buffer_load_dword v143, v133, s[0:3], 0 offen offset:4
	ds_read_b128 v[136:139], v8
	v_add_nc_u32_e32 v7, 1, v7
	v_add_nc_u32_e32 v8, 16, v8
	;; [unrolled: 1-line block ×3, first 2 shown]
	v_cmp_lt_u32_e32 vcc_lo, 10, v7
	s_or_b32 s5, vcc_lo, s5
	s_waitcnt vmcnt(2) lgkmcnt(0)
	v_mul_f64 v[144:145], v[138:139], v[140:141]
	v_mul_f64 v[140:141], v[136:137], v[140:141]
	s_waitcnt vmcnt(0)
	v_fma_f64 v[136:137], v[136:137], v[142:143], -v[144:145]
	v_fma_f64 v[138:139], v[138:139], v[142:143], v[140:141]
	v_add_f64 v[3:4], v[3:4], v[136:137]
	v_add_f64 v[1:2], v[1:2], v[138:139]
	s_andn2_b32 exec_lo, exec_lo, s5
	s_cbranch_execnz .LBB125_73
; %bb.74:
	s_or_b32 exec_lo, exec_lo, s5
	v_mov_b32_e32 v7, 0
	ds_read_b128 v[136:139], v7 offset:192
	s_waitcnt lgkmcnt(0)
	v_mul_f64 v[7:8], v[1:2], v[138:139]
	v_mul_f64 v[133:134], v[3:4], v[138:139]
	v_fma_f64 v[3:4], v[3:4], v[136:137], -v[7:8]
	v_fma_f64 v[1:2], v[1:2], v[136:137], v[133:134]
	buffer_store_dword v4, off, s[0:3], 0 offset:212
	buffer_store_dword v3, off, s[0:3], 0 offset:208
	;; [unrolled: 1-line block ×4, first 2 shown]
.LBB125_75:
	s_or_b32 exec_lo, exec_lo, s4
	v_mov_b32_e32 v4, s63
	s_waitcnt_vscnt null, 0x0
	s_barrier
	buffer_gl0_inv
	s_mov_b32 s4, exec_lo
	s_clause 0x3
	buffer_load_dword v1, v4, s[0:3], 0 offen
	buffer_load_dword v2, v4, s[0:3], 0 offen offset:4
	buffer_load_dword v3, v4, s[0:3], 0 offen offset:8
	;; [unrolled: 1-line block ×3, first 2 shown]
	s_waitcnt vmcnt(0)
	ds_write_b128 v5, v[1:4]
	s_waitcnt lgkmcnt(0)
	s_barrier
	buffer_gl0_inv
	v_cmpx_gt_u32_e32 13, v0
	s_cbranch_execz .LBB125_79
; %bb.76:
	v_mov_b32_e32 v1, 0
	v_mov_b32_e32 v3, 0
	v_add_nc_u32_e32 v7, -1, v0
	v_add_nc_u32_e32 v8, 0x3e0, v135
	v_mov_b32_e32 v2, 0
	v_mov_b32_e32 v4, 0
	v_add_nc_u32_e32 v133, 16, v135
	s_mov_b32 s5, 0
	.p2align	6
.LBB125_77:                             ; =>This Inner Loop Header: Depth=1
	s_clause 0x3
	buffer_load_dword v140, v133, s[0:3], 0 offen offset:8
	buffer_load_dword v141, v133, s[0:3], 0 offen offset:12
	buffer_load_dword v142, v133, s[0:3], 0 offen
	buffer_load_dword v143, v133, s[0:3], 0 offen offset:4
	ds_read_b128 v[136:139], v8
	v_add_nc_u32_e32 v7, 1, v7
	v_add_nc_u32_e32 v8, 16, v8
	v_add_nc_u32_e32 v133, 16, v133
	v_cmp_lt_u32_e32 vcc_lo, 11, v7
	s_or_b32 s5, vcc_lo, s5
	s_waitcnt vmcnt(2) lgkmcnt(0)
	v_mul_f64 v[144:145], v[138:139], v[140:141]
	v_mul_f64 v[140:141], v[136:137], v[140:141]
	s_waitcnt vmcnt(0)
	v_fma_f64 v[136:137], v[136:137], v[142:143], -v[144:145]
	v_fma_f64 v[138:139], v[138:139], v[142:143], v[140:141]
	v_add_f64 v[3:4], v[3:4], v[136:137]
	v_add_f64 v[1:2], v[1:2], v[138:139]
	s_andn2_b32 exec_lo, exec_lo, s5
	s_cbranch_execnz .LBB125_77
; %bb.78:
	s_or_b32 exec_lo, exec_lo, s5
	v_mov_b32_e32 v7, 0
	ds_read_b128 v[136:139], v7 offset:208
	s_waitcnt lgkmcnt(0)
	v_mul_f64 v[7:8], v[1:2], v[138:139]
	v_mul_f64 v[133:134], v[3:4], v[138:139]
	v_fma_f64 v[3:4], v[3:4], v[136:137], -v[7:8]
	v_fma_f64 v[1:2], v[1:2], v[136:137], v[133:134]
	buffer_store_dword v4, off, s[0:3], 0 offset:228
	buffer_store_dword v3, off, s[0:3], 0 offset:224
	;; [unrolled: 1-line block ×4, first 2 shown]
.LBB125_79:
	s_or_b32 exec_lo, exec_lo, s4
	v_mov_b32_e32 v4, s62
	s_waitcnt_vscnt null, 0x0
	s_barrier
	buffer_gl0_inv
	s_mov_b32 s4, exec_lo
	s_clause 0x3
	buffer_load_dword v1, v4, s[0:3], 0 offen
	buffer_load_dword v2, v4, s[0:3], 0 offen offset:4
	buffer_load_dword v3, v4, s[0:3], 0 offen offset:8
	;; [unrolled: 1-line block ×3, first 2 shown]
	s_waitcnt vmcnt(0)
	ds_write_b128 v5, v[1:4]
	s_waitcnt lgkmcnt(0)
	s_barrier
	buffer_gl0_inv
	v_cmpx_gt_u32_e32 14, v0
	s_cbranch_execz .LBB125_83
; %bb.80:
	v_mov_b32_e32 v1, 0
	v_mov_b32_e32 v3, 0
	v_add_nc_u32_e32 v7, -1, v0
	v_add_nc_u32_e32 v8, 0x3e0, v135
	v_mov_b32_e32 v2, 0
	v_mov_b32_e32 v4, 0
	v_add_nc_u32_e32 v133, 16, v135
	s_mov_b32 s5, 0
	.p2align	6
.LBB125_81:                             ; =>This Inner Loop Header: Depth=1
	s_clause 0x3
	buffer_load_dword v140, v133, s[0:3], 0 offen offset:8
	buffer_load_dword v141, v133, s[0:3], 0 offen offset:12
	buffer_load_dword v142, v133, s[0:3], 0 offen
	buffer_load_dword v143, v133, s[0:3], 0 offen offset:4
	ds_read_b128 v[136:139], v8
	v_add_nc_u32_e32 v7, 1, v7
	v_add_nc_u32_e32 v8, 16, v8
	;; [unrolled: 1-line block ×3, first 2 shown]
	v_cmp_lt_u32_e32 vcc_lo, 12, v7
	s_or_b32 s5, vcc_lo, s5
	s_waitcnt vmcnt(2) lgkmcnt(0)
	v_mul_f64 v[144:145], v[138:139], v[140:141]
	v_mul_f64 v[140:141], v[136:137], v[140:141]
	s_waitcnt vmcnt(0)
	v_fma_f64 v[136:137], v[136:137], v[142:143], -v[144:145]
	v_fma_f64 v[138:139], v[138:139], v[142:143], v[140:141]
	v_add_f64 v[3:4], v[3:4], v[136:137]
	v_add_f64 v[1:2], v[1:2], v[138:139]
	s_andn2_b32 exec_lo, exec_lo, s5
	s_cbranch_execnz .LBB125_81
; %bb.82:
	s_or_b32 exec_lo, exec_lo, s5
	v_mov_b32_e32 v7, 0
	ds_read_b128 v[136:139], v7 offset:224
	s_waitcnt lgkmcnt(0)
	v_mul_f64 v[7:8], v[1:2], v[138:139]
	v_mul_f64 v[133:134], v[3:4], v[138:139]
	v_fma_f64 v[3:4], v[3:4], v[136:137], -v[7:8]
	v_fma_f64 v[1:2], v[1:2], v[136:137], v[133:134]
	buffer_store_dword v4, off, s[0:3], 0 offset:244
	buffer_store_dword v3, off, s[0:3], 0 offset:240
	;; [unrolled: 1-line block ×4, first 2 shown]
.LBB125_83:
	s_or_b32 exec_lo, exec_lo, s4
	v_mov_b32_e32 v4, s61
	s_waitcnt_vscnt null, 0x0
	s_barrier
	buffer_gl0_inv
	s_mov_b32 s4, exec_lo
	s_clause 0x3
	buffer_load_dword v1, v4, s[0:3], 0 offen
	buffer_load_dword v2, v4, s[0:3], 0 offen offset:4
	buffer_load_dword v3, v4, s[0:3], 0 offen offset:8
	;; [unrolled: 1-line block ×3, first 2 shown]
	s_waitcnt vmcnt(0)
	ds_write_b128 v5, v[1:4]
	s_waitcnt lgkmcnt(0)
	s_barrier
	buffer_gl0_inv
	v_cmpx_gt_u32_e32 15, v0
	s_cbranch_execz .LBB125_87
; %bb.84:
	v_mov_b32_e32 v1, 0
	v_mov_b32_e32 v3, 0
	v_add_nc_u32_e32 v7, -1, v0
	v_add_nc_u32_e32 v8, 0x3e0, v135
	v_mov_b32_e32 v2, 0
	v_mov_b32_e32 v4, 0
	v_add_nc_u32_e32 v133, 16, v135
	s_mov_b32 s5, 0
	.p2align	6
.LBB125_85:                             ; =>This Inner Loop Header: Depth=1
	s_clause 0x3
	buffer_load_dword v140, v133, s[0:3], 0 offen offset:8
	buffer_load_dword v141, v133, s[0:3], 0 offen offset:12
	buffer_load_dword v142, v133, s[0:3], 0 offen
	buffer_load_dword v143, v133, s[0:3], 0 offen offset:4
	ds_read_b128 v[136:139], v8
	v_add_nc_u32_e32 v7, 1, v7
	v_add_nc_u32_e32 v8, 16, v8
	;; [unrolled: 1-line block ×3, first 2 shown]
	v_cmp_lt_u32_e32 vcc_lo, 13, v7
	s_or_b32 s5, vcc_lo, s5
	s_waitcnt vmcnt(2) lgkmcnt(0)
	v_mul_f64 v[144:145], v[138:139], v[140:141]
	v_mul_f64 v[140:141], v[136:137], v[140:141]
	s_waitcnt vmcnt(0)
	v_fma_f64 v[136:137], v[136:137], v[142:143], -v[144:145]
	v_fma_f64 v[138:139], v[138:139], v[142:143], v[140:141]
	v_add_f64 v[3:4], v[3:4], v[136:137]
	v_add_f64 v[1:2], v[1:2], v[138:139]
	s_andn2_b32 exec_lo, exec_lo, s5
	s_cbranch_execnz .LBB125_85
; %bb.86:
	s_or_b32 exec_lo, exec_lo, s5
	v_mov_b32_e32 v7, 0
	ds_read_b128 v[136:139], v7 offset:240
	s_waitcnt lgkmcnt(0)
	v_mul_f64 v[7:8], v[1:2], v[138:139]
	v_mul_f64 v[133:134], v[3:4], v[138:139]
	v_fma_f64 v[3:4], v[3:4], v[136:137], -v[7:8]
	v_fma_f64 v[1:2], v[1:2], v[136:137], v[133:134]
	buffer_store_dword v4, off, s[0:3], 0 offset:260
	buffer_store_dword v3, off, s[0:3], 0 offset:256
	;; [unrolled: 1-line block ×4, first 2 shown]
.LBB125_87:
	s_or_b32 exec_lo, exec_lo, s4
	v_mov_b32_e32 v4, s60
	s_waitcnt_vscnt null, 0x0
	s_barrier
	buffer_gl0_inv
	s_mov_b32 s4, exec_lo
	s_clause 0x3
	buffer_load_dword v1, v4, s[0:3], 0 offen
	buffer_load_dword v2, v4, s[0:3], 0 offen offset:4
	buffer_load_dword v3, v4, s[0:3], 0 offen offset:8
	;; [unrolled: 1-line block ×3, first 2 shown]
	s_waitcnt vmcnt(0)
	ds_write_b128 v5, v[1:4]
	s_waitcnt lgkmcnt(0)
	s_barrier
	buffer_gl0_inv
	v_cmpx_gt_u32_e32 16, v0
	s_cbranch_execz .LBB125_91
; %bb.88:
	v_mov_b32_e32 v1, 0
	v_mov_b32_e32 v3, 0
	v_add_nc_u32_e32 v7, -1, v0
	v_add_nc_u32_e32 v8, 0x3e0, v135
	v_mov_b32_e32 v2, 0
	v_mov_b32_e32 v4, 0
	v_add_nc_u32_e32 v133, 16, v135
	s_mov_b32 s5, 0
	.p2align	6
.LBB125_89:                             ; =>This Inner Loop Header: Depth=1
	s_clause 0x3
	buffer_load_dword v140, v133, s[0:3], 0 offen offset:8
	buffer_load_dword v141, v133, s[0:3], 0 offen offset:12
	buffer_load_dword v142, v133, s[0:3], 0 offen
	buffer_load_dword v143, v133, s[0:3], 0 offen offset:4
	ds_read_b128 v[136:139], v8
	v_add_nc_u32_e32 v7, 1, v7
	v_add_nc_u32_e32 v8, 16, v8
	;; [unrolled: 1-line block ×3, first 2 shown]
	v_cmp_lt_u32_e32 vcc_lo, 14, v7
	s_or_b32 s5, vcc_lo, s5
	s_waitcnt vmcnt(2) lgkmcnt(0)
	v_mul_f64 v[144:145], v[138:139], v[140:141]
	v_mul_f64 v[140:141], v[136:137], v[140:141]
	s_waitcnt vmcnt(0)
	v_fma_f64 v[136:137], v[136:137], v[142:143], -v[144:145]
	v_fma_f64 v[138:139], v[138:139], v[142:143], v[140:141]
	v_add_f64 v[3:4], v[3:4], v[136:137]
	v_add_f64 v[1:2], v[1:2], v[138:139]
	s_andn2_b32 exec_lo, exec_lo, s5
	s_cbranch_execnz .LBB125_89
; %bb.90:
	s_or_b32 exec_lo, exec_lo, s5
	v_mov_b32_e32 v7, 0
	ds_read_b128 v[136:139], v7 offset:256
	s_waitcnt lgkmcnt(0)
	v_mul_f64 v[7:8], v[1:2], v[138:139]
	v_mul_f64 v[133:134], v[3:4], v[138:139]
	v_fma_f64 v[3:4], v[3:4], v[136:137], -v[7:8]
	v_fma_f64 v[1:2], v[1:2], v[136:137], v[133:134]
	buffer_store_dword v4, off, s[0:3], 0 offset:276
	buffer_store_dword v3, off, s[0:3], 0 offset:272
	;; [unrolled: 1-line block ×4, first 2 shown]
.LBB125_91:
	s_or_b32 exec_lo, exec_lo, s4
	v_mov_b32_e32 v4, s59
	s_waitcnt_vscnt null, 0x0
	s_barrier
	buffer_gl0_inv
	s_mov_b32 s4, exec_lo
	s_clause 0x3
	buffer_load_dword v1, v4, s[0:3], 0 offen
	buffer_load_dword v2, v4, s[0:3], 0 offen offset:4
	buffer_load_dword v3, v4, s[0:3], 0 offen offset:8
	;; [unrolled: 1-line block ×3, first 2 shown]
	s_waitcnt vmcnt(0)
	ds_write_b128 v5, v[1:4]
	s_waitcnt lgkmcnt(0)
	s_barrier
	buffer_gl0_inv
	v_cmpx_gt_u32_e32 17, v0
	s_cbranch_execz .LBB125_95
; %bb.92:
	v_mov_b32_e32 v1, 0
	v_mov_b32_e32 v3, 0
	v_add_nc_u32_e32 v7, -1, v0
	v_add_nc_u32_e32 v8, 0x3e0, v135
	v_mov_b32_e32 v2, 0
	v_mov_b32_e32 v4, 0
	v_add_nc_u32_e32 v133, 16, v135
	s_mov_b32 s5, 0
	.p2align	6
.LBB125_93:                             ; =>This Inner Loop Header: Depth=1
	s_clause 0x3
	buffer_load_dword v140, v133, s[0:3], 0 offen offset:8
	buffer_load_dword v141, v133, s[0:3], 0 offen offset:12
	buffer_load_dword v142, v133, s[0:3], 0 offen
	buffer_load_dword v143, v133, s[0:3], 0 offen offset:4
	ds_read_b128 v[136:139], v8
	v_add_nc_u32_e32 v7, 1, v7
	v_add_nc_u32_e32 v8, 16, v8
	;; [unrolled: 1-line block ×3, first 2 shown]
	v_cmp_lt_u32_e32 vcc_lo, 15, v7
	s_or_b32 s5, vcc_lo, s5
	s_waitcnt vmcnt(2) lgkmcnt(0)
	v_mul_f64 v[144:145], v[138:139], v[140:141]
	v_mul_f64 v[140:141], v[136:137], v[140:141]
	s_waitcnt vmcnt(0)
	v_fma_f64 v[136:137], v[136:137], v[142:143], -v[144:145]
	v_fma_f64 v[138:139], v[138:139], v[142:143], v[140:141]
	v_add_f64 v[3:4], v[3:4], v[136:137]
	v_add_f64 v[1:2], v[1:2], v[138:139]
	s_andn2_b32 exec_lo, exec_lo, s5
	s_cbranch_execnz .LBB125_93
; %bb.94:
	s_or_b32 exec_lo, exec_lo, s5
	v_mov_b32_e32 v7, 0
	ds_read_b128 v[136:139], v7 offset:272
	s_waitcnt lgkmcnt(0)
	v_mul_f64 v[7:8], v[1:2], v[138:139]
	v_mul_f64 v[133:134], v[3:4], v[138:139]
	v_fma_f64 v[3:4], v[3:4], v[136:137], -v[7:8]
	v_fma_f64 v[1:2], v[1:2], v[136:137], v[133:134]
	buffer_store_dword v4, off, s[0:3], 0 offset:292
	buffer_store_dword v3, off, s[0:3], 0 offset:288
	;; [unrolled: 1-line block ×4, first 2 shown]
.LBB125_95:
	s_or_b32 exec_lo, exec_lo, s4
	v_mov_b32_e32 v4, s58
	s_waitcnt_vscnt null, 0x0
	s_barrier
	buffer_gl0_inv
	s_mov_b32 s4, exec_lo
	s_clause 0x3
	buffer_load_dword v1, v4, s[0:3], 0 offen
	buffer_load_dword v2, v4, s[0:3], 0 offen offset:4
	buffer_load_dword v3, v4, s[0:3], 0 offen offset:8
	;; [unrolled: 1-line block ×3, first 2 shown]
	s_waitcnt vmcnt(0)
	ds_write_b128 v5, v[1:4]
	s_waitcnt lgkmcnt(0)
	s_barrier
	buffer_gl0_inv
	v_cmpx_gt_u32_e32 18, v0
	s_cbranch_execz .LBB125_99
; %bb.96:
	v_mov_b32_e32 v1, 0
	v_mov_b32_e32 v3, 0
	v_add_nc_u32_e32 v7, -1, v0
	v_add_nc_u32_e32 v8, 0x3e0, v135
	v_mov_b32_e32 v2, 0
	v_mov_b32_e32 v4, 0
	v_add_nc_u32_e32 v133, 16, v135
	s_mov_b32 s5, 0
	.p2align	6
.LBB125_97:                             ; =>This Inner Loop Header: Depth=1
	s_clause 0x3
	buffer_load_dword v140, v133, s[0:3], 0 offen offset:8
	buffer_load_dword v141, v133, s[0:3], 0 offen offset:12
	buffer_load_dword v142, v133, s[0:3], 0 offen
	buffer_load_dword v143, v133, s[0:3], 0 offen offset:4
	ds_read_b128 v[136:139], v8
	v_add_nc_u32_e32 v7, 1, v7
	v_add_nc_u32_e32 v8, 16, v8
	v_add_nc_u32_e32 v133, 16, v133
	v_cmp_lt_u32_e32 vcc_lo, 16, v7
	s_or_b32 s5, vcc_lo, s5
	s_waitcnt vmcnt(2) lgkmcnt(0)
	v_mul_f64 v[144:145], v[138:139], v[140:141]
	v_mul_f64 v[140:141], v[136:137], v[140:141]
	s_waitcnt vmcnt(0)
	v_fma_f64 v[136:137], v[136:137], v[142:143], -v[144:145]
	v_fma_f64 v[138:139], v[138:139], v[142:143], v[140:141]
	v_add_f64 v[3:4], v[3:4], v[136:137]
	v_add_f64 v[1:2], v[1:2], v[138:139]
	s_andn2_b32 exec_lo, exec_lo, s5
	s_cbranch_execnz .LBB125_97
; %bb.98:
	s_or_b32 exec_lo, exec_lo, s5
	v_mov_b32_e32 v7, 0
	ds_read_b128 v[136:139], v7 offset:288
	s_waitcnt lgkmcnt(0)
	v_mul_f64 v[7:8], v[1:2], v[138:139]
	v_mul_f64 v[133:134], v[3:4], v[138:139]
	v_fma_f64 v[3:4], v[3:4], v[136:137], -v[7:8]
	v_fma_f64 v[1:2], v[1:2], v[136:137], v[133:134]
	buffer_store_dword v4, off, s[0:3], 0 offset:308
	buffer_store_dword v3, off, s[0:3], 0 offset:304
	;; [unrolled: 1-line block ×4, first 2 shown]
.LBB125_99:
	s_or_b32 exec_lo, exec_lo, s4
	v_mov_b32_e32 v4, s57
	s_waitcnt_vscnt null, 0x0
	s_barrier
	buffer_gl0_inv
	s_mov_b32 s4, exec_lo
	s_clause 0x3
	buffer_load_dword v1, v4, s[0:3], 0 offen
	buffer_load_dword v2, v4, s[0:3], 0 offen offset:4
	buffer_load_dword v3, v4, s[0:3], 0 offen offset:8
	;; [unrolled: 1-line block ×3, first 2 shown]
	s_waitcnt vmcnt(0)
	ds_write_b128 v5, v[1:4]
	s_waitcnt lgkmcnt(0)
	s_barrier
	buffer_gl0_inv
	v_cmpx_gt_u32_e32 19, v0
	s_cbranch_execz .LBB125_103
; %bb.100:
	v_mov_b32_e32 v1, 0
	v_mov_b32_e32 v3, 0
	v_add_nc_u32_e32 v7, -1, v0
	v_add_nc_u32_e32 v8, 0x3e0, v135
	v_mov_b32_e32 v2, 0
	v_mov_b32_e32 v4, 0
	v_add_nc_u32_e32 v133, 16, v135
	s_mov_b32 s5, 0
	.p2align	6
.LBB125_101:                            ; =>This Inner Loop Header: Depth=1
	s_clause 0x3
	buffer_load_dword v140, v133, s[0:3], 0 offen offset:8
	buffer_load_dword v141, v133, s[0:3], 0 offen offset:12
	buffer_load_dword v142, v133, s[0:3], 0 offen
	buffer_load_dword v143, v133, s[0:3], 0 offen offset:4
	ds_read_b128 v[136:139], v8
	v_add_nc_u32_e32 v7, 1, v7
	v_add_nc_u32_e32 v8, 16, v8
	;; [unrolled: 1-line block ×3, first 2 shown]
	v_cmp_lt_u32_e32 vcc_lo, 17, v7
	s_or_b32 s5, vcc_lo, s5
	s_waitcnt vmcnt(2) lgkmcnt(0)
	v_mul_f64 v[144:145], v[138:139], v[140:141]
	v_mul_f64 v[140:141], v[136:137], v[140:141]
	s_waitcnt vmcnt(0)
	v_fma_f64 v[136:137], v[136:137], v[142:143], -v[144:145]
	v_fma_f64 v[138:139], v[138:139], v[142:143], v[140:141]
	v_add_f64 v[3:4], v[3:4], v[136:137]
	v_add_f64 v[1:2], v[1:2], v[138:139]
	s_andn2_b32 exec_lo, exec_lo, s5
	s_cbranch_execnz .LBB125_101
; %bb.102:
	s_or_b32 exec_lo, exec_lo, s5
	v_mov_b32_e32 v7, 0
	ds_read_b128 v[136:139], v7 offset:304
	s_waitcnt lgkmcnt(0)
	v_mul_f64 v[7:8], v[1:2], v[138:139]
	v_mul_f64 v[133:134], v[3:4], v[138:139]
	v_fma_f64 v[3:4], v[3:4], v[136:137], -v[7:8]
	v_fma_f64 v[1:2], v[1:2], v[136:137], v[133:134]
	buffer_store_dword v4, off, s[0:3], 0 offset:324
	buffer_store_dword v3, off, s[0:3], 0 offset:320
	;; [unrolled: 1-line block ×4, first 2 shown]
.LBB125_103:
	s_or_b32 exec_lo, exec_lo, s4
	v_mov_b32_e32 v4, s56
	s_waitcnt_vscnt null, 0x0
	s_barrier
	buffer_gl0_inv
	s_mov_b32 s4, exec_lo
	s_clause 0x3
	buffer_load_dword v1, v4, s[0:3], 0 offen
	buffer_load_dword v2, v4, s[0:3], 0 offen offset:4
	buffer_load_dword v3, v4, s[0:3], 0 offen offset:8
	;; [unrolled: 1-line block ×3, first 2 shown]
	s_waitcnt vmcnt(0)
	ds_write_b128 v5, v[1:4]
	s_waitcnt lgkmcnt(0)
	s_barrier
	buffer_gl0_inv
	v_cmpx_gt_u32_e32 20, v0
	s_cbranch_execz .LBB125_107
; %bb.104:
	v_mov_b32_e32 v1, 0
	v_mov_b32_e32 v3, 0
	v_add_nc_u32_e32 v7, -1, v0
	v_add_nc_u32_e32 v8, 0x3e0, v135
	v_mov_b32_e32 v2, 0
	v_mov_b32_e32 v4, 0
	v_add_nc_u32_e32 v133, 16, v135
	s_mov_b32 s5, 0
	.p2align	6
.LBB125_105:                            ; =>This Inner Loop Header: Depth=1
	s_clause 0x3
	buffer_load_dword v140, v133, s[0:3], 0 offen offset:8
	buffer_load_dword v141, v133, s[0:3], 0 offen offset:12
	buffer_load_dword v142, v133, s[0:3], 0 offen
	buffer_load_dword v143, v133, s[0:3], 0 offen offset:4
	ds_read_b128 v[136:139], v8
	v_add_nc_u32_e32 v7, 1, v7
	v_add_nc_u32_e32 v8, 16, v8
	;; [unrolled: 1-line block ×3, first 2 shown]
	v_cmp_lt_u32_e32 vcc_lo, 18, v7
	s_or_b32 s5, vcc_lo, s5
	s_waitcnt vmcnt(2) lgkmcnt(0)
	v_mul_f64 v[144:145], v[138:139], v[140:141]
	v_mul_f64 v[140:141], v[136:137], v[140:141]
	s_waitcnt vmcnt(0)
	v_fma_f64 v[136:137], v[136:137], v[142:143], -v[144:145]
	v_fma_f64 v[138:139], v[138:139], v[142:143], v[140:141]
	v_add_f64 v[3:4], v[3:4], v[136:137]
	v_add_f64 v[1:2], v[1:2], v[138:139]
	s_andn2_b32 exec_lo, exec_lo, s5
	s_cbranch_execnz .LBB125_105
; %bb.106:
	s_or_b32 exec_lo, exec_lo, s5
	v_mov_b32_e32 v7, 0
	ds_read_b128 v[136:139], v7 offset:320
	s_waitcnt lgkmcnt(0)
	v_mul_f64 v[7:8], v[1:2], v[138:139]
	v_mul_f64 v[133:134], v[3:4], v[138:139]
	v_fma_f64 v[3:4], v[3:4], v[136:137], -v[7:8]
	v_fma_f64 v[1:2], v[1:2], v[136:137], v[133:134]
	buffer_store_dword v4, off, s[0:3], 0 offset:340
	buffer_store_dword v3, off, s[0:3], 0 offset:336
	buffer_store_dword v2, off, s[0:3], 0 offset:348
	buffer_store_dword v1, off, s[0:3], 0 offset:344
.LBB125_107:
	s_or_b32 exec_lo, exec_lo, s4
	v_mov_b32_e32 v4, s55
	s_waitcnt_vscnt null, 0x0
	s_barrier
	buffer_gl0_inv
	s_mov_b32 s4, exec_lo
	s_clause 0x3
	buffer_load_dword v1, v4, s[0:3], 0 offen
	buffer_load_dword v2, v4, s[0:3], 0 offen offset:4
	buffer_load_dword v3, v4, s[0:3], 0 offen offset:8
	;; [unrolled: 1-line block ×3, first 2 shown]
	s_waitcnt vmcnt(0)
	ds_write_b128 v5, v[1:4]
	s_waitcnt lgkmcnt(0)
	s_barrier
	buffer_gl0_inv
	v_cmpx_gt_u32_e32 21, v0
	s_cbranch_execz .LBB125_111
; %bb.108:
	v_mov_b32_e32 v1, 0
	v_mov_b32_e32 v3, 0
	v_add_nc_u32_e32 v7, -1, v0
	v_add_nc_u32_e32 v8, 0x3e0, v135
	v_mov_b32_e32 v2, 0
	v_mov_b32_e32 v4, 0
	v_add_nc_u32_e32 v133, 16, v135
	s_mov_b32 s5, 0
	.p2align	6
.LBB125_109:                            ; =>This Inner Loop Header: Depth=1
	s_clause 0x3
	buffer_load_dword v140, v133, s[0:3], 0 offen offset:8
	buffer_load_dword v141, v133, s[0:3], 0 offen offset:12
	buffer_load_dword v142, v133, s[0:3], 0 offen
	buffer_load_dword v143, v133, s[0:3], 0 offen offset:4
	ds_read_b128 v[136:139], v8
	v_add_nc_u32_e32 v7, 1, v7
	v_add_nc_u32_e32 v8, 16, v8
	;; [unrolled: 1-line block ×3, first 2 shown]
	v_cmp_lt_u32_e32 vcc_lo, 19, v7
	s_or_b32 s5, vcc_lo, s5
	s_waitcnt vmcnt(2) lgkmcnt(0)
	v_mul_f64 v[144:145], v[138:139], v[140:141]
	v_mul_f64 v[140:141], v[136:137], v[140:141]
	s_waitcnt vmcnt(0)
	v_fma_f64 v[136:137], v[136:137], v[142:143], -v[144:145]
	v_fma_f64 v[138:139], v[138:139], v[142:143], v[140:141]
	v_add_f64 v[3:4], v[3:4], v[136:137]
	v_add_f64 v[1:2], v[1:2], v[138:139]
	s_andn2_b32 exec_lo, exec_lo, s5
	s_cbranch_execnz .LBB125_109
; %bb.110:
	s_or_b32 exec_lo, exec_lo, s5
	v_mov_b32_e32 v7, 0
	ds_read_b128 v[136:139], v7 offset:336
	s_waitcnt lgkmcnt(0)
	v_mul_f64 v[7:8], v[1:2], v[138:139]
	v_mul_f64 v[133:134], v[3:4], v[138:139]
	v_fma_f64 v[3:4], v[3:4], v[136:137], -v[7:8]
	v_fma_f64 v[1:2], v[1:2], v[136:137], v[133:134]
	buffer_store_dword v4, off, s[0:3], 0 offset:356
	buffer_store_dword v3, off, s[0:3], 0 offset:352
	;; [unrolled: 1-line block ×4, first 2 shown]
.LBB125_111:
	s_or_b32 exec_lo, exec_lo, s4
	v_mov_b32_e32 v4, s54
	s_waitcnt_vscnt null, 0x0
	s_barrier
	buffer_gl0_inv
	s_mov_b32 s4, exec_lo
	s_clause 0x3
	buffer_load_dword v1, v4, s[0:3], 0 offen
	buffer_load_dword v2, v4, s[0:3], 0 offen offset:4
	buffer_load_dword v3, v4, s[0:3], 0 offen offset:8
	;; [unrolled: 1-line block ×3, first 2 shown]
	s_waitcnt vmcnt(0)
	ds_write_b128 v5, v[1:4]
	s_waitcnt lgkmcnt(0)
	s_barrier
	buffer_gl0_inv
	v_cmpx_gt_u32_e32 22, v0
	s_cbranch_execz .LBB125_115
; %bb.112:
	v_mov_b32_e32 v1, 0
	v_mov_b32_e32 v3, 0
	v_add_nc_u32_e32 v7, -1, v0
	v_add_nc_u32_e32 v8, 0x3e0, v135
	v_mov_b32_e32 v2, 0
	v_mov_b32_e32 v4, 0
	v_add_nc_u32_e32 v133, 16, v135
	s_mov_b32 s5, 0
	.p2align	6
.LBB125_113:                            ; =>This Inner Loop Header: Depth=1
	s_clause 0x3
	buffer_load_dword v140, v133, s[0:3], 0 offen offset:8
	buffer_load_dword v141, v133, s[0:3], 0 offen offset:12
	buffer_load_dword v142, v133, s[0:3], 0 offen
	buffer_load_dword v143, v133, s[0:3], 0 offen offset:4
	ds_read_b128 v[136:139], v8
	v_add_nc_u32_e32 v7, 1, v7
	v_add_nc_u32_e32 v8, 16, v8
	;; [unrolled: 1-line block ×3, first 2 shown]
	v_cmp_lt_u32_e32 vcc_lo, 20, v7
	s_or_b32 s5, vcc_lo, s5
	s_waitcnt vmcnt(2) lgkmcnt(0)
	v_mul_f64 v[144:145], v[138:139], v[140:141]
	v_mul_f64 v[140:141], v[136:137], v[140:141]
	s_waitcnt vmcnt(0)
	v_fma_f64 v[136:137], v[136:137], v[142:143], -v[144:145]
	v_fma_f64 v[138:139], v[138:139], v[142:143], v[140:141]
	v_add_f64 v[3:4], v[3:4], v[136:137]
	v_add_f64 v[1:2], v[1:2], v[138:139]
	s_andn2_b32 exec_lo, exec_lo, s5
	s_cbranch_execnz .LBB125_113
; %bb.114:
	s_or_b32 exec_lo, exec_lo, s5
	v_mov_b32_e32 v7, 0
	ds_read_b128 v[136:139], v7 offset:352
	s_waitcnt lgkmcnt(0)
	v_mul_f64 v[7:8], v[1:2], v[138:139]
	v_mul_f64 v[133:134], v[3:4], v[138:139]
	v_fma_f64 v[3:4], v[3:4], v[136:137], -v[7:8]
	v_fma_f64 v[1:2], v[1:2], v[136:137], v[133:134]
	buffer_store_dword v4, off, s[0:3], 0 offset:372
	buffer_store_dword v3, off, s[0:3], 0 offset:368
	;; [unrolled: 1-line block ×4, first 2 shown]
.LBB125_115:
	s_or_b32 exec_lo, exec_lo, s4
	v_mov_b32_e32 v4, s53
	s_waitcnt_vscnt null, 0x0
	s_barrier
	buffer_gl0_inv
	s_mov_b32 s4, exec_lo
	s_clause 0x3
	buffer_load_dword v1, v4, s[0:3], 0 offen
	buffer_load_dword v2, v4, s[0:3], 0 offen offset:4
	buffer_load_dword v3, v4, s[0:3], 0 offen offset:8
	;; [unrolled: 1-line block ×3, first 2 shown]
	s_waitcnt vmcnt(0)
	ds_write_b128 v5, v[1:4]
	s_waitcnt lgkmcnt(0)
	s_barrier
	buffer_gl0_inv
	v_cmpx_gt_u32_e32 23, v0
	s_cbranch_execz .LBB125_119
; %bb.116:
	v_mov_b32_e32 v1, 0
	v_mov_b32_e32 v3, 0
	v_add_nc_u32_e32 v7, -1, v0
	v_add_nc_u32_e32 v8, 0x3e0, v135
	v_mov_b32_e32 v2, 0
	v_mov_b32_e32 v4, 0
	v_add_nc_u32_e32 v133, 16, v135
	s_mov_b32 s5, 0
	.p2align	6
.LBB125_117:                            ; =>This Inner Loop Header: Depth=1
	s_clause 0x3
	buffer_load_dword v140, v133, s[0:3], 0 offen offset:8
	buffer_load_dword v141, v133, s[0:3], 0 offen offset:12
	buffer_load_dword v142, v133, s[0:3], 0 offen
	buffer_load_dword v143, v133, s[0:3], 0 offen offset:4
	ds_read_b128 v[136:139], v8
	v_add_nc_u32_e32 v7, 1, v7
	v_add_nc_u32_e32 v8, 16, v8
	;; [unrolled: 1-line block ×3, first 2 shown]
	v_cmp_lt_u32_e32 vcc_lo, 21, v7
	s_or_b32 s5, vcc_lo, s5
	s_waitcnt vmcnt(2) lgkmcnt(0)
	v_mul_f64 v[144:145], v[138:139], v[140:141]
	v_mul_f64 v[140:141], v[136:137], v[140:141]
	s_waitcnt vmcnt(0)
	v_fma_f64 v[136:137], v[136:137], v[142:143], -v[144:145]
	v_fma_f64 v[138:139], v[138:139], v[142:143], v[140:141]
	v_add_f64 v[3:4], v[3:4], v[136:137]
	v_add_f64 v[1:2], v[1:2], v[138:139]
	s_andn2_b32 exec_lo, exec_lo, s5
	s_cbranch_execnz .LBB125_117
; %bb.118:
	s_or_b32 exec_lo, exec_lo, s5
	v_mov_b32_e32 v7, 0
	ds_read_b128 v[136:139], v7 offset:368
	s_waitcnt lgkmcnt(0)
	v_mul_f64 v[7:8], v[1:2], v[138:139]
	v_mul_f64 v[133:134], v[3:4], v[138:139]
	v_fma_f64 v[3:4], v[3:4], v[136:137], -v[7:8]
	v_fma_f64 v[1:2], v[1:2], v[136:137], v[133:134]
	buffer_store_dword v4, off, s[0:3], 0 offset:388
	buffer_store_dword v3, off, s[0:3], 0 offset:384
	;; [unrolled: 1-line block ×4, first 2 shown]
.LBB125_119:
	s_or_b32 exec_lo, exec_lo, s4
	v_mov_b32_e32 v4, s52
	s_waitcnt_vscnt null, 0x0
	s_barrier
	buffer_gl0_inv
	s_mov_b32 s4, exec_lo
	s_clause 0x3
	buffer_load_dword v1, v4, s[0:3], 0 offen
	buffer_load_dword v2, v4, s[0:3], 0 offen offset:4
	buffer_load_dword v3, v4, s[0:3], 0 offen offset:8
	;; [unrolled: 1-line block ×3, first 2 shown]
	s_waitcnt vmcnt(0)
	ds_write_b128 v5, v[1:4]
	s_waitcnt lgkmcnt(0)
	s_barrier
	buffer_gl0_inv
	v_cmpx_gt_u32_e32 24, v0
	s_cbranch_execz .LBB125_123
; %bb.120:
	v_mov_b32_e32 v1, 0
	v_mov_b32_e32 v3, 0
	v_add_nc_u32_e32 v7, -1, v0
	v_add_nc_u32_e32 v8, 0x3e0, v135
	v_mov_b32_e32 v2, 0
	v_mov_b32_e32 v4, 0
	v_add_nc_u32_e32 v133, 16, v135
	s_mov_b32 s5, 0
	.p2align	6
.LBB125_121:                            ; =>This Inner Loop Header: Depth=1
	s_clause 0x3
	buffer_load_dword v140, v133, s[0:3], 0 offen offset:8
	buffer_load_dword v141, v133, s[0:3], 0 offen offset:12
	buffer_load_dword v142, v133, s[0:3], 0 offen
	buffer_load_dword v143, v133, s[0:3], 0 offen offset:4
	ds_read_b128 v[136:139], v8
	v_add_nc_u32_e32 v7, 1, v7
	v_add_nc_u32_e32 v8, 16, v8
	;; [unrolled: 1-line block ×3, first 2 shown]
	v_cmp_lt_u32_e32 vcc_lo, 22, v7
	s_or_b32 s5, vcc_lo, s5
	s_waitcnt vmcnt(2) lgkmcnt(0)
	v_mul_f64 v[144:145], v[138:139], v[140:141]
	v_mul_f64 v[140:141], v[136:137], v[140:141]
	s_waitcnt vmcnt(0)
	v_fma_f64 v[136:137], v[136:137], v[142:143], -v[144:145]
	v_fma_f64 v[138:139], v[138:139], v[142:143], v[140:141]
	v_add_f64 v[3:4], v[3:4], v[136:137]
	v_add_f64 v[1:2], v[1:2], v[138:139]
	s_andn2_b32 exec_lo, exec_lo, s5
	s_cbranch_execnz .LBB125_121
; %bb.122:
	s_or_b32 exec_lo, exec_lo, s5
	v_mov_b32_e32 v7, 0
	ds_read_b128 v[136:139], v7 offset:384
	s_waitcnt lgkmcnt(0)
	v_mul_f64 v[7:8], v[1:2], v[138:139]
	v_mul_f64 v[133:134], v[3:4], v[138:139]
	v_fma_f64 v[3:4], v[3:4], v[136:137], -v[7:8]
	v_fma_f64 v[1:2], v[1:2], v[136:137], v[133:134]
	buffer_store_dword v4, off, s[0:3], 0 offset:404
	buffer_store_dword v3, off, s[0:3], 0 offset:400
	;; [unrolled: 1-line block ×4, first 2 shown]
.LBB125_123:
	s_or_b32 exec_lo, exec_lo, s4
	v_mov_b32_e32 v4, s51
	s_waitcnt_vscnt null, 0x0
	s_barrier
	buffer_gl0_inv
	s_mov_b32 s4, exec_lo
	s_clause 0x3
	buffer_load_dword v1, v4, s[0:3], 0 offen
	buffer_load_dword v2, v4, s[0:3], 0 offen offset:4
	buffer_load_dword v3, v4, s[0:3], 0 offen offset:8
	;; [unrolled: 1-line block ×3, first 2 shown]
	s_waitcnt vmcnt(0)
	ds_write_b128 v5, v[1:4]
	s_waitcnt lgkmcnt(0)
	s_barrier
	buffer_gl0_inv
	v_cmpx_gt_u32_e32 25, v0
	s_cbranch_execz .LBB125_127
; %bb.124:
	v_mov_b32_e32 v1, 0
	v_mov_b32_e32 v3, 0
	v_add_nc_u32_e32 v7, -1, v0
	v_add_nc_u32_e32 v8, 0x3e0, v135
	v_mov_b32_e32 v2, 0
	v_mov_b32_e32 v4, 0
	v_add_nc_u32_e32 v133, 16, v135
	s_mov_b32 s5, 0
	.p2align	6
.LBB125_125:                            ; =>This Inner Loop Header: Depth=1
	s_clause 0x3
	buffer_load_dword v140, v133, s[0:3], 0 offen offset:8
	buffer_load_dword v141, v133, s[0:3], 0 offen offset:12
	buffer_load_dword v142, v133, s[0:3], 0 offen
	buffer_load_dword v143, v133, s[0:3], 0 offen offset:4
	ds_read_b128 v[136:139], v8
	v_add_nc_u32_e32 v7, 1, v7
	v_add_nc_u32_e32 v8, 16, v8
	;; [unrolled: 1-line block ×3, first 2 shown]
	v_cmp_lt_u32_e32 vcc_lo, 23, v7
	s_or_b32 s5, vcc_lo, s5
	s_waitcnt vmcnt(2) lgkmcnt(0)
	v_mul_f64 v[144:145], v[138:139], v[140:141]
	v_mul_f64 v[140:141], v[136:137], v[140:141]
	s_waitcnt vmcnt(0)
	v_fma_f64 v[136:137], v[136:137], v[142:143], -v[144:145]
	v_fma_f64 v[138:139], v[138:139], v[142:143], v[140:141]
	v_add_f64 v[3:4], v[3:4], v[136:137]
	v_add_f64 v[1:2], v[1:2], v[138:139]
	s_andn2_b32 exec_lo, exec_lo, s5
	s_cbranch_execnz .LBB125_125
; %bb.126:
	s_or_b32 exec_lo, exec_lo, s5
	v_mov_b32_e32 v7, 0
	ds_read_b128 v[136:139], v7 offset:400
	s_waitcnt lgkmcnt(0)
	v_mul_f64 v[7:8], v[1:2], v[138:139]
	v_mul_f64 v[133:134], v[3:4], v[138:139]
	v_fma_f64 v[3:4], v[3:4], v[136:137], -v[7:8]
	v_fma_f64 v[1:2], v[1:2], v[136:137], v[133:134]
	buffer_store_dword v4, off, s[0:3], 0 offset:420
	buffer_store_dword v3, off, s[0:3], 0 offset:416
	;; [unrolled: 1-line block ×4, first 2 shown]
.LBB125_127:
	s_or_b32 exec_lo, exec_lo, s4
	v_mov_b32_e32 v4, s50
	s_waitcnt_vscnt null, 0x0
	s_barrier
	buffer_gl0_inv
	s_mov_b32 s4, exec_lo
	s_clause 0x3
	buffer_load_dword v1, v4, s[0:3], 0 offen
	buffer_load_dword v2, v4, s[0:3], 0 offen offset:4
	buffer_load_dword v3, v4, s[0:3], 0 offen offset:8
	;; [unrolled: 1-line block ×3, first 2 shown]
	s_waitcnt vmcnt(0)
	ds_write_b128 v5, v[1:4]
	s_waitcnt lgkmcnt(0)
	s_barrier
	buffer_gl0_inv
	v_cmpx_gt_u32_e32 26, v0
	s_cbranch_execz .LBB125_131
; %bb.128:
	v_mov_b32_e32 v1, 0
	v_mov_b32_e32 v3, 0
	v_add_nc_u32_e32 v7, -1, v0
	v_add_nc_u32_e32 v8, 0x3e0, v135
	v_mov_b32_e32 v2, 0
	v_mov_b32_e32 v4, 0
	v_add_nc_u32_e32 v133, 16, v135
	s_mov_b32 s5, 0
	.p2align	6
.LBB125_129:                            ; =>This Inner Loop Header: Depth=1
	s_clause 0x3
	buffer_load_dword v140, v133, s[0:3], 0 offen offset:8
	buffer_load_dword v141, v133, s[0:3], 0 offen offset:12
	buffer_load_dword v142, v133, s[0:3], 0 offen
	buffer_load_dword v143, v133, s[0:3], 0 offen offset:4
	ds_read_b128 v[136:139], v8
	v_add_nc_u32_e32 v7, 1, v7
	v_add_nc_u32_e32 v8, 16, v8
	;; [unrolled: 1-line block ×3, first 2 shown]
	v_cmp_lt_u32_e32 vcc_lo, 24, v7
	s_or_b32 s5, vcc_lo, s5
	s_waitcnt vmcnt(2) lgkmcnt(0)
	v_mul_f64 v[144:145], v[138:139], v[140:141]
	v_mul_f64 v[140:141], v[136:137], v[140:141]
	s_waitcnt vmcnt(0)
	v_fma_f64 v[136:137], v[136:137], v[142:143], -v[144:145]
	v_fma_f64 v[138:139], v[138:139], v[142:143], v[140:141]
	v_add_f64 v[3:4], v[3:4], v[136:137]
	v_add_f64 v[1:2], v[1:2], v[138:139]
	s_andn2_b32 exec_lo, exec_lo, s5
	s_cbranch_execnz .LBB125_129
; %bb.130:
	s_or_b32 exec_lo, exec_lo, s5
	v_mov_b32_e32 v7, 0
	ds_read_b128 v[136:139], v7 offset:416
	s_waitcnt lgkmcnt(0)
	v_mul_f64 v[7:8], v[1:2], v[138:139]
	v_mul_f64 v[133:134], v[3:4], v[138:139]
	v_fma_f64 v[3:4], v[3:4], v[136:137], -v[7:8]
	v_fma_f64 v[1:2], v[1:2], v[136:137], v[133:134]
	buffer_store_dword v4, off, s[0:3], 0 offset:436
	buffer_store_dword v3, off, s[0:3], 0 offset:432
	;; [unrolled: 1-line block ×4, first 2 shown]
.LBB125_131:
	s_or_b32 exec_lo, exec_lo, s4
	v_mov_b32_e32 v4, s49
	s_waitcnt_vscnt null, 0x0
	s_barrier
	buffer_gl0_inv
	s_mov_b32 s4, exec_lo
	s_clause 0x3
	buffer_load_dword v1, v4, s[0:3], 0 offen
	buffer_load_dword v2, v4, s[0:3], 0 offen offset:4
	buffer_load_dword v3, v4, s[0:3], 0 offen offset:8
	buffer_load_dword v4, v4, s[0:3], 0 offen offset:12
	s_waitcnt vmcnt(0)
	ds_write_b128 v5, v[1:4]
	s_waitcnt lgkmcnt(0)
	s_barrier
	buffer_gl0_inv
	v_cmpx_gt_u32_e32 27, v0
	s_cbranch_execz .LBB125_135
; %bb.132:
	v_mov_b32_e32 v1, 0
	v_mov_b32_e32 v3, 0
	v_add_nc_u32_e32 v7, -1, v0
	v_add_nc_u32_e32 v8, 0x3e0, v135
	v_mov_b32_e32 v2, 0
	v_mov_b32_e32 v4, 0
	v_add_nc_u32_e32 v133, 16, v135
	s_mov_b32 s5, 0
	.p2align	6
.LBB125_133:                            ; =>This Inner Loop Header: Depth=1
	s_clause 0x3
	buffer_load_dword v140, v133, s[0:3], 0 offen offset:8
	buffer_load_dword v141, v133, s[0:3], 0 offen offset:12
	buffer_load_dword v142, v133, s[0:3], 0 offen
	buffer_load_dword v143, v133, s[0:3], 0 offen offset:4
	ds_read_b128 v[136:139], v8
	v_add_nc_u32_e32 v7, 1, v7
	v_add_nc_u32_e32 v8, 16, v8
	;; [unrolled: 1-line block ×3, first 2 shown]
	v_cmp_lt_u32_e32 vcc_lo, 25, v7
	s_or_b32 s5, vcc_lo, s5
	s_waitcnt vmcnt(2) lgkmcnt(0)
	v_mul_f64 v[144:145], v[138:139], v[140:141]
	v_mul_f64 v[140:141], v[136:137], v[140:141]
	s_waitcnt vmcnt(0)
	v_fma_f64 v[136:137], v[136:137], v[142:143], -v[144:145]
	v_fma_f64 v[138:139], v[138:139], v[142:143], v[140:141]
	v_add_f64 v[3:4], v[3:4], v[136:137]
	v_add_f64 v[1:2], v[1:2], v[138:139]
	s_andn2_b32 exec_lo, exec_lo, s5
	s_cbranch_execnz .LBB125_133
; %bb.134:
	s_or_b32 exec_lo, exec_lo, s5
	v_mov_b32_e32 v7, 0
	ds_read_b128 v[136:139], v7 offset:432
	s_waitcnt lgkmcnt(0)
	v_mul_f64 v[7:8], v[1:2], v[138:139]
	v_mul_f64 v[133:134], v[3:4], v[138:139]
	v_fma_f64 v[3:4], v[3:4], v[136:137], -v[7:8]
	v_fma_f64 v[1:2], v[1:2], v[136:137], v[133:134]
	buffer_store_dword v4, off, s[0:3], 0 offset:452
	buffer_store_dword v3, off, s[0:3], 0 offset:448
	;; [unrolled: 1-line block ×4, first 2 shown]
.LBB125_135:
	s_or_b32 exec_lo, exec_lo, s4
	v_mov_b32_e32 v4, s48
	s_waitcnt_vscnt null, 0x0
	s_barrier
	buffer_gl0_inv
	s_mov_b32 s4, exec_lo
	s_clause 0x3
	buffer_load_dword v1, v4, s[0:3], 0 offen
	buffer_load_dword v2, v4, s[0:3], 0 offen offset:4
	buffer_load_dword v3, v4, s[0:3], 0 offen offset:8
	;; [unrolled: 1-line block ×3, first 2 shown]
	s_waitcnt vmcnt(0)
	ds_write_b128 v5, v[1:4]
	s_waitcnt lgkmcnt(0)
	s_barrier
	buffer_gl0_inv
	v_cmpx_gt_u32_e32 28, v0
	s_cbranch_execz .LBB125_139
; %bb.136:
	v_mov_b32_e32 v1, 0
	v_mov_b32_e32 v3, 0
	v_add_nc_u32_e32 v7, -1, v0
	v_add_nc_u32_e32 v8, 0x3e0, v135
	v_mov_b32_e32 v2, 0
	v_mov_b32_e32 v4, 0
	v_add_nc_u32_e32 v133, 16, v135
	s_mov_b32 s5, 0
	.p2align	6
.LBB125_137:                            ; =>This Inner Loop Header: Depth=1
	s_clause 0x3
	buffer_load_dword v140, v133, s[0:3], 0 offen offset:8
	buffer_load_dword v141, v133, s[0:3], 0 offen offset:12
	buffer_load_dword v142, v133, s[0:3], 0 offen
	buffer_load_dword v143, v133, s[0:3], 0 offen offset:4
	ds_read_b128 v[136:139], v8
	v_add_nc_u32_e32 v7, 1, v7
	v_add_nc_u32_e32 v8, 16, v8
	;; [unrolled: 1-line block ×3, first 2 shown]
	v_cmp_lt_u32_e32 vcc_lo, 26, v7
	s_or_b32 s5, vcc_lo, s5
	s_waitcnt vmcnt(2) lgkmcnt(0)
	v_mul_f64 v[144:145], v[138:139], v[140:141]
	v_mul_f64 v[140:141], v[136:137], v[140:141]
	s_waitcnt vmcnt(0)
	v_fma_f64 v[136:137], v[136:137], v[142:143], -v[144:145]
	v_fma_f64 v[138:139], v[138:139], v[142:143], v[140:141]
	v_add_f64 v[3:4], v[3:4], v[136:137]
	v_add_f64 v[1:2], v[1:2], v[138:139]
	s_andn2_b32 exec_lo, exec_lo, s5
	s_cbranch_execnz .LBB125_137
; %bb.138:
	s_or_b32 exec_lo, exec_lo, s5
	v_mov_b32_e32 v7, 0
	ds_read_b128 v[136:139], v7 offset:448
	s_waitcnt lgkmcnt(0)
	v_mul_f64 v[7:8], v[1:2], v[138:139]
	v_mul_f64 v[133:134], v[3:4], v[138:139]
	v_fma_f64 v[3:4], v[3:4], v[136:137], -v[7:8]
	v_fma_f64 v[1:2], v[1:2], v[136:137], v[133:134]
	buffer_store_dword v4, off, s[0:3], 0 offset:468
	buffer_store_dword v3, off, s[0:3], 0 offset:464
	;; [unrolled: 1-line block ×4, first 2 shown]
.LBB125_139:
	s_or_b32 exec_lo, exec_lo, s4
	v_mov_b32_e32 v4, s47
	s_waitcnt_vscnt null, 0x0
	s_barrier
	buffer_gl0_inv
	s_mov_b32 s4, exec_lo
	s_clause 0x3
	buffer_load_dword v1, v4, s[0:3], 0 offen
	buffer_load_dword v2, v4, s[0:3], 0 offen offset:4
	buffer_load_dword v3, v4, s[0:3], 0 offen offset:8
	;; [unrolled: 1-line block ×3, first 2 shown]
	s_waitcnt vmcnt(0)
	ds_write_b128 v5, v[1:4]
	s_waitcnt lgkmcnt(0)
	s_barrier
	buffer_gl0_inv
	v_cmpx_gt_u32_e32 29, v0
	s_cbranch_execz .LBB125_143
; %bb.140:
	v_mov_b32_e32 v1, 0
	v_mov_b32_e32 v3, 0
	v_add_nc_u32_e32 v7, -1, v0
	v_add_nc_u32_e32 v8, 0x3e0, v135
	v_mov_b32_e32 v2, 0
	v_mov_b32_e32 v4, 0
	v_add_nc_u32_e32 v133, 16, v135
	s_mov_b32 s5, 0
	.p2align	6
.LBB125_141:                            ; =>This Inner Loop Header: Depth=1
	s_clause 0x3
	buffer_load_dword v140, v133, s[0:3], 0 offen offset:8
	buffer_load_dword v141, v133, s[0:3], 0 offen offset:12
	buffer_load_dword v142, v133, s[0:3], 0 offen
	buffer_load_dword v143, v133, s[0:3], 0 offen offset:4
	ds_read_b128 v[136:139], v8
	v_add_nc_u32_e32 v7, 1, v7
	v_add_nc_u32_e32 v8, 16, v8
	;; [unrolled: 1-line block ×3, first 2 shown]
	v_cmp_lt_u32_e32 vcc_lo, 27, v7
	s_or_b32 s5, vcc_lo, s5
	s_waitcnt vmcnt(2) lgkmcnt(0)
	v_mul_f64 v[144:145], v[138:139], v[140:141]
	v_mul_f64 v[140:141], v[136:137], v[140:141]
	s_waitcnt vmcnt(0)
	v_fma_f64 v[136:137], v[136:137], v[142:143], -v[144:145]
	v_fma_f64 v[138:139], v[138:139], v[142:143], v[140:141]
	v_add_f64 v[3:4], v[3:4], v[136:137]
	v_add_f64 v[1:2], v[1:2], v[138:139]
	s_andn2_b32 exec_lo, exec_lo, s5
	s_cbranch_execnz .LBB125_141
; %bb.142:
	s_or_b32 exec_lo, exec_lo, s5
	v_mov_b32_e32 v7, 0
	ds_read_b128 v[136:139], v7 offset:464
	s_waitcnt lgkmcnt(0)
	v_mul_f64 v[7:8], v[1:2], v[138:139]
	v_mul_f64 v[133:134], v[3:4], v[138:139]
	v_fma_f64 v[3:4], v[3:4], v[136:137], -v[7:8]
	v_fma_f64 v[1:2], v[1:2], v[136:137], v[133:134]
	buffer_store_dword v4, off, s[0:3], 0 offset:484
	buffer_store_dword v3, off, s[0:3], 0 offset:480
	;; [unrolled: 1-line block ×4, first 2 shown]
.LBB125_143:
	s_or_b32 exec_lo, exec_lo, s4
	v_mov_b32_e32 v4, s46
	s_waitcnt_vscnt null, 0x0
	s_barrier
	buffer_gl0_inv
	s_mov_b32 s4, exec_lo
	s_clause 0x3
	buffer_load_dword v1, v4, s[0:3], 0 offen
	buffer_load_dword v2, v4, s[0:3], 0 offen offset:4
	buffer_load_dword v3, v4, s[0:3], 0 offen offset:8
	;; [unrolled: 1-line block ×3, first 2 shown]
	s_waitcnt vmcnt(0)
	ds_write_b128 v5, v[1:4]
	s_waitcnt lgkmcnt(0)
	s_barrier
	buffer_gl0_inv
	v_cmpx_gt_u32_e32 30, v0
	s_cbranch_execz .LBB125_147
; %bb.144:
	v_mov_b32_e32 v1, 0
	v_mov_b32_e32 v3, 0
	v_add_nc_u32_e32 v7, -1, v0
	v_add_nc_u32_e32 v8, 0x3e0, v135
	v_mov_b32_e32 v2, 0
	v_mov_b32_e32 v4, 0
	v_add_nc_u32_e32 v133, 16, v135
	s_mov_b32 s5, 0
	.p2align	6
.LBB125_145:                            ; =>This Inner Loop Header: Depth=1
	s_clause 0x3
	buffer_load_dword v140, v133, s[0:3], 0 offen offset:8
	buffer_load_dword v141, v133, s[0:3], 0 offen offset:12
	buffer_load_dword v142, v133, s[0:3], 0 offen
	buffer_load_dword v143, v133, s[0:3], 0 offen offset:4
	ds_read_b128 v[136:139], v8
	v_add_nc_u32_e32 v7, 1, v7
	v_add_nc_u32_e32 v8, 16, v8
	;; [unrolled: 1-line block ×3, first 2 shown]
	v_cmp_lt_u32_e32 vcc_lo, 28, v7
	s_or_b32 s5, vcc_lo, s5
	s_waitcnt vmcnt(2) lgkmcnt(0)
	v_mul_f64 v[144:145], v[138:139], v[140:141]
	v_mul_f64 v[140:141], v[136:137], v[140:141]
	s_waitcnt vmcnt(0)
	v_fma_f64 v[136:137], v[136:137], v[142:143], -v[144:145]
	v_fma_f64 v[138:139], v[138:139], v[142:143], v[140:141]
	v_add_f64 v[3:4], v[3:4], v[136:137]
	v_add_f64 v[1:2], v[1:2], v[138:139]
	s_andn2_b32 exec_lo, exec_lo, s5
	s_cbranch_execnz .LBB125_145
; %bb.146:
	s_or_b32 exec_lo, exec_lo, s5
	v_mov_b32_e32 v7, 0
	ds_read_b128 v[136:139], v7 offset:480
	s_waitcnt lgkmcnt(0)
	v_mul_f64 v[7:8], v[1:2], v[138:139]
	v_mul_f64 v[133:134], v[3:4], v[138:139]
	v_fma_f64 v[3:4], v[3:4], v[136:137], -v[7:8]
	v_fma_f64 v[1:2], v[1:2], v[136:137], v[133:134]
	buffer_store_dword v4, off, s[0:3], 0 offset:500
	buffer_store_dword v3, off, s[0:3], 0 offset:496
	;; [unrolled: 1-line block ×4, first 2 shown]
.LBB125_147:
	s_or_b32 exec_lo, exec_lo, s4
	v_mov_b32_e32 v4, s45
	s_waitcnt_vscnt null, 0x0
	s_barrier
	buffer_gl0_inv
	s_mov_b32 s4, exec_lo
	s_clause 0x3
	buffer_load_dword v1, v4, s[0:3], 0 offen
	buffer_load_dword v2, v4, s[0:3], 0 offen offset:4
	buffer_load_dword v3, v4, s[0:3], 0 offen offset:8
	;; [unrolled: 1-line block ×3, first 2 shown]
	s_waitcnt vmcnt(0)
	ds_write_b128 v5, v[1:4]
	s_waitcnt lgkmcnt(0)
	s_barrier
	buffer_gl0_inv
	v_cmpx_gt_u32_e32 31, v0
	s_cbranch_execz .LBB125_151
; %bb.148:
	v_mov_b32_e32 v1, 0
	v_mov_b32_e32 v3, 0
	v_add_nc_u32_e32 v7, -1, v0
	v_add_nc_u32_e32 v8, 0x3e0, v135
	v_mov_b32_e32 v2, 0
	v_mov_b32_e32 v4, 0
	v_add_nc_u32_e32 v133, 16, v135
	s_mov_b32 s5, 0
	.p2align	6
.LBB125_149:                            ; =>This Inner Loop Header: Depth=1
	s_clause 0x3
	buffer_load_dword v140, v133, s[0:3], 0 offen offset:8
	buffer_load_dword v141, v133, s[0:3], 0 offen offset:12
	buffer_load_dword v142, v133, s[0:3], 0 offen
	buffer_load_dword v143, v133, s[0:3], 0 offen offset:4
	ds_read_b128 v[136:139], v8
	v_add_nc_u32_e32 v7, 1, v7
	v_add_nc_u32_e32 v8, 16, v8
	;; [unrolled: 1-line block ×3, first 2 shown]
	v_cmp_lt_u32_e32 vcc_lo, 29, v7
	s_or_b32 s5, vcc_lo, s5
	s_waitcnt vmcnt(2) lgkmcnt(0)
	v_mul_f64 v[144:145], v[138:139], v[140:141]
	v_mul_f64 v[140:141], v[136:137], v[140:141]
	s_waitcnt vmcnt(0)
	v_fma_f64 v[136:137], v[136:137], v[142:143], -v[144:145]
	v_fma_f64 v[138:139], v[138:139], v[142:143], v[140:141]
	v_add_f64 v[3:4], v[3:4], v[136:137]
	v_add_f64 v[1:2], v[1:2], v[138:139]
	s_andn2_b32 exec_lo, exec_lo, s5
	s_cbranch_execnz .LBB125_149
; %bb.150:
	s_or_b32 exec_lo, exec_lo, s5
	v_mov_b32_e32 v7, 0
	ds_read_b128 v[136:139], v7 offset:496
	s_waitcnt lgkmcnt(0)
	v_mul_f64 v[7:8], v[1:2], v[138:139]
	v_mul_f64 v[133:134], v[3:4], v[138:139]
	v_fma_f64 v[3:4], v[3:4], v[136:137], -v[7:8]
	v_fma_f64 v[1:2], v[1:2], v[136:137], v[133:134]
	buffer_store_dword v4, off, s[0:3], 0 offset:516
	buffer_store_dword v3, off, s[0:3], 0 offset:512
	;; [unrolled: 1-line block ×4, first 2 shown]
.LBB125_151:
	s_or_b32 exec_lo, exec_lo, s4
	v_mov_b32_e32 v4, s44
	s_waitcnt_vscnt null, 0x0
	s_barrier
	buffer_gl0_inv
	s_mov_b32 s4, exec_lo
	s_clause 0x3
	buffer_load_dword v1, v4, s[0:3], 0 offen
	buffer_load_dword v2, v4, s[0:3], 0 offen offset:4
	buffer_load_dword v3, v4, s[0:3], 0 offen offset:8
	;; [unrolled: 1-line block ×3, first 2 shown]
	s_waitcnt vmcnt(0)
	ds_write_b128 v5, v[1:4]
	s_waitcnt lgkmcnt(0)
	s_barrier
	buffer_gl0_inv
	v_cmpx_gt_u32_e32 32, v0
	s_cbranch_execz .LBB125_155
; %bb.152:
	v_mov_b32_e32 v1, 0
	v_mov_b32_e32 v3, 0
	v_add_nc_u32_e32 v7, -1, v0
	v_add_nc_u32_e32 v8, 0x3e0, v135
	v_mov_b32_e32 v2, 0
	v_mov_b32_e32 v4, 0
	v_add_nc_u32_e32 v133, 16, v135
	s_mov_b32 s5, 0
	.p2align	6
.LBB125_153:                            ; =>This Inner Loop Header: Depth=1
	s_clause 0x3
	buffer_load_dword v140, v133, s[0:3], 0 offen offset:8
	buffer_load_dword v141, v133, s[0:3], 0 offen offset:12
	buffer_load_dword v142, v133, s[0:3], 0 offen
	buffer_load_dword v143, v133, s[0:3], 0 offen offset:4
	ds_read_b128 v[136:139], v8
	v_add_nc_u32_e32 v7, 1, v7
	v_add_nc_u32_e32 v8, 16, v8
	v_add_nc_u32_e32 v133, 16, v133
	v_cmp_lt_u32_e32 vcc_lo, 30, v7
	s_or_b32 s5, vcc_lo, s5
	s_waitcnt vmcnt(2) lgkmcnt(0)
	v_mul_f64 v[144:145], v[138:139], v[140:141]
	v_mul_f64 v[140:141], v[136:137], v[140:141]
	s_waitcnt vmcnt(0)
	v_fma_f64 v[136:137], v[136:137], v[142:143], -v[144:145]
	v_fma_f64 v[138:139], v[138:139], v[142:143], v[140:141]
	v_add_f64 v[3:4], v[3:4], v[136:137]
	v_add_f64 v[1:2], v[1:2], v[138:139]
	s_andn2_b32 exec_lo, exec_lo, s5
	s_cbranch_execnz .LBB125_153
; %bb.154:
	s_or_b32 exec_lo, exec_lo, s5
	v_mov_b32_e32 v7, 0
	ds_read_b128 v[136:139], v7 offset:512
	s_waitcnt lgkmcnt(0)
	v_mul_f64 v[7:8], v[1:2], v[138:139]
	v_mul_f64 v[133:134], v[3:4], v[138:139]
	v_fma_f64 v[3:4], v[3:4], v[136:137], -v[7:8]
	v_fma_f64 v[1:2], v[1:2], v[136:137], v[133:134]
	buffer_store_dword v4, off, s[0:3], 0 offset:532
	buffer_store_dword v3, off, s[0:3], 0 offset:528
	;; [unrolled: 1-line block ×4, first 2 shown]
.LBB125_155:
	s_or_b32 exec_lo, exec_lo, s4
	v_mov_b32_e32 v4, s43
	s_waitcnt_vscnt null, 0x0
	s_barrier
	buffer_gl0_inv
	s_mov_b32 s4, exec_lo
	s_clause 0x3
	buffer_load_dword v1, v4, s[0:3], 0 offen
	buffer_load_dword v2, v4, s[0:3], 0 offen offset:4
	buffer_load_dword v3, v4, s[0:3], 0 offen offset:8
	;; [unrolled: 1-line block ×3, first 2 shown]
	s_waitcnt vmcnt(0)
	ds_write_b128 v5, v[1:4]
	s_waitcnt lgkmcnt(0)
	s_barrier
	buffer_gl0_inv
	v_cmpx_gt_u32_e32 33, v0
	s_cbranch_execz .LBB125_159
; %bb.156:
	v_mov_b32_e32 v1, 0
	v_mov_b32_e32 v3, 0
	v_add_nc_u32_e32 v7, -1, v0
	v_add_nc_u32_e32 v8, 0x3e0, v135
	v_mov_b32_e32 v2, 0
	v_mov_b32_e32 v4, 0
	v_add_nc_u32_e32 v133, 16, v135
	s_mov_b32 s5, 0
	.p2align	6
.LBB125_157:                            ; =>This Inner Loop Header: Depth=1
	s_clause 0x3
	buffer_load_dword v140, v133, s[0:3], 0 offen offset:8
	buffer_load_dword v141, v133, s[0:3], 0 offen offset:12
	buffer_load_dword v142, v133, s[0:3], 0 offen
	buffer_load_dword v143, v133, s[0:3], 0 offen offset:4
	ds_read_b128 v[136:139], v8
	v_add_nc_u32_e32 v7, 1, v7
	v_add_nc_u32_e32 v8, 16, v8
	;; [unrolled: 1-line block ×3, first 2 shown]
	v_cmp_lt_u32_e32 vcc_lo, 31, v7
	s_or_b32 s5, vcc_lo, s5
	s_waitcnt vmcnt(2) lgkmcnt(0)
	v_mul_f64 v[144:145], v[138:139], v[140:141]
	v_mul_f64 v[140:141], v[136:137], v[140:141]
	s_waitcnt vmcnt(0)
	v_fma_f64 v[136:137], v[136:137], v[142:143], -v[144:145]
	v_fma_f64 v[138:139], v[138:139], v[142:143], v[140:141]
	v_add_f64 v[3:4], v[3:4], v[136:137]
	v_add_f64 v[1:2], v[1:2], v[138:139]
	s_andn2_b32 exec_lo, exec_lo, s5
	s_cbranch_execnz .LBB125_157
; %bb.158:
	s_or_b32 exec_lo, exec_lo, s5
	v_mov_b32_e32 v7, 0
	ds_read_b128 v[136:139], v7 offset:528
	s_waitcnt lgkmcnt(0)
	v_mul_f64 v[7:8], v[1:2], v[138:139]
	v_mul_f64 v[133:134], v[3:4], v[138:139]
	v_fma_f64 v[3:4], v[3:4], v[136:137], -v[7:8]
	v_fma_f64 v[1:2], v[1:2], v[136:137], v[133:134]
	buffer_store_dword v4, off, s[0:3], 0 offset:548
	buffer_store_dword v3, off, s[0:3], 0 offset:544
	buffer_store_dword v2, off, s[0:3], 0 offset:556
	buffer_store_dword v1, off, s[0:3], 0 offset:552
.LBB125_159:
	s_or_b32 exec_lo, exec_lo, s4
	v_mov_b32_e32 v4, s42
	s_waitcnt_vscnt null, 0x0
	s_barrier
	buffer_gl0_inv
	s_mov_b32 s4, exec_lo
	s_clause 0x3
	buffer_load_dword v1, v4, s[0:3], 0 offen
	buffer_load_dword v2, v4, s[0:3], 0 offen offset:4
	buffer_load_dword v3, v4, s[0:3], 0 offen offset:8
	;; [unrolled: 1-line block ×3, first 2 shown]
	s_waitcnt vmcnt(0)
	ds_write_b128 v5, v[1:4]
	s_waitcnt lgkmcnt(0)
	s_barrier
	buffer_gl0_inv
	v_cmpx_gt_u32_e32 34, v0
	s_cbranch_execz .LBB125_163
; %bb.160:
	v_mov_b32_e32 v1, 0
	v_mov_b32_e32 v3, 0
	v_add_nc_u32_e32 v7, -1, v0
	v_add_nc_u32_e32 v8, 0x3e0, v135
	v_mov_b32_e32 v2, 0
	v_mov_b32_e32 v4, 0
	v_add_nc_u32_e32 v133, 16, v135
	s_mov_b32 s5, 0
	.p2align	6
.LBB125_161:                            ; =>This Inner Loop Header: Depth=1
	s_clause 0x3
	buffer_load_dword v140, v133, s[0:3], 0 offen offset:8
	buffer_load_dword v141, v133, s[0:3], 0 offen offset:12
	buffer_load_dword v142, v133, s[0:3], 0 offen
	buffer_load_dword v143, v133, s[0:3], 0 offen offset:4
	ds_read_b128 v[136:139], v8
	v_add_nc_u32_e32 v7, 1, v7
	v_add_nc_u32_e32 v8, 16, v8
	;; [unrolled: 1-line block ×3, first 2 shown]
	v_cmp_lt_u32_e32 vcc_lo, 32, v7
	s_or_b32 s5, vcc_lo, s5
	s_waitcnt vmcnt(2) lgkmcnt(0)
	v_mul_f64 v[144:145], v[138:139], v[140:141]
	v_mul_f64 v[140:141], v[136:137], v[140:141]
	s_waitcnt vmcnt(0)
	v_fma_f64 v[136:137], v[136:137], v[142:143], -v[144:145]
	v_fma_f64 v[138:139], v[138:139], v[142:143], v[140:141]
	v_add_f64 v[3:4], v[3:4], v[136:137]
	v_add_f64 v[1:2], v[1:2], v[138:139]
	s_andn2_b32 exec_lo, exec_lo, s5
	s_cbranch_execnz .LBB125_161
; %bb.162:
	s_or_b32 exec_lo, exec_lo, s5
	v_mov_b32_e32 v7, 0
	ds_read_b128 v[136:139], v7 offset:544
	s_waitcnt lgkmcnt(0)
	v_mul_f64 v[7:8], v[1:2], v[138:139]
	v_mul_f64 v[133:134], v[3:4], v[138:139]
	v_fma_f64 v[3:4], v[3:4], v[136:137], -v[7:8]
	v_fma_f64 v[1:2], v[1:2], v[136:137], v[133:134]
	buffer_store_dword v4, off, s[0:3], 0 offset:564
	buffer_store_dword v3, off, s[0:3], 0 offset:560
	;; [unrolled: 1-line block ×4, first 2 shown]
.LBB125_163:
	s_or_b32 exec_lo, exec_lo, s4
	v_mov_b32_e32 v4, s41
	s_waitcnt_vscnt null, 0x0
	s_barrier
	buffer_gl0_inv
	s_mov_b32 s4, exec_lo
	s_clause 0x3
	buffer_load_dword v1, v4, s[0:3], 0 offen
	buffer_load_dword v2, v4, s[0:3], 0 offen offset:4
	buffer_load_dword v3, v4, s[0:3], 0 offen offset:8
	;; [unrolled: 1-line block ×3, first 2 shown]
	s_waitcnt vmcnt(0)
	ds_write_b128 v5, v[1:4]
	s_waitcnt lgkmcnt(0)
	s_barrier
	buffer_gl0_inv
	v_cmpx_gt_u32_e32 35, v0
	s_cbranch_execz .LBB125_167
; %bb.164:
	v_mov_b32_e32 v1, 0
	v_mov_b32_e32 v3, 0
	v_add_nc_u32_e32 v7, -1, v0
	v_add_nc_u32_e32 v8, 0x3e0, v135
	v_mov_b32_e32 v2, 0
	v_mov_b32_e32 v4, 0
	v_add_nc_u32_e32 v133, 16, v135
	s_mov_b32 s5, 0
	.p2align	6
.LBB125_165:                            ; =>This Inner Loop Header: Depth=1
	s_clause 0x3
	buffer_load_dword v140, v133, s[0:3], 0 offen offset:8
	buffer_load_dword v141, v133, s[0:3], 0 offen offset:12
	buffer_load_dword v142, v133, s[0:3], 0 offen
	buffer_load_dword v143, v133, s[0:3], 0 offen offset:4
	ds_read_b128 v[136:139], v8
	v_add_nc_u32_e32 v7, 1, v7
	v_add_nc_u32_e32 v8, 16, v8
	;; [unrolled: 1-line block ×3, first 2 shown]
	v_cmp_lt_u32_e32 vcc_lo, 33, v7
	s_or_b32 s5, vcc_lo, s5
	s_waitcnt vmcnt(2) lgkmcnt(0)
	v_mul_f64 v[144:145], v[138:139], v[140:141]
	v_mul_f64 v[140:141], v[136:137], v[140:141]
	s_waitcnt vmcnt(0)
	v_fma_f64 v[136:137], v[136:137], v[142:143], -v[144:145]
	v_fma_f64 v[138:139], v[138:139], v[142:143], v[140:141]
	v_add_f64 v[3:4], v[3:4], v[136:137]
	v_add_f64 v[1:2], v[1:2], v[138:139]
	s_andn2_b32 exec_lo, exec_lo, s5
	s_cbranch_execnz .LBB125_165
; %bb.166:
	s_or_b32 exec_lo, exec_lo, s5
	v_mov_b32_e32 v7, 0
	ds_read_b128 v[136:139], v7 offset:560
	s_waitcnt lgkmcnt(0)
	v_mul_f64 v[7:8], v[1:2], v[138:139]
	v_mul_f64 v[133:134], v[3:4], v[138:139]
	v_fma_f64 v[3:4], v[3:4], v[136:137], -v[7:8]
	v_fma_f64 v[1:2], v[1:2], v[136:137], v[133:134]
	buffer_store_dword v4, off, s[0:3], 0 offset:580
	buffer_store_dword v3, off, s[0:3], 0 offset:576
	;; [unrolled: 1-line block ×4, first 2 shown]
.LBB125_167:
	s_or_b32 exec_lo, exec_lo, s4
	v_mov_b32_e32 v4, s40
	s_waitcnt_vscnt null, 0x0
	s_barrier
	buffer_gl0_inv
	s_mov_b32 s4, exec_lo
	s_clause 0x3
	buffer_load_dword v1, v4, s[0:3], 0 offen
	buffer_load_dword v2, v4, s[0:3], 0 offen offset:4
	buffer_load_dword v3, v4, s[0:3], 0 offen offset:8
	buffer_load_dword v4, v4, s[0:3], 0 offen offset:12
	s_waitcnt vmcnt(0)
	ds_write_b128 v5, v[1:4]
	s_waitcnt lgkmcnt(0)
	s_barrier
	buffer_gl0_inv
	v_cmpx_gt_u32_e32 36, v0
	s_cbranch_execz .LBB125_171
; %bb.168:
	v_mov_b32_e32 v1, 0
	v_mov_b32_e32 v3, 0
	v_add_nc_u32_e32 v7, -1, v0
	v_add_nc_u32_e32 v8, 0x3e0, v135
	v_mov_b32_e32 v2, 0
	v_mov_b32_e32 v4, 0
	v_add_nc_u32_e32 v133, 16, v135
	s_mov_b32 s5, 0
	.p2align	6
.LBB125_169:                            ; =>This Inner Loop Header: Depth=1
	s_clause 0x3
	buffer_load_dword v140, v133, s[0:3], 0 offen offset:8
	buffer_load_dword v141, v133, s[0:3], 0 offen offset:12
	buffer_load_dword v142, v133, s[0:3], 0 offen
	buffer_load_dword v143, v133, s[0:3], 0 offen offset:4
	ds_read_b128 v[136:139], v8
	v_add_nc_u32_e32 v7, 1, v7
	v_add_nc_u32_e32 v8, 16, v8
	;; [unrolled: 1-line block ×3, first 2 shown]
	v_cmp_lt_u32_e32 vcc_lo, 34, v7
	s_or_b32 s5, vcc_lo, s5
	s_waitcnt vmcnt(2) lgkmcnt(0)
	v_mul_f64 v[144:145], v[138:139], v[140:141]
	v_mul_f64 v[140:141], v[136:137], v[140:141]
	s_waitcnt vmcnt(0)
	v_fma_f64 v[136:137], v[136:137], v[142:143], -v[144:145]
	v_fma_f64 v[138:139], v[138:139], v[142:143], v[140:141]
	v_add_f64 v[3:4], v[3:4], v[136:137]
	v_add_f64 v[1:2], v[1:2], v[138:139]
	s_andn2_b32 exec_lo, exec_lo, s5
	s_cbranch_execnz .LBB125_169
; %bb.170:
	s_or_b32 exec_lo, exec_lo, s5
	v_mov_b32_e32 v7, 0
	ds_read_b128 v[136:139], v7 offset:576
	s_waitcnt lgkmcnt(0)
	v_mul_f64 v[7:8], v[1:2], v[138:139]
	v_mul_f64 v[133:134], v[3:4], v[138:139]
	v_fma_f64 v[3:4], v[3:4], v[136:137], -v[7:8]
	v_fma_f64 v[1:2], v[1:2], v[136:137], v[133:134]
	buffer_store_dword v4, off, s[0:3], 0 offset:596
	buffer_store_dword v3, off, s[0:3], 0 offset:592
	;; [unrolled: 1-line block ×4, first 2 shown]
.LBB125_171:
	s_or_b32 exec_lo, exec_lo, s4
	v_mov_b32_e32 v4, s39
	s_waitcnt_vscnt null, 0x0
	s_barrier
	buffer_gl0_inv
	s_mov_b32 s4, exec_lo
	s_clause 0x3
	buffer_load_dword v1, v4, s[0:3], 0 offen
	buffer_load_dword v2, v4, s[0:3], 0 offen offset:4
	buffer_load_dword v3, v4, s[0:3], 0 offen offset:8
	;; [unrolled: 1-line block ×3, first 2 shown]
	s_waitcnt vmcnt(0)
	ds_write_b128 v5, v[1:4]
	s_waitcnt lgkmcnt(0)
	s_barrier
	buffer_gl0_inv
	v_cmpx_gt_u32_e32 37, v0
	s_cbranch_execz .LBB125_175
; %bb.172:
	v_mov_b32_e32 v1, 0
	v_mov_b32_e32 v3, 0
	v_add_nc_u32_e32 v7, -1, v0
	v_add_nc_u32_e32 v8, 0x3e0, v135
	v_mov_b32_e32 v2, 0
	v_mov_b32_e32 v4, 0
	v_add_nc_u32_e32 v133, 16, v135
	s_mov_b32 s5, 0
	.p2align	6
.LBB125_173:                            ; =>This Inner Loop Header: Depth=1
	s_clause 0x3
	buffer_load_dword v140, v133, s[0:3], 0 offen offset:8
	buffer_load_dword v141, v133, s[0:3], 0 offen offset:12
	buffer_load_dword v142, v133, s[0:3], 0 offen
	buffer_load_dword v143, v133, s[0:3], 0 offen offset:4
	ds_read_b128 v[136:139], v8
	v_add_nc_u32_e32 v7, 1, v7
	v_add_nc_u32_e32 v8, 16, v8
	v_add_nc_u32_e32 v133, 16, v133
	v_cmp_lt_u32_e32 vcc_lo, 35, v7
	s_or_b32 s5, vcc_lo, s5
	s_waitcnt vmcnt(2) lgkmcnt(0)
	v_mul_f64 v[144:145], v[138:139], v[140:141]
	v_mul_f64 v[140:141], v[136:137], v[140:141]
	s_waitcnt vmcnt(0)
	v_fma_f64 v[136:137], v[136:137], v[142:143], -v[144:145]
	v_fma_f64 v[138:139], v[138:139], v[142:143], v[140:141]
	v_add_f64 v[3:4], v[3:4], v[136:137]
	v_add_f64 v[1:2], v[1:2], v[138:139]
	s_andn2_b32 exec_lo, exec_lo, s5
	s_cbranch_execnz .LBB125_173
; %bb.174:
	s_or_b32 exec_lo, exec_lo, s5
	v_mov_b32_e32 v7, 0
	ds_read_b128 v[136:139], v7 offset:592
	s_waitcnt lgkmcnt(0)
	v_mul_f64 v[7:8], v[1:2], v[138:139]
	v_mul_f64 v[133:134], v[3:4], v[138:139]
	v_fma_f64 v[3:4], v[3:4], v[136:137], -v[7:8]
	v_fma_f64 v[1:2], v[1:2], v[136:137], v[133:134]
	buffer_store_dword v4, off, s[0:3], 0 offset:612
	buffer_store_dword v3, off, s[0:3], 0 offset:608
	;; [unrolled: 1-line block ×4, first 2 shown]
.LBB125_175:
	s_or_b32 exec_lo, exec_lo, s4
	v_mov_b32_e32 v4, s38
	s_waitcnt_vscnt null, 0x0
	s_barrier
	buffer_gl0_inv
	s_mov_b32 s4, exec_lo
	s_clause 0x3
	buffer_load_dword v1, v4, s[0:3], 0 offen
	buffer_load_dword v2, v4, s[0:3], 0 offen offset:4
	buffer_load_dword v3, v4, s[0:3], 0 offen offset:8
	buffer_load_dword v4, v4, s[0:3], 0 offen offset:12
	s_waitcnt vmcnt(0)
	ds_write_b128 v5, v[1:4]
	s_waitcnt lgkmcnt(0)
	s_barrier
	buffer_gl0_inv
	v_cmpx_gt_u32_e32 38, v0
	s_cbranch_execz .LBB125_179
; %bb.176:
	v_mov_b32_e32 v1, 0
	v_mov_b32_e32 v3, 0
	v_add_nc_u32_e32 v7, -1, v0
	v_add_nc_u32_e32 v8, 0x3e0, v135
	v_mov_b32_e32 v2, 0
	v_mov_b32_e32 v4, 0
	v_add_nc_u32_e32 v133, 16, v135
	s_mov_b32 s5, 0
	.p2align	6
.LBB125_177:                            ; =>This Inner Loop Header: Depth=1
	s_clause 0x3
	buffer_load_dword v140, v133, s[0:3], 0 offen offset:8
	buffer_load_dword v141, v133, s[0:3], 0 offen offset:12
	buffer_load_dword v142, v133, s[0:3], 0 offen
	buffer_load_dword v143, v133, s[0:3], 0 offen offset:4
	ds_read_b128 v[136:139], v8
	v_add_nc_u32_e32 v7, 1, v7
	v_add_nc_u32_e32 v8, 16, v8
	;; [unrolled: 1-line block ×3, first 2 shown]
	v_cmp_lt_u32_e32 vcc_lo, 36, v7
	s_or_b32 s5, vcc_lo, s5
	s_waitcnt vmcnt(2) lgkmcnt(0)
	v_mul_f64 v[144:145], v[138:139], v[140:141]
	v_mul_f64 v[140:141], v[136:137], v[140:141]
	s_waitcnt vmcnt(0)
	v_fma_f64 v[136:137], v[136:137], v[142:143], -v[144:145]
	v_fma_f64 v[138:139], v[138:139], v[142:143], v[140:141]
	v_add_f64 v[3:4], v[3:4], v[136:137]
	v_add_f64 v[1:2], v[1:2], v[138:139]
	s_andn2_b32 exec_lo, exec_lo, s5
	s_cbranch_execnz .LBB125_177
; %bb.178:
	s_or_b32 exec_lo, exec_lo, s5
	v_mov_b32_e32 v7, 0
	ds_read_b128 v[136:139], v7 offset:608
	s_waitcnt lgkmcnt(0)
	v_mul_f64 v[7:8], v[1:2], v[138:139]
	v_mul_f64 v[133:134], v[3:4], v[138:139]
	v_fma_f64 v[3:4], v[3:4], v[136:137], -v[7:8]
	v_fma_f64 v[1:2], v[1:2], v[136:137], v[133:134]
	buffer_store_dword v4, off, s[0:3], 0 offset:628
	buffer_store_dword v3, off, s[0:3], 0 offset:624
	;; [unrolled: 1-line block ×4, first 2 shown]
.LBB125_179:
	s_or_b32 exec_lo, exec_lo, s4
	v_mov_b32_e32 v4, s37
	s_waitcnt_vscnt null, 0x0
	s_barrier
	buffer_gl0_inv
	s_mov_b32 s4, exec_lo
	s_clause 0x3
	buffer_load_dword v1, v4, s[0:3], 0 offen
	buffer_load_dword v2, v4, s[0:3], 0 offen offset:4
	buffer_load_dword v3, v4, s[0:3], 0 offen offset:8
	;; [unrolled: 1-line block ×3, first 2 shown]
	s_waitcnt vmcnt(0)
	ds_write_b128 v5, v[1:4]
	s_waitcnt lgkmcnt(0)
	s_barrier
	buffer_gl0_inv
	v_cmpx_gt_u32_e32 39, v0
	s_cbranch_execz .LBB125_183
; %bb.180:
	v_mov_b32_e32 v1, 0
	v_mov_b32_e32 v3, 0
	v_add_nc_u32_e32 v7, -1, v0
	v_add_nc_u32_e32 v8, 0x3e0, v135
	v_mov_b32_e32 v2, 0
	v_mov_b32_e32 v4, 0
	v_add_nc_u32_e32 v133, 16, v135
	s_mov_b32 s5, 0
	.p2align	6
.LBB125_181:                            ; =>This Inner Loop Header: Depth=1
	s_clause 0x3
	buffer_load_dword v140, v133, s[0:3], 0 offen offset:8
	buffer_load_dword v141, v133, s[0:3], 0 offen offset:12
	buffer_load_dword v142, v133, s[0:3], 0 offen
	buffer_load_dword v143, v133, s[0:3], 0 offen offset:4
	ds_read_b128 v[136:139], v8
	v_add_nc_u32_e32 v7, 1, v7
	v_add_nc_u32_e32 v8, 16, v8
	;; [unrolled: 1-line block ×3, first 2 shown]
	v_cmp_lt_u32_e32 vcc_lo, 37, v7
	s_or_b32 s5, vcc_lo, s5
	s_waitcnt vmcnt(2) lgkmcnt(0)
	v_mul_f64 v[144:145], v[138:139], v[140:141]
	v_mul_f64 v[140:141], v[136:137], v[140:141]
	s_waitcnt vmcnt(0)
	v_fma_f64 v[136:137], v[136:137], v[142:143], -v[144:145]
	v_fma_f64 v[138:139], v[138:139], v[142:143], v[140:141]
	v_add_f64 v[3:4], v[3:4], v[136:137]
	v_add_f64 v[1:2], v[1:2], v[138:139]
	s_andn2_b32 exec_lo, exec_lo, s5
	s_cbranch_execnz .LBB125_181
; %bb.182:
	s_or_b32 exec_lo, exec_lo, s5
	v_mov_b32_e32 v7, 0
	ds_read_b128 v[136:139], v7 offset:624
	s_waitcnt lgkmcnt(0)
	v_mul_f64 v[7:8], v[1:2], v[138:139]
	v_mul_f64 v[133:134], v[3:4], v[138:139]
	v_fma_f64 v[3:4], v[3:4], v[136:137], -v[7:8]
	v_fma_f64 v[1:2], v[1:2], v[136:137], v[133:134]
	buffer_store_dword v4, off, s[0:3], 0 offset:644
	buffer_store_dword v3, off, s[0:3], 0 offset:640
	;; [unrolled: 1-line block ×4, first 2 shown]
.LBB125_183:
	s_or_b32 exec_lo, exec_lo, s4
	v_mov_b32_e32 v4, s36
	s_waitcnt_vscnt null, 0x0
	s_barrier
	buffer_gl0_inv
	s_mov_b32 s4, exec_lo
	s_clause 0x3
	buffer_load_dword v1, v4, s[0:3], 0 offen
	buffer_load_dword v2, v4, s[0:3], 0 offen offset:4
	buffer_load_dword v3, v4, s[0:3], 0 offen offset:8
	buffer_load_dword v4, v4, s[0:3], 0 offen offset:12
	s_waitcnt vmcnt(0)
	ds_write_b128 v5, v[1:4]
	s_waitcnt lgkmcnt(0)
	s_barrier
	buffer_gl0_inv
	v_cmpx_gt_u32_e32 40, v0
	s_cbranch_execz .LBB125_187
; %bb.184:
	v_mov_b32_e32 v1, 0
	v_mov_b32_e32 v3, 0
	v_add_nc_u32_e32 v7, -1, v0
	v_add_nc_u32_e32 v8, 0x3e0, v135
	v_mov_b32_e32 v2, 0
	v_mov_b32_e32 v4, 0
	v_add_nc_u32_e32 v133, 16, v135
	s_mov_b32 s5, 0
	.p2align	6
.LBB125_185:                            ; =>This Inner Loop Header: Depth=1
	s_clause 0x3
	buffer_load_dword v140, v133, s[0:3], 0 offen offset:8
	buffer_load_dword v141, v133, s[0:3], 0 offen offset:12
	buffer_load_dword v142, v133, s[0:3], 0 offen
	buffer_load_dword v143, v133, s[0:3], 0 offen offset:4
	ds_read_b128 v[136:139], v8
	v_add_nc_u32_e32 v7, 1, v7
	v_add_nc_u32_e32 v8, 16, v8
	;; [unrolled: 1-line block ×3, first 2 shown]
	v_cmp_lt_u32_e32 vcc_lo, 38, v7
	s_or_b32 s5, vcc_lo, s5
	s_waitcnt vmcnt(2) lgkmcnt(0)
	v_mul_f64 v[144:145], v[138:139], v[140:141]
	v_mul_f64 v[140:141], v[136:137], v[140:141]
	s_waitcnt vmcnt(0)
	v_fma_f64 v[136:137], v[136:137], v[142:143], -v[144:145]
	v_fma_f64 v[138:139], v[138:139], v[142:143], v[140:141]
	v_add_f64 v[3:4], v[3:4], v[136:137]
	v_add_f64 v[1:2], v[1:2], v[138:139]
	s_andn2_b32 exec_lo, exec_lo, s5
	s_cbranch_execnz .LBB125_185
; %bb.186:
	s_or_b32 exec_lo, exec_lo, s5
	v_mov_b32_e32 v7, 0
	ds_read_b128 v[136:139], v7 offset:640
	s_waitcnt lgkmcnt(0)
	v_mul_f64 v[7:8], v[1:2], v[138:139]
	v_mul_f64 v[133:134], v[3:4], v[138:139]
	v_fma_f64 v[3:4], v[3:4], v[136:137], -v[7:8]
	v_fma_f64 v[1:2], v[1:2], v[136:137], v[133:134]
	buffer_store_dword v4, off, s[0:3], 0 offset:660
	buffer_store_dword v3, off, s[0:3], 0 offset:656
	;; [unrolled: 1-line block ×4, first 2 shown]
.LBB125_187:
	s_or_b32 exec_lo, exec_lo, s4
	v_mov_b32_e32 v4, s35
	s_waitcnt_vscnt null, 0x0
	s_barrier
	buffer_gl0_inv
	s_mov_b32 s4, exec_lo
	s_clause 0x3
	buffer_load_dword v1, v4, s[0:3], 0 offen
	buffer_load_dword v2, v4, s[0:3], 0 offen offset:4
	buffer_load_dword v3, v4, s[0:3], 0 offen offset:8
	;; [unrolled: 1-line block ×3, first 2 shown]
	s_waitcnt vmcnt(0)
	ds_write_b128 v5, v[1:4]
	s_waitcnt lgkmcnt(0)
	s_barrier
	buffer_gl0_inv
	v_cmpx_gt_u32_e32 41, v0
	s_cbranch_execz .LBB125_191
; %bb.188:
	v_mov_b32_e32 v1, 0
	v_mov_b32_e32 v3, 0
	v_add_nc_u32_e32 v7, -1, v0
	v_add_nc_u32_e32 v8, 0x3e0, v135
	v_mov_b32_e32 v2, 0
	v_mov_b32_e32 v4, 0
	v_add_nc_u32_e32 v133, 16, v135
	s_mov_b32 s5, 0
	.p2align	6
.LBB125_189:                            ; =>This Inner Loop Header: Depth=1
	s_clause 0x3
	buffer_load_dword v140, v133, s[0:3], 0 offen offset:8
	buffer_load_dword v141, v133, s[0:3], 0 offen offset:12
	buffer_load_dword v142, v133, s[0:3], 0 offen
	buffer_load_dword v143, v133, s[0:3], 0 offen offset:4
	ds_read_b128 v[136:139], v8
	v_add_nc_u32_e32 v7, 1, v7
	v_add_nc_u32_e32 v8, 16, v8
	;; [unrolled: 1-line block ×3, first 2 shown]
	v_cmp_lt_u32_e32 vcc_lo, 39, v7
	s_or_b32 s5, vcc_lo, s5
	s_waitcnt vmcnt(2) lgkmcnt(0)
	v_mul_f64 v[144:145], v[138:139], v[140:141]
	v_mul_f64 v[140:141], v[136:137], v[140:141]
	s_waitcnt vmcnt(0)
	v_fma_f64 v[136:137], v[136:137], v[142:143], -v[144:145]
	v_fma_f64 v[138:139], v[138:139], v[142:143], v[140:141]
	v_add_f64 v[3:4], v[3:4], v[136:137]
	v_add_f64 v[1:2], v[1:2], v[138:139]
	s_andn2_b32 exec_lo, exec_lo, s5
	s_cbranch_execnz .LBB125_189
; %bb.190:
	s_or_b32 exec_lo, exec_lo, s5
	v_mov_b32_e32 v7, 0
	ds_read_b128 v[136:139], v7 offset:656
	s_waitcnt lgkmcnt(0)
	v_mul_f64 v[7:8], v[1:2], v[138:139]
	v_mul_f64 v[133:134], v[3:4], v[138:139]
	v_fma_f64 v[3:4], v[3:4], v[136:137], -v[7:8]
	v_fma_f64 v[1:2], v[1:2], v[136:137], v[133:134]
	buffer_store_dword v4, off, s[0:3], 0 offset:676
	buffer_store_dword v3, off, s[0:3], 0 offset:672
	buffer_store_dword v2, off, s[0:3], 0 offset:684
	buffer_store_dword v1, off, s[0:3], 0 offset:680
.LBB125_191:
	s_or_b32 exec_lo, exec_lo, s4
	v_mov_b32_e32 v4, s34
	s_waitcnt_vscnt null, 0x0
	s_barrier
	buffer_gl0_inv
	s_mov_b32 s4, exec_lo
	s_clause 0x3
	buffer_load_dword v1, v4, s[0:3], 0 offen
	buffer_load_dword v2, v4, s[0:3], 0 offen offset:4
	buffer_load_dword v3, v4, s[0:3], 0 offen offset:8
	;; [unrolled: 1-line block ×3, first 2 shown]
	s_waitcnt vmcnt(0)
	ds_write_b128 v5, v[1:4]
	s_waitcnt lgkmcnt(0)
	s_barrier
	buffer_gl0_inv
	v_cmpx_gt_u32_e32 42, v0
	s_cbranch_execz .LBB125_195
; %bb.192:
	v_mov_b32_e32 v1, 0
	v_mov_b32_e32 v3, 0
	v_add_nc_u32_e32 v7, -1, v0
	v_add_nc_u32_e32 v8, 0x3e0, v135
	v_mov_b32_e32 v2, 0
	v_mov_b32_e32 v4, 0
	v_add_nc_u32_e32 v133, 16, v135
	s_mov_b32 s5, 0
	.p2align	6
.LBB125_193:                            ; =>This Inner Loop Header: Depth=1
	s_clause 0x3
	buffer_load_dword v140, v133, s[0:3], 0 offen offset:8
	buffer_load_dword v141, v133, s[0:3], 0 offen offset:12
	buffer_load_dword v142, v133, s[0:3], 0 offen
	buffer_load_dword v143, v133, s[0:3], 0 offen offset:4
	ds_read_b128 v[136:139], v8
	v_add_nc_u32_e32 v7, 1, v7
	v_add_nc_u32_e32 v8, 16, v8
	;; [unrolled: 1-line block ×3, first 2 shown]
	v_cmp_lt_u32_e32 vcc_lo, 40, v7
	s_or_b32 s5, vcc_lo, s5
	s_waitcnt vmcnt(2) lgkmcnt(0)
	v_mul_f64 v[144:145], v[138:139], v[140:141]
	v_mul_f64 v[140:141], v[136:137], v[140:141]
	s_waitcnt vmcnt(0)
	v_fma_f64 v[136:137], v[136:137], v[142:143], -v[144:145]
	v_fma_f64 v[138:139], v[138:139], v[142:143], v[140:141]
	v_add_f64 v[3:4], v[3:4], v[136:137]
	v_add_f64 v[1:2], v[1:2], v[138:139]
	s_andn2_b32 exec_lo, exec_lo, s5
	s_cbranch_execnz .LBB125_193
; %bb.194:
	s_or_b32 exec_lo, exec_lo, s5
	v_mov_b32_e32 v7, 0
	ds_read_b128 v[136:139], v7 offset:672
	s_waitcnt lgkmcnt(0)
	v_mul_f64 v[7:8], v[1:2], v[138:139]
	v_mul_f64 v[133:134], v[3:4], v[138:139]
	v_fma_f64 v[3:4], v[3:4], v[136:137], -v[7:8]
	v_fma_f64 v[1:2], v[1:2], v[136:137], v[133:134]
	buffer_store_dword v4, off, s[0:3], 0 offset:692
	buffer_store_dword v3, off, s[0:3], 0 offset:688
	;; [unrolled: 1-line block ×4, first 2 shown]
.LBB125_195:
	s_or_b32 exec_lo, exec_lo, s4
	v_mov_b32_e32 v4, s33
	s_waitcnt_vscnt null, 0x0
	s_barrier
	buffer_gl0_inv
	s_mov_b32 s4, exec_lo
	s_clause 0x3
	buffer_load_dword v1, v4, s[0:3], 0 offen
	buffer_load_dword v2, v4, s[0:3], 0 offen offset:4
	buffer_load_dword v3, v4, s[0:3], 0 offen offset:8
	;; [unrolled: 1-line block ×3, first 2 shown]
	s_waitcnt vmcnt(0)
	ds_write_b128 v5, v[1:4]
	s_waitcnt lgkmcnt(0)
	s_barrier
	buffer_gl0_inv
	v_cmpx_gt_u32_e32 43, v0
	s_cbranch_execz .LBB125_199
; %bb.196:
	v_mov_b32_e32 v1, 0
	v_mov_b32_e32 v3, 0
	v_add_nc_u32_e32 v7, -1, v0
	v_add_nc_u32_e32 v8, 0x3e0, v135
	v_mov_b32_e32 v2, 0
	v_mov_b32_e32 v4, 0
	v_add_nc_u32_e32 v133, 16, v135
	s_mov_b32 s5, 0
	.p2align	6
.LBB125_197:                            ; =>This Inner Loop Header: Depth=1
	s_clause 0x3
	buffer_load_dword v140, v133, s[0:3], 0 offen offset:8
	buffer_load_dword v141, v133, s[0:3], 0 offen offset:12
	buffer_load_dword v142, v133, s[0:3], 0 offen
	buffer_load_dword v143, v133, s[0:3], 0 offen offset:4
	ds_read_b128 v[136:139], v8
	v_add_nc_u32_e32 v7, 1, v7
	v_add_nc_u32_e32 v8, 16, v8
	;; [unrolled: 1-line block ×3, first 2 shown]
	v_cmp_lt_u32_e32 vcc_lo, 41, v7
	s_or_b32 s5, vcc_lo, s5
	s_waitcnt vmcnt(2) lgkmcnt(0)
	v_mul_f64 v[144:145], v[138:139], v[140:141]
	v_mul_f64 v[140:141], v[136:137], v[140:141]
	s_waitcnt vmcnt(0)
	v_fma_f64 v[136:137], v[136:137], v[142:143], -v[144:145]
	v_fma_f64 v[138:139], v[138:139], v[142:143], v[140:141]
	v_add_f64 v[3:4], v[3:4], v[136:137]
	v_add_f64 v[1:2], v[1:2], v[138:139]
	s_andn2_b32 exec_lo, exec_lo, s5
	s_cbranch_execnz .LBB125_197
; %bb.198:
	s_or_b32 exec_lo, exec_lo, s5
	v_mov_b32_e32 v7, 0
	ds_read_b128 v[136:139], v7 offset:688
	s_waitcnt lgkmcnt(0)
	v_mul_f64 v[7:8], v[1:2], v[138:139]
	v_mul_f64 v[133:134], v[3:4], v[138:139]
	v_fma_f64 v[3:4], v[3:4], v[136:137], -v[7:8]
	v_fma_f64 v[1:2], v[1:2], v[136:137], v[133:134]
	buffer_store_dword v4, off, s[0:3], 0 offset:708
	buffer_store_dword v3, off, s[0:3], 0 offset:704
	;; [unrolled: 1-line block ×4, first 2 shown]
.LBB125_199:
	s_or_b32 exec_lo, exec_lo, s4
	v_mov_b32_e32 v4, s31
	s_waitcnt_vscnt null, 0x0
	s_barrier
	buffer_gl0_inv
	s_mov_b32 s4, exec_lo
	s_clause 0x3
	buffer_load_dword v1, v4, s[0:3], 0 offen
	buffer_load_dword v2, v4, s[0:3], 0 offen offset:4
	buffer_load_dword v3, v4, s[0:3], 0 offen offset:8
	;; [unrolled: 1-line block ×3, first 2 shown]
	s_waitcnt vmcnt(0)
	ds_write_b128 v5, v[1:4]
	s_waitcnt lgkmcnt(0)
	s_barrier
	buffer_gl0_inv
	v_cmpx_gt_u32_e32 44, v0
	s_cbranch_execz .LBB125_203
; %bb.200:
	v_mov_b32_e32 v1, 0
	v_mov_b32_e32 v3, 0
	v_add_nc_u32_e32 v7, -1, v0
	v_add_nc_u32_e32 v8, 0x3e0, v135
	v_mov_b32_e32 v2, 0
	v_mov_b32_e32 v4, 0
	v_add_nc_u32_e32 v133, 16, v135
	s_mov_b32 s5, 0
	.p2align	6
.LBB125_201:                            ; =>This Inner Loop Header: Depth=1
	s_clause 0x3
	buffer_load_dword v140, v133, s[0:3], 0 offen offset:8
	buffer_load_dword v141, v133, s[0:3], 0 offen offset:12
	buffer_load_dword v142, v133, s[0:3], 0 offen
	buffer_load_dword v143, v133, s[0:3], 0 offen offset:4
	ds_read_b128 v[136:139], v8
	v_add_nc_u32_e32 v7, 1, v7
	v_add_nc_u32_e32 v8, 16, v8
	;; [unrolled: 1-line block ×3, first 2 shown]
	v_cmp_lt_u32_e32 vcc_lo, 42, v7
	s_or_b32 s5, vcc_lo, s5
	s_waitcnt vmcnt(2) lgkmcnt(0)
	v_mul_f64 v[144:145], v[138:139], v[140:141]
	v_mul_f64 v[140:141], v[136:137], v[140:141]
	s_waitcnt vmcnt(0)
	v_fma_f64 v[136:137], v[136:137], v[142:143], -v[144:145]
	v_fma_f64 v[138:139], v[138:139], v[142:143], v[140:141]
	v_add_f64 v[3:4], v[3:4], v[136:137]
	v_add_f64 v[1:2], v[1:2], v[138:139]
	s_andn2_b32 exec_lo, exec_lo, s5
	s_cbranch_execnz .LBB125_201
; %bb.202:
	s_or_b32 exec_lo, exec_lo, s5
	v_mov_b32_e32 v7, 0
	ds_read_b128 v[136:139], v7 offset:704
	s_waitcnt lgkmcnt(0)
	v_mul_f64 v[7:8], v[1:2], v[138:139]
	v_mul_f64 v[133:134], v[3:4], v[138:139]
	v_fma_f64 v[3:4], v[3:4], v[136:137], -v[7:8]
	v_fma_f64 v[1:2], v[1:2], v[136:137], v[133:134]
	buffer_store_dword v4, off, s[0:3], 0 offset:724
	buffer_store_dword v3, off, s[0:3], 0 offset:720
	;; [unrolled: 1-line block ×4, first 2 shown]
.LBB125_203:
	s_or_b32 exec_lo, exec_lo, s4
	v_mov_b32_e32 v4, s30
	s_waitcnt_vscnt null, 0x0
	s_barrier
	buffer_gl0_inv
	s_mov_b32 s4, exec_lo
	s_clause 0x3
	buffer_load_dword v1, v4, s[0:3], 0 offen
	buffer_load_dword v2, v4, s[0:3], 0 offen offset:4
	buffer_load_dword v3, v4, s[0:3], 0 offen offset:8
	;; [unrolled: 1-line block ×3, first 2 shown]
	s_waitcnt vmcnt(0)
	ds_write_b128 v5, v[1:4]
	s_waitcnt lgkmcnt(0)
	s_barrier
	buffer_gl0_inv
	v_cmpx_gt_u32_e32 45, v0
	s_cbranch_execz .LBB125_207
; %bb.204:
	v_mov_b32_e32 v1, 0
	v_mov_b32_e32 v3, 0
	v_add_nc_u32_e32 v7, -1, v0
	v_add_nc_u32_e32 v8, 0x3e0, v135
	v_mov_b32_e32 v2, 0
	v_mov_b32_e32 v4, 0
	v_add_nc_u32_e32 v133, 16, v135
	s_mov_b32 s5, 0
	.p2align	6
.LBB125_205:                            ; =>This Inner Loop Header: Depth=1
	s_clause 0x3
	buffer_load_dword v140, v133, s[0:3], 0 offen offset:8
	buffer_load_dword v141, v133, s[0:3], 0 offen offset:12
	buffer_load_dword v142, v133, s[0:3], 0 offen
	buffer_load_dword v143, v133, s[0:3], 0 offen offset:4
	ds_read_b128 v[136:139], v8
	v_add_nc_u32_e32 v7, 1, v7
	v_add_nc_u32_e32 v8, 16, v8
	;; [unrolled: 1-line block ×3, first 2 shown]
	v_cmp_lt_u32_e32 vcc_lo, 43, v7
	s_or_b32 s5, vcc_lo, s5
	s_waitcnt vmcnt(2) lgkmcnt(0)
	v_mul_f64 v[144:145], v[138:139], v[140:141]
	v_mul_f64 v[140:141], v[136:137], v[140:141]
	s_waitcnt vmcnt(0)
	v_fma_f64 v[136:137], v[136:137], v[142:143], -v[144:145]
	v_fma_f64 v[138:139], v[138:139], v[142:143], v[140:141]
	v_add_f64 v[3:4], v[3:4], v[136:137]
	v_add_f64 v[1:2], v[1:2], v[138:139]
	s_andn2_b32 exec_lo, exec_lo, s5
	s_cbranch_execnz .LBB125_205
; %bb.206:
	s_or_b32 exec_lo, exec_lo, s5
	v_mov_b32_e32 v7, 0
	ds_read_b128 v[136:139], v7 offset:720
	s_waitcnt lgkmcnt(0)
	v_mul_f64 v[7:8], v[1:2], v[138:139]
	v_mul_f64 v[133:134], v[3:4], v[138:139]
	v_fma_f64 v[3:4], v[3:4], v[136:137], -v[7:8]
	v_fma_f64 v[1:2], v[1:2], v[136:137], v[133:134]
	buffer_store_dword v4, off, s[0:3], 0 offset:740
	buffer_store_dword v3, off, s[0:3], 0 offset:736
	;; [unrolled: 1-line block ×4, first 2 shown]
.LBB125_207:
	s_or_b32 exec_lo, exec_lo, s4
	v_mov_b32_e32 v4, s29
	s_waitcnt_vscnt null, 0x0
	s_barrier
	buffer_gl0_inv
	s_mov_b32 s4, exec_lo
	s_clause 0x3
	buffer_load_dword v1, v4, s[0:3], 0 offen
	buffer_load_dword v2, v4, s[0:3], 0 offen offset:4
	buffer_load_dword v3, v4, s[0:3], 0 offen offset:8
	;; [unrolled: 1-line block ×3, first 2 shown]
	s_waitcnt vmcnt(0)
	ds_write_b128 v5, v[1:4]
	s_waitcnt lgkmcnt(0)
	s_barrier
	buffer_gl0_inv
	v_cmpx_gt_u32_e32 46, v0
	s_cbranch_execz .LBB125_211
; %bb.208:
	v_mov_b32_e32 v1, 0
	v_mov_b32_e32 v3, 0
	v_add_nc_u32_e32 v7, -1, v0
	v_add_nc_u32_e32 v8, 0x3e0, v135
	v_mov_b32_e32 v2, 0
	v_mov_b32_e32 v4, 0
	v_add_nc_u32_e32 v133, 16, v135
	s_mov_b32 s5, 0
	.p2align	6
.LBB125_209:                            ; =>This Inner Loop Header: Depth=1
	s_clause 0x3
	buffer_load_dword v140, v133, s[0:3], 0 offen offset:8
	buffer_load_dword v141, v133, s[0:3], 0 offen offset:12
	buffer_load_dword v142, v133, s[0:3], 0 offen
	buffer_load_dword v143, v133, s[0:3], 0 offen offset:4
	ds_read_b128 v[136:139], v8
	v_add_nc_u32_e32 v7, 1, v7
	v_add_nc_u32_e32 v8, 16, v8
	;; [unrolled: 1-line block ×3, first 2 shown]
	v_cmp_lt_u32_e32 vcc_lo, 44, v7
	s_or_b32 s5, vcc_lo, s5
	s_waitcnt vmcnt(2) lgkmcnt(0)
	v_mul_f64 v[144:145], v[138:139], v[140:141]
	v_mul_f64 v[140:141], v[136:137], v[140:141]
	s_waitcnt vmcnt(0)
	v_fma_f64 v[136:137], v[136:137], v[142:143], -v[144:145]
	v_fma_f64 v[138:139], v[138:139], v[142:143], v[140:141]
	v_add_f64 v[3:4], v[3:4], v[136:137]
	v_add_f64 v[1:2], v[1:2], v[138:139]
	s_andn2_b32 exec_lo, exec_lo, s5
	s_cbranch_execnz .LBB125_209
; %bb.210:
	s_or_b32 exec_lo, exec_lo, s5
	v_mov_b32_e32 v7, 0
	ds_read_b128 v[136:139], v7 offset:736
	s_waitcnt lgkmcnt(0)
	v_mul_f64 v[7:8], v[1:2], v[138:139]
	v_mul_f64 v[133:134], v[3:4], v[138:139]
	v_fma_f64 v[3:4], v[3:4], v[136:137], -v[7:8]
	v_fma_f64 v[1:2], v[1:2], v[136:137], v[133:134]
	buffer_store_dword v4, off, s[0:3], 0 offset:756
	buffer_store_dword v3, off, s[0:3], 0 offset:752
	buffer_store_dword v2, off, s[0:3], 0 offset:764
	buffer_store_dword v1, off, s[0:3], 0 offset:760
.LBB125_211:
	s_or_b32 exec_lo, exec_lo, s4
	v_mov_b32_e32 v4, s28
	s_waitcnt_vscnt null, 0x0
	s_barrier
	buffer_gl0_inv
	s_mov_b32 s4, exec_lo
	s_clause 0x3
	buffer_load_dword v1, v4, s[0:3], 0 offen
	buffer_load_dword v2, v4, s[0:3], 0 offen offset:4
	buffer_load_dword v3, v4, s[0:3], 0 offen offset:8
	;; [unrolled: 1-line block ×3, first 2 shown]
	s_waitcnt vmcnt(0)
	ds_write_b128 v5, v[1:4]
	s_waitcnt lgkmcnt(0)
	s_barrier
	buffer_gl0_inv
	v_cmpx_gt_u32_e32 47, v0
	s_cbranch_execz .LBB125_215
; %bb.212:
	v_mov_b32_e32 v1, 0
	v_mov_b32_e32 v3, 0
	v_add_nc_u32_e32 v7, -1, v0
	v_add_nc_u32_e32 v8, 0x3e0, v135
	v_mov_b32_e32 v2, 0
	v_mov_b32_e32 v4, 0
	v_add_nc_u32_e32 v133, 16, v135
	s_mov_b32 s5, 0
	.p2align	6
.LBB125_213:                            ; =>This Inner Loop Header: Depth=1
	s_clause 0x3
	buffer_load_dword v140, v133, s[0:3], 0 offen offset:8
	buffer_load_dword v141, v133, s[0:3], 0 offen offset:12
	buffer_load_dword v142, v133, s[0:3], 0 offen
	buffer_load_dword v143, v133, s[0:3], 0 offen offset:4
	ds_read_b128 v[136:139], v8
	v_add_nc_u32_e32 v7, 1, v7
	v_add_nc_u32_e32 v8, 16, v8
	;; [unrolled: 1-line block ×3, first 2 shown]
	v_cmp_lt_u32_e32 vcc_lo, 45, v7
	s_or_b32 s5, vcc_lo, s5
	s_waitcnt vmcnt(2) lgkmcnt(0)
	v_mul_f64 v[144:145], v[138:139], v[140:141]
	v_mul_f64 v[140:141], v[136:137], v[140:141]
	s_waitcnt vmcnt(0)
	v_fma_f64 v[136:137], v[136:137], v[142:143], -v[144:145]
	v_fma_f64 v[138:139], v[138:139], v[142:143], v[140:141]
	v_add_f64 v[3:4], v[3:4], v[136:137]
	v_add_f64 v[1:2], v[1:2], v[138:139]
	s_andn2_b32 exec_lo, exec_lo, s5
	s_cbranch_execnz .LBB125_213
; %bb.214:
	s_or_b32 exec_lo, exec_lo, s5
	v_mov_b32_e32 v7, 0
	ds_read_b128 v[136:139], v7 offset:752
	s_waitcnt lgkmcnt(0)
	v_mul_f64 v[7:8], v[1:2], v[138:139]
	v_mul_f64 v[133:134], v[3:4], v[138:139]
	v_fma_f64 v[3:4], v[3:4], v[136:137], -v[7:8]
	v_fma_f64 v[1:2], v[1:2], v[136:137], v[133:134]
	buffer_store_dword v4, off, s[0:3], 0 offset:772
	buffer_store_dword v3, off, s[0:3], 0 offset:768
	;; [unrolled: 1-line block ×4, first 2 shown]
.LBB125_215:
	s_or_b32 exec_lo, exec_lo, s4
	v_mov_b32_e32 v4, s27
	s_waitcnt_vscnt null, 0x0
	s_barrier
	buffer_gl0_inv
	s_mov_b32 s4, exec_lo
	s_clause 0x3
	buffer_load_dword v1, v4, s[0:3], 0 offen
	buffer_load_dword v2, v4, s[0:3], 0 offen offset:4
	buffer_load_dword v3, v4, s[0:3], 0 offen offset:8
	;; [unrolled: 1-line block ×3, first 2 shown]
	s_waitcnt vmcnt(0)
	ds_write_b128 v5, v[1:4]
	s_waitcnt lgkmcnt(0)
	s_barrier
	buffer_gl0_inv
	v_cmpx_gt_u32_e32 48, v0
	s_cbranch_execz .LBB125_219
; %bb.216:
	v_mov_b32_e32 v1, 0
	v_mov_b32_e32 v3, 0
	v_add_nc_u32_e32 v7, -1, v0
	v_add_nc_u32_e32 v8, 0x3e0, v135
	v_mov_b32_e32 v2, 0
	v_mov_b32_e32 v4, 0
	v_add_nc_u32_e32 v133, 16, v135
	s_mov_b32 s5, 0
	.p2align	6
.LBB125_217:                            ; =>This Inner Loop Header: Depth=1
	s_clause 0x3
	buffer_load_dword v140, v133, s[0:3], 0 offen offset:8
	buffer_load_dword v141, v133, s[0:3], 0 offen offset:12
	buffer_load_dword v142, v133, s[0:3], 0 offen
	buffer_load_dword v143, v133, s[0:3], 0 offen offset:4
	ds_read_b128 v[136:139], v8
	v_add_nc_u32_e32 v7, 1, v7
	v_add_nc_u32_e32 v8, 16, v8
	;; [unrolled: 1-line block ×3, first 2 shown]
	v_cmp_lt_u32_e32 vcc_lo, 46, v7
	s_or_b32 s5, vcc_lo, s5
	s_waitcnt vmcnt(2) lgkmcnt(0)
	v_mul_f64 v[144:145], v[138:139], v[140:141]
	v_mul_f64 v[140:141], v[136:137], v[140:141]
	s_waitcnt vmcnt(0)
	v_fma_f64 v[136:137], v[136:137], v[142:143], -v[144:145]
	v_fma_f64 v[138:139], v[138:139], v[142:143], v[140:141]
	v_add_f64 v[3:4], v[3:4], v[136:137]
	v_add_f64 v[1:2], v[1:2], v[138:139]
	s_andn2_b32 exec_lo, exec_lo, s5
	s_cbranch_execnz .LBB125_217
; %bb.218:
	s_or_b32 exec_lo, exec_lo, s5
	v_mov_b32_e32 v7, 0
	ds_read_b128 v[136:139], v7 offset:768
	s_waitcnt lgkmcnt(0)
	v_mul_f64 v[7:8], v[1:2], v[138:139]
	v_mul_f64 v[133:134], v[3:4], v[138:139]
	v_fma_f64 v[3:4], v[3:4], v[136:137], -v[7:8]
	v_fma_f64 v[1:2], v[1:2], v[136:137], v[133:134]
	buffer_store_dword v4, off, s[0:3], 0 offset:788
	buffer_store_dword v3, off, s[0:3], 0 offset:784
	;; [unrolled: 1-line block ×4, first 2 shown]
.LBB125_219:
	s_or_b32 exec_lo, exec_lo, s4
	v_mov_b32_e32 v4, s26
	s_waitcnt_vscnt null, 0x0
	s_barrier
	buffer_gl0_inv
	s_mov_b32 s4, exec_lo
	s_clause 0x3
	buffer_load_dword v1, v4, s[0:3], 0 offen
	buffer_load_dword v2, v4, s[0:3], 0 offen offset:4
	buffer_load_dword v3, v4, s[0:3], 0 offen offset:8
	;; [unrolled: 1-line block ×3, first 2 shown]
	s_waitcnt vmcnt(0)
	ds_write_b128 v5, v[1:4]
	s_waitcnt lgkmcnt(0)
	s_barrier
	buffer_gl0_inv
	v_cmpx_gt_u32_e32 49, v0
	s_cbranch_execz .LBB125_223
; %bb.220:
	v_mov_b32_e32 v1, 0
	v_mov_b32_e32 v3, 0
	v_add_nc_u32_e32 v7, -1, v0
	v_add_nc_u32_e32 v8, 0x3e0, v135
	v_mov_b32_e32 v2, 0
	v_mov_b32_e32 v4, 0
	v_add_nc_u32_e32 v133, 16, v135
	s_mov_b32 s5, 0
	.p2align	6
.LBB125_221:                            ; =>This Inner Loop Header: Depth=1
	s_clause 0x3
	buffer_load_dword v140, v133, s[0:3], 0 offen offset:8
	buffer_load_dword v141, v133, s[0:3], 0 offen offset:12
	buffer_load_dword v142, v133, s[0:3], 0 offen
	buffer_load_dword v143, v133, s[0:3], 0 offen offset:4
	ds_read_b128 v[136:139], v8
	v_add_nc_u32_e32 v7, 1, v7
	v_add_nc_u32_e32 v8, 16, v8
	;; [unrolled: 1-line block ×3, first 2 shown]
	v_cmp_lt_u32_e32 vcc_lo, 47, v7
	s_or_b32 s5, vcc_lo, s5
	s_waitcnt vmcnt(2) lgkmcnt(0)
	v_mul_f64 v[144:145], v[138:139], v[140:141]
	v_mul_f64 v[140:141], v[136:137], v[140:141]
	s_waitcnt vmcnt(0)
	v_fma_f64 v[136:137], v[136:137], v[142:143], -v[144:145]
	v_fma_f64 v[138:139], v[138:139], v[142:143], v[140:141]
	v_add_f64 v[3:4], v[3:4], v[136:137]
	v_add_f64 v[1:2], v[1:2], v[138:139]
	s_andn2_b32 exec_lo, exec_lo, s5
	s_cbranch_execnz .LBB125_221
; %bb.222:
	s_or_b32 exec_lo, exec_lo, s5
	v_mov_b32_e32 v7, 0
	ds_read_b128 v[136:139], v7 offset:784
	s_waitcnt lgkmcnt(0)
	v_mul_f64 v[7:8], v[1:2], v[138:139]
	v_mul_f64 v[133:134], v[3:4], v[138:139]
	v_fma_f64 v[3:4], v[3:4], v[136:137], -v[7:8]
	v_fma_f64 v[1:2], v[1:2], v[136:137], v[133:134]
	buffer_store_dword v4, off, s[0:3], 0 offset:804
	buffer_store_dword v3, off, s[0:3], 0 offset:800
	;; [unrolled: 1-line block ×4, first 2 shown]
.LBB125_223:
	s_or_b32 exec_lo, exec_lo, s4
	v_mov_b32_e32 v4, s25
	s_waitcnt_vscnt null, 0x0
	s_barrier
	buffer_gl0_inv
	s_mov_b32 s4, exec_lo
	s_clause 0x3
	buffer_load_dword v1, v4, s[0:3], 0 offen
	buffer_load_dword v2, v4, s[0:3], 0 offen offset:4
	buffer_load_dword v3, v4, s[0:3], 0 offen offset:8
	;; [unrolled: 1-line block ×3, first 2 shown]
	s_waitcnt vmcnt(0)
	ds_write_b128 v5, v[1:4]
	s_waitcnt lgkmcnt(0)
	s_barrier
	buffer_gl0_inv
	v_cmpx_gt_u32_e32 50, v0
	s_cbranch_execz .LBB125_227
; %bb.224:
	v_mov_b32_e32 v1, 0
	v_mov_b32_e32 v3, 0
	v_add_nc_u32_e32 v7, -1, v0
	v_add_nc_u32_e32 v8, 0x3e0, v135
	v_mov_b32_e32 v2, 0
	v_mov_b32_e32 v4, 0
	v_add_nc_u32_e32 v133, 16, v135
	s_mov_b32 s5, 0
	.p2align	6
.LBB125_225:                            ; =>This Inner Loop Header: Depth=1
	s_clause 0x3
	buffer_load_dword v140, v133, s[0:3], 0 offen offset:8
	buffer_load_dword v141, v133, s[0:3], 0 offen offset:12
	buffer_load_dword v142, v133, s[0:3], 0 offen
	buffer_load_dword v143, v133, s[0:3], 0 offen offset:4
	ds_read_b128 v[136:139], v8
	v_add_nc_u32_e32 v7, 1, v7
	v_add_nc_u32_e32 v8, 16, v8
	;; [unrolled: 1-line block ×3, first 2 shown]
	v_cmp_lt_u32_e32 vcc_lo, 48, v7
	s_or_b32 s5, vcc_lo, s5
	s_waitcnt vmcnt(2) lgkmcnt(0)
	v_mul_f64 v[144:145], v[138:139], v[140:141]
	v_mul_f64 v[140:141], v[136:137], v[140:141]
	s_waitcnt vmcnt(0)
	v_fma_f64 v[136:137], v[136:137], v[142:143], -v[144:145]
	v_fma_f64 v[138:139], v[138:139], v[142:143], v[140:141]
	v_add_f64 v[3:4], v[3:4], v[136:137]
	v_add_f64 v[1:2], v[1:2], v[138:139]
	s_andn2_b32 exec_lo, exec_lo, s5
	s_cbranch_execnz .LBB125_225
; %bb.226:
	s_or_b32 exec_lo, exec_lo, s5
	v_mov_b32_e32 v7, 0
	ds_read_b128 v[136:139], v7 offset:800
	s_waitcnt lgkmcnt(0)
	v_mul_f64 v[7:8], v[1:2], v[138:139]
	v_mul_f64 v[133:134], v[3:4], v[138:139]
	v_fma_f64 v[3:4], v[3:4], v[136:137], -v[7:8]
	v_fma_f64 v[1:2], v[1:2], v[136:137], v[133:134]
	buffer_store_dword v4, off, s[0:3], 0 offset:820
	buffer_store_dword v3, off, s[0:3], 0 offset:816
	;; [unrolled: 1-line block ×4, first 2 shown]
.LBB125_227:
	s_or_b32 exec_lo, exec_lo, s4
	v_mov_b32_e32 v4, s24
	s_waitcnt_vscnt null, 0x0
	s_barrier
	buffer_gl0_inv
	s_mov_b32 s4, exec_lo
	s_clause 0x3
	buffer_load_dword v1, v4, s[0:3], 0 offen
	buffer_load_dword v2, v4, s[0:3], 0 offen offset:4
	buffer_load_dword v3, v4, s[0:3], 0 offen offset:8
	;; [unrolled: 1-line block ×3, first 2 shown]
	s_waitcnt vmcnt(0)
	ds_write_b128 v5, v[1:4]
	s_waitcnt lgkmcnt(0)
	s_barrier
	buffer_gl0_inv
	v_cmpx_gt_u32_e32 51, v0
	s_cbranch_execz .LBB125_231
; %bb.228:
	v_mov_b32_e32 v1, 0
	v_mov_b32_e32 v3, 0
	v_add_nc_u32_e32 v7, -1, v0
	v_add_nc_u32_e32 v8, 0x3e0, v135
	v_mov_b32_e32 v2, 0
	v_mov_b32_e32 v4, 0
	v_add_nc_u32_e32 v133, 16, v135
	s_mov_b32 s5, 0
	.p2align	6
.LBB125_229:                            ; =>This Inner Loop Header: Depth=1
	s_clause 0x3
	buffer_load_dword v140, v133, s[0:3], 0 offen offset:8
	buffer_load_dword v141, v133, s[0:3], 0 offen offset:12
	buffer_load_dword v142, v133, s[0:3], 0 offen
	buffer_load_dword v143, v133, s[0:3], 0 offen offset:4
	ds_read_b128 v[136:139], v8
	v_add_nc_u32_e32 v7, 1, v7
	v_add_nc_u32_e32 v8, 16, v8
	;; [unrolled: 1-line block ×3, first 2 shown]
	v_cmp_lt_u32_e32 vcc_lo, 49, v7
	s_or_b32 s5, vcc_lo, s5
	s_waitcnt vmcnt(2) lgkmcnt(0)
	v_mul_f64 v[144:145], v[138:139], v[140:141]
	v_mul_f64 v[140:141], v[136:137], v[140:141]
	s_waitcnt vmcnt(0)
	v_fma_f64 v[136:137], v[136:137], v[142:143], -v[144:145]
	v_fma_f64 v[138:139], v[138:139], v[142:143], v[140:141]
	v_add_f64 v[3:4], v[3:4], v[136:137]
	v_add_f64 v[1:2], v[1:2], v[138:139]
	s_andn2_b32 exec_lo, exec_lo, s5
	s_cbranch_execnz .LBB125_229
; %bb.230:
	s_or_b32 exec_lo, exec_lo, s5
	v_mov_b32_e32 v7, 0
	ds_read_b128 v[136:139], v7 offset:816
	s_waitcnt lgkmcnt(0)
	v_mul_f64 v[7:8], v[1:2], v[138:139]
	v_mul_f64 v[133:134], v[3:4], v[138:139]
	v_fma_f64 v[3:4], v[3:4], v[136:137], -v[7:8]
	v_fma_f64 v[1:2], v[1:2], v[136:137], v[133:134]
	buffer_store_dword v4, off, s[0:3], 0 offset:836
	buffer_store_dword v3, off, s[0:3], 0 offset:832
	buffer_store_dword v2, off, s[0:3], 0 offset:844
	buffer_store_dword v1, off, s[0:3], 0 offset:840
.LBB125_231:
	s_or_b32 exec_lo, exec_lo, s4
	v_mov_b32_e32 v4, s23
	s_waitcnt_vscnt null, 0x0
	s_barrier
	buffer_gl0_inv
	s_mov_b32 s4, exec_lo
	s_clause 0x3
	buffer_load_dword v1, v4, s[0:3], 0 offen
	buffer_load_dword v2, v4, s[0:3], 0 offen offset:4
	buffer_load_dword v3, v4, s[0:3], 0 offen offset:8
	;; [unrolled: 1-line block ×3, first 2 shown]
	s_waitcnt vmcnt(0)
	ds_write_b128 v5, v[1:4]
	s_waitcnt lgkmcnt(0)
	s_barrier
	buffer_gl0_inv
	v_cmpx_gt_u32_e32 52, v0
	s_cbranch_execz .LBB125_235
; %bb.232:
	v_mov_b32_e32 v1, 0
	v_mov_b32_e32 v3, 0
	v_add_nc_u32_e32 v7, -1, v0
	v_add_nc_u32_e32 v8, 0x3e0, v135
	v_mov_b32_e32 v2, 0
	v_mov_b32_e32 v4, 0
	v_add_nc_u32_e32 v133, 16, v135
	s_mov_b32 s5, 0
	.p2align	6
.LBB125_233:                            ; =>This Inner Loop Header: Depth=1
	s_clause 0x3
	buffer_load_dword v140, v133, s[0:3], 0 offen offset:8
	buffer_load_dword v141, v133, s[0:3], 0 offen offset:12
	buffer_load_dword v142, v133, s[0:3], 0 offen
	buffer_load_dword v143, v133, s[0:3], 0 offen offset:4
	ds_read_b128 v[136:139], v8
	v_add_nc_u32_e32 v7, 1, v7
	v_add_nc_u32_e32 v8, 16, v8
	;; [unrolled: 1-line block ×3, first 2 shown]
	v_cmp_lt_u32_e32 vcc_lo, 50, v7
	s_or_b32 s5, vcc_lo, s5
	s_waitcnt vmcnt(2) lgkmcnt(0)
	v_mul_f64 v[144:145], v[138:139], v[140:141]
	v_mul_f64 v[140:141], v[136:137], v[140:141]
	s_waitcnt vmcnt(0)
	v_fma_f64 v[136:137], v[136:137], v[142:143], -v[144:145]
	v_fma_f64 v[138:139], v[138:139], v[142:143], v[140:141]
	v_add_f64 v[3:4], v[3:4], v[136:137]
	v_add_f64 v[1:2], v[1:2], v[138:139]
	s_andn2_b32 exec_lo, exec_lo, s5
	s_cbranch_execnz .LBB125_233
; %bb.234:
	s_or_b32 exec_lo, exec_lo, s5
	v_mov_b32_e32 v7, 0
	ds_read_b128 v[136:139], v7 offset:832
	s_waitcnt lgkmcnt(0)
	v_mul_f64 v[7:8], v[1:2], v[138:139]
	v_mul_f64 v[133:134], v[3:4], v[138:139]
	v_fma_f64 v[3:4], v[3:4], v[136:137], -v[7:8]
	v_fma_f64 v[1:2], v[1:2], v[136:137], v[133:134]
	buffer_store_dword v4, off, s[0:3], 0 offset:852
	buffer_store_dword v3, off, s[0:3], 0 offset:848
	;; [unrolled: 1-line block ×4, first 2 shown]
.LBB125_235:
	s_or_b32 exec_lo, exec_lo, s4
	v_mov_b32_e32 v4, s22
	s_waitcnt_vscnt null, 0x0
	s_barrier
	buffer_gl0_inv
	s_mov_b32 s4, exec_lo
	s_clause 0x3
	buffer_load_dword v1, v4, s[0:3], 0 offen
	buffer_load_dword v2, v4, s[0:3], 0 offen offset:4
	buffer_load_dword v3, v4, s[0:3], 0 offen offset:8
	;; [unrolled: 1-line block ×3, first 2 shown]
	s_waitcnt vmcnt(0)
	ds_write_b128 v5, v[1:4]
	s_waitcnt lgkmcnt(0)
	s_barrier
	buffer_gl0_inv
	v_cmpx_gt_u32_e32 53, v0
	s_cbranch_execz .LBB125_239
; %bb.236:
	v_mov_b32_e32 v1, 0
	v_mov_b32_e32 v3, 0
	v_add_nc_u32_e32 v7, -1, v0
	v_add_nc_u32_e32 v8, 0x3e0, v135
	v_mov_b32_e32 v2, 0
	v_mov_b32_e32 v4, 0
	v_add_nc_u32_e32 v133, 16, v135
	s_mov_b32 s5, 0
	.p2align	6
.LBB125_237:                            ; =>This Inner Loop Header: Depth=1
	s_clause 0x3
	buffer_load_dword v140, v133, s[0:3], 0 offen offset:8
	buffer_load_dword v141, v133, s[0:3], 0 offen offset:12
	buffer_load_dword v142, v133, s[0:3], 0 offen
	buffer_load_dword v143, v133, s[0:3], 0 offen offset:4
	ds_read_b128 v[136:139], v8
	v_add_nc_u32_e32 v7, 1, v7
	v_add_nc_u32_e32 v8, 16, v8
	;; [unrolled: 1-line block ×3, first 2 shown]
	v_cmp_lt_u32_e32 vcc_lo, 51, v7
	s_or_b32 s5, vcc_lo, s5
	s_waitcnt vmcnt(2) lgkmcnt(0)
	v_mul_f64 v[144:145], v[138:139], v[140:141]
	v_mul_f64 v[140:141], v[136:137], v[140:141]
	s_waitcnt vmcnt(0)
	v_fma_f64 v[136:137], v[136:137], v[142:143], -v[144:145]
	v_fma_f64 v[138:139], v[138:139], v[142:143], v[140:141]
	v_add_f64 v[3:4], v[3:4], v[136:137]
	v_add_f64 v[1:2], v[1:2], v[138:139]
	s_andn2_b32 exec_lo, exec_lo, s5
	s_cbranch_execnz .LBB125_237
; %bb.238:
	s_or_b32 exec_lo, exec_lo, s5
	v_mov_b32_e32 v7, 0
	ds_read_b128 v[136:139], v7 offset:848
	s_waitcnt lgkmcnt(0)
	v_mul_f64 v[7:8], v[1:2], v[138:139]
	v_mul_f64 v[133:134], v[3:4], v[138:139]
	v_fma_f64 v[3:4], v[3:4], v[136:137], -v[7:8]
	v_fma_f64 v[1:2], v[1:2], v[136:137], v[133:134]
	buffer_store_dword v4, off, s[0:3], 0 offset:868
	buffer_store_dword v3, off, s[0:3], 0 offset:864
	;; [unrolled: 1-line block ×4, first 2 shown]
.LBB125_239:
	s_or_b32 exec_lo, exec_lo, s4
	v_mov_b32_e32 v4, s21
	s_waitcnt_vscnt null, 0x0
	s_barrier
	buffer_gl0_inv
	s_mov_b32 s4, exec_lo
	s_clause 0x3
	buffer_load_dword v1, v4, s[0:3], 0 offen
	buffer_load_dword v2, v4, s[0:3], 0 offen offset:4
	buffer_load_dword v3, v4, s[0:3], 0 offen offset:8
	;; [unrolled: 1-line block ×3, first 2 shown]
	s_waitcnt vmcnt(0)
	ds_write_b128 v5, v[1:4]
	s_waitcnt lgkmcnt(0)
	s_barrier
	buffer_gl0_inv
	v_cmpx_gt_u32_e32 54, v0
	s_cbranch_execz .LBB125_243
; %bb.240:
	v_mov_b32_e32 v1, 0
	v_mov_b32_e32 v3, 0
	v_add_nc_u32_e32 v7, -1, v0
	v_add_nc_u32_e32 v8, 0x3e0, v135
	v_mov_b32_e32 v2, 0
	v_mov_b32_e32 v4, 0
	v_add_nc_u32_e32 v133, 16, v135
	s_mov_b32 s5, 0
	.p2align	6
.LBB125_241:                            ; =>This Inner Loop Header: Depth=1
	s_clause 0x3
	buffer_load_dword v140, v133, s[0:3], 0 offen offset:8
	buffer_load_dword v141, v133, s[0:3], 0 offen offset:12
	buffer_load_dword v142, v133, s[0:3], 0 offen
	buffer_load_dword v143, v133, s[0:3], 0 offen offset:4
	ds_read_b128 v[136:139], v8
	v_add_nc_u32_e32 v7, 1, v7
	v_add_nc_u32_e32 v8, 16, v8
	;; [unrolled: 1-line block ×3, first 2 shown]
	v_cmp_lt_u32_e32 vcc_lo, 52, v7
	s_or_b32 s5, vcc_lo, s5
	s_waitcnt vmcnt(2) lgkmcnt(0)
	v_mul_f64 v[144:145], v[138:139], v[140:141]
	v_mul_f64 v[140:141], v[136:137], v[140:141]
	s_waitcnt vmcnt(0)
	v_fma_f64 v[136:137], v[136:137], v[142:143], -v[144:145]
	v_fma_f64 v[138:139], v[138:139], v[142:143], v[140:141]
	v_add_f64 v[3:4], v[3:4], v[136:137]
	v_add_f64 v[1:2], v[1:2], v[138:139]
	s_andn2_b32 exec_lo, exec_lo, s5
	s_cbranch_execnz .LBB125_241
; %bb.242:
	s_or_b32 exec_lo, exec_lo, s5
	v_mov_b32_e32 v7, 0
	ds_read_b128 v[136:139], v7 offset:864
	s_waitcnt lgkmcnt(0)
	v_mul_f64 v[7:8], v[1:2], v[138:139]
	v_mul_f64 v[133:134], v[3:4], v[138:139]
	v_fma_f64 v[3:4], v[3:4], v[136:137], -v[7:8]
	v_fma_f64 v[1:2], v[1:2], v[136:137], v[133:134]
	buffer_store_dword v4, off, s[0:3], 0 offset:884
	buffer_store_dword v3, off, s[0:3], 0 offset:880
	;; [unrolled: 1-line block ×4, first 2 shown]
.LBB125_243:
	s_or_b32 exec_lo, exec_lo, s4
	v_mov_b32_e32 v4, s20
	s_waitcnt_vscnt null, 0x0
	s_barrier
	buffer_gl0_inv
	s_mov_b32 s4, exec_lo
	s_clause 0x3
	buffer_load_dword v1, v4, s[0:3], 0 offen
	buffer_load_dword v2, v4, s[0:3], 0 offen offset:4
	buffer_load_dword v3, v4, s[0:3], 0 offen offset:8
	;; [unrolled: 1-line block ×3, first 2 shown]
	s_waitcnt vmcnt(0)
	ds_write_b128 v5, v[1:4]
	s_waitcnt lgkmcnt(0)
	s_barrier
	buffer_gl0_inv
	v_cmpx_gt_u32_e32 55, v0
	s_cbranch_execz .LBB125_247
; %bb.244:
	v_mov_b32_e32 v1, 0
	v_mov_b32_e32 v3, 0
	v_add_nc_u32_e32 v7, -1, v0
	v_add_nc_u32_e32 v8, 0x3e0, v135
	v_mov_b32_e32 v2, 0
	v_mov_b32_e32 v4, 0
	v_add_nc_u32_e32 v133, 16, v135
	s_mov_b32 s5, 0
	.p2align	6
.LBB125_245:                            ; =>This Inner Loop Header: Depth=1
	s_clause 0x3
	buffer_load_dword v140, v133, s[0:3], 0 offen offset:8
	buffer_load_dword v141, v133, s[0:3], 0 offen offset:12
	buffer_load_dword v142, v133, s[0:3], 0 offen
	buffer_load_dword v143, v133, s[0:3], 0 offen offset:4
	ds_read_b128 v[136:139], v8
	v_add_nc_u32_e32 v7, 1, v7
	v_add_nc_u32_e32 v8, 16, v8
	;; [unrolled: 1-line block ×3, first 2 shown]
	v_cmp_lt_u32_e32 vcc_lo, 53, v7
	s_or_b32 s5, vcc_lo, s5
	s_waitcnt vmcnt(2) lgkmcnt(0)
	v_mul_f64 v[144:145], v[138:139], v[140:141]
	v_mul_f64 v[140:141], v[136:137], v[140:141]
	s_waitcnt vmcnt(0)
	v_fma_f64 v[136:137], v[136:137], v[142:143], -v[144:145]
	v_fma_f64 v[138:139], v[138:139], v[142:143], v[140:141]
	v_add_f64 v[3:4], v[3:4], v[136:137]
	v_add_f64 v[1:2], v[1:2], v[138:139]
	s_andn2_b32 exec_lo, exec_lo, s5
	s_cbranch_execnz .LBB125_245
; %bb.246:
	s_or_b32 exec_lo, exec_lo, s5
	v_mov_b32_e32 v7, 0
	ds_read_b128 v[136:139], v7 offset:880
	s_waitcnt lgkmcnt(0)
	v_mul_f64 v[7:8], v[1:2], v[138:139]
	v_mul_f64 v[133:134], v[3:4], v[138:139]
	v_fma_f64 v[3:4], v[3:4], v[136:137], -v[7:8]
	v_fma_f64 v[1:2], v[1:2], v[136:137], v[133:134]
	buffer_store_dword v4, off, s[0:3], 0 offset:900
	buffer_store_dword v3, off, s[0:3], 0 offset:896
	;; [unrolled: 1-line block ×4, first 2 shown]
.LBB125_247:
	s_or_b32 exec_lo, exec_lo, s4
	v_mov_b32_e32 v4, s19
	s_waitcnt_vscnt null, 0x0
	s_barrier
	buffer_gl0_inv
	s_mov_b32 s4, exec_lo
	s_clause 0x3
	buffer_load_dword v1, v4, s[0:3], 0 offen
	buffer_load_dword v2, v4, s[0:3], 0 offen offset:4
	buffer_load_dword v3, v4, s[0:3], 0 offen offset:8
	;; [unrolled: 1-line block ×3, first 2 shown]
	s_waitcnt vmcnt(0)
	ds_write_b128 v5, v[1:4]
	s_waitcnt lgkmcnt(0)
	s_barrier
	buffer_gl0_inv
	v_cmpx_gt_u32_e32 56, v0
	s_cbranch_execz .LBB125_251
; %bb.248:
	v_mov_b32_e32 v1, 0
	v_mov_b32_e32 v3, 0
	v_add_nc_u32_e32 v7, -1, v0
	v_add_nc_u32_e32 v8, 0x3e0, v135
	v_mov_b32_e32 v2, 0
	v_mov_b32_e32 v4, 0
	v_add_nc_u32_e32 v133, 16, v135
	s_mov_b32 s5, 0
	.p2align	6
.LBB125_249:                            ; =>This Inner Loop Header: Depth=1
	s_clause 0x3
	buffer_load_dword v140, v133, s[0:3], 0 offen offset:8
	buffer_load_dword v141, v133, s[0:3], 0 offen offset:12
	buffer_load_dword v142, v133, s[0:3], 0 offen
	buffer_load_dword v143, v133, s[0:3], 0 offen offset:4
	ds_read_b128 v[136:139], v8
	v_add_nc_u32_e32 v7, 1, v7
	v_add_nc_u32_e32 v8, 16, v8
	;; [unrolled: 1-line block ×3, first 2 shown]
	v_cmp_lt_u32_e32 vcc_lo, 54, v7
	s_or_b32 s5, vcc_lo, s5
	s_waitcnt vmcnt(2) lgkmcnt(0)
	v_mul_f64 v[144:145], v[138:139], v[140:141]
	v_mul_f64 v[140:141], v[136:137], v[140:141]
	s_waitcnt vmcnt(0)
	v_fma_f64 v[136:137], v[136:137], v[142:143], -v[144:145]
	v_fma_f64 v[138:139], v[138:139], v[142:143], v[140:141]
	v_add_f64 v[3:4], v[3:4], v[136:137]
	v_add_f64 v[1:2], v[1:2], v[138:139]
	s_andn2_b32 exec_lo, exec_lo, s5
	s_cbranch_execnz .LBB125_249
; %bb.250:
	s_or_b32 exec_lo, exec_lo, s5
	v_mov_b32_e32 v7, 0
	ds_read_b128 v[136:139], v7 offset:896
	s_waitcnt lgkmcnt(0)
	v_mul_f64 v[7:8], v[1:2], v[138:139]
	v_mul_f64 v[133:134], v[3:4], v[138:139]
	v_fma_f64 v[3:4], v[3:4], v[136:137], -v[7:8]
	v_fma_f64 v[1:2], v[1:2], v[136:137], v[133:134]
	buffer_store_dword v4, off, s[0:3], 0 offset:916
	buffer_store_dword v3, off, s[0:3], 0 offset:912
	;; [unrolled: 1-line block ×4, first 2 shown]
.LBB125_251:
	s_or_b32 exec_lo, exec_lo, s4
	v_mov_b32_e32 v4, s18
	s_waitcnt_vscnt null, 0x0
	s_barrier
	buffer_gl0_inv
	s_mov_b32 s4, exec_lo
	s_clause 0x3
	buffer_load_dword v1, v4, s[0:3], 0 offen
	buffer_load_dword v2, v4, s[0:3], 0 offen offset:4
	buffer_load_dword v3, v4, s[0:3], 0 offen offset:8
	;; [unrolled: 1-line block ×3, first 2 shown]
	s_waitcnt vmcnt(0)
	ds_write_b128 v5, v[1:4]
	s_waitcnt lgkmcnt(0)
	s_barrier
	buffer_gl0_inv
	v_cmpx_gt_u32_e32 57, v0
	s_cbranch_execz .LBB125_255
; %bb.252:
	v_mov_b32_e32 v1, 0
	v_mov_b32_e32 v3, 0
	v_add_nc_u32_e32 v7, -1, v0
	v_add_nc_u32_e32 v8, 0x3e0, v135
	v_mov_b32_e32 v2, 0
	v_mov_b32_e32 v4, 0
	v_add_nc_u32_e32 v133, 16, v135
	s_mov_b32 s5, 0
	.p2align	6
.LBB125_253:                            ; =>This Inner Loop Header: Depth=1
	s_clause 0x3
	buffer_load_dword v140, v133, s[0:3], 0 offen offset:8
	buffer_load_dword v141, v133, s[0:3], 0 offen offset:12
	buffer_load_dword v142, v133, s[0:3], 0 offen
	buffer_load_dword v143, v133, s[0:3], 0 offen offset:4
	ds_read_b128 v[136:139], v8
	v_add_nc_u32_e32 v7, 1, v7
	v_add_nc_u32_e32 v8, 16, v8
	;; [unrolled: 1-line block ×3, first 2 shown]
	v_cmp_lt_u32_e32 vcc_lo, 55, v7
	s_or_b32 s5, vcc_lo, s5
	s_waitcnt vmcnt(2) lgkmcnt(0)
	v_mul_f64 v[144:145], v[138:139], v[140:141]
	v_mul_f64 v[140:141], v[136:137], v[140:141]
	s_waitcnt vmcnt(0)
	v_fma_f64 v[136:137], v[136:137], v[142:143], -v[144:145]
	v_fma_f64 v[138:139], v[138:139], v[142:143], v[140:141]
	v_add_f64 v[3:4], v[3:4], v[136:137]
	v_add_f64 v[1:2], v[1:2], v[138:139]
	s_andn2_b32 exec_lo, exec_lo, s5
	s_cbranch_execnz .LBB125_253
; %bb.254:
	s_or_b32 exec_lo, exec_lo, s5
	v_mov_b32_e32 v7, 0
	ds_read_b128 v[136:139], v7 offset:912
	s_waitcnt lgkmcnt(0)
	v_mul_f64 v[7:8], v[1:2], v[138:139]
	v_mul_f64 v[133:134], v[3:4], v[138:139]
	v_fma_f64 v[3:4], v[3:4], v[136:137], -v[7:8]
	v_fma_f64 v[1:2], v[1:2], v[136:137], v[133:134]
	buffer_store_dword v4, off, s[0:3], 0 offset:932
	buffer_store_dword v3, off, s[0:3], 0 offset:928
	;; [unrolled: 1-line block ×4, first 2 shown]
.LBB125_255:
	s_or_b32 exec_lo, exec_lo, s4
	v_mov_b32_e32 v4, s17
	s_waitcnt_vscnt null, 0x0
	s_barrier
	buffer_gl0_inv
	s_mov_b32 s4, exec_lo
	s_clause 0x3
	buffer_load_dword v1, v4, s[0:3], 0 offen
	buffer_load_dword v2, v4, s[0:3], 0 offen offset:4
	buffer_load_dword v3, v4, s[0:3], 0 offen offset:8
	;; [unrolled: 1-line block ×3, first 2 shown]
	s_waitcnt vmcnt(0)
	ds_write_b128 v5, v[1:4]
	s_waitcnt lgkmcnt(0)
	s_barrier
	buffer_gl0_inv
	v_cmpx_gt_u32_e32 58, v0
	s_cbranch_execz .LBB125_259
; %bb.256:
	v_mov_b32_e32 v1, 0
	v_mov_b32_e32 v3, 0
	v_add_nc_u32_e32 v7, -1, v0
	v_add_nc_u32_e32 v8, 0x3e0, v135
	v_mov_b32_e32 v2, 0
	v_mov_b32_e32 v4, 0
	v_add_nc_u32_e32 v133, 16, v135
	s_mov_b32 s5, 0
	.p2align	6
.LBB125_257:                            ; =>This Inner Loop Header: Depth=1
	s_clause 0x3
	buffer_load_dword v140, v133, s[0:3], 0 offen offset:8
	buffer_load_dword v141, v133, s[0:3], 0 offen offset:12
	buffer_load_dword v142, v133, s[0:3], 0 offen
	buffer_load_dword v143, v133, s[0:3], 0 offen offset:4
	ds_read_b128 v[136:139], v8
	v_add_nc_u32_e32 v7, 1, v7
	v_add_nc_u32_e32 v8, 16, v8
	;; [unrolled: 1-line block ×3, first 2 shown]
	v_cmp_lt_u32_e32 vcc_lo, 56, v7
	s_or_b32 s5, vcc_lo, s5
	s_waitcnt vmcnt(2) lgkmcnt(0)
	v_mul_f64 v[144:145], v[138:139], v[140:141]
	v_mul_f64 v[140:141], v[136:137], v[140:141]
	s_waitcnt vmcnt(0)
	v_fma_f64 v[136:137], v[136:137], v[142:143], -v[144:145]
	v_fma_f64 v[138:139], v[138:139], v[142:143], v[140:141]
	v_add_f64 v[3:4], v[3:4], v[136:137]
	v_add_f64 v[1:2], v[1:2], v[138:139]
	s_andn2_b32 exec_lo, exec_lo, s5
	s_cbranch_execnz .LBB125_257
; %bb.258:
	s_or_b32 exec_lo, exec_lo, s5
	v_mov_b32_e32 v7, 0
	ds_read_b128 v[136:139], v7 offset:928
	s_waitcnt lgkmcnt(0)
	v_mul_f64 v[7:8], v[1:2], v[138:139]
	v_mul_f64 v[133:134], v[3:4], v[138:139]
	v_fma_f64 v[3:4], v[3:4], v[136:137], -v[7:8]
	v_fma_f64 v[1:2], v[1:2], v[136:137], v[133:134]
	buffer_store_dword v4, off, s[0:3], 0 offset:948
	buffer_store_dword v3, off, s[0:3], 0 offset:944
	buffer_store_dword v2, off, s[0:3], 0 offset:956
	buffer_store_dword v1, off, s[0:3], 0 offset:952
.LBB125_259:
	s_or_b32 exec_lo, exec_lo, s4
	v_mov_b32_e32 v4, s16
	s_waitcnt_vscnt null, 0x0
	s_barrier
	buffer_gl0_inv
	s_mov_b32 s4, exec_lo
	s_clause 0x3
	buffer_load_dword v1, v4, s[0:3], 0 offen
	buffer_load_dword v2, v4, s[0:3], 0 offen offset:4
	buffer_load_dword v3, v4, s[0:3], 0 offen offset:8
	;; [unrolled: 1-line block ×3, first 2 shown]
	s_waitcnt vmcnt(0)
	ds_write_b128 v5, v[1:4]
	s_waitcnt lgkmcnt(0)
	s_barrier
	buffer_gl0_inv
	v_cmpx_gt_u32_e32 59, v0
	s_cbranch_execz .LBB125_263
; %bb.260:
	v_mov_b32_e32 v1, 0
	v_mov_b32_e32 v3, 0
	v_add_nc_u32_e32 v7, -1, v0
	v_add_nc_u32_e32 v8, 0x3e0, v135
	v_mov_b32_e32 v2, 0
	v_mov_b32_e32 v4, 0
	v_add_nc_u32_e32 v133, 16, v135
	s_mov_b32 s5, 0
	.p2align	6
.LBB125_261:                            ; =>This Inner Loop Header: Depth=1
	s_clause 0x3
	buffer_load_dword v140, v133, s[0:3], 0 offen offset:8
	buffer_load_dword v141, v133, s[0:3], 0 offen offset:12
	buffer_load_dword v142, v133, s[0:3], 0 offen
	buffer_load_dword v143, v133, s[0:3], 0 offen offset:4
	ds_read_b128 v[136:139], v8
	v_add_nc_u32_e32 v7, 1, v7
	v_add_nc_u32_e32 v8, 16, v8
	v_add_nc_u32_e32 v133, 16, v133
	v_cmp_lt_u32_e32 vcc_lo, 57, v7
	s_or_b32 s5, vcc_lo, s5
	s_waitcnt vmcnt(2) lgkmcnt(0)
	v_mul_f64 v[144:145], v[138:139], v[140:141]
	v_mul_f64 v[140:141], v[136:137], v[140:141]
	s_waitcnt vmcnt(0)
	v_fma_f64 v[136:137], v[136:137], v[142:143], -v[144:145]
	v_fma_f64 v[138:139], v[138:139], v[142:143], v[140:141]
	v_add_f64 v[3:4], v[3:4], v[136:137]
	v_add_f64 v[1:2], v[1:2], v[138:139]
	s_andn2_b32 exec_lo, exec_lo, s5
	s_cbranch_execnz .LBB125_261
; %bb.262:
	s_or_b32 exec_lo, exec_lo, s5
	v_mov_b32_e32 v7, 0
	ds_read_b128 v[136:139], v7 offset:944
	s_waitcnt lgkmcnt(0)
	v_mul_f64 v[7:8], v[1:2], v[138:139]
	v_mul_f64 v[133:134], v[3:4], v[138:139]
	v_fma_f64 v[3:4], v[3:4], v[136:137], -v[7:8]
	v_fma_f64 v[1:2], v[1:2], v[136:137], v[133:134]
	buffer_store_dword v4, off, s[0:3], 0 offset:964
	buffer_store_dword v3, off, s[0:3], 0 offset:960
	;; [unrolled: 1-line block ×4, first 2 shown]
.LBB125_263:
	s_or_b32 exec_lo, exec_lo, s4
	v_mov_b32_e32 v4, s15
	s_waitcnt_vscnt null, 0x0
	s_barrier
	buffer_gl0_inv
	s_mov_b32 s4, exec_lo
	s_clause 0x3
	buffer_load_dword v1, v4, s[0:3], 0 offen
	buffer_load_dword v2, v4, s[0:3], 0 offen offset:4
	buffer_load_dword v3, v4, s[0:3], 0 offen offset:8
	;; [unrolled: 1-line block ×3, first 2 shown]
	s_waitcnt vmcnt(0)
	ds_write_b128 v5, v[1:4]
	s_waitcnt lgkmcnt(0)
	s_barrier
	buffer_gl0_inv
	v_cmpx_gt_u32_e32 60, v0
	s_cbranch_execz .LBB125_267
; %bb.264:
	v_mov_b32_e32 v1, 0
	v_mov_b32_e32 v3, 0
	v_add_nc_u32_e32 v7, -1, v0
	v_add_nc_u32_e32 v8, 0x3e0, v135
	v_mov_b32_e32 v2, 0
	v_mov_b32_e32 v4, 0
	v_add_nc_u32_e32 v133, 16, v135
	s_mov_b32 s5, 0
	.p2align	6
.LBB125_265:                            ; =>This Inner Loop Header: Depth=1
	s_clause 0x3
	buffer_load_dword v140, v133, s[0:3], 0 offen offset:8
	buffer_load_dword v141, v133, s[0:3], 0 offen offset:12
	buffer_load_dword v142, v133, s[0:3], 0 offen
	buffer_load_dword v143, v133, s[0:3], 0 offen offset:4
	ds_read_b128 v[136:139], v8
	v_add_nc_u32_e32 v7, 1, v7
	v_add_nc_u32_e32 v8, 16, v8
	v_add_nc_u32_e32 v133, 16, v133
	v_cmp_lt_u32_e32 vcc_lo, 58, v7
	s_or_b32 s5, vcc_lo, s5
	s_waitcnt vmcnt(2) lgkmcnt(0)
	v_mul_f64 v[144:145], v[138:139], v[140:141]
	v_mul_f64 v[140:141], v[136:137], v[140:141]
	s_waitcnt vmcnt(0)
	v_fma_f64 v[136:137], v[136:137], v[142:143], -v[144:145]
	v_fma_f64 v[138:139], v[138:139], v[142:143], v[140:141]
	v_add_f64 v[3:4], v[3:4], v[136:137]
	v_add_f64 v[1:2], v[1:2], v[138:139]
	s_andn2_b32 exec_lo, exec_lo, s5
	s_cbranch_execnz .LBB125_265
; %bb.266:
	s_or_b32 exec_lo, exec_lo, s5
	v_mov_b32_e32 v7, 0
	ds_read_b128 v[136:139], v7 offset:960
	s_waitcnt lgkmcnt(0)
	v_mul_f64 v[7:8], v[1:2], v[138:139]
	v_mul_f64 v[133:134], v[3:4], v[138:139]
	v_fma_f64 v[3:4], v[3:4], v[136:137], -v[7:8]
	v_fma_f64 v[1:2], v[1:2], v[136:137], v[133:134]
	buffer_store_dword v4, off, s[0:3], 0 offset:980
	buffer_store_dword v3, off, s[0:3], 0 offset:976
	;; [unrolled: 1-line block ×4, first 2 shown]
.LBB125_267:
	s_or_b32 exec_lo, exec_lo, s4
	v_mov_b32_e32 v4, s14
	s_waitcnt_vscnt null, 0x0
	s_barrier
	buffer_gl0_inv
	s_mov_b32 s4, exec_lo
	s_clause 0x3
	buffer_load_dword v1, v4, s[0:3], 0 offen
	buffer_load_dword v2, v4, s[0:3], 0 offen offset:4
	buffer_load_dword v3, v4, s[0:3], 0 offen offset:8
	;; [unrolled: 1-line block ×3, first 2 shown]
	s_waitcnt vmcnt(0)
	ds_write_b128 v5, v[1:4]
	s_waitcnt lgkmcnt(0)
	s_barrier
	buffer_gl0_inv
	v_cmpx_ne_u32_e32 61, v0
	s_cbranch_execz .LBB125_271
; %bb.268:
	v_mov_b32_e32 v1, 0
	v_mov_b32_e32 v3, 0
	;; [unrolled: 1-line block ×4, first 2 shown]
	v_add_nc_u32_e32 v7, 16, v135
	s_mov_b32 s5, 0
	.p2align	6
.LBB125_269:                            ; =>This Inner Loop Header: Depth=1
	s_clause 0x3
	buffer_load_dword v137, v7, s[0:3], 0 offen offset:8
	buffer_load_dword v138, v7, s[0:3], 0 offen offset:12
	buffer_load_dword v139, v7, s[0:3], 0 offen
	buffer_load_dword v140, v7, s[0:3], 0 offen offset:4
	ds_read_b128 v[133:136], v5
	v_add_nc_u32_e32 v6, 1, v6
	v_add_nc_u32_e32 v5, 16, v5
	;; [unrolled: 1-line block ×3, first 2 shown]
	v_cmp_lt_u32_e32 vcc_lo, 59, v6
	s_or_b32 s5, vcc_lo, s5
	s_waitcnt vmcnt(2) lgkmcnt(0)
	v_mul_f64 v[141:142], v[135:136], v[137:138]
	v_mul_f64 v[137:138], v[133:134], v[137:138]
	s_waitcnt vmcnt(0)
	v_fma_f64 v[133:134], v[133:134], v[139:140], -v[141:142]
	v_fma_f64 v[135:136], v[135:136], v[139:140], v[137:138]
	v_add_f64 v[3:4], v[3:4], v[133:134]
	v_add_f64 v[1:2], v[1:2], v[135:136]
	s_andn2_b32 exec_lo, exec_lo, s5
	s_cbranch_execnz .LBB125_269
; %bb.270:
	s_or_b32 exec_lo, exec_lo, s5
	v_mov_b32_e32 v5, 0
	ds_read_b128 v[5:8], v5 offset:976
	s_waitcnt lgkmcnt(0)
	v_mul_f64 v[133:134], v[1:2], v[7:8]
	v_mul_f64 v[7:8], v[3:4], v[7:8]
	v_fma_f64 v[3:4], v[3:4], v[5:6], -v[133:134]
	v_fma_f64 v[1:2], v[1:2], v[5:6], v[7:8]
	buffer_store_dword v4, off, s[0:3], 0 offset:996
	buffer_store_dword v3, off, s[0:3], 0 offset:992
	;; [unrolled: 1-line block ×4, first 2 shown]
.LBB125_271:
	s_or_b32 exec_lo, exec_lo, s4
	s_mov_b32 s5, -1
	s_waitcnt_vscnt null, 0x0
	s_barrier
	buffer_gl0_inv
.LBB125_272:
	s_and_b32 vcc_lo, exec_lo, s5
	s_cbranch_vccz .LBB125_274
; %bb.273:
	s_lshl_b64 s[4:5], s[6:7], 2
	v_mov_b32_e32 v1, 0
	s_add_u32 s4, s10, s4
	s_addc_u32 s5, s11, s5
	global_load_dword v1, v1, s[4:5]
	s_waitcnt vmcnt(0)
	v_cmp_ne_u32_e32 vcc_lo, 0, v1
	s_cbranch_vccz .LBB125_275
.LBB125_274:
	s_endpgm
.LBB125_275:
	v_lshl_add_u32 v193, v0, 4, 0x3e0
	s_mov_b32 s4, exec_lo
	v_cmpx_eq_u32_e32 61, v0
	s_cbranch_execz .LBB125_277
; %bb.276:
	v_mov_b32_e32 v4, s15
	v_mov_b32_e32 v5, 0
	s_clause 0x3
	buffer_load_dword v1, v4, s[0:3], 0 offen
	buffer_load_dword v2, v4, s[0:3], 0 offen offset:4
	buffer_load_dword v3, v4, s[0:3], 0 offen offset:8
	;; [unrolled: 1-line block ×3, first 2 shown]
	buffer_store_dword v5, off, s[0:3], 0 offset:976
	buffer_store_dword v5, off, s[0:3], 0 offset:980
	;; [unrolled: 1-line block ×4, first 2 shown]
	s_waitcnt vmcnt(0)
	ds_write_b128 v193, v[1:4]
.LBB125_277:
	s_or_b32 exec_lo, exec_lo, s4
	s_waitcnt lgkmcnt(0)
	s_waitcnt_vscnt null, 0x0
	s_barrier
	buffer_gl0_inv
	s_clause 0x7
	buffer_load_dword v6, off, s[0:3], 0 offset:1000
	buffer_load_dword v7, off, s[0:3], 0 offset:1004
	;; [unrolled: 1-line block ×8, first 2 shown]
	v_mov_b32_e32 v1, 0
	s_mov_b32 s4, exec_lo
	ds_read_b128 v[2:5], v1 offset:1968
	s_waitcnt vmcnt(6) lgkmcnt(0)
	v_mul_f64 v[139:140], v[4:5], v[6:7]
	v_mul_f64 v[6:7], v[2:3], v[6:7]
	s_waitcnt vmcnt(4)
	v_fma_f64 v[2:3], v[2:3], v[133:134], -v[139:140]
	v_fma_f64 v[4:5], v[4:5], v[133:134], v[6:7]
	v_add_f64 v[2:3], v[2:3], 0
	v_add_f64 v[4:5], v[4:5], 0
	s_waitcnt vmcnt(2)
	v_add_f64 v[2:3], v[135:136], -v[2:3]
	s_waitcnt vmcnt(0)
	v_add_f64 v[4:5], v[137:138], -v[4:5]
	buffer_store_dword v2, off, s[0:3], 0 offset:976
	buffer_store_dword v3, off, s[0:3], 0 offset:980
	;; [unrolled: 1-line block ×4, first 2 shown]
	v_cmpx_lt_u32_e32 59, v0
	s_cbranch_execz .LBB125_279
; %bb.278:
	v_mov_b32_e32 v5, s16
	s_clause 0x3
	buffer_load_dword v2, v5, s[0:3], 0 offen
	buffer_load_dword v3, v5, s[0:3], 0 offen offset:4
	buffer_load_dword v4, v5, s[0:3], 0 offen offset:8
	;; [unrolled: 1-line block ×3, first 2 shown]
	buffer_store_dword v1, off, s[0:3], 0 offset:960
	buffer_store_dword v1, off, s[0:3], 0 offset:964
	;; [unrolled: 1-line block ×4, first 2 shown]
	s_waitcnt vmcnt(0)
	ds_write_b128 v193, v[2:5]
.LBB125_279:
	s_or_b32 exec_lo, exec_lo, s4
	s_waitcnt lgkmcnt(0)
	s_waitcnt_vscnt null, 0x0
	s_barrier
	buffer_gl0_inv
	s_clause 0xb
	buffer_load_dword v6, off, s[0:3], 0 offset:984
	buffer_load_dword v7, off, s[0:3], 0 offset:988
	buffer_load_dword v137, off, s[0:3], 0 offset:1000
	buffer_load_dword v138, off, s[0:3], 0 offset:1004
	buffer_load_dword v139, off, s[0:3], 0 offset:976
	buffer_load_dword v140, off, s[0:3], 0 offset:980
	buffer_load_dword v141, off, s[0:3], 0 offset:992
	buffer_load_dword v142, off, s[0:3], 0 offset:996
	buffer_load_dword v143, off, s[0:3], 0 offset:960
	buffer_load_dword v144, off, s[0:3], 0 offset:964
	buffer_load_dword v145, off, s[0:3], 0 offset:968
	buffer_load_dword v146, off, s[0:3], 0 offset:972
	ds_read_b128 v[2:5], v1 offset:1952
	ds_read_b128 v[133:136], v1 offset:1968
	s_mov_b32 s4, exec_lo
	s_waitcnt vmcnt(10) lgkmcnt(1)
	v_mul_f64 v[147:148], v[4:5], v[6:7]
	v_mul_f64 v[6:7], v[2:3], v[6:7]
	s_waitcnt vmcnt(8) lgkmcnt(0)
	v_mul_f64 v[149:150], v[135:136], v[137:138]
	v_mul_f64 v[137:138], v[133:134], v[137:138]
	s_waitcnt vmcnt(6)
	v_fma_f64 v[1:2], v[2:3], v[139:140], -v[147:148]
	v_fma_f64 v[3:4], v[4:5], v[139:140], v[6:7]
	s_waitcnt vmcnt(4)
	v_fma_f64 v[5:6], v[133:134], v[141:142], -v[149:150]
	v_fma_f64 v[7:8], v[135:136], v[141:142], v[137:138]
	v_add_f64 v[1:2], v[1:2], 0
	v_add_f64 v[3:4], v[3:4], 0
	;; [unrolled: 1-line block ×4, first 2 shown]
	s_waitcnt vmcnt(2)
	v_add_f64 v[1:2], v[143:144], -v[1:2]
	s_waitcnt vmcnt(0)
	v_add_f64 v[3:4], v[145:146], -v[3:4]
	buffer_store_dword v1, off, s[0:3], 0 offset:960
	buffer_store_dword v2, off, s[0:3], 0 offset:964
	;; [unrolled: 1-line block ×4, first 2 shown]
	v_cmpx_lt_u32_e32 58, v0
	s_cbranch_execz .LBB125_281
; %bb.280:
	v_mov_b32_e32 v4, s17
	v_mov_b32_e32 v5, 0
	s_clause 0x3
	buffer_load_dword v1, v4, s[0:3], 0 offen
	buffer_load_dword v2, v4, s[0:3], 0 offen offset:4
	buffer_load_dword v3, v4, s[0:3], 0 offen offset:8
	;; [unrolled: 1-line block ×3, first 2 shown]
	buffer_store_dword v5, off, s[0:3], 0 offset:944
	buffer_store_dword v5, off, s[0:3], 0 offset:948
	;; [unrolled: 1-line block ×4, first 2 shown]
	s_waitcnt vmcnt(0)
	ds_write_b128 v193, v[1:4]
.LBB125_281:
	s_or_b32 exec_lo, exec_lo, s4
	s_waitcnt lgkmcnt(0)
	s_waitcnt_vscnt null, 0x0
	s_barrier
	buffer_gl0_inv
	s_clause 0xf
	buffer_load_dword v6, off, s[0:3], 0 offset:968
	buffer_load_dword v7, off, s[0:3], 0 offset:972
	buffer_load_dword v141, off, s[0:3], 0 offset:984
	buffer_load_dword v142, off, s[0:3], 0 offset:988
	buffer_load_dword v143, off, s[0:3], 0 offset:960
	buffer_load_dword v144, off, s[0:3], 0 offset:964
	buffer_load_dword v145, off, s[0:3], 0 offset:1000
	buffer_load_dword v146, off, s[0:3], 0 offset:1004
	buffer_load_dword v147, off, s[0:3], 0 offset:976
	buffer_load_dword v148, off, s[0:3], 0 offset:980
	buffer_load_dword v149, off, s[0:3], 0 offset:992
	buffer_load_dword v150, off, s[0:3], 0 offset:996
	buffer_load_dword v151, off, s[0:3], 0 offset:944
	buffer_load_dword v152, off, s[0:3], 0 offset:948
	buffer_load_dword v153, off, s[0:3], 0 offset:952
	buffer_load_dword v154, off, s[0:3], 0 offset:956
	v_mov_b32_e32 v1, 0
	ds_read_b128 v[2:5], v1 offset:1936
	ds_read_b128 v[133:136], v1 offset:1952
	ds_read_b128 v[137:140], v1 offset:1968
	s_mov_b32 s4, exec_lo
	s_waitcnt vmcnt(14) lgkmcnt(2)
	v_mul_f64 v[155:156], v[4:5], v[6:7]
	v_mul_f64 v[6:7], v[2:3], v[6:7]
	s_waitcnt vmcnt(12) lgkmcnt(1)
	v_mul_f64 v[157:158], v[135:136], v[141:142]
	v_mul_f64 v[141:142], v[133:134], v[141:142]
	s_waitcnt vmcnt(10)
	v_fma_f64 v[2:3], v[2:3], v[143:144], -v[155:156]
	v_fma_f64 v[4:5], v[4:5], v[143:144], v[6:7]
	s_waitcnt vmcnt(8) lgkmcnt(0)
	v_mul_f64 v[143:144], v[139:140], v[145:146]
	s_waitcnt vmcnt(6)
	v_fma_f64 v[133:134], v[133:134], v[147:148], -v[157:158]
	v_mul_f64 v[6:7], v[137:138], v[145:146]
	v_fma_f64 v[135:136], v[135:136], v[147:148], v[141:142]
	v_add_f64 v[2:3], v[2:3], 0
	v_add_f64 v[4:5], v[4:5], 0
	s_waitcnt vmcnt(4)
	v_fma_f64 v[137:138], v[137:138], v[149:150], -v[143:144]
	v_fma_f64 v[6:7], v[139:140], v[149:150], v[6:7]
	v_add_f64 v[2:3], v[2:3], v[133:134]
	v_add_f64 v[4:5], v[4:5], v[135:136]
	;; [unrolled: 1-line block ×4, first 2 shown]
	s_waitcnt vmcnt(2)
	v_add_f64 v[2:3], v[151:152], -v[2:3]
	s_waitcnt vmcnt(0)
	v_add_f64 v[4:5], v[153:154], -v[4:5]
	buffer_store_dword v2, off, s[0:3], 0 offset:944
	buffer_store_dword v3, off, s[0:3], 0 offset:948
	;; [unrolled: 1-line block ×4, first 2 shown]
	v_cmpx_lt_u32_e32 57, v0
	s_cbranch_execz .LBB125_283
; %bb.282:
	v_mov_b32_e32 v5, s18
	s_clause 0x3
	buffer_load_dword v2, v5, s[0:3], 0 offen
	buffer_load_dword v3, v5, s[0:3], 0 offen offset:4
	buffer_load_dword v4, v5, s[0:3], 0 offen offset:8
	;; [unrolled: 1-line block ×3, first 2 shown]
	buffer_store_dword v1, off, s[0:3], 0 offset:928
	buffer_store_dword v1, off, s[0:3], 0 offset:932
	;; [unrolled: 1-line block ×4, first 2 shown]
	s_waitcnt vmcnt(0)
	ds_write_b128 v193, v[2:5]
.LBB125_283:
	s_or_b32 exec_lo, exec_lo, s4
	s_waitcnt lgkmcnt(0)
	s_waitcnt_vscnt null, 0x0
	s_barrier
	buffer_gl0_inv
	s_clause 0x13
	buffer_load_dword v6, off, s[0:3], 0 offset:952
	buffer_load_dword v7, off, s[0:3], 0 offset:956
	buffer_load_dword v141, off, s[0:3], 0 offset:968
	buffer_load_dword v142, off, s[0:3], 0 offset:972
	buffer_load_dword v143, off, s[0:3], 0 offset:944
	buffer_load_dword v144, off, s[0:3], 0 offset:948
	buffer_load_dword v145, off, s[0:3], 0 offset:984
	buffer_load_dword v146, off, s[0:3], 0 offset:988
	buffer_load_dword v147, off, s[0:3], 0 offset:960
	buffer_load_dword v148, off, s[0:3], 0 offset:964
	buffer_load_dword v150, off, s[0:3], 0 offset:1004
	buffer_load_dword v149, off, s[0:3], 0 offset:1000
	buffer_load_dword v151, off, s[0:3], 0 offset:976
	buffer_load_dword v152, off, s[0:3], 0 offset:980
	buffer_load_dword v154, off, s[0:3], 0 offset:996
	buffer_load_dword v153, off, s[0:3], 0 offset:992
	buffer_load_dword v155, off, s[0:3], 0 offset:928
	buffer_load_dword v156, off, s[0:3], 0 offset:932
	buffer_load_dword v157, off, s[0:3], 0 offset:936
	buffer_load_dword v158, off, s[0:3], 0 offset:940
	ds_read_b128 v[2:5], v1 offset:1920
	ds_read_b128 v[133:136], v1 offset:1936
	;; [unrolled: 1-line block ×3, first 2 shown]
	s_mov_b32 s4, exec_lo
	s_waitcnt vmcnt(18) lgkmcnt(2)
	v_mul_f64 v[159:160], v[4:5], v[6:7]
	v_mul_f64 v[6:7], v[2:3], v[6:7]
	s_waitcnt vmcnt(16) lgkmcnt(1)
	v_mul_f64 v[161:162], v[135:136], v[141:142]
	v_mul_f64 v[141:142], v[133:134], v[141:142]
	s_waitcnt vmcnt(14)
	v_fma_f64 v[159:160], v[2:3], v[143:144], -v[159:160]
	v_fma_f64 v[5:6], v[4:5], v[143:144], v[6:7]
	s_waitcnt vmcnt(12) lgkmcnt(0)
	v_mul_f64 v[7:8], v[137:138], v[145:146]
	v_mul_f64 v[143:144], v[139:140], v[145:146]
	s_waitcnt vmcnt(10)
	v_fma_f64 v[133:134], v[133:134], v[147:148], -v[161:162]
	ds_read_b128 v[1:4], v1 offset:1968
	v_fma_f64 v[135:136], v[135:136], v[147:148], v[141:142]
	v_add_f64 v[145:146], v[159:160], 0
	v_add_f64 v[5:6], v[5:6], 0
	s_waitcnt vmcnt(6)
	v_fma_f64 v[7:8], v[139:140], v[151:152], v[7:8]
	s_waitcnt lgkmcnt(0)
	v_mul_f64 v[147:148], v[3:4], v[149:150]
	v_fma_f64 v[137:138], v[137:138], v[151:152], -v[143:144]
	v_mul_f64 v[141:142], v[1:2], v[149:150]
	v_add_f64 v[133:134], v[145:146], v[133:134]
	v_add_f64 v[5:6], v[5:6], v[135:136]
	s_waitcnt vmcnt(4)
	v_fma_f64 v[1:2], v[1:2], v[153:154], -v[147:148]
	v_fma_f64 v[3:4], v[3:4], v[153:154], v[141:142]
	v_add_f64 v[133:134], v[133:134], v[137:138]
	v_add_f64 v[5:6], v[5:6], v[7:8]
	;; [unrolled: 1-line block ×4, first 2 shown]
	s_waitcnt vmcnt(2)
	v_add_f64 v[1:2], v[155:156], -v[1:2]
	s_waitcnt vmcnt(0)
	v_add_f64 v[3:4], v[157:158], -v[3:4]
	buffer_store_dword v1, off, s[0:3], 0 offset:928
	buffer_store_dword v2, off, s[0:3], 0 offset:932
	;; [unrolled: 1-line block ×4, first 2 shown]
	v_cmpx_lt_u32_e32 56, v0
	s_cbranch_execz .LBB125_285
; %bb.284:
	v_mov_b32_e32 v4, s19
	v_mov_b32_e32 v5, 0
	s_clause 0x3
	buffer_load_dword v1, v4, s[0:3], 0 offen
	buffer_load_dword v2, v4, s[0:3], 0 offen offset:4
	buffer_load_dword v3, v4, s[0:3], 0 offen offset:8
	;; [unrolled: 1-line block ×3, first 2 shown]
	buffer_store_dword v5, off, s[0:3], 0 offset:912
	buffer_store_dword v5, off, s[0:3], 0 offset:916
	;; [unrolled: 1-line block ×4, first 2 shown]
	s_waitcnt vmcnt(0)
	ds_write_b128 v193, v[1:4]
.LBB125_285:
	s_or_b32 exec_lo, exec_lo, s4
	s_waitcnt lgkmcnt(0)
	s_waitcnt_vscnt null, 0x0
	s_barrier
	buffer_gl0_inv
	s_clause 0x17
	buffer_load_dword v6, off, s[0:3], 0 offset:936
	buffer_load_dword v7, off, s[0:3], 0 offset:940
	buffer_load_dword v141, off, s[0:3], 0 offset:952
	buffer_load_dword v142, off, s[0:3], 0 offset:956
	buffer_load_dword v143, off, s[0:3], 0 offset:928
	buffer_load_dword v144, off, s[0:3], 0 offset:932
	buffer_load_dword v145, off, s[0:3], 0 offset:968
	buffer_load_dword v146, off, s[0:3], 0 offset:972
	buffer_load_dword v147, off, s[0:3], 0 offset:944
	buffer_load_dword v148, off, s[0:3], 0 offset:948
	buffer_load_dword v150, off, s[0:3], 0 offset:988
	buffer_load_dword v151, off, s[0:3], 0 offset:1000
	buffer_load_dword v153, off, s[0:3], 0 offset:992
	buffer_load_dword v149, off, s[0:3], 0 offset:984
	buffer_load_dword v155, off, s[0:3], 0 offset:960
	buffer_load_dword v156, off, s[0:3], 0 offset:964
	buffer_load_dword v152, off, s[0:3], 0 offset:1004
	buffer_load_dword v158, off, s[0:3], 0 offset:980
	buffer_load_dword v157, off, s[0:3], 0 offset:976
	buffer_load_dword v154, off, s[0:3], 0 offset:996
	buffer_load_dword v159, off, s[0:3], 0 offset:912
	buffer_load_dword v160, off, s[0:3], 0 offset:916
	buffer_load_dword v161, off, s[0:3], 0 offset:920
	buffer_load_dword v162, off, s[0:3], 0 offset:924
	v_mov_b32_e32 v1, 0
	ds_read_b128 v[2:5], v1 offset:1904
	ds_read_b128 v[133:136], v1 offset:1920
	ds_read_b128 v[137:140], v1 offset:1936
	s_mov_b32 s4, exec_lo
	s_waitcnt vmcnt(22) lgkmcnt(2)
	v_mul_f64 v[163:164], v[4:5], v[6:7]
	v_mul_f64 v[6:7], v[2:3], v[6:7]
	s_waitcnt vmcnt(20) lgkmcnt(1)
	v_mul_f64 v[165:166], v[135:136], v[141:142]
	v_mul_f64 v[141:142], v[133:134], v[141:142]
	s_waitcnt vmcnt(18)
	v_fma_f64 v[163:164], v[2:3], v[143:144], -v[163:164]
	v_fma_f64 v[6:7], v[4:5], v[143:144], v[6:7]
	ds_read_b128 v[2:5], v1 offset:1952
	s_waitcnt vmcnt(16) lgkmcnt(1)
	v_mul_f64 v[143:144], v[137:138], v[145:146]
	v_mul_f64 v[145:146], v[139:140], v[145:146]
	s_waitcnt vmcnt(14)
	v_fma_f64 v[165:166], v[133:134], v[147:148], -v[165:166]
	v_fma_f64 v[141:142], v[135:136], v[147:148], v[141:142]
	ds_read_b128 v[133:136], v1 offset:1968
	s_waitcnt vmcnt(10) lgkmcnt(1)
	v_mul_f64 v[147:148], v[2:3], v[149:150]
	v_add_f64 v[163:164], v[163:164], 0
	v_add_f64 v[6:7], v[6:7], 0
	v_mul_f64 v[149:150], v[4:5], v[149:150]
	s_waitcnt vmcnt(8)
	v_fma_f64 v[137:138], v[137:138], v[155:156], -v[145:146]
	v_fma_f64 v[139:140], v[139:140], v[155:156], v[143:144]
	s_waitcnt vmcnt(7) lgkmcnt(0)
	v_mul_f64 v[143:144], v[135:136], v[151:152]
	s_waitcnt vmcnt(5)
	v_fma_f64 v[4:5], v[4:5], v[157:158], v[147:148]
	v_add_f64 v[145:146], v[163:164], v[165:166]
	v_add_f64 v[6:7], v[6:7], v[141:142]
	v_fma_f64 v[2:3], v[2:3], v[157:158], -v[149:150]
	v_mul_f64 v[141:142], v[133:134], v[151:152]
	s_waitcnt vmcnt(4)
	v_fma_f64 v[133:134], v[133:134], v[153:154], -v[143:144]
	v_add_f64 v[137:138], v[145:146], v[137:138]
	v_add_f64 v[6:7], v[6:7], v[139:140]
	v_fma_f64 v[135:136], v[135:136], v[153:154], v[141:142]
	v_add_f64 v[2:3], v[137:138], v[2:3]
	v_add_f64 v[4:5], v[6:7], v[4:5]
	;; [unrolled: 1-line block ×4, first 2 shown]
	s_waitcnt vmcnt(2)
	v_add_f64 v[2:3], v[159:160], -v[2:3]
	s_waitcnt vmcnt(0)
	v_add_f64 v[4:5], v[161:162], -v[4:5]
	buffer_store_dword v3, off, s[0:3], 0 offset:916
	buffer_store_dword v2, off, s[0:3], 0 offset:912
	;; [unrolled: 1-line block ×4, first 2 shown]
	v_cmpx_lt_u32_e32 55, v0
	s_cbranch_execz .LBB125_287
; %bb.286:
	v_mov_b32_e32 v5, s20
	s_clause 0x3
	buffer_load_dword v2, v5, s[0:3], 0 offen
	buffer_load_dword v3, v5, s[0:3], 0 offen offset:4
	buffer_load_dword v4, v5, s[0:3], 0 offen offset:8
	;; [unrolled: 1-line block ×3, first 2 shown]
	buffer_store_dword v1, off, s[0:3], 0 offset:896
	buffer_store_dword v1, off, s[0:3], 0 offset:900
	buffer_store_dword v1, off, s[0:3], 0 offset:904
	buffer_store_dword v1, off, s[0:3], 0 offset:908
	s_waitcnt vmcnt(0)
	ds_write_b128 v193, v[2:5]
.LBB125_287:
	s_or_b32 exec_lo, exec_lo, s4
	s_waitcnt lgkmcnt(0)
	s_waitcnt_vscnt null, 0x0
	s_barrier
	buffer_gl0_inv
	s_clause 0x1b
	buffer_load_dword v6, off, s[0:3], 0 offset:920
	buffer_load_dword v7, off, s[0:3], 0 offset:924
	;; [unrolled: 1-line block ×28, first 2 shown]
	ds_read_b128 v[2:5], v1 offset:1888
	ds_read_b128 v[133:136], v1 offset:1904
	;; [unrolled: 1-line block ×3, first 2 shown]
	s_mov_b32 s4, exec_lo
	s_waitcnt vmcnt(26) lgkmcnt(2)
	v_mul_f64 v[167:168], v[4:5], v[6:7]
	v_mul_f64 v[6:7], v[2:3], v[6:7]
	s_waitcnt vmcnt(24) lgkmcnt(1)
	v_mul_f64 v[169:170], v[135:136], v[141:142]
	v_mul_f64 v[141:142], v[133:134], v[141:142]
	s_waitcnt vmcnt(22)
	v_fma_f64 v[167:168], v[2:3], v[143:144], -v[167:168]
	v_fma_f64 v[6:7], v[4:5], v[143:144], v[6:7]
	ds_read_b128 v[2:5], v1 offset:1936
	s_waitcnt vmcnt(20) lgkmcnt(1)
	v_mul_f64 v[143:144], v[137:138], v[145:146]
	v_mul_f64 v[145:146], v[139:140], v[145:146]
	s_waitcnt vmcnt(18)
	v_fma_f64 v[169:170], v[133:134], v[147:148], -v[169:170]
	v_fma_f64 v[141:142], v[135:136], v[147:148], v[141:142]
	ds_read_b128 v[133:136], v1 offset:1952
	s_waitcnt vmcnt(14) lgkmcnt(1)
	v_mul_f64 v[147:148], v[2:3], v[149:150]
	v_add_f64 v[167:168], v[167:168], 0
	v_add_f64 v[6:7], v[6:7], 0
	v_mul_f64 v[149:150], v[4:5], v[149:150]
	s_waitcnt vmcnt(12)
	v_fma_f64 v[145:146], v[137:138], v[155:156], -v[145:146]
	v_fma_f64 v[143:144], v[139:140], v[155:156], v[143:144]
	ds_read_b128 v[137:140], v1 offset:1968
	v_add_f64 v[167:168], v[167:168], v[169:170]
	v_add_f64 v[6:7], v[6:7], v[141:142]
	s_waitcnt vmcnt(11) lgkmcnt(1)
	v_mul_f64 v[141:142], v[133:134], v[151:152]
	v_mul_f64 v[151:152], v[135:136], v[151:152]
	s_waitcnt vmcnt(9)
	v_fma_f64 v[1:2], v[2:3], v[157:158], -v[149:150]
	v_fma_f64 v[3:4], v[4:5], v[157:158], v[147:148]
	v_add_f64 v[145:146], v[167:168], v[145:146]
	v_add_f64 v[5:6], v[6:7], v[143:144]
	s_waitcnt vmcnt(7) lgkmcnt(0)
	v_mul_f64 v[143:144], v[139:140], v[159:160]
	s_waitcnt vmcnt(6)
	v_fma_f64 v[133:134], v[133:134], v[153:154], -v[151:152]
	v_mul_f64 v[7:8], v[137:138], v[159:160]
	v_fma_f64 v[135:136], v[135:136], v[153:154], v[141:142]
	v_add_f64 v[1:2], v[145:146], v[1:2]
	v_add_f64 v[3:4], v[5:6], v[3:4]
	s_waitcnt vmcnt(4)
	v_fma_f64 v[5:6], v[137:138], v[161:162], -v[143:144]
	v_fma_f64 v[7:8], v[139:140], v[161:162], v[7:8]
	v_add_f64 v[1:2], v[1:2], v[133:134]
	v_add_f64 v[3:4], v[3:4], v[135:136]
	;; [unrolled: 1-line block ×4, first 2 shown]
	s_waitcnt vmcnt(2)
	v_add_f64 v[1:2], v[163:164], -v[1:2]
	s_waitcnt vmcnt(0)
	v_add_f64 v[3:4], v[165:166], -v[3:4]
	buffer_store_dword v2, off, s[0:3], 0 offset:900
	buffer_store_dword v1, off, s[0:3], 0 offset:896
	;; [unrolled: 1-line block ×4, first 2 shown]
	v_cmpx_lt_u32_e32 54, v0
	s_cbranch_execz .LBB125_289
; %bb.288:
	v_mov_b32_e32 v4, s21
	v_mov_b32_e32 v5, 0
	s_clause 0x3
	buffer_load_dword v1, v4, s[0:3], 0 offen
	buffer_load_dword v2, v4, s[0:3], 0 offen offset:4
	buffer_load_dword v3, v4, s[0:3], 0 offen offset:8
	;; [unrolled: 1-line block ×3, first 2 shown]
	buffer_store_dword v5, off, s[0:3], 0 offset:880
	buffer_store_dword v5, off, s[0:3], 0 offset:884
	;; [unrolled: 1-line block ×4, first 2 shown]
	s_waitcnt vmcnt(0)
	ds_write_b128 v193, v[1:4]
.LBB125_289:
	s_or_b32 exec_lo, exec_lo, s4
	s_waitcnt lgkmcnt(0)
	s_waitcnt_vscnt null, 0x0
	s_barrier
	buffer_gl0_inv
	s_clause 0x1f
	buffer_load_dword v6, off, s[0:3], 0 offset:904
	buffer_load_dword v7, off, s[0:3], 0 offset:908
	;; [unrolled: 1-line block ×32, first 2 shown]
	v_mov_b32_e32 v1, 0
	ds_read_b128 v[2:5], v1 offset:1872
	ds_read_b128 v[133:136], v1 offset:1888
	;; [unrolled: 1-line block ×3, first 2 shown]
	s_mov_b32 s4, exec_lo
	s_waitcnt vmcnt(30) lgkmcnt(2)
	v_mul_f64 v[171:172], v[4:5], v[6:7]
	v_mul_f64 v[6:7], v[2:3], v[6:7]
	s_waitcnt vmcnt(28) lgkmcnt(1)
	v_mul_f64 v[173:174], v[135:136], v[141:142]
	v_mul_f64 v[141:142], v[133:134], v[141:142]
	s_waitcnt vmcnt(26)
	v_fma_f64 v[171:172], v[2:3], v[143:144], -v[171:172]
	v_fma_f64 v[6:7], v[4:5], v[143:144], v[6:7]
	ds_read_b128 v[2:5], v1 offset:1920
	s_waitcnt vmcnt(24) lgkmcnt(1)
	v_mul_f64 v[143:144], v[137:138], v[145:146]
	v_mul_f64 v[145:146], v[139:140], v[145:146]
	s_waitcnt vmcnt(22)
	v_fma_f64 v[173:174], v[133:134], v[147:148], -v[173:174]
	v_fma_f64 v[141:142], v[135:136], v[147:148], v[141:142]
	ds_read_b128 v[133:136], v1 offset:1936
	s_waitcnt vmcnt(18) lgkmcnt(1)
	v_mul_f64 v[147:148], v[2:3], v[149:150]
	v_add_f64 v[171:172], v[171:172], 0
	v_add_f64 v[6:7], v[6:7], 0
	v_mul_f64 v[149:150], v[4:5], v[149:150]
	s_waitcnt vmcnt(16)
	v_fma_f64 v[145:146], v[137:138], v[155:156], -v[145:146]
	v_fma_f64 v[143:144], v[139:140], v[155:156], v[143:144]
	ds_read_b128 v[137:140], v1 offset:1952
	s_waitcnt vmcnt(13)
	v_fma_f64 v[147:148], v[4:5], v[157:158], v[147:148]
	v_add_f64 v[171:172], v[171:172], v[173:174]
	v_add_f64 v[6:7], v[6:7], v[141:142]
	s_waitcnt lgkmcnt(1)
	v_mul_f64 v[141:142], v[133:134], v[151:152]
	v_mul_f64 v[151:152], v[135:136], v[151:152]
	v_fma_f64 v[149:150], v[2:3], v[157:158], -v[149:150]
	s_waitcnt vmcnt(9) lgkmcnt(0)
	v_mul_f64 v[155:156], v[139:140], v[159:160]
	ds_read_b128 v[2:5], v1 offset:1968
	v_add_f64 v[145:146], v[171:172], v[145:146]
	v_add_f64 v[6:7], v[6:7], v[143:144]
	v_mul_f64 v[143:144], v[137:138], v[159:160]
	s_waitcnt vmcnt(8)
	v_fma_f64 v[133:134], v[133:134], v[153:154], -v[151:152]
	v_fma_f64 v[135:136], v[135:136], v[153:154], v[141:142]
	s_waitcnt vmcnt(5)
	v_fma_f64 v[137:138], v[137:138], v[165:166], -v[155:156]
	s_waitcnt lgkmcnt(0)
	v_mul_f64 v[141:142], v[2:3], v[161:162]
	v_add_f64 v[145:146], v[145:146], v[149:150]
	v_add_f64 v[6:7], v[6:7], v[147:148]
	v_mul_f64 v[147:148], v[4:5], v[161:162]
	v_fma_f64 v[139:140], v[139:140], v[165:166], v[143:144]
	s_waitcnt vmcnt(4)
	v_fma_f64 v[4:5], v[4:5], v[163:164], v[141:142]
	v_add_f64 v[133:134], v[145:146], v[133:134]
	v_add_f64 v[6:7], v[6:7], v[135:136]
	v_fma_f64 v[2:3], v[2:3], v[163:164], -v[147:148]
	v_add_f64 v[133:134], v[133:134], v[137:138]
	v_add_f64 v[6:7], v[6:7], v[139:140]
	;; [unrolled: 1-line block ×4, first 2 shown]
	s_waitcnt vmcnt(2)
	v_add_f64 v[2:3], v[167:168], -v[2:3]
	s_waitcnt vmcnt(0)
	v_add_f64 v[4:5], v[169:170], -v[4:5]
	buffer_store_dword v3, off, s[0:3], 0 offset:884
	buffer_store_dword v2, off, s[0:3], 0 offset:880
	;; [unrolled: 1-line block ×4, first 2 shown]
	v_cmpx_lt_u32_e32 53, v0
	s_cbranch_execz .LBB125_291
; %bb.290:
	v_mov_b32_e32 v5, s22
	s_clause 0x3
	buffer_load_dword v2, v5, s[0:3], 0 offen
	buffer_load_dword v3, v5, s[0:3], 0 offen offset:4
	buffer_load_dword v4, v5, s[0:3], 0 offen offset:8
	;; [unrolled: 1-line block ×3, first 2 shown]
	buffer_store_dword v1, off, s[0:3], 0 offset:864
	buffer_store_dword v1, off, s[0:3], 0 offset:868
	;; [unrolled: 1-line block ×4, first 2 shown]
	s_waitcnt vmcnt(0)
	ds_write_b128 v193, v[2:5]
.LBB125_291:
	s_or_b32 exec_lo, exec_lo, s4
	s_waitcnt lgkmcnt(0)
	s_waitcnt_vscnt null, 0x0
	s_barrier
	buffer_gl0_inv
	s_clause 0x23
	buffer_load_dword v6, off, s[0:3], 0 offset:888
	buffer_load_dword v7, off, s[0:3], 0 offset:892
	;; [unrolled: 1-line block ×36, first 2 shown]
	ds_read_b128 v[2:5], v1 offset:1856
	ds_read_b128 v[133:136], v1 offset:1872
	;; [unrolled: 1-line block ×3, first 2 shown]
	s_mov_b32 s4, exec_lo
	s_waitcnt vmcnt(34) lgkmcnt(2)
	v_mul_f64 v[175:176], v[4:5], v[6:7]
	v_mul_f64 v[6:7], v[2:3], v[6:7]
	s_waitcnt vmcnt(32) lgkmcnt(1)
	v_mul_f64 v[177:178], v[135:136], v[141:142]
	v_mul_f64 v[141:142], v[133:134], v[141:142]
	s_waitcnt vmcnt(30)
	v_fma_f64 v[175:176], v[2:3], v[143:144], -v[175:176]
	v_fma_f64 v[6:7], v[4:5], v[143:144], v[6:7]
	ds_read_b128 v[2:5], v1 offset:1904
	s_waitcnt vmcnt(28) lgkmcnt(1)
	v_mul_f64 v[143:144], v[137:138], v[145:146]
	v_mul_f64 v[145:146], v[139:140], v[145:146]
	s_waitcnt vmcnt(26)
	v_fma_f64 v[177:178], v[133:134], v[147:148], -v[177:178]
	v_fma_f64 v[141:142], v[135:136], v[147:148], v[141:142]
	ds_read_b128 v[133:136], v1 offset:1920
	s_waitcnt vmcnt(22) lgkmcnt(1)
	v_mul_f64 v[147:148], v[2:3], v[149:150]
	v_add_f64 v[175:176], v[175:176], 0
	v_add_f64 v[6:7], v[6:7], 0
	v_mul_f64 v[149:150], v[4:5], v[149:150]
	s_waitcnt vmcnt(20)
	v_fma_f64 v[145:146], v[137:138], v[155:156], -v[145:146]
	v_fma_f64 v[143:144], v[139:140], v[155:156], v[143:144]
	ds_read_b128 v[137:140], v1 offset:1936
	s_waitcnt vmcnt(17)
	v_fma_f64 v[147:148], v[4:5], v[157:158], v[147:148]
	v_add_f64 v[175:176], v[175:176], v[177:178]
	v_add_f64 v[6:7], v[6:7], v[141:142]
	s_waitcnt lgkmcnt(1)
	v_mul_f64 v[141:142], v[133:134], v[151:152]
	v_mul_f64 v[151:152], v[135:136], v[151:152]
	v_fma_f64 v[149:150], v[2:3], v[157:158], -v[149:150]
	s_waitcnt vmcnt(13) lgkmcnt(0)
	v_mul_f64 v[155:156], v[139:140], v[159:160]
	ds_read_b128 v[2:5], v1 offset:1952
	v_add_f64 v[145:146], v[175:176], v[145:146]
	v_add_f64 v[6:7], v[6:7], v[143:144]
	v_mul_f64 v[143:144], v[137:138], v[159:160]
	s_waitcnt vmcnt(12)
	v_fma_f64 v[151:152], v[133:134], v[153:154], -v[151:152]
	v_fma_f64 v[141:142], v[135:136], v[153:154], v[141:142]
	ds_read_b128 v[133:136], v1 offset:1968
	s_waitcnt vmcnt(9)
	v_fma_f64 v[137:138], v[137:138], v[165:166], -v[155:156]
	v_add_f64 v[145:146], v[145:146], v[149:150]
	v_add_f64 v[6:7], v[6:7], v[147:148]
	s_waitcnt lgkmcnt(1)
	v_mul_f64 v[149:150], v[4:5], v[161:162]
	v_mul_f64 v[147:148], v[2:3], v[161:162]
	v_fma_f64 v[139:140], v[139:140], v[165:166], v[143:144]
	s_waitcnt vmcnt(7) lgkmcnt(0)
	v_mul_f64 v[143:144], v[135:136], v[167:168]
	v_add_f64 v[145:146], v[145:146], v[151:152]
	v_add_f64 v[6:7], v[6:7], v[141:142]
	s_waitcnt vmcnt(6)
	v_fma_f64 v[1:2], v[2:3], v[163:164], -v[149:150]
	v_mul_f64 v[141:142], v[133:134], v[167:168]
	v_fma_f64 v[3:4], v[4:5], v[163:164], v[147:148]
	v_add_f64 v[137:138], v[145:146], v[137:138]
	v_add_f64 v[5:6], v[6:7], v[139:140]
	s_waitcnt vmcnt(4)
	v_fma_f64 v[7:8], v[133:134], v[169:170], -v[143:144]
	v_fma_f64 v[133:134], v[135:136], v[169:170], v[141:142]
	v_add_f64 v[1:2], v[137:138], v[1:2]
	v_add_f64 v[3:4], v[5:6], v[3:4]
	v_add_f64 v[1:2], v[1:2], v[7:8]
	v_add_f64 v[3:4], v[3:4], v[133:134]
	s_waitcnt vmcnt(2)
	v_add_f64 v[1:2], v[171:172], -v[1:2]
	s_waitcnt vmcnt(0)
	v_add_f64 v[3:4], v[173:174], -v[3:4]
	buffer_store_dword v2, off, s[0:3], 0 offset:868
	buffer_store_dword v1, off, s[0:3], 0 offset:864
	;; [unrolled: 1-line block ×4, first 2 shown]
	v_cmpx_lt_u32_e32 52, v0
	s_cbranch_execz .LBB125_293
; %bb.292:
	v_mov_b32_e32 v4, s23
	v_mov_b32_e32 v5, 0
	s_clause 0x3
	buffer_load_dword v1, v4, s[0:3], 0 offen
	buffer_load_dword v2, v4, s[0:3], 0 offen offset:4
	buffer_load_dword v3, v4, s[0:3], 0 offen offset:8
	;; [unrolled: 1-line block ×3, first 2 shown]
	buffer_store_dword v5, off, s[0:3], 0 offset:848
	buffer_store_dword v5, off, s[0:3], 0 offset:852
	;; [unrolled: 1-line block ×4, first 2 shown]
	s_waitcnt vmcnt(0)
	ds_write_b128 v193, v[1:4]
.LBB125_293:
	s_or_b32 exec_lo, exec_lo, s4
	s_waitcnt lgkmcnt(0)
	s_waitcnt_vscnt null, 0x0
	s_barrier
	buffer_gl0_inv
	s_clause 0x27
	buffer_load_dword v6, off, s[0:3], 0 offset:872
	buffer_load_dword v7, off, s[0:3], 0 offset:876
	;; [unrolled: 1-line block ×40, first 2 shown]
	v_mov_b32_e32 v1, 0
	ds_read_b128 v[2:5], v1 offset:1840
	ds_read_b128 v[133:136], v1 offset:1856
	;; [unrolled: 1-line block ×3, first 2 shown]
	s_mov_b32 s4, exec_lo
	s_waitcnt vmcnt(38) lgkmcnt(2)
	v_mul_f64 v[179:180], v[4:5], v[6:7]
	v_mul_f64 v[6:7], v[2:3], v[6:7]
	s_waitcnt vmcnt(36) lgkmcnt(1)
	v_mul_f64 v[181:182], v[135:136], v[141:142]
	v_mul_f64 v[141:142], v[133:134], v[141:142]
	s_waitcnt vmcnt(34)
	v_fma_f64 v[179:180], v[2:3], v[143:144], -v[179:180]
	v_fma_f64 v[6:7], v[4:5], v[143:144], v[6:7]
	ds_read_b128 v[2:5], v1 offset:1888
	s_waitcnt vmcnt(32) lgkmcnt(1)
	v_mul_f64 v[143:144], v[137:138], v[145:146]
	v_mul_f64 v[145:146], v[139:140], v[145:146]
	s_waitcnt vmcnt(30)
	v_fma_f64 v[181:182], v[133:134], v[147:148], -v[181:182]
	v_fma_f64 v[141:142], v[135:136], v[147:148], v[141:142]
	ds_read_b128 v[133:136], v1 offset:1904
	s_waitcnt vmcnt(26) lgkmcnt(1)
	v_mul_f64 v[147:148], v[2:3], v[149:150]
	v_add_f64 v[179:180], v[179:180], 0
	v_add_f64 v[6:7], v[6:7], 0
	v_mul_f64 v[149:150], v[4:5], v[149:150]
	s_waitcnt vmcnt(24)
	v_fma_f64 v[145:146], v[137:138], v[155:156], -v[145:146]
	v_fma_f64 v[143:144], v[139:140], v[155:156], v[143:144]
	ds_read_b128 v[137:140], v1 offset:1920
	s_waitcnt vmcnt(21)
	v_fma_f64 v[147:148], v[4:5], v[157:158], v[147:148]
	v_add_f64 v[179:180], v[179:180], v[181:182]
	v_add_f64 v[6:7], v[6:7], v[141:142]
	s_waitcnt lgkmcnt(1)
	v_mul_f64 v[141:142], v[133:134], v[151:152]
	v_mul_f64 v[151:152], v[135:136], v[151:152]
	v_fma_f64 v[149:150], v[2:3], v[157:158], -v[149:150]
	s_waitcnt vmcnt(17) lgkmcnt(0)
	v_mul_f64 v[155:156], v[139:140], v[159:160]
	ds_read_b128 v[2:5], v1 offset:1936
	v_add_f64 v[145:146], v[179:180], v[145:146]
	v_add_f64 v[6:7], v[6:7], v[143:144]
	v_mul_f64 v[143:144], v[137:138], v[159:160]
	s_waitcnt vmcnt(16)
	v_fma_f64 v[151:152], v[133:134], v[153:154], -v[151:152]
	v_fma_f64 v[141:142], v[135:136], v[153:154], v[141:142]
	ds_read_b128 v[133:136], v1 offset:1952
	s_waitcnt vmcnt(13)
	v_fma_f64 v[153:154], v[137:138], v[165:166], -v[155:156]
	v_add_f64 v[145:146], v[145:146], v[149:150]
	v_add_f64 v[6:7], v[6:7], v[147:148]
	s_waitcnt lgkmcnt(1)
	v_mul_f64 v[149:150], v[4:5], v[161:162]
	v_mul_f64 v[147:148], v[2:3], v[161:162]
	v_fma_f64 v[143:144], v[139:140], v[165:166], v[143:144]
	ds_read_b128 v[137:140], v1 offset:1968
	v_add_f64 v[145:146], v[145:146], v[151:152]
	v_add_f64 v[6:7], v[6:7], v[141:142]
	s_waitcnt vmcnt(9) lgkmcnt(1)
	v_mul_f64 v[151:152], v[135:136], v[167:168]
	s_waitcnt vmcnt(8)
	v_fma_f64 v[2:3], v[2:3], v[163:164], -v[149:150]
	v_mul_f64 v[141:142], v[133:134], v[167:168]
	v_fma_f64 v[4:5], v[4:5], v[163:164], v[147:148]
	s_waitcnt vmcnt(7) lgkmcnt(0)
	v_mul_f64 v[147:148], v[139:140], v[169:170]
	v_add_f64 v[145:146], v[145:146], v[153:154]
	v_add_f64 v[6:7], v[6:7], v[143:144]
	s_waitcnt vmcnt(5)
	v_fma_f64 v[133:134], v[133:134], v[173:174], -v[151:152]
	v_mul_f64 v[143:144], v[137:138], v[169:170]
	v_fma_f64 v[135:136], v[135:136], v[173:174], v[141:142]
	v_add_f64 v[2:3], v[145:146], v[2:3]
	v_add_f64 v[4:5], v[6:7], v[4:5]
	s_waitcnt vmcnt(4)
	v_fma_f64 v[6:7], v[137:138], v[171:172], -v[147:148]
	v_add_f64 v[2:3], v[2:3], v[133:134]
	v_fma_f64 v[133:134], v[139:140], v[171:172], v[143:144]
	v_add_f64 v[4:5], v[4:5], v[135:136]
	v_add_f64 v[2:3], v[2:3], v[6:7]
	;; [unrolled: 1-line block ×3, first 2 shown]
	s_waitcnt vmcnt(2)
	v_add_f64 v[2:3], v[175:176], -v[2:3]
	s_waitcnt vmcnt(0)
	v_add_f64 v[4:5], v[177:178], -v[4:5]
	buffer_store_dword v3, off, s[0:3], 0 offset:852
	buffer_store_dword v2, off, s[0:3], 0 offset:848
	;; [unrolled: 1-line block ×4, first 2 shown]
	v_cmpx_lt_u32_e32 51, v0
	s_cbranch_execz .LBB125_295
; %bb.294:
	v_mov_b32_e32 v5, s24
	s_clause 0x3
	buffer_load_dword v2, v5, s[0:3], 0 offen
	buffer_load_dword v3, v5, s[0:3], 0 offen offset:4
	buffer_load_dword v4, v5, s[0:3], 0 offen offset:8
	;; [unrolled: 1-line block ×3, first 2 shown]
	buffer_store_dword v1, off, s[0:3], 0 offset:832
	buffer_store_dword v1, off, s[0:3], 0 offset:836
	;; [unrolled: 1-line block ×4, first 2 shown]
	s_waitcnt vmcnt(0)
	ds_write_b128 v193, v[2:5]
.LBB125_295:
	s_or_b32 exec_lo, exec_lo, s4
	s_waitcnt lgkmcnt(0)
	s_waitcnt_vscnt null, 0x0
	s_barrier
	buffer_gl0_inv
	s_clause 0x2b
	buffer_load_dword v6, off, s[0:3], 0 offset:856
	buffer_load_dword v7, off, s[0:3], 0 offset:860
	;; [unrolled: 1-line block ×44, first 2 shown]
	ds_read_b128 v[2:5], v1 offset:1824
	ds_read_b128 v[133:136], v1 offset:1840
	;; [unrolled: 1-line block ×3, first 2 shown]
	s_mov_b32 s4, exec_lo
	s_waitcnt vmcnt(42) lgkmcnt(2)
	v_mul_f64 v[183:184], v[4:5], v[6:7]
	v_mul_f64 v[6:7], v[2:3], v[6:7]
	s_waitcnt vmcnt(40) lgkmcnt(1)
	v_mul_f64 v[185:186], v[135:136], v[141:142]
	v_mul_f64 v[141:142], v[133:134], v[141:142]
	s_waitcnt vmcnt(38)
	v_fma_f64 v[183:184], v[2:3], v[143:144], -v[183:184]
	v_fma_f64 v[6:7], v[4:5], v[143:144], v[6:7]
	ds_read_b128 v[2:5], v1 offset:1872
	s_waitcnt vmcnt(36) lgkmcnt(1)
	v_mul_f64 v[143:144], v[137:138], v[145:146]
	v_mul_f64 v[145:146], v[139:140], v[145:146]
	s_waitcnt vmcnt(34)
	v_fma_f64 v[185:186], v[133:134], v[147:148], -v[185:186]
	v_fma_f64 v[141:142], v[135:136], v[147:148], v[141:142]
	ds_read_b128 v[133:136], v1 offset:1888
	s_waitcnt vmcnt(30) lgkmcnt(1)
	v_mul_f64 v[147:148], v[2:3], v[149:150]
	v_add_f64 v[183:184], v[183:184], 0
	v_add_f64 v[6:7], v[6:7], 0
	v_mul_f64 v[149:150], v[4:5], v[149:150]
	s_waitcnt vmcnt(28)
	v_fma_f64 v[145:146], v[137:138], v[155:156], -v[145:146]
	v_fma_f64 v[143:144], v[139:140], v[155:156], v[143:144]
	ds_read_b128 v[137:140], v1 offset:1904
	s_waitcnt vmcnt(25)
	v_fma_f64 v[147:148], v[4:5], v[157:158], v[147:148]
	v_add_f64 v[183:184], v[183:184], v[185:186]
	v_add_f64 v[6:7], v[6:7], v[141:142]
	s_waitcnt lgkmcnt(1)
	v_mul_f64 v[141:142], v[133:134], v[151:152]
	v_mul_f64 v[151:152], v[135:136], v[151:152]
	v_fma_f64 v[149:150], v[2:3], v[157:158], -v[149:150]
	s_waitcnt vmcnt(21) lgkmcnt(0)
	v_mul_f64 v[155:156], v[139:140], v[159:160]
	ds_read_b128 v[2:5], v1 offset:1920
	v_add_f64 v[145:146], v[183:184], v[145:146]
	v_add_f64 v[6:7], v[6:7], v[143:144]
	v_mul_f64 v[143:144], v[137:138], v[159:160]
	s_waitcnt vmcnt(20)
	v_fma_f64 v[151:152], v[133:134], v[153:154], -v[151:152]
	v_fma_f64 v[141:142], v[135:136], v[153:154], v[141:142]
	ds_read_b128 v[133:136], v1 offset:1936
	s_waitcnt vmcnt(17)
	v_fma_f64 v[153:154], v[137:138], v[165:166], -v[155:156]
	v_add_f64 v[145:146], v[145:146], v[149:150]
	v_add_f64 v[6:7], v[6:7], v[147:148]
	s_waitcnt lgkmcnt(1)
	v_mul_f64 v[149:150], v[4:5], v[161:162]
	v_mul_f64 v[147:148], v[2:3], v[161:162]
	v_fma_f64 v[143:144], v[139:140], v[165:166], v[143:144]
	ds_read_b128 v[137:140], v1 offset:1952
	v_add_f64 v[145:146], v[145:146], v[151:152]
	v_add_f64 v[6:7], v[6:7], v[141:142]
	s_waitcnt vmcnt(13) lgkmcnt(1)
	v_mul_f64 v[151:152], v[135:136], v[167:168]
	s_waitcnt vmcnt(12)
	v_fma_f64 v[149:150], v[2:3], v[163:164], -v[149:150]
	v_mul_f64 v[141:142], v[133:134], v[167:168]
	v_fma_f64 v[147:148], v[4:5], v[163:164], v[147:148]
	ds_read_b128 v[1:4], v1 offset:1968
	v_add_f64 v[145:146], v[145:146], v[153:154]
	v_add_f64 v[5:6], v[6:7], v[143:144]
	s_waitcnt vmcnt(11) lgkmcnt(1)
	v_mul_f64 v[143:144], v[139:140], v[169:170]
	s_waitcnt vmcnt(9)
	v_fma_f64 v[133:134], v[133:134], v[173:174], -v[151:152]
	v_mul_f64 v[7:8], v[137:138], v[169:170]
	v_fma_f64 v[135:136], v[135:136], v[173:174], v[141:142]
	s_waitcnt vmcnt(7) lgkmcnt(0)
	v_mul_f64 v[141:142], v[1:2], v[175:176]
	v_add_f64 v[145:146], v[145:146], v[149:150]
	v_add_f64 v[5:6], v[5:6], v[147:148]
	v_mul_f64 v[147:148], v[3:4], v[175:176]
	s_waitcnt vmcnt(6)
	v_fma_f64 v[137:138], v[137:138], v[171:172], -v[143:144]
	v_fma_f64 v[7:8], v[139:140], v[171:172], v[7:8]
	s_waitcnt vmcnt(4)
	v_fma_f64 v[3:4], v[3:4], v[177:178], v[141:142]
	v_add_f64 v[133:134], v[145:146], v[133:134]
	v_add_f64 v[5:6], v[5:6], v[135:136]
	v_fma_f64 v[1:2], v[1:2], v[177:178], -v[147:148]
	v_add_f64 v[133:134], v[133:134], v[137:138]
	v_add_f64 v[5:6], v[5:6], v[7:8]
	;; [unrolled: 1-line block ×4, first 2 shown]
	s_waitcnt vmcnt(2)
	v_add_f64 v[1:2], v[179:180], -v[1:2]
	s_waitcnt vmcnt(0)
	v_add_f64 v[3:4], v[181:182], -v[3:4]
	buffer_store_dword v2, off, s[0:3], 0 offset:836
	buffer_store_dword v1, off, s[0:3], 0 offset:832
	;; [unrolled: 1-line block ×4, first 2 shown]
	v_cmpx_lt_u32_e32 50, v0
	s_cbranch_execz .LBB125_297
; %bb.296:
	v_mov_b32_e32 v4, s25
	v_mov_b32_e32 v5, 0
	s_clause 0x3
	buffer_load_dword v1, v4, s[0:3], 0 offen
	buffer_load_dword v2, v4, s[0:3], 0 offen offset:4
	buffer_load_dword v3, v4, s[0:3], 0 offen offset:8
	;; [unrolled: 1-line block ×3, first 2 shown]
	buffer_store_dword v5, off, s[0:3], 0 offset:816
	buffer_store_dword v5, off, s[0:3], 0 offset:820
	;; [unrolled: 1-line block ×4, first 2 shown]
	s_waitcnt vmcnt(0)
	ds_write_b128 v193, v[1:4]
.LBB125_297:
	s_or_b32 exec_lo, exec_lo, s4
	s_waitcnt lgkmcnt(0)
	s_waitcnt_vscnt null, 0x0
	s_barrier
	buffer_gl0_inv
	s_clause 0x2f
	buffer_load_dword v6, off, s[0:3], 0 offset:840
	buffer_load_dword v7, off, s[0:3], 0 offset:844
	buffer_load_dword v141, off, s[0:3], 0 offset:856
	buffer_load_dword v142, off, s[0:3], 0 offset:860
	buffer_load_dword v143, off, s[0:3], 0 offset:832
	buffer_load_dword v144, off, s[0:3], 0 offset:836
	buffer_load_dword v145, off, s[0:3], 0 offset:872
	buffer_load_dword v146, off, s[0:3], 0 offset:876
	buffer_load_dword v147, off, s[0:3], 0 offset:848
	buffer_load_dword v148, off, s[0:3], 0 offset:852
	buffer_load_dword v150, off, s[0:3], 0 offset:892
	buffer_load_dword v149, off, s[0:3], 0 offset:888
	buffer_load_dword v151, off, s[0:3], 0 offset:864
	buffer_load_dword v152, off, s[0:3], 0 offset:868
	buffer_load_dword v153, off, s[0:3], 0 offset:904
	buffer_load_dword v154, off, s[0:3], 0 offset:908
	buffer_load_dword v156, off, s[0:3], 0 offset:884
	buffer_load_dword v155, off, s[0:3], 0 offset:880
	buffer_load_dword v158, off, s[0:3], 0 offset:924
	buffer_load_dword v157, off, s[0:3], 0 offset:920
	buffer_load_dword v159, off, s[0:3], 0 offset:896
	buffer_load_dword v160, off, s[0:3], 0 offset:900
	buffer_load_dword v161, off, s[0:3], 0 offset:936
	buffer_load_dword v162, off, s[0:3], 0 offset:940
	buffer_load_dword v164, off, s[0:3], 0 offset:916
	buffer_load_dword v163, off, s[0:3], 0 offset:912
	buffer_load_dword v166, off, s[0:3], 0 offset:956
	buffer_load_dword v165, off, s[0:3], 0 offset:952
	buffer_load_dword v167, off, s[0:3], 0 offset:928
	buffer_load_dword v168, off, s[0:3], 0 offset:932
	buffer_load_dword v169, off, s[0:3], 0 offset:968
	buffer_load_dword v170, off, s[0:3], 0 offset:972
	buffer_load_dword v172, off, s[0:3], 0 offset:948
	buffer_load_dword v171, off, s[0:3], 0 offset:944
	buffer_load_dword v174, off, s[0:3], 0 offset:988
	buffer_load_dword v173, off, s[0:3], 0 offset:984
	buffer_load_dword v175, off, s[0:3], 0 offset:960
	buffer_load_dword v176, off, s[0:3], 0 offset:964
	buffer_load_dword v177, off, s[0:3], 0 offset:1000
	buffer_load_dword v178, off, s[0:3], 0 offset:1004
	buffer_load_dword v180, off, s[0:3], 0 offset:980
	buffer_load_dword v179, off, s[0:3], 0 offset:976
	buffer_load_dword v181, off, s[0:3], 0 offset:992
	buffer_load_dword v182, off, s[0:3], 0 offset:996
	buffer_load_dword v183, off, s[0:3], 0 offset:816
	buffer_load_dword v184, off, s[0:3], 0 offset:820
	buffer_load_dword v185, off, s[0:3], 0 offset:824
	buffer_load_dword v186, off, s[0:3], 0 offset:828
	v_mov_b32_e32 v1, 0
	s_mov_b32 s4, exec_lo
	ds_read_b128 v[2:5], v1 offset:1808
	ds_read_b128 v[133:136], v1 offset:1824
	;; [unrolled: 1-line block ×3, first 2 shown]
	s_waitcnt vmcnt(46) lgkmcnt(2)
	v_mul_f64 v[187:188], v[4:5], v[6:7]
	v_mul_f64 v[6:7], v[2:3], v[6:7]
	s_waitcnt vmcnt(44) lgkmcnt(1)
	v_mul_f64 v[189:190], v[135:136], v[141:142]
	v_mul_f64 v[141:142], v[133:134], v[141:142]
	s_waitcnt vmcnt(42)
	v_fma_f64 v[187:188], v[2:3], v[143:144], -v[187:188]
	v_fma_f64 v[6:7], v[4:5], v[143:144], v[6:7]
	ds_read_b128 v[2:5], v1 offset:1856
	s_waitcnt vmcnt(40) lgkmcnt(1)
	v_mul_f64 v[143:144], v[137:138], v[145:146]
	v_mul_f64 v[145:146], v[139:140], v[145:146]
	s_waitcnt vmcnt(38)
	v_fma_f64 v[189:190], v[133:134], v[147:148], -v[189:190]
	v_fma_f64 v[141:142], v[135:136], v[147:148], v[141:142]
	ds_read_b128 v[133:136], v1 offset:1872
	s_waitcnt vmcnt(36) lgkmcnt(1)
	v_mul_f64 v[147:148], v[2:3], v[149:150]
	v_add_f64 v[187:188], v[187:188], 0
	v_add_f64 v[6:7], v[6:7], 0
	v_mul_f64 v[149:150], v[4:5], v[149:150]
	s_waitcnt vmcnt(34)
	v_fma_f64 v[145:146], v[137:138], v[151:152], -v[145:146]
	v_fma_f64 v[143:144], v[139:140], v[151:152], v[143:144]
	ds_read_b128 v[137:140], v1 offset:1888
	s_waitcnt vmcnt(32) lgkmcnt(1)
	v_mul_f64 v[151:152], v[135:136], v[153:154]
	s_waitcnt vmcnt(30)
	v_fma_f64 v[147:148], v[4:5], v[155:156], v[147:148]
	v_add_f64 v[187:188], v[187:188], v[189:190]
	v_add_f64 v[6:7], v[6:7], v[141:142]
	v_fma_f64 v[149:150], v[2:3], v[155:156], -v[149:150]
	v_mul_f64 v[141:142], v[133:134], v[153:154]
	s_waitcnt vmcnt(28) lgkmcnt(0)
	v_mul_f64 v[153:154], v[139:140], v[157:158]
	ds_read_b128 v[2:5], v1 offset:1904
	s_waitcnt vmcnt(26)
	v_fma_f64 v[151:152], v[133:134], v[159:160], -v[151:152]
	v_add_f64 v[145:146], v[187:188], v[145:146]
	v_add_f64 v[6:7], v[6:7], v[143:144]
	v_mul_f64 v[143:144], v[137:138], v[157:158]
	v_fma_f64 v[141:142], v[135:136], v[159:160], v[141:142]
	ds_read_b128 v[133:136], v1 offset:1920
	s_waitcnt vmcnt(22)
	v_fma_f64 v[153:154], v[137:138], v[163:164], -v[153:154]
	v_add_f64 v[145:146], v[145:146], v[149:150]
	v_add_f64 v[6:7], v[6:7], v[147:148]
	s_waitcnt lgkmcnt(1)
	v_mul_f64 v[149:150], v[4:5], v[161:162]
	v_mul_f64 v[147:148], v[2:3], v[161:162]
	v_fma_f64 v[143:144], v[139:140], v[163:164], v[143:144]
	ds_read_b128 v[137:140], v1 offset:1936
	v_add_f64 v[145:146], v[145:146], v[151:152]
	v_add_f64 v[6:7], v[6:7], v[141:142]
	s_waitcnt vmcnt(20) lgkmcnt(1)
	v_mul_f64 v[151:152], v[135:136], v[165:166]
	s_waitcnt vmcnt(18)
	v_fma_f64 v[149:150], v[2:3], v[167:168], -v[149:150]
	v_mul_f64 v[141:142], v[133:134], v[165:166]
	v_fma_f64 v[147:148], v[4:5], v[167:168], v[147:148]
	ds_read_b128 v[2:5], v1 offset:1952
	v_add_f64 v[145:146], v[145:146], v[153:154]
	v_add_f64 v[6:7], v[6:7], v[143:144]
	s_waitcnt vmcnt(16) lgkmcnt(1)
	v_mul_f64 v[153:154], v[139:140], v[169:170]
	s_waitcnt vmcnt(14)
	v_fma_f64 v[151:152], v[133:134], v[171:172], -v[151:152]
	;; [unrolled: 9-line block ×3, first 2 shown]
	v_mul_f64 v[147:148], v[2:3], v[173:174]
	v_fma_f64 v[139:140], v[139:140], v[175:176], v[143:144]
	s_waitcnt vmcnt(8) lgkmcnt(0)
	v_mul_f64 v[143:144], v[135:136], v[177:178]
	v_add_f64 v[145:146], v[145:146], v[151:152]
	v_add_f64 v[6:7], v[6:7], v[141:142]
	s_waitcnt vmcnt(6)
	v_fma_f64 v[2:3], v[2:3], v[179:180], -v[149:150]
	v_mul_f64 v[141:142], v[133:134], v[177:178]
	v_fma_f64 v[4:5], v[4:5], v[179:180], v[147:148]
	s_waitcnt vmcnt(4)
	v_fma_f64 v[133:134], v[133:134], v[181:182], -v[143:144]
	v_add_f64 v[137:138], v[145:146], v[137:138]
	v_add_f64 v[6:7], v[6:7], v[139:140]
	v_fma_f64 v[135:136], v[135:136], v[181:182], v[141:142]
	v_add_f64 v[2:3], v[137:138], v[2:3]
	v_add_f64 v[4:5], v[6:7], v[4:5]
	;; [unrolled: 1-line block ×4, first 2 shown]
	s_waitcnt vmcnt(2)
	v_add_f64 v[2:3], v[183:184], -v[2:3]
	s_waitcnt vmcnt(0)
	v_add_f64 v[4:5], v[185:186], -v[4:5]
	buffer_store_dword v3, off, s[0:3], 0 offset:820
	buffer_store_dword v2, off, s[0:3], 0 offset:816
	buffer_store_dword v5, off, s[0:3], 0 offset:828
	buffer_store_dword v4, off, s[0:3], 0 offset:824
	v_cmpx_lt_u32_e32 49, v0
	s_cbranch_execz .LBB125_299
; %bb.298:
	v_mov_b32_e32 v5, s26
	s_clause 0x3
	buffer_load_dword v2, v5, s[0:3], 0 offen
	buffer_load_dword v3, v5, s[0:3], 0 offen offset:4
	buffer_load_dword v4, v5, s[0:3], 0 offen offset:8
	buffer_load_dword v5, v5, s[0:3], 0 offen offset:12
	buffer_store_dword v1, off, s[0:3], 0 offset:800
	buffer_store_dword v1, off, s[0:3], 0 offset:804
	buffer_store_dword v1, off, s[0:3], 0 offset:808
	buffer_store_dword v1, off, s[0:3], 0 offset:812
	s_waitcnt vmcnt(0)
	ds_write_b128 v193, v[2:5]
.LBB125_299:
	s_or_b32 exec_lo, exec_lo, s4
	s_waitcnt lgkmcnt(0)
	s_waitcnt_vscnt null, 0x0
	s_barrier
	buffer_gl0_inv
	s_clause 0x2f
	buffer_load_dword v6, off, s[0:3], 0 offset:824
	buffer_load_dword v7, off, s[0:3], 0 offset:828
	;; [unrolled: 1-line block ×48, first 2 shown]
	ds_read_b128 v[2:5], v1 offset:1792
	s_clause 0x3
	buffer_load_dword v187, off, s[0:3], 0 offset:800
	buffer_load_dword v188, off, s[0:3], 0 offset:804
	;; [unrolled: 1-line block ×4, first 2 shown]
	ds_read_b128 v[133:136], v1 offset:1808
	ds_read_b128 v[137:140], v1 offset:1824
	s_mov_b32 s4, exec_lo
	s_waitcnt vmcnt(50) lgkmcnt(2)
	v_mul_f64 v[191:192], v[4:5], v[6:7]
	v_mul_f64 v[6:7], v[2:3], v[6:7]
	s_waitcnt vmcnt(48) lgkmcnt(1)
	v_mul_f64 v[194:195], v[135:136], v[141:142]
	v_mul_f64 v[141:142], v[133:134], v[141:142]
	s_waitcnt vmcnt(46)
	v_fma_f64 v[191:192], v[2:3], v[143:144], -v[191:192]
	v_fma_f64 v[6:7], v[4:5], v[143:144], v[6:7]
	s_waitcnt vmcnt(44) lgkmcnt(0)
	v_mul_f64 v[143:144], v[137:138], v[145:146]
	v_mul_f64 v[145:146], v[139:140], v[145:146]
	s_waitcnt vmcnt(42)
	v_fma_f64 v[194:195], v[133:134], v[147:148], -v[194:195]
	ds_read_b128 v[2:5], v1 offset:1840
	v_fma_f64 v[141:142], v[135:136], v[147:148], v[141:142]
	ds_read_b128 v[133:136], v1 offset:1856
	v_add_f64 v[191:192], v[191:192], 0
	v_add_f64 v[6:7], v[6:7], 0
	s_waitcnt vmcnt(36)
	v_fma_f64 v[143:144], v[139:140], v[155:156], v[143:144]
	s_waitcnt lgkmcnt(1)
	v_mul_f64 v[147:148], v[2:3], v[149:150]
	v_mul_f64 v[149:150], v[4:5], v[149:150]
	v_fma_f64 v[145:146], v[137:138], v[155:156], -v[145:146]
	ds_read_b128 v[137:140], v1 offset:1872
	v_add_f64 v[191:192], v[191:192], v[194:195]
	v_add_f64 v[6:7], v[6:7], v[141:142]
	s_waitcnt vmcnt(35) lgkmcnt(1)
	v_mul_f64 v[141:142], v[133:134], v[151:152]
	v_mul_f64 v[151:152], v[135:136], v[151:152]
	s_waitcnt vmcnt(33)
	v_fma_f64 v[149:150], v[2:3], v[157:158], -v[149:150]
	v_fma_f64 v[147:148], v[4:5], v[157:158], v[147:148]
	ds_read_b128 v[2:5], v1 offset:1888
	s_waitcnt vmcnt(29) lgkmcnt(1)
	v_mul_f64 v[155:156], v[139:140], v[159:160]
	v_add_f64 v[145:146], v[191:192], v[145:146]
	v_add_f64 v[6:7], v[6:7], v[143:144]
	v_mul_f64 v[143:144], v[137:138], v[159:160]
	s_waitcnt vmcnt(28)
	v_fma_f64 v[151:152], v[133:134], v[153:154], -v[151:152]
	v_fma_f64 v[141:142], v[135:136], v[153:154], v[141:142]
	ds_read_b128 v[133:136], v1 offset:1904
	s_waitcnt vmcnt(25)
	v_fma_f64 v[153:154], v[137:138], v[165:166], -v[155:156]
	v_add_f64 v[145:146], v[145:146], v[149:150]
	v_add_f64 v[6:7], v[6:7], v[147:148]
	s_waitcnt lgkmcnt(1)
	v_mul_f64 v[149:150], v[4:5], v[161:162]
	v_mul_f64 v[147:148], v[2:3], v[161:162]
	v_fma_f64 v[143:144], v[139:140], v[165:166], v[143:144]
	ds_read_b128 v[137:140], v1 offset:1920
	v_add_f64 v[145:146], v[145:146], v[151:152]
	v_add_f64 v[6:7], v[6:7], v[141:142]
	s_waitcnt vmcnt(21) lgkmcnt(1)
	v_mul_f64 v[151:152], v[135:136], v[167:168]
	s_waitcnt vmcnt(20)
	v_fma_f64 v[149:150], v[2:3], v[163:164], -v[149:150]
	v_mul_f64 v[141:142], v[133:134], v[167:168]
	v_fma_f64 v[147:148], v[4:5], v[163:164], v[147:148]
	ds_read_b128 v[2:5], v1 offset:1936
	v_add_f64 v[145:146], v[145:146], v[153:154]
	v_add_f64 v[6:7], v[6:7], v[143:144]
	s_waitcnt vmcnt(19) lgkmcnt(1)
	v_mul_f64 v[153:154], v[139:140], v[169:170]
	s_waitcnt vmcnt(17)
	v_fma_f64 v[151:152], v[133:134], v[173:174], -v[151:152]
	;; [unrolled: 9-line block ×4, first 2 shown]
	v_mul_f64 v[141:142], v[133:134], v[177:178]
	v_fma_f64 v[3:4], v[4:5], v[181:182], v[147:148]
	v_add_f64 v[145:146], v[145:146], v[153:154]
	v_add_f64 v[5:6], v[6:7], v[143:144]
	s_waitcnt vmcnt(7) lgkmcnt(0)
	v_mul_f64 v[143:144], v[139:140], v[183:184]
	s_waitcnt vmcnt(6)
	v_fma_f64 v[133:134], v[133:134], v[179:180], -v[151:152]
	v_mul_f64 v[7:8], v[137:138], v[183:184]
	v_fma_f64 v[135:136], v[135:136], v[179:180], v[141:142]
	v_add_f64 v[1:2], v[145:146], v[1:2]
	v_add_f64 v[3:4], v[5:6], v[3:4]
	s_waitcnt vmcnt(4)
	v_fma_f64 v[5:6], v[137:138], v[185:186], -v[143:144]
	v_fma_f64 v[7:8], v[139:140], v[185:186], v[7:8]
	v_add_f64 v[1:2], v[1:2], v[133:134]
	v_add_f64 v[3:4], v[3:4], v[135:136]
	;; [unrolled: 1-line block ×4, first 2 shown]
	s_waitcnt vmcnt(2)
	v_add_f64 v[1:2], v[187:188], -v[1:2]
	s_waitcnt vmcnt(0)
	v_add_f64 v[3:4], v[189:190], -v[3:4]
	buffer_store_dword v2, off, s[0:3], 0 offset:804
	buffer_store_dword v1, off, s[0:3], 0 offset:800
	;; [unrolled: 1-line block ×4, first 2 shown]
	v_cmpx_lt_u32_e32 48, v0
	s_cbranch_execz .LBB125_301
; %bb.300:
	v_mov_b32_e32 v4, s27
	v_mov_b32_e32 v5, 0
	s_clause 0x3
	buffer_load_dword v1, v4, s[0:3], 0 offen
	buffer_load_dword v2, v4, s[0:3], 0 offen offset:4
	buffer_load_dword v3, v4, s[0:3], 0 offen offset:8
	;; [unrolled: 1-line block ×3, first 2 shown]
	buffer_store_dword v5, off, s[0:3], 0 offset:784
	buffer_store_dword v5, off, s[0:3], 0 offset:788
	;; [unrolled: 1-line block ×4, first 2 shown]
	s_waitcnt vmcnt(0)
	ds_write_b128 v193, v[1:4]
.LBB125_301:
	s_or_b32 exec_lo, exec_lo, s4
	s_waitcnt lgkmcnt(0)
	s_waitcnt_vscnt null, 0x0
	s_barrier
	buffer_gl0_inv
	s_clause 0x33
	buffer_load_dword v6, off, s[0:3], 0 offset:808
	buffer_load_dword v7, off, s[0:3], 0 offset:812
	;; [unrolled: 1-line block ×52, first 2 shown]
	v_mov_b32_e32 v1, 0
	ds_read_b128 v[2:5], v1 offset:1776
	ds_read_b128 v[133:136], v1 offset:1792
	s_clause 0x3
	buffer_load_dword v194, off, s[0:3], 0 offset:784
	buffer_load_dword v195, off, s[0:3], 0 offset:788
	buffer_load_dword v196, off, s[0:3], 0 offset:792
	buffer_load_dword v197, off, s[0:3], 0 offset:796
	ds_read_b128 v[137:140], v1 offset:1808
	s_mov_b32 s4, exec_lo
	s_waitcnt vmcnt(54) lgkmcnt(2)
	v_mul_f64 v[191:192], v[4:5], v[6:7]
	v_mul_f64 v[6:7], v[2:3], v[6:7]
	s_waitcnt vmcnt(52) lgkmcnt(1)
	v_mul_f64 v[198:199], v[135:136], v[141:142]
	v_mul_f64 v[141:142], v[133:134], v[141:142]
	s_waitcnt vmcnt(50)
	v_fma_f64 v[191:192], v[2:3], v[143:144], -v[191:192]
	v_fma_f64 v[6:7], v[4:5], v[143:144], v[6:7]
	ds_read_b128 v[2:5], v1 offset:1824
	s_waitcnt vmcnt(48) lgkmcnt(1)
	v_mul_f64 v[143:144], v[137:138], v[145:146]
	v_mul_f64 v[145:146], v[139:140], v[145:146]
	s_waitcnt vmcnt(46)
	v_fma_f64 v[198:199], v[133:134], v[147:148], -v[198:199]
	v_fma_f64 v[141:142], v[135:136], v[147:148], v[141:142]
	ds_read_b128 v[133:136], v1 offset:1840
	s_waitcnt vmcnt(42) lgkmcnt(1)
	v_mul_f64 v[147:148], v[2:3], v[149:150]
	v_add_f64 v[191:192], v[191:192], 0
	v_add_f64 v[6:7], v[6:7], 0
	v_mul_f64 v[149:150], v[4:5], v[149:150]
	s_waitcnt vmcnt(40)
	v_fma_f64 v[145:146], v[137:138], v[155:156], -v[145:146]
	v_fma_f64 v[143:144], v[139:140], v[155:156], v[143:144]
	ds_read_b128 v[137:140], v1 offset:1856
	s_waitcnt vmcnt(37)
	v_fma_f64 v[147:148], v[4:5], v[157:158], v[147:148]
	v_add_f64 v[191:192], v[191:192], v[198:199]
	v_add_f64 v[6:7], v[6:7], v[141:142]
	s_waitcnt lgkmcnt(1)
	v_mul_f64 v[141:142], v[133:134], v[151:152]
	v_mul_f64 v[151:152], v[135:136], v[151:152]
	v_fma_f64 v[149:150], v[2:3], v[157:158], -v[149:150]
	s_waitcnt vmcnt(33) lgkmcnt(0)
	v_mul_f64 v[155:156], v[139:140], v[159:160]
	ds_read_b128 v[2:5], v1 offset:1872
	v_add_f64 v[145:146], v[191:192], v[145:146]
	v_add_f64 v[6:7], v[6:7], v[143:144]
	v_mul_f64 v[143:144], v[137:138], v[159:160]
	s_waitcnt vmcnt(32)
	v_fma_f64 v[151:152], v[133:134], v[153:154], -v[151:152]
	v_fma_f64 v[141:142], v[135:136], v[153:154], v[141:142]
	ds_read_b128 v[133:136], v1 offset:1888
	s_waitcnt vmcnt(29)
	v_fma_f64 v[153:154], v[137:138], v[165:166], -v[155:156]
	v_add_f64 v[145:146], v[145:146], v[149:150]
	v_add_f64 v[6:7], v[6:7], v[147:148]
	s_waitcnt lgkmcnt(1)
	v_mul_f64 v[149:150], v[4:5], v[161:162]
	v_mul_f64 v[147:148], v[2:3], v[161:162]
	v_fma_f64 v[143:144], v[139:140], v[165:166], v[143:144]
	ds_read_b128 v[137:140], v1 offset:1904
	v_add_f64 v[145:146], v[145:146], v[151:152]
	v_add_f64 v[6:7], v[6:7], v[141:142]
	s_waitcnt vmcnt(25) lgkmcnt(1)
	v_mul_f64 v[151:152], v[135:136], v[167:168]
	s_waitcnt vmcnt(24)
	v_fma_f64 v[149:150], v[2:3], v[163:164], -v[149:150]
	v_mul_f64 v[141:142], v[133:134], v[167:168]
	v_fma_f64 v[147:148], v[4:5], v[163:164], v[147:148]
	ds_read_b128 v[2:5], v1 offset:1920
	v_add_f64 v[145:146], v[145:146], v[153:154]
	v_add_f64 v[6:7], v[6:7], v[143:144]
	s_waitcnt vmcnt(23) lgkmcnt(1)
	v_mul_f64 v[153:154], v[139:140], v[169:170]
	s_waitcnt vmcnt(21)
	v_fma_f64 v[151:152], v[133:134], v[173:174], -v[151:152]
	;; [unrolled: 9-line block ×5, first 2 shown]
	v_mul_f64 v[143:144], v[137:138], v[183:184]
	v_fma_f64 v[135:136], v[135:136], v[179:180], v[141:142]
	s_waitcnt vmcnt(7) lgkmcnt(0)
	v_mul_f64 v[141:142], v[2:3], v[185:186]
	v_add_f64 v[145:146], v[145:146], v[149:150]
	v_add_f64 v[6:7], v[6:7], v[147:148]
	v_mul_f64 v[147:148], v[4:5], v[185:186]
	s_waitcnt vmcnt(5)
	v_fma_f64 v[137:138], v[137:138], v[189:190], -v[153:154]
	v_fma_f64 v[139:140], v[139:140], v[189:190], v[143:144]
	s_waitcnt vmcnt(4)
	v_fma_f64 v[4:5], v[4:5], v[187:188], v[141:142]
	v_add_f64 v[133:134], v[145:146], v[133:134]
	v_add_f64 v[6:7], v[6:7], v[135:136]
	v_fma_f64 v[2:3], v[2:3], v[187:188], -v[147:148]
	v_add_f64 v[133:134], v[133:134], v[137:138]
	v_add_f64 v[6:7], v[6:7], v[139:140]
	;; [unrolled: 1-line block ×4, first 2 shown]
	s_waitcnt vmcnt(2)
	v_add_f64 v[2:3], v[194:195], -v[2:3]
	s_waitcnt vmcnt(0)
	v_add_f64 v[4:5], v[196:197], -v[4:5]
	buffer_store_dword v3, off, s[0:3], 0 offset:788
	buffer_store_dword v2, off, s[0:3], 0 offset:784
	;; [unrolled: 1-line block ×4, first 2 shown]
	v_cmpx_lt_u32_e32 47, v0
	s_cbranch_execz .LBB125_303
; %bb.302:
	v_mov_b32_e32 v5, s28
	s_clause 0x3
	buffer_load_dword v2, v5, s[0:3], 0 offen
	buffer_load_dword v3, v5, s[0:3], 0 offen offset:4
	buffer_load_dword v4, v5, s[0:3], 0 offen offset:8
	buffer_load_dword v5, v5, s[0:3], 0 offen offset:12
	buffer_store_dword v1, off, s[0:3], 0 offset:768
	buffer_store_dword v1, off, s[0:3], 0 offset:772
	;; [unrolled: 1-line block ×4, first 2 shown]
	s_waitcnt vmcnt(0)
	ds_write_b128 v193, v[2:5]
.LBB125_303:
	s_or_b32 exec_lo, exec_lo, s4
	s_waitcnt lgkmcnt(0)
	s_waitcnt_vscnt null, 0x0
	s_barrier
	buffer_gl0_inv
	s_clause 0x35
	buffer_load_dword v6, off, s[0:3], 0 offset:792
	buffer_load_dword v7, off, s[0:3], 0 offset:796
	buffer_load_dword v141, off, s[0:3], 0 offset:808
	buffer_load_dword v142, off, s[0:3], 0 offset:812
	buffer_load_dword v143, off, s[0:3], 0 offset:784
	buffer_load_dword v144, off, s[0:3], 0 offset:788
	buffer_load_dword v145, off, s[0:3], 0 offset:824
	buffer_load_dword v146, off, s[0:3], 0 offset:828
	buffer_load_dword v147, off, s[0:3], 0 offset:800
	buffer_load_dword v148, off, s[0:3], 0 offset:804
	buffer_load_dword v150, off, s[0:3], 0 offset:844
	buffer_load_dword v151, off, s[0:3], 0 offset:856
	buffer_load_dword v153, off, s[0:3], 0 offset:848
	buffer_load_dword v149, off, s[0:3], 0 offset:840
	buffer_load_dword v155, off, s[0:3], 0 offset:816
	buffer_load_dword v156, off, s[0:3], 0 offset:820
	buffer_load_dword v152, off, s[0:3], 0 offset:860
	buffer_load_dword v158, off, s[0:3], 0 offset:836
	buffer_load_dword v157, off, s[0:3], 0 offset:832
	buffer_load_dword v160, off, s[0:3], 0 offset:876
	buffer_load_dword v161, off, s[0:3], 0 offset:888
	buffer_load_dword v163, off, s[0:3], 0 offset:880
	buffer_load_dword v159, off, s[0:3], 0 offset:872
	buffer_load_dword v154, off, s[0:3], 0 offset:852
	buffer_load_dword v162, off, s[0:3], 0 offset:892
	buffer_load_dword v166, off, s[0:3], 0 offset:868
	buffer_load_dword v165, off, s[0:3], 0 offset:864
	buffer_load_dword v168, off, s[0:3], 0 offset:908
	buffer_load_dword v169, off, s[0:3], 0 offset:920
	buffer_load_dword v171, off, s[0:3], 0 offset:912
	buffer_load_dword v167, off, s[0:3], 0 offset:904
	buffer_load_dword v164, off, s[0:3], 0 offset:884
	buffer_load_dword v170, off, s[0:3], 0 offset:924
	buffer_load_dword v174, off, s[0:3], 0 offset:900
	buffer_load_dword v173, off, s[0:3], 0 offset:896
	buffer_load_dword v176, off, s[0:3], 0 offset:940
	buffer_load_dword v177, off, s[0:3], 0 offset:952
	buffer_load_dword v179, off, s[0:3], 0 offset:944
	buffer_load_dword v175, off, s[0:3], 0 offset:936
	buffer_load_dword v172, off, s[0:3], 0 offset:916
	buffer_load_dword v178, off, s[0:3], 0 offset:956
	buffer_load_dword v182, off, s[0:3], 0 offset:932
	buffer_load_dword v181, off, s[0:3], 0 offset:928
	buffer_load_dword v184, off, s[0:3], 0 offset:972
	buffer_load_dword v185, off, s[0:3], 0 offset:984
	buffer_load_dword v187, off, s[0:3], 0 offset:976
	buffer_load_dword v183, off, s[0:3], 0 offset:968
	buffer_load_dword v180, off, s[0:3], 0 offset:948
	buffer_load_dword v186, off, s[0:3], 0 offset:988
	buffer_load_dword v190, off, s[0:3], 0 offset:964
	buffer_load_dword v189, off, s[0:3], 0 offset:960
	buffer_load_dword v192, off, s[0:3], 0 offset:1004
	buffer_load_dword v191, off, s[0:3], 0 offset:1000
	buffer_load_dword v188, off, s[0:3], 0 offset:980
	ds_read_b128 v[2:5], v1 offset:1760
	s_clause 0x1
	buffer_load_dword v195, off, s[0:3], 0 offset:996
	buffer_load_dword v194, off, s[0:3], 0 offset:992
	ds_read_b128 v[133:136], v1 offset:1776
	ds_read_b128 v[137:140], v1 offset:1792
	s_mov_b32 s4, exec_lo
	s_waitcnt vmcnt(54) lgkmcnt(2)
	v_mul_f64 v[196:197], v[4:5], v[6:7]
	v_mul_f64 v[6:7], v[2:3], v[6:7]
	s_waitcnt vmcnt(52) lgkmcnt(1)
	v_mul_f64 v[198:199], v[135:136], v[141:142]
	v_mul_f64 v[141:142], v[133:134], v[141:142]
	;; [unrolled: 3-line block ×3, first 2 shown]
	v_fma_f64 v[196:197], v[2:3], v[143:144], -v[196:197]
	v_fma_f64 v[6:7], v[4:5], v[143:144], v[6:7]
	s_clause 0x3
	buffer_load_dword v143, off, s[0:3], 0 offset:768
	buffer_load_dword v144, off, s[0:3], 0 offset:772
	;; [unrolled: 1-line block ×4, first 2 shown]
	s_waitcnt vmcnt(50)
	v_fma_f64 v[198:199], v[133:134], v[147:148], -v[198:199]
	ds_read_b128 v[2:5], v1 offset:1808
	v_fma_f64 v[141:142], v[135:136], v[147:148], v[141:142]
	ds_read_b128 v[133:136], v1 offset:1824
	s_waitcnt vmcnt(44)
	v_fma_f64 v[145:146], v[137:138], v[155:156], -v[145:146]
	v_fma_f64 v[155:156], v[139:140], v[155:156], v[202:203]
	ds_read_b128 v[137:140], v1 offset:1840
	v_add_f64 v[196:197], v[196:197], 0
	v_add_f64 v[6:7], v[6:7], 0
	s_waitcnt lgkmcnt(2)
	v_mul_f64 v[147:148], v[2:3], v[149:150]
	v_mul_f64 v[149:150], v[4:5], v[149:150]
	v_add_f64 v[196:197], v[196:197], v[198:199]
	v_add_f64 v[6:7], v[6:7], v[141:142]
	s_waitcnt vmcnt(43) lgkmcnt(1)
	v_mul_f64 v[141:142], v[133:134], v[151:152]
	v_mul_f64 v[151:152], v[135:136], v[151:152]
	s_waitcnt vmcnt(41)
	v_fma_f64 v[149:150], v[2:3], v[157:158], -v[149:150]
	v_fma_f64 v[147:148], v[4:5], v[157:158], v[147:148]
	ds_read_b128 v[2:5], v1 offset:1856
	s_waitcnt vmcnt(37) lgkmcnt(1)
	v_mul_f64 v[157:158], v[139:140], v[159:160]
	v_add_f64 v[145:146], v[196:197], v[145:146]
	v_add_f64 v[6:7], v[6:7], v[155:156]
	v_mul_f64 v[155:156], v[137:138], v[159:160]
	s_waitcnt vmcnt(36)
	v_fma_f64 v[151:152], v[133:134], v[153:154], -v[151:152]
	v_fma_f64 v[141:142], v[135:136], v[153:154], v[141:142]
	ds_read_b128 v[133:136], v1 offset:1872
	s_waitcnt vmcnt(33)
	v_fma_f64 v[153:154], v[137:138], v[165:166], -v[157:158]
	v_add_f64 v[145:146], v[145:146], v[149:150]
	v_add_f64 v[6:7], v[6:7], v[147:148]
	s_waitcnt lgkmcnt(1)
	v_mul_f64 v[149:150], v[4:5], v[161:162]
	v_mul_f64 v[147:148], v[2:3], v[161:162]
	v_add_f64 v[145:146], v[145:146], v[151:152]
	v_fma_f64 v[151:152], v[139:140], v[165:166], v[155:156]
	v_add_f64 v[6:7], v[6:7], v[141:142]
	ds_read_b128 v[137:140], v1 offset:1888
	s_waitcnt vmcnt(29) lgkmcnt(1)
	v_mul_f64 v[155:156], v[135:136], v[167:168]
	s_waitcnt vmcnt(28)
	v_fma_f64 v[149:150], v[2:3], v[163:164], -v[149:150]
	v_mul_f64 v[141:142], v[133:134], v[167:168]
	v_fma_f64 v[147:148], v[4:5], v[163:164], v[147:148]
	ds_read_b128 v[2:5], v1 offset:1904
	v_add_f64 v[145:146], v[145:146], v[153:154]
	s_waitcnt vmcnt(27) lgkmcnt(1)
	v_mul_f64 v[153:154], v[139:140], v[169:170]
	v_add_f64 v[6:7], v[6:7], v[151:152]
	v_mul_f64 v[151:152], v[137:138], v[169:170]
	s_waitcnt vmcnt(25)
	v_fma_f64 v[155:156], v[133:134], v[173:174], -v[155:156]
	v_fma_f64 v[141:142], v[135:136], v[173:174], v[141:142]
	ds_read_b128 v[133:136], v1 offset:1920
	v_add_f64 v[145:146], v[145:146], v[149:150]
	s_waitcnt vmcnt(21) lgkmcnt(1)
	v_mul_f64 v[149:150], v[4:5], v[175:176]
	v_add_f64 v[6:7], v[6:7], v[147:148]
	s_waitcnt vmcnt(20)
	v_fma_f64 v[153:154], v[137:138], v[171:172], -v[153:154]
	v_mul_f64 v[147:148], v[2:3], v[175:176]
	v_fma_f64 v[151:152], v[139:140], v[171:172], v[151:152]
	ds_read_b128 v[137:140], v1 offset:1936
	v_add_f64 v[145:146], v[145:146], v[155:156]
	s_waitcnt vmcnt(19) lgkmcnt(1)
	v_mul_f64 v[155:156], v[135:136], v[177:178]
	v_add_f64 v[6:7], v[6:7], v[141:142]
	s_waitcnt vmcnt(17)
	v_fma_f64 v[149:150], v[2:3], v[181:182], -v[149:150]
	v_mul_f64 v[141:142], v[133:134], v[177:178]
	;; [unrolled: 9-line block ×4, first 2 shown]
	v_fma_f64 v[139:140], v[139:140], v[189:190], v[151:152]
	s_waitcnt vmcnt(7) lgkmcnt(0)
	v_mul_f64 v[151:152], v[135:136], v[191:192]
	v_add_f64 v[145:146], v[145:146], v[155:156]
	s_waitcnt vmcnt(6)
	v_fma_f64 v[1:2], v[2:3], v[187:188], -v[149:150]
	v_add_f64 v[6:7], v[6:7], v[141:142]
	v_mul_f64 v[141:142], v[133:134], v[191:192]
	v_fma_f64 v[3:4], v[4:5], v[187:188], v[147:148]
	v_add_f64 v[137:138], v[145:146], v[137:138]
	v_add_f64 v[5:6], v[6:7], v[139:140]
	s_waitcnt vmcnt(4)
	v_fma_f64 v[7:8], v[133:134], v[194:195], -v[151:152]
	v_fma_f64 v[133:134], v[135:136], v[194:195], v[141:142]
	v_add_f64 v[1:2], v[137:138], v[1:2]
	v_add_f64 v[3:4], v[5:6], v[3:4]
	;; [unrolled: 1-line block ×4, first 2 shown]
	s_waitcnt vmcnt(2)
	v_add_f64 v[1:2], v[143:144], -v[1:2]
	s_waitcnt vmcnt(0)
	v_add_f64 v[3:4], v[200:201], -v[3:4]
	buffer_store_dword v2, off, s[0:3], 0 offset:772
	buffer_store_dword v1, off, s[0:3], 0 offset:768
	;; [unrolled: 1-line block ×4, first 2 shown]
	v_cmpx_lt_u32_e32 46, v0
	s_cbranch_execz .LBB125_305
; %bb.304:
	v_mov_b32_e32 v4, s29
	v_mov_b32_e32 v5, 0
	s_clause 0x3
	buffer_load_dword v1, v4, s[0:3], 0 offen
	buffer_load_dword v2, v4, s[0:3], 0 offen offset:4
	buffer_load_dword v3, v4, s[0:3], 0 offen offset:8
	;; [unrolled: 1-line block ×3, first 2 shown]
	buffer_store_dword v5, off, s[0:3], 0 offset:752
	buffer_store_dword v5, off, s[0:3], 0 offset:756
	;; [unrolled: 1-line block ×4, first 2 shown]
	s_waitcnt vmcnt(0)
	ds_write_b128 v193, v[1:4]
.LBB125_305:
	s_or_b32 exec_lo, exec_lo, s4
	s_waitcnt lgkmcnt(0)
	s_waitcnt_vscnt null, 0x0
	s_barrier
	buffer_gl0_inv
	s_clause 0x37
	buffer_load_dword v6, off, s[0:3], 0 offset:776
	buffer_load_dword v7, off, s[0:3], 0 offset:780
	;; [unrolled: 1-line block ×56, first 2 shown]
	v_mov_b32_e32 v1, 0
	s_mov_b32 s4, exec_lo
	ds_read_b128 v[2:5], v1 offset:1744
	s_clause 0x2
	buffer_load_dword v195, off, s[0:3], 0 offset:1004
	buffer_load_dword v199, off, s[0:3], 0 offset:980
	;; [unrolled: 1-line block ×3, first 2 shown]
	ds_read_b128 v[133:136], v1 offset:1760
	ds_read_b128 v[137:140], v1 offset:1776
	buffer_load_dword v197, off, s[0:3], 0 offset:996
	s_waitcnt vmcnt(58) lgkmcnt(2)
	v_mul_f64 v[200:201], v[4:5], v[6:7]
	v_mul_f64 v[6:7], v[2:3], v[6:7]
	s_waitcnt vmcnt(56) lgkmcnt(1)
	v_mul_f64 v[202:203], v[135:136], v[141:142]
	v_mul_f64 v[141:142], v[133:134], v[141:142]
	s_waitcnt vmcnt(54)
	v_fma_f64 v[200:201], v[2:3], v[143:144], -v[200:201]
	v_fma_f64 v[6:7], v[4:5], v[143:144], v[6:7]
	s_waitcnt vmcnt(52) lgkmcnt(0)
	v_mul_f64 v[143:144], v[137:138], v[145:146]
	v_mul_f64 v[145:146], v[139:140], v[145:146]
	s_waitcnt vmcnt(50)
	v_fma_f64 v[202:203], v[133:134], v[147:148], -v[202:203]
	ds_read_b128 v[2:5], v1 offset:1792
	v_fma_f64 v[141:142], v[135:136], v[147:148], v[141:142]
	s_clause 0x3
	buffer_load_dword v147, off, s[0:3], 0 offset:752
	buffer_load_dword v148, off, s[0:3], 0 offset:756
	;; [unrolled: 1-line block ×4, first 2 shown]
	ds_read_b128 v[133:136], v1 offset:1808
	v_add_f64 v[200:201], v[200:201], 0
	v_add_f64 v[6:7], v[6:7], 0
	s_waitcnt vmcnt(48)
	v_fma_f64 v[143:144], v[139:140], v[155:156], v[143:144]
	s_waitcnt lgkmcnt(1)
	v_mul_f64 v[206:207], v[2:3], v[149:150]
	v_mul_f64 v[149:150], v[4:5], v[149:150]
	v_fma_f64 v[145:146], v[137:138], v[155:156], -v[145:146]
	ds_read_b128 v[137:140], v1 offset:1824
	v_add_f64 v[200:201], v[200:201], v[202:203]
	v_add_f64 v[6:7], v[6:7], v[141:142]
	s_waitcnt vmcnt(47) lgkmcnt(1)
	v_mul_f64 v[141:142], v[133:134], v[151:152]
	v_mul_f64 v[151:152], v[135:136], v[151:152]
	s_waitcnt vmcnt(45)
	v_fma_f64 v[149:150], v[2:3], v[157:158], -v[149:150]
	v_fma_f64 v[155:156], v[4:5], v[157:158], v[206:207]
	s_waitcnt vmcnt(41) lgkmcnt(0)
	v_mul_f64 v[157:158], v[139:140], v[159:160]
	ds_read_b128 v[2:5], v1 offset:1840
	v_add_f64 v[145:146], v[200:201], v[145:146]
	v_add_f64 v[6:7], v[6:7], v[143:144]
	v_mul_f64 v[143:144], v[137:138], v[159:160]
	s_waitcnt vmcnt(40)
	v_fma_f64 v[151:152], v[133:134], v[153:154], -v[151:152]
	v_fma_f64 v[141:142], v[135:136], v[153:154], v[141:142]
	ds_read_b128 v[133:136], v1 offset:1856
	s_waitcnt vmcnt(39) lgkmcnt(1)
	v_mul_f64 v[153:154], v[4:5], v[161:162]
	v_add_f64 v[145:146], v[145:146], v[149:150]
	v_add_f64 v[6:7], v[6:7], v[155:156]
	s_waitcnt vmcnt(37)
	v_fma_f64 v[155:156], v[137:138], v[165:166], -v[157:158]
	v_mul_f64 v[149:150], v[2:3], v[161:162]
	v_fma_f64 v[143:144], v[139:140], v[165:166], v[143:144]
	ds_read_b128 v[137:140], v1 offset:1872
	s_waitcnt vmcnt(32)
	v_fma_f64 v[153:154], v[2:3], v[163:164], -v[153:154]
	v_add_f64 v[145:146], v[145:146], v[151:152]
	v_add_f64 v[6:7], v[6:7], v[141:142]
	s_waitcnt lgkmcnt(1)
	v_mul_f64 v[151:152], v[135:136], v[167:168]
	v_mul_f64 v[141:142], v[133:134], v[167:168]
	v_fma_f64 v[149:150], v[4:5], v[163:164], v[149:150]
	ds_read_b128 v[2:5], v1 offset:1888
	v_add_f64 v[145:146], v[145:146], v[155:156]
	v_add_f64 v[6:7], v[6:7], v[143:144]
	s_waitcnt vmcnt(31) lgkmcnt(1)
	v_mul_f64 v[155:156], v[139:140], v[169:170]
	s_waitcnt vmcnt(29)
	v_fma_f64 v[151:152], v[133:134], v[173:174], -v[151:152]
	v_mul_f64 v[143:144], v[137:138], v[169:170]
	v_fma_f64 v[141:142], v[135:136], v[173:174], v[141:142]
	ds_read_b128 v[133:136], v1 offset:1904
	v_add_f64 v[145:146], v[145:146], v[153:154]
	v_add_f64 v[6:7], v[6:7], v[149:150]
	s_waitcnt vmcnt(25) lgkmcnt(1)
	v_mul_f64 v[153:154], v[4:5], v[175:176]
	s_waitcnt vmcnt(24)
	v_fma_f64 v[155:156], v[137:138], v[171:172], -v[155:156]
	;; [unrolled: 9-line block ×6, first 2 shown]
	v_mul_f64 v[141:142], v[133:134], v[191:192]
	v_fma_f64 v[4:5], v[4:5], v[187:188], v[149:150]
	s_waitcnt vmcnt(7) lgkmcnt(0)
	v_mul_f64 v[149:150], v[139:140], v[194:195]
	v_add_f64 v[145:146], v[145:146], v[155:156]
	v_add_f64 v[6:7], v[6:7], v[143:144]
	s_waitcnt vmcnt(5)
	v_fma_f64 v[133:134], v[133:134], v[198:199], -v[151:152]
	v_mul_f64 v[143:144], v[137:138], v[194:195]
	v_fma_f64 v[135:136], v[135:136], v[198:199], v[141:142]
	v_add_f64 v[2:3], v[145:146], v[2:3]
	v_add_f64 v[4:5], v[6:7], v[4:5]
	s_waitcnt vmcnt(4)
	v_fma_f64 v[6:7], v[137:138], v[196:197], -v[149:150]
	v_add_f64 v[2:3], v[2:3], v[133:134]
	v_fma_f64 v[133:134], v[139:140], v[196:197], v[143:144]
	v_add_f64 v[4:5], v[4:5], v[135:136]
	v_add_f64 v[2:3], v[2:3], v[6:7]
	;; [unrolled: 1-line block ×3, first 2 shown]
	s_waitcnt vmcnt(2)
	v_add_f64 v[2:3], v[147:148], -v[2:3]
	s_waitcnt vmcnt(0)
	v_add_f64 v[4:5], v[204:205], -v[4:5]
	buffer_store_dword v3, off, s[0:3], 0 offset:756
	buffer_store_dword v2, off, s[0:3], 0 offset:752
	buffer_store_dword v5, off, s[0:3], 0 offset:764
	buffer_store_dword v4, off, s[0:3], 0 offset:760
	v_cmpx_lt_u32_e32 45, v0
	s_cbranch_execz .LBB125_307
; %bb.306:
	v_mov_b32_e32 v5, s30
	s_clause 0x3
	buffer_load_dword v2, v5, s[0:3], 0 offen
	buffer_load_dword v3, v5, s[0:3], 0 offen offset:4
	buffer_load_dword v4, v5, s[0:3], 0 offen offset:8
	;; [unrolled: 1-line block ×3, first 2 shown]
	buffer_store_dword v1, off, s[0:3], 0 offset:736
	buffer_store_dword v1, off, s[0:3], 0 offset:740
	;; [unrolled: 1-line block ×4, first 2 shown]
	s_waitcnt vmcnt(0)
	ds_write_b128 v193, v[2:5]
.LBB125_307:
	s_or_b32 exec_lo, exec_lo, s4
	s_waitcnt lgkmcnt(0)
	s_waitcnt_vscnt null, 0x0
	s_barrier
	buffer_gl0_inv
	s_clause 0x37
	buffer_load_dword v6, off, s[0:3], 0 offset:760
	buffer_load_dword v7, off, s[0:3], 0 offset:764
	;; [unrolled: 1-line block ×56, first 2 shown]
	ds_read_b128 v[2:5], v1 offset:1728
	s_clause 0x2
	buffer_load_dword v195, off, s[0:3], 0 offset:988
	buffer_load_dword v199, off, s[0:3], 0 offset:964
	;; [unrolled: 1-line block ×3, first 2 shown]
	ds_read_b128 v[133:136], v1 offset:1744
	s_clause 0x2
	buffer_load_dword v203, off, s[0:3], 0 offset:1004
	buffer_load_dword v202, off, s[0:3], 0 offset:1000
	;; [unrolled: 1-line block ×3, first 2 shown]
	ds_read_b128 v[137:140], v1 offset:1760
	s_mov_b32 s4, exec_lo
	s_waitcnt vmcnt(60) lgkmcnt(2)
	v_mul_f64 v[200:201], v[4:5], v[6:7]
	v_mul_f64 v[6:7], v[2:3], v[6:7]
	s_waitcnt vmcnt(58) lgkmcnt(1)
	v_mul_f64 v[204:205], v[135:136], v[141:142]
	v_mul_f64 v[141:142], v[133:134], v[141:142]
	;; [unrolled: 3-line block ×3, first 2 shown]
	v_fma_f64 v[200:201], v[2:3], v[143:144], -v[200:201]
	v_fma_f64 v[6:7], v[4:5], v[143:144], v[6:7]
	s_clause 0x1
	buffer_load_dword v144, off, s[0:3], 0 offset:996
	buffer_load_dword v143, off, s[0:3], 0 offset:992
	s_waitcnt vmcnt(54)
	v_fma_f64 v[204:205], v[133:134], v[147:148], -v[204:205]
	ds_read_b128 v[2:5], v1 offset:1776
	v_fma_f64 v[141:142], v[135:136], v[147:148], v[141:142]
	ds_read_b128 v[133:136], v1 offset:1792
	s_waitcnt vmcnt(48)
	v_fma_f64 v[145:146], v[137:138], v[155:156], -v[145:146]
	v_fma_f64 v[155:156], v[139:140], v[155:156], v[206:207]
	v_add_f64 v[200:201], v[200:201], 0
	v_add_f64 v[6:7], v[6:7], 0
	s_waitcnt lgkmcnt(1)
	v_mul_f64 v[147:148], v[2:3], v[149:150]
	v_mul_f64 v[149:150], v[4:5], v[149:150]
	s_waitcnt vmcnt(47) lgkmcnt(0)
	v_mul_f64 v[206:207], v[133:134], v[151:152]
	v_mul_f64 v[151:152], v[135:136], v[151:152]
	v_add_f64 v[200:201], v[200:201], v[204:205]
	v_add_f64 v[6:7], v[6:7], v[141:142]
	s_clause 0x3
	buffer_load_dword v141, off, s[0:3], 0 offset:736
	buffer_load_dword v142, off, s[0:3], 0 offset:740
	;; [unrolled: 1-line block ×4, first 2 shown]
	s_waitcnt vmcnt(49)
	v_fma_f64 v[149:150], v[2:3], v[157:158], -v[149:150]
	ds_read_b128 v[137:140], v1 offset:1808
	v_fma_f64 v[147:148], v[4:5], v[157:158], v[147:148]
	ds_read_b128 v[2:5], v1 offset:1824
	s_waitcnt vmcnt(44)
	v_fma_f64 v[151:152], v[133:134], v[153:154], -v[151:152]
	v_add_f64 v[145:146], v[200:201], v[145:146]
	v_add_f64 v[6:7], v[6:7], v[155:156]
	s_waitcnt lgkmcnt(1)
	v_mul_f64 v[157:158], v[139:140], v[159:160]
	v_mul_f64 v[155:156], v[137:138], v[159:160]
	v_add_f64 v[145:146], v[145:146], v[149:150]
	v_fma_f64 v[149:150], v[135:136], v[153:154], v[206:207]
	v_add_f64 v[6:7], v[6:7], v[147:148]
	s_waitcnt vmcnt(43) lgkmcnt(0)
	v_mul_f64 v[153:154], v[4:5], v[161:162]
	s_waitcnt vmcnt(41)
	v_fma_f64 v[157:158], v[137:138], v[165:166], -v[157:158]
	ds_read_b128 v[133:136], v1 offset:1840
	v_mul_f64 v[147:148], v[2:3], v[161:162]
	v_add_f64 v[145:146], v[145:146], v[151:152]
	v_fma_f64 v[151:152], v[139:140], v[165:166], v[155:156]
	v_add_f64 v[6:7], v[6:7], v[149:150]
	ds_read_b128 v[137:140], v1 offset:1856
	s_waitcnt vmcnt(37) lgkmcnt(1)
	v_mul_f64 v[155:156], v[135:136], v[167:168]
	s_waitcnt vmcnt(36)
	v_fma_f64 v[153:154], v[2:3], v[163:164], -v[153:154]
	v_mul_f64 v[149:150], v[133:134], v[167:168]
	v_fma_f64 v[147:148], v[4:5], v[163:164], v[147:148]
	ds_read_b128 v[2:5], v1 offset:1872
	v_add_f64 v[145:146], v[145:146], v[157:158]
	s_waitcnt vmcnt(35) lgkmcnt(1)
	v_mul_f64 v[157:158], v[139:140], v[169:170]
	v_add_f64 v[6:7], v[6:7], v[151:152]
	v_mul_f64 v[151:152], v[137:138], v[169:170]
	s_waitcnt vmcnt(33)
	v_fma_f64 v[155:156], v[133:134], v[173:174], -v[155:156]
	v_fma_f64 v[149:150], v[135:136], v[173:174], v[149:150]
	ds_read_b128 v[133:136], v1 offset:1888
	v_add_f64 v[145:146], v[145:146], v[153:154]
	s_waitcnt vmcnt(29) lgkmcnt(1)
	v_mul_f64 v[153:154], v[4:5], v[175:176]
	v_add_f64 v[6:7], v[6:7], v[147:148]
	s_waitcnt vmcnt(28)
	v_fma_f64 v[157:158], v[137:138], v[171:172], -v[157:158]
	v_mul_f64 v[147:148], v[2:3], v[175:176]
	v_fma_f64 v[151:152], v[139:140], v[171:172], v[151:152]
	ds_read_b128 v[137:140], v1 offset:1904
	v_add_f64 v[145:146], v[145:146], v[155:156]
	s_waitcnt vmcnt(27) lgkmcnt(1)
	v_mul_f64 v[155:156], v[135:136], v[177:178]
	v_add_f64 v[6:7], v[6:7], v[149:150]
	s_waitcnt vmcnt(25)
	v_fma_f64 v[153:154], v[2:3], v[181:182], -v[153:154]
	v_mul_f64 v[149:150], v[133:134], v[177:178]
	;; [unrolled: 9-line block ×5, first 2 shown]
	v_fma_f64 v[147:148], v[4:5], v[187:188], v[147:148]
	ds_read_b128 v[1:4], v1 offset:1968
	v_add_f64 v[145:146], v[145:146], v[157:158]
	s_waitcnt vmcnt(9)
	v_fma_f64 v[133:134], v[133:134], v[198:199], -v[155:156]
	v_add_f64 v[5:6], v[6:7], v[151:152]
	s_waitcnt lgkmcnt(1)
	v_mul_f64 v[151:152], v[139:140], v[194:195]
	v_mul_f64 v[7:8], v[137:138], v[194:195]
	v_fma_f64 v[135:136], v[135:136], v[198:199], v[149:150]
	s_waitcnt vmcnt(7) lgkmcnt(0)
	v_mul_f64 v[149:150], v[3:4], v[202:203]
	v_add_f64 v[145:146], v[145:146], v[153:154]
	v_add_f64 v[5:6], v[5:6], v[147:148]
	s_waitcnt vmcnt(6)
	v_fma_f64 v[137:138], v[137:138], v[196:197], -v[151:152]
	v_mul_f64 v[147:148], v[1:2], v[202:203]
	v_fma_f64 v[7:8], v[139:140], v[196:197], v[7:8]
	v_add_f64 v[133:134], v[145:146], v[133:134]
	v_add_f64 v[5:6], v[5:6], v[135:136]
	s_waitcnt vmcnt(4)
	v_fma_f64 v[1:2], v[1:2], v[143:144], -v[149:150]
	v_fma_f64 v[3:4], v[3:4], v[143:144], v[147:148]
	v_add_f64 v[133:134], v[133:134], v[137:138]
	v_add_f64 v[5:6], v[5:6], v[7:8]
	;; [unrolled: 1-line block ×4, first 2 shown]
	s_waitcnt vmcnt(2)
	v_add_f64 v[1:2], v[141:142], -v[1:2]
	s_waitcnt vmcnt(0)
	v_add_f64 v[3:4], v[204:205], -v[3:4]
	buffer_store_dword v2, off, s[0:3], 0 offset:740
	buffer_store_dword v1, off, s[0:3], 0 offset:736
	;; [unrolled: 1-line block ×4, first 2 shown]
	v_cmpx_lt_u32_e32 44, v0
	s_cbranch_execz .LBB125_309
; %bb.308:
	v_mov_b32_e32 v4, s31
	v_mov_b32_e32 v5, 0
	s_clause 0x3
	buffer_load_dword v1, v4, s[0:3], 0 offen
	buffer_load_dword v2, v4, s[0:3], 0 offen offset:4
	buffer_load_dword v3, v4, s[0:3], 0 offen offset:8
	;; [unrolled: 1-line block ×3, first 2 shown]
	buffer_store_dword v5, off, s[0:3], 0 offset:720
	buffer_store_dword v5, off, s[0:3], 0 offset:724
	;; [unrolled: 1-line block ×4, first 2 shown]
	s_waitcnt vmcnt(0)
	ds_write_b128 v193, v[1:4]
.LBB125_309:
	s_or_b32 exec_lo, exec_lo, s4
	s_waitcnt lgkmcnt(0)
	s_waitcnt_vscnt null, 0x0
	s_barrier
	buffer_gl0_inv
	s_clause 0x37
	buffer_load_dword v6, off, s[0:3], 0 offset:744
	buffer_load_dword v7, off, s[0:3], 0 offset:748
	;; [unrolled: 1-line block ×56, first 2 shown]
	v_mov_b32_e32 v1, 0
	s_mov_b32 s4, exec_lo
	ds_read_b128 v[2:5], v1 offset:1712
	s_clause 0x2
	buffer_load_dword v195, off, s[0:3], 0 offset:972
	buffer_load_dword v199, off, s[0:3], 0 offset:948
	;; [unrolled: 1-line block ×3, first 2 shown]
	ds_read_b128 v[133:136], v1 offset:1728
	s_clause 0x4
	buffer_load_dword v203, off, s[0:3], 0 offset:988
	buffer_load_dword v204, off, s[0:3], 0 offset:1000
	;; [unrolled: 1-line block ×5, first 2 shown]
	ds_read_b128 v[137:140], v1 offset:1744
	s_waitcnt vmcnt(62) lgkmcnt(2)
	v_mul_f64 v[200:201], v[4:5], v[6:7]
	v_mul_f64 v[6:7], v[2:3], v[6:7]
	s_waitcnt vmcnt(60) lgkmcnt(1)
	v_mul_f64 v[207:208], v[135:136], v[141:142]
	v_mul_f64 v[141:142], v[133:134], v[141:142]
	;; [unrolled: 3-line block ×3, first 2 shown]
	v_fma_f64 v[200:201], v[2:3], v[143:144], -v[200:201]
	v_fma_f64 v[6:7], v[4:5], v[143:144], v[6:7]
	s_clause 0x2
	buffer_load_dword v205, off, s[0:3], 0 offset:1004
	buffer_load_dword v144, off, s[0:3], 0 offset:980
	;; [unrolled: 1-line block ×3, first 2 shown]
	s_waitcnt vmcnt(57)
	v_fma_f64 v[211:212], v[133:134], v[147:148], -v[207:208]
	ds_read_b128 v[2:5], v1 offset:1760
	v_fma_f64 v[141:142], v[135:136], v[147:148], v[141:142]
	buffer_load_dword v207, off, s[0:3], 0 offset:996
	ds_read_b128 v[133:136], v1 offset:1776
	s_waitcnt vmcnt(52)
	v_fma_f64 v[145:146], v[137:138], v[155:156], -v[145:146]
	v_fma_f64 v[155:156], v[139:140], v[155:156], v[209:210]
	ds_read_b128 v[137:140], v1 offset:1792
	v_add_f64 v[200:201], v[200:201], 0
	v_add_f64 v[6:7], v[6:7], 0
	s_waitcnt lgkmcnt(2)
	v_mul_f64 v[147:148], v[2:3], v[149:150]
	v_mul_f64 v[149:150], v[4:5], v[149:150]
	v_add_f64 v[200:201], v[200:201], v[211:212]
	v_add_f64 v[6:7], v[6:7], v[141:142]
	s_waitcnt vmcnt(51) lgkmcnt(1)
	v_mul_f64 v[141:142], v[133:134], v[151:152]
	v_mul_f64 v[151:152], v[135:136], v[151:152]
	s_waitcnt vmcnt(49)
	v_fma_f64 v[149:150], v[2:3], v[157:158], -v[149:150]
	v_fma_f64 v[147:148], v[4:5], v[157:158], v[147:148]
	v_add_f64 v[145:146], v[200:201], v[145:146]
	v_add_f64 v[6:7], v[6:7], v[155:156]
	s_clause 0x3
	buffer_load_dword v155, off, s[0:3], 0 offset:720
	buffer_load_dword v156, off, s[0:3], 0 offset:724
	;; [unrolled: 1-line block ×4, first 2 shown]
	s_waitcnt vmcnt(49) lgkmcnt(0)
	v_mul_f64 v[200:201], v[137:138], v[159:160]
	v_mul_f64 v[159:160], v[139:140], v[159:160]
	s_waitcnt vmcnt(48)
	v_fma_f64 v[151:152], v[133:134], v[153:154], -v[151:152]
	ds_read_b128 v[2:5], v1 offset:1808
	v_fma_f64 v[141:142], v[135:136], v[153:154], v[141:142]
	ds_read_b128 v[133:136], v1 offset:1824
	v_add_f64 v[145:146], v[145:146], v[149:150]
	v_add_f64 v[6:7], v[6:7], v[147:148]
	s_waitcnt vmcnt(47) lgkmcnt(1)
	v_mul_f64 v[149:150], v[4:5], v[161:162]
	s_waitcnt vmcnt(45)
	v_fma_f64 v[153:154], v[137:138], v[165:166], -v[159:160]
	v_mul_f64 v[147:148], v[2:3], v[161:162]
	s_waitcnt vmcnt(41) lgkmcnt(0)
	v_mul_f64 v[159:160], v[135:136], v[167:168]
	v_add_f64 v[145:146], v[145:146], v[151:152]
	v_fma_f64 v[151:152], v[139:140], v[165:166], v[200:201]
	v_add_f64 v[6:7], v[6:7], v[141:142]
	ds_read_b128 v[137:140], v1 offset:1840
	s_waitcnt vmcnt(40)
	v_fma_f64 v[149:150], v[2:3], v[163:164], -v[149:150]
	v_mul_f64 v[141:142], v[133:134], v[167:168]
	v_fma_f64 v[147:148], v[4:5], v[163:164], v[147:148]
	ds_read_b128 v[2:5], v1 offset:1856
	s_waitcnt vmcnt(37)
	v_fma_f64 v[159:160], v[133:134], v[173:174], -v[159:160]
	v_add_f64 v[145:146], v[145:146], v[153:154]
	s_waitcnt lgkmcnt(1)
	v_mul_f64 v[153:154], v[139:140], v[169:170]
	v_add_f64 v[6:7], v[6:7], v[151:152]
	v_mul_f64 v[151:152], v[137:138], v[169:170]
	v_fma_f64 v[141:142], v[135:136], v[173:174], v[141:142]
	ds_read_b128 v[133:136], v1 offset:1872
	v_add_f64 v[145:146], v[145:146], v[149:150]
	s_waitcnt vmcnt(33) lgkmcnt(1)
	v_mul_f64 v[149:150], v[4:5], v[175:176]
	v_add_f64 v[6:7], v[6:7], v[147:148]
	s_waitcnt vmcnt(32)
	v_fma_f64 v[153:154], v[137:138], v[171:172], -v[153:154]
	v_mul_f64 v[147:148], v[2:3], v[175:176]
	v_fma_f64 v[151:152], v[139:140], v[171:172], v[151:152]
	ds_read_b128 v[137:140], v1 offset:1888
	v_add_f64 v[145:146], v[145:146], v[159:160]
	s_waitcnt vmcnt(31) lgkmcnt(1)
	v_mul_f64 v[159:160], v[135:136], v[177:178]
	v_add_f64 v[6:7], v[6:7], v[141:142]
	s_waitcnt vmcnt(29)
	v_fma_f64 v[149:150], v[2:3], v[181:182], -v[149:150]
	;; [unrolled: 9-line block ×7, first 2 shown]
	v_mul_f64 v[147:148], v[2:3], v[202:203]
	v_fma_f64 v[139:140], v[139:140], v[196:197], v[151:152]
	v_add_f64 v[145:146], v[145:146], v[159:160]
	v_add_f64 v[6:7], v[6:7], v[141:142]
	s_waitcnt vmcnt(7) lgkmcnt(0)
	v_mul_f64 v[151:152], v[135:136], v[204:205]
	v_mul_f64 v[141:142], v[133:134], v[204:205]
	s_waitcnt vmcnt(5)
	v_fma_f64 v[2:3], v[2:3], v[143:144], -v[149:150]
	v_fma_f64 v[4:5], v[4:5], v[143:144], v[147:148]
	v_add_f64 v[137:138], v[145:146], v[137:138]
	v_add_f64 v[6:7], v[6:7], v[139:140]
	s_waitcnt vmcnt(4)
	v_fma_f64 v[133:134], v[133:134], v[206:207], -v[151:152]
	v_fma_f64 v[135:136], v[135:136], v[206:207], v[141:142]
	v_add_f64 v[2:3], v[137:138], v[2:3]
	v_add_f64 v[4:5], v[6:7], v[4:5]
	;; [unrolled: 1-line block ×4, first 2 shown]
	s_waitcnt vmcnt(2)
	v_add_f64 v[2:3], v[155:156], -v[2:3]
	s_waitcnt vmcnt(0)
	v_add_f64 v[4:5], v[157:158], -v[4:5]
	buffer_store_dword v3, off, s[0:3], 0 offset:724
	buffer_store_dword v2, off, s[0:3], 0 offset:720
	buffer_store_dword v5, off, s[0:3], 0 offset:732
	buffer_store_dword v4, off, s[0:3], 0 offset:728
	v_cmpx_lt_u32_e32 43, v0
	s_cbranch_execz .LBB125_311
; %bb.310:
	v_mov_b32_e32 v5, s33
	s_clause 0x3
	buffer_load_dword v2, v5, s[0:3], 0 offen
	buffer_load_dword v3, v5, s[0:3], 0 offen offset:4
	buffer_load_dword v4, v5, s[0:3], 0 offen offset:8
	;; [unrolled: 1-line block ×3, first 2 shown]
	buffer_store_dword v1, off, s[0:3], 0 offset:704
	buffer_store_dword v1, off, s[0:3], 0 offset:708
	;; [unrolled: 1-line block ×4, first 2 shown]
	s_waitcnt vmcnt(0)
	ds_write_b128 v193, v[2:5]
.LBB125_311:
	s_or_b32 exec_lo, exec_lo, s4
	s_waitcnt lgkmcnt(0)
	s_waitcnt_vscnt null, 0x0
	s_barrier
	buffer_gl0_inv
	s_clause 0x37
	buffer_load_dword v6, off, s[0:3], 0 offset:728
	buffer_load_dword v7, off, s[0:3], 0 offset:732
	;; [unrolled: 1-line block ×56, first 2 shown]
	ds_read_b128 v[2:5], v1 offset:1696
	s_clause 0x2
	buffer_load_dword v195, off, s[0:3], 0 offset:956
	buffer_load_dword v199, off, s[0:3], 0 offset:932
	;; [unrolled: 1-line block ×3, first 2 shown]
	ds_read_b128 v[133:136], v1 offset:1712
	s_clause 0x4
	buffer_load_dword v203, off, s[0:3], 0 offset:972
	buffer_load_dword v204, off, s[0:3], 0 offset:984
	;; [unrolled: 1-line block ×5, first 2 shown]
	ds_read_b128 v[137:140], v1 offset:1728
	s_mov_b32 s4, exec_lo
	s_waitcnt vmcnt(62) lgkmcnt(2)
	v_mul_f64 v[200:201], v[4:5], v[6:7]
	v_mul_f64 v[6:7], v[2:3], v[6:7]
	s_waitcnt vmcnt(60) lgkmcnt(1)
	v_mul_f64 v[207:208], v[135:136], v[141:142]
	v_mul_f64 v[141:142], v[133:134], v[141:142]
	;; [unrolled: 3-line block ×3, first 2 shown]
	v_fma_f64 v[200:201], v[2:3], v[143:144], -v[200:201]
	v_fma_f64 v[6:7], v[4:5], v[143:144], v[6:7]
	s_clause 0x2
	buffer_load_dword v205, off, s[0:3], 0 offset:988
	buffer_load_dword v144, off, s[0:3], 0 offset:964
	;; [unrolled: 1-line block ×3, first 2 shown]
	s_waitcnt vmcnt(57)
	v_fma_f64 v[211:212], v[133:134], v[147:148], -v[207:208]
	ds_read_b128 v[2:5], v1 offset:1744
	v_fma_f64 v[141:142], v[135:136], v[147:148], v[141:142]
	s_clause 0x2
	buffer_load_dword v148, off, s[0:3], 0 offset:1004
	buffer_load_dword v147, off, s[0:3], 0 offset:1000
	;; [unrolled: 1-line block ×3, first 2 shown]
	s_waitcnt vmcnt(54)
	v_fma_f64 v[145:146], v[137:138], v[155:156], -v[145:146]
	ds_read_b128 v[133:136], v1 offset:1760
	v_fma_f64 v[155:156], v[139:140], v[155:156], v[209:210]
	v_add_f64 v[200:201], v[200:201], 0
	v_add_f64 v[6:7], v[6:7], 0
	s_waitcnt lgkmcnt(1)
	v_mul_f64 v[213:214], v[2:3], v[149:150]
	v_mul_f64 v[149:150], v[4:5], v[149:150]
	s_waitcnt vmcnt(53) lgkmcnt(0)
	v_mul_f64 v[208:209], v[133:134], v[151:152]
	v_mul_f64 v[151:152], v[135:136], v[151:152]
	v_add_f64 v[200:201], v[200:201], v[211:212]
	v_add_f64 v[6:7], v[6:7], v[141:142]
	s_clause 0x1
	buffer_load_dword v142, off, s[0:3], 0 offset:996
	buffer_load_dword v141, off, s[0:3], 0 offset:992
	s_waitcnt vmcnt(53)
	v_fma_f64 v[149:150], v[2:3], v[157:158], -v[149:150]
	ds_read_b128 v[137:140], v1 offset:1776
	v_fma_f64 v[157:158], v[4:5], v[157:158], v[213:214]
	ds_read_b128 v[2:5], v1 offset:1792
	s_waitcnt vmcnt(48)
	v_fma_f64 v[151:152], v[133:134], v[153:154], -v[151:152]
	v_add_f64 v[145:146], v[200:201], v[145:146]
	v_add_f64 v[6:7], v[6:7], v[155:156]
	s_waitcnt lgkmcnt(1)
	v_mul_f64 v[155:156], v[137:138], v[159:160]
	v_mul_f64 v[159:160], v[139:140], v[159:160]
	s_waitcnt vmcnt(47) lgkmcnt(0)
	v_mul_f64 v[200:201], v[2:3], v[161:162]
	v_mul_f64 v[161:162], v[4:5], v[161:162]
	v_add_f64 v[145:146], v[145:146], v[149:150]
	v_fma_f64 v[149:150], v[135:136], v[153:154], v[208:209]
	v_add_f64 v[6:7], v[6:7], v[157:158]
	s_clause 0x3
	buffer_load_dword v153, off, s[0:3], 0 offset:704
	buffer_load_dword v154, off, s[0:3], 0 offset:708
	;; [unrolled: 1-line block ×4, first 2 shown]
	s_waitcnt vmcnt(49)
	v_fma_f64 v[159:160], v[137:138], v[165:166], -v[159:160]
	ds_read_b128 v[133:136], v1 offset:1808
	s_waitcnt vmcnt(44)
	v_fma_f64 v[161:162], v[2:3], v[163:164], -v[161:162]
	v_add_f64 v[145:146], v[145:146], v[151:152]
	v_fma_f64 v[151:152], v[139:140], v[165:166], v[155:156]
	v_add_f64 v[6:7], v[6:7], v[149:150]
	ds_read_b128 v[137:140], v1 offset:1824
	s_waitcnt lgkmcnt(1)
	v_mul_f64 v[155:156], v[135:136], v[167:168]
	v_mul_f64 v[149:150], v[133:134], v[167:168]
	v_add_f64 v[145:146], v[145:146], v[159:160]
	v_fma_f64 v[159:160], v[4:5], v[163:164], v[200:201]
	v_add_f64 v[6:7], v[6:7], v[151:152]
	s_waitcnt vmcnt(43) lgkmcnt(0)
	v_mul_f64 v[163:164], v[139:140], v[169:170]
	s_waitcnt vmcnt(41)
	v_fma_f64 v[155:156], v[133:134], v[173:174], -v[155:156]
	ds_read_b128 v[2:5], v1 offset:1840
	v_mul_f64 v[151:152], v[137:138], v[169:170]
	v_fma_f64 v[149:150], v[135:136], v[173:174], v[149:150]
	ds_read_b128 v[133:136], v1 offset:1856
	v_add_f64 v[145:146], v[145:146], v[161:162]
	v_add_f64 v[6:7], v[6:7], v[159:160]
	s_waitcnt vmcnt(37) lgkmcnt(1)
	v_mul_f64 v[161:162], v[4:5], v[175:176]
	s_waitcnt vmcnt(36)
	v_fma_f64 v[163:164], v[137:138], v[171:172], -v[163:164]
	v_mul_f64 v[159:160], v[2:3], v[175:176]
	v_fma_f64 v[151:152], v[139:140], v[171:172], v[151:152]
	ds_read_b128 v[137:140], v1 offset:1872
	v_add_f64 v[145:146], v[145:146], v[155:156]
	s_waitcnt vmcnt(35) lgkmcnt(1)
	v_mul_f64 v[155:156], v[135:136], v[177:178]
	v_add_f64 v[6:7], v[6:7], v[149:150]
	s_waitcnt vmcnt(33)
	v_fma_f64 v[161:162], v[2:3], v[181:182], -v[161:162]
	v_mul_f64 v[149:150], v[133:134], v[177:178]
	v_fma_f64 v[159:160], v[4:5], v[181:182], v[159:160]
	ds_read_b128 v[2:5], v1 offset:1888
	v_add_f64 v[145:146], v[145:146], v[163:164]
	s_waitcnt vmcnt(29) lgkmcnt(1)
	v_mul_f64 v[163:164], v[139:140], v[183:184]
	v_add_f64 v[6:7], v[6:7], v[151:152]
	;; [unrolled: 9-line block ×6, first 2 shown]
	s_waitcnt vmcnt(12)
	v_fma_f64 v[163:164], v[137:138], v[196:197], -v[163:164]
	v_mul_f64 v[159:160], v[2:3], v[202:203]
	v_fma_f64 v[151:152], v[139:140], v[196:197], v[151:152]
	ds_read_b128 v[137:140], v1 offset:1968
	v_add_f64 v[145:146], v[145:146], v[155:156]
	v_add_f64 v[6:7], v[6:7], v[149:150]
	s_waitcnt vmcnt(11) lgkmcnt(1)
	v_mul_f64 v[155:156], v[135:136], v[204:205]
	v_mul_f64 v[149:150], v[133:134], v[204:205]
	s_waitcnt vmcnt(9)
	v_fma_f64 v[1:2], v[2:3], v[143:144], -v[161:162]
	v_fma_f64 v[3:4], v[4:5], v[143:144], v[159:160]
	s_waitcnt vmcnt(7) lgkmcnt(0)
	v_mul_f64 v[143:144], v[139:140], v[147:148]
	v_add_f64 v[145:146], v[145:146], v[163:164]
	v_add_f64 v[5:6], v[6:7], v[151:152]
	v_mul_f64 v[7:8], v[137:138], v[147:148]
	s_waitcnt vmcnt(6)
	v_fma_f64 v[133:134], v[133:134], v[206:207], -v[155:156]
	v_fma_f64 v[135:136], v[135:136], v[206:207], v[149:150]
	v_add_f64 v[1:2], v[145:146], v[1:2]
	v_add_f64 v[3:4], v[5:6], v[3:4]
	s_waitcnt vmcnt(4)
	v_fma_f64 v[5:6], v[137:138], v[141:142], -v[143:144]
	v_fma_f64 v[7:8], v[139:140], v[141:142], v[7:8]
	v_add_f64 v[1:2], v[1:2], v[133:134]
	v_add_f64 v[3:4], v[3:4], v[135:136]
	;; [unrolled: 1-line block ×4, first 2 shown]
	s_waitcnt vmcnt(2)
	v_add_f64 v[1:2], v[153:154], -v[1:2]
	s_waitcnt vmcnt(0)
	v_add_f64 v[3:4], v[157:158], -v[3:4]
	buffer_store_dword v2, off, s[0:3], 0 offset:708
	buffer_store_dword v1, off, s[0:3], 0 offset:704
	;; [unrolled: 1-line block ×4, first 2 shown]
	v_cmpx_lt_u32_e32 42, v0
	s_cbranch_execz .LBB125_313
; %bb.312:
	v_mov_b32_e32 v4, s34
	v_mov_b32_e32 v5, 0
	s_clause 0x3
	buffer_load_dword v1, v4, s[0:3], 0 offen
	buffer_load_dword v2, v4, s[0:3], 0 offen offset:4
	buffer_load_dword v3, v4, s[0:3], 0 offen offset:8
	buffer_load_dword v4, v4, s[0:3], 0 offen offset:12
	buffer_store_dword v5, off, s[0:3], 0 offset:688
	buffer_store_dword v5, off, s[0:3], 0 offset:692
	buffer_store_dword v5, off, s[0:3], 0 offset:696
	buffer_store_dword v5, off, s[0:3], 0 offset:700
	s_waitcnt vmcnt(0)
	ds_write_b128 v193, v[1:4]
.LBB125_313:
	s_or_b32 exec_lo, exec_lo, s4
	s_waitcnt lgkmcnt(0)
	s_waitcnt_vscnt null, 0x0
	s_barrier
	buffer_gl0_inv
	s_clause 0x37
	buffer_load_dword v6, off, s[0:3], 0 offset:712
	buffer_load_dword v7, off, s[0:3], 0 offset:716
	;; [unrolled: 1-line block ×56, first 2 shown]
	v_mov_b32_e32 v1, 0
	s_mov_b32 s4, exec_lo
	ds_read_b128 v[2:5], v1 offset:1680
	s_clause 0x2
	buffer_load_dword v195, off, s[0:3], 0 offset:940
	buffer_load_dword v199, off, s[0:3], 0 offset:916
	;; [unrolled: 1-line block ×3, first 2 shown]
	ds_read_b128 v[133:136], v1 offset:1696
	s_clause 0x4
	buffer_load_dword v203, off, s[0:3], 0 offset:956
	buffer_load_dword v204, off, s[0:3], 0 offset:968
	buffer_load_dword v206, off, s[0:3], 0 offset:960
	buffer_load_dword v202, off, s[0:3], 0 offset:952
	buffer_load_dword v197, off, s[0:3], 0 offset:932
	ds_read_b128 v[137:140], v1 offset:1712
	s_waitcnt vmcnt(62) lgkmcnt(2)
	v_mul_f64 v[200:201], v[4:5], v[6:7]
	v_mul_f64 v[6:7], v[2:3], v[6:7]
	s_waitcnt vmcnt(60) lgkmcnt(1)
	v_mul_f64 v[207:208], v[135:136], v[141:142]
	v_mul_f64 v[141:142], v[133:134], v[141:142]
	;; [unrolled: 3-line block ×3, first 2 shown]
	v_fma_f64 v[200:201], v[2:3], v[143:144], -v[200:201]
	v_fma_f64 v[6:7], v[4:5], v[143:144], v[6:7]
	s_clause 0x2
	buffer_load_dword v205, off, s[0:3], 0 offset:972
	buffer_load_dword v144, off, s[0:3], 0 offset:948
	;; [unrolled: 1-line block ×3, first 2 shown]
	s_waitcnt vmcnt(57)
	v_fma_f64 v[211:212], v[133:134], v[147:148], -v[207:208]
	ds_read_b128 v[2:5], v1 offset:1728
	v_fma_f64 v[141:142], v[135:136], v[147:148], v[141:142]
	s_clause 0x4
	buffer_load_dword v148, off, s[0:3], 0 offset:988
	buffer_load_dword v208, off, s[0:3], 0 offset:1000
	buffer_load_dword v213, off, s[0:3], 0 offset:992
	buffer_load_dword v147, off, s[0:3], 0 offset:984
	buffer_load_dword v207, off, s[0:3], 0 offset:964
	s_waitcnt vmcnt(56)
	v_fma_f64 v[145:146], v[137:138], v[155:156], -v[145:146]
	ds_read_b128 v[133:136], v1 offset:1744
	v_fma_f64 v[155:156], v[139:140], v[155:156], v[209:210]
	v_add_f64 v[200:201], v[200:201], 0
	v_add_f64 v[6:7], v[6:7], 0
	s_waitcnt lgkmcnt(1)
	v_mul_f64 v[214:215], v[2:3], v[149:150]
	v_mul_f64 v[149:150], v[4:5], v[149:150]
	v_add_f64 v[200:201], v[200:201], v[211:212]
	v_add_f64 v[6:7], v[6:7], v[141:142]
	s_clause 0x2
	buffer_load_dword v209, off, s[0:3], 0 offset:1004
	buffer_load_dword v142, off, s[0:3], 0 offset:980
	;; [unrolled: 1-line block ×3, first 2 shown]
	s_waitcnt vmcnt(58) lgkmcnt(0)
	v_mul_f64 v[210:211], v[133:134], v[151:152]
	v_mul_f64 v[151:152], v[135:136], v[151:152]
	s_waitcnt vmcnt(56)
	v_fma_f64 v[149:150], v[2:3], v[157:158], -v[149:150]
	ds_read_b128 v[137:140], v1 offset:1760
	v_fma_f64 v[157:158], v[4:5], v[157:158], v[214:215]
	buffer_load_dword v214, off, s[0:3], 0 offset:996
	ds_read_b128 v[2:5], v1 offset:1776
	v_add_f64 v[145:146], v[200:201], v[145:146]
	v_add_f64 v[6:7], v[6:7], v[155:156]
	s_waitcnt vmcnt(53) lgkmcnt(1)
	v_mul_f64 v[155:156], v[137:138], v[159:160]
	v_mul_f64 v[159:160], v[139:140], v[159:160]
	s_waitcnt vmcnt(52)
	v_fma_f64 v[151:152], v[133:134], v[153:154], -v[151:152]
	v_add_f64 v[145:146], v[145:146], v[149:150]
	v_fma_f64 v[149:150], v[135:136], v[153:154], v[210:211]
	v_add_f64 v[6:7], v[6:7], v[157:158]
	s_waitcnt vmcnt(51) lgkmcnt(0)
	v_mul_f64 v[157:158], v[4:5], v[161:162]
	ds_read_b128 v[133:136], v1 offset:1792
	s_waitcnt vmcnt(49)
	v_fma_f64 v[159:160], v[137:138], v[165:166], -v[159:160]
	v_mul_f64 v[153:154], v[2:3], v[161:162]
	v_add_f64 v[145:146], v[145:146], v[151:152]
	v_fma_f64 v[151:152], v[139:140], v[165:166], v[155:156]
	v_add_f64 v[6:7], v[6:7], v[149:150]
	s_clause 0x3
	buffer_load_dword v149, off, s[0:3], 0 offset:688
	buffer_load_dword v150, off, s[0:3], 0 offset:692
	;; [unrolled: 1-line block ×4, first 2 shown]
	s_waitcnt vmcnt(49) lgkmcnt(0)
	v_mul_f64 v[165:166], v[135:136], v[167:168]
	s_waitcnt vmcnt(48)
	v_fma_f64 v[157:158], v[2:3], v[163:164], -v[157:158]
	ds_read_b128 v[137:140], v1 offset:1808
	v_mul_f64 v[161:162], v[133:134], v[167:168]
	v_fma_f64 v[153:154], v[4:5], v[163:164], v[153:154]
	ds_read_b128 v[2:5], v1 offset:1824
	v_add_f64 v[145:146], v[145:146], v[159:160]
	v_add_f64 v[6:7], v[6:7], v[151:152]
	s_waitcnt vmcnt(47) lgkmcnt(1)
	v_mul_f64 v[159:160], v[139:140], v[169:170]
	s_waitcnt vmcnt(45)
	v_fma_f64 v[163:164], v[133:134], v[173:174], -v[165:166]
	v_mul_f64 v[151:152], v[137:138], v[169:170]
	v_add_f64 v[145:146], v[145:146], v[157:158]
	v_fma_f64 v[157:158], v[135:136], v[173:174], v[161:162]
	v_add_f64 v[6:7], v[6:7], v[153:154]
	s_waitcnt vmcnt(41) lgkmcnt(0)
	v_mul_f64 v[161:162], v[4:5], v[175:176]
	s_waitcnt vmcnt(40)
	v_fma_f64 v[159:160], v[137:138], v[171:172], -v[159:160]
	ds_read_b128 v[133:136], v1 offset:1840
	v_mul_f64 v[153:154], v[2:3], v[175:176]
	v_fma_f64 v[151:152], v[139:140], v[171:172], v[151:152]
	ds_read_b128 v[137:140], v1 offset:1856
	v_add_f64 v[145:146], v[145:146], v[163:164]
	v_add_f64 v[6:7], v[6:7], v[157:158]
	s_waitcnt vmcnt(39) lgkmcnt(1)
	v_mul_f64 v[163:164], v[135:136], v[177:178]
	s_waitcnt vmcnt(37)
	v_fma_f64 v[161:162], v[2:3], v[181:182], -v[161:162]
	v_mul_f64 v[157:158], v[133:134], v[177:178]
	v_fma_f64 v[153:154], v[4:5], v[181:182], v[153:154]
	ds_read_b128 v[2:5], v1 offset:1872
	v_add_f64 v[145:146], v[145:146], v[159:160]
	s_waitcnt vmcnt(33) lgkmcnt(1)
	v_mul_f64 v[159:160], v[139:140], v[183:184]
	v_add_f64 v[6:7], v[6:7], v[151:152]
	s_waitcnt vmcnt(32)
	v_fma_f64 v[163:164], v[133:134], v[179:180], -v[163:164]
	v_mul_f64 v[151:152], v[137:138], v[183:184]
	v_fma_f64 v[157:158], v[135:136], v[179:180], v[157:158]
	ds_read_b128 v[133:136], v1 offset:1888
	v_add_f64 v[145:146], v[145:146], v[161:162]
	s_waitcnt vmcnt(31) lgkmcnt(1)
	v_mul_f64 v[161:162], v[4:5], v[185:186]
	v_add_f64 v[6:7], v[6:7], v[153:154]
	;; [unrolled: 9-line block ×5, first 2 shown]
	s_waitcnt vmcnt(16)
	v_fma_f64 v[159:160], v[137:138], v[196:197], -v[159:160]
	v_mul_f64 v[153:154], v[2:3], v[202:203]
	v_fma_f64 v[151:152], v[139:140], v[196:197], v[151:152]
	ds_read_b128 v[137:140], v1 offset:1952
	v_add_f64 v[145:146], v[145:146], v[163:164]
	v_add_f64 v[6:7], v[6:7], v[157:158]
	s_waitcnt vmcnt(15) lgkmcnt(1)
	v_mul_f64 v[163:164], v[135:136], v[204:205]
	v_mul_f64 v[157:158], v[133:134], v[204:205]
	s_waitcnt vmcnt(13)
	v_fma_f64 v[161:162], v[2:3], v[143:144], -v[161:162]
	v_fma_f64 v[143:144], v[4:5], v[143:144], v[153:154]
	ds_read_b128 v[2:5], v1 offset:1968
	v_add_f64 v[145:146], v[145:146], v[159:160]
	v_add_f64 v[6:7], v[6:7], v[151:152]
	s_waitcnt vmcnt(9) lgkmcnt(1)
	v_mul_f64 v[151:152], v[137:138], v[147:148]
	v_mul_f64 v[147:148], v[139:140], v[147:148]
	s_waitcnt vmcnt(8)
	v_fma_f64 v[133:134], v[133:134], v[206:207], -v[163:164]
	v_fma_f64 v[135:136], v[135:136], v[206:207], v[157:158]
	v_add_f64 v[145:146], v[145:146], v[161:162]
	v_add_f64 v[6:7], v[6:7], v[143:144]
	s_waitcnt vmcnt(7) lgkmcnt(0)
	v_mul_f64 v[153:154], v[4:5], v[208:209]
	v_mul_f64 v[143:144], v[2:3], v[208:209]
	s_waitcnt vmcnt(5)
	v_fma_f64 v[137:138], v[137:138], v[141:142], -v[147:148]
	v_fma_f64 v[139:140], v[139:140], v[141:142], v[151:152]
	v_add_f64 v[133:134], v[145:146], v[133:134]
	v_add_f64 v[6:7], v[6:7], v[135:136]
	s_waitcnt vmcnt(4)
	v_fma_f64 v[2:3], v[2:3], v[213:214], -v[153:154]
	v_fma_f64 v[4:5], v[4:5], v[213:214], v[143:144]
	v_add_f64 v[133:134], v[133:134], v[137:138]
	v_add_f64 v[6:7], v[6:7], v[139:140]
	;; [unrolled: 1-line block ×4, first 2 shown]
	s_waitcnt vmcnt(2)
	v_add_f64 v[2:3], v[149:150], -v[2:3]
	s_waitcnt vmcnt(0)
	v_add_f64 v[4:5], v[155:156], -v[4:5]
	buffer_store_dword v3, off, s[0:3], 0 offset:692
	buffer_store_dword v2, off, s[0:3], 0 offset:688
	;; [unrolled: 1-line block ×4, first 2 shown]
	v_cmpx_lt_u32_e32 41, v0
	s_cbranch_execz .LBB125_315
; %bb.314:
	v_mov_b32_e32 v5, s35
	s_clause 0x3
	buffer_load_dword v2, v5, s[0:3], 0 offen
	buffer_load_dword v3, v5, s[0:3], 0 offen offset:4
	buffer_load_dword v4, v5, s[0:3], 0 offen offset:8
	;; [unrolled: 1-line block ×3, first 2 shown]
	buffer_store_dword v1, off, s[0:3], 0 offset:672
	buffer_store_dword v1, off, s[0:3], 0 offset:676
	;; [unrolled: 1-line block ×4, first 2 shown]
	s_waitcnt vmcnt(0)
	ds_write_b128 v193, v[2:5]
.LBB125_315:
	s_or_b32 exec_lo, exec_lo, s4
	s_waitcnt lgkmcnt(0)
	s_waitcnt_vscnt null, 0x0
	s_barrier
	buffer_gl0_inv
	s_clause 0x37
	buffer_load_dword v6, off, s[0:3], 0 offset:696
	buffer_load_dword v7, off, s[0:3], 0 offset:700
	;; [unrolled: 1-line block ×56, first 2 shown]
	ds_read_b128 v[2:5], v1 offset:1664
	s_clause 0x2
	buffer_load_dword v195, off, s[0:3], 0 offset:924
	buffer_load_dword v199, off, s[0:3], 0 offset:900
	;; [unrolled: 1-line block ×3, first 2 shown]
	ds_read_b128 v[133:136], v1 offset:1680
	s_clause 0x4
	buffer_load_dword v203, off, s[0:3], 0 offset:940
	buffer_load_dword v204, off, s[0:3], 0 offset:952
	;; [unrolled: 1-line block ×5, first 2 shown]
	ds_read_b128 v[137:140], v1 offset:1696
	s_mov_b32 s4, exec_lo
	s_waitcnt vmcnt(62) lgkmcnt(2)
	v_mul_f64 v[200:201], v[4:5], v[6:7]
	v_mul_f64 v[6:7], v[2:3], v[6:7]
	s_waitcnt vmcnt(60) lgkmcnt(1)
	v_mul_f64 v[207:208], v[135:136], v[141:142]
	v_mul_f64 v[141:142], v[133:134], v[141:142]
	;; [unrolled: 3-line block ×3, first 2 shown]
	v_fma_f64 v[200:201], v[2:3], v[143:144], -v[200:201]
	v_fma_f64 v[6:7], v[4:5], v[143:144], v[6:7]
	s_clause 0x2
	buffer_load_dword v205, off, s[0:3], 0 offset:956
	buffer_load_dword v144, off, s[0:3], 0 offset:932
	;; [unrolled: 1-line block ×3, first 2 shown]
	s_waitcnt vmcnt(57)
	v_fma_f64 v[211:212], v[133:134], v[147:148], -v[207:208]
	ds_read_b128 v[2:5], v1 offset:1712
	v_fma_f64 v[141:142], v[135:136], v[147:148], v[141:142]
	s_clause 0x4
	buffer_load_dword v148, off, s[0:3], 0 offset:972
	buffer_load_dword v208, off, s[0:3], 0 offset:984
	buffer_load_dword v213, off, s[0:3], 0 offset:976
	buffer_load_dword v147, off, s[0:3], 0 offset:968
	buffer_load_dword v207, off, s[0:3], 0 offset:948
	s_waitcnt vmcnt(56)
	v_fma_f64 v[145:146], v[137:138], v[155:156], -v[145:146]
	ds_read_b128 v[133:136], v1 offset:1728
	v_fma_f64 v[155:156], v[139:140], v[155:156], v[209:210]
	v_add_f64 v[200:201], v[200:201], 0
	v_add_f64 v[6:7], v[6:7], 0
	s_waitcnt lgkmcnt(1)
	v_mul_f64 v[214:215], v[2:3], v[149:150]
	v_mul_f64 v[149:150], v[4:5], v[149:150]
	v_add_f64 v[200:201], v[200:201], v[211:212]
	v_add_f64 v[6:7], v[6:7], v[141:142]
	s_clause 0x2
	buffer_load_dword v209, off, s[0:3], 0 offset:988
	buffer_load_dword v142, off, s[0:3], 0 offset:964
	;; [unrolled: 1-line block ×3, first 2 shown]
	s_waitcnt vmcnt(58) lgkmcnt(0)
	v_mul_f64 v[210:211], v[133:134], v[151:152]
	v_mul_f64 v[151:152], v[135:136], v[151:152]
	s_waitcnt vmcnt(56)
	v_fma_f64 v[149:150], v[2:3], v[157:158], -v[149:150]
	ds_read_b128 v[137:140], v1 offset:1744
	v_fma_f64 v[157:158], v[4:5], v[157:158], v[214:215]
	v_add_f64 v[145:146], v[200:201], v[145:146]
	v_add_f64 v[6:7], v[6:7], v[155:156]
	s_clause 0x2
	buffer_load_dword v156, off, s[0:3], 0 offset:1004
	buffer_load_dword v155, off, s[0:3], 0 offset:1000
	;; [unrolled: 1-line block ×3, first 2 shown]
	ds_read_b128 v[2:5], v1 offset:1760
	s_waitcnt vmcnt(55) lgkmcnt(1)
	v_mul_f64 v[200:201], v[137:138], v[159:160]
	v_mul_f64 v[159:160], v[139:140], v[159:160]
	s_waitcnt vmcnt(54)
	v_fma_f64 v[151:152], v[133:134], v[153:154], -v[151:152]
	v_add_f64 v[145:146], v[145:146], v[149:150]
	v_fma_f64 v[149:150], v[135:136], v[153:154], v[210:211]
	v_add_f64 v[6:7], v[6:7], v[157:158]
	s_clause 0x1
	buffer_load_dword v154, off, s[0:3], 0 offset:996
	buffer_load_dword v153, off, s[0:3], 0 offset:992
	s_waitcnt vmcnt(55) lgkmcnt(0)
	v_mul_f64 v[157:158], v[2:3], v[161:162]
	v_mul_f64 v[161:162], v[4:5], v[161:162]
	s_waitcnt vmcnt(53)
	v_fma_f64 v[159:160], v[137:138], v[165:166], -v[159:160]
	ds_read_b128 v[133:136], v1 offset:1776
	v_add_f64 v[145:146], v[145:146], v[151:152]
	v_fma_f64 v[151:152], v[139:140], v[165:166], v[200:201]
	v_add_f64 v[6:7], v[6:7], v[149:150]
	ds_read_b128 v[137:140], v1 offset:1792
	s_waitcnt vmcnt(48)
	v_fma_f64 v[157:158], v[4:5], v[163:164], v[157:158]
	s_waitcnt lgkmcnt(1)
	v_mul_f64 v[165:166], v[135:136], v[167:168]
	v_fma_f64 v[161:162], v[2:3], v[163:164], -v[161:162]
	v_mul_f64 v[149:150], v[133:134], v[167:168]
	v_add_f64 v[145:146], v[145:146], v[159:160]
	s_waitcnt vmcnt(47) lgkmcnt(0)
	v_mul_f64 v[167:168], v[139:140], v[169:170]
	v_add_f64 v[6:7], v[6:7], v[151:152]
	s_clause 0x3
	buffer_load_dword v151, off, s[0:3], 0 offset:672
	buffer_load_dword v152, off, s[0:3], 0 offset:676
	;; [unrolled: 1-line block ×4, first 2 shown]
	ds_read_b128 v[2:5], v1 offset:1808
	s_waitcnt vmcnt(49)
	v_fma_f64 v[165:166], v[133:134], v[173:174], -v[165:166]
	v_mul_f64 v[163:164], v[137:138], v[169:170]
	v_fma_f64 v[149:150], v[135:136], v[173:174], v[149:150]
	ds_read_b128 v[133:136], v1 offset:1824
	v_add_f64 v[145:146], v[145:146], v[161:162]
	s_waitcnt vmcnt(44)
	v_fma_f64 v[167:168], v[137:138], v[171:172], -v[167:168]
	v_add_f64 v[6:7], v[6:7], v[157:158]
	s_waitcnt lgkmcnt(1)
	v_mul_f64 v[161:162], v[4:5], v[175:176]
	v_mul_f64 v[157:158], v[2:3], v[175:176]
	v_fma_f64 v[163:164], v[139:140], v[171:172], v[163:164]
	ds_read_b128 v[137:140], v1 offset:1840
	v_add_f64 v[145:146], v[145:146], v[165:166]
	s_waitcnt vmcnt(43) lgkmcnt(1)
	v_mul_f64 v[165:166], v[135:136], v[177:178]
	v_add_f64 v[6:7], v[6:7], v[149:150]
	s_waitcnt vmcnt(41)
	v_fma_f64 v[161:162], v[2:3], v[181:182], -v[161:162]
	v_mul_f64 v[149:150], v[133:134], v[177:178]
	v_fma_f64 v[157:158], v[4:5], v[181:182], v[157:158]
	ds_read_b128 v[2:5], v1 offset:1856
	v_add_f64 v[145:146], v[145:146], v[167:168]
	s_waitcnt vmcnt(37) lgkmcnt(1)
	v_mul_f64 v[167:168], v[139:140], v[183:184]
	v_add_f64 v[6:7], v[6:7], v[163:164]
	s_waitcnt vmcnt(36)
	v_fma_f64 v[165:166], v[133:134], v[179:180], -v[165:166]
	;; [unrolled: 9-line block ×6, first 2 shown]
	v_mul_f64 v[157:158], v[2:3], v[202:203]
	v_fma_f64 v[163:164], v[139:140], v[196:197], v[163:164]
	ds_read_b128 v[137:140], v1 offset:1936
	v_add_f64 v[145:146], v[145:146], v[165:166]
	v_add_f64 v[6:7], v[6:7], v[149:150]
	s_waitcnt vmcnt(19) lgkmcnt(1)
	v_mul_f64 v[165:166], v[135:136], v[204:205]
	v_mul_f64 v[149:150], v[133:134], v[204:205]
	s_waitcnt vmcnt(17)
	v_fma_f64 v[161:162], v[2:3], v[143:144], -v[161:162]
	v_fma_f64 v[143:144], v[4:5], v[143:144], v[157:158]
	ds_read_b128 v[2:5], v1 offset:1952
	s_waitcnt vmcnt(13) lgkmcnt(1)
	v_mul_f64 v[157:158], v[137:138], v[147:148]
	v_mul_f64 v[147:148], v[139:140], v[147:148]
	v_add_f64 v[145:146], v[145:146], v[167:168]
	v_add_f64 v[6:7], v[6:7], v[163:164]
	s_waitcnt vmcnt(12)
	v_fma_f64 v[163:164], v[133:134], v[206:207], -v[165:166]
	v_fma_f64 v[149:150], v[135:136], v[206:207], v[149:150]
	ds_read_b128 v[133:136], v1 offset:1968
	v_add_f64 v[145:146], v[145:146], v[161:162]
	v_add_f64 v[6:7], v[6:7], v[143:144]
	s_waitcnt vmcnt(11) lgkmcnt(1)
	v_mul_f64 v[161:162], v[4:5], v[208:209]
	v_mul_f64 v[143:144], v[2:3], v[208:209]
	s_waitcnt vmcnt(9)
	v_fma_f64 v[137:138], v[137:138], v[141:142], -v[147:148]
	v_fma_f64 v[139:140], v[139:140], v[141:142], v[157:158]
	v_add_f64 v[145:146], v[145:146], v[163:164]
	v_add_f64 v[6:7], v[6:7], v[149:150]
	s_waitcnt vmcnt(7) lgkmcnt(0)
	v_mul_f64 v[147:148], v[135:136], v[155:156]
	s_waitcnt vmcnt(6)
	v_fma_f64 v[1:2], v[2:3], v[213:214], -v[161:162]
	v_mul_f64 v[141:142], v[133:134], v[155:156]
	v_fma_f64 v[3:4], v[4:5], v[213:214], v[143:144]
	v_add_f64 v[137:138], v[145:146], v[137:138]
	v_add_f64 v[5:6], v[6:7], v[139:140]
	s_waitcnt vmcnt(4)
	v_fma_f64 v[7:8], v[133:134], v[153:154], -v[147:148]
	v_fma_f64 v[133:134], v[135:136], v[153:154], v[141:142]
	v_add_f64 v[1:2], v[137:138], v[1:2]
	v_add_f64 v[3:4], v[5:6], v[3:4]
	;; [unrolled: 1-line block ×4, first 2 shown]
	s_waitcnt vmcnt(2)
	v_add_f64 v[1:2], v[151:152], -v[1:2]
	s_waitcnt vmcnt(0)
	v_add_f64 v[3:4], v[159:160], -v[3:4]
	buffer_store_dword v2, off, s[0:3], 0 offset:676
	buffer_store_dword v1, off, s[0:3], 0 offset:672
	buffer_store_dword v4, off, s[0:3], 0 offset:684
	buffer_store_dword v3, off, s[0:3], 0 offset:680
	v_cmpx_lt_u32_e32 40, v0
	s_cbranch_execz .LBB125_317
; %bb.316:
	v_mov_b32_e32 v4, s36
	v_mov_b32_e32 v5, 0
	s_clause 0x3
	buffer_load_dword v1, v4, s[0:3], 0 offen
	buffer_load_dword v2, v4, s[0:3], 0 offen offset:4
	buffer_load_dword v3, v4, s[0:3], 0 offen offset:8
	;; [unrolled: 1-line block ×3, first 2 shown]
	buffer_store_dword v5, off, s[0:3], 0 offset:656
	buffer_store_dword v5, off, s[0:3], 0 offset:660
	;; [unrolled: 1-line block ×4, first 2 shown]
	s_waitcnt vmcnt(0)
	ds_write_b128 v193, v[1:4]
.LBB125_317:
	s_or_b32 exec_lo, exec_lo, s4
	s_waitcnt lgkmcnt(0)
	s_waitcnt_vscnt null, 0x0
	s_barrier
	buffer_gl0_inv
	s_clause 0x37
	buffer_load_dword v6, off, s[0:3], 0 offset:680
	buffer_load_dword v7, off, s[0:3], 0 offset:684
	;; [unrolled: 1-line block ×56, first 2 shown]
	v_mov_b32_e32 v1, 0
	s_mov_b32 s4, exec_lo
	ds_read_b128 v[2:5], v1 offset:1648
	s_clause 0x2
	buffer_load_dword v195, off, s[0:3], 0 offset:908
	buffer_load_dword v199, off, s[0:3], 0 offset:884
	buffer_load_dword v198, off, s[0:3], 0 offset:880
	ds_read_b128 v[133:136], v1 offset:1664
	s_clause 0x4
	buffer_load_dword v203, off, s[0:3], 0 offset:924
	buffer_load_dword v204, off, s[0:3], 0 offset:936
	;; [unrolled: 1-line block ×5, first 2 shown]
	ds_read_b128 v[137:140], v1 offset:1680
	s_waitcnt vmcnt(62) lgkmcnt(2)
	v_mul_f64 v[200:201], v[4:5], v[6:7]
	v_mul_f64 v[6:7], v[2:3], v[6:7]
	s_waitcnt vmcnt(60) lgkmcnt(1)
	v_mul_f64 v[207:208], v[135:136], v[141:142]
	v_mul_f64 v[141:142], v[133:134], v[141:142]
	;; [unrolled: 3-line block ×3, first 2 shown]
	v_fma_f64 v[200:201], v[2:3], v[143:144], -v[200:201]
	v_fma_f64 v[6:7], v[4:5], v[143:144], v[6:7]
	s_clause 0x2
	buffer_load_dword v205, off, s[0:3], 0 offset:940
	buffer_load_dword v144, off, s[0:3], 0 offset:916
	;; [unrolled: 1-line block ×3, first 2 shown]
	s_waitcnt vmcnt(57)
	v_fma_f64 v[211:212], v[133:134], v[147:148], -v[207:208]
	ds_read_b128 v[2:5], v1 offset:1696
	v_fma_f64 v[141:142], v[135:136], v[147:148], v[141:142]
	s_clause 0x4
	buffer_load_dword v148, off, s[0:3], 0 offset:956
	buffer_load_dword v208, off, s[0:3], 0 offset:968
	;; [unrolled: 1-line block ×5, first 2 shown]
	s_waitcnt vmcnt(56)
	v_fma_f64 v[145:146], v[137:138], v[155:156], -v[145:146]
	ds_read_b128 v[133:136], v1 offset:1712
	v_fma_f64 v[155:156], v[139:140], v[155:156], v[209:210]
	v_add_f64 v[200:201], v[200:201], 0
	v_add_f64 v[6:7], v[6:7], 0
	s_waitcnt lgkmcnt(1)
	v_mul_f64 v[214:215], v[2:3], v[149:150]
	v_mul_f64 v[149:150], v[4:5], v[149:150]
	v_add_f64 v[200:201], v[200:201], v[211:212]
	v_add_f64 v[6:7], v[6:7], v[141:142]
	s_clause 0x2
	buffer_load_dword v209, off, s[0:3], 0 offset:972
	buffer_load_dword v142, off, s[0:3], 0 offset:948
	;; [unrolled: 1-line block ×3, first 2 shown]
	s_waitcnt vmcnt(58) lgkmcnt(0)
	v_mul_f64 v[210:211], v[133:134], v[151:152]
	v_mul_f64 v[151:152], v[135:136], v[151:152]
	s_waitcnt vmcnt(56)
	v_fma_f64 v[149:150], v[2:3], v[157:158], -v[149:150]
	ds_read_b128 v[137:140], v1 offset:1728
	v_fma_f64 v[157:158], v[4:5], v[157:158], v[214:215]
	v_add_f64 v[145:146], v[200:201], v[145:146]
	v_add_f64 v[6:7], v[6:7], v[155:156]
	s_clause 0x4
	buffer_load_dword v156, off, s[0:3], 0 offset:988
	buffer_load_dword v200, off, s[0:3], 0 offset:1000
	;; [unrolled: 1-line block ×5, first 2 shown]
	ds_read_b128 v[2:5], v1 offset:1744
	s_waitcnt vmcnt(57) lgkmcnt(1)
	v_mul_f64 v[216:217], v[137:138], v[159:160]
	v_mul_f64 v[159:160], v[139:140], v[159:160]
	s_waitcnt vmcnt(56)
	v_fma_f64 v[151:152], v[133:134], v[153:154], -v[151:152]
	v_add_f64 v[145:146], v[145:146], v[149:150]
	v_fma_f64 v[149:150], v[135:136], v[153:154], v[210:211]
	v_add_f64 v[6:7], v[6:7], v[157:158]
	s_clause 0x2
	buffer_load_dword v201, off, s[0:3], 0 offset:1004
	buffer_load_dword v154, off, s[0:3], 0 offset:980
	;; [unrolled: 1-line block ×3, first 2 shown]
	s_waitcnt vmcnt(58) lgkmcnt(0)
	v_mul_f64 v[157:158], v[2:3], v[161:162]
	v_mul_f64 v[161:162], v[4:5], v[161:162]
	s_waitcnt vmcnt(56)
	v_fma_f64 v[159:160], v[137:138], v[165:166], -v[159:160]
	ds_read_b128 v[133:136], v1 offset:1760
	v_add_f64 v[145:146], v[145:146], v[151:152]
	v_fma_f64 v[151:152], v[139:140], v[165:166], v[216:217]
	v_add_f64 v[6:7], v[6:7], v[149:150]
	buffer_load_dword v216, off, s[0:3], 0 offset:996
	ds_read_b128 v[137:140], v1 offset:1776
	s_waitcnt vmcnt(53) lgkmcnt(1)
	v_mul_f64 v[165:166], v[135:136], v[167:168]
	s_waitcnt vmcnt(52)
	v_fma_f64 v[161:162], v[2:3], v[163:164], -v[161:162]
	v_mul_f64 v[149:150], v[133:134], v[167:168]
	v_fma_f64 v[157:158], v[4:5], v[163:164], v[157:158]
	ds_read_b128 v[2:5], v1 offset:1792
	v_add_f64 v[145:146], v[145:146], v[159:160]
	v_add_f64 v[6:7], v[6:7], v[151:152]
	s_waitcnt vmcnt(51) lgkmcnt(1)
	v_mul_f64 v[159:160], v[139:140], v[169:170]
	v_mul_f64 v[151:152], v[137:138], v[169:170]
	s_waitcnt vmcnt(49)
	v_fma_f64 v[163:164], v[133:134], v[173:174], -v[165:166]
	v_fma_f64 v[149:150], v[135:136], v[173:174], v[149:150]
	s_waitcnt vmcnt(45) lgkmcnt(0)
	v_mul_f64 v[167:168], v[4:5], v[175:176]
	v_mul_f64 v[165:166], v[2:3], v[175:176]
	v_add_f64 v[145:146], v[145:146], v[161:162]
	v_add_f64 v[6:7], v[6:7], v[157:158]
	s_clause 0x3
	buffer_load_dword v157, off, s[0:3], 0 offset:656
	buffer_load_dword v158, off, s[0:3], 0 offset:660
	;; [unrolled: 1-line block ×4, first 2 shown]
	s_waitcnt vmcnt(48)
	v_fma_f64 v[159:160], v[137:138], v[171:172], -v[159:160]
	ds_read_b128 v[133:136], v1 offset:1808
	v_fma_f64 v[151:152], v[139:140], v[171:172], v[151:152]
	ds_read_b128 v[137:140], v1 offset:1824
	s_waitcnt vmcnt(45)
	v_fma_f64 v[167:168], v[2:3], v[181:182], -v[167:168]
	v_add_f64 v[145:146], v[145:146], v[163:164]
	v_add_f64 v[6:7], v[6:7], v[149:150]
	s_waitcnt lgkmcnt(1)
	v_mul_f64 v[163:164], v[135:136], v[177:178]
	v_mul_f64 v[149:150], v[133:134], v[177:178]
	v_add_f64 v[145:146], v[145:146], v[159:160]
	v_fma_f64 v[159:160], v[4:5], v[181:182], v[165:166]
	v_add_f64 v[6:7], v[6:7], v[151:152]
	s_waitcnt vmcnt(41) lgkmcnt(0)
	v_mul_f64 v[165:166], v[139:140], v[183:184]
	s_waitcnt vmcnt(40)
	v_fma_f64 v[163:164], v[133:134], v[179:180], -v[163:164]
	ds_read_b128 v[2:5], v1 offset:1840
	v_mul_f64 v[151:152], v[137:138], v[183:184]
	v_fma_f64 v[149:150], v[135:136], v[179:180], v[149:150]
	ds_read_b128 v[133:136], v1 offset:1856
	v_add_f64 v[145:146], v[145:146], v[167:168]
	v_add_f64 v[6:7], v[6:7], v[159:160]
	s_waitcnt vmcnt(39) lgkmcnt(1)
	v_mul_f64 v[167:168], v[4:5], v[185:186]
	s_waitcnt vmcnt(37)
	v_fma_f64 v[165:166], v[137:138], v[189:190], -v[165:166]
	v_mul_f64 v[159:160], v[2:3], v[185:186]
	v_fma_f64 v[151:152], v[139:140], v[189:190], v[151:152]
	ds_read_b128 v[137:140], v1 offset:1872
	v_add_f64 v[145:146], v[145:146], v[163:164]
	s_waitcnt vmcnt(33) lgkmcnt(1)
	v_mul_f64 v[163:164], v[135:136], v[191:192]
	v_add_f64 v[6:7], v[6:7], v[149:150]
	s_waitcnt vmcnt(32)
	v_fma_f64 v[167:168], v[2:3], v[187:188], -v[167:168]
	v_mul_f64 v[149:150], v[133:134], v[191:192]
	v_fma_f64 v[159:160], v[4:5], v[187:188], v[159:160]
	ds_read_b128 v[2:5], v1 offset:1888
	v_add_f64 v[145:146], v[145:146], v[165:166]
	s_waitcnt vmcnt(31) lgkmcnt(1)
	v_mul_f64 v[165:166], v[139:140], v[194:195]
	v_add_f64 v[6:7], v[6:7], v[151:152]
	;; [unrolled: 9-line block ×3, first 2 shown]
	s_waitcnt vmcnt(24)
	v_fma_f64 v[165:166], v[137:138], v[196:197], -v[165:166]
	v_mul_f64 v[159:160], v[2:3], v[202:203]
	v_fma_f64 v[151:152], v[139:140], v[196:197], v[151:152]
	ds_read_b128 v[137:140], v1 offset:1920
	v_add_f64 v[145:146], v[145:146], v[163:164]
	v_add_f64 v[6:7], v[6:7], v[149:150]
	s_waitcnt vmcnt(23) lgkmcnt(1)
	v_mul_f64 v[163:164], v[135:136], v[204:205]
	v_mul_f64 v[149:150], v[133:134], v[204:205]
	s_waitcnt vmcnt(21)
	v_fma_f64 v[167:168], v[2:3], v[143:144], -v[167:168]
	v_fma_f64 v[143:144], v[4:5], v[143:144], v[159:160]
	ds_read_b128 v[2:5], v1 offset:1936
	v_add_f64 v[145:146], v[145:146], v[165:166]
	v_add_f64 v[6:7], v[6:7], v[151:152]
	s_waitcnt vmcnt(17) lgkmcnt(1)
	v_mul_f64 v[151:152], v[137:138], v[147:148]
	v_mul_f64 v[147:148], v[139:140], v[147:148]
	s_waitcnt vmcnt(16)
	v_fma_f64 v[159:160], v[133:134], v[206:207], -v[163:164]
	;; [unrolled: 9-line block ×3, first 2 shown]
	v_fma_f64 v[141:142], v[139:140], v[141:142], v[151:152]
	ds_read_b128 v[137:140], v1 offset:1968
	v_add_f64 v[145:146], v[145:146], v[159:160]
	v_add_f64 v[6:7], v[6:7], v[149:150]
	s_waitcnt vmcnt(9) lgkmcnt(1)
	v_mul_f64 v[151:152], v[135:136], v[155:156]
	s_waitcnt vmcnt(8)
	v_fma_f64 v[2:3], v[2:3], v[213:214], -v[163:164]
	v_mul_f64 v[149:150], v[133:134], v[155:156]
	v_fma_f64 v[4:5], v[4:5], v[213:214], v[143:144]
	v_add_f64 v[145:146], v[145:146], v[147:148]
	v_add_f64 v[6:7], v[6:7], v[141:142]
	s_waitcnt vmcnt(7) lgkmcnt(0)
	v_mul_f64 v[143:144], v[139:140], v[200:201]
	v_mul_f64 v[141:142], v[137:138], v[200:201]
	s_waitcnt vmcnt(5)
	v_fma_f64 v[133:134], v[133:134], v[153:154], -v[151:152]
	v_fma_f64 v[135:136], v[135:136], v[153:154], v[149:150]
	v_add_f64 v[2:3], v[145:146], v[2:3]
	v_add_f64 v[4:5], v[6:7], v[4:5]
	s_waitcnt vmcnt(4)
	v_fma_f64 v[6:7], v[137:138], v[215:216], -v[143:144]
	v_add_f64 v[2:3], v[2:3], v[133:134]
	v_fma_f64 v[133:134], v[139:140], v[215:216], v[141:142]
	v_add_f64 v[4:5], v[4:5], v[135:136]
	v_add_f64 v[2:3], v[2:3], v[6:7]
	;; [unrolled: 1-line block ×3, first 2 shown]
	s_waitcnt vmcnt(2)
	v_add_f64 v[2:3], v[157:158], -v[2:3]
	s_waitcnt vmcnt(0)
	v_add_f64 v[4:5], v[161:162], -v[4:5]
	buffer_store_dword v3, off, s[0:3], 0 offset:660
	buffer_store_dword v2, off, s[0:3], 0 offset:656
	buffer_store_dword v5, off, s[0:3], 0 offset:668
	buffer_store_dword v4, off, s[0:3], 0 offset:664
	v_cmpx_lt_u32_e32 39, v0
	s_cbranch_execz .LBB125_319
; %bb.318:
	v_mov_b32_e32 v5, s37
	s_clause 0x3
	buffer_load_dword v2, v5, s[0:3], 0 offen
	buffer_load_dword v3, v5, s[0:3], 0 offen offset:4
	buffer_load_dword v4, v5, s[0:3], 0 offen offset:8
	;; [unrolled: 1-line block ×3, first 2 shown]
	buffer_store_dword v1, off, s[0:3], 0 offset:640
	buffer_store_dword v1, off, s[0:3], 0 offset:644
	;; [unrolled: 1-line block ×4, first 2 shown]
	s_waitcnt vmcnt(0)
	ds_write_b128 v193, v[2:5]
.LBB125_319:
	s_or_b32 exec_lo, exec_lo, s4
	s_waitcnt lgkmcnt(0)
	s_waitcnt_vscnt null, 0x0
	s_barrier
	buffer_gl0_inv
	s_clause 0x37
	buffer_load_dword v6, off, s[0:3], 0 offset:664
	buffer_load_dword v7, off, s[0:3], 0 offset:668
	;; [unrolled: 1-line block ×56, first 2 shown]
	ds_read_b128 v[2:5], v1 offset:1632
	s_clause 0x2
	buffer_load_dword v195, off, s[0:3], 0 offset:892
	buffer_load_dword v199, off, s[0:3], 0 offset:868
	;; [unrolled: 1-line block ×3, first 2 shown]
	ds_read_b128 v[133:136], v1 offset:1648
	s_clause 0x4
	buffer_load_dword v203, off, s[0:3], 0 offset:908
	buffer_load_dword v204, off, s[0:3], 0 offset:920
	;; [unrolled: 1-line block ×5, first 2 shown]
	ds_read_b128 v[137:140], v1 offset:1664
	s_mov_b32 s4, exec_lo
	s_waitcnt vmcnt(62) lgkmcnt(2)
	v_mul_f64 v[200:201], v[4:5], v[6:7]
	v_mul_f64 v[6:7], v[2:3], v[6:7]
	s_waitcnt vmcnt(60) lgkmcnt(1)
	v_mul_f64 v[207:208], v[135:136], v[141:142]
	v_mul_f64 v[141:142], v[133:134], v[141:142]
	;; [unrolled: 3-line block ×3, first 2 shown]
	v_fma_f64 v[200:201], v[2:3], v[143:144], -v[200:201]
	v_fma_f64 v[6:7], v[4:5], v[143:144], v[6:7]
	s_clause 0x2
	buffer_load_dword v205, off, s[0:3], 0 offset:924
	buffer_load_dword v144, off, s[0:3], 0 offset:900
	;; [unrolled: 1-line block ×3, first 2 shown]
	s_waitcnt vmcnt(57)
	v_fma_f64 v[211:212], v[133:134], v[147:148], -v[207:208]
	ds_read_b128 v[2:5], v1 offset:1680
	v_fma_f64 v[141:142], v[135:136], v[147:148], v[141:142]
	s_clause 0x4
	buffer_load_dword v148, off, s[0:3], 0 offset:940
	buffer_load_dword v208, off, s[0:3], 0 offset:952
	buffer_load_dword v213, off, s[0:3], 0 offset:944
	buffer_load_dword v147, off, s[0:3], 0 offset:936
	buffer_load_dword v207, off, s[0:3], 0 offset:916
	s_waitcnt vmcnt(56)
	v_fma_f64 v[145:146], v[137:138], v[155:156], -v[145:146]
	ds_read_b128 v[133:136], v1 offset:1696
	v_fma_f64 v[155:156], v[139:140], v[155:156], v[209:210]
	v_add_f64 v[200:201], v[200:201], 0
	v_add_f64 v[6:7], v[6:7], 0
	s_waitcnt lgkmcnt(1)
	v_mul_f64 v[214:215], v[2:3], v[149:150]
	v_mul_f64 v[149:150], v[4:5], v[149:150]
	v_add_f64 v[200:201], v[200:201], v[211:212]
	v_add_f64 v[6:7], v[6:7], v[141:142]
	s_clause 0x2
	buffer_load_dword v209, off, s[0:3], 0 offset:956
	buffer_load_dword v142, off, s[0:3], 0 offset:932
	;; [unrolled: 1-line block ×3, first 2 shown]
	s_waitcnt vmcnt(58) lgkmcnt(0)
	v_mul_f64 v[210:211], v[133:134], v[151:152]
	v_mul_f64 v[151:152], v[135:136], v[151:152]
	s_waitcnt vmcnt(56)
	v_fma_f64 v[149:150], v[2:3], v[157:158], -v[149:150]
	ds_read_b128 v[137:140], v1 offset:1712
	v_fma_f64 v[157:158], v[4:5], v[157:158], v[214:215]
	v_add_f64 v[145:146], v[200:201], v[145:146]
	v_add_f64 v[6:7], v[6:7], v[155:156]
	s_clause 0x4
	buffer_load_dword v156, off, s[0:3], 0 offset:972
	buffer_load_dword v200, off, s[0:3], 0 offset:984
	buffer_load_dword v215, off, s[0:3], 0 offset:976
	buffer_load_dword v155, off, s[0:3], 0 offset:968
	buffer_load_dword v214, off, s[0:3], 0 offset:948
	ds_read_b128 v[2:5], v1 offset:1728
	s_waitcnt vmcnt(57) lgkmcnt(1)
	v_mul_f64 v[216:217], v[137:138], v[159:160]
	v_mul_f64 v[159:160], v[139:140], v[159:160]
	s_waitcnt vmcnt(56)
	v_fma_f64 v[151:152], v[133:134], v[153:154], -v[151:152]
	v_add_f64 v[145:146], v[145:146], v[149:150]
	v_fma_f64 v[149:150], v[135:136], v[153:154], v[210:211]
	v_add_f64 v[6:7], v[6:7], v[157:158]
	s_clause 0x2
	buffer_load_dword v201, off, s[0:3], 0 offset:988
	buffer_load_dword v154, off, s[0:3], 0 offset:964
	;; [unrolled: 1-line block ×3, first 2 shown]
	s_waitcnt vmcnt(58) lgkmcnt(0)
	v_mul_f64 v[157:158], v[2:3], v[161:162]
	v_mul_f64 v[161:162], v[4:5], v[161:162]
	s_waitcnt vmcnt(56)
	v_fma_f64 v[159:160], v[137:138], v[165:166], -v[159:160]
	ds_read_b128 v[133:136], v1 offset:1744
	v_add_f64 v[145:146], v[145:146], v[151:152]
	v_fma_f64 v[151:152], v[139:140], v[165:166], v[216:217]
	v_add_f64 v[6:7], v[6:7], v[149:150]
	s_clause 0x2
	buffer_load_dword v150, off, s[0:3], 0 offset:1004
	buffer_load_dword v149, off, s[0:3], 0 offset:1000
	;; [unrolled: 1-line block ×3, first 2 shown]
	ds_read_b128 v[137:140], v1 offset:1760
	s_waitcnt vmcnt(55) lgkmcnt(1)
	v_mul_f64 v[165:166], v[133:134], v[167:168]
	v_mul_f64 v[167:168], v[135:136], v[167:168]
	s_waitcnt vmcnt(54)
	v_fma_f64 v[161:162], v[2:3], v[163:164], -v[161:162]
	v_fma_f64 v[157:158], v[4:5], v[163:164], v[157:158]
	v_add_f64 v[145:146], v[145:146], v[159:160]
	v_add_f64 v[6:7], v[6:7], v[151:152]
	s_clause 0x1
	buffer_load_dword v152, off, s[0:3], 0 offset:996
	buffer_load_dword v151, off, s[0:3], 0 offset:992
	s_waitcnt vmcnt(55) lgkmcnt(0)
	v_mul_f64 v[163:164], v[139:140], v[169:170]
	ds_read_b128 v[2:5], v1 offset:1776
	s_waitcnt vmcnt(53)
	v_fma_f64 v[167:168], v[133:134], v[173:174], -v[167:168]
	v_mul_f64 v[159:160], v[137:138], v[169:170]
	v_add_f64 v[145:146], v[145:146], v[161:162]
	v_fma_f64 v[161:162], v[135:136], v[173:174], v[165:166]
	v_add_f64 v[6:7], v[6:7], v[157:158]
	ds_read_b128 v[133:136], v1 offset:1792
	s_waitcnt vmcnt(49) lgkmcnt(1)
	v_mul_f64 v[165:166], v[4:5], v[175:176]
	s_waitcnt vmcnt(48)
	v_fma_f64 v[163:164], v[137:138], v[171:172], -v[163:164]
	v_mul_f64 v[157:158], v[2:3], v[175:176]
	v_fma_f64 v[159:160], v[139:140], v[171:172], v[159:160]
	v_add_f64 v[145:146], v[145:146], v[167:168]
	s_waitcnt vmcnt(47) lgkmcnt(0)
	v_mul_f64 v[171:172], v[135:136], v[177:178]
	v_add_f64 v[6:7], v[6:7], v[161:162]
	s_clause 0x3
	buffer_load_dword v161, off, s[0:3], 0 offset:640
	buffer_load_dword v162, off, s[0:3], 0 offset:644
	;; [unrolled: 1-line block ×4, first 2 shown]
	s_waitcnt vmcnt(49)
	v_fma_f64 v[165:166], v[2:3], v[181:182], -v[165:166]
	ds_read_b128 v[137:140], v1 offset:1808
	v_mul_f64 v[169:170], v[133:134], v[177:178]
	v_fma_f64 v[157:158], v[4:5], v[181:182], v[157:158]
	ds_read_b128 v[2:5], v1 offset:1824
	v_add_f64 v[145:146], v[145:146], v[163:164]
	s_waitcnt vmcnt(44)
	v_fma_f64 v[171:172], v[133:134], v[179:180], -v[171:172]
	v_add_f64 v[6:7], v[6:7], v[159:160]
	s_waitcnt lgkmcnt(1)
	v_mul_f64 v[163:164], v[139:140], v[183:184]
	v_mul_f64 v[159:160], v[137:138], v[183:184]
	v_add_f64 v[145:146], v[145:146], v[165:166]
	v_fma_f64 v[165:166], v[135:136], v[179:180], v[169:170]
	v_add_f64 v[6:7], v[6:7], v[157:158]
	s_waitcnt vmcnt(43) lgkmcnt(0)
	v_mul_f64 v[169:170], v[4:5], v[185:186]
	s_waitcnt vmcnt(41)
	v_fma_f64 v[163:164], v[137:138], v[189:190], -v[163:164]
	ds_read_b128 v[133:136], v1 offset:1840
	v_mul_f64 v[157:158], v[2:3], v[185:186]
	v_fma_f64 v[159:160], v[139:140], v[189:190], v[159:160]
	ds_read_b128 v[137:140], v1 offset:1856
	v_add_f64 v[145:146], v[145:146], v[171:172]
	v_add_f64 v[6:7], v[6:7], v[165:166]
	s_waitcnt vmcnt(37) lgkmcnt(1)
	v_mul_f64 v[171:172], v[135:136], v[191:192]
	s_waitcnt vmcnt(36)
	v_fma_f64 v[169:170], v[2:3], v[187:188], -v[169:170]
	v_mul_f64 v[165:166], v[133:134], v[191:192]
	v_fma_f64 v[157:158], v[4:5], v[187:188], v[157:158]
	ds_read_b128 v[2:5], v1 offset:1872
	v_add_f64 v[145:146], v[145:146], v[163:164]
	s_waitcnt vmcnt(35) lgkmcnt(1)
	v_mul_f64 v[163:164], v[139:140], v[194:195]
	v_add_f64 v[6:7], v[6:7], v[159:160]
	s_waitcnt vmcnt(33)
	v_fma_f64 v[171:172], v[133:134], v[198:199], -v[171:172]
	v_mul_f64 v[159:160], v[137:138], v[194:195]
	v_fma_f64 v[165:166], v[135:136], v[198:199], v[165:166]
	ds_read_b128 v[133:136], v1 offset:1888
	v_add_f64 v[145:146], v[145:146], v[169:170]
	s_waitcnt vmcnt(29) lgkmcnt(1)
	v_mul_f64 v[169:170], v[4:5], v[202:203]
	v_add_f64 v[6:7], v[6:7], v[157:158]
	s_waitcnt vmcnt(28)
	v_fma_f64 v[163:164], v[137:138], v[196:197], -v[163:164]
	v_mul_f64 v[157:158], v[2:3], v[202:203]
	v_fma_f64 v[159:160], v[139:140], v[196:197], v[159:160]
	ds_read_b128 v[137:140], v1 offset:1904
	v_add_f64 v[145:146], v[145:146], v[171:172]
	v_add_f64 v[6:7], v[6:7], v[165:166]
	s_waitcnt vmcnt(27) lgkmcnt(1)
	v_mul_f64 v[171:172], v[135:136], v[204:205]
	v_mul_f64 v[165:166], v[133:134], v[204:205]
	s_waitcnt vmcnt(25)
	v_fma_f64 v[169:170], v[2:3], v[143:144], -v[169:170]
	v_fma_f64 v[143:144], v[4:5], v[143:144], v[157:158]
	ds_read_b128 v[2:5], v1 offset:1920
	s_waitcnt vmcnt(21) lgkmcnt(1)
	v_mul_f64 v[157:158], v[137:138], v[147:148]
	v_mul_f64 v[147:148], v[139:140], v[147:148]
	v_add_f64 v[145:146], v[145:146], v[163:164]
	v_add_f64 v[6:7], v[6:7], v[159:160]
	s_waitcnt vmcnt(20)
	v_fma_f64 v[159:160], v[133:134], v[206:207], -v[171:172]
	v_fma_f64 v[163:164], v[135:136], v[206:207], v[165:166]
	ds_read_b128 v[133:136], v1 offset:1936
	v_add_f64 v[145:146], v[145:146], v[169:170]
	v_add_f64 v[6:7], v[6:7], v[143:144]
	s_waitcnt vmcnt(19) lgkmcnt(1)
	v_mul_f64 v[165:166], v[4:5], v[208:209]
	v_mul_f64 v[143:144], v[2:3], v[208:209]
	s_waitcnt vmcnt(17)
	v_fma_f64 v[147:148], v[137:138], v[141:142], -v[147:148]
	v_fma_f64 v[141:142], v[139:140], v[141:142], v[157:158]
	ds_read_b128 v[137:140], v1 offset:1952
	v_add_f64 v[145:146], v[145:146], v[159:160]
	v_add_f64 v[6:7], v[6:7], v[163:164]
	s_waitcnt vmcnt(13) lgkmcnt(1)
	v_mul_f64 v[157:158], v[133:134], v[155:156]
	v_mul_f64 v[155:156], v[135:136], v[155:156]
	;; [unrolled: 9-line block ×3, first 2 shown]
	s_waitcnt vmcnt(9)
	v_fma_f64 v[133:134], v[133:134], v[153:154], -v[155:156]
	v_fma_f64 v[135:136], v[135:136], v[153:154], v[157:158]
	v_add_f64 v[145:146], v[145:146], v[159:160]
	v_add_f64 v[5:6], v[5:6], v[143:144]
	s_waitcnt vmcnt(7) lgkmcnt(0)
	v_mul_f64 v[147:148], v[3:4], v[149:150]
	s_waitcnt vmcnt(6)
	v_fma_f64 v[137:138], v[137:138], v[215:216], -v[141:142]
	v_mul_f64 v[143:144], v[1:2], v[149:150]
	v_fma_f64 v[7:8], v[139:140], v[215:216], v[7:8]
	v_add_f64 v[133:134], v[145:146], v[133:134]
	v_add_f64 v[5:6], v[5:6], v[135:136]
	s_waitcnt vmcnt(4)
	v_fma_f64 v[1:2], v[1:2], v[151:152], -v[147:148]
	v_fma_f64 v[3:4], v[3:4], v[151:152], v[143:144]
	v_add_f64 v[133:134], v[133:134], v[137:138]
	v_add_f64 v[5:6], v[5:6], v[7:8]
	;; [unrolled: 1-line block ×4, first 2 shown]
	s_waitcnt vmcnt(2)
	v_add_f64 v[1:2], v[161:162], -v[1:2]
	s_waitcnt vmcnt(0)
	v_add_f64 v[3:4], v[167:168], -v[3:4]
	buffer_store_dword v2, off, s[0:3], 0 offset:644
	buffer_store_dword v1, off, s[0:3], 0 offset:640
	;; [unrolled: 1-line block ×4, first 2 shown]
	v_cmpx_lt_u32_e32 38, v0
	s_cbranch_execz .LBB125_321
; %bb.320:
	v_mov_b32_e32 v4, s38
	v_mov_b32_e32 v5, 0
	s_clause 0x3
	buffer_load_dword v1, v4, s[0:3], 0 offen
	buffer_load_dword v2, v4, s[0:3], 0 offen offset:4
	buffer_load_dword v3, v4, s[0:3], 0 offen offset:8
	buffer_load_dword v4, v4, s[0:3], 0 offen offset:12
	buffer_store_dword v5, off, s[0:3], 0 offset:624
	buffer_store_dword v5, off, s[0:3], 0 offset:628
	;; [unrolled: 1-line block ×4, first 2 shown]
	s_waitcnt vmcnt(0)
	ds_write_b128 v193, v[1:4]
.LBB125_321:
	s_or_b32 exec_lo, exec_lo, s4
	s_waitcnt lgkmcnt(0)
	s_waitcnt_vscnt null, 0x0
	s_barrier
	buffer_gl0_inv
	s_clause 0x37
	buffer_load_dword v6, off, s[0:3], 0 offset:648
	buffer_load_dword v7, off, s[0:3], 0 offset:652
	buffer_load_dword v141, off, s[0:3], 0 offset:664
	buffer_load_dword v142, off, s[0:3], 0 offset:668
	buffer_load_dword v143, off, s[0:3], 0 offset:640
	buffer_load_dword v144, off, s[0:3], 0 offset:644
	buffer_load_dword v145, off, s[0:3], 0 offset:680
	buffer_load_dword v146, off, s[0:3], 0 offset:684
	buffer_load_dword v147, off, s[0:3], 0 offset:656
	buffer_load_dword v148, off, s[0:3], 0 offset:660
	buffer_load_dword v150, off, s[0:3], 0 offset:700
	buffer_load_dword v151, off, s[0:3], 0 offset:712
	buffer_load_dword v153, off, s[0:3], 0 offset:704
	buffer_load_dword v149, off, s[0:3], 0 offset:696
	buffer_load_dword v155, off, s[0:3], 0 offset:672
	buffer_load_dword v156, off, s[0:3], 0 offset:676
	buffer_load_dword v152, off, s[0:3], 0 offset:716
	buffer_load_dword v158, off, s[0:3], 0 offset:692
	buffer_load_dword v157, off, s[0:3], 0 offset:688
	buffer_load_dword v160, off, s[0:3], 0 offset:732
	buffer_load_dword v161, off, s[0:3], 0 offset:744
	buffer_load_dword v163, off, s[0:3], 0 offset:736
	buffer_load_dword v159, off, s[0:3], 0 offset:728
	buffer_load_dword v154, off, s[0:3], 0 offset:708
	buffer_load_dword v162, off, s[0:3], 0 offset:748
	buffer_load_dword v166, off, s[0:3], 0 offset:724
	buffer_load_dword v165, off, s[0:3], 0 offset:720
	buffer_load_dword v168, off, s[0:3], 0 offset:764
	buffer_load_dword v169, off, s[0:3], 0 offset:776
	buffer_load_dword v171, off, s[0:3], 0 offset:768
	buffer_load_dword v167, off, s[0:3], 0 offset:760
	buffer_load_dword v164, off, s[0:3], 0 offset:740
	buffer_load_dword v170, off, s[0:3], 0 offset:780
	buffer_load_dword v174, off, s[0:3], 0 offset:756
	buffer_load_dword v173, off, s[0:3], 0 offset:752
	buffer_load_dword v176, off, s[0:3], 0 offset:796
	buffer_load_dword v177, off, s[0:3], 0 offset:808
	buffer_load_dword v179, off, s[0:3], 0 offset:800
	buffer_load_dword v175, off, s[0:3], 0 offset:792
	buffer_load_dword v172, off, s[0:3], 0 offset:772
	buffer_load_dword v178, off, s[0:3], 0 offset:812
	buffer_load_dword v182, off, s[0:3], 0 offset:788
	buffer_load_dword v181, off, s[0:3], 0 offset:784
	buffer_load_dword v184, off, s[0:3], 0 offset:828
	buffer_load_dword v185, off, s[0:3], 0 offset:840
	buffer_load_dword v187, off, s[0:3], 0 offset:832
	buffer_load_dword v183, off, s[0:3], 0 offset:824
	buffer_load_dword v180, off, s[0:3], 0 offset:804
	buffer_load_dword v186, off, s[0:3], 0 offset:844
	buffer_load_dword v190, off, s[0:3], 0 offset:820
	buffer_load_dword v189, off, s[0:3], 0 offset:816
	buffer_load_dword v192, off, s[0:3], 0 offset:860
	buffer_load_dword v194, off, s[0:3], 0 offset:872
	buffer_load_dword v196, off, s[0:3], 0 offset:864
	buffer_load_dword v191, off, s[0:3], 0 offset:856
	buffer_load_dword v188, off, s[0:3], 0 offset:836
	v_mov_b32_e32 v1, 0
	s_mov_b32 s4, exec_lo
	ds_read_b128 v[2:5], v1 offset:1616
	s_clause 0x2
	buffer_load_dword v195, off, s[0:3], 0 offset:876
	buffer_load_dword v199, off, s[0:3], 0 offset:852
	;; [unrolled: 1-line block ×3, first 2 shown]
	ds_read_b128 v[133:136], v1 offset:1632
	s_clause 0x4
	buffer_load_dword v203, off, s[0:3], 0 offset:892
	buffer_load_dword v204, off, s[0:3], 0 offset:904
	;; [unrolled: 1-line block ×5, first 2 shown]
	ds_read_b128 v[137:140], v1 offset:1648
	s_waitcnt vmcnt(62) lgkmcnt(2)
	v_mul_f64 v[200:201], v[4:5], v[6:7]
	v_mul_f64 v[6:7], v[2:3], v[6:7]
	s_waitcnt vmcnt(60) lgkmcnt(1)
	v_mul_f64 v[207:208], v[135:136], v[141:142]
	v_mul_f64 v[141:142], v[133:134], v[141:142]
	;; [unrolled: 3-line block ×3, first 2 shown]
	v_fma_f64 v[200:201], v[2:3], v[143:144], -v[200:201]
	v_fma_f64 v[6:7], v[4:5], v[143:144], v[6:7]
	s_clause 0x2
	buffer_load_dword v205, off, s[0:3], 0 offset:908
	buffer_load_dword v144, off, s[0:3], 0 offset:884
	buffer_load_dword v143, off, s[0:3], 0 offset:880
	s_waitcnt vmcnt(57)
	v_fma_f64 v[211:212], v[133:134], v[147:148], -v[207:208]
	ds_read_b128 v[2:5], v1 offset:1664
	v_fma_f64 v[141:142], v[135:136], v[147:148], v[141:142]
	s_clause 0x4
	buffer_load_dword v148, off, s[0:3], 0 offset:924
	buffer_load_dword v208, off, s[0:3], 0 offset:936
	;; [unrolled: 1-line block ×5, first 2 shown]
	s_waitcnt vmcnt(56)
	v_fma_f64 v[145:146], v[137:138], v[155:156], -v[145:146]
	ds_read_b128 v[133:136], v1 offset:1680
	v_fma_f64 v[155:156], v[139:140], v[155:156], v[209:210]
	v_add_f64 v[200:201], v[200:201], 0
	v_add_f64 v[6:7], v[6:7], 0
	s_waitcnt lgkmcnt(1)
	v_mul_f64 v[214:215], v[2:3], v[149:150]
	v_mul_f64 v[149:150], v[4:5], v[149:150]
	v_add_f64 v[200:201], v[200:201], v[211:212]
	v_add_f64 v[6:7], v[6:7], v[141:142]
	s_clause 0x2
	buffer_load_dword v209, off, s[0:3], 0 offset:940
	buffer_load_dword v142, off, s[0:3], 0 offset:916
	;; [unrolled: 1-line block ×3, first 2 shown]
	s_waitcnt vmcnt(58) lgkmcnt(0)
	v_mul_f64 v[210:211], v[133:134], v[151:152]
	v_mul_f64 v[151:152], v[135:136], v[151:152]
	s_waitcnt vmcnt(56)
	v_fma_f64 v[149:150], v[2:3], v[157:158], -v[149:150]
	ds_read_b128 v[137:140], v1 offset:1696
	v_fma_f64 v[157:158], v[4:5], v[157:158], v[214:215]
	v_add_f64 v[145:146], v[200:201], v[145:146]
	v_add_f64 v[6:7], v[6:7], v[155:156]
	s_clause 0x4
	buffer_load_dword v156, off, s[0:3], 0 offset:956
	buffer_load_dword v200, off, s[0:3], 0 offset:968
	;; [unrolled: 1-line block ×5, first 2 shown]
	ds_read_b128 v[2:5], v1 offset:1712
	s_waitcnt vmcnt(57) lgkmcnt(1)
	v_mul_f64 v[216:217], v[137:138], v[159:160]
	v_mul_f64 v[159:160], v[139:140], v[159:160]
	s_waitcnt vmcnt(56)
	v_fma_f64 v[151:152], v[133:134], v[153:154], -v[151:152]
	v_add_f64 v[145:146], v[145:146], v[149:150]
	v_fma_f64 v[149:150], v[135:136], v[153:154], v[210:211]
	v_add_f64 v[6:7], v[6:7], v[157:158]
	s_clause 0x2
	buffer_load_dword v201, off, s[0:3], 0 offset:972
	buffer_load_dword v154, off, s[0:3], 0 offset:948
	;; [unrolled: 1-line block ×3, first 2 shown]
	s_waitcnt vmcnt(58) lgkmcnt(0)
	v_mul_f64 v[157:158], v[2:3], v[161:162]
	v_mul_f64 v[161:162], v[4:5], v[161:162]
	s_waitcnt vmcnt(56)
	v_fma_f64 v[159:160], v[137:138], v[165:166], -v[159:160]
	ds_read_b128 v[133:136], v1 offset:1728
	v_add_f64 v[145:146], v[145:146], v[151:152]
	v_fma_f64 v[151:152], v[139:140], v[165:166], v[216:217]
	v_add_f64 v[6:7], v[6:7], v[149:150]
	s_clause 0x4
	buffer_load_dword v150, off, s[0:3], 0 offset:988
	buffer_load_dword v165, off, s[0:3], 0 offset:1000
	;; [unrolled: 1-line block ×5, first 2 shown]
	ds_read_b128 v[137:140], v1 offset:1744
	s_waitcnt vmcnt(57) lgkmcnt(1)
	v_mul_f64 v[211:212], v[133:134], v[167:168]
	v_mul_f64 v[167:168], v[135:136], v[167:168]
	s_waitcnt vmcnt(56)
	v_fma_f64 v[161:162], v[2:3], v[163:164], -v[161:162]
	v_fma_f64 v[157:158], v[4:5], v[163:164], v[157:158]
	v_add_f64 v[145:146], v[145:146], v[159:160]
	v_add_f64 v[6:7], v[6:7], v[151:152]
	s_clause 0x2
	buffer_load_dword v166, off, s[0:3], 0 offset:1004
	buffer_load_dword v152, off, s[0:3], 0 offset:980
	;; [unrolled: 1-line block ×3, first 2 shown]
	s_waitcnt vmcnt(58) lgkmcnt(0)
	v_mul_f64 v[163:164], v[139:140], v[169:170]
	ds_read_b128 v[2:5], v1 offset:1760
	s_waitcnt vmcnt(56)
	v_fma_f64 v[167:168], v[133:134], v[173:174], -v[167:168]
	v_mul_f64 v[159:160], v[137:138], v[169:170]
	v_add_f64 v[145:146], v[145:146], v[161:162]
	v_fma_f64 v[161:162], v[135:136], v[173:174], v[211:212]
	v_add_f64 v[6:7], v[6:7], v[157:158]
	buffer_load_dword v211, off, s[0:3], 0 offset:996
	ds_read_b128 v[133:136], v1 offset:1776
	s_waitcnt vmcnt(53) lgkmcnt(1)
	v_mul_f64 v[169:170], v[4:5], v[175:176]
	s_waitcnt vmcnt(52)
	v_fma_f64 v[163:164], v[137:138], v[171:172], -v[163:164]
	v_mul_f64 v[157:158], v[2:3], v[175:176]
	v_fma_f64 v[159:160], v[139:140], v[171:172], v[159:160]
	ds_read_b128 v[137:140], v1 offset:1792
	v_add_f64 v[145:146], v[145:146], v[167:168]
	v_add_f64 v[6:7], v[6:7], v[161:162]
	s_waitcnt vmcnt(51) lgkmcnt(1)
	v_mul_f64 v[167:168], v[135:136], v[177:178]
	v_mul_f64 v[161:162], v[133:134], v[177:178]
	s_waitcnt vmcnt(49)
	v_fma_f64 v[169:170], v[2:3], v[181:182], -v[169:170]
	v_fma_f64 v[157:158], v[4:5], v[181:182], v[157:158]
	s_waitcnt vmcnt(45) lgkmcnt(0)
	v_mul_f64 v[173:174], v[139:140], v[183:184]
	v_mul_f64 v[171:172], v[137:138], v[183:184]
	v_add_f64 v[145:146], v[145:146], v[163:164]
	v_add_f64 v[6:7], v[6:7], v[159:160]
	s_clause 0x3
	buffer_load_dword v159, off, s[0:3], 0 offset:624
	buffer_load_dword v160, off, s[0:3], 0 offset:628
	;; [unrolled: 1-line block ×4, first 2 shown]
	s_waitcnt vmcnt(48)
	v_fma_f64 v[167:168], v[133:134], v[179:180], -v[167:168]
	ds_read_b128 v[2:5], v1 offset:1808
	v_fma_f64 v[161:162], v[135:136], v[179:180], v[161:162]
	ds_read_b128 v[133:136], v1 offset:1824
	s_waitcnt vmcnt(45)
	v_fma_f64 v[173:174], v[137:138], v[189:190], -v[173:174]
	v_add_f64 v[145:146], v[145:146], v[169:170]
	v_add_f64 v[6:7], v[6:7], v[157:158]
	s_waitcnt lgkmcnt(1)
	v_mul_f64 v[169:170], v[4:5], v[185:186]
	v_mul_f64 v[157:158], v[2:3], v[185:186]
	v_add_f64 v[145:146], v[145:146], v[167:168]
	v_fma_f64 v[167:168], v[139:140], v[189:190], v[171:172]
	v_add_f64 v[6:7], v[6:7], v[161:162]
	s_waitcnt vmcnt(41) lgkmcnt(0)
	v_mul_f64 v[171:172], v[135:136], v[191:192]
	s_waitcnt vmcnt(40)
	v_fma_f64 v[169:170], v[2:3], v[187:188], -v[169:170]
	ds_read_b128 v[137:140], v1 offset:1840
	v_mul_f64 v[161:162], v[133:134], v[191:192]
	v_fma_f64 v[157:158], v[4:5], v[187:188], v[157:158]
	ds_read_b128 v[2:5], v1 offset:1856
	v_add_f64 v[145:146], v[145:146], v[173:174]
	v_add_f64 v[6:7], v[6:7], v[167:168]
	s_waitcnt vmcnt(39) lgkmcnt(1)
	v_mul_f64 v[173:174], v[139:140], v[194:195]
	s_waitcnt vmcnt(37)
	v_fma_f64 v[171:172], v[133:134], v[198:199], -v[171:172]
	v_mul_f64 v[167:168], v[137:138], v[194:195]
	v_fma_f64 v[161:162], v[135:136], v[198:199], v[161:162]
	ds_read_b128 v[133:136], v1 offset:1872
	v_add_f64 v[145:146], v[145:146], v[169:170]
	s_waitcnt vmcnt(33) lgkmcnt(1)
	v_mul_f64 v[169:170], v[4:5], v[202:203]
	v_add_f64 v[6:7], v[6:7], v[157:158]
	s_waitcnt vmcnt(32)
	v_fma_f64 v[173:174], v[137:138], v[196:197], -v[173:174]
	v_mul_f64 v[157:158], v[2:3], v[202:203]
	v_fma_f64 v[167:168], v[139:140], v[196:197], v[167:168]
	ds_read_b128 v[137:140], v1 offset:1888
	v_add_f64 v[145:146], v[145:146], v[171:172]
	v_add_f64 v[6:7], v[6:7], v[161:162]
	s_waitcnt vmcnt(31) lgkmcnt(1)
	v_mul_f64 v[171:172], v[135:136], v[204:205]
	v_mul_f64 v[161:162], v[133:134], v[204:205]
	s_waitcnt vmcnt(29)
	v_fma_f64 v[169:170], v[2:3], v[143:144], -v[169:170]
	v_fma_f64 v[143:144], v[4:5], v[143:144], v[157:158]
	ds_read_b128 v[2:5], v1 offset:1904
	s_waitcnt vmcnt(25) lgkmcnt(1)
	v_mul_f64 v[157:158], v[137:138], v[147:148]
	v_mul_f64 v[147:148], v[139:140], v[147:148]
	v_add_f64 v[145:146], v[145:146], v[173:174]
	v_add_f64 v[6:7], v[6:7], v[167:168]
	s_waitcnt vmcnt(24)
	v_fma_f64 v[167:168], v[133:134], v[206:207], -v[171:172]
	v_fma_f64 v[161:162], v[135:136], v[206:207], v[161:162]
	ds_read_b128 v[133:136], v1 offset:1920
	v_add_f64 v[145:146], v[145:146], v[169:170]
	v_add_f64 v[6:7], v[6:7], v[143:144]
	s_waitcnt vmcnt(23) lgkmcnt(1)
	v_mul_f64 v[169:170], v[4:5], v[208:209]
	v_mul_f64 v[143:144], v[2:3], v[208:209]
	s_waitcnt vmcnt(21)
	v_fma_f64 v[147:148], v[137:138], v[141:142], -v[147:148]
	v_fma_f64 v[141:142], v[139:140], v[141:142], v[157:158]
	ds_read_b128 v[137:140], v1 offset:1936
	v_add_f64 v[145:146], v[145:146], v[167:168]
	v_add_f64 v[6:7], v[6:7], v[161:162]
	s_waitcnt vmcnt(17) lgkmcnt(1)
	v_mul_f64 v[157:158], v[133:134], v[155:156]
	v_mul_f64 v[155:156], v[135:136], v[155:156]
	;; [unrolled: 9-line block ×4, first 2 shown]
	s_waitcnt vmcnt(8)
	v_fma_f64 v[137:138], v[137:138], v[215:216], -v[147:148]
	v_fma_f64 v[139:140], v[139:140], v[215:216], v[141:142]
	v_add_f64 v[145:146], v[145:146], v[155:156]
	v_add_f64 v[6:7], v[6:7], v[153:154]
	s_waitcnt vmcnt(7) lgkmcnt(0)
	v_mul_f64 v[147:148], v[135:136], v[165:166]
	v_mul_f64 v[141:142], v[133:134], v[165:166]
	s_waitcnt vmcnt(5)
	v_fma_f64 v[2:3], v[2:3], v[151:152], -v[149:150]
	v_fma_f64 v[4:5], v[4:5], v[151:152], v[143:144]
	v_add_f64 v[137:138], v[145:146], v[137:138]
	v_add_f64 v[6:7], v[6:7], v[139:140]
	s_waitcnt vmcnt(4)
	v_fma_f64 v[133:134], v[133:134], v[210:211], -v[147:148]
	v_fma_f64 v[135:136], v[135:136], v[210:211], v[141:142]
	v_add_f64 v[2:3], v[137:138], v[2:3]
	v_add_f64 v[4:5], v[6:7], v[4:5]
	;; [unrolled: 1-line block ×4, first 2 shown]
	s_waitcnt vmcnt(2)
	v_add_f64 v[2:3], v[159:160], -v[2:3]
	s_waitcnt vmcnt(0)
	v_add_f64 v[4:5], v[163:164], -v[4:5]
	buffer_store_dword v3, off, s[0:3], 0 offset:628
	buffer_store_dword v2, off, s[0:3], 0 offset:624
	;; [unrolled: 1-line block ×4, first 2 shown]
	v_cmpx_lt_u32_e32 37, v0
	s_cbranch_execz .LBB125_323
; %bb.322:
	v_mov_b32_e32 v5, s39
	s_clause 0x3
	buffer_load_dword v2, v5, s[0:3], 0 offen
	buffer_load_dword v3, v5, s[0:3], 0 offen offset:4
	buffer_load_dword v4, v5, s[0:3], 0 offen offset:8
	;; [unrolled: 1-line block ×3, first 2 shown]
	buffer_store_dword v1, off, s[0:3], 0 offset:608
	buffer_store_dword v1, off, s[0:3], 0 offset:612
	;; [unrolled: 1-line block ×4, first 2 shown]
	s_waitcnt vmcnt(0)
	ds_write_b128 v193, v[2:5]
.LBB125_323:
	s_or_b32 exec_lo, exec_lo, s4
	s_waitcnt lgkmcnt(0)
	s_waitcnt_vscnt null, 0x0
	s_barrier
	buffer_gl0_inv
	s_clause 0x37
	buffer_load_dword v6, off, s[0:3], 0 offset:632
	buffer_load_dword v7, off, s[0:3], 0 offset:636
	;; [unrolled: 1-line block ×56, first 2 shown]
	ds_read_b128 v[2:5], v1 offset:1600
	s_clause 0x2
	buffer_load_dword v195, off, s[0:3], 0 offset:860
	buffer_load_dword v199, off, s[0:3], 0 offset:836
	;; [unrolled: 1-line block ×3, first 2 shown]
	ds_read_b128 v[133:136], v1 offset:1616
	s_clause 0x4
	buffer_load_dword v203, off, s[0:3], 0 offset:876
	buffer_load_dword v204, off, s[0:3], 0 offset:888
	;; [unrolled: 1-line block ×5, first 2 shown]
	ds_read_b128 v[137:140], v1 offset:1632
	s_mov_b32 s4, exec_lo
	s_waitcnt vmcnt(62) lgkmcnt(2)
	v_mul_f64 v[200:201], v[4:5], v[6:7]
	v_mul_f64 v[6:7], v[2:3], v[6:7]
	s_waitcnt vmcnt(60) lgkmcnt(1)
	v_mul_f64 v[207:208], v[135:136], v[141:142]
	v_mul_f64 v[141:142], v[133:134], v[141:142]
	;; [unrolled: 3-line block ×3, first 2 shown]
	v_fma_f64 v[200:201], v[2:3], v[143:144], -v[200:201]
	v_fma_f64 v[6:7], v[4:5], v[143:144], v[6:7]
	s_clause 0x2
	buffer_load_dword v205, off, s[0:3], 0 offset:892
	buffer_load_dword v144, off, s[0:3], 0 offset:868
	;; [unrolled: 1-line block ×3, first 2 shown]
	s_waitcnt vmcnt(57)
	v_fma_f64 v[211:212], v[133:134], v[147:148], -v[207:208]
	ds_read_b128 v[2:5], v1 offset:1648
	v_fma_f64 v[141:142], v[135:136], v[147:148], v[141:142]
	s_clause 0x4
	buffer_load_dword v148, off, s[0:3], 0 offset:908
	buffer_load_dword v208, off, s[0:3], 0 offset:920
	;; [unrolled: 1-line block ×5, first 2 shown]
	s_waitcnt vmcnt(56)
	v_fma_f64 v[145:146], v[137:138], v[155:156], -v[145:146]
	ds_read_b128 v[133:136], v1 offset:1664
	v_fma_f64 v[155:156], v[139:140], v[155:156], v[209:210]
	v_add_f64 v[200:201], v[200:201], 0
	v_add_f64 v[6:7], v[6:7], 0
	s_waitcnt lgkmcnt(1)
	v_mul_f64 v[214:215], v[2:3], v[149:150]
	v_mul_f64 v[149:150], v[4:5], v[149:150]
	v_add_f64 v[200:201], v[200:201], v[211:212]
	v_add_f64 v[6:7], v[6:7], v[141:142]
	s_clause 0x2
	buffer_load_dword v209, off, s[0:3], 0 offset:924
	buffer_load_dword v142, off, s[0:3], 0 offset:900
	;; [unrolled: 1-line block ×3, first 2 shown]
	s_waitcnt vmcnt(58) lgkmcnt(0)
	v_mul_f64 v[210:211], v[133:134], v[151:152]
	v_mul_f64 v[151:152], v[135:136], v[151:152]
	s_waitcnt vmcnt(56)
	v_fma_f64 v[149:150], v[2:3], v[157:158], -v[149:150]
	ds_read_b128 v[137:140], v1 offset:1680
	v_fma_f64 v[157:158], v[4:5], v[157:158], v[214:215]
	v_add_f64 v[145:146], v[200:201], v[145:146]
	v_add_f64 v[6:7], v[6:7], v[155:156]
	s_clause 0x4
	buffer_load_dword v156, off, s[0:3], 0 offset:940
	buffer_load_dword v200, off, s[0:3], 0 offset:952
	buffer_load_dword v215, off, s[0:3], 0 offset:944
	buffer_load_dword v155, off, s[0:3], 0 offset:936
	buffer_load_dword v214, off, s[0:3], 0 offset:916
	ds_read_b128 v[2:5], v1 offset:1696
	s_waitcnt vmcnt(57) lgkmcnt(1)
	v_mul_f64 v[216:217], v[137:138], v[159:160]
	v_mul_f64 v[159:160], v[139:140], v[159:160]
	s_waitcnt vmcnt(56)
	v_fma_f64 v[151:152], v[133:134], v[153:154], -v[151:152]
	v_add_f64 v[145:146], v[145:146], v[149:150]
	v_fma_f64 v[149:150], v[135:136], v[153:154], v[210:211]
	v_add_f64 v[6:7], v[6:7], v[157:158]
	s_clause 0x2
	buffer_load_dword v201, off, s[0:3], 0 offset:956
	buffer_load_dword v154, off, s[0:3], 0 offset:932
	;; [unrolled: 1-line block ×3, first 2 shown]
	s_waitcnt vmcnt(58) lgkmcnt(0)
	v_mul_f64 v[157:158], v[2:3], v[161:162]
	v_mul_f64 v[161:162], v[4:5], v[161:162]
	s_waitcnt vmcnt(56)
	v_fma_f64 v[159:160], v[137:138], v[165:166], -v[159:160]
	ds_read_b128 v[133:136], v1 offset:1712
	v_add_f64 v[145:146], v[145:146], v[151:152]
	v_fma_f64 v[151:152], v[139:140], v[165:166], v[216:217]
	v_add_f64 v[6:7], v[6:7], v[149:150]
	s_clause 0x4
	buffer_load_dword v150, off, s[0:3], 0 offset:972
	buffer_load_dword v165, off, s[0:3], 0 offset:984
	;; [unrolled: 1-line block ×5, first 2 shown]
	ds_read_b128 v[137:140], v1 offset:1728
	s_waitcnt vmcnt(57) lgkmcnt(1)
	v_mul_f64 v[211:212], v[133:134], v[167:168]
	v_mul_f64 v[167:168], v[135:136], v[167:168]
	s_waitcnt vmcnt(56)
	v_fma_f64 v[161:162], v[2:3], v[163:164], -v[161:162]
	v_fma_f64 v[157:158], v[4:5], v[163:164], v[157:158]
	v_add_f64 v[145:146], v[145:146], v[159:160]
	v_add_f64 v[6:7], v[6:7], v[151:152]
	s_clause 0x2
	buffer_load_dword v166, off, s[0:3], 0 offset:988
	buffer_load_dword v152, off, s[0:3], 0 offset:964
	;; [unrolled: 1-line block ×3, first 2 shown]
	s_waitcnt vmcnt(58) lgkmcnt(0)
	v_mul_f64 v[163:164], v[139:140], v[169:170]
	ds_read_b128 v[2:5], v1 offset:1744
	s_waitcnt vmcnt(56)
	v_fma_f64 v[167:168], v[133:134], v[173:174], -v[167:168]
	v_mul_f64 v[159:160], v[137:138], v[169:170]
	v_add_f64 v[145:146], v[145:146], v[161:162]
	v_fma_f64 v[161:162], v[135:136], v[173:174], v[211:212]
	v_add_f64 v[6:7], v[6:7], v[157:158]
	s_clause 0x2
	buffer_load_dword v158, off, s[0:3], 0 offset:1004
	buffer_load_dword v157, off, s[0:3], 0 offset:1000
	;; [unrolled: 1-line block ×3, first 2 shown]
	s_waitcnt vmcnt(55) lgkmcnt(0)
	v_mul_f64 v[173:174], v[4:5], v[175:176]
	s_waitcnt vmcnt(54)
	v_fma_f64 v[163:164], v[137:138], v[171:172], -v[163:164]
	ds_read_b128 v[133:136], v1 offset:1760
	v_mul_f64 v[169:170], v[2:3], v[175:176]
	v_fma_f64 v[159:160], v[139:140], v[171:172], v[159:160]
	v_add_f64 v[145:146], v[145:146], v[167:168]
	v_add_f64 v[6:7], v[6:7], v[161:162]
	s_clause 0x1
	buffer_load_dword v162, off, s[0:3], 0 offset:996
	buffer_load_dword v161, off, s[0:3], 0 offset:992
	s_waitcnt vmcnt(55) lgkmcnt(0)
	v_mul_f64 v[171:172], v[135:136], v[177:178]
	s_waitcnt vmcnt(53)
	v_fma_f64 v[173:174], v[2:3], v[181:182], -v[173:174]
	ds_read_b128 v[137:140], v1 offset:1776
	v_mul_f64 v[167:168], v[133:134], v[177:178]
	v_add_f64 v[145:146], v[145:146], v[163:164]
	v_fma_f64 v[163:164], v[4:5], v[181:182], v[169:170]
	v_add_f64 v[6:7], v[6:7], v[159:160]
	ds_read_b128 v[2:5], v1 offset:1792
	s_waitcnt vmcnt(49) lgkmcnt(1)
	v_mul_f64 v[169:170], v[139:140], v[183:184]
	s_waitcnt vmcnt(48)
	v_fma_f64 v[171:172], v[133:134], v[179:180], -v[171:172]
	v_mul_f64 v[159:160], v[137:138], v[183:184]
	v_fma_f64 v[167:168], v[135:136], v[179:180], v[167:168]
	v_add_f64 v[145:146], v[145:146], v[173:174]
	s_waitcnt vmcnt(47) lgkmcnt(0)
	v_mul_f64 v[177:178], v[4:5], v[185:186]
	v_add_f64 v[6:7], v[6:7], v[163:164]
	s_clause 0x3
	buffer_load_dword v163, off, s[0:3], 0 offset:608
	buffer_load_dword v164, off, s[0:3], 0 offset:612
	;; [unrolled: 1-line block ×4, first 2 shown]
	s_waitcnt vmcnt(49)
	v_fma_f64 v[169:170], v[137:138], v[189:190], -v[169:170]
	ds_read_b128 v[133:136], v1 offset:1808
	v_mul_f64 v[175:176], v[2:3], v[185:186]
	v_fma_f64 v[159:160], v[139:140], v[189:190], v[159:160]
	ds_read_b128 v[137:140], v1 offset:1824
	v_add_f64 v[145:146], v[145:146], v[171:172]
	s_waitcnt vmcnt(44)
	v_fma_f64 v[177:178], v[2:3], v[187:188], -v[177:178]
	v_add_f64 v[6:7], v[6:7], v[167:168]
	s_waitcnt lgkmcnt(1)
	v_mul_f64 v[171:172], v[135:136], v[191:192]
	v_mul_f64 v[167:168], v[133:134], v[191:192]
	v_add_f64 v[145:146], v[145:146], v[169:170]
	v_fma_f64 v[169:170], v[4:5], v[187:188], v[175:176]
	v_add_f64 v[6:7], v[6:7], v[159:160]
	s_waitcnt vmcnt(43) lgkmcnt(0)
	v_mul_f64 v[175:176], v[139:140], v[194:195]
	s_waitcnt vmcnt(41)
	v_fma_f64 v[171:172], v[133:134], v[198:199], -v[171:172]
	ds_read_b128 v[2:5], v1 offset:1840
	v_mul_f64 v[159:160], v[137:138], v[194:195]
	v_fma_f64 v[167:168], v[135:136], v[198:199], v[167:168]
	ds_read_b128 v[133:136], v1 offset:1856
	v_add_f64 v[145:146], v[145:146], v[177:178]
	v_add_f64 v[6:7], v[6:7], v[169:170]
	s_waitcnt vmcnt(37) lgkmcnt(1)
	v_mul_f64 v[177:178], v[4:5], v[202:203]
	s_waitcnt vmcnt(36)
	v_fma_f64 v[175:176], v[137:138], v[196:197], -v[175:176]
	v_mul_f64 v[169:170], v[2:3], v[202:203]
	v_fma_f64 v[159:160], v[139:140], v[196:197], v[159:160]
	ds_read_b128 v[137:140], v1 offset:1872
	v_add_f64 v[145:146], v[145:146], v[171:172]
	v_add_f64 v[6:7], v[6:7], v[167:168]
	s_waitcnt vmcnt(35) lgkmcnt(1)
	v_mul_f64 v[171:172], v[135:136], v[204:205]
	v_mul_f64 v[167:168], v[133:134], v[204:205]
	s_waitcnt vmcnt(33)
	v_fma_f64 v[177:178], v[2:3], v[143:144], -v[177:178]
	v_fma_f64 v[143:144], v[4:5], v[143:144], v[169:170]
	ds_read_b128 v[2:5], v1 offset:1888
	v_add_f64 v[145:146], v[145:146], v[175:176]
	v_add_f64 v[6:7], v[6:7], v[159:160]
	s_waitcnt vmcnt(29) lgkmcnt(1)
	v_mul_f64 v[159:160], v[137:138], v[147:148]
	v_mul_f64 v[147:148], v[139:140], v[147:148]
	s_waitcnt vmcnt(28)
	v_fma_f64 v[169:170], v[133:134], v[206:207], -v[171:172]
	;; [unrolled: 9-line block ×7, first 2 shown]
	v_fma_f64 v[3:4], v[4:5], v[151:152], v[143:144]
	v_add_f64 v[145:146], v[145:146], v[147:148]
	v_add_f64 v[5:6], v[6:7], v[141:142]
	s_waitcnt vmcnt(7) lgkmcnt(0)
	v_mul_f64 v[141:142], v[139:140], v[157:158]
	s_waitcnt vmcnt(6)
	v_fma_f64 v[133:134], v[133:134], v[210:211], -v[155:156]
	v_mul_f64 v[7:8], v[137:138], v[157:158]
	v_fma_f64 v[135:136], v[135:136], v[210:211], v[153:154]
	v_add_f64 v[1:2], v[145:146], v[1:2]
	v_add_f64 v[3:4], v[5:6], v[3:4]
	s_waitcnt vmcnt(4)
	v_fma_f64 v[5:6], v[137:138], v[161:162], -v[141:142]
	v_fma_f64 v[7:8], v[139:140], v[161:162], v[7:8]
	v_add_f64 v[1:2], v[1:2], v[133:134]
	v_add_f64 v[3:4], v[3:4], v[135:136]
	;; [unrolled: 1-line block ×4, first 2 shown]
	s_waitcnt vmcnt(2)
	v_add_f64 v[1:2], v[163:164], -v[1:2]
	s_waitcnt vmcnt(0)
	v_add_f64 v[3:4], v[173:174], -v[3:4]
	buffer_store_dword v2, off, s[0:3], 0 offset:612
	buffer_store_dword v1, off, s[0:3], 0 offset:608
	;; [unrolled: 1-line block ×4, first 2 shown]
	v_cmpx_lt_u32_e32 36, v0
	s_cbranch_execz .LBB125_325
; %bb.324:
	v_mov_b32_e32 v4, s40
	v_mov_b32_e32 v5, 0
	s_clause 0x3
	buffer_load_dword v1, v4, s[0:3], 0 offen
	buffer_load_dword v2, v4, s[0:3], 0 offen offset:4
	buffer_load_dword v3, v4, s[0:3], 0 offen offset:8
	;; [unrolled: 1-line block ×3, first 2 shown]
	buffer_store_dword v5, off, s[0:3], 0 offset:592
	buffer_store_dword v5, off, s[0:3], 0 offset:596
	;; [unrolled: 1-line block ×4, first 2 shown]
	s_waitcnt vmcnt(0)
	ds_write_b128 v193, v[1:4]
.LBB125_325:
	s_or_b32 exec_lo, exec_lo, s4
	s_waitcnt lgkmcnt(0)
	s_waitcnt_vscnt null, 0x0
	s_barrier
	buffer_gl0_inv
	s_clause 0x37
	buffer_load_dword v6, off, s[0:3], 0 offset:616
	buffer_load_dword v7, off, s[0:3], 0 offset:620
	;; [unrolled: 1-line block ×56, first 2 shown]
	v_mov_b32_e32 v1, 0
	s_mov_b32 s4, exec_lo
	ds_read_b128 v[2:5], v1 offset:1584
	s_clause 0x2
	buffer_load_dword v195, off, s[0:3], 0 offset:844
	buffer_load_dword v199, off, s[0:3], 0 offset:820
	;; [unrolled: 1-line block ×3, first 2 shown]
	ds_read_b128 v[133:136], v1 offset:1600
	s_clause 0x4
	buffer_load_dword v203, off, s[0:3], 0 offset:860
	buffer_load_dword v204, off, s[0:3], 0 offset:872
	;; [unrolled: 1-line block ×5, first 2 shown]
	ds_read_b128 v[137:140], v1 offset:1616
	s_waitcnt vmcnt(62) lgkmcnt(2)
	v_mul_f64 v[200:201], v[4:5], v[6:7]
	v_mul_f64 v[6:7], v[2:3], v[6:7]
	s_waitcnt vmcnt(60) lgkmcnt(1)
	v_mul_f64 v[207:208], v[135:136], v[141:142]
	v_mul_f64 v[141:142], v[133:134], v[141:142]
	;; [unrolled: 3-line block ×3, first 2 shown]
	v_fma_f64 v[200:201], v[2:3], v[143:144], -v[200:201]
	v_fma_f64 v[6:7], v[4:5], v[143:144], v[6:7]
	s_clause 0x2
	buffer_load_dword v205, off, s[0:3], 0 offset:876
	buffer_load_dword v144, off, s[0:3], 0 offset:852
	buffer_load_dword v143, off, s[0:3], 0 offset:848
	s_waitcnt vmcnt(57)
	v_fma_f64 v[211:212], v[133:134], v[147:148], -v[207:208]
	ds_read_b128 v[2:5], v1 offset:1632
	v_fma_f64 v[141:142], v[135:136], v[147:148], v[141:142]
	s_clause 0x4
	buffer_load_dword v148, off, s[0:3], 0 offset:892
	buffer_load_dword v208, off, s[0:3], 0 offset:904
	buffer_load_dword v213, off, s[0:3], 0 offset:896
	buffer_load_dword v147, off, s[0:3], 0 offset:888
	buffer_load_dword v207, off, s[0:3], 0 offset:868
	s_waitcnt vmcnt(56)
	v_fma_f64 v[145:146], v[137:138], v[155:156], -v[145:146]
	ds_read_b128 v[133:136], v1 offset:1648
	v_fma_f64 v[155:156], v[139:140], v[155:156], v[209:210]
	v_add_f64 v[200:201], v[200:201], 0
	v_add_f64 v[6:7], v[6:7], 0
	s_waitcnt lgkmcnt(1)
	v_mul_f64 v[214:215], v[2:3], v[149:150]
	v_mul_f64 v[149:150], v[4:5], v[149:150]
	v_add_f64 v[200:201], v[200:201], v[211:212]
	v_add_f64 v[6:7], v[6:7], v[141:142]
	s_clause 0x2
	buffer_load_dword v209, off, s[0:3], 0 offset:908
	buffer_load_dword v142, off, s[0:3], 0 offset:884
	;; [unrolled: 1-line block ×3, first 2 shown]
	s_waitcnt vmcnt(58) lgkmcnt(0)
	v_mul_f64 v[210:211], v[133:134], v[151:152]
	v_mul_f64 v[151:152], v[135:136], v[151:152]
	s_waitcnt vmcnt(56)
	v_fma_f64 v[149:150], v[2:3], v[157:158], -v[149:150]
	ds_read_b128 v[137:140], v1 offset:1664
	v_fma_f64 v[157:158], v[4:5], v[157:158], v[214:215]
	v_add_f64 v[145:146], v[200:201], v[145:146]
	v_add_f64 v[6:7], v[6:7], v[155:156]
	s_clause 0x4
	buffer_load_dword v156, off, s[0:3], 0 offset:924
	buffer_load_dword v200, off, s[0:3], 0 offset:936
	;; [unrolled: 1-line block ×5, first 2 shown]
	ds_read_b128 v[2:5], v1 offset:1680
	s_waitcnt vmcnt(57) lgkmcnt(1)
	v_mul_f64 v[216:217], v[137:138], v[159:160]
	v_mul_f64 v[159:160], v[139:140], v[159:160]
	s_waitcnt vmcnt(56)
	v_fma_f64 v[151:152], v[133:134], v[153:154], -v[151:152]
	v_add_f64 v[145:146], v[145:146], v[149:150]
	v_fma_f64 v[149:150], v[135:136], v[153:154], v[210:211]
	v_add_f64 v[6:7], v[6:7], v[157:158]
	s_clause 0x2
	buffer_load_dword v201, off, s[0:3], 0 offset:940
	buffer_load_dword v154, off, s[0:3], 0 offset:916
	;; [unrolled: 1-line block ×3, first 2 shown]
	s_waitcnt vmcnt(58) lgkmcnt(0)
	v_mul_f64 v[157:158], v[2:3], v[161:162]
	v_mul_f64 v[161:162], v[4:5], v[161:162]
	s_waitcnt vmcnt(56)
	v_fma_f64 v[159:160], v[137:138], v[165:166], -v[159:160]
	ds_read_b128 v[133:136], v1 offset:1696
	v_add_f64 v[145:146], v[145:146], v[151:152]
	v_fma_f64 v[151:152], v[139:140], v[165:166], v[216:217]
	v_add_f64 v[6:7], v[6:7], v[149:150]
	s_clause 0x4
	buffer_load_dword v150, off, s[0:3], 0 offset:956
	buffer_load_dword v165, off, s[0:3], 0 offset:968
	;; [unrolled: 1-line block ×5, first 2 shown]
	ds_read_b128 v[137:140], v1 offset:1712
	s_waitcnt vmcnt(57) lgkmcnt(1)
	v_mul_f64 v[211:212], v[133:134], v[167:168]
	v_mul_f64 v[167:168], v[135:136], v[167:168]
	s_waitcnt vmcnt(56)
	v_fma_f64 v[161:162], v[2:3], v[163:164], -v[161:162]
	v_fma_f64 v[157:158], v[4:5], v[163:164], v[157:158]
	v_add_f64 v[145:146], v[145:146], v[159:160]
	v_add_f64 v[6:7], v[6:7], v[151:152]
	s_clause 0x2
	buffer_load_dword v166, off, s[0:3], 0 offset:972
	buffer_load_dword v152, off, s[0:3], 0 offset:948
	buffer_load_dword v151, off, s[0:3], 0 offset:944
	s_waitcnt vmcnt(58) lgkmcnt(0)
	v_mul_f64 v[163:164], v[139:140], v[169:170]
	ds_read_b128 v[2:5], v1 offset:1728
	s_waitcnt vmcnt(56)
	v_fma_f64 v[167:168], v[133:134], v[173:174], -v[167:168]
	v_mul_f64 v[159:160], v[137:138], v[169:170]
	v_add_f64 v[145:146], v[145:146], v[161:162]
	v_fma_f64 v[161:162], v[135:136], v[173:174], v[211:212]
	v_add_f64 v[6:7], v[6:7], v[157:158]
	s_clause 0x4
	buffer_load_dword v158, off, s[0:3], 0 offset:988
	buffer_load_dword v169, off, s[0:3], 0 offset:1000
	;; [unrolled: 1-line block ×5, first 2 shown]
	s_waitcnt vmcnt(57) lgkmcnt(0)
	v_mul_f64 v[217:218], v[2:3], v[175:176]
	v_mul_f64 v[174:175], v[4:5], v[175:176]
	s_waitcnt vmcnt(56)
	v_fma_f64 v[163:164], v[137:138], v[171:172], -v[163:164]
	ds_read_b128 v[133:136], v1 offset:1744
	v_fma_f64 v[159:160], v[139:140], v[171:172], v[159:160]
	v_add_f64 v[145:146], v[145:146], v[167:168]
	v_add_f64 v[6:7], v[6:7], v[161:162]
	s_clause 0x2
	buffer_load_dword v170, off, s[0:3], 0 offset:1004
	buffer_load_dword v162, off, s[0:3], 0 offset:980
	;; [unrolled: 1-line block ×3, first 2 shown]
	ds_read_b128 v[137:140], v1 offset:1760
	s_waitcnt vmcnt(58) lgkmcnt(1)
	v_mul_f64 v[171:172], v[135:136], v[177:178]
	s_waitcnt vmcnt(56)
	v_fma_f64 v[175:176], v[2:3], v[181:182], -v[174:175]
	v_mul_f64 v[167:168], v[133:134], v[177:178]
	buffer_load_dword v174, off, s[0:3], 0 offset:996
	v_add_f64 v[145:146], v[145:146], v[163:164]
	v_fma_f64 v[163:164], v[4:5], v[181:182], v[217:218]
	v_add_f64 v[6:7], v[6:7], v[159:160]
	ds_read_b128 v[2:5], v1 offset:1776
	s_waitcnt vmcnt(53) lgkmcnt(1)
	v_mul_f64 v[177:178], v[139:140], v[183:184]
	s_waitcnt vmcnt(52)
	v_fma_f64 v[171:172], v[133:134], v[179:180], -v[171:172]
	v_mul_f64 v[159:160], v[137:138], v[183:184]
	v_fma_f64 v[167:168], v[135:136], v[179:180], v[167:168]
	ds_read_b128 v[133:136], v1 offset:1792
	v_add_f64 v[145:146], v[145:146], v[175:176]
	s_waitcnt vmcnt(51) lgkmcnt(1)
	v_mul_f64 v[175:176], v[4:5], v[185:186]
	v_add_f64 v[6:7], v[6:7], v[163:164]
	v_mul_f64 v[163:164], v[2:3], v[185:186]
	s_waitcnt vmcnt(49)
	v_fma_f64 v[177:178], v[137:138], v[189:190], -v[177:178]
	v_fma_f64 v[159:160], v[139:140], v[189:190], v[159:160]
	s_waitcnt vmcnt(45) lgkmcnt(0)
	v_mul_f64 v[181:182], v[135:136], v[191:192]
	v_mul_f64 v[179:180], v[133:134], v[191:192]
	v_add_f64 v[145:146], v[145:146], v[171:172]
	s_waitcnt vmcnt(44)
	v_fma_f64 v[175:176], v[2:3], v[187:188], -v[175:176]
	v_add_f64 v[6:7], v[6:7], v[167:168]
	s_clause 0x3
	buffer_load_dword v167, off, s[0:3], 0 offset:592
	buffer_load_dword v168, off, s[0:3], 0 offset:596
	;; [unrolled: 1-line block ×4, first 2 shown]
	ds_read_b128 v[137:140], v1 offset:1808
	v_fma_f64 v[163:164], v[4:5], v[187:188], v[163:164]
	ds_read_b128 v[2:5], v1 offset:1824
	s_waitcnt vmcnt(45)
	v_fma_f64 v[181:182], v[133:134], v[198:199], -v[181:182]
	v_add_f64 v[145:146], v[145:146], v[177:178]
	v_add_f64 v[6:7], v[6:7], v[159:160]
	s_waitcnt lgkmcnt(1)
	v_mul_f64 v[177:178], v[139:140], v[194:195]
	v_mul_f64 v[159:160], v[137:138], v[194:195]
	v_add_f64 v[145:146], v[145:146], v[175:176]
	v_fma_f64 v[175:176], v[135:136], v[198:199], v[179:180]
	v_add_f64 v[6:7], v[6:7], v[163:164]
	s_waitcnt vmcnt(41) lgkmcnt(0)
	v_mul_f64 v[179:180], v[4:5], v[202:203]
	s_waitcnt vmcnt(40)
	v_fma_f64 v[177:178], v[137:138], v[196:197], -v[177:178]
	ds_read_b128 v[133:136], v1 offset:1840
	v_mul_f64 v[163:164], v[2:3], v[202:203]
	v_fma_f64 v[159:160], v[139:140], v[196:197], v[159:160]
	ds_read_b128 v[137:140], v1 offset:1856
	v_add_f64 v[145:146], v[145:146], v[181:182]
	v_add_f64 v[6:7], v[6:7], v[175:176]
	s_waitcnt vmcnt(39) lgkmcnt(1)
	v_mul_f64 v[181:182], v[135:136], v[204:205]
	v_mul_f64 v[175:176], v[133:134], v[204:205]
	s_waitcnt vmcnt(37)
	v_fma_f64 v[179:180], v[2:3], v[143:144], -v[179:180]
	v_fma_f64 v[143:144], v[4:5], v[143:144], v[163:164]
	ds_read_b128 v[2:5], v1 offset:1872
	v_add_f64 v[145:146], v[145:146], v[177:178]
	v_add_f64 v[6:7], v[6:7], v[159:160]
	s_waitcnt vmcnt(33) lgkmcnt(1)
	v_mul_f64 v[159:160], v[137:138], v[147:148]
	v_mul_f64 v[147:148], v[139:140], v[147:148]
	s_waitcnt vmcnt(32)
	v_fma_f64 v[163:164], v[133:134], v[206:207], -v[181:182]
	;; [unrolled: 9-line block ×7, first 2 shown]
	v_fma_f64 v[143:144], v[4:5], v[151:152], v[143:144]
	ds_read_b128 v[2:5], v1 offset:1968
	v_add_f64 v[145:146], v[145:146], v[147:148]
	v_add_f64 v[6:7], v[6:7], v[141:142]
	s_waitcnt vmcnt(9) lgkmcnt(1)
	v_mul_f64 v[147:148], v[139:140], v[157:158]
	s_waitcnt vmcnt(8)
	v_fma_f64 v[133:134], v[133:134], v[210:211], -v[155:156]
	v_mul_f64 v[141:142], v[137:138], v[157:158]
	v_fma_f64 v[135:136], v[135:136], v[210:211], v[153:154]
	v_add_f64 v[145:146], v[145:146], v[149:150]
	v_add_f64 v[6:7], v[6:7], v[143:144]
	s_waitcnt vmcnt(7) lgkmcnt(0)
	v_mul_f64 v[149:150], v[4:5], v[169:170]
	v_mul_f64 v[143:144], v[2:3], v[169:170]
	s_waitcnt vmcnt(5)
	v_fma_f64 v[137:138], v[137:138], v[161:162], -v[147:148]
	v_fma_f64 v[139:140], v[139:140], v[161:162], v[141:142]
	v_add_f64 v[133:134], v[145:146], v[133:134]
	v_add_f64 v[6:7], v[6:7], v[135:136]
	s_waitcnt vmcnt(4)
	v_fma_f64 v[2:3], v[2:3], v[173:174], -v[149:150]
	v_fma_f64 v[4:5], v[4:5], v[173:174], v[143:144]
	v_add_f64 v[133:134], v[133:134], v[137:138]
	v_add_f64 v[6:7], v[6:7], v[139:140]
	;; [unrolled: 1-line block ×4, first 2 shown]
	s_waitcnt vmcnt(2)
	v_add_f64 v[2:3], v[167:168], -v[2:3]
	s_waitcnt vmcnt(0)
	v_add_f64 v[4:5], v[171:172], -v[4:5]
	buffer_store_dword v3, off, s[0:3], 0 offset:596
	buffer_store_dword v2, off, s[0:3], 0 offset:592
	;; [unrolled: 1-line block ×4, first 2 shown]
	v_cmpx_lt_u32_e32 35, v0
	s_cbranch_execz .LBB125_327
; %bb.326:
	v_mov_b32_e32 v5, s41
	s_clause 0x3
	buffer_load_dword v2, v5, s[0:3], 0 offen
	buffer_load_dword v3, v5, s[0:3], 0 offen offset:4
	buffer_load_dword v4, v5, s[0:3], 0 offen offset:8
	;; [unrolled: 1-line block ×3, first 2 shown]
	buffer_store_dword v1, off, s[0:3], 0 offset:576
	buffer_store_dword v1, off, s[0:3], 0 offset:580
	;; [unrolled: 1-line block ×4, first 2 shown]
	s_waitcnt vmcnt(0)
	ds_write_b128 v193, v[2:5]
.LBB125_327:
	s_or_b32 exec_lo, exec_lo, s4
	s_waitcnt lgkmcnt(0)
	s_waitcnt_vscnt null, 0x0
	s_barrier
	buffer_gl0_inv
	s_clause 0x37
	buffer_load_dword v6, off, s[0:3], 0 offset:600
	buffer_load_dword v7, off, s[0:3], 0 offset:604
	;; [unrolled: 1-line block ×56, first 2 shown]
	ds_read_b128 v[2:5], v1 offset:1568
	s_clause 0x2
	buffer_load_dword v195, off, s[0:3], 0 offset:828
	buffer_load_dword v199, off, s[0:3], 0 offset:804
	;; [unrolled: 1-line block ×3, first 2 shown]
	ds_read_b128 v[133:136], v1 offset:1584
	s_clause 0x4
	buffer_load_dword v203, off, s[0:3], 0 offset:844
	buffer_load_dword v204, off, s[0:3], 0 offset:856
	;; [unrolled: 1-line block ×5, first 2 shown]
	ds_read_b128 v[137:140], v1 offset:1600
	s_mov_b32 s4, exec_lo
	s_waitcnt vmcnt(62) lgkmcnt(2)
	v_mul_f64 v[200:201], v[4:5], v[6:7]
	v_mul_f64 v[6:7], v[2:3], v[6:7]
	s_waitcnt vmcnt(60) lgkmcnt(1)
	v_mul_f64 v[207:208], v[135:136], v[141:142]
	v_mul_f64 v[141:142], v[133:134], v[141:142]
	;; [unrolled: 3-line block ×3, first 2 shown]
	v_fma_f64 v[200:201], v[2:3], v[143:144], -v[200:201]
	v_fma_f64 v[6:7], v[4:5], v[143:144], v[6:7]
	s_clause 0x2
	buffer_load_dword v205, off, s[0:3], 0 offset:860
	buffer_load_dword v144, off, s[0:3], 0 offset:836
	;; [unrolled: 1-line block ×3, first 2 shown]
	s_waitcnt vmcnt(57)
	v_fma_f64 v[211:212], v[133:134], v[147:148], -v[207:208]
	ds_read_b128 v[2:5], v1 offset:1616
	v_fma_f64 v[141:142], v[135:136], v[147:148], v[141:142]
	s_clause 0x4
	buffer_load_dword v148, off, s[0:3], 0 offset:876
	buffer_load_dword v208, off, s[0:3], 0 offset:888
	buffer_load_dword v213, off, s[0:3], 0 offset:880
	buffer_load_dword v147, off, s[0:3], 0 offset:872
	buffer_load_dword v207, off, s[0:3], 0 offset:852
	s_waitcnt vmcnt(56)
	v_fma_f64 v[145:146], v[137:138], v[155:156], -v[145:146]
	ds_read_b128 v[133:136], v1 offset:1632
	v_fma_f64 v[155:156], v[139:140], v[155:156], v[209:210]
	v_add_f64 v[200:201], v[200:201], 0
	v_add_f64 v[6:7], v[6:7], 0
	s_waitcnt lgkmcnt(1)
	v_mul_f64 v[214:215], v[2:3], v[149:150]
	v_mul_f64 v[149:150], v[4:5], v[149:150]
	v_add_f64 v[200:201], v[200:201], v[211:212]
	v_add_f64 v[6:7], v[6:7], v[141:142]
	s_clause 0x2
	buffer_load_dword v209, off, s[0:3], 0 offset:892
	buffer_load_dword v142, off, s[0:3], 0 offset:868
	buffer_load_dword v141, off, s[0:3], 0 offset:864
	s_waitcnt vmcnt(58) lgkmcnt(0)
	v_mul_f64 v[210:211], v[133:134], v[151:152]
	v_mul_f64 v[151:152], v[135:136], v[151:152]
	s_waitcnt vmcnt(56)
	v_fma_f64 v[149:150], v[2:3], v[157:158], -v[149:150]
	ds_read_b128 v[137:140], v1 offset:1648
	v_fma_f64 v[157:158], v[4:5], v[157:158], v[214:215]
	v_add_f64 v[145:146], v[200:201], v[145:146]
	v_add_f64 v[6:7], v[6:7], v[155:156]
	s_clause 0x4
	buffer_load_dword v156, off, s[0:3], 0 offset:908
	buffer_load_dword v200, off, s[0:3], 0 offset:920
	;; [unrolled: 1-line block ×5, first 2 shown]
	ds_read_b128 v[2:5], v1 offset:1664
	s_waitcnt vmcnt(57) lgkmcnt(1)
	v_mul_f64 v[216:217], v[137:138], v[159:160]
	v_mul_f64 v[159:160], v[139:140], v[159:160]
	s_waitcnt vmcnt(56)
	v_fma_f64 v[151:152], v[133:134], v[153:154], -v[151:152]
	v_add_f64 v[145:146], v[145:146], v[149:150]
	v_fma_f64 v[149:150], v[135:136], v[153:154], v[210:211]
	v_add_f64 v[6:7], v[6:7], v[157:158]
	s_clause 0x2
	buffer_load_dword v201, off, s[0:3], 0 offset:924
	buffer_load_dword v154, off, s[0:3], 0 offset:900
	;; [unrolled: 1-line block ×3, first 2 shown]
	s_waitcnt vmcnt(58) lgkmcnt(0)
	v_mul_f64 v[157:158], v[2:3], v[161:162]
	v_mul_f64 v[161:162], v[4:5], v[161:162]
	s_waitcnt vmcnt(56)
	v_fma_f64 v[159:160], v[137:138], v[165:166], -v[159:160]
	ds_read_b128 v[133:136], v1 offset:1680
	v_add_f64 v[145:146], v[145:146], v[151:152]
	v_fma_f64 v[151:152], v[139:140], v[165:166], v[216:217]
	v_add_f64 v[6:7], v[6:7], v[149:150]
	s_clause 0x4
	buffer_load_dword v150, off, s[0:3], 0 offset:940
	buffer_load_dword v165, off, s[0:3], 0 offset:952
	;; [unrolled: 1-line block ×5, first 2 shown]
	ds_read_b128 v[137:140], v1 offset:1696
	s_waitcnt vmcnt(57) lgkmcnt(1)
	v_mul_f64 v[211:212], v[133:134], v[167:168]
	v_mul_f64 v[167:168], v[135:136], v[167:168]
	s_waitcnt vmcnt(56)
	v_fma_f64 v[161:162], v[2:3], v[163:164], -v[161:162]
	v_fma_f64 v[157:158], v[4:5], v[163:164], v[157:158]
	v_add_f64 v[145:146], v[145:146], v[159:160]
	v_add_f64 v[6:7], v[6:7], v[151:152]
	s_clause 0x2
	buffer_load_dword v166, off, s[0:3], 0 offset:956
	buffer_load_dword v152, off, s[0:3], 0 offset:932
	;; [unrolled: 1-line block ×3, first 2 shown]
	s_waitcnt vmcnt(58) lgkmcnt(0)
	v_mul_f64 v[163:164], v[139:140], v[169:170]
	ds_read_b128 v[2:5], v1 offset:1712
	s_waitcnt vmcnt(56)
	v_fma_f64 v[167:168], v[133:134], v[173:174], -v[167:168]
	v_mul_f64 v[159:160], v[137:138], v[169:170]
	v_add_f64 v[145:146], v[145:146], v[161:162]
	v_fma_f64 v[161:162], v[135:136], v[173:174], v[211:212]
	v_add_f64 v[6:7], v[6:7], v[157:158]
	s_clause 0x4
	buffer_load_dword v158, off, s[0:3], 0 offset:972
	buffer_load_dword v169, off, s[0:3], 0 offset:984
	;; [unrolled: 1-line block ×5, first 2 shown]
	s_waitcnt vmcnt(57) lgkmcnt(0)
	v_mul_f64 v[217:218], v[2:3], v[175:176]
	v_mul_f64 v[174:175], v[4:5], v[175:176]
	s_waitcnt vmcnt(56)
	v_fma_f64 v[163:164], v[137:138], v[171:172], -v[163:164]
	ds_read_b128 v[133:136], v1 offset:1728
	v_fma_f64 v[159:160], v[139:140], v[171:172], v[159:160]
	v_add_f64 v[145:146], v[145:146], v[167:168]
	v_add_f64 v[6:7], v[6:7], v[161:162]
	s_clause 0x2
	buffer_load_dword v170, off, s[0:3], 0 offset:988
	buffer_load_dword v162, off, s[0:3], 0 offset:964
	;; [unrolled: 1-line block ×3, first 2 shown]
	ds_read_b128 v[137:140], v1 offset:1744
	s_waitcnt vmcnt(58) lgkmcnt(1)
	v_mul_f64 v[171:172], v[135:136], v[177:178]
	s_waitcnt vmcnt(56)
	v_fma_f64 v[175:176], v[2:3], v[181:182], -v[174:175]
	v_mul_f64 v[167:168], v[133:134], v[177:178]
	v_add_f64 v[145:146], v[145:146], v[163:164]
	v_fma_f64 v[163:164], v[4:5], v[181:182], v[217:218]
	v_add_f64 v[6:7], v[6:7], v[159:160]
	s_clause 0x2
	buffer_load_dword v160, off, s[0:3], 0 offset:1004
	buffer_load_dword v159, off, s[0:3], 0 offset:1000
	;; [unrolled: 1-line block ×3, first 2 shown]
	s_waitcnt vmcnt(55) lgkmcnt(0)
	v_mul_f64 v[181:182], v[139:140], v[183:184]
	s_waitcnt vmcnt(54)
	v_fma_f64 v[171:172], v[133:134], v[179:180], -v[171:172]
	ds_read_b128 v[2:5], v1 offset:1760
	v_mul_f64 v[177:178], v[137:138], v[183:184]
	v_fma_f64 v[167:168], v[135:136], v[179:180], v[167:168]
	v_add_f64 v[145:146], v[145:146], v[175:176]
	v_add_f64 v[6:7], v[6:7], v[163:164]
	s_clause 0x1
	buffer_load_dword v164, off, s[0:3], 0 offset:996
	buffer_load_dword v163, off, s[0:3], 0 offset:992
	s_waitcnt vmcnt(55) lgkmcnt(0)
	v_mul_f64 v[179:180], v[4:5], v[185:186]
	s_waitcnt vmcnt(53)
	v_fma_f64 v[181:182], v[137:138], v[189:190], -v[181:182]
	ds_read_b128 v[133:136], v1 offset:1776
	v_mul_f64 v[175:176], v[2:3], v[185:186]
	v_add_f64 v[145:146], v[145:146], v[171:172]
	v_fma_f64 v[171:172], v[139:140], v[189:190], v[177:178]
	v_add_f64 v[6:7], v[6:7], v[167:168]
	ds_read_b128 v[137:140], v1 offset:1792
	s_waitcnt vmcnt(49) lgkmcnt(1)
	v_mul_f64 v[177:178], v[135:136], v[191:192]
	s_waitcnt vmcnt(48)
	v_fma_f64 v[179:180], v[2:3], v[187:188], -v[179:180]
	v_mul_f64 v[167:168], v[133:134], v[191:192]
	v_fma_f64 v[175:176], v[4:5], v[187:188], v[175:176]
	v_add_f64 v[145:146], v[145:146], v[181:182]
	s_waitcnt vmcnt(47) lgkmcnt(0)
	v_mul_f64 v[185:186], v[139:140], v[194:195]
	v_add_f64 v[6:7], v[6:7], v[171:172]
	s_clause 0x3
	buffer_load_dword v171, off, s[0:3], 0 offset:576
	buffer_load_dword v172, off, s[0:3], 0 offset:580
	;; [unrolled: 1-line block ×4, first 2 shown]
	s_waitcnt vmcnt(49)
	v_fma_f64 v[177:178], v[133:134], v[198:199], -v[177:178]
	ds_read_b128 v[2:5], v1 offset:1808
	v_mul_f64 v[183:184], v[137:138], v[194:195]
	v_fma_f64 v[167:168], v[135:136], v[198:199], v[167:168]
	ds_read_b128 v[133:136], v1 offset:1824
	v_add_f64 v[145:146], v[145:146], v[179:180]
	s_waitcnt vmcnt(44)
	v_fma_f64 v[185:186], v[137:138], v[196:197], -v[185:186]
	v_add_f64 v[6:7], v[6:7], v[175:176]
	s_waitcnt lgkmcnt(1)
	v_mul_f64 v[179:180], v[4:5], v[202:203]
	v_mul_f64 v[175:176], v[2:3], v[202:203]
	v_add_f64 v[145:146], v[145:146], v[177:178]
	v_fma_f64 v[177:178], v[139:140], v[196:197], v[183:184]
	v_add_f64 v[6:7], v[6:7], v[167:168]
	ds_read_b128 v[137:140], v1 offset:1840
	s_waitcnt vmcnt(43) lgkmcnt(1)
	v_mul_f64 v[183:184], v[135:136], v[204:205]
	v_mul_f64 v[167:168], v[133:134], v[204:205]
	s_waitcnt vmcnt(41)
	v_fma_f64 v[179:180], v[2:3], v[143:144], -v[179:180]
	v_fma_f64 v[143:144], v[4:5], v[143:144], v[175:176]
	ds_read_b128 v[2:5], v1 offset:1856
	v_add_f64 v[145:146], v[145:146], v[185:186]
	s_waitcnt vmcnt(37) lgkmcnt(1)
	v_mul_f64 v[175:176], v[137:138], v[147:148]
	v_add_f64 v[6:7], v[6:7], v[177:178]
	v_mul_f64 v[147:148], v[139:140], v[147:148]
	s_waitcnt vmcnt(36)
	v_fma_f64 v[177:178], v[133:134], v[206:207], -v[183:184]
	v_fma_f64 v[167:168], v[135:136], v[206:207], v[167:168]
	ds_read_b128 v[133:136], v1 offset:1872
	v_add_f64 v[145:146], v[145:146], v[179:180]
	v_add_f64 v[6:7], v[6:7], v[143:144]
	s_waitcnt vmcnt(35) lgkmcnt(1)
	v_mul_f64 v[179:180], v[4:5], v[208:209]
	v_mul_f64 v[143:144], v[2:3], v[208:209]
	s_waitcnt vmcnt(33)
	v_fma_f64 v[147:148], v[137:138], v[141:142], -v[147:148]
	v_fma_f64 v[141:142], v[139:140], v[141:142], v[175:176]
	ds_read_b128 v[137:140], v1 offset:1888
	v_add_f64 v[145:146], v[145:146], v[177:178]
	v_add_f64 v[6:7], v[6:7], v[167:168]
	s_waitcnt vmcnt(29) lgkmcnt(1)
	v_mul_f64 v[167:168], v[133:134], v[155:156]
	v_mul_f64 v[155:156], v[135:136], v[155:156]
	s_waitcnt vmcnt(28)
	v_fma_f64 v[175:176], v[2:3], v[213:214], -v[179:180]
	v_fma_f64 v[143:144], v[4:5], v[213:214], v[143:144]
	ds_read_b128 v[2:5], v1 offset:1904
	v_add_f64 v[145:146], v[145:146], v[147:148]
	v_add_f64 v[6:7], v[6:7], v[141:142]
	s_waitcnt vmcnt(27) lgkmcnt(1)
	v_mul_f64 v[147:148], v[139:140], v[200:201]
	v_mul_f64 v[141:142], v[137:138], v[200:201]
	s_waitcnt vmcnt(25)
	v_fma_f64 v[155:156], v[133:134], v[153:154], -v[155:156]
	v_fma_f64 v[153:154], v[135:136], v[153:154], v[167:168]
	ds_read_b128 v[133:136], v1 offset:1920
	v_add_f64 v[145:146], v[145:146], v[175:176]
	v_add_f64 v[6:7], v[6:7], v[143:144]
	s_waitcnt vmcnt(21) lgkmcnt(1)
	v_mul_f64 v[143:144], v[2:3], v[149:150]
	v_mul_f64 v[149:150], v[4:5], v[149:150]
	s_waitcnt vmcnt(20)
	v_fma_f64 v[147:148], v[137:138], v[215:216], -v[147:148]
	v_fma_f64 v[141:142], v[139:140], v[215:216], v[141:142]
	ds_read_b128 v[137:140], v1 offset:1936
	v_add_f64 v[145:146], v[145:146], v[155:156]
	v_add_f64 v[6:7], v[6:7], v[153:154]
	s_waitcnt vmcnt(19) lgkmcnt(1)
	v_mul_f64 v[155:156], v[135:136], v[165:166]
	v_mul_f64 v[153:154], v[133:134], v[165:166]
	s_waitcnt vmcnt(17)
	v_fma_f64 v[149:150], v[2:3], v[151:152], -v[149:150]
	v_fma_f64 v[143:144], v[4:5], v[151:152], v[143:144]
	ds_read_b128 v[2:5], v1 offset:1952
	v_add_f64 v[145:146], v[145:146], v[147:148]
	v_add_f64 v[6:7], v[6:7], v[141:142]
	s_waitcnt vmcnt(13) lgkmcnt(1)
	v_mul_f64 v[147:148], v[139:140], v[157:158]
	s_waitcnt vmcnt(12)
	v_fma_f64 v[151:152], v[133:134], v[210:211], -v[155:156]
	v_mul_f64 v[141:142], v[137:138], v[157:158]
	v_add_f64 v[145:146], v[145:146], v[149:150]
	v_fma_f64 v[149:150], v[135:136], v[210:211], v[153:154]
	v_add_f64 v[6:7], v[6:7], v[143:144]
	ds_read_b128 v[133:136], v1 offset:1968
	s_waitcnt vmcnt(11) lgkmcnt(1)
	v_mul_f64 v[153:154], v[4:5], v[169:170]
	v_mul_f64 v[143:144], v[2:3], v[169:170]
	s_waitcnt vmcnt(9)
	v_fma_f64 v[137:138], v[137:138], v[161:162], -v[147:148]
	v_fma_f64 v[139:140], v[139:140], v[161:162], v[141:142]
	v_add_f64 v[145:146], v[145:146], v[151:152]
	v_add_f64 v[6:7], v[6:7], v[149:150]
	s_waitcnt vmcnt(7) lgkmcnt(0)
	v_mul_f64 v[147:148], v[135:136], v[159:160]
	s_waitcnt vmcnt(6)
	v_fma_f64 v[1:2], v[2:3], v[173:174], -v[153:154]
	v_mul_f64 v[141:142], v[133:134], v[159:160]
	v_fma_f64 v[3:4], v[4:5], v[173:174], v[143:144]
	v_add_f64 v[137:138], v[145:146], v[137:138]
	v_add_f64 v[5:6], v[6:7], v[139:140]
	s_waitcnt vmcnt(4)
	v_fma_f64 v[7:8], v[133:134], v[163:164], -v[147:148]
	v_fma_f64 v[133:134], v[135:136], v[163:164], v[141:142]
	v_add_f64 v[1:2], v[137:138], v[1:2]
	v_add_f64 v[3:4], v[5:6], v[3:4]
	;; [unrolled: 1-line block ×4, first 2 shown]
	s_waitcnt vmcnt(2)
	v_add_f64 v[1:2], v[171:172], -v[1:2]
	s_waitcnt vmcnt(0)
	v_add_f64 v[3:4], v[181:182], -v[3:4]
	buffer_store_dword v2, off, s[0:3], 0 offset:580
	buffer_store_dword v1, off, s[0:3], 0 offset:576
	;; [unrolled: 1-line block ×4, first 2 shown]
	v_cmpx_lt_u32_e32 34, v0
	s_cbranch_execz .LBB125_329
; %bb.328:
	v_mov_b32_e32 v4, s42
	v_mov_b32_e32 v5, 0
	s_clause 0x3
	buffer_load_dword v1, v4, s[0:3], 0 offen
	buffer_load_dword v2, v4, s[0:3], 0 offen offset:4
	buffer_load_dword v3, v4, s[0:3], 0 offen offset:8
	;; [unrolled: 1-line block ×3, first 2 shown]
	buffer_store_dword v5, off, s[0:3], 0 offset:560
	buffer_store_dword v5, off, s[0:3], 0 offset:564
	buffer_store_dword v5, off, s[0:3], 0 offset:568
	buffer_store_dword v5, off, s[0:3], 0 offset:572
	s_waitcnt vmcnt(0)
	ds_write_b128 v193, v[1:4]
.LBB125_329:
	s_or_b32 exec_lo, exec_lo, s4
	s_waitcnt lgkmcnt(0)
	s_waitcnt_vscnt null, 0x0
	s_barrier
	buffer_gl0_inv
	s_clause 0x37
	buffer_load_dword v6, off, s[0:3], 0 offset:584
	buffer_load_dword v7, off, s[0:3], 0 offset:588
	;; [unrolled: 1-line block ×56, first 2 shown]
	v_mov_b32_e32 v1, 0
	s_mov_b32 s4, exec_lo
	ds_read_b128 v[2:5], v1 offset:1552
	s_clause 0x2
	buffer_load_dword v195, off, s[0:3], 0 offset:812
	buffer_load_dword v199, off, s[0:3], 0 offset:788
	buffer_load_dword v198, off, s[0:3], 0 offset:784
	ds_read_b128 v[133:136], v1 offset:1568
	s_clause 0x4
	buffer_load_dword v203, off, s[0:3], 0 offset:828
	buffer_load_dword v204, off, s[0:3], 0 offset:840
	;; [unrolled: 1-line block ×5, first 2 shown]
	ds_read_b128 v[137:140], v1 offset:1584
	s_waitcnt vmcnt(62) lgkmcnt(2)
	v_mul_f64 v[200:201], v[4:5], v[6:7]
	v_mul_f64 v[6:7], v[2:3], v[6:7]
	s_waitcnt vmcnt(60) lgkmcnt(1)
	v_mul_f64 v[207:208], v[135:136], v[141:142]
	v_mul_f64 v[141:142], v[133:134], v[141:142]
	s_waitcnt vmcnt(56) lgkmcnt(0)
	v_mul_f64 v[209:210], v[137:138], v[145:146]
	v_mul_f64 v[145:146], v[139:140], v[145:146]
	v_fma_f64 v[200:201], v[2:3], v[143:144], -v[200:201]
	v_fma_f64 v[6:7], v[4:5], v[143:144], v[6:7]
	s_clause 0x2
	buffer_load_dword v205, off, s[0:3], 0 offset:844
	buffer_load_dword v144, off, s[0:3], 0 offset:820
	;; [unrolled: 1-line block ×3, first 2 shown]
	s_waitcnt vmcnt(57)
	v_fma_f64 v[211:212], v[133:134], v[147:148], -v[207:208]
	ds_read_b128 v[2:5], v1 offset:1600
	v_fma_f64 v[141:142], v[135:136], v[147:148], v[141:142]
	s_clause 0x4
	buffer_load_dword v148, off, s[0:3], 0 offset:860
	buffer_load_dword v208, off, s[0:3], 0 offset:872
	;; [unrolled: 1-line block ×5, first 2 shown]
	s_waitcnt vmcnt(56)
	v_fma_f64 v[145:146], v[137:138], v[155:156], -v[145:146]
	ds_read_b128 v[133:136], v1 offset:1616
	v_fma_f64 v[155:156], v[139:140], v[155:156], v[209:210]
	v_add_f64 v[200:201], v[200:201], 0
	v_add_f64 v[6:7], v[6:7], 0
	s_waitcnt lgkmcnt(1)
	v_mul_f64 v[214:215], v[2:3], v[149:150]
	v_mul_f64 v[149:150], v[4:5], v[149:150]
	v_add_f64 v[200:201], v[200:201], v[211:212]
	v_add_f64 v[6:7], v[6:7], v[141:142]
	s_clause 0x2
	buffer_load_dword v209, off, s[0:3], 0 offset:876
	buffer_load_dword v142, off, s[0:3], 0 offset:852
	;; [unrolled: 1-line block ×3, first 2 shown]
	s_waitcnt vmcnt(58) lgkmcnt(0)
	v_mul_f64 v[210:211], v[133:134], v[151:152]
	v_mul_f64 v[151:152], v[135:136], v[151:152]
	s_waitcnt vmcnt(56)
	v_fma_f64 v[149:150], v[2:3], v[157:158], -v[149:150]
	ds_read_b128 v[137:140], v1 offset:1632
	v_fma_f64 v[157:158], v[4:5], v[157:158], v[214:215]
	v_add_f64 v[145:146], v[200:201], v[145:146]
	v_add_f64 v[6:7], v[6:7], v[155:156]
	s_clause 0x4
	buffer_load_dword v156, off, s[0:3], 0 offset:892
	buffer_load_dword v200, off, s[0:3], 0 offset:904
	;; [unrolled: 1-line block ×5, first 2 shown]
	ds_read_b128 v[2:5], v1 offset:1648
	s_waitcnt vmcnt(57) lgkmcnt(1)
	v_mul_f64 v[216:217], v[137:138], v[159:160]
	v_mul_f64 v[159:160], v[139:140], v[159:160]
	s_waitcnt vmcnt(56)
	v_fma_f64 v[151:152], v[133:134], v[153:154], -v[151:152]
	v_add_f64 v[145:146], v[145:146], v[149:150]
	v_fma_f64 v[149:150], v[135:136], v[153:154], v[210:211]
	v_add_f64 v[6:7], v[6:7], v[157:158]
	s_clause 0x2
	buffer_load_dword v201, off, s[0:3], 0 offset:908
	buffer_load_dword v154, off, s[0:3], 0 offset:884
	;; [unrolled: 1-line block ×3, first 2 shown]
	s_waitcnt vmcnt(58) lgkmcnt(0)
	v_mul_f64 v[157:158], v[2:3], v[161:162]
	v_mul_f64 v[161:162], v[4:5], v[161:162]
	s_waitcnt vmcnt(56)
	v_fma_f64 v[159:160], v[137:138], v[165:166], -v[159:160]
	ds_read_b128 v[133:136], v1 offset:1664
	v_add_f64 v[145:146], v[145:146], v[151:152]
	v_fma_f64 v[151:152], v[139:140], v[165:166], v[216:217]
	v_add_f64 v[6:7], v[6:7], v[149:150]
	s_clause 0x4
	buffer_load_dword v150, off, s[0:3], 0 offset:924
	buffer_load_dword v165, off, s[0:3], 0 offset:936
	;; [unrolled: 1-line block ×5, first 2 shown]
	ds_read_b128 v[137:140], v1 offset:1680
	s_waitcnt vmcnt(57) lgkmcnt(1)
	v_mul_f64 v[211:212], v[133:134], v[167:168]
	v_mul_f64 v[167:168], v[135:136], v[167:168]
	s_waitcnt vmcnt(56)
	v_fma_f64 v[161:162], v[2:3], v[163:164], -v[161:162]
	v_fma_f64 v[157:158], v[4:5], v[163:164], v[157:158]
	v_add_f64 v[145:146], v[145:146], v[159:160]
	v_add_f64 v[6:7], v[6:7], v[151:152]
	s_clause 0x2
	buffer_load_dword v166, off, s[0:3], 0 offset:940
	buffer_load_dword v152, off, s[0:3], 0 offset:916
	;; [unrolled: 1-line block ×3, first 2 shown]
	s_waitcnt vmcnt(58) lgkmcnt(0)
	v_mul_f64 v[163:164], v[139:140], v[169:170]
	ds_read_b128 v[2:5], v1 offset:1696
	s_waitcnt vmcnt(56)
	v_fma_f64 v[167:168], v[133:134], v[173:174], -v[167:168]
	v_mul_f64 v[159:160], v[137:138], v[169:170]
	v_add_f64 v[145:146], v[145:146], v[161:162]
	v_fma_f64 v[161:162], v[135:136], v[173:174], v[211:212]
	v_add_f64 v[6:7], v[6:7], v[157:158]
	s_clause 0x4
	buffer_load_dword v158, off, s[0:3], 0 offset:956
	buffer_load_dword v169, off, s[0:3], 0 offset:968
	;; [unrolled: 1-line block ×5, first 2 shown]
	s_waitcnt vmcnt(57) lgkmcnt(0)
	v_mul_f64 v[217:218], v[2:3], v[175:176]
	v_mul_f64 v[174:175], v[4:5], v[175:176]
	s_waitcnt vmcnt(56)
	v_fma_f64 v[163:164], v[137:138], v[171:172], -v[163:164]
	ds_read_b128 v[133:136], v1 offset:1712
	v_fma_f64 v[159:160], v[139:140], v[171:172], v[159:160]
	v_add_f64 v[145:146], v[145:146], v[167:168]
	v_add_f64 v[6:7], v[6:7], v[161:162]
	s_clause 0x2
	buffer_load_dword v170, off, s[0:3], 0 offset:972
	buffer_load_dword v162, off, s[0:3], 0 offset:948
	;; [unrolled: 1-line block ×3, first 2 shown]
	ds_read_b128 v[137:140], v1 offset:1728
	s_waitcnt vmcnt(58) lgkmcnt(1)
	v_mul_f64 v[171:172], v[135:136], v[177:178]
	s_waitcnt vmcnt(56)
	v_fma_f64 v[175:176], v[2:3], v[181:182], -v[174:175]
	v_mul_f64 v[167:168], v[133:134], v[177:178]
	v_add_f64 v[145:146], v[145:146], v[163:164]
	v_fma_f64 v[163:164], v[4:5], v[181:182], v[217:218]
	v_add_f64 v[6:7], v[6:7], v[159:160]
	s_clause 0x4
	buffer_load_dword v160, off, s[0:3], 0 offset:988
	buffer_load_dword v177, off, s[0:3], 0 offset:1000
	;; [unrolled: 1-line block ×5, first 2 shown]
	s_waitcnt vmcnt(57) lgkmcnt(0)
	v_mul_f64 v[217:218], v[137:138], v[183:184]
	v_mul_f64 v[182:183], v[139:140], v[183:184]
	s_waitcnt vmcnt(56)
	v_fma_f64 v[171:172], v[133:134], v[179:180], -v[171:172]
	ds_read_b128 v[2:5], v1 offset:1744
	v_fma_f64 v[167:168], v[135:136], v[179:180], v[167:168]
	v_add_f64 v[145:146], v[145:146], v[175:176]
	v_add_f64 v[6:7], v[6:7], v[163:164]
	s_clause 0x2
	buffer_load_dword v178, off, s[0:3], 0 offset:1004
	buffer_load_dword v164, off, s[0:3], 0 offset:980
	;; [unrolled: 1-line block ×3, first 2 shown]
	ds_read_b128 v[133:136], v1 offset:1760
	s_waitcnt vmcnt(58) lgkmcnt(1)
	v_mul_f64 v[179:180], v[4:5], v[185:186]
	s_waitcnt vmcnt(56)
	v_fma_f64 v[183:184], v[137:138], v[189:190], -v[182:183]
	v_mul_f64 v[175:176], v[2:3], v[185:186]
	buffer_load_dword v182, off, s[0:3], 0 offset:996
	v_add_f64 v[145:146], v[145:146], v[171:172]
	v_fma_f64 v[171:172], v[139:140], v[189:190], v[217:218]
	v_add_f64 v[6:7], v[6:7], v[167:168]
	ds_read_b128 v[137:140], v1 offset:1776
	s_waitcnt vmcnt(53) lgkmcnt(1)
	v_mul_f64 v[185:186], v[135:136], v[191:192]
	s_waitcnt vmcnt(52)
	v_fma_f64 v[179:180], v[2:3], v[187:188], -v[179:180]
	v_mul_f64 v[167:168], v[133:134], v[191:192]
	v_fma_f64 v[175:176], v[4:5], v[187:188], v[175:176]
	ds_read_b128 v[2:5], v1 offset:1792
	v_add_f64 v[145:146], v[145:146], v[183:184]
	s_waitcnt vmcnt(51) lgkmcnt(1)
	v_mul_f64 v[183:184], v[139:140], v[194:195]
	v_add_f64 v[6:7], v[6:7], v[171:172]
	v_mul_f64 v[171:172], v[137:138], v[194:195]
	s_waitcnt vmcnt(49)
	v_fma_f64 v[185:186], v[133:134], v[198:199], -v[185:186]
	v_fma_f64 v[167:168], v[135:136], v[198:199], v[167:168]
	s_waitcnt vmcnt(45) lgkmcnt(0)
	v_mul_f64 v[189:190], v[4:5], v[202:203]
	v_mul_f64 v[187:188], v[2:3], v[202:203]
	v_add_f64 v[145:146], v[145:146], v[179:180]
	s_waitcnt vmcnt(44)
	v_fma_f64 v[183:184], v[137:138], v[196:197], -v[183:184]
	v_add_f64 v[6:7], v[6:7], v[175:176]
	s_clause 0x3
	buffer_load_dword v175, off, s[0:3], 0 offset:560
	buffer_load_dword v176, off, s[0:3], 0 offset:564
	;; [unrolled: 1-line block ×4, first 2 shown]
	ds_read_b128 v[133:136], v1 offset:1808
	v_fma_f64 v[171:172], v[139:140], v[196:197], v[171:172]
	ds_read_b128 v[137:140], v1 offset:1824
	v_add_f64 v[145:146], v[145:146], v[185:186]
	v_add_f64 v[6:7], v[6:7], v[167:168]
	s_waitcnt vmcnt(47) lgkmcnt(1)
	v_mul_f64 v[185:186], v[135:136], v[204:205]
	v_mul_f64 v[167:168], v[133:134], v[204:205]
	s_waitcnt vmcnt(45)
	v_fma_f64 v[189:190], v[2:3], v[143:144], -v[189:190]
	v_fma_f64 v[143:144], v[4:5], v[143:144], v[187:188]
	ds_read_b128 v[2:5], v1 offset:1840
	v_add_f64 v[145:146], v[145:146], v[183:184]
	v_add_f64 v[6:7], v[6:7], v[171:172]
	s_waitcnt vmcnt(41) lgkmcnt(1)
	v_mul_f64 v[171:172], v[137:138], v[147:148]
	v_mul_f64 v[147:148], v[139:140], v[147:148]
	s_waitcnt vmcnt(40)
	v_fma_f64 v[183:184], v[133:134], v[206:207], -v[185:186]
	;; [unrolled: 9-line block ×7, first 2 shown]
	v_fma_f64 v[143:144], v[4:5], v[151:152], v[143:144]
	ds_read_b128 v[2:5], v1 offset:1936
	v_add_f64 v[145:146], v[145:146], v[147:148]
	v_add_f64 v[6:7], v[6:7], v[141:142]
	s_waitcnt vmcnt(17) lgkmcnt(1)
	v_mul_f64 v[147:148], v[139:140], v[157:158]
	s_waitcnt vmcnt(16)
	v_fma_f64 v[151:152], v[133:134], v[210:211], -v[155:156]
	v_mul_f64 v[141:142], v[137:138], v[157:158]
	v_add_f64 v[145:146], v[145:146], v[149:150]
	v_fma_f64 v[149:150], v[135:136], v[210:211], v[153:154]
	v_add_f64 v[6:7], v[6:7], v[143:144]
	ds_read_b128 v[133:136], v1 offset:1952
	s_waitcnt vmcnt(15) lgkmcnt(1)
	v_mul_f64 v[153:154], v[4:5], v[169:170]
	v_mul_f64 v[143:144], v[2:3], v[169:170]
	s_waitcnt vmcnt(13)
	v_fma_f64 v[147:148], v[137:138], v[161:162], -v[147:148]
	v_fma_f64 v[141:142], v[139:140], v[161:162], v[141:142]
	ds_read_b128 v[137:140], v1 offset:1968
	v_add_f64 v[145:146], v[145:146], v[151:152]
	v_add_f64 v[6:7], v[6:7], v[149:150]
	s_waitcnt vmcnt(9) lgkmcnt(1)
	v_mul_f64 v[151:152], v[135:136], v[159:160]
	s_waitcnt vmcnt(8)
	v_fma_f64 v[2:3], v[2:3], v[173:174], -v[153:154]
	v_mul_f64 v[149:150], v[133:134], v[159:160]
	v_fma_f64 v[4:5], v[4:5], v[173:174], v[143:144]
	v_add_f64 v[145:146], v[145:146], v[147:148]
	v_add_f64 v[6:7], v[6:7], v[141:142]
	s_waitcnt vmcnt(7) lgkmcnt(0)
	v_mul_f64 v[143:144], v[139:140], v[177:178]
	v_mul_f64 v[141:142], v[137:138], v[177:178]
	s_waitcnt vmcnt(5)
	v_fma_f64 v[133:134], v[133:134], v[163:164], -v[151:152]
	v_fma_f64 v[135:136], v[135:136], v[163:164], v[149:150]
	v_add_f64 v[2:3], v[145:146], v[2:3]
	v_add_f64 v[4:5], v[6:7], v[4:5]
	s_waitcnt vmcnt(4)
	v_fma_f64 v[6:7], v[137:138], v[181:182], -v[143:144]
	v_add_f64 v[2:3], v[2:3], v[133:134]
	v_fma_f64 v[133:134], v[139:140], v[181:182], v[141:142]
	v_add_f64 v[4:5], v[4:5], v[135:136]
	v_add_f64 v[2:3], v[2:3], v[6:7]
	v_add_f64 v[4:5], v[4:5], v[133:134]
	s_waitcnt vmcnt(2)
	v_add_f64 v[2:3], v[175:176], -v[2:3]
	s_waitcnt vmcnt(0)
	v_add_f64 v[4:5], v[179:180], -v[4:5]
	buffer_store_dword v3, off, s[0:3], 0 offset:564
	buffer_store_dword v2, off, s[0:3], 0 offset:560
	;; [unrolled: 1-line block ×4, first 2 shown]
	v_cmpx_lt_u32_e32 33, v0
	s_cbranch_execz .LBB125_331
; %bb.330:
	v_mov_b32_e32 v5, s43
	s_clause 0x3
	buffer_load_dword v2, v5, s[0:3], 0 offen
	buffer_load_dword v3, v5, s[0:3], 0 offen offset:4
	buffer_load_dword v4, v5, s[0:3], 0 offen offset:8
	;; [unrolled: 1-line block ×3, first 2 shown]
	buffer_store_dword v1, off, s[0:3], 0 offset:544
	buffer_store_dword v1, off, s[0:3], 0 offset:548
	buffer_store_dword v1, off, s[0:3], 0 offset:552
	buffer_store_dword v1, off, s[0:3], 0 offset:556
	s_waitcnt vmcnt(0)
	ds_write_b128 v193, v[2:5]
.LBB125_331:
	s_or_b32 exec_lo, exec_lo, s4
	s_waitcnt lgkmcnt(0)
	s_waitcnt_vscnt null, 0x0
	s_barrier
	buffer_gl0_inv
	s_clause 0x37
	buffer_load_dword v6, off, s[0:3], 0 offset:568
	buffer_load_dword v7, off, s[0:3], 0 offset:572
	;; [unrolled: 1-line block ×56, first 2 shown]
	ds_read_b128 v[2:5], v1 offset:1536
	s_clause 0x2
	buffer_load_dword v195, off, s[0:3], 0 offset:796
	buffer_load_dword v199, off, s[0:3], 0 offset:772
	;; [unrolled: 1-line block ×3, first 2 shown]
	ds_read_b128 v[133:136], v1 offset:1552
	s_clause 0x4
	buffer_load_dword v203, off, s[0:3], 0 offset:812
	buffer_load_dword v204, off, s[0:3], 0 offset:824
	;; [unrolled: 1-line block ×5, first 2 shown]
	ds_read_b128 v[137:140], v1 offset:1568
	s_mov_b32 s4, exec_lo
	s_waitcnt vmcnt(62) lgkmcnt(2)
	v_mul_f64 v[200:201], v[4:5], v[6:7]
	v_mul_f64 v[6:7], v[2:3], v[6:7]
	s_waitcnt vmcnt(60) lgkmcnt(1)
	v_mul_f64 v[207:208], v[135:136], v[141:142]
	v_mul_f64 v[141:142], v[133:134], v[141:142]
	;; [unrolled: 3-line block ×3, first 2 shown]
	v_fma_f64 v[200:201], v[2:3], v[143:144], -v[200:201]
	v_fma_f64 v[6:7], v[4:5], v[143:144], v[6:7]
	s_clause 0x2
	buffer_load_dword v205, off, s[0:3], 0 offset:828
	buffer_load_dword v144, off, s[0:3], 0 offset:804
	;; [unrolled: 1-line block ×3, first 2 shown]
	s_waitcnt vmcnt(57)
	v_fma_f64 v[211:212], v[133:134], v[147:148], -v[207:208]
	ds_read_b128 v[2:5], v1 offset:1584
	v_fma_f64 v[141:142], v[135:136], v[147:148], v[141:142]
	s_clause 0x4
	buffer_load_dword v148, off, s[0:3], 0 offset:844
	buffer_load_dword v208, off, s[0:3], 0 offset:856
	;; [unrolled: 1-line block ×5, first 2 shown]
	s_waitcnt vmcnt(56)
	v_fma_f64 v[145:146], v[137:138], v[155:156], -v[145:146]
	ds_read_b128 v[133:136], v1 offset:1600
	v_fma_f64 v[155:156], v[139:140], v[155:156], v[209:210]
	v_add_f64 v[200:201], v[200:201], 0
	v_add_f64 v[6:7], v[6:7], 0
	s_waitcnt lgkmcnt(1)
	v_mul_f64 v[214:215], v[2:3], v[149:150]
	v_mul_f64 v[149:150], v[4:5], v[149:150]
	v_add_f64 v[200:201], v[200:201], v[211:212]
	v_add_f64 v[6:7], v[6:7], v[141:142]
	s_clause 0x2
	buffer_load_dword v209, off, s[0:3], 0 offset:860
	buffer_load_dword v142, off, s[0:3], 0 offset:836
	;; [unrolled: 1-line block ×3, first 2 shown]
	s_waitcnt vmcnt(58) lgkmcnt(0)
	v_mul_f64 v[210:211], v[133:134], v[151:152]
	v_mul_f64 v[151:152], v[135:136], v[151:152]
	s_waitcnt vmcnt(56)
	v_fma_f64 v[149:150], v[2:3], v[157:158], -v[149:150]
	ds_read_b128 v[137:140], v1 offset:1616
	v_fma_f64 v[157:158], v[4:5], v[157:158], v[214:215]
	v_add_f64 v[145:146], v[200:201], v[145:146]
	v_add_f64 v[6:7], v[6:7], v[155:156]
	s_clause 0x4
	buffer_load_dword v156, off, s[0:3], 0 offset:876
	buffer_load_dword v200, off, s[0:3], 0 offset:888
	;; [unrolled: 1-line block ×5, first 2 shown]
	ds_read_b128 v[2:5], v1 offset:1632
	s_waitcnt vmcnt(57) lgkmcnt(1)
	v_mul_f64 v[216:217], v[137:138], v[159:160]
	v_mul_f64 v[159:160], v[139:140], v[159:160]
	s_waitcnt vmcnt(56)
	v_fma_f64 v[151:152], v[133:134], v[153:154], -v[151:152]
	v_add_f64 v[145:146], v[145:146], v[149:150]
	v_fma_f64 v[149:150], v[135:136], v[153:154], v[210:211]
	v_add_f64 v[6:7], v[6:7], v[157:158]
	s_clause 0x2
	buffer_load_dword v201, off, s[0:3], 0 offset:892
	buffer_load_dword v154, off, s[0:3], 0 offset:868
	;; [unrolled: 1-line block ×3, first 2 shown]
	s_waitcnt vmcnt(58) lgkmcnt(0)
	v_mul_f64 v[157:158], v[2:3], v[161:162]
	v_mul_f64 v[161:162], v[4:5], v[161:162]
	s_waitcnt vmcnt(56)
	v_fma_f64 v[159:160], v[137:138], v[165:166], -v[159:160]
	ds_read_b128 v[133:136], v1 offset:1648
	v_add_f64 v[145:146], v[145:146], v[151:152]
	v_fma_f64 v[151:152], v[139:140], v[165:166], v[216:217]
	v_add_f64 v[6:7], v[6:7], v[149:150]
	s_clause 0x4
	buffer_load_dword v150, off, s[0:3], 0 offset:908
	buffer_load_dword v165, off, s[0:3], 0 offset:920
	;; [unrolled: 1-line block ×5, first 2 shown]
	ds_read_b128 v[137:140], v1 offset:1664
	s_waitcnt vmcnt(57) lgkmcnt(1)
	v_mul_f64 v[211:212], v[133:134], v[167:168]
	v_mul_f64 v[167:168], v[135:136], v[167:168]
	s_waitcnt vmcnt(56)
	v_fma_f64 v[161:162], v[2:3], v[163:164], -v[161:162]
	v_fma_f64 v[157:158], v[4:5], v[163:164], v[157:158]
	v_add_f64 v[145:146], v[145:146], v[159:160]
	v_add_f64 v[6:7], v[6:7], v[151:152]
	s_clause 0x2
	buffer_load_dword v166, off, s[0:3], 0 offset:924
	buffer_load_dword v152, off, s[0:3], 0 offset:900
	;; [unrolled: 1-line block ×3, first 2 shown]
	s_waitcnt vmcnt(58) lgkmcnt(0)
	v_mul_f64 v[163:164], v[139:140], v[169:170]
	ds_read_b128 v[2:5], v1 offset:1680
	s_waitcnt vmcnt(56)
	v_fma_f64 v[167:168], v[133:134], v[173:174], -v[167:168]
	v_mul_f64 v[159:160], v[137:138], v[169:170]
	v_add_f64 v[145:146], v[145:146], v[161:162]
	v_fma_f64 v[161:162], v[135:136], v[173:174], v[211:212]
	v_add_f64 v[6:7], v[6:7], v[157:158]
	s_clause 0x4
	buffer_load_dword v158, off, s[0:3], 0 offset:940
	buffer_load_dword v169, off, s[0:3], 0 offset:952
	;; [unrolled: 1-line block ×5, first 2 shown]
	s_waitcnt vmcnt(57) lgkmcnt(0)
	v_mul_f64 v[217:218], v[2:3], v[175:176]
	v_mul_f64 v[174:175], v[4:5], v[175:176]
	s_waitcnt vmcnt(56)
	v_fma_f64 v[163:164], v[137:138], v[171:172], -v[163:164]
	ds_read_b128 v[133:136], v1 offset:1696
	v_fma_f64 v[159:160], v[139:140], v[171:172], v[159:160]
	v_add_f64 v[145:146], v[145:146], v[167:168]
	v_add_f64 v[6:7], v[6:7], v[161:162]
	s_clause 0x2
	buffer_load_dword v170, off, s[0:3], 0 offset:956
	buffer_load_dword v162, off, s[0:3], 0 offset:932
	;; [unrolled: 1-line block ×3, first 2 shown]
	ds_read_b128 v[137:140], v1 offset:1712
	s_waitcnt vmcnt(58) lgkmcnt(1)
	v_mul_f64 v[171:172], v[135:136], v[177:178]
	s_waitcnt vmcnt(56)
	v_fma_f64 v[175:176], v[2:3], v[181:182], -v[174:175]
	v_mul_f64 v[167:168], v[133:134], v[177:178]
	v_add_f64 v[145:146], v[145:146], v[163:164]
	v_fma_f64 v[163:164], v[4:5], v[181:182], v[217:218]
	v_add_f64 v[6:7], v[6:7], v[159:160]
	s_clause 0x4
	buffer_load_dword v160, off, s[0:3], 0 offset:972
	buffer_load_dword v177, off, s[0:3], 0 offset:984
	;; [unrolled: 1-line block ×5, first 2 shown]
	s_waitcnt vmcnt(57) lgkmcnt(0)
	v_mul_f64 v[217:218], v[137:138], v[183:184]
	v_mul_f64 v[182:183], v[139:140], v[183:184]
	s_waitcnt vmcnt(56)
	v_fma_f64 v[171:172], v[133:134], v[179:180], -v[171:172]
	ds_read_b128 v[2:5], v1 offset:1728
	v_fma_f64 v[167:168], v[135:136], v[179:180], v[167:168]
	v_add_f64 v[145:146], v[145:146], v[175:176]
	v_add_f64 v[6:7], v[6:7], v[163:164]
	s_clause 0x2
	buffer_load_dword v178, off, s[0:3], 0 offset:988
	buffer_load_dword v164, off, s[0:3], 0 offset:964
	;; [unrolled: 1-line block ×3, first 2 shown]
	ds_read_b128 v[133:136], v1 offset:1744
	s_waitcnt vmcnt(58) lgkmcnt(1)
	v_mul_f64 v[179:180], v[4:5], v[185:186]
	s_waitcnt vmcnt(56)
	v_fma_f64 v[183:184], v[137:138], v[189:190], -v[182:183]
	v_mul_f64 v[175:176], v[2:3], v[185:186]
	v_add_f64 v[145:146], v[145:146], v[171:172]
	v_fma_f64 v[171:172], v[139:140], v[189:190], v[217:218]
	v_add_f64 v[6:7], v[6:7], v[167:168]
	s_clause 0x2
	buffer_load_dword v168, off, s[0:3], 0 offset:1004
	buffer_load_dword v167, off, s[0:3], 0 offset:1000
	buffer_load_dword v182, off, s[0:3], 0 offset:980
	s_waitcnt vmcnt(55) lgkmcnt(0)
	v_mul_f64 v[189:190], v[135:136], v[191:192]
	s_waitcnt vmcnt(54)
	v_fma_f64 v[179:180], v[2:3], v[187:188], -v[179:180]
	ds_read_b128 v[137:140], v1 offset:1760
	v_mul_f64 v[185:186], v[133:134], v[191:192]
	v_fma_f64 v[175:176], v[4:5], v[187:188], v[175:176]
	v_add_f64 v[145:146], v[145:146], v[183:184]
	v_add_f64 v[6:7], v[6:7], v[171:172]
	s_clause 0x1
	buffer_load_dword v172, off, s[0:3], 0 offset:996
	buffer_load_dword v171, off, s[0:3], 0 offset:992
	s_waitcnt vmcnt(55) lgkmcnt(0)
	v_mul_f64 v[187:188], v[139:140], v[194:195]
	s_waitcnt vmcnt(53)
	v_fma_f64 v[189:190], v[133:134], v[198:199], -v[189:190]
	ds_read_b128 v[2:5], v1 offset:1776
	v_mul_f64 v[183:184], v[137:138], v[194:195]
	v_add_f64 v[145:146], v[145:146], v[179:180]
	v_fma_f64 v[179:180], v[135:136], v[198:199], v[185:186]
	v_add_f64 v[6:7], v[6:7], v[175:176]
	ds_read_b128 v[133:136], v1 offset:1792
	s_waitcnt vmcnt(49) lgkmcnt(1)
	v_mul_f64 v[185:186], v[4:5], v[202:203]
	s_waitcnt vmcnt(48)
	v_fma_f64 v[187:188], v[137:138], v[196:197], -v[187:188]
	v_mul_f64 v[175:176], v[2:3], v[202:203]
	v_fma_f64 v[183:184], v[139:140], v[196:197], v[183:184]
	v_add_f64 v[145:146], v[145:146], v[189:190]
	v_add_f64 v[6:7], v[6:7], v[179:180]
	s_clause 0x3
	buffer_load_dword v179, off, s[0:3], 0 offset:544
	buffer_load_dword v180, off, s[0:3], 0 offset:548
	;; [unrolled: 1-line block ×4, first 2 shown]
	ds_read_b128 v[137:140], v1 offset:1808
	s_waitcnt vmcnt(51) lgkmcnt(1)
	v_mul_f64 v[194:195], v[135:136], v[204:205]
	v_mul_f64 v[191:192], v[133:134], v[204:205]
	s_waitcnt vmcnt(49)
	v_fma_f64 v[185:186], v[2:3], v[143:144], -v[185:186]
	v_fma_f64 v[143:144], v[4:5], v[143:144], v[175:176]
	ds_read_b128 v[2:5], v1 offset:1824
	v_add_f64 v[145:146], v[145:146], v[187:188]
	v_add_f64 v[6:7], v[6:7], v[183:184]
	s_waitcnt vmcnt(45) lgkmcnt(1)
	v_mul_f64 v[175:176], v[137:138], v[147:148]
	v_mul_f64 v[147:148], v[139:140], v[147:148]
	s_waitcnt vmcnt(44)
	v_fma_f64 v[183:184], v[133:134], v[206:207], -v[194:195]
	v_add_f64 v[145:146], v[145:146], v[185:186]
	v_fma_f64 v[185:186], v[135:136], v[206:207], v[191:192]
	v_add_f64 v[6:7], v[6:7], v[143:144]
	ds_read_b128 v[133:136], v1 offset:1840
	s_waitcnt vmcnt(43) lgkmcnt(1)
	v_mul_f64 v[187:188], v[4:5], v[208:209]
	v_mul_f64 v[143:144], v[2:3], v[208:209]
	s_waitcnt vmcnt(41)
	v_fma_f64 v[147:148], v[137:138], v[141:142], -v[147:148]
	v_fma_f64 v[141:142], v[139:140], v[141:142], v[175:176]
	ds_read_b128 v[137:140], v1 offset:1856
	v_add_f64 v[145:146], v[145:146], v[183:184]
	v_add_f64 v[6:7], v[6:7], v[185:186]
	s_waitcnt vmcnt(37) lgkmcnt(1)
	v_mul_f64 v[175:176], v[133:134], v[155:156]
	v_mul_f64 v[155:156], v[135:136], v[155:156]
	s_waitcnt vmcnt(36)
	v_fma_f64 v[183:184], v[2:3], v[213:214], -v[187:188]
	v_fma_f64 v[143:144], v[4:5], v[213:214], v[143:144]
	ds_read_b128 v[2:5], v1 offset:1872
	v_add_f64 v[145:146], v[145:146], v[147:148]
	v_add_f64 v[6:7], v[6:7], v[141:142]
	s_waitcnt vmcnt(35) lgkmcnt(1)
	v_mul_f64 v[147:148], v[139:140], v[200:201]
	v_mul_f64 v[141:142], v[137:138], v[200:201]
	s_waitcnt vmcnt(33)
	v_fma_f64 v[155:156], v[133:134], v[153:154], -v[155:156]
	v_fma_f64 v[153:154], v[135:136], v[153:154], v[175:176]
	ds_read_b128 v[133:136], v1 offset:1888
	v_add_f64 v[145:146], v[145:146], v[183:184]
	v_add_f64 v[6:7], v[6:7], v[143:144]
	s_waitcnt vmcnt(29) lgkmcnt(1)
	v_mul_f64 v[143:144], v[2:3], v[149:150]
	v_mul_f64 v[149:150], v[4:5], v[149:150]
	s_waitcnt vmcnt(28)
	v_fma_f64 v[147:148], v[137:138], v[215:216], -v[147:148]
	v_fma_f64 v[141:142], v[139:140], v[215:216], v[141:142]
	ds_read_b128 v[137:140], v1 offset:1904
	v_add_f64 v[145:146], v[145:146], v[155:156]
	v_add_f64 v[6:7], v[6:7], v[153:154]
	s_waitcnt vmcnt(27) lgkmcnt(1)
	v_mul_f64 v[155:156], v[135:136], v[165:166]
	v_mul_f64 v[153:154], v[133:134], v[165:166]
	s_waitcnt vmcnt(25)
	v_fma_f64 v[149:150], v[2:3], v[151:152], -v[149:150]
	v_fma_f64 v[143:144], v[4:5], v[151:152], v[143:144]
	ds_read_b128 v[2:5], v1 offset:1920
	v_add_f64 v[145:146], v[145:146], v[147:148]
	v_add_f64 v[6:7], v[6:7], v[141:142]
	s_waitcnt vmcnt(21) lgkmcnt(1)
	v_mul_f64 v[147:148], v[139:140], v[157:158]
	s_waitcnt vmcnt(20)
	v_fma_f64 v[151:152], v[133:134], v[210:211], -v[155:156]
	v_mul_f64 v[141:142], v[137:138], v[157:158]
	v_add_f64 v[145:146], v[145:146], v[149:150]
	v_fma_f64 v[149:150], v[135:136], v[210:211], v[153:154]
	v_add_f64 v[6:7], v[6:7], v[143:144]
	ds_read_b128 v[133:136], v1 offset:1936
	s_waitcnt vmcnt(19) lgkmcnt(1)
	v_mul_f64 v[153:154], v[4:5], v[169:170]
	v_mul_f64 v[143:144], v[2:3], v[169:170]
	s_waitcnt vmcnt(17)
	v_fma_f64 v[147:148], v[137:138], v[161:162], -v[147:148]
	v_fma_f64 v[141:142], v[139:140], v[161:162], v[141:142]
	ds_read_b128 v[137:140], v1 offset:1952
	v_add_f64 v[145:146], v[145:146], v[151:152]
	v_add_f64 v[6:7], v[6:7], v[149:150]
	s_waitcnt vmcnt(13) lgkmcnt(1)
	v_mul_f64 v[151:152], v[135:136], v[159:160]
	s_waitcnt vmcnt(12)
	v_fma_f64 v[153:154], v[2:3], v[173:174], -v[153:154]
	v_mul_f64 v[149:150], v[133:134], v[159:160]
	v_fma_f64 v[143:144], v[4:5], v[173:174], v[143:144]
	ds_read_b128 v[1:4], v1 offset:1968
	v_add_f64 v[145:146], v[145:146], v[147:148]
	v_add_f64 v[5:6], v[6:7], v[141:142]
	s_waitcnt vmcnt(11) lgkmcnt(1)
	v_mul_f64 v[141:142], v[139:140], v[177:178]
	v_mul_f64 v[7:8], v[137:138], v[177:178]
	s_waitcnt vmcnt(9)
	v_fma_f64 v[133:134], v[133:134], v[163:164], -v[151:152]
	v_fma_f64 v[135:136], v[135:136], v[163:164], v[149:150]
	v_add_f64 v[145:146], v[145:146], v[153:154]
	v_add_f64 v[5:6], v[5:6], v[143:144]
	s_waitcnt vmcnt(7) lgkmcnt(0)
	v_mul_f64 v[147:148], v[3:4], v[167:168]
	s_waitcnt vmcnt(6)
	v_fma_f64 v[137:138], v[137:138], v[181:182], -v[141:142]
	v_mul_f64 v[143:144], v[1:2], v[167:168]
	v_fma_f64 v[7:8], v[139:140], v[181:182], v[7:8]
	v_add_f64 v[133:134], v[145:146], v[133:134]
	v_add_f64 v[5:6], v[5:6], v[135:136]
	s_waitcnt vmcnt(4)
	v_fma_f64 v[1:2], v[1:2], v[171:172], -v[147:148]
	v_fma_f64 v[3:4], v[3:4], v[171:172], v[143:144]
	v_add_f64 v[133:134], v[133:134], v[137:138]
	v_add_f64 v[5:6], v[5:6], v[7:8]
	;; [unrolled: 1-line block ×4, first 2 shown]
	s_waitcnt vmcnt(2)
	v_add_f64 v[1:2], v[179:180], -v[1:2]
	s_waitcnt vmcnt(0)
	v_add_f64 v[3:4], v[189:190], -v[3:4]
	buffer_store_dword v2, off, s[0:3], 0 offset:548
	buffer_store_dword v1, off, s[0:3], 0 offset:544
	;; [unrolled: 1-line block ×4, first 2 shown]
	v_cmpx_lt_u32_e32 32, v0
	s_cbranch_execz .LBB125_333
; %bb.332:
	v_mov_b32_e32 v4, s44
	v_mov_b32_e32 v5, 0
	s_clause 0x3
	buffer_load_dword v1, v4, s[0:3], 0 offen
	buffer_load_dword v2, v4, s[0:3], 0 offen offset:4
	buffer_load_dword v3, v4, s[0:3], 0 offen offset:8
	;; [unrolled: 1-line block ×3, first 2 shown]
	buffer_store_dword v5, off, s[0:3], 0 offset:528
	buffer_store_dword v5, off, s[0:3], 0 offset:532
	;; [unrolled: 1-line block ×4, first 2 shown]
	s_waitcnt vmcnt(0)
	ds_write_b128 v193, v[1:4]
.LBB125_333:
	s_or_b32 exec_lo, exec_lo, s4
	s_waitcnt lgkmcnt(0)
	s_waitcnt_vscnt null, 0x0
	s_barrier
	buffer_gl0_inv
	s_clause 0x37
	buffer_load_dword v133, off, s[0:3], 0 offset:552
	buffer_load_dword v134, off, s[0:3], 0 offset:556
	;; [unrolled: 1-line block ×56, first 2 shown]
	v_mov_b32_e32 v135, 0
	s_mov_b32 s4, exec_lo
	ds_read_b128 v[5:8], v135 offset:1520
	s_clause 0x2
	buffer_load_dword v195, off, s[0:3], 0 offset:780
	buffer_load_dword v199, off, s[0:3], 0 offset:756
	;; [unrolled: 1-line block ×3, first 2 shown]
	ds_read_b128 v[136:139], v135 offset:1536
	s_clause 0x4
	buffer_load_dword v203, off, s[0:3], 0 offset:796
	buffer_load_dword v204, off, s[0:3], 0 offset:808
	;; [unrolled: 1-line block ×5, first 2 shown]
	ds_read_b128 v[140:143], v135 offset:1552
	s_waitcnt vmcnt(62) lgkmcnt(2)
	v_mul_f64 v[200:201], v[7:8], v[133:134]
	v_mul_f64 v[133:134], v[5:6], v[133:134]
	s_waitcnt vmcnt(60) lgkmcnt(1)
	v_mul_f64 v[207:208], v[138:139], v[144:145]
	v_mul_f64 v[144:145], v[136:137], v[144:145]
	;; [unrolled: 3-line block ×3, first 2 shown]
	v_fma_f64 v[200:201], v[5:6], v[146:147], -v[200:201]
	v_fma_f64 v[133:134], v[7:8], v[146:147], v[133:134]
	s_clause 0x2
	buffer_load_dword v205, off, s[0:3], 0 offset:812
	buffer_load_dword v147, off, s[0:3], 0 offset:788
	;; [unrolled: 1-line block ×3, first 2 shown]
	s_waitcnt vmcnt(57)
	v_fma_f64 v[136:137], v[136:137], v[1:2], -v[207:208]
	ds_read_b128 v[5:8], v135 offset:1568
	v_fma_f64 v[138:139], v[138:139], v[1:2], v[144:145]
	s_clause 0x4
	buffer_load_dword v145, off, s[0:3], 0 offset:828
	buffer_load_dword v208, off, s[0:3], 0 offset:840
	;; [unrolled: 1-line block ×5, first 2 shown]
	s_waitcnt vmcnt(56)
	v_fma_f64 v[140:141], v[140:141], v[154:155], -v[211:212]
	ds_read_b128 v[1:4], v135 offset:1584
	v_fma_f64 v[142:143], v[142:143], v[154:155], v[209:210]
	s_clause 0x2
	buffer_load_dword v209, off, s[0:3], 0 offset:844
	buffer_load_dword v155, off, s[0:3], 0 offset:820
	;; [unrolled: 1-line block ×3, first 2 shown]
	v_add_f64 v[200:201], v[200:201], 0
	v_add_f64 v[133:134], v[133:134], 0
	s_waitcnt lgkmcnt(1)
	v_mul_f64 v[214:215], v[5:6], v[148:149]
	v_mul_f64 v[148:149], v[7:8], v[148:149]
	s_waitcnt vmcnt(58) lgkmcnt(0)
	v_mul_f64 v[210:211], v[1:2], v[150:151]
	v_mul_f64 v[150:151], v[3:4], v[150:151]
	v_add_f64 v[200:201], v[200:201], v[136:137]
	v_add_f64 v[133:134], v[133:134], v[138:139]
	ds_read_b128 v[136:139], v135 offset:1600
	s_waitcnt vmcnt(56)
	v_fma_f64 v[148:149], v[5:6], v[156:157], -v[148:149]
	v_fma_f64 v[156:157], v[7:8], v[156:157], v[214:215]
	s_waitcnt vmcnt(51)
	v_fma_f64 v[150:151], v[1:2], v[152:153], -v[150:151]
	s_waitcnt lgkmcnt(0)
	v_mul_f64 v[216:217], v[136:137], v[158:159]
	v_add_f64 v[140:141], v[200:201], v[140:141]
	v_add_f64 v[133:134], v[133:134], v[142:143]
	s_clause 0x4
	buffer_load_dword v143, off, s[0:3], 0 offset:860
	buffer_load_dword v200, off, s[0:3], 0 offset:872
	;; [unrolled: 1-line block ×5, first 2 shown]
	v_mul_f64 v[158:159], v[138:139], v[158:159]
	ds_read_b128 v[5:8], v135 offset:1616
	v_add_f64 v[140:141], v[140:141], v[148:149]
	v_fma_f64 v[148:149], v[3:4], v[152:153], v[210:211]
	v_add_f64 v[133:134], v[133:134], v[156:157]
	s_clause 0x2
	buffer_load_dword v201, off, s[0:3], 0 offset:876
	buffer_load_dword v153, off, s[0:3], 0 offset:852
	;; [unrolled: 1-line block ×3, first 2 shown]
	s_waitcnt vmcnt(58) lgkmcnt(0)
	v_mul_f64 v[156:157], v[5:6], v[160:161]
	v_mul_f64 v[160:161], v[7:8], v[160:161]
	s_waitcnt vmcnt(56)
	v_fma_f64 v[158:159], v[136:137], v[164:165], -v[158:159]
	ds_read_b128 v[1:4], v135 offset:1632
	v_add_f64 v[140:141], v[140:141], v[150:151]
	v_fma_f64 v[150:151], v[138:139], v[164:165], v[216:217]
	v_add_f64 v[133:134], v[133:134], v[148:149]
	s_clause 0x4
	buffer_load_dword v149, off, s[0:3], 0 offset:892
	buffer_load_dword v164, off, s[0:3], 0 offset:904
	;; [unrolled: 1-line block ×5, first 2 shown]
	ds_read_b128 v[136:139], v135 offset:1648
	s_waitcnt vmcnt(57) lgkmcnt(1)
	v_mul_f64 v[211:212], v[1:2], v[166:167]
	v_mul_f64 v[166:167], v[3:4], v[166:167]
	s_waitcnt vmcnt(56)
	v_fma_f64 v[160:161], v[5:6], v[162:163], -v[160:161]
	v_fma_f64 v[156:157], v[7:8], v[162:163], v[156:157]
	v_add_f64 v[140:141], v[140:141], v[158:159]
	v_add_f64 v[133:134], v[133:134], v[150:151]
	s_clause 0x2
	buffer_load_dword v165, off, s[0:3], 0 offset:908
	buffer_load_dword v151, off, s[0:3], 0 offset:884
	;; [unrolled: 1-line block ×3, first 2 shown]
	s_waitcnt vmcnt(58) lgkmcnt(0)
	v_mul_f64 v[162:163], v[138:139], v[168:169]
	ds_read_b128 v[5:8], v135 offset:1664
	s_waitcnt vmcnt(56)
	v_fma_f64 v[166:167], v[1:2], v[172:173], -v[166:167]
	v_mul_f64 v[158:159], v[136:137], v[168:169]
	v_add_f64 v[140:141], v[140:141], v[160:161]
	v_fma_f64 v[160:161], v[3:4], v[172:173], v[211:212]
	v_add_f64 v[133:134], v[133:134], v[156:157]
	s_clause 0x4
	buffer_load_dword v157, off, s[0:3], 0 offset:924
	buffer_load_dword v168, off, s[0:3], 0 offset:936
	buffer_load_dword v172, off, s[0:3], 0 offset:928
	buffer_load_dword v156, off, s[0:3], 0 offset:920
	buffer_load_dword v211, off, s[0:3], 0 offset:900
	s_waitcnt vmcnt(57) lgkmcnt(0)
	v_mul_f64 v[217:218], v[5:6], v[174:175]
	v_mul_f64 v[173:174], v[7:8], v[174:175]
	s_waitcnt vmcnt(56)
	v_fma_f64 v[162:163], v[136:137], v[170:171], -v[162:163]
	ds_read_b128 v[1:4], v135 offset:1680
	v_fma_f64 v[158:159], v[138:139], v[170:171], v[158:159]
	v_add_f64 v[140:141], v[140:141], v[166:167]
	v_add_f64 v[133:134], v[133:134], v[160:161]
	s_clause 0x2
	buffer_load_dword v169, off, s[0:3], 0 offset:940
	buffer_load_dword v161, off, s[0:3], 0 offset:916
	buffer_load_dword v160, off, s[0:3], 0 offset:912
	ds_read_b128 v[136:139], v135 offset:1696
	s_waitcnt vmcnt(58) lgkmcnt(1)
	v_mul_f64 v[170:171], v[3:4], v[176:177]
	s_waitcnt vmcnt(56)
	v_fma_f64 v[174:175], v[5:6], v[180:181], -v[173:174]
	v_mul_f64 v[166:167], v[1:2], v[176:177]
	v_add_f64 v[140:141], v[140:141], v[162:163]
	v_fma_f64 v[162:163], v[7:8], v[180:181], v[217:218]
	v_add_f64 v[133:134], v[133:134], v[158:159]
	s_clause 0x4
	buffer_load_dword v159, off, s[0:3], 0 offset:956
	buffer_load_dword v176, off, s[0:3], 0 offset:968
	buffer_load_dword v180, off, s[0:3], 0 offset:960
	buffer_load_dword v158, off, s[0:3], 0 offset:952
	buffer_load_dword v173, off, s[0:3], 0 offset:932
	s_waitcnt vmcnt(57) lgkmcnt(0)
	v_mul_f64 v[217:218], v[136:137], v[182:183]
	v_mul_f64 v[181:182], v[138:139], v[182:183]
	s_waitcnt vmcnt(56)
	v_fma_f64 v[170:171], v[1:2], v[178:179], -v[170:171]
	ds_read_b128 v[5:8], v135 offset:1712
	v_fma_f64 v[166:167], v[3:4], v[178:179], v[166:167]
	v_add_f64 v[140:141], v[140:141], v[174:175]
	v_add_f64 v[133:134], v[133:134], v[162:163]
	s_clause 0x2
	buffer_load_dword v177, off, s[0:3], 0 offset:972
	buffer_load_dword v163, off, s[0:3], 0 offset:948
	buffer_load_dword v162, off, s[0:3], 0 offset:944
	ds_read_b128 v[1:4], v135 offset:1728
	s_waitcnt vmcnt(58) lgkmcnt(1)
	v_mul_f64 v[178:179], v[7:8], v[184:185]
	;; [unrolled: 28-line block ×3, first 2 shown]
	s_waitcnt vmcnt(56)
	v_fma_f64 v[190:191], v[1:2], v[198:199], -v[189:190]
	v_mul_f64 v[182:183], v[136:137], v[194:195]
	buffer_load_dword v189, off, s[0:3], 0 offset:996
	v_add_f64 v[140:141], v[140:141], v[178:179]
	v_fma_f64 v[178:179], v[3:4], v[198:199], v[217:218]
	v_add_f64 v[133:134], v[133:134], v[174:175]
	ds_read_b128 v[1:4], v135 offset:1776
	s_waitcnt vmcnt(53) lgkmcnt(1)
	v_mul_f64 v[194:195], v[7:8], v[202:203]
	s_waitcnt vmcnt(52)
	v_fma_f64 v[186:187], v[136:137], v[196:197], -v[186:187]
	v_mul_f64 v[174:175], v[5:6], v[202:203]
	v_fma_f64 v[182:183], v[138:139], v[196:197], v[182:183]
	ds_read_b128 v[136:139], v135 offset:1792
	v_add_f64 v[140:141], v[140:141], v[190:191]
	v_add_f64 v[133:134], v[133:134], v[178:179]
	s_waitcnt vmcnt(51) lgkmcnt(1)
	v_mul_f64 v[190:191], v[3:4], v[204:205]
	v_mul_f64 v[178:179], v[1:2], v[204:205]
	s_waitcnt vmcnt(49)
	v_fma_f64 v[194:195], v[5:6], v[146:147], -v[194:195]
	v_fma_f64 v[146:147], v[7:8], v[146:147], v[174:175]
	v_add_f64 v[140:141], v[140:141], v[186:187]
	s_waitcnt vmcnt(45) lgkmcnt(0)
	v_mul_f64 v[186:187], v[136:137], v[144:145]
	v_add_f64 v[133:134], v[133:134], v[182:183]
	s_clause 0x3
	buffer_load_dword v174, off, s[0:3], 0 offset:528
	buffer_load_dword v175, off, s[0:3], 0 offset:532
	;; [unrolled: 1-line block ×4, first 2 shown]
	v_mul_f64 v[144:145], v[138:139], v[144:145]
	ds_read_b128 v[5:8], v135 offset:1808
	s_waitcnt vmcnt(48)
	v_fma_f64 v[190:191], v[1:2], v[206:207], -v[190:191]
	v_fma_f64 v[178:179], v[3:4], v[206:207], v[178:179]
	ds_read_b128 v[1:4], v135 offset:1824
	v_add_f64 v[140:141], v[140:141], v[194:195]
	v_add_f64 v[133:134], v[133:134], v[146:147]
	s_waitcnt vmcnt(47) lgkmcnt(1)
	v_mul_f64 v[194:195], v[7:8], v[208:209]
	s_waitcnt vmcnt(45)
	v_fma_f64 v[144:145], v[136:137], v[154:155], -v[144:145]
	v_mul_f64 v[146:147], v[5:6], v[208:209]
	v_fma_f64 v[154:155], v[138:139], v[154:155], v[186:187]
	ds_read_b128 v[136:139], v135 offset:1840
	v_add_f64 v[140:141], v[140:141], v[190:191]
	v_add_f64 v[133:134], v[133:134], v[178:179]
	s_waitcnt vmcnt(41) lgkmcnt(1)
	v_mul_f64 v[178:179], v[1:2], v[142:143]
	v_mul_f64 v[142:143], v[3:4], v[142:143]
	s_waitcnt vmcnt(40)
	v_fma_f64 v[186:187], v[5:6], v[213:214], -v[194:195]
	v_add_f64 v[140:141], v[140:141], v[144:145]
	v_fma_f64 v[144:145], v[7:8], v[213:214], v[146:147]
	v_add_f64 v[133:134], v[133:134], v[154:155]
	ds_read_b128 v[5:8], v135 offset:1856
	s_waitcnt vmcnt(39) lgkmcnt(1)
	v_mul_f64 v[154:155], v[138:139], v[200:201]
	v_mul_f64 v[146:147], v[136:137], v[200:201]
	s_waitcnt vmcnt(37)
	v_fma_f64 v[142:143], v[1:2], v[152:153], -v[142:143]
	v_fma_f64 v[152:153], v[3:4], v[152:153], v[178:179]
	ds_read_b128 v[1:4], v135 offset:1872
	v_add_f64 v[140:141], v[140:141], v[186:187]
	v_add_f64 v[133:134], v[133:134], v[144:145]
	s_waitcnt vmcnt(33) lgkmcnt(1)
	v_mul_f64 v[144:145], v[5:6], v[148:149]
	v_mul_f64 v[148:149], v[7:8], v[148:149]
	s_waitcnt vmcnt(32)
	v_fma_f64 v[154:155], v[136:137], v[215:216], -v[154:155]
	v_add_f64 v[140:141], v[140:141], v[142:143]
	v_fma_f64 v[142:143], v[138:139], v[215:216], v[146:147]
	v_add_f64 v[133:134], v[133:134], v[152:153]
	ds_read_b128 v[136:139], v135 offset:1888
	s_waitcnt vmcnt(31) lgkmcnt(1)
	v_mul_f64 v[152:153], v[3:4], v[164:165]
	v_mul_f64 v[146:147], v[1:2], v[164:165]
	s_waitcnt vmcnt(29)
	v_fma_f64 v[148:149], v[5:6], v[150:151], -v[148:149]
	v_fma_f64 v[144:145], v[7:8], v[150:151], v[144:145]
	ds_read_b128 v[5:8], v135 offset:1904
	v_add_f64 v[140:141], v[140:141], v[154:155]
	v_add_f64 v[133:134], v[133:134], v[142:143]
	s_waitcnt vmcnt(25) lgkmcnt(1)
	v_mul_f64 v[150:151], v[138:139], v[156:157]
	s_waitcnt vmcnt(24)
	v_fma_f64 v[152:153], v[1:2], v[210:211], -v[152:153]
	v_mul_f64 v[142:143], v[136:137], v[156:157]
	v_fma_f64 v[146:147], v[3:4], v[210:211], v[146:147]
	ds_read_b128 v[1:4], v135 offset:1920
	v_add_f64 v[140:141], v[140:141], v[148:149]
	v_add_f64 v[133:134], v[133:134], v[144:145]
	s_waitcnt vmcnt(23) lgkmcnt(1)
	v_mul_f64 v[148:149], v[7:8], v[168:169]
	v_mul_f64 v[144:145], v[5:6], v[168:169]
	s_waitcnt vmcnt(21)
	v_fma_f64 v[150:151], v[136:137], v[160:161], -v[150:151]
	v_fma_f64 v[142:143], v[138:139], v[160:161], v[142:143]
	ds_read_b128 v[136:139], v135 offset:1936
	v_add_f64 v[140:141], v[140:141], v[152:153]
	v_add_f64 v[133:134], v[133:134], v[146:147]
	s_waitcnt vmcnt(17) lgkmcnt(1)
	v_mul_f64 v[152:153], v[3:4], v[158:159]
	s_waitcnt vmcnt(16)
	v_fma_f64 v[148:149], v[5:6], v[172:173], -v[148:149]
	v_mul_f64 v[146:147], v[1:2], v[158:159]
	v_fma_f64 v[144:145], v[7:8], v[172:173], v[144:145]
	ds_read_b128 v[5:8], v135 offset:1952
	v_add_f64 v[140:141], v[140:141], v[150:151]
	v_add_f64 v[133:134], v[133:134], v[142:143]
	s_waitcnt vmcnt(15) lgkmcnt(1)
	v_mul_f64 v[150:151], v[138:139], v[176:177]
	v_mul_f64 v[142:143], v[136:137], v[176:177]
	s_waitcnt vmcnt(13)
	v_fma_f64 v[152:153], v[1:2], v[162:163], -v[152:153]
	v_fma_f64 v[146:147], v[3:4], v[162:163], v[146:147]
	ds_read_b128 v[1:4], v135 offset:1968
	v_add_f64 v[140:141], v[140:141], v[148:149]
	v_add_f64 v[133:134], v[133:134], v[144:145]
	s_waitcnt vmcnt(9) lgkmcnt(1)
	v_mul_f64 v[148:149], v[7:8], v[166:167]
	s_waitcnt vmcnt(8)
	v_fma_f64 v[136:137], v[136:137], v[180:181], -v[150:151]
	v_mul_f64 v[144:145], v[5:6], v[166:167]
	v_fma_f64 v[138:139], v[138:139], v[180:181], v[142:143]
	v_add_f64 v[140:141], v[140:141], v[152:153]
	v_add_f64 v[133:134], v[133:134], v[146:147]
	s_waitcnt vmcnt(7) lgkmcnt(0)
	v_mul_f64 v[146:147], v[3:4], v[184:185]
	v_mul_f64 v[142:143], v[1:2], v[184:185]
	s_waitcnt vmcnt(5)
	v_fma_f64 v[5:6], v[5:6], v[170:171], -v[148:149]
	v_fma_f64 v[7:8], v[7:8], v[170:171], v[144:145]
	v_add_f64 v[136:137], v[140:141], v[136:137]
	v_add_f64 v[133:134], v[133:134], v[138:139]
	s_waitcnt vmcnt(4)
	v_fma_f64 v[1:2], v[1:2], v[188:189], -v[146:147]
	v_fma_f64 v[3:4], v[3:4], v[188:189], v[142:143]
	v_add_f64 v[5:6], v[136:137], v[5:6]
	v_add_f64 v[7:8], v[133:134], v[7:8]
	;; [unrolled: 1-line block ×4, first 2 shown]
	s_waitcnt vmcnt(2)
	v_add_f64 v[1:2], v[174:175], -v[1:2]
	s_waitcnt vmcnt(0)
	v_add_f64 v[3:4], v[182:183], -v[3:4]
	buffer_store_dword v2, off, s[0:3], 0 offset:532
	buffer_store_dword v1, off, s[0:3], 0 offset:528
	;; [unrolled: 1-line block ×4, first 2 shown]
	v_cmpx_lt_u32_e32 31, v0
	s_cbranch_execz .LBB125_335
; %bb.334:
	v_mov_b32_e32 v4, s45
	s_clause 0x3
	buffer_load_dword v1, v4, s[0:3], 0 offen
	buffer_load_dword v2, v4, s[0:3], 0 offen offset:4
	buffer_load_dword v3, v4, s[0:3], 0 offen offset:8
	;; [unrolled: 1-line block ×3, first 2 shown]
	buffer_store_dword v135, off, s[0:3], 0 offset:512
	buffer_store_dword v135, off, s[0:3], 0 offset:516
	;; [unrolled: 1-line block ×4, first 2 shown]
	s_waitcnt vmcnt(0)
	ds_write_b128 v193, v[1:4]
.LBB125_335:
	s_or_b32 exec_lo, exec_lo, s4
	s_waitcnt lgkmcnt(0)
	s_waitcnt_vscnt null, 0x0
	s_barrier
	buffer_gl0_inv
	s_clause 0x37
	buffer_load_dword v133, off, s[0:3], 0 offset:536
	buffer_load_dword v134, off, s[0:3], 0 offset:540
	;; [unrolled: 1-line block ×56, first 2 shown]
	ds_read_b128 v[136:139], v135 offset:1504
	s_clause 0x2
	buffer_load_dword v195, off, s[0:3], 0 offset:764
	buffer_load_dword v199, off, s[0:3], 0 offset:740
	;; [unrolled: 1-line block ×3, first 2 shown]
	ds_read_b128 v[140:143], v135 offset:1520
	s_clause 0x4
	buffer_load_dword v203, off, s[0:3], 0 offset:780
	buffer_load_dword v204, off, s[0:3], 0 offset:792
	;; [unrolled: 1-line block ×5, first 2 shown]
	ds_read_b128 v[144:147], v135 offset:1536
	s_clause 0x2
	buffer_load_dword v205, off, s[0:3], 0 offset:796
	buffer_load_dword v210, off, s[0:3], 0 offset:772
	;; [unrolled: 1-line block ×3, first 2 shown]
	s_mov_b32 s4, exec_lo
	s_waitcnt vmcnt(62) lgkmcnt(2)
	v_mul_f64 v[200:201], v[138:139], v[133:134]
	v_mul_f64 v[133:134], v[136:137], v[133:134]
	s_waitcnt lgkmcnt(1)
	v_mul_f64 v[207:208], v[142:143], v[5:6]
	s_waitcnt vmcnt(59) lgkmcnt(0)
	v_mul_f64 v[211:212], v[146:147], v[3:4]
	v_fma_f64 v[136:137], v[136:137], v[7:8], -v[200:201]
	v_mul_f64 v[200:201], v[140:141], v[5:6]
	v_fma_f64 v[133:134], v[138:139], v[7:8], v[133:134]
	s_waitcnt vmcnt(57)
	v_fma_f64 v[140:141], v[140:141], v[1:2], -v[207:208]
	ds_read_b128 v[5:8], v135 offset:1552
	v_mul_f64 v[138:139], v[144:145], v[3:4]
	s_waitcnt vmcnt(51)
	v_fma_f64 v[144:145], v[144:145], v[154:155], -v[211:212]
	v_add_f64 v[136:137], v[136:137], 0
	v_fma_f64 v[142:143], v[142:143], v[1:2], v[200:201]
	v_add_f64 v[133:134], v[133:134], 0
	s_clause 0x4
	buffer_load_dword v201, off, s[0:3], 0 offset:812
	buffer_load_dword v213, off, s[0:3], 0 offset:824
	;; [unrolled: 1-line block ×5, first 2 shown]
	s_waitcnt lgkmcnt(0)
	v_mul_f64 v[216:217], v[5:6], v[148:149]
	v_mul_f64 v[148:149], v[7:8], v[148:149]
	ds_read_b128 v[1:4], v135 offset:1568
	v_fma_f64 v[146:147], v[146:147], v[154:155], v[138:139]
	v_add_f64 v[140:141], v[136:137], v[140:141]
	v_add_f64 v[133:134], v[133:134], v[142:143]
	s_clause 0x2
	buffer_load_dword v214, off, s[0:3], 0 offset:828
	buffer_load_dword v143, off, s[0:3], 0 offset:804
	;; [unrolled: 1-line block ×3, first 2 shown]
	s_waitcnt vmcnt(58) lgkmcnt(0)
	v_mul_f64 v[154:155], v[1:2], v[150:151]
	v_mul_f64 v[150:151], v[3:4], v[150:151]
	s_waitcnt vmcnt(56)
	v_fma_f64 v[148:149], v[5:6], v[156:157], -v[148:149]
	ds_read_b128 v[136:139], v135 offset:1584
	v_add_f64 v[140:141], v[140:141], v[144:145]
	v_fma_f64 v[144:145], v[7:8], v[156:157], v[216:217]
	v_add_f64 v[133:134], v[133:134], v[146:147]
	s_clause 0x4
	buffer_load_dword v147, off, s[0:3], 0 offset:844
	buffer_load_dword v156, off, s[0:3], 0 offset:856
	;; [unrolled: 1-line block ×5, first 2 shown]
	ds_read_b128 v[5:8], v135 offset:1600
	s_waitcnt vmcnt(57) lgkmcnt(1)
	v_mul_f64 v[217:218], v[136:137], v[158:159]
	v_mul_f64 v[158:159], v[138:139], v[158:159]
	s_waitcnt vmcnt(56)
	v_fma_f64 v[150:151], v[1:2], v[152:153], -v[150:151]
	v_add_f64 v[140:141], v[140:141], v[148:149]
	v_fma_f64 v[148:149], v[3:4], v[152:153], v[154:155]
	v_add_f64 v[133:134], v[133:134], v[144:145]
	s_clause 0x2
	buffer_load_dword v157, off, s[0:3], 0 offset:860
	buffer_load_dword v145, off, s[0:3], 0 offset:836
	;; [unrolled: 1-line block ×3, first 2 shown]
	s_waitcnt vmcnt(58) lgkmcnt(0)
	v_mul_f64 v[154:155], v[7:8], v[160:161]
	ds_read_b128 v[1:4], v135 offset:1616
	s_waitcnt vmcnt(56)
	v_fma_f64 v[158:159], v[136:137], v[164:165], -v[158:159]
	v_mul_f64 v[152:153], v[5:6], v[160:161]
	v_add_f64 v[140:141], v[140:141], v[150:151]
	v_fma_f64 v[150:151], v[138:139], v[164:165], v[217:218]
	v_add_f64 v[133:134], v[133:134], v[148:149]
	s_clause 0x4
	buffer_load_dword v149, off, s[0:3], 0 offset:876
	buffer_load_dword v160, off, s[0:3], 0 offset:888
	buffer_load_dword v164, off, s[0:3], 0 offset:880
	buffer_load_dword v148, off, s[0:3], 0 offset:872
	buffer_load_dword v212, off, s[0:3], 0 offset:852
	s_waitcnt vmcnt(57) lgkmcnt(0)
	v_mul_f64 v[217:218], v[1:2], v[166:167]
	v_mul_f64 v[165:166], v[3:4], v[166:167]
	s_waitcnt vmcnt(56)
	v_fma_f64 v[154:155], v[5:6], v[162:163], -v[154:155]
	ds_read_b128 v[136:139], v135 offset:1632
	v_fma_f64 v[152:153], v[7:8], v[162:163], v[152:153]
	v_add_f64 v[140:141], v[140:141], v[158:159]
	v_add_f64 v[133:134], v[133:134], v[150:151]
	s_clause 0x2
	buffer_load_dword v161, off, s[0:3], 0 offset:892
	buffer_load_dword v151, off, s[0:3], 0 offset:868
	buffer_load_dword v150, off, s[0:3], 0 offset:864
	ds_read_b128 v[5:8], v135 offset:1648
	s_waitcnt vmcnt(58) lgkmcnt(1)
	v_mul_f64 v[162:163], v[138:139], v[168:169]
	s_waitcnt vmcnt(56)
	v_fma_f64 v[166:167], v[1:2], v[172:173], -v[165:166]
	v_mul_f64 v[158:159], v[136:137], v[168:169]
	v_add_f64 v[140:141], v[140:141], v[154:155]
	v_fma_f64 v[154:155], v[3:4], v[172:173], v[217:218]
	v_add_f64 v[133:134], v[133:134], v[152:153]
	s_clause 0x4
	buffer_load_dword v153, off, s[0:3], 0 offset:908
	buffer_load_dword v168, off, s[0:3], 0 offset:920
	buffer_load_dword v172, off, s[0:3], 0 offset:912
	buffer_load_dword v152, off, s[0:3], 0 offset:904
	buffer_load_dword v165, off, s[0:3], 0 offset:884
	s_waitcnt vmcnt(57) lgkmcnt(0)
	v_mul_f64 v[217:218], v[5:6], v[174:175]
	v_mul_f64 v[173:174], v[7:8], v[174:175]
	s_waitcnt vmcnt(56)
	v_fma_f64 v[162:163], v[136:137], v[170:171], -v[162:163]
	ds_read_b128 v[1:4], v135 offset:1664
	v_fma_f64 v[158:159], v[138:139], v[170:171], v[158:159]
	v_add_f64 v[140:141], v[140:141], v[166:167]
	v_add_f64 v[133:134], v[133:134], v[154:155]
	s_clause 0x2
	buffer_load_dword v169, off, s[0:3], 0 offset:924
	buffer_load_dword v155, off, s[0:3], 0 offset:900
	buffer_load_dword v154, off, s[0:3], 0 offset:896
	ds_read_b128 v[136:139], v135 offset:1680
	s_waitcnt vmcnt(58) lgkmcnt(1)
	v_mul_f64 v[170:171], v[3:4], v[176:177]
	;; [unrolled: 28-line block ×4, first 2 shown]
	s_waitcnt vmcnt(56)
	v_fma_f64 v[190:191], v[1:2], v[198:199], -v[189:190]
	v_mul_f64 v[182:183], v[136:137], v[194:195]
	v_add_f64 v[140:141], v[140:141], v[178:179]
	v_fma_f64 v[178:179], v[3:4], v[198:199], v[217:218]
	v_add_f64 v[133:134], v[133:134], v[174:175]
	s_clause 0x2
	buffer_load_dword v175, off, s[0:3], 0 offset:1004
	buffer_load_dword v174, off, s[0:3], 0 offset:1000
	;; [unrolled: 1-line block ×3, first 2 shown]
	s_waitcnt vmcnt(55) lgkmcnt(0)
	v_mul_f64 v[198:199], v[7:8], v[202:203]
	s_waitcnt vmcnt(54)
	v_fma_f64 v[186:187], v[136:137], v[196:197], -v[186:187]
	ds_read_b128 v[1:4], v135 offset:1760
	v_mul_f64 v[194:195], v[5:6], v[202:203]
	v_fma_f64 v[182:183], v[138:139], v[196:197], v[182:183]
	v_add_f64 v[140:141], v[140:141], v[190:191]
	v_add_f64 v[133:134], v[133:134], v[178:179]
	s_clause 0x1
	buffer_load_dword v179, off, s[0:3], 0 offset:996
	buffer_load_dword v178, off, s[0:3], 0 offset:992
	s_waitcnt vmcnt(55) lgkmcnt(0)
	v_mul_f64 v[196:197], v[3:4], v[204:205]
	s_waitcnt vmcnt(53)
	v_fma_f64 v[198:199], v[5:6], v[209:210], -v[198:199]
	ds_read_b128 v[136:139], v135 offset:1776
	v_mul_f64 v[190:191], v[1:2], v[204:205]
	v_add_f64 v[140:141], v[140:141], v[186:187]
	v_fma_f64 v[186:187], v[7:8], v[209:210], v[194:195]
	v_add_f64 v[133:134], v[133:134], v[182:183]
	ds_read_b128 v[5:8], v135 offset:1792
	s_waitcnt vmcnt(49) lgkmcnt(1)
	v_mul_f64 v[194:195], v[138:139], v[200:201]
	s_waitcnt vmcnt(48)
	v_fma_f64 v[196:197], v[1:2], v[206:207], -v[196:197]
	v_mul_f64 v[182:183], v[136:137], v[200:201]
	v_fma_f64 v[190:191], v[3:4], v[206:207], v[190:191]
	v_add_f64 v[140:141], v[140:141], v[198:199]
	v_add_f64 v[133:134], v[133:134], v[186:187]
	s_clause 0x3
	buffer_load_dword v186, off, s[0:3], 0 offset:512
	buffer_load_dword v187, off, s[0:3], 0 offset:516
	;; [unrolled: 1-line block ×4, first 2 shown]
	ds_read_b128 v[1:4], v135 offset:1808
	s_waitcnt vmcnt(51) lgkmcnt(1)
	v_mul_f64 v[202:203], v[7:8], v[213:214]
	v_mul_f64 v[200:201], v[5:6], v[213:214]
	s_waitcnt vmcnt(49)
	v_fma_f64 v[194:195], v[136:137], v[142:143], -v[194:195]
	v_fma_f64 v[142:143], v[138:139], v[142:143], v[182:183]
	ds_read_b128 v[136:139], v135 offset:1824
	v_add_f64 v[140:141], v[140:141], v[196:197]
	v_add_f64 v[133:134], v[133:134], v[190:191]
	s_waitcnt vmcnt(45) lgkmcnt(1)
	v_mul_f64 v[182:183], v[1:2], v[146:147]
	v_mul_f64 v[146:147], v[3:4], v[146:147]
	s_waitcnt vmcnt(44)
	v_fma_f64 v[190:191], v[5:6], v[215:216], -v[202:203]
	v_add_f64 v[140:141], v[140:141], v[194:195]
	v_fma_f64 v[194:195], v[7:8], v[215:216], v[200:201]
	v_add_f64 v[133:134], v[133:134], v[142:143]
	ds_read_b128 v[5:8], v135 offset:1840
	s_waitcnt vmcnt(43) lgkmcnt(1)
	v_mul_f64 v[142:143], v[136:137], v[156:157]
	v_mul_f64 v[156:157], v[138:139], v[156:157]
	s_waitcnt vmcnt(41)
	v_fma_f64 v[146:147], v[1:2], v[144:145], -v[146:147]
	v_fma_f64 v[144:145], v[3:4], v[144:145], v[182:183]
	ds_read_b128 v[1:4], v135 offset:1856
	v_add_f64 v[140:141], v[140:141], v[190:191]
	v_add_f64 v[133:134], v[133:134], v[194:195]
	s_waitcnt vmcnt(37) lgkmcnt(1)
	v_mul_f64 v[182:183], v[5:6], v[148:149]
	v_mul_f64 v[148:149], v[7:8], v[148:149]
	s_waitcnt vmcnt(36)
	v_fma_f64 v[156:157], v[136:137], v[211:212], -v[156:157]
	v_fma_f64 v[142:143], v[138:139], v[211:212], v[142:143]
	ds_read_b128 v[136:139], v135 offset:1872
	v_add_f64 v[140:141], v[140:141], v[146:147]
	v_add_f64 v[133:134], v[133:134], v[144:145]
	;; [unrolled: 9-line block ×5, first 2 shown]
	s_waitcnt vmcnt(21) lgkmcnt(1)
	v_mul_f64 v[146:147], v[3:4], v[158:159]
	s_waitcnt vmcnt(20)
	v_fma_f64 v[150:151], v[5:6], v[172:173], -v[150:151]
	v_mul_f64 v[144:145], v[1:2], v[158:159]
	v_fma_f64 v[148:149], v[7:8], v[172:173], v[148:149]
	ds_read_b128 v[5:8], v135 offset:1936
	v_add_f64 v[140:141], v[140:141], v[152:153]
	v_add_f64 v[133:134], v[133:134], v[142:143]
	s_waitcnt vmcnt(19) lgkmcnt(1)
	v_mul_f64 v[152:153], v[138:139], v[176:177]
	v_mul_f64 v[142:143], v[136:137], v[176:177]
	s_waitcnt vmcnt(17)
	v_fma_f64 v[146:147], v[1:2], v[162:163], -v[146:147]
	v_fma_f64 v[144:145], v[3:4], v[162:163], v[144:145]
	ds_read_b128 v[1:4], v135 offset:1952
	v_add_f64 v[140:141], v[140:141], v[150:151]
	v_add_f64 v[133:134], v[133:134], v[148:149]
	s_waitcnt vmcnt(13) lgkmcnt(1)
	v_mul_f64 v[150:151], v[7:8], v[166:167]
	s_waitcnt vmcnt(12)
	v_fma_f64 v[152:153], v[136:137], v[180:181], -v[152:153]
	v_mul_f64 v[148:149], v[5:6], v[166:167]
	v_fma_f64 v[137:138], v[138:139], v[180:181], v[142:143]
	v_add_f64 v[140:141], v[140:141], v[146:147]
	v_add_f64 v[142:143], v[133:134], v[144:145]
	ds_read_b128 v[133:136], v135 offset:1968
	s_waitcnt vmcnt(11) lgkmcnt(1)
	v_mul_f64 v[146:147], v[3:4], v[184:185]
	v_mul_f64 v[144:145], v[1:2], v[184:185]
	s_waitcnt vmcnt(9)
	v_fma_f64 v[5:6], v[5:6], v[170:171], -v[150:151]
	v_fma_f64 v[7:8], v[7:8], v[170:171], v[148:149]
	v_add_f64 v[139:140], v[140:141], v[152:153]
	v_add_f64 v[137:138], v[142:143], v[137:138]
	s_waitcnt vmcnt(7) lgkmcnt(0)
	v_mul_f64 v[148:149], v[135:136], v[174:175]
	s_waitcnt vmcnt(6)
	v_fma_f64 v[1:2], v[1:2], v[188:189], -v[146:147]
	v_mul_f64 v[141:142], v[133:134], v[174:175]
	v_fma_f64 v[3:4], v[3:4], v[188:189], v[144:145]
	v_add_f64 v[5:6], v[139:140], v[5:6]
	v_add_f64 v[7:8], v[137:138], v[7:8]
	s_waitcnt vmcnt(4)
	v_fma_f64 v[133:134], v[133:134], v[178:179], -v[148:149]
	v_add_f64 v[1:2], v[5:6], v[1:2]
	v_fma_f64 v[5:6], v[135:136], v[178:179], v[141:142]
	v_add_f64 v[3:4], v[7:8], v[3:4]
	v_add_f64 v[1:2], v[1:2], v[133:134]
	v_add_f64 v[3:4], v[3:4], v[5:6]
	s_waitcnt vmcnt(2)
	v_add_f64 v[1:2], v[186:187], -v[1:2]
	s_waitcnt vmcnt(0)
	v_add_f64 v[3:4], v[198:199], -v[3:4]
	buffer_store_dword v2, off, s[0:3], 0 offset:516
	buffer_store_dword v1, off, s[0:3], 0 offset:512
	;; [unrolled: 1-line block ×4, first 2 shown]
	v_cmpx_lt_u32_e32 30, v0
	s_cbranch_execz .LBB125_337
; %bb.336:
	v_mov_b32_e32 v4, s46
	v_mov_b32_e32 v5, 0
	s_clause 0x3
	buffer_load_dword v1, v4, s[0:3], 0 offen
	buffer_load_dword v2, v4, s[0:3], 0 offen offset:4
	buffer_load_dword v3, v4, s[0:3], 0 offen offset:8
	;; [unrolled: 1-line block ×3, first 2 shown]
	buffer_store_dword v5, off, s[0:3], 0 offset:496
	buffer_store_dword v5, off, s[0:3], 0 offset:500
	;; [unrolled: 1-line block ×4, first 2 shown]
	s_waitcnt vmcnt(0)
	ds_write_b128 v193, v[1:4]
.LBB125_337:
	s_or_b32 exec_lo, exec_lo, s4
	s_waitcnt lgkmcnt(0)
	s_waitcnt_vscnt null, 0x0
	s_barrier
	buffer_gl0_inv
	s_clause 0x37
	buffer_load_dword v133, off, s[0:3], 0 offset:520
	buffer_load_dword v134, off, s[0:3], 0 offset:524
	;; [unrolled: 1-line block ×56, first 2 shown]
	v_mov_b32_e32 v153, 0
	s_mov_b32 s4, exec_lo
	ds_read_b128 v[141:144], v153 offset:1488
	s_clause 0x2
	buffer_load_dword v195, off, s[0:3], 0 offset:748
	buffer_load_dword v199, off, s[0:3], 0 offset:724
	;; [unrolled: 1-line block ×3, first 2 shown]
	ds_read_b128 v[145:148], v153 offset:1504
	s_clause 0x4
	buffer_load_dword v203, off, s[0:3], 0 offset:764
	buffer_load_dword v204, off, s[0:3], 0 offset:776
	;; [unrolled: 1-line block ×5, first 2 shown]
	ds_read_b128 v[149:152], v153 offset:1520
	s_clause 0x2
	buffer_load_dword v205, off, s[0:3], 0 offset:780
	buffer_load_dword v210, off, s[0:3], 0 offset:756
	;; [unrolled: 1-line block ×3, first 2 shown]
	s_waitcnt vmcnt(62) lgkmcnt(2)
	v_mul_f64 v[200:201], v[143:144], v[133:134]
	v_mul_f64 v[133:134], v[141:142], v[133:134]
	s_waitcnt lgkmcnt(1)
	v_mul_f64 v[207:208], v[147:148], v[5:6]
	s_waitcnt vmcnt(59) lgkmcnt(0)
	v_mul_f64 v[211:212], v[151:152], v[3:4]
	v_fma_f64 v[141:142], v[141:142], v[7:8], -v[200:201]
	v_mul_f64 v[200:201], v[145:146], v[5:6]
	v_fma_f64 v[133:134], v[143:144], v[7:8], v[133:134]
	s_waitcnt vmcnt(57)
	v_fma_f64 v[145:146], v[145:146], v[1:2], -v[207:208]
	ds_read_b128 v[5:8], v153 offset:1536
	v_mul_f64 v[143:144], v[149:150], v[3:4]
	s_waitcnt vmcnt(51)
	v_fma_f64 v[149:150], v[149:150], v[156:157], -v[211:212]
	v_add_f64 v[141:142], v[141:142], 0
	v_fma_f64 v[147:148], v[147:148], v[1:2], v[200:201]
	v_add_f64 v[133:134], v[133:134], 0
	s_clause 0x4
	buffer_load_dword v201, off, s[0:3], 0 offset:796
	buffer_load_dword v213, off, s[0:3], 0 offset:808
	;; [unrolled: 1-line block ×5, first 2 shown]
	s_waitcnt lgkmcnt(0)
	v_mul_f64 v[216:217], v[5:6], v[137:138]
	v_mul_f64 v[137:138], v[7:8], v[137:138]
	ds_read_b128 v[1:4], v153 offset:1552
	v_fma_f64 v[151:152], v[151:152], v[156:157], v[143:144]
	v_add_f64 v[145:146], v[141:142], v[145:146]
	v_add_f64 v[133:134], v[133:134], v[147:148]
	s_clause 0x2
	buffer_load_dword v214, off, s[0:3], 0 offset:812
	buffer_load_dword v148, off, s[0:3], 0 offset:788
	;; [unrolled: 1-line block ×3, first 2 shown]
	s_waitcnt vmcnt(58) lgkmcnt(0)
	v_mul_f64 v[156:157], v[1:2], v[154:155]
	v_mul_f64 v[154:155], v[3:4], v[154:155]
	s_waitcnt vmcnt(56)
	v_fma_f64 v[137:138], v[5:6], v[158:159], -v[137:138]
	ds_read_b128 v[141:144], v153 offset:1568
	v_add_f64 v[145:146], v[145:146], v[149:150]
	v_fma_f64 v[149:150], v[7:8], v[158:159], v[216:217]
	v_add_f64 v[133:134], v[133:134], v[151:152]
	s_clause 0x4
	buffer_load_dword v152, off, s[0:3], 0 offset:828
	buffer_load_dword v158, off, s[0:3], 0 offset:840
	;; [unrolled: 1-line block ×5, first 2 shown]
	ds_read_b128 v[5:8], v153 offset:1584
	s_waitcnt vmcnt(57) lgkmcnt(1)
	v_mul_f64 v[217:218], v[141:142], v[160:161]
	v_mul_f64 v[160:161], v[143:144], v[160:161]
	s_waitcnt vmcnt(56)
	v_fma_f64 v[154:155], v[1:2], v[135:136], -v[154:155]
	v_fma_f64 v[135:136], v[3:4], v[135:136], v[156:157]
	v_add_f64 v[137:138], v[145:146], v[137:138]
	s_clause 0x2
	buffer_load_dword v159, off, s[0:3], 0 offset:844
	buffer_load_dword v146, off, s[0:3], 0 offset:820
	;; [unrolled: 1-line block ×3, first 2 shown]
	v_add_f64 v[133:134], v[133:134], v[149:150]
	s_waitcnt vmcnt(58) lgkmcnt(0)
	v_mul_f64 v[156:157], v[7:8], v[162:163]
	ds_read_b128 v[1:4], v153 offset:1600
	v_mul_f64 v[149:150], v[5:6], v[162:163]
	s_waitcnt vmcnt(56)
	v_fma_f64 v[141:142], v[141:142], v[164:165], -v[160:161]
	v_fma_f64 v[143:144], v[143:144], v[164:165], v[217:218]
	s_clause 0x4
	buffer_load_dword v161, off, s[0:3], 0 offset:860
	buffer_load_dword v162, off, s[0:3], 0 offset:872
	;; [unrolled: 1-line block ×5, first 2 shown]
	v_add_f64 v[137:138], v[137:138], v[154:155]
	v_add_f64 v[154:155], v[133:134], v[135:136]
	s_waitcnt vmcnt(57) lgkmcnt(0)
	v_mul_f64 v[217:218], v[1:2], v[166:167]
	v_mul_f64 v[165:166], v[3:4], v[166:167]
	s_waitcnt vmcnt(56)
	v_fma_f64 v[156:157], v[5:6], v[139:140], -v[156:157]
	ds_read_b128 v[133:136], v153 offset:1616
	v_fma_f64 v[139:140], v[7:8], v[139:140], v[149:150]
	v_add_f64 v[137:138], v[137:138], v[141:142]
	v_add_f64 v[141:142], v[154:155], v[143:144]
	s_clause 0x2
	buffer_load_dword v163, off, s[0:3], 0 offset:876
	buffer_load_dword v144, off, s[0:3], 0 offset:852
	;; [unrolled: 1-line block ×3, first 2 shown]
	s_waitcnt vmcnt(58) lgkmcnt(0)
	v_mul_f64 v[154:155], v[135:136], v[168:169]
	s_waitcnt vmcnt(56)
	v_fma_f64 v[166:167], v[1:2], v[172:173], -v[165:166]
	ds_read_b128 v[5:8], v153 offset:1632
	v_mul_f64 v[149:150], v[133:134], v[168:169]
	v_add_f64 v[137:138], v[137:138], v[156:157]
	v_fma_f64 v[156:157], v[3:4], v[172:173], v[217:218]
	v_add_f64 v[139:140], v[141:142], v[139:140]
	s_clause 0x4
	buffer_load_dword v142, off, s[0:3], 0 offset:892
	buffer_load_dword v168, off, s[0:3], 0 offset:904
	buffer_load_dword v172, off, s[0:3], 0 offset:896
	buffer_load_dword v141, off, s[0:3], 0 offset:888
	buffer_load_dword v165, off, s[0:3], 0 offset:868
	s_waitcnt vmcnt(57) lgkmcnt(0)
	v_mul_f64 v[217:218], v[5:6], v[174:175]
	v_mul_f64 v[173:174], v[7:8], v[174:175]
	s_waitcnt vmcnt(56)
	v_fma_f64 v[154:155], v[133:134], v[170:171], -v[154:155]
	ds_read_b128 v[1:4], v153 offset:1648
	v_fma_f64 v[149:150], v[135:136], v[170:171], v[149:150]
	v_add_f64 v[137:138], v[137:138], v[166:167]
	v_add_f64 v[139:140], v[139:140], v[156:157]
	s_clause 0x2
	buffer_load_dword v169, off, s[0:3], 0 offset:908
	buffer_load_dword v157, off, s[0:3], 0 offset:884
	buffer_load_dword v156, off, s[0:3], 0 offset:880
	ds_read_b128 v[133:136], v153 offset:1664
	s_waitcnt vmcnt(58) lgkmcnt(1)
	v_mul_f64 v[170:171], v[3:4], v[176:177]
	s_waitcnt vmcnt(56)
	v_fma_f64 v[174:175], v[5:6], v[180:181], -v[173:174]
	v_mul_f64 v[166:167], v[1:2], v[176:177]
	v_add_f64 v[137:138], v[137:138], v[154:155]
	v_fma_f64 v[154:155], v[7:8], v[180:181], v[217:218]
	v_add_f64 v[139:140], v[139:140], v[149:150]
	s_clause 0x4
	buffer_load_dword v150, off, s[0:3], 0 offset:924
	buffer_load_dword v176, off, s[0:3], 0 offset:936
	buffer_load_dword v180, off, s[0:3], 0 offset:928
	buffer_load_dword v149, off, s[0:3], 0 offset:920
	buffer_load_dword v173, off, s[0:3], 0 offset:900
	s_waitcnt vmcnt(57) lgkmcnt(0)
	v_mul_f64 v[217:218], v[133:134], v[182:183]
	v_mul_f64 v[181:182], v[135:136], v[182:183]
	s_waitcnt vmcnt(56)
	v_fma_f64 v[170:171], v[1:2], v[178:179], -v[170:171]
	ds_read_b128 v[5:8], v153 offset:1680
	v_fma_f64 v[166:167], v[3:4], v[178:179], v[166:167]
	v_add_f64 v[137:138], v[137:138], v[174:175]
	v_add_f64 v[139:140], v[139:140], v[154:155]
	s_clause 0x2
	buffer_load_dword v177, off, s[0:3], 0 offset:940
	buffer_load_dword v155, off, s[0:3], 0 offset:916
	buffer_load_dword v154, off, s[0:3], 0 offset:912
	ds_read_b128 v[1:4], v153 offset:1696
	s_waitcnt vmcnt(58) lgkmcnt(1)
	v_mul_f64 v[178:179], v[7:8], v[184:185]
	s_waitcnt vmcnt(56)
	v_fma_f64 v[182:183], v[133:134], v[188:189], -v[181:182]
	;; [unrolled: 28-line block ×4, first 2 shown]
	v_mul_f64 v[190:191], v[1:2], v[204:205]
	buffer_load_dword v199, off, s[0:3], 0 offset:996
	v_add_f64 v[137:138], v[137:138], v[186:187]
	v_fma_f64 v[186:187], v[7:8], v[209:210], v[217:218]
	v_add_f64 v[139:140], v[139:140], v[182:183]
	ds_read_b128 v[5:8], v153 offset:1776
	s_waitcnt vmcnt(53) lgkmcnt(1)
	v_mul_f64 v[182:183], v[133:134], v[200:201]
	v_mul_f64 v[200:201], v[135:136], v[200:201]
	s_waitcnt vmcnt(52)
	v_fma_f64 v[196:197], v[1:2], v[206:207], -v[196:197]
	v_fma_f64 v[190:191], v[3:4], v[206:207], v[190:191]
	ds_read_b128 v[1:4], v153 offset:1792
	v_add_f64 v[137:138], v[137:138], v[202:203]
	v_add_f64 v[139:140], v[139:140], v[186:187]
	s_waitcnt vmcnt(51) lgkmcnt(1)
	v_mul_f64 v[202:203], v[7:8], v[213:214]
	v_mul_f64 v[186:187], v[5:6], v[213:214]
	s_waitcnt vmcnt(49)
	v_fma_f64 v[200:201], v[133:134], v[147:148], -v[200:201]
	v_fma_f64 v[147:148], v[135:136], v[147:148], v[182:183]
	v_add_f64 v[137:138], v[137:138], v[196:197]
	v_add_f64 v[139:140], v[139:140], v[190:191]
	s_clause 0x3
	buffer_load_dword v182, off, s[0:3], 0 offset:496
	buffer_load_dword v183, off, s[0:3], 0 offset:500
	;; [unrolled: 1-line block ×4, first 2 shown]
	ds_read_b128 v[133:136], v153 offset:1808
	s_waitcnt vmcnt(49) lgkmcnt(1)
	v_mul_f64 v[196:197], v[1:2], v[151:152]
	v_mul_f64 v[151:152], v[3:4], v[151:152]
	s_waitcnt vmcnt(48)
	v_fma_f64 v[202:203], v[5:6], v[215:216], -v[202:203]
	v_fma_f64 v[186:187], v[7:8], v[215:216], v[186:187]
	ds_read_b128 v[5:8], v153 offset:1824
	v_add_f64 v[137:138], v[137:138], v[200:201]
	v_add_f64 v[139:140], v[139:140], v[147:148]
	s_waitcnt vmcnt(47) lgkmcnt(1)
	v_mul_f64 v[147:148], v[133:134], v[158:159]
	v_mul_f64 v[158:159], v[135:136], v[158:159]
	s_waitcnt vmcnt(45)
	v_fma_f64 v[151:152], v[1:2], v[145:146], -v[151:152]
	v_fma_f64 v[145:146], v[3:4], v[145:146], v[196:197]
	ds_read_b128 v[1:4], v153 offset:1840
	v_add_f64 v[137:138], v[137:138], v[202:203]
	v_add_f64 v[139:140], v[139:140], v[186:187]
	s_waitcnt vmcnt(41) lgkmcnt(1)
	v_mul_f64 v[186:187], v[5:6], v[160:161]
	v_mul_f64 v[160:161], v[7:8], v[160:161]
	s_waitcnt vmcnt(40)
	v_fma_f64 v[147:148], v[135:136], v[211:212], v[147:148]
	v_fma_f64 v[158:159], v[133:134], v[211:212], -v[158:159]
	ds_read_b128 v[133:136], v153 offset:1856
	v_add_f64 v[137:138], v[137:138], v[151:152]
	v_add_f64 v[139:140], v[139:140], v[145:146]
	s_waitcnt vmcnt(39) lgkmcnt(1)
	v_mul_f64 v[151:152], v[3:4], v[162:163]
	v_mul_f64 v[145:146], v[1:2], v[162:163]
	s_waitcnt vmcnt(37)
	v_fma_f64 v[160:161], v[5:6], v[143:144], -v[160:161]
	v_fma_f64 v[143:144], v[7:8], v[143:144], v[186:187]
	ds_read_b128 v[5:8], v153 offset:1872
	v_add_f64 v[137:138], v[137:138], v[158:159]
	v_add_f64 v[139:140], v[139:140], v[147:148]
	s_waitcnt vmcnt(33) lgkmcnt(1)
	v_mul_f64 v[147:148], v[133:134], v[141:142]
	v_mul_f64 v[141:142], v[135:136], v[141:142]
	s_waitcnt vmcnt(32)
	v_fma_f64 v[151:152], v[1:2], v[164:165], -v[151:152]
	v_fma_f64 v[145:146], v[3:4], v[164:165], v[145:146]
	;; [unrolled: 9-line block ×3, first 2 shown]
	ds_read_b128 v[133:136], v153 offset:1904
	v_add_f64 v[137:138], v[137:138], v[151:152]
	v_add_f64 v[139:140], v[139:140], v[145:146]
	s_waitcnt vmcnt(25) lgkmcnt(1)
	v_mul_f64 v[145:146], v[1:2], v[149:150]
	v_mul_f64 v[149:150], v[3:4], v[149:150]
	s_waitcnt vmcnt(24)
	v_fma_f64 v[151:152], v[5:6], v[172:173], -v[158:159]
	v_add_f64 v[137:138], v[137:138], v[141:142]
	v_fma_f64 v[141:142], v[7:8], v[172:173], v[143:144]
	v_add_f64 v[139:140], v[139:140], v[147:148]
	ds_read_b128 v[5:8], v153 offset:1920
	s_waitcnt vmcnt(23) lgkmcnt(1)
	v_mul_f64 v[147:148], v[135:136], v[176:177]
	v_mul_f64 v[143:144], v[133:134], v[176:177]
	s_waitcnt vmcnt(21)
	v_fma_f64 v[149:150], v[1:2], v[154:155], -v[149:150]
	v_fma_f64 v[145:146], v[3:4], v[154:155], v[145:146]
	ds_read_b128 v[1:4], v153 offset:1936
	v_add_f64 v[137:138], v[137:138], v[151:152]
	v_add_f64 v[139:140], v[139:140], v[141:142]
	s_waitcnt vmcnt(17) lgkmcnt(1)
	v_mul_f64 v[151:152], v[7:8], v[166:167]
	s_waitcnt vmcnt(16)
	v_fma_f64 v[147:148], v[133:134], v[180:181], -v[147:148]
	v_mul_f64 v[141:142], v[5:6], v[166:167]
	v_fma_f64 v[143:144], v[135:136], v[180:181], v[143:144]
	ds_read_b128 v[133:136], v153 offset:1952
	v_add_f64 v[137:138], v[137:138], v[149:150]
	v_add_f64 v[139:140], v[139:140], v[145:146]
	s_waitcnt vmcnt(15) lgkmcnt(1)
	v_mul_f64 v[149:150], v[3:4], v[184:185]
	v_mul_f64 v[145:146], v[1:2], v[184:185]
	s_waitcnt vmcnt(13)
	v_fma_f64 v[151:152], v[5:6], v[170:171], -v[151:152]
	v_fma_f64 v[141:142], v[7:8], v[170:171], v[141:142]
	ds_read_b128 v[5:8], v153 offset:1968
	v_add_f64 v[137:138], v[137:138], v[147:148]
	v_add_f64 v[139:140], v[139:140], v[143:144]
	s_waitcnt vmcnt(9) lgkmcnt(1)
	v_mul_f64 v[147:148], v[135:136], v[174:175]
	s_waitcnt vmcnt(8)
	v_fma_f64 v[1:2], v[1:2], v[188:189], -v[149:150]
	v_mul_f64 v[143:144], v[133:134], v[174:175]
	v_fma_f64 v[3:4], v[3:4], v[188:189], v[145:146]
	v_add_f64 v[137:138], v[137:138], v[151:152]
	v_add_f64 v[139:140], v[139:140], v[141:142]
	s_waitcnt vmcnt(7) lgkmcnt(0)
	v_mul_f64 v[145:146], v[7:8], v[194:195]
	v_mul_f64 v[141:142], v[5:6], v[194:195]
	s_waitcnt vmcnt(5)
	v_fma_f64 v[133:134], v[133:134], v[178:179], -v[147:148]
	v_fma_f64 v[135:136], v[135:136], v[178:179], v[143:144]
	v_add_f64 v[1:2], v[137:138], v[1:2]
	v_add_f64 v[3:4], v[139:140], v[3:4]
	s_waitcnt vmcnt(4)
	v_fma_f64 v[5:6], v[5:6], v[198:199], -v[145:146]
	v_fma_f64 v[7:8], v[7:8], v[198:199], v[141:142]
	v_add_f64 v[1:2], v[1:2], v[133:134]
	v_add_f64 v[3:4], v[3:4], v[135:136]
	;; [unrolled: 1-line block ×4, first 2 shown]
	s_waitcnt vmcnt(2)
	v_add_f64 v[1:2], v[182:183], -v[1:2]
	s_waitcnt vmcnt(0)
	v_add_f64 v[3:4], v[190:191], -v[3:4]
	buffer_store_dword v2, off, s[0:3], 0 offset:500
	buffer_store_dword v1, off, s[0:3], 0 offset:496
	;; [unrolled: 1-line block ×4, first 2 shown]
	v_cmpx_lt_u32_e32 29, v0
	s_cbranch_execz .LBB125_339
; %bb.338:
	v_mov_b32_e32 v4, s47
	s_clause 0x3
	buffer_load_dword v1, v4, s[0:3], 0 offen
	buffer_load_dword v2, v4, s[0:3], 0 offen offset:4
	buffer_load_dword v3, v4, s[0:3], 0 offen offset:8
	;; [unrolled: 1-line block ×3, first 2 shown]
	buffer_store_dword v153, off, s[0:3], 0 offset:480
	buffer_store_dword v153, off, s[0:3], 0 offset:484
	;; [unrolled: 1-line block ×4, first 2 shown]
	s_waitcnt vmcnt(0)
	ds_write_b128 v193, v[1:4]
.LBB125_339:
	s_or_b32 exec_lo, exec_lo, s4
	s_waitcnt lgkmcnt(0)
	s_waitcnt_vscnt null, 0x0
	s_barrier
	buffer_gl0_inv
	s_clause 0x37
	buffer_load_dword v133, off, s[0:3], 0 offset:504
	buffer_load_dword v134, off, s[0:3], 0 offset:508
	;; [unrolled: 1-line block ×56, first 2 shown]
	ds_read_b128 v[154:157], v153 offset:1472
	s_clause 0x2
	buffer_load_dword v195, off, s[0:3], 0 offset:732
	buffer_load_dword v199, off, s[0:3], 0 offset:708
	;; [unrolled: 1-line block ×3, first 2 shown]
	ds_read_b128 v[158:161], v153 offset:1488
	s_clause 0x4
	buffer_load_dword v203, off, s[0:3], 0 offset:748
	buffer_load_dword v204, off, s[0:3], 0 offset:760
	;; [unrolled: 1-line block ×5, first 2 shown]
	ds_read_b128 v[162:165], v153 offset:1504
	s_clause 0x2
	buffer_load_dword v205, off, s[0:3], 0 offset:764
	buffer_load_dword v210, off, s[0:3], 0 offset:740
	buffer_load_dword v209, off, s[0:3], 0 offset:736
	s_mov_b32 s4, exec_lo
	s_waitcnt vmcnt(62) lgkmcnt(2)
	v_mul_f64 v[200:201], v[156:157], v[133:134]
	v_mul_f64 v[133:134], v[154:155], v[133:134]
	s_waitcnt lgkmcnt(1)
	v_mul_f64 v[207:208], v[160:161], v[5:6]
	s_waitcnt vmcnt(59) lgkmcnt(0)
	v_mul_f64 v[211:212], v[164:165], v[3:4]
	v_fma_f64 v[154:155], v[154:155], v[7:8], -v[200:201]
	v_mul_f64 v[200:201], v[158:159], v[5:6]
	v_fma_f64 v[133:134], v[156:157], v[7:8], v[133:134]
	s_waitcnt vmcnt(57)
	v_fma_f64 v[158:159], v[158:159], v[1:2], -v[207:208]
	ds_read_b128 v[5:8], v153 offset:1520
	v_mul_f64 v[156:157], v[162:163], v[3:4]
	s_waitcnt vmcnt(51)
	v_fma_f64 v[162:163], v[162:163], v[149:150], -v[211:212]
	v_add_f64 v[154:155], v[154:155], 0
	v_fma_f64 v[160:161], v[160:161], v[1:2], v[200:201]
	v_add_f64 v[133:134], v[133:134], 0
	s_clause 0x4
	buffer_load_dword v201, off, s[0:3], 0 offset:780
	buffer_load_dword v213, off, s[0:3], 0 offset:792
	buffer_load_dword v215, off, s[0:3], 0 offset:784
	buffer_load_dword v200, off, s[0:3], 0 offset:776
	buffer_load_dword v207, off, s[0:3], 0 offset:756
	s_waitcnt lgkmcnt(0)
	v_mul_f64 v[216:217], v[5:6], v[137:138]
	v_mul_f64 v[137:138], v[7:8], v[137:138]
	ds_read_b128 v[1:4], v153 offset:1536
	v_fma_f64 v[149:150], v[164:165], v[149:150], v[156:157]
	v_add_f64 v[158:159], v[154:155], v[158:159]
	v_add_f64 v[133:134], v[133:134], v[160:161]
	s_clause 0x2
	buffer_load_dword v214, off, s[0:3], 0 offset:796
	buffer_load_dword v161, off, s[0:3], 0 offset:772
	;; [unrolled: 1-line block ×3, first 2 shown]
	s_waitcnt vmcnt(58) lgkmcnt(0)
	v_mul_f64 v[164:165], v[1:2], v[141:142]
	v_mul_f64 v[141:142], v[3:4], v[141:142]
	s_waitcnt vmcnt(56)
	v_fma_f64 v[137:138], v[5:6], v[143:144], -v[137:138]
	ds_read_b128 v[154:157], v153 offset:1552
	v_fma_f64 v[143:144], v[7:8], v[143:144], v[216:217]
	v_add_f64 v[158:159], v[158:159], v[162:163]
	v_add_f64 v[133:134], v[133:134], v[149:150]
	s_clause 0x4
	buffer_load_dword v150, off, s[0:3], 0 offset:812
	buffer_load_dword v162, off, s[0:3], 0 offset:824
	;; [unrolled: 1-line block ×5, first 2 shown]
	ds_read_b128 v[5:8], v153 offset:1568
	s_waitcnt vmcnt(57) lgkmcnt(1)
	v_mul_f64 v[217:218], v[154:155], v[145:146]
	v_mul_f64 v[145:146], v[156:157], v[145:146]
	s_waitcnt vmcnt(56)
	v_fma_f64 v[141:142], v[1:2], v[135:136], -v[141:142]
	v_fma_f64 v[135:136], v[3:4], v[135:136], v[164:165]
	v_add_f64 v[137:138], v[158:159], v[137:138]
	v_add_f64 v[133:134], v[133:134], v[143:144]
	s_clause 0x2
	buffer_load_dword v163, off, s[0:3], 0 offset:828
	buffer_load_dword v144, off, s[0:3], 0 offset:804
	;; [unrolled: 1-line block ×3, first 2 shown]
	s_waitcnt vmcnt(58) lgkmcnt(0)
	v_mul_f64 v[158:159], v[5:6], v[151:152]
	v_mul_f64 v[151:152], v[7:8], v[151:152]
	s_waitcnt vmcnt(56)
	v_fma_f64 v[145:146], v[154:155], v[166:167], -v[145:146]
	ds_read_b128 v[1:4], v153 offset:1584
	v_add_f64 v[137:138], v[137:138], v[141:142]
	v_fma_f64 v[141:142], v[156:157], v[166:167], v[217:218]
	v_add_f64 v[154:155], v[133:134], v[135:136]
	s_clause 0x4
	buffer_load_dword v157, off, s[0:3], 0 offset:844
	buffer_load_dword v164, off, s[0:3], 0 offset:856
	buffer_load_dword v166, off, s[0:3], 0 offset:848
	buffer_load_dword v156, off, s[0:3], 0 offset:840
	buffer_load_dword v212, off, s[0:3], 0 offset:820
	ds_read_b128 v[133:136], v153 offset:1600
	s_waitcnt vmcnt(57) lgkmcnt(1)
	v_mul_f64 v[217:218], v[1:2], v[168:169]
	v_mul_f64 v[167:168], v[3:4], v[168:169]
	s_waitcnt vmcnt(56)
	v_fma_f64 v[151:152], v[5:6], v[139:140], -v[151:152]
	v_fma_f64 v[139:140], v[7:8], v[139:140], v[158:159]
	v_add_f64 v[137:138], v[137:138], v[145:146]
	s_clause 0x2
	buffer_load_dword v165, off, s[0:3], 0 offset:860
	buffer_load_dword v146, off, s[0:3], 0 offset:836
	;; [unrolled: 1-line block ×3, first 2 shown]
	v_add_f64 v[141:142], v[154:155], v[141:142]
	s_waitcnt vmcnt(58) lgkmcnt(0)
	v_mul_f64 v[158:159], v[135:136], v[170:171]
	ds_read_b128 v[5:8], v153 offset:1616
	v_mul_f64 v[154:155], v[133:134], v[170:171]
	s_waitcnt vmcnt(56)
	v_fma_f64 v[168:169], v[1:2], v[172:173], -v[167:168]
	v_add_f64 v[137:138], v[137:138], v[151:152]
	v_fma_f64 v[151:152], v[3:4], v[172:173], v[217:218]
	v_add_f64 v[139:140], v[141:142], v[139:140]
	s_clause 0x4
	buffer_load_dword v142, off, s[0:3], 0 offset:876
	buffer_load_dword v170, off, s[0:3], 0 offset:888
	buffer_load_dword v172, off, s[0:3], 0 offset:880
	buffer_load_dword v141, off, s[0:3], 0 offset:872
	buffer_load_dword v167, off, s[0:3], 0 offset:852
	s_waitcnt vmcnt(57) lgkmcnt(0)
	v_mul_f64 v[217:218], v[5:6], v[174:175]
	v_mul_f64 v[173:174], v[7:8], v[174:175]
	s_waitcnt vmcnt(56)
	v_fma_f64 v[158:159], v[133:134], v[147:148], -v[158:159]
	ds_read_b128 v[1:4], v153 offset:1632
	v_fma_f64 v[147:148], v[135:136], v[147:148], v[154:155]
	v_add_f64 v[137:138], v[137:138], v[168:169]
	v_add_f64 v[139:140], v[139:140], v[151:152]
	s_clause 0x2
	buffer_load_dword v171, off, s[0:3], 0 offset:892
	buffer_load_dword v152, off, s[0:3], 0 offset:868
	buffer_load_dword v151, off, s[0:3], 0 offset:864
	ds_read_b128 v[133:136], v153 offset:1648
	s_waitcnt vmcnt(58) lgkmcnt(1)
	v_mul_f64 v[168:169], v[3:4], v[176:177]
	s_waitcnt vmcnt(56)
	v_fma_f64 v[174:175], v[5:6], v[180:181], -v[173:174]
	v_mul_f64 v[154:155], v[1:2], v[176:177]
	v_add_f64 v[137:138], v[137:138], v[158:159]
	v_fma_f64 v[158:159], v[7:8], v[180:181], v[217:218]
	v_add_f64 v[139:140], v[139:140], v[147:148]
	s_clause 0x4
	buffer_load_dword v148, off, s[0:3], 0 offset:908
	buffer_load_dword v176, off, s[0:3], 0 offset:920
	buffer_load_dword v180, off, s[0:3], 0 offset:912
	buffer_load_dword v147, off, s[0:3], 0 offset:904
	buffer_load_dword v173, off, s[0:3], 0 offset:884
	s_waitcnt vmcnt(57) lgkmcnt(0)
	v_mul_f64 v[217:218], v[133:134], v[182:183]
	v_mul_f64 v[181:182], v[135:136], v[182:183]
	s_waitcnt vmcnt(56)
	v_fma_f64 v[168:169], v[1:2], v[178:179], -v[168:169]
	ds_read_b128 v[5:8], v153 offset:1664
	v_fma_f64 v[154:155], v[3:4], v[178:179], v[154:155]
	v_add_f64 v[137:138], v[137:138], v[174:175]
	v_add_f64 v[139:140], v[139:140], v[158:159]
	s_clause 0x2
	buffer_load_dword v177, off, s[0:3], 0 offset:924
	buffer_load_dword v159, off, s[0:3], 0 offset:900
	buffer_load_dword v158, off, s[0:3], 0 offset:896
	ds_read_b128 v[1:4], v153 offset:1680
	s_waitcnt vmcnt(58) lgkmcnt(1)
	v_mul_f64 v[178:179], v[7:8], v[184:185]
	s_waitcnt vmcnt(56)
	v_fma_f64 v[182:183], v[133:134], v[188:189], -v[181:182]
	v_mul_f64 v[174:175], v[5:6], v[184:185]
	;; [unrolled: 28-line block ×4, first 2 shown]
	v_add_f64 v[137:138], v[137:138], v[186:187]
	v_fma_f64 v[186:187], v[7:8], v[209:210], v[217:218]
	v_add_f64 v[139:140], v[139:140], v[182:183]
	s_clause 0x2
	buffer_load_dword v183, off, s[0:3], 0 offset:1004
	buffer_load_dword v182, off, s[0:3], 0 offset:1000
	;; [unrolled: 1-line block ×3, first 2 shown]
	ds_read_b128 v[5:8], v153 offset:1760
	s_waitcnt vmcnt(55) lgkmcnt(1)
	v_mul_f64 v[204:205], v[133:134], v[200:201]
	v_mul_f64 v[200:201], v[135:136], v[200:201]
	s_waitcnt vmcnt(54)
	v_fma_f64 v[196:197], v[1:2], v[206:207], -v[196:197]
	v_fma_f64 v[190:191], v[3:4], v[206:207], v[190:191]
	v_add_f64 v[137:138], v[137:138], v[202:203]
	v_add_f64 v[139:140], v[139:140], v[186:187]
	s_clause 0x1
	buffer_load_dword v187, off, s[0:3], 0 offset:996
	buffer_load_dword v186, off, s[0:3], 0 offset:992
	ds_read_b128 v[1:4], v153 offset:1776
	s_waitcnt vmcnt(55) lgkmcnt(1)
	v_mul_f64 v[206:207], v[7:8], v[213:214]
	v_mul_f64 v[202:203], v[5:6], v[213:214]
	s_waitcnt vmcnt(53)
	v_fma_f64 v[200:201], v[133:134], v[160:161], -v[200:201]
	v_fma_f64 v[160:161], v[135:136], v[160:161], v[204:205]
	ds_read_b128 v[133:136], v153 offset:1792
	v_add_f64 v[137:138], v[137:138], v[196:197]
	v_add_f64 v[139:140], v[139:140], v[190:191]
	s_waitcnt vmcnt(49) lgkmcnt(1)
	v_mul_f64 v[190:191], v[1:2], v[149:150]
	v_mul_f64 v[149:150], v[3:4], v[149:150]
	s_waitcnt vmcnt(48)
	v_fma_f64 v[196:197], v[5:6], v[215:216], -v[206:207]
	v_add_f64 v[137:138], v[137:138], v[200:201]
	v_fma_f64 v[200:201], v[7:8], v[215:216], v[202:203]
	v_add_f64 v[139:140], v[139:140], v[160:161]
	s_clause 0x3
	buffer_load_dword v160, off, s[0:3], 0 offset:480
	buffer_load_dword v161, off, s[0:3], 0 offset:484
	;; [unrolled: 1-line block ×4, first 2 shown]
	ds_read_b128 v[5:8], v153 offset:1808
	s_waitcnt vmcnt(51) lgkmcnt(1)
	v_mul_f64 v[204:205], v[133:134], v[162:163]
	v_mul_f64 v[162:163], v[135:136], v[162:163]
	s_waitcnt vmcnt(49)
	v_fma_f64 v[149:150], v[1:2], v[143:144], -v[149:150]
	v_fma_f64 v[143:144], v[3:4], v[143:144], v[190:191]
	ds_read_b128 v[1:4], v153 offset:1824
	v_add_f64 v[137:138], v[137:138], v[196:197]
	v_add_f64 v[139:140], v[139:140], v[200:201]
	s_waitcnt vmcnt(45) lgkmcnt(1)
	v_mul_f64 v[190:191], v[5:6], v[156:157]
	v_mul_f64 v[156:157], v[7:8], v[156:157]
	s_waitcnt vmcnt(44)
	v_fma_f64 v[162:163], v[133:134], v[211:212], -v[162:163]
	v_add_f64 v[137:138], v[137:138], v[149:150]
	v_fma_f64 v[149:150], v[135:136], v[211:212], v[204:205]
	v_add_f64 v[139:140], v[139:140], v[143:144]
	ds_read_b128 v[133:136], v153 offset:1840
	s_waitcnt vmcnt(43) lgkmcnt(1)
	v_mul_f64 v[143:144], v[1:2], v[164:165]
	v_mul_f64 v[164:165], v[3:4], v[164:165]
	s_waitcnt vmcnt(41)
	v_fma_f64 v[156:157], v[5:6], v[145:146], -v[156:157]
	v_fma_f64 v[145:146], v[7:8], v[145:146], v[190:191]
	ds_read_b128 v[5:8], v153 offset:1856
	v_add_f64 v[137:138], v[137:138], v[162:163]
	v_add_f64 v[139:140], v[139:140], v[149:150]
	s_waitcnt vmcnt(37) lgkmcnt(1)
	v_mul_f64 v[149:150], v[133:134], v[141:142]
	v_mul_f64 v[141:142], v[135:136], v[141:142]
	s_waitcnt vmcnt(36)
	v_fma_f64 v[162:163], v[1:2], v[166:167], -v[164:165]
	v_fma_f64 v[143:144], v[3:4], v[166:167], v[143:144]
	ds_read_b128 v[1:4], v153 offset:1872
	v_add_f64 v[137:138], v[137:138], v[156:157]
	v_add_f64 v[139:140], v[139:140], v[145:146]
	;; [unrolled: 9-line block ×3, first 2 shown]
	s_waitcnt vmcnt(29) lgkmcnt(1)
	v_mul_f64 v[143:144], v[1:2], v[147:148]
	v_mul_f64 v[147:148], v[3:4], v[147:148]
	s_waitcnt vmcnt(28)
	v_fma_f64 v[151:152], v[5:6], v[172:173], -v[156:157]
	v_add_f64 v[137:138], v[137:138], v[141:142]
	v_fma_f64 v[141:142], v[7:8], v[172:173], v[145:146]
	v_add_f64 v[139:140], v[139:140], v[149:150]
	ds_read_b128 v[5:8], v153 offset:1904
	s_waitcnt vmcnt(27) lgkmcnt(1)
	v_mul_f64 v[149:150], v[135:136], v[176:177]
	v_mul_f64 v[145:146], v[133:134], v[176:177]
	s_waitcnt vmcnt(25)
	v_fma_f64 v[147:148], v[1:2], v[158:159], -v[147:148]
	v_fma_f64 v[143:144], v[3:4], v[158:159], v[143:144]
	ds_read_b128 v[1:4], v153 offset:1920
	v_add_f64 v[137:138], v[137:138], v[151:152]
	v_add_f64 v[139:140], v[139:140], v[141:142]
	s_waitcnt vmcnt(21) lgkmcnt(1)
	v_mul_f64 v[151:152], v[7:8], v[154:155]
	s_waitcnt vmcnt(20)
	v_fma_f64 v[149:150], v[133:134], v[180:181], -v[149:150]
	v_mul_f64 v[141:142], v[5:6], v[154:155]
	v_fma_f64 v[145:146], v[135:136], v[180:181], v[145:146]
	ds_read_b128 v[133:136], v153 offset:1936
	v_add_f64 v[137:138], v[137:138], v[147:148]
	v_add_f64 v[139:140], v[139:140], v[143:144]
	s_waitcnt vmcnt(19) lgkmcnt(1)
	v_mul_f64 v[147:148], v[3:4], v[184:185]
	v_mul_f64 v[143:144], v[1:2], v[184:185]
	s_waitcnt vmcnt(17)
	v_fma_f64 v[151:152], v[5:6], v[168:169], -v[151:152]
	v_fma_f64 v[141:142], v[7:8], v[168:169], v[141:142]
	ds_read_b128 v[5:8], v153 offset:1952
	v_add_f64 v[137:138], v[137:138], v[149:150]
	v_add_f64 v[139:140], v[139:140], v[145:146]
	s_waitcnt vmcnt(13) lgkmcnt(1)
	v_mul_f64 v[149:150], v[135:136], v[174:175]
	s_waitcnt vmcnt(12)
	v_fma_f64 v[147:148], v[1:2], v[188:189], -v[147:148]
	v_mul_f64 v[145:146], v[133:134], v[174:175]
	v_fma_f64 v[143:144], v[3:4], v[188:189], v[143:144]
	ds_read_b128 v[1:4], v153 offset:1968
	v_add_f64 v[137:138], v[137:138], v[151:152]
	v_add_f64 v[139:140], v[139:140], v[141:142]
	s_waitcnt vmcnt(11) lgkmcnt(1)
	v_mul_f64 v[151:152], v[7:8], v[194:195]
	v_mul_f64 v[141:142], v[5:6], v[194:195]
	s_waitcnt vmcnt(9)
	v_fma_f64 v[133:134], v[133:134], v[178:179], -v[149:150]
	v_fma_f64 v[135:136], v[135:136], v[178:179], v[145:146]
	v_add_f64 v[137:138], v[137:138], v[147:148]
	v_add_f64 v[139:140], v[139:140], v[143:144]
	s_waitcnt vmcnt(7) lgkmcnt(0)
	v_mul_f64 v[145:146], v[3:4], v[182:183]
	s_waitcnt vmcnt(6)
	v_fma_f64 v[5:6], v[5:6], v[198:199], -v[151:152]
	v_mul_f64 v[143:144], v[1:2], v[182:183]
	v_fma_f64 v[7:8], v[7:8], v[198:199], v[141:142]
	v_add_f64 v[133:134], v[137:138], v[133:134]
	v_add_f64 v[135:136], v[139:140], v[135:136]
	s_waitcnt vmcnt(4)
	v_fma_f64 v[1:2], v[1:2], v[186:187], -v[145:146]
	v_fma_f64 v[3:4], v[3:4], v[186:187], v[143:144]
	v_add_f64 v[5:6], v[133:134], v[5:6]
	v_add_f64 v[7:8], v[135:136], v[7:8]
	;; [unrolled: 1-line block ×4, first 2 shown]
	s_waitcnt vmcnt(2)
	v_add_f64 v[1:2], v[160:161], -v[1:2]
	s_waitcnt vmcnt(0)
	v_add_f64 v[3:4], v[202:203], -v[3:4]
	buffer_store_dword v2, off, s[0:3], 0 offset:484
	buffer_store_dword v1, off, s[0:3], 0 offset:480
	;; [unrolled: 1-line block ×4, first 2 shown]
	v_cmpx_lt_u32_e32 28, v0
	s_cbranch_execz .LBB125_341
; %bb.340:
	v_mov_b32_e32 v4, s48
	v_mov_b32_e32 v5, 0
	s_clause 0x3
	buffer_load_dword v1, v4, s[0:3], 0 offen
	buffer_load_dword v2, v4, s[0:3], 0 offen offset:4
	buffer_load_dword v3, v4, s[0:3], 0 offen offset:8
	;; [unrolled: 1-line block ×3, first 2 shown]
	buffer_store_dword v5, off, s[0:3], 0 offset:464
	buffer_store_dword v5, off, s[0:3], 0 offset:468
	;; [unrolled: 1-line block ×4, first 2 shown]
	s_waitcnt vmcnt(0)
	ds_write_b128 v193, v[1:4]
.LBB125_341:
	s_or_b32 exec_lo, exec_lo, s4
	s_waitcnt lgkmcnt(0)
	s_waitcnt_vscnt null, 0x0
	s_barrier
	buffer_gl0_inv
	s_clause 0x37
	buffer_load_dword v133, off, s[0:3], 0 offset:488
	buffer_load_dword v134, off, s[0:3], 0 offset:492
	;; [unrolled: 1-line block ×56, first 2 shown]
	v_mov_b32_e32 v175, 0
	s_mov_b32 s4, exec_lo
	ds_read_b128 v[163:166], v175 offset:1456
	s_clause 0x2
	buffer_load_dword v195, off, s[0:3], 0 offset:716
	buffer_load_dword v199, off, s[0:3], 0 offset:692
	;; [unrolled: 1-line block ×3, first 2 shown]
	ds_read_b128 v[167:170], v175 offset:1472
	s_clause 0x4
	buffer_load_dword v203, off, s[0:3], 0 offset:732
	buffer_load_dword v204, off, s[0:3], 0 offset:744
	buffer_load_dword v206, off, s[0:3], 0 offset:736
	buffer_load_dword v202, off, s[0:3], 0 offset:728
	buffer_load_dword v197, off, s[0:3], 0 offset:708
	ds_read_b128 v[171:174], v175 offset:1488
	s_clause 0x2
	buffer_load_dword v205, off, s[0:3], 0 offset:748
	buffer_load_dword v210, off, s[0:3], 0 offset:724
	;; [unrolled: 1-line block ×3, first 2 shown]
	s_waitcnt vmcnt(62) lgkmcnt(2)
	v_mul_f64 v[200:201], v[165:166], v[133:134]
	v_mul_f64 v[133:134], v[163:164], v[133:134]
	s_waitcnt lgkmcnt(1)
	v_mul_f64 v[207:208], v[169:170], v[5:6]
	s_waitcnt vmcnt(59) lgkmcnt(0)
	v_mul_f64 v[211:212], v[173:174], v[3:4]
	v_fma_f64 v[163:164], v[163:164], v[7:8], -v[200:201]
	v_mul_f64 v[200:201], v[167:168], v[5:6]
	v_fma_f64 v[133:134], v[165:166], v[7:8], v[133:134]
	s_waitcnt vmcnt(57)
	v_fma_f64 v[167:168], v[167:168], v[1:2], -v[207:208]
	ds_read_b128 v[5:8], v175 offset:1504
	v_mul_f64 v[165:166], v[171:172], v[3:4]
	s_waitcnt vmcnt(51)
	v_fma_f64 v[171:172], v[171:172], v[149:150], -v[211:212]
	v_add_f64 v[163:164], v[163:164], 0
	v_fma_f64 v[169:170], v[169:170], v[1:2], v[200:201]
	v_add_f64 v[133:134], v[133:134], 0
	s_clause 0x4
	buffer_load_dword v201, off, s[0:3], 0 offset:764
	buffer_load_dword v213, off, s[0:3], 0 offset:776
	;; [unrolled: 1-line block ×5, first 2 shown]
	s_waitcnt lgkmcnt(0)
	v_mul_f64 v[216:217], v[5:6], v[137:138]
	v_mul_f64 v[137:138], v[7:8], v[137:138]
	ds_read_b128 v[1:4], v175 offset:1520
	v_fma_f64 v[149:150], v[173:174], v[149:150], v[165:166]
	v_add_f64 v[167:168], v[163:164], v[167:168]
	v_add_f64 v[133:134], v[133:134], v[169:170]
	s_clause 0x2
	buffer_load_dword v214, off, s[0:3], 0 offset:780
	buffer_load_dword v170, off, s[0:3], 0 offset:756
	;; [unrolled: 1-line block ×3, first 2 shown]
	s_waitcnt vmcnt(58) lgkmcnt(0)
	v_mul_f64 v[173:174], v[1:2], v[141:142]
	v_mul_f64 v[141:142], v[3:4], v[141:142]
	s_waitcnt vmcnt(56)
	v_fma_f64 v[137:138], v[5:6], v[143:144], -v[137:138]
	ds_read_b128 v[163:166], v175 offset:1536
	v_fma_f64 v[143:144], v[7:8], v[143:144], v[216:217]
	v_add_f64 v[167:168], v[167:168], v[171:172]
	v_add_f64 v[133:134], v[133:134], v[149:150]
	s_clause 0x4
	buffer_load_dword v150, off, s[0:3], 0 offset:796
	buffer_load_dword v171, off, s[0:3], 0 offset:808
	;; [unrolled: 1-line block ×5, first 2 shown]
	ds_read_b128 v[5:8], v175 offset:1552
	s_waitcnt vmcnt(57) lgkmcnt(1)
	v_mul_f64 v[217:218], v[163:164], v[145:146]
	v_mul_f64 v[145:146], v[165:166], v[145:146]
	s_waitcnt vmcnt(56)
	v_fma_f64 v[141:142], v[1:2], v[135:136], -v[141:142]
	v_fma_f64 v[135:136], v[3:4], v[135:136], v[173:174]
	v_add_f64 v[137:138], v[167:168], v[137:138]
	v_add_f64 v[133:134], v[133:134], v[143:144]
	s_clause 0x2
	buffer_load_dword v172, off, s[0:3], 0 offset:812
	buffer_load_dword v144, off, s[0:3], 0 offset:788
	;; [unrolled: 1-line block ×3, first 2 shown]
	s_waitcnt vmcnt(58) lgkmcnt(0)
	v_mul_f64 v[167:168], v[5:6], v[151:152]
	v_mul_f64 v[151:152], v[7:8], v[151:152]
	s_waitcnt vmcnt(56)
	v_fma_f64 v[145:146], v[163:164], v[153:154], -v[145:146]
	ds_read_b128 v[1:4], v175 offset:1568
	v_add_f64 v[137:138], v[137:138], v[141:142]
	v_fma_f64 v[141:142], v[165:166], v[153:154], v[217:218]
	v_add_f64 v[153:154], v[133:134], v[135:136]
	s_clause 0x4
	buffer_load_dword v164, off, s[0:3], 0 offset:828
	buffer_load_dword v165, off, s[0:3], 0 offset:840
	;; [unrolled: 1-line block ×5, first 2 shown]
	ds_read_b128 v[133:136], v175 offset:1584
	s_waitcnt vmcnt(57) lgkmcnt(1)
	v_mul_f64 v[217:218], v[1:2], v[155:156]
	v_mul_f64 v[155:156], v[3:4], v[155:156]
	s_waitcnt vmcnt(56)
	v_fma_f64 v[151:152], v[5:6], v[139:140], -v[151:152]
	v_fma_f64 v[139:140], v[7:8], v[139:140], v[167:168]
	v_add_f64 v[137:138], v[137:138], v[145:146]
	s_clause 0x2
	buffer_load_dword v166, off, s[0:3], 0 offset:844
	buffer_load_dword v146, off, s[0:3], 0 offset:820
	;; [unrolled: 1-line block ×3, first 2 shown]
	v_add_f64 v[141:142], v[153:154], v[141:142]
	s_waitcnt vmcnt(58) lgkmcnt(0)
	v_mul_f64 v[153:154], v[133:134], v[159:160]
	v_mul_f64 v[159:160], v[135:136], v[159:160]
	ds_read_b128 v[5:8], v175 offset:1600
	s_waitcnt vmcnt(56)
	v_fma_f64 v[155:156], v[1:2], v[161:162], -v[155:156]
	v_add_f64 v[137:138], v[137:138], v[151:152]
	v_fma_f64 v[151:152], v[3:4], v[161:162], v[217:218]
	v_add_f64 v[139:140], v[141:142], v[139:140]
	s_clause 0x4
	buffer_load_dword v142, off, s[0:3], 0 offset:860
	buffer_load_dword v161, off, s[0:3], 0 offset:872
	;; [unrolled: 1-line block ×5, first 2 shown]
	s_waitcnt vmcnt(57) lgkmcnt(0)
	v_mul_f64 v[217:218], v[5:6], v[176:177]
	v_mul_f64 v[176:177], v[7:8], v[176:177]
	s_waitcnt vmcnt(56)
	v_fma_f64 v[159:160], v[133:134], v[147:148], -v[159:160]
	ds_read_b128 v[1:4], v175 offset:1616
	v_fma_f64 v[147:148], v[135:136], v[147:148], v[153:154]
	v_add_f64 v[137:138], v[137:138], v[155:156]
	v_add_f64 v[139:140], v[139:140], v[151:152]
	s_clause 0x2
	buffer_load_dword v162, off, s[0:3], 0 offset:876
	buffer_load_dword v152, off, s[0:3], 0 offset:852
	;; [unrolled: 1-line block ×3, first 2 shown]
	ds_read_b128 v[133:136], v175 offset:1632
	s_waitcnt vmcnt(58) lgkmcnt(1)
	v_mul_f64 v[155:156], v[3:4], v[178:179]
	s_waitcnt vmcnt(56)
	v_fma_f64 v[176:177], v[5:6], v[180:181], -v[176:177]
	v_mul_f64 v[153:154], v[1:2], v[178:179]
	v_add_f64 v[137:138], v[137:138], v[159:160]
	v_fma_f64 v[159:160], v[7:8], v[180:181], v[217:218]
	v_add_f64 v[139:140], v[139:140], v[147:148]
	s_clause 0x4
	buffer_load_dword v148, off, s[0:3], 0 offset:892
	buffer_load_dword v178, off, s[0:3], 0 offset:904
	;; [unrolled: 1-line block ×5, first 2 shown]
	s_waitcnt vmcnt(57) lgkmcnt(0)
	v_mul_f64 v[217:218], v[133:134], v[182:183]
	v_mul_f64 v[181:182], v[135:136], v[182:183]
	s_waitcnt vmcnt(56)
	v_fma_f64 v[155:156], v[1:2], v[157:158], -v[155:156]
	ds_read_b128 v[5:8], v175 offset:1648
	v_fma_f64 v[153:154], v[3:4], v[157:158], v[153:154]
	s_clause 0x2
	buffer_load_dword v179, off, s[0:3], 0 offset:908
	buffer_load_dword v158, off, s[0:3], 0 offset:884
	;; [unrolled: 1-line block ×3, first 2 shown]
	ds_read_b128 v[1:4], v175 offset:1664
	v_add_f64 v[137:138], v[137:138], v[176:177]
	v_add_f64 v[139:140], v[139:140], v[159:160]
	s_waitcnt vmcnt(58) lgkmcnt(1)
	v_mul_f64 v[176:177], v[7:8], v[184:185]
	s_waitcnt vmcnt(56)
	v_fma_f64 v[182:183], v[133:134], v[188:189], -v[181:182]
	v_mul_f64 v[159:160], v[5:6], v[184:185]
	v_add_f64 v[137:138], v[137:138], v[155:156]
	v_fma_f64 v[155:156], v[135:136], v[188:189], v[217:218]
	v_add_f64 v[139:140], v[139:140], v[153:154]
	s_clause 0x4
	buffer_load_dword v154, off, s[0:3], 0 offset:924
	buffer_load_dword v184, off, s[0:3], 0 offset:936
	;; [unrolled: 1-line block ×5, first 2 shown]
	s_waitcnt vmcnt(57) lgkmcnt(0)
	v_mul_f64 v[217:218], v[1:2], v[190:191]
	v_mul_f64 v[189:190], v[3:4], v[190:191]
	s_waitcnt vmcnt(56)
	v_fma_f64 v[176:177], v[5:6], v[186:187], -v[176:177]
	ds_read_b128 v[133:136], v175 offset:1680
	v_fma_f64 v[159:160], v[7:8], v[186:187], v[159:160]
	v_add_f64 v[137:138], v[137:138], v[182:183]
	v_add_f64 v[139:140], v[139:140], v[155:156]
	s_clause 0x2
	buffer_load_dword v185, off, s[0:3], 0 offset:940
	buffer_load_dword v156, off, s[0:3], 0 offset:916
	buffer_load_dword v155, off, s[0:3], 0 offset:912
	ds_read_b128 v[5:8], v175 offset:1696
	s_waitcnt vmcnt(58) lgkmcnt(1)
	v_mul_f64 v[186:187], v[135:136], v[194:195]
	s_waitcnt vmcnt(56)
	v_fma_f64 v[190:191], v[1:2], v[198:199], -v[189:190]
	v_mul_f64 v[182:183], v[133:134], v[194:195]
	v_add_f64 v[137:138], v[137:138], v[176:177]
	v_fma_f64 v[176:177], v[3:4], v[198:199], v[217:218]
	v_add_f64 v[139:140], v[139:140], v[159:160]
	s_clause 0x4
	buffer_load_dword v160, off, s[0:3], 0 offset:956
	buffer_load_dword v194, off, s[0:3], 0 offset:968
	;; [unrolled: 1-line block ×5, first 2 shown]
	s_waitcnt vmcnt(57) lgkmcnt(0)
	v_mul_f64 v[217:218], v[5:6], v[202:203]
	v_mul_f64 v[202:203], v[7:8], v[202:203]
	s_waitcnt vmcnt(56)
	v_fma_f64 v[186:187], v[133:134], v[196:197], -v[186:187]
	ds_read_b128 v[1:4], v175 offset:1712
	v_fma_f64 v[182:183], v[135:136], v[196:197], v[182:183]
	v_add_f64 v[137:138], v[137:138], v[190:191]
	v_add_f64 v[139:140], v[139:140], v[176:177]
	s_clause 0x2
	buffer_load_dword v195, off, s[0:3], 0 offset:972
	buffer_load_dword v177, off, s[0:3], 0 offset:948
	;; [unrolled: 1-line block ×3, first 2 shown]
	ds_read_b128 v[133:136], v175 offset:1728
	s_waitcnt vmcnt(58) lgkmcnt(1)
	v_mul_f64 v[196:197], v[3:4], v[204:205]
	s_waitcnt vmcnt(56)
	v_fma_f64 v[202:203], v[5:6], v[209:210], -v[202:203]
	v_mul_f64 v[190:191], v[1:2], v[204:205]
	v_add_f64 v[137:138], v[137:138], v[186:187]
	v_fma_f64 v[186:187], v[7:8], v[209:210], v[217:218]
	v_add_f64 v[139:140], v[139:140], v[182:183]
	s_clause 0x4
	buffer_load_dword v183, off, s[0:3], 0 offset:988
	buffer_load_dword v204, off, s[0:3], 0 offset:1000
	;; [unrolled: 1-line block ×5, first 2 shown]
	ds_read_b128 v[5:8], v175 offset:1744
	s_waitcnt vmcnt(57) lgkmcnt(1)
	v_mul_f64 v[209:210], v[133:134], v[200:201]
	v_mul_f64 v[200:201], v[135:136], v[200:201]
	s_waitcnt vmcnt(56)
	v_fma_f64 v[196:197], v[1:2], v[206:207], -v[196:197]
	v_fma_f64 v[190:191], v[3:4], v[206:207], v[190:191]
	v_add_f64 v[137:138], v[137:138], v[202:203]
	v_add_f64 v[139:140], v[139:140], v[186:187]
	s_clause 0x2
	buffer_load_dword v205, off, s[0:3], 0 offset:1004
	buffer_load_dword v187, off, s[0:3], 0 offset:980
	buffer_load_dword v186, off, s[0:3], 0 offset:976
	ds_read_b128 v[1:4], v175 offset:1760
	s_waitcnt vmcnt(58) lgkmcnt(1)
	v_mul_f64 v[206:207], v[7:8], v[213:214]
	v_mul_f64 v[202:203], v[5:6], v[213:214]
	s_waitcnt vmcnt(56)
	v_fma_f64 v[200:201], v[133:134], v[169:170], -v[200:201]
	v_fma_f64 v[169:170], v[135:136], v[169:170], v[209:210]
	buffer_load_dword v209, off, s[0:3], 0 offset:996
	ds_read_b128 v[133:136], v175 offset:1776
	v_add_f64 v[137:138], v[137:138], v[196:197]
	v_add_f64 v[139:140], v[139:140], v[190:191]
	s_waitcnt vmcnt(53) lgkmcnt(1)
	v_mul_f64 v[190:191], v[1:2], v[149:150]
	v_mul_f64 v[149:150], v[3:4], v[149:150]
	s_waitcnt vmcnt(52)
	v_fma_f64 v[196:197], v[5:6], v[215:216], -v[206:207]
	v_add_f64 v[137:138], v[137:138], v[200:201]
	v_fma_f64 v[200:201], v[7:8], v[215:216], v[202:203]
	v_add_f64 v[139:140], v[139:140], v[169:170]
	ds_read_b128 v[5:8], v175 offset:1792
	s_waitcnt vmcnt(51) lgkmcnt(1)
	v_mul_f64 v[169:170], v[133:134], v[171:172]
	v_mul_f64 v[171:172], v[135:136], v[171:172]
	s_waitcnt vmcnt(49)
	v_fma_f64 v[149:150], v[1:2], v[143:144], -v[149:150]
	v_fma_f64 v[143:144], v[3:4], v[143:144], v[190:191]
	v_add_f64 v[137:138], v[137:138], v[196:197]
	s_clause 0x3
	buffer_load_dword v190, off, s[0:3], 0 offset:464
	buffer_load_dword v191, off, s[0:3], 0 offset:468
	buffer_load_dword v196, off, s[0:3], 0 offset:472
	buffer_load_dword v197, off, s[0:3], 0 offset:476
	v_add_f64 v[139:140], v[139:140], v[200:201]
	ds_read_b128 v[1:4], v175 offset:1808
	s_waitcnt vmcnt(49) lgkmcnt(1)
	v_mul_f64 v[200:201], v[5:6], v[163:164]
	v_mul_f64 v[163:164], v[7:8], v[163:164]
	s_waitcnt vmcnt(48)
	v_fma_f64 v[171:172], v[133:134], v[211:212], -v[171:172]
	v_add_f64 v[137:138], v[137:138], v[149:150]
	v_fma_f64 v[149:150], v[135:136], v[211:212], v[169:170]
	v_add_f64 v[139:140], v[139:140], v[143:144]
	ds_read_b128 v[133:136], v175 offset:1824
	s_waitcnt vmcnt(47) lgkmcnt(1)
	v_mul_f64 v[143:144], v[1:2], v[165:166]
	v_mul_f64 v[165:166], v[3:4], v[165:166]
	s_waitcnt vmcnt(45)
	v_fma_f64 v[163:164], v[5:6], v[145:146], -v[163:164]
	v_fma_f64 v[145:146], v[7:8], v[145:146], v[200:201]
	ds_read_b128 v[5:8], v175 offset:1840
	v_add_f64 v[137:138], v[137:138], v[171:172]
	v_add_f64 v[139:140], v[139:140], v[149:150]
	s_waitcnt vmcnt(41) lgkmcnt(1)
	v_mul_f64 v[149:150], v[133:134], v[141:142]
	v_mul_f64 v[141:142], v[135:136], v[141:142]
	s_waitcnt vmcnt(40)
	v_fma_f64 v[165:166], v[1:2], v[173:174], -v[165:166]
	v_fma_f64 v[143:144], v[3:4], v[173:174], v[143:144]
	ds_read_b128 v[1:4], v175 offset:1856
	v_add_f64 v[137:138], v[137:138], v[163:164]
	v_add_f64 v[139:140], v[139:140], v[145:146]
	;; [unrolled: 9-line block ×3, first 2 shown]
	s_waitcnt vmcnt(33) lgkmcnt(1)
	v_mul_f64 v[143:144], v[1:2], v[147:148]
	v_mul_f64 v[147:148], v[3:4], v[147:148]
	s_waitcnt vmcnt(32)
	v_fma_f64 v[151:152], v[5:6], v[167:168], -v[161:162]
	v_add_f64 v[137:138], v[137:138], v[141:142]
	v_fma_f64 v[141:142], v[7:8], v[167:168], v[145:146]
	v_add_f64 v[139:140], v[139:140], v[149:150]
	ds_read_b128 v[5:8], v175 offset:1888
	s_waitcnt vmcnt(31) lgkmcnt(1)
	v_mul_f64 v[149:150], v[135:136], v[178:179]
	v_mul_f64 v[145:146], v[133:134], v[178:179]
	s_waitcnt vmcnt(29)
	v_fma_f64 v[143:144], v[3:4], v[157:158], v[143:144]
	v_fma_f64 v[147:148], v[1:2], v[157:158], -v[147:148]
	ds_read_b128 v[1:4], v175 offset:1904
	v_add_f64 v[137:138], v[137:138], v[151:152]
	v_add_f64 v[139:140], v[139:140], v[141:142]
	s_waitcnt vmcnt(25) lgkmcnt(1)
	v_mul_f64 v[151:152], v[7:8], v[153:154]
	s_waitcnt vmcnt(24)
	v_fma_f64 v[149:150], v[133:134], v[180:181], -v[149:150]
	v_mul_f64 v[141:142], v[5:6], v[153:154]
	v_fma_f64 v[145:146], v[135:136], v[180:181], v[145:146]
	ds_read_b128 v[133:136], v175 offset:1920
	v_add_f64 v[137:138], v[137:138], v[147:148]
	v_add_f64 v[139:140], v[139:140], v[143:144]
	s_waitcnt vmcnt(23) lgkmcnt(1)
	v_mul_f64 v[147:148], v[3:4], v[184:185]
	v_mul_f64 v[143:144], v[1:2], v[184:185]
	s_waitcnt vmcnt(21)
	v_fma_f64 v[151:152], v[5:6], v[155:156], -v[151:152]
	v_fma_f64 v[141:142], v[7:8], v[155:156], v[141:142]
	ds_read_b128 v[5:8], v175 offset:1936
	v_add_f64 v[137:138], v[137:138], v[149:150]
	v_add_f64 v[139:140], v[139:140], v[145:146]
	s_waitcnt vmcnt(17) lgkmcnt(1)
	v_mul_f64 v[149:150], v[135:136], v[159:160]
	s_waitcnt vmcnt(16)
	v_fma_f64 v[147:148], v[1:2], v[188:189], -v[147:148]
	v_mul_f64 v[145:146], v[133:134], v[159:160]
	v_fma_f64 v[143:144], v[3:4], v[188:189], v[143:144]
	ds_read_b128 v[1:4], v175 offset:1952
	v_add_f64 v[137:138], v[137:138], v[151:152]
	v_add_f64 v[139:140], v[139:140], v[141:142]
	s_waitcnt vmcnt(15) lgkmcnt(1)
	v_mul_f64 v[151:152], v[7:8], v[194:195]
	v_mul_f64 v[141:142], v[5:6], v[194:195]
	s_waitcnt vmcnt(13)
	v_fma_f64 v[149:150], v[133:134], v[176:177], -v[149:150]
	v_fma_f64 v[145:146], v[135:136], v[176:177], v[145:146]
	ds_read_b128 v[133:136], v175 offset:1968
	v_add_f64 v[137:138], v[137:138], v[147:148]
	v_add_f64 v[139:140], v[139:140], v[143:144]
	s_waitcnt vmcnt(9) lgkmcnt(1)
	v_mul_f64 v[147:148], v[3:4], v[182:183]
	s_waitcnt vmcnt(8)
	v_fma_f64 v[5:6], v[5:6], v[198:199], -v[151:152]
	v_mul_f64 v[143:144], v[1:2], v[182:183]
	v_fma_f64 v[7:8], v[7:8], v[198:199], v[141:142]
	v_add_f64 v[137:138], v[137:138], v[149:150]
	v_add_f64 v[139:140], v[139:140], v[145:146]
	s_waitcnt vmcnt(7) lgkmcnt(0)
	v_mul_f64 v[145:146], v[135:136], v[204:205]
	v_mul_f64 v[141:142], v[133:134], v[204:205]
	s_waitcnt vmcnt(5)
	v_fma_f64 v[1:2], v[1:2], v[186:187], -v[147:148]
	v_fma_f64 v[3:4], v[3:4], v[186:187], v[143:144]
	v_add_f64 v[5:6], v[137:138], v[5:6]
	v_add_f64 v[7:8], v[139:140], v[7:8]
	s_waitcnt vmcnt(4)
	v_fma_f64 v[133:134], v[133:134], v[208:209], -v[145:146]
	v_add_f64 v[1:2], v[5:6], v[1:2]
	v_fma_f64 v[5:6], v[135:136], v[208:209], v[141:142]
	v_add_f64 v[3:4], v[7:8], v[3:4]
	v_add_f64 v[1:2], v[1:2], v[133:134]
	;; [unrolled: 1-line block ×3, first 2 shown]
	s_waitcnt vmcnt(2)
	v_add_f64 v[1:2], v[190:191], -v[1:2]
	s_waitcnt vmcnt(0)
	v_add_f64 v[3:4], v[196:197], -v[3:4]
	buffer_store_dword v2, off, s[0:3], 0 offset:468
	buffer_store_dword v1, off, s[0:3], 0 offset:464
	;; [unrolled: 1-line block ×4, first 2 shown]
	v_cmpx_lt_u32_e32 27, v0
	s_cbranch_execz .LBB125_343
; %bb.342:
	v_mov_b32_e32 v4, s49
	s_clause 0x3
	buffer_load_dword v1, v4, s[0:3], 0 offen
	buffer_load_dword v2, v4, s[0:3], 0 offen offset:4
	buffer_load_dword v3, v4, s[0:3], 0 offen offset:8
	;; [unrolled: 1-line block ×3, first 2 shown]
	buffer_store_dword v175, off, s[0:3], 0 offset:448
	buffer_store_dword v175, off, s[0:3], 0 offset:452
	;; [unrolled: 1-line block ×4, first 2 shown]
	s_waitcnt vmcnt(0)
	ds_write_b128 v193, v[1:4]
.LBB125_343:
	s_or_b32 exec_lo, exec_lo, s4
	s_waitcnt lgkmcnt(0)
	s_waitcnt_vscnt null, 0x0
	s_barrier
	buffer_gl0_inv
	s_clause 0x37
	buffer_load_dword v133, off, s[0:3], 0 offset:472
	buffer_load_dword v134, off, s[0:3], 0 offset:476
	;; [unrolled: 1-line block ×56, first 2 shown]
	ds_read_b128 v[176:179], v175 offset:1440
	s_clause 0x2
	buffer_load_dword v197, off, s[0:3], 0 offset:700
	buffer_load_dword v199, off, s[0:3], 0 offset:676
	;; [unrolled: 1-line block ×3, first 2 shown]
	ds_read_b128 v[180:183], v175 offset:1456
	s_clause 0x4
	buffer_load_dword v203, off, s[0:3], 0 offset:716
	buffer_load_dword v204, off, s[0:3], 0 offset:728
	;; [unrolled: 1-line block ×5, first 2 shown]
	ds_read_b128 v[184:187], v175 offset:1472
	s_clause 0x2
	buffer_load_dword v205, off, s[0:3], 0 offset:732
	buffer_load_dword v210, off, s[0:3], 0 offset:708
	;; [unrolled: 1-line block ×3, first 2 shown]
	s_mov_b32 s4, exec_lo
	s_waitcnt vmcnt(62) lgkmcnt(2)
	v_mul_f64 v[200:201], v[178:179], v[133:134]
	v_mul_f64 v[133:134], v[176:177], v[133:134]
	s_waitcnt lgkmcnt(1)
	v_mul_f64 v[207:208], v[182:183], v[5:6]
	s_waitcnt vmcnt(59) lgkmcnt(0)
	v_mul_f64 v[211:212], v[186:187], v[3:4]
	v_fma_f64 v[176:177], v[176:177], v[7:8], -v[200:201]
	v_mul_f64 v[200:201], v[180:181], v[5:6]
	v_fma_f64 v[133:134], v[178:179], v[7:8], v[133:134]
	s_waitcnt vmcnt(57)
	v_fma_f64 v[180:181], v[180:181], v[1:2], -v[207:208]
	ds_read_b128 v[5:8], v175 offset:1488
	v_mul_f64 v[178:179], v[184:185], v[3:4]
	s_waitcnt vmcnt(51)
	v_fma_f64 v[184:185], v[184:185], v[149:150], -v[211:212]
	v_add_f64 v[176:177], v[176:177], 0
	v_fma_f64 v[182:183], v[182:183], v[1:2], v[200:201]
	v_add_f64 v[133:134], v[133:134], 0
	s_clause 0x4
	buffer_load_dword v201, off, s[0:3], 0 offset:748
	buffer_load_dword v213, off, s[0:3], 0 offset:760
	;; [unrolled: 1-line block ×5, first 2 shown]
	s_waitcnt lgkmcnt(0)
	v_mul_f64 v[216:217], v[5:6], v[137:138]
	v_mul_f64 v[137:138], v[7:8], v[137:138]
	ds_read_b128 v[1:4], v175 offset:1504
	v_fma_f64 v[149:150], v[186:187], v[149:150], v[178:179]
	v_add_f64 v[180:181], v[176:177], v[180:181]
	v_add_f64 v[133:134], v[133:134], v[182:183]
	s_clause 0x2
	buffer_load_dword v214, off, s[0:3], 0 offset:764
	buffer_load_dword v183, off, s[0:3], 0 offset:740
	;; [unrolled: 1-line block ×3, first 2 shown]
	s_waitcnt vmcnt(58) lgkmcnt(0)
	v_mul_f64 v[186:187], v[1:2], v[141:142]
	v_mul_f64 v[141:142], v[3:4], v[141:142]
	s_waitcnt vmcnt(56)
	v_fma_f64 v[137:138], v[5:6], v[143:144], -v[137:138]
	ds_read_b128 v[176:179], v175 offset:1520
	v_fma_f64 v[143:144], v[7:8], v[143:144], v[216:217]
	v_add_f64 v[180:181], v[180:181], v[184:185]
	v_add_f64 v[133:134], v[133:134], v[149:150]
	s_clause 0x4
	buffer_load_dword v150, off, s[0:3], 0 offset:780
	buffer_load_dword v184, off, s[0:3], 0 offset:792
	;; [unrolled: 1-line block ×5, first 2 shown]
	ds_read_b128 v[5:8], v175 offset:1536
	s_waitcnt vmcnt(57) lgkmcnt(1)
	v_mul_f64 v[217:218], v[176:177], v[145:146]
	v_mul_f64 v[145:146], v[178:179], v[145:146]
	s_waitcnt vmcnt(56)
	v_fma_f64 v[141:142], v[1:2], v[135:136], -v[141:142]
	v_fma_f64 v[135:136], v[3:4], v[135:136], v[186:187]
	v_add_f64 v[137:138], v[180:181], v[137:138]
	v_add_f64 v[133:134], v[133:134], v[143:144]
	s_clause 0x2
	buffer_load_dword v185, off, s[0:3], 0 offset:796
	buffer_load_dword v144, off, s[0:3], 0 offset:772
	;; [unrolled: 1-line block ×3, first 2 shown]
	s_waitcnt vmcnt(58) lgkmcnt(0)
	v_mul_f64 v[180:181], v[5:6], v[151:152]
	v_mul_f64 v[151:152], v[7:8], v[151:152]
	s_waitcnt vmcnt(56)
	v_fma_f64 v[145:146], v[176:177], v[153:154], -v[145:146]
	ds_read_b128 v[1:4], v175 offset:1552
	v_add_f64 v[137:138], v[137:138], v[141:142]
	v_fma_f64 v[141:142], v[178:179], v[153:154], v[217:218]
	v_add_f64 v[153:154], v[133:134], v[135:136]
	s_clause 0x4
	buffer_load_dword v177, off, s[0:3], 0 offset:812
	buffer_load_dword v178, off, s[0:3], 0 offset:824
	buffer_load_dword v186, off, s[0:3], 0 offset:816
	buffer_load_dword v176, off, s[0:3], 0 offset:808
	buffer_load_dword v212, off, s[0:3], 0 offset:788
	ds_read_b128 v[133:136], v175 offset:1568
	s_waitcnt vmcnt(57) lgkmcnt(1)
	v_mul_f64 v[217:218], v[1:2], v[155:156]
	v_mul_f64 v[155:156], v[3:4], v[155:156]
	s_waitcnt vmcnt(56)
	v_fma_f64 v[151:152], v[5:6], v[139:140], -v[151:152]
	v_fma_f64 v[139:140], v[7:8], v[139:140], v[180:181]
	v_add_f64 v[137:138], v[137:138], v[145:146]
	s_clause 0x2
	buffer_load_dword v179, off, s[0:3], 0 offset:828
	buffer_load_dword v146, off, s[0:3], 0 offset:804
	;; [unrolled: 1-line block ×3, first 2 shown]
	v_add_f64 v[141:142], v[153:154], v[141:142]
	s_waitcnt vmcnt(58) lgkmcnt(0)
	v_mul_f64 v[153:154], v[133:134], v[159:160]
	v_mul_f64 v[159:160], v[135:136], v[159:160]
	ds_read_b128 v[5:8], v175 offset:1584
	s_waitcnt vmcnt(56)
	v_fma_f64 v[155:156], v[1:2], v[161:162], -v[155:156]
	v_add_f64 v[137:138], v[137:138], v[151:152]
	v_fma_f64 v[151:152], v[3:4], v[161:162], v[217:218]
	v_add_f64 v[139:140], v[141:142], v[139:140]
	s_clause 0x4
	buffer_load_dword v142, off, s[0:3], 0 offset:844
	buffer_load_dword v161, off, s[0:3], 0 offset:856
	;; [unrolled: 1-line block ×5, first 2 shown]
	s_waitcnt vmcnt(57) lgkmcnt(0)
	v_mul_f64 v[217:218], v[5:6], v[163:164]
	v_mul_f64 v[163:164], v[7:8], v[163:164]
	s_waitcnt vmcnt(56)
	v_fma_f64 v[159:160], v[133:134], v[147:148], -v[159:160]
	ds_read_b128 v[1:4], v175 offset:1600
	v_fma_f64 v[147:148], v[135:136], v[147:148], v[153:154]
	v_add_f64 v[137:138], v[137:138], v[155:156]
	v_add_f64 v[139:140], v[139:140], v[151:152]
	s_clause 0x2
	buffer_load_dword v162, off, s[0:3], 0 offset:860
	buffer_load_dword v152, off, s[0:3], 0 offset:836
	;; [unrolled: 1-line block ×3, first 2 shown]
	ds_read_b128 v[133:136], v175 offset:1616
	s_waitcnt vmcnt(58) lgkmcnt(1)
	v_mul_f64 v[155:156], v[3:4], v[167:168]
	s_waitcnt vmcnt(56)
	v_fma_f64 v[163:164], v[5:6], v[169:170], -v[163:164]
	v_mul_f64 v[153:154], v[1:2], v[167:168]
	v_add_f64 v[137:138], v[137:138], v[159:160]
	v_fma_f64 v[159:160], v[7:8], v[169:170], v[217:218]
	v_add_f64 v[139:140], v[139:140], v[147:148]
	s_clause 0x4
	buffer_load_dword v148, off, s[0:3], 0 offset:876
	buffer_load_dword v167, off, s[0:3], 0 offset:888
	;; [unrolled: 1-line block ×5, first 2 shown]
	s_waitcnt vmcnt(57) lgkmcnt(0)
	v_mul_f64 v[217:218], v[133:134], v[171:172]
	v_mul_f64 v[170:171], v[135:136], v[171:172]
	s_waitcnt vmcnt(56)
	v_fma_f64 v[155:156], v[1:2], v[157:158], -v[155:156]
	ds_read_b128 v[5:8], v175 offset:1632
	v_fma_f64 v[153:154], v[3:4], v[157:158], v[153:154]
	s_clause 0x2
	buffer_load_dword v168, off, s[0:3], 0 offset:892
	buffer_load_dword v158, off, s[0:3], 0 offset:868
	;; [unrolled: 1-line block ×3, first 2 shown]
	ds_read_b128 v[1:4], v175 offset:1648
	v_add_f64 v[137:138], v[137:138], v[163:164]
	v_add_f64 v[139:140], v[139:140], v[159:160]
	s_waitcnt vmcnt(58) lgkmcnt(1)
	v_mul_f64 v[163:164], v[7:8], v[188:189]
	s_waitcnt vmcnt(56)
	v_fma_f64 v[171:172], v[133:134], v[190:191], -v[170:171]
	v_mul_f64 v[159:160], v[5:6], v[188:189]
	v_add_f64 v[137:138], v[137:138], v[155:156]
	v_fma_f64 v[155:156], v[135:136], v[190:191], v[217:218]
	v_add_f64 v[139:140], v[139:140], v[153:154]
	s_clause 0x4
	buffer_load_dword v154, off, s[0:3], 0 offset:908
	buffer_load_dword v188, off, s[0:3], 0 offset:920
	;; [unrolled: 1-line block ×5, first 2 shown]
	s_waitcnt vmcnt(57) lgkmcnt(0)
	v_mul_f64 v[191:192], v[1:2], v[194:195]
	v_mul_f64 v[194:195], v[3:4], v[194:195]
	s_waitcnt vmcnt(56)
	v_fma_f64 v[163:164], v[5:6], v[165:166], -v[163:164]
	ds_read_b128 v[133:136], v175 offset:1664
	v_fma_f64 v[159:160], v[7:8], v[165:166], v[159:160]
	v_add_f64 v[137:138], v[137:138], v[171:172]
	v_add_f64 v[139:140], v[139:140], v[155:156]
	s_clause 0x2
	buffer_load_dword v189, off, s[0:3], 0 offset:924
	buffer_load_dword v156, off, s[0:3], 0 offset:900
	;; [unrolled: 1-line block ×3, first 2 shown]
	ds_read_b128 v[5:8], v175 offset:1680
	s_waitcnt vmcnt(58) lgkmcnt(1)
	v_mul_f64 v[171:172], v[135:136], v[196:197]
	s_waitcnt vmcnt(56)
	v_fma_f64 v[194:195], v[1:2], v[198:199], -v[194:195]
	v_mul_f64 v[165:166], v[133:134], v[196:197]
	v_add_f64 v[137:138], v[137:138], v[163:164]
	v_fma_f64 v[163:164], v[3:4], v[198:199], v[191:192]
	v_add_f64 v[139:140], v[139:140], v[159:160]
	s_clause 0x4
	buffer_load_dword v160, off, s[0:3], 0 offset:940
	buffer_load_dword v196, off, s[0:3], 0 offset:952
	;; [unrolled: 1-line block ×5, first 2 shown]
	s_waitcnt vmcnt(57) lgkmcnt(0)
	v_mul_f64 v[217:218], v[5:6], v[202:203]
	v_mul_f64 v[202:203], v[7:8], v[202:203]
	s_waitcnt vmcnt(56)
	v_fma_f64 v[171:172], v[133:134], v[173:174], -v[171:172]
	ds_read_b128 v[1:4], v175 offset:1696
	v_fma_f64 v[165:166], v[135:136], v[173:174], v[165:166]
	v_add_f64 v[137:138], v[137:138], v[194:195]
	v_add_f64 v[139:140], v[139:140], v[163:164]
	s_clause 0x2
	buffer_load_dword v197, off, s[0:3], 0 offset:956
	buffer_load_dword v164, off, s[0:3], 0 offset:932
	;; [unrolled: 1-line block ×3, first 2 shown]
	ds_read_b128 v[133:136], v175 offset:1712
	s_waitcnt vmcnt(58) lgkmcnt(1)
	v_mul_f64 v[194:195], v[3:4], v[204:205]
	s_waitcnt vmcnt(56)
	v_fma_f64 v[202:203], v[5:6], v[209:210], -v[202:203]
	v_mul_f64 v[173:174], v[1:2], v[204:205]
	v_add_f64 v[137:138], v[137:138], v[171:172]
	v_fma_f64 v[171:172], v[7:8], v[209:210], v[217:218]
	v_add_f64 v[139:140], v[139:140], v[165:166]
	s_clause 0x4
	buffer_load_dword v166, off, s[0:3], 0 offset:972
	buffer_load_dword v204, off, s[0:3], 0 offset:984
	buffer_load_dword v208, off, s[0:3], 0 offset:976
	buffer_load_dword v165, off, s[0:3], 0 offset:968
	buffer_load_dword v199, off, s[0:3], 0 offset:948
	ds_read_b128 v[5:8], v175 offset:1728
	s_waitcnt vmcnt(57) lgkmcnt(1)
	v_mul_f64 v[209:210], v[133:134], v[200:201]
	v_mul_f64 v[200:201], v[135:136], v[200:201]
	s_waitcnt vmcnt(56)
	v_fma_f64 v[194:195], v[1:2], v[206:207], -v[194:195]
	v_fma_f64 v[173:174], v[3:4], v[206:207], v[173:174]
	v_add_f64 v[137:138], v[137:138], v[202:203]
	v_add_f64 v[139:140], v[139:140], v[171:172]
	s_clause 0x2
	buffer_load_dword v205, off, s[0:3], 0 offset:988
	buffer_load_dword v172, off, s[0:3], 0 offset:964
	;; [unrolled: 1-line block ×3, first 2 shown]
	ds_read_b128 v[1:4], v175 offset:1744
	s_waitcnt vmcnt(58) lgkmcnt(1)
	v_mul_f64 v[206:207], v[7:8], v[213:214]
	v_mul_f64 v[202:203], v[5:6], v[213:214]
	s_waitcnt vmcnt(56)
	v_fma_f64 v[200:201], v[133:134], v[182:183], -v[200:201]
	v_fma_f64 v[182:183], v[135:136], v[182:183], v[209:210]
	v_add_f64 v[137:138], v[137:138], v[194:195]
	v_add_f64 v[139:140], v[139:140], v[173:174]
	s_clause 0x2
	buffer_load_dword v174, off, s[0:3], 0 offset:1004
	buffer_load_dword v173, off, s[0:3], 0 offset:1000
	;; [unrolled: 1-line block ×3, first 2 shown]
	ds_read_b128 v[133:136], v175 offset:1760
	s_waitcnt vmcnt(55) lgkmcnt(1)
	v_mul_f64 v[194:195], v[1:2], v[149:150]
	v_mul_f64 v[149:150], v[3:4], v[149:150]
	s_waitcnt vmcnt(54)
	v_fma_f64 v[206:207], v[5:6], v[215:216], -v[206:207]
	v_add_f64 v[137:138], v[137:138], v[200:201]
	v_fma_f64 v[200:201], v[7:8], v[215:216], v[202:203]
	v_add_f64 v[139:140], v[139:140], v[182:183]
	s_clause 0x1
	buffer_load_dword v183, off, s[0:3], 0 offset:996
	buffer_load_dword v182, off, s[0:3], 0 offset:992
	ds_read_b128 v[5:8], v175 offset:1776
	s_waitcnt vmcnt(55) lgkmcnt(1)
	v_mul_f64 v[202:203], v[133:134], v[184:185]
	v_mul_f64 v[184:185], v[135:136], v[184:185]
	s_waitcnt vmcnt(53)
	v_fma_f64 v[149:150], v[1:2], v[143:144], -v[149:150]
	v_fma_f64 v[143:144], v[3:4], v[143:144], v[194:195]
	ds_read_b128 v[1:4], v175 offset:1792
	v_add_f64 v[137:138], v[137:138], v[206:207]
	v_add_f64 v[139:140], v[139:140], v[200:201]
	s_waitcnt vmcnt(49) lgkmcnt(1)
	v_mul_f64 v[194:195], v[5:6], v[176:177]
	v_mul_f64 v[176:177], v[7:8], v[176:177]
	s_waitcnt vmcnt(48)
	v_fma_f64 v[184:185], v[133:134], v[211:212], -v[184:185]
	v_add_f64 v[137:138], v[137:138], v[149:150]
	v_fma_f64 v[149:150], v[135:136], v[211:212], v[202:203]
	v_add_f64 v[139:140], v[139:140], v[143:144]
	s_clause 0x3
	buffer_load_dword v143, off, s[0:3], 0 offset:448
	buffer_load_dword v144, off, s[0:3], 0 offset:452
	;; [unrolled: 1-line block ×4, first 2 shown]
	ds_read_b128 v[133:136], v175 offset:1808
	s_waitcnt vmcnt(51) lgkmcnt(1)
	v_mul_f64 v[202:203], v[1:2], v[178:179]
	v_mul_f64 v[178:179], v[3:4], v[178:179]
	s_waitcnt vmcnt(49)
	v_fma_f64 v[176:177], v[5:6], v[145:146], -v[176:177]
	v_fma_f64 v[145:146], v[7:8], v[145:146], v[194:195]
	ds_read_b128 v[5:8], v175 offset:1824
	v_add_f64 v[137:138], v[137:138], v[184:185]
	v_add_f64 v[139:140], v[139:140], v[149:150]
	s_waitcnt vmcnt(45) lgkmcnt(1)
	v_mul_f64 v[149:150], v[133:134], v[141:142]
	v_mul_f64 v[141:142], v[135:136], v[141:142]
	s_waitcnt vmcnt(44)
	v_fma_f64 v[178:179], v[1:2], v[186:187], -v[178:179]
	v_add_f64 v[137:138], v[137:138], v[176:177]
	v_fma_f64 v[176:177], v[3:4], v[186:187], v[202:203]
	v_add_f64 v[139:140], v[139:140], v[145:146]
	ds_read_b128 v[1:4], v175 offset:1840
	s_waitcnt vmcnt(43) lgkmcnt(1)
	v_mul_f64 v[145:146], v[5:6], v[161:162]
	v_mul_f64 v[161:162], v[7:8], v[161:162]
	s_waitcnt vmcnt(41)
	v_fma_f64 v[141:142], v[133:134], v[151:152], -v[141:142]
	v_fma_f64 v[149:150], v[135:136], v[151:152], v[149:150]
	ds_read_b128 v[133:136], v175 offset:1856
	v_add_f64 v[137:138], v[137:138], v[178:179]
	v_add_f64 v[139:140], v[139:140], v[176:177]
	s_waitcnt vmcnt(37) lgkmcnt(1)
	v_mul_f64 v[151:152], v[1:2], v[147:148]
	v_mul_f64 v[147:148], v[3:4], v[147:148]
	s_waitcnt vmcnt(36)
	v_fma_f64 v[161:162], v[5:6], v[180:181], -v[161:162]
	v_add_f64 v[137:138], v[137:138], v[141:142]
	v_fma_f64 v[141:142], v[7:8], v[180:181], v[145:146]
	v_add_f64 v[139:140], v[139:140], v[149:150]
	s_waitcnt vmcnt(35) lgkmcnt(0)
	v_mul_f64 v[149:150], v[135:136], v[167:168]
	ds_read_b128 v[5:8], v175 offset:1872
	v_mul_f64 v[145:146], v[133:134], v[167:168]
	s_waitcnt vmcnt(33)
	v_fma_f64 v[151:152], v[3:4], v[157:158], v[151:152]
	v_fma_f64 v[147:148], v[1:2], v[157:158], -v[147:148]
	ds_read_b128 v[1:4], v175 offset:1888
	v_add_f64 v[137:138], v[137:138], v[161:162]
	v_add_f64 v[139:140], v[139:140], v[141:142]
	s_waitcnt vmcnt(29) lgkmcnt(1)
	v_mul_f64 v[141:142], v[5:6], v[153:154]
	v_mul_f64 v[153:154], v[7:8], v[153:154]
	s_waitcnt vmcnt(28)
	v_fma_f64 v[149:150], v[133:134], v[169:170], -v[149:150]
	v_fma_f64 v[145:146], v[135:136], v[169:170], v[145:146]
	ds_read_b128 v[133:136], v175 offset:1904
	v_add_f64 v[137:138], v[137:138], v[147:148]
	v_add_f64 v[139:140], v[139:140], v[151:152]
	s_waitcnt vmcnt(27) lgkmcnt(1)
	v_mul_f64 v[151:152], v[3:4], v[188:189]
	v_mul_f64 v[147:148], v[1:2], v[188:189]
	s_waitcnt vmcnt(25)
	v_fma_f64 v[153:154], v[5:6], v[155:156], -v[153:154]
	v_fma_f64 v[141:142], v[7:8], v[155:156], v[141:142]
	ds_read_b128 v[5:8], v175 offset:1920
	v_add_f64 v[137:138], v[137:138], v[149:150]
	v_add_f64 v[139:140], v[139:140], v[145:146]
	s_waitcnt vmcnt(21) lgkmcnt(1)
	v_mul_f64 v[149:150], v[135:136], v[159:160]
	s_waitcnt vmcnt(20)
	v_fma_f64 v[151:152], v[1:2], v[190:191], -v[151:152]
	v_mul_f64 v[145:146], v[133:134], v[159:160]
	v_fma_f64 v[147:148], v[3:4], v[190:191], v[147:148]
	ds_read_b128 v[1:4], v175 offset:1936
	v_add_f64 v[137:138], v[137:138], v[153:154]
	v_add_f64 v[139:140], v[139:140], v[141:142]
	s_waitcnt vmcnt(19) lgkmcnt(1)
	v_mul_f64 v[153:154], v[7:8], v[196:197]
	v_mul_f64 v[141:142], v[5:6], v[196:197]
	s_waitcnt vmcnt(17)
	v_fma_f64 v[149:150], v[133:134], v[163:164], -v[149:150]
	v_fma_f64 v[145:146], v[135:136], v[163:164], v[145:146]
	ds_read_b128 v[133:136], v175 offset:1952
	v_add_f64 v[137:138], v[137:138], v[151:152]
	v_add_f64 v[139:140], v[139:140], v[147:148]
	s_waitcnt vmcnt(13) lgkmcnt(1)
	v_mul_f64 v[151:152], v[3:4], v[165:166]
	s_waitcnt vmcnt(12)
	v_fma_f64 v[153:154], v[5:6], v[198:199], -v[153:154]
	v_mul_f64 v[147:148], v[1:2], v[165:166]
	v_fma_f64 v[141:142], v[7:8], v[198:199], v[141:142]
	ds_read_b128 v[5:8], v175 offset:1968
	v_add_f64 v[137:138], v[137:138], v[149:150]
	v_add_f64 v[139:140], v[139:140], v[145:146]
	s_waitcnt vmcnt(11) lgkmcnt(1)
	v_mul_f64 v[149:150], v[135:136], v[204:205]
	v_mul_f64 v[145:146], v[133:134], v[204:205]
	s_waitcnt vmcnt(9)
	v_fma_f64 v[1:2], v[1:2], v[171:172], -v[151:152]
	v_fma_f64 v[3:4], v[3:4], v[171:172], v[147:148]
	v_add_f64 v[137:138], v[137:138], v[153:154]
	v_add_f64 v[139:140], v[139:140], v[141:142]
	s_waitcnt vmcnt(7) lgkmcnt(0)
	v_mul_f64 v[147:148], v[7:8], v[173:174]
	s_waitcnt vmcnt(6)
	v_fma_f64 v[133:134], v[133:134], v[208:209], -v[149:150]
	v_mul_f64 v[141:142], v[5:6], v[173:174]
	v_fma_f64 v[135:136], v[135:136], v[208:209], v[145:146]
	v_add_f64 v[1:2], v[137:138], v[1:2]
	v_add_f64 v[3:4], v[139:140], v[3:4]
	s_waitcnt vmcnt(4)
	v_fma_f64 v[5:6], v[5:6], v[182:183], -v[147:148]
	v_fma_f64 v[7:8], v[7:8], v[182:183], v[141:142]
	v_add_f64 v[1:2], v[1:2], v[133:134]
	v_add_f64 v[3:4], v[3:4], v[135:136]
	;; [unrolled: 1-line block ×4, first 2 shown]
	s_waitcnt vmcnt(2)
	v_add_f64 v[1:2], v[143:144], -v[1:2]
	s_waitcnt vmcnt(0)
	v_add_f64 v[3:4], v[200:201], -v[3:4]
	buffer_store_dword v2, off, s[0:3], 0 offset:452
	buffer_store_dword v1, off, s[0:3], 0 offset:448
	;; [unrolled: 1-line block ×4, first 2 shown]
	v_cmpx_lt_u32_e32 26, v0
	s_cbranch_execz .LBB125_345
; %bb.344:
	v_mov_b32_e32 v4, s50
	v_mov_b32_e32 v5, 0
	s_clause 0x3
	buffer_load_dword v1, v4, s[0:3], 0 offen
	buffer_load_dword v2, v4, s[0:3], 0 offen offset:4
	buffer_load_dword v3, v4, s[0:3], 0 offen offset:8
	;; [unrolled: 1-line block ×3, first 2 shown]
	buffer_store_dword v5, off, s[0:3], 0 offset:432
	buffer_store_dword v5, off, s[0:3], 0 offset:436
	;; [unrolled: 1-line block ×4, first 2 shown]
	s_waitcnt vmcnt(0)
	ds_write_b128 v193, v[1:4]
.LBB125_345:
	s_or_b32 exec_lo, exec_lo, s4
	s_waitcnt lgkmcnt(0)
	s_waitcnt_vscnt null, 0x0
	s_barrier
	buffer_gl0_inv
	s_clause 0x37
	buffer_load_dword v133, off, s[0:3], 0 offset:456
	buffer_load_dword v134, off, s[0:3], 0 offset:460
	;; [unrolled: 1-line block ×56, first 2 shown]
	v_mov_b32_e32 v185, 0
	s_mov_b32 s4, exec_lo
	ds_read_b128 v[186:189], v185 offset:1424
	s_clause 0x2
	buffer_load_dword v182, off, s[0:3], 0 offset:684
	buffer_load_dword v184, off, s[0:3], 0 offset:660
	;; [unrolled: 1-line block ×3, first 2 shown]
	ds_read_b128 v[194:197], v185 offset:1440
	s_clause 0x4
	buffer_load_dword v203, off, s[0:3], 0 offset:700
	buffer_load_dword v204, off, s[0:3], 0 offset:712
	buffer_load_dword v206, off, s[0:3], 0 offset:704
	buffer_load_dword v202, off, s[0:3], 0 offset:696
	buffer_load_dword v174, off, s[0:3], 0 offset:676
	ds_read_b128 v[198:201], v185 offset:1456
	s_clause 0x2
	buffer_load_dword v205, off, s[0:3], 0 offset:716
	buffer_load_dword v210, off, s[0:3], 0 offset:692
	;; [unrolled: 1-line block ×3, first 2 shown]
	s_waitcnt vmcnt(62) lgkmcnt(2)
	v_mul_f64 v[190:191], v[188:189], v[133:134]
	v_mul_f64 v[133:134], v[186:187], v[133:134]
	s_waitcnt lgkmcnt(1)
	v_mul_f64 v[207:208], v[196:197], v[5:6]
	s_waitcnt vmcnt(59) lgkmcnt(0)
	v_mul_f64 v[211:212], v[200:201], v[3:4]
	v_fma_f64 v[186:187], v[186:187], v[7:8], -v[190:191]
	v_mul_f64 v[190:191], v[194:195], v[5:6]
	v_fma_f64 v[133:134], v[188:189], v[7:8], v[133:134]
	s_waitcnt vmcnt(57)
	v_fma_f64 v[194:195], v[194:195], v[1:2], -v[207:208]
	ds_read_b128 v[5:8], v185 offset:1472
	v_mul_f64 v[188:189], v[198:199], v[3:4]
	s_waitcnt vmcnt(51)
	v_fma_f64 v[198:199], v[198:199], v[149:150], -v[211:212]
	v_add_f64 v[186:187], v[186:187], 0
	v_fma_f64 v[190:191], v[196:197], v[1:2], v[190:191]
	v_add_f64 v[133:134], v[133:134], 0
	s_clause 0x4
	buffer_load_dword v197, off, s[0:3], 0 offset:732
	buffer_load_dword v213, off, s[0:3], 0 offset:744
	;; [unrolled: 1-line block ×5, first 2 shown]
	s_waitcnt lgkmcnt(0)
	v_mul_f64 v[216:217], v[5:6], v[137:138]
	v_mul_f64 v[137:138], v[7:8], v[137:138]
	ds_read_b128 v[1:4], v185 offset:1488
	v_fma_f64 v[149:150], v[200:201], v[149:150], v[188:189]
	v_add_f64 v[194:195], v[186:187], v[194:195]
	v_add_f64 v[133:134], v[133:134], v[190:191]
	s_clause 0x2
	buffer_load_dword v214, off, s[0:3], 0 offset:748
	buffer_load_dword v191, off, s[0:3], 0 offset:724
	;; [unrolled: 1-line block ×3, first 2 shown]
	s_waitcnt vmcnt(58) lgkmcnt(0)
	v_mul_f64 v[200:201], v[1:2], v[141:142]
	v_mul_f64 v[141:142], v[3:4], v[141:142]
	s_waitcnt vmcnt(56)
	v_fma_f64 v[137:138], v[5:6], v[143:144], -v[137:138]
	ds_read_b128 v[186:189], v185 offset:1504
	v_fma_f64 v[143:144], v[7:8], v[143:144], v[216:217]
	v_add_f64 v[194:195], v[194:195], v[198:199]
	v_add_f64 v[133:134], v[133:134], v[149:150]
	s_clause 0x4
	buffer_load_dword v150, off, s[0:3], 0 offset:764
	buffer_load_dword v198, off, s[0:3], 0 offset:776
	;; [unrolled: 1-line block ×5, first 2 shown]
	ds_read_b128 v[5:8], v185 offset:1520
	s_waitcnt vmcnt(57) lgkmcnt(1)
	v_mul_f64 v[217:218], v[186:187], v[145:146]
	v_mul_f64 v[145:146], v[188:189], v[145:146]
	s_waitcnt vmcnt(56)
	v_fma_f64 v[141:142], v[1:2], v[135:136], -v[141:142]
	v_fma_f64 v[135:136], v[3:4], v[135:136], v[200:201]
	v_add_f64 v[137:138], v[194:195], v[137:138]
	v_add_f64 v[133:134], v[133:134], v[143:144]
	s_clause 0x2
	buffer_load_dword v199, off, s[0:3], 0 offset:780
	buffer_load_dword v144, off, s[0:3], 0 offset:756
	buffer_load_dword v143, off, s[0:3], 0 offset:752
	s_waitcnt vmcnt(58) lgkmcnt(0)
	v_mul_f64 v[194:195], v[5:6], v[151:152]
	v_mul_f64 v[151:152], v[7:8], v[151:152]
	s_waitcnt vmcnt(56)
	v_fma_f64 v[145:146], v[186:187], v[153:154], -v[145:146]
	ds_read_b128 v[1:4], v185 offset:1536
	v_add_f64 v[137:138], v[137:138], v[141:142]
	v_fma_f64 v[141:142], v[188:189], v[153:154], v[217:218]
	v_add_f64 v[153:154], v[133:134], v[135:136]
	s_clause 0x4
	buffer_load_dword v187, off, s[0:3], 0 offset:796
	buffer_load_dword v188, off, s[0:3], 0 offset:808
	;; [unrolled: 1-line block ×5, first 2 shown]
	ds_read_b128 v[133:136], v185 offset:1552
	s_waitcnt vmcnt(57) lgkmcnt(1)
	v_mul_f64 v[217:218], v[1:2], v[155:156]
	v_mul_f64 v[155:156], v[3:4], v[155:156]
	s_waitcnt vmcnt(56)
	v_fma_f64 v[151:152], v[5:6], v[139:140], -v[151:152]
	v_fma_f64 v[139:140], v[7:8], v[139:140], v[194:195]
	v_add_f64 v[137:138], v[137:138], v[145:146]
	s_clause 0x2
	buffer_load_dword v189, off, s[0:3], 0 offset:812
	buffer_load_dword v146, off, s[0:3], 0 offset:788
	;; [unrolled: 1-line block ×3, first 2 shown]
	v_add_f64 v[141:142], v[153:154], v[141:142]
	s_waitcnt vmcnt(58) lgkmcnt(0)
	v_mul_f64 v[153:154], v[133:134], v[159:160]
	v_mul_f64 v[159:160], v[135:136], v[159:160]
	ds_read_b128 v[5:8], v185 offset:1568
	s_waitcnt vmcnt(56)
	v_fma_f64 v[155:156], v[1:2], v[161:162], -v[155:156]
	v_add_f64 v[137:138], v[137:138], v[151:152]
	v_fma_f64 v[151:152], v[3:4], v[161:162], v[217:218]
	v_add_f64 v[139:140], v[141:142], v[139:140]
	s_clause 0x4
	buffer_load_dword v142, off, s[0:3], 0 offset:828
	buffer_load_dword v161, off, s[0:3], 0 offset:840
	;; [unrolled: 1-line block ×5, first 2 shown]
	s_waitcnt vmcnt(57) lgkmcnt(0)
	v_mul_f64 v[217:218], v[5:6], v[163:164]
	v_mul_f64 v[163:164], v[7:8], v[163:164]
	s_waitcnt vmcnt(56)
	v_fma_f64 v[159:160], v[133:134], v[147:148], -v[159:160]
	ds_read_b128 v[1:4], v185 offset:1584
	v_fma_f64 v[147:148], v[135:136], v[147:148], v[153:154]
	v_add_f64 v[137:138], v[137:138], v[155:156]
	v_add_f64 v[139:140], v[139:140], v[151:152]
	s_clause 0x2
	buffer_load_dword v162, off, s[0:3], 0 offset:844
	buffer_load_dword v152, off, s[0:3], 0 offset:820
	buffer_load_dword v151, off, s[0:3], 0 offset:816
	ds_read_b128 v[133:136], v185 offset:1600
	s_waitcnt vmcnt(58) lgkmcnt(1)
	v_mul_f64 v[155:156], v[3:4], v[167:168]
	s_waitcnt vmcnt(56)
	v_fma_f64 v[163:164], v[5:6], v[169:170], -v[163:164]
	v_mul_f64 v[153:154], v[1:2], v[167:168]
	v_add_f64 v[137:138], v[137:138], v[159:160]
	v_fma_f64 v[159:160], v[7:8], v[169:170], v[217:218]
	v_add_f64 v[139:140], v[139:140], v[147:148]
	s_clause 0x4
	buffer_load_dword v148, off, s[0:3], 0 offset:860
	buffer_load_dword v167, off, s[0:3], 0 offset:872
	;; [unrolled: 1-line block ×5, first 2 shown]
	s_waitcnt vmcnt(57) lgkmcnt(0)
	v_mul_f64 v[217:218], v[133:134], v[171:172]
	v_mul_f64 v[170:171], v[135:136], v[171:172]
	s_waitcnt vmcnt(56)
	v_fma_f64 v[155:156], v[1:2], v[157:158], -v[155:156]
	ds_read_b128 v[5:8], v185 offset:1616
	v_fma_f64 v[153:154], v[3:4], v[157:158], v[153:154]
	s_clause 0x2
	buffer_load_dword v168, off, s[0:3], 0 offset:876
	buffer_load_dword v158, off, s[0:3], 0 offset:852
	;; [unrolled: 1-line block ×3, first 2 shown]
	ds_read_b128 v[1:4], v185 offset:1632
	v_add_f64 v[137:138], v[137:138], v[163:164]
	v_add_f64 v[139:140], v[139:140], v[159:160]
	s_waitcnt vmcnt(58) lgkmcnt(1)
	v_mul_f64 v[163:164], v[7:8], v[175:176]
	s_waitcnt vmcnt(56)
	v_fma_f64 v[171:172], v[133:134], v[177:178], -v[170:171]
	v_mul_f64 v[159:160], v[5:6], v[175:176]
	v_add_f64 v[137:138], v[137:138], v[155:156]
	v_fma_f64 v[155:156], v[135:136], v[177:178], v[217:218]
	v_add_f64 v[139:140], v[139:140], v[153:154]
	s_clause 0x4
	buffer_load_dword v154, off, s[0:3], 0 offset:892
	buffer_load_dword v175, off, s[0:3], 0 offset:904
	;; [unrolled: 1-line block ×5, first 2 shown]
	s_waitcnt vmcnt(57) lgkmcnt(0)
	v_mul_f64 v[217:218], v[1:2], v[179:180]
	v_mul_f64 v[178:179], v[3:4], v[179:180]
	s_waitcnt vmcnt(56)
	v_fma_f64 v[163:164], v[5:6], v[165:166], -v[163:164]
	ds_read_b128 v[133:136], v185 offset:1648
	v_fma_f64 v[159:160], v[7:8], v[165:166], v[159:160]
	v_add_f64 v[137:138], v[137:138], v[171:172]
	v_add_f64 v[139:140], v[139:140], v[155:156]
	s_clause 0x2
	buffer_load_dword v176, off, s[0:3], 0 offset:908
	buffer_load_dword v156, off, s[0:3], 0 offset:884
	;; [unrolled: 1-line block ×3, first 2 shown]
	ds_read_b128 v[5:8], v185 offset:1664
	s_waitcnt vmcnt(58) lgkmcnt(1)
	v_mul_f64 v[171:172], v[135:136], v[181:182]
	s_waitcnt vmcnt(56)
	v_fma_f64 v[179:180], v[1:2], v[183:184], -v[178:179]
	v_mul_f64 v[165:166], v[133:134], v[181:182]
	v_add_f64 v[137:138], v[137:138], v[163:164]
	v_fma_f64 v[163:164], v[3:4], v[183:184], v[217:218]
	v_add_f64 v[139:140], v[139:140], v[159:160]
	s_clause 0x4
	buffer_load_dword v160, off, s[0:3], 0 offset:924
	buffer_load_dword v181, off, s[0:3], 0 offset:936
	buffer_load_dword v183, off, s[0:3], 0 offset:928
	buffer_load_dword v159, off, s[0:3], 0 offset:920
	buffer_load_dword v178, off, s[0:3], 0 offset:900
	s_waitcnt vmcnt(57) lgkmcnt(0)
	v_mul_f64 v[217:218], v[5:6], v[202:203]
	v_mul_f64 v[202:203], v[7:8], v[202:203]
	s_waitcnt vmcnt(56)
	v_fma_f64 v[171:172], v[133:134], v[173:174], -v[171:172]
	ds_read_b128 v[1:4], v185 offset:1680
	v_fma_f64 v[165:166], v[135:136], v[173:174], v[165:166]
	v_add_f64 v[137:138], v[137:138], v[179:180]
	v_add_f64 v[139:140], v[139:140], v[163:164]
	s_clause 0x2
	buffer_load_dword v182, off, s[0:3], 0 offset:940
	buffer_load_dword v164, off, s[0:3], 0 offset:916
	buffer_load_dword v163, off, s[0:3], 0 offset:912
	ds_read_b128 v[133:136], v185 offset:1696
	s_waitcnt vmcnt(58) lgkmcnt(1)
	v_mul_f64 v[179:180], v[3:4], v[204:205]
	s_waitcnt vmcnt(56)
	v_fma_f64 v[202:203], v[5:6], v[209:210], -v[202:203]
	v_mul_f64 v[173:174], v[1:2], v[204:205]
	v_add_f64 v[137:138], v[137:138], v[171:172]
	v_fma_f64 v[171:172], v[7:8], v[209:210], v[217:218]
	v_add_f64 v[139:140], v[139:140], v[165:166]
	s_clause 0x4
	buffer_load_dword v166, off, s[0:3], 0 offset:956
	buffer_load_dword v204, off, s[0:3], 0 offset:968
	;; [unrolled: 1-line block ×5, first 2 shown]
	ds_read_b128 v[5:8], v185 offset:1712
	s_waitcnt vmcnt(57) lgkmcnt(1)
	v_mul_f64 v[209:210], v[133:134], v[196:197]
	v_mul_f64 v[196:197], v[135:136], v[196:197]
	s_waitcnt vmcnt(56)
	v_fma_f64 v[179:180], v[1:2], v[206:207], -v[179:180]
	v_fma_f64 v[173:174], v[3:4], v[206:207], v[173:174]
	v_add_f64 v[137:138], v[137:138], v[202:203]
	v_add_f64 v[139:140], v[139:140], v[171:172]
	s_clause 0x2
	buffer_load_dword v205, off, s[0:3], 0 offset:972
	buffer_load_dword v172, off, s[0:3], 0 offset:948
	;; [unrolled: 1-line block ×3, first 2 shown]
	ds_read_b128 v[1:4], v185 offset:1728
	s_waitcnt vmcnt(58) lgkmcnt(1)
	v_mul_f64 v[206:207], v[7:8], v[213:214]
	v_mul_f64 v[202:203], v[5:6], v[213:214]
	s_waitcnt vmcnt(56)
	v_fma_f64 v[196:197], v[133:134], v[190:191], -v[196:197]
	v_add_f64 v[137:138], v[137:138], v[179:180]
	v_fma_f64 v[179:180], v[135:136], v[190:191], v[209:210]
	v_add_f64 v[139:140], v[139:140], v[173:174]
	s_clause 0x4
	buffer_load_dword v174, off, s[0:3], 0 offset:988
	buffer_load_dword v190, off, s[0:3], 0 offset:1000
	;; [unrolled: 1-line block ×5, first 2 shown]
	ds_read_b128 v[133:136], v185 offset:1744
	s_waitcnt vmcnt(57) lgkmcnt(1)
	v_mul_f64 v[217:218], v[1:2], v[149:150]
	v_mul_f64 v[149:150], v[3:4], v[149:150]
	s_waitcnt vmcnt(56)
	v_fma_f64 v[206:207], v[5:6], v[215:216], -v[206:207]
	v_add_f64 v[137:138], v[137:138], v[196:197]
	v_fma_f64 v[196:197], v[7:8], v[215:216], v[202:203]
	v_add_f64 v[139:140], v[139:140], v[179:180]
	s_clause 0x2
	buffer_load_dword v191, off, s[0:3], 0 offset:1004
	buffer_load_dword v180, off, s[0:3], 0 offset:980
	;; [unrolled: 1-line block ×3, first 2 shown]
	ds_read_b128 v[5:8], v185 offset:1760
	buffer_load_dword v214, off, s[0:3], 0 offset:996
	s_waitcnt vmcnt(59) lgkmcnt(1)
	v_mul_f64 v[202:203], v[133:134], v[198:199]
	v_mul_f64 v[198:199], v[135:136], v[198:199]
	s_waitcnt vmcnt(57)
	v_fma_f64 v[149:150], v[1:2], v[143:144], -v[149:150]
	v_fma_f64 v[143:144], v[3:4], v[143:144], v[217:218]
	ds_read_b128 v[1:4], v185 offset:1776
	v_add_f64 v[137:138], v[137:138], v[206:207]
	v_add_f64 v[139:140], v[139:140], v[196:197]
	s_waitcnt vmcnt(53) lgkmcnt(1)
	v_mul_f64 v[196:197], v[5:6], v[186:187]
	v_mul_f64 v[186:187], v[7:8], v[186:187]
	s_waitcnt vmcnt(52)
	v_fma_f64 v[198:199], v[133:134], v[211:212], -v[198:199]
	v_add_f64 v[137:138], v[137:138], v[149:150]
	v_fma_f64 v[149:150], v[135:136], v[211:212], v[202:203]
	v_add_f64 v[139:140], v[139:140], v[143:144]
	ds_read_b128 v[133:136], v185 offset:1792
	s_waitcnt vmcnt(51) lgkmcnt(1)
	v_mul_f64 v[143:144], v[1:2], v[188:189]
	v_mul_f64 v[188:189], v[3:4], v[188:189]
	s_waitcnt vmcnt(49)
	v_fma_f64 v[186:187], v[5:6], v[145:146], -v[186:187]
	v_fma_f64 v[145:146], v[7:8], v[145:146], v[196:197]
	v_add_f64 v[137:138], v[137:138], v[198:199]
	v_add_f64 v[139:140], v[139:140], v[149:150]
	s_clause 0x3
	buffer_load_dword v149, off, s[0:3], 0 offset:432
	buffer_load_dword v150, off, s[0:3], 0 offset:436
	buffer_load_dword v196, off, s[0:3], 0 offset:440
	buffer_load_dword v197, off, s[0:3], 0 offset:444
	ds_read_b128 v[5:8], v185 offset:1808
	s_waitcnt vmcnt(49) lgkmcnt(1)
	v_mul_f64 v[198:199], v[133:134], v[141:142]
	v_mul_f64 v[141:142], v[135:136], v[141:142]
	s_waitcnt vmcnt(48)
	v_fma_f64 v[188:189], v[1:2], v[200:201], -v[188:189]
	v_fma_f64 v[143:144], v[3:4], v[200:201], v[143:144]
	ds_read_b128 v[1:4], v185 offset:1824
	v_add_f64 v[137:138], v[137:138], v[186:187]
	v_add_f64 v[139:140], v[139:140], v[145:146]
	s_waitcnt vmcnt(47) lgkmcnt(1)
	v_mul_f64 v[145:146], v[5:6], v[161:162]
	v_mul_f64 v[161:162], v[7:8], v[161:162]
	s_waitcnt vmcnt(45)
	v_fma_f64 v[141:142], v[133:134], v[151:152], -v[141:142]
	v_fma_f64 v[151:152], v[135:136], v[151:152], v[198:199]
	ds_read_b128 v[133:136], v185 offset:1840
	v_add_f64 v[137:138], v[137:138], v[188:189]
	v_add_f64 v[139:140], v[139:140], v[143:144]
	s_waitcnt vmcnt(41) lgkmcnt(1)
	v_mul_f64 v[143:144], v[1:2], v[147:148]
	v_mul_f64 v[147:148], v[3:4], v[147:148]
	s_waitcnt vmcnt(40)
	v_fma_f64 v[161:162], v[5:6], v[194:195], -v[161:162]
	v_add_f64 v[137:138], v[137:138], v[141:142]
	v_fma_f64 v[141:142], v[7:8], v[194:195], v[145:146]
	v_add_f64 v[139:140], v[139:140], v[151:152]
	ds_read_b128 v[5:8], v185 offset:1856
	s_waitcnt vmcnt(39) lgkmcnt(1)
	v_mul_f64 v[151:152], v[135:136], v[167:168]
	v_mul_f64 v[145:146], v[133:134], v[167:168]
	s_waitcnt vmcnt(37)
	v_fma_f64 v[143:144], v[3:4], v[157:158], v[143:144]
	v_fma_f64 v[147:148], v[1:2], v[157:158], -v[147:148]
	ds_read_b128 v[1:4], v185 offset:1872
	v_add_f64 v[137:138], v[137:138], v[161:162]
	v_add_f64 v[139:140], v[139:140], v[141:142]
	s_waitcnt vmcnt(33) lgkmcnt(1)
	v_mul_f64 v[141:142], v[5:6], v[153:154]
	v_mul_f64 v[153:154], v[7:8], v[153:154]
	s_waitcnt vmcnt(32)
	v_fma_f64 v[151:152], v[133:134], v[169:170], -v[151:152]
	v_fma_f64 v[145:146], v[135:136], v[169:170], v[145:146]
	ds_read_b128 v[133:136], v185 offset:1888
	v_add_f64 v[137:138], v[137:138], v[147:148]
	v_add_f64 v[139:140], v[139:140], v[143:144]
	s_waitcnt vmcnt(31) lgkmcnt(1)
	v_mul_f64 v[147:148], v[3:4], v[175:176]
	v_mul_f64 v[143:144], v[1:2], v[175:176]
	s_waitcnt vmcnt(29)
	v_fma_f64 v[153:154], v[5:6], v[155:156], -v[153:154]
	v_fma_f64 v[141:142], v[7:8], v[155:156], v[141:142]
	ds_read_b128 v[5:8], v185 offset:1904
	v_add_f64 v[137:138], v[137:138], v[151:152]
	v_add_f64 v[139:140], v[139:140], v[145:146]
	s_waitcnt vmcnt(25) lgkmcnt(1)
	v_mul_f64 v[151:152], v[135:136], v[159:160]
	s_waitcnt vmcnt(24)
	v_fma_f64 v[147:148], v[1:2], v[177:178], -v[147:148]
	v_mul_f64 v[145:146], v[133:134], v[159:160]
	v_fma_f64 v[143:144], v[3:4], v[177:178], v[143:144]
	ds_read_b128 v[1:4], v185 offset:1920
	v_add_f64 v[137:138], v[137:138], v[153:154]
	v_add_f64 v[139:140], v[139:140], v[141:142]
	s_waitcnt vmcnt(23) lgkmcnt(1)
	v_mul_f64 v[153:154], v[7:8], v[181:182]
	v_mul_f64 v[141:142], v[5:6], v[181:182]
	s_waitcnt vmcnt(21)
	v_fma_f64 v[151:152], v[133:134], v[163:164], -v[151:152]
	v_fma_f64 v[145:146], v[135:136], v[163:164], v[145:146]
	ds_read_b128 v[133:136], v185 offset:1936
	v_add_f64 v[137:138], v[137:138], v[147:148]
	v_add_f64 v[139:140], v[139:140], v[143:144]
	s_waitcnt vmcnt(17) lgkmcnt(1)
	v_mul_f64 v[147:148], v[3:4], v[165:166]
	s_waitcnt vmcnt(16)
	v_fma_f64 v[153:154], v[5:6], v[183:184], -v[153:154]
	v_mul_f64 v[143:144], v[1:2], v[165:166]
	;; [unrolled: 18-line block ×3, first 2 shown]
	v_fma_f64 v[135:136], v[135:136], v[208:209], v[145:146]
	v_add_f64 v[137:138], v[137:138], v[147:148]
	v_add_f64 v[139:140], v[139:140], v[143:144]
	s_waitcnt vmcnt(7) lgkmcnt(0)
	v_mul_f64 v[145:146], v[3:4], v[190:191]
	v_mul_f64 v[143:144], v[1:2], v[190:191]
	s_waitcnt vmcnt(5)
	v_fma_f64 v[5:6], v[5:6], v[179:180], -v[153:154]
	v_fma_f64 v[7:8], v[7:8], v[179:180], v[141:142]
	v_add_f64 v[133:134], v[137:138], v[133:134]
	v_add_f64 v[135:136], v[139:140], v[135:136]
	s_waitcnt vmcnt(4)
	v_fma_f64 v[1:2], v[1:2], v[213:214], -v[145:146]
	v_fma_f64 v[3:4], v[3:4], v[213:214], v[143:144]
	v_add_f64 v[5:6], v[133:134], v[5:6]
	v_add_f64 v[7:8], v[135:136], v[7:8]
	;; [unrolled: 1-line block ×4, first 2 shown]
	s_waitcnt vmcnt(2)
	v_add_f64 v[1:2], v[149:150], -v[1:2]
	s_waitcnt vmcnt(0)
	v_add_f64 v[3:4], v[196:197], -v[3:4]
	buffer_store_dword v2, off, s[0:3], 0 offset:436
	buffer_store_dword v1, off, s[0:3], 0 offset:432
	;; [unrolled: 1-line block ×4, first 2 shown]
	v_cmpx_lt_u32_e32 25, v0
	s_cbranch_execz .LBB125_347
; %bb.346:
	v_mov_b32_e32 v4, s51
	s_clause 0x3
	buffer_load_dword v1, v4, s[0:3], 0 offen
	buffer_load_dword v2, v4, s[0:3], 0 offen offset:4
	buffer_load_dword v3, v4, s[0:3], 0 offen offset:8
	;; [unrolled: 1-line block ×3, first 2 shown]
	buffer_store_dword v185, off, s[0:3], 0 offset:416
	buffer_store_dword v185, off, s[0:3], 0 offset:420
	;; [unrolled: 1-line block ×4, first 2 shown]
	s_waitcnt vmcnt(0)
	ds_write_b128 v193, v[1:4]
.LBB125_347:
	s_or_b32 exec_lo, exec_lo, s4
	s_waitcnt lgkmcnt(0)
	s_waitcnt_vscnt null, 0x0
	s_barrier
	buffer_gl0_inv
	s_clause 0x37
	buffer_load_dword v133, off, s[0:3], 0 offset:440
	buffer_load_dword v134, off, s[0:3], 0 offset:444
	;; [unrolled: 1-line block ×56, first 2 shown]
	ds_read_b128 v[186:189], v185 offset:1408
	s_clause 0x2
	buffer_load_dword v182, off, s[0:3], 0 offset:668
	buffer_load_dword v184, off, s[0:3], 0 offset:644
	;; [unrolled: 1-line block ×3, first 2 shown]
	ds_read_b128 v[194:197], v185 offset:1424
	s_clause 0x4
	buffer_load_dword v203, off, s[0:3], 0 offset:684
	buffer_load_dword v204, off, s[0:3], 0 offset:696
	;; [unrolled: 1-line block ×5, first 2 shown]
	ds_read_b128 v[198:201], v185 offset:1440
	s_clause 0x2
	buffer_load_dword v205, off, s[0:3], 0 offset:700
	buffer_load_dword v210, off, s[0:3], 0 offset:676
	;; [unrolled: 1-line block ×3, first 2 shown]
	s_mov_b32 s4, exec_lo
	s_waitcnt vmcnt(62) lgkmcnt(2)
	v_mul_f64 v[190:191], v[188:189], v[133:134]
	v_mul_f64 v[133:134], v[186:187], v[133:134]
	s_waitcnt lgkmcnt(1)
	v_mul_f64 v[207:208], v[196:197], v[5:6]
	s_waitcnt vmcnt(59) lgkmcnt(0)
	v_mul_f64 v[211:212], v[200:201], v[3:4]
	v_fma_f64 v[186:187], v[186:187], v[7:8], -v[190:191]
	v_mul_f64 v[190:191], v[194:195], v[5:6]
	v_fma_f64 v[133:134], v[188:189], v[7:8], v[133:134]
	s_waitcnt vmcnt(57)
	v_fma_f64 v[194:195], v[194:195], v[1:2], -v[207:208]
	ds_read_b128 v[5:8], v185 offset:1456
	v_mul_f64 v[188:189], v[198:199], v[3:4]
	s_waitcnt vmcnt(51)
	v_fma_f64 v[198:199], v[198:199], v[149:150], -v[211:212]
	v_add_f64 v[186:187], v[186:187], 0
	v_fma_f64 v[190:191], v[196:197], v[1:2], v[190:191]
	v_add_f64 v[133:134], v[133:134], 0
	s_clause 0x4
	buffer_load_dword v197, off, s[0:3], 0 offset:716
	buffer_load_dword v213, off, s[0:3], 0 offset:728
	;; [unrolled: 1-line block ×5, first 2 shown]
	s_waitcnt lgkmcnt(0)
	v_mul_f64 v[216:217], v[5:6], v[137:138]
	v_mul_f64 v[137:138], v[7:8], v[137:138]
	ds_read_b128 v[1:4], v185 offset:1472
	v_fma_f64 v[149:150], v[200:201], v[149:150], v[188:189]
	v_add_f64 v[194:195], v[186:187], v[194:195]
	v_add_f64 v[133:134], v[133:134], v[190:191]
	s_clause 0x2
	buffer_load_dword v214, off, s[0:3], 0 offset:732
	buffer_load_dword v191, off, s[0:3], 0 offset:708
	;; [unrolled: 1-line block ×3, first 2 shown]
	s_waitcnt vmcnt(58) lgkmcnt(0)
	v_mul_f64 v[200:201], v[1:2], v[141:142]
	v_mul_f64 v[141:142], v[3:4], v[141:142]
	s_waitcnt vmcnt(56)
	v_fma_f64 v[137:138], v[5:6], v[143:144], -v[137:138]
	ds_read_b128 v[186:189], v185 offset:1488
	v_fma_f64 v[143:144], v[7:8], v[143:144], v[216:217]
	v_add_f64 v[194:195], v[194:195], v[198:199]
	v_add_f64 v[133:134], v[133:134], v[149:150]
	s_clause 0x4
	buffer_load_dword v150, off, s[0:3], 0 offset:748
	buffer_load_dword v198, off, s[0:3], 0 offset:760
	;; [unrolled: 1-line block ×5, first 2 shown]
	ds_read_b128 v[5:8], v185 offset:1504
	s_waitcnt vmcnt(57) lgkmcnt(1)
	v_mul_f64 v[217:218], v[186:187], v[145:146]
	v_mul_f64 v[145:146], v[188:189], v[145:146]
	s_waitcnt vmcnt(56)
	v_fma_f64 v[141:142], v[1:2], v[135:136], -v[141:142]
	v_fma_f64 v[135:136], v[3:4], v[135:136], v[200:201]
	v_add_f64 v[137:138], v[194:195], v[137:138]
	v_add_f64 v[133:134], v[133:134], v[143:144]
	s_clause 0x2
	buffer_load_dword v199, off, s[0:3], 0 offset:764
	buffer_load_dword v144, off, s[0:3], 0 offset:740
	;; [unrolled: 1-line block ×3, first 2 shown]
	s_waitcnt vmcnt(58) lgkmcnt(0)
	v_mul_f64 v[194:195], v[5:6], v[151:152]
	v_mul_f64 v[151:152], v[7:8], v[151:152]
	s_waitcnt vmcnt(56)
	v_fma_f64 v[145:146], v[186:187], v[153:154], -v[145:146]
	ds_read_b128 v[1:4], v185 offset:1520
	v_add_f64 v[137:138], v[137:138], v[141:142]
	v_fma_f64 v[141:142], v[188:189], v[153:154], v[217:218]
	v_add_f64 v[153:154], v[133:134], v[135:136]
	s_clause 0x4
	buffer_load_dword v187, off, s[0:3], 0 offset:780
	buffer_load_dword v188, off, s[0:3], 0 offset:792
	;; [unrolled: 1-line block ×5, first 2 shown]
	ds_read_b128 v[133:136], v185 offset:1536
	s_waitcnt vmcnt(57) lgkmcnt(1)
	v_mul_f64 v[217:218], v[1:2], v[155:156]
	v_mul_f64 v[155:156], v[3:4], v[155:156]
	s_waitcnt vmcnt(56)
	v_fma_f64 v[151:152], v[5:6], v[139:140], -v[151:152]
	v_fma_f64 v[139:140], v[7:8], v[139:140], v[194:195]
	v_add_f64 v[137:138], v[137:138], v[145:146]
	s_clause 0x2
	buffer_load_dword v189, off, s[0:3], 0 offset:796
	buffer_load_dword v146, off, s[0:3], 0 offset:772
	;; [unrolled: 1-line block ×3, first 2 shown]
	v_add_f64 v[141:142], v[153:154], v[141:142]
	s_waitcnt vmcnt(58) lgkmcnt(0)
	v_mul_f64 v[153:154], v[133:134], v[159:160]
	v_mul_f64 v[159:160], v[135:136], v[159:160]
	ds_read_b128 v[5:8], v185 offset:1552
	s_waitcnt vmcnt(56)
	v_fma_f64 v[155:156], v[1:2], v[161:162], -v[155:156]
	v_add_f64 v[137:138], v[137:138], v[151:152]
	v_fma_f64 v[151:152], v[3:4], v[161:162], v[217:218]
	v_add_f64 v[139:140], v[141:142], v[139:140]
	s_clause 0x4
	buffer_load_dword v142, off, s[0:3], 0 offset:812
	buffer_load_dword v161, off, s[0:3], 0 offset:824
	;; [unrolled: 1-line block ×5, first 2 shown]
	s_waitcnt vmcnt(57) lgkmcnt(0)
	v_mul_f64 v[217:218], v[5:6], v[163:164]
	v_mul_f64 v[163:164], v[7:8], v[163:164]
	s_waitcnt vmcnt(56)
	v_fma_f64 v[159:160], v[133:134], v[147:148], -v[159:160]
	ds_read_b128 v[1:4], v185 offset:1568
	v_fma_f64 v[147:148], v[135:136], v[147:148], v[153:154]
	v_add_f64 v[137:138], v[137:138], v[155:156]
	v_add_f64 v[139:140], v[139:140], v[151:152]
	s_clause 0x2
	buffer_load_dword v162, off, s[0:3], 0 offset:828
	buffer_load_dword v152, off, s[0:3], 0 offset:804
	;; [unrolled: 1-line block ×3, first 2 shown]
	ds_read_b128 v[133:136], v185 offset:1584
	s_waitcnt vmcnt(58) lgkmcnt(1)
	v_mul_f64 v[155:156], v[3:4], v[167:168]
	s_waitcnt vmcnt(56)
	v_fma_f64 v[163:164], v[5:6], v[169:170], -v[163:164]
	v_mul_f64 v[153:154], v[1:2], v[167:168]
	v_add_f64 v[137:138], v[137:138], v[159:160]
	v_fma_f64 v[159:160], v[7:8], v[169:170], v[217:218]
	v_add_f64 v[139:140], v[139:140], v[147:148]
	s_clause 0x4
	buffer_load_dword v148, off, s[0:3], 0 offset:844
	buffer_load_dword v167, off, s[0:3], 0 offset:856
	;; [unrolled: 1-line block ×5, first 2 shown]
	s_waitcnt vmcnt(57) lgkmcnt(0)
	v_mul_f64 v[217:218], v[133:134], v[171:172]
	v_mul_f64 v[170:171], v[135:136], v[171:172]
	s_waitcnt vmcnt(56)
	v_fma_f64 v[155:156], v[1:2], v[157:158], -v[155:156]
	ds_read_b128 v[5:8], v185 offset:1600
	v_fma_f64 v[153:154], v[3:4], v[157:158], v[153:154]
	s_clause 0x2
	buffer_load_dword v168, off, s[0:3], 0 offset:860
	buffer_load_dword v158, off, s[0:3], 0 offset:836
	;; [unrolled: 1-line block ×3, first 2 shown]
	ds_read_b128 v[1:4], v185 offset:1616
	v_add_f64 v[137:138], v[137:138], v[163:164]
	v_add_f64 v[139:140], v[139:140], v[159:160]
	s_waitcnt vmcnt(58) lgkmcnt(1)
	v_mul_f64 v[163:164], v[7:8], v[175:176]
	s_waitcnt vmcnt(56)
	v_fma_f64 v[171:172], v[133:134], v[177:178], -v[170:171]
	v_mul_f64 v[159:160], v[5:6], v[175:176]
	v_add_f64 v[137:138], v[137:138], v[155:156]
	v_fma_f64 v[155:156], v[135:136], v[177:178], v[217:218]
	v_add_f64 v[139:140], v[139:140], v[153:154]
	s_clause 0x4
	buffer_load_dword v154, off, s[0:3], 0 offset:876
	buffer_load_dword v175, off, s[0:3], 0 offset:888
	;; [unrolled: 1-line block ×5, first 2 shown]
	s_waitcnt vmcnt(57) lgkmcnt(0)
	v_mul_f64 v[217:218], v[1:2], v[179:180]
	v_mul_f64 v[178:179], v[3:4], v[179:180]
	s_waitcnt vmcnt(56)
	v_fma_f64 v[163:164], v[5:6], v[165:166], -v[163:164]
	ds_read_b128 v[133:136], v185 offset:1632
	v_fma_f64 v[159:160], v[7:8], v[165:166], v[159:160]
	v_add_f64 v[137:138], v[137:138], v[171:172]
	v_add_f64 v[139:140], v[139:140], v[155:156]
	s_clause 0x2
	buffer_load_dword v176, off, s[0:3], 0 offset:892
	buffer_load_dword v156, off, s[0:3], 0 offset:868
	buffer_load_dword v155, off, s[0:3], 0 offset:864
	ds_read_b128 v[5:8], v185 offset:1648
	s_waitcnt vmcnt(58) lgkmcnt(1)
	v_mul_f64 v[171:172], v[135:136], v[181:182]
	s_waitcnt vmcnt(56)
	v_fma_f64 v[179:180], v[1:2], v[183:184], -v[178:179]
	v_mul_f64 v[165:166], v[133:134], v[181:182]
	v_add_f64 v[137:138], v[137:138], v[163:164]
	v_fma_f64 v[163:164], v[3:4], v[183:184], v[217:218]
	v_add_f64 v[139:140], v[139:140], v[159:160]
	s_clause 0x4
	buffer_load_dword v160, off, s[0:3], 0 offset:908
	buffer_load_dword v181, off, s[0:3], 0 offset:920
	;; [unrolled: 1-line block ×5, first 2 shown]
	s_waitcnt vmcnt(57) lgkmcnt(0)
	v_mul_f64 v[217:218], v[5:6], v[202:203]
	v_mul_f64 v[202:203], v[7:8], v[202:203]
	s_waitcnt vmcnt(56)
	v_fma_f64 v[171:172], v[133:134], v[173:174], -v[171:172]
	ds_read_b128 v[1:4], v185 offset:1664
	v_fma_f64 v[165:166], v[135:136], v[173:174], v[165:166]
	v_add_f64 v[137:138], v[137:138], v[179:180]
	v_add_f64 v[139:140], v[139:140], v[163:164]
	s_clause 0x2
	buffer_load_dword v182, off, s[0:3], 0 offset:924
	buffer_load_dword v164, off, s[0:3], 0 offset:900
	;; [unrolled: 1-line block ×3, first 2 shown]
	ds_read_b128 v[133:136], v185 offset:1680
	s_waitcnt vmcnt(58) lgkmcnt(1)
	v_mul_f64 v[179:180], v[3:4], v[204:205]
	s_waitcnt vmcnt(56)
	v_fma_f64 v[202:203], v[5:6], v[209:210], -v[202:203]
	v_mul_f64 v[173:174], v[1:2], v[204:205]
	v_add_f64 v[137:138], v[137:138], v[171:172]
	v_fma_f64 v[171:172], v[7:8], v[209:210], v[217:218]
	v_add_f64 v[139:140], v[139:140], v[165:166]
	s_clause 0x4
	buffer_load_dword v166, off, s[0:3], 0 offset:940
	buffer_load_dword v204, off, s[0:3], 0 offset:952
	;; [unrolled: 1-line block ×5, first 2 shown]
	ds_read_b128 v[5:8], v185 offset:1696
	s_waitcnt vmcnt(57) lgkmcnt(1)
	v_mul_f64 v[209:210], v[133:134], v[196:197]
	v_mul_f64 v[196:197], v[135:136], v[196:197]
	s_waitcnt vmcnt(56)
	v_fma_f64 v[179:180], v[1:2], v[206:207], -v[179:180]
	v_fma_f64 v[173:174], v[3:4], v[206:207], v[173:174]
	v_add_f64 v[137:138], v[137:138], v[202:203]
	v_add_f64 v[139:140], v[139:140], v[171:172]
	s_clause 0x2
	buffer_load_dword v205, off, s[0:3], 0 offset:956
	buffer_load_dword v172, off, s[0:3], 0 offset:932
	;; [unrolled: 1-line block ×3, first 2 shown]
	ds_read_b128 v[1:4], v185 offset:1712
	s_waitcnt vmcnt(58) lgkmcnt(1)
	v_mul_f64 v[206:207], v[7:8], v[213:214]
	v_mul_f64 v[202:203], v[5:6], v[213:214]
	s_waitcnt vmcnt(56)
	v_fma_f64 v[196:197], v[133:134], v[190:191], -v[196:197]
	v_add_f64 v[137:138], v[137:138], v[179:180]
	v_fma_f64 v[179:180], v[135:136], v[190:191], v[209:210]
	v_add_f64 v[139:140], v[139:140], v[173:174]
	s_clause 0x4
	buffer_load_dword v174, off, s[0:3], 0 offset:972
	buffer_load_dword v190, off, s[0:3], 0 offset:984
	;; [unrolled: 1-line block ×5, first 2 shown]
	ds_read_b128 v[133:136], v185 offset:1728
	s_waitcnt vmcnt(57) lgkmcnt(1)
	v_mul_f64 v[217:218], v[1:2], v[149:150]
	v_mul_f64 v[149:150], v[3:4], v[149:150]
	s_waitcnt vmcnt(56)
	v_fma_f64 v[206:207], v[5:6], v[215:216], -v[206:207]
	v_add_f64 v[137:138], v[137:138], v[196:197]
	v_fma_f64 v[196:197], v[7:8], v[215:216], v[202:203]
	v_add_f64 v[139:140], v[139:140], v[179:180]
	s_clause 0x2
	buffer_load_dword v191, off, s[0:3], 0 offset:988
	buffer_load_dword v180, off, s[0:3], 0 offset:964
	;; [unrolled: 1-line block ×3, first 2 shown]
	ds_read_b128 v[5:8], v185 offset:1744
	s_waitcnt vmcnt(58) lgkmcnt(1)
	v_mul_f64 v[202:203], v[133:134], v[198:199]
	v_mul_f64 v[198:199], v[135:136], v[198:199]
	s_waitcnt vmcnt(56)
	v_fma_f64 v[149:150], v[1:2], v[143:144], -v[149:150]
	v_fma_f64 v[143:144], v[3:4], v[143:144], v[217:218]
	v_add_f64 v[137:138], v[137:138], v[206:207]
	v_add_f64 v[139:140], v[139:140], v[196:197]
	s_clause 0x2
	buffer_load_dword v197, off, s[0:3], 0 offset:1004
	buffer_load_dword v196, off, s[0:3], 0 offset:1000
	;; [unrolled: 1-line block ×3, first 2 shown]
	ds_read_b128 v[1:4], v185 offset:1760
	s_waitcnt vmcnt(55) lgkmcnt(1)
	v_mul_f64 v[206:207], v[5:6], v[186:187]
	v_mul_f64 v[186:187], v[7:8], v[186:187]
	s_waitcnt vmcnt(54)
	v_fma_f64 v[198:199], v[133:134], v[211:212], -v[198:199]
	v_add_f64 v[137:138], v[137:138], v[149:150]
	v_fma_f64 v[149:150], v[135:136], v[211:212], v[202:203]
	v_add_f64 v[139:140], v[139:140], v[143:144]
	s_clause 0x1
	buffer_load_dword v144, off, s[0:3], 0 offset:996
	buffer_load_dword v143, off, s[0:3], 0 offset:992
	ds_read_b128 v[133:136], v185 offset:1776
	s_waitcnt vmcnt(55) lgkmcnt(1)
	v_mul_f64 v[202:203], v[1:2], v[188:189]
	v_mul_f64 v[188:189], v[3:4], v[188:189]
	s_waitcnt vmcnt(53)
	v_fma_f64 v[186:187], v[5:6], v[145:146], -v[186:187]
	v_fma_f64 v[145:146], v[7:8], v[145:146], v[206:207]
	ds_read_b128 v[5:8], v185 offset:1792
	v_add_f64 v[137:138], v[137:138], v[198:199]
	v_add_f64 v[139:140], v[139:140], v[149:150]
	s_waitcnt vmcnt(49) lgkmcnt(1)
	v_mul_f64 v[149:150], v[133:134], v[141:142]
	v_mul_f64 v[141:142], v[135:136], v[141:142]
	s_waitcnt vmcnt(48)
	v_fma_f64 v[188:189], v[1:2], v[200:201], -v[188:189]
	v_add_f64 v[137:138], v[137:138], v[186:187]
	v_fma_f64 v[186:187], v[3:4], v[200:201], v[202:203]
	v_add_f64 v[139:140], v[139:140], v[145:146]
	s_clause 0x3
	buffer_load_dword v145, off, s[0:3], 0 offset:416
	buffer_load_dword v146, off, s[0:3], 0 offset:420
	;; [unrolled: 1-line block ×4, first 2 shown]
	ds_read_b128 v[1:4], v185 offset:1808
	s_waitcnt vmcnt(51) lgkmcnt(1)
	v_mul_f64 v[200:201], v[5:6], v[161:162]
	v_mul_f64 v[161:162], v[7:8], v[161:162]
	s_waitcnt vmcnt(49)
	v_fma_f64 v[141:142], v[133:134], v[151:152], -v[141:142]
	v_fma_f64 v[149:150], v[135:136], v[151:152], v[149:150]
	ds_read_b128 v[133:136], v185 offset:1824
	v_add_f64 v[137:138], v[137:138], v[188:189]
	v_add_f64 v[139:140], v[139:140], v[186:187]
	s_waitcnt vmcnt(45) lgkmcnt(1)
	v_mul_f64 v[151:152], v[1:2], v[147:148]
	v_mul_f64 v[147:148], v[3:4], v[147:148]
	s_waitcnt vmcnt(44)
	v_fma_f64 v[161:162], v[5:6], v[194:195], -v[161:162]
	v_add_f64 v[137:138], v[137:138], v[141:142]
	v_fma_f64 v[141:142], v[7:8], v[194:195], v[200:201]
	v_add_f64 v[139:140], v[139:140], v[149:150]
	s_waitcnt vmcnt(43) lgkmcnt(0)
	v_mul_f64 v[149:150], v[133:134], v[167:168]
	v_mul_f64 v[167:168], v[135:136], v[167:168]
	ds_read_b128 v[5:8], v185 offset:1840
	s_waitcnt vmcnt(41)
	v_fma_f64 v[151:152], v[3:4], v[157:158], v[151:152]
	v_fma_f64 v[147:148], v[1:2], v[157:158], -v[147:148]
	ds_read_b128 v[1:4], v185 offset:1856
	v_add_f64 v[137:138], v[137:138], v[161:162]
	v_add_f64 v[139:140], v[139:140], v[141:142]
	s_waitcnt vmcnt(37) lgkmcnt(1)
	v_mul_f64 v[141:142], v[5:6], v[153:154]
	v_mul_f64 v[153:154], v[7:8], v[153:154]
	s_waitcnt vmcnt(36)
	v_fma_f64 v[157:158], v[133:134], v[169:170], -v[167:168]
	v_add_f64 v[137:138], v[137:138], v[147:148]
	v_fma_f64 v[147:148], v[135:136], v[169:170], v[149:150]
	v_add_f64 v[139:140], v[139:140], v[151:152]
	ds_read_b128 v[133:136], v185 offset:1872
	s_waitcnt vmcnt(35) lgkmcnt(1)
	v_mul_f64 v[151:152], v[3:4], v[175:176]
	v_mul_f64 v[149:150], v[1:2], v[175:176]
	s_waitcnt vmcnt(33)
	v_fma_f64 v[153:154], v[5:6], v[155:156], -v[153:154]
	v_fma_f64 v[141:142], v[7:8], v[155:156], v[141:142]
	ds_read_b128 v[5:8], v185 offset:1888
	v_add_f64 v[137:138], v[137:138], v[157:158]
	v_add_f64 v[139:140], v[139:140], v[147:148]
	s_waitcnt vmcnt(29) lgkmcnt(1)
	v_mul_f64 v[155:156], v[135:136], v[159:160]
	s_waitcnt vmcnt(28)
	v_fma_f64 v[151:152], v[1:2], v[177:178], -v[151:152]
	v_mul_f64 v[147:148], v[133:134], v[159:160]
	v_fma_f64 v[149:150], v[3:4], v[177:178], v[149:150]
	ds_read_b128 v[1:4], v185 offset:1904
	v_add_f64 v[137:138], v[137:138], v[153:154]
	v_add_f64 v[139:140], v[139:140], v[141:142]
	s_waitcnt vmcnt(27) lgkmcnt(1)
	v_mul_f64 v[153:154], v[7:8], v[181:182]
	v_mul_f64 v[141:142], v[5:6], v[181:182]
	s_waitcnt vmcnt(25)
	v_fma_f64 v[155:156], v[133:134], v[163:164], -v[155:156]
	v_fma_f64 v[147:148], v[135:136], v[163:164], v[147:148]
	ds_read_b128 v[133:136], v185 offset:1920
	v_add_f64 v[137:138], v[137:138], v[151:152]
	v_add_f64 v[139:140], v[139:140], v[149:150]
	s_waitcnt vmcnt(21) lgkmcnt(1)
	v_mul_f64 v[151:152], v[3:4], v[165:166]
	s_waitcnt vmcnt(20)
	v_fma_f64 v[153:154], v[5:6], v[183:184], -v[153:154]
	v_mul_f64 v[149:150], v[1:2], v[165:166]
	v_fma_f64 v[141:142], v[7:8], v[183:184], v[141:142]
	ds_read_b128 v[5:8], v185 offset:1936
	v_add_f64 v[137:138], v[137:138], v[155:156]
	v_add_f64 v[139:140], v[139:140], v[147:148]
	;; [unrolled: 18-line block ×3, first 2 shown]
	s_waitcnt vmcnt(11) lgkmcnt(1)
	v_mul_f64 v[151:152], v[3:4], v[190:191]
	v_mul_f64 v[149:150], v[1:2], v[190:191]
	s_waitcnt vmcnt(9)
	v_fma_f64 v[5:6], v[5:6], v[179:180], -v[153:154]
	v_fma_f64 v[7:8], v[7:8], v[179:180], v[141:142]
	v_add_f64 v[137:138], v[137:138], v[155:156]
	v_add_f64 v[139:140], v[139:140], v[147:148]
	s_waitcnt vmcnt(7) lgkmcnt(0)
	v_mul_f64 v[147:148], v[135:136], v[196:197]
	s_waitcnt vmcnt(6)
	v_fma_f64 v[1:2], v[1:2], v[213:214], -v[151:152]
	v_mul_f64 v[141:142], v[133:134], v[196:197]
	v_fma_f64 v[3:4], v[3:4], v[213:214], v[149:150]
	v_add_f64 v[5:6], v[137:138], v[5:6]
	v_add_f64 v[7:8], v[139:140], v[7:8]
	s_waitcnt vmcnt(4)
	v_fma_f64 v[133:134], v[133:134], v[143:144], -v[147:148]
	v_add_f64 v[1:2], v[5:6], v[1:2]
	v_fma_f64 v[5:6], v[135:136], v[143:144], v[141:142]
	v_add_f64 v[3:4], v[7:8], v[3:4]
	v_add_f64 v[1:2], v[1:2], v[133:134]
	;; [unrolled: 1-line block ×3, first 2 shown]
	s_waitcnt vmcnt(2)
	v_add_f64 v[1:2], v[145:146], -v[1:2]
	s_waitcnt vmcnt(0)
	v_add_f64 v[3:4], v[198:199], -v[3:4]
	buffer_store_dword v2, off, s[0:3], 0 offset:420
	buffer_store_dword v1, off, s[0:3], 0 offset:416
	;; [unrolled: 1-line block ×4, first 2 shown]
	v_cmpx_lt_u32_e32 24, v0
	s_cbranch_execz .LBB125_349
; %bb.348:
	v_mov_b32_e32 v4, s52
	v_mov_b32_e32 v5, 0
	s_clause 0x3
	buffer_load_dword v1, v4, s[0:3], 0 offen
	buffer_load_dword v2, v4, s[0:3], 0 offen offset:4
	buffer_load_dword v3, v4, s[0:3], 0 offen offset:8
	;; [unrolled: 1-line block ×3, first 2 shown]
	buffer_store_dword v5, off, s[0:3], 0 offset:400
	buffer_store_dword v5, off, s[0:3], 0 offset:404
	;; [unrolled: 1-line block ×4, first 2 shown]
	s_waitcnt vmcnt(0)
	ds_write_b128 v193, v[1:4]
.LBB125_349:
	s_or_b32 exec_lo, exec_lo, s4
	s_waitcnt lgkmcnt(0)
	s_waitcnt_vscnt null, 0x0
	s_barrier
	buffer_gl0_inv
	s_clause 0x37
	buffer_load_dword v133, off, s[0:3], 0 offset:424
	buffer_load_dword v134, off, s[0:3], 0 offset:428
	buffer_load_dword v5, off, s[0:3], 0 offset:440
	buffer_load_dword v6, off, s[0:3], 0 offset:444
	buffer_load_dword v7, off, s[0:3], 0 offset:416
	buffer_load_dword v8, off, s[0:3], 0 offset:420
	buffer_load_dword v3, off, s[0:3], 0 offset:456
	buffer_load_dword v4, off, s[0:3], 0 offset:460
	buffer_load_dword v1, off, s[0:3], 0 offset:432
	buffer_load_dword v2, off, s[0:3], 0 offset:436
	buffer_load_dword v138, off, s[0:3], 0 offset:476
	buffer_load_dword v141, off, s[0:3], 0 offset:488
	buffer_load_dword v135, off, s[0:3], 0 offset:480
	buffer_load_dword v137, off, s[0:3], 0 offset:472
	buffer_load_dword v149, off, s[0:3], 0 offset:448
	buffer_load_dword v150, off, s[0:3], 0 offset:452
	buffer_load_dword v142, off, s[0:3], 0 offset:492
	buffer_load_dword v144, off, s[0:3], 0 offset:468
	buffer_load_dword v143, off, s[0:3], 0 offset:464
	buffer_load_dword v146, off, s[0:3], 0 offset:508
	buffer_load_dword v151, off, s[0:3], 0 offset:520
	buffer_load_dword v139, off, s[0:3], 0 offset:512
	buffer_load_dword v145, off, s[0:3], 0 offset:504
	buffer_load_dword v136, off, s[0:3], 0 offset:484
	buffer_load_dword v152, off, s[0:3], 0 offset:524
	buffer_load_dword v154, off, s[0:3], 0 offset:500
	buffer_load_dword v153, off, s[0:3], 0 offset:496
	buffer_load_dword v156, off, s[0:3], 0 offset:540
	buffer_load_dword v159, off, s[0:3], 0 offset:552
	buffer_load_dword v147, off, s[0:3], 0 offset:544
	buffer_load_dword v155, off, s[0:3], 0 offset:536
	buffer_load_dword v140, off, s[0:3], 0 offset:516
	buffer_load_dword v160, off, s[0:3], 0 offset:556
	buffer_load_dword v162, off, s[0:3], 0 offset:532
	buffer_load_dword v161, off, s[0:3], 0 offset:528
	buffer_load_dword v164, off, s[0:3], 0 offset:572
	buffer_load_dword v167, off, s[0:3], 0 offset:584
	buffer_load_dword v157, off, s[0:3], 0 offset:576
	buffer_load_dword v163, off, s[0:3], 0 offset:568
	buffer_load_dword v148, off, s[0:3], 0 offset:548
	buffer_load_dword v168, off, s[0:3], 0 offset:588
	buffer_load_dword v170, off, s[0:3], 0 offset:564
	buffer_load_dword v169, off, s[0:3], 0 offset:560
	buffer_load_dword v172, off, s[0:3], 0 offset:604
	buffer_load_dword v175, off, s[0:3], 0 offset:616
	buffer_load_dword v165, off, s[0:3], 0 offset:608
	buffer_load_dword v171, off, s[0:3], 0 offset:600
	buffer_load_dword v158, off, s[0:3], 0 offset:580
	buffer_load_dword v176, off, s[0:3], 0 offset:620
	buffer_load_dword v178, off, s[0:3], 0 offset:596
	buffer_load_dword v177, off, s[0:3], 0 offset:592
	buffer_load_dword v180, off, s[0:3], 0 offset:636
	buffer_load_dword v181, off, s[0:3], 0 offset:648
	buffer_load_dword v173, off, s[0:3], 0 offset:640
	buffer_load_dword v179, off, s[0:3], 0 offset:632
	buffer_load_dword v166, off, s[0:3], 0 offset:612
	v_mov_b32_e32 v185, 0
	s_mov_b32 s4, exec_lo
	ds_read_b128 v[186:189], v185 offset:1392
	s_clause 0x2
	buffer_load_dword v182, off, s[0:3], 0 offset:652
	buffer_load_dword v184, off, s[0:3], 0 offset:628
	;; [unrolled: 1-line block ×3, first 2 shown]
	ds_read_b128 v[194:197], v185 offset:1408
	s_clause 0x4
	buffer_load_dword v203, off, s[0:3], 0 offset:668
	buffer_load_dword v204, off, s[0:3], 0 offset:680
	;; [unrolled: 1-line block ×5, first 2 shown]
	ds_read_b128 v[198:201], v185 offset:1424
	s_clause 0x2
	buffer_load_dword v205, off, s[0:3], 0 offset:684
	buffer_load_dword v210, off, s[0:3], 0 offset:660
	buffer_load_dword v209, off, s[0:3], 0 offset:656
	s_waitcnt vmcnt(62) lgkmcnt(2)
	v_mul_f64 v[190:191], v[188:189], v[133:134]
	v_mul_f64 v[133:134], v[186:187], v[133:134]
	s_waitcnt lgkmcnt(1)
	v_mul_f64 v[207:208], v[196:197], v[5:6]
	s_waitcnt vmcnt(59) lgkmcnt(0)
	v_mul_f64 v[211:212], v[200:201], v[3:4]
	v_fma_f64 v[186:187], v[186:187], v[7:8], -v[190:191]
	v_mul_f64 v[190:191], v[194:195], v[5:6]
	v_fma_f64 v[133:134], v[188:189], v[7:8], v[133:134]
	s_waitcnt vmcnt(57)
	v_fma_f64 v[194:195], v[194:195], v[1:2], -v[207:208]
	ds_read_b128 v[5:8], v185 offset:1440
	v_mul_f64 v[188:189], v[198:199], v[3:4]
	s_waitcnt vmcnt(51)
	v_fma_f64 v[198:199], v[198:199], v[149:150], -v[211:212]
	v_add_f64 v[186:187], v[186:187], 0
	v_fma_f64 v[190:191], v[196:197], v[1:2], v[190:191]
	v_add_f64 v[133:134], v[133:134], 0
	s_clause 0x4
	buffer_load_dword v197, off, s[0:3], 0 offset:700
	buffer_load_dword v213, off, s[0:3], 0 offset:712
	;; [unrolled: 1-line block ×5, first 2 shown]
	s_waitcnt lgkmcnt(0)
	v_mul_f64 v[216:217], v[5:6], v[137:138]
	v_mul_f64 v[137:138], v[7:8], v[137:138]
	ds_read_b128 v[1:4], v185 offset:1456
	v_fma_f64 v[149:150], v[200:201], v[149:150], v[188:189]
	v_add_f64 v[194:195], v[186:187], v[194:195]
	v_add_f64 v[133:134], v[133:134], v[190:191]
	s_clause 0x2
	buffer_load_dword v214, off, s[0:3], 0 offset:716
	buffer_load_dword v191, off, s[0:3], 0 offset:692
	;; [unrolled: 1-line block ×3, first 2 shown]
	s_waitcnt vmcnt(58) lgkmcnt(0)
	v_mul_f64 v[200:201], v[1:2], v[141:142]
	v_mul_f64 v[141:142], v[3:4], v[141:142]
	s_waitcnt vmcnt(56)
	v_fma_f64 v[137:138], v[5:6], v[143:144], -v[137:138]
	ds_read_b128 v[186:189], v185 offset:1472
	v_fma_f64 v[143:144], v[7:8], v[143:144], v[216:217]
	v_add_f64 v[194:195], v[194:195], v[198:199]
	v_add_f64 v[133:134], v[133:134], v[149:150]
	s_clause 0x4
	buffer_load_dword v150, off, s[0:3], 0 offset:732
	buffer_load_dword v198, off, s[0:3], 0 offset:744
	buffer_load_dword v211, off, s[0:3], 0 offset:736
	buffer_load_dword v149, off, s[0:3], 0 offset:728
	buffer_load_dword v216, off, s[0:3], 0 offset:708
	ds_read_b128 v[5:8], v185 offset:1488
	s_waitcnt vmcnt(57) lgkmcnt(1)
	v_mul_f64 v[217:218], v[186:187], v[145:146]
	v_mul_f64 v[145:146], v[188:189], v[145:146]
	s_waitcnt vmcnt(56)
	v_fma_f64 v[141:142], v[1:2], v[135:136], -v[141:142]
	v_fma_f64 v[135:136], v[3:4], v[135:136], v[200:201]
	v_add_f64 v[137:138], v[194:195], v[137:138]
	v_add_f64 v[133:134], v[133:134], v[143:144]
	s_clause 0x2
	buffer_load_dword v199, off, s[0:3], 0 offset:748
	buffer_load_dword v144, off, s[0:3], 0 offset:724
	;; [unrolled: 1-line block ×3, first 2 shown]
	s_waitcnt vmcnt(58) lgkmcnt(0)
	v_mul_f64 v[194:195], v[5:6], v[151:152]
	v_mul_f64 v[151:152], v[7:8], v[151:152]
	s_waitcnt vmcnt(56)
	v_fma_f64 v[145:146], v[186:187], v[153:154], -v[145:146]
	ds_read_b128 v[1:4], v185 offset:1504
	v_add_f64 v[137:138], v[137:138], v[141:142]
	v_fma_f64 v[141:142], v[188:189], v[153:154], v[217:218]
	v_add_f64 v[153:154], v[133:134], v[135:136]
	s_clause 0x4
	buffer_load_dword v187, off, s[0:3], 0 offset:764
	buffer_load_dword v188, off, s[0:3], 0 offset:776
	;; [unrolled: 1-line block ×5, first 2 shown]
	ds_read_b128 v[133:136], v185 offset:1520
	s_waitcnt vmcnt(57) lgkmcnt(1)
	v_mul_f64 v[217:218], v[1:2], v[155:156]
	v_mul_f64 v[155:156], v[3:4], v[155:156]
	s_waitcnt vmcnt(56)
	v_fma_f64 v[151:152], v[5:6], v[139:140], -v[151:152]
	v_fma_f64 v[139:140], v[7:8], v[139:140], v[194:195]
	v_add_f64 v[137:138], v[137:138], v[145:146]
	s_clause 0x2
	buffer_load_dword v189, off, s[0:3], 0 offset:780
	buffer_load_dword v146, off, s[0:3], 0 offset:756
	;; [unrolled: 1-line block ×3, first 2 shown]
	v_add_f64 v[141:142], v[153:154], v[141:142]
	s_waitcnt vmcnt(58) lgkmcnt(0)
	v_mul_f64 v[153:154], v[133:134], v[159:160]
	v_mul_f64 v[159:160], v[135:136], v[159:160]
	ds_read_b128 v[5:8], v185 offset:1536
	s_waitcnt vmcnt(56)
	v_fma_f64 v[155:156], v[1:2], v[161:162], -v[155:156]
	v_add_f64 v[137:138], v[137:138], v[151:152]
	v_fma_f64 v[151:152], v[3:4], v[161:162], v[217:218]
	v_add_f64 v[139:140], v[141:142], v[139:140]
	s_clause 0x4
	buffer_load_dword v142, off, s[0:3], 0 offset:796
	buffer_load_dword v161, off, s[0:3], 0 offset:808
	;; [unrolled: 1-line block ×5, first 2 shown]
	s_waitcnt vmcnt(57) lgkmcnt(0)
	v_mul_f64 v[217:218], v[5:6], v[163:164]
	v_mul_f64 v[163:164], v[7:8], v[163:164]
	s_waitcnt vmcnt(56)
	v_fma_f64 v[159:160], v[133:134], v[147:148], -v[159:160]
	ds_read_b128 v[1:4], v185 offset:1552
	v_fma_f64 v[147:148], v[135:136], v[147:148], v[153:154]
	v_add_f64 v[137:138], v[137:138], v[155:156]
	v_add_f64 v[139:140], v[139:140], v[151:152]
	s_clause 0x2
	buffer_load_dword v162, off, s[0:3], 0 offset:812
	buffer_load_dword v152, off, s[0:3], 0 offset:788
	;; [unrolled: 1-line block ×3, first 2 shown]
	ds_read_b128 v[133:136], v185 offset:1568
	s_waitcnt vmcnt(58) lgkmcnt(1)
	v_mul_f64 v[155:156], v[3:4], v[167:168]
	s_waitcnt vmcnt(56)
	v_fma_f64 v[163:164], v[5:6], v[169:170], -v[163:164]
	v_mul_f64 v[153:154], v[1:2], v[167:168]
	v_add_f64 v[137:138], v[137:138], v[159:160]
	v_fma_f64 v[159:160], v[7:8], v[169:170], v[217:218]
	v_add_f64 v[139:140], v[139:140], v[147:148]
	s_clause 0x4
	buffer_load_dword v148, off, s[0:3], 0 offset:828
	buffer_load_dword v167, off, s[0:3], 0 offset:840
	;; [unrolled: 1-line block ×5, first 2 shown]
	s_waitcnt vmcnt(57) lgkmcnt(0)
	v_mul_f64 v[217:218], v[133:134], v[171:172]
	v_mul_f64 v[170:171], v[135:136], v[171:172]
	s_waitcnt vmcnt(56)
	v_fma_f64 v[155:156], v[1:2], v[157:158], -v[155:156]
	ds_read_b128 v[5:8], v185 offset:1584
	v_fma_f64 v[153:154], v[3:4], v[157:158], v[153:154]
	s_clause 0x2
	buffer_load_dword v168, off, s[0:3], 0 offset:844
	buffer_load_dword v158, off, s[0:3], 0 offset:820
	;; [unrolled: 1-line block ×3, first 2 shown]
	ds_read_b128 v[1:4], v185 offset:1600
	v_add_f64 v[137:138], v[137:138], v[163:164]
	v_add_f64 v[139:140], v[139:140], v[159:160]
	s_waitcnt vmcnt(58) lgkmcnt(1)
	v_mul_f64 v[163:164], v[7:8], v[175:176]
	s_waitcnt vmcnt(56)
	v_fma_f64 v[171:172], v[133:134], v[177:178], -v[170:171]
	v_mul_f64 v[159:160], v[5:6], v[175:176]
	v_add_f64 v[137:138], v[137:138], v[155:156]
	v_fma_f64 v[155:156], v[135:136], v[177:178], v[217:218]
	v_add_f64 v[139:140], v[139:140], v[153:154]
	s_clause 0x4
	buffer_load_dword v154, off, s[0:3], 0 offset:860
	buffer_load_dword v175, off, s[0:3], 0 offset:872
	;; [unrolled: 1-line block ×5, first 2 shown]
	s_waitcnt vmcnt(57) lgkmcnt(0)
	v_mul_f64 v[217:218], v[1:2], v[179:180]
	v_mul_f64 v[178:179], v[3:4], v[179:180]
	s_waitcnt vmcnt(56)
	v_fma_f64 v[163:164], v[5:6], v[165:166], -v[163:164]
	ds_read_b128 v[133:136], v185 offset:1616
	v_fma_f64 v[159:160], v[7:8], v[165:166], v[159:160]
	v_add_f64 v[137:138], v[137:138], v[171:172]
	v_add_f64 v[139:140], v[139:140], v[155:156]
	s_clause 0x2
	buffer_load_dword v176, off, s[0:3], 0 offset:876
	buffer_load_dword v156, off, s[0:3], 0 offset:852
	;; [unrolled: 1-line block ×3, first 2 shown]
	ds_read_b128 v[5:8], v185 offset:1632
	s_waitcnt vmcnt(58) lgkmcnt(1)
	v_mul_f64 v[171:172], v[135:136], v[181:182]
	s_waitcnt vmcnt(56)
	v_fma_f64 v[179:180], v[1:2], v[183:184], -v[178:179]
	v_mul_f64 v[165:166], v[133:134], v[181:182]
	v_add_f64 v[137:138], v[137:138], v[163:164]
	v_fma_f64 v[163:164], v[3:4], v[183:184], v[217:218]
	v_add_f64 v[139:140], v[139:140], v[159:160]
	s_clause 0x4
	buffer_load_dword v160, off, s[0:3], 0 offset:892
	buffer_load_dword v181, off, s[0:3], 0 offset:904
	;; [unrolled: 1-line block ×5, first 2 shown]
	s_waitcnt vmcnt(57) lgkmcnt(0)
	v_mul_f64 v[217:218], v[5:6], v[202:203]
	v_mul_f64 v[202:203], v[7:8], v[202:203]
	s_waitcnt vmcnt(56)
	v_fma_f64 v[171:172], v[133:134], v[173:174], -v[171:172]
	ds_read_b128 v[1:4], v185 offset:1648
	v_fma_f64 v[165:166], v[135:136], v[173:174], v[165:166]
	v_add_f64 v[137:138], v[137:138], v[179:180]
	v_add_f64 v[139:140], v[139:140], v[163:164]
	s_clause 0x2
	buffer_load_dword v182, off, s[0:3], 0 offset:908
	buffer_load_dword v164, off, s[0:3], 0 offset:884
	;; [unrolled: 1-line block ×3, first 2 shown]
	ds_read_b128 v[133:136], v185 offset:1664
	s_waitcnt vmcnt(58) lgkmcnt(1)
	v_mul_f64 v[179:180], v[3:4], v[204:205]
	s_waitcnt vmcnt(56)
	v_fma_f64 v[202:203], v[5:6], v[209:210], -v[202:203]
	v_mul_f64 v[173:174], v[1:2], v[204:205]
	v_add_f64 v[137:138], v[137:138], v[171:172]
	v_fma_f64 v[171:172], v[7:8], v[209:210], v[217:218]
	v_add_f64 v[139:140], v[139:140], v[165:166]
	s_clause 0x4
	buffer_load_dword v166, off, s[0:3], 0 offset:924
	buffer_load_dword v204, off, s[0:3], 0 offset:936
	;; [unrolled: 1-line block ×5, first 2 shown]
	ds_read_b128 v[5:8], v185 offset:1680
	s_waitcnt vmcnt(57) lgkmcnt(1)
	v_mul_f64 v[209:210], v[133:134], v[196:197]
	v_mul_f64 v[196:197], v[135:136], v[196:197]
	s_waitcnt vmcnt(56)
	v_fma_f64 v[179:180], v[1:2], v[206:207], -v[179:180]
	v_fma_f64 v[173:174], v[3:4], v[206:207], v[173:174]
	v_add_f64 v[137:138], v[137:138], v[202:203]
	v_add_f64 v[139:140], v[139:140], v[171:172]
	s_clause 0x2
	buffer_load_dword v205, off, s[0:3], 0 offset:940
	buffer_load_dword v172, off, s[0:3], 0 offset:916
	;; [unrolled: 1-line block ×3, first 2 shown]
	ds_read_b128 v[1:4], v185 offset:1696
	s_waitcnt vmcnt(58) lgkmcnt(1)
	v_mul_f64 v[206:207], v[7:8], v[213:214]
	v_mul_f64 v[202:203], v[5:6], v[213:214]
	s_waitcnt vmcnt(56)
	v_fma_f64 v[196:197], v[133:134], v[190:191], -v[196:197]
	v_add_f64 v[137:138], v[137:138], v[179:180]
	v_fma_f64 v[179:180], v[135:136], v[190:191], v[209:210]
	v_add_f64 v[139:140], v[139:140], v[173:174]
	s_clause 0x4
	buffer_load_dword v174, off, s[0:3], 0 offset:956
	buffer_load_dword v190, off, s[0:3], 0 offset:968
	;; [unrolled: 1-line block ×5, first 2 shown]
	ds_read_b128 v[133:136], v185 offset:1712
	s_waitcnt vmcnt(57) lgkmcnt(1)
	v_mul_f64 v[217:218], v[1:2], v[149:150]
	v_mul_f64 v[149:150], v[3:4], v[149:150]
	s_waitcnt vmcnt(56)
	v_fma_f64 v[206:207], v[5:6], v[215:216], -v[206:207]
	v_add_f64 v[137:138], v[137:138], v[196:197]
	v_fma_f64 v[196:197], v[7:8], v[215:216], v[202:203]
	v_add_f64 v[139:140], v[139:140], v[179:180]
	s_clause 0x2
	buffer_load_dword v191, off, s[0:3], 0 offset:972
	buffer_load_dword v180, off, s[0:3], 0 offset:948
	;; [unrolled: 1-line block ×3, first 2 shown]
	ds_read_b128 v[5:8], v185 offset:1728
	s_waitcnt vmcnt(58) lgkmcnt(1)
	v_mul_f64 v[202:203], v[133:134], v[198:199]
	v_mul_f64 v[198:199], v[135:136], v[198:199]
	s_waitcnt vmcnt(56)
	v_fma_f64 v[149:150], v[1:2], v[143:144], -v[149:150]
	v_fma_f64 v[143:144], v[3:4], v[143:144], v[217:218]
	v_add_f64 v[137:138], v[137:138], v[206:207]
	v_add_f64 v[139:140], v[139:140], v[196:197]
	s_clause 0x4
	buffer_load_dword v197, off, s[0:3], 0 offset:988
	buffer_load_dword v206, off, s[0:3], 0 offset:1000
	;; [unrolled: 1-line block ×5, first 2 shown]
	ds_read_b128 v[1:4], v185 offset:1744
	s_waitcnt vmcnt(57) lgkmcnt(1)
	v_mul_f64 v[215:216], v[5:6], v[186:187]
	v_mul_f64 v[186:187], v[7:8], v[186:187]
	s_waitcnt vmcnt(56)
	v_fma_f64 v[198:199], v[133:134], v[211:212], -v[198:199]
	v_add_f64 v[137:138], v[137:138], v[149:150]
	v_fma_f64 v[149:150], v[135:136], v[211:212], v[202:203]
	v_add_f64 v[139:140], v[139:140], v[143:144]
	s_clause 0x2
	buffer_load_dword v207, off, s[0:3], 0 offset:1004
	buffer_load_dword v144, off, s[0:3], 0 offset:980
	;; [unrolled: 1-line block ×3, first 2 shown]
	ds_read_b128 v[133:136], v185 offset:1760
	buffer_load_dword v211, off, s[0:3], 0 offset:996
	s_waitcnt vmcnt(59) lgkmcnt(1)
	v_mul_f64 v[202:203], v[1:2], v[188:189]
	v_mul_f64 v[188:189], v[3:4], v[188:189]
	s_waitcnt vmcnt(57)
	v_fma_f64 v[186:187], v[5:6], v[145:146], -v[186:187]
	v_fma_f64 v[145:146], v[7:8], v[145:146], v[215:216]
	ds_read_b128 v[5:8], v185 offset:1776
	v_add_f64 v[137:138], v[137:138], v[198:199]
	v_add_f64 v[139:140], v[139:140], v[149:150]
	s_waitcnt vmcnt(53) lgkmcnt(1)
	v_mul_f64 v[149:150], v[133:134], v[141:142]
	v_mul_f64 v[141:142], v[135:136], v[141:142]
	s_waitcnt vmcnt(52)
	v_fma_f64 v[188:189], v[1:2], v[200:201], -v[188:189]
	v_add_f64 v[137:138], v[137:138], v[186:187]
	v_fma_f64 v[186:187], v[3:4], v[200:201], v[202:203]
	v_add_f64 v[139:140], v[139:140], v[145:146]
	ds_read_b128 v[1:4], v185 offset:1792
	s_waitcnt vmcnt(51) lgkmcnt(1)
	v_mul_f64 v[145:146], v[5:6], v[161:162]
	v_mul_f64 v[161:162], v[7:8], v[161:162]
	s_waitcnt vmcnt(49)
	v_fma_f64 v[141:142], v[133:134], v[151:152], -v[141:142]
	v_fma_f64 v[149:150], v[135:136], v[151:152], v[149:150]
	v_add_f64 v[137:138], v[137:138], v[188:189]
	v_add_f64 v[139:140], v[139:140], v[186:187]
	s_clause 0x3
	buffer_load_dword v151, off, s[0:3], 0 offset:400
	buffer_load_dword v152, off, s[0:3], 0 offset:404
	;; [unrolled: 1-line block ×4, first 2 shown]
	ds_read_b128 v[133:136], v185 offset:1808
	s_waitcnt vmcnt(49) lgkmcnt(1)
	v_mul_f64 v[188:189], v[1:2], v[147:148]
	v_mul_f64 v[147:148], v[3:4], v[147:148]
	s_waitcnt vmcnt(48)
	v_fma_f64 v[161:162], v[5:6], v[194:195], -v[161:162]
	v_add_f64 v[137:138], v[137:138], v[141:142]
	v_fma_f64 v[141:142], v[7:8], v[194:195], v[145:146]
	v_add_f64 v[139:140], v[139:140], v[149:150]
	ds_read_b128 v[5:8], v185 offset:1824
	s_waitcnt vmcnt(47) lgkmcnt(1)
	v_mul_f64 v[149:150], v[135:136], v[167:168]
	v_mul_f64 v[145:146], v[133:134], v[167:168]
	s_waitcnt vmcnt(45)
	v_fma_f64 v[147:148], v[1:2], v[157:158], -v[147:148]
	v_fma_f64 v[157:158], v[3:4], v[157:158], v[188:189]
	ds_read_b128 v[1:4], v185 offset:1840
	v_add_f64 v[137:138], v[137:138], v[161:162]
	v_add_f64 v[139:140], v[139:140], v[141:142]
	s_waitcnt vmcnt(41) lgkmcnt(1)
	v_mul_f64 v[141:142], v[5:6], v[153:154]
	v_mul_f64 v[153:154], v[7:8], v[153:154]
	s_waitcnt vmcnt(40)
	v_fma_f64 v[149:150], v[133:134], v[169:170], -v[149:150]
	v_fma_f64 v[145:146], v[135:136], v[169:170], v[145:146]
	ds_read_b128 v[133:136], v185 offset:1856
	v_add_f64 v[137:138], v[137:138], v[147:148]
	v_add_f64 v[139:140], v[139:140], v[157:158]
	s_waitcnt vmcnt(39) lgkmcnt(1)
	v_mul_f64 v[157:158], v[3:4], v[175:176]
	v_mul_f64 v[147:148], v[1:2], v[175:176]
	s_waitcnt vmcnt(37)
	v_fma_f64 v[153:154], v[5:6], v[155:156], -v[153:154]
	v_fma_f64 v[141:142], v[7:8], v[155:156], v[141:142]
	ds_read_b128 v[5:8], v185 offset:1872
	v_add_f64 v[137:138], v[137:138], v[149:150]
	v_add_f64 v[139:140], v[139:140], v[145:146]
	s_waitcnt vmcnt(33) lgkmcnt(1)
	v_mul_f64 v[149:150], v[135:136], v[159:160]
	s_waitcnt vmcnt(32)
	v_fma_f64 v[155:156], v[1:2], v[177:178], -v[157:158]
	v_mul_f64 v[145:146], v[133:134], v[159:160]
	v_fma_f64 v[147:148], v[3:4], v[177:178], v[147:148]
	ds_read_b128 v[1:4], v185 offset:1888
	v_add_f64 v[137:138], v[137:138], v[153:154]
	v_add_f64 v[139:140], v[139:140], v[141:142]
	s_waitcnt vmcnt(31) lgkmcnt(1)
	v_mul_f64 v[153:154], v[7:8], v[181:182]
	v_mul_f64 v[141:142], v[5:6], v[181:182]
	s_waitcnt vmcnt(29)
	v_fma_f64 v[149:150], v[133:134], v[163:164], -v[149:150]
	v_fma_f64 v[145:146], v[135:136], v[163:164], v[145:146]
	ds_read_b128 v[133:136], v185 offset:1904
	v_add_f64 v[137:138], v[137:138], v[155:156]
	v_add_f64 v[139:140], v[139:140], v[147:148]
	s_waitcnt vmcnt(25) lgkmcnt(1)
	v_mul_f64 v[155:156], v[3:4], v[165:166]
	s_waitcnt vmcnt(24)
	v_fma_f64 v[153:154], v[5:6], v[183:184], -v[153:154]
	v_mul_f64 v[147:148], v[1:2], v[165:166]
	v_fma_f64 v[141:142], v[7:8], v[183:184], v[141:142]
	ds_read_b128 v[5:8], v185 offset:1920
	v_add_f64 v[137:138], v[137:138], v[149:150]
	v_add_f64 v[139:140], v[139:140], v[145:146]
	s_waitcnt vmcnt(23) lgkmcnt(1)
	v_mul_f64 v[149:150], v[135:136], v[204:205]
	v_mul_f64 v[145:146], v[133:134], v[204:205]
	s_waitcnt vmcnt(21)
	v_fma_f64 v[155:156], v[1:2], v[171:172], -v[155:156]
	v_fma_f64 v[147:148], v[3:4], v[171:172], v[147:148]
	ds_read_b128 v[1:4], v185 offset:1936
	v_add_f64 v[137:138], v[137:138], v[153:154]
	v_add_f64 v[139:140], v[139:140], v[141:142]
	;; [unrolled: 18-line block ×3, first 2 shown]
	s_waitcnt vmcnt(9) lgkmcnt(1)
	v_mul_f64 v[149:150], v[135:136], v[196:197]
	s_waitcnt vmcnt(8)
	v_fma_f64 v[1:2], v[1:2], v[213:214], -v[155:156]
	v_mul_f64 v[145:146], v[133:134], v[196:197]
	v_fma_f64 v[3:4], v[3:4], v[213:214], v[147:148]
	v_add_f64 v[137:138], v[137:138], v[153:154]
	v_add_f64 v[139:140], v[139:140], v[141:142]
	s_waitcnt vmcnt(7) lgkmcnt(0)
	v_mul_f64 v[147:148], v[7:8], v[206:207]
	v_mul_f64 v[141:142], v[5:6], v[206:207]
	s_waitcnt vmcnt(5)
	v_fma_f64 v[133:134], v[133:134], v[143:144], -v[149:150]
	v_fma_f64 v[135:136], v[135:136], v[143:144], v[145:146]
	v_add_f64 v[1:2], v[137:138], v[1:2]
	v_add_f64 v[3:4], v[139:140], v[3:4]
	s_waitcnt vmcnt(4)
	v_fma_f64 v[5:6], v[5:6], v[210:211], -v[147:148]
	v_fma_f64 v[7:8], v[7:8], v[210:211], v[141:142]
	v_add_f64 v[1:2], v[1:2], v[133:134]
	v_add_f64 v[3:4], v[3:4], v[135:136]
	;; [unrolled: 1-line block ×4, first 2 shown]
	s_waitcnt vmcnt(2)
	v_add_f64 v[1:2], v[151:152], -v[1:2]
	s_waitcnt vmcnt(0)
	v_add_f64 v[3:4], v[186:187], -v[3:4]
	buffer_store_dword v2, off, s[0:3], 0 offset:404
	buffer_store_dword v1, off, s[0:3], 0 offset:400
	;; [unrolled: 1-line block ×4, first 2 shown]
	v_cmpx_lt_u32_e32 23, v0
	s_cbranch_execz .LBB125_351
; %bb.350:
	v_mov_b32_e32 v4, s53
	s_clause 0x3
	buffer_load_dword v1, v4, s[0:3], 0 offen
	buffer_load_dword v2, v4, s[0:3], 0 offen offset:4
	buffer_load_dword v3, v4, s[0:3], 0 offen offset:8
	;; [unrolled: 1-line block ×3, first 2 shown]
	buffer_store_dword v185, off, s[0:3], 0 offset:384
	buffer_store_dword v185, off, s[0:3], 0 offset:388
	;; [unrolled: 1-line block ×4, first 2 shown]
	s_waitcnt vmcnt(0)
	ds_write_b128 v193, v[1:4]
.LBB125_351:
	s_or_b32 exec_lo, exec_lo, s4
	s_waitcnt lgkmcnt(0)
	s_waitcnt_vscnt null, 0x0
	s_barrier
	buffer_gl0_inv
	s_clause 0x37
	buffer_load_dword v133, off, s[0:3], 0 offset:408
	buffer_load_dword v134, off, s[0:3], 0 offset:412
	;; [unrolled: 1-line block ×56, first 2 shown]
	ds_read_b128 v[186:189], v185 offset:1376
	s_clause 0x2
	buffer_load_dword v182, off, s[0:3], 0 offset:636
	buffer_load_dword v184, off, s[0:3], 0 offset:612
	;; [unrolled: 1-line block ×3, first 2 shown]
	ds_read_b128 v[194:197], v185 offset:1392
	s_clause 0x4
	buffer_load_dword v203, off, s[0:3], 0 offset:652
	buffer_load_dword v204, off, s[0:3], 0 offset:664
	;; [unrolled: 1-line block ×5, first 2 shown]
	ds_read_b128 v[198:201], v185 offset:1408
	s_clause 0x2
	buffer_load_dword v205, off, s[0:3], 0 offset:668
	buffer_load_dword v210, off, s[0:3], 0 offset:644
	;; [unrolled: 1-line block ×3, first 2 shown]
	s_mov_b32 s4, exec_lo
	s_waitcnt vmcnt(62) lgkmcnt(2)
	v_mul_f64 v[190:191], v[188:189], v[133:134]
	v_mul_f64 v[133:134], v[186:187], v[133:134]
	s_waitcnt lgkmcnt(1)
	v_mul_f64 v[207:208], v[196:197], v[5:6]
	s_waitcnt vmcnt(59) lgkmcnt(0)
	v_mul_f64 v[211:212], v[200:201], v[3:4]
	v_fma_f64 v[186:187], v[186:187], v[7:8], -v[190:191]
	v_mul_f64 v[190:191], v[194:195], v[5:6]
	v_fma_f64 v[133:134], v[188:189], v[7:8], v[133:134]
	s_waitcnt vmcnt(57)
	v_fma_f64 v[194:195], v[194:195], v[1:2], -v[207:208]
	ds_read_b128 v[5:8], v185 offset:1424
	v_mul_f64 v[188:189], v[198:199], v[3:4]
	s_waitcnt vmcnt(51)
	v_fma_f64 v[198:199], v[198:199], v[149:150], -v[211:212]
	v_add_f64 v[186:187], v[186:187], 0
	v_fma_f64 v[190:191], v[196:197], v[1:2], v[190:191]
	v_add_f64 v[133:134], v[133:134], 0
	s_clause 0x4
	buffer_load_dword v197, off, s[0:3], 0 offset:684
	buffer_load_dword v213, off, s[0:3], 0 offset:696
	;; [unrolled: 1-line block ×5, first 2 shown]
	s_waitcnt lgkmcnt(0)
	v_mul_f64 v[216:217], v[5:6], v[137:138]
	v_mul_f64 v[137:138], v[7:8], v[137:138]
	ds_read_b128 v[1:4], v185 offset:1440
	v_fma_f64 v[149:150], v[200:201], v[149:150], v[188:189]
	v_add_f64 v[194:195], v[186:187], v[194:195]
	v_add_f64 v[133:134], v[133:134], v[190:191]
	s_clause 0x2
	buffer_load_dword v214, off, s[0:3], 0 offset:700
	buffer_load_dword v191, off, s[0:3], 0 offset:676
	;; [unrolled: 1-line block ×3, first 2 shown]
	s_waitcnt vmcnt(58) lgkmcnt(0)
	v_mul_f64 v[200:201], v[1:2], v[141:142]
	v_mul_f64 v[141:142], v[3:4], v[141:142]
	s_waitcnt vmcnt(56)
	v_fma_f64 v[137:138], v[5:6], v[143:144], -v[137:138]
	ds_read_b128 v[186:189], v185 offset:1456
	v_fma_f64 v[143:144], v[7:8], v[143:144], v[216:217]
	v_add_f64 v[194:195], v[194:195], v[198:199]
	v_add_f64 v[133:134], v[133:134], v[149:150]
	s_clause 0x4
	buffer_load_dword v150, off, s[0:3], 0 offset:716
	buffer_load_dword v198, off, s[0:3], 0 offset:728
	buffer_load_dword v211, off, s[0:3], 0 offset:720
	buffer_load_dword v149, off, s[0:3], 0 offset:712
	buffer_load_dword v216, off, s[0:3], 0 offset:692
	ds_read_b128 v[5:8], v185 offset:1472
	s_waitcnt vmcnt(57) lgkmcnt(1)
	v_mul_f64 v[217:218], v[186:187], v[145:146]
	v_mul_f64 v[145:146], v[188:189], v[145:146]
	s_waitcnt vmcnt(56)
	v_fma_f64 v[141:142], v[1:2], v[135:136], -v[141:142]
	v_fma_f64 v[135:136], v[3:4], v[135:136], v[200:201]
	v_add_f64 v[137:138], v[194:195], v[137:138]
	v_add_f64 v[133:134], v[133:134], v[143:144]
	s_clause 0x2
	buffer_load_dword v199, off, s[0:3], 0 offset:732
	buffer_load_dword v144, off, s[0:3], 0 offset:708
	;; [unrolled: 1-line block ×3, first 2 shown]
	s_waitcnt vmcnt(58) lgkmcnt(0)
	v_mul_f64 v[194:195], v[5:6], v[151:152]
	v_mul_f64 v[151:152], v[7:8], v[151:152]
	s_waitcnt vmcnt(56)
	v_fma_f64 v[145:146], v[186:187], v[153:154], -v[145:146]
	ds_read_b128 v[1:4], v185 offset:1488
	v_add_f64 v[137:138], v[137:138], v[141:142]
	v_fma_f64 v[141:142], v[188:189], v[153:154], v[217:218]
	v_add_f64 v[153:154], v[133:134], v[135:136]
	s_clause 0x4
	buffer_load_dword v187, off, s[0:3], 0 offset:748
	buffer_load_dword v188, off, s[0:3], 0 offset:760
	;; [unrolled: 1-line block ×5, first 2 shown]
	ds_read_b128 v[133:136], v185 offset:1504
	s_waitcnt vmcnt(57) lgkmcnt(1)
	v_mul_f64 v[217:218], v[1:2], v[155:156]
	v_mul_f64 v[155:156], v[3:4], v[155:156]
	s_waitcnt vmcnt(56)
	v_fma_f64 v[151:152], v[5:6], v[139:140], -v[151:152]
	v_fma_f64 v[139:140], v[7:8], v[139:140], v[194:195]
	v_add_f64 v[137:138], v[137:138], v[145:146]
	s_clause 0x2
	buffer_load_dword v189, off, s[0:3], 0 offset:764
	buffer_load_dword v146, off, s[0:3], 0 offset:740
	;; [unrolled: 1-line block ×3, first 2 shown]
	v_add_f64 v[141:142], v[153:154], v[141:142]
	s_waitcnt vmcnt(58) lgkmcnt(0)
	v_mul_f64 v[153:154], v[133:134], v[159:160]
	v_mul_f64 v[159:160], v[135:136], v[159:160]
	ds_read_b128 v[5:8], v185 offset:1520
	s_waitcnt vmcnt(56)
	v_fma_f64 v[155:156], v[1:2], v[161:162], -v[155:156]
	v_add_f64 v[137:138], v[137:138], v[151:152]
	v_fma_f64 v[151:152], v[3:4], v[161:162], v[217:218]
	v_add_f64 v[139:140], v[141:142], v[139:140]
	s_clause 0x4
	buffer_load_dword v142, off, s[0:3], 0 offset:780
	buffer_load_dword v161, off, s[0:3], 0 offset:792
	;; [unrolled: 1-line block ×5, first 2 shown]
	s_waitcnt vmcnt(57) lgkmcnt(0)
	v_mul_f64 v[217:218], v[5:6], v[163:164]
	v_mul_f64 v[163:164], v[7:8], v[163:164]
	s_waitcnt vmcnt(56)
	v_fma_f64 v[159:160], v[133:134], v[147:148], -v[159:160]
	ds_read_b128 v[1:4], v185 offset:1536
	v_fma_f64 v[147:148], v[135:136], v[147:148], v[153:154]
	v_add_f64 v[137:138], v[137:138], v[155:156]
	v_add_f64 v[139:140], v[139:140], v[151:152]
	s_clause 0x2
	buffer_load_dword v162, off, s[0:3], 0 offset:796
	buffer_load_dword v152, off, s[0:3], 0 offset:772
	;; [unrolled: 1-line block ×3, first 2 shown]
	ds_read_b128 v[133:136], v185 offset:1552
	s_waitcnt vmcnt(58) lgkmcnt(1)
	v_mul_f64 v[155:156], v[3:4], v[167:168]
	s_waitcnt vmcnt(56)
	v_fma_f64 v[163:164], v[5:6], v[169:170], -v[163:164]
	v_mul_f64 v[153:154], v[1:2], v[167:168]
	v_add_f64 v[137:138], v[137:138], v[159:160]
	v_fma_f64 v[159:160], v[7:8], v[169:170], v[217:218]
	v_add_f64 v[139:140], v[139:140], v[147:148]
	s_clause 0x4
	buffer_load_dword v148, off, s[0:3], 0 offset:812
	buffer_load_dword v167, off, s[0:3], 0 offset:824
	buffer_load_dword v169, off, s[0:3], 0 offset:816
	buffer_load_dword v147, off, s[0:3], 0 offset:808
	buffer_load_dword v195, off, s[0:3], 0 offset:788
	s_waitcnt vmcnt(57) lgkmcnt(0)
	v_mul_f64 v[217:218], v[133:134], v[171:172]
	v_mul_f64 v[170:171], v[135:136], v[171:172]
	s_waitcnt vmcnt(56)
	v_fma_f64 v[155:156], v[1:2], v[157:158], -v[155:156]
	ds_read_b128 v[5:8], v185 offset:1568
	v_fma_f64 v[153:154], v[3:4], v[157:158], v[153:154]
	s_clause 0x2
	buffer_load_dword v168, off, s[0:3], 0 offset:828
	buffer_load_dword v158, off, s[0:3], 0 offset:804
	;; [unrolled: 1-line block ×3, first 2 shown]
	ds_read_b128 v[1:4], v185 offset:1584
	v_add_f64 v[137:138], v[137:138], v[163:164]
	v_add_f64 v[139:140], v[139:140], v[159:160]
	s_waitcnt vmcnt(58) lgkmcnt(1)
	v_mul_f64 v[163:164], v[7:8], v[175:176]
	s_waitcnt vmcnt(56)
	v_fma_f64 v[171:172], v[133:134], v[177:178], -v[170:171]
	v_mul_f64 v[159:160], v[5:6], v[175:176]
	v_add_f64 v[137:138], v[137:138], v[155:156]
	v_fma_f64 v[155:156], v[135:136], v[177:178], v[217:218]
	v_add_f64 v[139:140], v[139:140], v[153:154]
	s_clause 0x4
	buffer_load_dword v154, off, s[0:3], 0 offset:844
	buffer_load_dword v175, off, s[0:3], 0 offset:856
	;; [unrolled: 1-line block ×5, first 2 shown]
	s_waitcnt vmcnt(57) lgkmcnt(0)
	v_mul_f64 v[217:218], v[1:2], v[179:180]
	v_mul_f64 v[178:179], v[3:4], v[179:180]
	s_waitcnt vmcnt(56)
	v_fma_f64 v[163:164], v[5:6], v[165:166], -v[163:164]
	ds_read_b128 v[133:136], v185 offset:1600
	v_fma_f64 v[159:160], v[7:8], v[165:166], v[159:160]
	v_add_f64 v[137:138], v[137:138], v[171:172]
	v_add_f64 v[139:140], v[139:140], v[155:156]
	s_clause 0x2
	buffer_load_dword v176, off, s[0:3], 0 offset:860
	buffer_load_dword v156, off, s[0:3], 0 offset:836
	;; [unrolled: 1-line block ×3, first 2 shown]
	ds_read_b128 v[5:8], v185 offset:1616
	s_waitcnt vmcnt(58) lgkmcnt(1)
	v_mul_f64 v[171:172], v[135:136], v[181:182]
	s_waitcnt vmcnt(56)
	v_fma_f64 v[179:180], v[1:2], v[183:184], -v[178:179]
	v_mul_f64 v[165:166], v[133:134], v[181:182]
	v_add_f64 v[137:138], v[137:138], v[163:164]
	v_fma_f64 v[163:164], v[3:4], v[183:184], v[217:218]
	v_add_f64 v[139:140], v[139:140], v[159:160]
	s_clause 0x4
	buffer_load_dword v160, off, s[0:3], 0 offset:876
	buffer_load_dword v181, off, s[0:3], 0 offset:888
	;; [unrolled: 1-line block ×5, first 2 shown]
	s_waitcnt vmcnt(57) lgkmcnt(0)
	v_mul_f64 v[217:218], v[5:6], v[202:203]
	v_mul_f64 v[202:203], v[7:8], v[202:203]
	s_waitcnt vmcnt(56)
	v_fma_f64 v[171:172], v[133:134], v[173:174], -v[171:172]
	ds_read_b128 v[1:4], v185 offset:1632
	v_fma_f64 v[165:166], v[135:136], v[173:174], v[165:166]
	v_add_f64 v[137:138], v[137:138], v[179:180]
	v_add_f64 v[139:140], v[139:140], v[163:164]
	s_clause 0x2
	buffer_load_dword v182, off, s[0:3], 0 offset:892
	buffer_load_dword v164, off, s[0:3], 0 offset:868
	buffer_load_dword v163, off, s[0:3], 0 offset:864
	ds_read_b128 v[133:136], v185 offset:1648
	s_waitcnt vmcnt(58) lgkmcnt(1)
	v_mul_f64 v[179:180], v[3:4], v[204:205]
	s_waitcnt vmcnt(56)
	v_fma_f64 v[202:203], v[5:6], v[209:210], -v[202:203]
	v_mul_f64 v[173:174], v[1:2], v[204:205]
	v_add_f64 v[137:138], v[137:138], v[171:172]
	v_fma_f64 v[171:172], v[7:8], v[209:210], v[217:218]
	v_add_f64 v[139:140], v[139:140], v[165:166]
	s_clause 0x4
	buffer_load_dword v166, off, s[0:3], 0 offset:908
	buffer_load_dword v204, off, s[0:3], 0 offset:920
	;; [unrolled: 1-line block ×5, first 2 shown]
	ds_read_b128 v[5:8], v185 offset:1664
	s_waitcnt vmcnt(57) lgkmcnt(1)
	v_mul_f64 v[209:210], v[133:134], v[196:197]
	v_mul_f64 v[196:197], v[135:136], v[196:197]
	s_waitcnt vmcnt(56)
	v_fma_f64 v[179:180], v[1:2], v[206:207], -v[179:180]
	v_fma_f64 v[173:174], v[3:4], v[206:207], v[173:174]
	v_add_f64 v[137:138], v[137:138], v[202:203]
	v_add_f64 v[139:140], v[139:140], v[171:172]
	s_clause 0x2
	buffer_load_dword v205, off, s[0:3], 0 offset:924
	buffer_load_dword v172, off, s[0:3], 0 offset:900
	;; [unrolled: 1-line block ×3, first 2 shown]
	ds_read_b128 v[1:4], v185 offset:1680
	s_waitcnt vmcnt(58) lgkmcnt(1)
	v_mul_f64 v[206:207], v[7:8], v[213:214]
	v_mul_f64 v[202:203], v[5:6], v[213:214]
	s_waitcnt vmcnt(56)
	v_fma_f64 v[196:197], v[133:134], v[190:191], -v[196:197]
	v_add_f64 v[137:138], v[137:138], v[179:180]
	v_fma_f64 v[179:180], v[135:136], v[190:191], v[209:210]
	v_add_f64 v[139:140], v[139:140], v[173:174]
	s_clause 0x4
	buffer_load_dword v174, off, s[0:3], 0 offset:940
	buffer_load_dword v190, off, s[0:3], 0 offset:952
	;; [unrolled: 1-line block ×5, first 2 shown]
	ds_read_b128 v[133:136], v185 offset:1696
	s_waitcnt vmcnt(57) lgkmcnt(1)
	v_mul_f64 v[217:218], v[1:2], v[149:150]
	v_mul_f64 v[149:150], v[3:4], v[149:150]
	s_waitcnt vmcnt(56)
	v_fma_f64 v[206:207], v[5:6], v[215:216], -v[206:207]
	v_add_f64 v[137:138], v[137:138], v[196:197]
	v_fma_f64 v[196:197], v[7:8], v[215:216], v[202:203]
	v_add_f64 v[139:140], v[139:140], v[179:180]
	s_clause 0x2
	buffer_load_dword v191, off, s[0:3], 0 offset:956
	buffer_load_dword v180, off, s[0:3], 0 offset:932
	;; [unrolled: 1-line block ×3, first 2 shown]
	ds_read_b128 v[5:8], v185 offset:1712
	s_waitcnt vmcnt(58) lgkmcnt(1)
	v_mul_f64 v[202:203], v[133:134], v[198:199]
	v_mul_f64 v[198:199], v[135:136], v[198:199]
	s_waitcnt vmcnt(56)
	v_fma_f64 v[149:150], v[1:2], v[143:144], -v[149:150]
	v_fma_f64 v[143:144], v[3:4], v[143:144], v[217:218]
	v_add_f64 v[137:138], v[137:138], v[206:207]
	v_add_f64 v[139:140], v[139:140], v[196:197]
	s_clause 0x4
	buffer_load_dword v197, off, s[0:3], 0 offset:972
	buffer_load_dword v206, off, s[0:3], 0 offset:984
	;; [unrolled: 1-line block ×5, first 2 shown]
	ds_read_b128 v[1:4], v185 offset:1728
	s_waitcnt vmcnt(57) lgkmcnt(1)
	v_mul_f64 v[215:216], v[5:6], v[186:187]
	v_mul_f64 v[186:187], v[7:8], v[186:187]
	s_waitcnt vmcnt(56)
	v_fma_f64 v[198:199], v[133:134], v[211:212], -v[198:199]
	v_add_f64 v[137:138], v[137:138], v[149:150]
	v_fma_f64 v[149:150], v[135:136], v[211:212], v[202:203]
	v_add_f64 v[139:140], v[139:140], v[143:144]
	s_clause 0x2
	buffer_load_dword v207, off, s[0:3], 0 offset:988
	buffer_load_dword v144, off, s[0:3], 0 offset:964
	buffer_load_dword v143, off, s[0:3], 0 offset:960
	ds_read_b128 v[133:136], v185 offset:1744
	s_waitcnt vmcnt(58) lgkmcnt(1)
	v_mul_f64 v[202:203], v[1:2], v[188:189]
	v_mul_f64 v[188:189], v[3:4], v[188:189]
	s_waitcnt vmcnt(56)
	v_fma_f64 v[186:187], v[5:6], v[145:146], -v[186:187]
	v_fma_f64 v[145:146], v[7:8], v[145:146], v[215:216]
	v_add_f64 v[137:138], v[137:138], v[198:199]
	v_add_f64 v[139:140], v[139:140], v[149:150]
	s_clause 0x2
	buffer_load_dword v150, off, s[0:3], 0 offset:1004
	buffer_load_dword v149, off, s[0:3], 0 offset:1000
	;; [unrolled: 1-line block ×3, first 2 shown]
	ds_read_b128 v[5:8], v185 offset:1760
	s_waitcnt vmcnt(55) lgkmcnt(1)
	v_mul_f64 v[198:199], v[133:134], v[141:142]
	v_mul_f64 v[141:142], v[135:136], v[141:142]
	s_waitcnt vmcnt(54)
	v_fma_f64 v[188:189], v[1:2], v[200:201], -v[188:189]
	v_add_f64 v[137:138], v[137:138], v[186:187]
	v_fma_f64 v[186:187], v[3:4], v[200:201], v[202:203]
	v_add_f64 v[139:140], v[139:140], v[145:146]
	s_clause 0x1
	buffer_load_dword v146, off, s[0:3], 0 offset:996
	buffer_load_dword v145, off, s[0:3], 0 offset:992
	ds_read_b128 v[1:4], v185 offset:1776
	s_waitcnt vmcnt(55) lgkmcnt(1)
	v_mul_f64 v[200:201], v[5:6], v[161:162]
	v_mul_f64 v[161:162], v[7:8], v[161:162]
	s_waitcnt vmcnt(53)
	v_fma_f64 v[141:142], v[133:134], v[151:152], -v[141:142]
	v_fma_f64 v[151:152], v[135:136], v[151:152], v[198:199]
	ds_read_b128 v[133:136], v185 offset:1792
	v_add_f64 v[137:138], v[137:138], v[188:189]
	v_add_f64 v[139:140], v[139:140], v[186:187]
	s_waitcnt vmcnt(49) lgkmcnt(1)
	v_mul_f64 v[186:187], v[1:2], v[147:148]
	v_mul_f64 v[147:148], v[3:4], v[147:148]
	s_waitcnt vmcnt(48)
	v_fma_f64 v[161:162], v[5:6], v[194:195], -v[161:162]
	v_add_f64 v[137:138], v[137:138], v[141:142]
	v_fma_f64 v[141:142], v[7:8], v[194:195], v[200:201]
	v_add_f64 v[139:140], v[139:140], v[151:152]
	s_clause 0x3
	buffer_load_dword v151, off, s[0:3], 0 offset:384
	buffer_load_dword v152, off, s[0:3], 0 offset:388
	;; [unrolled: 1-line block ×4, first 2 shown]
	s_waitcnt vmcnt(51) lgkmcnt(0)
	v_mul_f64 v[194:195], v[133:134], v[167:168]
	v_mul_f64 v[167:168], v[135:136], v[167:168]
	ds_read_b128 v[5:8], v185 offset:1808
	s_waitcnt vmcnt(49)
	v_fma_f64 v[147:148], v[1:2], v[157:158], -v[147:148]
	v_fma_f64 v[157:158], v[3:4], v[157:158], v[186:187]
	ds_read_b128 v[1:4], v185 offset:1824
	v_add_f64 v[137:138], v[137:138], v[161:162]
	v_add_f64 v[139:140], v[139:140], v[141:142]
	s_waitcnt vmcnt(45) lgkmcnt(1)
	v_mul_f64 v[141:142], v[5:6], v[153:154]
	v_mul_f64 v[153:154], v[7:8], v[153:154]
	s_waitcnt vmcnt(44)
	v_fma_f64 v[161:162], v[133:134], v[169:170], -v[167:168]
	v_add_f64 v[137:138], v[137:138], v[147:148]
	v_fma_f64 v[147:148], v[135:136], v[169:170], v[194:195]
	v_add_f64 v[139:140], v[139:140], v[157:158]
	ds_read_b128 v[133:136], v185 offset:1840
	s_waitcnt vmcnt(43) lgkmcnt(1)
	v_mul_f64 v[167:168], v[3:4], v[175:176]
	v_mul_f64 v[157:158], v[1:2], v[175:176]
	s_waitcnt vmcnt(41)
	v_fma_f64 v[153:154], v[5:6], v[155:156], -v[153:154]
	v_fma_f64 v[141:142], v[7:8], v[155:156], v[141:142]
	ds_read_b128 v[5:8], v185 offset:1856
	v_add_f64 v[137:138], v[137:138], v[161:162]
	v_add_f64 v[139:140], v[139:140], v[147:148]
	s_waitcnt vmcnt(37) lgkmcnt(1)
	v_mul_f64 v[147:148], v[133:134], v[159:160]
	v_mul_f64 v[155:156], v[135:136], v[159:160]
	s_waitcnt vmcnt(36)
	v_fma_f64 v[159:160], v[1:2], v[177:178], -v[167:168]
	v_add_f64 v[137:138], v[137:138], v[153:154]
	v_fma_f64 v[153:154], v[3:4], v[177:178], v[157:158]
	v_add_f64 v[139:140], v[139:140], v[141:142]
	ds_read_b128 v[1:4], v185 offset:1872
	s_waitcnt vmcnt(35) lgkmcnt(1)
	v_mul_f64 v[157:158], v[7:8], v[181:182]
	v_mul_f64 v[141:142], v[5:6], v[181:182]
	s_waitcnt vmcnt(33)
	v_fma_f64 v[155:156], v[133:134], v[163:164], -v[155:156]
	v_fma_f64 v[147:148], v[135:136], v[163:164], v[147:148]
	ds_read_b128 v[133:136], v185 offset:1888
	v_add_f64 v[137:138], v[137:138], v[159:160]
	v_add_f64 v[139:140], v[139:140], v[153:154]
	s_waitcnt vmcnt(29) lgkmcnt(1)
	v_mul_f64 v[159:160], v[3:4], v[165:166]
	s_waitcnt vmcnt(28)
	v_fma_f64 v[157:158], v[5:6], v[183:184], -v[157:158]
	v_mul_f64 v[153:154], v[1:2], v[165:166]
	v_fma_f64 v[141:142], v[7:8], v[183:184], v[141:142]
	ds_read_b128 v[5:8], v185 offset:1904
	v_add_f64 v[137:138], v[137:138], v[155:156]
	v_add_f64 v[139:140], v[139:140], v[147:148]
	s_waitcnt vmcnt(27) lgkmcnt(1)
	v_mul_f64 v[155:156], v[135:136], v[204:205]
	v_mul_f64 v[147:148], v[133:134], v[204:205]
	s_waitcnt vmcnt(25)
	v_fma_f64 v[159:160], v[1:2], v[171:172], -v[159:160]
	v_fma_f64 v[153:154], v[3:4], v[171:172], v[153:154]
	ds_read_b128 v[1:4], v185 offset:1920
	v_add_f64 v[137:138], v[137:138], v[157:158]
	v_add_f64 v[139:140], v[139:140], v[141:142]
	s_waitcnt vmcnt(21) lgkmcnt(1)
	v_mul_f64 v[157:158], v[7:8], v[173:174]
	s_waitcnt vmcnt(20)
	v_fma_f64 v[155:156], v[133:134], v[208:209], -v[155:156]
	v_mul_f64 v[141:142], v[5:6], v[173:174]
	v_fma_f64 v[147:148], v[135:136], v[208:209], v[147:148]
	ds_read_b128 v[133:136], v185 offset:1936
	v_add_f64 v[137:138], v[137:138], v[159:160]
	v_add_f64 v[139:140], v[139:140], v[153:154]
	;; [unrolled: 18-line block ×3, first 2 shown]
	s_waitcnt vmcnt(11) lgkmcnt(1)
	v_mul_f64 v[157:158], v[7:8], v[206:207]
	v_mul_f64 v[141:142], v[5:6], v[206:207]
	s_waitcnt vmcnt(9)
	v_fma_f64 v[133:134], v[133:134], v[143:144], -v[155:156]
	v_fma_f64 v[135:136], v[135:136], v[143:144], v[147:148]
	v_add_f64 v[137:138], v[137:138], v[159:160]
	v_add_f64 v[139:140], v[139:140], v[153:154]
	s_waitcnt vmcnt(7) lgkmcnt(0)
	v_mul_f64 v[147:148], v[3:4], v[149:150]
	s_waitcnt vmcnt(6)
	v_fma_f64 v[5:6], v[5:6], v[210:211], -v[157:158]
	v_mul_f64 v[143:144], v[1:2], v[149:150]
	v_fma_f64 v[7:8], v[7:8], v[210:211], v[141:142]
	v_add_f64 v[133:134], v[137:138], v[133:134]
	v_add_f64 v[135:136], v[139:140], v[135:136]
	s_waitcnt vmcnt(4)
	v_fma_f64 v[1:2], v[1:2], v[145:146], -v[147:148]
	v_fma_f64 v[3:4], v[3:4], v[145:146], v[143:144]
	v_add_f64 v[5:6], v[133:134], v[5:6]
	v_add_f64 v[7:8], v[135:136], v[7:8]
	;; [unrolled: 1-line block ×4, first 2 shown]
	s_waitcnt vmcnt(2)
	v_add_f64 v[1:2], v[151:152], -v[1:2]
	s_waitcnt vmcnt(0)
	v_add_f64 v[3:4], v[188:189], -v[3:4]
	buffer_store_dword v2, off, s[0:3], 0 offset:388
	buffer_store_dword v1, off, s[0:3], 0 offset:384
	;; [unrolled: 1-line block ×4, first 2 shown]
	v_cmpx_lt_u32_e32 22, v0
	s_cbranch_execz .LBB125_353
; %bb.352:
	v_mov_b32_e32 v4, s54
	v_mov_b32_e32 v5, 0
	s_clause 0x3
	buffer_load_dword v1, v4, s[0:3], 0 offen
	buffer_load_dword v2, v4, s[0:3], 0 offen offset:4
	buffer_load_dword v3, v4, s[0:3], 0 offen offset:8
	;; [unrolled: 1-line block ×3, first 2 shown]
	buffer_store_dword v5, off, s[0:3], 0 offset:368
	buffer_store_dword v5, off, s[0:3], 0 offset:372
	;; [unrolled: 1-line block ×4, first 2 shown]
	s_waitcnt vmcnt(0)
	ds_write_b128 v193, v[1:4]
.LBB125_353:
	s_or_b32 exec_lo, exec_lo, s4
	s_waitcnt lgkmcnt(0)
	s_waitcnt_vscnt null, 0x0
	s_barrier
	buffer_gl0_inv
	s_clause 0x37
	buffer_load_dword v133, off, s[0:3], 0 offset:392
	buffer_load_dword v134, off, s[0:3], 0 offset:396
	;; [unrolled: 1-line block ×56, first 2 shown]
	v_mov_b32_e32 v185, 0
	s_mov_b32 s4, exec_lo
	ds_read_b128 v[186:189], v185 offset:1360
	s_clause 0x2
	buffer_load_dword v182, off, s[0:3], 0 offset:620
	buffer_load_dword v184, off, s[0:3], 0 offset:596
	;; [unrolled: 1-line block ×3, first 2 shown]
	ds_read_b128 v[194:197], v185 offset:1376
	s_clause 0x4
	buffer_load_dword v203, off, s[0:3], 0 offset:636
	buffer_load_dword v204, off, s[0:3], 0 offset:648
	;; [unrolled: 1-line block ×5, first 2 shown]
	ds_read_b128 v[198:201], v185 offset:1392
	s_clause 0x2
	buffer_load_dword v205, off, s[0:3], 0 offset:652
	buffer_load_dword v210, off, s[0:3], 0 offset:628
	;; [unrolled: 1-line block ×3, first 2 shown]
	s_waitcnt vmcnt(62) lgkmcnt(2)
	v_mul_f64 v[190:191], v[188:189], v[133:134]
	v_mul_f64 v[133:134], v[186:187], v[133:134]
	s_waitcnt lgkmcnt(1)
	v_mul_f64 v[207:208], v[196:197], v[5:6]
	s_waitcnt vmcnt(59) lgkmcnt(0)
	v_mul_f64 v[211:212], v[200:201], v[3:4]
	v_fma_f64 v[186:187], v[186:187], v[7:8], -v[190:191]
	v_mul_f64 v[190:191], v[194:195], v[5:6]
	v_fma_f64 v[133:134], v[188:189], v[7:8], v[133:134]
	s_waitcnt vmcnt(57)
	v_fma_f64 v[194:195], v[194:195], v[1:2], -v[207:208]
	ds_read_b128 v[5:8], v185 offset:1408
	v_mul_f64 v[188:189], v[198:199], v[3:4]
	s_waitcnt vmcnt(51)
	v_fma_f64 v[198:199], v[198:199], v[149:150], -v[211:212]
	v_add_f64 v[186:187], v[186:187], 0
	v_fma_f64 v[190:191], v[196:197], v[1:2], v[190:191]
	v_add_f64 v[133:134], v[133:134], 0
	s_clause 0x4
	buffer_load_dword v197, off, s[0:3], 0 offset:668
	buffer_load_dword v213, off, s[0:3], 0 offset:680
	;; [unrolled: 1-line block ×5, first 2 shown]
	s_waitcnt lgkmcnt(0)
	v_mul_f64 v[216:217], v[5:6], v[137:138]
	v_mul_f64 v[137:138], v[7:8], v[137:138]
	ds_read_b128 v[1:4], v185 offset:1424
	v_fma_f64 v[149:150], v[200:201], v[149:150], v[188:189]
	v_add_f64 v[194:195], v[186:187], v[194:195]
	v_add_f64 v[133:134], v[133:134], v[190:191]
	s_clause 0x2
	buffer_load_dword v214, off, s[0:3], 0 offset:684
	buffer_load_dword v191, off, s[0:3], 0 offset:660
	;; [unrolled: 1-line block ×3, first 2 shown]
	s_waitcnt vmcnt(58) lgkmcnt(0)
	v_mul_f64 v[200:201], v[1:2], v[141:142]
	v_mul_f64 v[141:142], v[3:4], v[141:142]
	s_waitcnt vmcnt(56)
	v_fma_f64 v[137:138], v[5:6], v[143:144], -v[137:138]
	ds_read_b128 v[186:189], v185 offset:1440
	v_fma_f64 v[143:144], v[7:8], v[143:144], v[216:217]
	v_add_f64 v[194:195], v[194:195], v[198:199]
	v_add_f64 v[133:134], v[133:134], v[149:150]
	s_clause 0x4
	buffer_load_dword v150, off, s[0:3], 0 offset:700
	buffer_load_dword v198, off, s[0:3], 0 offset:712
	;; [unrolled: 1-line block ×5, first 2 shown]
	ds_read_b128 v[5:8], v185 offset:1456
	s_waitcnt vmcnt(57) lgkmcnt(1)
	v_mul_f64 v[217:218], v[186:187], v[145:146]
	v_mul_f64 v[145:146], v[188:189], v[145:146]
	s_waitcnt vmcnt(56)
	v_fma_f64 v[141:142], v[1:2], v[135:136], -v[141:142]
	v_fma_f64 v[135:136], v[3:4], v[135:136], v[200:201]
	v_add_f64 v[137:138], v[194:195], v[137:138]
	v_add_f64 v[133:134], v[133:134], v[143:144]
	s_clause 0x2
	buffer_load_dword v199, off, s[0:3], 0 offset:716
	buffer_load_dword v144, off, s[0:3], 0 offset:692
	;; [unrolled: 1-line block ×3, first 2 shown]
	s_waitcnt vmcnt(58) lgkmcnt(0)
	v_mul_f64 v[194:195], v[5:6], v[151:152]
	v_mul_f64 v[151:152], v[7:8], v[151:152]
	s_waitcnt vmcnt(56)
	v_fma_f64 v[145:146], v[186:187], v[153:154], -v[145:146]
	ds_read_b128 v[1:4], v185 offset:1472
	v_add_f64 v[137:138], v[137:138], v[141:142]
	v_fma_f64 v[141:142], v[188:189], v[153:154], v[217:218]
	v_add_f64 v[153:154], v[133:134], v[135:136]
	s_clause 0x4
	buffer_load_dword v187, off, s[0:3], 0 offset:732
	buffer_load_dword v188, off, s[0:3], 0 offset:744
	;; [unrolled: 1-line block ×5, first 2 shown]
	ds_read_b128 v[133:136], v185 offset:1488
	s_waitcnt vmcnt(57) lgkmcnt(1)
	v_mul_f64 v[217:218], v[1:2], v[155:156]
	v_mul_f64 v[155:156], v[3:4], v[155:156]
	s_waitcnt vmcnt(56)
	v_fma_f64 v[151:152], v[5:6], v[139:140], -v[151:152]
	v_fma_f64 v[139:140], v[7:8], v[139:140], v[194:195]
	v_add_f64 v[137:138], v[137:138], v[145:146]
	s_clause 0x2
	buffer_load_dword v189, off, s[0:3], 0 offset:748
	buffer_load_dword v146, off, s[0:3], 0 offset:724
	;; [unrolled: 1-line block ×3, first 2 shown]
	v_add_f64 v[141:142], v[153:154], v[141:142]
	s_waitcnt vmcnt(58) lgkmcnt(0)
	v_mul_f64 v[153:154], v[133:134], v[159:160]
	v_mul_f64 v[159:160], v[135:136], v[159:160]
	ds_read_b128 v[5:8], v185 offset:1504
	s_waitcnt vmcnt(56)
	v_fma_f64 v[155:156], v[1:2], v[161:162], -v[155:156]
	v_add_f64 v[137:138], v[137:138], v[151:152]
	v_fma_f64 v[151:152], v[3:4], v[161:162], v[217:218]
	v_add_f64 v[139:140], v[141:142], v[139:140]
	s_clause 0x4
	buffer_load_dword v142, off, s[0:3], 0 offset:764
	buffer_load_dword v161, off, s[0:3], 0 offset:776
	;; [unrolled: 1-line block ×5, first 2 shown]
	s_waitcnt vmcnt(57) lgkmcnt(0)
	v_mul_f64 v[217:218], v[5:6], v[163:164]
	v_mul_f64 v[163:164], v[7:8], v[163:164]
	s_waitcnt vmcnt(56)
	v_fma_f64 v[159:160], v[133:134], v[147:148], -v[159:160]
	ds_read_b128 v[1:4], v185 offset:1520
	v_fma_f64 v[147:148], v[135:136], v[147:148], v[153:154]
	v_add_f64 v[137:138], v[137:138], v[155:156]
	v_add_f64 v[139:140], v[139:140], v[151:152]
	s_clause 0x2
	buffer_load_dword v162, off, s[0:3], 0 offset:780
	buffer_load_dword v152, off, s[0:3], 0 offset:756
	;; [unrolled: 1-line block ×3, first 2 shown]
	ds_read_b128 v[133:136], v185 offset:1536
	s_waitcnt vmcnt(58) lgkmcnt(1)
	v_mul_f64 v[155:156], v[3:4], v[167:168]
	s_waitcnt vmcnt(56)
	v_fma_f64 v[163:164], v[5:6], v[169:170], -v[163:164]
	v_mul_f64 v[153:154], v[1:2], v[167:168]
	v_add_f64 v[137:138], v[137:138], v[159:160]
	v_fma_f64 v[159:160], v[7:8], v[169:170], v[217:218]
	v_add_f64 v[139:140], v[139:140], v[147:148]
	s_clause 0x4
	buffer_load_dword v148, off, s[0:3], 0 offset:796
	buffer_load_dword v167, off, s[0:3], 0 offset:808
	buffer_load_dword v169, off, s[0:3], 0 offset:800
	buffer_load_dword v147, off, s[0:3], 0 offset:792
	buffer_load_dword v195, off, s[0:3], 0 offset:772
	s_waitcnt vmcnt(57) lgkmcnt(0)
	v_mul_f64 v[217:218], v[133:134], v[171:172]
	v_mul_f64 v[170:171], v[135:136], v[171:172]
	s_waitcnt vmcnt(56)
	v_fma_f64 v[155:156], v[1:2], v[157:158], -v[155:156]
	ds_read_b128 v[5:8], v185 offset:1552
	v_fma_f64 v[153:154], v[3:4], v[157:158], v[153:154]
	s_clause 0x2
	buffer_load_dword v168, off, s[0:3], 0 offset:812
	buffer_load_dword v158, off, s[0:3], 0 offset:788
	;; [unrolled: 1-line block ×3, first 2 shown]
	ds_read_b128 v[1:4], v185 offset:1568
	v_add_f64 v[137:138], v[137:138], v[163:164]
	v_add_f64 v[139:140], v[139:140], v[159:160]
	s_waitcnt vmcnt(58) lgkmcnt(1)
	v_mul_f64 v[163:164], v[7:8], v[175:176]
	s_waitcnt vmcnt(56)
	v_fma_f64 v[171:172], v[133:134], v[177:178], -v[170:171]
	v_mul_f64 v[159:160], v[5:6], v[175:176]
	v_add_f64 v[137:138], v[137:138], v[155:156]
	v_fma_f64 v[155:156], v[135:136], v[177:178], v[217:218]
	v_add_f64 v[139:140], v[139:140], v[153:154]
	s_clause 0x4
	buffer_load_dword v154, off, s[0:3], 0 offset:828
	buffer_load_dword v175, off, s[0:3], 0 offset:840
	;; [unrolled: 1-line block ×5, first 2 shown]
	s_waitcnt vmcnt(57) lgkmcnt(0)
	v_mul_f64 v[217:218], v[1:2], v[179:180]
	v_mul_f64 v[178:179], v[3:4], v[179:180]
	s_waitcnt vmcnt(56)
	v_fma_f64 v[163:164], v[5:6], v[165:166], -v[163:164]
	ds_read_b128 v[133:136], v185 offset:1584
	v_fma_f64 v[159:160], v[7:8], v[165:166], v[159:160]
	v_add_f64 v[137:138], v[137:138], v[171:172]
	v_add_f64 v[139:140], v[139:140], v[155:156]
	s_clause 0x2
	buffer_load_dword v176, off, s[0:3], 0 offset:844
	buffer_load_dword v156, off, s[0:3], 0 offset:820
	;; [unrolled: 1-line block ×3, first 2 shown]
	ds_read_b128 v[5:8], v185 offset:1600
	s_waitcnt vmcnt(58) lgkmcnt(1)
	v_mul_f64 v[171:172], v[135:136], v[181:182]
	s_waitcnt vmcnt(56)
	v_fma_f64 v[179:180], v[1:2], v[183:184], -v[178:179]
	v_mul_f64 v[165:166], v[133:134], v[181:182]
	v_add_f64 v[137:138], v[137:138], v[163:164]
	v_fma_f64 v[163:164], v[3:4], v[183:184], v[217:218]
	v_add_f64 v[139:140], v[139:140], v[159:160]
	s_clause 0x4
	buffer_load_dword v160, off, s[0:3], 0 offset:860
	buffer_load_dword v181, off, s[0:3], 0 offset:872
	;; [unrolled: 1-line block ×5, first 2 shown]
	s_waitcnt vmcnt(57) lgkmcnt(0)
	v_mul_f64 v[217:218], v[5:6], v[202:203]
	v_mul_f64 v[202:203], v[7:8], v[202:203]
	s_waitcnt vmcnt(56)
	v_fma_f64 v[171:172], v[133:134], v[173:174], -v[171:172]
	ds_read_b128 v[1:4], v185 offset:1616
	v_fma_f64 v[165:166], v[135:136], v[173:174], v[165:166]
	v_add_f64 v[137:138], v[137:138], v[179:180]
	v_add_f64 v[139:140], v[139:140], v[163:164]
	s_clause 0x2
	buffer_load_dword v182, off, s[0:3], 0 offset:876
	buffer_load_dword v164, off, s[0:3], 0 offset:852
	;; [unrolled: 1-line block ×3, first 2 shown]
	ds_read_b128 v[133:136], v185 offset:1632
	s_waitcnt vmcnt(58) lgkmcnt(1)
	v_mul_f64 v[179:180], v[3:4], v[204:205]
	s_waitcnt vmcnt(56)
	v_fma_f64 v[202:203], v[5:6], v[209:210], -v[202:203]
	v_mul_f64 v[173:174], v[1:2], v[204:205]
	v_add_f64 v[137:138], v[137:138], v[171:172]
	v_fma_f64 v[171:172], v[7:8], v[209:210], v[217:218]
	v_add_f64 v[139:140], v[139:140], v[165:166]
	s_clause 0x4
	buffer_load_dword v166, off, s[0:3], 0 offset:892
	buffer_load_dword v204, off, s[0:3], 0 offset:904
	;; [unrolled: 1-line block ×5, first 2 shown]
	ds_read_b128 v[5:8], v185 offset:1648
	s_waitcnt vmcnt(57) lgkmcnt(1)
	v_mul_f64 v[209:210], v[133:134], v[196:197]
	v_mul_f64 v[196:197], v[135:136], v[196:197]
	s_waitcnt vmcnt(56)
	v_fma_f64 v[179:180], v[1:2], v[206:207], -v[179:180]
	v_fma_f64 v[173:174], v[3:4], v[206:207], v[173:174]
	v_add_f64 v[137:138], v[137:138], v[202:203]
	v_add_f64 v[139:140], v[139:140], v[171:172]
	s_clause 0x2
	buffer_load_dword v205, off, s[0:3], 0 offset:908
	buffer_load_dword v172, off, s[0:3], 0 offset:884
	;; [unrolled: 1-line block ×3, first 2 shown]
	ds_read_b128 v[1:4], v185 offset:1664
	s_waitcnt vmcnt(58) lgkmcnt(1)
	v_mul_f64 v[206:207], v[7:8], v[213:214]
	v_mul_f64 v[202:203], v[5:6], v[213:214]
	s_waitcnt vmcnt(56)
	v_fma_f64 v[196:197], v[133:134], v[190:191], -v[196:197]
	v_add_f64 v[137:138], v[137:138], v[179:180]
	v_fma_f64 v[179:180], v[135:136], v[190:191], v[209:210]
	v_add_f64 v[139:140], v[139:140], v[173:174]
	s_clause 0x4
	buffer_load_dword v174, off, s[0:3], 0 offset:924
	buffer_load_dword v190, off, s[0:3], 0 offset:936
	;; [unrolled: 1-line block ×5, first 2 shown]
	ds_read_b128 v[133:136], v185 offset:1680
	s_waitcnt vmcnt(57) lgkmcnt(1)
	v_mul_f64 v[217:218], v[1:2], v[149:150]
	v_mul_f64 v[149:150], v[3:4], v[149:150]
	s_waitcnt vmcnt(56)
	v_fma_f64 v[206:207], v[5:6], v[215:216], -v[206:207]
	v_add_f64 v[137:138], v[137:138], v[196:197]
	v_fma_f64 v[196:197], v[7:8], v[215:216], v[202:203]
	v_add_f64 v[139:140], v[139:140], v[179:180]
	s_clause 0x2
	buffer_load_dword v191, off, s[0:3], 0 offset:940
	buffer_load_dword v180, off, s[0:3], 0 offset:916
	;; [unrolled: 1-line block ×3, first 2 shown]
	ds_read_b128 v[5:8], v185 offset:1696
	s_waitcnt vmcnt(58) lgkmcnt(1)
	v_mul_f64 v[202:203], v[133:134], v[198:199]
	v_mul_f64 v[198:199], v[135:136], v[198:199]
	s_waitcnt vmcnt(56)
	v_fma_f64 v[149:150], v[1:2], v[143:144], -v[149:150]
	v_fma_f64 v[143:144], v[3:4], v[143:144], v[217:218]
	v_add_f64 v[137:138], v[137:138], v[206:207]
	v_add_f64 v[139:140], v[139:140], v[196:197]
	s_clause 0x4
	buffer_load_dword v197, off, s[0:3], 0 offset:956
	buffer_load_dword v206, off, s[0:3], 0 offset:968
	;; [unrolled: 1-line block ×5, first 2 shown]
	ds_read_b128 v[1:4], v185 offset:1712
	s_waitcnt vmcnt(57) lgkmcnt(1)
	v_mul_f64 v[215:216], v[5:6], v[186:187]
	v_mul_f64 v[186:187], v[7:8], v[186:187]
	s_waitcnt vmcnt(56)
	v_fma_f64 v[198:199], v[133:134], v[211:212], -v[198:199]
	v_add_f64 v[137:138], v[137:138], v[149:150]
	v_fma_f64 v[149:150], v[135:136], v[211:212], v[202:203]
	v_add_f64 v[139:140], v[139:140], v[143:144]
	s_clause 0x2
	buffer_load_dword v207, off, s[0:3], 0 offset:972
	buffer_load_dword v144, off, s[0:3], 0 offset:948
	;; [unrolled: 1-line block ×3, first 2 shown]
	ds_read_b128 v[133:136], v185 offset:1728
	s_waitcnt vmcnt(58) lgkmcnt(1)
	v_mul_f64 v[202:203], v[1:2], v[188:189]
	v_mul_f64 v[188:189], v[3:4], v[188:189]
	s_waitcnt vmcnt(56)
	v_fma_f64 v[186:187], v[5:6], v[145:146], -v[186:187]
	v_fma_f64 v[145:146], v[7:8], v[145:146], v[215:216]
	v_add_f64 v[137:138], v[137:138], v[198:199]
	v_add_f64 v[139:140], v[139:140], v[149:150]
	s_clause 0x4
	buffer_load_dword v150, off, s[0:3], 0 offset:988
	buffer_load_dword v198, off, s[0:3], 0 offset:1000
	buffer_load_dword v215, off, s[0:3], 0 offset:992
	buffer_load_dword v149, off, s[0:3], 0 offset:984
	buffer_load_dword v211, off, s[0:3], 0 offset:964
	ds_read_b128 v[5:8], v185 offset:1744
	s_waitcnt vmcnt(57) lgkmcnt(1)
	v_mul_f64 v[216:217], v[133:134], v[141:142]
	v_mul_f64 v[141:142], v[135:136], v[141:142]
	s_waitcnt vmcnt(56)
	v_fma_f64 v[188:189], v[1:2], v[200:201], -v[188:189]
	v_add_f64 v[137:138], v[137:138], v[186:187]
	v_fma_f64 v[186:187], v[3:4], v[200:201], v[202:203]
	v_add_f64 v[139:140], v[139:140], v[145:146]
	s_clause 0x2
	buffer_load_dword v199, off, s[0:3], 0 offset:1004
	buffer_load_dword v146, off, s[0:3], 0 offset:980
	;; [unrolled: 1-line block ×3, first 2 shown]
	ds_read_b128 v[1:4], v185 offset:1760
	s_waitcnt vmcnt(58) lgkmcnt(1)
	v_mul_f64 v[200:201], v[5:6], v[161:162]
	v_mul_f64 v[161:162], v[7:8], v[161:162]
	s_waitcnt vmcnt(56)
	v_fma_f64 v[141:142], v[133:134], v[151:152], -v[141:142]
	v_fma_f64 v[151:152], v[135:136], v[151:152], v[216:217]
	buffer_load_dword v216, off, s[0:3], 0 offset:996
	ds_read_b128 v[133:136], v185 offset:1776
	v_add_f64 v[137:138], v[137:138], v[188:189]
	v_add_f64 v[139:140], v[139:140], v[186:187]
	s_waitcnt vmcnt(53) lgkmcnt(1)
	v_mul_f64 v[186:187], v[1:2], v[147:148]
	v_mul_f64 v[147:148], v[3:4], v[147:148]
	s_waitcnt vmcnt(52)
	v_fma_f64 v[161:162], v[5:6], v[194:195], -v[161:162]
	v_add_f64 v[137:138], v[137:138], v[141:142]
	v_fma_f64 v[141:142], v[7:8], v[194:195], v[200:201]
	v_add_f64 v[139:140], v[139:140], v[151:152]
	s_waitcnt vmcnt(51) lgkmcnt(0)
	v_mul_f64 v[151:152], v[133:134], v[167:168]
	v_mul_f64 v[167:168], v[135:136], v[167:168]
	ds_read_b128 v[5:8], v185 offset:1792
	s_waitcnt vmcnt(49)
	v_fma_f64 v[147:148], v[1:2], v[157:158], -v[147:148]
	v_fma_f64 v[157:158], v[3:4], v[157:158], v[186:187]
	v_add_f64 v[137:138], v[137:138], v[161:162]
	v_add_f64 v[139:140], v[139:140], v[141:142]
	s_clause 0x3
	buffer_load_dword v141, off, s[0:3], 0 offset:368
	buffer_load_dword v142, off, s[0:3], 0 offset:372
	;; [unrolled: 1-line block ×4, first 2 shown]
	ds_read_b128 v[1:4], v185 offset:1808
	s_waitcnt vmcnt(49) lgkmcnt(1)
	v_mul_f64 v[186:187], v[5:6], v[153:154]
	v_mul_f64 v[153:154], v[7:8], v[153:154]
	s_waitcnt vmcnt(48)
	v_fma_f64 v[167:168], v[133:134], v[169:170], -v[167:168]
	v_add_f64 v[137:138], v[137:138], v[147:148]
	v_fma_f64 v[147:148], v[135:136], v[169:170], v[151:152]
	v_add_f64 v[139:140], v[139:140], v[157:158]
	ds_read_b128 v[133:136], v185 offset:1824
	s_waitcnt vmcnt(47) lgkmcnt(1)
	v_mul_f64 v[157:158], v[3:4], v[175:176]
	v_mul_f64 v[151:152], v[1:2], v[175:176]
	s_waitcnt vmcnt(45)
	v_fma_f64 v[153:154], v[5:6], v[155:156], -v[153:154]
	v_fma_f64 v[155:156], v[7:8], v[155:156], v[186:187]
	ds_read_b128 v[5:8], v185 offset:1840
	v_add_f64 v[137:138], v[137:138], v[167:168]
	v_add_f64 v[139:140], v[139:140], v[147:148]
	s_waitcnt vmcnt(41) lgkmcnt(1)
	v_mul_f64 v[147:148], v[133:134], v[159:160]
	v_mul_f64 v[159:160], v[135:136], v[159:160]
	s_waitcnt vmcnt(40)
	v_fma_f64 v[157:158], v[1:2], v[177:178], -v[157:158]
	v_fma_f64 v[151:152], v[3:4], v[177:178], v[151:152]
	ds_read_b128 v[1:4], v185 offset:1856
	v_add_f64 v[137:138], v[137:138], v[153:154]
	v_add_f64 v[139:140], v[139:140], v[155:156]
	;; [unrolled: 9-line block ×3, first 2 shown]
	s_waitcnt vmcnt(33) lgkmcnt(1)
	v_mul_f64 v[157:158], v[3:4], v[165:166]
	s_waitcnt vmcnt(32)
	v_fma_f64 v[155:156], v[5:6], v[183:184], -v[155:156]
	v_mul_f64 v[151:152], v[1:2], v[165:166]
	v_fma_f64 v[153:154], v[7:8], v[183:184], v[153:154]
	ds_read_b128 v[5:8], v185 offset:1888
	v_add_f64 v[137:138], v[137:138], v[159:160]
	v_add_f64 v[139:140], v[139:140], v[147:148]
	s_waitcnt vmcnt(31) lgkmcnt(1)
	v_mul_f64 v[159:160], v[135:136], v[204:205]
	v_mul_f64 v[147:148], v[133:134], v[204:205]
	s_waitcnt vmcnt(29)
	v_fma_f64 v[157:158], v[1:2], v[171:172], -v[157:158]
	v_fma_f64 v[151:152], v[3:4], v[171:172], v[151:152]
	ds_read_b128 v[1:4], v185 offset:1904
	v_add_f64 v[137:138], v[137:138], v[155:156]
	v_add_f64 v[139:140], v[139:140], v[153:154]
	s_waitcnt vmcnt(25) lgkmcnt(1)
	v_mul_f64 v[155:156], v[7:8], v[173:174]
	s_waitcnt vmcnt(24)
	v_fma_f64 v[159:160], v[133:134], v[208:209], -v[159:160]
	v_mul_f64 v[153:154], v[5:6], v[173:174]
	v_fma_f64 v[147:148], v[135:136], v[208:209], v[147:148]
	ds_read_b128 v[133:136], v185 offset:1920
	v_add_f64 v[137:138], v[137:138], v[157:158]
	v_add_f64 v[139:140], v[139:140], v[151:152]
	s_waitcnt vmcnt(23) lgkmcnt(1)
	v_mul_f64 v[157:158], v[3:4], v[190:191]
	v_mul_f64 v[151:152], v[1:2], v[190:191]
	s_waitcnt vmcnt(21)
	v_fma_f64 v[155:156], v[5:6], v[179:180], -v[155:156]
	v_fma_f64 v[153:154], v[7:8], v[179:180], v[153:154]
	ds_read_b128 v[5:8], v185 offset:1936
	v_add_f64 v[137:138], v[137:138], v[159:160]
	v_add_f64 v[139:140], v[139:140], v[147:148]
	;; [unrolled: 18-line block ×3, first 2 shown]
	s_waitcnt vmcnt(9) lgkmcnt(1)
	v_mul_f64 v[147:148], v[1:2], v[149:150]
	v_mul_f64 v[149:150], v[3:4], v[149:150]
	s_waitcnt vmcnt(8)
	v_fma_f64 v[5:6], v[5:6], v[210:211], -v[155:156]
	v_fma_f64 v[7:8], v[7:8], v[210:211], v[153:154]
	v_add_f64 v[137:138], v[137:138], v[159:160]
	v_add_f64 v[139:140], v[139:140], v[143:144]
	s_waitcnt vmcnt(7) lgkmcnt(0)
	v_mul_f64 v[151:152], v[135:136], v[198:199]
	v_mul_f64 v[143:144], v[133:134], v[198:199]
	s_waitcnt vmcnt(5)
	v_fma_f64 v[1:2], v[1:2], v[145:146], -v[149:150]
	v_fma_f64 v[3:4], v[3:4], v[145:146], v[147:148]
	v_add_f64 v[5:6], v[137:138], v[5:6]
	v_add_f64 v[7:8], v[139:140], v[7:8]
	s_waitcnt vmcnt(4)
	v_fma_f64 v[133:134], v[133:134], v[215:216], -v[151:152]
	v_add_f64 v[1:2], v[5:6], v[1:2]
	v_fma_f64 v[5:6], v[135:136], v[215:216], v[143:144]
	v_add_f64 v[3:4], v[7:8], v[3:4]
	v_add_f64 v[1:2], v[1:2], v[133:134]
	;; [unrolled: 1-line block ×3, first 2 shown]
	s_waitcnt vmcnt(2)
	v_add_f64 v[1:2], v[141:142], -v[1:2]
	s_waitcnt vmcnt(0)
	v_add_f64 v[3:4], v[161:162], -v[3:4]
	buffer_store_dword v2, off, s[0:3], 0 offset:372
	buffer_store_dword v1, off, s[0:3], 0 offset:368
	;; [unrolled: 1-line block ×4, first 2 shown]
	v_cmpx_lt_u32_e32 21, v0
	s_cbranch_execz .LBB125_355
; %bb.354:
	v_mov_b32_e32 v4, s55
	s_clause 0x3
	buffer_load_dword v1, v4, s[0:3], 0 offen
	buffer_load_dword v2, v4, s[0:3], 0 offen offset:4
	buffer_load_dword v3, v4, s[0:3], 0 offen offset:8
	;; [unrolled: 1-line block ×3, first 2 shown]
	buffer_store_dword v185, off, s[0:3], 0 offset:352
	buffer_store_dword v185, off, s[0:3], 0 offset:356
	buffer_store_dword v185, off, s[0:3], 0 offset:360
	buffer_store_dword v185, off, s[0:3], 0 offset:364
	s_waitcnt vmcnt(0)
	ds_write_b128 v193, v[1:4]
.LBB125_355:
	s_or_b32 exec_lo, exec_lo, s4
	s_waitcnt lgkmcnt(0)
	s_waitcnt_vscnt null, 0x0
	s_barrier
	buffer_gl0_inv
	s_clause 0x37
	buffer_load_dword v133, off, s[0:3], 0 offset:376
	buffer_load_dword v134, off, s[0:3], 0 offset:380
	;; [unrolled: 1-line block ×56, first 2 shown]
	ds_read_b128 v[186:189], v185 offset:1344
	s_clause 0x2
	buffer_load_dword v182, off, s[0:3], 0 offset:604
	buffer_load_dword v184, off, s[0:3], 0 offset:580
	;; [unrolled: 1-line block ×3, first 2 shown]
	ds_read_b128 v[194:197], v185 offset:1360
	s_clause 0x4
	buffer_load_dword v203, off, s[0:3], 0 offset:620
	buffer_load_dword v204, off, s[0:3], 0 offset:632
	buffer_load_dword v206, off, s[0:3], 0 offset:624
	buffer_load_dword v202, off, s[0:3], 0 offset:616
	buffer_load_dword v174, off, s[0:3], 0 offset:596
	ds_read_b128 v[198:201], v185 offset:1376
	s_clause 0x2
	buffer_load_dword v205, off, s[0:3], 0 offset:636
	buffer_load_dword v210, off, s[0:3], 0 offset:612
	;; [unrolled: 1-line block ×3, first 2 shown]
	s_mov_b32 s4, exec_lo
	s_waitcnt vmcnt(62) lgkmcnt(2)
	v_mul_f64 v[190:191], v[188:189], v[133:134]
	v_mul_f64 v[133:134], v[186:187], v[133:134]
	s_waitcnt lgkmcnt(1)
	v_mul_f64 v[207:208], v[196:197], v[5:6]
	s_waitcnt vmcnt(59) lgkmcnt(0)
	v_mul_f64 v[211:212], v[200:201], v[3:4]
	v_fma_f64 v[186:187], v[186:187], v[7:8], -v[190:191]
	v_mul_f64 v[190:191], v[194:195], v[5:6]
	v_fma_f64 v[133:134], v[188:189], v[7:8], v[133:134]
	s_waitcnt vmcnt(57)
	v_fma_f64 v[194:195], v[194:195], v[1:2], -v[207:208]
	ds_read_b128 v[5:8], v185 offset:1392
	v_mul_f64 v[188:189], v[198:199], v[3:4]
	s_waitcnt vmcnt(51)
	v_fma_f64 v[198:199], v[198:199], v[149:150], -v[211:212]
	v_add_f64 v[186:187], v[186:187], 0
	v_fma_f64 v[190:191], v[196:197], v[1:2], v[190:191]
	v_add_f64 v[133:134], v[133:134], 0
	s_clause 0x4
	buffer_load_dword v197, off, s[0:3], 0 offset:652
	buffer_load_dword v213, off, s[0:3], 0 offset:664
	;; [unrolled: 1-line block ×5, first 2 shown]
	s_waitcnt lgkmcnt(0)
	v_mul_f64 v[216:217], v[5:6], v[137:138]
	v_mul_f64 v[137:138], v[7:8], v[137:138]
	ds_read_b128 v[1:4], v185 offset:1408
	v_fma_f64 v[149:150], v[200:201], v[149:150], v[188:189]
	v_add_f64 v[194:195], v[186:187], v[194:195]
	v_add_f64 v[133:134], v[133:134], v[190:191]
	s_clause 0x2
	buffer_load_dword v214, off, s[0:3], 0 offset:668
	buffer_load_dword v191, off, s[0:3], 0 offset:644
	;; [unrolled: 1-line block ×3, first 2 shown]
	s_waitcnt vmcnt(58) lgkmcnt(0)
	v_mul_f64 v[200:201], v[1:2], v[141:142]
	v_mul_f64 v[141:142], v[3:4], v[141:142]
	s_waitcnt vmcnt(56)
	v_fma_f64 v[137:138], v[5:6], v[143:144], -v[137:138]
	ds_read_b128 v[186:189], v185 offset:1424
	v_fma_f64 v[143:144], v[7:8], v[143:144], v[216:217]
	v_add_f64 v[194:195], v[194:195], v[198:199]
	v_add_f64 v[133:134], v[133:134], v[149:150]
	s_clause 0x4
	buffer_load_dword v150, off, s[0:3], 0 offset:684
	buffer_load_dword v198, off, s[0:3], 0 offset:696
	;; [unrolled: 1-line block ×5, first 2 shown]
	ds_read_b128 v[5:8], v185 offset:1440
	s_waitcnt vmcnt(57) lgkmcnt(1)
	v_mul_f64 v[217:218], v[186:187], v[145:146]
	v_mul_f64 v[145:146], v[188:189], v[145:146]
	s_waitcnt vmcnt(56)
	v_fma_f64 v[141:142], v[1:2], v[135:136], -v[141:142]
	v_fma_f64 v[135:136], v[3:4], v[135:136], v[200:201]
	v_add_f64 v[137:138], v[194:195], v[137:138]
	v_add_f64 v[133:134], v[133:134], v[143:144]
	s_clause 0x2
	buffer_load_dword v199, off, s[0:3], 0 offset:700
	buffer_load_dword v144, off, s[0:3], 0 offset:676
	;; [unrolled: 1-line block ×3, first 2 shown]
	s_waitcnt vmcnt(58) lgkmcnt(0)
	v_mul_f64 v[194:195], v[5:6], v[151:152]
	v_mul_f64 v[151:152], v[7:8], v[151:152]
	s_waitcnt vmcnt(56)
	v_fma_f64 v[145:146], v[186:187], v[153:154], -v[145:146]
	ds_read_b128 v[1:4], v185 offset:1456
	v_add_f64 v[137:138], v[137:138], v[141:142]
	v_fma_f64 v[141:142], v[188:189], v[153:154], v[217:218]
	v_add_f64 v[153:154], v[133:134], v[135:136]
	s_clause 0x4
	buffer_load_dword v187, off, s[0:3], 0 offset:716
	buffer_load_dword v188, off, s[0:3], 0 offset:728
	;; [unrolled: 1-line block ×5, first 2 shown]
	ds_read_b128 v[133:136], v185 offset:1472
	s_waitcnt vmcnt(57) lgkmcnt(1)
	v_mul_f64 v[217:218], v[1:2], v[155:156]
	v_mul_f64 v[155:156], v[3:4], v[155:156]
	s_waitcnt vmcnt(56)
	v_fma_f64 v[151:152], v[5:6], v[139:140], -v[151:152]
	v_fma_f64 v[139:140], v[7:8], v[139:140], v[194:195]
	v_add_f64 v[137:138], v[137:138], v[145:146]
	s_clause 0x2
	buffer_load_dword v189, off, s[0:3], 0 offset:732
	buffer_load_dword v146, off, s[0:3], 0 offset:708
	;; [unrolled: 1-line block ×3, first 2 shown]
	v_add_f64 v[141:142], v[153:154], v[141:142]
	s_waitcnt vmcnt(58) lgkmcnt(0)
	v_mul_f64 v[153:154], v[133:134], v[159:160]
	v_mul_f64 v[159:160], v[135:136], v[159:160]
	ds_read_b128 v[5:8], v185 offset:1488
	s_waitcnt vmcnt(56)
	v_fma_f64 v[155:156], v[1:2], v[161:162], -v[155:156]
	v_add_f64 v[137:138], v[137:138], v[151:152]
	v_fma_f64 v[151:152], v[3:4], v[161:162], v[217:218]
	v_add_f64 v[139:140], v[141:142], v[139:140]
	s_clause 0x4
	buffer_load_dword v142, off, s[0:3], 0 offset:748
	buffer_load_dword v161, off, s[0:3], 0 offset:760
	;; [unrolled: 1-line block ×5, first 2 shown]
	s_waitcnt vmcnt(57) lgkmcnt(0)
	v_mul_f64 v[217:218], v[5:6], v[163:164]
	v_mul_f64 v[163:164], v[7:8], v[163:164]
	s_waitcnt vmcnt(56)
	v_fma_f64 v[159:160], v[133:134], v[147:148], -v[159:160]
	ds_read_b128 v[1:4], v185 offset:1504
	v_fma_f64 v[147:148], v[135:136], v[147:148], v[153:154]
	v_add_f64 v[137:138], v[137:138], v[155:156]
	v_add_f64 v[139:140], v[139:140], v[151:152]
	s_clause 0x2
	buffer_load_dword v162, off, s[0:3], 0 offset:764
	buffer_load_dword v152, off, s[0:3], 0 offset:740
	;; [unrolled: 1-line block ×3, first 2 shown]
	ds_read_b128 v[133:136], v185 offset:1520
	s_waitcnt vmcnt(58) lgkmcnt(1)
	v_mul_f64 v[155:156], v[3:4], v[167:168]
	s_waitcnt vmcnt(56)
	v_fma_f64 v[163:164], v[5:6], v[169:170], -v[163:164]
	v_mul_f64 v[153:154], v[1:2], v[167:168]
	v_add_f64 v[137:138], v[137:138], v[159:160]
	v_fma_f64 v[159:160], v[7:8], v[169:170], v[217:218]
	v_add_f64 v[139:140], v[139:140], v[147:148]
	s_clause 0x4
	buffer_load_dword v148, off, s[0:3], 0 offset:780
	buffer_load_dword v167, off, s[0:3], 0 offset:792
	;; [unrolled: 1-line block ×5, first 2 shown]
	s_waitcnt vmcnt(57) lgkmcnt(0)
	v_mul_f64 v[217:218], v[133:134], v[171:172]
	v_mul_f64 v[170:171], v[135:136], v[171:172]
	s_waitcnt vmcnt(56)
	v_fma_f64 v[155:156], v[1:2], v[157:158], -v[155:156]
	ds_read_b128 v[5:8], v185 offset:1536
	v_fma_f64 v[153:154], v[3:4], v[157:158], v[153:154]
	s_clause 0x2
	buffer_load_dword v168, off, s[0:3], 0 offset:796
	buffer_load_dword v158, off, s[0:3], 0 offset:772
	;; [unrolled: 1-line block ×3, first 2 shown]
	ds_read_b128 v[1:4], v185 offset:1552
	v_add_f64 v[137:138], v[137:138], v[163:164]
	v_add_f64 v[139:140], v[139:140], v[159:160]
	s_waitcnt vmcnt(58) lgkmcnt(1)
	v_mul_f64 v[163:164], v[7:8], v[175:176]
	s_waitcnt vmcnt(56)
	v_fma_f64 v[171:172], v[133:134], v[177:178], -v[170:171]
	v_mul_f64 v[159:160], v[5:6], v[175:176]
	v_add_f64 v[137:138], v[137:138], v[155:156]
	v_fma_f64 v[155:156], v[135:136], v[177:178], v[217:218]
	v_add_f64 v[139:140], v[139:140], v[153:154]
	s_clause 0x4
	buffer_load_dword v154, off, s[0:3], 0 offset:812
	buffer_load_dword v175, off, s[0:3], 0 offset:824
	;; [unrolled: 1-line block ×5, first 2 shown]
	s_waitcnt vmcnt(57) lgkmcnt(0)
	v_mul_f64 v[217:218], v[1:2], v[179:180]
	v_mul_f64 v[178:179], v[3:4], v[179:180]
	s_waitcnt vmcnt(56)
	v_fma_f64 v[163:164], v[5:6], v[165:166], -v[163:164]
	ds_read_b128 v[133:136], v185 offset:1568
	v_fma_f64 v[159:160], v[7:8], v[165:166], v[159:160]
	v_add_f64 v[137:138], v[137:138], v[171:172]
	v_add_f64 v[139:140], v[139:140], v[155:156]
	s_clause 0x2
	buffer_load_dword v176, off, s[0:3], 0 offset:828
	buffer_load_dword v156, off, s[0:3], 0 offset:804
	;; [unrolled: 1-line block ×3, first 2 shown]
	ds_read_b128 v[5:8], v185 offset:1584
	s_waitcnt vmcnt(58) lgkmcnt(1)
	v_mul_f64 v[171:172], v[135:136], v[181:182]
	s_waitcnt vmcnt(56)
	v_fma_f64 v[179:180], v[1:2], v[183:184], -v[178:179]
	v_mul_f64 v[165:166], v[133:134], v[181:182]
	v_add_f64 v[137:138], v[137:138], v[163:164]
	v_fma_f64 v[163:164], v[3:4], v[183:184], v[217:218]
	v_add_f64 v[139:140], v[139:140], v[159:160]
	s_clause 0x4
	buffer_load_dword v160, off, s[0:3], 0 offset:844
	buffer_load_dword v181, off, s[0:3], 0 offset:856
	;; [unrolled: 1-line block ×5, first 2 shown]
	s_waitcnt vmcnt(57) lgkmcnt(0)
	v_mul_f64 v[217:218], v[5:6], v[202:203]
	v_mul_f64 v[202:203], v[7:8], v[202:203]
	s_waitcnt vmcnt(56)
	v_fma_f64 v[171:172], v[133:134], v[173:174], -v[171:172]
	ds_read_b128 v[1:4], v185 offset:1600
	v_fma_f64 v[165:166], v[135:136], v[173:174], v[165:166]
	v_add_f64 v[137:138], v[137:138], v[179:180]
	v_add_f64 v[139:140], v[139:140], v[163:164]
	s_clause 0x2
	buffer_load_dword v182, off, s[0:3], 0 offset:860
	buffer_load_dword v164, off, s[0:3], 0 offset:836
	;; [unrolled: 1-line block ×3, first 2 shown]
	ds_read_b128 v[133:136], v185 offset:1616
	s_waitcnt vmcnt(58) lgkmcnt(1)
	v_mul_f64 v[179:180], v[3:4], v[204:205]
	s_waitcnt vmcnt(56)
	v_fma_f64 v[202:203], v[5:6], v[209:210], -v[202:203]
	v_mul_f64 v[173:174], v[1:2], v[204:205]
	v_add_f64 v[137:138], v[137:138], v[171:172]
	v_fma_f64 v[171:172], v[7:8], v[209:210], v[217:218]
	v_add_f64 v[139:140], v[139:140], v[165:166]
	s_clause 0x4
	buffer_load_dword v166, off, s[0:3], 0 offset:876
	buffer_load_dword v204, off, s[0:3], 0 offset:888
	;; [unrolled: 1-line block ×5, first 2 shown]
	ds_read_b128 v[5:8], v185 offset:1632
	s_waitcnt vmcnt(57) lgkmcnt(1)
	v_mul_f64 v[209:210], v[133:134], v[196:197]
	v_mul_f64 v[196:197], v[135:136], v[196:197]
	s_waitcnt vmcnt(56)
	v_fma_f64 v[179:180], v[1:2], v[206:207], -v[179:180]
	v_fma_f64 v[173:174], v[3:4], v[206:207], v[173:174]
	v_add_f64 v[137:138], v[137:138], v[202:203]
	v_add_f64 v[139:140], v[139:140], v[171:172]
	s_clause 0x2
	buffer_load_dword v205, off, s[0:3], 0 offset:892
	buffer_load_dword v172, off, s[0:3], 0 offset:868
	;; [unrolled: 1-line block ×3, first 2 shown]
	ds_read_b128 v[1:4], v185 offset:1648
	s_waitcnt vmcnt(58) lgkmcnt(1)
	v_mul_f64 v[206:207], v[7:8], v[213:214]
	v_mul_f64 v[202:203], v[5:6], v[213:214]
	s_waitcnt vmcnt(56)
	v_fma_f64 v[196:197], v[133:134], v[190:191], -v[196:197]
	v_add_f64 v[137:138], v[137:138], v[179:180]
	v_fma_f64 v[179:180], v[135:136], v[190:191], v[209:210]
	v_add_f64 v[139:140], v[139:140], v[173:174]
	s_clause 0x4
	buffer_load_dword v174, off, s[0:3], 0 offset:908
	buffer_load_dword v190, off, s[0:3], 0 offset:920
	buffer_load_dword v213, off, s[0:3], 0 offset:912
	buffer_load_dword v173, off, s[0:3], 0 offset:904
	buffer_load_dword v209, off, s[0:3], 0 offset:884
	ds_read_b128 v[133:136], v185 offset:1664
	s_waitcnt vmcnt(57) lgkmcnt(1)
	v_mul_f64 v[217:218], v[1:2], v[149:150]
	v_mul_f64 v[149:150], v[3:4], v[149:150]
	s_waitcnt vmcnt(56)
	v_fma_f64 v[206:207], v[5:6], v[215:216], -v[206:207]
	v_add_f64 v[137:138], v[137:138], v[196:197]
	v_fma_f64 v[196:197], v[7:8], v[215:216], v[202:203]
	v_add_f64 v[139:140], v[139:140], v[179:180]
	s_clause 0x2
	buffer_load_dword v191, off, s[0:3], 0 offset:924
	buffer_load_dword v180, off, s[0:3], 0 offset:900
	buffer_load_dword v179, off, s[0:3], 0 offset:896
	ds_read_b128 v[5:8], v185 offset:1680
	s_waitcnt vmcnt(58) lgkmcnt(1)
	v_mul_f64 v[202:203], v[133:134], v[198:199]
	v_mul_f64 v[198:199], v[135:136], v[198:199]
	s_waitcnt vmcnt(56)
	v_fma_f64 v[149:150], v[1:2], v[143:144], -v[149:150]
	v_fma_f64 v[143:144], v[3:4], v[143:144], v[217:218]
	v_add_f64 v[137:138], v[137:138], v[206:207]
	v_add_f64 v[139:140], v[139:140], v[196:197]
	s_clause 0x4
	buffer_load_dword v197, off, s[0:3], 0 offset:940
	buffer_load_dword v206, off, s[0:3], 0 offset:952
	buffer_load_dword v210, off, s[0:3], 0 offset:944
	buffer_load_dword v196, off, s[0:3], 0 offset:936
	buffer_load_dword v214, off, s[0:3], 0 offset:916
	ds_read_b128 v[1:4], v185 offset:1696
	s_waitcnt vmcnt(57) lgkmcnt(1)
	v_mul_f64 v[215:216], v[5:6], v[186:187]
	v_mul_f64 v[186:187], v[7:8], v[186:187]
	s_waitcnt vmcnt(56)
	v_fma_f64 v[198:199], v[133:134], v[211:212], -v[198:199]
	v_add_f64 v[137:138], v[137:138], v[149:150]
	v_fma_f64 v[149:150], v[135:136], v[211:212], v[202:203]
	v_add_f64 v[139:140], v[139:140], v[143:144]
	s_clause 0x2
	buffer_load_dword v207, off, s[0:3], 0 offset:956
	buffer_load_dword v144, off, s[0:3], 0 offset:932
	buffer_load_dword v143, off, s[0:3], 0 offset:928
	ds_read_b128 v[133:136], v185 offset:1712
	s_waitcnt vmcnt(58) lgkmcnt(1)
	v_mul_f64 v[202:203], v[1:2], v[188:189]
	v_mul_f64 v[188:189], v[3:4], v[188:189]
	s_waitcnt vmcnt(56)
	v_fma_f64 v[186:187], v[5:6], v[145:146], -v[186:187]
	v_fma_f64 v[145:146], v[7:8], v[145:146], v[215:216]
	v_add_f64 v[137:138], v[137:138], v[198:199]
	;; [unrolled: 28-line block ×3, first 2 shown]
	v_add_f64 v[139:140], v[139:140], v[186:187]
	s_clause 0x2
	buffer_load_dword v187, off, s[0:3], 0 offset:1004
	buffer_load_dword v186, off, s[0:3], 0 offset:1000
	;; [unrolled: 1-line block ×3, first 2 shown]
	ds_read_b128 v[133:136], v185 offset:1760
	s_waitcnt vmcnt(55) lgkmcnt(1)
	v_mul_f64 v[188:189], v[1:2], v[147:148]
	v_mul_f64 v[147:148], v[3:4], v[147:148]
	s_waitcnt vmcnt(54)
	v_fma_f64 v[161:162], v[5:6], v[194:195], -v[161:162]
	v_add_f64 v[137:138], v[137:138], v[141:142]
	v_fma_f64 v[141:142], v[7:8], v[194:195], v[200:201]
	v_add_f64 v[139:140], v[139:140], v[151:152]
	s_clause 0x1
	buffer_load_dword v152, off, s[0:3], 0 offset:996
	buffer_load_dword v151, off, s[0:3], 0 offset:992
	s_waitcnt vmcnt(55) lgkmcnt(0)
	v_mul_f64 v[194:195], v[133:134], v[167:168]
	v_mul_f64 v[167:168], v[135:136], v[167:168]
	ds_read_b128 v[5:8], v185 offset:1776
	s_waitcnt vmcnt(53)
	v_fma_f64 v[147:148], v[1:2], v[157:158], -v[147:148]
	v_fma_f64 v[157:158], v[3:4], v[157:158], v[188:189]
	ds_read_b128 v[1:4], v185 offset:1792
	v_add_f64 v[137:138], v[137:138], v[161:162]
	v_add_f64 v[139:140], v[139:140], v[141:142]
	s_waitcnt vmcnt(49) lgkmcnt(1)
	v_mul_f64 v[141:142], v[5:6], v[153:154]
	v_mul_f64 v[153:154], v[7:8], v[153:154]
	s_waitcnt vmcnt(48)
	v_fma_f64 v[161:162], v[133:134], v[169:170], -v[167:168]
	v_add_f64 v[137:138], v[137:138], v[147:148]
	v_fma_f64 v[147:148], v[135:136], v[169:170], v[194:195]
	v_add_f64 v[139:140], v[139:140], v[157:158]
	s_clause 0x3
	buffer_load_dword v157, off, s[0:3], 0 offset:352
	buffer_load_dword v158, off, s[0:3], 0 offset:356
	;; [unrolled: 1-line block ×4, first 2 shown]
	ds_read_b128 v[133:136], v185 offset:1808
	s_waitcnt vmcnt(51) lgkmcnt(1)
	v_mul_f64 v[169:170], v[1:2], v[175:176]
	v_mul_f64 v[175:176], v[3:4], v[175:176]
	s_waitcnt vmcnt(49)
	v_fma_f64 v[153:154], v[5:6], v[155:156], -v[153:154]
	v_fma_f64 v[141:142], v[7:8], v[155:156], v[141:142]
	ds_read_b128 v[5:8], v185 offset:1824
	v_add_f64 v[137:138], v[137:138], v[161:162]
	v_add_f64 v[139:140], v[139:140], v[147:148]
	s_waitcnt vmcnt(45) lgkmcnt(1)
	v_mul_f64 v[147:148], v[133:134], v[159:160]
	v_mul_f64 v[155:156], v[135:136], v[159:160]
	s_waitcnt vmcnt(44)
	v_fma_f64 v[159:160], v[1:2], v[177:178], -v[175:176]
	v_add_f64 v[137:138], v[137:138], v[153:154]
	v_fma_f64 v[153:154], v[3:4], v[177:178], v[169:170]
	v_add_f64 v[139:140], v[139:140], v[141:142]
	ds_read_b128 v[1:4], v185 offset:1840
	s_waitcnt vmcnt(43) lgkmcnt(1)
	v_mul_f64 v[161:162], v[7:8], v[181:182]
	v_mul_f64 v[141:142], v[5:6], v[181:182]
	s_waitcnt vmcnt(41)
	v_fma_f64 v[155:156], v[133:134], v[163:164], -v[155:156]
	v_fma_f64 v[147:148], v[135:136], v[163:164], v[147:148]
	ds_read_b128 v[133:136], v185 offset:1856
	v_add_f64 v[137:138], v[137:138], v[159:160]
	v_add_f64 v[139:140], v[139:140], v[153:154]
	s_waitcnt vmcnt(37) lgkmcnt(1)
	v_mul_f64 v[159:160], v[3:4], v[165:166]
	s_waitcnt vmcnt(36)
	v_fma_f64 v[161:162], v[5:6], v[183:184], -v[161:162]
	v_mul_f64 v[153:154], v[1:2], v[165:166]
	v_fma_f64 v[141:142], v[7:8], v[183:184], v[141:142]
	ds_read_b128 v[5:8], v185 offset:1872
	v_add_f64 v[137:138], v[137:138], v[155:156]
	v_add_f64 v[139:140], v[139:140], v[147:148]
	s_waitcnt vmcnt(35) lgkmcnt(1)
	v_mul_f64 v[155:156], v[135:136], v[204:205]
	v_mul_f64 v[147:148], v[133:134], v[204:205]
	s_waitcnt vmcnt(33)
	v_fma_f64 v[159:160], v[1:2], v[171:172], -v[159:160]
	v_fma_f64 v[153:154], v[3:4], v[171:172], v[153:154]
	ds_read_b128 v[1:4], v185 offset:1888
	v_add_f64 v[137:138], v[137:138], v[161:162]
	v_add_f64 v[139:140], v[139:140], v[141:142]
	s_waitcnt vmcnt(29) lgkmcnt(1)
	v_mul_f64 v[161:162], v[7:8], v[173:174]
	s_waitcnt vmcnt(28)
	v_fma_f64 v[155:156], v[133:134], v[208:209], -v[155:156]
	v_mul_f64 v[141:142], v[5:6], v[173:174]
	v_fma_f64 v[147:148], v[135:136], v[208:209], v[147:148]
	ds_read_b128 v[133:136], v185 offset:1904
	v_add_f64 v[137:138], v[137:138], v[159:160]
	v_add_f64 v[139:140], v[139:140], v[153:154]
	;; [unrolled: 18-line block ×3, first 2 shown]
	s_waitcnt vmcnt(19) lgkmcnt(1)
	v_mul_f64 v[161:162], v[7:8], v[206:207]
	v_mul_f64 v[141:142], v[5:6], v[206:207]
	s_waitcnt vmcnt(17)
	v_fma_f64 v[155:156], v[133:134], v[143:144], -v[155:156]
	v_fma_f64 v[143:144], v[135:136], v[143:144], v[147:148]
	ds_read_b128 v[133:136], v185 offset:1952
	v_add_f64 v[137:138], v[137:138], v[159:160]
	v_add_f64 v[139:140], v[139:140], v[153:154]
	s_waitcnt vmcnt(13) lgkmcnt(1)
	v_mul_f64 v[147:148], v[1:2], v[149:150]
	v_mul_f64 v[149:150], v[3:4], v[149:150]
	s_waitcnt vmcnt(12)
	v_fma_f64 v[153:154], v[5:6], v[210:211], -v[161:162]
	v_fma_f64 v[141:142], v[7:8], v[210:211], v[141:142]
	ds_read_b128 v[5:8], v185 offset:1968
	v_add_f64 v[137:138], v[137:138], v[155:156]
	v_add_f64 v[139:140], v[139:140], v[143:144]
	s_waitcnt vmcnt(11) lgkmcnt(1)
	v_mul_f64 v[155:156], v[135:136], v[198:199]
	v_mul_f64 v[143:144], v[133:134], v[198:199]
	s_waitcnt vmcnt(9)
	v_fma_f64 v[1:2], v[1:2], v[145:146], -v[149:150]
	v_fma_f64 v[3:4], v[3:4], v[145:146], v[147:148]
	v_add_f64 v[137:138], v[137:138], v[153:154]
	v_add_f64 v[139:140], v[139:140], v[141:142]
	s_waitcnt vmcnt(7) lgkmcnt(0)
	v_mul_f64 v[145:146], v[7:8], v[186:187]
	s_waitcnt vmcnt(6)
	v_fma_f64 v[133:134], v[133:134], v[215:216], -v[155:156]
	v_mul_f64 v[141:142], v[5:6], v[186:187]
	v_fma_f64 v[135:136], v[135:136], v[215:216], v[143:144]
	v_add_f64 v[1:2], v[137:138], v[1:2]
	v_add_f64 v[3:4], v[139:140], v[3:4]
	s_waitcnt vmcnt(4)
	v_fma_f64 v[5:6], v[5:6], v[151:152], -v[145:146]
	v_fma_f64 v[7:8], v[7:8], v[151:152], v[141:142]
	v_add_f64 v[1:2], v[1:2], v[133:134]
	v_add_f64 v[3:4], v[3:4], v[135:136]
	v_add_f64 v[1:2], v[1:2], v[5:6]
	v_add_f64 v[3:4], v[3:4], v[7:8]
	s_waitcnt vmcnt(2)
	v_add_f64 v[1:2], v[157:158], -v[1:2]
	s_waitcnt vmcnt(0)
	v_add_f64 v[3:4], v[167:168], -v[3:4]
	buffer_store_dword v2, off, s[0:3], 0 offset:356
	buffer_store_dword v1, off, s[0:3], 0 offset:352
	;; [unrolled: 1-line block ×4, first 2 shown]
	v_cmpx_lt_u32_e32 20, v0
	s_cbranch_execz .LBB125_357
; %bb.356:
	v_mov_b32_e32 v4, s56
	v_mov_b32_e32 v5, 0
	s_clause 0x3
	buffer_load_dword v1, v4, s[0:3], 0 offen
	buffer_load_dword v2, v4, s[0:3], 0 offen offset:4
	buffer_load_dword v3, v4, s[0:3], 0 offen offset:8
	;; [unrolled: 1-line block ×3, first 2 shown]
	buffer_store_dword v5, off, s[0:3], 0 offset:336
	buffer_store_dword v5, off, s[0:3], 0 offset:340
	buffer_store_dword v5, off, s[0:3], 0 offset:344
	buffer_store_dword v5, off, s[0:3], 0 offset:348
	s_waitcnt vmcnt(0)
	ds_write_b128 v193, v[1:4]
.LBB125_357:
	s_or_b32 exec_lo, exec_lo, s4
	s_waitcnt lgkmcnt(0)
	s_waitcnt_vscnt null, 0x0
	s_barrier
	buffer_gl0_inv
	s_clause 0x37
	buffer_load_dword v133, off, s[0:3], 0 offset:360
	buffer_load_dword v134, off, s[0:3], 0 offset:364
	;; [unrolled: 1-line block ×56, first 2 shown]
	v_mov_b32_e32 v185, 0
	s_mov_b32 s4, exec_lo
	ds_read_b128 v[186:189], v185 offset:1328
	s_clause 0x2
	buffer_load_dword v182, off, s[0:3], 0 offset:588
	buffer_load_dword v184, off, s[0:3], 0 offset:564
	;; [unrolled: 1-line block ×3, first 2 shown]
	ds_read_b128 v[194:197], v185 offset:1344
	s_clause 0x4
	buffer_load_dword v203, off, s[0:3], 0 offset:604
	buffer_load_dword v204, off, s[0:3], 0 offset:616
	;; [unrolled: 1-line block ×5, first 2 shown]
	ds_read_b128 v[198:201], v185 offset:1360
	s_clause 0x2
	buffer_load_dword v205, off, s[0:3], 0 offset:620
	buffer_load_dword v210, off, s[0:3], 0 offset:596
	buffer_load_dword v209, off, s[0:3], 0 offset:592
	s_waitcnt vmcnt(62) lgkmcnt(2)
	v_mul_f64 v[190:191], v[188:189], v[133:134]
	v_mul_f64 v[133:134], v[186:187], v[133:134]
	s_waitcnt lgkmcnt(1)
	v_mul_f64 v[207:208], v[196:197], v[5:6]
	s_waitcnt vmcnt(59) lgkmcnt(0)
	v_mul_f64 v[211:212], v[200:201], v[3:4]
	v_fma_f64 v[186:187], v[186:187], v[7:8], -v[190:191]
	v_mul_f64 v[190:191], v[194:195], v[5:6]
	v_fma_f64 v[133:134], v[188:189], v[7:8], v[133:134]
	s_waitcnt vmcnt(57)
	v_fma_f64 v[194:195], v[194:195], v[1:2], -v[207:208]
	ds_read_b128 v[5:8], v185 offset:1376
	v_mul_f64 v[188:189], v[198:199], v[3:4]
	s_waitcnt vmcnt(51)
	v_fma_f64 v[198:199], v[198:199], v[149:150], -v[211:212]
	v_add_f64 v[186:187], v[186:187], 0
	v_fma_f64 v[190:191], v[196:197], v[1:2], v[190:191]
	v_add_f64 v[133:134], v[133:134], 0
	s_clause 0x4
	buffer_load_dword v197, off, s[0:3], 0 offset:636
	buffer_load_dword v213, off, s[0:3], 0 offset:648
	buffer_load_dword v215, off, s[0:3], 0 offset:640
	buffer_load_dword v196, off, s[0:3], 0 offset:632
	buffer_load_dword v207, off, s[0:3], 0 offset:612
	s_waitcnt lgkmcnt(0)
	v_mul_f64 v[216:217], v[5:6], v[137:138]
	v_mul_f64 v[137:138], v[7:8], v[137:138]
	ds_read_b128 v[1:4], v185 offset:1392
	v_fma_f64 v[149:150], v[200:201], v[149:150], v[188:189]
	v_add_f64 v[194:195], v[186:187], v[194:195]
	v_add_f64 v[133:134], v[133:134], v[190:191]
	s_clause 0x2
	buffer_load_dword v214, off, s[0:3], 0 offset:652
	buffer_load_dword v191, off, s[0:3], 0 offset:628
	;; [unrolled: 1-line block ×3, first 2 shown]
	s_waitcnt vmcnt(58) lgkmcnt(0)
	v_mul_f64 v[200:201], v[1:2], v[141:142]
	v_mul_f64 v[141:142], v[3:4], v[141:142]
	s_waitcnt vmcnt(56)
	v_fma_f64 v[137:138], v[5:6], v[143:144], -v[137:138]
	ds_read_b128 v[186:189], v185 offset:1408
	v_fma_f64 v[143:144], v[7:8], v[143:144], v[216:217]
	v_add_f64 v[194:195], v[194:195], v[198:199]
	v_add_f64 v[133:134], v[133:134], v[149:150]
	s_clause 0x4
	buffer_load_dword v150, off, s[0:3], 0 offset:668
	buffer_load_dword v198, off, s[0:3], 0 offset:680
	;; [unrolled: 1-line block ×5, first 2 shown]
	ds_read_b128 v[5:8], v185 offset:1424
	s_waitcnt vmcnt(57) lgkmcnt(1)
	v_mul_f64 v[217:218], v[186:187], v[145:146]
	v_mul_f64 v[145:146], v[188:189], v[145:146]
	s_waitcnt vmcnt(56)
	v_fma_f64 v[141:142], v[1:2], v[135:136], -v[141:142]
	v_fma_f64 v[135:136], v[3:4], v[135:136], v[200:201]
	v_add_f64 v[137:138], v[194:195], v[137:138]
	v_add_f64 v[133:134], v[133:134], v[143:144]
	s_clause 0x2
	buffer_load_dword v199, off, s[0:3], 0 offset:684
	buffer_load_dword v144, off, s[0:3], 0 offset:660
	;; [unrolled: 1-line block ×3, first 2 shown]
	s_waitcnt vmcnt(58) lgkmcnt(0)
	v_mul_f64 v[194:195], v[5:6], v[151:152]
	v_mul_f64 v[151:152], v[7:8], v[151:152]
	s_waitcnt vmcnt(56)
	v_fma_f64 v[145:146], v[186:187], v[153:154], -v[145:146]
	ds_read_b128 v[1:4], v185 offset:1440
	v_add_f64 v[137:138], v[137:138], v[141:142]
	v_fma_f64 v[141:142], v[188:189], v[153:154], v[217:218]
	v_add_f64 v[153:154], v[133:134], v[135:136]
	s_clause 0x4
	buffer_load_dword v187, off, s[0:3], 0 offset:700
	buffer_load_dword v188, off, s[0:3], 0 offset:712
	;; [unrolled: 1-line block ×5, first 2 shown]
	ds_read_b128 v[133:136], v185 offset:1456
	s_waitcnt vmcnt(57) lgkmcnt(1)
	v_mul_f64 v[217:218], v[1:2], v[155:156]
	v_mul_f64 v[155:156], v[3:4], v[155:156]
	s_waitcnt vmcnt(56)
	v_fma_f64 v[151:152], v[5:6], v[139:140], -v[151:152]
	v_fma_f64 v[139:140], v[7:8], v[139:140], v[194:195]
	v_add_f64 v[137:138], v[137:138], v[145:146]
	s_clause 0x2
	buffer_load_dword v189, off, s[0:3], 0 offset:716
	buffer_load_dword v146, off, s[0:3], 0 offset:692
	buffer_load_dword v145, off, s[0:3], 0 offset:688
	v_add_f64 v[141:142], v[153:154], v[141:142]
	s_waitcnt vmcnt(58) lgkmcnt(0)
	v_mul_f64 v[153:154], v[133:134], v[159:160]
	v_mul_f64 v[159:160], v[135:136], v[159:160]
	ds_read_b128 v[5:8], v185 offset:1472
	s_waitcnt vmcnt(56)
	v_fma_f64 v[155:156], v[1:2], v[161:162], -v[155:156]
	v_add_f64 v[137:138], v[137:138], v[151:152]
	v_fma_f64 v[151:152], v[3:4], v[161:162], v[217:218]
	v_add_f64 v[139:140], v[141:142], v[139:140]
	s_clause 0x4
	buffer_load_dword v142, off, s[0:3], 0 offset:732
	buffer_load_dword v161, off, s[0:3], 0 offset:744
	;; [unrolled: 1-line block ×5, first 2 shown]
	s_waitcnt vmcnt(57) lgkmcnt(0)
	v_mul_f64 v[217:218], v[5:6], v[163:164]
	v_mul_f64 v[163:164], v[7:8], v[163:164]
	s_waitcnt vmcnt(56)
	v_fma_f64 v[159:160], v[133:134], v[147:148], -v[159:160]
	ds_read_b128 v[1:4], v185 offset:1488
	v_fma_f64 v[147:148], v[135:136], v[147:148], v[153:154]
	v_add_f64 v[137:138], v[137:138], v[155:156]
	v_add_f64 v[139:140], v[139:140], v[151:152]
	s_clause 0x2
	buffer_load_dword v162, off, s[0:3], 0 offset:748
	buffer_load_dword v152, off, s[0:3], 0 offset:724
	;; [unrolled: 1-line block ×3, first 2 shown]
	ds_read_b128 v[133:136], v185 offset:1504
	s_waitcnt vmcnt(58) lgkmcnt(1)
	v_mul_f64 v[155:156], v[3:4], v[167:168]
	s_waitcnt vmcnt(56)
	v_fma_f64 v[163:164], v[5:6], v[169:170], -v[163:164]
	v_mul_f64 v[153:154], v[1:2], v[167:168]
	v_add_f64 v[137:138], v[137:138], v[159:160]
	v_fma_f64 v[159:160], v[7:8], v[169:170], v[217:218]
	v_add_f64 v[139:140], v[139:140], v[147:148]
	s_clause 0x4
	buffer_load_dword v148, off, s[0:3], 0 offset:764
	buffer_load_dword v167, off, s[0:3], 0 offset:776
	;; [unrolled: 1-line block ×5, first 2 shown]
	s_waitcnt vmcnt(57) lgkmcnt(0)
	v_mul_f64 v[217:218], v[133:134], v[171:172]
	v_mul_f64 v[170:171], v[135:136], v[171:172]
	s_waitcnt vmcnt(56)
	v_fma_f64 v[155:156], v[1:2], v[157:158], -v[155:156]
	ds_read_b128 v[5:8], v185 offset:1520
	v_fma_f64 v[153:154], v[3:4], v[157:158], v[153:154]
	s_clause 0x2
	buffer_load_dword v168, off, s[0:3], 0 offset:780
	buffer_load_dword v158, off, s[0:3], 0 offset:756
	buffer_load_dword v157, off, s[0:3], 0 offset:752
	ds_read_b128 v[1:4], v185 offset:1536
	v_add_f64 v[137:138], v[137:138], v[163:164]
	v_add_f64 v[139:140], v[139:140], v[159:160]
	s_waitcnt vmcnt(58) lgkmcnt(1)
	v_mul_f64 v[163:164], v[7:8], v[175:176]
	s_waitcnt vmcnt(56)
	v_fma_f64 v[171:172], v[133:134], v[177:178], -v[170:171]
	v_mul_f64 v[159:160], v[5:6], v[175:176]
	v_add_f64 v[137:138], v[137:138], v[155:156]
	v_fma_f64 v[155:156], v[135:136], v[177:178], v[217:218]
	v_add_f64 v[139:140], v[139:140], v[153:154]
	s_clause 0x4
	buffer_load_dword v154, off, s[0:3], 0 offset:796
	buffer_load_dword v175, off, s[0:3], 0 offset:808
	;; [unrolled: 1-line block ×5, first 2 shown]
	s_waitcnt vmcnt(57) lgkmcnt(0)
	v_mul_f64 v[217:218], v[1:2], v[179:180]
	v_mul_f64 v[178:179], v[3:4], v[179:180]
	s_waitcnt vmcnt(56)
	v_fma_f64 v[163:164], v[5:6], v[165:166], -v[163:164]
	ds_read_b128 v[133:136], v185 offset:1552
	v_fma_f64 v[159:160], v[7:8], v[165:166], v[159:160]
	v_add_f64 v[137:138], v[137:138], v[171:172]
	v_add_f64 v[139:140], v[139:140], v[155:156]
	s_clause 0x2
	buffer_load_dword v176, off, s[0:3], 0 offset:812
	buffer_load_dword v156, off, s[0:3], 0 offset:788
	buffer_load_dword v155, off, s[0:3], 0 offset:784
	ds_read_b128 v[5:8], v185 offset:1568
	s_waitcnt vmcnt(58) lgkmcnt(1)
	v_mul_f64 v[171:172], v[135:136], v[181:182]
	s_waitcnt vmcnt(56)
	v_fma_f64 v[179:180], v[1:2], v[183:184], -v[178:179]
	v_mul_f64 v[165:166], v[133:134], v[181:182]
	v_add_f64 v[137:138], v[137:138], v[163:164]
	v_fma_f64 v[163:164], v[3:4], v[183:184], v[217:218]
	v_add_f64 v[139:140], v[139:140], v[159:160]
	s_clause 0x4
	buffer_load_dword v160, off, s[0:3], 0 offset:828
	buffer_load_dword v181, off, s[0:3], 0 offset:840
	;; [unrolled: 1-line block ×5, first 2 shown]
	s_waitcnt vmcnt(57) lgkmcnt(0)
	v_mul_f64 v[217:218], v[5:6], v[202:203]
	v_mul_f64 v[202:203], v[7:8], v[202:203]
	s_waitcnt vmcnt(56)
	v_fma_f64 v[171:172], v[133:134], v[173:174], -v[171:172]
	ds_read_b128 v[1:4], v185 offset:1584
	v_fma_f64 v[165:166], v[135:136], v[173:174], v[165:166]
	v_add_f64 v[137:138], v[137:138], v[179:180]
	v_add_f64 v[139:140], v[139:140], v[163:164]
	s_clause 0x2
	buffer_load_dword v182, off, s[0:3], 0 offset:844
	buffer_load_dword v164, off, s[0:3], 0 offset:820
	;; [unrolled: 1-line block ×3, first 2 shown]
	ds_read_b128 v[133:136], v185 offset:1600
	s_waitcnt vmcnt(58) lgkmcnt(1)
	v_mul_f64 v[179:180], v[3:4], v[204:205]
	s_waitcnt vmcnt(56)
	v_fma_f64 v[202:203], v[5:6], v[209:210], -v[202:203]
	v_mul_f64 v[173:174], v[1:2], v[204:205]
	v_add_f64 v[137:138], v[137:138], v[171:172]
	v_fma_f64 v[171:172], v[7:8], v[209:210], v[217:218]
	v_add_f64 v[139:140], v[139:140], v[165:166]
	s_clause 0x4
	buffer_load_dword v166, off, s[0:3], 0 offset:860
	buffer_load_dword v204, off, s[0:3], 0 offset:872
	;; [unrolled: 1-line block ×5, first 2 shown]
	ds_read_b128 v[5:8], v185 offset:1616
	s_waitcnt vmcnt(57) lgkmcnt(1)
	v_mul_f64 v[209:210], v[133:134], v[196:197]
	v_mul_f64 v[196:197], v[135:136], v[196:197]
	s_waitcnt vmcnt(56)
	v_fma_f64 v[179:180], v[1:2], v[206:207], -v[179:180]
	v_fma_f64 v[173:174], v[3:4], v[206:207], v[173:174]
	v_add_f64 v[137:138], v[137:138], v[202:203]
	v_add_f64 v[139:140], v[139:140], v[171:172]
	s_clause 0x2
	buffer_load_dword v205, off, s[0:3], 0 offset:876
	buffer_load_dword v172, off, s[0:3], 0 offset:852
	;; [unrolled: 1-line block ×3, first 2 shown]
	ds_read_b128 v[1:4], v185 offset:1632
	s_waitcnt vmcnt(58) lgkmcnt(1)
	v_mul_f64 v[206:207], v[7:8], v[213:214]
	v_mul_f64 v[202:203], v[5:6], v[213:214]
	s_waitcnt vmcnt(56)
	v_fma_f64 v[196:197], v[133:134], v[190:191], -v[196:197]
	v_add_f64 v[137:138], v[137:138], v[179:180]
	v_fma_f64 v[179:180], v[135:136], v[190:191], v[209:210]
	v_add_f64 v[139:140], v[139:140], v[173:174]
	s_clause 0x4
	buffer_load_dword v174, off, s[0:3], 0 offset:892
	buffer_load_dword v190, off, s[0:3], 0 offset:904
	buffer_load_dword v213, off, s[0:3], 0 offset:896
	buffer_load_dword v173, off, s[0:3], 0 offset:888
	buffer_load_dword v209, off, s[0:3], 0 offset:868
	ds_read_b128 v[133:136], v185 offset:1648
	s_waitcnt vmcnt(57) lgkmcnt(1)
	v_mul_f64 v[217:218], v[1:2], v[149:150]
	v_mul_f64 v[149:150], v[3:4], v[149:150]
	s_waitcnt vmcnt(56)
	v_fma_f64 v[206:207], v[5:6], v[215:216], -v[206:207]
	v_add_f64 v[137:138], v[137:138], v[196:197]
	v_fma_f64 v[196:197], v[7:8], v[215:216], v[202:203]
	v_add_f64 v[139:140], v[139:140], v[179:180]
	s_clause 0x2
	buffer_load_dword v191, off, s[0:3], 0 offset:908
	buffer_load_dword v180, off, s[0:3], 0 offset:884
	buffer_load_dword v179, off, s[0:3], 0 offset:880
	ds_read_b128 v[5:8], v185 offset:1664
	s_waitcnt vmcnt(58) lgkmcnt(1)
	v_mul_f64 v[202:203], v[133:134], v[198:199]
	v_mul_f64 v[198:199], v[135:136], v[198:199]
	s_waitcnt vmcnt(56)
	v_fma_f64 v[149:150], v[1:2], v[143:144], -v[149:150]
	v_fma_f64 v[143:144], v[3:4], v[143:144], v[217:218]
	v_add_f64 v[137:138], v[137:138], v[206:207]
	v_add_f64 v[139:140], v[139:140], v[196:197]
	s_clause 0x4
	buffer_load_dword v197, off, s[0:3], 0 offset:924
	buffer_load_dword v206, off, s[0:3], 0 offset:936
	buffer_load_dword v210, off, s[0:3], 0 offset:928
	buffer_load_dword v196, off, s[0:3], 0 offset:920
	buffer_load_dword v214, off, s[0:3], 0 offset:900
	ds_read_b128 v[1:4], v185 offset:1680
	s_waitcnt vmcnt(57) lgkmcnt(1)
	v_mul_f64 v[215:216], v[5:6], v[186:187]
	v_mul_f64 v[186:187], v[7:8], v[186:187]
	s_waitcnt vmcnt(56)
	v_fma_f64 v[198:199], v[133:134], v[211:212], -v[198:199]
	v_add_f64 v[137:138], v[137:138], v[149:150]
	v_fma_f64 v[149:150], v[135:136], v[211:212], v[202:203]
	v_add_f64 v[139:140], v[139:140], v[143:144]
	s_clause 0x2
	buffer_load_dword v207, off, s[0:3], 0 offset:940
	buffer_load_dword v144, off, s[0:3], 0 offset:916
	buffer_load_dword v143, off, s[0:3], 0 offset:912
	ds_read_b128 v[133:136], v185 offset:1696
	s_waitcnt vmcnt(58) lgkmcnt(1)
	v_mul_f64 v[202:203], v[1:2], v[188:189]
	v_mul_f64 v[188:189], v[3:4], v[188:189]
	s_waitcnt vmcnt(56)
	v_fma_f64 v[186:187], v[5:6], v[145:146], -v[186:187]
	v_fma_f64 v[145:146], v[7:8], v[145:146], v[215:216]
	v_add_f64 v[137:138], v[137:138], v[198:199]
	;; [unrolled: 28-line block ×3, first 2 shown]
	v_add_f64 v[139:140], v[139:140], v[186:187]
	s_clause 0x4
	buffer_load_dword v187, off, s[0:3], 0 offset:988
	buffer_load_dword v188, off, s[0:3], 0 offset:1000
	buffer_load_dword v202, off, s[0:3], 0 offset:992
	buffer_load_dword v186, off, s[0:3], 0 offset:984
	buffer_load_dword v216, off, s[0:3], 0 offset:964
	ds_read_b128 v[133:136], v185 offset:1744
	s_waitcnt vmcnt(57) lgkmcnt(1)
	v_mul_f64 v[217:218], v[1:2], v[147:148]
	v_mul_f64 v[147:148], v[3:4], v[147:148]
	s_waitcnt vmcnt(56)
	v_fma_f64 v[161:162], v[5:6], v[194:195], -v[161:162]
	v_add_f64 v[137:138], v[137:138], v[141:142]
	v_fma_f64 v[141:142], v[7:8], v[194:195], v[200:201]
	v_add_f64 v[139:140], v[139:140], v[151:152]
	s_clause 0x2
	buffer_load_dword v189, off, s[0:3], 0 offset:1004
	buffer_load_dword v152, off, s[0:3], 0 offset:980
	;; [unrolled: 1-line block ×3, first 2 shown]
	s_waitcnt vmcnt(58) lgkmcnt(0)
	v_mul_f64 v[194:195], v[133:134], v[167:168]
	v_mul_f64 v[167:168], v[135:136], v[167:168]
	ds_read_b128 v[5:8], v185 offset:1760
	buffer_load_dword v203, off, s[0:3], 0 offset:996
	s_waitcnt vmcnt(57)
	v_fma_f64 v[147:148], v[1:2], v[157:158], -v[147:148]
	v_fma_f64 v[157:158], v[3:4], v[157:158], v[217:218]
	ds_read_b128 v[1:4], v185 offset:1776
	v_add_f64 v[137:138], v[137:138], v[161:162]
	v_add_f64 v[139:140], v[139:140], v[141:142]
	s_waitcnt vmcnt(53) lgkmcnt(1)
	v_mul_f64 v[141:142], v[5:6], v[153:154]
	v_mul_f64 v[153:154], v[7:8], v[153:154]
	s_waitcnt vmcnt(52)
	v_fma_f64 v[161:162], v[133:134], v[169:170], -v[167:168]
	v_add_f64 v[137:138], v[137:138], v[147:148]
	v_fma_f64 v[147:148], v[135:136], v[169:170], v[194:195]
	v_add_f64 v[139:140], v[139:140], v[157:158]
	ds_read_b128 v[133:136], v185 offset:1792
	s_waitcnt vmcnt(51) lgkmcnt(1)
	v_mul_f64 v[167:168], v[3:4], v[175:176]
	v_mul_f64 v[157:158], v[1:2], v[175:176]
	s_waitcnt vmcnt(49)
	v_fma_f64 v[153:154], v[5:6], v[155:156], -v[153:154]
	v_fma_f64 v[141:142], v[7:8], v[155:156], v[141:142]
	v_add_f64 v[137:138], v[137:138], v[161:162]
	v_add_f64 v[139:140], v[139:140], v[147:148]
	s_clause 0x3
	buffer_load_dword v147, off, s[0:3], 0 offset:336
	buffer_load_dword v148, off, s[0:3], 0 offset:340
	;; [unrolled: 1-line block ×4, first 2 shown]
	ds_read_b128 v[5:8], v185 offset:1808
	s_waitcnt vmcnt(49) lgkmcnt(1)
	v_mul_f64 v[161:162], v[133:134], v[159:160]
	v_mul_f64 v[159:160], v[135:136], v[159:160]
	s_waitcnt vmcnt(48)
	v_fma_f64 v[167:168], v[1:2], v[177:178], -v[167:168]
	v_add_f64 v[137:138], v[137:138], v[153:154]
	v_fma_f64 v[153:154], v[3:4], v[177:178], v[157:158]
	v_add_f64 v[139:140], v[139:140], v[141:142]
	ds_read_b128 v[1:4], v185 offset:1824
	s_waitcnt vmcnt(47) lgkmcnt(1)
	v_mul_f64 v[157:158], v[7:8], v[181:182]
	v_mul_f64 v[141:142], v[5:6], v[181:182]
	s_waitcnt vmcnt(45)
	v_fma_f64 v[159:160], v[133:134], v[163:164], -v[159:160]
	v_fma_f64 v[161:162], v[135:136], v[163:164], v[161:162]
	ds_read_b128 v[133:136], v185 offset:1840
	v_add_f64 v[137:138], v[137:138], v[167:168]
	v_add_f64 v[139:140], v[139:140], v[153:154]
	s_waitcnt vmcnt(41) lgkmcnt(1)
	v_mul_f64 v[163:164], v[3:4], v[165:166]
	s_waitcnt vmcnt(40)
	v_fma_f64 v[157:158], v[5:6], v[183:184], -v[157:158]
	v_mul_f64 v[153:154], v[1:2], v[165:166]
	v_fma_f64 v[141:142], v[7:8], v[183:184], v[141:142]
	ds_read_b128 v[5:8], v185 offset:1856
	v_add_f64 v[137:138], v[137:138], v[159:160]
	v_add_f64 v[139:140], v[139:140], v[161:162]
	s_waitcnt vmcnt(39) lgkmcnt(1)
	v_mul_f64 v[161:162], v[135:136], v[204:205]
	v_mul_f64 v[159:160], v[133:134], v[204:205]
	s_waitcnt vmcnt(37)
	v_fma_f64 v[163:164], v[1:2], v[171:172], -v[163:164]
	v_fma_f64 v[153:154], v[3:4], v[171:172], v[153:154]
	ds_read_b128 v[1:4], v185 offset:1872
	v_add_f64 v[137:138], v[137:138], v[157:158]
	v_add_f64 v[139:140], v[139:140], v[141:142]
	s_waitcnt vmcnt(33) lgkmcnt(1)
	v_mul_f64 v[157:158], v[7:8], v[173:174]
	s_waitcnt vmcnt(32)
	v_fma_f64 v[161:162], v[133:134], v[208:209], -v[161:162]
	v_mul_f64 v[141:142], v[5:6], v[173:174]
	v_fma_f64 v[159:160], v[135:136], v[208:209], v[159:160]
	ds_read_b128 v[133:136], v185 offset:1888
	v_add_f64 v[137:138], v[137:138], v[163:164]
	v_add_f64 v[139:140], v[139:140], v[153:154]
	;; [unrolled: 18-line block ×3, first 2 shown]
	s_waitcnt vmcnt(23) lgkmcnt(1)
	v_mul_f64 v[157:158], v[7:8], v[206:207]
	v_mul_f64 v[141:142], v[5:6], v[206:207]
	s_waitcnt vmcnt(21)
	v_fma_f64 v[161:162], v[133:134], v[143:144], -v[161:162]
	v_fma_f64 v[143:144], v[135:136], v[143:144], v[159:160]
	ds_read_b128 v[133:136], v185 offset:1936
	v_add_f64 v[137:138], v[137:138], v[163:164]
	v_add_f64 v[139:140], v[139:140], v[153:154]
	s_waitcnt vmcnt(17) lgkmcnt(1)
	v_mul_f64 v[153:154], v[1:2], v[149:150]
	v_mul_f64 v[149:150], v[3:4], v[149:150]
	s_waitcnt vmcnt(16)
	v_fma_f64 v[157:158], v[5:6], v[210:211], -v[157:158]
	v_fma_f64 v[141:142], v[7:8], v[210:211], v[141:142]
	ds_read_b128 v[5:8], v185 offset:1952
	v_add_f64 v[137:138], v[137:138], v[161:162]
	v_add_f64 v[139:140], v[139:140], v[143:144]
	;; [unrolled: 9-line block ×3, first 2 shown]
	s_waitcnt vmcnt(9) lgkmcnt(1)
	v_mul_f64 v[153:154], v[7:8], v[186:187]
	s_waitcnt vmcnt(8)
	v_fma_f64 v[133:134], v[133:134], v[215:216], -v[159:160]
	v_mul_f64 v[141:142], v[5:6], v[186:187]
	v_fma_f64 v[135:136], v[135:136], v[215:216], v[143:144]
	v_add_f64 v[137:138], v[137:138], v[149:150]
	v_add_f64 v[139:140], v[139:140], v[145:146]
	s_waitcnt vmcnt(7) lgkmcnt(0)
	v_mul_f64 v[145:146], v[3:4], v[188:189]
	v_mul_f64 v[143:144], v[1:2], v[188:189]
	s_waitcnt vmcnt(5)
	v_fma_f64 v[5:6], v[5:6], v[151:152], -v[153:154]
	v_fma_f64 v[7:8], v[7:8], v[151:152], v[141:142]
	v_add_f64 v[133:134], v[137:138], v[133:134]
	v_add_f64 v[135:136], v[139:140], v[135:136]
	s_waitcnt vmcnt(4)
	v_fma_f64 v[1:2], v[1:2], v[202:203], -v[145:146]
	v_fma_f64 v[3:4], v[3:4], v[202:203], v[143:144]
	v_add_f64 v[5:6], v[133:134], v[5:6]
	v_add_f64 v[7:8], v[135:136], v[7:8]
	;; [unrolled: 1-line block ×4, first 2 shown]
	s_waitcnt vmcnt(2)
	v_add_f64 v[1:2], v[147:148], -v[1:2]
	s_waitcnt vmcnt(0)
	v_add_f64 v[3:4], v[155:156], -v[3:4]
	buffer_store_dword v2, off, s[0:3], 0 offset:340
	buffer_store_dword v1, off, s[0:3], 0 offset:336
	;; [unrolled: 1-line block ×4, first 2 shown]
	v_cmpx_lt_u32_e32 19, v0
	s_cbranch_execz .LBB125_359
; %bb.358:
	v_mov_b32_e32 v4, s57
	s_clause 0x3
	buffer_load_dword v1, v4, s[0:3], 0 offen
	buffer_load_dword v2, v4, s[0:3], 0 offen offset:4
	buffer_load_dword v3, v4, s[0:3], 0 offen offset:8
	;; [unrolled: 1-line block ×3, first 2 shown]
	buffer_store_dword v185, off, s[0:3], 0 offset:320
	buffer_store_dword v185, off, s[0:3], 0 offset:324
	;; [unrolled: 1-line block ×4, first 2 shown]
	s_waitcnt vmcnt(0)
	ds_write_b128 v193, v[1:4]
.LBB125_359:
	s_or_b32 exec_lo, exec_lo, s4
	s_waitcnt lgkmcnt(0)
	s_waitcnt_vscnt null, 0x0
	s_barrier
	buffer_gl0_inv
	s_clause 0x37
	buffer_load_dword v133, off, s[0:3], 0 offset:344
	buffer_load_dword v134, off, s[0:3], 0 offset:348
	;; [unrolled: 1-line block ×56, first 2 shown]
	ds_read_b128 v[186:189], v185 offset:1312
	s_clause 0x2
	buffer_load_dword v182, off, s[0:3], 0 offset:572
	buffer_load_dword v184, off, s[0:3], 0 offset:548
	;; [unrolled: 1-line block ×3, first 2 shown]
	ds_read_b128 v[194:197], v185 offset:1328
	s_clause 0x4
	buffer_load_dword v203, off, s[0:3], 0 offset:588
	buffer_load_dword v204, off, s[0:3], 0 offset:600
	buffer_load_dword v206, off, s[0:3], 0 offset:592
	buffer_load_dword v202, off, s[0:3], 0 offset:584
	buffer_load_dword v174, off, s[0:3], 0 offset:564
	ds_read_b128 v[198:201], v185 offset:1344
	s_clause 0x2
	buffer_load_dword v205, off, s[0:3], 0 offset:604
	buffer_load_dword v210, off, s[0:3], 0 offset:580
	;; [unrolled: 1-line block ×3, first 2 shown]
	s_mov_b32 s4, exec_lo
	s_waitcnt vmcnt(62) lgkmcnt(2)
	v_mul_f64 v[190:191], v[188:189], v[133:134]
	v_mul_f64 v[133:134], v[186:187], v[133:134]
	s_waitcnt lgkmcnt(1)
	v_mul_f64 v[207:208], v[196:197], v[5:6]
	s_waitcnt vmcnt(59) lgkmcnt(0)
	v_mul_f64 v[211:212], v[200:201], v[3:4]
	v_fma_f64 v[186:187], v[186:187], v[7:8], -v[190:191]
	v_mul_f64 v[190:191], v[194:195], v[5:6]
	v_fma_f64 v[133:134], v[188:189], v[7:8], v[133:134]
	s_waitcnt vmcnt(57)
	v_fma_f64 v[194:195], v[194:195], v[1:2], -v[207:208]
	ds_read_b128 v[5:8], v185 offset:1360
	v_mul_f64 v[188:189], v[198:199], v[3:4]
	s_waitcnt vmcnt(51)
	v_fma_f64 v[198:199], v[198:199], v[149:150], -v[211:212]
	v_add_f64 v[186:187], v[186:187], 0
	v_fma_f64 v[190:191], v[196:197], v[1:2], v[190:191]
	v_add_f64 v[133:134], v[133:134], 0
	s_clause 0x4
	buffer_load_dword v197, off, s[0:3], 0 offset:620
	buffer_load_dword v213, off, s[0:3], 0 offset:632
	;; [unrolled: 1-line block ×5, first 2 shown]
	s_waitcnt lgkmcnt(0)
	v_mul_f64 v[216:217], v[5:6], v[137:138]
	v_mul_f64 v[137:138], v[7:8], v[137:138]
	ds_read_b128 v[1:4], v185 offset:1376
	v_fma_f64 v[149:150], v[200:201], v[149:150], v[188:189]
	v_add_f64 v[194:195], v[186:187], v[194:195]
	v_add_f64 v[133:134], v[133:134], v[190:191]
	s_clause 0x2
	buffer_load_dword v214, off, s[0:3], 0 offset:636
	buffer_load_dword v191, off, s[0:3], 0 offset:612
	;; [unrolled: 1-line block ×3, first 2 shown]
	s_waitcnt vmcnt(58) lgkmcnt(0)
	v_mul_f64 v[200:201], v[1:2], v[141:142]
	v_mul_f64 v[141:142], v[3:4], v[141:142]
	s_waitcnt vmcnt(56)
	v_fma_f64 v[137:138], v[5:6], v[143:144], -v[137:138]
	ds_read_b128 v[186:189], v185 offset:1392
	v_fma_f64 v[143:144], v[7:8], v[143:144], v[216:217]
	v_add_f64 v[194:195], v[194:195], v[198:199]
	v_add_f64 v[133:134], v[133:134], v[149:150]
	s_clause 0x4
	buffer_load_dword v150, off, s[0:3], 0 offset:652
	buffer_load_dword v198, off, s[0:3], 0 offset:664
	buffer_load_dword v211, off, s[0:3], 0 offset:656
	buffer_load_dword v149, off, s[0:3], 0 offset:648
	buffer_load_dword v216, off, s[0:3], 0 offset:628
	ds_read_b128 v[5:8], v185 offset:1408
	s_waitcnt vmcnt(57) lgkmcnt(1)
	v_mul_f64 v[217:218], v[186:187], v[145:146]
	v_mul_f64 v[145:146], v[188:189], v[145:146]
	s_waitcnt vmcnt(56)
	v_fma_f64 v[141:142], v[1:2], v[135:136], -v[141:142]
	v_fma_f64 v[135:136], v[3:4], v[135:136], v[200:201]
	v_add_f64 v[137:138], v[194:195], v[137:138]
	v_add_f64 v[133:134], v[133:134], v[143:144]
	s_clause 0x2
	buffer_load_dword v199, off, s[0:3], 0 offset:668
	buffer_load_dword v144, off, s[0:3], 0 offset:644
	;; [unrolled: 1-line block ×3, first 2 shown]
	s_waitcnt vmcnt(58) lgkmcnt(0)
	v_mul_f64 v[194:195], v[5:6], v[151:152]
	v_mul_f64 v[151:152], v[7:8], v[151:152]
	s_waitcnt vmcnt(56)
	v_fma_f64 v[145:146], v[186:187], v[153:154], -v[145:146]
	ds_read_b128 v[1:4], v185 offset:1424
	v_add_f64 v[137:138], v[137:138], v[141:142]
	v_fma_f64 v[141:142], v[188:189], v[153:154], v[217:218]
	v_add_f64 v[153:154], v[133:134], v[135:136]
	s_clause 0x4
	buffer_load_dword v187, off, s[0:3], 0 offset:684
	buffer_load_dword v188, off, s[0:3], 0 offset:696
	;; [unrolled: 1-line block ×5, first 2 shown]
	ds_read_b128 v[133:136], v185 offset:1440
	s_waitcnt vmcnt(57) lgkmcnt(1)
	v_mul_f64 v[217:218], v[1:2], v[155:156]
	v_mul_f64 v[155:156], v[3:4], v[155:156]
	s_waitcnt vmcnt(56)
	v_fma_f64 v[151:152], v[5:6], v[139:140], -v[151:152]
	v_fma_f64 v[139:140], v[7:8], v[139:140], v[194:195]
	v_add_f64 v[137:138], v[137:138], v[145:146]
	s_clause 0x2
	buffer_load_dword v189, off, s[0:3], 0 offset:700
	buffer_load_dword v146, off, s[0:3], 0 offset:676
	;; [unrolled: 1-line block ×3, first 2 shown]
	v_add_f64 v[141:142], v[153:154], v[141:142]
	s_waitcnt vmcnt(58) lgkmcnt(0)
	v_mul_f64 v[153:154], v[133:134], v[159:160]
	v_mul_f64 v[159:160], v[135:136], v[159:160]
	ds_read_b128 v[5:8], v185 offset:1456
	s_waitcnt vmcnt(56)
	v_fma_f64 v[155:156], v[1:2], v[161:162], -v[155:156]
	v_add_f64 v[137:138], v[137:138], v[151:152]
	v_fma_f64 v[151:152], v[3:4], v[161:162], v[217:218]
	v_add_f64 v[139:140], v[141:142], v[139:140]
	s_clause 0x4
	buffer_load_dword v142, off, s[0:3], 0 offset:716
	buffer_load_dword v161, off, s[0:3], 0 offset:728
	;; [unrolled: 1-line block ×5, first 2 shown]
	s_waitcnt vmcnt(57) lgkmcnt(0)
	v_mul_f64 v[217:218], v[5:6], v[163:164]
	v_mul_f64 v[163:164], v[7:8], v[163:164]
	s_waitcnt vmcnt(56)
	v_fma_f64 v[159:160], v[133:134], v[147:148], -v[159:160]
	ds_read_b128 v[1:4], v185 offset:1472
	v_fma_f64 v[147:148], v[135:136], v[147:148], v[153:154]
	v_add_f64 v[137:138], v[137:138], v[155:156]
	v_add_f64 v[139:140], v[139:140], v[151:152]
	s_clause 0x2
	buffer_load_dword v162, off, s[0:3], 0 offset:732
	buffer_load_dword v152, off, s[0:3], 0 offset:708
	;; [unrolled: 1-line block ×3, first 2 shown]
	ds_read_b128 v[133:136], v185 offset:1488
	s_waitcnt vmcnt(58) lgkmcnt(1)
	v_mul_f64 v[155:156], v[3:4], v[167:168]
	s_waitcnt vmcnt(56)
	v_fma_f64 v[163:164], v[5:6], v[169:170], -v[163:164]
	v_mul_f64 v[153:154], v[1:2], v[167:168]
	v_add_f64 v[137:138], v[137:138], v[159:160]
	v_fma_f64 v[159:160], v[7:8], v[169:170], v[217:218]
	v_add_f64 v[139:140], v[139:140], v[147:148]
	s_clause 0x4
	buffer_load_dword v148, off, s[0:3], 0 offset:748
	buffer_load_dword v167, off, s[0:3], 0 offset:760
	buffer_load_dword v169, off, s[0:3], 0 offset:752
	buffer_load_dword v147, off, s[0:3], 0 offset:744
	buffer_load_dword v195, off, s[0:3], 0 offset:724
	s_waitcnt vmcnt(57) lgkmcnt(0)
	v_mul_f64 v[217:218], v[133:134], v[171:172]
	v_mul_f64 v[170:171], v[135:136], v[171:172]
	s_waitcnt vmcnt(56)
	v_fma_f64 v[155:156], v[1:2], v[157:158], -v[155:156]
	ds_read_b128 v[5:8], v185 offset:1504
	v_fma_f64 v[153:154], v[3:4], v[157:158], v[153:154]
	s_clause 0x2
	buffer_load_dword v168, off, s[0:3], 0 offset:764
	buffer_load_dword v158, off, s[0:3], 0 offset:740
	;; [unrolled: 1-line block ×3, first 2 shown]
	ds_read_b128 v[1:4], v185 offset:1520
	v_add_f64 v[137:138], v[137:138], v[163:164]
	v_add_f64 v[139:140], v[139:140], v[159:160]
	s_waitcnt vmcnt(58) lgkmcnt(1)
	v_mul_f64 v[163:164], v[7:8], v[175:176]
	s_waitcnt vmcnt(56)
	v_fma_f64 v[171:172], v[133:134], v[177:178], -v[170:171]
	v_mul_f64 v[159:160], v[5:6], v[175:176]
	v_add_f64 v[137:138], v[137:138], v[155:156]
	v_fma_f64 v[155:156], v[135:136], v[177:178], v[217:218]
	v_add_f64 v[139:140], v[139:140], v[153:154]
	s_clause 0x4
	buffer_load_dword v154, off, s[0:3], 0 offset:780
	buffer_load_dword v175, off, s[0:3], 0 offset:792
	;; [unrolled: 1-line block ×5, first 2 shown]
	s_waitcnt vmcnt(57) lgkmcnt(0)
	v_mul_f64 v[217:218], v[1:2], v[179:180]
	v_mul_f64 v[178:179], v[3:4], v[179:180]
	s_waitcnt vmcnt(56)
	v_fma_f64 v[163:164], v[5:6], v[165:166], -v[163:164]
	ds_read_b128 v[133:136], v185 offset:1536
	v_fma_f64 v[159:160], v[7:8], v[165:166], v[159:160]
	v_add_f64 v[137:138], v[137:138], v[171:172]
	v_add_f64 v[139:140], v[139:140], v[155:156]
	s_clause 0x2
	buffer_load_dword v176, off, s[0:3], 0 offset:796
	buffer_load_dword v156, off, s[0:3], 0 offset:772
	;; [unrolled: 1-line block ×3, first 2 shown]
	ds_read_b128 v[5:8], v185 offset:1552
	s_waitcnt vmcnt(58) lgkmcnt(1)
	v_mul_f64 v[171:172], v[135:136], v[181:182]
	s_waitcnt vmcnt(56)
	v_fma_f64 v[179:180], v[1:2], v[183:184], -v[178:179]
	v_mul_f64 v[165:166], v[133:134], v[181:182]
	v_add_f64 v[137:138], v[137:138], v[163:164]
	v_fma_f64 v[163:164], v[3:4], v[183:184], v[217:218]
	v_add_f64 v[139:140], v[139:140], v[159:160]
	s_clause 0x4
	buffer_load_dword v160, off, s[0:3], 0 offset:812
	buffer_load_dword v181, off, s[0:3], 0 offset:824
	;; [unrolled: 1-line block ×5, first 2 shown]
	s_waitcnt vmcnt(57) lgkmcnt(0)
	v_mul_f64 v[217:218], v[5:6], v[202:203]
	v_mul_f64 v[202:203], v[7:8], v[202:203]
	s_waitcnt vmcnt(56)
	v_fma_f64 v[171:172], v[133:134], v[173:174], -v[171:172]
	ds_read_b128 v[1:4], v185 offset:1568
	v_fma_f64 v[165:166], v[135:136], v[173:174], v[165:166]
	v_add_f64 v[137:138], v[137:138], v[179:180]
	v_add_f64 v[139:140], v[139:140], v[163:164]
	s_clause 0x2
	buffer_load_dword v182, off, s[0:3], 0 offset:828
	buffer_load_dword v164, off, s[0:3], 0 offset:804
	buffer_load_dword v163, off, s[0:3], 0 offset:800
	ds_read_b128 v[133:136], v185 offset:1584
	s_waitcnt vmcnt(58) lgkmcnt(1)
	v_mul_f64 v[179:180], v[3:4], v[204:205]
	s_waitcnt vmcnt(56)
	v_fma_f64 v[202:203], v[5:6], v[209:210], -v[202:203]
	v_mul_f64 v[173:174], v[1:2], v[204:205]
	v_add_f64 v[137:138], v[137:138], v[171:172]
	v_fma_f64 v[171:172], v[7:8], v[209:210], v[217:218]
	v_add_f64 v[139:140], v[139:140], v[165:166]
	s_clause 0x4
	buffer_load_dword v166, off, s[0:3], 0 offset:844
	buffer_load_dword v204, off, s[0:3], 0 offset:856
	;; [unrolled: 1-line block ×5, first 2 shown]
	ds_read_b128 v[5:8], v185 offset:1600
	s_waitcnt vmcnt(57) lgkmcnt(1)
	v_mul_f64 v[209:210], v[133:134], v[196:197]
	v_mul_f64 v[196:197], v[135:136], v[196:197]
	s_waitcnt vmcnt(56)
	v_fma_f64 v[179:180], v[1:2], v[206:207], -v[179:180]
	v_fma_f64 v[173:174], v[3:4], v[206:207], v[173:174]
	v_add_f64 v[137:138], v[137:138], v[202:203]
	v_add_f64 v[139:140], v[139:140], v[171:172]
	s_clause 0x2
	buffer_load_dword v205, off, s[0:3], 0 offset:860
	buffer_load_dword v172, off, s[0:3], 0 offset:836
	;; [unrolled: 1-line block ×3, first 2 shown]
	ds_read_b128 v[1:4], v185 offset:1616
	s_waitcnt vmcnt(58) lgkmcnt(1)
	v_mul_f64 v[206:207], v[7:8], v[213:214]
	v_mul_f64 v[202:203], v[5:6], v[213:214]
	s_waitcnt vmcnt(56)
	v_fma_f64 v[196:197], v[133:134], v[190:191], -v[196:197]
	v_add_f64 v[137:138], v[137:138], v[179:180]
	v_fma_f64 v[179:180], v[135:136], v[190:191], v[209:210]
	v_add_f64 v[139:140], v[139:140], v[173:174]
	s_clause 0x4
	buffer_load_dword v174, off, s[0:3], 0 offset:876
	buffer_load_dword v190, off, s[0:3], 0 offset:888
	buffer_load_dword v213, off, s[0:3], 0 offset:880
	buffer_load_dword v173, off, s[0:3], 0 offset:872
	buffer_load_dword v209, off, s[0:3], 0 offset:852
	ds_read_b128 v[133:136], v185 offset:1632
	s_waitcnt vmcnt(57) lgkmcnt(1)
	v_mul_f64 v[217:218], v[1:2], v[149:150]
	v_mul_f64 v[149:150], v[3:4], v[149:150]
	s_waitcnt vmcnt(56)
	v_fma_f64 v[206:207], v[5:6], v[215:216], -v[206:207]
	v_add_f64 v[137:138], v[137:138], v[196:197]
	v_fma_f64 v[196:197], v[7:8], v[215:216], v[202:203]
	v_add_f64 v[139:140], v[139:140], v[179:180]
	s_clause 0x2
	buffer_load_dword v191, off, s[0:3], 0 offset:892
	buffer_load_dword v180, off, s[0:3], 0 offset:868
	buffer_load_dword v179, off, s[0:3], 0 offset:864
	ds_read_b128 v[5:8], v185 offset:1648
	s_waitcnt vmcnt(58) lgkmcnt(1)
	v_mul_f64 v[202:203], v[133:134], v[198:199]
	v_mul_f64 v[198:199], v[135:136], v[198:199]
	s_waitcnt vmcnt(56)
	v_fma_f64 v[149:150], v[1:2], v[143:144], -v[149:150]
	v_fma_f64 v[143:144], v[3:4], v[143:144], v[217:218]
	v_add_f64 v[137:138], v[137:138], v[206:207]
	v_add_f64 v[139:140], v[139:140], v[196:197]
	s_clause 0x4
	buffer_load_dword v197, off, s[0:3], 0 offset:908
	buffer_load_dword v206, off, s[0:3], 0 offset:920
	buffer_load_dword v210, off, s[0:3], 0 offset:912
	buffer_load_dword v196, off, s[0:3], 0 offset:904
	buffer_load_dword v214, off, s[0:3], 0 offset:884
	ds_read_b128 v[1:4], v185 offset:1664
	s_waitcnt vmcnt(57) lgkmcnt(1)
	v_mul_f64 v[215:216], v[5:6], v[186:187]
	v_mul_f64 v[186:187], v[7:8], v[186:187]
	s_waitcnt vmcnt(56)
	v_fma_f64 v[198:199], v[133:134], v[211:212], -v[198:199]
	v_add_f64 v[137:138], v[137:138], v[149:150]
	v_fma_f64 v[149:150], v[135:136], v[211:212], v[202:203]
	v_add_f64 v[139:140], v[139:140], v[143:144]
	s_clause 0x2
	buffer_load_dword v207, off, s[0:3], 0 offset:924
	buffer_load_dword v144, off, s[0:3], 0 offset:900
	buffer_load_dword v143, off, s[0:3], 0 offset:896
	ds_read_b128 v[133:136], v185 offset:1680
	s_waitcnt vmcnt(58) lgkmcnt(1)
	v_mul_f64 v[202:203], v[1:2], v[188:189]
	v_mul_f64 v[188:189], v[3:4], v[188:189]
	s_waitcnt vmcnt(56)
	v_fma_f64 v[186:187], v[5:6], v[145:146], -v[186:187]
	v_fma_f64 v[145:146], v[7:8], v[145:146], v[215:216]
	v_add_f64 v[137:138], v[137:138], v[198:199]
	;; [unrolled: 28-line block ×3, first 2 shown]
	v_add_f64 v[139:140], v[139:140], v[186:187]
	s_clause 0x4
	buffer_load_dword v187, off, s[0:3], 0 offset:972
	buffer_load_dword v188, off, s[0:3], 0 offset:984
	;; [unrolled: 1-line block ×5, first 2 shown]
	ds_read_b128 v[133:136], v185 offset:1728
	s_waitcnt vmcnt(57) lgkmcnt(1)
	v_mul_f64 v[217:218], v[1:2], v[147:148]
	v_mul_f64 v[147:148], v[3:4], v[147:148]
	s_waitcnt vmcnt(56)
	v_fma_f64 v[161:162], v[5:6], v[194:195], -v[161:162]
	v_add_f64 v[137:138], v[137:138], v[141:142]
	v_fma_f64 v[141:142], v[7:8], v[194:195], v[200:201]
	v_add_f64 v[139:140], v[139:140], v[151:152]
	s_clause 0x2
	buffer_load_dword v189, off, s[0:3], 0 offset:988
	buffer_load_dword v152, off, s[0:3], 0 offset:964
	buffer_load_dword v151, off, s[0:3], 0 offset:960
	s_waitcnt vmcnt(58) lgkmcnt(0)
	v_mul_f64 v[194:195], v[133:134], v[167:168]
	v_mul_f64 v[167:168], v[135:136], v[167:168]
	ds_read_b128 v[5:8], v185 offset:1744
	s_waitcnt vmcnt(56)
	v_fma_f64 v[147:148], v[1:2], v[157:158], -v[147:148]
	v_fma_f64 v[157:158], v[3:4], v[157:158], v[217:218]
	v_add_f64 v[137:138], v[137:138], v[161:162]
	v_add_f64 v[139:140], v[139:140], v[141:142]
	s_clause 0x2
	buffer_load_dword v142, off, s[0:3], 0 offset:1004
	buffer_load_dword v141, off, s[0:3], 0 offset:1000
	;; [unrolled: 1-line block ×3, first 2 shown]
	ds_read_b128 v[1:4], v185 offset:1760
	s_waitcnt vmcnt(55) lgkmcnt(1)
	v_mul_f64 v[161:162], v[5:6], v[153:154]
	v_mul_f64 v[153:154], v[7:8], v[153:154]
	s_waitcnt vmcnt(54)
	v_fma_f64 v[167:168], v[133:134], v[169:170], -v[167:168]
	v_add_f64 v[137:138], v[137:138], v[147:148]
	v_fma_f64 v[147:148], v[135:136], v[169:170], v[194:195]
	v_add_f64 v[139:140], v[139:140], v[157:158]
	s_clause 0x1
	buffer_load_dword v158, off, s[0:3], 0 offset:996
	buffer_load_dword v157, off, s[0:3], 0 offset:992
	ds_read_b128 v[133:136], v185 offset:1776
	s_waitcnt vmcnt(55) lgkmcnt(1)
	v_mul_f64 v[169:170], v[1:2], v[175:176]
	v_mul_f64 v[175:176], v[3:4], v[175:176]
	s_waitcnt vmcnt(53)
	v_fma_f64 v[153:154], v[5:6], v[155:156], -v[153:154]
	v_fma_f64 v[155:156], v[7:8], v[155:156], v[161:162]
	ds_read_b128 v[5:8], v185 offset:1792
	v_add_f64 v[137:138], v[137:138], v[167:168]
	v_add_f64 v[139:140], v[139:140], v[147:148]
	s_waitcnt vmcnt(49) lgkmcnt(1)
	v_mul_f64 v[147:148], v[133:134], v[159:160]
	v_mul_f64 v[159:160], v[135:136], v[159:160]
	s_waitcnt vmcnt(48)
	v_fma_f64 v[161:162], v[1:2], v[177:178], -v[175:176]
	v_add_f64 v[137:138], v[137:138], v[153:154]
	v_fma_f64 v[153:154], v[3:4], v[177:178], v[169:170]
	v_add_f64 v[139:140], v[139:140], v[155:156]
	s_clause 0x3
	buffer_load_dword v155, off, s[0:3], 0 offset:320
	buffer_load_dword v156, off, s[0:3], 0 offset:324
	;; [unrolled: 1-line block ×4, first 2 shown]
	ds_read_b128 v[1:4], v185 offset:1808
	s_waitcnt vmcnt(51) lgkmcnt(1)
	v_mul_f64 v[175:176], v[7:8], v[181:182]
	v_mul_f64 v[169:170], v[5:6], v[181:182]
	s_waitcnt vmcnt(49)
	v_fma_f64 v[159:160], v[133:134], v[163:164], -v[159:160]
	v_fma_f64 v[147:148], v[135:136], v[163:164], v[147:148]
	ds_read_b128 v[133:136], v185 offset:1824
	v_add_f64 v[137:138], v[137:138], v[161:162]
	v_add_f64 v[139:140], v[139:140], v[153:154]
	s_waitcnt vmcnt(45) lgkmcnt(1)
	v_mul_f64 v[161:162], v[3:4], v[165:166]
	s_waitcnt vmcnt(44)
	v_fma_f64 v[163:164], v[5:6], v[183:184], -v[175:176]
	v_mul_f64 v[153:154], v[1:2], v[165:166]
	v_add_f64 v[137:138], v[137:138], v[159:160]
	v_fma_f64 v[159:160], v[7:8], v[183:184], v[169:170]
	v_add_f64 v[139:140], v[139:140], v[147:148]
	ds_read_b128 v[5:8], v185 offset:1840
	s_waitcnt vmcnt(43) lgkmcnt(1)
	v_mul_f64 v[165:166], v[135:136], v[204:205]
	v_mul_f64 v[147:148], v[133:134], v[204:205]
	s_waitcnt vmcnt(41)
	v_fma_f64 v[161:162], v[1:2], v[171:172], -v[161:162]
	v_fma_f64 v[153:154], v[3:4], v[171:172], v[153:154]
	ds_read_b128 v[1:4], v185 offset:1856
	v_add_f64 v[137:138], v[137:138], v[163:164]
	v_add_f64 v[139:140], v[139:140], v[159:160]
	s_waitcnt vmcnt(37) lgkmcnt(1)
	v_mul_f64 v[163:164], v[7:8], v[173:174]
	s_waitcnt vmcnt(36)
	v_fma_f64 v[165:166], v[133:134], v[208:209], -v[165:166]
	v_mul_f64 v[159:160], v[5:6], v[173:174]
	v_fma_f64 v[147:148], v[135:136], v[208:209], v[147:148]
	ds_read_b128 v[133:136], v185 offset:1872
	v_add_f64 v[137:138], v[137:138], v[161:162]
	v_add_f64 v[139:140], v[139:140], v[153:154]
	s_waitcnt vmcnt(35) lgkmcnt(1)
	v_mul_f64 v[161:162], v[3:4], v[190:191]
	v_mul_f64 v[153:154], v[1:2], v[190:191]
	s_waitcnt vmcnt(33)
	v_fma_f64 v[163:164], v[5:6], v[179:180], -v[163:164]
	v_fma_f64 v[159:160], v[7:8], v[179:180], v[159:160]
	ds_read_b128 v[5:8], v185 offset:1888
	v_add_f64 v[137:138], v[137:138], v[165:166]
	v_add_f64 v[139:140], v[139:140], v[147:148]
	s_waitcnt vmcnt(29) lgkmcnt(1)
	v_mul_f64 v[165:166], v[135:136], v[196:197]
	s_waitcnt vmcnt(28)
	v_fma_f64 v[161:162], v[1:2], v[213:214], -v[161:162]
	v_mul_f64 v[147:148], v[133:134], v[196:197]
	v_fma_f64 v[153:154], v[3:4], v[213:214], v[153:154]
	ds_read_b128 v[1:4], v185 offset:1904
	v_add_f64 v[137:138], v[137:138], v[163:164]
	v_add_f64 v[139:140], v[139:140], v[159:160]
	s_waitcnt vmcnt(27) lgkmcnt(1)
	v_mul_f64 v[163:164], v[7:8], v[206:207]
	v_mul_f64 v[159:160], v[5:6], v[206:207]
	s_waitcnt vmcnt(25)
	v_fma_f64 v[165:166], v[133:134], v[143:144], -v[165:166]
	v_fma_f64 v[143:144], v[135:136], v[143:144], v[147:148]
	ds_read_b128 v[133:136], v185 offset:1920
	v_add_f64 v[137:138], v[137:138], v[161:162]
	v_add_f64 v[139:140], v[139:140], v[153:154]
	s_waitcnt vmcnt(21) lgkmcnt(1)
	v_mul_f64 v[147:148], v[1:2], v[149:150]
	v_mul_f64 v[149:150], v[3:4], v[149:150]
	s_waitcnt vmcnt(20)
	v_fma_f64 v[153:154], v[5:6], v[210:211], -v[163:164]
	;; [unrolled: 9-line block ×3, first 2 shown]
	v_fma_f64 v[145:146], v[3:4], v[145:146], v[147:148]
	ds_read_b128 v[1:4], v185 offset:1952
	v_add_f64 v[137:138], v[137:138], v[153:154]
	v_add_f64 v[139:140], v[139:140], v[159:160]
	s_waitcnt vmcnt(13) lgkmcnt(1)
	v_mul_f64 v[153:154], v[7:8], v[186:187]
	s_waitcnt vmcnt(12)
	v_fma_f64 v[159:160], v[133:134], v[215:216], -v[161:162]
	v_mul_f64 v[147:148], v[5:6], v[186:187]
	v_fma_f64 v[143:144], v[135:136], v[215:216], v[143:144]
	ds_read_b128 v[133:136], v185 offset:1968
	v_add_f64 v[137:138], v[137:138], v[149:150]
	v_add_f64 v[139:140], v[139:140], v[145:146]
	s_waitcnt vmcnt(11) lgkmcnt(1)
	v_mul_f64 v[149:150], v[3:4], v[188:189]
	v_mul_f64 v[145:146], v[1:2], v[188:189]
	s_waitcnt vmcnt(9)
	v_fma_f64 v[5:6], v[5:6], v[151:152], -v[153:154]
	v_fma_f64 v[7:8], v[7:8], v[151:152], v[147:148]
	v_add_f64 v[137:138], v[137:138], v[159:160]
	v_add_f64 v[139:140], v[139:140], v[143:144]
	s_waitcnt vmcnt(7) lgkmcnt(0)
	v_mul_f64 v[143:144], v[133:134], v[141:142]
	v_mul_f64 v[141:142], v[135:136], v[141:142]
	s_waitcnt vmcnt(6)
	v_fma_f64 v[1:2], v[1:2], v[202:203], -v[149:150]
	v_fma_f64 v[3:4], v[3:4], v[202:203], v[145:146]
	v_add_f64 v[5:6], v[137:138], v[5:6]
	v_add_f64 v[7:8], v[139:140], v[7:8]
	s_waitcnt vmcnt(4)
	v_fma_f64 v[133:134], v[133:134], v[157:158], -v[141:142]
	v_add_f64 v[1:2], v[5:6], v[1:2]
	v_fma_f64 v[5:6], v[135:136], v[157:158], v[143:144]
	v_add_f64 v[3:4], v[7:8], v[3:4]
	v_add_f64 v[1:2], v[1:2], v[133:134]
	;; [unrolled: 1-line block ×3, first 2 shown]
	s_waitcnt vmcnt(2)
	v_add_f64 v[1:2], v[155:156], -v[1:2]
	s_waitcnt vmcnt(0)
	v_add_f64 v[3:4], v[167:168], -v[3:4]
	buffer_store_dword v2, off, s[0:3], 0 offset:324
	buffer_store_dword v1, off, s[0:3], 0 offset:320
	;; [unrolled: 1-line block ×4, first 2 shown]
	v_cmpx_lt_u32_e32 18, v0
	s_cbranch_execz .LBB125_361
; %bb.360:
	v_mov_b32_e32 v4, s58
	v_mov_b32_e32 v5, 0
	s_clause 0x3
	buffer_load_dword v1, v4, s[0:3], 0 offen
	buffer_load_dword v2, v4, s[0:3], 0 offen offset:4
	buffer_load_dword v3, v4, s[0:3], 0 offen offset:8
	;; [unrolled: 1-line block ×3, first 2 shown]
	buffer_store_dword v5, off, s[0:3], 0 offset:304
	buffer_store_dword v5, off, s[0:3], 0 offset:308
	;; [unrolled: 1-line block ×4, first 2 shown]
	s_waitcnt vmcnt(0)
	ds_write_b128 v193, v[1:4]
.LBB125_361:
	s_or_b32 exec_lo, exec_lo, s4
	s_waitcnt lgkmcnt(0)
	s_waitcnt_vscnt null, 0x0
	s_barrier
	buffer_gl0_inv
	s_clause 0x37
	buffer_load_dword v133, off, s[0:3], 0 offset:328
	buffer_load_dword v134, off, s[0:3], 0 offset:332
	;; [unrolled: 1-line block ×56, first 2 shown]
	v_mov_b32_e32 v185, 0
	s_mov_b32 s4, exec_lo
	ds_read_b128 v[186:189], v185 offset:1296
	s_clause 0x2
	buffer_load_dword v182, off, s[0:3], 0 offset:556
	buffer_load_dword v184, off, s[0:3], 0 offset:532
	;; [unrolled: 1-line block ×3, first 2 shown]
	ds_read_b128 v[194:197], v185 offset:1312
	s_clause 0x4
	buffer_load_dword v203, off, s[0:3], 0 offset:572
	buffer_load_dword v204, off, s[0:3], 0 offset:584
	;; [unrolled: 1-line block ×5, first 2 shown]
	ds_read_b128 v[198:201], v185 offset:1328
	s_clause 0x2
	buffer_load_dword v205, off, s[0:3], 0 offset:588
	buffer_load_dword v210, off, s[0:3], 0 offset:564
	;; [unrolled: 1-line block ×3, first 2 shown]
	s_waitcnt vmcnt(62) lgkmcnt(2)
	v_mul_f64 v[190:191], v[188:189], v[133:134]
	v_mul_f64 v[133:134], v[186:187], v[133:134]
	s_waitcnt lgkmcnt(1)
	v_mul_f64 v[207:208], v[196:197], v[5:6]
	s_waitcnt vmcnt(59) lgkmcnt(0)
	v_mul_f64 v[211:212], v[200:201], v[3:4]
	v_fma_f64 v[186:187], v[186:187], v[7:8], -v[190:191]
	v_mul_f64 v[190:191], v[194:195], v[5:6]
	v_fma_f64 v[133:134], v[188:189], v[7:8], v[133:134]
	s_waitcnt vmcnt(57)
	v_fma_f64 v[194:195], v[194:195], v[1:2], -v[207:208]
	ds_read_b128 v[5:8], v185 offset:1344
	v_mul_f64 v[188:189], v[198:199], v[3:4]
	s_waitcnt vmcnt(51)
	v_fma_f64 v[198:199], v[198:199], v[149:150], -v[211:212]
	v_add_f64 v[186:187], v[186:187], 0
	v_fma_f64 v[190:191], v[196:197], v[1:2], v[190:191]
	v_add_f64 v[133:134], v[133:134], 0
	s_clause 0x4
	buffer_load_dword v197, off, s[0:3], 0 offset:604
	buffer_load_dword v213, off, s[0:3], 0 offset:616
	;; [unrolled: 1-line block ×5, first 2 shown]
	s_waitcnt lgkmcnt(0)
	v_mul_f64 v[216:217], v[5:6], v[137:138]
	v_mul_f64 v[137:138], v[7:8], v[137:138]
	ds_read_b128 v[1:4], v185 offset:1360
	v_fma_f64 v[149:150], v[200:201], v[149:150], v[188:189]
	v_add_f64 v[194:195], v[186:187], v[194:195]
	v_add_f64 v[133:134], v[133:134], v[190:191]
	s_clause 0x2
	buffer_load_dword v214, off, s[0:3], 0 offset:620
	buffer_load_dword v191, off, s[0:3], 0 offset:596
	;; [unrolled: 1-line block ×3, first 2 shown]
	s_waitcnt vmcnt(58) lgkmcnt(0)
	v_mul_f64 v[200:201], v[1:2], v[141:142]
	v_mul_f64 v[141:142], v[3:4], v[141:142]
	s_waitcnt vmcnt(56)
	v_fma_f64 v[137:138], v[5:6], v[143:144], -v[137:138]
	ds_read_b128 v[186:189], v185 offset:1376
	v_fma_f64 v[143:144], v[7:8], v[143:144], v[216:217]
	v_add_f64 v[194:195], v[194:195], v[198:199]
	v_add_f64 v[133:134], v[133:134], v[149:150]
	s_clause 0x4
	buffer_load_dword v150, off, s[0:3], 0 offset:636
	buffer_load_dword v198, off, s[0:3], 0 offset:648
	;; [unrolled: 1-line block ×5, first 2 shown]
	ds_read_b128 v[5:8], v185 offset:1392
	s_waitcnt vmcnt(57) lgkmcnt(1)
	v_mul_f64 v[217:218], v[186:187], v[145:146]
	v_mul_f64 v[145:146], v[188:189], v[145:146]
	s_waitcnt vmcnt(56)
	v_fma_f64 v[141:142], v[1:2], v[135:136], -v[141:142]
	v_fma_f64 v[135:136], v[3:4], v[135:136], v[200:201]
	v_add_f64 v[137:138], v[194:195], v[137:138]
	v_add_f64 v[133:134], v[133:134], v[143:144]
	s_clause 0x2
	buffer_load_dword v199, off, s[0:3], 0 offset:652
	buffer_load_dword v144, off, s[0:3], 0 offset:628
	;; [unrolled: 1-line block ×3, first 2 shown]
	s_waitcnt vmcnt(58) lgkmcnt(0)
	v_mul_f64 v[194:195], v[5:6], v[151:152]
	v_mul_f64 v[151:152], v[7:8], v[151:152]
	s_waitcnt vmcnt(56)
	v_fma_f64 v[145:146], v[186:187], v[153:154], -v[145:146]
	ds_read_b128 v[1:4], v185 offset:1408
	v_add_f64 v[137:138], v[137:138], v[141:142]
	v_fma_f64 v[141:142], v[188:189], v[153:154], v[217:218]
	v_add_f64 v[153:154], v[133:134], v[135:136]
	s_clause 0x4
	buffer_load_dword v187, off, s[0:3], 0 offset:668
	buffer_load_dword v188, off, s[0:3], 0 offset:680
	;; [unrolled: 1-line block ×5, first 2 shown]
	ds_read_b128 v[133:136], v185 offset:1424
	s_waitcnt vmcnt(57) lgkmcnt(1)
	v_mul_f64 v[217:218], v[1:2], v[155:156]
	v_mul_f64 v[155:156], v[3:4], v[155:156]
	s_waitcnt vmcnt(56)
	v_fma_f64 v[151:152], v[5:6], v[139:140], -v[151:152]
	v_fma_f64 v[139:140], v[7:8], v[139:140], v[194:195]
	v_add_f64 v[137:138], v[137:138], v[145:146]
	s_clause 0x2
	buffer_load_dword v189, off, s[0:3], 0 offset:684
	buffer_load_dword v146, off, s[0:3], 0 offset:660
	buffer_load_dword v145, off, s[0:3], 0 offset:656
	v_add_f64 v[141:142], v[153:154], v[141:142]
	s_waitcnt vmcnt(58) lgkmcnt(0)
	v_mul_f64 v[153:154], v[133:134], v[159:160]
	v_mul_f64 v[159:160], v[135:136], v[159:160]
	ds_read_b128 v[5:8], v185 offset:1440
	s_waitcnt vmcnt(56)
	v_fma_f64 v[155:156], v[1:2], v[161:162], -v[155:156]
	v_add_f64 v[137:138], v[137:138], v[151:152]
	v_fma_f64 v[151:152], v[3:4], v[161:162], v[217:218]
	v_add_f64 v[139:140], v[141:142], v[139:140]
	s_clause 0x4
	buffer_load_dword v142, off, s[0:3], 0 offset:700
	buffer_load_dword v161, off, s[0:3], 0 offset:712
	;; [unrolled: 1-line block ×5, first 2 shown]
	s_waitcnt vmcnt(57) lgkmcnt(0)
	v_mul_f64 v[217:218], v[5:6], v[163:164]
	v_mul_f64 v[163:164], v[7:8], v[163:164]
	s_waitcnt vmcnt(56)
	v_fma_f64 v[159:160], v[133:134], v[147:148], -v[159:160]
	ds_read_b128 v[1:4], v185 offset:1456
	v_fma_f64 v[147:148], v[135:136], v[147:148], v[153:154]
	v_add_f64 v[137:138], v[137:138], v[155:156]
	v_add_f64 v[139:140], v[139:140], v[151:152]
	s_clause 0x2
	buffer_load_dword v162, off, s[0:3], 0 offset:716
	buffer_load_dword v152, off, s[0:3], 0 offset:692
	;; [unrolled: 1-line block ×3, first 2 shown]
	ds_read_b128 v[133:136], v185 offset:1472
	s_waitcnt vmcnt(58) lgkmcnt(1)
	v_mul_f64 v[155:156], v[3:4], v[167:168]
	s_waitcnt vmcnt(56)
	v_fma_f64 v[163:164], v[5:6], v[169:170], -v[163:164]
	v_mul_f64 v[153:154], v[1:2], v[167:168]
	v_add_f64 v[137:138], v[137:138], v[159:160]
	v_fma_f64 v[159:160], v[7:8], v[169:170], v[217:218]
	v_add_f64 v[139:140], v[139:140], v[147:148]
	s_clause 0x4
	buffer_load_dword v148, off, s[0:3], 0 offset:732
	buffer_load_dword v167, off, s[0:3], 0 offset:744
	;; [unrolled: 1-line block ×5, first 2 shown]
	s_waitcnt vmcnt(57) lgkmcnt(0)
	v_mul_f64 v[217:218], v[133:134], v[171:172]
	v_mul_f64 v[170:171], v[135:136], v[171:172]
	s_waitcnt vmcnt(56)
	v_fma_f64 v[155:156], v[1:2], v[157:158], -v[155:156]
	ds_read_b128 v[5:8], v185 offset:1488
	v_fma_f64 v[153:154], v[3:4], v[157:158], v[153:154]
	s_clause 0x2
	buffer_load_dword v168, off, s[0:3], 0 offset:748
	buffer_load_dword v158, off, s[0:3], 0 offset:724
	;; [unrolled: 1-line block ×3, first 2 shown]
	ds_read_b128 v[1:4], v185 offset:1504
	v_add_f64 v[137:138], v[137:138], v[163:164]
	v_add_f64 v[139:140], v[139:140], v[159:160]
	s_waitcnt vmcnt(58) lgkmcnt(1)
	v_mul_f64 v[163:164], v[7:8], v[175:176]
	s_waitcnt vmcnt(56)
	v_fma_f64 v[171:172], v[133:134], v[177:178], -v[170:171]
	v_mul_f64 v[159:160], v[5:6], v[175:176]
	v_add_f64 v[137:138], v[137:138], v[155:156]
	v_fma_f64 v[155:156], v[135:136], v[177:178], v[217:218]
	v_add_f64 v[139:140], v[139:140], v[153:154]
	s_clause 0x4
	buffer_load_dword v154, off, s[0:3], 0 offset:764
	buffer_load_dword v175, off, s[0:3], 0 offset:776
	;; [unrolled: 1-line block ×5, first 2 shown]
	s_waitcnt vmcnt(57) lgkmcnt(0)
	v_mul_f64 v[217:218], v[1:2], v[179:180]
	v_mul_f64 v[178:179], v[3:4], v[179:180]
	s_waitcnt vmcnt(56)
	v_fma_f64 v[163:164], v[5:6], v[165:166], -v[163:164]
	ds_read_b128 v[133:136], v185 offset:1520
	v_fma_f64 v[159:160], v[7:8], v[165:166], v[159:160]
	v_add_f64 v[137:138], v[137:138], v[171:172]
	v_add_f64 v[139:140], v[139:140], v[155:156]
	s_clause 0x2
	buffer_load_dword v176, off, s[0:3], 0 offset:780
	buffer_load_dword v156, off, s[0:3], 0 offset:756
	;; [unrolled: 1-line block ×3, first 2 shown]
	ds_read_b128 v[5:8], v185 offset:1536
	s_waitcnt vmcnt(58) lgkmcnt(1)
	v_mul_f64 v[171:172], v[135:136], v[181:182]
	s_waitcnt vmcnt(56)
	v_fma_f64 v[179:180], v[1:2], v[183:184], -v[178:179]
	v_mul_f64 v[165:166], v[133:134], v[181:182]
	v_add_f64 v[137:138], v[137:138], v[163:164]
	v_fma_f64 v[163:164], v[3:4], v[183:184], v[217:218]
	v_add_f64 v[139:140], v[139:140], v[159:160]
	s_clause 0x4
	buffer_load_dword v160, off, s[0:3], 0 offset:796
	buffer_load_dword v181, off, s[0:3], 0 offset:808
	;; [unrolled: 1-line block ×5, first 2 shown]
	s_waitcnt vmcnt(57) lgkmcnt(0)
	v_mul_f64 v[217:218], v[5:6], v[202:203]
	v_mul_f64 v[202:203], v[7:8], v[202:203]
	s_waitcnt vmcnt(56)
	v_fma_f64 v[171:172], v[133:134], v[173:174], -v[171:172]
	ds_read_b128 v[1:4], v185 offset:1552
	v_fma_f64 v[165:166], v[135:136], v[173:174], v[165:166]
	v_add_f64 v[137:138], v[137:138], v[179:180]
	v_add_f64 v[139:140], v[139:140], v[163:164]
	s_clause 0x2
	buffer_load_dword v182, off, s[0:3], 0 offset:812
	buffer_load_dword v164, off, s[0:3], 0 offset:788
	;; [unrolled: 1-line block ×3, first 2 shown]
	ds_read_b128 v[133:136], v185 offset:1568
	s_waitcnt vmcnt(58) lgkmcnt(1)
	v_mul_f64 v[179:180], v[3:4], v[204:205]
	s_waitcnt vmcnt(56)
	v_fma_f64 v[202:203], v[5:6], v[209:210], -v[202:203]
	v_mul_f64 v[173:174], v[1:2], v[204:205]
	v_add_f64 v[137:138], v[137:138], v[171:172]
	v_fma_f64 v[171:172], v[7:8], v[209:210], v[217:218]
	v_add_f64 v[139:140], v[139:140], v[165:166]
	s_clause 0x4
	buffer_load_dword v166, off, s[0:3], 0 offset:828
	buffer_load_dword v204, off, s[0:3], 0 offset:840
	;; [unrolled: 1-line block ×5, first 2 shown]
	ds_read_b128 v[5:8], v185 offset:1584
	s_waitcnt vmcnt(57) lgkmcnt(1)
	v_mul_f64 v[209:210], v[133:134], v[196:197]
	v_mul_f64 v[196:197], v[135:136], v[196:197]
	s_waitcnt vmcnt(56)
	v_fma_f64 v[179:180], v[1:2], v[206:207], -v[179:180]
	v_fma_f64 v[173:174], v[3:4], v[206:207], v[173:174]
	v_add_f64 v[137:138], v[137:138], v[202:203]
	v_add_f64 v[139:140], v[139:140], v[171:172]
	s_clause 0x2
	buffer_load_dword v205, off, s[0:3], 0 offset:844
	buffer_load_dword v172, off, s[0:3], 0 offset:820
	;; [unrolled: 1-line block ×3, first 2 shown]
	ds_read_b128 v[1:4], v185 offset:1600
	s_waitcnt vmcnt(58) lgkmcnt(1)
	v_mul_f64 v[206:207], v[7:8], v[213:214]
	v_mul_f64 v[202:203], v[5:6], v[213:214]
	s_waitcnt vmcnt(56)
	v_fma_f64 v[196:197], v[133:134], v[190:191], -v[196:197]
	v_add_f64 v[137:138], v[137:138], v[179:180]
	v_fma_f64 v[179:180], v[135:136], v[190:191], v[209:210]
	v_add_f64 v[139:140], v[139:140], v[173:174]
	s_clause 0x4
	buffer_load_dword v174, off, s[0:3], 0 offset:860
	buffer_load_dword v190, off, s[0:3], 0 offset:872
	buffer_load_dword v213, off, s[0:3], 0 offset:864
	buffer_load_dword v173, off, s[0:3], 0 offset:856
	buffer_load_dword v209, off, s[0:3], 0 offset:836
	ds_read_b128 v[133:136], v185 offset:1616
	s_waitcnt vmcnt(57) lgkmcnt(1)
	v_mul_f64 v[217:218], v[1:2], v[149:150]
	v_mul_f64 v[149:150], v[3:4], v[149:150]
	s_waitcnt vmcnt(56)
	v_fma_f64 v[206:207], v[5:6], v[215:216], -v[206:207]
	v_add_f64 v[137:138], v[137:138], v[196:197]
	v_fma_f64 v[196:197], v[7:8], v[215:216], v[202:203]
	v_add_f64 v[139:140], v[139:140], v[179:180]
	s_clause 0x2
	buffer_load_dword v191, off, s[0:3], 0 offset:876
	buffer_load_dword v180, off, s[0:3], 0 offset:852
	buffer_load_dword v179, off, s[0:3], 0 offset:848
	ds_read_b128 v[5:8], v185 offset:1632
	s_waitcnt vmcnt(58) lgkmcnt(1)
	v_mul_f64 v[202:203], v[133:134], v[198:199]
	v_mul_f64 v[198:199], v[135:136], v[198:199]
	s_waitcnt vmcnt(56)
	v_fma_f64 v[149:150], v[1:2], v[143:144], -v[149:150]
	v_fma_f64 v[143:144], v[3:4], v[143:144], v[217:218]
	v_add_f64 v[137:138], v[137:138], v[206:207]
	v_add_f64 v[139:140], v[139:140], v[196:197]
	s_clause 0x4
	buffer_load_dword v197, off, s[0:3], 0 offset:892
	buffer_load_dword v206, off, s[0:3], 0 offset:904
	buffer_load_dword v210, off, s[0:3], 0 offset:896
	buffer_load_dword v196, off, s[0:3], 0 offset:888
	buffer_load_dword v214, off, s[0:3], 0 offset:868
	ds_read_b128 v[1:4], v185 offset:1648
	s_waitcnt vmcnt(57) lgkmcnt(1)
	v_mul_f64 v[215:216], v[5:6], v[186:187]
	v_mul_f64 v[186:187], v[7:8], v[186:187]
	s_waitcnt vmcnt(56)
	v_fma_f64 v[198:199], v[133:134], v[211:212], -v[198:199]
	v_add_f64 v[137:138], v[137:138], v[149:150]
	v_fma_f64 v[149:150], v[135:136], v[211:212], v[202:203]
	v_add_f64 v[139:140], v[139:140], v[143:144]
	s_clause 0x2
	buffer_load_dword v207, off, s[0:3], 0 offset:908
	buffer_load_dword v144, off, s[0:3], 0 offset:884
	buffer_load_dword v143, off, s[0:3], 0 offset:880
	ds_read_b128 v[133:136], v185 offset:1664
	s_waitcnt vmcnt(58) lgkmcnt(1)
	v_mul_f64 v[202:203], v[1:2], v[188:189]
	v_mul_f64 v[188:189], v[3:4], v[188:189]
	s_waitcnt vmcnt(56)
	v_fma_f64 v[186:187], v[5:6], v[145:146], -v[186:187]
	v_fma_f64 v[145:146], v[7:8], v[145:146], v[215:216]
	v_add_f64 v[137:138], v[137:138], v[198:199]
	;; [unrolled: 28-line block ×3, first 2 shown]
	v_add_f64 v[139:140], v[139:140], v[186:187]
	s_clause 0x4
	buffer_load_dword v187, off, s[0:3], 0 offset:956
	buffer_load_dword v188, off, s[0:3], 0 offset:968
	buffer_load_dword v202, off, s[0:3], 0 offset:960
	buffer_load_dword v186, off, s[0:3], 0 offset:952
	buffer_load_dword v216, off, s[0:3], 0 offset:932
	ds_read_b128 v[133:136], v185 offset:1712
	s_waitcnt vmcnt(57) lgkmcnt(1)
	v_mul_f64 v[217:218], v[1:2], v[147:148]
	v_mul_f64 v[147:148], v[3:4], v[147:148]
	s_waitcnt vmcnt(56)
	v_fma_f64 v[161:162], v[5:6], v[194:195], -v[161:162]
	v_add_f64 v[137:138], v[137:138], v[141:142]
	v_fma_f64 v[141:142], v[7:8], v[194:195], v[200:201]
	v_add_f64 v[139:140], v[139:140], v[151:152]
	s_clause 0x2
	buffer_load_dword v189, off, s[0:3], 0 offset:972
	buffer_load_dword v152, off, s[0:3], 0 offset:948
	;; [unrolled: 1-line block ×3, first 2 shown]
	s_waitcnt vmcnt(58) lgkmcnt(0)
	v_mul_f64 v[194:195], v[133:134], v[167:168]
	v_mul_f64 v[167:168], v[135:136], v[167:168]
	ds_read_b128 v[5:8], v185 offset:1728
	s_waitcnt vmcnt(56)
	v_fma_f64 v[147:148], v[1:2], v[157:158], -v[147:148]
	v_fma_f64 v[157:158], v[3:4], v[157:158], v[217:218]
	v_add_f64 v[137:138], v[137:138], v[161:162]
	v_add_f64 v[139:140], v[139:140], v[141:142]
	s_clause 0x4
	buffer_load_dword v142, off, s[0:3], 0 offset:988
	buffer_load_dword v161, off, s[0:3], 0 offset:1000
	buffer_load_dword v200, off, s[0:3], 0 offset:992
	buffer_load_dword v141, off, s[0:3], 0 offset:984
	buffer_load_dword v203, off, s[0:3], 0 offset:964
	ds_read_b128 v[1:4], v185 offset:1744
	s_waitcnt vmcnt(57) lgkmcnt(1)
	v_mul_f64 v[217:218], v[5:6], v[153:154]
	v_mul_f64 v[153:154], v[7:8], v[153:154]
	s_waitcnt vmcnt(56)
	v_fma_f64 v[167:168], v[133:134], v[169:170], -v[167:168]
	v_add_f64 v[137:138], v[137:138], v[147:148]
	v_fma_f64 v[147:148], v[135:136], v[169:170], v[194:195]
	v_add_f64 v[139:140], v[139:140], v[157:158]
	s_clause 0x2
	buffer_load_dword v162, off, s[0:3], 0 offset:1004
	buffer_load_dword v158, off, s[0:3], 0 offset:980
	;; [unrolled: 1-line block ×3, first 2 shown]
	ds_read_b128 v[133:136], v185 offset:1760
	buffer_load_dword v201, off, s[0:3], 0 offset:996
	s_waitcnt vmcnt(59) lgkmcnt(1)
	v_mul_f64 v[169:170], v[1:2], v[175:176]
	v_mul_f64 v[175:176], v[3:4], v[175:176]
	s_waitcnt vmcnt(57)
	v_fma_f64 v[153:154], v[5:6], v[155:156], -v[153:154]
	v_fma_f64 v[155:156], v[7:8], v[155:156], v[217:218]
	ds_read_b128 v[5:8], v185 offset:1776
	v_add_f64 v[137:138], v[137:138], v[167:168]
	v_add_f64 v[139:140], v[139:140], v[147:148]
	s_waitcnt vmcnt(53) lgkmcnt(1)
	v_mul_f64 v[147:148], v[133:134], v[159:160]
	v_mul_f64 v[159:160], v[135:136], v[159:160]
	s_waitcnt vmcnt(52)
	v_fma_f64 v[167:168], v[1:2], v[177:178], -v[175:176]
	v_add_f64 v[137:138], v[137:138], v[153:154]
	v_fma_f64 v[153:154], v[3:4], v[177:178], v[169:170]
	v_add_f64 v[139:140], v[139:140], v[155:156]
	ds_read_b128 v[1:4], v185 offset:1792
	s_waitcnt vmcnt(51) lgkmcnt(1)
	v_mul_f64 v[169:170], v[7:8], v[181:182]
	v_mul_f64 v[155:156], v[5:6], v[181:182]
	s_waitcnt vmcnt(49)
	v_fma_f64 v[159:160], v[133:134], v[163:164], -v[159:160]
	v_fma_f64 v[147:148], v[135:136], v[163:164], v[147:148]
	v_add_f64 v[137:138], v[137:138], v[167:168]
	v_add_f64 v[139:140], v[139:140], v[153:154]
	s_clause 0x3
	buffer_load_dword v153, off, s[0:3], 0 offset:304
	buffer_load_dword v154, off, s[0:3], 0 offset:308
	;; [unrolled: 1-line block ×4, first 2 shown]
	ds_read_b128 v[133:136], v185 offset:1808
	s_waitcnt vmcnt(49) lgkmcnt(1)
	v_mul_f64 v[167:168], v[1:2], v[165:166]
	v_mul_f64 v[165:166], v[3:4], v[165:166]
	s_waitcnt vmcnt(48)
	v_fma_f64 v[169:170], v[5:6], v[183:184], -v[169:170]
	v_fma_f64 v[155:156], v[7:8], v[183:184], v[155:156]
	ds_read_b128 v[5:8], v185 offset:1824
	v_add_f64 v[137:138], v[137:138], v[159:160]
	v_add_f64 v[139:140], v[139:140], v[147:148]
	s_waitcnt vmcnt(47) lgkmcnt(1)
	v_mul_f64 v[159:160], v[135:136], v[204:205]
	v_mul_f64 v[147:148], v[133:134], v[204:205]
	s_waitcnt vmcnt(45)
	v_fma_f64 v[165:166], v[1:2], v[171:172], -v[165:166]
	v_fma_f64 v[167:168], v[3:4], v[171:172], v[167:168]
	ds_read_b128 v[1:4], v185 offset:1840
	v_add_f64 v[137:138], v[137:138], v[169:170]
	v_add_f64 v[139:140], v[139:140], v[155:156]
	s_waitcnt vmcnt(41) lgkmcnt(1)
	v_mul_f64 v[169:170], v[7:8], v[173:174]
	s_waitcnt vmcnt(40)
	v_fma_f64 v[159:160], v[133:134], v[208:209], -v[159:160]
	v_mul_f64 v[155:156], v[5:6], v[173:174]
	v_fma_f64 v[147:148], v[135:136], v[208:209], v[147:148]
	ds_read_b128 v[133:136], v185 offset:1856
	v_add_f64 v[137:138], v[137:138], v[165:166]
	v_add_f64 v[139:140], v[139:140], v[167:168]
	s_waitcnt vmcnt(39) lgkmcnt(1)
	v_mul_f64 v[167:168], v[3:4], v[190:191]
	v_mul_f64 v[165:166], v[1:2], v[190:191]
	s_waitcnt vmcnt(37)
	v_fma_f64 v[169:170], v[5:6], v[179:180], -v[169:170]
	v_fma_f64 v[155:156], v[7:8], v[179:180], v[155:156]
	ds_read_b128 v[5:8], v185 offset:1872
	v_add_f64 v[137:138], v[137:138], v[159:160]
	v_add_f64 v[139:140], v[139:140], v[147:148]
	s_waitcnt vmcnt(33) lgkmcnt(1)
	v_mul_f64 v[159:160], v[135:136], v[196:197]
	s_waitcnt vmcnt(32)
	v_fma_f64 v[167:168], v[1:2], v[213:214], -v[167:168]
	v_mul_f64 v[147:148], v[133:134], v[196:197]
	v_fma_f64 v[165:166], v[3:4], v[213:214], v[165:166]
	ds_read_b128 v[1:4], v185 offset:1888
	v_add_f64 v[137:138], v[137:138], v[169:170]
	v_add_f64 v[139:140], v[139:140], v[155:156]
	s_waitcnt vmcnt(31) lgkmcnt(1)
	v_mul_f64 v[169:170], v[7:8], v[206:207]
	v_mul_f64 v[155:156], v[5:6], v[206:207]
	s_waitcnt vmcnt(29)
	v_fma_f64 v[159:160], v[133:134], v[143:144], -v[159:160]
	v_fma_f64 v[143:144], v[135:136], v[143:144], v[147:148]
	ds_read_b128 v[133:136], v185 offset:1904
	v_add_f64 v[137:138], v[137:138], v[167:168]
	v_add_f64 v[139:140], v[139:140], v[165:166]
	s_waitcnt vmcnt(25) lgkmcnt(1)
	v_mul_f64 v[147:148], v[1:2], v[149:150]
	v_mul_f64 v[149:150], v[3:4], v[149:150]
	s_waitcnt vmcnt(24)
	v_fma_f64 v[165:166], v[5:6], v[210:211], -v[169:170]
	;; [unrolled: 9-line block ×3, first 2 shown]
	v_fma_f64 v[145:146], v[3:4], v[145:146], v[147:148]
	ds_read_b128 v[1:4], v185 offset:1936
	v_add_f64 v[137:138], v[137:138], v[165:166]
	v_add_f64 v[139:140], v[139:140], v[155:156]
	s_waitcnt vmcnt(17) lgkmcnt(1)
	v_mul_f64 v[155:156], v[7:8], v[186:187]
	s_waitcnt vmcnt(16)
	v_fma_f64 v[159:160], v[133:134], v[215:216], -v[159:160]
	v_mul_f64 v[147:148], v[5:6], v[186:187]
	v_fma_f64 v[143:144], v[135:136], v[215:216], v[143:144]
	ds_read_b128 v[133:136], v185 offset:1952
	v_add_f64 v[137:138], v[137:138], v[149:150]
	v_add_f64 v[139:140], v[139:140], v[145:146]
	s_waitcnt vmcnt(15) lgkmcnt(1)
	v_mul_f64 v[149:150], v[3:4], v[188:189]
	v_mul_f64 v[145:146], v[1:2], v[188:189]
	s_waitcnt vmcnt(13)
	v_fma_f64 v[155:156], v[5:6], v[151:152], -v[155:156]
	v_fma_f64 v[147:148], v[7:8], v[151:152], v[147:148]
	ds_read_b128 v[5:8], v185 offset:1968
	v_add_f64 v[137:138], v[137:138], v[159:160]
	v_add_f64 v[139:140], v[139:140], v[143:144]
	s_waitcnt vmcnt(9) lgkmcnt(1)
	v_mul_f64 v[143:144], v[133:134], v[141:142]
	v_mul_f64 v[141:142], v[135:136], v[141:142]
	s_waitcnt vmcnt(8)
	v_fma_f64 v[1:2], v[1:2], v[202:203], -v[149:150]
	v_fma_f64 v[3:4], v[3:4], v[202:203], v[145:146]
	v_add_f64 v[137:138], v[137:138], v[155:156]
	v_add_f64 v[139:140], v[139:140], v[147:148]
	s_waitcnt vmcnt(7) lgkmcnt(0)
	v_mul_f64 v[147:148], v[7:8], v[161:162]
	v_mul_f64 v[145:146], v[5:6], v[161:162]
	s_waitcnt vmcnt(5)
	v_fma_f64 v[133:134], v[133:134], v[157:158], -v[141:142]
	v_fma_f64 v[135:136], v[135:136], v[157:158], v[143:144]
	v_add_f64 v[1:2], v[137:138], v[1:2]
	v_add_f64 v[3:4], v[139:140], v[3:4]
	s_waitcnt vmcnt(4)
	v_fma_f64 v[5:6], v[5:6], v[200:201], -v[147:148]
	v_fma_f64 v[7:8], v[7:8], v[200:201], v[145:146]
	v_add_f64 v[1:2], v[1:2], v[133:134]
	v_add_f64 v[3:4], v[3:4], v[135:136]
	;; [unrolled: 1-line block ×4, first 2 shown]
	s_waitcnt vmcnt(2)
	v_add_f64 v[1:2], v[153:154], -v[1:2]
	s_waitcnt vmcnt(0)
	v_add_f64 v[3:4], v[163:164], -v[3:4]
	buffer_store_dword v2, off, s[0:3], 0 offset:308
	buffer_store_dword v1, off, s[0:3], 0 offset:304
	;; [unrolled: 1-line block ×4, first 2 shown]
	v_cmpx_lt_u32_e32 17, v0
	s_cbranch_execz .LBB125_363
; %bb.362:
	v_mov_b32_e32 v4, s59
	s_clause 0x3
	buffer_load_dword v1, v4, s[0:3], 0 offen
	buffer_load_dword v2, v4, s[0:3], 0 offen offset:4
	buffer_load_dword v3, v4, s[0:3], 0 offen offset:8
	;; [unrolled: 1-line block ×3, first 2 shown]
	buffer_store_dword v185, off, s[0:3], 0 offset:288
	buffer_store_dword v185, off, s[0:3], 0 offset:292
	;; [unrolled: 1-line block ×4, first 2 shown]
	s_waitcnt vmcnt(0)
	ds_write_b128 v193, v[1:4]
.LBB125_363:
	s_or_b32 exec_lo, exec_lo, s4
	s_waitcnt lgkmcnt(0)
	s_waitcnt_vscnt null, 0x0
	s_barrier
	buffer_gl0_inv
	s_clause 0x37
	buffer_load_dword v133, off, s[0:3], 0 offset:312
	buffer_load_dword v134, off, s[0:3], 0 offset:316
	;; [unrolled: 1-line block ×56, first 2 shown]
	ds_read_b128 v[186:189], v185 offset:1280
	s_clause 0x2
	buffer_load_dword v182, off, s[0:3], 0 offset:540
	buffer_load_dword v184, off, s[0:3], 0 offset:516
	;; [unrolled: 1-line block ×3, first 2 shown]
	ds_read_b128 v[194:197], v185 offset:1296
	s_clause 0x4
	buffer_load_dword v203, off, s[0:3], 0 offset:556
	buffer_load_dword v204, off, s[0:3], 0 offset:568
	;; [unrolled: 1-line block ×5, first 2 shown]
	ds_read_b128 v[198:201], v185 offset:1312
	s_clause 0x2
	buffer_load_dword v205, off, s[0:3], 0 offset:572
	buffer_load_dword v210, off, s[0:3], 0 offset:548
	;; [unrolled: 1-line block ×3, first 2 shown]
	s_mov_b32 s4, exec_lo
	s_waitcnt vmcnt(62) lgkmcnt(2)
	v_mul_f64 v[190:191], v[188:189], v[133:134]
	v_mul_f64 v[133:134], v[186:187], v[133:134]
	s_waitcnt lgkmcnt(1)
	v_mul_f64 v[207:208], v[196:197], v[5:6]
	s_waitcnt vmcnt(59) lgkmcnt(0)
	v_mul_f64 v[211:212], v[200:201], v[3:4]
	v_fma_f64 v[186:187], v[186:187], v[7:8], -v[190:191]
	v_mul_f64 v[190:191], v[194:195], v[5:6]
	v_fma_f64 v[133:134], v[188:189], v[7:8], v[133:134]
	s_waitcnt vmcnt(57)
	v_fma_f64 v[194:195], v[194:195], v[1:2], -v[207:208]
	ds_read_b128 v[5:8], v185 offset:1328
	v_mul_f64 v[188:189], v[198:199], v[3:4]
	s_waitcnt vmcnt(51)
	v_fma_f64 v[198:199], v[198:199], v[149:150], -v[211:212]
	v_add_f64 v[186:187], v[186:187], 0
	v_fma_f64 v[190:191], v[196:197], v[1:2], v[190:191]
	v_add_f64 v[133:134], v[133:134], 0
	s_clause 0x4
	buffer_load_dword v197, off, s[0:3], 0 offset:588
	buffer_load_dword v213, off, s[0:3], 0 offset:600
	;; [unrolled: 1-line block ×5, first 2 shown]
	s_waitcnt lgkmcnt(0)
	v_mul_f64 v[216:217], v[5:6], v[137:138]
	v_mul_f64 v[137:138], v[7:8], v[137:138]
	ds_read_b128 v[1:4], v185 offset:1344
	v_fma_f64 v[149:150], v[200:201], v[149:150], v[188:189]
	v_add_f64 v[194:195], v[186:187], v[194:195]
	v_add_f64 v[133:134], v[133:134], v[190:191]
	s_clause 0x2
	buffer_load_dword v214, off, s[0:3], 0 offset:604
	buffer_load_dword v191, off, s[0:3], 0 offset:580
	;; [unrolled: 1-line block ×3, first 2 shown]
	s_waitcnt vmcnt(58) lgkmcnt(0)
	v_mul_f64 v[200:201], v[1:2], v[141:142]
	v_mul_f64 v[141:142], v[3:4], v[141:142]
	s_waitcnt vmcnt(56)
	v_fma_f64 v[137:138], v[5:6], v[143:144], -v[137:138]
	ds_read_b128 v[186:189], v185 offset:1360
	v_fma_f64 v[143:144], v[7:8], v[143:144], v[216:217]
	v_add_f64 v[194:195], v[194:195], v[198:199]
	v_add_f64 v[133:134], v[133:134], v[149:150]
	s_clause 0x4
	buffer_load_dword v150, off, s[0:3], 0 offset:620
	buffer_load_dword v198, off, s[0:3], 0 offset:632
	;; [unrolled: 1-line block ×5, first 2 shown]
	ds_read_b128 v[5:8], v185 offset:1376
	s_waitcnt vmcnt(57) lgkmcnt(1)
	v_mul_f64 v[217:218], v[186:187], v[145:146]
	v_mul_f64 v[145:146], v[188:189], v[145:146]
	s_waitcnt vmcnt(56)
	v_fma_f64 v[141:142], v[1:2], v[135:136], -v[141:142]
	v_fma_f64 v[135:136], v[3:4], v[135:136], v[200:201]
	v_add_f64 v[137:138], v[194:195], v[137:138]
	v_add_f64 v[133:134], v[133:134], v[143:144]
	s_clause 0x2
	buffer_load_dword v199, off, s[0:3], 0 offset:636
	buffer_load_dword v144, off, s[0:3], 0 offset:612
	;; [unrolled: 1-line block ×3, first 2 shown]
	s_waitcnt vmcnt(58) lgkmcnt(0)
	v_mul_f64 v[194:195], v[5:6], v[151:152]
	v_mul_f64 v[151:152], v[7:8], v[151:152]
	s_waitcnt vmcnt(56)
	v_fma_f64 v[145:146], v[186:187], v[153:154], -v[145:146]
	ds_read_b128 v[1:4], v185 offset:1392
	v_add_f64 v[137:138], v[137:138], v[141:142]
	v_fma_f64 v[141:142], v[188:189], v[153:154], v[217:218]
	v_add_f64 v[153:154], v[133:134], v[135:136]
	s_clause 0x4
	buffer_load_dword v187, off, s[0:3], 0 offset:652
	buffer_load_dword v188, off, s[0:3], 0 offset:664
	;; [unrolled: 1-line block ×5, first 2 shown]
	ds_read_b128 v[133:136], v185 offset:1408
	s_waitcnt vmcnt(57) lgkmcnt(1)
	v_mul_f64 v[217:218], v[1:2], v[155:156]
	v_mul_f64 v[155:156], v[3:4], v[155:156]
	s_waitcnt vmcnt(56)
	v_fma_f64 v[151:152], v[5:6], v[139:140], -v[151:152]
	v_fma_f64 v[139:140], v[7:8], v[139:140], v[194:195]
	v_add_f64 v[137:138], v[137:138], v[145:146]
	s_clause 0x2
	buffer_load_dword v189, off, s[0:3], 0 offset:668
	buffer_load_dword v146, off, s[0:3], 0 offset:644
	;; [unrolled: 1-line block ×3, first 2 shown]
	v_add_f64 v[141:142], v[153:154], v[141:142]
	s_waitcnt vmcnt(58) lgkmcnt(0)
	v_mul_f64 v[153:154], v[133:134], v[159:160]
	v_mul_f64 v[159:160], v[135:136], v[159:160]
	ds_read_b128 v[5:8], v185 offset:1424
	s_waitcnt vmcnt(56)
	v_fma_f64 v[155:156], v[1:2], v[161:162], -v[155:156]
	v_add_f64 v[137:138], v[137:138], v[151:152]
	v_fma_f64 v[151:152], v[3:4], v[161:162], v[217:218]
	v_add_f64 v[139:140], v[141:142], v[139:140]
	s_clause 0x4
	buffer_load_dword v142, off, s[0:3], 0 offset:684
	buffer_load_dword v161, off, s[0:3], 0 offset:696
	;; [unrolled: 1-line block ×5, first 2 shown]
	s_waitcnt vmcnt(57) lgkmcnt(0)
	v_mul_f64 v[217:218], v[5:6], v[163:164]
	v_mul_f64 v[163:164], v[7:8], v[163:164]
	s_waitcnt vmcnt(56)
	v_fma_f64 v[159:160], v[133:134], v[147:148], -v[159:160]
	ds_read_b128 v[1:4], v185 offset:1440
	v_fma_f64 v[147:148], v[135:136], v[147:148], v[153:154]
	v_add_f64 v[137:138], v[137:138], v[155:156]
	v_add_f64 v[139:140], v[139:140], v[151:152]
	s_clause 0x2
	buffer_load_dword v162, off, s[0:3], 0 offset:700
	buffer_load_dword v152, off, s[0:3], 0 offset:676
	;; [unrolled: 1-line block ×3, first 2 shown]
	ds_read_b128 v[133:136], v185 offset:1456
	s_waitcnt vmcnt(58) lgkmcnt(1)
	v_mul_f64 v[155:156], v[3:4], v[167:168]
	s_waitcnt vmcnt(56)
	v_fma_f64 v[163:164], v[5:6], v[169:170], -v[163:164]
	v_mul_f64 v[153:154], v[1:2], v[167:168]
	v_add_f64 v[137:138], v[137:138], v[159:160]
	v_fma_f64 v[159:160], v[7:8], v[169:170], v[217:218]
	v_add_f64 v[139:140], v[139:140], v[147:148]
	s_clause 0x4
	buffer_load_dword v148, off, s[0:3], 0 offset:716
	buffer_load_dword v167, off, s[0:3], 0 offset:728
	buffer_load_dword v169, off, s[0:3], 0 offset:720
	buffer_load_dword v147, off, s[0:3], 0 offset:712
	buffer_load_dword v195, off, s[0:3], 0 offset:692
	s_waitcnt vmcnt(57) lgkmcnt(0)
	v_mul_f64 v[217:218], v[133:134], v[171:172]
	v_mul_f64 v[170:171], v[135:136], v[171:172]
	s_waitcnt vmcnt(56)
	v_fma_f64 v[155:156], v[1:2], v[157:158], -v[155:156]
	ds_read_b128 v[5:8], v185 offset:1472
	v_fma_f64 v[153:154], v[3:4], v[157:158], v[153:154]
	s_clause 0x2
	buffer_load_dword v168, off, s[0:3], 0 offset:732
	buffer_load_dword v158, off, s[0:3], 0 offset:708
	;; [unrolled: 1-line block ×3, first 2 shown]
	ds_read_b128 v[1:4], v185 offset:1488
	v_add_f64 v[137:138], v[137:138], v[163:164]
	v_add_f64 v[139:140], v[139:140], v[159:160]
	s_waitcnt vmcnt(58) lgkmcnt(1)
	v_mul_f64 v[163:164], v[7:8], v[175:176]
	s_waitcnt vmcnt(56)
	v_fma_f64 v[171:172], v[133:134], v[177:178], -v[170:171]
	v_mul_f64 v[159:160], v[5:6], v[175:176]
	v_add_f64 v[137:138], v[137:138], v[155:156]
	v_fma_f64 v[155:156], v[135:136], v[177:178], v[217:218]
	v_add_f64 v[139:140], v[139:140], v[153:154]
	s_clause 0x4
	buffer_load_dword v154, off, s[0:3], 0 offset:748
	buffer_load_dword v175, off, s[0:3], 0 offset:760
	;; [unrolled: 1-line block ×5, first 2 shown]
	s_waitcnt vmcnt(57) lgkmcnt(0)
	v_mul_f64 v[217:218], v[1:2], v[179:180]
	v_mul_f64 v[178:179], v[3:4], v[179:180]
	s_waitcnt vmcnt(56)
	v_fma_f64 v[163:164], v[5:6], v[165:166], -v[163:164]
	ds_read_b128 v[133:136], v185 offset:1504
	v_fma_f64 v[159:160], v[7:8], v[165:166], v[159:160]
	v_add_f64 v[137:138], v[137:138], v[171:172]
	v_add_f64 v[139:140], v[139:140], v[155:156]
	s_clause 0x2
	buffer_load_dword v176, off, s[0:3], 0 offset:764
	buffer_load_dword v156, off, s[0:3], 0 offset:740
	;; [unrolled: 1-line block ×3, first 2 shown]
	ds_read_b128 v[5:8], v185 offset:1520
	s_waitcnt vmcnt(58) lgkmcnt(1)
	v_mul_f64 v[171:172], v[135:136], v[181:182]
	s_waitcnt vmcnt(56)
	v_fma_f64 v[179:180], v[1:2], v[183:184], -v[178:179]
	v_mul_f64 v[165:166], v[133:134], v[181:182]
	v_add_f64 v[137:138], v[137:138], v[163:164]
	v_fma_f64 v[163:164], v[3:4], v[183:184], v[217:218]
	v_add_f64 v[139:140], v[139:140], v[159:160]
	s_clause 0x4
	buffer_load_dword v160, off, s[0:3], 0 offset:780
	buffer_load_dword v181, off, s[0:3], 0 offset:792
	;; [unrolled: 1-line block ×5, first 2 shown]
	s_waitcnt vmcnt(57) lgkmcnt(0)
	v_mul_f64 v[217:218], v[5:6], v[202:203]
	v_mul_f64 v[202:203], v[7:8], v[202:203]
	s_waitcnt vmcnt(56)
	v_fma_f64 v[171:172], v[133:134], v[173:174], -v[171:172]
	ds_read_b128 v[1:4], v185 offset:1536
	v_fma_f64 v[165:166], v[135:136], v[173:174], v[165:166]
	v_add_f64 v[137:138], v[137:138], v[179:180]
	v_add_f64 v[139:140], v[139:140], v[163:164]
	s_clause 0x2
	buffer_load_dword v182, off, s[0:3], 0 offset:796
	buffer_load_dword v164, off, s[0:3], 0 offset:772
	;; [unrolled: 1-line block ×3, first 2 shown]
	ds_read_b128 v[133:136], v185 offset:1552
	s_waitcnt vmcnt(58) lgkmcnt(1)
	v_mul_f64 v[179:180], v[3:4], v[204:205]
	s_waitcnt vmcnt(56)
	v_fma_f64 v[202:203], v[5:6], v[209:210], -v[202:203]
	v_mul_f64 v[173:174], v[1:2], v[204:205]
	v_add_f64 v[137:138], v[137:138], v[171:172]
	v_fma_f64 v[171:172], v[7:8], v[209:210], v[217:218]
	v_add_f64 v[139:140], v[139:140], v[165:166]
	s_clause 0x4
	buffer_load_dword v166, off, s[0:3], 0 offset:812
	buffer_load_dword v204, off, s[0:3], 0 offset:824
	;; [unrolled: 1-line block ×5, first 2 shown]
	ds_read_b128 v[5:8], v185 offset:1568
	s_waitcnt vmcnt(57) lgkmcnt(1)
	v_mul_f64 v[209:210], v[133:134], v[196:197]
	v_mul_f64 v[196:197], v[135:136], v[196:197]
	s_waitcnt vmcnt(56)
	v_fma_f64 v[179:180], v[1:2], v[206:207], -v[179:180]
	v_fma_f64 v[173:174], v[3:4], v[206:207], v[173:174]
	v_add_f64 v[137:138], v[137:138], v[202:203]
	v_add_f64 v[139:140], v[139:140], v[171:172]
	s_clause 0x2
	buffer_load_dword v205, off, s[0:3], 0 offset:828
	buffer_load_dword v172, off, s[0:3], 0 offset:804
	;; [unrolled: 1-line block ×3, first 2 shown]
	ds_read_b128 v[1:4], v185 offset:1584
	s_waitcnt vmcnt(58) lgkmcnt(1)
	v_mul_f64 v[206:207], v[7:8], v[213:214]
	v_mul_f64 v[202:203], v[5:6], v[213:214]
	s_waitcnt vmcnt(56)
	v_fma_f64 v[196:197], v[133:134], v[190:191], -v[196:197]
	v_add_f64 v[137:138], v[137:138], v[179:180]
	v_fma_f64 v[179:180], v[135:136], v[190:191], v[209:210]
	v_add_f64 v[139:140], v[139:140], v[173:174]
	s_clause 0x4
	buffer_load_dword v174, off, s[0:3], 0 offset:844
	buffer_load_dword v190, off, s[0:3], 0 offset:856
	buffer_load_dword v213, off, s[0:3], 0 offset:848
	buffer_load_dword v173, off, s[0:3], 0 offset:840
	buffer_load_dword v209, off, s[0:3], 0 offset:820
	ds_read_b128 v[133:136], v185 offset:1600
	s_waitcnt vmcnt(57) lgkmcnt(1)
	v_mul_f64 v[217:218], v[1:2], v[149:150]
	v_mul_f64 v[149:150], v[3:4], v[149:150]
	s_waitcnt vmcnt(56)
	v_fma_f64 v[206:207], v[5:6], v[215:216], -v[206:207]
	v_add_f64 v[137:138], v[137:138], v[196:197]
	v_fma_f64 v[196:197], v[7:8], v[215:216], v[202:203]
	v_add_f64 v[139:140], v[139:140], v[179:180]
	s_clause 0x2
	buffer_load_dword v191, off, s[0:3], 0 offset:860
	buffer_load_dword v180, off, s[0:3], 0 offset:836
	buffer_load_dword v179, off, s[0:3], 0 offset:832
	ds_read_b128 v[5:8], v185 offset:1616
	s_waitcnt vmcnt(58) lgkmcnt(1)
	v_mul_f64 v[202:203], v[133:134], v[198:199]
	v_mul_f64 v[198:199], v[135:136], v[198:199]
	s_waitcnt vmcnt(56)
	v_fma_f64 v[149:150], v[1:2], v[143:144], -v[149:150]
	v_fma_f64 v[143:144], v[3:4], v[143:144], v[217:218]
	v_add_f64 v[137:138], v[137:138], v[206:207]
	v_add_f64 v[139:140], v[139:140], v[196:197]
	s_clause 0x4
	buffer_load_dword v197, off, s[0:3], 0 offset:876
	buffer_load_dword v206, off, s[0:3], 0 offset:888
	buffer_load_dword v210, off, s[0:3], 0 offset:880
	buffer_load_dword v196, off, s[0:3], 0 offset:872
	buffer_load_dword v214, off, s[0:3], 0 offset:852
	ds_read_b128 v[1:4], v185 offset:1632
	s_waitcnt vmcnt(57) lgkmcnt(1)
	v_mul_f64 v[215:216], v[5:6], v[186:187]
	v_mul_f64 v[186:187], v[7:8], v[186:187]
	s_waitcnt vmcnt(56)
	v_fma_f64 v[198:199], v[133:134], v[211:212], -v[198:199]
	v_add_f64 v[137:138], v[137:138], v[149:150]
	v_fma_f64 v[149:150], v[135:136], v[211:212], v[202:203]
	v_add_f64 v[139:140], v[139:140], v[143:144]
	s_clause 0x2
	buffer_load_dword v207, off, s[0:3], 0 offset:892
	buffer_load_dword v144, off, s[0:3], 0 offset:868
	buffer_load_dword v143, off, s[0:3], 0 offset:864
	ds_read_b128 v[133:136], v185 offset:1648
	s_waitcnt vmcnt(58) lgkmcnt(1)
	v_mul_f64 v[202:203], v[1:2], v[188:189]
	v_mul_f64 v[188:189], v[3:4], v[188:189]
	s_waitcnt vmcnt(56)
	v_fma_f64 v[186:187], v[5:6], v[145:146], -v[186:187]
	v_fma_f64 v[145:146], v[7:8], v[145:146], v[215:216]
	v_add_f64 v[137:138], v[137:138], v[198:199]
	;; [unrolled: 28-line block ×3, first 2 shown]
	v_add_f64 v[139:140], v[139:140], v[186:187]
	s_clause 0x4
	buffer_load_dword v187, off, s[0:3], 0 offset:940
	buffer_load_dword v188, off, s[0:3], 0 offset:952
	;; [unrolled: 1-line block ×5, first 2 shown]
	ds_read_b128 v[133:136], v185 offset:1696
	s_waitcnt vmcnt(57) lgkmcnt(1)
	v_mul_f64 v[217:218], v[1:2], v[147:148]
	v_mul_f64 v[147:148], v[3:4], v[147:148]
	s_waitcnt vmcnt(56)
	v_fma_f64 v[161:162], v[5:6], v[194:195], -v[161:162]
	v_add_f64 v[137:138], v[137:138], v[141:142]
	v_fma_f64 v[141:142], v[7:8], v[194:195], v[200:201]
	v_add_f64 v[139:140], v[139:140], v[151:152]
	s_clause 0x2
	buffer_load_dword v189, off, s[0:3], 0 offset:956
	buffer_load_dword v152, off, s[0:3], 0 offset:932
	;; [unrolled: 1-line block ×3, first 2 shown]
	s_waitcnt vmcnt(58) lgkmcnt(0)
	v_mul_f64 v[194:195], v[133:134], v[167:168]
	v_mul_f64 v[167:168], v[135:136], v[167:168]
	ds_read_b128 v[5:8], v185 offset:1712
	s_waitcnt vmcnt(56)
	v_fma_f64 v[147:148], v[1:2], v[157:158], -v[147:148]
	v_fma_f64 v[157:158], v[3:4], v[157:158], v[217:218]
	v_add_f64 v[137:138], v[137:138], v[161:162]
	v_add_f64 v[139:140], v[139:140], v[141:142]
	s_clause 0x4
	buffer_load_dword v142, off, s[0:3], 0 offset:972
	buffer_load_dword v161, off, s[0:3], 0 offset:984
	;; [unrolled: 1-line block ×5, first 2 shown]
	ds_read_b128 v[1:4], v185 offset:1728
	s_waitcnt vmcnt(57) lgkmcnt(1)
	v_mul_f64 v[217:218], v[5:6], v[153:154]
	v_mul_f64 v[153:154], v[7:8], v[153:154]
	s_waitcnt vmcnt(56)
	v_fma_f64 v[167:168], v[133:134], v[169:170], -v[167:168]
	v_add_f64 v[137:138], v[137:138], v[147:148]
	v_fma_f64 v[147:148], v[135:136], v[169:170], v[194:195]
	v_add_f64 v[139:140], v[139:140], v[157:158]
	s_clause 0x2
	buffer_load_dword v162, off, s[0:3], 0 offset:988
	buffer_load_dword v158, off, s[0:3], 0 offset:964
	;; [unrolled: 1-line block ×3, first 2 shown]
	ds_read_b128 v[133:136], v185 offset:1744
	s_waitcnt vmcnt(58) lgkmcnt(1)
	v_mul_f64 v[169:170], v[1:2], v[175:176]
	v_mul_f64 v[175:176], v[3:4], v[175:176]
	s_waitcnt vmcnt(56)
	v_fma_f64 v[153:154], v[5:6], v[155:156], -v[153:154]
	v_fma_f64 v[155:156], v[7:8], v[155:156], v[217:218]
	v_add_f64 v[137:138], v[137:138], v[167:168]
	v_add_f64 v[139:140], v[139:140], v[147:148]
	s_clause 0x2
	buffer_load_dword v148, off, s[0:3], 0 offset:1004
	buffer_load_dword v147, off, s[0:3], 0 offset:1000
	buffer_load_dword v201, off, s[0:3], 0 offset:980
	ds_read_b128 v[5:8], v185 offset:1760
	s_waitcnt vmcnt(55) lgkmcnt(1)
	v_mul_f64 v[167:168], v[133:134], v[159:160]
	v_mul_f64 v[159:160], v[135:136], v[159:160]
	s_waitcnt vmcnt(54)
	v_fma_f64 v[175:176], v[1:2], v[177:178], -v[175:176]
	v_add_f64 v[137:138], v[137:138], v[153:154]
	v_fma_f64 v[153:154], v[3:4], v[177:178], v[169:170]
	v_add_f64 v[139:140], v[139:140], v[155:156]
	s_clause 0x1
	buffer_load_dword v156, off, s[0:3], 0 offset:996
	buffer_load_dword v155, off, s[0:3], 0 offset:992
	ds_read_b128 v[1:4], v185 offset:1776
	s_waitcnt vmcnt(55) lgkmcnt(1)
	v_mul_f64 v[177:178], v[7:8], v[181:182]
	v_mul_f64 v[169:170], v[5:6], v[181:182]
	s_waitcnt vmcnt(53)
	v_fma_f64 v[159:160], v[133:134], v[163:164], -v[159:160]
	v_fma_f64 v[163:164], v[135:136], v[163:164], v[167:168]
	ds_read_b128 v[133:136], v185 offset:1792
	v_add_f64 v[137:138], v[137:138], v[175:176]
	v_add_f64 v[139:140], v[139:140], v[153:154]
	s_waitcnt vmcnt(49) lgkmcnt(1)
	v_mul_f64 v[153:154], v[1:2], v[165:166]
	v_mul_f64 v[165:166], v[3:4], v[165:166]
	s_waitcnt vmcnt(48)
	v_fma_f64 v[167:168], v[5:6], v[183:184], -v[177:178]
	v_add_f64 v[137:138], v[137:138], v[159:160]
	v_fma_f64 v[159:160], v[7:8], v[183:184], v[169:170]
	v_add_f64 v[139:140], v[139:140], v[163:164]
	s_clause 0x3
	buffer_load_dword v163, off, s[0:3], 0 offset:288
	buffer_load_dword v164, off, s[0:3], 0 offset:292
	;; [unrolled: 1-line block ×4, first 2 shown]
	ds_read_b128 v[5:8], v185 offset:1808
	s_waitcnt vmcnt(51) lgkmcnt(1)
	v_mul_f64 v[177:178], v[135:136], v[204:205]
	v_mul_f64 v[175:176], v[133:134], v[204:205]
	s_waitcnt vmcnt(49)
	v_fma_f64 v[165:166], v[1:2], v[171:172], -v[165:166]
	v_fma_f64 v[153:154], v[3:4], v[171:172], v[153:154]
	ds_read_b128 v[1:4], v185 offset:1824
	v_add_f64 v[137:138], v[137:138], v[167:168]
	v_add_f64 v[139:140], v[139:140], v[159:160]
	s_waitcnt vmcnt(45) lgkmcnt(1)
	v_mul_f64 v[167:168], v[7:8], v[173:174]
	s_waitcnt vmcnt(44)
	v_fma_f64 v[171:172], v[133:134], v[208:209], -v[177:178]
	v_mul_f64 v[159:160], v[5:6], v[173:174]
	v_add_f64 v[137:138], v[137:138], v[165:166]
	v_fma_f64 v[165:166], v[135:136], v[208:209], v[175:176]
	v_add_f64 v[139:140], v[139:140], v[153:154]
	ds_read_b128 v[133:136], v185 offset:1840
	s_waitcnt vmcnt(43) lgkmcnt(1)
	v_mul_f64 v[173:174], v[3:4], v[190:191]
	v_mul_f64 v[153:154], v[1:2], v[190:191]
	s_waitcnt vmcnt(41)
	v_fma_f64 v[167:168], v[5:6], v[179:180], -v[167:168]
	v_fma_f64 v[159:160], v[7:8], v[179:180], v[159:160]
	ds_read_b128 v[5:8], v185 offset:1856
	v_add_f64 v[137:138], v[137:138], v[171:172]
	v_add_f64 v[139:140], v[139:140], v[165:166]
	s_waitcnt vmcnt(37) lgkmcnt(1)
	v_mul_f64 v[171:172], v[135:136], v[196:197]
	s_waitcnt vmcnt(36)
	v_fma_f64 v[173:174], v[1:2], v[213:214], -v[173:174]
	v_mul_f64 v[165:166], v[133:134], v[196:197]
	v_fma_f64 v[153:154], v[3:4], v[213:214], v[153:154]
	ds_read_b128 v[1:4], v185 offset:1872
	v_add_f64 v[137:138], v[137:138], v[167:168]
	v_add_f64 v[139:140], v[139:140], v[159:160]
	s_waitcnt vmcnt(35) lgkmcnt(1)
	v_mul_f64 v[167:168], v[7:8], v[206:207]
	v_mul_f64 v[159:160], v[5:6], v[206:207]
	s_waitcnt vmcnt(33)
	v_fma_f64 v[171:172], v[133:134], v[143:144], -v[171:172]
	v_fma_f64 v[143:144], v[135:136], v[143:144], v[165:166]
	ds_read_b128 v[133:136], v185 offset:1888
	v_add_f64 v[137:138], v[137:138], v[173:174]
	v_add_f64 v[139:140], v[139:140], v[153:154]
	s_waitcnt vmcnt(29) lgkmcnt(1)
	v_mul_f64 v[153:154], v[1:2], v[149:150]
	v_mul_f64 v[149:150], v[3:4], v[149:150]
	s_waitcnt vmcnt(28)
	v_fma_f64 v[165:166], v[5:6], v[210:211], -v[167:168]
	;; [unrolled: 9-line block ×3, first 2 shown]
	v_fma_f64 v[145:146], v[3:4], v[145:146], v[153:154]
	ds_read_b128 v[1:4], v185 offset:1920
	v_add_f64 v[137:138], v[137:138], v[165:166]
	v_add_f64 v[139:140], v[139:140], v[159:160]
	s_waitcnt vmcnt(21) lgkmcnt(1)
	v_mul_f64 v[159:160], v[7:8], v[186:187]
	s_waitcnt vmcnt(20)
	v_fma_f64 v[165:166], v[133:134], v[215:216], -v[167:168]
	v_mul_f64 v[153:154], v[5:6], v[186:187]
	v_fma_f64 v[143:144], v[135:136], v[215:216], v[143:144]
	ds_read_b128 v[133:136], v185 offset:1936
	v_add_f64 v[137:138], v[137:138], v[149:150]
	v_add_f64 v[139:140], v[139:140], v[145:146]
	s_waitcnt vmcnt(19) lgkmcnt(1)
	v_mul_f64 v[149:150], v[3:4], v[188:189]
	v_mul_f64 v[145:146], v[1:2], v[188:189]
	s_waitcnt vmcnt(17)
	v_fma_f64 v[159:160], v[5:6], v[151:152], -v[159:160]
	v_fma_f64 v[151:152], v[7:8], v[151:152], v[153:154]
	ds_read_b128 v[5:8], v185 offset:1952
	v_add_f64 v[137:138], v[137:138], v[165:166]
	v_add_f64 v[139:140], v[139:140], v[143:144]
	s_waitcnt vmcnt(13) lgkmcnt(1)
	v_mul_f64 v[143:144], v[133:134], v[141:142]
	v_mul_f64 v[141:142], v[135:136], v[141:142]
	s_waitcnt vmcnt(12)
	v_fma_f64 v[149:150], v[1:2], v[202:203], -v[149:150]
	;; [unrolled: 9-line block ×3, first 2 shown]
	v_fma_f64 v[135:136], v[135:136], v[157:158], v[143:144]
	v_add_f64 v[137:138], v[137:138], v[149:150]
	v_add_f64 v[139:140], v[139:140], v[145:146]
	s_waitcnt vmcnt(7) lgkmcnt(0)
	v_mul_f64 v[143:144], v[3:4], v[147:148]
	s_waitcnt vmcnt(6)
	v_fma_f64 v[5:6], v[5:6], v[200:201], -v[153:154]
	v_mul_f64 v[141:142], v[1:2], v[147:148]
	v_fma_f64 v[7:8], v[7:8], v[200:201], v[151:152]
	v_add_f64 v[133:134], v[137:138], v[133:134]
	v_add_f64 v[135:136], v[139:140], v[135:136]
	s_waitcnt vmcnt(4)
	v_fma_f64 v[1:2], v[1:2], v[155:156], -v[143:144]
	v_fma_f64 v[3:4], v[3:4], v[155:156], v[141:142]
	v_add_f64 v[5:6], v[133:134], v[5:6]
	v_add_f64 v[7:8], v[135:136], v[7:8]
	;; [unrolled: 1-line block ×4, first 2 shown]
	s_waitcnt vmcnt(2)
	v_add_f64 v[1:2], v[163:164], -v[1:2]
	s_waitcnt vmcnt(0)
	v_add_f64 v[3:4], v[169:170], -v[3:4]
	buffer_store_dword v2, off, s[0:3], 0 offset:292
	buffer_store_dword v1, off, s[0:3], 0 offset:288
	;; [unrolled: 1-line block ×4, first 2 shown]
	v_cmpx_lt_u32_e32 16, v0
	s_cbranch_execz .LBB125_365
; %bb.364:
	v_mov_b32_e32 v4, s60
	v_mov_b32_e32 v5, 0
	s_clause 0x3
	buffer_load_dword v1, v4, s[0:3], 0 offen
	buffer_load_dword v2, v4, s[0:3], 0 offen offset:4
	buffer_load_dword v3, v4, s[0:3], 0 offen offset:8
	buffer_load_dword v4, v4, s[0:3], 0 offen offset:12
	buffer_store_dword v5, off, s[0:3], 0 offset:272
	buffer_store_dword v5, off, s[0:3], 0 offset:276
	;; [unrolled: 1-line block ×4, first 2 shown]
	s_waitcnt vmcnt(0)
	ds_write_b128 v193, v[1:4]
.LBB125_365:
	s_or_b32 exec_lo, exec_lo, s4
	s_waitcnt lgkmcnt(0)
	s_waitcnt_vscnt null, 0x0
	s_barrier
	buffer_gl0_inv
	s_clause 0x37
	buffer_load_dword v137, off, s[0:3], 0 offset:296
	buffer_load_dword v138, off, s[0:3], 0 offset:300
	;; [unrolled: 1-line block ×56, first 2 shown]
	v_mov_b32_e32 v194, 0
	s_mov_b32 s4, exec_lo
	ds_read_b128 v[189:192], v194 offset:1264
	s_clause 0x2
	buffer_load_dword v186, off, s[0:3], 0 offset:524
	buffer_load_dword v188, off, s[0:3], 0 offset:500
	;; [unrolled: 1-line block ×3, first 2 shown]
	ds_read_b128 v[1:4], v194 offset:1280
	s_clause 0x4
	buffer_load_dword v202, off, s[0:3], 0 offset:540
	buffer_load_dword v203, off, s[0:3], 0 offset:552
	buffer_load_dword v205, off, s[0:3], 0 offset:544
	buffer_load_dword v201, off, s[0:3], 0 offset:536
	buffer_load_dword v178, off, s[0:3], 0 offset:516
	ds_read_b128 v[195:198], v194 offset:1296
	s_waitcnt vmcnt(62) lgkmcnt(2)
	v_mul_f64 v[199:200], v[191:192], v[137:138]
	v_mul_f64 v[137:138], v[189:190], v[137:138]
	s_waitcnt vmcnt(60) lgkmcnt(1)
	v_mul_f64 v[206:207], v[3:4], v[133:134]
	s_waitcnt vmcnt(56) lgkmcnt(0)
	v_mul_f64 v[208:209], v[195:196], v[7:8]
	v_mul_f64 v[7:8], v[197:198], v[7:8]
	v_fma_f64 v[189:190], v[189:190], v[135:136], -v[199:200]
	v_mul_f64 v[199:200], v[1:2], v[133:134]
	v_fma_f64 v[137:138], v[191:192], v[135:136], v[137:138]
	s_clause 0x2
	buffer_load_dword v204, off, s[0:3], 0 offset:556
	buffer_load_dword v192, off, s[0:3], 0 offset:532
	;; [unrolled: 1-line block ×3, first 2 shown]
	s_waitcnt vmcnt(57)
	v_fma_f64 v[210:211], v[1:2], v[5:6], -v[206:207]
	ds_read_b128 v[133:136], v194 offset:1312
	s_waitcnt vmcnt(51)
	v_fma_f64 v[195:196], v[195:196], v[153:154], -v[7:8]
	v_fma_f64 v[153:154], v[197:198], v[153:154], v[208:209]
	v_add_f64 v[189:190], v[189:190], 0
	v_fma_f64 v[5:6], v[3:4], v[5:6], v[199:200]
	v_add_f64 v[137:138], v[137:138], 0
	s_clause 0x4
	buffer_load_dword v200, off, s[0:3], 0 offset:572
	buffer_load_dword v207, off, s[0:3], 0 offset:584
	;; [unrolled: 1-line block ×5, first 2 shown]
	s_waitcnt lgkmcnt(0)
	v_mul_f64 v[213:214], v[133:134], v[141:142]
	v_mul_f64 v[141:142], v[135:136], v[141:142]
	ds_read_b128 v[1:4], v194 offset:1328
	s_clause 0x2
	buffer_load_dword v208, off, s[0:3], 0 offset:588
	buffer_load_dword v198, off, s[0:3], 0 offset:564
	;; [unrolled: 1-line block ×3, first 2 shown]
	v_add_f64 v[189:190], v[189:190], v[210:211]
	v_add_f64 v[137:138], v[137:138], v[5:6]
	ds_read_b128 v[5:8], v194 offset:1344
	s_waitcnt vmcnt(58) lgkmcnt(1)
	v_mul_f64 v[209:210], v[1:2], v[145:146]
	v_mul_f64 v[145:146], v[3:4], v[145:146]
	s_waitcnt vmcnt(56)
	v_fma_f64 v[141:142], v[133:134], v[147:148], -v[141:142]
	v_fma_f64 v[147:148], v[135:136], v[147:148], v[213:214]
	v_add_f64 v[189:190], v[189:190], v[195:196]
	s_waitcnt vmcnt(52) lgkmcnt(0)
	v_mul_f64 v[215:216], v[5:6], v[149:150]
	v_add_f64 v[137:138], v[137:138], v[153:154]
	s_clause 0x4
	buffer_load_dword v154, off, s[0:3], 0 offset:604
	buffer_load_dword v195, off, s[0:3], 0 offset:616
	;; [unrolled: 1-line block ×5, first 2 shown]
	v_mul_f64 v[149:150], v[7:8], v[149:150]
	s_waitcnt vmcnt(56)
	v_fma_f64 v[145:146], v[1:2], v[139:140], -v[145:146]
	ds_read_b128 v[133:136], v194 offset:1360
	v_fma_f64 v[139:140], v[3:4], v[139:140], v[209:210]
	v_add_f64 v[141:142], v[189:190], v[141:142]
	v_add_f64 v[137:138], v[137:138], v[147:148]
	s_clause 0x2
	buffer_load_dword v196, off, s[0:3], 0 offset:620
	buffer_load_dword v148, off, s[0:3], 0 offset:596
	;; [unrolled: 1-line block ×3, first 2 shown]
	s_waitcnt vmcnt(58) lgkmcnt(0)
	v_mul_f64 v[189:190], v[133:134], v[155:156]
	v_mul_f64 v[155:156], v[135:136], v[155:156]
	s_waitcnt vmcnt(56)
	v_fma_f64 v[149:150], v[5:6], v[157:158], -v[149:150]
	ds_read_b128 v[1:4], v194 offset:1376
	v_add_f64 v[141:142], v[141:142], v[145:146]
	v_fma_f64 v[145:146], v[7:8], v[157:158], v[215:216]
	v_add_f64 v[137:138], v[137:138], v[139:140]
	s_clause 0x4
	buffer_load_dword v140, off, s[0:3], 0 offset:636
	buffer_load_dword v157, off, s[0:3], 0 offset:648
	;; [unrolled: 1-line block ×5, first 2 shown]
	ds_read_b128 v[5:8], v194 offset:1392
	s_waitcnt vmcnt(57) lgkmcnt(1)
	v_mul_f64 v[210:211], v[1:2], v[159:160]
	v_mul_f64 v[159:160], v[3:4], v[159:160]
	s_waitcnt vmcnt(56)
	v_fma_f64 v[155:156], v[133:134], v[143:144], -v[155:156]
	v_fma_f64 v[143:144], v[135:136], v[143:144], v[189:190]
	v_add_f64 v[141:142], v[141:142], v[149:150]
	v_add_f64 v[137:138], v[137:138], v[145:146]
	s_clause 0x2
	buffer_load_dword v158, off, s[0:3], 0 offset:652
	buffer_load_dword v146, off, s[0:3], 0 offset:628
	;; [unrolled: 1-line block ×3, first 2 shown]
	s_waitcnt vmcnt(58) lgkmcnt(0)
	v_mul_f64 v[149:150], v[5:6], v[163:164]
	v_mul_f64 v[163:164], v[7:8], v[163:164]
	s_waitcnt vmcnt(56)
	v_fma_f64 v[159:160], v[1:2], v[165:166], -v[159:160]
	ds_read_b128 v[133:136], v194 offset:1408
	v_add_f64 v[141:142], v[141:142], v[155:156]
	v_fma_f64 v[155:156], v[3:4], v[165:166], v[210:211]
	v_add_f64 v[137:138], v[137:138], v[143:144]
	s_clause 0x4
	buffer_load_dword v144, off, s[0:3], 0 offset:668
	buffer_load_dword v165, off, s[0:3], 0 offset:680
	;; [unrolled: 1-line block ×5, first 2 shown]
	ds_read_b128 v[1:4], v194 offset:1424
	s_waitcnt vmcnt(57) lgkmcnt(1)
	v_mul_f64 v[216:217], v[133:134], v[167:168]
	v_mul_f64 v[167:168], v[135:136], v[167:168]
	s_waitcnt vmcnt(56)
	v_fma_f64 v[163:164], v[5:6], v[151:152], -v[163:164]
	v_fma_f64 v[149:150], v[7:8], v[151:152], v[149:150]
	s_clause 0x2
	buffer_load_dword v166, off, s[0:3], 0 offset:684
	buffer_load_dword v152, off, s[0:3], 0 offset:660
	;; [unrolled: 1-line block ×3, first 2 shown]
	ds_read_b128 v[5:8], v194 offset:1440
	v_add_f64 v[141:142], v[141:142], v[159:160]
	v_add_f64 v[137:138], v[137:138], v[155:156]
	s_waitcnt vmcnt(58) lgkmcnt(1)
	v_mul_f64 v[159:160], v[3:4], v[171:172]
	v_mul_f64 v[155:156], v[1:2], v[171:172]
	s_waitcnt vmcnt(56)
	v_fma_f64 v[167:168], v[133:134], v[173:174], -v[167:168]
	v_add_f64 v[141:142], v[141:142], v[163:164]
	v_fma_f64 v[163:164], v[135:136], v[173:174], v[216:217]
	v_add_f64 v[137:138], v[137:138], v[149:150]
	s_clause 0x4
	buffer_load_dword v150, off, s[0:3], 0 offset:700
	buffer_load_dword v171, off, s[0:3], 0 offset:712
	;; [unrolled: 1-line block ×5, first 2 shown]
	s_waitcnt vmcnt(57) lgkmcnt(0)
	v_mul_f64 v[216:217], v[5:6], v[175:176]
	v_mul_f64 v[174:175], v[7:8], v[175:176]
	s_waitcnt vmcnt(56)
	v_fma_f64 v[159:160], v[1:2], v[161:162], -v[159:160]
	ds_read_b128 v[133:136], v194 offset:1456
	v_fma_f64 v[155:156], v[3:4], v[161:162], v[155:156]
	s_clause 0x2
	buffer_load_dword v172, off, s[0:3], 0 offset:716
	buffer_load_dword v162, off, s[0:3], 0 offset:692
	;; [unrolled: 1-line block ×3, first 2 shown]
	ds_read_b128 v[1:4], v194 offset:1472
	v_add_f64 v[141:142], v[141:142], v[167:168]
	v_add_f64 v[137:138], v[137:138], v[163:164]
	s_waitcnt vmcnt(58) lgkmcnt(1)
	v_mul_f64 v[167:168], v[135:136], v[179:180]
	s_waitcnt vmcnt(56)
	v_fma_f64 v[175:176], v[5:6], v[181:182], -v[174:175]
	v_mul_f64 v[163:164], v[133:134], v[179:180]
	v_add_f64 v[141:142], v[141:142], v[159:160]
	v_fma_f64 v[159:160], v[7:8], v[181:182], v[216:217]
	v_add_f64 v[137:138], v[137:138], v[155:156]
	s_clause 0x4
	buffer_load_dword v156, off, s[0:3], 0 offset:732
	buffer_load_dword v179, off, s[0:3], 0 offset:744
	;; [unrolled: 1-line block ×5, first 2 shown]
	s_waitcnt vmcnt(57) lgkmcnt(0)
	v_mul_f64 v[216:217], v[1:2], v[183:184]
	v_mul_f64 v[182:183], v[3:4], v[183:184]
	s_waitcnt vmcnt(56)
	v_fma_f64 v[167:168], v[133:134], v[169:170], -v[167:168]
	ds_read_b128 v[5:8], v194 offset:1488
	v_fma_f64 v[163:164], v[135:136], v[169:170], v[163:164]
	v_add_f64 v[141:142], v[141:142], v[175:176]
	v_add_f64 v[137:138], v[137:138], v[159:160]
	s_clause 0x2
	buffer_load_dword v180, off, s[0:3], 0 offset:748
	buffer_load_dword v160, off, s[0:3], 0 offset:724
	;; [unrolled: 1-line block ×3, first 2 shown]
	ds_read_b128 v[133:136], v194 offset:1504
	s_waitcnt vmcnt(58) lgkmcnt(1)
	v_mul_f64 v[175:176], v[7:8], v[185:186]
	s_waitcnt vmcnt(56)
	v_fma_f64 v[183:184], v[1:2], v[187:188], -v[182:183]
	v_mul_f64 v[169:170], v[5:6], v[185:186]
	v_add_f64 v[141:142], v[141:142], v[167:168]
	v_fma_f64 v[167:168], v[3:4], v[187:188], v[216:217]
	v_add_f64 v[137:138], v[137:138], v[163:164]
	s_clause 0x4
	buffer_load_dword v164, off, s[0:3], 0 offset:764
	buffer_load_dword v185, off, s[0:3], 0 offset:776
	buffer_load_dword v187, off, s[0:3], 0 offset:768
	buffer_load_dword v163, off, s[0:3], 0 offset:760
	buffer_load_dword v182, off, s[0:3], 0 offset:740
	s_waitcnt vmcnt(57) lgkmcnt(0)
	v_mul_f64 v[216:217], v[133:134], v[201:202]
	v_mul_f64 v[201:202], v[135:136], v[201:202]
	s_waitcnt vmcnt(56)
	v_fma_f64 v[175:176], v[5:6], v[177:178], -v[175:176]
	ds_read_b128 v[1:4], v194 offset:1520
	v_fma_f64 v[169:170], v[7:8], v[177:178], v[169:170]
	v_add_f64 v[141:142], v[141:142], v[183:184]
	v_add_f64 v[137:138], v[137:138], v[167:168]
	s_clause 0x2
	buffer_load_dword v186, off, s[0:3], 0 offset:780
	buffer_load_dword v168, off, s[0:3], 0 offset:756
	;; [unrolled: 1-line block ×3, first 2 shown]
	ds_read_b128 v[5:8], v194 offset:1536
	s_waitcnt vmcnt(58) lgkmcnt(1)
	v_mul_f64 v[183:184], v[3:4], v[203:204]
	v_mul_f64 v[177:178], v[1:2], v[203:204]
	s_waitcnt vmcnt(56)
	v_fma_f64 v[201:202], v[133:134], v[191:192], -v[201:202]
	v_add_f64 v[141:142], v[141:142], v[175:176]
	v_fma_f64 v[175:176], v[135:136], v[191:192], v[216:217]
	v_add_f64 v[137:138], v[137:138], v[169:170]
	s_clause 0x4
	buffer_load_dword v170, off, s[0:3], 0 offset:796
	buffer_load_dword v191, off, s[0:3], 0 offset:808
	;; [unrolled: 1-line block ×5, first 2 shown]
	ds_read_b128 v[133:136], v194 offset:1552
	s_waitcnt vmcnt(57) lgkmcnt(1)
	v_mul_f64 v[216:217], v[5:6], v[199:200]
	v_mul_f64 v[199:200], v[7:8], v[199:200]
	s_waitcnt vmcnt(56)
	v_fma_f64 v[183:184], v[1:2], v[205:206], -v[183:184]
	v_fma_f64 v[177:178], v[3:4], v[205:206], v[177:178]
	v_add_f64 v[141:142], v[141:142], v[201:202]
	v_add_f64 v[137:138], v[137:138], v[175:176]
	s_clause 0x2
	buffer_load_dword v192, off, s[0:3], 0 offset:812
	buffer_load_dword v176, off, s[0:3], 0 offset:788
	;; [unrolled: 1-line block ×3, first 2 shown]
	s_waitcnt vmcnt(58) lgkmcnt(0)
	v_mul_f64 v[205:206], v[135:136], v[207:208]
	ds_read_b128 v[1:4], v194 offset:1568
	v_mul_f64 v[201:202], v[133:134], v[207:208]
	s_waitcnt vmcnt(56)
	v_fma_f64 v[199:200], v[5:6], v[197:198], -v[199:200]
	v_add_f64 v[141:142], v[141:142], v[183:184]
	v_fma_f64 v[183:184], v[7:8], v[197:198], v[216:217]
	v_add_f64 v[137:138], v[137:138], v[177:178]
	s_clause 0x4
	buffer_load_dword v178, off, s[0:3], 0 offset:828
	buffer_load_dword v197, off, s[0:3], 0 offset:840
	buffer_load_dword v207, off, s[0:3], 0 offset:832
	buffer_load_dword v177, off, s[0:3], 0 offset:824
	buffer_load_dword v204, off, s[0:3], 0 offset:804
	ds_read_b128 v[5:8], v194 offset:1584
	s_waitcnt vmcnt(57) lgkmcnt(1)
	v_mul_f64 v[216:217], v[1:2], v[153:154]
	v_mul_f64 v[153:154], v[3:4], v[153:154]
	s_waitcnt vmcnt(56)
	v_fma_f64 v[205:206], v[133:134], v[212:213], -v[205:206]
	v_add_f64 v[141:142], v[141:142], v[199:200]
	v_fma_f64 v[199:200], v[135:136], v[212:213], v[201:202]
	v_add_f64 v[137:138], v[137:138], v[183:184]
	s_clause 0x2
	buffer_load_dword v198, off, s[0:3], 0 offset:844
	buffer_load_dword v184, off, s[0:3], 0 offset:820
	;; [unrolled: 1-line block ×3, first 2 shown]
	ds_read_b128 v[133:136], v194 offset:1600
	s_waitcnt vmcnt(58) lgkmcnt(1)
	v_mul_f64 v[201:202], v[5:6], v[195:196]
	v_mul_f64 v[195:196], v[7:8], v[195:196]
	s_waitcnt vmcnt(56)
	v_fma_f64 v[153:154], v[1:2], v[147:148], -v[153:154]
	v_fma_f64 v[147:148], v[3:4], v[147:148], v[216:217]
	v_add_f64 v[141:142], v[141:142], v[205:206]
	v_add_f64 v[137:138], v[137:138], v[199:200]
	s_clause 0x4
	buffer_load_dword v200, off, s[0:3], 0 offset:860
	buffer_load_dword v205, off, s[0:3], 0 offset:872
	;; [unrolled: 1-line block ×5, first 2 shown]
	ds_read_b128 v[1:4], v194 offset:1616
	s_waitcnt vmcnt(57) lgkmcnt(1)
	v_mul_f64 v[212:213], v[133:134], v[139:140]
	v_mul_f64 v[139:140], v[135:136], v[139:140]
	s_waitcnt vmcnt(56)
	v_fma_f64 v[195:196], v[5:6], v[214:215], -v[195:196]
	v_add_f64 v[141:142], v[141:142], v[153:154]
	v_fma_f64 v[153:154], v[7:8], v[214:215], v[201:202]
	v_add_f64 v[137:138], v[137:138], v[147:148]
	s_clause 0x2
	buffer_load_dword v206, off, s[0:3], 0 offset:876
	buffer_load_dword v148, off, s[0:3], 0 offset:852
	buffer_load_dword v147, off, s[0:3], 0 offset:848
	ds_read_b128 v[5:8], v194 offset:1632
	s_waitcnt vmcnt(58) lgkmcnt(1)
	v_mul_f64 v[201:202], v[1:2], v[157:158]
	v_mul_f64 v[157:158], v[3:4], v[157:158]
	s_waitcnt vmcnt(56)
	v_fma_f64 v[139:140], v[133:134], v[145:146], -v[139:140]
	v_fma_f64 v[145:146], v[135:136], v[145:146], v[212:213]
	v_add_f64 v[141:142], v[141:142], v[195:196]
	v_add_f64 v[137:138], v[137:138], v[153:154]
	s_clause 0x4
	buffer_load_dword v154, off, s[0:3], 0 offset:892
	buffer_load_dword v195, off, s[0:3], 0 offset:904
	;; [unrolled: 1-line block ×5, first 2 shown]
	ds_read_b128 v[133:136], v194 offset:1648
	s_waitcnt vmcnt(57) lgkmcnt(1)
	v_mul_f64 v[214:215], v[5:6], v[143:144]
	v_mul_f64 v[143:144], v[7:8], v[143:144]
	s_waitcnt vmcnt(56)
	v_fma_f64 v[157:158], v[1:2], v[209:210], -v[157:158]
	v_add_f64 v[139:140], v[141:142], v[139:140]
	v_fma_f64 v[141:142], v[3:4], v[209:210], v[201:202]
	v_add_f64 v[137:138], v[137:138], v[145:146]
	s_clause 0x2
	buffer_load_dword v196, off, s[0:3], 0 offset:908
	buffer_load_dword v146, off, s[0:3], 0 offset:884
	buffer_load_dword v145, off, s[0:3], 0 offset:880
	s_waitcnt vmcnt(58) lgkmcnt(0)
	v_mul_f64 v[201:202], v[133:134], v[165:166]
	v_mul_f64 v[165:166], v[135:136], v[165:166]
	ds_read_b128 v[1:4], v194 offset:1664
	s_waitcnt vmcnt(56)
	v_fma_f64 v[143:144], v[5:6], v[151:152], -v[143:144]
	v_fma_f64 v[151:152], v[7:8], v[151:152], v[214:215]
	v_add_f64 v[139:140], v[139:140], v[157:158]
	v_add_f64 v[137:138], v[137:138], v[141:142]
	s_clause 0x4
	buffer_load_dword v142, off, s[0:3], 0 offset:924
	buffer_load_dword v157, off, s[0:3], 0 offset:936
	;; [unrolled: 1-line block ×5, first 2 shown]
	ds_read_b128 v[5:8], v194 offset:1680
	s_waitcnt vmcnt(57) lgkmcnt(1)
	v_mul_f64 v[215:216], v[1:2], v[149:150]
	v_mul_f64 v[149:150], v[3:4], v[149:150]
	s_waitcnt vmcnt(56)
	v_fma_f64 v[165:166], v[133:134], v[189:190], -v[165:166]
	v_add_f64 v[139:140], v[139:140], v[143:144]
	v_fma_f64 v[143:144], v[135:136], v[189:190], v[201:202]
	v_add_f64 v[137:138], v[137:138], v[151:152]
	s_clause 0x2
	buffer_load_dword v158, off, s[0:3], 0 offset:940
	buffer_load_dword v152, off, s[0:3], 0 offset:916
	;; [unrolled: 1-line block ×3, first 2 shown]
	s_waitcnt vmcnt(58) lgkmcnt(0)
	v_mul_f64 v[189:190], v[5:6], v[171:172]
	v_mul_f64 v[171:172], v[7:8], v[171:172]
	ds_read_b128 v[133:136], v194 offset:1696
	s_waitcnt vmcnt(56)
	v_fma_f64 v[149:150], v[1:2], v[161:162], -v[149:150]
	v_fma_f64 v[161:162], v[3:4], v[161:162], v[215:216]
	v_add_f64 v[139:140], v[139:140], v[165:166]
	v_add_f64 v[137:138], v[137:138], v[143:144]
	s_clause 0x4
	buffer_load_dword v144, off, s[0:3], 0 offset:956
	buffer_load_dword v165, off, s[0:3], 0 offset:968
	;; [unrolled: 1-line block ×5, first 2 shown]
	ds_read_b128 v[1:4], v194 offset:1712
	s_waitcnt vmcnt(57) lgkmcnt(1)
	v_mul_f64 v[215:216], v[133:134], v[155:156]
	v_mul_f64 v[155:156], v[135:136], v[155:156]
	s_waitcnt vmcnt(56)
	v_fma_f64 v[171:172], v[5:6], v[173:174], -v[171:172]
	v_add_f64 v[139:140], v[139:140], v[149:150]
	v_fma_f64 v[149:150], v[7:8], v[173:174], v[189:190]
	v_add_f64 v[137:138], v[137:138], v[161:162]
	s_clause 0x2
	buffer_load_dword v166, off, s[0:3], 0 offset:972
	buffer_load_dword v162, off, s[0:3], 0 offset:948
	;; [unrolled: 1-line block ×3, first 2 shown]
	ds_read_b128 v[5:8], v194 offset:1728
	s_waitcnt vmcnt(58) lgkmcnt(1)
	v_mul_f64 v[173:174], v[1:2], v[179:180]
	v_mul_f64 v[179:180], v[3:4], v[179:180]
	s_waitcnt vmcnt(56)
	v_fma_f64 v[155:156], v[133:134], v[159:160], -v[155:156]
	v_fma_f64 v[159:160], v[135:136], v[159:160], v[215:216]
	v_add_f64 v[139:140], v[139:140], v[171:172]
	v_add_f64 v[137:138], v[137:138], v[149:150]
	s_clause 0x4
	buffer_load_dword v150, off, s[0:3], 0 offset:988
	buffer_load_dword v171, off, s[0:3], 0 offset:1000
	;; [unrolled: 1-line block ×5, first 2 shown]
	ds_read_b128 v[133:136], v194 offset:1744
	s_waitcnt vmcnt(57) lgkmcnt(1)
	v_mul_f64 v[215:216], v[5:6], v[163:164]
	v_mul_f64 v[163:164], v[7:8], v[163:164]
	s_waitcnt vmcnt(56)
	v_fma_f64 v[179:180], v[1:2], v[181:182], -v[179:180]
	v_add_f64 v[139:140], v[139:140], v[155:156]
	v_fma_f64 v[155:156], v[3:4], v[181:182], v[173:174]
	v_add_f64 v[137:138], v[137:138], v[159:160]
	s_clause 0x2
	buffer_load_dword v172, off, s[0:3], 0 offset:1004
	buffer_load_dword v160, off, s[0:3], 0 offset:980
	;; [unrolled: 1-line block ×3, first 2 shown]
	ds_read_b128 v[1:4], v194 offset:1760
	buffer_load_dword v190, off, s[0:3], 0 offset:996
	s_waitcnt vmcnt(59) lgkmcnt(1)
	v_mul_f64 v[181:182], v[135:136], v[185:186]
	v_mul_f64 v[173:174], v[133:134], v[185:186]
	s_waitcnt vmcnt(57)
	v_fma_f64 v[163:164], v[5:6], v[167:168], -v[163:164]
	v_fma_f64 v[167:168], v[7:8], v[167:168], v[215:216]
	ds_read_b128 v[5:8], v194 offset:1776
	v_add_f64 v[139:140], v[139:140], v[179:180]
	v_add_f64 v[137:138], v[137:138], v[155:156]
	s_waitcnt vmcnt(53) lgkmcnt(1)
	v_mul_f64 v[155:156], v[1:2], v[169:170]
	v_mul_f64 v[169:170], v[3:4], v[169:170]
	s_waitcnt vmcnt(52)
	v_fma_f64 v[179:180], v[133:134], v[187:188], -v[181:182]
	v_add_f64 v[139:140], v[139:140], v[163:164]
	v_fma_f64 v[163:164], v[135:136], v[187:188], v[173:174]
	v_add_f64 v[137:138], v[137:138], v[167:168]
	ds_read_b128 v[133:136], v194 offset:1792
	s_waitcnt vmcnt(51) lgkmcnt(1)
	v_mul_f64 v[173:174], v[7:8], v[191:192]
	v_mul_f64 v[167:168], v[5:6], v[191:192]
	s_waitcnt vmcnt(49)
	v_fma_f64 v[169:170], v[1:2], v[175:176], -v[169:170]
	v_fma_f64 v[155:156], v[3:4], v[175:176], v[155:156]
	v_add_f64 v[139:140], v[139:140], v[179:180]
	v_add_f64 v[137:138], v[137:138], v[163:164]
	s_clause 0x3
	buffer_load_dword v163, off, s[0:3], 0 offset:272
	buffer_load_dword v164, off, s[0:3], 0 offset:276
	;; [unrolled: 1-line block ×4, first 2 shown]
	ds_read_b128 v[1:4], v194 offset:1808
	s_waitcnt vmcnt(49) lgkmcnt(1)
	v_mul_f64 v[179:180], v[133:134], v[177:178]
	v_mul_f64 v[177:178], v[135:136], v[177:178]
	s_waitcnt vmcnt(48)
	v_fma_f64 v[173:174], v[5:6], v[203:204], -v[173:174]
	v_fma_f64 v[167:168], v[7:8], v[203:204], v[167:168]
	ds_read_b128 v[5:8], v194 offset:1824
	v_add_f64 v[139:140], v[139:140], v[169:170]
	v_add_f64 v[137:138], v[137:138], v[155:156]
	s_waitcnt vmcnt(47) lgkmcnt(1)
	v_mul_f64 v[169:170], v[3:4], v[197:198]
	v_mul_f64 v[155:156], v[1:2], v[197:198]
	s_waitcnt vmcnt(45)
	v_fma_f64 v[177:178], v[133:134], v[183:184], -v[177:178]
	v_add_f64 v[139:140], v[139:140], v[173:174]
	v_fma_f64 v[173:174], v[135:136], v[183:184], v[179:180]
	v_add_f64 v[137:138], v[137:138], v[167:168]
	ds_read_b128 v[133:136], v194 offset:1840
	s_waitcnt vmcnt(41) lgkmcnt(1)
	v_mul_f64 v[179:180], v[7:8], v[199:200]
	s_waitcnt vmcnt(40)
	v_fma_f64 v[169:170], v[1:2], v[207:208], -v[169:170]
	v_mul_f64 v[167:168], v[5:6], v[199:200]
	v_fma_f64 v[155:156], v[3:4], v[207:208], v[155:156]
	ds_read_b128 v[1:4], v194 offset:1856
	v_add_f64 v[139:140], v[139:140], v[177:178]
	v_add_f64 v[137:138], v[137:138], v[173:174]
	s_waitcnt vmcnt(39) lgkmcnt(1)
	v_mul_f64 v[177:178], v[135:136], v[205:206]
	v_mul_f64 v[173:174], v[133:134], v[205:206]
	s_waitcnt vmcnt(37)
	v_fma_f64 v[179:180], v[5:6], v[147:148], -v[179:180]
	v_fma_f64 v[147:148], v[7:8], v[147:148], v[167:168]
	ds_read_b128 v[5:8], v194 offset:1872
	v_add_f64 v[139:140], v[139:140], v[169:170]
	v_add_f64 v[137:138], v[137:138], v[155:156]
	s_waitcnt vmcnt(33) lgkmcnt(1)
	v_mul_f64 v[155:156], v[1:2], v[153:154]
	v_mul_f64 v[153:154], v[3:4], v[153:154]
	s_waitcnt vmcnt(32)
	v_fma_f64 v[167:168], v[133:134], v[211:212], -v[177:178]
	;; [unrolled: 9-line block ×6, first 2 shown]
	v_add_f64 v[139:140], v[139:140], v[141:142]
	v_fma_f64 v[141:142], v[3:4], v[209:210], v[145:146]
	v_add_f64 v[137:138], v[137:138], v[151:152]
	ds_read_b128 v[1:4], v194 offset:1952
	s_waitcnt vmcnt(15) lgkmcnt(1)
	v_mul_f64 v[151:152], v[135:136], v[165:166]
	v_mul_f64 v[145:146], v[133:134], v[165:166]
	s_waitcnt vmcnt(13)
	v_fma_f64 v[143:144], v[5:6], v[161:162], -v[143:144]
	v_fma_f64 v[147:148], v[7:8], v[161:162], v[147:148]
	ds_read_b128 v[5:8], v194 offset:1968
	v_add_f64 v[139:140], v[139:140], v[153:154]
	v_add_f64 v[137:138], v[137:138], v[141:142]
	s_waitcnt vmcnt(9) lgkmcnt(1)
	v_mul_f64 v[141:142], v[1:2], v[149:150]
	v_mul_f64 v[149:150], v[3:4], v[149:150]
	s_waitcnt vmcnt(8)
	v_fma_f64 v[133:134], v[133:134], v[201:202], -v[151:152]
	v_fma_f64 v[135:136], v[135:136], v[201:202], v[145:146]
	v_add_f64 v[139:140], v[139:140], v[143:144]
	v_add_f64 v[137:138], v[137:138], v[147:148]
	s_waitcnt vmcnt(7) lgkmcnt(0)
	v_mul_f64 v[145:146], v[7:8], v[171:172]
	v_mul_f64 v[143:144], v[5:6], v[171:172]
	s_waitcnt vmcnt(5)
	v_fma_f64 v[1:2], v[1:2], v[159:160], -v[149:150]
	v_fma_f64 v[3:4], v[3:4], v[159:160], v[141:142]
	v_add_f64 v[133:134], v[139:140], v[133:134]
	v_add_f64 v[135:136], v[137:138], v[135:136]
	s_waitcnt vmcnt(4)
	v_fma_f64 v[5:6], v[5:6], v[189:190], -v[145:146]
	v_fma_f64 v[7:8], v[7:8], v[189:190], v[143:144]
	v_add_f64 v[1:2], v[133:134], v[1:2]
	v_add_f64 v[3:4], v[135:136], v[3:4]
	v_add_f64 v[1:2], v[1:2], v[5:6]
	v_add_f64 v[3:4], v[3:4], v[7:8]
	s_waitcnt vmcnt(2)
	v_add_f64 v[1:2], v[163:164], -v[1:2]
	s_waitcnt vmcnt(0)
	v_add_f64 v[3:4], v[175:176], -v[3:4]
	buffer_store_dword v2, off, s[0:3], 0 offset:276
	buffer_store_dword v1, off, s[0:3], 0 offset:272
	;; [unrolled: 1-line block ×4, first 2 shown]
	v_cmpx_lt_u32_e32 15, v0
	s_cbranch_execz .LBB125_367
; %bb.366:
	v_mov_b32_e32 v4, s61
	s_clause 0x3
	buffer_load_dword v1, v4, s[0:3], 0 offen
	buffer_load_dword v2, v4, s[0:3], 0 offen offset:4
	buffer_load_dword v3, v4, s[0:3], 0 offen offset:8
	;; [unrolled: 1-line block ×3, first 2 shown]
	buffer_store_dword v194, off, s[0:3], 0 offset:256
	buffer_store_dword v194, off, s[0:3], 0 offset:260
	buffer_store_dword v194, off, s[0:3], 0 offset:264
	buffer_store_dword v194, off, s[0:3], 0 offset:268
	s_waitcnt vmcnt(0)
	ds_write_b128 v193, v[1:4]
.LBB125_367:
	s_or_b32 exec_lo, exec_lo, s4
	s_waitcnt lgkmcnt(0)
	s_waitcnt_vscnt null, 0x0
	s_barrier
	buffer_gl0_inv
	s_clause 0x37
	buffer_load_dword v141, off, s[0:3], 0 offset:280
	buffer_load_dword v142, off, s[0:3], 0 offset:284
	;; [unrolled: 1-line block ×56, first 2 shown]
	ds_read_b128 v[5:8], v194 offset:1248
	s_clause 0x2
	buffer_load_dword v190, off, s[0:3], 0 offset:508
	buffer_load_dword v192, off, s[0:3], 0 offset:484
	;; [unrolled: 1-line block ×3, first 2 shown]
	ds_read_b128 v[1:4], v194 offset:1264
	s_clause 0x4
	buffer_load_dword v202, off, s[0:3], 0 offset:524
	buffer_load_dword v203, off, s[0:3], 0 offset:536
	;; [unrolled: 1-line block ×5, first 2 shown]
	ds_read_b128 v[195:198], v194 offset:1280
	s_mov_b32 s4, exec_lo
	s_waitcnt vmcnt(62) lgkmcnt(2)
	v_mul_f64 v[199:200], v[7:8], v[141:142]
	v_mul_f64 v[141:142], v[5:6], v[141:142]
	s_waitcnt vmcnt(60) lgkmcnt(1)
	v_mul_f64 v[206:207], v[3:4], v[137:138]
	v_mul_f64 v[137:138], v[1:2], v[137:138]
	;; [unrolled: 3-line block ×3, first 2 shown]
	v_fma_f64 v[199:200], v[5:6], v[139:140], -v[199:200]
	v_fma_f64 v[139:140], v[7:8], v[139:140], v[141:142]
	s_clause 0x2
	buffer_load_dword v204, off, s[0:3], 0 offset:540
	buffer_load_dword v142, off, s[0:3], 0 offset:516
	buffer_load_dword v141, off, s[0:3], 0 offset:512
	s_waitcnt vmcnt(57)
	v_fma_f64 v[210:211], v[1:2], v[133:134], -v[206:207]
	ds_read_b128 v[5:8], v194 offset:1296
	v_fma_f64 v[133:134], v[3:4], v[133:134], v[137:138]
	s_waitcnt vmcnt(51)
	v_fma_f64 v[195:196], v[195:196], v[157:158], -v[135:136]
	v_fma_f64 v[157:158], v[197:198], v[157:158], v[208:209]
	v_add_f64 v[199:200], v[199:200], 0
	v_add_f64 v[137:138], v[139:140], 0
	s_clause 0x4
	buffer_load_dword v140, off, s[0:3], 0 offset:556
	buffer_load_dword v207, off, s[0:3], 0 offset:568
	;; [unrolled: 1-line block ×5, first 2 shown]
	s_waitcnt lgkmcnt(0)
	v_mul_f64 v[213:214], v[5:6], v[145:146]
	v_mul_f64 v[145:146], v[7:8], v[145:146]
	ds_read_b128 v[1:4], v194 offset:1312
	s_clause 0x2
	buffer_load_dword v208, off, s[0:3], 0 offset:572
	buffer_load_dword v198, off, s[0:3], 0 offset:548
	;; [unrolled: 1-line block ×3, first 2 shown]
	v_add_f64 v[199:200], v[199:200], v[210:211]
	v_add_f64 v[137:138], v[137:138], v[133:134]
	ds_read_b128 v[133:136], v194 offset:1328
	s_waitcnt vmcnt(58) lgkmcnt(1)
	v_mul_f64 v[209:210], v[1:2], v[149:150]
	v_mul_f64 v[149:150], v[3:4], v[149:150]
	s_waitcnt vmcnt(56)
	v_fma_f64 v[145:146], v[5:6], v[151:152], -v[145:146]
	v_fma_f64 v[151:152], v[7:8], v[151:152], v[213:214]
	s_waitcnt vmcnt(52) lgkmcnt(0)
	v_mul_f64 v[215:216], v[133:134], v[153:154]
	v_add_f64 v[195:196], v[199:200], v[195:196]
	v_add_f64 v[137:138], v[137:138], v[157:158]
	s_clause 0x4
	buffer_load_dword v158, off, s[0:3], 0 offset:588
	buffer_load_dword v199, off, s[0:3], 0 offset:600
	;; [unrolled: 1-line block ×5, first 2 shown]
	v_mul_f64 v[153:154], v[135:136], v[153:154]
	s_waitcnt vmcnt(56)
	v_fma_f64 v[149:150], v[1:2], v[143:144], -v[149:150]
	ds_read_b128 v[5:8], v194 offset:1344
	v_fma_f64 v[143:144], v[3:4], v[143:144], v[209:210]
	v_add_f64 v[145:146], v[195:196], v[145:146]
	v_add_f64 v[137:138], v[137:138], v[151:152]
	s_clause 0x2
	buffer_load_dword v200, off, s[0:3], 0 offset:604
	buffer_load_dword v152, off, s[0:3], 0 offset:580
	;; [unrolled: 1-line block ×3, first 2 shown]
	s_waitcnt vmcnt(58) lgkmcnt(0)
	v_mul_f64 v[195:196], v[5:6], v[159:160]
	v_mul_f64 v[159:160], v[7:8], v[159:160]
	s_waitcnt vmcnt(56)
	v_fma_f64 v[153:154], v[133:134], v[161:162], -v[153:154]
	ds_read_b128 v[1:4], v194 offset:1360
	v_add_f64 v[145:146], v[145:146], v[149:150]
	v_fma_f64 v[149:150], v[135:136], v[161:162], v[215:216]
	v_add_f64 v[137:138], v[137:138], v[143:144]
	s_clause 0x4
	buffer_load_dword v144, off, s[0:3], 0 offset:620
	buffer_load_dword v161, off, s[0:3], 0 offset:632
	;; [unrolled: 1-line block ×5, first 2 shown]
	s_waitcnt vmcnt(57) lgkmcnt(0)
	v_mul_f64 v[210:211], v[1:2], v[163:164]
	v_mul_f64 v[163:164], v[3:4], v[163:164]
	s_waitcnt vmcnt(56)
	v_fma_f64 v[159:160], v[5:6], v[147:148], -v[159:160]
	ds_read_b128 v[133:136], v194 offset:1376
	v_fma_f64 v[147:148], v[7:8], v[147:148], v[195:196]
	v_add_f64 v[145:146], v[145:146], v[153:154]
	v_add_f64 v[137:138], v[137:138], v[149:150]
	s_clause 0x2
	buffer_load_dword v162, off, s[0:3], 0 offset:636
	buffer_load_dword v150, off, s[0:3], 0 offset:612
	buffer_load_dword v149, off, s[0:3], 0 offset:608
	ds_read_b128 v[5:8], v194 offset:1392
	s_waitcnt vmcnt(58) lgkmcnt(1)
	v_mul_f64 v[153:154], v[133:134], v[167:168]
	v_mul_f64 v[167:168], v[135:136], v[167:168]
	s_waitcnt vmcnt(56)
	v_fma_f64 v[163:164], v[1:2], v[169:170], -v[163:164]
	v_add_f64 v[145:146], v[145:146], v[159:160]
	v_fma_f64 v[159:160], v[3:4], v[169:170], v[210:211]
	v_add_f64 v[137:138], v[137:138], v[147:148]
	s_clause 0x4
	buffer_load_dword v148, off, s[0:3], 0 offset:652
	buffer_load_dword v169, off, s[0:3], 0 offset:664
	;; [unrolled: 1-line block ×5, first 2 shown]
	s_waitcnt vmcnt(57) lgkmcnt(0)
	v_mul_f64 v[216:217], v[5:6], v[171:172]
	v_mul_f64 v[171:172], v[7:8], v[171:172]
	s_waitcnt vmcnt(56)
	v_fma_f64 v[167:168], v[133:134], v[155:156], -v[167:168]
	ds_read_b128 v[1:4], v194 offset:1408
	v_fma_f64 v[153:154], v[135:136], v[155:156], v[153:154]
	s_clause 0x2
	buffer_load_dword v170, off, s[0:3], 0 offset:668
	buffer_load_dword v156, off, s[0:3], 0 offset:644
	;; [unrolled: 1-line block ×3, first 2 shown]
	ds_read_b128 v[133:136], v194 offset:1424
	v_add_f64 v[145:146], v[145:146], v[163:164]
	v_add_f64 v[137:138], v[137:138], v[159:160]
	s_waitcnt vmcnt(58) lgkmcnt(1)
	v_mul_f64 v[163:164], v[3:4], v[175:176]
	s_waitcnt vmcnt(56)
	v_fma_f64 v[171:172], v[5:6], v[177:178], -v[171:172]
	v_mul_f64 v[159:160], v[1:2], v[175:176]
	v_add_f64 v[145:146], v[145:146], v[167:168]
	v_fma_f64 v[167:168], v[7:8], v[177:178], v[216:217]
	v_add_f64 v[137:138], v[137:138], v[153:154]
	s_clause 0x4
	buffer_load_dword v154, off, s[0:3], 0 offset:684
	buffer_load_dword v175, off, s[0:3], 0 offset:696
	;; [unrolled: 1-line block ×5, first 2 shown]
	s_waitcnt vmcnt(57) lgkmcnt(0)
	v_mul_f64 v[216:217], v[133:134], v[179:180]
	v_mul_f64 v[178:179], v[135:136], v[179:180]
	s_waitcnt vmcnt(56)
	v_fma_f64 v[163:164], v[1:2], v[165:166], -v[163:164]
	ds_read_b128 v[5:8], v194 offset:1440
	v_fma_f64 v[159:160], v[3:4], v[165:166], v[159:160]
	s_clause 0x2
	buffer_load_dword v176, off, s[0:3], 0 offset:700
	buffer_load_dword v166, off, s[0:3], 0 offset:676
	;; [unrolled: 1-line block ×3, first 2 shown]
	ds_read_b128 v[1:4], v194 offset:1456
	v_add_f64 v[145:146], v[145:146], v[171:172]
	v_add_f64 v[137:138], v[137:138], v[167:168]
	s_waitcnt vmcnt(58) lgkmcnt(1)
	v_mul_f64 v[171:172], v[7:8], v[183:184]
	s_waitcnt vmcnt(56)
	v_fma_f64 v[179:180], v[133:134], v[185:186], -v[178:179]
	v_mul_f64 v[167:168], v[5:6], v[183:184]
	v_add_f64 v[145:146], v[145:146], v[163:164]
	v_fma_f64 v[163:164], v[135:136], v[185:186], v[216:217]
	v_add_f64 v[137:138], v[137:138], v[159:160]
	s_clause 0x4
	buffer_load_dword v160, off, s[0:3], 0 offset:716
	buffer_load_dword v183, off, s[0:3], 0 offset:728
	;; [unrolled: 1-line block ×5, first 2 shown]
	s_waitcnt vmcnt(57) lgkmcnt(0)
	v_mul_f64 v[216:217], v[1:2], v[187:188]
	v_mul_f64 v[186:187], v[3:4], v[187:188]
	s_waitcnt vmcnt(56)
	v_fma_f64 v[171:172], v[5:6], v[173:174], -v[171:172]
	ds_read_b128 v[133:136], v194 offset:1472
	v_fma_f64 v[167:168], v[7:8], v[173:174], v[167:168]
	v_add_f64 v[145:146], v[145:146], v[179:180]
	v_add_f64 v[137:138], v[137:138], v[163:164]
	s_clause 0x2
	buffer_load_dword v184, off, s[0:3], 0 offset:732
	buffer_load_dword v164, off, s[0:3], 0 offset:708
	;; [unrolled: 1-line block ×3, first 2 shown]
	ds_read_b128 v[5:8], v194 offset:1488
	s_waitcnt vmcnt(58) lgkmcnt(1)
	v_mul_f64 v[179:180], v[135:136], v[189:190]
	s_waitcnt vmcnt(56)
	v_fma_f64 v[187:188], v[1:2], v[191:192], -v[186:187]
	v_mul_f64 v[173:174], v[133:134], v[189:190]
	v_add_f64 v[145:146], v[145:146], v[171:172]
	v_fma_f64 v[171:172], v[3:4], v[191:192], v[216:217]
	v_add_f64 v[137:138], v[137:138], v[167:168]
	s_clause 0x4
	buffer_load_dword v168, off, s[0:3], 0 offset:748
	buffer_load_dword v189, off, s[0:3], 0 offset:760
	;; [unrolled: 1-line block ×5, first 2 shown]
	s_waitcnt vmcnt(57) lgkmcnt(0)
	v_mul_f64 v[216:217], v[5:6], v[201:202]
	v_mul_f64 v[201:202], v[7:8], v[201:202]
	s_waitcnt vmcnt(56)
	v_fma_f64 v[179:180], v[133:134], v[181:182], -v[179:180]
	ds_read_b128 v[1:4], v194 offset:1504
	v_fma_f64 v[173:174], v[135:136], v[181:182], v[173:174]
	v_add_f64 v[145:146], v[145:146], v[187:188]
	v_add_f64 v[137:138], v[137:138], v[171:172]
	s_clause 0x2
	buffer_load_dword v190, off, s[0:3], 0 offset:764
	buffer_load_dword v172, off, s[0:3], 0 offset:740
	;; [unrolled: 1-line block ×3, first 2 shown]
	ds_read_b128 v[133:136], v194 offset:1520
	s_waitcnt vmcnt(58) lgkmcnt(1)
	v_mul_f64 v[187:188], v[3:4], v[203:204]
	v_mul_f64 v[181:182], v[1:2], v[203:204]
	s_waitcnt vmcnt(56)
	v_fma_f64 v[201:202], v[5:6], v[141:142], -v[201:202]
	v_fma_f64 v[141:142], v[7:8], v[141:142], v[216:217]
	v_add_f64 v[145:146], v[145:146], v[179:180]
	v_add_f64 v[137:138], v[137:138], v[173:174]
	s_clause 0x4
	buffer_load_dword v174, off, s[0:3], 0 offset:780
	buffer_load_dword v179, off, s[0:3], 0 offset:792
	;; [unrolled: 1-line block ×5, first 2 shown]
	ds_read_b128 v[5:8], v194 offset:1536
	s_waitcnt vmcnt(57) lgkmcnt(1)
	v_mul_f64 v[216:217], v[133:134], v[139:140]
	v_mul_f64 v[139:140], v[135:136], v[139:140]
	s_waitcnt vmcnt(56)
	v_fma_f64 v[187:188], v[1:2], v[205:206], -v[187:188]
	v_fma_f64 v[181:182], v[3:4], v[205:206], v[181:182]
	v_add_f64 v[145:146], v[145:146], v[201:202]
	v_add_f64 v[137:138], v[137:138], v[141:142]
	s_clause 0x2
	buffer_load_dword v180, off, s[0:3], 0 offset:796
	buffer_load_dword v142, off, s[0:3], 0 offset:772
	;; [unrolled: 1-line block ×3, first 2 shown]
	s_waitcnt vmcnt(58) lgkmcnt(0)
	v_mul_f64 v[205:206], v[7:8], v[207:208]
	ds_read_b128 v[1:4], v194 offset:1552
	v_mul_f64 v[201:202], v[5:6], v[207:208]
	s_waitcnt vmcnt(56)
	v_fma_f64 v[139:140], v[133:134], v[197:198], -v[139:140]
	v_add_f64 v[145:146], v[145:146], v[187:188]
	v_fma_f64 v[187:188], v[135:136], v[197:198], v[216:217]
	v_add_f64 v[137:138], v[137:138], v[181:182]
	s_clause 0x4
	buffer_load_dword v182, off, s[0:3], 0 offset:812
	buffer_load_dword v197, off, s[0:3], 0 offset:824
	buffer_load_dword v207, off, s[0:3], 0 offset:816
	buffer_load_dword v181, off, s[0:3], 0 offset:808
	buffer_load_dword v204, off, s[0:3], 0 offset:788
	ds_read_b128 v[133:136], v194 offset:1568
	s_waitcnt vmcnt(57) lgkmcnt(1)
	v_mul_f64 v[216:217], v[1:2], v[157:158]
	v_mul_f64 v[157:158], v[3:4], v[157:158]
	s_waitcnt vmcnt(56)
	v_fma_f64 v[205:206], v[5:6], v[212:213], -v[205:206]
	v_add_f64 v[139:140], v[145:146], v[139:140]
	v_fma_f64 v[145:146], v[7:8], v[212:213], v[201:202]
	v_add_f64 v[137:138], v[137:138], v[187:188]
	s_clause 0x2
	buffer_load_dword v198, off, s[0:3], 0 offset:828
	buffer_load_dword v188, off, s[0:3], 0 offset:804
	;; [unrolled: 1-line block ×3, first 2 shown]
	ds_read_b128 v[5:8], v194 offset:1584
	s_waitcnt vmcnt(58) lgkmcnt(1)
	v_mul_f64 v[201:202], v[133:134], v[199:200]
	v_mul_f64 v[199:200], v[135:136], v[199:200]
	s_waitcnt vmcnt(56)
	v_fma_f64 v[157:158], v[1:2], v[151:152], -v[157:158]
	v_fma_f64 v[151:152], v[3:4], v[151:152], v[216:217]
	v_add_f64 v[139:140], v[139:140], v[205:206]
	v_add_f64 v[137:138], v[137:138], v[145:146]
	s_clause 0x4
	buffer_load_dword v146, off, s[0:3], 0 offset:844
	buffer_load_dword v205, off, s[0:3], 0 offset:856
	;; [unrolled: 1-line block ×5, first 2 shown]
	ds_read_b128 v[1:4], v194 offset:1600
	s_waitcnt vmcnt(57) lgkmcnt(1)
	v_mul_f64 v[212:213], v[5:6], v[143:144]
	v_mul_f64 v[143:144], v[7:8], v[143:144]
	s_waitcnt vmcnt(56)
	v_fma_f64 v[199:200], v[133:134], v[214:215], -v[199:200]
	v_add_f64 v[139:140], v[139:140], v[157:158]
	v_fma_f64 v[157:158], v[135:136], v[214:215], v[201:202]
	v_add_f64 v[137:138], v[137:138], v[151:152]
	s_clause 0x2
	buffer_load_dword v206, off, s[0:3], 0 offset:860
	buffer_load_dword v152, off, s[0:3], 0 offset:836
	;; [unrolled: 1-line block ×3, first 2 shown]
	ds_read_b128 v[133:136], v194 offset:1616
	s_waitcnt vmcnt(58) lgkmcnt(1)
	v_mul_f64 v[201:202], v[1:2], v[161:162]
	v_mul_f64 v[161:162], v[3:4], v[161:162]
	s_waitcnt vmcnt(56)
	v_fma_f64 v[143:144], v[5:6], v[149:150], -v[143:144]
	v_fma_f64 v[149:150], v[7:8], v[149:150], v[212:213]
	v_add_f64 v[139:140], v[139:140], v[199:200]
	v_add_f64 v[137:138], v[137:138], v[157:158]
	s_clause 0x4
	buffer_load_dword v158, off, s[0:3], 0 offset:876
	buffer_load_dword v199, off, s[0:3], 0 offset:888
	;; [unrolled: 1-line block ×5, first 2 shown]
	ds_read_b128 v[5:8], v194 offset:1632
	s_waitcnt vmcnt(57) lgkmcnt(1)
	v_mul_f64 v[214:215], v[133:134], v[147:148]
	v_mul_f64 v[147:148], v[135:136], v[147:148]
	s_waitcnt vmcnt(56)
	v_fma_f64 v[161:162], v[1:2], v[209:210], -v[161:162]
	v_add_f64 v[139:140], v[139:140], v[143:144]
	v_fma_f64 v[143:144], v[3:4], v[209:210], v[201:202]
	v_add_f64 v[137:138], v[137:138], v[149:150]
	s_clause 0x2
	buffer_load_dword v200, off, s[0:3], 0 offset:892
	buffer_load_dword v150, off, s[0:3], 0 offset:868
	;; [unrolled: 1-line block ×3, first 2 shown]
	s_waitcnt vmcnt(58) lgkmcnt(0)
	v_mul_f64 v[201:202], v[5:6], v[169:170]
	v_mul_f64 v[169:170], v[7:8], v[169:170]
	ds_read_b128 v[1:4], v194 offset:1648
	s_waitcnt vmcnt(56)
	v_fma_f64 v[147:148], v[133:134], v[155:156], -v[147:148]
	v_fma_f64 v[155:156], v[135:136], v[155:156], v[214:215]
	v_add_f64 v[139:140], v[139:140], v[161:162]
	v_add_f64 v[137:138], v[137:138], v[143:144]
	s_clause 0x4
	buffer_load_dword v144, off, s[0:3], 0 offset:908
	buffer_load_dword v161, off, s[0:3], 0 offset:920
	buffer_load_dword v209, off, s[0:3], 0 offset:912
	buffer_load_dword v143, off, s[0:3], 0 offset:904
	buffer_load_dword v214, off, s[0:3], 0 offset:884
	ds_read_b128 v[133:136], v194 offset:1664
	s_waitcnt vmcnt(57) lgkmcnt(1)
	v_mul_f64 v[215:216], v[1:2], v[153:154]
	v_mul_f64 v[153:154], v[3:4], v[153:154]
	s_waitcnt vmcnt(56)
	v_fma_f64 v[169:170], v[5:6], v[195:196], -v[169:170]
	v_add_f64 v[139:140], v[139:140], v[147:148]
	v_fma_f64 v[147:148], v[7:8], v[195:196], v[201:202]
	v_add_f64 v[137:138], v[137:138], v[155:156]
	s_clause 0x2
	buffer_load_dword v162, off, s[0:3], 0 offset:924
	buffer_load_dword v156, off, s[0:3], 0 offset:900
	;; [unrolled: 1-line block ×3, first 2 shown]
	s_waitcnt vmcnt(58) lgkmcnt(0)
	v_mul_f64 v[195:196], v[133:134], v[175:176]
	v_mul_f64 v[175:176], v[135:136], v[175:176]
	ds_read_b128 v[5:8], v194 offset:1680
	s_waitcnt vmcnt(56)
	v_fma_f64 v[153:154], v[1:2], v[165:166], -v[153:154]
	v_fma_f64 v[165:166], v[3:4], v[165:166], v[215:216]
	v_add_f64 v[139:140], v[139:140], v[169:170]
	v_add_f64 v[137:138], v[137:138], v[147:148]
	s_clause 0x4
	buffer_load_dword v148, off, s[0:3], 0 offset:940
	buffer_load_dword v169, off, s[0:3], 0 offset:952
	;; [unrolled: 1-line block ×5, first 2 shown]
	ds_read_b128 v[1:4], v194 offset:1696
	s_waitcnt vmcnt(57) lgkmcnt(1)
	v_mul_f64 v[215:216], v[5:6], v[159:160]
	v_mul_f64 v[159:160], v[7:8], v[159:160]
	s_waitcnt vmcnt(56)
	v_fma_f64 v[175:176], v[133:134], v[177:178], -v[175:176]
	v_add_f64 v[139:140], v[139:140], v[153:154]
	v_fma_f64 v[153:154], v[135:136], v[177:178], v[195:196]
	v_add_f64 v[137:138], v[137:138], v[165:166]
	s_clause 0x2
	buffer_load_dword v170, off, s[0:3], 0 offset:956
	buffer_load_dword v166, off, s[0:3], 0 offset:932
	;; [unrolled: 1-line block ×3, first 2 shown]
	ds_read_b128 v[133:136], v194 offset:1712
	s_waitcnt vmcnt(58) lgkmcnt(1)
	v_mul_f64 v[177:178], v[1:2], v[183:184]
	v_mul_f64 v[183:184], v[3:4], v[183:184]
	s_waitcnt vmcnt(56)
	v_fma_f64 v[159:160], v[5:6], v[163:164], -v[159:160]
	v_fma_f64 v[163:164], v[7:8], v[163:164], v[215:216]
	v_add_f64 v[139:140], v[139:140], v[175:176]
	v_add_f64 v[137:138], v[137:138], v[153:154]
	s_clause 0x4
	buffer_load_dword v154, off, s[0:3], 0 offset:972
	buffer_load_dword v175, off, s[0:3], 0 offset:984
	;; [unrolled: 1-line block ×5, first 2 shown]
	ds_read_b128 v[5:8], v194 offset:1728
	s_waitcnt vmcnt(57) lgkmcnt(1)
	v_mul_f64 v[215:216], v[133:134], v[167:168]
	v_mul_f64 v[167:168], v[135:136], v[167:168]
	s_waitcnt vmcnt(56)
	v_fma_f64 v[183:184], v[1:2], v[185:186], -v[183:184]
	v_add_f64 v[139:140], v[139:140], v[159:160]
	v_fma_f64 v[159:160], v[3:4], v[185:186], v[177:178]
	v_add_f64 v[137:138], v[137:138], v[163:164]
	s_clause 0x2
	buffer_load_dword v176, off, s[0:3], 0 offset:988
	buffer_load_dword v164, off, s[0:3], 0 offset:964
	;; [unrolled: 1-line block ×3, first 2 shown]
	ds_read_b128 v[1:4], v194 offset:1744
	s_waitcnt vmcnt(58) lgkmcnt(1)
	v_mul_f64 v[185:186], v[7:8], v[189:190]
	v_mul_f64 v[177:178], v[5:6], v[189:190]
	s_waitcnt vmcnt(56)
	v_fma_f64 v[167:168], v[133:134], v[171:172], -v[167:168]
	v_fma_f64 v[171:172], v[135:136], v[171:172], v[215:216]
	v_add_f64 v[139:140], v[139:140], v[183:184]
	v_add_f64 v[137:138], v[137:138], v[159:160]
	s_clause 0x2
	buffer_load_dword v160, off, s[0:3], 0 offset:1004
	buffer_load_dword v159, off, s[0:3], 0 offset:1000
	;; [unrolled: 1-line block ×3, first 2 shown]
	ds_read_b128 v[133:136], v194 offset:1760
	s_waitcnt vmcnt(55) lgkmcnt(1)
	v_mul_f64 v[183:184], v[1:2], v[173:174]
	v_mul_f64 v[173:174], v[3:4], v[173:174]
	s_waitcnt vmcnt(54)
	v_fma_f64 v[185:186], v[5:6], v[191:192], -v[185:186]
	v_add_f64 v[139:140], v[139:140], v[167:168]
	v_fma_f64 v[167:168], v[7:8], v[191:192], v[177:178]
	v_add_f64 v[137:138], v[137:138], v[171:172]
	s_clause 0x1
	buffer_load_dword v172, off, s[0:3], 0 offset:996
	buffer_load_dword v171, off, s[0:3], 0 offset:992
	ds_read_b128 v[5:8], v194 offset:1776
	s_waitcnt vmcnt(55) lgkmcnt(1)
	v_mul_f64 v[177:178], v[133:134], v[179:180]
	v_mul_f64 v[179:180], v[135:136], v[179:180]
	s_waitcnt vmcnt(53)
	v_fma_f64 v[173:174], v[1:2], v[141:142], -v[173:174]
	v_fma_f64 v[141:142], v[3:4], v[141:142], v[183:184]
	ds_read_b128 v[1:4], v194 offset:1792
	v_add_f64 v[139:140], v[139:140], v[185:186]
	v_add_f64 v[137:138], v[137:138], v[167:168]
	s_waitcnt vmcnt(49) lgkmcnt(1)
	v_mul_f64 v[167:168], v[5:6], v[181:182]
	v_mul_f64 v[181:182], v[7:8], v[181:182]
	s_waitcnt vmcnt(48)
	v_fma_f64 v[179:180], v[133:134], v[203:204], -v[179:180]
	v_add_f64 v[139:140], v[139:140], v[173:174]
	v_fma_f64 v[173:174], v[135:136], v[203:204], v[177:178]
	v_add_f64 v[137:138], v[137:138], v[141:142]
	s_clause 0x3
	buffer_load_dword v141, off, s[0:3], 0 offset:256
	buffer_load_dword v142, off, s[0:3], 0 offset:260
	;; [unrolled: 1-line block ×4, first 2 shown]
	ds_read_b128 v[133:136], v194 offset:1808
	s_waitcnt vmcnt(51) lgkmcnt(1)
	v_mul_f64 v[185:186], v[3:4], v[197:198]
	v_mul_f64 v[183:184], v[1:2], v[197:198]
	s_waitcnt vmcnt(49)
	v_fma_f64 v[181:182], v[5:6], v[187:188], -v[181:182]
	v_fma_f64 v[167:168], v[7:8], v[187:188], v[167:168]
	ds_read_b128 v[5:8], v194 offset:1824
	v_add_f64 v[139:140], v[139:140], v[179:180]
	v_add_f64 v[137:138], v[137:138], v[173:174]
	s_waitcnt vmcnt(45) lgkmcnt(1)
	v_mul_f64 v[173:174], v[133:134], v[145:146]
	v_mul_f64 v[145:146], v[135:136], v[145:146]
	s_waitcnt vmcnt(44)
	v_fma_f64 v[179:180], v[1:2], v[207:208], -v[185:186]
	v_add_f64 v[139:140], v[139:140], v[181:182]
	v_fma_f64 v[181:182], v[3:4], v[207:208], v[183:184]
	v_add_f64 v[137:138], v[137:138], v[167:168]
	ds_read_b128 v[1:4], v194 offset:1840
	s_waitcnt vmcnt(43) lgkmcnt(1)
	v_mul_f64 v[183:184], v[7:8], v[205:206]
	v_mul_f64 v[167:168], v[5:6], v[205:206]
	s_waitcnt vmcnt(41)
	v_fma_f64 v[145:146], v[133:134], v[151:152], -v[145:146]
	v_fma_f64 v[151:152], v[135:136], v[151:152], v[173:174]
	ds_read_b128 v[133:136], v194 offset:1856
	v_add_f64 v[139:140], v[139:140], v[179:180]
	v_add_f64 v[137:138], v[137:138], v[181:182]
	s_waitcnt vmcnt(37) lgkmcnt(1)
	v_mul_f64 v[173:174], v[1:2], v[157:158]
	v_mul_f64 v[157:158], v[3:4], v[157:158]
	s_waitcnt vmcnt(36)
	v_fma_f64 v[179:180], v[5:6], v[211:212], -v[183:184]
	v_add_f64 v[139:140], v[139:140], v[145:146]
	v_fma_f64 v[145:146], v[7:8], v[211:212], v[167:168]
	v_add_f64 v[137:138], v[137:138], v[151:152]
	ds_read_b128 v[5:8], v194 offset:1872
	s_waitcnt vmcnt(35) lgkmcnt(1)
	v_mul_f64 v[167:168], v[135:136], v[199:200]
	v_mul_f64 v[151:152], v[133:134], v[199:200]
	s_waitcnt vmcnt(33)
	v_fma_f64 v[157:158], v[1:2], v[149:150], -v[157:158]
	v_fma_f64 v[149:150], v[3:4], v[149:150], v[173:174]
	ds_read_b128 v[1:4], v194 offset:1888
	v_add_f64 v[139:140], v[139:140], v[179:180]
	v_add_f64 v[137:138], v[137:138], v[145:146]
	s_waitcnt vmcnt(29) lgkmcnt(1)
	v_mul_f64 v[145:146], v[5:6], v[143:144]
	v_mul_f64 v[143:144], v[7:8], v[143:144]
	s_waitcnt vmcnt(28)
	v_fma_f64 v[167:168], v[133:134], v[213:214], -v[167:168]
	v_fma_f64 v[151:152], v[135:136], v[213:214], v[151:152]
	ds_read_b128 v[133:136], v194 offset:1904
	v_add_f64 v[139:140], v[139:140], v[157:158]
	v_add_f64 v[137:138], v[137:138], v[149:150]
	;; [unrolled: 9-line block ×3, first 2 shown]
	s_waitcnt vmcnt(21) lgkmcnt(1)
	v_mul_f64 v[151:152], v[133:134], v[147:148]
	v_mul_f64 v[147:148], v[135:136], v[147:148]
	s_waitcnt vmcnt(20)
	v_fma_f64 v[155:156], v[1:2], v[209:210], -v[157:158]
	v_add_f64 v[139:140], v[139:140], v[143:144]
	v_fma_f64 v[143:144], v[3:4], v[209:210], v[149:150]
	v_add_f64 v[137:138], v[137:138], v[145:146]
	ds_read_b128 v[1:4], v194 offset:1936
	s_waitcnt vmcnt(19) lgkmcnt(1)
	v_mul_f64 v[149:150], v[7:8], v[169:170]
	v_mul_f64 v[145:146], v[5:6], v[169:170]
	s_waitcnt vmcnt(17)
	v_fma_f64 v[147:148], v[133:134], v[165:166], -v[147:148]
	v_fma_f64 v[151:152], v[135:136], v[165:166], v[151:152]
	ds_read_b128 v[133:136], v194 offset:1952
	v_add_f64 v[139:140], v[139:140], v[155:156]
	v_add_f64 v[137:138], v[137:138], v[143:144]
	s_waitcnt vmcnt(13) lgkmcnt(1)
	v_mul_f64 v[143:144], v[1:2], v[153:154]
	v_mul_f64 v[153:154], v[3:4], v[153:154]
	s_waitcnt vmcnt(12)
	v_fma_f64 v[149:150], v[5:6], v[201:202], -v[149:150]
	v_fma_f64 v[145:146], v[7:8], v[201:202], v[145:146]
	ds_read_b128 v[5:8], v194 offset:1968
	v_add_f64 v[139:140], v[139:140], v[147:148]
	v_add_f64 v[137:138], v[137:138], v[151:152]
	s_waitcnt vmcnt(11) lgkmcnt(1)
	v_mul_f64 v[151:152], v[135:136], v[175:176]
	v_mul_f64 v[147:148], v[133:134], v[175:176]
	s_waitcnt vmcnt(9)
	v_fma_f64 v[1:2], v[1:2], v[163:164], -v[153:154]
	v_fma_f64 v[3:4], v[3:4], v[163:164], v[143:144]
	v_add_f64 v[139:140], v[139:140], v[149:150]
	v_add_f64 v[137:138], v[137:138], v[145:146]
	s_waitcnt vmcnt(7) lgkmcnt(0)
	v_mul_f64 v[145:146], v[7:8], v[159:160]
	s_waitcnt vmcnt(6)
	v_fma_f64 v[133:134], v[133:134], v[195:196], -v[151:152]
	v_mul_f64 v[143:144], v[5:6], v[159:160]
	v_fma_f64 v[135:136], v[135:136], v[195:196], v[147:148]
	v_add_f64 v[1:2], v[139:140], v[1:2]
	v_add_f64 v[3:4], v[137:138], v[3:4]
	s_waitcnt vmcnt(4)
	v_fma_f64 v[5:6], v[5:6], v[171:172], -v[145:146]
	v_fma_f64 v[7:8], v[7:8], v[171:172], v[143:144]
	v_add_f64 v[1:2], v[1:2], v[133:134]
	v_add_f64 v[3:4], v[3:4], v[135:136]
	;; [unrolled: 1-line block ×4, first 2 shown]
	s_waitcnt vmcnt(2)
	v_add_f64 v[1:2], v[141:142], -v[1:2]
	s_waitcnt vmcnt(0)
	v_add_f64 v[3:4], v[177:178], -v[3:4]
	buffer_store_dword v2, off, s[0:3], 0 offset:260
	buffer_store_dword v1, off, s[0:3], 0 offset:256
	;; [unrolled: 1-line block ×4, first 2 shown]
	v_cmpx_lt_u32_e32 14, v0
	s_cbranch_execz .LBB125_369
; %bb.368:
	v_mov_b32_e32 v4, s62
	v_mov_b32_e32 v5, 0
	s_clause 0x3
	buffer_load_dword v1, v4, s[0:3], 0 offen
	buffer_load_dword v2, v4, s[0:3], 0 offen offset:4
	buffer_load_dword v3, v4, s[0:3], 0 offen offset:8
	;; [unrolled: 1-line block ×3, first 2 shown]
	buffer_store_dword v5, off, s[0:3], 0 offset:240
	buffer_store_dword v5, off, s[0:3], 0 offset:244
	;; [unrolled: 1-line block ×4, first 2 shown]
	s_waitcnt vmcnt(0)
	ds_write_b128 v193, v[1:4]
.LBB125_369:
	s_or_b32 exec_lo, exec_lo, s4
	s_waitcnt lgkmcnt(0)
	s_waitcnt_vscnt null, 0x0
	s_barrier
	buffer_gl0_inv
	s_clause 0x37
	buffer_load_dword v141, off, s[0:3], 0 offset:264
	buffer_load_dword v142, off, s[0:3], 0 offset:268
	;; [unrolled: 1-line block ×56, first 2 shown]
	v_mov_b32_e32 v194, 0
	s_mov_b32 s4, exec_lo
	ds_read_b128 v[5:8], v194 offset:1232
	s_clause 0x2
	buffer_load_dword v190, off, s[0:3], 0 offset:492
	buffer_load_dword v192, off, s[0:3], 0 offset:468
	;; [unrolled: 1-line block ×3, first 2 shown]
	ds_read_b128 v[1:4], v194 offset:1248
	s_clause 0x4
	buffer_load_dword v202, off, s[0:3], 0 offset:508
	buffer_load_dword v203, off, s[0:3], 0 offset:520
	;; [unrolled: 1-line block ×5, first 2 shown]
	ds_read_b128 v[195:198], v194 offset:1264
	s_waitcnt vmcnt(62) lgkmcnt(2)
	v_mul_f64 v[199:200], v[7:8], v[141:142]
	v_mul_f64 v[141:142], v[5:6], v[141:142]
	s_waitcnt vmcnt(60) lgkmcnt(1)
	v_mul_f64 v[206:207], v[3:4], v[137:138]
	v_mul_f64 v[137:138], v[1:2], v[137:138]
	;; [unrolled: 3-line block ×3, first 2 shown]
	v_fma_f64 v[199:200], v[5:6], v[139:140], -v[199:200]
	v_fma_f64 v[139:140], v[7:8], v[139:140], v[141:142]
	s_clause 0x2
	buffer_load_dword v204, off, s[0:3], 0 offset:524
	buffer_load_dword v142, off, s[0:3], 0 offset:500
	;; [unrolled: 1-line block ×3, first 2 shown]
	s_waitcnt vmcnt(57)
	v_fma_f64 v[210:211], v[1:2], v[133:134], -v[206:207]
	ds_read_b128 v[5:8], v194 offset:1280
	v_fma_f64 v[133:134], v[3:4], v[133:134], v[137:138]
	s_waitcnt vmcnt(51)
	v_fma_f64 v[195:196], v[195:196], v[157:158], -v[135:136]
	v_fma_f64 v[157:158], v[197:198], v[157:158], v[208:209]
	v_add_f64 v[199:200], v[199:200], 0
	v_add_f64 v[137:138], v[139:140], 0
	s_clause 0x4
	buffer_load_dword v140, off, s[0:3], 0 offset:540
	buffer_load_dword v207, off, s[0:3], 0 offset:552
	;; [unrolled: 1-line block ×5, first 2 shown]
	s_waitcnt lgkmcnt(0)
	v_mul_f64 v[213:214], v[5:6], v[145:146]
	v_mul_f64 v[145:146], v[7:8], v[145:146]
	ds_read_b128 v[1:4], v194 offset:1296
	s_clause 0x2
	buffer_load_dword v208, off, s[0:3], 0 offset:556
	buffer_load_dword v198, off, s[0:3], 0 offset:532
	;; [unrolled: 1-line block ×3, first 2 shown]
	v_add_f64 v[199:200], v[199:200], v[210:211]
	v_add_f64 v[137:138], v[137:138], v[133:134]
	ds_read_b128 v[133:136], v194 offset:1312
	s_waitcnt vmcnt(58) lgkmcnt(1)
	v_mul_f64 v[209:210], v[1:2], v[149:150]
	v_mul_f64 v[149:150], v[3:4], v[149:150]
	s_waitcnt vmcnt(56)
	v_fma_f64 v[145:146], v[5:6], v[151:152], -v[145:146]
	v_fma_f64 v[151:152], v[7:8], v[151:152], v[213:214]
	s_waitcnt vmcnt(52) lgkmcnt(0)
	v_mul_f64 v[215:216], v[133:134], v[153:154]
	v_add_f64 v[195:196], v[199:200], v[195:196]
	v_add_f64 v[137:138], v[137:138], v[157:158]
	s_clause 0x4
	buffer_load_dword v158, off, s[0:3], 0 offset:572
	buffer_load_dword v199, off, s[0:3], 0 offset:584
	;; [unrolled: 1-line block ×5, first 2 shown]
	v_mul_f64 v[153:154], v[135:136], v[153:154]
	s_waitcnt vmcnt(56)
	v_fma_f64 v[149:150], v[1:2], v[143:144], -v[149:150]
	ds_read_b128 v[5:8], v194 offset:1328
	v_fma_f64 v[143:144], v[3:4], v[143:144], v[209:210]
	v_add_f64 v[145:146], v[195:196], v[145:146]
	v_add_f64 v[137:138], v[137:138], v[151:152]
	s_clause 0x2
	buffer_load_dword v200, off, s[0:3], 0 offset:588
	buffer_load_dword v152, off, s[0:3], 0 offset:564
	;; [unrolled: 1-line block ×3, first 2 shown]
	s_waitcnt vmcnt(58) lgkmcnt(0)
	v_mul_f64 v[195:196], v[5:6], v[159:160]
	v_mul_f64 v[159:160], v[7:8], v[159:160]
	s_waitcnt vmcnt(56)
	v_fma_f64 v[153:154], v[133:134], v[161:162], -v[153:154]
	ds_read_b128 v[1:4], v194 offset:1344
	v_add_f64 v[145:146], v[145:146], v[149:150]
	v_fma_f64 v[149:150], v[135:136], v[161:162], v[215:216]
	v_add_f64 v[137:138], v[137:138], v[143:144]
	s_clause 0x4
	buffer_load_dword v144, off, s[0:3], 0 offset:604
	buffer_load_dword v161, off, s[0:3], 0 offset:616
	;; [unrolled: 1-line block ×5, first 2 shown]
	s_waitcnt vmcnt(57) lgkmcnt(0)
	v_mul_f64 v[210:211], v[1:2], v[163:164]
	v_mul_f64 v[163:164], v[3:4], v[163:164]
	s_waitcnt vmcnt(56)
	v_fma_f64 v[159:160], v[5:6], v[147:148], -v[159:160]
	ds_read_b128 v[133:136], v194 offset:1360
	v_fma_f64 v[147:148], v[7:8], v[147:148], v[195:196]
	v_add_f64 v[145:146], v[145:146], v[153:154]
	v_add_f64 v[137:138], v[137:138], v[149:150]
	s_clause 0x2
	buffer_load_dword v162, off, s[0:3], 0 offset:620
	buffer_load_dword v150, off, s[0:3], 0 offset:596
	;; [unrolled: 1-line block ×3, first 2 shown]
	ds_read_b128 v[5:8], v194 offset:1376
	s_waitcnt vmcnt(58) lgkmcnt(1)
	v_mul_f64 v[153:154], v[133:134], v[167:168]
	v_mul_f64 v[167:168], v[135:136], v[167:168]
	s_waitcnt vmcnt(56)
	v_fma_f64 v[163:164], v[1:2], v[169:170], -v[163:164]
	v_add_f64 v[145:146], v[145:146], v[159:160]
	v_fma_f64 v[159:160], v[3:4], v[169:170], v[210:211]
	v_add_f64 v[137:138], v[137:138], v[147:148]
	s_clause 0x4
	buffer_load_dword v148, off, s[0:3], 0 offset:636
	buffer_load_dword v169, off, s[0:3], 0 offset:648
	;; [unrolled: 1-line block ×5, first 2 shown]
	s_waitcnt vmcnt(57) lgkmcnt(0)
	v_mul_f64 v[216:217], v[5:6], v[171:172]
	v_mul_f64 v[171:172], v[7:8], v[171:172]
	s_waitcnt vmcnt(56)
	v_fma_f64 v[167:168], v[133:134], v[155:156], -v[167:168]
	ds_read_b128 v[1:4], v194 offset:1392
	v_fma_f64 v[153:154], v[135:136], v[155:156], v[153:154]
	s_clause 0x2
	buffer_load_dword v170, off, s[0:3], 0 offset:652
	buffer_load_dword v156, off, s[0:3], 0 offset:628
	;; [unrolled: 1-line block ×3, first 2 shown]
	ds_read_b128 v[133:136], v194 offset:1408
	v_add_f64 v[145:146], v[145:146], v[163:164]
	v_add_f64 v[137:138], v[137:138], v[159:160]
	s_waitcnt vmcnt(58) lgkmcnt(1)
	v_mul_f64 v[163:164], v[3:4], v[175:176]
	s_waitcnt vmcnt(56)
	v_fma_f64 v[171:172], v[5:6], v[177:178], -v[171:172]
	v_mul_f64 v[159:160], v[1:2], v[175:176]
	v_add_f64 v[145:146], v[145:146], v[167:168]
	v_fma_f64 v[167:168], v[7:8], v[177:178], v[216:217]
	v_add_f64 v[137:138], v[137:138], v[153:154]
	s_clause 0x4
	buffer_load_dword v154, off, s[0:3], 0 offset:668
	buffer_load_dword v175, off, s[0:3], 0 offset:680
	;; [unrolled: 1-line block ×5, first 2 shown]
	s_waitcnt vmcnt(57) lgkmcnt(0)
	v_mul_f64 v[216:217], v[133:134], v[179:180]
	v_mul_f64 v[178:179], v[135:136], v[179:180]
	s_waitcnt vmcnt(56)
	v_fma_f64 v[163:164], v[1:2], v[165:166], -v[163:164]
	ds_read_b128 v[5:8], v194 offset:1424
	v_fma_f64 v[159:160], v[3:4], v[165:166], v[159:160]
	s_clause 0x2
	buffer_load_dword v176, off, s[0:3], 0 offset:684
	buffer_load_dword v166, off, s[0:3], 0 offset:660
	;; [unrolled: 1-line block ×3, first 2 shown]
	ds_read_b128 v[1:4], v194 offset:1440
	v_add_f64 v[145:146], v[145:146], v[171:172]
	v_add_f64 v[137:138], v[137:138], v[167:168]
	s_waitcnt vmcnt(58) lgkmcnt(1)
	v_mul_f64 v[171:172], v[7:8], v[183:184]
	s_waitcnt vmcnt(56)
	v_fma_f64 v[179:180], v[133:134], v[185:186], -v[178:179]
	v_mul_f64 v[167:168], v[5:6], v[183:184]
	v_add_f64 v[145:146], v[145:146], v[163:164]
	v_fma_f64 v[163:164], v[135:136], v[185:186], v[216:217]
	v_add_f64 v[137:138], v[137:138], v[159:160]
	s_clause 0x4
	buffer_load_dword v160, off, s[0:3], 0 offset:700
	buffer_load_dword v183, off, s[0:3], 0 offset:712
	;; [unrolled: 1-line block ×5, first 2 shown]
	s_waitcnt vmcnt(57) lgkmcnt(0)
	v_mul_f64 v[216:217], v[1:2], v[187:188]
	v_mul_f64 v[186:187], v[3:4], v[187:188]
	s_waitcnt vmcnt(56)
	v_fma_f64 v[171:172], v[5:6], v[173:174], -v[171:172]
	ds_read_b128 v[133:136], v194 offset:1456
	v_fma_f64 v[167:168], v[7:8], v[173:174], v[167:168]
	v_add_f64 v[145:146], v[145:146], v[179:180]
	v_add_f64 v[137:138], v[137:138], v[163:164]
	s_clause 0x2
	buffer_load_dword v184, off, s[0:3], 0 offset:716
	buffer_load_dword v164, off, s[0:3], 0 offset:692
	;; [unrolled: 1-line block ×3, first 2 shown]
	ds_read_b128 v[5:8], v194 offset:1472
	s_waitcnt vmcnt(58) lgkmcnt(1)
	v_mul_f64 v[179:180], v[135:136], v[189:190]
	s_waitcnt vmcnt(56)
	v_fma_f64 v[187:188], v[1:2], v[191:192], -v[186:187]
	v_mul_f64 v[173:174], v[133:134], v[189:190]
	v_add_f64 v[145:146], v[145:146], v[171:172]
	v_fma_f64 v[171:172], v[3:4], v[191:192], v[216:217]
	v_add_f64 v[137:138], v[137:138], v[167:168]
	s_clause 0x4
	buffer_load_dword v168, off, s[0:3], 0 offset:732
	buffer_load_dword v189, off, s[0:3], 0 offset:744
	;; [unrolled: 1-line block ×5, first 2 shown]
	s_waitcnt vmcnt(57) lgkmcnt(0)
	v_mul_f64 v[216:217], v[5:6], v[201:202]
	v_mul_f64 v[201:202], v[7:8], v[201:202]
	s_waitcnt vmcnt(56)
	v_fma_f64 v[179:180], v[133:134], v[181:182], -v[179:180]
	ds_read_b128 v[1:4], v194 offset:1488
	v_fma_f64 v[173:174], v[135:136], v[181:182], v[173:174]
	v_add_f64 v[145:146], v[145:146], v[187:188]
	v_add_f64 v[137:138], v[137:138], v[171:172]
	s_clause 0x2
	buffer_load_dword v190, off, s[0:3], 0 offset:748
	buffer_load_dword v172, off, s[0:3], 0 offset:724
	;; [unrolled: 1-line block ×3, first 2 shown]
	ds_read_b128 v[133:136], v194 offset:1504
	s_waitcnt vmcnt(58) lgkmcnt(1)
	v_mul_f64 v[187:188], v[3:4], v[203:204]
	v_mul_f64 v[181:182], v[1:2], v[203:204]
	s_waitcnt vmcnt(56)
	v_fma_f64 v[201:202], v[5:6], v[141:142], -v[201:202]
	v_fma_f64 v[141:142], v[7:8], v[141:142], v[216:217]
	v_add_f64 v[145:146], v[145:146], v[179:180]
	v_add_f64 v[137:138], v[137:138], v[173:174]
	s_clause 0x4
	buffer_load_dword v174, off, s[0:3], 0 offset:764
	buffer_load_dword v179, off, s[0:3], 0 offset:776
	;; [unrolled: 1-line block ×5, first 2 shown]
	ds_read_b128 v[5:8], v194 offset:1520
	s_waitcnt vmcnt(57) lgkmcnt(1)
	v_mul_f64 v[216:217], v[133:134], v[139:140]
	v_mul_f64 v[139:140], v[135:136], v[139:140]
	s_waitcnt vmcnt(56)
	v_fma_f64 v[187:188], v[1:2], v[205:206], -v[187:188]
	v_fma_f64 v[181:182], v[3:4], v[205:206], v[181:182]
	v_add_f64 v[145:146], v[145:146], v[201:202]
	v_add_f64 v[137:138], v[137:138], v[141:142]
	s_clause 0x2
	buffer_load_dword v180, off, s[0:3], 0 offset:780
	buffer_load_dword v142, off, s[0:3], 0 offset:756
	;; [unrolled: 1-line block ×3, first 2 shown]
	s_waitcnt vmcnt(58) lgkmcnt(0)
	v_mul_f64 v[205:206], v[7:8], v[207:208]
	ds_read_b128 v[1:4], v194 offset:1536
	v_mul_f64 v[201:202], v[5:6], v[207:208]
	s_waitcnt vmcnt(56)
	v_fma_f64 v[139:140], v[133:134], v[197:198], -v[139:140]
	v_add_f64 v[145:146], v[145:146], v[187:188]
	v_fma_f64 v[187:188], v[135:136], v[197:198], v[216:217]
	v_add_f64 v[137:138], v[137:138], v[181:182]
	s_clause 0x4
	buffer_load_dword v182, off, s[0:3], 0 offset:796
	buffer_load_dword v197, off, s[0:3], 0 offset:808
	;; [unrolled: 1-line block ×5, first 2 shown]
	ds_read_b128 v[133:136], v194 offset:1552
	s_waitcnt vmcnt(57) lgkmcnt(1)
	v_mul_f64 v[216:217], v[1:2], v[157:158]
	v_mul_f64 v[157:158], v[3:4], v[157:158]
	s_waitcnt vmcnt(56)
	v_fma_f64 v[205:206], v[5:6], v[212:213], -v[205:206]
	v_add_f64 v[139:140], v[145:146], v[139:140]
	v_fma_f64 v[145:146], v[7:8], v[212:213], v[201:202]
	v_add_f64 v[137:138], v[137:138], v[187:188]
	s_clause 0x2
	buffer_load_dword v198, off, s[0:3], 0 offset:812
	buffer_load_dword v188, off, s[0:3], 0 offset:788
	buffer_load_dword v187, off, s[0:3], 0 offset:784
	ds_read_b128 v[5:8], v194 offset:1568
	s_waitcnt vmcnt(58) lgkmcnt(1)
	v_mul_f64 v[201:202], v[133:134], v[199:200]
	v_mul_f64 v[199:200], v[135:136], v[199:200]
	s_waitcnt vmcnt(56)
	v_fma_f64 v[157:158], v[1:2], v[151:152], -v[157:158]
	v_fma_f64 v[151:152], v[3:4], v[151:152], v[216:217]
	v_add_f64 v[139:140], v[139:140], v[205:206]
	v_add_f64 v[137:138], v[137:138], v[145:146]
	s_clause 0x4
	buffer_load_dword v146, off, s[0:3], 0 offset:828
	buffer_load_dword v205, off, s[0:3], 0 offset:840
	;; [unrolled: 1-line block ×5, first 2 shown]
	ds_read_b128 v[1:4], v194 offset:1584
	s_waitcnt vmcnt(57) lgkmcnt(1)
	v_mul_f64 v[212:213], v[5:6], v[143:144]
	v_mul_f64 v[143:144], v[7:8], v[143:144]
	s_waitcnt vmcnt(56)
	v_fma_f64 v[199:200], v[133:134], v[214:215], -v[199:200]
	v_add_f64 v[139:140], v[139:140], v[157:158]
	v_fma_f64 v[157:158], v[135:136], v[214:215], v[201:202]
	v_add_f64 v[137:138], v[137:138], v[151:152]
	s_clause 0x2
	buffer_load_dword v206, off, s[0:3], 0 offset:844
	buffer_load_dword v152, off, s[0:3], 0 offset:820
	;; [unrolled: 1-line block ×3, first 2 shown]
	ds_read_b128 v[133:136], v194 offset:1600
	s_waitcnt vmcnt(58) lgkmcnt(1)
	v_mul_f64 v[201:202], v[1:2], v[161:162]
	v_mul_f64 v[161:162], v[3:4], v[161:162]
	s_waitcnt vmcnt(56)
	v_fma_f64 v[143:144], v[5:6], v[149:150], -v[143:144]
	v_fma_f64 v[149:150], v[7:8], v[149:150], v[212:213]
	v_add_f64 v[139:140], v[139:140], v[199:200]
	v_add_f64 v[137:138], v[137:138], v[157:158]
	s_clause 0x4
	buffer_load_dword v158, off, s[0:3], 0 offset:860
	buffer_load_dword v199, off, s[0:3], 0 offset:872
	;; [unrolled: 1-line block ×5, first 2 shown]
	ds_read_b128 v[5:8], v194 offset:1616
	s_waitcnt vmcnt(57) lgkmcnt(1)
	v_mul_f64 v[214:215], v[133:134], v[147:148]
	v_mul_f64 v[147:148], v[135:136], v[147:148]
	s_waitcnt vmcnt(56)
	v_fma_f64 v[161:162], v[1:2], v[209:210], -v[161:162]
	v_add_f64 v[139:140], v[139:140], v[143:144]
	v_fma_f64 v[143:144], v[3:4], v[209:210], v[201:202]
	v_add_f64 v[137:138], v[137:138], v[149:150]
	s_clause 0x2
	buffer_load_dword v200, off, s[0:3], 0 offset:876
	buffer_load_dword v150, off, s[0:3], 0 offset:852
	buffer_load_dword v149, off, s[0:3], 0 offset:848
	s_waitcnt vmcnt(58) lgkmcnt(0)
	v_mul_f64 v[201:202], v[5:6], v[169:170]
	v_mul_f64 v[169:170], v[7:8], v[169:170]
	ds_read_b128 v[1:4], v194 offset:1632
	s_waitcnt vmcnt(56)
	v_fma_f64 v[147:148], v[133:134], v[155:156], -v[147:148]
	v_fma_f64 v[155:156], v[135:136], v[155:156], v[214:215]
	v_add_f64 v[139:140], v[139:140], v[161:162]
	v_add_f64 v[137:138], v[137:138], v[143:144]
	s_clause 0x4
	buffer_load_dword v144, off, s[0:3], 0 offset:892
	buffer_load_dword v161, off, s[0:3], 0 offset:904
	;; [unrolled: 1-line block ×5, first 2 shown]
	ds_read_b128 v[133:136], v194 offset:1648
	s_waitcnt vmcnt(57) lgkmcnt(1)
	v_mul_f64 v[215:216], v[1:2], v[153:154]
	v_mul_f64 v[153:154], v[3:4], v[153:154]
	s_waitcnt vmcnt(56)
	v_fma_f64 v[169:170], v[5:6], v[195:196], -v[169:170]
	v_add_f64 v[139:140], v[139:140], v[147:148]
	v_fma_f64 v[147:148], v[7:8], v[195:196], v[201:202]
	v_add_f64 v[137:138], v[137:138], v[155:156]
	s_clause 0x2
	buffer_load_dword v162, off, s[0:3], 0 offset:908
	buffer_load_dword v156, off, s[0:3], 0 offset:884
	;; [unrolled: 1-line block ×3, first 2 shown]
	s_waitcnt vmcnt(58) lgkmcnt(0)
	v_mul_f64 v[195:196], v[133:134], v[175:176]
	v_mul_f64 v[175:176], v[135:136], v[175:176]
	ds_read_b128 v[5:8], v194 offset:1664
	s_waitcnt vmcnt(56)
	v_fma_f64 v[153:154], v[1:2], v[165:166], -v[153:154]
	v_fma_f64 v[165:166], v[3:4], v[165:166], v[215:216]
	v_add_f64 v[139:140], v[139:140], v[169:170]
	v_add_f64 v[137:138], v[137:138], v[147:148]
	s_clause 0x4
	buffer_load_dword v148, off, s[0:3], 0 offset:924
	buffer_load_dword v169, off, s[0:3], 0 offset:936
	;; [unrolled: 1-line block ×5, first 2 shown]
	ds_read_b128 v[1:4], v194 offset:1680
	s_waitcnt vmcnt(57) lgkmcnt(1)
	v_mul_f64 v[215:216], v[5:6], v[159:160]
	v_mul_f64 v[159:160], v[7:8], v[159:160]
	s_waitcnt vmcnt(56)
	v_fma_f64 v[175:176], v[133:134], v[177:178], -v[175:176]
	v_add_f64 v[139:140], v[139:140], v[153:154]
	v_fma_f64 v[153:154], v[135:136], v[177:178], v[195:196]
	v_add_f64 v[137:138], v[137:138], v[165:166]
	s_clause 0x2
	buffer_load_dword v170, off, s[0:3], 0 offset:940
	buffer_load_dword v166, off, s[0:3], 0 offset:916
	buffer_load_dword v165, off, s[0:3], 0 offset:912
	ds_read_b128 v[133:136], v194 offset:1696
	s_waitcnt vmcnt(58) lgkmcnt(1)
	v_mul_f64 v[177:178], v[1:2], v[183:184]
	v_mul_f64 v[183:184], v[3:4], v[183:184]
	s_waitcnt vmcnt(56)
	v_fma_f64 v[159:160], v[5:6], v[163:164], -v[159:160]
	v_fma_f64 v[163:164], v[7:8], v[163:164], v[215:216]
	v_add_f64 v[139:140], v[139:140], v[175:176]
	v_add_f64 v[137:138], v[137:138], v[153:154]
	s_clause 0x4
	buffer_load_dword v154, off, s[0:3], 0 offset:956
	buffer_load_dword v175, off, s[0:3], 0 offset:968
	;; [unrolled: 1-line block ×5, first 2 shown]
	ds_read_b128 v[5:8], v194 offset:1712
	s_waitcnt vmcnt(57) lgkmcnt(1)
	v_mul_f64 v[215:216], v[133:134], v[167:168]
	v_mul_f64 v[167:168], v[135:136], v[167:168]
	s_waitcnt vmcnt(56)
	v_fma_f64 v[183:184], v[1:2], v[185:186], -v[183:184]
	v_add_f64 v[139:140], v[139:140], v[159:160]
	v_fma_f64 v[159:160], v[3:4], v[185:186], v[177:178]
	v_add_f64 v[137:138], v[137:138], v[163:164]
	s_clause 0x2
	buffer_load_dword v176, off, s[0:3], 0 offset:972
	buffer_load_dword v164, off, s[0:3], 0 offset:948
	;; [unrolled: 1-line block ×3, first 2 shown]
	ds_read_b128 v[1:4], v194 offset:1728
	s_waitcnt vmcnt(58) lgkmcnt(1)
	v_mul_f64 v[185:186], v[7:8], v[189:190]
	v_mul_f64 v[177:178], v[5:6], v[189:190]
	s_waitcnt vmcnt(56)
	v_fma_f64 v[167:168], v[133:134], v[171:172], -v[167:168]
	v_fma_f64 v[171:172], v[135:136], v[171:172], v[215:216]
	v_add_f64 v[139:140], v[139:140], v[183:184]
	v_add_f64 v[137:138], v[137:138], v[159:160]
	s_clause 0x4
	buffer_load_dword v160, off, s[0:3], 0 offset:988
	buffer_load_dword v183, off, s[0:3], 0 offset:1000
	;; [unrolled: 1-line block ×5, first 2 shown]
	ds_read_b128 v[133:136], v194 offset:1744
	s_waitcnt vmcnt(57) lgkmcnt(1)
	v_mul_f64 v[215:216], v[1:2], v[173:174]
	v_mul_f64 v[173:174], v[3:4], v[173:174]
	s_waitcnt vmcnt(56)
	v_fma_f64 v[185:186], v[5:6], v[191:192], -v[185:186]
	v_add_f64 v[139:140], v[139:140], v[167:168]
	v_fma_f64 v[167:168], v[7:8], v[191:192], v[177:178]
	v_add_f64 v[137:138], v[137:138], v[171:172]
	s_clause 0x2
	buffer_load_dword v184, off, s[0:3], 0 offset:1004
	buffer_load_dword v172, off, s[0:3], 0 offset:980
	;; [unrolled: 1-line block ×3, first 2 shown]
	ds_read_b128 v[5:8], v194 offset:1760
	buffer_load_dword v190, off, s[0:3], 0 offset:996
	s_waitcnt vmcnt(59) lgkmcnt(1)
	v_mul_f64 v[177:178], v[133:134], v[179:180]
	v_mul_f64 v[179:180], v[135:136], v[179:180]
	s_waitcnt vmcnt(57)
	v_fma_f64 v[173:174], v[1:2], v[141:142], -v[173:174]
	v_fma_f64 v[141:142], v[3:4], v[141:142], v[215:216]
	ds_read_b128 v[1:4], v194 offset:1776
	v_add_f64 v[139:140], v[139:140], v[185:186]
	v_add_f64 v[137:138], v[137:138], v[167:168]
	s_waitcnt vmcnt(53) lgkmcnt(1)
	v_mul_f64 v[167:168], v[5:6], v[181:182]
	v_mul_f64 v[181:182], v[7:8], v[181:182]
	s_waitcnt vmcnt(52)
	v_fma_f64 v[179:180], v[133:134], v[203:204], -v[179:180]
	v_add_f64 v[139:140], v[139:140], v[173:174]
	v_fma_f64 v[173:174], v[135:136], v[203:204], v[177:178]
	v_add_f64 v[137:138], v[137:138], v[141:142]
	ds_read_b128 v[133:136], v194 offset:1792
	s_waitcnt vmcnt(51) lgkmcnt(1)
	v_mul_f64 v[177:178], v[3:4], v[197:198]
	v_mul_f64 v[141:142], v[1:2], v[197:198]
	s_waitcnt vmcnt(49)
	v_fma_f64 v[181:182], v[5:6], v[187:188], -v[181:182]
	v_fma_f64 v[167:168], v[7:8], v[187:188], v[167:168]
	v_add_f64 v[139:140], v[139:140], v[179:180]
	v_add_f64 v[137:138], v[137:138], v[173:174]
	s_clause 0x3
	buffer_load_dword v173, off, s[0:3], 0 offset:240
	buffer_load_dword v174, off, s[0:3], 0 offset:244
	;; [unrolled: 1-line block ×4, first 2 shown]
	ds_read_b128 v[5:8], v194 offset:1808
	s_waitcnt vmcnt(49) lgkmcnt(1)
	v_mul_f64 v[185:186], v[133:134], v[145:146]
	v_mul_f64 v[145:146], v[135:136], v[145:146]
	s_waitcnt vmcnt(48)
	v_fma_f64 v[177:178], v[1:2], v[207:208], -v[177:178]
	v_fma_f64 v[141:142], v[3:4], v[207:208], v[141:142]
	ds_read_b128 v[1:4], v194 offset:1824
	v_add_f64 v[139:140], v[139:140], v[181:182]
	v_add_f64 v[137:138], v[137:138], v[167:168]
	s_waitcnt vmcnt(47) lgkmcnt(1)
	v_mul_f64 v[181:182], v[7:8], v[205:206]
	v_mul_f64 v[167:168], v[5:6], v[205:206]
	s_waitcnt vmcnt(45)
	v_fma_f64 v[145:146], v[133:134], v[151:152], -v[145:146]
	v_fma_f64 v[151:152], v[135:136], v[151:152], v[185:186]
	ds_read_b128 v[133:136], v194 offset:1840
	v_add_f64 v[139:140], v[139:140], v[177:178]
	v_add_f64 v[137:138], v[137:138], v[141:142]
	s_waitcnt vmcnt(41) lgkmcnt(1)
	v_mul_f64 v[141:142], v[1:2], v[157:158]
	v_mul_f64 v[157:158], v[3:4], v[157:158]
	s_waitcnt vmcnt(40)
	v_fma_f64 v[177:178], v[5:6], v[211:212], -v[181:182]
	v_add_f64 v[139:140], v[139:140], v[145:146]
	v_fma_f64 v[145:146], v[7:8], v[211:212], v[167:168]
	v_add_f64 v[137:138], v[137:138], v[151:152]
	ds_read_b128 v[5:8], v194 offset:1856
	s_waitcnt vmcnt(39) lgkmcnt(1)
	v_mul_f64 v[167:168], v[135:136], v[199:200]
	v_mul_f64 v[151:152], v[133:134], v[199:200]
	s_waitcnt vmcnt(37)
	v_fma_f64 v[157:158], v[1:2], v[149:150], -v[157:158]
	v_fma_f64 v[141:142], v[3:4], v[149:150], v[141:142]
	ds_read_b128 v[1:4], v194 offset:1872
	v_add_f64 v[139:140], v[139:140], v[177:178]
	v_add_f64 v[137:138], v[137:138], v[145:146]
	s_waitcnt vmcnt(33) lgkmcnt(1)
	v_mul_f64 v[145:146], v[5:6], v[143:144]
	v_mul_f64 v[143:144], v[7:8], v[143:144]
	s_waitcnt vmcnt(32)
	v_fma_f64 v[149:150], v[133:134], v[213:214], -v[167:168]
	v_fma_f64 v[151:152], v[135:136], v[213:214], v[151:152]
	ds_read_b128 v[133:136], v194 offset:1888
	v_add_f64 v[139:140], v[139:140], v[157:158]
	v_add_f64 v[137:138], v[137:138], v[141:142]
	;; [unrolled: 9-line block ×5, first 2 shown]
	s_waitcnt vmcnt(17) lgkmcnt(1)
	v_mul_f64 v[151:152], v[3:4], v[153:154]
	s_waitcnt vmcnt(16)
	v_fma_f64 v[145:146], v[5:6], v[201:202], -v[145:146]
	v_mul_f64 v[141:142], v[1:2], v[153:154]
	v_fma_f64 v[143:144], v[7:8], v[201:202], v[143:144]
	ds_read_b128 v[5:8], v194 offset:1952
	v_add_f64 v[139:140], v[139:140], v[147:148]
	v_add_f64 v[137:138], v[137:138], v[149:150]
	s_waitcnt vmcnt(15) lgkmcnt(1)
	v_mul_f64 v[149:150], v[135:136], v[175:176]
	v_mul_f64 v[147:148], v[133:134], v[175:176]
	s_waitcnt vmcnt(13)
	v_fma_f64 v[151:152], v[1:2], v[163:164], -v[151:152]
	v_fma_f64 v[141:142], v[3:4], v[163:164], v[141:142]
	ds_read_b128 v[1:4], v194 offset:1968
	v_add_f64 v[139:140], v[139:140], v[145:146]
	v_add_f64 v[137:138], v[137:138], v[143:144]
	s_waitcnt vmcnt(9) lgkmcnt(1)
	v_mul_f64 v[145:146], v[7:8], v[159:160]
	s_waitcnt vmcnt(8)
	v_fma_f64 v[133:134], v[133:134], v[195:196], -v[149:150]
	v_mul_f64 v[143:144], v[5:6], v[159:160]
	v_fma_f64 v[135:136], v[135:136], v[195:196], v[147:148]
	v_add_f64 v[139:140], v[139:140], v[151:152]
	v_add_f64 v[137:138], v[137:138], v[141:142]
	s_waitcnt vmcnt(7) lgkmcnt(0)
	v_mul_f64 v[147:148], v[3:4], v[183:184]
	v_mul_f64 v[141:142], v[1:2], v[183:184]
	s_waitcnt vmcnt(5)
	v_fma_f64 v[5:6], v[5:6], v[171:172], -v[145:146]
	v_fma_f64 v[7:8], v[7:8], v[171:172], v[143:144]
	v_add_f64 v[133:134], v[139:140], v[133:134]
	v_add_f64 v[135:136], v[137:138], v[135:136]
	s_waitcnt vmcnt(4)
	v_fma_f64 v[1:2], v[1:2], v[189:190], -v[147:148]
	v_fma_f64 v[3:4], v[3:4], v[189:190], v[141:142]
	v_add_f64 v[5:6], v[133:134], v[5:6]
	v_add_f64 v[7:8], v[135:136], v[7:8]
	;; [unrolled: 1-line block ×4, first 2 shown]
	s_waitcnt vmcnt(2)
	v_add_f64 v[1:2], v[173:174], -v[1:2]
	s_waitcnt vmcnt(0)
	v_add_f64 v[3:4], v[179:180], -v[3:4]
	buffer_store_dword v2, off, s[0:3], 0 offset:244
	buffer_store_dword v1, off, s[0:3], 0 offset:240
	buffer_store_dword v4, off, s[0:3], 0 offset:252
	buffer_store_dword v3, off, s[0:3], 0 offset:248
	v_cmpx_lt_u32_e32 13, v0
	s_cbranch_execz .LBB125_371
; %bb.370:
	v_mov_b32_e32 v4, s63
	s_clause 0x3
	buffer_load_dword v1, v4, s[0:3], 0 offen
	buffer_load_dword v2, v4, s[0:3], 0 offen offset:4
	buffer_load_dword v3, v4, s[0:3], 0 offen offset:8
	;; [unrolled: 1-line block ×3, first 2 shown]
	buffer_store_dword v194, off, s[0:3], 0 offset:224
	buffer_store_dword v194, off, s[0:3], 0 offset:228
	;; [unrolled: 1-line block ×4, first 2 shown]
	s_waitcnt vmcnt(0)
	ds_write_b128 v193, v[1:4]
.LBB125_371:
	s_or_b32 exec_lo, exec_lo, s4
	s_waitcnt lgkmcnt(0)
	s_waitcnt_vscnt null, 0x0
	s_barrier
	buffer_gl0_inv
	s_clause 0x37
	buffer_load_dword v141, off, s[0:3], 0 offset:248
	buffer_load_dword v142, off, s[0:3], 0 offset:252
	;; [unrolled: 1-line block ×56, first 2 shown]
	ds_read_b128 v[5:8], v194 offset:1216
	s_clause 0x2
	buffer_load_dword v190, off, s[0:3], 0 offset:476
	buffer_load_dword v192, off, s[0:3], 0 offset:452
	;; [unrolled: 1-line block ×3, first 2 shown]
	ds_read_b128 v[1:4], v194 offset:1232
	s_clause 0x4
	buffer_load_dword v202, off, s[0:3], 0 offset:492
	buffer_load_dword v203, off, s[0:3], 0 offset:504
	buffer_load_dword v205, off, s[0:3], 0 offset:496
	buffer_load_dword v201, off, s[0:3], 0 offset:488
	buffer_load_dword v182, off, s[0:3], 0 offset:468
	ds_read_b128 v[195:198], v194 offset:1248
	s_mov_b32 s4, exec_lo
	s_waitcnt vmcnt(62) lgkmcnt(2)
	v_mul_f64 v[199:200], v[7:8], v[141:142]
	v_mul_f64 v[141:142], v[5:6], v[141:142]
	s_waitcnt vmcnt(60) lgkmcnt(1)
	v_mul_f64 v[206:207], v[3:4], v[137:138]
	v_mul_f64 v[137:138], v[1:2], v[137:138]
	;; [unrolled: 3-line block ×3, first 2 shown]
	v_fma_f64 v[199:200], v[5:6], v[139:140], -v[199:200]
	v_fma_f64 v[139:140], v[7:8], v[139:140], v[141:142]
	s_clause 0x2
	buffer_load_dword v204, off, s[0:3], 0 offset:508
	buffer_load_dword v142, off, s[0:3], 0 offset:484
	;; [unrolled: 1-line block ×3, first 2 shown]
	s_waitcnt vmcnt(57)
	v_fma_f64 v[210:211], v[1:2], v[133:134], -v[206:207]
	ds_read_b128 v[5:8], v194 offset:1264
	v_fma_f64 v[133:134], v[3:4], v[133:134], v[137:138]
	s_waitcnt vmcnt(51)
	v_fma_f64 v[195:196], v[195:196], v[157:158], -v[135:136]
	v_fma_f64 v[157:158], v[197:198], v[157:158], v[208:209]
	v_add_f64 v[199:200], v[199:200], 0
	v_add_f64 v[137:138], v[139:140], 0
	s_clause 0x4
	buffer_load_dword v140, off, s[0:3], 0 offset:524
	buffer_load_dword v207, off, s[0:3], 0 offset:536
	buffer_load_dword v212, off, s[0:3], 0 offset:528
	buffer_load_dword v139, off, s[0:3], 0 offset:520
	buffer_load_dword v206, off, s[0:3], 0 offset:500
	s_waitcnt lgkmcnt(0)
	v_mul_f64 v[213:214], v[5:6], v[145:146]
	v_mul_f64 v[145:146], v[7:8], v[145:146]
	ds_read_b128 v[1:4], v194 offset:1280
	s_clause 0x2
	buffer_load_dword v208, off, s[0:3], 0 offset:540
	buffer_load_dword v198, off, s[0:3], 0 offset:516
	;; [unrolled: 1-line block ×3, first 2 shown]
	v_add_f64 v[199:200], v[199:200], v[210:211]
	v_add_f64 v[137:138], v[137:138], v[133:134]
	ds_read_b128 v[133:136], v194 offset:1296
	s_waitcnt vmcnt(58) lgkmcnt(1)
	v_mul_f64 v[209:210], v[1:2], v[149:150]
	v_mul_f64 v[149:150], v[3:4], v[149:150]
	s_waitcnt vmcnt(56)
	v_fma_f64 v[145:146], v[5:6], v[151:152], -v[145:146]
	v_fma_f64 v[151:152], v[7:8], v[151:152], v[213:214]
	s_waitcnt vmcnt(52) lgkmcnt(0)
	v_mul_f64 v[215:216], v[133:134], v[153:154]
	v_add_f64 v[195:196], v[199:200], v[195:196]
	v_add_f64 v[137:138], v[137:138], v[157:158]
	s_clause 0x4
	buffer_load_dword v158, off, s[0:3], 0 offset:556
	buffer_load_dword v199, off, s[0:3], 0 offset:568
	;; [unrolled: 1-line block ×5, first 2 shown]
	v_mul_f64 v[153:154], v[135:136], v[153:154]
	s_waitcnt vmcnt(56)
	v_fma_f64 v[149:150], v[1:2], v[143:144], -v[149:150]
	ds_read_b128 v[5:8], v194 offset:1312
	v_fma_f64 v[143:144], v[3:4], v[143:144], v[209:210]
	v_add_f64 v[145:146], v[195:196], v[145:146]
	v_add_f64 v[137:138], v[137:138], v[151:152]
	s_clause 0x2
	buffer_load_dword v200, off, s[0:3], 0 offset:572
	buffer_load_dword v152, off, s[0:3], 0 offset:548
	;; [unrolled: 1-line block ×3, first 2 shown]
	s_waitcnt vmcnt(58) lgkmcnt(0)
	v_mul_f64 v[195:196], v[5:6], v[159:160]
	v_mul_f64 v[159:160], v[7:8], v[159:160]
	s_waitcnt vmcnt(56)
	v_fma_f64 v[153:154], v[133:134], v[161:162], -v[153:154]
	ds_read_b128 v[1:4], v194 offset:1328
	v_add_f64 v[145:146], v[145:146], v[149:150]
	v_fma_f64 v[149:150], v[135:136], v[161:162], v[215:216]
	v_add_f64 v[137:138], v[137:138], v[143:144]
	s_clause 0x4
	buffer_load_dword v144, off, s[0:3], 0 offset:588
	buffer_load_dword v161, off, s[0:3], 0 offset:600
	;; [unrolled: 1-line block ×5, first 2 shown]
	s_waitcnt vmcnt(57) lgkmcnt(0)
	v_mul_f64 v[210:211], v[1:2], v[163:164]
	v_mul_f64 v[163:164], v[3:4], v[163:164]
	s_waitcnt vmcnt(56)
	v_fma_f64 v[159:160], v[5:6], v[147:148], -v[159:160]
	ds_read_b128 v[133:136], v194 offset:1344
	v_fma_f64 v[147:148], v[7:8], v[147:148], v[195:196]
	v_add_f64 v[145:146], v[145:146], v[153:154]
	v_add_f64 v[137:138], v[137:138], v[149:150]
	s_clause 0x2
	buffer_load_dword v162, off, s[0:3], 0 offset:604
	buffer_load_dword v150, off, s[0:3], 0 offset:580
	;; [unrolled: 1-line block ×3, first 2 shown]
	ds_read_b128 v[5:8], v194 offset:1360
	s_waitcnt vmcnt(58) lgkmcnt(1)
	v_mul_f64 v[153:154], v[133:134], v[167:168]
	v_mul_f64 v[167:168], v[135:136], v[167:168]
	s_waitcnt vmcnt(56)
	v_fma_f64 v[163:164], v[1:2], v[169:170], -v[163:164]
	v_add_f64 v[145:146], v[145:146], v[159:160]
	v_fma_f64 v[159:160], v[3:4], v[169:170], v[210:211]
	v_add_f64 v[137:138], v[137:138], v[147:148]
	s_clause 0x4
	buffer_load_dword v148, off, s[0:3], 0 offset:620
	buffer_load_dword v169, off, s[0:3], 0 offset:632
	;; [unrolled: 1-line block ×5, first 2 shown]
	s_waitcnt vmcnt(57) lgkmcnt(0)
	v_mul_f64 v[216:217], v[5:6], v[171:172]
	v_mul_f64 v[171:172], v[7:8], v[171:172]
	s_waitcnt vmcnt(56)
	v_fma_f64 v[167:168], v[133:134], v[155:156], -v[167:168]
	ds_read_b128 v[1:4], v194 offset:1376
	v_fma_f64 v[153:154], v[135:136], v[155:156], v[153:154]
	s_clause 0x2
	buffer_load_dword v170, off, s[0:3], 0 offset:636
	buffer_load_dword v156, off, s[0:3], 0 offset:612
	buffer_load_dword v155, off, s[0:3], 0 offset:608
	ds_read_b128 v[133:136], v194 offset:1392
	v_add_f64 v[145:146], v[145:146], v[163:164]
	v_add_f64 v[137:138], v[137:138], v[159:160]
	s_waitcnt vmcnt(58) lgkmcnt(1)
	v_mul_f64 v[163:164], v[3:4], v[175:176]
	s_waitcnt vmcnt(56)
	v_fma_f64 v[171:172], v[5:6], v[177:178], -v[171:172]
	v_mul_f64 v[159:160], v[1:2], v[175:176]
	v_add_f64 v[145:146], v[145:146], v[167:168]
	v_fma_f64 v[167:168], v[7:8], v[177:178], v[216:217]
	v_add_f64 v[137:138], v[137:138], v[153:154]
	s_clause 0x4
	buffer_load_dword v154, off, s[0:3], 0 offset:652
	buffer_load_dword v175, off, s[0:3], 0 offset:664
	;; [unrolled: 1-line block ×5, first 2 shown]
	s_waitcnt vmcnt(57) lgkmcnt(0)
	v_mul_f64 v[216:217], v[133:134], v[179:180]
	v_mul_f64 v[178:179], v[135:136], v[179:180]
	s_waitcnt vmcnt(56)
	v_fma_f64 v[163:164], v[1:2], v[165:166], -v[163:164]
	ds_read_b128 v[5:8], v194 offset:1408
	v_fma_f64 v[159:160], v[3:4], v[165:166], v[159:160]
	s_clause 0x2
	buffer_load_dword v176, off, s[0:3], 0 offset:668
	buffer_load_dword v166, off, s[0:3], 0 offset:644
	;; [unrolled: 1-line block ×3, first 2 shown]
	ds_read_b128 v[1:4], v194 offset:1424
	v_add_f64 v[145:146], v[145:146], v[171:172]
	v_add_f64 v[137:138], v[137:138], v[167:168]
	s_waitcnt vmcnt(58) lgkmcnt(1)
	v_mul_f64 v[171:172], v[7:8], v[183:184]
	s_waitcnt vmcnt(56)
	v_fma_f64 v[179:180], v[133:134], v[185:186], -v[178:179]
	v_mul_f64 v[167:168], v[5:6], v[183:184]
	v_add_f64 v[145:146], v[145:146], v[163:164]
	v_fma_f64 v[163:164], v[135:136], v[185:186], v[216:217]
	v_add_f64 v[137:138], v[137:138], v[159:160]
	s_clause 0x4
	buffer_load_dword v160, off, s[0:3], 0 offset:684
	buffer_load_dword v183, off, s[0:3], 0 offset:696
	;; [unrolled: 1-line block ×5, first 2 shown]
	s_waitcnt vmcnt(57) lgkmcnt(0)
	v_mul_f64 v[216:217], v[1:2], v[187:188]
	v_mul_f64 v[186:187], v[3:4], v[187:188]
	s_waitcnt vmcnt(56)
	v_fma_f64 v[171:172], v[5:6], v[173:174], -v[171:172]
	ds_read_b128 v[133:136], v194 offset:1440
	v_fma_f64 v[167:168], v[7:8], v[173:174], v[167:168]
	v_add_f64 v[145:146], v[145:146], v[179:180]
	v_add_f64 v[137:138], v[137:138], v[163:164]
	s_clause 0x2
	buffer_load_dword v184, off, s[0:3], 0 offset:700
	buffer_load_dword v164, off, s[0:3], 0 offset:676
	;; [unrolled: 1-line block ×3, first 2 shown]
	ds_read_b128 v[5:8], v194 offset:1456
	s_waitcnt vmcnt(58) lgkmcnt(1)
	v_mul_f64 v[179:180], v[135:136], v[189:190]
	s_waitcnt vmcnt(56)
	v_fma_f64 v[187:188], v[1:2], v[191:192], -v[186:187]
	v_mul_f64 v[173:174], v[133:134], v[189:190]
	v_add_f64 v[145:146], v[145:146], v[171:172]
	v_fma_f64 v[171:172], v[3:4], v[191:192], v[216:217]
	v_add_f64 v[137:138], v[137:138], v[167:168]
	s_clause 0x4
	buffer_load_dword v168, off, s[0:3], 0 offset:716
	buffer_load_dword v189, off, s[0:3], 0 offset:728
	;; [unrolled: 1-line block ×5, first 2 shown]
	s_waitcnt vmcnt(57) lgkmcnt(0)
	v_mul_f64 v[216:217], v[5:6], v[201:202]
	v_mul_f64 v[201:202], v[7:8], v[201:202]
	s_waitcnt vmcnt(56)
	v_fma_f64 v[179:180], v[133:134], v[181:182], -v[179:180]
	ds_read_b128 v[1:4], v194 offset:1472
	v_fma_f64 v[173:174], v[135:136], v[181:182], v[173:174]
	v_add_f64 v[145:146], v[145:146], v[187:188]
	v_add_f64 v[137:138], v[137:138], v[171:172]
	s_clause 0x2
	buffer_load_dword v190, off, s[0:3], 0 offset:732
	buffer_load_dword v172, off, s[0:3], 0 offset:708
	;; [unrolled: 1-line block ×3, first 2 shown]
	ds_read_b128 v[133:136], v194 offset:1488
	s_waitcnt vmcnt(58) lgkmcnt(1)
	v_mul_f64 v[187:188], v[3:4], v[203:204]
	v_mul_f64 v[181:182], v[1:2], v[203:204]
	s_waitcnt vmcnt(56)
	v_fma_f64 v[201:202], v[5:6], v[141:142], -v[201:202]
	v_fma_f64 v[141:142], v[7:8], v[141:142], v[216:217]
	v_add_f64 v[145:146], v[145:146], v[179:180]
	v_add_f64 v[137:138], v[137:138], v[173:174]
	s_clause 0x4
	buffer_load_dword v174, off, s[0:3], 0 offset:748
	buffer_load_dword v179, off, s[0:3], 0 offset:760
	;; [unrolled: 1-line block ×5, first 2 shown]
	ds_read_b128 v[5:8], v194 offset:1504
	s_waitcnt vmcnt(57) lgkmcnt(1)
	v_mul_f64 v[216:217], v[133:134], v[139:140]
	v_mul_f64 v[139:140], v[135:136], v[139:140]
	s_waitcnt vmcnt(56)
	v_fma_f64 v[187:188], v[1:2], v[205:206], -v[187:188]
	v_fma_f64 v[181:182], v[3:4], v[205:206], v[181:182]
	v_add_f64 v[145:146], v[145:146], v[201:202]
	v_add_f64 v[137:138], v[137:138], v[141:142]
	s_clause 0x2
	buffer_load_dword v180, off, s[0:3], 0 offset:764
	buffer_load_dword v142, off, s[0:3], 0 offset:740
	;; [unrolled: 1-line block ×3, first 2 shown]
	s_waitcnt vmcnt(58) lgkmcnt(0)
	v_mul_f64 v[205:206], v[7:8], v[207:208]
	ds_read_b128 v[1:4], v194 offset:1520
	v_mul_f64 v[201:202], v[5:6], v[207:208]
	s_waitcnt vmcnt(56)
	v_fma_f64 v[139:140], v[133:134], v[197:198], -v[139:140]
	v_add_f64 v[145:146], v[145:146], v[187:188]
	v_fma_f64 v[187:188], v[135:136], v[197:198], v[216:217]
	v_add_f64 v[137:138], v[137:138], v[181:182]
	s_clause 0x4
	buffer_load_dword v182, off, s[0:3], 0 offset:780
	buffer_load_dword v197, off, s[0:3], 0 offset:792
	;; [unrolled: 1-line block ×5, first 2 shown]
	ds_read_b128 v[133:136], v194 offset:1536
	s_waitcnt vmcnt(57) lgkmcnt(1)
	v_mul_f64 v[216:217], v[1:2], v[157:158]
	v_mul_f64 v[157:158], v[3:4], v[157:158]
	s_waitcnt vmcnt(56)
	v_fma_f64 v[205:206], v[5:6], v[212:213], -v[205:206]
	v_add_f64 v[139:140], v[145:146], v[139:140]
	v_fma_f64 v[145:146], v[7:8], v[212:213], v[201:202]
	v_add_f64 v[137:138], v[137:138], v[187:188]
	s_clause 0x2
	buffer_load_dword v198, off, s[0:3], 0 offset:796
	buffer_load_dword v188, off, s[0:3], 0 offset:772
	;; [unrolled: 1-line block ×3, first 2 shown]
	ds_read_b128 v[5:8], v194 offset:1552
	s_waitcnt vmcnt(58) lgkmcnt(1)
	v_mul_f64 v[201:202], v[133:134], v[199:200]
	v_mul_f64 v[199:200], v[135:136], v[199:200]
	s_waitcnt vmcnt(56)
	v_fma_f64 v[157:158], v[1:2], v[151:152], -v[157:158]
	v_fma_f64 v[151:152], v[3:4], v[151:152], v[216:217]
	v_add_f64 v[139:140], v[139:140], v[205:206]
	v_add_f64 v[137:138], v[137:138], v[145:146]
	s_clause 0x4
	buffer_load_dword v146, off, s[0:3], 0 offset:812
	buffer_load_dword v205, off, s[0:3], 0 offset:824
	;; [unrolled: 1-line block ×5, first 2 shown]
	ds_read_b128 v[1:4], v194 offset:1568
	s_waitcnt vmcnt(57) lgkmcnt(1)
	v_mul_f64 v[212:213], v[5:6], v[143:144]
	v_mul_f64 v[143:144], v[7:8], v[143:144]
	s_waitcnt vmcnt(56)
	v_fma_f64 v[199:200], v[133:134], v[214:215], -v[199:200]
	v_add_f64 v[139:140], v[139:140], v[157:158]
	v_fma_f64 v[157:158], v[135:136], v[214:215], v[201:202]
	v_add_f64 v[137:138], v[137:138], v[151:152]
	s_clause 0x2
	buffer_load_dword v206, off, s[0:3], 0 offset:828
	buffer_load_dword v152, off, s[0:3], 0 offset:804
	;; [unrolled: 1-line block ×3, first 2 shown]
	ds_read_b128 v[133:136], v194 offset:1584
	s_waitcnt vmcnt(58) lgkmcnt(1)
	v_mul_f64 v[201:202], v[1:2], v[161:162]
	v_mul_f64 v[161:162], v[3:4], v[161:162]
	s_waitcnt vmcnt(56)
	v_fma_f64 v[143:144], v[5:6], v[149:150], -v[143:144]
	v_fma_f64 v[149:150], v[7:8], v[149:150], v[212:213]
	v_add_f64 v[139:140], v[139:140], v[199:200]
	v_add_f64 v[137:138], v[137:138], v[157:158]
	s_clause 0x4
	buffer_load_dword v158, off, s[0:3], 0 offset:844
	buffer_load_dword v199, off, s[0:3], 0 offset:856
	;; [unrolled: 1-line block ×5, first 2 shown]
	ds_read_b128 v[5:8], v194 offset:1600
	s_waitcnt vmcnt(57) lgkmcnt(1)
	v_mul_f64 v[214:215], v[133:134], v[147:148]
	v_mul_f64 v[147:148], v[135:136], v[147:148]
	s_waitcnt vmcnt(56)
	v_fma_f64 v[161:162], v[1:2], v[209:210], -v[161:162]
	v_add_f64 v[139:140], v[139:140], v[143:144]
	v_fma_f64 v[143:144], v[3:4], v[209:210], v[201:202]
	v_add_f64 v[137:138], v[137:138], v[149:150]
	s_clause 0x2
	buffer_load_dword v200, off, s[0:3], 0 offset:860
	buffer_load_dword v150, off, s[0:3], 0 offset:836
	;; [unrolled: 1-line block ×3, first 2 shown]
	s_waitcnt vmcnt(58) lgkmcnt(0)
	v_mul_f64 v[201:202], v[5:6], v[169:170]
	v_mul_f64 v[169:170], v[7:8], v[169:170]
	ds_read_b128 v[1:4], v194 offset:1616
	s_waitcnt vmcnt(56)
	v_fma_f64 v[147:148], v[133:134], v[155:156], -v[147:148]
	v_fma_f64 v[155:156], v[135:136], v[155:156], v[214:215]
	v_add_f64 v[139:140], v[139:140], v[161:162]
	v_add_f64 v[137:138], v[137:138], v[143:144]
	s_clause 0x4
	buffer_load_dword v144, off, s[0:3], 0 offset:876
	buffer_load_dword v161, off, s[0:3], 0 offset:888
	;; [unrolled: 1-line block ×5, first 2 shown]
	ds_read_b128 v[133:136], v194 offset:1632
	s_waitcnt vmcnt(57) lgkmcnt(1)
	v_mul_f64 v[215:216], v[1:2], v[153:154]
	v_mul_f64 v[153:154], v[3:4], v[153:154]
	s_waitcnt vmcnt(56)
	v_fma_f64 v[169:170], v[5:6], v[195:196], -v[169:170]
	v_add_f64 v[139:140], v[139:140], v[147:148]
	v_fma_f64 v[147:148], v[7:8], v[195:196], v[201:202]
	v_add_f64 v[137:138], v[137:138], v[155:156]
	s_clause 0x2
	buffer_load_dword v162, off, s[0:3], 0 offset:892
	buffer_load_dword v156, off, s[0:3], 0 offset:868
	;; [unrolled: 1-line block ×3, first 2 shown]
	s_waitcnt vmcnt(58) lgkmcnt(0)
	v_mul_f64 v[195:196], v[133:134], v[175:176]
	v_mul_f64 v[175:176], v[135:136], v[175:176]
	ds_read_b128 v[5:8], v194 offset:1648
	s_waitcnt vmcnt(56)
	v_fma_f64 v[153:154], v[1:2], v[165:166], -v[153:154]
	v_fma_f64 v[165:166], v[3:4], v[165:166], v[215:216]
	v_add_f64 v[139:140], v[139:140], v[169:170]
	v_add_f64 v[137:138], v[137:138], v[147:148]
	s_clause 0x4
	buffer_load_dword v148, off, s[0:3], 0 offset:908
	buffer_load_dword v169, off, s[0:3], 0 offset:920
	buffer_load_dword v201, off, s[0:3], 0 offset:912
	buffer_load_dword v147, off, s[0:3], 0 offset:904
	buffer_load_dword v210, off, s[0:3], 0 offset:884
	ds_read_b128 v[1:4], v194 offset:1664
	s_waitcnt vmcnt(57) lgkmcnt(1)
	v_mul_f64 v[215:216], v[5:6], v[159:160]
	v_mul_f64 v[159:160], v[7:8], v[159:160]
	s_waitcnt vmcnt(56)
	v_fma_f64 v[175:176], v[133:134], v[177:178], -v[175:176]
	v_add_f64 v[139:140], v[139:140], v[153:154]
	v_fma_f64 v[153:154], v[135:136], v[177:178], v[195:196]
	v_add_f64 v[137:138], v[137:138], v[165:166]
	s_clause 0x2
	buffer_load_dword v170, off, s[0:3], 0 offset:924
	buffer_load_dword v166, off, s[0:3], 0 offset:900
	buffer_load_dword v165, off, s[0:3], 0 offset:896
	ds_read_b128 v[133:136], v194 offset:1680
	s_waitcnt vmcnt(58) lgkmcnt(1)
	v_mul_f64 v[177:178], v[1:2], v[183:184]
	v_mul_f64 v[183:184], v[3:4], v[183:184]
	s_waitcnt vmcnt(56)
	v_fma_f64 v[159:160], v[5:6], v[163:164], -v[159:160]
	v_fma_f64 v[163:164], v[7:8], v[163:164], v[215:216]
	v_add_f64 v[139:140], v[139:140], v[175:176]
	v_add_f64 v[137:138], v[137:138], v[153:154]
	s_clause 0x4
	buffer_load_dword v154, off, s[0:3], 0 offset:940
	buffer_load_dword v175, off, s[0:3], 0 offset:952
	buffer_load_dword v195, off, s[0:3], 0 offset:944
	buffer_load_dword v153, off, s[0:3], 0 offset:936
	buffer_load_dword v202, off, s[0:3], 0 offset:916
	ds_read_b128 v[5:8], v194 offset:1696
	s_waitcnt vmcnt(57) lgkmcnt(1)
	v_mul_f64 v[215:216], v[133:134], v[167:168]
	v_mul_f64 v[167:168], v[135:136], v[167:168]
	s_waitcnt vmcnt(56)
	v_fma_f64 v[183:184], v[1:2], v[185:186], -v[183:184]
	v_add_f64 v[139:140], v[139:140], v[159:160]
	v_fma_f64 v[159:160], v[3:4], v[185:186], v[177:178]
	v_add_f64 v[137:138], v[137:138], v[163:164]
	s_clause 0x2
	buffer_load_dword v176, off, s[0:3], 0 offset:956
	buffer_load_dword v164, off, s[0:3], 0 offset:932
	buffer_load_dword v163, off, s[0:3], 0 offset:928
	ds_read_b128 v[1:4], v194 offset:1712
	s_waitcnt vmcnt(58) lgkmcnt(1)
	v_mul_f64 v[185:186], v[7:8], v[189:190]
	v_mul_f64 v[177:178], v[5:6], v[189:190]
	;; [unrolled: 28-line block ×3, first 2 shown]
	s_waitcnt vmcnt(56)
	v_fma_f64 v[173:174], v[1:2], v[141:142], -v[173:174]
	v_fma_f64 v[141:142], v[3:4], v[141:142], v[215:216]
	v_add_f64 v[139:140], v[139:140], v[185:186]
	v_add_f64 v[137:138], v[137:138], v[167:168]
	s_clause 0x2
	buffer_load_dword v168, off, s[0:3], 0 offset:1004
	buffer_load_dword v167, off, s[0:3], 0 offset:1000
	;; [unrolled: 1-line block ×3, first 2 shown]
	ds_read_b128 v[1:4], v194 offset:1760
	s_waitcnt vmcnt(55) lgkmcnt(1)
	v_mul_f64 v[185:186], v[5:6], v[181:182]
	v_mul_f64 v[181:182], v[7:8], v[181:182]
	s_waitcnt vmcnt(54)
	v_fma_f64 v[179:180], v[133:134], v[203:204], -v[179:180]
	v_add_f64 v[139:140], v[139:140], v[173:174]
	v_fma_f64 v[173:174], v[135:136], v[203:204], v[177:178]
	v_add_f64 v[137:138], v[137:138], v[141:142]
	s_clause 0x1
	buffer_load_dword v142, off, s[0:3], 0 offset:996
	buffer_load_dword v141, off, s[0:3], 0 offset:992
	ds_read_b128 v[133:136], v194 offset:1776
	s_waitcnt vmcnt(55) lgkmcnt(1)
	v_mul_f64 v[191:192], v[3:4], v[197:198]
	v_mul_f64 v[177:178], v[1:2], v[197:198]
	s_waitcnt vmcnt(53)
	v_fma_f64 v[181:182], v[5:6], v[187:188], -v[181:182]
	v_add_f64 v[139:140], v[139:140], v[179:180]
	v_fma_f64 v[179:180], v[7:8], v[187:188], v[185:186]
	v_add_f64 v[137:138], v[137:138], v[173:174]
	ds_read_b128 v[5:8], v194 offset:1792
	s_waitcnt vmcnt(49) lgkmcnt(1)
	v_mul_f64 v[173:174], v[133:134], v[145:146]
	v_mul_f64 v[145:146], v[135:136], v[145:146]
	s_waitcnt vmcnt(48)
	v_fma_f64 v[185:186], v[1:2], v[207:208], -v[191:192]
	v_fma_f64 v[177:178], v[3:4], v[207:208], v[177:178]
	v_add_f64 v[139:140], v[139:140], v[181:182]
	v_add_f64 v[137:138], v[137:138], v[179:180]
	s_clause 0x3
	buffer_load_dword v179, off, s[0:3], 0 offset:224
	buffer_load_dword v180, off, s[0:3], 0 offset:228
	;; [unrolled: 1-line block ×4, first 2 shown]
	ds_read_b128 v[1:4], v194 offset:1808
	s_waitcnt vmcnt(51) lgkmcnt(1)
	v_mul_f64 v[191:192], v[7:8], v[205:206]
	v_mul_f64 v[187:188], v[5:6], v[205:206]
	s_waitcnt vmcnt(49)
	v_fma_f64 v[145:146], v[133:134], v[151:152], -v[145:146]
	v_fma_f64 v[151:152], v[135:136], v[151:152], v[173:174]
	ds_read_b128 v[133:136], v194 offset:1824
	v_add_f64 v[139:140], v[139:140], v[185:186]
	v_add_f64 v[137:138], v[137:138], v[177:178]
	s_waitcnt vmcnt(45) lgkmcnt(1)
	v_mul_f64 v[173:174], v[1:2], v[157:158]
	v_mul_f64 v[157:158], v[3:4], v[157:158]
	s_waitcnt vmcnt(44)
	v_fma_f64 v[177:178], v[5:6], v[211:212], -v[191:192]
	v_add_f64 v[139:140], v[139:140], v[145:146]
	v_fma_f64 v[145:146], v[7:8], v[211:212], v[187:188]
	v_add_f64 v[137:138], v[137:138], v[151:152]
	ds_read_b128 v[5:8], v194 offset:1840
	s_waitcnt vmcnt(43) lgkmcnt(1)
	v_mul_f64 v[185:186], v[135:136], v[199:200]
	v_mul_f64 v[151:152], v[133:134], v[199:200]
	s_waitcnt vmcnt(41)
	v_fma_f64 v[157:158], v[1:2], v[149:150], -v[157:158]
	v_fma_f64 v[149:150], v[3:4], v[149:150], v[173:174]
	ds_read_b128 v[1:4], v194 offset:1856
	v_add_f64 v[139:140], v[139:140], v[177:178]
	v_add_f64 v[137:138], v[137:138], v[145:146]
	s_waitcnt vmcnt(37) lgkmcnt(1)
	v_mul_f64 v[145:146], v[5:6], v[143:144]
	v_mul_f64 v[143:144], v[7:8], v[143:144]
	s_waitcnt vmcnt(36)
	v_fma_f64 v[173:174], v[133:134], v[213:214], -v[185:186]
	v_fma_f64 v[151:152], v[135:136], v[213:214], v[151:152]
	ds_read_b128 v[133:136], v194 offset:1872
	v_add_f64 v[139:140], v[139:140], v[157:158]
	v_add_f64 v[137:138], v[137:138], v[149:150]
	;; [unrolled: 9-line block ×3, first 2 shown]
	s_waitcnt vmcnt(29) lgkmcnt(1)
	v_mul_f64 v[151:152], v[133:134], v[147:148]
	v_mul_f64 v[147:148], v[135:136], v[147:148]
	s_waitcnt vmcnt(28)
	v_fma_f64 v[155:156], v[1:2], v[209:210], -v[157:158]
	v_add_f64 v[139:140], v[139:140], v[143:144]
	v_fma_f64 v[143:144], v[3:4], v[209:210], v[149:150]
	v_add_f64 v[137:138], v[137:138], v[145:146]
	ds_read_b128 v[1:4], v194 offset:1904
	s_waitcnt vmcnt(27) lgkmcnt(1)
	v_mul_f64 v[149:150], v[7:8], v[169:170]
	v_mul_f64 v[145:146], v[5:6], v[169:170]
	s_waitcnt vmcnt(25)
	v_fma_f64 v[147:148], v[133:134], v[165:166], -v[147:148]
	v_fma_f64 v[151:152], v[135:136], v[165:166], v[151:152]
	ds_read_b128 v[133:136], v194 offset:1920
	v_add_f64 v[139:140], v[139:140], v[155:156]
	v_add_f64 v[137:138], v[137:138], v[143:144]
	s_waitcnt vmcnt(21) lgkmcnt(1)
	v_mul_f64 v[143:144], v[1:2], v[153:154]
	v_mul_f64 v[153:154], v[3:4], v[153:154]
	s_waitcnt vmcnt(20)
	v_fma_f64 v[149:150], v[5:6], v[201:202], -v[149:150]
	v_fma_f64 v[145:146], v[7:8], v[201:202], v[145:146]
	ds_read_b128 v[5:8], v194 offset:1936
	v_add_f64 v[139:140], v[139:140], v[147:148]
	v_add_f64 v[137:138], v[137:138], v[151:152]
	;; [unrolled: 9-line block ×3, first 2 shown]
	s_waitcnt vmcnt(13) lgkmcnt(1)
	v_mul_f64 v[149:150], v[7:8], v[159:160]
	s_waitcnt vmcnt(12)
	v_fma_f64 v[151:152], v[133:134], v[195:196], -v[151:152]
	v_mul_f64 v[145:146], v[5:6], v[159:160]
	v_fma_f64 v[147:148], v[135:136], v[195:196], v[147:148]
	ds_read_b128 v[133:136], v194 offset:1968
	v_add_f64 v[139:140], v[139:140], v[153:154]
	v_add_f64 v[137:138], v[137:138], v[143:144]
	s_waitcnt vmcnt(11) lgkmcnt(1)
	v_mul_f64 v[153:154], v[3:4], v[183:184]
	v_mul_f64 v[143:144], v[1:2], v[183:184]
	s_waitcnt vmcnt(9)
	v_fma_f64 v[5:6], v[5:6], v[171:172], -v[149:150]
	v_fma_f64 v[7:8], v[7:8], v[171:172], v[145:146]
	v_add_f64 v[139:140], v[139:140], v[151:152]
	v_add_f64 v[137:138], v[137:138], v[147:148]
	s_waitcnt vmcnt(7) lgkmcnt(0)
	v_mul_f64 v[147:148], v[135:136], v[167:168]
	s_waitcnt vmcnt(6)
	v_fma_f64 v[1:2], v[1:2], v[189:190], -v[153:154]
	v_mul_f64 v[145:146], v[133:134], v[167:168]
	v_fma_f64 v[3:4], v[3:4], v[189:190], v[143:144]
	v_add_f64 v[5:6], v[139:140], v[5:6]
	v_add_f64 v[7:8], v[137:138], v[7:8]
	s_waitcnt vmcnt(4)
	v_fma_f64 v[133:134], v[133:134], v[141:142], -v[147:148]
	v_add_f64 v[1:2], v[5:6], v[1:2]
	v_fma_f64 v[5:6], v[135:136], v[141:142], v[145:146]
	v_add_f64 v[3:4], v[7:8], v[3:4]
	v_add_f64 v[1:2], v[1:2], v[133:134]
	;; [unrolled: 1-line block ×3, first 2 shown]
	s_waitcnt vmcnt(2)
	v_add_f64 v[1:2], v[179:180], -v[1:2]
	s_waitcnt vmcnt(0)
	v_add_f64 v[3:4], v[181:182], -v[3:4]
	buffer_store_dword v2, off, s[0:3], 0 offset:228
	buffer_store_dword v1, off, s[0:3], 0 offset:224
	;; [unrolled: 1-line block ×4, first 2 shown]
	v_cmpx_lt_u32_e32 12, v0
	s_cbranch_execz .LBB125_373
; %bb.372:
	v_mov_b32_e32 v4, s64
	v_mov_b32_e32 v5, 0
	s_clause 0x3
	buffer_load_dword v1, v4, s[0:3], 0 offen
	buffer_load_dword v2, v4, s[0:3], 0 offen offset:4
	buffer_load_dword v3, v4, s[0:3], 0 offen offset:8
	;; [unrolled: 1-line block ×3, first 2 shown]
	buffer_store_dword v5, off, s[0:3], 0 offset:208
	buffer_store_dword v5, off, s[0:3], 0 offset:212
	;; [unrolled: 1-line block ×4, first 2 shown]
	s_waitcnt vmcnt(0)
	ds_write_b128 v193, v[1:4]
.LBB125_373:
	s_or_b32 exec_lo, exec_lo, s4
	s_waitcnt lgkmcnt(0)
	s_waitcnt_vscnt null, 0x0
	s_barrier
	buffer_gl0_inv
	s_clause 0x37
	buffer_load_dword v141, off, s[0:3], 0 offset:232
	buffer_load_dword v142, off, s[0:3], 0 offset:236
	;; [unrolled: 1-line block ×56, first 2 shown]
	v_mov_b32_e32 v194, 0
	s_mov_b32 s4, exec_lo
	ds_read_b128 v[5:8], v194 offset:1200
	s_clause 0x2
	buffer_load_dword v190, off, s[0:3], 0 offset:460
	buffer_load_dword v192, off, s[0:3], 0 offset:436
	;; [unrolled: 1-line block ×3, first 2 shown]
	ds_read_b128 v[1:4], v194 offset:1216
	s_clause 0x4
	buffer_load_dword v202, off, s[0:3], 0 offset:476
	buffer_load_dword v203, off, s[0:3], 0 offset:488
	;; [unrolled: 1-line block ×5, first 2 shown]
	ds_read_b128 v[195:198], v194 offset:1232
	s_waitcnt vmcnt(62) lgkmcnt(2)
	v_mul_f64 v[199:200], v[7:8], v[141:142]
	v_mul_f64 v[141:142], v[5:6], v[141:142]
	s_waitcnt vmcnt(60) lgkmcnt(1)
	v_mul_f64 v[206:207], v[3:4], v[137:138]
	v_mul_f64 v[137:138], v[1:2], v[137:138]
	;; [unrolled: 3-line block ×3, first 2 shown]
	v_fma_f64 v[199:200], v[5:6], v[139:140], -v[199:200]
	v_fma_f64 v[139:140], v[7:8], v[139:140], v[141:142]
	s_clause 0x2
	buffer_load_dword v204, off, s[0:3], 0 offset:492
	buffer_load_dword v142, off, s[0:3], 0 offset:468
	;; [unrolled: 1-line block ×3, first 2 shown]
	s_waitcnt vmcnt(57)
	v_fma_f64 v[210:211], v[1:2], v[133:134], -v[206:207]
	ds_read_b128 v[5:8], v194 offset:1248
	v_fma_f64 v[133:134], v[3:4], v[133:134], v[137:138]
	s_waitcnt vmcnt(51)
	v_fma_f64 v[195:196], v[195:196], v[157:158], -v[135:136]
	v_fma_f64 v[157:158], v[197:198], v[157:158], v[208:209]
	v_add_f64 v[199:200], v[199:200], 0
	v_add_f64 v[137:138], v[139:140], 0
	s_clause 0x4
	buffer_load_dword v140, off, s[0:3], 0 offset:508
	buffer_load_dword v207, off, s[0:3], 0 offset:520
	;; [unrolled: 1-line block ×5, first 2 shown]
	s_waitcnt lgkmcnt(0)
	v_mul_f64 v[213:214], v[5:6], v[145:146]
	v_mul_f64 v[145:146], v[7:8], v[145:146]
	ds_read_b128 v[1:4], v194 offset:1264
	s_clause 0x2
	buffer_load_dword v208, off, s[0:3], 0 offset:524
	buffer_load_dword v198, off, s[0:3], 0 offset:500
	;; [unrolled: 1-line block ×3, first 2 shown]
	v_add_f64 v[199:200], v[199:200], v[210:211]
	v_add_f64 v[137:138], v[137:138], v[133:134]
	ds_read_b128 v[133:136], v194 offset:1280
	s_waitcnt vmcnt(58) lgkmcnt(1)
	v_mul_f64 v[209:210], v[1:2], v[149:150]
	v_mul_f64 v[149:150], v[3:4], v[149:150]
	s_waitcnt vmcnt(56)
	v_fma_f64 v[145:146], v[5:6], v[151:152], -v[145:146]
	v_fma_f64 v[151:152], v[7:8], v[151:152], v[213:214]
	s_waitcnt vmcnt(52) lgkmcnt(0)
	v_mul_f64 v[215:216], v[133:134], v[153:154]
	v_add_f64 v[195:196], v[199:200], v[195:196]
	v_add_f64 v[137:138], v[137:138], v[157:158]
	s_clause 0x4
	buffer_load_dword v158, off, s[0:3], 0 offset:540
	buffer_load_dword v199, off, s[0:3], 0 offset:552
	;; [unrolled: 1-line block ×5, first 2 shown]
	v_mul_f64 v[153:154], v[135:136], v[153:154]
	s_waitcnt vmcnt(56)
	v_fma_f64 v[149:150], v[1:2], v[143:144], -v[149:150]
	ds_read_b128 v[5:8], v194 offset:1296
	v_fma_f64 v[143:144], v[3:4], v[143:144], v[209:210]
	v_add_f64 v[145:146], v[195:196], v[145:146]
	v_add_f64 v[137:138], v[137:138], v[151:152]
	s_clause 0x2
	buffer_load_dword v200, off, s[0:3], 0 offset:556
	buffer_load_dword v152, off, s[0:3], 0 offset:532
	;; [unrolled: 1-line block ×3, first 2 shown]
	s_waitcnt vmcnt(58) lgkmcnt(0)
	v_mul_f64 v[195:196], v[5:6], v[159:160]
	v_mul_f64 v[159:160], v[7:8], v[159:160]
	s_waitcnt vmcnt(56)
	v_fma_f64 v[153:154], v[133:134], v[161:162], -v[153:154]
	ds_read_b128 v[1:4], v194 offset:1312
	v_add_f64 v[145:146], v[145:146], v[149:150]
	v_fma_f64 v[149:150], v[135:136], v[161:162], v[215:216]
	v_add_f64 v[137:138], v[137:138], v[143:144]
	s_clause 0x4
	buffer_load_dword v144, off, s[0:3], 0 offset:572
	buffer_load_dword v161, off, s[0:3], 0 offset:584
	;; [unrolled: 1-line block ×5, first 2 shown]
	s_waitcnt vmcnt(57) lgkmcnt(0)
	v_mul_f64 v[210:211], v[1:2], v[163:164]
	v_mul_f64 v[163:164], v[3:4], v[163:164]
	s_waitcnt vmcnt(56)
	v_fma_f64 v[159:160], v[5:6], v[147:148], -v[159:160]
	ds_read_b128 v[133:136], v194 offset:1328
	v_fma_f64 v[147:148], v[7:8], v[147:148], v[195:196]
	v_add_f64 v[145:146], v[145:146], v[153:154]
	v_add_f64 v[137:138], v[137:138], v[149:150]
	s_clause 0x2
	buffer_load_dword v162, off, s[0:3], 0 offset:588
	buffer_load_dword v150, off, s[0:3], 0 offset:564
	buffer_load_dword v149, off, s[0:3], 0 offset:560
	ds_read_b128 v[5:8], v194 offset:1344
	s_waitcnt vmcnt(58) lgkmcnt(1)
	v_mul_f64 v[153:154], v[133:134], v[167:168]
	v_mul_f64 v[167:168], v[135:136], v[167:168]
	s_waitcnt vmcnt(56)
	v_fma_f64 v[163:164], v[1:2], v[169:170], -v[163:164]
	v_add_f64 v[145:146], v[145:146], v[159:160]
	v_fma_f64 v[159:160], v[3:4], v[169:170], v[210:211]
	v_add_f64 v[137:138], v[137:138], v[147:148]
	s_clause 0x4
	buffer_load_dword v148, off, s[0:3], 0 offset:604
	buffer_load_dword v169, off, s[0:3], 0 offset:616
	;; [unrolled: 1-line block ×5, first 2 shown]
	s_waitcnt vmcnt(57) lgkmcnt(0)
	v_mul_f64 v[216:217], v[5:6], v[171:172]
	v_mul_f64 v[171:172], v[7:8], v[171:172]
	s_waitcnt vmcnt(56)
	v_fma_f64 v[167:168], v[133:134], v[155:156], -v[167:168]
	ds_read_b128 v[1:4], v194 offset:1360
	v_fma_f64 v[153:154], v[135:136], v[155:156], v[153:154]
	s_clause 0x2
	buffer_load_dword v170, off, s[0:3], 0 offset:620
	buffer_load_dword v156, off, s[0:3], 0 offset:596
	;; [unrolled: 1-line block ×3, first 2 shown]
	ds_read_b128 v[133:136], v194 offset:1376
	v_add_f64 v[145:146], v[145:146], v[163:164]
	v_add_f64 v[137:138], v[137:138], v[159:160]
	s_waitcnt vmcnt(58) lgkmcnt(1)
	v_mul_f64 v[163:164], v[3:4], v[175:176]
	s_waitcnt vmcnt(56)
	v_fma_f64 v[171:172], v[5:6], v[177:178], -v[171:172]
	v_mul_f64 v[159:160], v[1:2], v[175:176]
	v_add_f64 v[145:146], v[145:146], v[167:168]
	v_fma_f64 v[167:168], v[7:8], v[177:178], v[216:217]
	v_add_f64 v[137:138], v[137:138], v[153:154]
	s_clause 0x4
	buffer_load_dword v154, off, s[0:3], 0 offset:636
	buffer_load_dword v175, off, s[0:3], 0 offset:648
	;; [unrolled: 1-line block ×5, first 2 shown]
	s_waitcnt vmcnt(57) lgkmcnt(0)
	v_mul_f64 v[216:217], v[133:134], v[179:180]
	v_mul_f64 v[178:179], v[135:136], v[179:180]
	s_waitcnt vmcnt(56)
	v_fma_f64 v[163:164], v[1:2], v[165:166], -v[163:164]
	ds_read_b128 v[5:8], v194 offset:1392
	v_fma_f64 v[159:160], v[3:4], v[165:166], v[159:160]
	s_clause 0x2
	buffer_load_dword v176, off, s[0:3], 0 offset:652
	buffer_load_dword v166, off, s[0:3], 0 offset:628
	buffer_load_dword v165, off, s[0:3], 0 offset:624
	ds_read_b128 v[1:4], v194 offset:1408
	v_add_f64 v[145:146], v[145:146], v[171:172]
	v_add_f64 v[137:138], v[137:138], v[167:168]
	s_waitcnt vmcnt(58) lgkmcnt(1)
	v_mul_f64 v[171:172], v[7:8], v[183:184]
	s_waitcnt vmcnt(56)
	v_fma_f64 v[179:180], v[133:134], v[185:186], -v[178:179]
	v_mul_f64 v[167:168], v[5:6], v[183:184]
	v_add_f64 v[145:146], v[145:146], v[163:164]
	v_fma_f64 v[163:164], v[135:136], v[185:186], v[216:217]
	v_add_f64 v[137:138], v[137:138], v[159:160]
	s_clause 0x4
	buffer_load_dword v160, off, s[0:3], 0 offset:668
	buffer_load_dword v183, off, s[0:3], 0 offset:680
	;; [unrolled: 1-line block ×5, first 2 shown]
	s_waitcnt vmcnt(57) lgkmcnt(0)
	v_mul_f64 v[216:217], v[1:2], v[187:188]
	v_mul_f64 v[186:187], v[3:4], v[187:188]
	s_waitcnt vmcnt(56)
	v_fma_f64 v[171:172], v[5:6], v[173:174], -v[171:172]
	ds_read_b128 v[133:136], v194 offset:1424
	v_fma_f64 v[167:168], v[7:8], v[173:174], v[167:168]
	v_add_f64 v[145:146], v[145:146], v[179:180]
	v_add_f64 v[137:138], v[137:138], v[163:164]
	s_clause 0x2
	buffer_load_dword v184, off, s[0:3], 0 offset:684
	buffer_load_dword v164, off, s[0:3], 0 offset:660
	;; [unrolled: 1-line block ×3, first 2 shown]
	ds_read_b128 v[5:8], v194 offset:1440
	s_waitcnt vmcnt(58) lgkmcnt(1)
	v_mul_f64 v[179:180], v[135:136], v[189:190]
	s_waitcnt vmcnt(56)
	v_fma_f64 v[187:188], v[1:2], v[191:192], -v[186:187]
	v_mul_f64 v[173:174], v[133:134], v[189:190]
	v_add_f64 v[145:146], v[145:146], v[171:172]
	v_fma_f64 v[171:172], v[3:4], v[191:192], v[216:217]
	v_add_f64 v[137:138], v[137:138], v[167:168]
	s_clause 0x4
	buffer_load_dword v168, off, s[0:3], 0 offset:700
	buffer_load_dword v189, off, s[0:3], 0 offset:712
	;; [unrolled: 1-line block ×5, first 2 shown]
	s_waitcnt vmcnt(57) lgkmcnt(0)
	v_mul_f64 v[216:217], v[5:6], v[201:202]
	v_mul_f64 v[201:202], v[7:8], v[201:202]
	s_waitcnt vmcnt(56)
	v_fma_f64 v[179:180], v[133:134], v[181:182], -v[179:180]
	ds_read_b128 v[1:4], v194 offset:1456
	v_fma_f64 v[173:174], v[135:136], v[181:182], v[173:174]
	v_add_f64 v[145:146], v[145:146], v[187:188]
	v_add_f64 v[137:138], v[137:138], v[171:172]
	s_clause 0x2
	buffer_load_dword v190, off, s[0:3], 0 offset:716
	buffer_load_dword v172, off, s[0:3], 0 offset:692
	buffer_load_dword v171, off, s[0:3], 0 offset:688
	ds_read_b128 v[133:136], v194 offset:1472
	s_waitcnt vmcnt(58) lgkmcnt(1)
	v_mul_f64 v[187:188], v[3:4], v[203:204]
	v_mul_f64 v[181:182], v[1:2], v[203:204]
	s_waitcnt vmcnt(56)
	v_fma_f64 v[201:202], v[5:6], v[141:142], -v[201:202]
	v_fma_f64 v[141:142], v[7:8], v[141:142], v[216:217]
	v_add_f64 v[145:146], v[145:146], v[179:180]
	v_add_f64 v[137:138], v[137:138], v[173:174]
	s_clause 0x4
	buffer_load_dword v174, off, s[0:3], 0 offset:732
	buffer_load_dword v179, off, s[0:3], 0 offset:744
	;; [unrolled: 1-line block ×5, first 2 shown]
	ds_read_b128 v[5:8], v194 offset:1488
	s_waitcnt vmcnt(57) lgkmcnt(1)
	v_mul_f64 v[216:217], v[133:134], v[139:140]
	v_mul_f64 v[139:140], v[135:136], v[139:140]
	s_waitcnt vmcnt(56)
	v_fma_f64 v[187:188], v[1:2], v[205:206], -v[187:188]
	v_fma_f64 v[181:182], v[3:4], v[205:206], v[181:182]
	v_add_f64 v[145:146], v[145:146], v[201:202]
	v_add_f64 v[137:138], v[137:138], v[141:142]
	s_clause 0x2
	buffer_load_dword v180, off, s[0:3], 0 offset:748
	buffer_load_dword v142, off, s[0:3], 0 offset:724
	;; [unrolled: 1-line block ×3, first 2 shown]
	s_waitcnt vmcnt(58) lgkmcnt(0)
	v_mul_f64 v[205:206], v[7:8], v[207:208]
	ds_read_b128 v[1:4], v194 offset:1504
	v_mul_f64 v[201:202], v[5:6], v[207:208]
	s_waitcnt vmcnt(56)
	v_fma_f64 v[139:140], v[133:134], v[197:198], -v[139:140]
	v_add_f64 v[145:146], v[145:146], v[187:188]
	v_fma_f64 v[187:188], v[135:136], v[197:198], v[216:217]
	v_add_f64 v[137:138], v[137:138], v[181:182]
	s_clause 0x4
	buffer_load_dword v182, off, s[0:3], 0 offset:764
	buffer_load_dword v197, off, s[0:3], 0 offset:776
	buffer_load_dword v207, off, s[0:3], 0 offset:768
	buffer_load_dword v181, off, s[0:3], 0 offset:760
	buffer_load_dword v204, off, s[0:3], 0 offset:740
	ds_read_b128 v[133:136], v194 offset:1520
	s_waitcnt vmcnt(57) lgkmcnt(1)
	v_mul_f64 v[216:217], v[1:2], v[157:158]
	v_mul_f64 v[157:158], v[3:4], v[157:158]
	s_waitcnt vmcnt(56)
	v_fma_f64 v[205:206], v[5:6], v[212:213], -v[205:206]
	v_add_f64 v[139:140], v[145:146], v[139:140]
	v_fma_f64 v[145:146], v[7:8], v[212:213], v[201:202]
	v_add_f64 v[137:138], v[137:138], v[187:188]
	s_clause 0x2
	buffer_load_dword v198, off, s[0:3], 0 offset:780
	buffer_load_dword v188, off, s[0:3], 0 offset:756
	;; [unrolled: 1-line block ×3, first 2 shown]
	ds_read_b128 v[5:8], v194 offset:1536
	s_waitcnt vmcnt(58) lgkmcnt(1)
	v_mul_f64 v[201:202], v[133:134], v[199:200]
	v_mul_f64 v[199:200], v[135:136], v[199:200]
	s_waitcnt vmcnt(56)
	v_fma_f64 v[157:158], v[1:2], v[151:152], -v[157:158]
	v_fma_f64 v[151:152], v[3:4], v[151:152], v[216:217]
	v_add_f64 v[139:140], v[139:140], v[205:206]
	v_add_f64 v[137:138], v[137:138], v[145:146]
	s_clause 0x4
	buffer_load_dword v146, off, s[0:3], 0 offset:796
	buffer_load_dword v205, off, s[0:3], 0 offset:808
	;; [unrolled: 1-line block ×5, first 2 shown]
	ds_read_b128 v[1:4], v194 offset:1552
	s_waitcnt vmcnt(57) lgkmcnt(1)
	v_mul_f64 v[212:213], v[5:6], v[143:144]
	v_mul_f64 v[143:144], v[7:8], v[143:144]
	s_waitcnt vmcnt(56)
	v_fma_f64 v[199:200], v[133:134], v[214:215], -v[199:200]
	v_add_f64 v[139:140], v[139:140], v[157:158]
	v_fma_f64 v[157:158], v[135:136], v[214:215], v[201:202]
	v_add_f64 v[137:138], v[137:138], v[151:152]
	s_clause 0x2
	buffer_load_dword v206, off, s[0:3], 0 offset:812
	buffer_load_dword v152, off, s[0:3], 0 offset:788
	;; [unrolled: 1-line block ×3, first 2 shown]
	ds_read_b128 v[133:136], v194 offset:1568
	s_waitcnt vmcnt(58) lgkmcnt(1)
	v_mul_f64 v[201:202], v[1:2], v[161:162]
	v_mul_f64 v[161:162], v[3:4], v[161:162]
	s_waitcnt vmcnt(56)
	v_fma_f64 v[143:144], v[5:6], v[149:150], -v[143:144]
	v_fma_f64 v[149:150], v[7:8], v[149:150], v[212:213]
	v_add_f64 v[139:140], v[139:140], v[199:200]
	v_add_f64 v[137:138], v[137:138], v[157:158]
	s_clause 0x4
	buffer_load_dword v158, off, s[0:3], 0 offset:828
	buffer_load_dword v199, off, s[0:3], 0 offset:840
	;; [unrolled: 1-line block ×5, first 2 shown]
	ds_read_b128 v[5:8], v194 offset:1584
	s_waitcnt vmcnt(57) lgkmcnt(1)
	v_mul_f64 v[214:215], v[133:134], v[147:148]
	v_mul_f64 v[147:148], v[135:136], v[147:148]
	s_waitcnt vmcnt(56)
	v_fma_f64 v[161:162], v[1:2], v[209:210], -v[161:162]
	v_add_f64 v[139:140], v[139:140], v[143:144]
	v_fma_f64 v[143:144], v[3:4], v[209:210], v[201:202]
	v_add_f64 v[137:138], v[137:138], v[149:150]
	s_clause 0x2
	buffer_load_dword v200, off, s[0:3], 0 offset:844
	buffer_load_dword v150, off, s[0:3], 0 offset:820
	;; [unrolled: 1-line block ×3, first 2 shown]
	s_waitcnt vmcnt(58) lgkmcnt(0)
	v_mul_f64 v[201:202], v[5:6], v[169:170]
	v_mul_f64 v[169:170], v[7:8], v[169:170]
	ds_read_b128 v[1:4], v194 offset:1600
	s_waitcnt vmcnt(56)
	v_fma_f64 v[147:148], v[133:134], v[155:156], -v[147:148]
	v_fma_f64 v[155:156], v[135:136], v[155:156], v[214:215]
	v_add_f64 v[139:140], v[139:140], v[161:162]
	v_add_f64 v[137:138], v[137:138], v[143:144]
	s_clause 0x4
	buffer_load_dword v144, off, s[0:3], 0 offset:860
	buffer_load_dword v161, off, s[0:3], 0 offset:872
	;; [unrolled: 1-line block ×5, first 2 shown]
	ds_read_b128 v[133:136], v194 offset:1616
	s_waitcnt vmcnt(57) lgkmcnt(1)
	v_mul_f64 v[215:216], v[1:2], v[153:154]
	v_mul_f64 v[153:154], v[3:4], v[153:154]
	s_waitcnt vmcnt(56)
	v_fma_f64 v[169:170], v[5:6], v[195:196], -v[169:170]
	v_add_f64 v[139:140], v[139:140], v[147:148]
	v_fma_f64 v[147:148], v[7:8], v[195:196], v[201:202]
	v_add_f64 v[137:138], v[137:138], v[155:156]
	s_clause 0x2
	buffer_load_dword v162, off, s[0:3], 0 offset:876
	buffer_load_dword v156, off, s[0:3], 0 offset:852
	;; [unrolled: 1-line block ×3, first 2 shown]
	s_waitcnt vmcnt(58) lgkmcnt(0)
	v_mul_f64 v[195:196], v[133:134], v[175:176]
	v_mul_f64 v[175:176], v[135:136], v[175:176]
	ds_read_b128 v[5:8], v194 offset:1632
	s_waitcnt vmcnt(56)
	v_fma_f64 v[153:154], v[1:2], v[165:166], -v[153:154]
	v_fma_f64 v[165:166], v[3:4], v[165:166], v[215:216]
	v_add_f64 v[139:140], v[139:140], v[169:170]
	v_add_f64 v[137:138], v[137:138], v[147:148]
	s_clause 0x4
	buffer_load_dword v148, off, s[0:3], 0 offset:892
	buffer_load_dword v169, off, s[0:3], 0 offset:904
	buffer_load_dword v201, off, s[0:3], 0 offset:896
	buffer_load_dword v147, off, s[0:3], 0 offset:888
	buffer_load_dword v210, off, s[0:3], 0 offset:868
	ds_read_b128 v[1:4], v194 offset:1648
	s_waitcnt vmcnt(57) lgkmcnt(1)
	v_mul_f64 v[215:216], v[5:6], v[159:160]
	v_mul_f64 v[159:160], v[7:8], v[159:160]
	s_waitcnt vmcnt(56)
	v_fma_f64 v[175:176], v[133:134], v[177:178], -v[175:176]
	v_add_f64 v[139:140], v[139:140], v[153:154]
	v_fma_f64 v[153:154], v[135:136], v[177:178], v[195:196]
	v_add_f64 v[137:138], v[137:138], v[165:166]
	s_clause 0x2
	buffer_load_dword v170, off, s[0:3], 0 offset:908
	buffer_load_dword v166, off, s[0:3], 0 offset:884
	buffer_load_dword v165, off, s[0:3], 0 offset:880
	ds_read_b128 v[133:136], v194 offset:1664
	s_waitcnt vmcnt(58) lgkmcnt(1)
	v_mul_f64 v[177:178], v[1:2], v[183:184]
	v_mul_f64 v[183:184], v[3:4], v[183:184]
	s_waitcnt vmcnt(56)
	v_fma_f64 v[159:160], v[5:6], v[163:164], -v[159:160]
	v_fma_f64 v[163:164], v[7:8], v[163:164], v[215:216]
	v_add_f64 v[139:140], v[139:140], v[175:176]
	v_add_f64 v[137:138], v[137:138], v[153:154]
	s_clause 0x4
	buffer_load_dword v154, off, s[0:3], 0 offset:924
	buffer_load_dword v175, off, s[0:3], 0 offset:936
	buffer_load_dword v195, off, s[0:3], 0 offset:928
	buffer_load_dword v153, off, s[0:3], 0 offset:920
	buffer_load_dword v202, off, s[0:3], 0 offset:900
	ds_read_b128 v[5:8], v194 offset:1680
	s_waitcnt vmcnt(57) lgkmcnt(1)
	v_mul_f64 v[215:216], v[133:134], v[167:168]
	v_mul_f64 v[167:168], v[135:136], v[167:168]
	s_waitcnt vmcnt(56)
	v_fma_f64 v[183:184], v[1:2], v[185:186], -v[183:184]
	v_add_f64 v[139:140], v[139:140], v[159:160]
	v_fma_f64 v[159:160], v[3:4], v[185:186], v[177:178]
	v_add_f64 v[137:138], v[137:138], v[163:164]
	s_clause 0x2
	buffer_load_dword v176, off, s[0:3], 0 offset:940
	buffer_load_dword v164, off, s[0:3], 0 offset:916
	buffer_load_dword v163, off, s[0:3], 0 offset:912
	ds_read_b128 v[1:4], v194 offset:1696
	s_waitcnt vmcnt(58) lgkmcnt(1)
	v_mul_f64 v[185:186], v[7:8], v[189:190]
	v_mul_f64 v[177:178], v[5:6], v[189:190]
	;; [unrolled: 28-line block ×3, first 2 shown]
	s_waitcnt vmcnt(56)
	v_fma_f64 v[173:174], v[1:2], v[141:142], -v[173:174]
	v_fma_f64 v[141:142], v[3:4], v[141:142], v[215:216]
	v_add_f64 v[139:140], v[139:140], v[185:186]
	v_add_f64 v[137:138], v[137:138], v[167:168]
	s_clause 0x4
	buffer_load_dword v168, off, s[0:3], 0 offset:988
	buffer_load_dword v185, off, s[0:3], 0 offset:1000
	;; [unrolled: 1-line block ×5, first 2 shown]
	ds_read_b128 v[1:4], v194 offset:1744
	s_waitcnt vmcnt(57) lgkmcnt(1)
	v_mul_f64 v[215:216], v[5:6], v[181:182]
	v_mul_f64 v[181:182], v[7:8], v[181:182]
	s_waitcnt vmcnt(56)
	v_fma_f64 v[179:180], v[133:134], v[203:204], -v[179:180]
	v_add_f64 v[139:140], v[139:140], v[173:174]
	v_fma_f64 v[173:174], v[135:136], v[203:204], v[177:178]
	v_add_f64 v[137:138], v[137:138], v[141:142]
	s_clause 0x2
	buffer_load_dword v186, off, s[0:3], 0 offset:1004
	buffer_load_dword v142, off, s[0:3], 0 offset:980
	;; [unrolled: 1-line block ×3, first 2 shown]
	ds_read_b128 v[133:136], v194 offset:1760
	buffer_load_dword v192, off, s[0:3], 0 offset:996
	s_waitcnt vmcnt(59) lgkmcnt(1)
	v_mul_f64 v[177:178], v[1:2], v[197:198]
	v_mul_f64 v[197:198], v[3:4], v[197:198]
	s_waitcnt vmcnt(57)
	v_fma_f64 v[181:182], v[5:6], v[187:188], -v[181:182]
	v_add_f64 v[139:140], v[139:140], v[179:180]
	v_fma_f64 v[179:180], v[7:8], v[187:188], v[215:216]
	v_add_f64 v[137:138], v[137:138], v[173:174]
	ds_read_b128 v[5:8], v194 offset:1776
	s_waitcnt vmcnt(53) lgkmcnt(1)
	v_mul_f64 v[173:174], v[133:134], v[145:146]
	v_mul_f64 v[145:146], v[135:136], v[145:146]
	s_waitcnt vmcnt(52)
	v_fma_f64 v[187:188], v[1:2], v[207:208], -v[197:198]
	v_fma_f64 v[177:178], v[3:4], v[207:208], v[177:178]
	ds_read_b128 v[1:4], v194 offset:1792
	v_add_f64 v[139:140], v[139:140], v[181:182]
	v_add_f64 v[137:138], v[137:138], v[179:180]
	s_waitcnt vmcnt(51) lgkmcnt(1)
	v_mul_f64 v[181:182], v[7:8], v[205:206]
	v_mul_f64 v[179:180], v[5:6], v[205:206]
	s_waitcnt vmcnt(49)
	v_fma_f64 v[145:146], v[133:134], v[151:152], -v[145:146]
	v_fma_f64 v[151:152], v[135:136], v[151:152], v[173:174]
	v_add_f64 v[139:140], v[139:140], v[187:188]
	v_add_f64 v[137:138], v[137:138], v[177:178]
	s_clause 0x3
	buffer_load_dword v173, off, s[0:3], 0 offset:208
	buffer_load_dword v174, off, s[0:3], 0 offset:212
	;; [unrolled: 1-line block ×4, first 2 shown]
	ds_read_b128 v[133:136], v194 offset:1808
	s_waitcnt vmcnt(49) lgkmcnt(1)
	v_mul_f64 v[187:188], v[1:2], v[157:158]
	v_mul_f64 v[157:158], v[3:4], v[157:158]
	s_waitcnt vmcnt(48)
	v_fma_f64 v[181:182], v[5:6], v[211:212], -v[181:182]
	v_add_f64 v[139:140], v[139:140], v[145:146]
	v_fma_f64 v[145:146], v[7:8], v[211:212], v[179:180]
	v_add_f64 v[137:138], v[137:138], v[151:152]
	ds_read_b128 v[5:8], v194 offset:1824
	s_waitcnt vmcnt(47) lgkmcnt(1)
	v_mul_f64 v[179:180], v[135:136], v[199:200]
	v_mul_f64 v[151:152], v[133:134], v[199:200]
	s_waitcnt vmcnt(45)
	v_fma_f64 v[157:158], v[1:2], v[149:150], -v[157:158]
	v_fma_f64 v[149:150], v[3:4], v[149:150], v[187:188]
	ds_read_b128 v[1:4], v194 offset:1840
	v_add_f64 v[139:140], v[139:140], v[181:182]
	v_add_f64 v[137:138], v[137:138], v[145:146]
	s_waitcnt vmcnt(41) lgkmcnt(1)
	v_mul_f64 v[145:146], v[5:6], v[143:144]
	v_mul_f64 v[143:144], v[7:8], v[143:144]
	s_waitcnt vmcnt(40)
	v_fma_f64 v[179:180], v[133:134], v[213:214], -v[179:180]
	v_fma_f64 v[151:152], v[135:136], v[213:214], v[151:152]
	ds_read_b128 v[133:136], v194 offset:1856
	v_add_f64 v[139:140], v[139:140], v[157:158]
	v_add_f64 v[137:138], v[137:138], v[149:150]
	;; [unrolled: 9-line block ×3, first 2 shown]
	s_waitcnt vmcnt(33) lgkmcnt(1)
	v_mul_f64 v[151:152], v[133:134], v[147:148]
	v_mul_f64 v[147:148], v[135:136], v[147:148]
	s_waitcnt vmcnt(32)
	v_fma_f64 v[155:156], v[1:2], v[209:210], -v[157:158]
	v_add_f64 v[139:140], v[139:140], v[143:144]
	v_fma_f64 v[143:144], v[3:4], v[209:210], v[149:150]
	v_add_f64 v[137:138], v[137:138], v[145:146]
	ds_read_b128 v[1:4], v194 offset:1888
	s_waitcnt vmcnt(31) lgkmcnt(1)
	v_mul_f64 v[149:150], v[7:8], v[169:170]
	v_mul_f64 v[145:146], v[5:6], v[169:170]
	s_waitcnt vmcnt(29)
	v_fma_f64 v[147:148], v[133:134], v[165:166], -v[147:148]
	v_fma_f64 v[151:152], v[135:136], v[165:166], v[151:152]
	ds_read_b128 v[133:136], v194 offset:1904
	v_add_f64 v[139:140], v[139:140], v[155:156]
	v_add_f64 v[137:138], v[137:138], v[143:144]
	s_waitcnt vmcnt(25) lgkmcnt(1)
	v_mul_f64 v[143:144], v[1:2], v[153:154]
	v_mul_f64 v[153:154], v[3:4], v[153:154]
	s_waitcnt vmcnt(24)
	v_fma_f64 v[149:150], v[5:6], v[201:202], -v[149:150]
	v_fma_f64 v[145:146], v[7:8], v[201:202], v[145:146]
	ds_read_b128 v[5:8], v194 offset:1920
	v_add_f64 v[139:140], v[139:140], v[147:148]
	v_add_f64 v[137:138], v[137:138], v[151:152]
	;; [unrolled: 9-line block ×3, first 2 shown]
	s_waitcnt vmcnt(17) lgkmcnt(1)
	v_mul_f64 v[149:150], v[7:8], v[159:160]
	s_waitcnt vmcnt(16)
	v_fma_f64 v[151:152], v[133:134], v[195:196], -v[151:152]
	v_mul_f64 v[145:146], v[5:6], v[159:160]
	v_fma_f64 v[147:148], v[135:136], v[195:196], v[147:148]
	ds_read_b128 v[133:136], v194 offset:1952
	v_add_f64 v[139:140], v[139:140], v[153:154]
	v_add_f64 v[137:138], v[137:138], v[143:144]
	s_waitcnt vmcnt(15) lgkmcnt(1)
	v_mul_f64 v[153:154], v[3:4], v[183:184]
	v_mul_f64 v[143:144], v[1:2], v[183:184]
	s_waitcnt vmcnt(13)
	v_fma_f64 v[149:150], v[5:6], v[171:172], -v[149:150]
	v_fma_f64 v[145:146], v[7:8], v[171:172], v[145:146]
	ds_read_b128 v[5:8], v194 offset:1968
	v_add_f64 v[139:140], v[139:140], v[151:152]
	v_add_f64 v[137:138], v[137:138], v[147:148]
	s_waitcnt vmcnt(9) lgkmcnt(1)
	v_mul_f64 v[151:152], v[135:136], v[167:168]
	s_waitcnt vmcnt(8)
	v_fma_f64 v[1:2], v[1:2], v[189:190], -v[153:154]
	v_mul_f64 v[147:148], v[133:134], v[167:168]
	v_fma_f64 v[3:4], v[3:4], v[189:190], v[143:144]
	v_add_f64 v[139:140], v[139:140], v[149:150]
	v_add_f64 v[137:138], v[137:138], v[145:146]
	s_waitcnt vmcnt(7) lgkmcnt(0)
	v_mul_f64 v[145:146], v[7:8], v[185:186]
	v_mul_f64 v[143:144], v[5:6], v[185:186]
	s_waitcnt vmcnt(5)
	v_fma_f64 v[133:134], v[133:134], v[141:142], -v[151:152]
	v_fma_f64 v[135:136], v[135:136], v[141:142], v[147:148]
	v_add_f64 v[1:2], v[139:140], v[1:2]
	v_add_f64 v[3:4], v[137:138], v[3:4]
	s_waitcnt vmcnt(4)
	v_fma_f64 v[5:6], v[5:6], v[191:192], -v[145:146]
	v_fma_f64 v[7:8], v[7:8], v[191:192], v[143:144]
	v_add_f64 v[1:2], v[1:2], v[133:134]
	v_add_f64 v[3:4], v[3:4], v[135:136]
	;; [unrolled: 1-line block ×4, first 2 shown]
	s_waitcnt vmcnt(2)
	v_add_f64 v[1:2], v[173:174], -v[1:2]
	s_waitcnt vmcnt(0)
	v_add_f64 v[3:4], v[177:178], -v[3:4]
	buffer_store_dword v2, off, s[0:3], 0 offset:212
	buffer_store_dword v1, off, s[0:3], 0 offset:208
	buffer_store_dword v4, off, s[0:3], 0 offset:220
	buffer_store_dword v3, off, s[0:3], 0 offset:216
	v_cmpx_lt_u32_e32 11, v0
	s_cbranch_execz .LBB125_375
; %bb.374:
	v_mov_b32_e32 v4, s65
	s_clause 0x3
	buffer_load_dword v1, v4, s[0:3], 0 offen
	buffer_load_dword v2, v4, s[0:3], 0 offen offset:4
	buffer_load_dword v3, v4, s[0:3], 0 offen offset:8
	;; [unrolled: 1-line block ×3, first 2 shown]
	buffer_store_dword v194, off, s[0:3], 0 offset:192
	buffer_store_dword v194, off, s[0:3], 0 offset:196
	;; [unrolled: 1-line block ×4, first 2 shown]
	s_waitcnt vmcnt(0)
	ds_write_b128 v193, v[1:4]
.LBB125_375:
	s_or_b32 exec_lo, exec_lo, s4
	s_waitcnt lgkmcnt(0)
	s_waitcnt_vscnt null, 0x0
	s_barrier
	buffer_gl0_inv
	s_clause 0x37
	buffer_load_dword v141, off, s[0:3], 0 offset:216
	buffer_load_dword v142, off, s[0:3], 0 offset:220
	;; [unrolled: 1-line block ×56, first 2 shown]
	ds_read_b128 v[5:8], v194 offset:1184
	s_clause 0x2
	buffer_load_dword v190, off, s[0:3], 0 offset:444
	buffer_load_dword v192, off, s[0:3], 0 offset:420
	buffer_load_dword v191, off, s[0:3], 0 offset:416
	ds_read_b128 v[1:4], v194 offset:1200
	s_clause 0x4
	buffer_load_dword v202, off, s[0:3], 0 offset:460
	buffer_load_dword v203, off, s[0:3], 0 offset:472
	;; [unrolled: 1-line block ×5, first 2 shown]
	ds_read_b128 v[195:198], v194 offset:1216
	s_mov_b32 s4, exec_lo
	s_waitcnt vmcnt(62) lgkmcnt(2)
	v_mul_f64 v[199:200], v[7:8], v[141:142]
	v_mul_f64 v[141:142], v[5:6], v[141:142]
	s_waitcnt vmcnt(60) lgkmcnt(1)
	v_mul_f64 v[206:207], v[3:4], v[137:138]
	v_mul_f64 v[137:138], v[1:2], v[137:138]
	;; [unrolled: 3-line block ×3, first 2 shown]
	v_fma_f64 v[199:200], v[5:6], v[139:140], -v[199:200]
	v_fma_f64 v[139:140], v[7:8], v[139:140], v[141:142]
	s_clause 0x2
	buffer_load_dword v204, off, s[0:3], 0 offset:476
	buffer_load_dword v142, off, s[0:3], 0 offset:452
	;; [unrolled: 1-line block ×3, first 2 shown]
	s_waitcnt vmcnt(57)
	v_fma_f64 v[210:211], v[1:2], v[133:134], -v[206:207]
	ds_read_b128 v[5:8], v194 offset:1232
	v_fma_f64 v[133:134], v[3:4], v[133:134], v[137:138]
	s_waitcnt vmcnt(51)
	v_fma_f64 v[195:196], v[195:196], v[157:158], -v[135:136]
	v_fma_f64 v[157:158], v[197:198], v[157:158], v[208:209]
	v_add_f64 v[199:200], v[199:200], 0
	v_add_f64 v[137:138], v[139:140], 0
	s_clause 0x4
	buffer_load_dword v140, off, s[0:3], 0 offset:492
	buffer_load_dword v207, off, s[0:3], 0 offset:504
	;; [unrolled: 1-line block ×5, first 2 shown]
	s_waitcnt lgkmcnt(0)
	v_mul_f64 v[213:214], v[5:6], v[145:146]
	v_mul_f64 v[145:146], v[7:8], v[145:146]
	ds_read_b128 v[1:4], v194 offset:1248
	s_clause 0x2
	buffer_load_dword v208, off, s[0:3], 0 offset:508
	buffer_load_dword v198, off, s[0:3], 0 offset:484
	;; [unrolled: 1-line block ×3, first 2 shown]
	v_add_f64 v[199:200], v[199:200], v[210:211]
	v_add_f64 v[137:138], v[137:138], v[133:134]
	ds_read_b128 v[133:136], v194 offset:1264
	s_waitcnt vmcnt(58) lgkmcnt(1)
	v_mul_f64 v[209:210], v[1:2], v[149:150]
	v_mul_f64 v[149:150], v[3:4], v[149:150]
	s_waitcnt vmcnt(56)
	v_fma_f64 v[145:146], v[5:6], v[151:152], -v[145:146]
	v_fma_f64 v[151:152], v[7:8], v[151:152], v[213:214]
	s_waitcnt vmcnt(52) lgkmcnt(0)
	v_mul_f64 v[215:216], v[133:134], v[153:154]
	v_add_f64 v[195:196], v[199:200], v[195:196]
	v_add_f64 v[137:138], v[137:138], v[157:158]
	s_clause 0x4
	buffer_load_dword v158, off, s[0:3], 0 offset:524
	buffer_load_dword v199, off, s[0:3], 0 offset:536
	;; [unrolled: 1-line block ×5, first 2 shown]
	v_mul_f64 v[153:154], v[135:136], v[153:154]
	s_waitcnt vmcnt(56)
	v_fma_f64 v[149:150], v[1:2], v[143:144], -v[149:150]
	ds_read_b128 v[5:8], v194 offset:1280
	v_fma_f64 v[143:144], v[3:4], v[143:144], v[209:210]
	v_add_f64 v[145:146], v[195:196], v[145:146]
	v_add_f64 v[137:138], v[137:138], v[151:152]
	s_clause 0x2
	buffer_load_dword v200, off, s[0:3], 0 offset:540
	buffer_load_dword v152, off, s[0:3], 0 offset:516
	;; [unrolled: 1-line block ×3, first 2 shown]
	s_waitcnt vmcnt(58) lgkmcnt(0)
	v_mul_f64 v[195:196], v[5:6], v[159:160]
	v_mul_f64 v[159:160], v[7:8], v[159:160]
	s_waitcnt vmcnt(56)
	v_fma_f64 v[153:154], v[133:134], v[161:162], -v[153:154]
	ds_read_b128 v[1:4], v194 offset:1296
	v_add_f64 v[145:146], v[145:146], v[149:150]
	v_fma_f64 v[149:150], v[135:136], v[161:162], v[215:216]
	v_add_f64 v[137:138], v[137:138], v[143:144]
	s_clause 0x4
	buffer_load_dword v144, off, s[0:3], 0 offset:556
	buffer_load_dword v161, off, s[0:3], 0 offset:568
	buffer_load_dword v209, off, s[0:3], 0 offset:560
	buffer_load_dword v143, off, s[0:3], 0 offset:552
	buffer_load_dword v215, off, s[0:3], 0 offset:532
	s_waitcnt vmcnt(57) lgkmcnt(0)
	v_mul_f64 v[210:211], v[1:2], v[163:164]
	v_mul_f64 v[163:164], v[3:4], v[163:164]
	s_waitcnt vmcnt(56)
	v_fma_f64 v[159:160], v[5:6], v[147:148], -v[159:160]
	ds_read_b128 v[133:136], v194 offset:1312
	v_fma_f64 v[147:148], v[7:8], v[147:148], v[195:196]
	v_add_f64 v[145:146], v[145:146], v[153:154]
	v_add_f64 v[137:138], v[137:138], v[149:150]
	s_clause 0x2
	buffer_load_dword v162, off, s[0:3], 0 offset:572
	buffer_load_dword v150, off, s[0:3], 0 offset:548
	;; [unrolled: 1-line block ×3, first 2 shown]
	ds_read_b128 v[5:8], v194 offset:1328
	s_waitcnt vmcnt(58) lgkmcnt(1)
	v_mul_f64 v[153:154], v[133:134], v[167:168]
	v_mul_f64 v[167:168], v[135:136], v[167:168]
	s_waitcnt vmcnt(56)
	v_fma_f64 v[163:164], v[1:2], v[169:170], -v[163:164]
	v_add_f64 v[145:146], v[145:146], v[159:160]
	v_fma_f64 v[159:160], v[3:4], v[169:170], v[210:211]
	v_add_f64 v[137:138], v[137:138], v[147:148]
	s_clause 0x4
	buffer_load_dword v148, off, s[0:3], 0 offset:588
	buffer_load_dword v169, off, s[0:3], 0 offset:600
	;; [unrolled: 1-line block ×5, first 2 shown]
	s_waitcnt vmcnt(57) lgkmcnt(0)
	v_mul_f64 v[216:217], v[5:6], v[171:172]
	v_mul_f64 v[171:172], v[7:8], v[171:172]
	s_waitcnt vmcnt(56)
	v_fma_f64 v[167:168], v[133:134], v[155:156], -v[167:168]
	ds_read_b128 v[1:4], v194 offset:1344
	v_fma_f64 v[153:154], v[135:136], v[155:156], v[153:154]
	s_clause 0x2
	buffer_load_dword v170, off, s[0:3], 0 offset:604
	buffer_load_dword v156, off, s[0:3], 0 offset:580
	;; [unrolled: 1-line block ×3, first 2 shown]
	ds_read_b128 v[133:136], v194 offset:1360
	v_add_f64 v[145:146], v[145:146], v[163:164]
	v_add_f64 v[137:138], v[137:138], v[159:160]
	s_waitcnt vmcnt(58) lgkmcnt(1)
	v_mul_f64 v[163:164], v[3:4], v[175:176]
	s_waitcnt vmcnt(56)
	v_fma_f64 v[171:172], v[5:6], v[177:178], -v[171:172]
	v_mul_f64 v[159:160], v[1:2], v[175:176]
	v_add_f64 v[145:146], v[145:146], v[167:168]
	v_fma_f64 v[167:168], v[7:8], v[177:178], v[216:217]
	v_add_f64 v[137:138], v[137:138], v[153:154]
	s_clause 0x4
	buffer_load_dword v154, off, s[0:3], 0 offset:620
	buffer_load_dword v175, off, s[0:3], 0 offset:632
	;; [unrolled: 1-line block ×5, first 2 shown]
	s_waitcnt vmcnt(57) lgkmcnt(0)
	v_mul_f64 v[216:217], v[133:134], v[179:180]
	v_mul_f64 v[178:179], v[135:136], v[179:180]
	s_waitcnt vmcnt(56)
	v_fma_f64 v[163:164], v[1:2], v[165:166], -v[163:164]
	ds_read_b128 v[5:8], v194 offset:1376
	v_fma_f64 v[159:160], v[3:4], v[165:166], v[159:160]
	s_clause 0x2
	buffer_load_dword v176, off, s[0:3], 0 offset:636
	buffer_load_dword v166, off, s[0:3], 0 offset:612
	;; [unrolled: 1-line block ×3, first 2 shown]
	ds_read_b128 v[1:4], v194 offset:1392
	v_add_f64 v[145:146], v[145:146], v[171:172]
	v_add_f64 v[137:138], v[137:138], v[167:168]
	s_waitcnt vmcnt(58) lgkmcnt(1)
	v_mul_f64 v[171:172], v[7:8], v[183:184]
	s_waitcnt vmcnt(56)
	v_fma_f64 v[179:180], v[133:134], v[185:186], -v[178:179]
	v_mul_f64 v[167:168], v[5:6], v[183:184]
	v_add_f64 v[145:146], v[145:146], v[163:164]
	v_fma_f64 v[163:164], v[135:136], v[185:186], v[216:217]
	v_add_f64 v[137:138], v[137:138], v[159:160]
	s_clause 0x4
	buffer_load_dword v160, off, s[0:3], 0 offset:652
	buffer_load_dword v183, off, s[0:3], 0 offset:664
	;; [unrolled: 1-line block ×5, first 2 shown]
	s_waitcnt vmcnt(57) lgkmcnt(0)
	v_mul_f64 v[216:217], v[1:2], v[187:188]
	v_mul_f64 v[186:187], v[3:4], v[187:188]
	s_waitcnt vmcnt(56)
	v_fma_f64 v[171:172], v[5:6], v[173:174], -v[171:172]
	ds_read_b128 v[133:136], v194 offset:1408
	v_fma_f64 v[167:168], v[7:8], v[173:174], v[167:168]
	v_add_f64 v[145:146], v[145:146], v[179:180]
	v_add_f64 v[137:138], v[137:138], v[163:164]
	s_clause 0x2
	buffer_load_dword v184, off, s[0:3], 0 offset:668
	buffer_load_dword v164, off, s[0:3], 0 offset:644
	buffer_load_dword v163, off, s[0:3], 0 offset:640
	ds_read_b128 v[5:8], v194 offset:1424
	s_waitcnt vmcnt(58) lgkmcnt(1)
	v_mul_f64 v[179:180], v[135:136], v[189:190]
	s_waitcnt vmcnt(56)
	v_fma_f64 v[187:188], v[1:2], v[191:192], -v[186:187]
	v_mul_f64 v[173:174], v[133:134], v[189:190]
	v_add_f64 v[145:146], v[145:146], v[171:172]
	v_fma_f64 v[171:172], v[3:4], v[191:192], v[216:217]
	v_add_f64 v[137:138], v[137:138], v[167:168]
	s_clause 0x4
	buffer_load_dword v168, off, s[0:3], 0 offset:684
	buffer_load_dword v189, off, s[0:3], 0 offset:696
	;; [unrolled: 1-line block ×5, first 2 shown]
	s_waitcnt vmcnt(57) lgkmcnt(0)
	v_mul_f64 v[216:217], v[5:6], v[201:202]
	v_mul_f64 v[201:202], v[7:8], v[201:202]
	s_waitcnt vmcnt(56)
	v_fma_f64 v[179:180], v[133:134], v[181:182], -v[179:180]
	ds_read_b128 v[1:4], v194 offset:1440
	v_fma_f64 v[173:174], v[135:136], v[181:182], v[173:174]
	v_add_f64 v[145:146], v[145:146], v[187:188]
	v_add_f64 v[137:138], v[137:138], v[171:172]
	s_clause 0x2
	buffer_load_dword v190, off, s[0:3], 0 offset:700
	buffer_load_dword v172, off, s[0:3], 0 offset:676
	;; [unrolled: 1-line block ×3, first 2 shown]
	ds_read_b128 v[133:136], v194 offset:1456
	s_waitcnt vmcnt(58) lgkmcnt(1)
	v_mul_f64 v[187:188], v[3:4], v[203:204]
	v_mul_f64 v[181:182], v[1:2], v[203:204]
	s_waitcnt vmcnt(56)
	v_fma_f64 v[201:202], v[5:6], v[141:142], -v[201:202]
	v_fma_f64 v[141:142], v[7:8], v[141:142], v[216:217]
	v_add_f64 v[145:146], v[145:146], v[179:180]
	v_add_f64 v[137:138], v[137:138], v[173:174]
	s_clause 0x4
	buffer_load_dword v174, off, s[0:3], 0 offset:716
	buffer_load_dword v179, off, s[0:3], 0 offset:728
	;; [unrolled: 1-line block ×5, first 2 shown]
	ds_read_b128 v[5:8], v194 offset:1472
	s_waitcnt vmcnt(57) lgkmcnt(1)
	v_mul_f64 v[216:217], v[133:134], v[139:140]
	v_mul_f64 v[139:140], v[135:136], v[139:140]
	s_waitcnt vmcnt(56)
	v_fma_f64 v[187:188], v[1:2], v[205:206], -v[187:188]
	v_fma_f64 v[181:182], v[3:4], v[205:206], v[181:182]
	v_add_f64 v[145:146], v[145:146], v[201:202]
	v_add_f64 v[137:138], v[137:138], v[141:142]
	s_clause 0x2
	buffer_load_dword v180, off, s[0:3], 0 offset:732
	buffer_load_dword v142, off, s[0:3], 0 offset:708
	;; [unrolled: 1-line block ×3, first 2 shown]
	s_waitcnt vmcnt(58) lgkmcnt(0)
	v_mul_f64 v[205:206], v[7:8], v[207:208]
	ds_read_b128 v[1:4], v194 offset:1488
	v_mul_f64 v[201:202], v[5:6], v[207:208]
	s_waitcnt vmcnt(56)
	v_fma_f64 v[139:140], v[133:134], v[197:198], -v[139:140]
	v_add_f64 v[145:146], v[145:146], v[187:188]
	v_fma_f64 v[187:188], v[135:136], v[197:198], v[216:217]
	v_add_f64 v[137:138], v[137:138], v[181:182]
	s_clause 0x4
	buffer_load_dword v182, off, s[0:3], 0 offset:748
	buffer_load_dword v197, off, s[0:3], 0 offset:760
	;; [unrolled: 1-line block ×5, first 2 shown]
	ds_read_b128 v[133:136], v194 offset:1504
	s_waitcnt vmcnt(57) lgkmcnt(1)
	v_mul_f64 v[216:217], v[1:2], v[157:158]
	v_mul_f64 v[157:158], v[3:4], v[157:158]
	s_waitcnt vmcnt(56)
	v_fma_f64 v[205:206], v[5:6], v[212:213], -v[205:206]
	v_add_f64 v[139:140], v[145:146], v[139:140]
	v_fma_f64 v[145:146], v[7:8], v[212:213], v[201:202]
	v_add_f64 v[137:138], v[137:138], v[187:188]
	s_clause 0x2
	buffer_load_dword v198, off, s[0:3], 0 offset:764
	buffer_load_dword v188, off, s[0:3], 0 offset:740
	;; [unrolled: 1-line block ×3, first 2 shown]
	ds_read_b128 v[5:8], v194 offset:1520
	s_waitcnt vmcnt(58) lgkmcnt(1)
	v_mul_f64 v[201:202], v[133:134], v[199:200]
	v_mul_f64 v[199:200], v[135:136], v[199:200]
	s_waitcnt vmcnt(56)
	v_fma_f64 v[157:158], v[1:2], v[151:152], -v[157:158]
	v_fma_f64 v[151:152], v[3:4], v[151:152], v[216:217]
	v_add_f64 v[139:140], v[139:140], v[205:206]
	v_add_f64 v[137:138], v[137:138], v[145:146]
	s_clause 0x4
	buffer_load_dword v146, off, s[0:3], 0 offset:780
	buffer_load_dword v205, off, s[0:3], 0 offset:792
	;; [unrolled: 1-line block ×5, first 2 shown]
	ds_read_b128 v[1:4], v194 offset:1536
	s_waitcnt vmcnt(57) lgkmcnt(1)
	v_mul_f64 v[212:213], v[5:6], v[143:144]
	v_mul_f64 v[143:144], v[7:8], v[143:144]
	s_waitcnt vmcnt(56)
	v_fma_f64 v[199:200], v[133:134], v[214:215], -v[199:200]
	v_add_f64 v[139:140], v[139:140], v[157:158]
	v_fma_f64 v[157:158], v[135:136], v[214:215], v[201:202]
	v_add_f64 v[137:138], v[137:138], v[151:152]
	s_clause 0x2
	buffer_load_dword v206, off, s[0:3], 0 offset:796
	buffer_load_dword v152, off, s[0:3], 0 offset:772
	buffer_load_dword v151, off, s[0:3], 0 offset:768
	ds_read_b128 v[133:136], v194 offset:1552
	s_waitcnt vmcnt(58) lgkmcnt(1)
	v_mul_f64 v[201:202], v[1:2], v[161:162]
	v_mul_f64 v[161:162], v[3:4], v[161:162]
	s_waitcnt vmcnt(56)
	v_fma_f64 v[143:144], v[5:6], v[149:150], -v[143:144]
	v_fma_f64 v[149:150], v[7:8], v[149:150], v[212:213]
	v_add_f64 v[139:140], v[139:140], v[199:200]
	v_add_f64 v[137:138], v[137:138], v[157:158]
	s_clause 0x4
	buffer_load_dword v158, off, s[0:3], 0 offset:812
	buffer_load_dword v199, off, s[0:3], 0 offset:824
	;; [unrolled: 1-line block ×5, first 2 shown]
	ds_read_b128 v[5:8], v194 offset:1568
	s_waitcnt vmcnt(57) lgkmcnt(1)
	v_mul_f64 v[214:215], v[133:134], v[147:148]
	v_mul_f64 v[147:148], v[135:136], v[147:148]
	s_waitcnt vmcnt(56)
	v_fma_f64 v[161:162], v[1:2], v[209:210], -v[161:162]
	v_add_f64 v[139:140], v[139:140], v[143:144]
	v_fma_f64 v[143:144], v[3:4], v[209:210], v[201:202]
	v_add_f64 v[137:138], v[137:138], v[149:150]
	s_clause 0x2
	buffer_load_dword v200, off, s[0:3], 0 offset:828
	buffer_load_dword v150, off, s[0:3], 0 offset:804
	;; [unrolled: 1-line block ×3, first 2 shown]
	s_waitcnt vmcnt(58) lgkmcnt(0)
	v_mul_f64 v[201:202], v[5:6], v[169:170]
	v_mul_f64 v[169:170], v[7:8], v[169:170]
	ds_read_b128 v[1:4], v194 offset:1584
	s_waitcnt vmcnt(56)
	v_fma_f64 v[147:148], v[133:134], v[155:156], -v[147:148]
	v_fma_f64 v[155:156], v[135:136], v[155:156], v[214:215]
	v_add_f64 v[139:140], v[139:140], v[161:162]
	v_add_f64 v[137:138], v[137:138], v[143:144]
	s_clause 0x4
	buffer_load_dword v144, off, s[0:3], 0 offset:844
	buffer_load_dword v161, off, s[0:3], 0 offset:856
	;; [unrolled: 1-line block ×5, first 2 shown]
	ds_read_b128 v[133:136], v194 offset:1600
	s_waitcnt vmcnt(57) lgkmcnt(1)
	v_mul_f64 v[215:216], v[1:2], v[153:154]
	v_mul_f64 v[153:154], v[3:4], v[153:154]
	s_waitcnt vmcnt(56)
	v_fma_f64 v[169:170], v[5:6], v[195:196], -v[169:170]
	v_add_f64 v[139:140], v[139:140], v[147:148]
	v_fma_f64 v[147:148], v[7:8], v[195:196], v[201:202]
	v_add_f64 v[137:138], v[137:138], v[155:156]
	s_clause 0x2
	buffer_load_dword v162, off, s[0:3], 0 offset:860
	buffer_load_dword v156, off, s[0:3], 0 offset:836
	;; [unrolled: 1-line block ×3, first 2 shown]
	s_waitcnt vmcnt(58) lgkmcnt(0)
	v_mul_f64 v[195:196], v[133:134], v[175:176]
	v_mul_f64 v[175:176], v[135:136], v[175:176]
	ds_read_b128 v[5:8], v194 offset:1616
	s_waitcnt vmcnt(56)
	v_fma_f64 v[153:154], v[1:2], v[165:166], -v[153:154]
	v_fma_f64 v[165:166], v[3:4], v[165:166], v[215:216]
	v_add_f64 v[139:140], v[139:140], v[169:170]
	v_add_f64 v[137:138], v[137:138], v[147:148]
	s_clause 0x4
	buffer_load_dword v148, off, s[0:3], 0 offset:876
	buffer_load_dword v169, off, s[0:3], 0 offset:888
	buffer_load_dword v201, off, s[0:3], 0 offset:880
	buffer_load_dword v147, off, s[0:3], 0 offset:872
	buffer_load_dword v210, off, s[0:3], 0 offset:852
	ds_read_b128 v[1:4], v194 offset:1632
	s_waitcnt vmcnt(57) lgkmcnt(1)
	v_mul_f64 v[215:216], v[5:6], v[159:160]
	v_mul_f64 v[159:160], v[7:8], v[159:160]
	s_waitcnt vmcnt(56)
	v_fma_f64 v[175:176], v[133:134], v[177:178], -v[175:176]
	v_add_f64 v[139:140], v[139:140], v[153:154]
	v_fma_f64 v[153:154], v[135:136], v[177:178], v[195:196]
	v_add_f64 v[137:138], v[137:138], v[165:166]
	s_clause 0x2
	buffer_load_dword v170, off, s[0:3], 0 offset:892
	buffer_load_dword v166, off, s[0:3], 0 offset:868
	buffer_load_dword v165, off, s[0:3], 0 offset:864
	ds_read_b128 v[133:136], v194 offset:1648
	s_waitcnt vmcnt(58) lgkmcnt(1)
	v_mul_f64 v[177:178], v[1:2], v[183:184]
	v_mul_f64 v[183:184], v[3:4], v[183:184]
	s_waitcnt vmcnt(56)
	v_fma_f64 v[159:160], v[5:6], v[163:164], -v[159:160]
	v_fma_f64 v[163:164], v[7:8], v[163:164], v[215:216]
	v_add_f64 v[139:140], v[139:140], v[175:176]
	v_add_f64 v[137:138], v[137:138], v[153:154]
	s_clause 0x4
	buffer_load_dword v154, off, s[0:3], 0 offset:908
	buffer_load_dword v175, off, s[0:3], 0 offset:920
	buffer_load_dword v195, off, s[0:3], 0 offset:912
	buffer_load_dword v153, off, s[0:3], 0 offset:904
	buffer_load_dword v202, off, s[0:3], 0 offset:884
	ds_read_b128 v[5:8], v194 offset:1664
	s_waitcnt vmcnt(57) lgkmcnt(1)
	v_mul_f64 v[215:216], v[133:134], v[167:168]
	v_mul_f64 v[167:168], v[135:136], v[167:168]
	s_waitcnt vmcnt(56)
	v_fma_f64 v[183:184], v[1:2], v[185:186], -v[183:184]
	v_add_f64 v[139:140], v[139:140], v[159:160]
	v_fma_f64 v[159:160], v[3:4], v[185:186], v[177:178]
	v_add_f64 v[137:138], v[137:138], v[163:164]
	s_clause 0x2
	buffer_load_dword v176, off, s[0:3], 0 offset:924
	buffer_load_dword v164, off, s[0:3], 0 offset:900
	buffer_load_dword v163, off, s[0:3], 0 offset:896
	ds_read_b128 v[1:4], v194 offset:1680
	s_waitcnt vmcnt(58) lgkmcnt(1)
	v_mul_f64 v[185:186], v[7:8], v[189:190]
	v_mul_f64 v[177:178], v[5:6], v[189:190]
	;; [unrolled: 28-line block ×4, first 2 shown]
	s_waitcnt vmcnt(56)
	v_fma_f64 v[181:182], v[5:6], v[187:188], -v[181:182]
	v_add_f64 v[139:140], v[139:140], v[179:180]
	v_fma_f64 v[179:180], v[7:8], v[187:188], v[215:216]
	v_add_f64 v[137:138], v[137:138], v[173:174]
	s_clause 0x2
	buffer_load_dword v174, off, s[0:3], 0 offset:1004
	buffer_load_dword v173, off, s[0:3], 0 offset:1000
	buffer_load_dword v192, off, s[0:3], 0 offset:980
	ds_read_b128 v[5:8], v194 offset:1760
	s_waitcnt vmcnt(55) lgkmcnt(1)
	v_mul_f64 v[187:188], v[133:134], v[145:146]
	v_mul_f64 v[145:146], v[135:136], v[145:146]
	s_waitcnt vmcnt(54)
	v_fma_f64 v[197:198], v[1:2], v[207:208], -v[197:198]
	v_fma_f64 v[177:178], v[3:4], v[207:208], v[177:178]
	v_add_f64 v[139:140], v[139:140], v[181:182]
	v_add_f64 v[137:138], v[137:138], v[179:180]
	s_clause 0x1
	buffer_load_dword v180, off, s[0:3], 0 offset:996
	buffer_load_dword v179, off, s[0:3], 0 offset:992
	ds_read_b128 v[1:4], v194 offset:1776
	s_waitcnt vmcnt(55) lgkmcnt(1)
	v_mul_f64 v[203:204], v[7:8], v[205:206]
	v_mul_f64 v[181:182], v[5:6], v[205:206]
	s_waitcnt vmcnt(53)
	v_fma_f64 v[145:146], v[133:134], v[151:152], -v[145:146]
	v_fma_f64 v[151:152], v[135:136], v[151:152], v[187:188]
	ds_read_b128 v[133:136], v194 offset:1792
	v_add_f64 v[139:140], v[139:140], v[197:198]
	v_add_f64 v[137:138], v[137:138], v[177:178]
	s_waitcnt vmcnt(49) lgkmcnt(1)
	v_mul_f64 v[177:178], v[1:2], v[157:158]
	v_mul_f64 v[157:158], v[3:4], v[157:158]
	s_waitcnt vmcnt(48)
	v_fma_f64 v[187:188], v[5:6], v[211:212], -v[203:204]
	v_add_f64 v[139:140], v[139:140], v[145:146]
	v_fma_f64 v[145:146], v[7:8], v[211:212], v[181:182]
	v_add_f64 v[137:138], v[137:138], v[151:152]
	s_clause 0x3
	buffer_load_dword v151, off, s[0:3], 0 offset:192
	buffer_load_dword v152, off, s[0:3], 0 offset:196
	;; [unrolled: 1-line block ×4, first 2 shown]
	ds_read_b128 v[5:8], v194 offset:1808
	s_waitcnt vmcnt(51) lgkmcnt(1)
	v_mul_f64 v[197:198], v[133:134], v[199:200]
	v_mul_f64 v[199:200], v[135:136], v[199:200]
	s_waitcnt vmcnt(49)
	v_fma_f64 v[157:158], v[1:2], v[149:150], -v[157:158]
	v_fma_f64 v[149:150], v[3:4], v[149:150], v[177:178]
	ds_read_b128 v[1:4], v194 offset:1824
	v_add_f64 v[139:140], v[139:140], v[187:188]
	v_add_f64 v[137:138], v[137:138], v[145:146]
	s_waitcnt vmcnt(45) lgkmcnt(1)
	v_mul_f64 v[145:146], v[5:6], v[143:144]
	v_mul_f64 v[143:144], v[7:8], v[143:144]
	s_waitcnt vmcnt(44)
	v_fma_f64 v[177:178], v[133:134], v[213:214], -v[199:200]
	v_add_f64 v[139:140], v[139:140], v[157:158]
	v_fma_f64 v[157:158], v[135:136], v[213:214], v[197:198]
	v_add_f64 v[137:138], v[137:138], v[149:150]
	ds_read_b128 v[133:136], v194 offset:1840
	s_waitcnt vmcnt(43) lgkmcnt(1)
	v_mul_f64 v[149:150], v[1:2], v[161:162]
	v_mul_f64 v[161:162], v[3:4], v[161:162]
	s_waitcnt vmcnt(41)
	v_fma_f64 v[143:144], v[5:6], v[155:156], -v[143:144]
	v_fma_f64 v[145:146], v[7:8], v[155:156], v[145:146]
	ds_read_b128 v[5:8], v194 offset:1856
	v_add_f64 v[139:140], v[139:140], v[177:178]
	v_add_f64 v[137:138], v[137:138], v[157:158]
	s_waitcnt vmcnt(37) lgkmcnt(1)
	v_mul_f64 v[155:156], v[133:134], v[147:148]
	v_mul_f64 v[147:148], v[135:136], v[147:148]
	s_waitcnt vmcnt(36)
	v_fma_f64 v[157:158], v[1:2], v[209:210], -v[161:162]
	v_add_f64 v[139:140], v[139:140], v[143:144]
	v_fma_f64 v[143:144], v[3:4], v[209:210], v[149:150]
	v_add_f64 v[137:138], v[137:138], v[145:146]
	ds_read_b128 v[1:4], v194 offset:1872
	s_waitcnt vmcnt(35) lgkmcnt(1)
	v_mul_f64 v[149:150], v[7:8], v[169:170]
	v_mul_f64 v[145:146], v[5:6], v[169:170]
	s_waitcnt vmcnt(33)
	v_fma_f64 v[147:148], v[133:134], v[165:166], -v[147:148]
	v_fma_f64 v[155:156], v[135:136], v[165:166], v[155:156]
	ds_read_b128 v[133:136], v194 offset:1888
	v_add_f64 v[139:140], v[139:140], v[157:158]
	v_add_f64 v[137:138], v[137:138], v[143:144]
	s_waitcnt vmcnt(29) lgkmcnt(1)
	v_mul_f64 v[143:144], v[1:2], v[153:154]
	v_mul_f64 v[153:154], v[3:4], v[153:154]
	s_waitcnt vmcnt(28)
	v_fma_f64 v[149:150], v[5:6], v[201:202], -v[149:150]
	v_fma_f64 v[145:146], v[7:8], v[201:202], v[145:146]
	ds_read_b128 v[5:8], v194 offset:1904
	v_add_f64 v[139:140], v[139:140], v[147:148]
	v_add_f64 v[137:138], v[137:138], v[155:156]
	;; [unrolled: 9-line block ×3, first 2 shown]
	s_waitcnt vmcnt(21) lgkmcnt(1)
	v_mul_f64 v[149:150], v[7:8], v[159:160]
	s_waitcnt vmcnt(20)
	v_fma_f64 v[155:156], v[133:134], v[195:196], -v[155:156]
	v_mul_f64 v[145:146], v[5:6], v[159:160]
	v_fma_f64 v[147:148], v[135:136], v[195:196], v[147:148]
	ds_read_b128 v[133:136], v194 offset:1936
	v_add_f64 v[139:140], v[139:140], v[153:154]
	v_add_f64 v[137:138], v[137:138], v[143:144]
	s_waitcnt vmcnt(19) lgkmcnt(1)
	v_mul_f64 v[153:154], v[3:4], v[183:184]
	v_mul_f64 v[143:144], v[1:2], v[183:184]
	s_waitcnt vmcnt(17)
	v_fma_f64 v[149:150], v[5:6], v[171:172], -v[149:150]
	v_fma_f64 v[145:146], v[7:8], v[171:172], v[145:146]
	ds_read_b128 v[5:8], v194 offset:1952
	v_add_f64 v[139:140], v[139:140], v[155:156]
	v_add_f64 v[137:138], v[137:138], v[147:148]
	s_waitcnt vmcnt(13) lgkmcnt(1)
	v_mul_f64 v[155:156], v[135:136], v[167:168]
	s_waitcnt vmcnt(12)
	v_fma_f64 v[153:154], v[1:2], v[189:190], -v[153:154]
	v_mul_f64 v[147:148], v[133:134], v[167:168]
	v_fma_f64 v[143:144], v[3:4], v[189:190], v[143:144]
	ds_read_b128 v[1:4], v194 offset:1968
	v_add_f64 v[139:140], v[139:140], v[149:150]
	v_add_f64 v[137:138], v[137:138], v[145:146]
	s_waitcnt vmcnt(11) lgkmcnt(1)
	v_mul_f64 v[149:150], v[7:8], v[185:186]
	v_mul_f64 v[145:146], v[5:6], v[185:186]
	s_waitcnt vmcnt(9)
	v_fma_f64 v[133:134], v[133:134], v[141:142], -v[155:156]
	v_fma_f64 v[135:136], v[135:136], v[141:142], v[147:148]
	v_add_f64 v[139:140], v[139:140], v[153:154]
	v_add_f64 v[137:138], v[137:138], v[143:144]
	s_waitcnt vmcnt(7) lgkmcnt(0)
	v_mul_f64 v[143:144], v[3:4], v[173:174]
	s_waitcnt vmcnt(6)
	v_fma_f64 v[5:6], v[5:6], v[191:192], -v[149:150]
	v_mul_f64 v[141:142], v[1:2], v[173:174]
	v_fma_f64 v[7:8], v[7:8], v[191:192], v[145:146]
	v_add_f64 v[133:134], v[139:140], v[133:134]
	v_add_f64 v[135:136], v[137:138], v[135:136]
	s_waitcnt vmcnt(4)
	v_fma_f64 v[1:2], v[1:2], v[179:180], -v[143:144]
	v_fma_f64 v[3:4], v[3:4], v[179:180], v[141:142]
	v_add_f64 v[5:6], v[133:134], v[5:6]
	v_add_f64 v[7:8], v[135:136], v[7:8]
	;; [unrolled: 1-line block ×4, first 2 shown]
	s_waitcnt vmcnt(2)
	v_add_f64 v[1:2], v[151:152], -v[1:2]
	s_waitcnt vmcnt(0)
	v_add_f64 v[3:4], v[181:182], -v[3:4]
	buffer_store_dword v2, off, s[0:3], 0 offset:196
	buffer_store_dword v1, off, s[0:3], 0 offset:192
	;; [unrolled: 1-line block ×4, first 2 shown]
	v_cmpx_lt_u32_e32 10, v0
	s_cbranch_execz .LBB125_377
; %bb.376:
	v_mov_b32_e32 v4, s66
	v_mov_b32_e32 v5, 0
	s_clause 0x3
	buffer_load_dword v1, v4, s[0:3], 0 offen
	buffer_load_dword v2, v4, s[0:3], 0 offen offset:4
	buffer_load_dword v3, v4, s[0:3], 0 offen offset:8
	;; [unrolled: 1-line block ×3, first 2 shown]
	buffer_store_dword v5, off, s[0:3], 0 offset:176
	buffer_store_dword v5, off, s[0:3], 0 offset:180
	;; [unrolled: 1-line block ×4, first 2 shown]
	s_waitcnt vmcnt(0)
	ds_write_b128 v193, v[1:4]
.LBB125_377:
	s_or_b32 exec_lo, exec_lo, s4
	s_waitcnt lgkmcnt(0)
	s_waitcnt_vscnt null, 0x0
	s_barrier
	buffer_gl0_inv
	s_clause 0x37
	buffer_load_dword v141, off, s[0:3], 0 offset:200
	buffer_load_dword v142, off, s[0:3], 0 offset:204
	;; [unrolled: 1-line block ×56, first 2 shown]
	v_mov_b32_e32 v194, 0
	s_mov_b32 s4, exec_lo
	ds_read_b128 v[5:8], v194 offset:1168
	s_clause 0x2
	buffer_load_dword v190, off, s[0:3], 0 offset:428
	buffer_load_dword v192, off, s[0:3], 0 offset:404
	;; [unrolled: 1-line block ×3, first 2 shown]
	ds_read_b128 v[1:4], v194 offset:1184
	s_clause 0x4
	buffer_load_dword v202, off, s[0:3], 0 offset:444
	buffer_load_dword v203, off, s[0:3], 0 offset:456
	;; [unrolled: 1-line block ×5, first 2 shown]
	ds_read_b128 v[195:198], v194 offset:1200
	s_waitcnt vmcnt(62) lgkmcnt(2)
	v_mul_f64 v[199:200], v[7:8], v[141:142]
	v_mul_f64 v[141:142], v[5:6], v[141:142]
	s_waitcnt vmcnt(60) lgkmcnt(1)
	v_mul_f64 v[206:207], v[3:4], v[137:138]
	v_mul_f64 v[137:138], v[1:2], v[137:138]
	;; [unrolled: 3-line block ×3, first 2 shown]
	v_fma_f64 v[199:200], v[5:6], v[139:140], -v[199:200]
	v_fma_f64 v[139:140], v[7:8], v[139:140], v[141:142]
	s_clause 0x2
	buffer_load_dword v204, off, s[0:3], 0 offset:460
	buffer_load_dword v142, off, s[0:3], 0 offset:436
	;; [unrolled: 1-line block ×3, first 2 shown]
	s_waitcnt vmcnt(57)
	v_fma_f64 v[210:211], v[1:2], v[133:134], -v[206:207]
	ds_read_b128 v[5:8], v194 offset:1216
	v_fma_f64 v[133:134], v[3:4], v[133:134], v[137:138]
	s_waitcnt vmcnt(51)
	v_fma_f64 v[195:196], v[195:196], v[157:158], -v[135:136]
	v_fma_f64 v[157:158], v[197:198], v[157:158], v[208:209]
	v_add_f64 v[199:200], v[199:200], 0
	v_add_f64 v[137:138], v[139:140], 0
	s_clause 0x4
	buffer_load_dword v140, off, s[0:3], 0 offset:476
	buffer_load_dword v207, off, s[0:3], 0 offset:488
	;; [unrolled: 1-line block ×5, first 2 shown]
	s_waitcnt lgkmcnt(0)
	v_mul_f64 v[213:214], v[5:6], v[145:146]
	v_mul_f64 v[145:146], v[7:8], v[145:146]
	ds_read_b128 v[1:4], v194 offset:1232
	s_clause 0x2
	buffer_load_dword v208, off, s[0:3], 0 offset:492
	buffer_load_dword v198, off, s[0:3], 0 offset:468
	;; [unrolled: 1-line block ×3, first 2 shown]
	v_add_f64 v[199:200], v[199:200], v[210:211]
	v_add_f64 v[137:138], v[137:138], v[133:134]
	ds_read_b128 v[133:136], v194 offset:1248
	s_waitcnt vmcnt(58) lgkmcnt(1)
	v_mul_f64 v[209:210], v[1:2], v[149:150]
	v_mul_f64 v[149:150], v[3:4], v[149:150]
	s_waitcnt vmcnt(56)
	v_fma_f64 v[145:146], v[5:6], v[151:152], -v[145:146]
	v_fma_f64 v[151:152], v[7:8], v[151:152], v[213:214]
	s_waitcnt vmcnt(52) lgkmcnt(0)
	v_mul_f64 v[215:216], v[133:134], v[153:154]
	v_add_f64 v[195:196], v[199:200], v[195:196]
	v_add_f64 v[137:138], v[137:138], v[157:158]
	s_clause 0x4
	buffer_load_dword v158, off, s[0:3], 0 offset:508
	buffer_load_dword v199, off, s[0:3], 0 offset:520
	;; [unrolled: 1-line block ×5, first 2 shown]
	v_mul_f64 v[153:154], v[135:136], v[153:154]
	s_waitcnt vmcnt(56)
	v_fma_f64 v[149:150], v[1:2], v[143:144], -v[149:150]
	ds_read_b128 v[5:8], v194 offset:1264
	v_fma_f64 v[143:144], v[3:4], v[143:144], v[209:210]
	v_add_f64 v[145:146], v[195:196], v[145:146]
	v_add_f64 v[137:138], v[137:138], v[151:152]
	s_clause 0x2
	buffer_load_dword v200, off, s[0:3], 0 offset:524
	buffer_load_dword v152, off, s[0:3], 0 offset:500
	;; [unrolled: 1-line block ×3, first 2 shown]
	s_waitcnt vmcnt(58) lgkmcnt(0)
	v_mul_f64 v[195:196], v[5:6], v[159:160]
	v_mul_f64 v[159:160], v[7:8], v[159:160]
	s_waitcnt vmcnt(56)
	v_fma_f64 v[153:154], v[133:134], v[161:162], -v[153:154]
	ds_read_b128 v[1:4], v194 offset:1280
	v_add_f64 v[145:146], v[145:146], v[149:150]
	v_fma_f64 v[149:150], v[135:136], v[161:162], v[215:216]
	v_add_f64 v[137:138], v[137:138], v[143:144]
	s_clause 0x4
	buffer_load_dword v144, off, s[0:3], 0 offset:540
	buffer_load_dword v161, off, s[0:3], 0 offset:552
	;; [unrolled: 1-line block ×5, first 2 shown]
	s_waitcnt vmcnt(57) lgkmcnt(0)
	v_mul_f64 v[210:211], v[1:2], v[163:164]
	v_mul_f64 v[163:164], v[3:4], v[163:164]
	s_waitcnt vmcnt(56)
	v_fma_f64 v[159:160], v[5:6], v[147:148], -v[159:160]
	ds_read_b128 v[133:136], v194 offset:1296
	v_fma_f64 v[147:148], v[7:8], v[147:148], v[195:196]
	v_add_f64 v[145:146], v[145:146], v[153:154]
	v_add_f64 v[137:138], v[137:138], v[149:150]
	s_clause 0x2
	buffer_load_dword v162, off, s[0:3], 0 offset:556
	buffer_load_dword v150, off, s[0:3], 0 offset:532
	;; [unrolled: 1-line block ×3, first 2 shown]
	ds_read_b128 v[5:8], v194 offset:1312
	s_waitcnt vmcnt(58) lgkmcnt(1)
	v_mul_f64 v[153:154], v[133:134], v[167:168]
	v_mul_f64 v[167:168], v[135:136], v[167:168]
	s_waitcnt vmcnt(56)
	v_fma_f64 v[163:164], v[1:2], v[169:170], -v[163:164]
	v_add_f64 v[145:146], v[145:146], v[159:160]
	v_fma_f64 v[159:160], v[3:4], v[169:170], v[210:211]
	v_add_f64 v[137:138], v[137:138], v[147:148]
	s_clause 0x4
	buffer_load_dword v148, off, s[0:3], 0 offset:572
	buffer_load_dword v169, off, s[0:3], 0 offset:584
	;; [unrolled: 1-line block ×5, first 2 shown]
	s_waitcnt vmcnt(57) lgkmcnt(0)
	v_mul_f64 v[216:217], v[5:6], v[171:172]
	v_mul_f64 v[171:172], v[7:8], v[171:172]
	s_waitcnt vmcnt(56)
	v_fma_f64 v[167:168], v[133:134], v[155:156], -v[167:168]
	ds_read_b128 v[1:4], v194 offset:1328
	v_fma_f64 v[153:154], v[135:136], v[155:156], v[153:154]
	s_clause 0x2
	buffer_load_dword v170, off, s[0:3], 0 offset:588
	buffer_load_dword v156, off, s[0:3], 0 offset:564
	;; [unrolled: 1-line block ×3, first 2 shown]
	ds_read_b128 v[133:136], v194 offset:1344
	v_add_f64 v[145:146], v[145:146], v[163:164]
	v_add_f64 v[137:138], v[137:138], v[159:160]
	s_waitcnt vmcnt(58) lgkmcnt(1)
	v_mul_f64 v[163:164], v[3:4], v[175:176]
	s_waitcnt vmcnt(56)
	v_fma_f64 v[171:172], v[5:6], v[177:178], -v[171:172]
	v_mul_f64 v[159:160], v[1:2], v[175:176]
	v_add_f64 v[145:146], v[145:146], v[167:168]
	v_fma_f64 v[167:168], v[7:8], v[177:178], v[216:217]
	v_add_f64 v[137:138], v[137:138], v[153:154]
	s_clause 0x4
	buffer_load_dword v154, off, s[0:3], 0 offset:604
	buffer_load_dword v175, off, s[0:3], 0 offset:616
	;; [unrolled: 1-line block ×5, first 2 shown]
	s_waitcnt vmcnt(57) lgkmcnt(0)
	v_mul_f64 v[216:217], v[133:134], v[179:180]
	v_mul_f64 v[178:179], v[135:136], v[179:180]
	s_waitcnt vmcnt(56)
	v_fma_f64 v[163:164], v[1:2], v[165:166], -v[163:164]
	ds_read_b128 v[5:8], v194 offset:1360
	v_fma_f64 v[159:160], v[3:4], v[165:166], v[159:160]
	s_clause 0x2
	buffer_load_dword v176, off, s[0:3], 0 offset:620
	buffer_load_dword v166, off, s[0:3], 0 offset:596
	buffer_load_dword v165, off, s[0:3], 0 offset:592
	ds_read_b128 v[1:4], v194 offset:1376
	v_add_f64 v[145:146], v[145:146], v[171:172]
	v_add_f64 v[137:138], v[137:138], v[167:168]
	s_waitcnt vmcnt(58) lgkmcnt(1)
	v_mul_f64 v[171:172], v[7:8], v[183:184]
	s_waitcnt vmcnt(56)
	v_fma_f64 v[179:180], v[133:134], v[185:186], -v[178:179]
	v_mul_f64 v[167:168], v[5:6], v[183:184]
	v_add_f64 v[145:146], v[145:146], v[163:164]
	v_fma_f64 v[163:164], v[135:136], v[185:186], v[216:217]
	v_add_f64 v[137:138], v[137:138], v[159:160]
	s_clause 0x4
	buffer_load_dword v160, off, s[0:3], 0 offset:636
	buffer_load_dword v183, off, s[0:3], 0 offset:648
	;; [unrolled: 1-line block ×5, first 2 shown]
	s_waitcnt vmcnt(57) lgkmcnt(0)
	v_mul_f64 v[216:217], v[1:2], v[187:188]
	v_mul_f64 v[186:187], v[3:4], v[187:188]
	s_waitcnt vmcnt(56)
	v_fma_f64 v[171:172], v[5:6], v[173:174], -v[171:172]
	ds_read_b128 v[133:136], v194 offset:1392
	v_fma_f64 v[167:168], v[7:8], v[173:174], v[167:168]
	v_add_f64 v[145:146], v[145:146], v[179:180]
	v_add_f64 v[137:138], v[137:138], v[163:164]
	s_clause 0x2
	buffer_load_dword v184, off, s[0:3], 0 offset:652
	buffer_load_dword v164, off, s[0:3], 0 offset:628
	;; [unrolled: 1-line block ×3, first 2 shown]
	ds_read_b128 v[5:8], v194 offset:1408
	s_waitcnt vmcnt(58) lgkmcnt(1)
	v_mul_f64 v[179:180], v[135:136], v[189:190]
	s_waitcnt vmcnt(56)
	v_fma_f64 v[187:188], v[1:2], v[191:192], -v[186:187]
	v_mul_f64 v[173:174], v[133:134], v[189:190]
	v_add_f64 v[145:146], v[145:146], v[171:172]
	v_fma_f64 v[171:172], v[3:4], v[191:192], v[216:217]
	v_add_f64 v[137:138], v[137:138], v[167:168]
	s_clause 0x4
	buffer_load_dword v168, off, s[0:3], 0 offset:668
	buffer_load_dword v189, off, s[0:3], 0 offset:680
	buffer_load_dword v191, off, s[0:3], 0 offset:672
	buffer_load_dword v167, off, s[0:3], 0 offset:664
	buffer_load_dword v186, off, s[0:3], 0 offset:644
	s_waitcnt vmcnt(57) lgkmcnt(0)
	v_mul_f64 v[216:217], v[5:6], v[201:202]
	v_mul_f64 v[201:202], v[7:8], v[201:202]
	s_waitcnt vmcnt(56)
	v_fma_f64 v[179:180], v[133:134], v[181:182], -v[179:180]
	ds_read_b128 v[1:4], v194 offset:1424
	v_fma_f64 v[173:174], v[135:136], v[181:182], v[173:174]
	v_add_f64 v[145:146], v[145:146], v[187:188]
	v_add_f64 v[137:138], v[137:138], v[171:172]
	s_clause 0x2
	buffer_load_dword v190, off, s[0:3], 0 offset:684
	buffer_load_dword v172, off, s[0:3], 0 offset:660
	;; [unrolled: 1-line block ×3, first 2 shown]
	ds_read_b128 v[133:136], v194 offset:1440
	s_waitcnt vmcnt(58) lgkmcnt(1)
	v_mul_f64 v[187:188], v[3:4], v[203:204]
	v_mul_f64 v[181:182], v[1:2], v[203:204]
	s_waitcnt vmcnt(56)
	v_fma_f64 v[201:202], v[5:6], v[141:142], -v[201:202]
	v_fma_f64 v[141:142], v[7:8], v[141:142], v[216:217]
	v_add_f64 v[145:146], v[145:146], v[179:180]
	v_add_f64 v[137:138], v[137:138], v[173:174]
	s_clause 0x4
	buffer_load_dword v174, off, s[0:3], 0 offset:700
	buffer_load_dword v179, off, s[0:3], 0 offset:712
	;; [unrolled: 1-line block ×5, first 2 shown]
	ds_read_b128 v[5:8], v194 offset:1456
	s_waitcnt vmcnt(57) lgkmcnt(1)
	v_mul_f64 v[216:217], v[133:134], v[139:140]
	v_mul_f64 v[139:140], v[135:136], v[139:140]
	s_waitcnt vmcnt(56)
	v_fma_f64 v[187:188], v[1:2], v[205:206], -v[187:188]
	v_fma_f64 v[181:182], v[3:4], v[205:206], v[181:182]
	v_add_f64 v[145:146], v[145:146], v[201:202]
	v_add_f64 v[137:138], v[137:138], v[141:142]
	s_clause 0x2
	buffer_load_dword v180, off, s[0:3], 0 offset:716
	buffer_load_dword v142, off, s[0:3], 0 offset:692
	;; [unrolled: 1-line block ×3, first 2 shown]
	s_waitcnt vmcnt(58) lgkmcnt(0)
	v_mul_f64 v[205:206], v[7:8], v[207:208]
	ds_read_b128 v[1:4], v194 offset:1472
	v_mul_f64 v[201:202], v[5:6], v[207:208]
	s_waitcnt vmcnt(56)
	v_fma_f64 v[139:140], v[133:134], v[197:198], -v[139:140]
	v_add_f64 v[145:146], v[145:146], v[187:188]
	v_fma_f64 v[187:188], v[135:136], v[197:198], v[216:217]
	v_add_f64 v[137:138], v[137:138], v[181:182]
	s_clause 0x4
	buffer_load_dword v182, off, s[0:3], 0 offset:732
	buffer_load_dword v197, off, s[0:3], 0 offset:744
	;; [unrolled: 1-line block ×5, first 2 shown]
	ds_read_b128 v[133:136], v194 offset:1488
	s_waitcnt vmcnt(57) lgkmcnt(1)
	v_mul_f64 v[216:217], v[1:2], v[157:158]
	v_mul_f64 v[157:158], v[3:4], v[157:158]
	s_waitcnt vmcnt(56)
	v_fma_f64 v[205:206], v[5:6], v[212:213], -v[205:206]
	v_add_f64 v[139:140], v[145:146], v[139:140]
	v_fma_f64 v[145:146], v[7:8], v[212:213], v[201:202]
	v_add_f64 v[137:138], v[137:138], v[187:188]
	s_clause 0x2
	buffer_load_dword v198, off, s[0:3], 0 offset:748
	buffer_load_dword v188, off, s[0:3], 0 offset:724
	;; [unrolled: 1-line block ×3, first 2 shown]
	ds_read_b128 v[5:8], v194 offset:1504
	s_waitcnt vmcnt(58) lgkmcnt(1)
	v_mul_f64 v[201:202], v[133:134], v[199:200]
	v_mul_f64 v[199:200], v[135:136], v[199:200]
	s_waitcnt vmcnt(56)
	v_fma_f64 v[157:158], v[1:2], v[151:152], -v[157:158]
	v_fma_f64 v[151:152], v[3:4], v[151:152], v[216:217]
	v_add_f64 v[139:140], v[139:140], v[205:206]
	v_add_f64 v[137:138], v[137:138], v[145:146]
	s_clause 0x4
	buffer_load_dword v146, off, s[0:3], 0 offset:764
	buffer_load_dword v205, off, s[0:3], 0 offset:776
	;; [unrolled: 1-line block ×5, first 2 shown]
	ds_read_b128 v[1:4], v194 offset:1520
	s_waitcnt vmcnt(57) lgkmcnt(1)
	v_mul_f64 v[212:213], v[5:6], v[143:144]
	v_mul_f64 v[143:144], v[7:8], v[143:144]
	s_waitcnt vmcnt(56)
	v_fma_f64 v[199:200], v[133:134], v[214:215], -v[199:200]
	v_add_f64 v[139:140], v[139:140], v[157:158]
	v_fma_f64 v[157:158], v[135:136], v[214:215], v[201:202]
	v_add_f64 v[137:138], v[137:138], v[151:152]
	s_clause 0x2
	buffer_load_dword v206, off, s[0:3], 0 offset:780
	buffer_load_dword v152, off, s[0:3], 0 offset:756
	;; [unrolled: 1-line block ×3, first 2 shown]
	ds_read_b128 v[133:136], v194 offset:1536
	s_waitcnt vmcnt(58) lgkmcnt(1)
	v_mul_f64 v[201:202], v[1:2], v[161:162]
	v_mul_f64 v[161:162], v[3:4], v[161:162]
	s_waitcnt vmcnt(56)
	v_fma_f64 v[143:144], v[5:6], v[149:150], -v[143:144]
	v_fma_f64 v[149:150], v[7:8], v[149:150], v[212:213]
	v_add_f64 v[139:140], v[139:140], v[199:200]
	v_add_f64 v[137:138], v[137:138], v[157:158]
	s_clause 0x4
	buffer_load_dword v158, off, s[0:3], 0 offset:796
	buffer_load_dword v199, off, s[0:3], 0 offset:808
	buffer_load_dword v213, off, s[0:3], 0 offset:800
	buffer_load_dword v157, off, s[0:3], 0 offset:792
	buffer_load_dword v212, off, s[0:3], 0 offset:772
	ds_read_b128 v[5:8], v194 offset:1552
	s_waitcnt vmcnt(57) lgkmcnt(1)
	v_mul_f64 v[214:215], v[133:134], v[147:148]
	v_mul_f64 v[147:148], v[135:136], v[147:148]
	s_waitcnt vmcnt(56)
	v_fma_f64 v[161:162], v[1:2], v[209:210], -v[161:162]
	v_add_f64 v[139:140], v[139:140], v[143:144]
	v_fma_f64 v[143:144], v[3:4], v[209:210], v[201:202]
	v_add_f64 v[137:138], v[137:138], v[149:150]
	s_clause 0x2
	buffer_load_dword v200, off, s[0:3], 0 offset:812
	buffer_load_dword v150, off, s[0:3], 0 offset:788
	;; [unrolled: 1-line block ×3, first 2 shown]
	s_waitcnt vmcnt(58) lgkmcnt(0)
	v_mul_f64 v[201:202], v[5:6], v[169:170]
	v_mul_f64 v[169:170], v[7:8], v[169:170]
	ds_read_b128 v[1:4], v194 offset:1568
	s_waitcnt vmcnt(56)
	v_fma_f64 v[147:148], v[133:134], v[155:156], -v[147:148]
	v_fma_f64 v[155:156], v[135:136], v[155:156], v[214:215]
	v_add_f64 v[139:140], v[139:140], v[161:162]
	v_add_f64 v[137:138], v[137:138], v[143:144]
	s_clause 0x4
	buffer_load_dword v144, off, s[0:3], 0 offset:828
	buffer_load_dword v161, off, s[0:3], 0 offset:840
	;; [unrolled: 1-line block ×5, first 2 shown]
	ds_read_b128 v[133:136], v194 offset:1584
	s_waitcnt vmcnt(57) lgkmcnt(1)
	v_mul_f64 v[215:216], v[1:2], v[153:154]
	v_mul_f64 v[153:154], v[3:4], v[153:154]
	s_waitcnt vmcnt(56)
	v_fma_f64 v[169:170], v[5:6], v[195:196], -v[169:170]
	v_add_f64 v[139:140], v[139:140], v[147:148]
	v_fma_f64 v[147:148], v[7:8], v[195:196], v[201:202]
	v_add_f64 v[137:138], v[137:138], v[155:156]
	s_clause 0x2
	buffer_load_dword v162, off, s[0:3], 0 offset:844
	buffer_load_dword v156, off, s[0:3], 0 offset:820
	;; [unrolled: 1-line block ×3, first 2 shown]
	s_waitcnt vmcnt(58) lgkmcnt(0)
	v_mul_f64 v[195:196], v[133:134], v[175:176]
	v_mul_f64 v[175:176], v[135:136], v[175:176]
	ds_read_b128 v[5:8], v194 offset:1600
	s_waitcnt vmcnt(56)
	v_fma_f64 v[153:154], v[1:2], v[165:166], -v[153:154]
	v_fma_f64 v[165:166], v[3:4], v[165:166], v[215:216]
	v_add_f64 v[139:140], v[139:140], v[169:170]
	v_add_f64 v[137:138], v[137:138], v[147:148]
	s_clause 0x4
	buffer_load_dword v148, off, s[0:3], 0 offset:860
	buffer_load_dword v169, off, s[0:3], 0 offset:872
	buffer_load_dword v201, off, s[0:3], 0 offset:864
	buffer_load_dword v147, off, s[0:3], 0 offset:856
	buffer_load_dword v210, off, s[0:3], 0 offset:836
	ds_read_b128 v[1:4], v194 offset:1616
	s_waitcnt vmcnt(57) lgkmcnt(1)
	v_mul_f64 v[215:216], v[5:6], v[159:160]
	v_mul_f64 v[159:160], v[7:8], v[159:160]
	s_waitcnt vmcnt(56)
	v_fma_f64 v[175:176], v[133:134], v[177:178], -v[175:176]
	v_add_f64 v[139:140], v[139:140], v[153:154]
	v_fma_f64 v[153:154], v[135:136], v[177:178], v[195:196]
	v_add_f64 v[137:138], v[137:138], v[165:166]
	s_clause 0x2
	buffer_load_dword v170, off, s[0:3], 0 offset:876
	buffer_load_dword v166, off, s[0:3], 0 offset:852
	buffer_load_dword v165, off, s[0:3], 0 offset:848
	ds_read_b128 v[133:136], v194 offset:1632
	s_waitcnt vmcnt(58) lgkmcnt(1)
	v_mul_f64 v[177:178], v[1:2], v[183:184]
	v_mul_f64 v[183:184], v[3:4], v[183:184]
	s_waitcnt vmcnt(56)
	v_fma_f64 v[159:160], v[5:6], v[163:164], -v[159:160]
	v_fma_f64 v[163:164], v[7:8], v[163:164], v[215:216]
	v_add_f64 v[139:140], v[139:140], v[175:176]
	v_add_f64 v[137:138], v[137:138], v[153:154]
	s_clause 0x4
	buffer_load_dword v154, off, s[0:3], 0 offset:892
	buffer_load_dword v175, off, s[0:3], 0 offset:904
	buffer_load_dword v195, off, s[0:3], 0 offset:896
	buffer_load_dword v153, off, s[0:3], 0 offset:888
	buffer_load_dword v202, off, s[0:3], 0 offset:868
	ds_read_b128 v[5:8], v194 offset:1648
	s_waitcnt vmcnt(57) lgkmcnt(1)
	v_mul_f64 v[215:216], v[133:134], v[167:168]
	v_mul_f64 v[167:168], v[135:136], v[167:168]
	s_waitcnt vmcnt(56)
	v_fma_f64 v[183:184], v[1:2], v[185:186], -v[183:184]
	v_add_f64 v[139:140], v[139:140], v[159:160]
	v_fma_f64 v[159:160], v[3:4], v[185:186], v[177:178]
	v_add_f64 v[137:138], v[137:138], v[163:164]
	s_clause 0x2
	buffer_load_dword v176, off, s[0:3], 0 offset:908
	buffer_load_dword v164, off, s[0:3], 0 offset:884
	buffer_load_dword v163, off, s[0:3], 0 offset:880
	ds_read_b128 v[1:4], v194 offset:1664
	s_waitcnt vmcnt(58) lgkmcnt(1)
	v_mul_f64 v[185:186], v[7:8], v[189:190]
	v_mul_f64 v[177:178], v[5:6], v[189:190]
	;; [unrolled: 28-line block ×4, first 2 shown]
	s_waitcnt vmcnt(56)
	v_fma_f64 v[181:182], v[5:6], v[187:188], -v[181:182]
	v_add_f64 v[139:140], v[139:140], v[179:180]
	v_fma_f64 v[179:180], v[7:8], v[187:188], v[215:216]
	v_add_f64 v[137:138], v[137:138], v[173:174]
	s_clause 0x4
	buffer_load_dword v174, off, s[0:3], 0 offset:988
	buffer_load_dword v187, off, s[0:3], 0 offset:1000
	;; [unrolled: 1-line block ×5, first 2 shown]
	ds_read_b128 v[5:8], v194 offset:1744
	s_waitcnt vmcnt(57) lgkmcnt(1)
	v_mul_f64 v[215:216], v[133:134], v[145:146]
	v_mul_f64 v[145:146], v[135:136], v[145:146]
	s_waitcnt vmcnt(56)
	v_fma_f64 v[197:198], v[1:2], v[207:208], -v[197:198]
	v_fma_f64 v[177:178], v[3:4], v[207:208], v[177:178]
	v_add_f64 v[139:140], v[139:140], v[181:182]
	v_add_f64 v[137:138], v[137:138], v[179:180]
	s_clause 0x2
	buffer_load_dword v188, off, s[0:3], 0 offset:1004
	buffer_load_dword v180, off, s[0:3], 0 offset:980
	;; [unrolled: 1-line block ×3, first 2 shown]
	ds_read_b128 v[1:4], v194 offset:1760
	buffer_load_dword v204, off, s[0:3], 0 offset:996
	s_waitcnt vmcnt(59) lgkmcnt(1)
	v_mul_f64 v[181:182], v[5:6], v[205:206]
	v_mul_f64 v[205:206], v[7:8], v[205:206]
	s_waitcnt vmcnt(57)
	v_fma_f64 v[145:146], v[133:134], v[151:152], -v[145:146]
	v_fma_f64 v[151:152], v[135:136], v[151:152], v[215:216]
	ds_read_b128 v[133:136], v194 offset:1776
	v_add_f64 v[139:140], v[139:140], v[197:198]
	v_add_f64 v[137:138], v[137:138], v[177:178]
	s_waitcnt vmcnt(53) lgkmcnt(1)
	v_mul_f64 v[177:178], v[1:2], v[157:158]
	v_mul_f64 v[157:158], v[3:4], v[157:158]
	s_waitcnt vmcnt(52)
	v_fma_f64 v[197:198], v[5:6], v[211:212], -v[205:206]
	v_add_f64 v[139:140], v[139:140], v[145:146]
	v_fma_f64 v[145:146], v[7:8], v[211:212], v[181:182]
	v_add_f64 v[137:138], v[137:138], v[151:152]
	ds_read_b128 v[5:8], v194 offset:1792
	s_waitcnt vmcnt(51) lgkmcnt(1)
	v_mul_f64 v[181:182], v[135:136], v[199:200]
	v_mul_f64 v[151:152], v[133:134], v[199:200]
	s_waitcnt vmcnt(49)
	v_fma_f64 v[157:158], v[1:2], v[149:150], -v[157:158]
	v_fma_f64 v[149:150], v[3:4], v[149:150], v[177:178]
	v_add_f64 v[139:140], v[139:140], v[197:198]
	v_add_f64 v[137:138], v[137:138], v[145:146]
	s_clause 0x3
	buffer_load_dword v145, off, s[0:3], 0 offset:176
	buffer_load_dword v146, off, s[0:3], 0 offset:180
	;; [unrolled: 1-line block ×4, first 2 shown]
	ds_read_b128 v[1:4], v194 offset:1808
	s_waitcnt vmcnt(49) lgkmcnt(1)
	v_mul_f64 v[197:198], v[5:6], v[143:144]
	v_mul_f64 v[143:144], v[7:8], v[143:144]
	s_waitcnt vmcnt(48)
	v_fma_f64 v[181:182], v[133:134], v[213:214], -v[181:182]
	v_fma_f64 v[151:152], v[135:136], v[213:214], v[151:152]
	ds_read_b128 v[133:136], v194 offset:1824
	v_add_f64 v[139:140], v[139:140], v[157:158]
	v_add_f64 v[137:138], v[137:138], v[149:150]
	s_waitcnt vmcnt(47) lgkmcnt(1)
	v_mul_f64 v[157:158], v[3:4], v[161:162]
	v_mul_f64 v[149:150], v[1:2], v[161:162]
	s_waitcnt vmcnt(45)
	v_fma_f64 v[143:144], v[5:6], v[155:156], -v[143:144]
	v_fma_f64 v[155:156], v[7:8], v[155:156], v[197:198]
	ds_read_b128 v[5:8], v194 offset:1840
	v_add_f64 v[139:140], v[139:140], v[181:182]
	v_add_f64 v[137:138], v[137:138], v[151:152]
	s_waitcnt vmcnt(41) lgkmcnt(1)
	v_mul_f64 v[151:152], v[133:134], v[147:148]
	v_mul_f64 v[147:148], v[135:136], v[147:148]
	s_waitcnt vmcnt(40)
	v_fma_f64 v[157:158], v[1:2], v[209:210], -v[157:158]
	v_add_f64 v[139:140], v[139:140], v[143:144]
	v_fma_f64 v[143:144], v[3:4], v[209:210], v[149:150]
	v_add_f64 v[137:138], v[137:138], v[155:156]
	ds_read_b128 v[1:4], v194 offset:1856
	s_waitcnt vmcnt(39) lgkmcnt(1)
	v_mul_f64 v[155:156], v[7:8], v[169:170]
	v_mul_f64 v[149:150], v[5:6], v[169:170]
	s_waitcnt vmcnt(37)
	v_fma_f64 v[147:148], v[133:134], v[165:166], -v[147:148]
	v_fma_f64 v[151:152], v[135:136], v[165:166], v[151:152]
	ds_read_b128 v[133:136], v194 offset:1872
	v_add_f64 v[139:140], v[139:140], v[157:158]
	v_add_f64 v[137:138], v[137:138], v[143:144]
	s_waitcnt vmcnt(33) lgkmcnt(1)
	v_mul_f64 v[143:144], v[1:2], v[153:154]
	v_mul_f64 v[153:154], v[3:4], v[153:154]
	s_waitcnt vmcnt(32)
	v_fma_f64 v[155:156], v[5:6], v[201:202], -v[155:156]
	v_add_f64 v[139:140], v[139:140], v[147:148]
	v_fma_f64 v[147:148], v[7:8], v[201:202], v[149:150]
	v_add_f64 v[137:138], v[137:138], v[151:152]
	ds_read_b128 v[5:8], v194 offset:1888
	s_waitcnt vmcnt(31) lgkmcnt(1)
	v_mul_f64 v[151:152], v[135:136], v[175:176]
	v_mul_f64 v[149:150], v[133:134], v[175:176]
	s_waitcnt vmcnt(29)
	v_fma_f64 v[153:154], v[1:2], v[163:164], -v[153:154]
	v_fma_f64 v[143:144], v[3:4], v[163:164], v[143:144]
	ds_read_b128 v[1:4], v194 offset:1904
	v_add_f64 v[139:140], v[139:140], v[155:156]
	v_add_f64 v[137:138], v[137:138], v[147:148]
	s_waitcnt vmcnt(25) lgkmcnt(1)
	v_mul_f64 v[155:156], v[7:8], v[159:160]
	s_waitcnt vmcnt(24)
	v_fma_f64 v[151:152], v[133:134], v[195:196], -v[151:152]
	v_mul_f64 v[147:148], v[5:6], v[159:160]
	v_fma_f64 v[149:150], v[135:136], v[195:196], v[149:150]
	ds_read_b128 v[133:136], v194 offset:1920
	v_add_f64 v[139:140], v[139:140], v[153:154]
	v_add_f64 v[137:138], v[137:138], v[143:144]
	s_waitcnt vmcnt(23) lgkmcnt(1)
	v_mul_f64 v[153:154], v[3:4], v[183:184]
	v_mul_f64 v[143:144], v[1:2], v[183:184]
	s_waitcnt vmcnt(21)
	v_fma_f64 v[155:156], v[5:6], v[171:172], -v[155:156]
	v_fma_f64 v[147:148], v[7:8], v[171:172], v[147:148]
	ds_read_b128 v[5:8], v194 offset:1936
	v_add_f64 v[139:140], v[139:140], v[151:152]
	v_add_f64 v[137:138], v[137:138], v[149:150]
	s_waitcnt vmcnt(17) lgkmcnt(1)
	v_mul_f64 v[151:152], v[135:136], v[167:168]
	s_waitcnt vmcnt(16)
	v_fma_f64 v[153:154], v[1:2], v[189:190], -v[153:154]
	v_mul_f64 v[149:150], v[133:134], v[167:168]
	v_fma_f64 v[143:144], v[3:4], v[189:190], v[143:144]
	ds_read_b128 v[1:4], v194 offset:1952
	v_add_f64 v[139:140], v[139:140], v[155:156]
	v_add_f64 v[137:138], v[137:138], v[147:148]
	s_waitcnt vmcnt(15) lgkmcnt(1)
	v_mul_f64 v[155:156], v[7:8], v[185:186]
	v_mul_f64 v[147:148], v[5:6], v[185:186]
	s_waitcnt vmcnt(13)
	v_fma_f64 v[151:152], v[133:134], v[141:142], -v[151:152]
	v_fma_f64 v[141:142], v[135:136], v[141:142], v[149:150]
	ds_read_b128 v[133:136], v194 offset:1968
	v_add_f64 v[139:140], v[139:140], v[153:154]
	v_add_f64 v[137:138], v[137:138], v[143:144]
	s_waitcnt vmcnt(9) lgkmcnt(1)
	v_mul_f64 v[149:150], v[3:4], v[173:174]
	s_waitcnt vmcnt(8)
	v_fma_f64 v[5:6], v[5:6], v[191:192], -v[155:156]
	v_mul_f64 v[143:144], v[1:2], v[173:174]
	v_fma_f64 v[7:8], v[7:8], v[191:192], v[147:148]
	v_add_f64 v[139:140], v[139:140], v[151:152]
	v_add_f64 v[137:138], v[137:138], v[141:142]
	s_waitcnt vmcnt(7) lgkmcnt(0)
	v_mul_f64 v[147:148], v[135:136], v[187:188]
	v_mul_f64 v[141:142], v[133:134], v[187:188]
	s_waitcnt vmcnt(5)
	v_fma_f64 v[1:2], v[1:2], v[179:180], -v[149:150]
	v_fma_f64 v[3:4], v[3:4], v[179:180], v[143:144]
	v_add_f64 v[5:6], v[139:140], v[5:6]
	v_add_f64 v[7:8], v[137:138], v[7:8]
	s_waitcnt vmcnt(4)
	v_fma_f64 v[133:134], v[133:134], v[203:204], -v[147:148]
	v_add_f64 v[1:2], v[5:6], v[1:2]
	v_fma_f64 v[5:6], v[135:136], v[203:204], v[141:142]
	v_add_f64 v[3:4], v[7:8], v[3:4]
	v_add_f64 v[1:2], v[1:2], v[133:134]
	;; [unrolled: 1-line block ×3, first 2 shown]
	s_waitcnt vmcnt(2)
	v_add_f64 v[1:2], v[145:146], -v[1:2]
	s_waitcnt vmcnt(0)
	v_add_f64 v[3:4], v[177:178], -v[3:4]
	buffer_store_dword v2, off, s[0:3], 0 offset:180
	buffer_store_dword v1, off, s[0:3], 0 offset:176
	;; [unrolled: 1-line block ×4, first 2 shown]
	v_cmpx_lt_u32_e32 9, v0
	s_cbranch_execz .LBB125_379
; %bb.378:
	v_mov_b32_e32 v4, s67
	s_clause 0x3
	buffer_load_dword v1, v4, s[0:3], 0 offen
	buffer_load_dword v2, v4, s[0:3], 0 offen offset:4
	buffer_load_dword v3, v4, s[0:3], 0 offen offset:8
	;; [unrolled: 1-line block ×3, first 2 shown]
	buffer_store_dword v194, off, s[0:3], 0 offset:160
	buffer_store_dword v194, off, s[0:3], 0 offset:164
	;; [unrolled: 1-line block ×4, first 2 shown]
	s_waitcnt vmcnt(0)
	ds_write_b128 v193, v[1:4]
.LBB125_379:
	s_or_b32 exec_lo, exec_lo, s4
	s_waitcnt lgkmcnt(0)
	s_waitcnt_vscnt null, 0x0
	s_barrier
	buffer_gl0_inv
	s_clause 0x37
	buffer_load_dword v141, off, s[0:3], 0 offset:184
	buffer_load_dword v142, off, s[0:3], 0 offset:188
	;; [unrolled: 1-line block ×56, first 2 shown]
	ds_read_b128 v[5:8], v194 offset:1152
	s_clause 0x2
	buffer_load_dword v190, off, s[0:3], 0 offset:412
	buffer_load_dword v192, off, s[0:3], 0 offset:388
	;; [unrolled: 1-line block ×3, first 2 shown]
	ds_read_b128 v[1:4], v194 offset:1168
	s_clause 0x4
	buffer_load_dword v202, off, s[0:3], 0 offset:428
	buffer_load_dword v203, off, s[0:3], 0 offset:440
	;; [unrolled: 1-line block ×5, first 2 shown]
	ds_read_b128 v[195:198], v194 offset:1184
	s_mov_b32 s4, exec_lo
	s_waitcnt vmcnt(62) lgkmcnt(2)
	v_mul_f64 v[199:200], v[7:8], v[141:142]
	v_mul_f64 v[141:142], v[5:6], v[141:142]
	s_waitcnt vmcnt(60) lgkmcnt(1)
	v_mul_f64 v[206:207], v[3:4], v[137:138]
	v_mul_f64 v[137:138], v[1:2], v[137:138]
	;; [unrolled: 3-line block ×3, first 2 shown]
	v_fma_f64 v[199:200], v[5:6], v[139:140], -v[199:200]
	v_fma_f64 v[139:140], v[7:8], v[139:140], v[141:142]
	s_clause 0x2
	buffer_load_dword v204, off, s[0:3], 0 offset:444
	buffer_load_dword v142, off, s[0:3], 0 offset:420
	;; [unrolled: 1-line block ×3, first 2 shown]
	s_waitcnt vmcnt(57)
	v_fma_f64 v[210:211], v[1:2], v[133:134], -v[206:207]
	ds_read_b128 v[5:8], v194 offset:1200
	v_fma_f64 v[133:134], v[3:4], v[133:134], v[137:138]
	s_waitcnt vmcnt(51)
	v_fma_f64 v[195:196], v[195:196], v[157:158], -v[135:136]
	v_fma_f64 v[157:158], v[197:198], v[157:158], v[208:209]
	v_add_f64 v[199:200], v[199:200], 0
	v_add_f64 v[137:138], v[139:140], 0
	s_clause 0x4
	buffer_load_dword v140, off, s[0:3], 0 offset:460
	buffer_load_dword v207, off, s[0:3], 0 offset:472
	;; [unrolled: 1-line block ×5, first 2 shown]
	s_waitcnt lgkmcnt(0)
	v_mul_f64 v[213:214], v[5:6], v[145:146]
	v_mul_f64 v[145:146], v[7:8], v[145:146]
	ds_read_b128 v[1:4], v194 offset:1216
	s_clause 0x2
	buffer_load_dword v208, off, s[0:3], 0 offset:476
	buffer_load_dword v198, off, s[0:3], 0 offset:452
	;; [unrolled: 1-line block ×3, first 2 shown]
	v_add_f64 v[199:200], v[199:200], v[210:211]
	v_add_f64 v[137:138], v[137:138], v[133:134]
	ds_read_b128 v[133:136], v194 offset:1232
	s_waitcnt vmcnt(58) lgkmcnt(1)
	v_mul_f64 v[209:210], v[1:2], v[149:150]
	v_mul_f64 v[149:150], v[3:4], v[149:150]
	s_waitcnt vmcnt(56)
	v_fma_f64 v[145:146], v[5:6], v[151:152], -v[145:146]
	v_fma_f64 v[151:152], v[7:8], v[151:152], v[213:214]
	s_waitcnt vmcnt(52) lgkmcnt(0)
	v_mul_f64 v[215:216], v[133:134], v[153:154]
	v_add_f64 v[195:196], v[199:200], v[195:196]
	v_add_f64 v[137:138], v[137:138], v[157:158]
	s_clause 0x4
	buffer_load_dword v158, off, s[0:3], 0 offset:492
	buffer_load_dword v199, off, s[0:3], 0 offset:504
	;; [unrolled: 1-line block ×5, first 2 shown]
	v_mul_f64 v[153:154], v[135:136], v[153:154]
	s_waitcnt vmcnt(56)
	v_fma_f64 v[149:150], v[1:2], v[143:144], -v[149:150]
	ds_read_b128 v[5:8], v194 offset:1248
	v_fma_f64 v[143:144], v[3:4], v[143:144], v[209:210]
	v_add_f64 v[145:146], v[195:196], v[145:146]
	v_add_f64 v[137:138], v[137:138], v[151:152]
	s_clause 0x2
	buffer_load_dword v200, off, s[0:3], 0 offset:508
	buffer_load_dword v152, off, s[0:3], 0 offset:484
	;; [unrolled: 1-line block ×3, first 2 shown]
	s_waitcnt vmcnt(58) lgkmcnt(0)
	v_mul_f64 v[195:196], v[5:6], v[159:160]
	v_mul_f64 v[159:160], v[7:8], v[159:160]
	s_waitcnt vmcnt(56)
	v_fma_f64 v[153:154], v[133:134], v[161:162], -v[153:154]
	ds_read_b128 v[1:4], v194 offset:1264
	v_add_f64 v[145:146], v[145:146], v[149:150]
	v_fma_f64 v[149:150], v[135:136], v[161:162], v[215:216]
	v_add_f64 v[137:138], v[137:138], v[143:144]
	s_clause 0x4
	buffer_load_dword v144, off, s[0:3], 0 offset:524
	buffer_load_dword v161, off, s[0:3], 0 offset:536
	;; [unrolled: 1-line block ×5, first 2 shown]
	s_waitcnt vmcnt(57) lgkmcnt(0)
	v_mul_f64 v[210:211], v[1:2], v[163:164]
	v_mul_f64 v[163:164], v[3:4], v[163:164]
	s_waitcnt vmcnt(56)
	v_fma_f64 v[159:160], v[5:6], v[147:148], -v[159:160]
	ds_read_b128 v[133:136], v194 offset:1280
	v_fma_f64 v[147:148], v[7:8], v[147:148], v[195:196]
	v_add_f64 v[145:146], v[145:146], v[153:154]
	v_add_f64 v[137:138], v[137:138], v[149:150]
	s_clause 0x2
	buffer_load_dword v162, off, s[0:3], 0 offset:540
	buffer_load_dword v150, off, s[0:3], 0 offset:516
	;; [unrolled: 1-line block ×3, first 2 shown]
	ds_read_b128 v[5:8], v194 offset:1296
	s_waitcnt vmcnt(58) lgkmcnt(1)
	v_mul_f64 v[153:154], v[133:134], v[167:168]
	v_mul_f64 v[167:168], v[135:136], v[167:168]
	s_waitcnt vmcnt(56)
	v_fma_f64 v[163:164], v[1:2], v[169:170], -v[163:164]
	v_add_f64 v[145:146], v[145:146], v[159:160]
	v_fma_f64 v[159:160], v[3:4], v[169:170], v[210:211]
	v_add_f64 v[137:138], v[137:138], v[147:148]
	s_clause 0x4
	buffer_load_dword v148, off, s[0:3], 0 offset:556
	buffer_load_dword v169, off, s[0:3], 0 offset:568
	;; [unrolled: 1-line block ×5, first 2 shown]
	s_waitcnt vmcnt(57) lgkmcnt(0)
	v_mul_f64 v[216:217], v[5:6], v[171:172]
	v_mul_f64 v[171:172], v[7:8], v[171:172]
	s_waitcnt vmcnt(56)
	v_fma_f64 v[167:168], v[133:134], v[155:156], -v[167:168]
	ds_read_b128 v[1:4], v194 offset:1312
	v_fma_f64 v[153:154], v[135:136], v[155:156], v[153:154]
	s_clause 0x2
	buffer_load_dword v170, off, s[0:3], 0 offset:572
	buffer_load_dword v156, off, s[0:3], 0 offset:548
	;; [unrolled: 1-line block ×3, first 2 shown]
	ds_read_b128 v[133:136], v194 offset:1328
	v_add_f64 v[145:146], v[145:146], v[163:164]
	v_add_f64 v[137:138], v[137:138], v[159:160]
	s_waitcnt vmcnt(58) lgkmcnt(1)
	v_mul_f64 v[163:164], v[3:4], v[175:176]
	s_waitcnt vmcnt(56)
	v_fma_f64 v[171:172], v[5:6], v[177:178], -v[171:172]
	v_mul_f64 v[159:160], v[1:2], v[175:176]
	v_add_f64 v[145:146], v[145:146], v[167:168]
	v_fma_f64 v[167:168], v[7:8], v[177:178], v[216:217]
	v_add_f64 v[137:138], v[137:138], v[153:154]
	s_clause 0x4
	buffer_load_dword v154, off, s[0:3], 0 offset:588
	buffer_load_dword v175, off, s[0:3], 0 offset:600
	;; [unrolled: 1-line block ×5, first 2 shown]
	s_waitcnt vmcnt(57) lgkmcnt(0)
	v_mul_f64 v[216:217], v[133:134], v[179:180]
	v_mul_f64 v[178:179], v[135:136], v[179:180]
	s_waitcnt vmcnt(56)
	v_fma_f64 v[163:164], v[1:2], v[165:166], -v[163:164]
	ds_read_b128 v[5:8], v194 offset:1344
	v_fma_f64 v[159:160], v[3:4], v[165:166], v[159:160]
	s_clause 0x2
	buffer_load_dword v176, off, s[0:3], 0 offset:604
	buffer_load_dword v166, off, s[0:3], 0 offset:580
	buffer_load_dword v165, off, s[0:3], 0 offset:576
	ds_read_b128 v[1:4], v194 offset:1360
	v_add_f64 v[145:146], v[145:146], v[171:172]
	v_add_f64 v[137:138], v[137:138], v[167:168]
	s_waitcnt vmcnt(58) lgkmcnt(1)
	v_mul_f64 v[171:172], v[7:8], v[183:184]
	s_waitcnt vmcnt(56)
	v_fma_f64 v[179:180], v[133:134], v[185:186], -v[178:179]
	v_mul_f64 v[167:168], v[5:6], v[183:184]
	v_add_f64 v[145:146], v[145:146], v[163:164]
	v_fma_f64 v[163:164], v[135:136], v[185:186], v[216:217]
	v_add_f64 v[137:138], v[137:138], v[159:160]
	s_clause 0x4
	buffer_load_dword v160, off, s[0:3], 0 offset:620
	buffer_load_dword v183, off, s[0:3], 0 offset:632
	;; [unrolled: 1-line block ×5, first 2 shown]
	s_waitcnt vmcnt(57) lgkmcnt(0)
	v_mul_f64 v[216:217], v[1:2], v[187:188]
	v_mul_f64 v[186:187], v[3:4], v[187:188]
	s_waitcnt vmcnt(56)
	v_fma_f64 v[171:172], v[5:6], v[173:174], -v[171:172]
	ds_read_b128 v[133:136], v194 offset:1376
	v_fma_f64 v[167:168], v[7:8], v[173:174], v[167:168]
	v_add_f64 v[145:146], v[145:146], v[179:180]
	v_add_f64 v[137:138], v[137:138], v[163:164]
	s_clause 0x2
	buffer_load_dword v184, off, s[0:3], 0 offset:636
	buffer_load_dword v164, off, s[0:3], 0 offset:612
	;; [unrolled: 1-line block ×3, first 2 shown]
	ds_read_b128 v[5:8], v194 offset:1392
	s_waitcnt vmcnt(58) lgkmcnt(1)
	v_mul_f64 v[179:180], v[135:136], v[189:190]
	s_waitcnt vmcnt(56)
	v_fma_f64 v[187:188], v[1:2], v[191:192], -v[186:187]
	v_mul_f64 v[173:174], v[133:134], v[189:190]
	v_add_f64 v[145:146], v[145:146], v[171:172]
	v_fma_f64 v[171:172], v[3:4], v[191:192], v[216:217]
	v_add_f64 v[137:138], v[137:138], v[167:168]
	s_clause 0x4
	buffer_load_dword v168, off, s[0:3], 0 offset:652
	buffer_load_dword v189, off, s[0:3], 0 offset:664
	;; [unrolled: 1-line block ×5, first 2 shown]
	s_waitcnt vmcnt(57) lgkmcnt(0)
	v_mul_f64 v[216:217], v[5:6], v[201:202]
	v_mul_f64 v[201:202], v[7:8], v[201:202]
	s_waitcnt vmcnt(56)
	v_fma_f64 v[179:180], v[133:134], v[181:182], -v[179:180]
	ds_read_b128 v[1:4], v194 offset:1408
	v_fma_f64 v[173:174], v[135:136], v[181:182], v[173:174]
	v_add_f64 v[145:146], v[145:146], v[187:188]
	v_add_f64 v[137:138], v[137:138], v[171:172]
	s_clause 0x2
	buffer_load_dword v190, off, s[0:3], 0 offset:668
	buffer_load_dword v172, off, s[0:3], 0 offset:644
	;; [unrolled: 1-line block ×3, first 2 shown]
	ds_read_b128 v[133:136], v194 offset:1424
	s_waitcnt vmcnt(58) lgkmcnt(1)
	v_mul_f64 v[187:188], v[3:4], v[203:204]
	v_mul_f64 v[181:182], v[1:2], v[203:204]
	s_waitcnt vmcnt(56)
	v_fma_f64 v[201:202], v[5:6], v[141:142], -v[201:202]
	v_fma_f64 v[141:142], v[7:8], v[141:142], v[216:217]
	v_add_f64 v[145:146], v[145:146], v[179:180]
	v_add_f64 v[137:138], v[137:138], v[173:174]
	s_clause 0x4
	buffer_load_dword v174, off, s[0:3], 0 offset:684
	buffer_load_dword v179, off, s[0:3], 0 offset:696
	;; [unrolled: 1-line block ×5, first 2 shown]
	ds_read_b128 v[5:8], v194 offset:1440
	s_waitcnt vmcnt(57) lgkmcnt(1)
	v_mul_f64 v[216:217], v[133:134], v[139:140]
	v_mul_f64 v[139:140], v[135:136], v[139:140]
	s_waitcnt vmcnt(56)
	v_fma_f64 v[187:188], v[1:2], v[205:206], -v[187:188]
	v_fma_f64 v[181:182], v[3:4], v[205:206], v[181:182]
	v_add_f64 v[145:146], v[145:146], v[201:202]
	v_add_f64 v[137:138], v[137:138], v[141:142]
	s_clause 0x2
	buffer_load_dword v180, off, s[0:3], 0 offset:700
	buffer_load_dword v142, off, s[0:3], 0 offset:676
	buffer_load_dword v141, off, s[0:3], 0 offset:672
	s_waitcnt vmcnt(58) lgkmcnt(0)
	v_mul_f64 v[205:206], v[7:8], v[207:208]
	ds_read_b128 v[1:4], v194 offset:1456
	v_mul_f64 v[201:202], v[5:6], v[207:208]
	s_waitcnt vmcnt(56)
	v_fma_f64 v[139:140], v[133:134], v[197:198], -v[139:140]
	v_add_f64 v[145:146], v[145:146], v[187:188]
	v_fma_f64 v[187:188], v[135:136], v[197:198], v[216:217]
	v_add_f64 v[137:138], v[137:138], v[181:182]
	s_clause 0x4
	buffer_load_dword v182, off, s[0:3], 0 offset:716
	buffer_load_dword v197, off, s[0:3], 0 offset:728
	;; [unrolled: 1-line block ×5, first 2 shown]
	ds_read_b128 v[133:136], v194 offset:1472
	s_waitcnt vmcnt(57) lgkmcnt(1)
	v_mul_f64 v[216:217], v[1:2], v[157:158]
	v_mul_f64 v[157:158], v[3:4], v[157:158]
	s_waitcnt vmcnt(56)
	v_fma_f64 v[205:206], v[5:6], v[212:213], -v[205:206]
	v_add_f64 v[139:140], v[145:146], v[139:140]
	v_fma_f64 v[145:146], v[7:8], v[212:213], v[201:202]
	v_add_f64 v[137:138], v[137:138], v[187:188]
	s_clause 0x2
	buffer_load_dword v198, off, s[0:3], 0 offset:732
	buffer_load_dword v188, off, s[0:3], 0 offset:708
	;; [unrolled: 1-line block ×3, first 2 shown]
	ds_read_b128 v[5:8], v194 offset:1488
	s_waitcnt vmcnt(58) lgkmcnt(1)
	v_mul_f64 v[201:202], v[133:134], v[199:200]
	v_mul_f64 v[199:200], v[135:136], v[199:200]
	s_waitcnt vmcnt(56)
	v_fma_f64 v[157:158], v[1:2], v[151:152], -v[157:158]
	v_fma_f64 v[151:152], v[3:4], v[151:152], v[216:217]
	v_add_f64 v[139:140], v[139:140], v[205:206]
	v_add_f64 v[137:138], v[137:138], v[145:146]
	s_clause 0x4
	buffer_load_dword v146, off, s[0:3], 0 offset:748
	buffer_load_dword v205, off, s[0:3], 0 offset:760
	;; [unrolled: 1-line block ×5, first 2 shown]
	ds_read_b128 v[1:4], v194 offset:1504
	s_waitcnt vmcnt(57) lgkmcnt(1)
	v_mul_f64 v[212:213], v[5:6], v[143:144]
	v_mul_f64 v[143:144], v[7:8], v[143:144]
	s_waitcnt vmcnt(56)
	v_fma_f64 v[199:200], v[133:134], v[214:215], -v[199:200]
	v_add_f64 v[139:140], v[139:140], v[157:158]
	v_fma_f64 v[157:158], v[135:136], v[214:215], v[201:202]
	v_add_f64 v[137:138], v[137:138], v[151:152]
	s_clause 0x2
	buffer_load_dword v206, off, s[0:3], 0 offset:764
	buffer_load_dword v152, off, s[0:3], 0 offset:740
	;; [unrolled: 1-line block ×3, first 2 shown]
	ds_read_b128 v[133:136], v194 offset:1520
	s_waitcnt vmcnt(58) lgkmcnt(1)
	v_mul_f64 v[201:202], v[1:2], v[161:162]
	v_mul_f64 v[161:162], v[3:4], v[161:162]
	s_waitcnt vmcnt(56)
	v_fma_f64 v[143:144], v[5:6], v[149:150], -v[143:144]
	v_fma_f64 v[149:150], v[7:8], v[149:150], v[212:213]
	v_add_f64 v[139:140], v[139:140], v[199:200]
	v_add_f64 v[137:138], v[137:138], v[157:158]
	s_clause 0x4
	buffer_load_dword v158, off, s[0:3], 0 offset:780
	buffer_load_dword v199, off, s[0:3], 0 offset:792
	buffer_load_dword v213, off, s[0:3], 0 offset:784
	buffer_load_dword v157, off, s[0:3], 0 offset:776
	buffer_load_dword v212, off, s[0:3], 0 offset:756
	ds_read_b128 v[5:8], v194 offset:1536
	s_waitcnt vmcnt(57) lgkmcnt(1)
	v_mul_f64 v[214:215], v[133:134], v[147:148]
	v_mul_f64 v[147:148], v[135:136], v[147:148]
	s_waitcnt vmcnt(56)
	v_fma_f64 v[161:162], v[1:2], v[209:210], -v[161:162]
	v_add_f64 v[139:140], v[139:140], v[143:144]
	v_fma_f64 v[143:144], v[3:4], v[209:210], v[201:202]
	v_add_f64 v[137:138], v[137:138], v[149:150]
	s_clause 0x2
	buffer_load_dword v200, off, s[0:3], 0 offset:796
	buffer_load_dword v150, off, s[0:3], 0 offset:772
	;; [unrolled: 1-line block ×3, first 2 shown]
	s_waitcnt vmcnt(58) lgkmcnt(0)
	v_mul_f64 v[201:202], v[5:6], v[169:170]
	v_mul_f64 v[169:170], v[7:8], v[169:170]
	ds_read_b128 v[1:4], v194 offset:1552
	s_waitcnt vmcnt(56)
	v_fma_f64 v[147:148], v[133:134], v[155:156], -v[147:148]
	v_fma_f64 v[155:156], v[135:136], v[155:156], v[214:215]
	v_add_f64 v[139:140], v[139:140], v[161:162]
	v_add_f64 v[137:138], v[137:138], v[143:144]
	s_clause 0x4
	buffer_load_dword v144, off, s[0:3], 0 offset:812
	buffer_load_dword v161, off, s[0:3], 0 offset:824
	;; [unrolled: 1-line block ×5, first 2 shown]
	ds_read_b128 v[133:136], v194 offset:1568
	s_waitcnt vmcnt(57) lgkmcnt(1)
	v_mul_f64 v[215:216], v[1:2], v[153:154]
	v_mul_f64 v[153:154], v[3:4], v[153:154]
	s_waitcnt vmcnt(56)
	v_fma_f64 v[169:170], v[5:6], v[195:196], -v[169:170]
	v_add_f64 v[139:140], v[139:140], v[147:148]
	v_fma_f64 v[147:148], v[7:8], v[195:196], v[201:202]
	v_add_f64 v[137:138], v[137:138], v[155:156]
	s_clause 0x2
	buffer_load_dword v162, off, s[0:3], 0 offset:828
	buffer_load_dword v156, off, s[0:3], 0 offset:804
	buffer_load_dword v155, off, s[0:3], 0 offset:800
	s_waitcnt vmcnt(58) lgkmcnt(0)
	v_mul_f64 v[195:196], v[133:134], v[175:176]
	v_mul_f64 v[175:176], v[135:136], v[175:176]
	ds_read_b128 v[5:8], v194 offset:1584
	s_waitcnt vmcnt(56)
	v_fma_f64 v[153:154], v[1:2], v[165:166], -v[153:154]
	v_fma_f64 v[165:166], v[3:4], v[165:166], v[215:216]
	v_add_f64 v[139:140], v[139:140], v[169:170]
	v_add_f64 v[137:138], v[137:138], v[147:148]
	s_clause 0x4
	buffer_load_dword v148, off, s[0:3], 0 offset:844
	buffer_load_dword v169, off, s[0:3], 0 offset:856
	buffer_load_dword v201, off, s[0:3], 0 offset:848
	buffer_load_dword v147, off, s[0:3], 0 offset:840
	buffer_load_dword v210, off, s[0:3], 0 offset:820
	ds_read_b128 v[1:4], v194 offset:1600
	s_waitcnt vmcnt(57) lgkmcnt(1)
	v_mul_f64 v[215:216], v[5:6], v[159:160]
	v_mul_f64 v[159:160], v[7:8], v[159:160]
	s_waitcnt vmcnt(56)
	v_fma_f64 v[175:176], v[133:134], v[177:178], -v[175:176]
	v_add_f64 v[139:140], v[139:140], v[153:154]
	v_fma_f64 v[153:154], v[135:136], v[177:178], v[195:196]
	v_add_f64 v[137:138], v[137:138], v[165:166]
	s_clause 0x2
	buffer_load_dword v170, off, s[0:3], 0 offset:860
	buffer_load_dword v166, off, s[0:3], 0 offset:836
	buffer_load_dword v165, off, s[0:3], 0 offset:832
	ds_read_b128 v[133:136], v194 offset:1616
	s_waitcnt vmcnt(58) lgkmcnt(1)
	v_mul_f64 v[177:178], v[1:2], v[183:184]
	v_mul_f64 v[183:184], v[3:4], v[183:184]
	s_waitcnt vmcnt(56)
	v_fma_f64 v[159:160], v[5:6], v[163:164], -v[159:160]
	v_fma_f64 v[163:164], v[7:8], v[163:164], v[215:216]
	v_add_f64 v[139:140], v[139:140], v[175:176]
	v_add_f64 v[137:138], v[137:138], v[153:154]
	s_clause 0x4
	buffer_load_dword v154, off, s[0:3], 0 offset:876
	buffer_load_dword v175, off, s[0:3], 0 offset:888
	buffer_load_dword v195, off, s[0:3], 0 offset:880
	buffer_load_dword v153, off, s[0:3], 0 offset:872
	buffer_load_dword v202, off, s[0:3], 0 offset:852
	ds_read_b128 v[5:8], v194 offset:1632
	s_waitcnt vmcnt(57) lgkmcnt(1)
	v_mul_f64 v[215:216], v[133:134], v[167:168]
	v_mul_f64 v[167:168], v[135:136], v[167:168]
	s_waitcnt vmcnt(56)
	v_fma_f64 v[183:184], v[1:2], v[185:186], -v[183:184]
	v_add_f64 v[139:140], v[139:140], v[159:160]
	v_fma_f64 v[159:160], v[3:4], v[185:186], v[177:178]
	v_add_f64 v[137:138], v[137:138], v[163:164]
	s_clause 0x2
	buffer_load_dword v176, off, s[0:3], 0 offset:892
	buffer_load_dword v164, off, s[0:3], 0 offset:868
	buffer_load_dword v163, off, s[0:3], 0 offset:864
	ds_read_b128 v[1:4], v194 offset:1648
	s_waitcnt vmcnt(58) lgkmcnt(1)
	v_mul_f64 v[185:186], v[7:8], v[189:190]
	v_mul_f64 v[177:178], v[5:6], v[189:190]
	;; [unrolled: 28-line block ×4, first 2 shown]
	s_waitcnt vmcnt(56)
	v_fma_f64 v[181:182], v[5:6], v[187:188], -v[181:182]
	v_add_f64 v[139:140], v[139:140], v[179:180]
	v_fma_f64 v[179:180], v[7:8], v[187:188], v[215:216]
	v_add_f64 v[137:138], v[137:138], v[173:174]
	s_clause 0x4
	buffer_load_dword v174, off, s[0:3], 0 offset:972
	buffer_load_dword v187, off, s[0:3], 0 offset:984
	;; [unrolled: 1-line block ×5, first 2 shown]
	ds_read_b128 v[5:8], v194 offset:1728
	s_waitcnt vmcnt(57) lgkmcnt(1)
	v_mul_f64 v[215:216], v[133:134], v[145:146]
	v_mul_f64 v[145:146], v[135:136], v[145:146]
	s_waitcnt vmcnt(56)
	v_fma_f64 v[197:198], v[1:2], v[207:208], -v[197:198]
	v_fma_f64 v[177:178], v[3:4], v[207:208], v[177:178]
	v_add_f64 v[139:140], v[139:140], v[181:182]
	v_add_f64 v[137:138], v[137:138], v[179:180]
	s_clause 0x2
	buffer_load_dword v188, off, s[0:3], 0 offset:988
	buffer_load_dword v180, off, s[0:3], 0 offset:964
	;; [unrolled: 1-line block ×3, first 2 shown]
	ds_read_b128 v[1:4], v194 offset:1744
	s_waitcnt vmcnt(58) lgkmcnt(1)
	v_mul_f64 v[181:182], v[5:6], v[205:206]
	v_mul_f64 v[205:206], v[7:8], v[205:206]
	s_waitcnt vmcnt(56)
	v_fma_f64 v[145:146], v[133:134], v[151:152], -v[145:146]
	v_fma_f64 v[151:152], v[135:136], v[151:152], v[215:216]
	v_add_f64 v[139:140], v[139:140], v[197:198]
	v_add_f64 v[137:138], v[137:138], v[177:178]
	s_clause 0x2
	buffer_load_dword v178, off, s[0:3], 0 offset:1004
	buffer_load_dword v177, off, s[0:3], 0 offset:1000
	;; [unrolled: 1-line block ×3, first 2 shown]
	ds_read_b128 v[133:136], v194 offset:1760
	s_waitcnt vmcnt(55) lgkmcnt(1)
	v_mul_f64 v[197:198], v[1:2], v[157:158]
	v_mul_f64 v[157:158], v[3:4], v[157:158]
	s_waitcnt vmcnt(54)
	v_fma_f64 v[205:206], v[5:6], v[211:212], -v[205:206]
	v_add_f64 v[139:140], v[139:140], v[145:146]
	v_fma_f64 v[145:146], v[7:8], v[211:212], v[181:182]
	v_add_f64 v[137:138], v[137:138], v[151:152]
	s_clause 0x1
	buffer_load_dword v152, off, s[0:3], 0 offset:996
	buffer_load_dword v151, off, s[0:3], 0 offset:992
	ds_read_b128 v[5:8], v194 offset:1776
	s_waitcnt vmcnt(55) lgkmcnt(1)
	v_mul_f64 v[181:182], v[133:134], v[199:200]
	v_mul_f64 v[199:200], v[135:136], v[199:200]
	s_waitcnt vmcnt(53)
	v_fma_f64 v[157:158], v[1:2], v[149:150], -v[157:158]
	v_fma_f64 v[149:150], v[3:4], v[149:150], v[197:198]
	ds_read_b128 v[1:4], v194 offset:1792
	v_add_f64 v[139:140], v[139:140], v[205:206]
	v_add_f64 v[137:138], v[137:138], v[145:146]
	s_waitcnt vmcnt(49) lgkmcnt(1)
	v_mul_f64 v[145:146], v[5:6], v[143:144]
	v_mul_f64 v[143:144], v[7:8], v[143:144]
	s_waitcnt vmcnt(48)
	v_fma_f64 v[197:198], v[133:134], v[213:214], -v[199:200]
	v_add_f64 v[139:140], v[139:140], v[157:158]
	v_fma_f64 v[157:158], v[135:136], v[213:214], v[181:182]
	v_add_f64 v[137:138], v[137:138], v[149:150]
	s_clause 0x3
	buffer_load_dword v149, off, s[0:3], 0 offset:160
	buffer_load_dword v150, off, s[0:3], 0 offset:164
	;; [unrolled: 1-line block ×4, first 2 shown]
	ds_read_b128 v[133:136], v194 offset:1808
	s_waitcnt vmcnt(51) lgkmcnt(1)
	v_mul_f64 v[199:200], v[1:2], v[161:162]
	v_mul_f64 v[161:162], v[3:4], v[161:162]
	s_waitcnt vmcnt(49)
	v_fma_f64 v[143:144], v[5:6], v[155:156], -v[143:144]
	v_fma_f64 v[145:146], v[7:8], v[155:156], v[145:146]
	ds_read_b128 v[5:8], v194 offset:1824
	v_add_f64 v[139:140], v[139:140], v[197:198]
	v_add_f64 v[137:138], v[137:138], v[157:158]
	s_waitcnt vmcnt(45) lgkmcnt(1)
	v_mul_f64 v[155:156], v[133:134], v[147:148]
	v_mul_f64 v[147:148], v[135:136], v[147:148]
	s_waitcnt vmcnt(44)
	v_fma_f64 v[157:158], v[1:2], v[209:210], -v[161:162]
	v_add_f64 v[139:140], v[139:140], v[143:144]
	v_fma_f64 v[143:144], v[3:4], v[209:210], v[199:200]
	v_add_f64 v[137:138], v[137:138], v[145:146]
	ds_read_b128 v[1:4], v194 offset:1840
	s_waitcnt vmcnt(43) lgkmcnt(1)
	v_mul_f64 v[161:162], v[7:8], v[169:170]
	v_mul_f64 v[145:146], v[5:6], v[169:170]
	s_waitcnt vmcnt(41)
	v_fma_f64 v[147:148], v[133:134], v[165:166], -v[147:148]
	v_fma_f64 v[155:156], v[135:136], v[165:166], v[155:156]
	ds_read_b128 v[133:136], v194 offset:1856
	v_add_f64 v[139:140], v[139:140], v[157:158]
	v_add_f64 v[137:138], v[137:138], v[143:144]
	s_waitcnt vmcnt(37) lgkmcnt(1)
	v_mul_f64 v[143:144], v[1:2], v[153:154]
	v_mul_f64 v[153:154], v[3:4], v[153:154]
	s_waitcnt vmcnt(36)
	v_fma_f64 v[157:158], v[5:6], v[201:202], -v[161:162]
	v_fma_f64 v[145:146], v[7:8], v[201:202], v[145:146]
	ds_read_b128 v[5:8], v194 offset:1872
	v_add_f64 v[139:140], v[139:140], v[147:148]
	v_add_f64 v[137:138], v[137:138], v[155:156]
	;; [unrolled: 9-line block ×3, first 2 shown]
	s_waitcnt vmcnt(29) lgkmcnt(1)
	v_mul_f64 v[157:158], v[7:8], v[159:160]
	s_waitcnt vmcnt(28)
	v_fma_f64 v[155:156], v[133:134], v[195:196], -v[155:156]
	v_mul_f64 v[145:146], v[5:6], v[159:160]
	v_fma_f64 v[147:148], v[135:136], v[195:196], v[147:148]
	ds_read_b128 v[133:136], v194 offset:1904
	v_add_f64 v[139:140], v[139:140], v[153:154]
	v_add_f64 v[137:138], v[137:138], v[143:144]
	s_waitcnt vmcnt(27) lgkmcnt(1)
	v_mul_f64 v[153:154], v[3:4], v[183:184]
	v_mul_f64 v[143:144], v[1:2], v[183:184]
	s_waitcnt vmcnt(25)
	v_fma_f64 v[157:158], v[5:6], v[171:172], -v[157:158]
	v_fma_f64 v[145:146], v[7:8], v[171:172], v[145:146]
	ds_read_b128 v[5:8], v194 offset:1920
	v_add_f64 v[139:140], v[139:140], v[155:156]
	v_add_f64 v[137:138], v[137:138], v[147:148]
	s_waitcnt vmcnt(21) lgkmcnt(1)
	v_mul_f64 v[155:156], v[135:136], v[167:168]
	s_waitcnt vmcnt(20)
	v_fma_f64 v[153:154], v[1:2], v[189:190], -v[153:154]
	v_mul_f64 v[147:148], v[133:134], v[167:168]
	v_fma_f64 v[143:144], v[3:4], v[189:190], v[143:144]
	ds_read_b128 v[1:4], v194 offset:1936
	v_add_f64 v[139:140], v[139:140], v[157:158]
	v_add_f64 v[137:138], v[137:138], v[145:146]
	s_waitcnt vmcnt(19) lgkmcnt(1)
	v_mul_f64 v[157:158], v[7:8], v[185:186]
	v_mul_f64 v[145:146], v[5:6], v[185:186]
	s_waitcnt vmcnt(17)
	v_fma_f64 v[155:156], v[133:134], v[141:142], -v[155:156]
	v_fma_f64 v[141:142], v[135:136], v[141:142], v[147:148]
	ds_read_b128 v[133:136], v194 offset:1952
	v_add_f64 v[139:140], v[139:140], v[153:154]
	v_add_f64 v[137:138], v[137:138], v[143:144]
	s_waitcnt vmcnt(13) lgkmcnt(1)
	v_mul_f64 v[147:148], v[3:4], v[173:174]
	s_waitcnt vmcnt(12)
	v_fma_f64 v[153:154], v[5:6], v[191:192], -v[157:158]
	v_mul_f64 v[143:144], v[1:2], v[173:174]
	v_fma_f64 v[145:146], v[7:8], v[191:192], v[145:146]
	ds_read_b128 v[5:8], v194 offset:1968
	v_add_f64 v[139:140], v[139:140], v[155:156]
	v_add_f64 v[137:138], v[137:138], v[141:142]
	s_waitcnt vmcnt(11) lgkmcnt(1)
	v_mul_f64 v[155:156], v[135:136], v[187:188]
	v_mul_f64 v[141:142], v[133:134], v[187:188]
	s_waitcnt vmcnt(9)
	v_fma_f64 v[1:2], v[1:2], v[179:180], -v[147:148]
	v_fma_f64 v[3:4], v[3:4], v[179:180], v[143:144]
	v_add_f64 v[139:140], v[139:140], v[153:154]
	v_add_f64 v[137:138], v[137:138], v[145:146]
	s_waitcnt vmcnt(7) lgkmcnt(0)
	v_mul_f64 v[145:146], v[7:8], v[177:178]
	s_waitcnt vmcnt(6)
	v_fma_f64 v[133:134], v[133:134], v[203:204], -v[155:156]
	v_mul_f64 v[143:144], v[5:6], v[177:178]
	v_fma_f64 v[135:136], v[135:136], v[203:204], v[141:142]
	v_add_f64 v[1:2], v[139:140], v[1:2]
	v_add_f64 v[3:4], v[137:138], v[3:4]
	s_waitcnt vmcnt(4)
	v_fma_f64 v[5:6], v[5:6], v[151:152], -v[145:146]
	v_fma_f64 v[7:8], v[7:8], v[151:152], v[143:144]
	v_add_f64 v[1:2], v[1:2], v[133:134]
	v_add_f64 v[3:4], v[3:4], v[135:136]
	;; [unrolled: 1-line block ×4, first 2 shown]
	s_waitcnt vmcnt(2)
	v_add_f64 v[1:2], v[149:150], -v[1:2]
	s_waitcnt vmcnt(0)
	v_add_f64 v[3:4], v[181:182], -v[3:4]
	buffer_store_dword v2, off, s[0:3], 0 offset:164
	buffer_store_dword v1, off, s[0:3], 0 offset:160
	;; [unrolled: 1-line block ×4, first 2 shown]
	v_cmpx_lt_u32_e32 8, v0
	s_cbranch_execz .LBB125_381
; %bb.380:
	v_mov_b32_e32 v4, s68
	v_mov_b32_e32 v5, 0
	s_clause 0x3
	buffer_load_dword v1, v4, s[0:3], 0 offen
	buffer_load_dword v2, v4, s[0:3], 0 offen offset:4
	buffer_load_dword v3, v4, s[0:3], 0 offen offset:8
	;; [unrolled: 1-line block ×3, first 2 shown]
	buffer_store_dword v5, off, s[0:3], 0 offset:144
	buffer_store_dword v5, off, s[0:3], 0 offset:148
	buffer_store_dword v5, off, s[0:3], 0 offset:152
	buffer_store_dword v5, off, s[0:3], 0 offset:156
	s_waitcnt vmcnt(0)
	ds_write_b128 v193, v[1:4]
.LBB125_381:
	s_or_b32 exec_lo, exec_lo, s4
	s_waitcnt lgkmcnt(0)
	s_waitcnt_vscnt null, 0x0
	s_barrier
	buffer_gl0_inv
	s_clause 0x37
	buffer_load_dword v141, off, s[0:3], 0 offset:168
	buffer_load_dword v142, off, s[0:3], 0 offset:172
	buffer_load_dword v137, off, s[0:3], 0 offset:184
	buffer_load_dword v138, off, s[0:3], 0 offset:188
	buffer_load_dword v139, off, s[0:3], 0 offset:160
	buffer_load_dword v140, off, s[0:3], 0 offset:164
	buffer_load_dword v135, off, s[0:3], 0 offset:200
	buffer_load_dword v136, off, s[0:3], 0 offset:204
	buffer_load_dword v133, off, s[0:3], 0 offset:176
	buffer_load_dword v134, off, s[0:3], 0 offset:180
	buffer_load_dword v146, off, s[0:3], 0 offset:220
	buffer_load_dword v149, off, s[0:3], 0 offset:232
	buffer_load_dword v143, off, s[0:3], 0 offset:224
	buffer_load_dword v145, off, s[0:3], 0 offset:216
	buffer_load_dword v157, off, s[0:3], 0 offset:192
	buffer_load_dword v158, off, s[0:3], 0 offset:196
	buffer_load_dword v150, off, s[0:3], 0 offset:236
	buffer_load_dword v152, off, s[0:3], 0 offset:212
	buffer_load_dword v151, off, s[0:3], 0 offset:208
	buffer_load_dword v154, off, s[0:3], 0 offset:252
	buffer_load_dword v159, off, s[0:3], 0 offset:264
	buffer_load_dword v147, off, s[0:3], 0 offset:256
	buffer_load_dword v153, off, s[0:3], 0 offset:248
	buffer_load_dword v144, off, s[0:3], 0 offset:228
	buffer_load_dword v160, off, s[0:3], 0 offset:268
	buffer_load_dword v162, off, s[0:3], 0 offset:244
	buffer_load_dword v161, off, s[0:3], 0 offset:240
	buffer_load_dword v164, off, s[0:3], 0 offset:284
	buffer_load_dword v167, off, s[0:3], 0 offset:296
	buffer_load_dword v155, off, s[0:3], 0 offset:288
	buffer_load_dword v163, off, s[0:3], 0 offset:280
	buffer_load_dword v148, off, s[0:3], 0 offset:260
	buffer_load_dword v168, off, s[0:3], 0 offset:300
	buffer_load_dword v170, off, s[0:3], 0 offset:276
	buffer_load_dword v169, off, s[0:3], 0 offset:272
	buffer_load_dword v172, off, s[0:3], 0 offset:316
	buffer_load_dword v175, off, s[0:3], 0 offset:328
	buffer_load_dword v165, off, s[0:3], 0 offset:320
	buffer_load_dword v171, off, s[0:3], 0 offset:312
	buffer_load_dword v156, off, s[0:3], 0 offset:292
	buffer_load_dword v176, off, s[0:3], 0 offset:332
	buffer_load_dword v178, off, s[0:3], 0 offset:308
	buffer_load_dword v177, off, s[0:3], 0 offset:304
	buffer_load_dword v180, off, s[0:3], 0 offset:348
	buffer_load_dword v183, off, s[0:3], 0 offset:360
	buffer_load_dword v173, off, s[0:3], 0 offset:352
	buffer_load_dword v179, off, s[0:3], 0 offset:344
	buffer_load_dword v166, off, s[0:3], 0 offset:324
	buffer_load_dword v184, off, s[0:3], 0 offset:364
	buffer_load_dword v186, off, s[0:3], 0 offset:340
	buffer_load_dword v185, off, s[0:3], 0 offset:336
	buffer_load_dword v188, off, s[0:3], 0 offset:380
	buffer_load_dword v189, off, s[0:3], 0 offset:392
	buffer_load_dword v181, off, s[0:3], 0 offset:384
	buffer_load_dword v187, off, s[0:3], 0 offset:376
	buffer_load_dword v174, off, s[0:3], 0 offset:356
	v_mov_b32_e32 v194, 0
	s_mov_b32 s4, exec_lo
	ds_read_b128 v[5:8], v194 offset:1136
	s_clause 0x2
	buffer_load_dword v190, off, s[0:3], 0 offset:396
	buffer_load_dword v192, off, s[0:3], 0 offset:372
	;; [unrolled: 1-line block ×3, first 2 shown]
	ds_read_b128 v[1:4], v194 offset:1152
	s_clause 0x4
	buffer_load_dword v202, off, s[0:3], 0 offset:412
	buffer_load_dword v203, off, s[0:3], 0 offset:424
	;; [unrolled: 1-line block ×5, first 2 shown]
	ds_read_b128 v[195:198], v194 offset:1168
	s_waitcnt vmcnt(62) lgkmcnt(2)
	v_mul_f64 v[199:200], v[7:8], v[141:142]
	v_mul_f64 v[141:142], v[5:6], v[141:142]
	s_waitcnt vmcnt(60) lgkmcnt(1)
	v_mul_f64 v[206:207], v[3:4], v[137:138]
	v_mul_f64 v[137:138], v[1:2], v[137:138]
	;; [unrolled: 3-line block ×3, first 2 shown]
	v_fma_f64 v[199:200], v[5:6], v[139:140], -v[199:200]
	v_fma_f64 v[139:140], v[7:8], v[139:140], v[141:142]
	s_clause 0x2
	buffer_load_dword v204, off, s[0:3], 0 offset:428
	buffer_load_dword v142, off, s[0:3], 0 offset:404
	;; [unrolled: 1-line block ×3, first 2 shown]
	s_waitcnt vmcnt(57)
	v_fma_f64 v[210:211], v[1:2], v[133:134], -v[206:207]
	ds_read_b128 v[5:8], v194 offset:1184
	v_fma_f64 v[133:134], v[3:4], v[133:134], v[137:138]
	s_waitcnt vmcnt(51)
	v_fma_f64 v[195:196], v[195:196], v[157:158], -v[135:136]
	v_fma_f64 v[157:158], v[197:198], v[157:158], v[208:209]
	v_add_f64 v[199:200], v[199:200], 0
	v_add_f64 v[137:138], v[139:140], 0
	s_clause 0x4
	buffer_load_dword v140, off, s[0:3], 0 offset:444
	buffer_load_dword v207, off, s[0:3], 0 offset:456
	;; [unrolled: 1-line block ×5, first 2 shown]
	s_waitcnt lgkmcnt(0)
	v_mul_f64 v[213:214], v[5:6], v[145:146]
	v_mul_f64 v[145:146], v[7:8], v[145:146]
	ds_read_b128 v[1:4], v194 offset:1200
	s_clause 0x2
	buffer_load_dword v208, off, s[0:3], 0 offset:460
	buffer_load_dword v198, off, s[0:3], 0 offset:436
	buffer_load_dword v197, off, s[0:3], 0 offset:432
	v_add_f64 v[199:200], v[199:200], v[210:211]
	v_add_f64 v[137:138], v[137:138], v[133:134]
	ds_read_b128 v[133:136], v194 offset:1216
	s_waitcnt vmcnt(58) lgkmcnt(1)
	v_mul_f64 v[209:210], v[1:2], v[149:150]
	v_mul_f64 v[149:150], v[3:4], v[149:150]
	s_waitcnt vmcnt(56)
	v_fma_f64 v[145:146], v[5:6], v[151:152], -v[145:146]
	v_fma_f64 v[151:152], v[7:8], v[151:152], v[213:214]
	s_waitcnt vmcnt(52) lgkmcnt(0)
	v_mul_f64 v[215:216], v[133:134], v[153:154]
	v_add_f64 v[195:196], v[199:200], v[195:196]
	v_add_f64 v[137:138], v[137:138], v[157:158]
	s_clause 0x4
	buffer_load_dword v158, off, s[0:3], 0 offset:476
	buffer_load_dword v199, off, s[0:3], 0 offset:488
	;; [unrolled: 1-line block ×5, first 2 shown]
	v_mul_f64 v[153:154], v[135:136], v[153:154]
	s_waitcnt vmcnt(56)
	v_fma_f64 v[149:150], v[1:2], v[143:144], -v[149:150]
	ds_read_b128 v[5:8], v194 offset:1232
	v_fma_f64 v[143:144], v[3:4], v[143:144], v[209:210]
	v_add_f64 v[145:146], v[195:196], v[145:146]
	v_add_f64 v[137:138], v[137:138], v[151:152]
	s_clause 0x2
	buffer_load_dword v200, off, s[0:3], 0 offset:492
	buffer_load_dword v152, off, s[0:3], 0 offset:468
	buffer_load_dword v151, off, s[0:3], 0 offset:464
	s_waitcnt vmcnt(58) lgkmcnt(0)
	v_mul_f64 v[195:196], v[5:6], v[159:160]
	v_mul_f64 v[159:160], v[7:8], v[159:160]
	s_waitcnt vmcnt(56)
	v_fma_f64 v[153:154], v[133:134], v[161:162], -v[153:154]
	ds_read_b128 v[1:4], v194 offset:1248
	v_add_f64 v[145:146], v[145:146], v[149:150]
	v_fma_f64 v[149:150], v[135:136], v[161:162], v[215:216]
	v_add_f64 v[137:138], v[137:138], v[143:144]
	s_clause 0x4
	buffer_load_dword v144, off, s[0:3], 0 offset:508
	buffer_load_dword v161, off, s[0:3], 0 offset:520
	;; [unrolled: 1-line block ×5, first 2 shown]
	s_waitcnt vmcnt(57) lgkmcnt(0)
	v_mul_f64 v[210:211], v[1:2], v[163:164]
	v_mul_f64 v[163:164], v[3:4], v[163:164]
	s_waitcnt vmcnt(56)
	v_fma_f64 v[159:160], v[5:6], v[147:148], -v[159:160]
	ds_read_b128 v[133:136], v194 offset:1264
	v_fma_f64 v[147:148], v[7:8], v[147:148], v[195:196]
	v_add_f64 v[145:146], v[145:146], v[153:154]
	v_add_f64 v[137:138], v[137:138], v[149:150]
	s_clause 0x2
	buffer_load_dword v162, off, s[0:3], 0 offset:524
	buffer_load_dword v150, off, s[0:3], 0 offset:500
	;; [unrolled: 1-line block ×3, first 2 shown]
	ds_read_b128 v[5:8], v194 offset:1280
	s_waitcnt vmcnt(58) lgkmcnt(1)
	v_mul_f64 v[153:154], v[133:134], v[167:168]
	v_mul_f64 v[167:168], v[135:136], v[167:168]
	s_waitcnt vmcnt(56)
	v_fma_f64 v[163:164], v[1:2], v[169:170], -v[163:164]
	v_add_f64 v[145:146], v[145:146], v[159:160]
	v_fma_f64 v[159:160], v[3:4], v[169:170], v[210:211]
	v_add_f64 v[137:138], v[137:138], v[147:148]
	s_clause 0x4
	buffer_load_dword v148, off, s[0:3], 0 offset:540
	buffer_load_dword v169, off, s[0:3], 0 offset:552
	;; [unrolled: 1-line block ×5, first 2 shown]
	s_waitcnt vmcnt(57) lgkmcnt(0)
	v_mul_f64 v[216:217], v[5:6], v[171:172]
	v_mul_f64 v[171:172], v[7:8], v[171:172]
	s_waitcnt vmcnt(56)
	v_fma_f64 v[167:168], v[133:134], v[155:156], -v[167:168]
	ds_read_b128 v[1:4], v194 offset:1296
	v_fma_f64 v[153:154], v[135:136], v[155:156], v[153:154]
	s_clause 0x2
	buffer_load_dword v170, off, s[0:3], 0 offset:556
	buffer_load_dword v156, off, s[0:3], 0 offset:532
	;; [unrolled: 1-line block ×3, first 2 shown]
	ds_read_b128 v[133:136], v194 offset:1312
	v_add_f64 v[145:146], v[145:146], v[163:164]
	v_add_f64 v[137:138], v[137:138], v[159:160]
	s_waitcnt vmcnt(58) lgkmcnt(1)
	v_mul_f64 v[163:164], v[3:4], v[175:176]
	s_waitcnt vmcnt(56)
	v_fma_f64 v[171:172], v[5:6], v[177:178], -v[171:172]
	v_mul_f64 v[159:160], v[1:2], v[175:176]
	v_add_f64 v[145:146], v[145:146], v[167:168]
	v_fma_f64 v[167:168], v[7:8], v[177:178], v[216:217]
	v_add_f64 v[137:138], v[137:138], v[153:154]
	s_clause 0x4
	buffer_load_dword v154, off, s[0:3], 0 offset:572
	buffer_load_dword v175, off, s[0:3], 0 offset:584
	;; [unrolled: 1-line block ×5, first 2 shown]
	s_waitcnt vmcnt(57) lgkmcnt(0)
	v_mul_f64 v[216:217], v[133:134], v[179:180]
	v_mul_f64 v[178:179], v[135:136], v[179:180]
	s_waitcnt vmcnt(56)
	v_fma_f64 v[163:164], v[1:2], v[165:166], -v[163:164]
	ds_read_b128 v[5:8], v194 offset:1328
	v_fma_f64 v[159:160], v[3:4], v[165:166], v[159:160]
	s_clause 0x2
	buffer_load_dword v176, off, s[0:3], 0 offset:588
	buffer_load_dword v166, off, s[0:3], 0 offset:564
	;; [unrolled: 1-line block ×3, first 2 shown]
	ds_read_b128 v[1:4], v194 offset:1344
	v_add_f64 v[145:146], v[145:146], v[171:172]
	v_add_f64 v[137:138], v[137:138], v[167:168]
	s_waitcnt vmcnt(58) lgkmcnt(1)
	v_mul_f64 v[171:172], v[7:8], v[183:184]
	s_waitcnt vmcnt(56)
	v_fma_f64 v[179:180], v[133:134], v[185:186], -v[178:179]
	v_mul_f64 v[167:168], v[5:6], v[183:184]
	v_add_f64 v[145:146], v[145:146], v[163:164]
	v_fma_f64 v[163:164], v[135:136], v[185:186], v[216:217]
	v_add_f64 v[137:138], v[137:138], v[159:160]
	s_clause 0x4
	buffer_load_dword v160, off, s[0:3], 0 offset:604
	buffer_load_dword v183, off, s[0:3], 0 offset:616
	;; [unrolled: 1-line block ×5, first 2 shown]
	s_waitcnt vmcnt(57) lgkmcnt(0)
	v_mul_f64 v[216:217], v[1:2], v[187:188]
	v_mul_f64 v[186:187], v[3:4], v[187:188]
	s_waitcnt vmcnt(56)
	v_fma_f64 v[171:172], v[5:6], v[173:174], -v[171:172]
	ds_read_b128 v[133:136], v194 offset:1360
	v_fma_f64 v[167:168], v[7:8], v[173:174], v[167:168]
	v_add_f64 v[145:146], v[145:146], v[179:180]
	v_add_f64 v[137:138], v[137:138], v[163:164]
	s_clause 0x2
	buffer_load_dword v184, off, s[0:3], 0 offset:620
	buffer_load_dword v164, off, s[0:3], 0 offset:596
	buffer_load_dword v163, off, s[0:3], 0 offset:592
	ds_read_b128 v[5:8], v194 offset:1376
	s_waitcnt vmcnt(58) lgkmcnt(1)
	v_mul_f64 v[179:180], v[135:136], v[189:190]
	s_waitcnt vmcnt(56)
	v_fma_f64 v[187:188], v[1:2], v[191:192], -v[186:187]
	v_mul_f64 v[173:174], v[133:134], v[189:190]
	v_add_f64 v[145:146], v[145:146], v[171:172]
	v_fma_f64 v[171:172], v[3:4], v[191:192], v[216:217]
	v_add_f64 v[137:138], v[137:138], v[167:168]
	s_clause 0x4
	buffer_load_dword v168, off, s[0:3], 0 offset:636
	buffer_load_dword v189, off, s[0:3], 0 offset:648
	;; [unrolled: 1-line block ×5, first 2 shown]
	s_waitcnt vmcnt(57) lgkmcnt(0)
	v_mul_f64 v[216:217], v[5:6], v[201:202]
	v_mul_f64 v[201:202], v[7:8], v[201:202]
	s_waitcnt vmcnt(56)
	v_fma_f64 v[179:180], v[133:134], v[181:182], -v[179:180]
	ds_read_b128 v[1:4], v194 offset:1392
	v_fma_f64 v[173:174], v[135:136], v[181:182], v[173:174]
	v_add_f64 v[145:146], v[145:146], v[187:188]
	v_add_f64 v[137:138], v[137:138], v[171:172]
	s_clause 0x2
	buffer_load_dword v190, off, s[0:3], 0 offset:652
	buffer_load_dword v172, off, s[0:3], 0 offset:628
	buffer_load_dword v171, off, s[0:3], 0 offset:624
	ds_read_b128 v[133:136], v194 offset:1408
	s_waitcnt vmcnt(58) lgkmcnt(1)
	v_mul_f64 v[187:188], v[3:4], v[203:204]
	v_mul_f64 v[181:182], v[1:2], v[203:204]
	s_waitcnt vmcnt(56)
	v_fma_f64 v[201:202], v[5:6], v[141:142], -v[201:202]
	v_fma_f64 v[141:142], v[7:8], v[141:142], v[216:217]
	v_add_f64 v[145:146], v[145:146], v[179:180]
	v_add_f64 v[137:138], v[137:138], v[173:174]
	s_clause 0x4
	buffer_load_dword v174, off, s[0:3], 0 offset:668
	buffer_load_dword v179, off, s[0:3], 0 offset:680
	;; [unrolled: 1-line block ×5, first 2 shown]
	ds_read_b128 v[5:8], v194 offset:1424
	s_waitcnt vmcnt(57) lgkmcnt(1)
	v_mul_f64 v[216:217], v[133:134], v[139:140]
	v_mul_f64 v[139:140], v[135:136], v[139:140]
	s_waitcnt vmcnt(56)
	v_fma_f64 v[187:188], v[1:2], v[205:206], -v[187:188]
	v_fma_f64 v[181:182], v[3:4], v[205:206], v[181:182]
	v_add_f64 v[145:146], v[145:146], v[201:202]
	v_add_f64 v[137:138], v[137:138], v[141:142]
	s_clause 0x2
	buffer_load_dword v180, off, s[0:3], 0 offset:684
	buffer_load_dword v142, off, s[0:3], 0 offset:660
	;; [unrolled: 1-line block ×3, first 2 shown]
	s_waitcnt vmcnt(58) lgkmcnt(0)
	v_mul_f64 v[205:206], v[7:8], v[207:208]
	ds_read_b128 v[1:4], v194 offset:1440
	v_mul_f64 v[201:202], v[5:6], v[207:208]
	s_waitcnt vmcnt(56)
	v_fma_f64 v[139:140], v[133:134], v[197:198], -v[139:140]
	v_add_f64 v[145:146], v[145:146], v[187:188]
	v_fma_f64 v[187:188], v[135:136], v[197:198], v[216:217]
	v_add_f64 v[137:138], v[137:138], v[181:182]
	s_clause 0x4
	buffer_load_dword v182, off, s[0:3], 0 offset:700
	buffer_load_dword v197, off, s[0:3], 0 offset:712
	;; [unrolled: 1-line block ×5, first 2 shown]
	ds_read_b128 v[133:136], v194 offset:1456
	s_waitcnt vmcnt(57) lgkmcnt(1)
	v_mul_f64 v[216:217], v[1:2], v[157:158]
	v_mul_f64 v[157:158], v[3:4], v[157:158]
	s_waitcnt vmcnt(56)
	v_fma_f64 v[205:206], v[5:6], v[212:213], -v[205:206]
	v_add_f64 v[139:140], v[145:146], v[139:140]
	v_fma_f64 v[145:146], v[7:8], v[212:213], v[201:202]
	v_add_f64 v[137:138], v[137:138], v[187:188]
	s_clause 0x2
	buffer_load_dword v198, off, s[0:3], 0 offset:716
	buffer_load_dword v188, off, s[0:3], 0 offset:692
	;; [unrolled: 1-line block ×3, first 2 shown]
	ds_read_b128 v[5:8], v194 offset:1472
	s_waitcnt vmcnt(58) lgkmcnt(1)
	v_mul_f64 v[201:202], v[133:134], v[199:200]
	v_mul_f64 v[199:200], v[135:136], v[199:200]
	s_waitcnt vmcnt(56)
	v_fma_f64 v[157:158], v[1:2], v[151:152], -v[157:158]
	v_fma_f64 v[151:152], v[3:4], v[151:152], v[216:217]
	v_add_f64 v[139:140], v[139:140], v[205:206]
	v_add_f64 v[137:138], v[137:138], v[145:146]
	s_clause 0x4
	buffer_load_dword v146, off, s[0:3], 0 offset:732
	buffer_load_dword v205, off, s[0:3], 0 offset:744
	;; [unrolled: 1-line block ×5, first 2 shown]
	ds_read_b128 v[1:4], v194 offset:1488
	s_waitcnt vmcnt(57) lgkmcnt(1)
	v_mul_f64 v[212:213], v[5:6], v[143:144]
	v_mul_f64 v[143:144], v[7:8], v[143:144]
	s_waitcnt vmcnt(56)
	v_fma_f64 v[199:200], v[133:134], v[214:215], -v[199:200]
	v_add_f64 v[139:140], v[139:140], v[157:158]
	v_fma_f64 v[157:158], v[135:136], v[214:215], v[201:202]
	v_add_f64 v[137:138], v[137:138], v[151:152]
	s_clause 0x2
	buffer_load_dword v206, off, s[0:3], 0 offset:748
	buffer_load_dword v152, off, s[0:3], 0 offset:724
	;; [unrolled: 1-line block ×3, first 2 shown]
	ds_read_b128 v[133:136], v194 offset:1504
	s_waitcnt vmcnt(58) lgkmcnt(1)
	v_mul_f64 v[201:202], v[1:2], v[161:162]
	v_mul_f64 v[161:162], v[3:4], v[161:162]
	s_waitcnt vmcnt(56)
	v_fma_f64 v[143:144], v[5:6], v[149:150], -v[143:144]
	v_fma_f64 v[149:150], v[7:8], v[149:150], v[212:213]
	v_add_f64 v[139:140], v[139:140], v[199:200]
	v_add_f64 v[137:138], v[137:138], v[157:158]
	s_clause 0x4
	buffer_load_dword v158, off, s[0:3], 0 offset:764
	buffer_load_dword v199, off, s[0:3], 0 offset:776
	;; [unrolled: 1-line block ×5, first 2 shown]
	ds_read_b128 v[5:8], v194 offset:1520
	s_waitcnt vmcnt(57) lgkmcnt(1)
	v_mul_f64 v[214:215], v[133:134], v[147:148]
	v_mul_f64 v[147:148], v[135:136], v[147:148]
	s_waitcnt vmcnt(56)
	v_fma_f64 v[161:162], v[1:2], v[209:210], -v[161:162]
	v_add_f64 v[139:140], v[139:140], v[143:144]
	v_fma_f64 v[143:144], v[3:4], v[209:210], v[201:202]
	v_add_f64 v[137:138], v[137:138], v[149:150]
	s_clause 0x2
	buffer_load_dword v200, off, s[0:3], 0 offset:780
	buffer_load_dword v150, off, s[0:3], 0 offset:756
	;; [unrolled: 1-line block ×3, first 2 shown]
	s_waitcnt vmcnt(58) lgkmcnt(0)
	v_mul_f64 v[201:202], v[5:6], v[169:170]
	v_mul_f64 v[169:170], v[7:8], v[169:170]
	ds_read_b128 v[1:4], v194 offset:1536
	s_waitcnt vmcnt(56)
	v_fma_f64 v[147:148], v[133:134], v[155:156], -v[147:148]
	v_fma_f64 v[155:156], v[135:136], v[155:156], v[214:215]
	v_add_f64 v[139:140], v[139:140], v[161:162]
	v_add_f64 v[137:138], v[137:138], v[143:144]
	s_clause 0x4
	buffer_load_dword v144, off, s[0:3], 0 offset:796
	buffer_load_dword v161, off, s[0:3], 0 offset:808
	;; [unrolled: 1-line block ×5, first 2 shown]
	ds_read_b128 v[133:136], v194 offset:1552
	s_waitcnt vmcnt(57) lgkmcnt(1)
	v_mul_f64 v[215:216], v[1:2], v[153:154]
	v_mul_f64 v[153:154], v[3:4], v[153:154]
	s_waitcnt vmcnt(56)
	v_fma_f64 v[169:170], v[5:6], v[195:196], -v[169:170]
	v_add_f64 v[139:140], v[139:140], v[147:148]
	v_fma_f64 v[147:148], v[7:8], v[195:196], v[201:202]
	v_add_f64 v[137:138], v[137:138], v[155:156]
	s_clause 0x2
	buffer_load_dword v162, off, s[0:3], 0 offset:812
	buffer_load_dword v156, off, s[0:3], 0 offset:788
	;; [unrolled: 1-line block ×3, first 2 shown]
	s_waitcnt vmcnt(58) lgkmcnt(0)
	v_mul_f64 v[195:196], v[133:134], v[175:176]
	v_mul_f64 v[175:176], v[135:136], v[175:176]
	ds_read_b128 v[5:8], v194 offset:1568
	s_waitcnt vmcnt(56)
	v_fma_f64 v[153:154], v[1:2], v[165:166], -v[153:154]
	v_fma_f64 v[165:166], v[3:4], v[165:166], v[215:216]
	v_add_f64 v[139:140], v[139:140], v[169:170]
	v_add_f64 v[137:138], v[137:138], v[147:148]
	s_clause 0x4
	buffer_load_dword v148, off, s[0:3], 0 offset:828
	buffer_load_dword v169, off, s[0:3], 0 offset:840
	buffer_load_dword v201, off, s[0:3], 0 offset:832
	buffer_load_dword v147, off, s[0:3], 0 offset:824
	buffer_load_dword v210, off, s[0:3], 0 offset:804
	ds_read_b128 v[1:4], v194 offset:1584
	s_waitcnt vmcnt(57) lgkmcnt(1)
	v_mul_f64 v[215:216], v[5:6], v[159:160]
	v_mul_f64 v[159:160], v[7:8], v[159:160]
	s_waitcnt vmcnt(56)
	v_fma_f64 v[175:176], v[133:134], v[177:178], -v[175:176]
	v_add_f64 v[139:140], v[139:140], v[153:154]
	v_fma_f64 v[153:154], v[135:136], v[177:178], v[195:196]
	v_add_f64 v[137:138], v[137:138], v[165:166]
	s_clause 0x2
	buffer_load_dword v170, off, s[0:3], 0 offset:844
	buffer_load_dword v166, off, s[0:3], 0 offset:820
	buffer_load_dword v165, off, s[0:3], 0 offset:816
	ds_read_b128 v[133:136], v194 offset:1600
	s_waitcnt vmcnt(58) lgkmcnt(1)
	v_mul_f64 v[177:178], v[1:2], v[183:184]
	v_mul_f64 v[183:184], v[3:4], v[183:184]
	s_waitcnt vmcnt(56)
	v_fma_f64 v[159:160], v[5:6], v[163:164], -v[159:160]
	v_fma_f64 v[163:164], v[7:8], v[163:164], v[215:216]
	v_add_f64 v[139:140], v[139:140], v[175:176]
	v_add_f64 v[137:138], v[137:138], v[153:154]
	s_clause 0x4
	buffer_load_dword v154, off, s[0:3], 0 offset:860
	buffer_load_dword v175, off, s[0:3], 0 offset:872
	buffer_load_dword v195, off, s[0:3], 0 offset:864
	buffer_load_dword v153, off, s[0:3], 0 offset:856
	buffer_load_dword v202, off, s[0:3], 0 offset:836
	ds_read_b128 v[5:8], v194 offset:1616
	s_waitcnt vmcnt(57) lgkmcnt(1)
	v_mul_f64 v[215:216], v[133:134], v[167:168]
	v_mul_f64 v[167:168], v[135:136], v[167:168]
	s_waitcnt vmcnt(56)
	v_fma_f64 v[183:184], v[1:2], v[185:186], -v[183:184]
	v_add_f64 v[139:140], v[139:140], v[159:160]
	v_fma_f64 v[159:160], v[3:4], v[185:186], v[177:178]
	v_add_f64 v[137:138], v[137:138], v[163:164]
	s_clause 0x2
	buffer_load_dword v176, off, s[0:3], 0 offset:876
	buffer_load_dword v164, off, s[0:3], 0 offset:852
	buffer_load_dword v163, off, s[0:3], 0 offset:848
	ds_read_b128 v[1:4], v194 offset:1632
	s_waitcnt vmcnt(58) lgkmcnt(1)
	v_mul_f64 v[185:186], v[7:8], v[189:190]
	v_mul_f64 v[177:178], v[5:6], v[189:190]
	;; [unrolled: 28-line block ×4, first 2 shown]
	s_waitcnt vmcnt(56)
	v_fma_f64 v[181:182], v[5:6], v[187:188], -v[181:182]
	v_add_f64 v[139:140], v[139:140], v[179:180]
	v_fma_f64 v[179:180], v[7:8], v[187:188], v[215:216]
	v_add_f64 v[137:138], v[137:138], v[173:174]
	s_clause 0x4
	buffer_load_dword v174, off, s[0:3], 0 offset:956
	buffer_load_dword v187, off, s[0:3], 0 offset:968
	;; [unrolled: 1-line block ×5, first 2 shown]
	ds_read_b128 v[5:8], v194 offset:1712
	s_waitcnt vmcnt(57) lgkmcnt(1)
	v_mul_f64 v[215:216], v[133:134], v[145:146]
	v_mul_f64 v[145:146], v[135:136], v[145:146]
	s_waitcnt vmcnt(56)
	v_fma_f64 v[197:198], v[1:2], v[207:208], -v[197:198]
	v_fma_f64 v[177:178], v[3:4], v[207:208], v[177:178]
	v_add_f64 v[139:140], v[139:140], v[181:182]
	v_add_f64 v[137:138], v[137:138], v[179:180]
	s_clause 0x2
	buffer_load_dword v188, off, s[0:3], 0 offset:972
	buffer_load_dword v180, off, s[0:3], 0 offset:948
	;; [unrolled: 1-line block ×3, first 2 shown]
	ds_read_b128 v[1:4], v194 offset:1728
	s_waitcnt vmcnt(58) lgkmcnt(1)
	v_mul_f64 v[181:182], v[5:6], v[205:206]
	v_mul_f64 v[205:206], v[7:8], v[205:206]
	s_waitcnt vmcnt(56)
	v_fma_f64 v[145:146], v[133:134], v[151:152], -v[145:146]
	v_fma_f64 v[151:152], v[135:136], v[151:152], v[215:216]
	v_add_f64 v[139:140], v[139:140], v[197:198]
	v_add_f64 v[137:138], v[137:138], v[177:178]
	s_clause 0x4
	buffer_load_dword v178, off, s[0:3], 0 offset:988
	buffer_load_dword v197, off, s[0:3], 0 offset:1000
	;; [unrolled: 1-line block ×5, first 2 shown]
	ds_read_b128 v[133:136], v194 offset:1744
	s_waitcnt vmcnt(57) lgkmcnt(1)
	v_mul_f64 v[215:216], v[1:2], v[157:158]
	v_mul_f64 v[157:158], v[3:4], v[157:158]
	s_waitcnt vmcnt(56)
	v_fma_f64 v[205:206], v[5:6], v[211:212], -v[205:206]
	v_add_f64 v[139:140], v[139:140], v[145:146]
	v_fma_f64 v[145:146], v[7:8], v[211:212], v[181:182]
	v_add_f64 v[137:138], v[137:138], v[151:152]
	s_clause 0x2
	buffer_load_dword v198, off, s[0:3], 0 offset:1004
	buffer_load_dword v152, off, s[0:3], 0 offset:980
	;; [unrolled: 1-line block ×3, first 2 shown]
	ds_read_b128 v[5:8], v194 offset:1760
	buffer_load_dword v208, off, s[0:3], 0 offset:996
	s_waitcnt vmcnt(59) lgkmcnt(1)
	v_mul_f64 v[181:182], v[133:134], v[199:200]
	v_mul_f64 v[199:200], v[135:136], v[199:200]
	s_waitcnt vmcnt(57)
	v_fma_f64 v[157:158], v[1:2], v[149:150], -v[157:158]
	v_fma_f64 v[149:150], v[3:4], v[149:150], v[215:216]
	ds_read_b128 v[1:4], v194 offset:1776
	v_add_f64 v[139:140], v[139:140], v[205:206]
	v_add_f64 v[137:138], v[137:138], v[145:146]
	s_waitcnt vmcnt(53) lgkmcnt(1)
	v_mul_f64 v[145:146], v[5:6], v[143:144]
	v_mul_f64 v[143:144], v[7:8], v[143:144]
	s_waitcnt vmcnt(52)
	v_fma_f64 v[199:200], v[133:134], v[213:214], -v[199:200]
	v_add_f64 v[139:140], v[139:140], v[157:158]
	v_fma_f64 v[157:158], v[135:136], v[213:214], v[181:182]
	v_add_f64 v[137:138], v[137:138], v[149:150]
	ds_read_b128 v[133:136], v194 offset:1792
	s_waitcnt vmcnt(51) lgkmcnt(1)
	v_mul_f64 v[149:150], v[1:2], v[161:162]
	v_mul_f64 v[161:162], v[3:4], v[161:162]
	s_waitcnt vmcnt(49)
	v_fma_f64 v[143:144], v[5:6], v[155:156], -v[143:144]
	v_fma_f64 v[145:146], v[7:8], v[155:156], v[145:146]
	v_add_f64 v[139:140], v[139:140], v[199:200]
	v_add_f64 v[137:138], v[137:138], v[157:158]
	s_clause 0x3
	buffer_load_dword v155, off, s[0:3], 0 offset:144
	buffer_load_dword v156, off, s[0:3], 0 offset:148
	;; [unrolled: 1-line block ×4, first 2 shown]
	ds_read_b128 v[5:8], v194 offset:1808
	s_waitcnt vmcnt(49) lgkmcnt(1)
	v_mul_f64 v[181:182], v[133:134], v[147:148]
	v_mul_f64 v[147:148], v[135:136], v[147:148]
	s_waitcnt vmcnt(48)
	v_fma_f64 v[161:162], v[1:2], v[209:210], -v[161:162]
	v_add_f64 v[139:140], v[139:140], v[143:144]
	v_fma_f64 v[143:144], v[3:4], v[209:210], v[149:150]
	v_add_f64 v[137:138], v[137:138], v[145:146]
	ds_read_b128 v[1:4], v194 offset:1824
	s_waitcnt vmcnt(47) lgkmcnt(1)
	v_mul_f64 v[149:150], v[7:8], v[169:170]
	v_mul_f64 v[145:146], v[5:6], v[169:170]
	s_waitcnt vmcnt(45)
	v_fma_f64 v[147:148], v[133:134], v[165:166], -v[147:148]
	v_add_f64 v[139:140], v[139:140], v[161:162]
	v_fma_f64 v[161:162], v[135:136], v[165:166], v[181:182]
	v_add_f64 v[137:138], v[137:138], v[143:144]
	ds_read_b128 v[133:136], v194 offset:1840
	s_waitcnt vmcnt(41) lgkmcnt(1)
	v_mul_f64 v[143:144], v[1:2], v[153:154]
	v_mul_f64 v[153:154], v[3:4], v[153:154]
	s_waitcnt vmcnt(40)
	v_fma_f64 v[149:150], v[5:6], v[201:202], -v[149:150]
	v_fma_f64 v[145:146], v[7:8], v[201:202], v[145:146]
	ds_read_b128 v[5:8], v194 offset:1856
	v_add_f64 v[139:140], v[139:140], v[147:148]
	v_add_f64 v[137:138], v[137:138], v[161:162]
	s_waitcnt vmcnt(39) lgkmcnt(1)
	v_mul_f64 v[161:162], v[135:136], v[175:176]
	v_mul_f64 v[147:148], v[133:134], v[175:176]
	s_waitcnt vmcnt(37)
	v_fma_f64 v[153:154], v[1:2], v[163:164], -v[153:154]
	v_fma_f64 v[143:144], v[3:4], v[163:164], v[143:144]
	ds_read_b128 v[1:4], v194 offset:1872
	v_add_f64 v[139:140], v[139:140], v[149:150]
	v_add_f64 v[137:138], v[137:138], v[145:146]
	;; [unrolled: 9-line block ×4, first 2 shown]
	s_waitcnt vmcnt(25) lgkmcnt(1)
	v_mul_f64 v[159:160], v[135:136], v[167:168]
	s_waitcnt vmcnt(24)
	v_fma_f64 v[153:154], v[1:2], v[189:190], -v[153:154]
	v_mul_f64 v[147:148], v[133:134], v[167:168]
	v_fma_f64 v[143:144], v[3:4], v[189:190], v[143:144]
	ds_read_b128 v[1:4], v194 offset:1920
	v_add_f64 v[139:140], v[139:140], v[149:150]
	v_add_f64 v[137:138], v[137:138], v[145:146]
	s_waitcnt vmcnt(23) lgkmcnt(1)
	v_mul_f64 v[149:150], v[7:8], v[185:186]
	v_mul_f64 v[145:146], v[5:6], v[185:186]
	s_waitcnt vmcnt(21)
	v_fma_f64 v[159:160], v[133:134], v[141:142], -v[159:160]
	v_fma_f64 v[141:142], v[135:136], v[141:142], v[147:148]
	ds_read_b128 v[133:136], v194 offset:1936
	v_add_f64 v[139:140], v[139:140], v[153:154]
	v_add_f64 v[137:138], v[137:138], v[143:144]
	s_waitcnt vmcnt(17) lgkmcnt(1)
	v_mul_f64 v[147:148], v[3:4], v[173:174]
	s_waitcnt vmcnt(16)
	v_fma_f64 v[149:150], v[5:6], v[191:192], -v[149:150]
	v_mul_f64 v[143:144], v[1:2], v[173:174]
	v_fma_f64 v[145:146], v[7:8], v[191:192], v[145:146]
	ds_read_b128 v[5:8], v194 offset:1952
	v_add_f64 v[139:140], v[139:140], v[159:160]
	v_add_f64 v[137:138], v[137:138], v[141:142]
	s_waitcnt vmcnt(15) lgkmcnt(1)
	v_mul_f64 v[153:154], v[135:136], v[187:188]
	v_mul_f64 v[141:142], v[133:134], v[187:188]
	s_waitcnt vmcnt(13)
	v_fma_f64 v[147:148], v[1:2], v[179:180], -v[147:148]
	v_fma_f64 v[143:144], v[3:4], v[179:180], v[143:144]
	ds_read_b128 v[1:4], v194 offset:1968
	v_add_f64 v[139:140], v[139:140], v[149:150]
	v_add_f64 v[137:138], v[137:138], v[145:146]
	s_waitcnt vmcnt(9) lgkmcnt(1)
	v_mul_f64 v[149:150], v[7:8], v[177:178]
	s_waitcnt vmcnt(8)
	v_fma_f64 v[133:134], v[133:134], v[203:204], -v[153:154]
	v_mul_f64 v[145:146], v[5:6], v[177:178]
	v_fma_f64 v[135:136], v[135:136], v[203:204], v[141:142]
	v_add_f64 v[139:140], v[139:140], v[147:148]
	v_add_f64 v[137:138], v[137:138], v[143:144]
	s_waitcnt vmcnt(7) lgkmcnt(0)
	v_mul_f64 v[143:144], v[3:4], v[197:198]
	v_mul_f64 v[141:142], v[1:2], v[197:198]
	s_waitcnt vmcnt(5)
	v_fma_f64 v[5:6], v[5:6], v[151:152], -v[149:150]
	v_fma_f64 v[7:8], v[7:8], v[151:152], v[145:146]
	v_add_f64 v[133:134], v[139:140], v[133:134]
	v_add_f64 v[135:136], v[137:138], v[135:136]
	s_waitcnt vmcnt(4)
	v_fma_f64 v[1:2], v[1:2], v[207:208], -v[143:144]
	v_fma_f64 v[3:4], v[3:4], v[207:208], v[141:142]
	v_add_f64 v[5:6], v[133:134], v[5:6]
	v_add_f64 v[7:8], v[135:136], v[7:8]
	v_add_f64 v[1:2], v[5:6], v[1:2]
	v_add_f64 v[3:4], v[7:8], v[3:4]
	s_waitcnt vmcnt(2)
	v_add_f64 v[1:2], v[155:156], -v[1:2]
	s_waitcnt vmcnt(0)
	v_add_f64 v[3:4], v[157:158], -v[3:4]
	buffer_store_dword v2, off, s[0:3], 0 offset:148
	buffer_store_dword v1, off, s[0:3], 0 offset:144
	;; [unrolled: 1-line block ×4, first 2 shown]
	v_cmpx_lt_u32_e32 7, v0
	s_cbranch_execz .LBB125_383
; %bb.382:
	v_mov_b32_e32 v4, s69
	s_clause 0x3
	buffer_load_dword v1, v4, s[0:3], 0 offen
	buffer_load_dword v2, v4, s[0:3], 0 offen offset:4
	buffer_load_dword v3, v4, s[0:3], 0 offen offset:8
	;; [unrolled: 1-line block ×3, first 2 shown]
	buffer_store_dword v194, off, s[0:3], 0 offset:128
	buffer_store_dword v194, off, s[0:3], 0 offset:132
	;; [unrolled: 1-line block ×4, first 2 shown]
	s_waitcnt vmcnt(0)
	ds_write_b128 v193, v[1:4]
.LBB125_383:
	s_or_b32 exec_lo, exec_lo, s4
	s_waitcnt lgkmcnt(0)
	s_waitcnt_vscnt null, 0x0
	s_barrier
	buffer_gl0_inv
	s_clause 0x37
	buffer_load_dword v141, off, s[0:3], 0 offset:152
	buffer_load_dword v142, off, s[0:3], 0 offset:156
	;; [unrolled: 1-line block ×56, first 2 shown]
	ds_read_b128 v[5:8], v194 offset:1120
	s_clause 0x2
	buffer_load_dword v190, off, s[0:3], 0 offset:380
	buffer_load_dword v192, off, s[0:3], 0 offset:356
	;; [unrolled: 1-line block ×3, first 2 shown]
	ds_read_b128 v[1:4], v194 offset:1136
	s_clause 0x4
	buffer_load_dword v202, off, s[0:3], 0 offset:396
	buffer_load_dword v203, off, s[0:3], 0 offset:408
	buffer_load_dword v205, off, s[0:3], 0 offset:400
	buffer_load_dword v201, off, s[0:3], 0 offset:392
	buffer_load_dword v182, off, s[0:3], 0 offset:372
	ds_read_b128 v[195:198], v194 offset:1152
	s_mov_b32 s4, exec_lo
	s_waitcnt vmcnt(62) lgkmcnt(2)
	v_mul_f64 v[199:200], v[7:8], v[141:142]
	v_mul_f64 v[141:142], v[5:6], v[141:142]
	s_waitcnt vmcnt(60) lgkmcnt(1)
	v_mul_f64 v[206:207], v[3:4], v[137:138]
	v_mul_f64 v[137:138], v[1:2], v[137:138]
	;; [unrolled: 3-line block ×3, first 2 shown]
	v_fma_f64 v[199:200], v[5:6], v[139:140], -v[199:200]
	v_fma_f64 v[139:140], v[7:8], v[139:140], v[141:142]
	s_clause 0x2
	buffer_load_dword v204, off, s[0:3], 0 offset:412
	buffer_load_dword v142, off, s[0:3], 0 offset:388
	;; [unrolled: 1-line block ×3, first 2 shown]
	s_waitcnt vmcnt(57)
	v_fma_f64 v[210:211], v[1:2], v[133:134], -v[206:207]
	ds_read_b128 v[5:8], v194 offset:1168
	v_fma_f64 v[133:134], v[3:4], v[133:134], v[137:138]
	s_waitcnt vmcnt(51)
	v_fma_f64 v[195:196], v[195:196], v[157:158], -v[135:136]
	v_fma_f64 v[157:158], v[197:198], v[157:158], v[208:209]
	v_add_f64 v[199:200], v[199:200], 0
	v_add_f64 v[137:138], v[139:140], 0
	s_clause 0x4
	buffer_load_dword v140, off, s[0:3], 0 offset:428
	buffer_load_dword v207, off, s[0:3], 0 offset:440
	;; [unrolled: 1-line block ×5, first 2 shown]
	s_waitcnt lgkmcnt(0)
	v_mul_f64 v[213:214], v[5:6], v[145:146]
	v_mul_f64 v[145:146], v[7:8], v[145:146]
	ds_read_b128 v[1:4], v194 offset:1184
	s_clause 0x2
	buffer_load_dword v208, off, s[0:3], 0 offset:444
	buffer_load_dword v198, off, s[0:3], 0 offset:420
	;; [unrolled: 1-line block ×3, first 2 shown]
	v_add_f64 v[199:200], v[199:200], v[210:211]
	v_add_f64 v[137:138], v[137:138], v[133:134]
	ds_read_b128 v[133:136], v194 offset:1200
	s_waitcnt vmcnt(58) lgkmcnt(1)
	v_mul_f64 v[209:210], v[1:2], v[149:150]
	v_mul_f64 v[149:150], v[3:4], v[149:150]
	s_waitcnt vmcnt(56)
	v_fma_f64 v[145:146], v[5:6], v[151:152], -v[145:146]
	v_fma_f64 v[151:152], v[7:8], v[151:152], v[213:214]
	s_waitcnt vmcnt(52) lgkmcnt(0)
	v_mul_f64 v[215:216], v[133:134], v[153:154]
	v_add_f64 v[195:196], v[199:200], v[195:196]
	v_add_f64 v[137:138], v[137:138], v[157:158]
	s_clause 0x4
	buffer_load_dword v158, off, s[0:3], 0 offset:460
	buffer_load_dword v199, off, s[0:3], 0 offset:472
	;; [unrolled: 1-line block ×5, first 2 shown]
	v_mul_f64 v[153:154], v[135:136], v[153:154]
	s_waitcnt vmcnt(56)
	v_fma_f64 v[149:150], v[1:2], v[143:144], -v[149:150]
	ds_read_b128 v[5:8], v194 offset:1216
	v_fma_f64 v[143:144], v[3:4], v[143:144], v[209:210]
	v_add_f64 v[145:146], v[195:196], v[145:146]
	v_add_f64 v[137:138], v[137:138], v[151:152]
	s_clause 0x2
	buffer_load_dword v200, off, s[0:3], 0 offset:476
	buffer_load_dword v152, off, s[0:3], 0 offset:452
	;; [unrolled: 1-line block ×3, first 2 shown]
	s_waitcnt vmcnt(58) lgkmcnt(0)
	v_mul_f64 v[195:196], v[5:6], v[159:160]
	v_mul_f64 v[159:160], v[7:8], v[159:160]
	s_waitcnt vmcnt(56)
	v_fma_f64 v[153:154], v[133:134], v[161:162], -v[153:154]
	ds_read_b128 v[1:4], v194 offset:1232
	v_add_f64 v[145:146], v[145:146], v[149:150]
	v_fma_f64 v[149:150], v[135:136], v[161:162], v[215:216]
	v_add_f64 v[137:138], v[137:138], v[143:144]
	s_clause 0x4
	buffer_load_dword v144, off, s[0:3], 0 offset:492
	buffer_load_dword v161, off, s[0:3], 0 offset:504
	;; [unrolled: 1-line block ×5, first 2 shown]
	s_waitcnt vmcnt(57) lgkmcnt(0)
	v_mul_f64 v[210:211], v[1:2], v[163:164]
	v_mul_f64 v[163:164], v[3:4], v[163:164]
	s_waitcnt vmcnt(56)
	v_fma_f64 v[159:160], v[5:6], v[147:148], -v[159:160]
	ds_read_b128 v[133:136], v194 offset:1248
	v_fma_f64 v[147:148], v[7:8], v[147:148], v[195:196]
	v_add_f64 v[145:146], v[145:146], v[153:154]
	v_add_f64 v[137:138], v[137:138], v[149:150]
	s_clause 0x2
	buffer_load_dword v162, off, s[0:3], 0 offset:508
	buffer_load_dword v150, off, s[0:3], 0 offset:484
	;; [unrolled: 1-line block ×3, first 2 shown]
	ds_read_b128 v[5:8], v194 offset:1264
	s_waitcnt vmcnt(58) lgkmcnt(1)
	v_mul_f64 v[153:154], v[133:134], v[167:168]
	v_mul_f64 v[167:168], v[135:136], v[167:168]
	s_waitcnt vmcnt(56)
	v_fma_f64 v[163:164], v[1:2], v[169:170], -v[163:164]
	v_add_f64 v[145:146], v[145:146], v[159:160]
	v_fma_f64 v[159:160], v[3:4], v[169:170], v[210:211]
	v_add_f64 v[137:138], v[137:138], v[147:148]
	s_clause 0x4
	buffer_load_dword v148, off, s[0:3], 0 offset:524
	buffer_load_dword v169, off, s[0:3], 0 offset:536
	;; [unrolled: 1-line block ×5, first 2 shown]
	s_waitcnt vmcnt(57) lgkmcnt(0)
	v_mul_f64 v[216:217], v[5:6], v[171:172]
	v_mul_f64 v[171:172], v[7:8], v[171:172]
	s_waitcnt vmcnt(56)
	v_fma_f64 v[167:168], v[133:134], v[155:156], -v[167:168]
	ds_read_b128 v[1:4], v194 offset:1280
	v_fma_f64 v[153:154], v[135:136], v[155:156], v[153:154]
	s_clause 0x2
	buffer_load_dword v170, off, s[0:3], 0 offset:540
	buffer_load_dword v156, off, s[0:3], 0 offset:516
	;; [unrolled: 1-line block ×3, first 2 shown]
	ds_read_b128 v[133:136], v194 offset:1296
	v_add_f64 v[145:146], v[145:146], v[163:164]
	v_add_f64 v[137:138], v[137:138], v[159:160]
	s_waitcnt vmcnt(58) lgkmcnt(1)
	v_mul_f64 v[163:164], v[3:4], v[175:176]
	s_waitcnt vmcnt(56)
	v_fma_f64 v[171:172], v[5:6], v[177:178], -v[171:172]
	v_mul_f64 v[159:160], v[1:2], v[175:176]
	v_add_f64 v[145:146], v[145:146], v[167:168]
	v_fma_f64 v[167:168], v[7:8], v[177:178], v[216:217]
	v_add_f64 v[137:138], v[137:138], v[153:154]
	s_clause 0x4
	buffer_load_dword v154, off, s[0:3], 0 offset:556
	buffer_load_dword v175, off, s[0:3], 0 offset:568
	;; [unrolled: 1-line block ×5, first 2 shown]
	s_waitcnt vmcnt(57) lgkmcnt(0)
	v_mul_f64 v[216:217], v[133:134], v[179:180]
	v_mul_f64 v[178:179], v[135:136], v[179:180]
	s_waitcnt vmcnt(56)
	v_fma_f64 v[163:164], v[1:2], v[165:166], -v[163:164]
	ds_read_b128 v[5:8], v194 offset:1312
	v_fma_f64 v[159:160], v[3:4], v[165:166], v[159:160]
	s_clause 0x2
	buffer_load_dword v176, off, s[0:3], 0 offset:572
	buffer_load_dword v166, off, s[0:3], 0 offset:548
	;; [unrolled: 1-line block ×3, first 2 shown]
	ds_read_b128 v[1:4], v194 offset:1328
	v_add_f64 v[145:146], v[145:146], v[171:172]
	v_add_f64 v[137:138], v[137:138], v[167:168]
	s_waitcnt vmcnt(58) lgkmcnt(1)
	v_mul_f64 v[171:172], v[7:8], v[183:184]
	s_waitcnt vmcnt(56)
	v_fma_f64 v[179:180], v[133:134], v[185:186], -v[178:179]
	v_mul_f64 v[167:168], v[5:6], v[183:184]
	v_add_f64 v[145:146], v[145:146], v[163:164]
	v_fma_f64 v[163:164], v[135:136], v[185:186], v[216:217]
	v_add_f64 v[137:138], v[137:138], v[159:160]
	s_clause 0x4
	buffer_load_dword v160, off, s[0:3], 0 offset:588
	buffer_load_dword v183, off, s[0:3], 0 offset:600
	;; [unrolled: 1-line block ×5, first 2 shown]
	s_waitcnt vmcnt(57) lgkmcnt(0)
	v_mul_f64 v[216:217], v[1:2], v[187:188]
	v_mul_f64 v[186:187], v[3:4], v[187:188]
	s_waitcnt vmcnt(56)
	v_fma_f64 v[171:172], v[5:6], v[173:174], -v[171:172]
	ds_read_b128 v[133:136], v194 offset:1344
	v_fma_f64 v[167:168], v[7:8], v[173:174], v[167:168]
	v_add_f64 v[145:146], v[145:146], v[179:180]
	v_add_f64 v[137:138], v[137:138], v[163:164]
	s_clause 0x2
	buffer_load_dword v184, off, s[0:3], 0 offset:604
	buffer_load_dword v164, off, s[0:3], 0 offset:580
	;; [unrolled: 1-line block ×3, first 2 shown]
	ds_read_b128 v[5:8], v194 offset:1360
	s_waitcnt vmcnt(58) lgkmcnt(1)
	v_mul_f64 v[179:180], v[135:136], v[189:190]
	s_waitcnt vmcnt(56)
	v_fma_f64 v[187:188], v[1:2], v[191:192], -v[186:187]
	v_mul_f64 v[173:174], v[133:134], v[189:190]
	v_add_f64 v[145:146], v[145:146], v[171:172]
	v_fma_f64 v[171:172], v[3:4], v[191:192], v[216:217]
	v_add_f64 v[137:138], v[137:138], v[167:168]
	s_clause 0x4
	buffer_load_dword v168, off, s[0:3], 0 offset:620
	buffer_load_dword v189, off, s[0:3], 0 offset:632
	;; [unrolled: 1-line block ×5, first 2 shown]
	s_waitcnt vmcnt(57) lgkmcnt(0)
	v_mul_f64 v[216:217], v[5:6], v[201:202]
	v_mul_f64 v[201:202], v[7:8], v[201:202]
	s_waitcnt vmcnt(56)
	v_fma_f64 v[179:180], v[133:134], v[181:182], -v[179:180]
	ds_read_b128 v[1:4], v194 offset:1376
	v_fma_f64 v[173:174], v[135:136], v[181:182], v[173:174]
	v_add_f64 v[145:146], v[145:146], v[187:188]
	v_add_f64 v[137:138], v[137:138], v[171:172]
	s_clause 0x2
	buffer_load_dword v190, off, s[0:3], 0 offset:636
	buffer_load_dword v172, off, s[0:3], 0 offset:612
	;; [unrolled: 1-line block ×3, first 2 shown]
	ds_read_b128 v[133:136], v194 offset:1392
	s_waitcnt vmcnt(58) lgkmcnt(1)
	v_mul_f64 v[187:188], v[3:4], v[203:204]
	v_mul_f64 v[181:182], v[1:2], v[203:204]
	s_waitcnt vmcnt(56)
	v_fma_f64 v[201:202], v[5:6], v[141:142], -v[201:202]
	v_fma_f64 v[141:142], v[7:8], v[141:142], v[216:217]
	v_add_f64 v[145:146], v[145:146], v[179:180]
	v_add_f64 v[137:138], v[137:138], v[173:174]
	s_clause 0x4
	buffer_load_dword v174, off, s[0:3], 0 offset:652
	buffer_load_dword v179, off, s[0:3], 0 offset:664
	;; [unrolled: 1-line block ×5, first 2 shown]
	ds_read_b128 v[5:8], v194 offset:1408
	s_waitcnt vmcnt(57) lgkmcnt(1)
	v_mul_f64 v[216:217], v[133:134], v[139:140]
	v_mul_f64 v[139:140], v[135:136], v[139:140]
	s_waitcnt vmcnt(56)
	v_fma_f64 v[187:188], v[1:2], v[205:206], -v[187:188]
	v_fma_f64 v[181:182], v[3:4], v[205:206], v[181:182]
	v_add_f64 v[145:146], v[145:146], v[201:202]
	v_add_f64 v[137:138], v[137:138], v[141:142]
	s_clause 0x2
	buffer_load_dword v180, off, s[0:3], 0 offset:668
	buffer_load_dword v142, off, s[0:3], 0 offset:644
	;; [unrolled: 1-line block ×3, first 2 shown]
	s_waitcnt vmcnt(58) lgkmcnt(0)
	v_mul_f64 v[205:206], v[7:8], v[207:208]
	ds_read_b128 v[1:4], v194 offset:1424
	v_mul_f64 v[201:202], v[5:6], v[207:208]
	s_waitcnt vmcnt(56)
	v_fma_f64 v[139:140], v[133:134], v[197:198], -v[139:140]
	v_add_f64 v[145:146], v[145:146], v[187:188]
	v_fma_f64 v[187:188], v[135:136], v[197:198], v[216:217]
	v_add_f64 v[137:138], v[137:138], v[181:182]
	s_clause 0x4
	buffer_load_dword v182, off, s[0:3], 0 offset:684
	buffer_load_dword v197, off, s[0:3], 0 offset:696
	buffer_load_dword v207, off, s[0:3], 0 offset:688
	buffer_load_dword v181, off, s[0:3], 0 offset:680
	buffer_load_dword v204, off, s[0:3], 0 offset:660
	ds_read_b128 v[133:136], v194 offset:1440
	s_waitcnt vmcnt(57) lgkmcnt(1)
	v_mul_f64 v[216:217], v[1:2], v[157:158]
	v_mul_f64 v[157:158], v[3:4], v[157:158]
	s_waitcnt vmcnt(56)
	v_fma_f64 v[205:206], v[5:6], v[212:213], -v[205:206]
	v_add_f64 v[139:140], v[145:146], v[139:140]
	v_fma_f64 v[145:146], v[7:8], v[212:213], v[201:202]
	v_add_f64 v[137:138], v[137:138], v[187:188]
	s_clause 0x2
	buffer_load_dword v198, off, s[0:3], 0 offset:700
	buffer_load_dword v188, off, s[0:3], 0 offset:676
	;; [unrolled: 1-line block ×3, first 2 shown]
	ds_read_b128 v[5:8], v194 offset:1456
	s_waitcnt vmcnt(58) lgkmcnt(1)
	v_mul_f64 v[201:202], v[133:134], v[199:200]
	v_mul_f64 v[199:200], v[135:136], v[199:200]
	s_waitcnt vmcnt(56)
	v_fma_f64 v[157:158], v[1:2], v[151:152], -v[157:158]
	v_fma_f64 v[151:152], v[3:4], v[151:152], v[216:217]
	v_add_f64 v[139:140], v[139:140], v[205:206]
	v_add_f64 v[137:138], v[137:138], v[145:146]
	s_clause 0x4
	buffer_load_dword v146, off, s[0:3], 0 offset:716
	buffer_load_dword v205, off, s[0:3], 0 offset:728
	;; [unrolled: 1-line block ×5, first 2 shown]
	ds_read_b128 v[1:4], v194 offset:1472
	s_waitcnt vmcnt(57) lgkmcnt(1)
	v_mul_f64 v[212:213], v[5:6], v[143:144]
	v_mul_f64 v[143:144], v[7:8], v[143:144]
	s_waitcnt vmcnt(56)
	v_fma_f64 v[199:200], v[133:134], v[214:215], -v[199:200]
	v_add_f64 v[139:140], v[139:140], v[157:158]
	v_fma_f64 v[157:158], v[135:136], v[214:215], v[201:202]
	v_add_f64 v[137:138], v[137:138], v[151:152]
	s_clause 0x2
	buffer_load_dword v206, off, s[0:3], 0 offset:732
	buffer_load_dword v152, off, s[0:3], 0 offset:708
	buffer_load_dword v151, off, s[0:3], 0 offset:704
	ds_read_b128 v[133:136], v194 offset:1488
	s_waitcnt vmcnt(58) lgkmcnt(1)
	v_mul_f64 v[201:202], v[1:2], v[161:162]
	v_mul_f64 v[161:162], v[3:4], v[161:162]
	s_waitcnt vmcnt(56)
	v_fma_f64 v[143:144], v[5:6], v[149:150], -v[143:144]
	v_fma_f64 v[149:150], v[7:8], v[149:150], v[212:213]
	v_add_f64 v[139:140], v[139:140], v[199:200]
	v_add_f64 v[137:138], v[137:138], v[157:158]
	s_clause 0x4
	buffer_load_dword v158, off, s[0:3], 0 offset:748
	buffer_load_dword v199, off, s[0:3], 0 offset:760
	;; [unrolled: 1-line block ×5, first 2 shown]
	ds_read_b128 v[5:8], v194 offset:1504
	s_waitcnt vmcnt(57) lgkmcnt(1)
	v_mul_f64 v[214:215], v[133:134], v[147:148]
	v_mul_f64 v[147:148], v[135:136], v[147:148]
	s_waitcnt vmcnt(56)
	v_fma_f64 v[161:162], v[1:2], v[209:210], -v[161:162]
	v_add_f64 v[139:140], v[139:140], v[143:144]
	v_fma_f64 v[143:144], v[3:4], v[209:210], v[201:202]
	v_add_f64 v[137:138], v[137:138], v[149:150]
	s_clause 0x2
	buffer_load_dword v200, off, s[0:3], 0 offset:764
	buffer_load_dword v150, off, s[0:3], 0 offset:740
	;; [unrolled: 1-line block ×3, first 2 shown]
	s_waitcnt vmcnt(58) lgkmcnt(0)
	v_mul_f64 v[201:202], v[5:6], v[169:170]
	v_mul_f64 v[169:170], v[7:8], v[169:170]
	ds_read_b128 v[1:4], v194 offset:1520
	s_waitcnt vmcnt(56)
	v_fma_f64 v[147:148], v[133:134], v[155:156], -v[147:148]
	v_fma_f64 v[155:156], v[135:136], v[155:156], v[214:215]
	v_add_f64 v[139:140], v[139:140], v[161:162]
	v_add_f64 v[137:138], v[137:138], v[143:144]
	s_clause 0x4
	buffer_load_dword v144, off, s[0:3], 0 offset:780
	buffer_load_dword v161, off, s[0:3], 0 offset:792
	;; [unrolled: 1-line block ×5, first 2 shown]
	ds_read_b128 v[133:136], v194 offset:1536
	s_waitcnt vmcnt(57) lgkmcnt(1)
	v_mul_f64 v[215:216], v[1:2], v[153:154]
	v_mul_f64 v[153:154], v[3:4], v[153:154]
	s_waitcnt vmcnt(56)
	v_fma_f64 v[169:170], v[5:6], v[195:196], -v[169:170]
	v_add_f64 v[139:140], v[139:140], v[147:148]
	v_fma_f64 v[147:148], v[7:8], v[195:196], v[201:202]
	v_add_f64 v[137:138], v[137:138], v[155:156]
	s_clause 0x2
	buffer_load_dword v162, off, s[0:3], 0 offset:796
	buffer_load_dword v156, off, s[0:3], 0 offset:772
	buffer_load_dword v155, off, s[0:3], 0 offset:768
	s_waitcnt vmcnt(58) lgkmcnt(0)
	v_mul_f64 v[195:196], v[133:134], v[175:176]
	v_mul_f64 v[175:176], v[135:136], v[175:176]
	ds_read_b128 v[5:8], v194 offset:1552
	s_waitcnt vmcnt(56)
	v_fma_f64 v[153:154], v[1:2], v[165:166], -v[153:154]
	v_fma_f64 v[165:166], v[3:4], v[165:166], v[215:216]
	v_add_f64 v[139:140], v[139:140], v[169:170]
	v_add_f64 v[137:138], v[137:138], v[147:148]
	s_clause 0x4
	buffer_load_dword v148, off, s[0:3], 0 offset:812
	buffer_load_dword v169, off, s[0:3], 0 offset:824
	buffer_load_dword v201, off, s[0:3], 0 offset:816
	buffer_load_dword v147, off, s[0:3], 0 offset:808
	buffer_load_dword v210, off, s[0:3], 0 offset:788
	ds_read_b128 v[1:4], v194 offset:1568
	s_waitcnt vmcnt(57) lgkmcnt(1)
	v_mul_f64 v[215:216], v[5:6], v[159:160]
	v_mul_f64 v[159:160], v[7:8], v[159:160]
	s_waitcnt vmcnt(56)
	v_fma_f64 v[175:176], v[133:134], v[177:178], -v[175:176]
	v_add_f64 v[139:140], v[139:140], v[153:154]
	v_fma_f64 v[153:154], v[135:136], v[177:178], v[195:196]
	v_add_f64 v[137:138], v[137:138], v[165:166]
	s_clause 0x2
	buffer_load_dword v170, off, s[0:3], 0 offset:828
	buffer_load_dword v166, off, s[0:3], 0 offset:804
	buffer_load_dword v165, off, s[0:3], 0 offset:800
	ds_read_b128 v[133:136], v194 offset:1584
	s_waitcnt vmcnt(58) lgkmcnt(1)
	v_mul_f64 v[177:178], v[1:2], v[183:184]
	v_mul_f64 v[183:184], v[3:4], v[183:184]
	s_waitcnt vmcnt(56)
	v_fma_f64 v[159:160], v[5:6], v[163:164], -v[159:160]
	v_fma_f64 v[163:164], v[7:8], v[163:164], v[215:216]
	v_add_f64 v[139:140], v[139:140], v[175:176]
	v_add_f64 v[137:138], v[137:138], v[153:154]
	s_clause 0x4
	buffer_load_dword v154, off, s[0:3], 0 offset:844
	buffer_load_dword v175, off, s[0:3], 0 offset:856
	buffer_load_dword v195, off, s[0:3], 0 offset:848
	buffer_load_dword v153, off, s[0:3], 0 offset:840
	buffer_load_dword v202, off, s[0:3], 0 offset:820
	ds_read_b128 v[5:8], v194 offset:1600
	s_waitcnt vmcnt(57) lgkmcnt(1)
	v_mul_f64 v[215:216], v[133:134], v[167:168]
	v_mul_f64 v[167:168], v[135:136], v[167:168]
	s_waitcnt vmcnt(56)
	v_fma_f64 v[183:184], v[1:2], v[185:186], -v[183:184]
	v_add_f64 v[139:140], v[139:140], v[159:160]
	v_fma_f64 v[159:160], v[3:4], v[185:186], v[177:178]
	v_add_f64 v[137:138], v[137:138], v[163:164]
	s_clause 0x2
	buffer_load_dword v176, off, s[0:3], 0 offset:860
	buffer_load_dword v164, off, s[0:3], 0 offset:836
	buffer_load_dword v163, off, s[0:3], 0 offset:832
	ds_read_b128 v[1:4], v194 offset:1616
	s_waitcnt vmcnt(58) lgkmcnt(1)
	v_mul_f64 v[185:186], v[7:8], v[189:190]
	v_mul_f64 v[177:178], v[5:6], v[189:190]
	;; [unrolled: 28-line block ×4, first 2 shown]
	s_waitcnt vmcnt(56)
	v_fma_f64 v[181:182], v[5:6], v[187:188], -v[181:182]
	v_add_f64 v[139:140], v[139:140], v[179:180]
	v_fma_f64 v[179:180], v[7:8], v[187:188], v[215:216]
	v_add_f64 v[137:138], v[137:138], v[173:174]
	s_clause 0x4
	buffer_load_dword v174, off, s[0:3], 0 offset:940
	buffer_load_dword v187, off, s[0:3], 0 offset:952
	;; [unrolled: 1-line block ×5, first 2 shown]
	ds_read_b128 v[5:8], v194 offset:1696
	s_waitcnt vmcnt(57) lgkmcnt(1)
	v_mul_f64 v[215:216], v[133:134], v[145:146]
	v_mul_f64 v[145:146], v[135:136], v[145:146]
	s_waitcnt vmcnt(56)
	v_fma_f64 v[197:198], v[1:2], v[207:208], -v[197:198]
	v_fma_f64 v[177:178], v[3:4], v[207:208], v[177:178]
	v_add_f64 v[139:140], v[139:140], v[181:182]
	v_add_f64 v[137:138], v[137:138], v[179:180]
	s_clause 0x2
	buffer_load_dword v188, off, s[0:3], 0 offset:956
	buffer_load_dword v180, off, s[0:3], 0 offset:932
	;; [unrolled: 1-line block ×3, first 2 shown]
	ds_read_b128 v[1:4], v194 offset:1712
	s_waitcnt vmcnt(58) lgkmcnt(1)
	v_mul_f64 v[181:182], v[5:6], v[205:206]
	v_mul_f64 v[205:206], v[7:8], v[205:206]
	s_waitcnt vmcnt(56)
	v_fma_f64 v[145:146], v[133:134], v[151:152], -v[145:146]
	v_fma_f64 v[151:152], v[135:136], v[151:152], v[215:216]
	v_add_f64 v[139:140], v[139:140], v[197:198]
	v_add_f64 v[137:138], v[137:138], v[177:178]
	s_clause 0x4
	buffer_load_dword v178, off, s[0:3], 0 offset:972
	buffer_load_dword v197, off, s[0:3], 0 offset:984
	;; [unrolled: 1-line block ×5, first 2 shown]
	ds_read_b128 v[133:136], v194 offset:1728
	s_waitcnt vmcnt(57) lgkmcnt(1)
	v_mul_f64 v[215:216], v[1:2], v[157:158]
	v_mul_f64 v[157:158], v[3:4], v[157:158]
	s_waitcnt vmcnt(56)
	v_fma_f64 v[205:206], v[5:6], v[211:212], -v[205:206]
	v_add_f64 v[139:140], v[139:140], v[145:146]
	v_fma_f64 v[145:146], v[7:8], v[211:212], v[181:182]
	v_add_f64 v[137:138], v[137:138], v[151:152]
	s_clause 0x2
	buffer_load_dword v198, off, s[0:3], 0 offset:988
	buffer_load_dword v152, off, s[0:3], 0 offset:964
	;; [unrolled: 1-line block ×3, first 2 shown]
	ds_read_b128 v[5:8], v194 offset:1744
	s_waitcnt vmcnt(58) lgkmcnt(1)
	v_mul_f64 v[181:182], v[133:134], v[199:200]
	v_mul_f64 v[199:200], v[135:136], v[199:200]
	s_waitcnt vmcnt(56)
	v_fma_f64 v[157:158], v[1:2], v[149:150], -v[157:158]
	v_fma_f64 v[149:150], v[3:4], v[149:150], v[215:216]
	v_add_f64 v[139:140], v[139:140], v[205:206]
	v_add_f64 v[137:138], v[137:138], v[145:146]
	s_clause 0x2
	buffer_load_dword v146, off, s[0:3], 0 offset:1004
	buffer_load_dword v145, off, s[0:3], 0 offset:1000
	;; [unrolled: 1-line block ×3, first 2 shown]
	ds_read_b128 v[1:4], v194 offset:1760
	s_waitcnt vmcnt(55) lgkmcnt(1)
	v_mul_f64 v[205:206], v[5:6], v[143:144]
	v_mul_f64 v[143:144], v[7:8], v[143:144]
	s_waitcnt vmcnt(54)
	v_fma_f64 v[199:200], v[133:134], v[213:214], -v[199:200]
	v_add_f64 v[139:140], v[139:140], v[157:158]
	v_fma_f64 v[157:158], v[135:136], v[213:214], v[181:182]
	v_add_f64 v[137:138], v[137:138], v[149:150]
	s_clause 0x1
	buffer_load_dword v150, off, s[0:3], 0 offset:996
	buffer_load_dword v149, off, s[0:3], 0 offset:992
	ds_read_b128 v[133:136], v194 offset:1776
	s_waitcnt vmcnt(55) lgkmcnt(1)
	v_mul_f64 v[181:182], v[1:2], v[161:162]
	v_mul_f64 v[161:162], v[3:4], v[161:162]
	s_waitcnt vmcnt(53)
	v_fma_f64 v[143:144], v[5:6], v[155:156], -v[143:144]
	v_fma_f64 v[155:156], v[7:8], v[155:156], v[205:206]
	ds_read_b128 v[5:8], v194 offset:1792
	v_add_f64 v[139:140], v[139:140], v[199:200]
	v_add_f64 v[137:138], v[137:138], v[157:158]
	s_waitcnt vmcnt(49) lgkmcnt(1)
	v_mul_f64 v[157:158], v[133:134], v[147:148]
	v_mul_f64 v[147:148], v[135:136], v[147:148]
	s_waitcnt vmcnt(48)
	v_fma_f64 v[161:162], v[1:2], v[209:210], -v[161:162]
	v_add_f64 v[139:140], v[139:140], v[143:144]
	v_fma_f64 v[143:144], v[3:4], v[209:210], v[181:182]
	v_add_f64 v[137:138], v[137:138], v[155:156]
	s_clause 0x3
	buffer_load_dword v155, off, s[0:3], 0 offset:128
	buffer_load_dword v156, off, s[0:3], 0 offset:132
	;; [unrolled: 1-line block ×4, first 2 shown]
	ds_read_b128 v[1:4], v194 offset:1808
	s_waitcnt vmcnt(51) lgkmcnt(1)
	v_mul_f64 v[199:200], v[5:6], v[169:170]
	v_mul_f64 v[169:170], v[7:8], v[169:170]
	s_waitcnt vmcnt(49)
	v_fma_f64 v[147:148], v[133:134], v[165:166], -v[147:148]
	v_fma_f64 v[157:158], v[135:136], v[165:166], v[157:158]
	ds_read_b128 v[133:136], v194 offset:1824
	v_add_f64 v[139:140], v[139:140], v[161:162]
	v_add_f64 v[137:138], v[137:138], v[143:144]
	s_waitcnt vmcnt(45) lgkmcnt(1)
	v_mul_f64 v[143:144], v[1:2], v[153:154]
	v_mul_f64 v[153:154], v[3:4], v[153:154]
	s_waitcnt vmcnt(44)
	v_fma_f64 v[161:162], v[5:6], v[201:202], -v[169:170]
	v_add_f64 v[139:140], v[139:140], v[147:148]
	v_fma_f64 v[147:148], v[7:8], v[201:202], v[199:200]
	v_add_f64 v[137:138], v[137:138], v[157:158]
	ds_read_b128 v[5:8], v194 offset:1840
	s_waitcnt vmcnt(43) lgkmcnt(1)
	v_mul_f64 v[165:166], v[135:136], v[175:176]
	v_mul_f64 v[157:158], v[133:134], v[175:176]
	s_waitcnt vmcnt(41)
	v_fma_f64 v[153:154], v[1:2], v[163:164], -v[153:154]
	v_fma_f64 v[143:144], v[3:4], v[163:164], v[143:144]
	ds_read_b128 v[1:4], v194 offset:1856
	v_add_f64 v[139:140], v[139:140], v[161:162]
	v_add_f64 v[137:138], v[137:138], v[147:148]
	s_waitcnt vmcnt(37) lgkmcnt(1)
	v_mul_f64 v[147:148], v[5:6], v[159:160]
	v_mul_f64 v[159:160], v[7:8], v[159:160]
	s_waitcnt vmcnt(36)
	v_fma_f64 v[161:162], v[133:134], v[195:196], -v[165:166]
	v_add_f64 v[139:140], v[139:140], v[153:154]
	v_fma_f64 v[153:154], v[135:136], v[195:196], v[157:158]
	v_add_f64 v[137:138], v[137:138], v[143:144]
	ds_read_b128 v[133:136], v194 offset:1872
	s_waitcnt vmcnt(35) lgkmcnt(1)
	v_mul_f64 v[157:158], v[3:4], v[183:184]
	v_mul_f64 v[143:144], v[1:2], v[183:184]
	s_waitcnt vmcnt(33)
	v_fma_f64 v[159:160], v[5:6], v[171:172], -v[159:160]
	v_fma_f64 v[147:148], v[7:8], v[171:172], v[147:148]
	ds_read_b128 v[5:8], v194 offset:1888
	v_add_f64 v[139:140], v[139:140], v[161:162]
	v_add_f64 v[137:138], v[137:138], v[153:154]
	s_waitcnt vmcnt(29) lgkmcnt(1)
	v_mul_f64 v[161:162], v[135:136], v[167:168]
	s_waitcnt vmcnt(28)
	v_fma_f64 v[157:158], v[1:2], v[189:190], -v[157:158]
	v_mul_f64 v[153:154], v[133:134], v[167:168]
	v_fma_f64 v[143:144], v[3:4], v[189:190], v[143:144]
	ds_read_b128 v[1:4], v194 offset:1904
	v_add_f64 v[139:140], v[139:140], v[159:160]
	v_add_f64 v[137:138], v[137:138], v[147:148]
	s_waitcnt vmcnt(27) lgkmcnt(1)
	v_mul_f64 v[159:160], v[7:8], v[185:186]
	v_mul_f64 v[147:148], v[5:6], v[185:186]
	s_waitcnt vmcnt(25)
	v_fma_f64 v[161:162], v[133:134], v[141:142], -v[161:162]
	v_fma_f64 v[141:142], v[135:136], v[141:142], v[153:154]
	ds_read_b128 v[133:136], v194 offset:1920
	v_add_f64 v[139:140], v[139:140], v[157:158]
	v_add_f64 v[137:138], v[137:138], v[143:144]
	s_waitcnt vmcnt(21) lgkmcnt(1)
	v_mul_f64 v[153:154], v[3:4], v[173:174]
	s_waitcnt vmcnt(20)
	v_fma_f64 v[157:158], v[5:6], v[191:192], -v[159:160]
	v_mul_f64 v[143:144], v[1:2], v[173:174]
	v_fma_f64 v[147:148], v[7:8], v[191:192], v[147:148]
	ds_read_b128 v[5:8], v194 offset:1936
	v_add_f64 v[139:140], v[139:140], v[161:162]
	v_add_f64 v[137:138], v[137:138], v[141:142]
	;; [unrolled: 18-line block ×3, first 2 shown]
	s_waitcnt vmcnt(11) lgkmcnt(1)
	v_mul_f64 v[153:154], v[3:4], v[197:198]
	v_mul_f64 v[143:144], v[1:2], v[197:198]
	s_waitcnt vmcnt(9)
	v_fma_f64 v[5:6], v[5:6], v[151:152], -v[157:158]
	v_fma_f64 v[7:8], v[7:8], v[151:152], v[147:148]
	v_add_f64 v[139:140], v[139:140], v[159:160]
	v_add_f64 v[137:138], v[137:138], v[141:142]
	s_waitcnt vmcnt(7) lgkmcnt(0)
	v_mul_f64 v[141:142], v[133:134], v[145:146]
	v_mul_f64 v[145:146], v[135:136], v[145:146]
	s_waitcnt vmcnt(6)
	v_fma_f64 v[1:2], v[1:2], v[207:208], -v[153:154]
	v_fma_f64 v[3:4], v[3:4], v[207:208], v[143:144]
	v_add_f64 v[5:6], v[139:140], v[5:6]
	v_add_f64 v[7:8], v[137:138], v[7:8]
	s_waitcnt vmcnt(4)
	v_fma_f64 v[133:134], v[133:134], v[149:150], -v[145:146]
	v_add_f64 v[1:2], v[5:6], v[1:2]
	v_fma_f64 v[5:6], v[135:136], v[149:150], v[141:142]
	v_add_f64 v[3:4], v[7:8], v[3:4]
	v_add_f64 v[1:2], v[1:2], v[133:134]
	;; [unrolled: 1-line block ×3, first 2 shown]
	s_waitcnt vmcnt(2)
	v_add_f64 v[1:2], v[155:156], -v[1:2]
	s_waitcnt vmcnt(0)
	v_add_f64 v[3:4], v[181:182], -v[3:4]
	buffer_store_dword v2, off, s[0:3], 0 offset:132
	buffer_store_dword v1, off, s[0:3], 0 offset:128
	buffer_store_dword v4, off, s[0:3], 0 offset:140
	buffer_store_dword v3, off, s[0:3], 0 offset:136
	v_cmpx_lt_u32_e32 6, v0
	s_cbranch_execz .LBB125_385
; %bb.384:
	v_mov_b32_e32 v4, s70
	v_mov_b32_e32 v5, 0
	s_clause 0x3
	buffer_load_dword v1, v4, s[0:3], 0 offen
	buffer_load_dword v2, v4, s[0:3], 0 offen offset:4
	buffer_load_dword v3, v4, s[0:3], 0 offen offset:8
	;; [unrolled: 1-line block ×3, first 2 shown]
	buffer_store_dword v5, off, s[0:3], 0 offset:112
	buffer_store_dword v5, off, s[0:3], 0 offset:116
	;; [unrolled: 1-line block ×4, first 2 shown]
	s_waitcnt vmcnt(0)
	ds_write_b128 v193, v[1:4]
.LBB125_385:
	s_or_b32 exec_lo, exec_lo, s4
	s_waitcnt lgkmcnt(0)
	s_waitcnt_vscnt null, 0x0
	s_barrier
	buffer_gl0_inv
	s_clause 0x37
	buffer_load_dword v141, off, s[0:3], 0 offset:136
	buffer_load_dword v142, off, s[0:3], 0 offset:140
	;; [unrolled: 1-line block ×56, first 2 shown]
	v_mov_b32_e32 v194, 0
	s_mov_b32 s4, exec_lo
	ds_read_b128 v[5:8], v194 offset:1104
	s_clause 0x2
	buffer_load_dword v190, off, s[0:3], 0 offset:364
	buffer_load_dword v192, off, s[0:3], 0 offset:340
	;; [unrolled: 1-line block ×3, first 2 shown]
	ds_read_b128 v[1:4], v194 offset:1120
	s_clause 0x4
	buffer_load_dword v202, off, s[0:3], 0 offset:380
	buffer_load_dword v203, off, s[0:3], 0 offset:392
	;; [unrolled: 1-line block ×5, first 2 shown]
	ds_read_b128 v[195:198], v194 offset:1136
	s_waitcnt vmcnt(62) lgkmcnt(2)
	v_mul_f64 v[199:200], v[7:8], v[141:142]
	v_mul_f64 v[141:142], v[5:6], v[141:142]
	s_waitcnt vmcnt(60) lgkmcnt(1)
	v_mul_f64 v[206:207], v[3:4], v[137:138]
	v_mul_f64 v[137:138], v[1:2], v[137:138]
	;; [unrolled: 3-line block ×3, first 2 shown]
	v_fma_f64 v[199:200], v[5:6], v[139:140], -v[199:200]
	v_fma_f64 v[139:140], v[7:8], v[139:140], v[141:142]
	s_clause 0x2
	buffer_load_dword v204, off, s[0:3], 0 offset:396
	buffer_load_dword v142, off, s[0:3], 0 offset:372
	;; [unrolled: 1-line block ×3, first 2 shown]
	s_waitcnt vmcnt(57)
	v_fma_f64 v[210:211], v[1:2], v[133:134], -v[206:207]
	ds_read_b128 v[5:8], v194 offset:1152
	v_fma_f64 v[133:134], v[3:4], v[133:134], v[137:138]
	s_waitcnt vmcnt(51)
	v_fma_f64 v[195:196], v[195:196], v[157:158], -v[135:136]
	v_fma_f64 v[157:158], v[197:198], v[157:158], v[208:209]
	v_add_f64 v[199:200], v[199:200], 0
	v_add_f64 v[137:138], v[139:140], 0
	s_clause 0x4
	buffer_load_dword v140, off, s[0:3], 0 offset:412
	buffer_load_dword v207, off, s[0:3], 0 offset:424
	;; [unrolled: 1-line block ×5, first 2 shown]
	s_waitcnt lgkmcnt(0)
	v_mul_f64 v[213:214], v[5:6], v[145:146]
	v_mul_f64 v[145:146], v[7:8], v[145:146]
	ds_read_b128 v[1:4], v194 offset:1168
	s_clause 0x2
	buffer_load_dword v208, off, s[0:3], 0 offset:428
	buffer_load_dword v198, off, s[0:3], 0 offset:404
	;; [unrolled: 1-line block ×3, first 2 shown]
	v_add_f64 v[199:200], v[199:200], v[210:211]
	v_add_f64 v[137:138], v[137:138], v[133:134]
	ds_read_b128 v[133:136], v194 offset:1184
	s_waitcnt vmcnt(58) lgkmcnt(1)
	v_mul_f64 v[209:210], v[1:2], v[149:150]
	v_mul_f64 v[149:150], v[3:4], v[149:150]
	s_waitcnt vmcnt(56)
	v_fma_f64 v[145:146], v[5:6], v[151:152], -v[145:146]
	v_fma_f64 v[151:152], v[7:8], v[151:152], v[213:214]
	s_waitcnt vmcnt(52) lgkmcnt(0)
	v_mul_f64 v[215:216], v[133:134], v[153:154]
	v_add_f64 v[195:196], v[199:200], v[195:196]
	v_add_f64 v[137:138], v[137:138], v[157:158]
	s_clause 0x4
	buffer_load_dword v158, off, s[0:3], 0 offset:444
	buffer_load_dword v199, off, s[0:3], 0 offset:456
	buffer_load_dword v214, off, s[0:3], 0 offset:448
	buffer_load_dword v157, off, s[0:3], 0 offset:440
	buffer_load_dword v213, off, s[0:3], 0 offset:420
	v_mul_f64 v[153:154], v[135:136], v[153:154]
	s_waitcnt vmcnt(56)
	v_fma_f64 v[149:150], v[1:2], v[143:144], -v[149:150]
	ds_read_b128 v[5:8], v194 offset:1200
	v_fma_f64 v[143:144], v[3:4], v[143:144], v[209:210]
	v_add_f64 v[145:146], v[195:196], v[145:146]
	v_add_f64 v[137:138], v[137:138], v[151:152]
	s_clause 0x2
	buffer_load_dword v200, off, s[0:3], 0 offset:460
	buffer_load_dword v152, off, s[0:3], 0 offset:436
	;; [unrolled: 1-line block ×3, first 2 shown]
	s_waitcnt vmcnt(58) lgkmcnt(0)
	v_mul_f64 v[195:196], v[5:6], v[159:160]
	v_mul_f64 v[159:160], v[7:8], v[159:160]
	s_waitcnt vmcnt(56)
	v_fma_f64 v[153:154], v[133:134], v[161:162], -v[153:154]
	ds_read_b128 v[1:4], v194 offset:1216
	v_add_f64 v[145:146], v[145:146], v[149:150]
	v_fma_f64 v[149:150], v[135:136], v[161:162], v[215:216]
	v_add_f64 v[137:138], v[137:138], v[143:144]
	s_clause 0x4
	buffer_load_dword v144, off, s[0:3], 0 offset:476
	buffer_load_dword v161, off, s[0:3], 0 offset:488
	;; [unrolled: 1-line block ×5, first 2 shown]
	s_waitcnt vmcnt(57) lgkmcnt(0)
	v_mul_f64 v[210:211], v[1:2], v[163:164]
	v_mul_f64 v[163:164], v[3:4], v[163:164]
	s_waitcnt vmcnt(56)
	v_fma_f64 v[159:160], v[5:6], v[147:148], -v[159:160]
	ds_read_b128 v[133:136], v194 offset:1232
	v_fma_f64 v[147:148], v[7:8], v[147:148], v[195:196]
	v_add_f64 v[145:146], v[145:146], v[153:154]
	v_add_f64 v[137:138], v[137:138], v[149:150]
	s_clause 0x2
	buffer_load_dword v162, off, s[0:3], 0 offset:492
	buffer_load_dword v150, off, s[0:3], 0 offset:468
	;; [unrolled: 1-line block ×3, first 2 shown]
	ds_read_b128 v[5:8], v194 offset:1248
	s_waitcnt vmcnt(58) lgkmcnt(1)
	v_mul_f64 v[153:154], v[133:134], v[167:168]
	v_mul_f64 v[167:168], v[135:136], v[167:168]
	s_waitcnt vmcnt(56)
	v_fma_f64 v[163:164], v[1:2], v[169:170], -v[163:164]
	v_add_f64 v[145:146], v[145:146], v[159:160]
	v_fma_f64 v[159:160], v[3:4], v[169:170], v[210:211]
	v_add_f64 v[137:138], v[137:138], v[147:148]
	s_clause 0x4
	buffer_load_dword v148, off, s[0:3], 0 offset:508
	buffer_load_dword v169, off, s[0:3], 0 offset:520
	;; [unrolled: 1-line block ×5, first 2 shown]
	s_waitcnt vmcnt(57) lgkmcnt(0)
	v_mul_f64 v[216:217], v[5:6], v[171:172]
	v_mul_f64 v[171:172], v[7:8], v[171:172]
	s_waitcnt vmcnt(56)
	v_fma_f64 v[167:168], v[133:134], v[155:156], -v[167:168]
	ds_read_b128 v[1:4], v194 offset:1264
	v_fma_f64 v[153:154], v[135:136], v[155:156], v[153:154]
	s_clause 0x2
	buffer_load_dword v170, off, s[0:3], 0 offset:524
	buffer_load_dword v156, off, s[0:3], 0 offset:500
	;; [unrolled: 1-line block ×3, first 2 shown]
	ds_read_b128 v[133:136], v194 offset:1280
	v_add_f64 v[145:146], v[145:146], v[163:164]
	v_add_f64 v[137:138], v[137:138], v[159:160]
	s_waitcnt vmcnt(58) lgkmcnt(1)
	v_mul_f64 v[163:164], v[3:4], v[175:176]
	s_waitcnt vmcnt(56)
	v_fma_f64 v[171:172], v[5:6], v[177:178], -v[171:172]
	v_mul_f64 v[159:160], v[1:2], v[175:176]
	v_add_f64 v[145:146], v[145:146], v[167:168]
	v_fma_f64 v[167:168], v[7:8], v[177:178], v[216:217]
	v_add_f64 v[137:138], v[137:138], v[153:154]
	s_clause 0x4
	buffer_load_dword v154, off, s[0:3], 0 offset:540
	buffer_load_dword v175, off, s[0:3], 0 offset:552
	;; [unrolled: 1-line block ×5, first 2 shown]
	s_waitcnt vmcnt(57) lgkmcnt(0)
	v_mul_f64 v[216:217], v[133:134], v[179:180]
	v_mul_f64 v[178:179], v[135:136], v[179:180]
	s_waitcnt vmcnt(56)
	v_fma_f64 v[163:164], v[1:2], v[165:166], -v[163:164]
	ds_read_b128 v[5:8], v194 offset:1296
	v_fma_f64 v[159:160], v[3:4], v[165:166], v[159:160]
	s_clause 0x2
	buffer_load_dword v176, off, s[0:3], 0 offset:556
	buffer_load_dword v166, off, s[0:3], 0 offset:532
	;; [unrolled: 1-line block ×3, first 2 shown]
	ds_read_b128 v[1:4], v194 offset:1312
	v_add_f64 v[145:146], v[145:146], v[171:172]
	v_add_f64 v[137:138], v[137:138], v[167:168]
	s_waitcnt vmcnt(58) lgkmcnt(1)
	v_mul_f64 v[171:172], v[7:8], v[183:184]
	s_waitcnt vmcnt(56)
	v_fma_f64 v[179:180], v[133:134], v[185:186], -v[178:179]
	v_mul_f64 v[167:168], v[5:6], v[183:184]
	v_add_f64 v[145:146], v[145:146], v[163:164]
	v_fma_f64 v[163:164], v[135:136], v[185:186], v[216:217]
	v_add_f64 v[137:138], v[137:138], v[159:160]
	s_clause 0x4
	buffer_load_dword v160, off, s[0:3], 0 offset:572
	buffer_load_dword v183, off, s[0:3], 0 offset:584
	;; [unrolled: 1-line block ×5, first 2 shown]
	s_waitcnt vmcnt(57) lgkmcnt(0)
	v_mul_f64 v[216:217], v[1:2], v[187:188]
	v_mul_f64 v[186:187], v[3:4], v[187:188]
	s_waitcnt vmcnt(56)
	v_fma_f64 v[171:172], v[5:6], v[173:174], -v[171:172]
	ds_read_b128 v[133:136], v194 offset:1328
	v_fma_f64 v[167:168], v[7:8], v[173:174], v[167:168]
	v_add_f64 v[145:146], v[145:146], v[179:180]
	v_add_f64 v[137:138], v[137:138], v[163:164]
	s_clause 0x2
	buffer_load_dword v184, off, s[0:3], 0 offset:588
	buffer_load_dword v164, off, s[0:3], 0 offset:564
	;; [unrolled: 1-line block ×3, first 2 shown]
	ds_read_b128 v[5:8], v194 offset:1344
	s_waitcnt vmcnt(58) lgkmcnt(1)
	v_mul_f64 v[179:180], v[135:136], v[189:190]
	s_waitcnt vmcnt(56)
	v_fma_f64 v[187:188], v[1:2], v[191:192], -v[186:187]
	v_mul_f64 v[173:174], v[133:134], v[189:190]
	v_add_f64 v[145:146], v[145:146], v[171:172]
	v_fma_f64 v[171:172], v[3:4], v[191:192], v[216:217]
	v_add_f64 v[137:138], v[137:138], v[167:168]
	s_clause 0x4
	buffer_load_dword v168, off, s[0:3], 0 offset:604
	buffer_load_dword v189, off, s[0:3], 0 offset:616
	;; [unrolled: 1-line block ×5, first 2 shown]
	s_waitcnt vmcnt(57) lgkmcnt(0)
	v_mul_f64 v[216:217], v[5:6], v[201:202]
	v_mul_f64 v[201:202], v[7:8], v[201:202]
	s_waitcnt vmcnt(56)
	v_fma_f64 v[179:180], v[133:134], v[181:182], -v[179:180]
	ds_read_b128 v[1:4], v194 offset:1360
	v_fma_f64 v[173:174], v[135:136], v[181:182], v[173:174]
	v_add_f64 v[145:146], v[145:146], v[187:188]
	v_add_f64 v[137:138], v[137:138], v[171:172]
	s_clause 0x2
	buffer_load_dword v190, off, s[0:3], 0 offset:620
	buffer_load_dword v172, off, s[0:3], 0 offset:596
	buffer_load_dword v171, off, s[0:3], 0 offset:592
	ds_read_b128 v[133:136], v194 offset:1376
	s_waitcnt vmcnt(58) lgkmcnt(1)
	v_mul_f64 v[187:188], v[3:4], v[203:204]
	v_mul_f64 v[181:182], v[1:2], v[203:204]
	s_waitcnt vmcnt(56)
	v_fma_f64 v[201:202], v[5:6], v[141:142], -v[201:202]
	v_fma_f64 v[141:142], v[7:8], v[141:142], v[216:217]
	v_add_f64 v[145:146], v[145:146], v[179:180]
	v_add_f64 v[137:138], v[137:138], v[173:174]
	s_clause 0x4
	buffer_load_dword v174, off, s[0:3], 0 offset:636
	buffer_load_dword v179, off, s[0:3], 0 offset:648
	;; [unrolled: 1-line block ×5, first 2 shown]
	ds_read_b128 v[5:8], v194 offset:1392
	s_waitcnt vmcnt(57) lgkmcnt(1)
	v_mul_f64 v[216:217], v[133:134], v[139:140]
	v_mul_f64 v[139:140], v[135:136], v[139:140]
	s_waitcnt vmcnt(56)
	v_fma_f64 v[187:188], v[1:2], v[205:206], -v[187:188]
	v_fma_f64 v[181:182], v[3:4], v[205:206], v[181:182]
	v_add_f64 v[145:146], v[145:146], v[201:202]
	v_add_f64 v[137:138], v[137:138], v[141:142]
	s_clause 0x2
	buffer_load_dword v180, off, s[0:3], 0 offset:652
	buffer_load_dword v142, off, s[0:3], 0 offset:628
	;; [unrolled: 1-line block ×3, first 2 shown]
	s_waitcnt vmcnt(58) lgkmcnt(0)
	v_mul_f64 v[205:206], v[7:8], v[207:208]
	ds_read_b128 v[1:4], v194 offset:1408
	v_mul_f64 v[201:202], v[5:6], v[207:208]
	s_waitcnt vmcnt(56)
	v_fma_f64 v[139:140], v[133:134], v[197:198], -v[139:140]
	v_add_f64 v[145:146], v[145:146], v[187:188]
	v_fma_f64 v[187:188], v[135:136], v[197:198], v[216:217]
	v_add_f64 v[137:138], v[137:138], v[181:182]
	s_clause 0x4
	buffer_load_dword v182, off, s[0:3], 0 offset:668
	buffer_load_dword v197, off, s[0:3], 0 offset:680
	;; [unrolled: 1-line block ×5, first 2 shown]
	ds_read_b128 v[133:136], v194 offset:1424
	s_waitcnt vmcnt(57) lgkmcnt(1)
	v_mul_f64 v[216:217], v[1:2], v[157:158]
	v_mul_f64 v[157:158], v[3:4], v[157:158]
	s_waitcnt vmcnt(56)
	v_fma_f64 v[205:206], v[5:6], v[212:213], -v[205:206]
	v_add_f64 v[139:140], v[145:146], v[139:140]
	v_fma_f64 v[145:146], v[7:8], v[212:213], v[201:202]
	v_add_f64 v[137:138], v[137:138], v[187:188]
	s_clause 0x2
	buffer_load_dword v198, off, s[0:3], 0 offset:684
	buffer_load_dword v188, off, s[0:3], 0 offset:660
	;; [unrolled: 1-line block ×3, first 2 shown]
	ds_read_b128 v[5:8], v194 offset:1440
	s_waitcnt vmcnt(58) lgkmcnt(1)
	v_mul_f64 v[201:202], v[133:134], v[199:200]
	v_mul_f64 v[199:200], v[135:136], v[199:200]
	s_waitcnt vmcnt(56)
	v_fma_f64 v[157:158], v[1:2], v[151:152], -v[157:158]
	v_fma_f64 v[151:152], v[3:4], v[151:152], v[216:217]
	v_add_f64 v[139:140], v[139:140], v[205:206]
	v_add_f64 v[137:138], v[137:138], v[145:146]
	s_clause 0x4
	buffer_load_dword v146, off, s[0:3], 0 offset:700
	buffer_load_dword v205, off, s[0:3], 0 offset:712
	buffer_load_dword v211, off, s[0:3], 0 offset:704
	buffer_load_dword v145, off, s[0:3], 0 offset:696
	buffer_load_dword v208, off, s[0:3], 0 offset:676
	ds_read_b128 v[1:4], v194 offset:1456
	s_waitcnt vmcnt(57) lgkmcnt(1)
	v_mul_f64 v[212:213], v[5:6], v[143:144]
	v_mul_f64 v[143:144], v[7:8], v[143:144]
	s_waitcnt vmcnt(56)
	v_fma_f64 v[199:200], v[133:134], v[214:215], -v[199:200]
	v_add_f64 v[139:140], v[139:140], v[157:158]
	v_fma_f64 v[157:158], v[135:136], v[214:215], v[201:202]
	v_add_f64 v[137:138], v[137:138], v[151:152]
	s_clause 0x2
	buffer_load_dword v206, off, s[0:3], 0 offset:716
	buffer_load_dword v152, off, s[0:3], 0 offset:692
	;; [unrolled: 1-line block ×3, first 2 shown]
	ds_read_b128 v[133:136], v194 offset:1472
	s_waitcnt vmcnt(58) lgkmcnt(1)
	v_mul_f64 v[201:202], v[1:2], v[161:162]
	v_mul_f64 v[161:162], v[3:4], v[161:162]
	s_waitcnt vmcnt(56)
	v_fma_f64 v[143:144], v[5:6], v[149:150], -v[143:144]
	v_fma_f64 v[149:150], v[7:8], v[149:150], v[212:213]
	v_add_f64 v[139:140], v[139:140], v[199:200]
	v_add_f64 v[137:138], v[137:138], v[157:158]
	s_clause 0x4
	buffer_load_dword v158, off, s[0:3], 0 offset:732
	buffer_load_dword v199, off, s[0:3], 0 offset:744
	;; [unrolled: 1-line block ×5, first 2 shown]
	ds_read_b128 v[5:8], v194 offset:1488
	s_waitcnt vmcnt(57) lgkmcnt(1)
	v_mul_f64 v[214:215], v[133:134], v[147:148]
	v_mul_f64 v[147:148], v[135:136], v[147:148]
	s_waitcnt vmcnt(56)
	v_fma_f64 v[161:162], v[1:2], v[209:210], -v[161:162]
	v_add_f64 v[139:140], v[139:140], v[143:144]
	v_fma_f64 v[143:144], v[3:4], v[209:210], v[201:202]
	v_add_f64 v[137:138], v[137:138], v[149:150]
	s_clause 0x2
	buffer_load_dword v200, off, s[0:3], 0 offset:748
	buffer_load_dword v150, off, s[0:3], 0 offset:724
	;; [unrolled: 1-line block ×3, first 2 shown]
	s_waitcnt vmcnt(58) lgkmcnt(0)
	v_mul_f64 v[201:202], v[5:6], v[169:170]
	v_mul_f64 v[169:170], v[7:8], v[169:170]
	ds_read_b128 v[1:4], v194 offset:1504
	s_waitcnt vmcnt(56)
	v_fma_f64 v[147:148], v[133:134], v[155:156], -v[147:148]
	v_fma_f64 v[155:156], v[135:136], v[155:156], v[214:215]
	v_add_f64 v[139:140], v[139:140], v[161:162]
	v_add_f64 v[137:138], v[137:138], v[143:144]
	s_clause 0x4
	buffer_load_dword v144, off, s[0:3], 0 offset:764
	buffer_load_dword v161, off, s[0:3], 0 offset:776
	;; [unrolled: 1-line block ×5, first 2 shown]
	ds_read_b128 v[133:136], v194 offset:1520
	s_waitcnt vmcnt(57) lgkmcnt(1)
	v_mul_f64 v[215:216], v[1:2], v[153:154]
	v_mul_f64 v[153:154], v[3:4], v[153:154]
	s_waitcnt vmcnt(56)
	v_fma_f64 v[169:170], v[5:6], v[195:196], -v[169:170]
	v_add_f64 v[139:140], v[139:140], v[147:148]
	v_fma_f64 v[147:148], v[7:8], v[195:196], v[201:202]
	v_add_f64 v[137:138], v[137:138], v[155:156]
	s_clause 0x2
	buffer_load_dword v162, off, s[0:3], 0 offset:780
	buffer_load_dword v156, off, s[0:3], 0 offset:756
	;; [unrolled: 1-line block ×3, first 2 shown]
	s_waitcnt vmcnt(58) lgkmcnt(0)
	v_mul_f64 v[195:196], v[133:134], v[175:176]
	v_mul_f64 v[175:176], v[135:136], v[175:176]
	ds_read_b128 v[5:8], v194 offset:1536
	s_waitcnt vmcnt(56)
	v_fma_f64 v[153:154], v[1:2], v[165:166], -v[153:154]
	v_fma_f64 v[165:166], v[3:4], v[165:166], v[215:216]
	v_add_f64 v[139:140], v[139:140], v[169:170]
	v_add_f64 v[137:138], v[137:138], v[147:148]
	s_clause 0x4
	buffer_load_dword v148, off, s[0:3], 0 offset:796
	buffer_load_dword v169, off, s[0:3], 0 offset:808
	buffer_load_dword v201, off, s[0:3], 0 offset:800
	buffer_load_dword v147, off, s[0:3], 0 offset:792
	buffer_load_dword v210, off, s[0:3], 0 offset:772
	ds_read_b128 v[1:4], v194 offset:1552
	s_waitcnt vmcnt(57) lgkmcnt(1)
	v_mul_f64 v[215:216], v[5:6], v[159:160]
	v_mul_f64 v[159:160], v[7:8], v[159:160]
	s_waitcnt vmcnt(56)
	v_fma_f64 v[175:176], v[133:134], v[177:178], -v[175:176]
	v_add_f64 v[139:140], v[139:140], v[153:154]
	v_fma_f64 v[153:154], v[135:136], v[177:178], v[195:196]
	v_add_f64 v[137:138], v[137:138], v[165:166]
	s_clause 0x2
	buffer_load_dword v170, off, s[0:3], 0 offset:812
	buffer_load_dword v166, off, s[0:3], 0 offset:788
	buffer_load_dword v165, off, s[0:3], 0 offset:784
	ds_read_b128 v[133:136], v194 offset:1568
	s_waitcnt vmcnt(58) lgkmcnt(1)
	v_mul_f64 v[177:178], v[1:2], v[183:184]
	v_mul_f64 v[183:184], v[3:4], v[183:184]
	s_waitcnt vmcnt(56)
	v_fma_f64 v[159:160], v[5:6], v[163:164], -v[159:160]
	v_fma_f64 v[163:164], v[7:8], v[163:164], v[215:216]
	v_add_f64 v[139:140], v[139:140], v[175:176]
	v_add_f64 v[137:138], v[137:138], v[153:154]
	s_clause 0x4
	buffer_load_dword v154, off, s[0:3], 0 offset:828
	buffer_load_dword v175, off, s[0:3], 0 offset:840
	buffer_load_dword v195, off, s[0:3], 0 offset:832
	buffer_load_dword v153, off, s[0:3], 0 offset:824
	buffer_load_dword v202, off, s[0:3], 0 offset:804
	ds_read_b128 v[5:8], v194 offset:1584
	s_waitcnt vmcnt(57) lgkmcnt(1)
	v_mul_f64 v[215:216], v[133:134], v[167:168]
	v_mul_f64 v[167:168], v[135:136], v[167:168]
	s_waitcnt vmcnt(56)
	v_fma_f64 v[183:184], v[1:2], v[185:186], -v[183:184]
	v_add_f64 v[139:140], v[139:140], v[159:160]
	v_fma_f64 v[159:160], v[3:4], v[185:186], v[177:178]
	v_add_f64 v[137:138], v[137:138], v[163:164]
	s_clause 0x2
	buffer_load_dword v176, off, s[0:3], 0 offset:844
	buffer_load_dword v164, off, s[0:3], 0 offset:820
	buffer_load_dword v163, off, s[0:3], 0 offset:816
	ds_read_b128 v[1:4], v194 offset:1600
	s_waitcnt vmcnt(58) lgkmcnt(1)
	v_mul_f64 v[185:186], v[7:8], v[189:190]
	v_mul_f64 v[177:178], v[5:6], v[189:190]
	s_waitcnt vmcnt(56)
	v_fma_f64 v[167:168], v[133:134], v[171:172], -v[167:168]
	v_fma_f64 v[171:172], v[135:136], v[171:172], v[215:216]
	v_add_f64 v[139:140], v[139:140], v[183:184]
	v_add_f64 v[137:138], v[137:138], v[159:160]
	s_clause 0x4
	buffer_load_dword v160, off, s[0:3], 0 offset:860
	buffer_load_dword v183, off, s[0:3], 0 offset:872
	buffer_load_dword v189, off, s[0:3], 0 offset:864
	buffer_load_dword v159, off, s[0:3], 0 offset:856
	buffer_load_dword v196, off, s[0:3], 0 offset:836
	ds_read_b128 v[133:136], v194 offset:1616
	s_waitcnt vmcnt(57) lgkmcnt(1)
	v_mul_f64 v[215:216], v[1:2], v[173:174]
	v_mul_f64 v[173:174], v[3:4], v[173:174]
	s_waitcnt vmcnt(56)
	v_fma_f64 v[185:186], v[5:6], v[191:192], -v[185:186]
	v_add_f64 v[139:140], v[139:140], v[167:168]
	v_fma_f64 v[167:168], v[7:8], v[191:192], v[177:178]
	v_add_f64 v[137:138], v[137:138], v[171:172]
	s_clause 0x2
	buffer_load_dword v184, off, s[0:3], 0 offset:876
	buffer_load_dword v172, off, s[0:3], 0 offset:852
	buffer_load_dword v171, off, s[0:3], 0 offset:848
	ds_read_b128 v[5:8], v194 offset:1632
	s_waitcnt vmcnt(58) lgkmcnt(1)
	v_mul_f64 v[177:178], v[133:134], v[179:180]
	v_mul_f64 v[179:180], v[135:136], v[179:180]
	s_waitcnt vmcnt(56)
	v_fma_f64 v[173:174], v[1:2], v[141:142], -v[173:174]
	v_fma_f64 v[141:142], v[3:4], v[141:142], v[215:216]
	v_add_f64 v[139:140], v[139:140], v[185:186]
	v_add_f64 v[137:138], v[137:138], v[167:168]
	s_clause 0x4
	buffer_load_dword v168, off, s[0:3], 0 offset:892
	buffer_load_dword v185, off, s[0:3], 0 offset:904
	buffer_load_dword v191, off, s[0:3], 0 offset:896
	buffer_load_dword v167, off, s[0:3], 0 offset:888
	buffer_load_dword v190, off, s[0:3], 0 offset:868
	ds_read_b128 v[1:4], v194 offset:1648
	s_waitcnt vmcnt(57) lgkmcnt(1)
	v_mul_f64 v[215:216], v[5:6], v[181:182]
	v_mul_f64 v[181:182], v[7:8], v[181:182]
	s_waitcnt vmcnt(56)
	v_fma_f64 v[179:180], v[133:134], v[203:204], -v[179:180]
	v_add_f64 v[139:140], v[139:140], v[173:174]
	v_fma_f64 v[173:174], v[135:136], v[203:204], v[177:178]
	v_add_f64 v[137:138], v[137:138], v[141:142]
	s_clause 0x2
	buffer_load_dword v186, off, s[0:3], 0 offset:908
	buffer_load_dword v142, off, s[0:3], 0 offset:884
	buffer_load_dword v141, off, s[0:3], 0 offset:880
	ds_read_b128 v[133:136], v194 offset:1664
	s_waitcnt vmcnt(58) lgkmcnt(1)
	v_mul_f64 v[177:178], v[1:2], v[197:198]
	v_mul_f64 v[197:198], v[3:4], v[197:198]
	s_waitcnt vmcnt(56)
	v_fma_f64 v[181:182], v[5:6], v[187:188], -v[181:182]
	v_add_f64 v[139:140], v[139:140], v[179:180]
	v_fma_f64 v[179:180], v[7:8], v[187:188], v[215:216]
	v_add_f64 v[137:138], v[137:138], v[173:174]
	s_clause 0x4
	buffer_load_dword v174, off, s[0:3], 0 offset:924
	buffer_load_dword v187, off, s[0:3], 0 offset:936
	buffer_load_dword v203, off, s[0:3], 0 offset:928
	buffer_load_dword v173, off, s[0:3], 0 offset:920
	buffer_load_dword v192, off, s[0:3], 0 offset:900
	ds_read_b128 v[5:8], v194 offset:1680
	s_waitcnt vmcnt(57) lgkmcnt(1)
	v_mul_f64 v[215:216], v[133:134], v[145:146]
	v_mul_f64 v[145:146], v[135:136], v[145:146]
	s_waitcnt vmcnt(56)
	v_fma_f64 v[197:198], v[1:2], v[207:208], -v[197:198]
	v_fma_f64 v[177:178], v[3:4], v[207:208], v[177:178]
	v_add_f64 v[139:140], v[139:140], v[181:182]
	v_add_f64 v[137:138], v[137:138], v[179:180]
	s_clause 0x2
	buffer_load_dword v188, off, s[0:3], 0 offset:940
	buffer_load_dword v180, off, s[0:3], 0 offset:916
	;; [unrolled: 1-line block ×3, first 2 shown]
	ds_read_b128 v[1:4], v194 offset:1696
	s_waitcnt vmcnt(58) lgkmcnt(1)
	v_mul_f64 v[181:182], v[5:6], v[205:206]
	v_mul_f64 v[205:206], v[7:8], v[205:206]
	s_waitcnt vmcnt(56)
	v_fma_f64 v[145:146], v[133:134], v[151:152], -v[145:146]
	v_fma_f64 v[151:152], v[135:136], v[151:152], v[215:216]
	v_add_f64 v[139:140], v[139:140], v[197:198]
	v_add_f64 v[137:138], v[137:138], v[177:178]
	s_clause 0x4
	buffer_load_dword v178, off, s[0:3], 0 offset:956
	buffer_load_dword v197, off, s[0:3], 0 offset:968
	;; [unrolled: 1-line block ×5, first 2 shown]
	ds_read_b128 v[133:136], v194 offset:1712
	s_waitcnt vmcnt(57) lgkmcnt(1)
	v_mul_f64 v[215:216], v[1:2], v[157:158]
	v_mul_f64 v[157:158], v[3:4], v[157:158]
	s_waitcnt vmcnt(56)
	v_fma_f64 v[205:206], v[5:6], v[211:212], -v[205:206]
	v_add_f64 v[139:140], v[139:140], v[145:146]
	v_fma_f64 v[145:146], v[7:8], v[211:212], v[181:182]
	v_add_f64 v[137:138], v[137:138], v[151:152]
	s_clause 0x2
	buffer_load_dword v198, off, s[0:3], 0 offset:972
	buffer_load_dword v152, off, s[0:3], 0 offset:948
	;; [unrolled: 1-line block ×3, first 2 shown]
	ds_read_b128 v[5:8], v194 offset:1728
	s_waitcnt vmcnt(58) lgkmcnt(1)
	v_mul_f64 v[181:182], v[133:134], v[199:200]
	v_mul_f64 v[199:200], v[135:136], v[199:200]
	s_waitcnt vmcnt(56)
	v_fma_f64 v[157:158], v[1:2], v[149:150], -v[157:158]
	v_fma_f64 v[149:150], v[3:4], v[149:150], v[215:216]
	v_add_f64 v[139:140], v[139:140], v[205:206]
	v_add_f64 v[137:138], v[137:138], v[145:146]
	s_clause 0x4
	buffer_load_dword v146, off, s[0:3], 0 offset:988
	buffer_load_dword v205, off, s[0:3], 0 offset:1000
	;; [unrolled: 1-line block ×5, first 2 shown]
	ds_read_b128 v[1:4], v194 offset:1744
	s_waitcnt vmcnt(57) lgkmcnt(1)
	v_mul_f64 v[215:216], v[5:6], v[143:144]
	v_mul_f64 v[143:144], v[7:8], v[143:144]
	s_waitcnt vmcnt(56)
	v_fma_f64 v[199:200], v[133:134], v[213:214], -v[199:200]
	v_add_f64 v[139:140], v[139:140], v[157:158]
	v_fma_f64 v[157:158], v[135:136], v[213:214], v[181:182]
	v_add_f64 v[137:138], v[137:138], v[149:150]
	s_clause 0x2
	buffer_load_dword v206, off, s[0:3], 0 offset:1004
	buffer_load_dword v150, off, s[0:3], 0 offset:980
	;; [unrolled: 1-line block ×3, first 2 shown]
	ds_read_b128 v[133:136], v194 offset:1760
	buffer_load_dword v212, off, s[0:3], 0 offset:996
	s_waitcnt vmcnt(59) lgkmcnt(1)
	v_mul_f64 v[181:182], v[1:2], v[161:162]
	v_mul_f64 v[161:162], v[3:4], v[161:162]
	s_waitcnt vmcnt(57)
	v_fma_f64 v[143:144], v[5:6], v[155:156], -v[143:144]
	v_fma_f64 v[155:156], v[7:8], v[155:156], v[215:216]
	ds_read_b128 v[5:8], v194 offset:1776
	v_add_f64 v[139:140], v[139:140], v[199:200]
	v_add_f64 v[137:138], v[137:138], v[157:158]
	s_waitcnt vmcnt(53) lgkmcnt(1)
	v_mul_f64 v[157:158], v[133:134], v[147:148]
	v_mul_f64 v[147:148], v[135:136], v[147:148]
	s_waitcnt vmcnt(52)
	v_fma_f64 v[161:162], v[1:2], v[209:210], -v[161:162]
	v_add_f64 v[139:140], v[139:140], v[143:144]
	v_fma_f64 v[143:144], v[3:4], v[209:210], v[181:182]
	v_add_f64 v[137:138], v[137:138], v[155:156]
	ds_read_b128 v[1:4], v194 offset:1792
	s_waitcnt vmcnt(51) lgkmcnt(1)
	v_mul_f64 v[155:156], v[5:6], v[169:170]
	v_mul_f64 v[169:170], v[7:8], v[169:170]
	s_waitcnt vmcnt(49)
	v_fma_f64 v[147:148], v[133:134], v[165:166], -v[147:148]
	v_fma_f64 v[157:158], v[135:136], v[165:166], v[157:158]
	v_add_f64 v[139:140], v[139:140], v[161:162]
	v_add_f64 v[137:138], v[137:138], v[143:144]
	s_clause 0x3
	buffer_load_dword v143, off, s[0:3], 0 offset:112
	buffer_load_dword v144, off, s[0:3], 0 offset:116
	;; [unrolled: 1-line block ×4, first 2 shown]
	ds_read_b128 v[133:136], v194 offset:1808
	s_waitcnt vmcnt(49) lgkmcnt(1)
	v_mul_f64 v[165:166], v[1:2], v[153:154]
	v_mul_f64 v[153:154], v[3:4], v[153:154]
	s_waitcnt vmcnt(48)
	v_fma_f64 v[169:170], v[5:6], v[201:202], -v[169:170]
	v_add_f64 v[139:140], v[139:140], v[147:148]
	v_fma_f64 v[147:148], v[7:8], v[201:202], v[155:156]
	v_add_f64 v[137:138], v[137:138], v[157:158]
	ds_read_b128 v[5:8], v194 offset:1824
	s_waitcnt vmcnt(47) lgkmcnt(1)
	v_mul_f64 v[157:158], v[135:136], v[175:176]
	v_mul_f64 v[155:156], v[133:134], v[175:176]
	s_waitcnt vmcnt(45)
	v_fma_f64 v[153:154], v[1:2], v[163:164], -v[153:154]
	v_fma_f64 v[163:164], v[3:4], v[163:164], v[165:166]
	ds_read_b128 v[1:4], v194 offset:1840
	v_add_f64 v[139:140], v[139:140], v[169:170]
	v_add_f64 v[137:138], v[137:138], v[147:148]
	s_waitcnt vmcnt(41) lgkmcnt(1)
	v_mul_f64 v[147:148], v[5:6], v[159:160]
	v_mul_f64 v[159:160], v[7:8], v[159:160]
	s_waitcnt vmcnt(40)
	v_fma_f64 v[157:158], v[133:134], v[195:196], -v[157:158]
	v_add_f64 v[139:140], v[139:140], v[153:154]
	v_fma_f64 v[153:154], v[135:136], v[195:196], v[155:156]
	v_add_f64 v[137:138], v[137:138], v[163:164]
	ds_read_b128 v[133:136], v194 offset:1856
	s_waitcnt vmcnt(39) lgkmcnt(1)
	v_mul_f64 v[163:164], v[3:4], v[183:184]
	v_mul_f64 v[155:156], v[1:2], v[183:184]
	s_waitcnt vmcnt(37)
	v_fma_f64 v[159:160], v[5:6], v[171:172], -v[159:160]
	v_fma_f64 v[147:148], v[7:8], v[171:172], v[147:148]
	ds_read_b128 v[5:8], v194 offset:1872
	v_add_f64 v[139:140], v[139:140], v[157:158]
	v_add_f64 v[137:138], v[137:138], v[153:154]
	s_waitcnt vmcnt(33) lgkmcnt(1)
	v_mul_f64 v[157:158], v[135:136], v[167:168]
	s_waitcnt vmcnt(32)
	v_fma_f64 v[163:164], v[1:2], v[189:190], -v[163:164]
	v_mul_f64 v[153:154], v[133:134], v[167:168]
	v_fma_f64 v[155:156], v[3:4], v[189:190], v[155:156]
	ds_read_b128 v[1:4], v194 offset:1888
	v_add_f64 v[139:140], v[139:140], v[159:160]
	v_add_f64 v[137:138], v[137:138], v[147:148]
	s_waitcnt vmcnt(31) lgkmcnt(1)
	v_mul_f64 v[159:160], v[7:8], v[185:186]
	v_mul_f64 v[147:148], v[5:6], v[185:186]
	s_waitcnt vmcnt(29)
	v_fma_f64 v[157:158], v[133:134], v[141:142], -v[157:158]
	v_fma_f64 v[141:142], v[135:136], v[141:142], v[153:154]
	ds_read_b128 v[133:136], v194 offset:1904
	v_add_f64 v[139:140], v[139:140], v[163:164]
	v_add_f64 v[137:138], v[137:138], v[155:156]
	s_waitcnt vmcnt(25) lgkmcnt(1)
	v_mul_f64 v[155:156], v[3:4], v[173:174]
	s_waitcnt vmcnt(24)
	v_fma_f64 v[159:160], v[5:6], v[191:192], -v[159:160]
	v_mul_f64 v[153:154], v[1:2], v[173:174]
	v_fma_f64 v[147:148], v[7:8], v[191:192], v[147:148]
	ds_read_b128 v[5:8], v194 offset:1920
	v_add_f64 v[139:140], v[139:140], v[157:158]
	v_add_f64 v[137:138], v[137:138], v[141:142]
	;; [unrolled: 18-line block ×3, first 2 shown]
	s_waitcnt vmcnt(15) lgkmcnt(1)
	v_mul_f64 v[155:156], v[3:4], v[197:198]
	v_mul_f64 v[153:154], v[1:2], v[197:198]
	s_waitcnt vmcnt(13)
	v_fma_f64 v[159:160], v[5:6], v[151:152], -v[159:160]
	v_fma_f64 v[147:148], v[7:8], v[151:152], v[147:148]
	ds_read_b128 v[5:8], v194 offset:1968
	v_add_f64 v[139:140], v[139:140], v[157:158]
	v_add_f64 v[137:138], v[137:138], v[141:142]
	s_waitcnt vmcnt(9) lgkmcnt(1)
	v_mul_f64 v[141:142], v[133:134], v[145:146]
	v_mul_f64 v[145:146], v[135:136], v[145:146]
	s_waitcnt vmcnt(8)
	v_fma_f64 v[1:2], v[1:2], v[207:208], -v[155:156]
	v_fma_f64 v[3:4], v[3:4], v[207:208], v[153:154]
	v_add_f64 v[139:140], v[139:140], v[159:160]
	v_add_f64 v[137:138], v[137:138], v[147:148]
	s_waitcnt vmcnt(7) lgkmcnt(0)
	v_mul_f64 v[151:152], v[7:8], v[205:206]
	v_mul_f64 v[147:148], v[5:6], v[205:206]
	s_waitcnt vmcnt(5)
	v_fma_f64 v[133:134], v[133:134], v[149:150], -v[145:146]
	v_fma_f64 v[135:136], v[135:136], v[149:150], v[141:142]
	v_add_f64 v[1:2], v[139:140], v[1:2]
	v_add_f64 v[3:4], v[137:138], v[3:4]
	s_waitcnt vmcnt(4)
	v_fma_f64 v[5:6], v[5:6], v[211:212], -v[151:152]
	v_fma_f64 v[7:8], v[7:8], v[211:212], v[147:148]
	v_add_f64 v[1:2], v[1:2], v[133:134]
	v_add_f64 v[3:4], v[3:4], v[135:136]
	;; [unrolled: 1-line block ×4, first 2 shown]
	s_waitcnt vmcnt(2)
	v_add_f64 v[1:2], v[143:144], -v[1:2]
	s_waitcnt vmcnt(0)
	v_add_f64 v[3:4], v[161:162], -v[3:4]
	buffer_store_dword v2, off, s[0:3], 0 offset:116
	buffer_store_dword v1, off, s[0:3], 0 offset:112
	;; [unrolled: 1-line block ×4, first 2 shown]
	v_cmpx_lt_u32_e32 5, v0
	s_cbranch_execz .LBB125_387
; %bb.386:
	v_mov_b32_e32 v4, s71
	s_clause 0x3
	buffer_load_dword v1, v4, s[0:3], 0 offen
	buffer_load_dword v2, v4, s[0:3], 0 offen offset:4
	buffer_load_dword v3, v4, s[0:3], 0 offen offset:8
	;; [unrolled: 1-line block ×3, first 2 shown]
	buffer_store_dword v194, off, s[0:3], 0 offset:96
	buffer_store_dword v194, off, s[0:3], 0 offset:100
	;; [unrolled: 1-line block ×4, first 2 shown]
	s_waitcnt vmcnt(0)
	ds_write_b128 v193, v[1:4]
.LBB125_387:
	s_or_b32 exec_lo, exec_lo, s4
	s_waitcnt lgkmcnt(0)
	s_waitcnt_vscnt null, 0x0
	s_barrier
	buffer_gl0_inv
	s_clause 0x37
	buffer_load_dword v141, off, s[0:3], 0 offset:120
	buffer_load_dword v142, off, s[0:3], 0 offset:124
	;; [unrolled: 1-line block ×56, first 2 shown]
	ds_read_b128 v[5:8], v194 offset:1088
	s_clause 0x2
	buffer_load_dword v190, off, s[0:3], 0 offset:348
	buffer_load_dword v192, off, s[0:3], 0 offset:324
	;; [unrolled: 1-line block ×3, first 2 shown]
	ds_read_b128 v[1:4], v194 offset:1104
	s_clause 0x4
	buffer_load_dword v202, off, s[0:3], 0 offset:364
	buffer_load_dword v203, off, s[0:3], 0 offset:376
	;; [unrolled: 1-line block ×5, first 2 shown]
	ds_read_b128 v[195:198], v194 offset:1120
	s_mov_b32 s4, exec_lo
	s_waitcnt vmcnt(62) lgkmcnt(2)
	v_mul_f64 v[199:200], v[7:8], v[141:142]
	v_mul_f64 v[141:142], v[5:6], v[141:142]
	s_waitcnt vmcnt(60) lgkmcnt(1)
	v_mul_f64 v[206:207], v[3:4], v[137:138]
	v_mul_f64 v[137:138], v[1:2], v[137:138]
	;; [unrolled: 3-line block ×3, first 2 shown]
	v_fma_f64 v[199:200], v[5:6], v[139:140], -v[199:200]
	v_fma_f64 v[139:140], v[7:8], v[139:140], v[141:142]
	s_clause 0x2
	buffer_load_dword v204, off, s[0:3], 0 offset:380
	buffer_load_dword v142, off, s[0:3], 0 offset:356
	;; [unrolled: 1-line block ×3, first 2 shown]
	s_waitcnt vmcnt(57)
	v_fma_f64 v[210:211], v[1:2], v[133:134], -v[206:207]
	ds_read_b128 v[5:8], v194 offset:1136
	v_fma_f64 v[133:134], v[3:4], v[133:134], v[137:138]
	s_waitcnt vmcnt(51)
	v_fma_f64 v[195:196], v[195:196], v[157:158], -v[135:136]
	v_fma_f64 v[157:158], v[197:198], v[157:158], v[208:209]
	v_add_f64 v[199:200], v[199:200], 0
	v_add_f64 v[137:138], v[139:140], 0
	s_clause 0x4
	buffer_load_dword v140, off, s[0:3], 0 offset:396
	buffer_load_dword v207, off, s[0:3], 0 offset:408
	buffer_load_dword v212, off, s[0:3], 0 offset:400
	buffer_load_dword v139, off, s[0:3], 0 offset:392
	buffer_load_dword v206, off, s[0:3], 0 offset:372
	s_waitcnt lgkmcnt(0)
	v_mul_f64 v[213:214], v[5:6], v[145:146]
	v_mul_f64 v[145:146], v[7:8], v[145:146]
	ds_read_b128 v[1:4], v194 offset:1152
	s_clause 0x2
	buffer_load_dword v208, off, s[0:3], 0 offset:412
	buffer_load_dword v198, off, s[0:3], 0 offset:388
	;; [unrolled: 1-line block ×3, first 2 shown]
	v_add_f64 v[199:200], v[199:200], v[210:211]
	v_add_f64 v[137:138], v[137:138], v[133:134]
	ds_read_b128 v[133:136], v194 offset:1168
	s_waitcnt vmcnt(58) lgkmcnt(1)
	v_mul_f64 v[209:210], v[1:2], v[149:150]
	v_mul_f64 v[149:150], v[3:4], v[149:150]
	s_waitcnt vmcnt(56)
	v_fma_f64 v[145:146], v[5:6], v[151:152], -v[145:146]
	v_fma_f64 v[151:152], v[7:8], v[151:152], v[213:214]
	s_waitcnt vmcnt(52) lgkmcnt(0)
	v_mul_f64 v[215:216], v[133:134], v[153:154]
	v_add_f64 v[195:196], v[199:200], v[195:196]
	v_add_f64 v[137:138], v[137:138], v[157:158]
	s_clause 0x4
	buffer_load_dword v158, off, s[0:3], 0 offset:428
	buffer_load_dword v199, off, s[0:3], 0 offset:440
	;; [unrolled: 1-line block ×5, first 2 shown]
	v_mul_f64 v[153:154], v[135:136], v[153:154]
	s_waitcnt vmcnt(56)
	v_fma_f64 v[149:150], v[1:2], v[143:144], -v[149:150]
	ds_read_b128 v[5:8], v194 offset:1184
	v_fma_f64 v[143:144], v[3:4], v[143:144], v[209:210]
	v_add_f64 v[145:146], v[195:196], v[145:146]
	v_add_f64 v[137:138], v[137:138], v[151:152]
	s_clause 0x2
	buffer_load_dword v200, off, s[0:3], 0 offset:444
	buffer_load_dword v152, off, s[0:3], 0 offset:420
	buffer_load_dword v151, off, s[0:3], 0 offset:416
	s_waitcnt vmcnt(58) lgkmcnt(0)
	v_mul_f64 v[195:196], v[5:6], v[159:160]
	v_mul_f64 v[159:160], v[7:8], v[159:160]
	s_waitcnt vmcnt(56)
	v_fma_f64 v[153:154], v[133:134], v[161:162], -v[153:154]
	ds_read_b128 v[1:4], v194 offset:1200
	v_add_f64 v[145:146], v[145:146], v[149:150]
	v_fma_f64 v[149:150], v[135:136], v[161:162], v[215:216]
	v_add_f64 v[137:138], v[137:138], v[143:144]
	s_clause 0x4
	buffer_load_dword v144, off, s[0:3], 0 offset:460
	buffer_load_dword v161, off, s[0:3], 0 offset:472
	;; [unrolled: 1-line block ×5, first 2 shown]
	s_waitcnt vmcnt(57) lgkmcnt(0)
	v_mul_f64 v[210:211], v[1:2], v[163:164]
	v_mul_f64 v[163:164], v[3:4], v[163:164]
	s_waitcnt vmcnt(56)
	v_fma_f64 v[159:160], v[5:6], v[147:148], -v[159:160]
	ds_read_b128 v[133:136], v194 offset:1216
	v_fma_f64 v[147:148], v[7:8], v[147:148], v[195:196]
	v_add_f64 v[145:146], v[145:146], v[153:154]
	v_add_f64 v[137:138], v[137:138], v[149:150]
	s_clause 0x2
	buffer_load_dword v162, off, s[0:3], 0 offset:476
	buffer_load_dword v150, off, s[0:3], 0 offset:452
	;; [unrolled: 1-line block ×3, first 2 shown]
	ds_read_b128 v[5:8], v194 offset:1232
	s_waitcnt vmcnt(58) lgkmcnt(1)
	v_mul_f64 v[153:154], v[133:134], v[167:168]
	v_mul_f64 v[167:168], v[135:136], v[167:168]
	s_waitcnt vmcnt(56)
	v_fma_f64 v[163:164], v[1:2], v[169:170], -v[163:164]
	v_add_f64 v[145:146], v[145:146], v[159:160]
	v_fma_f64 v[159:160], v[3:4], v[169:170], v[210:211]
	v_add_f64 v[137:138], v[137:138], v[147:148]
	s_clause 0x4
	buffer_load_dword v148, off, s[0:3], 0 offset:492
	buffer_load_dword v169, off, s[0:3], 0 offset:504
	;; [unrolled: 1-line block ×5, first 2 shown]
	s_waitcnt vmcnt(57) lgkmcnt(0)
	v_mul_f64 v[216:217], v[5:6], v[171:172]
	v_mul_f64 v[171:172], v[7:8], v[171:172]
	s_waitcnt vmcnt(56)
	v_fma_f64 v[167:168], v[133:134], v[155:156], -v[167:168]
	ds_read_b128 v[1:4], v194 offset:1248
	v_fma_f64 v[153:154], v[135:136], v[155:156], v[153:154]
	s_clause 0x2
	buffer_load_dword v170, off, s[0:3], 0 offset:508
	buffer_load_dword v156, off, s[0:3], 0 offset:484
	;; [unrolled: 1-line block ×3, first 2 shown]
	ds_read_b128 v[133:136], v194 offset:1264
	v_add_f64 v[145:146], v[145:146], v[163:164]
	v_add_f64 v[137:138], v[137:138], v[159:160]
	s_waitcnt vmcnt(58) lgkmcnt(1)
	v_mul_f64 v[163:164], v[3:4], v[175:176]
	s_waitcnt vmcnt(56)
	v_fma_f64 v[171:172], v[5:6], v[177:178], -v[171:172]
	v_mul_f64 v[159:160], v[1:2], v[175:176]
	v_add_f64 v[145:146], v[145:146], v[167:168]
	v_fma_f64 v[167:168], v[7:8], v[177:178], v[216:217]
	v_add_f64 v[137:138], v[137:138], v[153:154]
	s_clause 0x4
	buffer_load_dword v154, off, s[0:3], 0 offset:524
	buffer_load_dword v175, off, s[0:3], 0 offset:536
	buffer_load_dword v177, off, s[0:3], 0 offset:528
	buffer_load_dword v153, off, s[0:3], 0 offset:520
	buffer_load_dword v196, off, s[0:3], 0 offset:500
	s_waitcnt vmcnt(57) lgkmcnt(0)
	v_mul_f64 v[216:217], v[133:134], v[179:180]
	v_mul_f64 v[178:179], v[135:136], v[179:180]
	s_waitcnt vmcnt(56)
	v_fma_f64 v[163:164], v[1:2], v[165:166], -v[163:164]
	ds_read_b128 v[5:8], v194 offset:1280
	v_fma_f64 v[159:160], v[3:4], v[165:166], v[159:160]
	s_clause 0x2
	buffer_load_dword v176, off, s[0:3], 0 offset:540
	buffer_load_dword v166, off, s[0:3], 0 offset:516
	;; [unrolled: 1-line block ×3, first 2 shown]
	ds_read_b128 v[1:4], v194 offset:1296
	v_add_f64 v[145:146], v[145:146], v[171:172]
	v_add_f64 v[137:138], v[137:138], v[167:168]
	s_waitcnt vmcnt(58) lgkmcnt(1)
	v_mul_f64 v[171:172], v[7:8], v[183:184]
	s_waitcnt vmcnt(56)
	v_fma_f64 v[179:180], v[133:134], v[185:186], -v[178:179]
	v_mul_f64 v[167:168], v[5:6], v[183:184]
	v_add_f64 v[145:146], v[145:146], v[163:164]
	v_fma_f64 v[163:164], v[135:136], v[185:186], v[216:217]
	v_add_f64 v[137:138], v[137:138], v[159:160]
	s_clause 0x4
	buffer_load_dword v160, off, s[0:3], 0 offset:556
	buffer_load_dword v183, off, s[0:3], 0 offset:568
	;; [unrolled: 1-line block ×5, first 2 shown]
	s_waitcnt vmcnt(57) lgkmcnt(0)
	v_mul_f64 v[216:217], v[1:2], v[187:188]
	v_mul_f64 v[186:187], v[3:4], v[187:188]
	s_waitcnt vmcnt(56)
	v_fma_f64 v[171:172], v[5:6], v[173:174], -v[171:172]
	ds_read_b128 v[133:136], v194 offset:1312
	v_fma_f64 v[167:168], v[7:8], v[173:174], v[167:168]
	v_add_f64 v[145:146], v[145:146], v[179:180]
	v_add_f64 v[137:138], v[137:138], v[163:164]
	s_clause 0x2
	buffer_load_dword v184, off, s[0:3], 0 offset:572
	buffer_load_dword v164, off, s[0:3], 0 offset:548
	;; [unrolled: 1-line block ×3, first 2 shown]
	ds_read_b128 v[5:8], v194 offset:1328
	s_waitcnt vmcnt(58) lgkmcnt(1)
	v_mul_f64 v[179:180], v[135:136], v[189:190]
	s_waitcnt vmcnt(56)
	v_fma_f64 v[187:188], v[1:2], v[191:192], -v[186:187]
	v_mul_f64 v[173:174], v[133:134], v[189:190]
	v_add_f64 v[145:146], v[145:146], v[171:172]
	v_fma_f64 v[171:172], v[3:4], v[191:192], v[216:217]
	v_add_f64 v[137:138], v[137:138], v[167:168]
	s_clause 0x4
	buffer_load_dword v168, off, s[0:3], 0 offset:588
	buffer_load_dword v189, off, s[0:3], 0 offset:600
	;; [unrolled: 1-line block ×5, first 2 shown]
	s_waitcnt vmcnt(57) lgkmcnt(0)
	v_mul_f64 v[216:217], v[5:6], v[201:202]
	v_mul_f64 v[201:202], v[7:8], v[201:202]
	s_waitcnt vmcnt(56)
	v_fma_f64 v[179:180], v[133:134], v[181:182], -v[179:180]
	ds_read_b128 v[1:4], v194 offset:1344
	v_fma_f64 v[173:174], v[135:136], v[181:182], v[173:174]
	v_add_f64 v[145:146], v[145:146], v[187:188]
	v_add_f64 v[137:138], v[137:138], v[171:172]
	s_clause 0x2
	buffer_load_dword v190, off, s[0:3], 0 offset:604
	buffer_load_dword v172, off, s[0:3], 0 offset:580
	;; [unrolled: 1-line block ×3, first 2 shown]
	ds_read_b128 v[133:136], v194 offset:1360
	s_waitcnt vmcnt(58) lgkmcnt(1)
	v_mul_f64 v[187:188], v[3:4], v[203:204]
	v_mul_f64 v[181:182], v[1:2], v[203:204]
	s_waitcnt vmcnt(56)
	v_fma_f64 v[201:202], v[5:6], v[141:142], -v[201:202]
	v_fma_f64 v[141:142], v[7:8], v[141:142], v[216:217]
	v_add_f64 v[145:146], v[145:146], v[179:180]
	v_add_f64 v[137:138], v[137:138], v[173:174]
	s_clause 0x4
	buffer_load_dword v174, off, s[0:3], 0 offset:620
	buffer_load_dword v179, off, s[0:3], 0 offset:632
	;; [unrolled: 1-line block ×5, first 2 shown]
	ds_read_b128 v[5:8], v194 offset:1376
	s_waitcnt vmcnt(57) lgkmcnt(1)
	v_mul_f64 v[216:217], v[133:134], v[139:140]
	v_mul_f64 v[139:140], v[135:136], v[139:140]
	s_waitcnt vmcnt(56)
	v_fma_f64 v[187:188], v[1:2], v[205:206], -v[187:188]
	v_fma_f64 v[181:182], v[3:4], v[205:206], v[181:182]
	v_add_f64 v[145:146], v[145:146], v[201:202]
	v_add_f64 v[137:138], v[137:138], v[141:142]
	s_clause 0x2
	buffer_load_dword v180, off, s[0:3], 0 offset:636
	buffer_load_dword v142, off, s[0:3], 0 offset:612
	;; [unrolled: 1-line block ×3, first 2 shown]
	s_waitcnt vmcnt(58) lgkmcnt(0)
	v_mul_f64 v[205:206], v[7:8], v[207:208]
	ds_read_b128 v[1:4], v194 offset:1392
	v_mul_f64 v[201:202], v[5:6], v[207:208]
	s_waitcnt vmcnt(56)
	v_fma_f64 v[139:140], v[133:134], v[197:198], -v[139:140]
	v_add_f64 v[145:146], v[145:146], v[187:188]
	v_fma_f64 v[187:188], v[135:136], v[197:198], v[216:217]
	v_add_f64 v[137:138], v[137:138], v[181:182]
	s_clause 0x4
	buffer_load_dword v182, off, s[0:3], 0 offset:652
	buffer_load_dword v197, off, s[0:3], 0 offset:664
	;; [unrolled: 1-line block ×5, first 2 shown]
	ds_read_b128 v[133:136], v194 offset:1408
	s_waitcnt vmcnt(57) lgkmcnt(1)
	v_mul_f64 v[216:217], v[1:2], v[157:158]
	v_mul_f64 v[157:158], v[3:4], v[157:158]
	s_waitcnt vmcnt(56)
	v_fma_f64 v[205:206], v[5:6], v[212:213], -v[205:206]
	v_add_f64 v[139:140], v[145:146], v[139:140]
	v_fma_f64 v[145:146], v[7:8], v[212:213], v[201:202]
	v_add_f64 v[137:138], v[137:138], v[187:188]
	s_clause 0x2
	buffer_load_dword v198, off, s[0:3], 0 offset:668
	buffer_load_dword v188, off, s[0:3], 0 offset:644
	;; [unrolled: 1-line block ×3, first 2 shown]
	ds_read_b128 v[5:8], v194 offset:1424
	s_waitcnt vmcnt(58) lgkmcnt(1)
	v_mul_f64 v[201:202], v[133:134], v[199:200]
	v_mul_f64 v[199:200], v[135:136], v[199:200]
	s_waitcnt vmcnt(56)
	v_fma_f64 v[157:158], v[1:2], v[151:152], -v[157:158]
	v_fma_f64 v[151:152], v[3:4], v[151:152], v[216:217]
	v_add_f64 v[139:140], v[139:140], v[205:206]
	v_add_f64 v[137:138], v[137:138], v[145:146]
	s_clause 0x4
	buffer_load_dword v146, off, s[0:3], 0 offset:684
	buffer_load_dword v205, off, s[0:3], 0 offset:696
	;; [unrolled: 1-line block ×5, first 2 shown]
	ds_read_b128 v[1:4], v194 offset:1440
	s_waitcnt vmcnt(57) lgkmcnt(1)
	v_mul_f64 v[212:213], v[5:6], v[143:144]
	v_mul_f64 v[143:144], v[7:8], v[143:144]
	s_waitcnt vmcnt(56)
	v_fma_f64 v[199:200], v[133:134], v[214:215], -v[199:200]
	v_add_f64 v[139:140], v[139:140], v[157:158]
	v_fma_f64 v[157:158], v[135:136], v[214:215], v[201:202]
	v_add_f64 v[137:138], v[137:138], v[151:152]
	s_clause 0x2
	buffer_load_dword v206, off, s[0:3], 0 offset:700
	buffer_load_dword v152, off, s[0:3], 0 offset:676
	;; [unrolled: 1-line block ×3, first 2 shown]
	ds_read_b128 v[133:136], v194 offset:1456
	s_waitcnt vmcnt(58) lgkmcnt(1)
	v_mul_f64 v[201:202], v[1:2], v[161:162]
	v_mul_f64 v[161:162], v[3:4], v[161:162]
	s_waitcnt vmcnt(56)
	v_fma_f64 v[143:144], v[5:6], v[149:150], -v[143:144]
	v_fma_f64 v[149:150], v[7:8], v[149:150], v[212:213]
	v_add_f64 v[139:140], v[139:140], v[199:200]
	v_add_f64 v[137:138], v[137:138], v[157:158]
	s_clause 0x4
	buffer_load_dword v158, off, s[0:3], 0 offset:716
	buffer_load_dword v199, off, s[0:3], 0 offset:728
	;; [unrolled: 1-line block ×5, first 2 shown]
	ds_read_b128 v[5:8], v194 offset:1472
	s_waitcnt vmcnt(57) lgkmcnt(1)
	v_mul_f64 v[214:215], v[133:134], v[147:148]
	v_mul_f64 v[147:148], v[135:136], v[147:148]
	s_waitcnt vmcnt(56)
	v_fma_f64 v[161:162], v[1:2], v[209:210], -v[161:162]
	v_add_f64 v[139:140], v[139:140], v[143:144]
	v_fma_f64 v[143:144], v[3:4], v[209:210], v[201:202]
	v_add_f64 v[137:138], v[137:138], v[149:150]
	s_clause 0x2
	buffer_load_dword v200, off, s[0:3], 0 offset:732
	buffer_load_dword v150, off, s[0:3], 0 offset:708
	;; [unrolled: 1-line block ×3, first 2 shown]
	s_waitcnt vmcnt(58) lgkmcnt(0)
	v_mul_f64 v[201:202], v[5:6], v[169:170]
	v_mul_f64 v[169:170], v[7:8], v[169:170]
	ds_read_b128 v[1:4], v194 offset:1488
	s_waitcnt vmcnt(56)
	v_fma_f64 v[147:148], v[133:134], v[155:156], -v[147:148]
	v_fma_f64 v[155:156], v[135:136], v[155:156], v[214:215]
	v_add_f64 v[139:140], v[139:140], v[161:162]
	v_add_f64 v[137:138], v[137:138], v[143:144]
	s_clause 0x4
	buffer_load_dword v144, off, s[0:3], 0 offset:748
	buffer_load_dword v161, off, s[0:3], 0 offset:760
	;; [unrolled: 1-line block ×5, first 2 shown]
	ds_read_b128 v[133:136], v194 offset:1504
	s_waitcnt vmcnt(57) lgkmcnt(1)
	v_mul_f64 v[215:216], v[1:2], v[153:154]
	v_mul_f64 v[153:154], v[3:4], v[153:154]
	s_waitcnt vmcnt(56)
	v_fma_f64 v[169:170], v[5:6], v[195:196], -v[169:170]
	v_add_f64 v[139:140], v[139:140], v[147:148]
	v_fma_f64 v[147:148], v[7:8], v[195:196], v[201:202]
	v_add_f64 v[137:138], v[137:138], v[155:156]
	s_clause 0x2
	buffer_load_dword v162, off, s[0:3], 0 offset:764
	buffer_load_dword v156, off, s[0:3], 0 offset:740
	;; [unrolled: 1-line block ×3, first 2 shown]
	s_waitcnt vmcnt(58) lgkmcnt(0)
	v_mul_f64 v[195:196], v[133:134], v[175:176]
	v_mul_f64 v[175:176], v[135:136], v[175:176]
	ds_read_b128 v[5:8], v194 offset:1520
	s_waitcnt vmcnt(56)
	v_fma_f64 v[153:154], v[1:2], v[165:166], -v[153:154]
	v_fma_f64 v[165:166], v[3:4], v[165:166], v[215:216]
	v_add_f64 v[139:140], v[139:140], v[169:170]
	v_add_f64 v[137:138], v[137:138], v[147:148]
	s_clause 0x4
	buffer_load_dword v148, off, s[0:3], 0 offset:780
	buffer_load_dword v169, off, s[0:3], 0 offset:792
	buffer_load_dword v201, off, s[0:3], 0 offset:784
	buffer_load_dword v147, off, s[0:3], 0 offset:776
	buffer_load_dword v210, off, s[0:3], 0 offset:756
	ds_read_b128 v[1:4], v194 offset:1536
	s_waitcnt vmcnt(57) lgkmcnt(1)
	v_mul_f64 v[215:216], v[5:6], v[159:160]
	v_mul_f64 v[159:160], v[7:8], v[159:160]
	s_waitcnt vmcnt(56)
	v_fma_f64 v[175:176], v[133:134], v[177:178], -v[175:176]
	v_add_f64 v[139:140], v[139:140], v[153:154]
	v_fma_f64 v[153:154], v[135:136], v[177:178], v[195:196]
	v_add_f64 v[137:138], v[137:138], v[165:166]
	s_clause 0x2
	buffer_load_dword v170, off, s[0:3], 0 offset:796
	buffer_load_dword v166, off, s[0:3], 0 offset:772
	buffer_load_dword v165, off, s[0:3], 0 offset:768
	ds_read_b128 v[133:136], v194 offset:1552
	s_waitcnt vmcnt(58) lgkmcnt(1)
	v_mul_f64 v[177:178], v[1:2], v[183:184]
	v_mul_f64 v[183:184], v[3:4], v[183:184]
	s_waitcnt vmcnt(56)
	v_fma_f64 v[159:160], v[5:6], v[163:164], -v[159:160]
	v_fma_f64 v[163:164], v[7:8], v[163:164], v[215:216]
	v_add_f64 v[139:140], v[139:140], v[175:176]
	v_add_f64 v[137:138], v[137:138], v[153:154]
	s_clause 0x4
	buffer_load_dword v154, off, s[0:3], 0 offset:812
	buffer_load_dword v175, off, s[0:3], 0 offset:824
	buffer_load_dword v195, off, s[0:3], 0 offset:816
	buffer_load_dword v153, off, s[0:3], 0 offset:808
	buffer_load_dword v202, off, s[0:3], 0 offset:788
	ds_read_b128 v[5:8], v194 offset:1568
	s_waitcnt vmcnt(57) lgkmcnt(1)
	v_mul_f64 v[215:216], v[133:134], v[167:168]
	v_mul_f64 v[167:168], v[135:136], v[167:168]
	s_waitcnt vmcnt(56)
	v_fma_f64 v[183:184], v[1:2], v[185:186], -v[183:184]
	v_add_f64 v[139:140], v[139:140], v[159:160]
	v_fma_f64 v[159:160], v[3:4], v[185:186], v[177:178]
	v_add_f64 v[137:138], v[137:138], v[163:164]
	s_clause 0x2
	buffer_load_dword v176, off, s[0:3], 0 offset:828
	buffer_load_dword v164, off, s[0:3], 0 offset:804
	buffer_load_dword v163, off, s[0:3], 0 offset:800
	ds_read_b128 v[1:4], v194 offset:1584
	s_waitcnt vmcnt(58) lgkmcnt(1)
	v_mul_f64 v[185:186], v[7:8], v[189:190]
	v_mul_f64 v[177:178], v[5:6], v[189:190]
	;; [unrolled: 28-line block ×4, first 2 shown]
	s_waitcnt vmcnt(56)
	v_fma_f64 v[181:182], v[5:6], v[187:188], -v[181:182]
	v_add_f64 v[139:140], v[139:140], v[179:180]
	v_fma_f64 v[179:180], v[7:8], v[187:188], v[215:216]
	v_add_f64 v[137:138], v[137:138], v[173:174]
	s_clause 0x4
	buffer_load_dword v174, off, s[0:3], 0 offset:908
	buffer_load_dword v187, off, s[0:3], 0 offset:920
	;; [unrolled: 1-line block ×5, first 2 shown]
	ds_read_b128 v[5:8], v194 offset:1664
	s_waitcnt vmcnt(57) lgkmcnt(1)
	v_mul_f64 v[215:216], v[133:134], v[145:146]
	v_mul_f64 v[145:146], v[135:136], v[145:146]
	s_waitcnt vmcnt(56)
	v_fma_f64 v[197:198], v[1:2], v[207:208], -v[197:198]
	v_fma_f64 v[177:178], v[3:4], v[207:208], v[177:178]
	v_add_f64 v[139:140], v[139:140], v[181:182]
	v_add_f64 v[137:138], v[137:138], v[179:180]
	s_clause 0x2
	buffer_load_dword v188, off, s[0:3], 0 offset:924
	buffer_load_dword v180, off, s[0:3], 0 offset:900
	;; [unrolled: 1-line block ×3, first 2 shown]
	ds_read_b128 v[1:4], v194 offset:1680
	s_waitcnt vmcnt(58) lgkmcnt(1)
	v_mul_f64 v[181:182], v[5:6], v[205:206]
	v_mul_f64 v[205:206], v[7:8], v[205:206]
	s_waitcnt vmcnt(56)
	v_fma_f64 v[145:146], v[133:134], v[151:152], -v[145:146]
	v_fma_f64 v[151:152], v[135:136], v[151:152], v[215:216]
	v_add_f64 v[139:140], v[139:140], v[197:198]
	v_add_f64 v[137:138], v[137:138], v[177:178]
	s_clause 0x4
	buffer_load_dword v178, off, s[0:3], 0 offset:940
	buffer_load_dword v197, off, s[0:3], 0 offset:952
	;; [unrolled: 1-line block ×5, first 2 shown]
	ds_read_b128 v[133:136], v194 offset:1696
	s_waitcnt vmcnt(57) lgkmcnt(1)
	v_mul_f64 v[215:216], v[1:2], v[157:158]
	v_mul_f64 v[157:158], v[3:4], v[157:158]
	s_waitcnt vmcnt(56)
	v_fma_f64 v[205:206], v[5:6], v[211:212], -v[205:206]
	v_add_f64 v[139:140], v[139:140], v[145:146]
	v_fma_f64 v[145:146], v[7:8], v[211:212], v[181:182]
	v_add_f64 v[137:138], v[137:138], v[151:152]
	s_clause 0x2
	buffer_load_dword v198, off, s[0:3], 0 offset:956
	buffer_load_dword v152, off, s[0:3], 0 offset:932
	;; [unrolled: 1-line block ×3, first 2 shown]
	ds_read_b128 v[5:8], v194 offset:1712
	s_waitcnt vmcnt(58) lgkmcnt(1)
	v_mul_f64 v[181:182], v[133:134], v[199:200]
	v_mul_f64 v[199:200], v[135:136], v[199:200]
	s_waitcnt vmcnt(56)
	v_fma_f64 v[157:158], v[1:2], v[149:150], -v[157:158]
	v_fma_f64 v[149:150], v[3:4], v[149:150], v[215:216]
	v_add_f64 v[139:140], v[139:140], v[205:206]
	v_add_f64 v[137:138], v[137:138], v[145:146]
	s_clause 0x4
	buffer_load_dword v146, off, s[0:3], 0 offset:972
	buffer_load_dword v205, off, s[0:3], 0 offset:984
	buffer_load_dword v211, off, s[0:3], 0 offset:976
	buffer_load_dword v145, off, s[0:3], 0 offset:968
	buffer_load_dword v208, off, s[0:3], 0 offset:948
	ds_read_b128 v[1:4], v194 offset:1728
	s_waitcnt vmcnt(57) lgkmcnt(1)
	v_mul_f64 v[215:216], v[5:6], v[143:144]
	v_mul_f64 v[143:144], v[7:8], v[143:144]
	s_waitcnt vmcnt(56)
	v_fma_f64 v[199:200], v[133:134], v[213:214], -v[199:200]
	v_add_f64 v[139:140], v[139:140], v[157:158]
	v_fma_f64 v[157:158], v[135:136], v[213:214], v[181:182]
	v_add_f64 v[137:138], v[137:138], v[149:150]
	s_clause 0x2
	buffer_load_dword v206, off, s[0:3], 0 offset:988
	buffer_load_dword v150, off, s[0:3], 0 offset:964
	;; [unrolled: 1-line block ×3, first 2 shown]
	ds_read_b128 v[133:136], v194 offset:1744
	s_waitcnt vmcnt(58) lgkmcnt(1)
	v_mul_f64 v[181:182], v[1:2], v[161:162]
	v_mul_f64 v[161:162], v[3:4], v[161:162]
	s_waitcnt vmcnt(56)
	v_fma_f64 v[143:144], v[5:6], v[155:156], -v[143:144]
	v_fma_f64 v[155:156], v[7:8], v[155:156], v[215:216]
	v_add_f64 v[139:140], v[139:140], v[199:200]
	v_add_f64 v[137:138], v[137:138], v[157:158]
	s_clause 0x2
	buffer_load_dword v158, off, s[0:3], 0 offset:1004
	buffer_load_dword v157, off, s[0:3], 0 offset:1000
	;; [unrolled: 1-line block ×3, first 2 shown]
	ds_read_b128 v[5:8], v194 offset:1760
	s_waitcnt vmcnt(55) lgkmcnt(1)
	v_mul_f64 v[199:200], v[133:134], v[147:148]
	v_mul_f64 v[147:148], v[135:136], v[147:148]
	s_waitcnt vmcnt(54)
	v_fma_f64 v[161:162], v[1:2], v[209:210], -v[161:162]
	v_add_f64 v[139:140], v[139:140], v[143:144]
	v_fma_f64 v[143:144], v[3:4], v[209:210], v[181:182]
	v_add_f64 v[137:138], v[137:138], v[155:156]
	s_clause 0x1
	buffer_load_dword v156, off, s[0:3], 0 offset:996
	buffer_load_dword v155, off, s[0:3], 0 offset:992
	ds_read_b128 v[1:4], v194 offset:1776
	s_waitcnt vmcnt(55) lgkmcnt(1)
	v_mul_f64 v[181:182], v[5:6], v[169:170]
	v_mul_f64 v[169:170], v[7:8], v[169:170]
	s_waitcnt vmcnt(53)
	v_fma_f64 v[147:148], v[133:134], v[165:166], -v[147:148]
	v_add_f64 v[139:140], v[139:140], v[161:162]
	v_fma_f64 v[161:162], v[135:136], v[165:166], v[199:200]
	v_add_f64 v[137:138], v[137:138], v[143:144]
	ds_read_b128 v[133:136], v194 offset:1792
	s_waitcnt vmcnt(49) lgkmcnt(1)
	v_mul_f64 v[143:144], v[1:2], v[153:154]
	v_mul_f64 v[153:154], v[3:4], v[153:154]
	s_waitcnt vmcnt(48)
	v_fma_f64 v[165:166], v[5:6], v[201:202], -v[169:170]
	v_add_f64 v[139:140], v[139:140], v[147:148]
	v_fma_f64 v[147:148], v[7:8], v[201:202], v[181:182]
	v_add_f64 v[137:138], v[137:138], v[161:162]
	s_clause 0x3
	buffer_load_dword v161, off, s[0:3], 0 offset:96
	buffer_load_dword v162, off, s[0:3], 0 offset:100
	;; [unrolled: 1-line block ×4, first 2 shown]
	ds_read_b128 v[5:8], v194 offset:1808
	s_waitcnt vmcnt(51) lgkmcnt(1)
	v_mul_f64 v[181:182], v[133:134], v[175:176]
	v_mul_f64 v[175:176], v[135:136], v[175:176]
	s_waitcnt vmcnt(49)
	v_fma_f64 v[153:154], v[1:2], v[163:164], -v[153:154]
	v_fma_f64 v[143:144], v[3:4], v[163:164], v[143:144]
	ds_read_b128 v[1:4], v194 offset:1824
	v_add_f64 v[139:140], v[139:140], v[165:166]
	v_add_f64 v[137:138], v[137:138], v[147:148]
	s_waitcnt vmcnt(45) lgkmcnt(1)
	v_mul_f64 v[147:148], v[5:6], v[159:160]
	v_mul_f64 v[159:160], v[7:8], v[159:160]
	s_waitcnt vmcnt(44)
	v_fma_f64 v[163:164], v[133:134], v[195:196], -v[175:176]
	v_add_f64 v[139:140], v[139:140], v[153:154]
	v_fma_f64 v[153:154], v[135:136], v[195:196], v[181:182]
	v_add_f64 v[137:138], v[137:138], v[143:144]
	ds_read_b128 v[133:136], v194 offset:1840
	s_waitcnt vmcnt(43) lgkmcnt(1)
	v_mul_f64 v[165:166], v[3:4], v[183:184]
	v_mul_f64 v[143:144], v[1:2], v[183:184]
	s_waitcnt vmcnt(41)
	v_fma_f64 v[159:160], v[5:6], v[171:172], -v[159:160]
	v_fma_f64 v[147:148], v[7:8], v[171:172], v[147:148]
	ds_read_b128 v[5:8], v194 offset:1856
	v_add_f64 v[139:140], v[139:140], v[163:164]
	v_add_f64 v[137:138], v[137:138], v[153:154]
	s_waitcnt vmcnt(37) lgkmcnt(1)
	v_mul_f64 v[163:164], v[135:136], v[167:168]
	s_waitcnt vmcnt(36)
	v_fma_f64 v[165:166], v[1:2], v[189:190], -v[165:166]
	v_mul_f64 v[153:154], v[133:134], v[167:168]
	v_fma_f64 v[143:144], v[3:4], v[189:190], v[143:144]
	ds_read_b128 v[1:4], v194 offset:1872
	v_add_f64 v[139:140], v[139:140], v[159:160]
	v_add_f64 v[137:138], v[137:138], v[147:148]
	s_waitcnt vmcnt(35) lgkmcnt(1)
	v_mul_f64 v[159:160], v[7:8], v[185:186]
	v_mul_f64 v[147:148], v[5:6], v[185:186]
	s_waitcnt vmcnt(33)
	v_fma_f64 v[163:164], v[133:134], v[141:142], -v[163:164]
	v_fma_f64 v[141:142], v[135:136], v[141:142], v[153:154]
	ds_read_b128 v[133:136], v194 offset:1888
	v_add_f64 v[139:140], v[139:140], v[165:166]
	v_add_f64 v[137:138], v[137:138], v[143:144]
	s_waitcnt vmcnt(29) lgkmcnt(1)
	v_mul_f64 v[153:154], v[3:4], v[173:174]
	s_waitcnt vmcnt(28)
	v_fma_f64 v[159:160], v[5:6], v[191:192], -v[159:160]
	v_mul_f64 v[143:144], v[1:2], v[173:174]
	v_fma_f64 v[147:148], v[7:8], v[191:192], v[147:148]
	ds_read_b128 v[5:8], v194 offset:1904
	v_add_f64 v[139:140], v[139:140], v[163:164]
	v_add_f64 v[137:138], v[137:138], v[141:142]
	;; [unrolled: 18-line block ×3, first 2 shown]
	s_waitcnt vmcnt(19) lgkmcnt(1)
	v_mul_f64 v[153:154], v[3:4], v[197:198]
	v_mul_f64 v[143:144], v[1:2], v[197:198]
	s_waitcnt vmcnt(17)
	v_fma_f64 v[159:160], v[5:6], v[151:152], -v[159:160]
	v_fma_f64 v[147:148], v[7:8], v[151:152], v[147:148]
	ds_read_b128 v[5:8], v194 offset:1952
	v_add_f64 v[139:140], v[139:140], v[163:164]
	v_add_f64 v[137:138], v[137:138], v[141:142]
	s_waitcnt vmcnt(13) lgkmcnt(1)
	v_mul_f64 v[141:142], v[133:134], v[145:146]
	v_mul_f64 v[145:146], v[135:136], v[145:146]
	s_waitcnt vmcnt(12)
	v_fma_f64 v[151:152], v[1:2], v[207:208], -v[153:154]
	v_fma_f64 v[143:144], v[3:4], v[207:208], v[143:144]
	ds_read_b128 v[1:4], v194 offset:1968
	v_add_f64 v[139:140], v[139:140], v[159:160]
	v_add_f64 v[137:138], v[137:138], v[147:148]
	s_waitcnt vmcnt(11) lgkmcnt(1)
	v_mul_f64 v[153:154], v[7:8], v[205:206]
	v_mul_f64 v[147:148], v[5:6], v[205:206]
	s_waitcnt vmcnt(9)
	v_fma_f64 v[133:134], v[133:134], v[149:150], -v[145:146]
	v_fma_f64 v[135:136], v[135:136], v[149:150], v[141:142]
	v_add_f64 v[139:140], v[139:140], v[151:152]
	v_add_f64 v[137:138], v[137:138], v[143:144]
	s_waitcnt vmcnt(7) lgkmcnt(0)
	v_mul_f64 v[143:144], v[3:4], v[157:158]
	s_waitcnt vmcnt(6)
	v_fma_f64 v[5:6], v[5:6], v[211:212], -v[153:154]
	v_mul_f64 v[141:142], v[1:2], v[157:158]
	v_fma_f64 v[7:8], v[7:8], v[211:212], v[147:148]
	v_add_f64 v[133:134], v[139:140], v[133:134]
	v_add_f64 v[135:136], v[137:138], v[135:136]
	s_waitcnt vmcnt(4)
	v_fma_f64 v[1:2], v[1:2], v[155:156], -v[143:144]
	v_fma_f64 v[3:4], v[3:4], v[155:156], v[141:142]
	v_add_f64 v[5:6], v[133:134], v[5:6]
	v_add_f64 v[7:8], v[135:136], v[7:8]
	;; [unrolled: 1-line block ×4, first 2 shown]
	s_waitcnt vmcnt(2)
	v_add_f64 v[1:2], v[161:162], -v[1:2]
	s_waitcnt vmcnt(0)
	v_add_f64 v[3:4], v[169:170], -v[3:4]
	buffer_store_dword v2, off, s[0:3], 0 offset:100
	buffer_store_dword v1, off, s[0:3], 0 offset:96
	;; [unrolled: 1-line block ×4, first 2 shown]
	v_cmpx_lt_u32_e32 4, v0
	s_cbranch_execz .LBB125_389
; %bb.388:
	v_mov_b32_e32 v4, s72
	v_mov_b32_e32 v5, 0
	s_clause 0x3
	buffer_load_dword v1, v4, s[0:3], 0 offen
	buffer_load_dword v2, v4, s[0:3], 0 offen offset:4
	buffer_load_dword v3, v4, s[0:3], 0 offen offset:8
	;; [unrolled: 1-line block ×3, first 2 shown]
	buffer_store_dword v5, off, s[0:3], 0 offset:80
	buffer_store_dword v5, off, s[0:3], 0 offset:84
	;; [unrolled: 1-line block ×4, first 2 shown]
	s_waitcnt vmcnt(0)
	ds_write_b128 v193, v[1:4]
.LBB125_389:
	s_or_b32 exec_lo, exec_lo, s4
	s_waitcnt lgkmcnt(0)
	s_waitcnt_vscnt null, 0x0
	s_barrier
	buffer_gl0_inv
	s_clause 0x37
	buffer_load_dword v141, off, s[0:3], 0 offset:104
	buffer_load_dword v142, off, s[0:3], 0 offset:108
	buffer_load_dword v137, off, s[0:3], 0 offset:120
	buffer_load_dword v138, off, s[0:3], 0 offset:124
	buffer_load_dword v139, off, s[0:3], 0 offset:96
	buffer_load_dword v140, off, s[0:3], 0 offset:100
	buffer_load_dword v135, off, s[0:3], 0 offset:136
	buffer_load_dword v136, off, s[0:3], 0 offset:140
	buffer_load_dword v133, off, s[0:3], 0 offset:112
	buffer_load_dword v134, off, s[0:3], 0 offset:116
	buffer_load_dword v146, off, s[0:3], 0 offset:156
	buffer_load_dword v149, off, s[0:3], 0 offset:168
	buffer_load_dword v143, off, s[0:3], 0 offset:160
	buffer_load_dword v145, off, s[0:3], 0 offset:152
	buffer_load_dword v157, off, s[0:3], 0 offset:128
	buffer_load_dword v158, off, s[0:3], 0 offset:132
	buffer_load_dword v150, off, s[0:3], 0 offset:172
	buffer_load_dword v152, off, s[0:3], 0 offset:148
	buffer_load_dword v151, off, s[0:3], 0 offset:144
	buffer_load_dword v154, off, s[0:3], 0 offset:188
	buffer_load_dword v159, off, s[0:3], 0 offset:200
	buffer_load_dword v147, off, s[0:3], 0 offset:192
	buffer_load_dword v153, off, s[0:3], 0 offset:184
	buffer_load_dword v144, off, s[0:3], 0 offset:164
	buffer_load_dword v160, off, s[0:3], 0 offset:204
	buffer_load_dword v162, off, s[0:3], 0 offset:180
	buffer_load_dword v161, off, s[0:3], 0 offset:176
	buffer_load_dword v164, off, s[0:3], 0 offset:220
	buffer_load_dword v167, off, s[0:3], 0 offset:232
	buffer_load_dword v155, off, s[0:3], 0 offset:224
	buffer_load_dword v163, off, s[0:3], 0 offset:216
	buffer_load_dword v148, off, s[0:3], 0 offset:196
	buffer_load_dword v168, off, s[0:3], 0 offset:236
	buffer_load_dword v170, off, s[0:3], 0 offset:212
	buffer_load_dword v169, off, s[0:3], 0 offset:208
	buffer_load_dword v172, off, s[0:3], 0 offset:252
	buffer_load_dword v175, off, s[0:3], 0 offset:264
	buffer_load_dword v165, off, s[0:3], 0 offset:256
	buffer_load_dword v171, off, s[0:3], 0 offset:248
	buffer_load_dword v156, off, s[0:3], 0 offset:228
	buffer_load_dword v176, off, s[0:3], 0 offset:268
	buffer_load_dword v178, off, s[0:3], 0 offset:244
	buffer_load_dword v177, off, s[0:3], 0 offset:240
	buffer_load_dword v180, off, s[0:3], 0 offset:284
	buffer_load_dword v183, off, s[0:3], 0 offset:296
	buffer_load_dword v173, off, s[0:3], 0 offset:288
	buffer_load_dword v179, off, s[0:3], 0 offset:280
	buffer_load_dword v166, off, s[0:3], 0 offset:260
	buffer_load_dword v184, off, s[0:3], 0 offset:300
	buffer_load_dword v186, off, s[0:3], 0 offset:276
	buffer_load_dword v185, off, s[0:3], 0 offset:272
	buffer_load_dword v188, off, s[0:3], 0 offset:316
	buffer_load_dword v189, off, s[0:3], 0 offset:328
	buffer_load_dword v181, off, s[0:3], 0 offset:320
	buffer_load_dword v187, off, s[0:3], 0 offset:312
	buffer_load_dword v174, off, s[0:3], 0 offset:292
	v_mov_b32_e32 v194, 0
	s_mov_b32 s4, exec_lo
	ds_read_b128 v[5:8], v194 offset:1072
	s_clause 0x2
	buffer_load_dword v190, off, s[0:3], 0 offset:332
	buffer_load_dword v192, off, s[0:3], 0 offset:308
	buffer_load_dword v191, off, s[0:3], 0 offset:304
	ds_read_b128 v[1:4], v194 offset:1088
	s_clause 0x4
	buffer_load_dword v202, off, s[0:3], 0 offset:348
	buffer_load_dword v203, off, s[0:3], 0 offset:360
	;; [unrolled: 1-line block ×5, first 2 shown]
	ds_read_b128 v[195:198], v194 offset:1104
	s_waitcnt vmcnt(62) lgkmcnt(2)
	v_mul_f64 v[199:200], v[7:8], v[141:142]
	v_mul_f64 v[141:142], v[5:6], v[141:142]
	s_waitcnt vmcnt(60) lgkmcnt(1)
	v_mul_f64 v[206:207], v[3:4], v[137:138]
	v_mul_f64 v[137:138], v[1:2], v[137:138]
	s_waitcnt vmcnt(56) lgkmcnt(0)
	v_mul_f64 v[208:209], v[195:196], v[135:136]
	v_mul_f64 v[135:136], v[197:198], v[135:136]
	v_fma_f64 v[199:200], v[5:6], v[139:140], -v[199:200]
	v_fma_f64 v[139:140], v[7:8], v[139:140], v[141:142]
	s_clause 0x2
	buffer_load_dword v204, off, s[0:3], 0 offset:364
	buffer_load_dword v142, off, s[0:3], 0 offset:340
	;; [unrolled: 1-line block ×3, first 2 shown]
	s_waitcnt vmcnt(57)
	v_fma_f64 v[210:211], v[1:2], v[133:134], -v[206:207]
	ds_read_b128 v[5:8], v194 offset:1120
	v_fma_f64 v[133:134], v[3:4], v[133:134], v[137:138]
	s_waitcnt vmcnt(51)
	v_fma_f64 v[195:196], v[195:196], v[157:158], -v[135:136]
	v_fma_f64 v[157:158], v[197:198], v[157:158], v[208:209]
	v_add_f64 v[199:200], v[199:200], 0
	v_add_f64 v[137:138], v[139:140], 0
	s_clause 0x4
	buffer_load_dword v140, off, s[0:3], 0 offset:380
	buffer_load_dword v207, off, s[0:3], 0 offset:392
	;; [unrolled: 1-line block ×5, first 2 shown]
	s_waitcnt lgkmcnt(0)
	v_mul_f64 v[213:214], v[5:6], v[145:146]
	v_mul_f64 v[145:146], v[7:8], v[145:146]
	ds_read_b128 v[1:4], v194 offset:1136
	s_clause 0x2
	buffer_load_dword v208, off, s[0:3], 0 offset:396
	buffer_load_dword v198, off, s[0:3], 0 offset:372
	;; [unrolled: 1-line block ×3, first 2 shown]
	v_add_f64 v[199:200], v[199:200], v[210:211]
	v_add_f64 v[137:138], v[137:138], v[133:134]
	ds_read_b128 v[133:136], v194 offset:1152
	s_waitcnt vmcnt(58) lgkmcnt(1)
	v_mul_f64 v[209:210], v[1:2], v[149:150]
	v_mul_f64 v[149:150], v[3:4], v[149:150]
	s_waitcnt vmcnt(56)
	v_fma_f64 v[145:146], v[5:6], v[151:152], -v[145:146]
	v_fma_f64 v[151:152], v[7:8], v[151:152], v[213:214]
	s_waitcnt vmcnt(52) lgkmcnt(0)
	v_mul_f64 v[215:216], v[133:134], v[153:154]
	v_add_f64 v[195:196], v[199:200], v[195:196]
	v_add_f64 v[137:138], v[137:138], v[157:158]
	s_clause 0x4
	buffer_load_dword v158, off, s[0:3], 0 offset:412
	buffer_load_dword v199, off, s[0:3], 0 offset:424
	;; [unrolled: 1-line block ×5, first 2 shown]
	v_mul_f64 v[153:154], v[135:136], v[153:154]
	s_waitcnt vmcnt(56)
	v_fma_f64 v[149:150], v[1:2], v[143:144], -v[149:150]
	ds_read_b128 v[5:8], v194 offset:1168
	v_fma_f64 v[143:144], v[3:4], v[143:144], v[209:210]
	v_add_f64 v[145:146], v[195:196], v[145:146]
	v_add_f64 v[137:138], v[137:138], v[151:152]
	s_clause 0x2
	buffer_load_dword v200, off, s[0:3], 0 offset:428
	buffer_load_dword v152, off, s[0:3], 0 offset:404
	;; [unrolled: 1-line block ×3, first 2 shown]
	s_waitcnt vmcnt(58) lgkmcnt(0)
	v_mul_f64 v[195:196], v[5:6], v[159:160]
	v_mul_f64 v[159:160], v[7:8], v[159:160]
	s_waitcnt vmcnt(56)
	v_fma_f64 v[153:154], v[133:134], v[161:162], -v[153:154]
	ds_read_b128 v[1:4], v194 offset:1184
	v_add_f64 v[145:146], v[145:146], v[149:150]
	v_fma_f64 v[149:150], v[135:136], v[161:162], v[215:216]
	v_add_f64 v[137:138], v[137:138], v[143:144]
	s_clause 0x4
	buffer_load_dword v144, off, s[0:3], 0 offset:444
	buffer_load_dword v161, off, s[0:3], 0 offset:456
	;; [unrolled: 1-line block ×5, first 2 shown]
	s_waitcnt vmcnt(57) lgkmcnt(0)
	v_mul_f64 v[210:211], v[1:2], v[163:164]
	v_mul_f64 v[163:164], v[3:4], v[163:164]
	s_waitcnt vmcnt(56)
	v_fma_f64 v[159:160], v[5:6], v[147:148], -v[159:160]
	ds_read_b128 v[133:136], v194 offset:1200
	v_fma_f64 v[147:148], v[7:8], v[147:148], v[195:196]
	v_add_f64 v[145:146], v[145:146], v[153:154]
	v_add_f64 v[137:138], v[137:138], v[149:150]
	s_clause 0x2
	buffer_load_dword v162, off, s[0:3], 0 offset:460
	buffer_load_dword v150, off, s[0:3], 0 offset:436
	;; [unrolled: 1-line block ×3, first 2 shown]
	ds_read_b128 v[5:8], v194 offset:1216
	s_waitcnt vmcnt(58) lgkmcnt(1)
	v_mul_f64 v[153:154], v[133:134], v[167:168]
	v_mul_f64 v[167:168], v[135:136], v[167:168]
	s_waitcnt vmcnt(56)
	v_fma_f64 v[163:164], v[1:2], v[169:170], -v[163:164]
	v_add_f64 v[145:146], v[145:146], v[159:160]
	v_fma_f64 v[159:160], v[3:4], v[169:170], v[210:211]
	v_add_f64 v[137:138], v[137:138], v[147:148]
	s_clause 0x4
	buffer_load_dword v148, off, s[0:3], 0 offset:476
	buffer_load_dword v169, off, s[0:3], 0 offset:488
	;; [unrolled: 1-line block ×5, first 2 shown]
	s_waitcnt vmcnt(57) lgkmcnt(0)
	v_mul_f64 v[216:217], v[5:6], v[171:172]
	v_mul_f64 v[171:172], v[7:8], v[171:172]
	s_waitcnt vmcnt(56)
	v_fma_f64 v[167:168], v[133:134], v[155:156], -v[167:168]
	ds_read_b128 v[1:4], v194 offset:1232
	v_fma_f64 v[153:154], v[135:136], v[155:156], v[153:154]
	s_clause 0x2
	buffer_load_dword v170, off, s[0:3], 0 offset:492
	buffer_load_dword v156, off, s[0:3], 0 offset:468
	;; [unrolled: 1-line block ×3, first 2 shown]
	ds_read_b128 v[133:136], v194 offset:1248
	v_add_f64 v[145:146], v[145:146], v[163:164]
	v_add_f64 v[137:138], v[137:138], v[159:160]
	s_waitcnt vmcnt(58) lgkmcnt(1)
	v_mul_f64 v[163:164], v[3:4], v[175:176]
	s_waitcnt vmcnt(56)
	v_fma_f64 v[171:172], v[5:6], v[177:178], -v[171:172]
	v_mul_f64 v[159:160], v[1:2], v[175:176]
	v_add_f64 v[145:146], v[145:146], v[167:168]
	v_fma_f64 v[167:168], v[7:8], v[177:178], v[216:217]
	v_add_f64 v[137:138], v[137:138], v[153:154]
	s_clause 0x4
	buffer_load_dword v154, off, s[0:3], 0 offset:508
	buffer_load_dword v175, off, s[0:3], 0 offset:520
	;; [unrolled: 1-line block ×5, first 2 shown]
	s_waitcnt vmcnt(57) lgkmcnt(0)
	v_mul_f64 v[216:217], v[133:134], v[179:180]
	v_mul_f64 v[178:179], v[135:136], v[179:180]
	s_waitcnt vmcnt(56)
	v_fma_f64 v[163:164], v[1:2], v[165:166], -v[163:164]
	ds_read_b128 v[5:8], v194 offset:1264
	v_fma_f64 v[159:160], v[3:4], v[165:166], v[159:160]
	s_clause 0x2
	buffer_load_dword v176, off, s[0:3], 0 offset:524
	buffer_load_dword v166, off, s[0:3], 0 offset:500
	buffer_load_dword v165, off, s[0:3], 0 offset:496
	ds_read_b128 v[1:4], v194 offset:1280
	v_add_f64 v[145:146], v[145:146], v[171:172]
	v_add_f64 v[137:138], v[137:138], v[167:168]
	s_waitcnt vmcnt(58) lgkmcnt(1)
	v_mul_f64 v[171:172], v[7:8], v[183:184]
	s_waitcnt vmcnt(56)
	v_fma_f64 v[179:180], v[133:134], v[185:186], -v[178:179]
	v_mul_f64 v[167:168], v[5:6], v[183:184]
	v_add_f64 v[145:146], v[145:146], v[163:164]
	v_fma_f64 v[163:164], v[135:136], v[185:186], v[216:217]
	v_add_f64 v[137:138], v[137:138], v[159:160]
	s_clause 0x4
	buffer_load_dword v160, off, s[0:3], 0 offset:540
	buffer_load_dword v183, off, s[0:3], 0 offset:552
	;; [unrolled: 1-line block ×5, first 2 shown]
	s_waitcnt vmcnt(57) lgkmcnt(0)
	v_mul_f64 v[216:217], v[1:2], v[187:188]
	v_mul_f64 v[186:187], v[3:4], v[187:188]
	s_waitcnt vmcnt(56)
	v_fma_f64 v[171:172], v[5:6], v[173:174], -v[171:172]
	ds_read_b128 v[133:136], v194 offset:1296
	v_fma_f64 v[167:168], v[7:8], v[173:174], v[167:168]
	v_add_f64 v[145:146], v[145:146], v[179:180]
	v_add_f64 v[137:138], v[137:138], v[163:164]
	s_clause 0x2
	buffer_load_dword v184, off, s[0:3], 0 offset:556
	buffer_load_dword v164, off, s[0:3], 0 offset:532
	;; [unrolled: 1-line block ×3, first 2 shown]
	ds_read_b128 v[5:8], v194 offset:1312
	s_waitcnt vmcnt(58) lgkmcnt(1)
	v_mul_f64 v[179:180], v[135:136], v[189:190]
	s_waitcnt vmcnt(56)
	v_fma_f64 v[187:188], v[1:2], v[191:192], -v[186:187]
	v_mul_f64 v[173:174], v[133:134], v[189:190]
	v_add_f64 v[145:146], v[145:146], v[171:172]
	v_fma_f64 v[171:172], v[3:4], v[191:192], v[216:217]
	v_add_f64 v[137:138], v[137:138], v[167:168]
	s_clause 0x4
	buffer_load_dword v168, off, s[0:3], 0 offset:572
	buffer_load_dword v189, off, s[0:3], 0 offset:584
	;; [unrolled: 1-line block ×5, first 2 shown]
	s_waitcnt vmcnt(57) lgkmcnt(0)
	v_mul_f64 v[216:217], v[5:6], v[201:202]
	v_mul_f64 v[201:202], v[7:8], v[201:202]
	s_waitcnt vmcnt(56)
	v_fma_f64 v[179:180], v[133:134], v[181:182], -v[179:180]
	ds_read_b128 v[1:4], v194 offset:1328
	v_fma_f64 v[173:174], v[135:136], v[181:182], v[173:174]
	v_add_f64 v[145:146], v[145:146], v[187:188]
	v_add_f64 v[137:138], v[137:138], v[171:172]
	s_clause 0x2
	buffer_load_dword v190, off, s[0:3], 0 offset:588
	buffer_load_dword v172, off, s[0:3], 0 offset:564
	;; [unrolled: 1-line block ×3, first 2 shown]
	ds_read_b128 v[133:136], v194 offset:1344
	s_waitcnt vmcnt(58) lgkmcnt(1)
	v_mul_f64 v[187:188], v[3:4], v[203:204]
	v_mul_f64 v[181:182], v[1:2], v[203:204]
	s_waitcnt vmcnt(56)
	v_fma_f64 v[201:202], v[5:6], v[141:142], -v[201:202]
	v_fma_f64 v[141:142], v[7:8], v[141:142], v[216:217]
	v_add_f64 v[145:146], v[145:146], v[179:180]
	v_add_f64 v[137:138], v[137:138], v[173:174]
	s_clause 0x4
	buffer_load_dword v174, off, s[0:3], 0 offset:604
	buffer_load_dword v179, off, s[0:3], 0 offset:616
	;; [unrolled: 1-line block ×5, first 2 shown]
	ds_read_b128 v[5:8], v194 offset:1360
	s_waitcnt vmcnt(57) lgkmcnt(1)
	v_mul_f64 v[216:217], v[133:134], v[139:140]
	v_mul_f64 v[139:140], v[135:136], v[139:140]
	s_waitcnt vmcnt(56)
	v_fma_f64 v[187:188], v[1:2], v[205:206], -v[187:188]
	v_fma_f64 v[181:182], v[3:4], v[205:206], v[181:182]
	v_add_f64 v[145:146], v[145:146], v[201:202]
	v_add_f64 v[137:138], v[137:138], v[141:142]
	s_clause 0x2
	buffer_load_dword v180, off, s[0:3], 0 offset:620
	buffer_load_dword v142, off, s[0:3], 0 offset:596
	;; [unrolled: 1-line block ×3, first 2 shown]
	s_waitcnt vmcnt(58) lgkmcnt(0)
	v_mul_f64 v[205:206], v[7:8], v[207:208]
	ds_read_b128 v[1:4], v194 offset:1376
	v_mul_f64 v[201:202], v[5:6], v[207:208]
	s_waitcnt vmcnt(56)
	v_fma_f64 v[139:140], v[133:134], v[197:198], -v[139:140]
	v_add_f64 v[145:146], v[145:146], v[187:188]
	v_fma_f64 v[187:188], v[135:136], v[197:198], v[216:217]
	v_add_f64 v[137:138], v[137:138], v[181:182]
	s_clause 0x4
	buffer_load_dword v182, off, s[0:3], 0 offset:636
	buffer_load_dword v197, off, s[0:3], 0 offset:648
	;; [unrolled: 1-line block ×5, first 2 shown]
	ds_read_b128 v[133:136], v194 offset:1392
	s_waitcnt vmcnt(57) lgkmcnt(1)
	v_mul_f64 v[216:217], v[1:2], v[157:158]
	v_mul_f64 v[157:158], v[3:4], v[157:158]
	s_waitcnt vmcnt(56)
	v_fma_f64 v[205:206], v[5:6], v[212:213], -v[205:206]
	v_add_f64 v[139:140], v[145:146], v[139:140]
	v_fma_f64 v[145:146], v[7:8], v[212:213], v[201:202]
	v_add_f64 v[137:138], v[137:138], v[187:188]
	s_clause 0x2
	buffer_load_dword v198, off, s[0:3], 0 offset:652
	buffer_load_dword v188, off, s[0:3], 0 offset:628
	;; [unrolled: 1-line block ×3, first 2 shown]
	ds_read_b128 v[5:8], v194 offset:1408
	s_waitcnt vmcnt(58) lgkmcnt(1)
	v_mul_f64 v[201:202], v[133:134], v[199:200]
	v_mul_f64 v[199:200], v[135:136], v[199:200]
	s_waitcnt vmcnt(56)
	v_fma_f64 v[157:158], v[1:2], v[151:152], -v[157:158]
	v_fma_f64 v[151:152], v[3:4], v[151:152], v[216:217]
	v_add_f64 v[139:140], v[139:140], v[205:206]
	v_add_f64 v[137:138], v[137:138], v[145:146]
	s_clause 0x4
	buffer_load_dword v146, off, s[0:3], 0 offset:668
	buffer_load_dword v205, off, s[0:3], 0 offset:680
	;; [unrolled: 1-line block ×5, first 2 shown]
	ds_read_b128 v[1:4], v194 offset:1424
	s_waitcnt vmcnt(57) lgkmcnt(1)
	v_mul_f64 v[212:213], v[5:6], v[143:144]
	v_mul_f64 v[143:144], v[7:8], v[143:144]
	s_waitcnt vmcnt(56)
	v_fma_f64 v[199:200], v[133:134], v[214:215], -v[199:200]
	v_add_f64 v[139:140], v[139:140], v[157:158]
	v_fma_f64 v[157:158], v[135:136], v[214:215], v[201:202]
	v_add_f64 v[137:138], v[137:138], v[151:152]
	s_clause 0x2
	buffer_load_dword v206, off, s[0:3], 0 offset:684
	buffer_load_dword v152, off, s[0:3], 0 offset:660
	;; [unrolled: 1-line block ×3, first 2 shown]
	ds_read_b128 v[133:136], v194 offset:1440
	s_waitcnt vmcnt(58) lgkmcnt(1)
	v_mul_f64 v[201:202], v[1:2], v[161:162]
	v_mul_f64 v[161:162], v[3:4], v[161:162]
	s_waitcnt vmcnt(56)
	v_fma_f64 v[143:144], v[5:6], v[149:150], -v[143:144]
	v_fma_f64 v[149:150], v[7:8], v[149:150], v[212:213]
	v_add_f64 v[139:140], v[139:140], v[199:200]
	v_add_f64 v[137:138], v[137:138], v[157:158]
	s_clause 0x4
	buffer_load_dword v158, off, s[0:3], 0 offset:700
	buffer_load_dword v199, off, s[0:3], 0 offset:712
	;; [unrolled: 1-line block ×5, first 2 shown]
	ds_read_b128 v[5:8], v194 offset:1456
	s_waitcnt vmcnt(57) lgkmcnt(1)
	v_mul_f64 v[214:215], v[133:134], v[147:148]
	v_mul_f64 v[147:148], v[135:136], v[147:148]
	s_waitcnt vmcnt(56)
	v_fma_f64 v[161:162], v[1:2], v[209:210], -v[161:162]
	v_add_f64 v[139:140], v[139:140], v[143:144]
	v_fma_f64 v[143:144], v[3:4], v[209:210], v[201:202]
	v_add_f64 v[137:138], v[137:138], v[149:150]
	s_clause 0x2
	buffer_load_dword v200, off, s[0:3], 0 offset:716
	buffer_load_dword v150, off, s[0:3], 0 offset:692
	;; [unrolled: 1-line block ×3, first 2 shown]
	s_waitcnt vmcnt(58) lgkmcnt(0)
	v_mul_f64 v[201:202], v[5:6], v[169:170]
	v_mul_f64 v[169:170], v[7:8], v[169:170]
	ds_read_b128 v[1:4], v194 offset:1472
	s_waitcnt vmcnt(56)
	v_fma_f64 v[147:148], v[133:134], v[155:156], -v[147:148]
	v_fma_f64 v[155:156], v[135:136], v[155:156], v[214:215]
	v_add_f64 v[139:140], v[139:140], v[161:162]
	v_add_f64 v[137:138], v[137:138], v[143:144]
	s_clause 0x4
	buffer_load_dword v144, off, s[0:3], 0 offset:732
	buffer_load_dword v161, off, s[0:3], 0 offset:744
	;; [unrolled: 1-line block ×5, first 2 shown]
	ds_read_b128 v[133:136], v194 offset:1488
	s_waitcnt vmcnt(57) lgkmcnt(1)
	v_mul_f64 v[215:216], v[1:2], v[153:154]
	v_mul_f64 v[153:154], v[3:4], v[153:154]
	s_waitcnt vmcnt(56)
	v_fma_f64 v[169:170], v[5:6], v[195:196], -v[169:170]
	v_add_f64 v[139:140], v[139:140], v[147:148]
	v_fma_f64 v[147:148], v[7:8], v[195:196], v[201:202]
	v_add_f64 v[137:138], v[137:138], v[155:156]
	s_clause 0x2
	buffer_load_dword v162, off, s[0:3], 0 offset:748
	buffer_load_dword v156, off, s[0:3], 0 offset:724
	;; [unrolled: 1-line block ×3, first 2 shown]
	s_waitcnt vmcnt(58) lgkmcnt(0)
	v_mul_f64 v[195:196], v[133:134], v[175:176]
	v_mul_f64 v[175:176], v[135:136], v[175:176]
	ds_read_b128 v[5:8], v194 offset:1504
	s_waitcnt vmcnt(56)
	v_fma_f64 v[153:154], v[1:2], v[165:166], -v[153:154]
	v_fma_f64 v[165:166], v[3:4], v[165:166], v[215:216]
	v_add_f64 v[139:140], v[139:140], v[169:170]
	v_add_f64 v[137:138], v[137:138], v[147:148]
	s_clause 0x4
	buffer_load_dword v148, off, s[0:3], 0 offset:764
	buffer_load_dword v169, off, s[0:3], 0 offset:776
	buffer_load_dword v201, off, s[0:3], 0 offset:768
	buffer_load_dword v147, off, s[0:3], 0 offset:760
	buffer_load_dword v210, off, s[0:3], 0 offset:740
	ds_read_b128 v[1:4], v194 offset:1520
	s_waitcnt vmcnt(57) lgkmcnt(1)
	v_mul_f64 v[215:216], v[5:6], v[159:160]
	v_mul_f64 v[159:160], v[7:8], v[159:160]
	s_waitcnt vmcnt(56)
	v_fma_f64 v[175:176], v[133:134], v[177:178], -v[175:176]
	v_add_f64 v[139:140], v[139:140], v[153:154]
	v_fma_f64 v[153:154], v[135:136], v[177:178], v[195:196]
	v_add_f64 v[137:138], v[137:138], v[165:166]
	s_clause 0x2
	buffer_load_dword v170, off, s[0:3], 0 offset:780
	buffer_load_dword v166, off, s[0:3], 0 offset:756
	buffer_load_dword v165, off, s[0:3], 0 offset:752
	ds_read_b128 v[133:136], v194 offset:1536
	s_waitcnt vmcnt(58) lgkmcnt(1)
	v_mul_f64 v[177:178], v[1:2], v[183:184]
	v_mul_f64 v[183:184], v[3:4], v[183:184]
	s_waitcnt vmcnt(56)
	v_fma_f64 v[159:160], v[5:6], v[163:164], -v[159:160]
	v_fma_f64 v[163:164], v[7:8], v[163:164], v[215:216]
	v_add_f64 v[139:140], v[139:140], v[175:176]
	v_add_f64 v[137:138], v[137:138], v[153:154]
	s_clause 0x4
	buffer_load_dword v154, off, s[0:3], 0 offset:796
	buffer_load_dword v175, off, s[0:3], 0 offset:808
	buffer_load_dword v195, off, s[0:3], 0 offset:800
	buffer_load_dword v153, off, s[0:3], 0 offset:792
	buffer_load_dword v202, off, s[0:3], 0 offset:772
	ds_read_b128 v[5:8], v194 offset:1552
	s_waitcnt vmcnt(57) lgkmcnt(1)
	v_mul_f64 v[215:216], v[133:134], v[167:168]
	v_mul_f64 v[167:168], v[135:136], v[167:168]
	s_waitcnt vmcnt(56)
	v_fma_f64 v[183:184], v[1:2], v[185:186], -v[183:184]
	v_add_f64 v[139:140], v[139:140], v[159:160]
	v_fma_f64 v[159:160], v[3:4], v[185:186], v[177:178]
	v_add_f64 v[137:138], v[137:138], v[163:164]
	s_clause 0x2
	buffer_load_dword v176, off, s[0:3], 0 offset:812
	buffer_load_dword v164, off, s[0:3], 0 offset:788
	buffer_load_dword v163, off, s[0:3], 0 offset:784
	ds_read_b128 v[1:4], v194 offset:1568
	s_waitcnt vmcnt(58) lgkmcnt(1)
	v_mul_f64 v[185:186], v[7:8], v[189:190]
	v_mul_f64 v[177:178], v[5:6], v[189:190]
	;; [unrolled: 28-line block ×4, first 2 shown]
	s_waitcnt vmcnt(56)
	v_fma_f64 v[181:182], v[5:6], v[187:188], -v[181:182]
	v_add_f64 v[139:140], v[139:140], v[179:180]
	v_fma_f64 v[179:180], v[7:8], v[187:188], v[215:216]
	v_add_f64 v[137:138], v[137:138], v[173:174]
	s_clause 0x4
	buffer_load_dword v174, off, s[0:3], 0 offset:892
	buffer_load_dword v187, off, s[0:3], 0 offset:904
	;; [unrolled: 1-line block ×5, first 2 shown]
	ds_read_b128 v[5:8], v194 offset:1648
	s_waitcnt vmcnt(57) lgkmcnt(1)
	v_mul_f64 v[215:216], v[133:134], v[145:146]
	v_mul_f64 v[145:146], v[135:136], v[145:146]
	s_waitcnt vmcnt(56)
	v_fma_f64 v[197:198], v[1:2], v[207:208], -v[197:198]
	v_fma_f64 v[177:178], v[3:4], v[207:208], v[177:178]
	v_add_f64 v[139:140], v[139:140], v[181:182]
	v_add_f64 v[137:138], v[137:138], v[179:180]
	s_clause 0x2
	buffer_load_dword v188, off, s[0:3], 0 offset:908
	buffer_load_dword v180, off, s[0:3], 0 offset:884
	buffer_load_dword v179, off, s[0:3], 0 offset:880
	ds_read_b128 v[1:4], v194 offset:1664
	s_waitcnt vmcnt(58) lgkmcnt(1)
	v_mul_f64 v[181:182], v[5:6], v[205:206]
	v_mul_f64 v[205:206], v[7:8], v[205:206]
	s_waitcnt vmcnt(56)
	v_fma_f64 v[145:146], v[133:134], v[151:152], -v[145:146]
	v_fma_f64 v[151:152], v[135:136], v[151:152], v[215:216]
	v_add_f64 v[139:140], v[139:140], v[197:198]
	v_add_f64 v[137:138], v[137:138], v[177:178]
	s_clause 0x4
	buffer_load_dword v178, off, s[0:3], 0 offset:924
	buffer_load_dword v197, off, s[0:3], 0 offset:936
	buffer_load_dword v207, off, s[0:3], 0 offset:928
	buffer_load_dword v177, off, s[0:3], 0 offset:920
	buffer_load_dword v204, off, s[0:3], 0 offset:900
	ds_read_b128 v[133:136], v194 offset:1680
	s_waitcnt vmcnt(57) lgkmcnt(1)
	v_mul_f64 v[215:216], v[1:2], v[157:158]
	v_mul_f64 v[157:158], v[3:4], v[157:158]
	s_waitcnt vmcnt(56)
	v_fma_f64 v[205:206], v[5:6], v[211:212], -v[205:206]
	v_add_f64 v[139:140], v[139:140], v[145:146]
	v_fma_f64 v[145:146], v[7:8], v[211:212], v[181:182]
	v_add_f64 v[137:138], v[137:138], v[151:152]
	s_clause 0x2
	buffer_load_dword v198, off, s[0:3], 0 offset:940
	buffer_load_dword v152, off, s[0:3], 0 offset:916
	buffer_load_dword v151, off, s[0:3], 0 offset:912
	ds_read_b128 v[5:8], v194 offset:1696
	s_waitcnt vmcnt(58) lgkmcnt(1)
	v_mul_f64 v[181:182], v[133:134], v[199:200]
	v_mul_f64 v[199:200], v[135:136], v[199:200]
	s_waitcnt vmcnt(56)
	v_fma_f64 v[157:158], v[1:2], v[149:150], -v[157:158]
	v_fma_f64 v[149:150], v[3:4], v[149:150], v[215:216]
	v_add_f64 v[139:140], v[139:140], v[205:206]
	v_add_f64 v[137:138], v[137:138], v[145:146]
	s_clause 0x4
	buffer_load_dword v146, off, s[0:3], 0 offset:956
	buffer_load_dword v205, off, s[0:3], 0 offset:968
	buffer_load_dword v211, off, s[0:3], 0 offset:960
	buffer_load_dword v145, off, s[0:3], 0 offset:952
	buffer_load_dword v208, off, s[0:3], 0 offset:932
	ds_read_b128 v[1:4], v194 offset:1712
	s_waitcnt vmcnt(57) lgkmcnt(1)
	v_mul_f64 v[215:216], v[5:6], v[143:144]
	v_mul_f64 v[143:144], v[7:8], v[143:144]
	s_waitcnt vmcnt(56)
	v_fma_f64 v[199:200], v[133:134], v[213:214], -v[199:200]
	v_add_f64 v[139:140], v[139:140], v[157:158]
	v_fma_f64 v[157:158], v[135:136], v[213:214], v[181:182]
	v_add_f64 v[137:138], v[137:138], v[149:150]
	s_clause 0x2
	buffer_load_dword v206, off, s[0:3], 0 offset:972
	buffer_load_dword v150, off, s[0:3], 0 offset:948
	buffer_load_dword v149, off, s[0:3], 0 offset:944
	ds_read_b128 v[133:136], v194 offset:1728
	s_waitcnt vmcnt(58) lgkmcnt(1)
	v_mul_f64 v[181:182], v[1:2], v[161:162]
	v_mul_f64 v[161:162], v[3:4], v[161:162]
	s_waitcnt vmcnt(56)
	v_fma_f64 v[143:144], v[5:6], v[155:156], -v[143:144]
	v_fma_f64 v[155:156], v[7:8], v[155:156], v[215:216]
	v_add_f64 v[139:140], v[139:140], v[199:200]
	v_add_f64 v[137:138], v[137:138], v[157:158]
	s_clause 0x4
	buffer_load_dword v158, off, s[0:3], 0 offset:988
	buffer_load_dword v199, off, s[0:3], 0 offset:1000
	buffer_load_dword v213, off, s[0:3], 0 offset:992
	buffer_load_dword v157, off, s[0:3], 0 offset:984
	buffer_load_dword v212, off, s[0:3], 0 offset:964
	ds_read_b128 v[5:8], v194 offset:1744
	s_waitcnt vmcnt(57) lgkmcnt(1)
	v_mul_f64 v[214:215], v[133:134], v[147:148]
	v_mul_f64 v[147:148], v[135:136], v[147:148]
	s_waitcnt vmcnt(56)
	v_fma_f64 v[161:162], v[1:2], v[209:210], -v[161:162]
	v_add_f64 v[139:140], v[139:140], v[143:144]
	v_fma_f64 v[143:144], v[3:4], v[209:210], v[181:182]
	v_add_f64 v[137:138], v[137:138], v[155:156]
	s_clause 0x2
	buffer_load_dword v200, off, s[0:3], 0 offset:1004
	buffer_load_dword v156, off, s[0:3], 0 offset:980
	;; [unrolled: 1-line block ×3, first 2 shown]
	ds_read_b128 v[1:4], v194 offset:1760
	s_waitcnt vmcnt(58) lgkmcnt(1)
	v_mul_f64 v[181:182], v[5:6], v[169:170]
	v_mul_f64 v[169:170], v[7:8], v[169:170]
	s_waitcnt vmcnt(56)
	v_fma_f64 v[147:148], v[133:134], v[165:166], -v[147:148]
	v_add_f64 v[139:140], v[139:140], v[161:162]
	v_fma_f64 v[161:162], v[135:136], v[165:166], v[214:215]
	v_add_f64 v[137:138], v[137:138], v[143:144]
	buffer_load_dword v214, off, s[0:3], 0 offset:996
	ds_read_b128 v[133:136], v194 offset:1776
	s_waitcnt vmcnt(53) lgkmcnt(1)
	v_mul_f64 v[143:144], v[1:2], v[153:154]
	v_mul_f64 v[153:154], v[3:4], v[153:154]
	s_waitcnt vmcnt(52)
	v_fma_f64 v[165:166], v[5:6], v[201:202], -v[169:170]
	v_add_f64 v[139:140], v[139:140], v[147:148]
	v_fma_f64 v[147:148], v[7:8], v[201:202], v[181:182]
	v_add_f64 v[137:138], v[137:138], v[161:162]
	ds_read_b128 v[5:8], v194 offset:1792
	s_waitcnt vmcnt(51) lgkmcnt(1)
	v_mul_f64 v[169:170], v[135:136], v[175:176]
	v_mul_f64 v[161:162], v[133:134], v[175:176]
	s_waitcnt vmcnt(49)
	v_fma_f64 v[153:154], v[1:2], v[163:164], -v[153:154]
	v_fma_f64 v[143:144], v[3:4], v[163:164], v[143:144]
	v_add_f64 v[139:140], v[139:140], v[165:166]
	v_add_f64 v[137:138], v[137:138], v[147:148]
	s_clause 0x3
	buffer_load_dword v147, off, s[0:3], 0 offset:80
	buffer_load_dword v148, off, s[0:3], 0 offset:84
	;; [unrolled: 1-line block ×4, first 2 shown]
	ds_read_b128 v[1:4], v194 offset:1808
	s_waitcnt vmcnt(49) lgkmcnt(1)
	v_mul_f64 v[165:166], v[5:6], v[159:160]
	v_mul_f64 v[159:160], v[7:8], v[159:160]
	s_waitcnt vmcnt(48)
	v_fma_f64 v[169:170], v[133:134], v[195:196], -v[169:170]
	v_add_f64 v[139:140], v[139:140], v[153:154]
	v_fma_f64 v[153:154], v[135:136], v[195:196], v[161:162]
	v_add_f64 v[137:138], v[137:138], v[143:144]
	ds_read_b128 v[133:136], v194 offset:1824
	s_waitcnt vmcnt(47) lgkmcnt(1)
	v_mul_f64 v[161:162], v[3:4], v[183:184]
	v_mul_f64 v[143:144], v[1:2], v[183:184]
	s_waitcnt vmcnt(45)
	v_fma_f64 v[159:160], v[5:6], v[171:172], -v[159:160]
	v_fma_f64 v[165:166], v[7:8], v[171:172], v[165:166]
	ds_read_b128 v[5:8], v194 offset:1840
	v_add_f64 v[139:140], v[139:140], v[169:170]
	v_add_f64 v[137:138], v[137:138], v[153:154]
	s_waitcnt vmcnt(41) lgkmcnt(1)
	v_mul_f64 v[153:154], v[133:134], v[167:168]
	v_mul_f64 v[167:168], v[135:136], v[167:168]
	s_waitcnt vmcnt(40)
	v_fma_f64 v[161:162], v[1:2], v[189:190], -v[161:162]
	v_fma_f64 v[143:144], v[3:4], v[189:190], v[143:144]
	ds_read_b128 v[1:4], v194 offset:1856
	v_add_f64 v[139:140], v[139:140], v[159:160]
	v_add_f64 v[137:138], v[137:138], v[165:166]
	;; [unrolled: 9-line block ×3, first 2 shown]
	s_waitcnt vmcnt(33) lgkmcnt(1)
	v_mul_f64 v[153:154], v[3:4], v[173:174]
	s_waitcnt vmcnt(32)
	v_fma_f64 v[161:162], v[5:6], v[191:192], -v[165:166]
	v_mul_f64 v[143:144], v[1:2], v[173:174]
	v_fma_f64 v[159:160], v[7:8], v[191:192], v[159:160]
	ds_read_b128 v[5:8], v194 offset:1888
	v_add_f64 v[139:140], v[139:140], v[167:168]
	v_add_f64 v[137:138], v[137:138], v[141:142]
	s_waitcnt vmcnt(31) lgkmcnt(1)
	v_mul_f64 v[165:166], v[135:136], v[187:188]
	v_mul_f64 v[141:142], v[133:134], v[187:188]
	s_waitcnt vmcnt(29)
	v_fma_f64 v[153:154], v[1:2], v[179:180], -v[153:154]
	v_fma_f64 v[143:144], v[3:4], v[179:180], v[143:144]
	ds_read_b128 v[1:4], v194 offset:1904
	v_add_f64 v[139:140], v[139:140], v[161:162]
	v_add_f64 v[137:138], v[137:138], v[159:160]
	s_waitcnt vmcnt(25) lgkmcnt(1)
	v_mul_f64 v[161:162], v[7:8], v[177:178]
	s_waitcnt vmcnt(24)
	v_fma_f64 v[165:166], v[133:134], v[203:204], -v[165:166]
	v_mul_f64 v[159:160], v[5:6], v[177:178]
	v_fma_f64 v[141:142], v[135:136], v[203:204], v[141:142]
	ds_read_b128 v[133:136], v194 offset:1920
	v_add_f64 v[139:140], v[139:140], v[153:154]
	v_add_f64 v[137:138], v[137:138], v[143:144]
	s_waitcnt vmcnt(23) lgkmcnt(1)
	v_mul_f64 v[153:154], v[3:4], v[197:198]
	v_mul_f64 v[143:144], v[1:2], v[197:198]
	s_waitcnt vmcnt(21)
	v_fma_f64 v[161:162], v[5:6], v[151:152], -v[161:162]
	v_fma_f64 v[151:152], v[7:8], v[151:152], v[159:160]
	ds_read_b128 v[5:8], v194 offset:1936
	v_add_f64 v[139:140], v[139:140], v[165:166]
	v_add_f64 v[137:138], v[137:138], v[141:142]
	s_waitcnt vmcnt(17) lgkmcnt(1)
	v_mul_f64 v[141:142], v[133:134], v[145:146]
	v_mul_f64 v[145:146], v[135:136], v[145:146]
	s_waitcnt vmcnt(16)
	v_fma_f64 v[153:154], v[1:2], v[207:208], -v[153:154]
	v_fma_f64 v[143:144], v[3:4], v[207:208], v[143:144]
	ds_read_b128 v[1:4], v194 offset:1952
	v_add_f64 v[139:140], v[139:140], v[161:162]
	v_add_f64 v[137:138], v[137:138], v[151:152]
	s_waitcnt vmcnt(15) lgkmcnt(1)
	v_mul_f64 v[159:160], v[7:8], v[205:206]
	v_mul_f64 v[151:152], v[5:6], v[205:206]
	s_waitcnt vmcnt(13)
	v_fma_f64 v[145:146], v[133:134], v[149:150], -v[145:146]
	v_fma_f64 v[141:142], v[135:136], v[149:150], v[141:142]
	ds_read_b128 v[133:136], v194 offset:1968
	v_add_f64 v[139:140], v[139:140], v[153:154]
	v_add_f64 v[137:138], v[137:138], v[143:144]
	s_waitcnt vmcnt(9) lgkmcnt(1)
	v_mul_f64 v[149:150], v[3:4], v[157:158]
	s_waitcnt vmcnt(8)
	v_fma_f64 v[5:6], v[5:6], v[211:212], -v[159:160]
	v_mul_f64 v[143:144], v[1:2], v[157:158]
	v_fma_f64 v[7:8], v[7:8], v[211:212], v[151:152]
	v_add_f64 v[139:140], v[139:140], v[145:146]
	v_add_f64 v[137:138], v[137:138], v[141:142]
	s_waitcnt vmcnt(7) lgkmcnt(0)
	v_mul_f64 v[145:146], v[135:136], v[199:200]
	v_mul_f64 v[141:142], v[133:134], v[199:200]
	s_waitcnt vmcnt(5)
	v_fma_f64 v[1:2], v[1:2], v[155:156], -v[149:150]
	v_fma_f64 v[3:4], v[3:4], v[155:156], v[143:144]
	v_add_f64 v[5:6], v[139:140], v[5:6]
	v_add_f64 v[7:8], v[137:138], v[7:8]
	s_waitcnt vmcnt(4)
	v_fma_f64 v[133:134], v[133:134], v[213:214], -v[145:146]
	v_add_f64 v[1:2], v[5:6], v[1:2]
	v_fma_f64 v[5:6], v[135:136], v[213:214], v[141:142]
	v_add_f64 v[3:4], v[7:8], v[3:4]
	v_add_f64 v[1:2], v[1:2], v[133:134]
	;; [unrolled: 1-line block ×3, first 2 shown]
	s_waitcnt vmcnt(2)
	v_add_f64 v[1:2], v[147:148], -v[1:2]
	s_waitcnt vmcnt(0)
	v_add_f64 v[3:4], v[163:164], -v[3:4]
	buffer_store_dword v2, off, s[0:3], 0 offset:84
	buffer_store_dword v1, off, s[0:3], 0 offset:80
	;; [unrolled: 1-line block ×4, first 2 shown]
	v_cmpx_lt_u32_e32 3, v0
	s_cbranch_execz .LBB125_391
; %bb.390:
	v_mov_b32_e32 v4, s73
	s_clause 0x3
	buffer_load_dword v1, v4, s[0:3], 0 offen
	buffer_load_dword v2, v4, s[0:3], 0 offen offset:4
	buffer_load_dword v3, v4, s[0:3], 0 offen offset:8
	buffer_load_dword v4, v4, s[0:3], 0 offen offset:12
	buffer_store_dword v194, off, s[0:3], 0 offset:64
	buffer_store_dword v194, off, s[0:3], 0 offset:68
	;; [unrolled: 1-line block ×4, first 2 shown]
	s_waitcnt vmcnt(0)
	ds_write_b128 v193, v[1:4]
.LBB125_391:
	s_or_b32 exec_lo, exec_lo, s4
	s_waitcnt lgkmcnt(0)
	s_waitcnt_vscnt null, 0x0
	s_barrier
	buffer_gl0_inv
	s_clause 0x37
	buffer_load_dword v141, off, s[0:3], 0 offset:88
	buffer_load_dword v142, off, s[0:3], 0 offset:92
	;; [unrolled: 1-line block ×56, first 2 shown]
	ds_read_b128 v[5:8], v194 offset:1056
	s_clause 0x2
	buffer_load_dword v190, off, s[0:3], 0 offset:316
	buffer_load_dword v192, off, s[0:3], 0 offset:292
	;; [unrolled: 1-line block ×3, first 2 shown]
	ds_read_b128 v[1:4], v194 offset:1072
	s_clause 0x4
	buffer_load_dword v202, off, s[0:3], 0 offset:332
	buffer_load_dword v203, off, s[0:3], 0 offset:344
	;; [unrolled: 1-line block ×5, first 2 shown]
	ds_read_b128 v[195:198], v194 offset:1088
	s_mov_b32 s4, exec_lo
	s_waitcnt vmcnt(62) lgkmcnt(2)
	v_mul_f64 v[199:200], v[7:8], v[141:142]
	v_mul_f64 v[141:142], v[5:6], v[141:142]
	s_waitcnt vmcnt(60) lgkmcnt(1)
	v_mul_f64 v[206:207], v[3:4], v[137:138]
	v_mul_f64 v[137:138], v[1:2], v[137:138]
	;; [unrolled: 3-line block ×3, first 2 shown]
	v_fma_f64 v[199:200], v[5:6], v[139:140], -v[199:200]
	v_fma_f64 v[139:140], v[7:8], v[139:140], v[141:142]
	s_clause 0x2
	buffer_load_dword v204, off, s[0:3], 0 offset:348
	buffer_load_dword v142, off, s[0:3], 0 offset:324
	;; [unrolled: 1-line block ×3, first 2 shown]
	s_waitcnt vmcnt(57)
	v_fma_f64 v[210:211], v[1:2], v[133:134], -v[206:207]
	ds_read_b128 v[5:8], v194 offset:1104
	v_fma_f64 v[133:134], v[3:4], v[133:134], v[137:138]
	s_waitcnt vmcnt(51)
	v_fma_f64 v[195:196], v[195:196], v[157:158], -v[135:136]
	v_fma_f64 v[157:158], v[197:198], v[157:158], v[208:209]
	v_add_f64 v[199:200], v[199:200], 0
	v_add_f64 v[137:138], v[139:140], 0
	s_clause 0x4
	buffer_load_dword v140, off, s[0:3], 0 offset:364
	buffer_load_dword v207, off, s[0:3], 0 offset:376
	;; [unrolled: 1-line block ×5, first 2 shown]
	s_waitcnt lgkmcnt(0)
	v_mul_f64 v[213:214], v[5:6], v[145:146]
	v_mul_f64 v[145:146], v[7:8], v[145:146]
	ds_read_b128 v[1:4], v194 offset:1120
	s_clause 0x2
	buffer_load_dword v208, off, s[0:3], 0 offset:380
	buffer_load_dword v198, off, s[0:3], 0 offset:356
	;; [unrolled: 1-line block ×3, first 2 shown]
	v_add_f64 v[199:200], v[199:200], v[210:211]
	v_add_f64 v[137:138], v[137:138], v[133:134]
	ds_read_b128 v[133:136], v194 offset:1136
	s_waitcnt vmcnt(58) lgkmcnt(1)
	v_mul_f64 v[209:210], v[1:2], v[149:150]
	v_mul_f64 v[149:150], v[3:4], v[149:150]
	s_waitcnt vmcnt(56)
	v_fma_f64 v[145:146], v[5:6], v[151:152], -v[145:146]
	v_fma_f64 v[151:152], v[7:8], v[151:152], v[213:214]
	s_waitcnt vmcnt(52) lgkmcnt(0)
	v_mul_f64 v[215:216], v[133:134], v[153:154]
	v_add_f64 v[195:196], v[199:200], v[195:196]
	v_add_f64 v[137:138], v[137:138], v[157:158]
	s_clause 0x4
	buffer_load_dword v158, off, s[0:3], 0 offset:396
	buffer_load_dword v199, off, s[0:3], 0 offset:408
	;; [unrolled: 1-line block ×5, first 2 shown]
	v_mul_f64 v[153:154], v[135:136], v[153:154]
	s_waitcnt vmcnt(56)
	v_fma_f64 v[149:150], v[1:2], v[143:144], -v[149:150]
	ds_read_b128 v[5:8], v194 offset:1152
	v_fma_f64 v[143:144], v[3:4], v[143:144], v[209:210]
	v_add_f64 v[145:146], v[195:196], v[145:146]
	v_add_f64 v[137:138], v[137:138], v[151:152]
	s_clause 0x2
	buffer_load_dword v200, off, s[0:3], 0 offset:412
	buffer_load_dword v152, off, s[0:3], 0 offset:388
	buffer_load_dword v151, off, s[0:3], 0 offset:384
	s_waitcnt vmcnt(58) lgkmcnt(0)
	v_mul_f64 v[195:196], v[5:6], v[159:160]
	v_mul_f64 v[159:160], v[7:8], v[159:160]
	s_waitcnt vmcnt(56)
	v_fma_f64 v[153:154], v[133:134], v[161:162], -v[153:154]
	ds_read_b128 v[1:4], v194 offset:1168
	v_add_f64 v[145:146], v[145:146], v[149:150]
	v_fma_f64 v[149:150], v[135:136], v[161:162], v[215:216]
	v_add_f64 v[137:138], v[137:138], v[143:144]
	s_clause 0x4
	buffer_load_dword v144, off, s[0:3], 0 offset:428
	buffer_load_dword v161, off, s[0:3], 0 offset:440
	;; [unrolled: 1-line block ×5, first 2 shown]
	s_waitcnt vmcnt(57) lgkmcnt(0)
	v_mul_f64 v[210:211], v[1:2], v[163:164]
	v_mul_f64 v[163:164], v[3:4], v[163:164]
	s_waitcnt vmcnt(56)
	v_fma_f64 v[159:160], v[5:6], v[147:148], -v[159:160]
	ds_read_b128 v[133:136], v194 offset:1184
	v_fma_f64 v[147:148], v[7:8], v[147:148], v[195:196]
	v_add_f64 v[145:146], v[145:146], v[153:154]
	v_add_f64 v[137:138], v[137:138], v[149:150]
	s_clause 0x2
	buffer_load_dword v162, off, s[0:3], 0 offset:444
	buffer_load_dword v150, off, s[0:3], 0 offset:420
	;; [unrolled: 1-line block ×3, first 2 shown]
	ds_read_b128 v[5:8], v194 offset:1200
	s_waitcnt vmcnt(58) lgkmcnt(1)
	v_mul_f64 v[153:154], v[133:134], v[167:168]
	v_mul_f64 v[167:168], v[135:136], v[167:168]
	s_waitcnt vmcnt(56)
	v_fma_f64 v[163:164], v[1:2], v[169:170], -v[163:164]
	v_add_f64 v[145:146], v[145:146], v[159:160]
	v_fma_f64 v[159:160], v[3:4], v[169:170], v[210:211]
	v_add_f64 v[137:138], v[137:138], v[147:148]
	s_clause 0x4
	buffer_load_dword v148, off, s[0:3], 0 offset:460
	buffer_load_dword v169, off, s[0:3], 0 offset:472
	;; [unrolled: 1-line block ×5, first 2 shown]
	s_waitcnt vmcnt(57) lgkmcnt(0)
	v_mul_f64 v[216:217], v[5:6], v[171:172]
	v_mul_f64 v[171:172], v[7:8], v[171:172]
	s_waitcnt vmcnt(56)
	v_fma_f64 v[167:168], v[133:134], v[155:156], -v[167:168]
	ds_read_b128 v[1:4], v194 offset:1216
	v_fma_f64 v[153:154], v[135:136], v[155:156], v[153:154]
	s_clause 0x2
	buffer_load_dword v170, off, s[0:3], 0 offset:476
	buffer_load_dword v156, off, s[0:3], 0 offset:452
	buffer_load_dword v155, off, s[0:3], 0 offset:448
	ds_read_b128 v[133:136], v194 offset:1232
	v_add_f64 v[145:146], v[145:146], v[163:164]
	v_add_f64 v[137:138], v[137:138], v[159:160]
	s_waitcnt vmcnt(58) lgkmcnt(1)
	v_mul_f64 v[163:164], v[3:4], v[175:176]
	s_waitcnt vmcnt(56)
	v_fma_f64 v[171:172], v[5:6], v[177:178], -v[171:172]
	v_mul_f64 v[159:160], v[1:2], v[175:176]
	v_add_f64 v[145:146], v[145:146], v[167:168]
	v_fma_f64 v[167:168], v[7:8], v[177:178], v[216:217]
	v_add_f64 v[137:138], v[137:138], v[153:154]
	s_clause 0x4
	buffer_load_dword v154, off, s[0:3], 0 offset:492
	buffer_load_dword v175, off, s[0:3], 0 offset:504
	;; [unrolled: 1-line block ×5, first 2 shown]
	s_waitcnt vmcnt(57) lgkmcnt(0)
	v_mul_f64 v[216:217], v[133:134], v[179:180]
	v_mul_f64 v[178:179], v[135:136], v[179:180]
	s_waitcnt vmcnt(56)
	v_fma_f64 v[163:164], v[1:2], v[165:166], -v[163:164]
	ds_read_b128 v[5:8], v194 offset:1248
	v_fma_f64 v[159:160], v[3:4], v[165:166], v[159:160]
	s_clause 0x2
	buffer_load_dword v176, off, s[0:3], 0 offset:508
	buffer_load_dword v166, off, s[0:3], 0 offset:484
	;; [unrolled: 1-line block ×3, first 2 shown]
	ds_read_b128 v[1:4], v194 offset:1264
	v_add_f64 v[145:146], v[145:146], v[171:172]
	v_add_f64 v[137:138], v[137:138], v[167:168]
	s_waitcnt vmcnt(58) lgkmcnt(1)
	v_mul_f64 v[171:172], v[7:8], v[183:184]
	s_waitcnt vmcnt(56)
	v_fma_f64 v[179:180], v[133:134], v[185:186], -v[178:179]
	v_mul_f64 v[167:168], v[5:6], v[183:184]
	v_add_f64 v[145:146], v[145:146], v[163:164]
	v_fma_f64 v[163:164], v[135:136], v[185:186], v[216:217]
	v_add_f64 v[137:138], v[137:138], v[159:160]
	s_clause 0x4
	buffer_load_dword v160, off, s[0:3], 0 offset:524
	buffer_load_dword v183, off, s[0:3], 0 offset:536
	;; [unrolled: 1-line block ×5, first 2 shown]
	s_waitcnt vmcnt(57) lgkmcnt(0)
	v_mul_f64 v[216:217], v[1:2], v[187:188]
	v_mul_f64 v[186:187], v[3:4], v[187:188]
	s_waitcnt vmcnt(56)
	v_fma_f64 v[171:172], v[5:6], v[173:174], -v[171:172]
	ds_read_b128 v[133:136], v194 offset:1280
	v_fma_f64 v[167:168], v[7:8], v[173:174], v[167:168]
	v_add_f64 v[145:146], v[145:146], v[179:180]
	v_add_f64 v[137:138], v[137:138], v[163:164]
	s_clause 0x2
	buffer_load_dword v184, off, s[0:3], 0 offset:540
	buffer_load_dword v164, off, s[0:3], 0 offset:516
	;; [unrolled: 1-line block ×3, first 2 shown]
	ds_read_b128 v[5:8], v194 offset:1296
	s_waitcnt vmcnt(58) lgkmcnt(1)
	v_mul_f64 v[179:180], v[135:136], v[189:190]
	s_waitcnt vmcnt(56)
	v_fma_f64 v[187:188], v[1:2], v[191:192], -v[186:187]
	v_mul_f64 v[173:174], v[133:134], v[189:190]
	v_add_f64 v[145:146], v[145:146], v[171:172]
	v_fma_f64 v[171:172], v[3:4], v[191:192], v[216:217]
	v_add_f64 v[137:138], v[137:138], v[167:168]
	s_clause 0x4
	buffer_load_dword v168, off, s[0:3], 0 offset:556
	buffer_load_dword v189, off, s[0:3], 0 offset:568
	;; [unrolled: 1-line block ×5, first 2 shown]
	s_waitcnt vmcnt(57) lgkmcnt(0)
	v_mul_f64 v[216:217], v[5:6], v[201:202]
	v_mul_f64 v[201:202], v[7:8], v[201:202]
	s_waitcnt vmcnt(56)
	v_fma_f64 v[179:180], v[133:134], v[181:182], -v[179:180]
	ds_read_b128 v[1:4], v194 offset:1312
	v_fma_f64 v[173:174], v[135:136], v[181:182], v[173:174]
	v_add_f64 v[145:146], v[145:146], v[187:188]
	v_add_f64 v[137:138], v[137:138], v[171:172]
	s_clause 0x2
	buffer_load_dword v190, off, s[0:3], 0 offset:572
	buffer_load_dword v172, off, s[0:3], 0 offset:548
	;; [unrolled: 1-line block ×3, first 2 shown]
	ds_read_b128 v[133:136], v194 offset:1328
	s_waitcnt vmcnt(58) lgkmcnt(1)
	v_mul_f64 v[187:188], v[3:4], v[203:204]
	v_mul_f64 v[181:182], v[1:2], v[203:204]
	s_waitcnt vmcnt(56)
	v_fma_f64 v[201:202], v[5:6], v[141:142], -v[201:202]
	v_fma_f64 v[141:142], v[7:8], v[141:142], v[216:217]
	v_add_f64 v[145:146], v[145:146], v[179:180]
	v_add_f64 v[137:138], v[137:138], v[173:174]
	s_clause 0x4
	buffer_load_dword v174, off, s[0:3], 0 offset:588
	buffer_load_dword v179, off, s[0:3], 0 offset:600
	;; [unrolled: 1-line block ×5, first 2 shown]
	ds_read_b128 v[5:8], v194 offset:1344
	s_waitcnt vmcnt(57) lgkmcnt(1)
	v_mul_f64 v[216:217], v[133:134], v[139:140]
	v_mul_f64 v[139:140], v[135:136], v[139:140]
	s_waitcnt vmcnt(56)
	v_fma_f64 v[187:188], v[1:2], v[205:206], -v[187:188]
	v_fma_f64 v[181:182], v[3:4], v[205:206], v[181:182]
	v_add_f64 v[145:146], v[145:146], v[201:202]
	v_add_f64 v[137:138], v[137:138], v[141:142]
	s_clause 0x2
	buffer_load_dword v180, off, s[0:3], 0 offset:604
	buffer_load_dword v142, off, s[0:3], 0 offset:580
	;; [unrolled: 1-line block ×3, first 2 shown]
	s_waitcnt vmcnt(58) lgkmcnt(0)
	v_mul_f64 v[205:206], v[7:8], v[207:208]
	ds_read_b128 v[1:4], v194 offset:1360
	v_mul_f64 v[201:202], v[5:6], v[207:208]
	s_waitcnt vmcnt(56)
	v_fma_f64 v[139:140], v[133:134], v[197:198], -v[139:140]
	v_add_f64 v[145:146], v[145:146], v[187:188]
	v_fma_f64 v[187:188], v[135:136], v[197:198], v[216:217]
	v_add_f64 v[137:138], v[137:138], v[181:182]
	s_clause 0x4
	buffer_load_dword v182, off, s[0:3], 0 offset:620
	buffer_load_dword v197, off, s[0:3], 0 offset:632
	;; [unrolled: 1-line block ×5, first 2 shown]
	ds_read_b128 v[133:136], v194 offset:1376
	s_waitcnt vmcnt(57) lgkmcnt(1)
	v_mul_f64 v[216:217], v[1:2], v[157:158]
	v_mul_f64 v[157:158], v[3:4], v[157:158]
	s_waitcnt vmcnt(56)
	v_fma_f64 v[205:206], v[5:6], v[212:213], -v[205:206]
	v_add_f64 v[139:140], v[145:146], v[139:140]
	v_fma_f64 v[145:146], v[7:8], v[212:213], v[201:202]
	v_add_f64 v[137:138], v[137:138], v[187:188]
	s_clause 0x2
	buffer_load_dword v198, off, s[0:3], 0 offset:636
	buffer_load_dword v188, off, s[0:3], 0 offset:612
	;; [unrolled: 1-line block ×3, first 2 shown]
	ds_read_b128 v[5:8], v194 offset:1392
	s_waitcnt vmcnt(58) lgkmcnt(1)
	v_mul_f64 v[201:202], v[133:134], v[199:200]
	v_mul_f64 v[199:200], v[135:136], v[199:200]
	s_waitcnt vmcnt(56)
	v_fma_f64 v[157:158], v[1:2], v[151:152], -v[157:158]
	v_fma_f64 v[151:152], v[3:4], v[151:152], v[216:217]
	v_add_f64 v[139:140], v[139:140], v[205:206]
	v_add_f64 v[137:138], v[137:138], v[145:146]
	s_clause 0x4
	buffer_load_dword v146, off, s[0:3], 0 offset:652
	buffer_load_dword v205, off, s[0:3], 0 offset:664
	;; [unrolled: 1-line block ×5, first 2 shown]
	ds_read_b128 v[1:4], v194 offset:1408
	s_waitcnt vmcnt(57) lgkmcnt(1)
	v_mul_f64 v[212:213], v[5:6], v[143:144]
	v_mul_f64 v[143:144], v[7:8], v[143:144]
	s_waitcnt vmcnt(56)
	v_fma_f64 v[199:200], v[133:134], v[214:215], -v[199:200]
	v_add_f64 v[139:140], v[139:140], v[157:158]
	v_fma_f64 v[157:158], v[135:136], v[214:215], v[201:202]
	v_add_f64 v[137:138], v[137:138], v[151:152]
	s_clause 0x2
	buffer_load_dword v206, off, s[0:3], 0 offset:668
	buffer_load_dword v152, off, s[0:3], 0 offset:644
	;; [unrolled: 1-line block ×3, first 2 shown]
	ds_read_b128 v[133:136], v194 offset:1424
	s_waitcnt vmcnt(58) lgkmcnt(1)
	v_mul_f64 v[201:202], v[1:2], v[161:162]
	v_mul_f64 v[161:162], v[3:4], v[161:162]
	s_waitcnt vmcnt(56)
	v_fma_f64 v[143:144], v[5:6], v[149:150], -v[143:144]
	v_fma_f64 v[149:150], v[7:8], v[149:150], v[212:213]
	v_add_f64 v[139:140], v[139:140], v[199:200]
	v_add_f64 v[137:138], v[137:138], v[157:158]
	s_clause 0x4
	buffer_load_dword v158, off, s[0:3], 0 offset:684
	buffer_load_dword v199, off, s[0:3], 0 offset:696
	;; [unrolled: 1-line block ×5, first 2 shown]
	ds_read_b128 v[5:8], v194 offset:1440
	s_waitcnt vmcnt(57) lgkmcnt(1)
	v_mul_f64 v[214:215], v[133:134], v[147:148]
	v_mul_f64 v[147:148], v[135:136], v[147:148]
	s_waitcnt vmcnt(56)
	v_fma_f64 v[161:162], v[1:2], v[209:210], -v[161:162]
	v_add_f64 v[139:140], v[139:140], v[143:144]
	v_fma_f64 v[143:144], v[3:4], v[209:210], v[201:202]
	v_add_f64 v[137:138], v[137:138], v[149:150]
	s_clause 0x2
	buffer_load_dword v200, off, s[0:3], 0 offset:700
	buffer_load_dword v150, off, s[0:3], 0 offset:676
	;; [unrolled: 1-line block ×3, first 2 shown]
	s_waitcnt vmcnt(58) lgkmcnt(0)
	v_mul_f64 v[201:202], v[5:6], v[169:170]
	v_mul_f64 v[169:170], v[7:8], v[169:170]
	ds_read_b128 v[1:4], v194 offset:1456
	s_waitcnt vmcnt(56)
	v_fma_f64 v[147:148], v[133:134], v[155:156], -v[147:148]
	v_fma_f64 v[155:156], v[135:136], v[155:156], v[214:215]
	v_add_f64 v[139:140], v[139:140], v[161:162]
	v_add_f64 v[137:138], v[137:138], v[143:144]
	s_clause 0x4
	buffer_load_dword v144, off, s[0:3], 0 offset:716
	buffer_load_dword v161, off, s[0:3], 0 offset:728
	buffer_load_dword v209, off, s[0:3], 0 offset:720
	buffer_load_dword v143, off, s[0:3], 0 offset:712
	buffer_load_dword v214, off, s[0:3], 0 offset:692
	ds_read_b128 v[133:136], v194 offset:1472
	s_waitcnt vmcnt(57) lgkmcnt(1)
	v_mul_f64 v[215:216], v[1:2], v[153:154]
	v_mul_f64 v[153:154], v[3:4], v[153:154]
	s_waitcnt vmcnt(56)
	v_fma_f64 v[169:170], v[5:6], v[195:196], -v[169:170]
	v_add_f64 v[139:140], v[139:140], v[147:148]
	v_fma_f64 v[147:148], v[7:8], v[195:196], v[201:202]
	v_add_f64 v[137:138], v[137:138], v[155:156]
	s_clause 0x2
	buffer_load_dword v162, off, s[0:3], 0 offset:732
	buffer_load_dword v156, off, s[0:3], 0 offset:708
	buffer_load_dword v155, off, s[0:3], 0 offset:704
	s_waitcnt vmcnt(58) lgkmcnt(0)
	v_mul_f64 v[195:196], v[133:134], v[175:176]
	v_mul_f64 v[175:176], v[135:136], v[175:176]
	ds_read_b128 v[5:8], v194 offset:1488
	s_waitcnt vmcnt(56)
	v_fma_f64 v[153:154], v[1:2], v[165:166], -v[153:154]
	v_fma_f64 v[165:166], v[3:4], v[165:166], v[215:216]
	v_add_f64 v[139:140], v[139:140], v[169:170]
	v_add_f64 v[137:138], v[137:138], v[147:148]
	s_clause 0x4
	buffer_load_dword v148, off, s[0:3], 0 offset:748
	buffer_load_dword v169, off, s[0:3], 0 offset:760
	buffer_load_dword v201, off, s[0:3], 0 offset:752
	buffer_load_dword v147, off, s[0:3], 0 offset:744
	buffer_load_dword v210, off, s[0:3], 0 offset:724
	ds_read_b128 v[1:4], v194 offset:1504
	s_waitcnt vmcnt(57) lgkmcnt(1)
	v_mul_f64 v[215:216], v[5:6], v[159:160]
	v_mul_f64 v[159:160], v[7:8], v[159:160]
	s_waitcnt vmcnt(56)
	v_fma_f64 v[175:176], v[133:134], v[177:178], -v[175:176]
	v_add_f64 v[139:140], v[139:140], v[153:154]
	v_fma_f64 v[153:154], v[135:136], v[177:178], v[195:196]
	v_add_f64 v[137:138], v[137:138], v[165:166]
	s_clause 0x2
	buffer_load_dword v170, off, s[0:3], 0 offset:764
	buffer_load_dword v166, off, s[0:3], 0 offset:740
	buffer_load_dword v165, off, s[0:3], 0 offset:736
	ds_read_b128 v[133:136], v194 offset:1520
	s_waitcnt vmcnt(58) lgkmcnt(1)
	v_mul_f64 v[177:178], v[1:2], v[183:184]
	v_mul_f64 v[183:184], v[3:4], v[183:184]
	s_waitcnt vmcnt(56)
	v_fma_f64 v[159:160], v[5:6], v[163:164], -v[159:160]
	v_fma_f64 v[163:164], v[7:8], v[163:164], v[215:216]
	v_add_f64 v[139:140], v[139:140], v[175:176]
	v_add_f64 v[137:138], v[137:138], v[153:154]
	s_clause 0x4
	buffer_load_dword v154, off, s[0:3], 0 offset:780
	buffer_load_dword v175, off, s[0:3], 0 offset:792
	buffer_load_dword v195, off, s[0:3], 0 offset:784
	buffer_load_dword v153, off, s[0:3], 0 offset:776
	buffer_load_dword v202, off, s[0:3], 0 offset:756
	ds_read_b128 v[5:8], v194 offset:1536
	s_waitcnt vmcnt(57) lgkmcnt(1)
	v_mul_f64 v[215:216], v[133:134], v[167:168]
	v_mul_f64 v[167:168], v[135:136], v[167:168]
	s_waitcnt vmcnt(56)
	v_fma_f64 v[183:184], v[1:2], v[185:186], -v[183:184]
	v_add_f64 v[139:140], v[139:140], v[159:160]
	v_fma_f64 v[159:160], v[3:4], v[185:186], v[177:178]
	v_add_f64 v[137:138], v[137:138], v[163:164]
	s_clause 0x2
	buffer_load_dword v176, off, s[0:3], 0 offset:796
	buffer_load_dword v164, off, s[0:3], 0 offset:772
	buffer_load_dword v163, off, s[0:3], 0 offset:768
	ds_read_b128 v[1:4], v194 offset:1552
	s_waitcnt vmcnt(58) lgkmcnt(1)
	v_mul_f64 v[185:186], v[7:8], v[189:190]
	v_mul_f64 v[177:178], v[5:6], v[189:190]
	;; [unrolled: 28-line block ×4, first 2 shown]
	s_waitcnt vmcnt(56)
	v_fma_f64 v[181:182], v[5:6], v[187:188], -v[181:182]
	v_add_f64 v[139:140], v[139:140], v[179:180]
	v_fma_f64 v[179:180], v[7:8], v[187:188], v[215:216]
	v_add_f64 v[137:138], v[137:138], v[173:174]
	s_clause 0x4
	buffer_load_dword v174, off, s[0:3], 0 offset:876
	buffer_load_dword v187, off, s[0:3], 0 offset:888
	;; [unrolled: 1-line block ×5, first 2 shown]
	ds_read_b128 v[5:8], v194 offset:1632
	s_waitcnt vmcnt(57) lgkmcnt(1)
	v_mul_f64 v[215:216], v[133:134], v[145:146]
	v_mul_f64 v[145:146], v[135:136], v[145:146]
	s_waitcnt vmcnt(56)
	v_fma_f64 v[197:198], v[1:2], v[207:208], -v[197:198]
	v_fma_f64 v[177:178], v[3:4], v[207:208], v[177:178]
	v_add_f64 v[139:140], v[139:140], v[181:182]
	v_add_f64 v[137:138], v[137:138], v[179:180]
	s_clause 0x2
	buffer_load_dword v188, off, s[0:3], 0 offset:892
	buffer_load_dword v180, off, s[0:3], 0 offset:868
	buffer_load_dword v179, off, s[0:3], 0 offset:864
	ds_read_b128 v[1:4], v194 offset:1648
	s_waitcnt vmcnt(58) lgkmcnt(1)
	v_mul_f64 v[181:182], v[5:6], v[205:206]
	v_mul_f64 v[205:206], v[7:8], v[205:206]
	s_waitcnt vmcnt(56)
	v_fma_f64 v[145:146], v[133:134], v[151:152], -v[145:146]
	v_fma_f64 v[151:152], v[135:136], v[151:152], v[215:216]
	v_add_f64 v[139:140], v[139:140], v[197:198]
	v_add_f64 v[137:138], v[137:138], v[177:178]
	s_clause 0x4
	buffer_load_dword v178, off, s[0:3], 0 offset:908
	buffer_load_dword v197, off, s[0:3], 0 offset:920
	buffer_load_dword v207, off, s[0:3], 0 offset:912
	buffer_load_dword v177, off, s[0:3], 0 offset:904
	buffer_load_dword v204, off, s[0:3], 0 offset:884
	ds_read_b128 v[133:136], v194 offset:1664
	s_waitcnt vmcnt(57) lgkmcnt(1)
	v_mul_f64 v[215:216], v[1:2], v[157:158]
	v_mul_f64 v[157:158], v[3:4], v[157:158]
	s_waitcnt vmcnt(56)
	v_fma_f64 v[205:206], v[5:6], v[211:212], -v[205:206]
	v_add_f64 v[139:140], v[139:140], v[145:146]
	v_fma_f64 v[145:146], v[7:8], v[211:212], v[181:182]
	v_add_f64 v[137:138], v[137:138], v[151:152]
	s_clause 0x2
	buffer_load_dword v198, off, s[0:3], 0 offset:924
	buffer_load_dword v152, off, s[0:3], 0 offset:900
	buffer_load_dword v151, off, s[0:3], 0 offset:896
	ds_read_b128 v[5:8], v194 offset:1680
	s_waitcnt vmcnt(58) lgkmcnt(1)
	v_mul_f64 v[181:182], v[133:134], v[199:200]
	v_mul_f64 v[199:200], v[135:136], v[199:200]
	s_waitcnt vmcnt(56)
	v_fma_f64 v[157:158], v[1:2], v[149:150], -v[157:158]
	v_fma_f64 v[149:150], v[3:4], v[149:150], v[215:216]
	v_add_f64 v[139:140], v[139:140], v[205:206]
	v_add_f64 v[137:138], v[137:138], v[145:146]
	s_clause 0x4
	buffer_load_dword v146, off, s[0:3], 0 offset:940
	buffer_load_dword v205, off, s[0:3], 0 offset:952
	buffer_load_dword v211, off, s[0:3], 0 offset:944
	buffer_load_dword v145, off, s[0:3], 0 offset:936
	buffer_load_dword v208, off, s[0:3], 0 offset:916
	ds_read_b128 v[1:4], v194 offset:1696
	s_waitcnt vmcnt(57) lgkmcnt(1)
	v_mul_f64 v[215:216], v[5:6], v[143:144]
	v_mul_f64 v[143:144], v[7:8], v[143:144]
	s_waitcnt vmcnt(56)
	v_fma_f64 v[199:200], v[133:134], v[213:214], -v[199:200]
	v_add_f64 v[139:140], v[139:140], v[157:158]
	v_fma_f64 v[157:158], v[135:136], v[213:214], v[181:182]
	;; [unrolled: 28-line block ×3, first 2 shown]
	v_add_f64 v[137:138], v[137:138], v[155:156]
	s_clause 0x2
	buffer_load_dword v200, off, s[0:3], 0 offset:988
	buffer_load_dword v156, off, s[0:3], 0 offset:964
	;; [unrolled: 1-line block ×3, first 2 shown]
	ds_read_b128 v[1:4], v194 offset:1744
	s_waitcnt vmcnt(58) lgkmcnt(1)
	v_mul_f64 v[181:182], v[5:6], v[169:170]
	v_mul_f64 v[169:170], v[7:8], v[169:170]
	s_waitcnt vmcnt(56)
	v_fma_f64 v[147:148], v[133:134], v[165:166], -v[147:148]
	v_add_f64 v[139:140], v[139:140], v[161:162]
	v_fma_f64 v[161:162], v[135:136], v[165:166], v[214:215]
	v_add_f64 v[137:138], v[137:138], v[143:144]
	s_clause 0x2
	buffer_load_dword v144, off, s[0:3], 0 offset:1004
	buffer_load_dword v143, off, s[0:3], 0 offset:1000
	;; [unrolled: 1-line block ×3, first 2 shown]
	ds_read_b128 v[133:136], v194 offset:1760
	s_waitcnt vmcnt(55) lgkmcnt(1)
	v_mul_f64 v[165:166], v[1:2], v[153:154]
	v_mul_f64 v[153:154], v[3:4], v[153:154]
	s_waitcnt vmcnt(54)
	v_fma_f64 v[169:170], v[5:6], v[201:202], -v[169:170]
	v_add_f64 v[139:140], v[139:140], v[147:148]
	v_fma_f64 v[147:148], v[7:8], v[201:202], v[181:182]
	v_add_f64 v[137:138], v[137:138], v[161:162]
	s_clause 0x1
	buffer_load_dword v162, off, s[0:3], 0 offset:996
	buffer_load_dword v161, off, s[0:3], 0 offset:992
	ds_read_b128 v[5:8], v194 offset:1776
	s_waitcnt vmcnt(55) lgkmcnt(1)
	v_mul_f64 v[181:182], v[133:134], v[175:176]
	v_mul_f64 v[175:176], v[135:136], v[175:176]
	s_waitcnt vmcnt(53)
	v_fma_f64 v[153:154], v[1:2], v[163:164], -v[153:154]
	v_fma_f64 v[163:164], v[3:4], v[163:164], v[165:166]
	ds_read_b128 v[1:4], v194 offset:1792
	v_add_f64 v[139:140], v[139:140], v[169:170]
	v_add_f64 v[137:138], v[137:138], v[147:148]
	s_waitcnt vmcnt(49) lgkmcnt(1)
	v_mul_f64 v[147:148], v[5:6], v[159:160]
	v_mul_f64 v[159:160], v[7:8], v[159:160]
	s_waitcnt vmcnt(48)
	v_fma_f64 v[165:166], v[133:134], v[195:196], -v[175:176]
	v_add_f64 v[139:140], v[139:140], v[153:154]
	v_fma_f64 v[153:154], v[135:136], v[195:196], v[181:182]
	v_add_f64 v[137:138], v[137:138], v[163:164]
	s_clause 0x3
	buffer_load_dword v163, off, s[0:3], 0 offset:64
	buffer_load_dword v164, off, s[0:3], 0 offset:68
	;; [unrolled: 1-line block ×4, first 2 shown]
	ds_read_b128 v[133:136], v194 offset:1808
	s_waitcnt vmcnt(51) lgkmcnt(1)
	v_mul_f64 v[181:182], v[3:4], v[183:184]
	v_mul_f64 v[175:176], v[1:2], v[183:184]
	s_waitcnt vmcnt(49)
	v_fma_f64 v[159:160], v[5:6], v[171:172], -v[159:160]
	v_fma_f64 v[147:148], v[7:8], v[171:172], v[147:148]
	ds_read_b128 v[5:8], v194 offset:1824
	v_add_f64 v[139:140], v[139:140], v[165:166]
	v_add_f64 v[137:138], v[137:138], v[153:154]
	s_waitcnt vmcnt(45) lgkmcnt(1)
	v_mul_f64 v[153:154], v[133:134], v[167:168]
	v_mul_f64 v[165:166], v[135:136], v[167:168]
	s_waitcnt vmcnt(44)
	v_fma_f64 v[167:168], v[1:2], v[189:190], -v[181:182]
	v_add_f64 v[139:140], v[139:140], v[159:160]
	v_fma_f64 v[159:160], v[3:4], v[189:190], v[175:176]
	v_add_f64 v[137:138], v[137:138], v[147:148]
	ds_read_b128 v[1:4], v194 offset:1840
	s_waitcnt vmcnt(43) lgkmcnt(1)
	v_mul_f64 v[171:172], v[7:8], v[185:186]
	v_mul_f64 v[147:148], v[5:6], v[185:186]
	s_waitcnt vmcnt(41)
	v_fma_f64 v[165:166], v[133:134], v[141:142], -v[165:166]
	v_fma_f64 v[141:142], v[135:136], v[141:142], v[153:154]
	ds_read_b128 v[133:136], v194 offset:1856
	v_add_f64 v[139:140], v[139:140], v[167:168]
	v_add_f64 v[137:138], v[137:138], v[159:160]
	s_waitcnt vmcnt(37) lgkmcnt(1)
	v_mul_f64 v[159:160], v[3:4], v[173:174]
	s_waitcnt vmcnt(36)
	v_fma_f64 v[167:168], v[5:6], v[191:192], -v[171:172]
	v_mul_f64 v[153:154], v[1:2], v[173:174]
	v_fma_f64 v[147:148], v[7:8], v[191:192], v[147:148]
	ds_read_b128 v[5:8], v194 offset:1872
	v_add_f64 v[139:140], v[139:140], v[165:166]
	v_add_f64 v[137:138], v[137:138], v[141:142]
	s_waitcnt vmcnt(35) lgkmcnt(1)
	v_mul_f64 v[165:166], v[135:136], v[187:188]
	v_mul_f64 v[141:142], v[133:134], v[187:188]
	s_waitcnt vmcnt(33)
	v_fma_f64 v[159:160], v[1:2], v[179:180], -v[159:160]
	v_fma_f64 v[153:154], v[3:4], v[179:180], v[153:154]
	ds_read_b128 v[1:4], v194 offset:1888
	v_add_f64 v[139:140], v[139:140], v[167:168]
	v_add_f64 v[137:138], v[137:138], v[147:148]
	s_waitcnt vmcnt(29) lgkmcnt(1)
	v_mul_f64 v[167:168], v[7:8], v[177:178]
	s_waitcnt vmcnt(28)
	v_fma_f64 v[165:166], v[133:134], v[203:204], -v[165:166]
	v_mul_f64 v[147:148], v[5:6], v[177:178]
	v_fma_f64 v[141:142], v[135:136], v[203:204], v[141:142]
	ds_read_b128 v[133:136], v194 offset:1904
	v_add_f64 v[139:140], v[139:140], v[159:160]
	v_add_f64 v[137:138], v[137:138], v[153:154]
	s_waitcnt vmcnt(27) lgkmcnt(1)
	v_mul_f64 v[159:160], v[3:4], v[197:198]
	v_mul_f64 v[153:154], v[1:2], v[197:198]
	s_waitcnt vmcnt(25)
	v_fma_f64 v[167:168], v[5:6], v[151:152], -v[167:168]
	v_fma_f64 v[147:148], v[7:8], v[151:152], v[147:148]
	ds_read_b128 v[5:8], v194 offset:1920
	v_add_f64 v[139:140], v[139:140], v[165:166]
	v_add_f64 v[137:138], v[137:138], v[141:142]
	s_waitcnt vmcnt(21) lgkmcnt(1)
	v_mul_f64 v[141:142], v[133:134], v[145:146]
	v_mul_f64 v[145:146], v[135:136], v[145:146]
	s_waitcnt vmcnt(20)
	v_fma_f64 v[151:152], v[1:2], v[207:208], -v[159:160]
	;; [unrolled: 9-line block ×3, first 2 shown]
	v_fma_f64 v[141:142], v[135:136], v[149:150], v[141:142]
	ds_read_b128 v[133:136], v194 offset:1952
	v_add_f64 v[139:140], v[139:140], v[151:152]
	v_add_f64 v[137:138], v[137:138], v[153:154]
	s_waitcnt vmcnt(13) lgkmcnt(1)
	v_mul_f64 v[151:152], v[3:4], v[157:158]
	s_waitcnt vmcnt(12)
	v_fma_f64 v[153:154], v[5:6], v[211:212], -v[159:160]
	v_mul_f64 v[149:150], v[1:2], v[157:158]
	v_add_f64 v[139:140], v[139:140], v[145:146]
	v_fma_f64 v[145:146], v[7:8], v[211:212], v[147:148]
	v_add_f64 v[137:138], v[137:138], v[141:142]
	ds_read_b128 v[5:8], v194 offset:1968
	s_waitcnt vmcnt(11) lgkmcnt(1)
	v_mul_f64 v[147:148], v[135:136], v[199:200]
	v_mul_f64 v[141:142], v[133:134], v[199:200]
	s_waitcnt vmcnt(9)
	v_fma_f64 v[1:2], v[1:2], v[155:156], -v[151:152]
	v_fma_f64 v[3:4], v[3:4], v[155:156], v[149:150]
	v_add_f64 v[139:140], v[139:140], v[153:154]
	v_add_f64 v[137:138], v[137:138], v[145:146]
	s_waitcnt vmcnt(7) lgkmcnt(0)
	v_mul_f64 v[145:146], v[5:6], v[143:144]
	v_mul_f64 v[143:144], v[7:8], v[143:144]
	s_waitcnt vmcnt(6)
	v_fma_f64 v[133:134], v[133:134], v[213:214], -v[147:148]
	v_fma_f64 v[135:136], v[135:136], v[213:214], v[141:142]
	v_add_f64 v[1:2], v[139:140], v[1:2]
	v_add_f64 v[3:4], v[137:138], v[3:4]
	s_waitcnt vmcnt(4)
	v_fma_f64 v[5:6], v[5:6], v[161:162], -v[143:144]
	v_fma_f64 v[7:8], v[7:8], v[161:162], v[145:146]
	v_add_f64 v[1:2], v[1:2], v[133:134]
	v_add_f64 v[3:4], v[3:4], v[135:136]
	;; [unrolled: 1-line block ×4, first 2 shown]
	s_waitcnt vmcnt(2)
	v_add_f64 v[1:2], v[163:164], -v[1:2]
	s_waitcnt vmcnt(0)
	v_add_f64 v[3:4], v[169:170], -v[3:4]
	buffer_store_dword v2, off, s[0:3], 0 offset:68
	buffer_store_dword v1, off, s[0:3], 0 offset:64
	;; [unrolled: 1-line block ×4, first 2 shown]
	v_cmpx_lt_u32_e32 2, v0
	s_cbranch_execz .LBB125_393
; %bb.392:
	v_mov_b32_e32 v4, s74
	v_mov_b32_e32 v5, 0
	s_clause 0x3
	buffer_load_dword v1, v4, s[0:3], 0 offen
	buffer_load_dword v2, v4, s[0:3], 0 offen offset:4
	buffer_load_dword v3, v4, s[0:3], 0 offen offset:8
	;; [unrolled: 1-line block ×3, first 2 shown]
	buffer_store_dword v5, off, s[0:3], 0 offset:48
	buffer_store_dword v5, off, s[0:3], 0 offset:52
	;; [unrolled: 1-line block ×4, first 2 shown]
	s_waitcnt vmcnt(0)
	ds_write_b128 v193, v[1:4]
.LBB125_393:
	s_or_b32 exec_lo, exec_lo, s4
	s_waitcnt lgkmcnt(0)
	s_waitcnt_vscnt null, 0x0
	s_barrier
	buffer_gl0_inv
	s_clause 0x37
	buffer_load_dword v141, off, s[0:3], 0 offset:72
	buffer_load_dword v142, off, s[0:3], 0 offset:76
	;; [unrolled: 1-line block ×56, first 2 shown]
	v_mov_b32_e32 v194, 0
	s_mov_b32 s4, exec_lo
	ds_read_b128 v[5:8], v194 offset:1040
	s_clause 0x2
	buffer_load_dword v190, off, s[0:3], 0 offset:300
	buffer_load_dword v192, off, s[0:3], 0 offset:276
	;; [unrolled: 1-line block ×3, first 2 shown]
	ds_read_b128 v[1:4], v194 offset:1056
	s_clause 0x4
	buffer_load_dword v202, off, s[0:3], 0 offset:316
	buffer_load_dword v203, off, s[0:3], 0 offset:328
	;; [unrolled: 1-line block ×5, first 2 shown]
	ds_read_b128 v[195:198], v194 offset:1072
	s_waitcnt vmcnt(62) lgkmcnt(2)
	v_mul_f64 v[199:200], v[7:8], v[141:142]
	v_mul_f64 v[141:142], v[5:6], v[141:142]
	s_waitcnt vmcnt(60) lgkmcnt(1)
	v_mul_f64 v[206:207], v[3:4], v[137:138]
	v_mul_f64 v[137:138], v[1:2], v[137:138]
	s_waitcnt vmcnt(56) lgkmcnt(0)
	v_mul_f64 v[208:209], v[195:196], v[135:136]
	v_mul_f64 v[135:136], v[197:198], v[135:136]
	v_fma_f64 v[199:200], v[5:6], v[139:140], -v[199:200]
	v_fma_f64 v[139:140], v[7:8], v[139:140], v[141:142]
	s_clause 0x2
	buffer_load_dword v204, off, s[0:3], 0 offset:332
	buffer_load_dword v142, off, s[0:3], 0 offset:308
	;; [unrolled: 1-line block ×3, first 2 shown]
	s_waitcnt vmcnt(57)
	v_fma_f64 v[210:211], v[1:2], v[133:134], -v[206:207]
	ds_read_b128 v[5:8], v194 offset:1088
	v_fma_f64 v[133:134], v[3:4], v[133:134], v[137:138]
	s_waitcnt vmcnt(51)
	v_fma_f64 v[195:196], v[195:196], v[157:158], -v[135:136]
	v_fma_f64 v[157:158], v[197:198], v[157:158], v[208:209]
	v_add_f64 v[199:200], v[199:200], 0
	v_add_f64 v[137:138], v[139:140], 0
	s_clause 0x4
	buffer_load_dword v140, off, s[0:3], 0 offset:348
	buffer_load_dword v207, off, s[0:3], 0 offset:360
	;; [unrolled: 1-line block ×5, first 2 shown]
	s_waitcnt lgkmcnt(0)
	v_mul_f64 v[213:214], v[5:6], v[145:146]
	v_mul_f64 v[145:146], v[7:8], v[145:146]
	ds_read_b128 v[1:4], v194 offset:1104
	s_clause 0x2
	buffer_load_dword v208, off, s[0:3], 0 offset:364
	buffer_load_dword v198, off, s[0:3], 0 offset:340
	;; [unrolled: 1-line block ×3, first 2 shown]
	v_add_f64 v[199:200], v[199:200], v[210:211]
	v_add_f64 v[137:138], v[137:138], v[133:134]
	ds_read_b128 v[133:136], v194 offset:1120
	s_waitcnt vmcnt(58) lgkmcnt(1)
	v_mul_f64 v[209:210], v[1:2], v[149:150]
	v_mul_f64 v[149:150], v[3:4], v[149:150]
	s_waitcnt vmcnt(56)
	v_fma_f64 v[145:146], v[5:6], v[151:152], -v[145:146]
	v_fma_f64 v[151:152], v[7:8], v[151:152], v[213:214]
	s_waitcnt vmcnt(52) lgkmcnt(0)
	v_mul_f64 v[215:216], v[133:134], v[153:154]
	v_add_f64 v[195:196], v[199:200], v[195:196]
	v_add_f64 v[137:138], v[137:138], v[157:158]
	s_clause 0x4
	buffer_load_dword v158, off, s[0:3], 0 offset:380
	buffer_load_dword v199, off, s[0:3], 0 offset:392
	;; [unrolled: 1-line block ×5, first 2 shown]
	v_mul_f64 v[153:154], v[135:136], v[153:154]
	s_waitcnt vmcnt(56)
	v_fma_f64 v[149:150], v[1:2], v[143:144], -v[149:150]
	ds_read_b128 v[5:8], v194 offset:1136
	v_fma_f64 v[143:144], v[3:4], v[143:144], v[209:210]
	v_add_f64 v[145:146], v[195:196], v[145:146]
	v_add_f64 v[137:138], v[137:138], v[151:152]
	s_clause 0x2
	buffer_load_dword v200, off, s[0:3], 0 offset:396
	buffer_load_dword v152, off, s[0:3], 0 offset:372
	;; [unrolled: 1-line block ×3, first 2 shown]
	s_waitcnt vmcnt(58) lgkmcnt(0)
	v_mul_f64 v[195:196], v[5:6], v[159:160]
	v_mul_f64 v[159:160], v[7:8], v[159:160]
	s_waitcnt vmcnt(56)
	v_fma_f64 v[153:154], v[133:134], v[161:162], -v[153:154]
	ds_read_b128 v[1:4], v194 offset:1152
	v_add_f64 v[145:146], v[145:146], v[149:150]
	v_fma_f64 v[149:150], v[135:136], v[161:162], v[215:216]
	v_add_f64 v[137:138], v[137:138], v[143:144]
	s_clause 0x4
	buffer_load_dword v144, off, s[0:3], 0 offset:412
	buffer_load_dword v161, off, s[0:3], 0 offset:424
	;; [unrolled: 1-line block ×5, first 2 shown]
	s_waitcnt vmcnt(57) lgkmcnt(0)
	v_mul_f64 v[210:211], v[1:2], v[163:164]
	v_mul_f64 v[163:164], v[3:4], v[163:164]
	s_waitcnt vmcnt(56)
	v_fma_f64 v[159:160], v[5:6], v[147:148], -v[159:160]
	ds_read_b128 v[133:136], v194 offset:1168
	v_fma_f64 v[147:148], v[7:8], v[147:148], v[195:196]
	v_add_f64 v[145:146], v[145:146], v[153:154]
	v_add_f64 v[137:138], v[137:138], v[149:150]
	s_clause 0x2
	buffer_load_dword v162, off, s[0:3], 0 offset:428
	buffer_load_dword v150, off, s[0:3], 0 offset:404
	;; [unrolled: 1-line block ×3, first 2 shown]
	ds_read_b128 v[5:8], v194 offset:1184
	s_waitcnt vmcnt(58) lgkmcnt(1)
	v_mul_f64 v[153:154], v[133:134], v[167:168]
	v_mul_f64 v[167:168], v[135:136], v[167:168]
	s_waitcnt vmcnt(56)
	v_fma_f64 v[163:164], v[1:2], v[169:170], -v[163:164]
	v_add_f64 v[145:146], v[145:146], v[159:160]
	v_fma_f64 v[159:160], v[3:4], v[169:170], v[210:211]
	v_add_f64 v[137:138], v[137:138], v[147:148]
	s_clause 0x4
	buffer_load_dword v148, off, s[0:3], 0 offset:444
	buffer_load_dword v169, off, s[0:3], 0 offset:456
	;; [unrolled: 1-line block ×5, first 2 shown]
	s_waitcnt vmcnt(57) lgkmcnt(0)
	v_mul_f64 v[216:217], v[5:6], v[171:172]
	v_mul_f64 v[171:172], v[7:8], v[171:172]
	s_waitcnt vmcnt(56)
	v_fma_f64 v[167:168], v[133:134], v[155:156], -v[167:168]
	ds_read_b128 v[1:4], v194 offset:1200
	v_fma_f64 v[153:154], v[135:136], v[155:156], v[153:154]
	s_clause 0x2
	buffer_load_dword v170, off, s[0:3], 0 offset:460
	buffer_load_dword v156, off, s[0:3], 0 offset:436
	;; [unrolled: 1-line block ×3, first 2 shown]
	ds_read_b128 v[133:136], v194 offset:1216
	v_add_f64 v[145:146], v[145:146], v[163:164]
	v_add_f64 v[137:138], v[137:138], v[159:160]
	s_waitcnt vmcnt(58) lgkmcnt(1)
	v_mul_f64 v[163:164], v[3:4], v[175:176]
	s_waitcnt vmcnt(56)
	v_fma_f64 v[171:172], v[5:6], v[177:178], -v[171:172]
	v_mul_f64 v[159:160], v[1:2], v[175:176]
	v_add_f64 v[145:146], v[145:146], v[167:168]
	v_fma_f64 v[167:168], v[7:8], v[177:178], v[216:217]
	v_add_f64 v[137:138], v[137:138], v[153:154]
	s_clause 0x4
	buffer_load_dword v154, off, s[0:3], 0 offset:476
	buffer_load_dword v175, off, s[0:3], 0 offset:488
	;; [unrolled: 1-line block ×5, first 2 shown]
	s_waitcnt vmcnt(57) lgkmcnt(0)
	v_mul_f64 v[216:217], v[133:134], v[179:180]
	v_mul_f64 v[178:179], v[135:136], v[179:180]
	s_waitcnt vmcnt(56)
	v_fma_f64 v[163:164], v[1:2], v[165:166], -v[163:164]
	ds_read_b128 v[5:8], v194 offset:1232
	v_fma_f64 v[159:160], v[3:4], v[165:166], v[159:160]
	s_clause 0x2
	buffer_load_dword v176, off, s[0:3], 0 offset:492
	buffer_load_dword v166, off, s[0:3], 0 offset:468
	buffer_load_dword v165, off, s[0:3], 0 offset:464
	ds_read_b128 v[1:4], v194 offset:1248
	v_add_f64 v[145:146], v[145:146], v[171:172]
	v_add_f64 v[137:138], v[137:138], v[167:168]
	s_waitcnt vmcnt(58) lgkmcnt(1)
	v_mul_f64 v[171:172], v[7:8], v[183:184]
	s_waitcnt vmcnt(56)
	v_fma_f64 v[179:180], v[133:134], v[185:186], -v[178:179]
	v_mul_f64 v[167:168], v[5:6], v[183:184]
	v_add_f64 v[145:146], v[145:146], v[163:164]
	v_fma_f64 v[163:164], v[135:136], v[185:186], v[216:217]
	v_add_f64 v[137:138], v[137:138], v[159:160]
	s_clause 0x4
	buffer_load_dword v160, off, s[0:3], 0 offset:508
	buffer_load_dword v183, off, s[0:3], 0 offset:520
	;; [unrolled: 1-line block ×5, first 2 shown]
	s_waitcnt vmcnt(57) lgkmcnt(0)
	v_mul_f64 v[216:217], v[1:2], v[187:188]
	v_mul_f64 v[186:187], v[3:4], v[187:188]
	s_waitcnt vmcnt(56)
	v_fma_f64 v[171:172], v[5:6], v[173:174], -v[171:172]
	ds_read_b128 v[133:136], v194 offset:1264
	v_fma_f64 v[167:168], v[7:8], v[173:174], v[167:168]
	v_add_f64 v[145:146], v[145:146], v[179:180]
	v_add_f64 v[137:138], v[137:138], v[163:164]
	s_clause 0x2
	buffer_load_dword v184, off, s[0:3], 0 offset:524
	buffer_load_dword v164, off, s[0:3], 0 offset:500
	;; [unrolled: 1-line block ×3, first 2 shown]
	ds_read_b128 v[5:8], v194 offset:1280
	s_waitcnt vmcnt(58) lgkmcnt(1)
	v_mul_f64 v[179:180], v[135:136], v[189:190]
	s_waitcnt vmcnt(56)
	v_fma_f64 v[187:188], v[1:2], v[191:192], -v[186:187]
	v_mul_f64 v[173:174], v[133:134], v[189:190]
	v_add_f64 v[145:146], v[145:146], v[171:172]
	v_fma_f64 v[171:172], v[3:4], v[191:192], v[216:217]
	v_add_f64 v[137:138], v[137:138], v[167:168]
	s_clause 0x4
	buffer_load_dword v168, off, s[0:3], 0 offset:540
	buffer_load_dword v189, off, s[0:3], 0 offset:552
	;; [unrolled: 1-line block ×5, first 2 shown]
	s_waitcnt vmcnt(57) lgkmcnt(0)
	v_mul_f64 v[216:217], v[5:6], v[201:202]
	v_mul_f64 v[201:202], v[7:8], v[201:202]
	s_waitcnt vmcnt(56)
	v_fma_f64 v[179:180], v[133:134], v[181:182], -v[179:180]
	ds_read_b128 v[1:4], v194 offset:1296
	v_fma_f64 v[173:174], v[135:136], v[181:182], v[173:174]
	v_add_f64 v[145:146], v[145:146], v[187:188]
	v_add_f64 v[137:138], v[137:138], v[171:172]
	s_clause 0x2
	buffer_load_dword v190, off, s[0:3], 0 offset:556
	buffer_load_dword v172, off, s[0:3], 0 offset:532
	;; [unrolled: 1-line block ×3, first 2 shown]
	ds_read_b128 v[133:136], v194 offset:1312
	s_waitcnt vmcnt(58) lgkmcnt(1)
	v_mul_f64 v[187:188], v[3:4], v[203:204]
	v_mul_f64 v[181:182], v[1:2], v[203:204]
	s_waitcnt vmcnt(56)
	v_fma_f64 v[201:202], v[5:6], v[141:142], -v[201:202]
	v_fma_f64 v[141:142], v[7:8], v[141:142], v[216:217]
	v_add_f64 v[145:146], v[145:146], v[179:180]
	v_add_f64 v[137:138], v[137:138], v[173:174]
	s_clause 0x4
	buffer_load_dword v174, off, s[0:3], 0 offset:572
	buffer_load_dword v179, off, s[0:3], 0 offset:584
	;; [unrolled: 1-line block ×5, first 2 shown]
	ds_read_b128 v[5:8], v194 offset:1328
	s_waitcnt vmcnt(57) lgkmcnt(1)
	v_mul_f64 v[216:217], v[133:134], v[139:140]
	v_mul_f64 v[139:140], v[135:136], v[139:140]
	s_waitcnt vmcnt(56)
	v_fma_f64 v[187:188], v[1:2], v[205:206], -v[187:188]
	v_fma_f64 v[181:182], v[3:4], v[205:206], v[181:182]
	v_add_f64 v[145:146], v[145:146], v[201:202]
	v_add_f64 v[137:138], v[137:138], v[141:142]
	s_clause 0x2
	buffer_load_dword v180, off, s[0:3], 0 offset:588
	buffer_load_dword v142, off, s[0:3], 0 offset:564
	;; [unrolled: 1-line block ×3, first 2 shown]
	s_waitcnt vmcnt(58) lgkmcnt(0)
	v_mul_f64 v[205:206], v[7:8], v[207:208]
	ds_read_b128 v[1:4], v194 offset:1344
	v_mul_f64 v[201:202], v[5:6], v[207:208]
	s_waitcnt vmcnt(56)
	v_fma_f64 v[139:140], v[133:134], v[197:198], -v[139:140]
	v_add_f64 v[145:146], v[145:146], v[187:188]
	v_fma_f64 v[187:188], v[135:136], v[197:198], v[216:217]
	v_add_f64 v[137:138], v[137:138], v[181:182]
	s_clause 0x4
	buffer_load_dword v182, off, s[0:3], 0 offset:604
	buffer_load_dword v197, off, s[0:3], 0 offset:616
	;; [unrolled: 1-line block ×5, first 2 shown]
	ds_read_b128 v[133:136], v194 offset:1360
	s_waitcnt vmcnt(57) lgkmcnt(1)
	v_mul_f64 v[216:217], v[1:2], v[157:158]
	v_mul_f64 v[157:158], v[3:4], v[157:158]
	s_waitcnt vmcnt(56)
	v_fma_f64 v[205:206], v[5:6], v[212:213], -v[205:206]
	v_add_f64 v[139:140], v[145:146], v[139:140]
	v_fma_f64 v[145:146], v[7:8], v[212:213], v[201:202]
	v_add_f64 v[137:138], v[137:138], v[187:188]
	s_clause 0x2
	buffer_load_dword v198, off, s[0:3], 0 offset:620
	buffer_load_dword v188, off, s[0:3], 0 offset:596
	;; [unrolled: 1-line block ×3, first 2 shown]
	ds_read_b128 v[5:8], v194 offset:1376
	s_waitcnt vmcnt(58) lgkmcnt(1)
	v_mul_f64 v[201:202], v[133:134], v[199:200]
	v_mul_f64 v[199:200], v[135:136], v[199:200]
	s_waitcnt vmcnt(56)
	v_fma_f64 v[157:158], v[1:2], v[151:152], -v[157:158]
	v_fma_f64 v[151:152], v[3:4], v[151:152], v[216:217]
	v_add_f64 v[139:140], v[139:140], v[205:206]
	v_add_f64 v[137:138], v[137:138], v[145:146]
	s_clause 0x4
	buffer_load_dword v146, off, s[0:3], 0 offset:636
	buffer_load_dword v205, off, s[0:3], 0 offset:648
	;; [unrolled: 1-line block ×5, first 2 shown]
	ds_read_b128 v[1:4], v194 offset:1392
	s_waitcnt vmcnt(57) lgkmcnt(1)
	v_mul_f64 v[212:213], v[5:6], v[143:144]
	v_mul_f64 v[143:144], v[7:8], v[143:144]
	s_waitcnt vmcnt(56)
	v_fma_f64 v[199:200], v[133:134], v[214:215], -v[199:200]
	v_add_f64 v[139:140], v[139:140], v[157:158]
	v_fma_f64 v[157:158], v[135:136], v[214:215], v[201:202]
	v_add_f64 v[137:138], v[137:138], v[151:152]
	s_clause 0x2
	buffer_load_dword v206, off, s[0:3], 0 offset:652
	buffer_load_dword v152, off, s[0:3], 0 offset:628
	;; [unrolled: 1-line block ×3, first 2 shown]
	ds_read_b128 v[133:136], v194 offset:1408
	s_waitcnt vmcnt(58) lgkmcnt(1)
	v_mul_f64 v[201:202], v[1:2], v[161:162]
	v_mul_f64 v[161:162], v[3:4], v[161:162]
	s_waitcnt vmcnt(56)
	v_fma_f64 v[143:144], v[5:6], v[149:150], -v[143:144]
	v_fma_f64 v[149:150], v[7:8], v[149:150], v[212:213]
	v_add_f64 v[139:140], v[139:140], v[199:200]
	v_add_f64 v[137:138], v[137:138], v[157:158]
	s_clause 0x4
	buffer_load_dword v158, off, s[0:3], 0 offset:668
	buffer_load_dword v199, off, s[0:3], 0 offset:680
	buffer_load_dword v213, off, s[0:3], 0 offset:672
	buffer_load_dword v157, off, s[0:3], 0 offset:664
	buffer_load_dword v212, off, s[0:3], 0 offset:644
	ds_read_b128 v[5:8], v194 offset:1424
	s_waitcnt vmcnt(57) lgkmcnt(1)
	v_mul_f64 v[214:215], v[133:134], v[147:148]
	v_mul_f64 v[147:148], v[135:136], v[147:148]
	s_waitcnt vmcnt(56)
	v_fma_f64 v[161:162], v[1:2], v[209:210], -v[161:162]
	v_add_f64 v[139:140], v[139:140], v[143:144]
	v_fma_f64 v[143:144], v[3:4], v[209:210], v[201:202]
	v_add_f64 v[137:138], v[137:138], v[149:150]
	s_clause 0x2
	buffer_load_dword v200, off, s[0:3], 0 offset:684
	buffer_load_dword v150, off, s[0:3], 0 offset:660
	;; [unrolled: 1-line block ×3, first 2 shown]
	s_waitcnt vmcnt(58) lgkmcnt(0)
	v_mul_f64 v[201:202], v[5:6], v[169:170]
	v_mul_f64 v[169:170], v[7:8], v[169:170]
	ds_read_b128 v[1:4], v194 offset:1440
	s_waitcnt vmcnt(56)
	v_fma_f64 v[147:148], v[133:134], v[155:156], -v[147:148]
	v_fma_f64 v[155:156], v[135:136], v[155:156], v[214:215]
	v_add_f64 v[139:140], v[139:140], v[161:162]
	v_add_f64 v[137:138], v[137:138], v[143:144]
	s_clause 0x4
	buffer_load_dword v144, off, s[0:3], 0 offset:700
	buffer_load_dword v161, off, s[0:3], 0 offset:712
	buffer_load_dword v209, off, s[0:3], 0 offset:704
	buffer_load_dword v143, off, s[0:3], 0 offset:696
	buffer_load_dword v214, off, s[0:3], 0 offset:676
	ds_read_b128 v[133:136], v194 offset:1456
	s_waitcnt vmcnt(57) lgkmcnt(1)
	v_mul_f64 v[215:216], v[1:2], v[153:154]
	v_mul_f64 v[153:154], v[3:4], v[153:154]
	s_waitcnt vmcnt(56)
	v_fma_f64 v[169:170], v[5:6], v[195:196], -v[169:170]
	v_add_f64 v[139:140], v[139:140], v[147:148]
	v_fma_f64 v[147:148], v[7:8], v[195:196], v[201:202]
	v_add_f64 v[137:138], v[137:138], v[155:156]
	s_clause 0x2
	buffer_load_dword v162, off, s[0:3], 0 offset:716
	buffer_load_dword v156, off, s[0:3], 0 offset:692
	;; [unrolled: 1-line block ×3, first 2 shown]
	s_waitcnt vmcnt(58) lgkmcnt(0)
	v_mul_f64 v[195:196], v[133:134], v[175:176]
	v_mul_f64 v[175:176], v[135:136], v[175:176]
	ds_read_b128 v[5:8], v194 offset:1472
	s_waitcnt vmcnt(56)
	v_fma_f64 v[153:154], v[1:2], v[165:166], -v[153:154]
	v_fma_f64 v[165:166], v[3:4], v[165:166], v[215:216]
	v_add_f64 v[139:140], v[139:140], v[169:170]
	v_add_f64 v[137:138], v[137:138], v[147:148]
	s_clause 0x4
	buffer_load_dword v148, off, s[0:3], 0 offset:732
	buffer_load_dword v169, off, s[0:3], 0 offset:744
	buffer_load_dword v201, off, s[0:3], 0 offset:736
	buffer_load_dword v147, off, s[0:3], 0 offset:728
	buffer_load_dword v210, off, s[0:3], 0 offset:708
	ds_read_b128 v[1:4], v194 offset:1488
	s_waitcnt vmcnt(57) lgkmcnt(1)
	v_mul_f64 v[215:216], v[5:6], v[159:160]
	v_mul_f64 v[159:160], v[7:8], v[159:160]
	s_waitcnt vmcnt(56)
	v_fma_f64 v[175:176], v[133:134], v[177:178], -v[175:176]
	v_add_f64 v[139:140], v[139:140], v[153:154]
	v_fma_f64 v[153:154], v[135:136], v[177:178], v[195:196]
	v_add_f64 v[137:138], v[137:138], v[165:166]
	s_clause 0x2
	buffer_load_dword v170, off, s[0:3], 0 offset:748
	buffer_load_dword v166, off, s[0:3], 0 offset:724
	buffer_load_dword v165, off, s[0:3], 0 offset:720
	ds_read_b128 v[133:136], v194 offset:1504
	s_waitcnt vmcnt(58) lgkmcnt(1)
	v_mul_f64 v[177:178], v[1:2], v[183:184]
	v_mul_f64 v[183:184], v[3:4], v[183:184]
	s_waitcnt vmcnt(56)
	v_fma_f64 v[159:160], v[5:6], v[163:164], -v[159:160]
	v_fma_f64 v[163:164], v[7:8], v[163:164], v[215:216]
	v_add_f64 v[139:140], v[139:140], v[175:176]
	v_add_f64 v[137:138], v[137:138], v[153:154]
	s_clause 0x4
	buffer_load_dword v154, off, s[0:3], 0 offset:764
	buffer_load_dword v175, off, s[0:3], 0 offset:776
	buffer_load_dword v195, off, s[0:3], 0 offset:768
	buffer_load_dword v153, off, s[0:3], 0 offset:760
	buffer_load_dword v202, off, s[0:3], 0 offset:740
	ds_read_b128 v[5:8], v194 offset:1520
	s_waitcnt vmcnt(57) lgkmcnt(1)
	v_mul_f64 v[215:216], v[133:134], v[167:168]
	v_mul_f64 v[167:168], v[135:136], v[167:168]
	s_waitcnt vmcnt(56)
	v_fma_f64 v[183:184], v[1:2], v[185:186], -v[183:184]
	v_add_f64 v[139:140], v[139:140], v[159:160]
	v_fma_f64 v[159:160], v[3:4], v[185:186], v[177:178]
	v_add_f64 v[137:138], v[137:138], v[163:164]
	s_clause 0x2
	buffer_load_dword v176, off, s[0:3], 0 offset:780
	buffer_load_dword v164, off, s[0:3], 0 offset:756
	buffer_load_dword v163, off, s[0:3], 0 offset:752
	ds_read_b128 v[1:4], v194 offset:1536
	s_waitcnt vmcnt(58) lgkmcnt(1)
	v_mul_f64 v[185:186], v[7:8], v[189:190]
	v_mul_f64 v[177:178], v[5:6], v[189:190]
	;; [unrolled: 28-line block ×4, first 2 shown]
	s_waitcnt vmcnt(56)
	v_fma_f64 v[181:182], v[5:6], v[187:188], -v[181:182]
	v_add_f64 v[139:140], v[139:140], v[179:180]
	v_fma_f64 v[179:180], v[7:8], v[187:188], v[215:216]
	v_add_f64 v[137:138], v[137:138], v[173:174]
	s_clause 0x4
	buffer_load_dword v174, off, s[0:3], 0 offset:860
	buffer_load_dword v187, off, s[0:3], 0 offset:872
	;; [unrolled: 1-line block ×5, first 2 shown]
	ds_read_b128 v[5:8], v194 offset:1616
	s_waitcnt vmcnt(57) lgkmcnt(1)
	v_mul_f64 v[215:216], v[133:134], v[145:146]
	v_mul_f64 v[145:146], v[135:136], v[145:146]
	s_waitcnt vmcnt(56)
	v_fma_f64 v[197:198], v[1:2], v[207:208], -v[197:198]
	v_fma_f64 v[177:178], v[3:4], v[207:208], v[177:178]
	v_add_f64 v[139:140], v[139:140], v[181:182]
	v_add_f64 v[137:138], v[137:138], v[179:180]
	s_clause 0x2
	buffer_load_dword v188, off, s[0:3], 0 offset:876
	buffer_load_dword v180, off, s[0:3], 0 offset:852
	buffer_load_dword v179, off, s[0:3], 0 offset:848
	ds_read_b128 v[1:4], v194 offset:1632
	s_waitcnt vmcnt(58) lgkmcnt(1)
	v_mul_f64 v[181:182], v[5:6], v[205:206]
	v_mul_f64 v[205:206], v[7:8], v[205:206]
	s_waitcnt vmcnt(56)
	v_fma_f64 v[145:146], v[133:134], v[151:152], -v[145:146]
	v_fma_f64 v[151:152], v[135:136], v[151:152], v[215:216]
	v_add_f64 v[139:140], v[139:140], v[197:198]
	v_add_f64 v[137:138], v[137:138], v[177:178]
	s_clause 0x4
	buffer_load_dword v178, off, s[0:3], 0 offset:892
	buffer_load_dword v197, off, s[0:3], 0 offset:904
	buffer_load_dword v207, off, s[0:3], 0 offset:896
	buffer_load_dword v177, off, s[0:3], 0 offset:888
	buffer_load_dword v204, off, s[0:3], 0 offset:868
	ds_read_b128 v[133:136], v194 offset:1648
	s_waitcnt vmcnt(57) lgkmcnt(1)
	v_mul_f64 v[215:216], v[1:2], v[157:158]
	v_mul_f64 v[157:158], v[3:4], v[157:158]
	s_waitcnt vmcnt(56)
	v_fma_f64 v[205:206], v[5:6], v[211:212], -v[205:206]
	v_add_f64 v[139:140], v[139:140], v[145:146]
	v_fma_f64 v[145:146], v[7:8], v[211:212], v[181:182]
	v_add_f64 v[137:138], v[137:138], v[151:152]
	s_clause 0x2
	buffer_load_dword v198, off, s[0:3], 0 offset:908
	buffer_load_dword v152, off, s[0:3], 0 offset:884
	buffer_load_dword v151, off, s[0:3], 0 offset:880
	ds_read_b128 v[5:8], v194 offset:1664
	s_waitcnt vmcnt(58) lgkmcnt(1)
	v_mul_f64 v[181:182], v[133:134], v[199:200]
	v_mul_f64 v[199:200], v[135:136], v[199:200]
	s_waitcnt vmcnt(56)
	v_fma_f64 v[157:158], v[1:2], v[149:150], -v[157:158]
	v_fma_f64 v[149:150], v[3:4], v[149:150], v[215:216]
	v_add_f64 v[139:140], v[139:140], v[205:206]
	v_add_f64 v[137:138], v[137:138], v[145:146]
	s_clause 0x4
	buffer_load_dword v146, off, s[0:3], 0 offset:924
	buffer_load_dword v205, off, s[0:3], 0 offset:936
	buffer_load_dword v211, off, s[0:3], 0 offset:928
	buffer_load_dword v145, off, s[0:3], 0 offset:920
	buffer_load_dword v208, off, s[0:3], 0 offset:900
	ds_read_b128 v[1:4], v194 offset:1680
	s_waitcnt vmcnt(57) lgkmcnt(1)
	v_mul_f64 v[215:216], v[5:6], v[143:144]
	v_mul_f64 v[143:144], v[7:8], v[143:144]
	s_waitcnt vmcnt(56)
	v_fma_f64 v[199:200], v[133:134], v[213:214], -v[199:200]
	v_add_f64 v[139:140], v[139:140], v[157:158]
	v_fma_f64 v[157:158], v[135:136], v[213:214], v[181:182]
	;; [unrolled: 28-line block ×3, first 2 shown]
	v_add_f64 v[137:138], v[137:138], v[155:156]
	s_clause 0x2
	buffer_load_dword v200, off, s[0:3], 0 offset:972
	buffer_load_dword v156, off, s[0:3], 0 offset:948
	;; [unrolled: 1-line block ×3, first 2 shown]
	ds_read_b128 v[1:4], v194 offset:1728
	s_waitcnt vmcnt(58) lgkmcnt(1)
	v_mul_f64 v[181:182], v[5:6], v[169:170]
	v_mul_f64 v[169:170], v[7:8], v[169:170]
	s_waitcnt vmcnt(56)
	v_fma_f64 v[147:148], v[133:134], v[165:166], -v[147:148]
	v_add_f64 v[139:140], v[139:140], v[161:162]
	v_fma_f64 v[161:162], v[135:136], v[165:166], v[214:215]
	v_add_f64 v[137:138], v[137:138], v[143:144]
	s_clause 0x4
	buffer_load_dword v144, off, s[0:3], 0 offset:988
	buffer_load_dword v165, off, s[0:3], 0 offset:1000
	buffer_load_dword v209, off, s[0:3], 0 offset:992
	buffer_load_dword v143, off, s[0:3], 0 offset:984
	buffer_load_dword v214, off, s[0:3], 0 offset:964
	ds_read_b128 v[133:136], v194 offset:1744
	s_waitcnt vmcnt(57) lgkmcnt(1)
	v_mul_f64 v[215:216], v[1:2], v[153:154]
	v_mul_f64 v[153:154], v[3:4], v[153:154]
	s_waitcnt vmcnt(56)
	v_fma_f64 v[169:170], v[5:6], v[201:202], -v[169:170]
	v_add_f64 v[139:140], v[139:140], v[147:148]
	v_fma_f64 v[147:148], v[7:8], v[201:202], v[181:182]
	v_add_f64 v[137:138], v[137:138], v[161:162]
	s_clause 0x2
	buffer_load_dword v166, off, s[0:3], 0 offset:1004
	buffer_load_dword v162, off, s[0:3], 0 offset:980
	;; [unrolled: 1-line block ×3, first 2 shown]
	ds_read_b128 v[5:8], v194 offset:1760
	buffer_load_dword v210, off, s[0:3], 0 offset:996
	s_waitcnt vmcnt(59) lgkmcnt(1)
	v_mul_f64 v[181:182], v[133:134], v[175:176]
	v_mul_f64 v[175:176], v[135:136], v[175:176]
	s_waitcnt vmcnt(57)
	v_fma_f64 v[153:154], v[1:2], v[163:164], -v[153:154]
	v_fma_f64 v[163:164], v[3:4], v[163:164], v[215:216]
	ds_read_b128 v[1:4], v194 offset:1776
	v_add_f64 v[139:140], v[139:140], v[169:170]
	v_add_f64 v[137:138], v[137:138], v[147:148]
	s_waitcnt vmcnt(53) lgkmcnt(1)
	v_mul_f64 v[147:148], v[5:6], v[159:160]
	v_mul_f64 v[159:160], v[7:8], v[159:160]
	s_waitcnt vmcnt(52)
	v_fma_f64 v[169:170], v[133:134], v[195:196], -v[175:176]
	v_add_f64 v[139:140], v[139:140], v[153:154]
	v_fma_f64 v[153:154], v[135:136], v[195:196], v[181:182]
	v_add_f64 v[137:138], v[137:138], v[163:164]
	ds_read_b128 v[133:136], v194 offset:1792
	s_waitcnt vmcnt(51) lgkmcnt(1)
	v_mul_f64 v[175:176], v[3:4], v[183:184]
	v_mul_f64 v[163:164], v[1:2], v[183:184]
	s_waitcnt vmcnt(49)
	v_fma_f64 v[159:160], v[5:6], v[171:172], -v[159:160]
	v_fma_f64 v[147:148], v[7:8], v[171:172], v[147:148]
	v_add_f64 v[139:140], v[139:140], v[169:170]
	v_add_f64 v[137:138], v[137:138], v[153:154]
	s_clause 0x3
	buffer_load_dword v153, off, s[0:3], 0 offset:48
	buffer_load_dword v154, off, s[0:3], 0 offset:52
	;; [unrolled: 1-line block ×4, first 2 shown]
	ds_read_b128 v[5:8], v194 offset:1808
	s_waitcnt vmcnt(49) lgkmcnt(1)
	v_mul_f64 v[171:172], v[133:134], v[167:168]
	v_mul_f64 v[167:168], v[135:136], v[167:168]
	s_waitcnt vmcnt(48)
	v_fma_f64 v[175:176], v[1:2], v[189:190], -v[175:176]
	v_add_f64 v[139:140], v[139:140], v[159:160]
	v_fma_f64 v[159:160], v[3:4], v[189:190], v[163:164]
	v_add_f64 v[137:138], v[137:138], v[147:148]
	ds_read_b128 v[1:4], v194 offset:1824
	s_waitcnt vmcnt(47) lgkmcnt(1)
	v_mul_f64 v[163:164], v[7:8], v[185:186]
	v_mul_f64 v[147:148], v[5:6], v[185:186]
	s_waitcnt vmcnt(45)
	v_fma_f64 v[167:168], v[133:134], v[141:142], -v[167:168]
	v_fma_f64 v[141:142], v[135:136], v[141:142], v[171:172]
	ds_read_b128 v[133:136], v194 offset:1840
	v_add_f64 v[139:140], v[139:140], v[175:176]
	v_add_f64 v[137:138], v[137:138], v[159:160]
	s_waitcnt vmcnt(41) lgkmcnt(1)
	v_mul_f64 v[171:172], v[3:4], v[173:174]
	s_waitcnt vmcnt(40)
	v_fma_f64 v[163:164], v[5:6], v[191:192], -v[163:164]
	v_mul_f64 v[159:160], v[1:2], v[173:174]
	v_fma_f64 v[147:148], v[7:8], v[191:192], v[147:148]
	ds_read_b128 v[5:8], v194 offset:1856
	v_add_f64 v[139:140], v[139:140], v[167:168]
	v_add_f64 v[137:138], v[137:138], v[141:142]
	s_waitcnt vmcnt(39) lgkmcnt(1)
	v_mul_f64 v[167:168], v[135:136], v[187:188]
	v_mul_f64 v[141:142], v[133:134], v[187:188]
	s_waitcnt vmcnt(37)
	v_fma_f64 v[171:172], v[1:2], v[179:180], -v[171:172]
	v_fma_f64 v[159:160], v[3:4], v[179:180], v[159:160]
	ds_read_b128 v[1:4], v194 offset:1872
	v_add_f64 v[139:140], v[139:140], v[163:164]
	v_add_f64 v[137:138], v[137:138], v[147:148]
	s_waitcnt vmcnt(33) lgkmcnt(1)
	v_mul_f64 v[163:164], v[7:8], v[177:178]
	s_waitcnt vmcnt(32)
	v_fma_f64 v[167:168], v[133:134], v[203:204], -v[167:168]
	v_mul_f64 v[147:148], v[5:6], v[177:178]
	v_fma_f64 v[141:142], v[135:136], v[203:204], v[141:142]
	ds_read_b128 v[133:136], v194 offset:1888
	v_add_f64 v[139:140], v[139:140], v[171:172]
	v_add_f64 v[137:138], v[137:138], v[159:160]
	s_waitcnt vmcnt(31) lgkmcnt(1)
	v_mul_f64 v[171:172], v[3:4], v[197:198]
	v_mul_f64 v[159:160], v[1:2], v[197:198]
	s_waitcnt vmcnt(29)
	v_fma_f64 v[163:164], v[5:6], v[151:152], -v[163:164]
	v_fma_f64 v[147:148], v[7:8], v[151:152], v[147:148]
	ds_read_b128 v[5:8], v194 offset:1904
	v_add_f64 v[139:140], v[139:140], v[167:168]
	v_add_f64 v[137:138], v[137:138], v[141:142]
	s_waitcnt vmcnt(25) lgkmcnt(1)
	v_mul_f64 v[141:142], v[133:134], v[145:146]
	v_mul_f64 v[145:146], v[135:136], v[145:146]
	s_waitcnt vmcnt(24)
	v_fma_f64 v[151:152], v[1:2], v[207:208], -v[171:172]
	;; [unrolled: 9-line block ×4, first 2 shown]
	v_add_f64 v[139:140], v[139:140], v[145:146]
	v_fma_f64 v[145:146], v[7:8], v[211:212], v[147:148]
	v_add_f64 v[137:138], v[137:138], v[141:142]
	ds_read_b128 v[5:8], v194 offset:1952
	s_waitcnt vmcnt(15) lgkmcnt(1)
	v_mul_f64 v[147:148], v[135:136], v[199:200]
	v_mul_f64 v[141:142], v[133:134], v[199:200]
	s_waitcnt vmcnt(13)
	v_fma_f64 v[151:152], v[1:2], v[155:156], -v[151:152]
	v_fma_f64 v[149:150], v[3:4], v[155:156], v[149:150]
	ds_read_b128 v[1:4], v194 offset:1968
	v_add_f64 v[139:140], v[139:140], v[157:158]
	v_add_f64 v[137:138], v[137:138], v[145:146]
	s_waitcnt vmcnt(9) lgkmcnt(1)
	v_mul_f64 v[145:146], v[5:6], v[143:144]
	v_mul_f64 v[143:144], v[7:8], v[143:144]
	s_waitcnt vmcnt(8)
	v_fma_f64 v[133:134], v[133:134], v[213:214], -v[147:148]
	v_fma_f64 v[135:136], v[135:136], v[213:214], v[141:142]
	v_add_f64 v[139:140], v[139:140], v[151:152]
	v_add_f64 v[137:138], v[137:138], v[149:150]
	s_waitcnt vmcnt(7) lgkmcnt(0)
	v_mul_f64 v[147:148], v[3:4], v[165:166]
	v_mul_f64 v[141:142], v[1:2], v[165:166]
	s_waitcnt vmcnt(5)
	v_fma_f64 v[5:6], v[5:6], v[161:162], -v[143:144]
	v_fma_f64 v[7:8], v[7:8], v[161:162], v[145:146]
	v_add_f64 v[133:134], v[139:140], v[133:134]
	v_add_f64 v[135:136], v[137:138], v[135:136]
	s_waitcnt vmcnt(4)
	v_fma_f64 v[1:2], v[1:2], v[209:210], -v[147:148]
	v_fma_f64 v[3:4], v[3:4], v[209:210], v[141:142]
	v_add_f64 v[5:6], v[133:134], v[5:6]
	v_add_f64 v[7:8], v[135:136], v[7:8]
	;; [unrolled: 1-line block ×4, first 2 shown]
	s_waitcnt vmcnt(2)
	v_add_f64 v[1:2], v[153:154], -v[1:2]
	s_waitcnt vmcnt(0)
	v_add_f64 v[3:4], v[169:170], -v[3:4]
	buffer_store_dword v2, off, s[0:3], 0 offset:52
	buffer_store_dword v1, off, s[0:3], 0 offset:48
	buffer_store_dword v4, off, s[0:3], 0 offset:60
	buffer_store_dword v3, off, s[0:3], 0 offset:56
	v_cmpx_lt_u32_e32 1, v0
	s_cbranch_execz .LBB125_395
; %bb.394:
	v_mov_b32_e32 v4, s75
	s_clause 0x3
	buffer_load_dword v1, v4, s[0:3], 0 offen
	buffer_load_dword v2, v4, s[0:3], 0 offen offset:4
	buffer_load_dword v3, v4, s[0:3], 0 offen offset:8
	;; [unrolled: 1-line block ×3, first 2 shown]
	buffer_store_dword v194, off, s[0:3], 0 offset:32
	buffer_store_dword v194, off, s[0:3], 0 offset:36
	;; [unrolled: 1-line block ×4, first 2 shown]
	s_waitcnt vmcnt(0)
	ds_write_b128 v193, v[1:4]
.LBB125_395:
	s_or_b32 exec_lo, exec_lo, s4
	s_waitcnt lgkmcnt(0)
	s_waitcnt_vscnt null, 0x0
	s_barrier
	buffer_gl0_inv
	s_clause 0x37
	buffer_load_dword v141, off, s[0:3], 0 offset:56
	buffer_load_dword v142, off, s[0:3], 0 offset:60
	;; [unrolled: 1-line block ×56, first 2 shown]
	ds_read_b128 v[5:8], v194 offset:1024
	s_clause 0x2
	buffer_load_dword v190, off, s[0:3], 0 offset:284
	buffer_load_dword v192, off, s[0:3], 0 offset:260
	;; [unrolled: 1-line block ×3, first 2 shown]
	ds_read_b128 v[1:4], v194 offset:1040
	s_clause 0x4
	buffer_load_dword v202, off, s[0:3], 0 offset:300
	buffer_load_dword v203, off, s[0:3], 0 offset:312
	;; [unrolled: 1-line block ×5, first 2 shown]
	ds_read_b128 v[195:198], v194 offset:1056
	s_mov_b32 s4, exec_lo
	s_waitcnt vmcnt(62) lgkmcnt(2)
	v_mul_f64 v[199:200], v[7:8], v[141:142]
	v_mul_f64 v[141:142], v[5:6], v[141:142]
	s_waitcnt vmcnt(60) lgkmcnt(1)
	v_mul_f64 v[206:207], v[3:4], v[137:138]
	v_mul_f64 v[137:138], v[1:2], v[137:138]
	;; [unrolled: 3-line block ×3, first 2 shown]
	v_fma_f64 v[199:200], v[5:6], v[139:140], -v[199:200]
	v_fma_f64 v[139:140], v[7:8], v[139:140], v[141:142]
	s_clause 0x2
	buffer_load_dword v204, off, s[0:3], 0 offset:316
	buffer_load_dword v142, off, s[0:3], 0 offset:292
	;; [unrolled: 1-line block ×3, first 2 shown]
	s_waitcnt vmcnt(57)
	v_fma_f64 v[210:211], v[1:2], v[133:134], -v[206:207]
	ds_read_b128 v[5:8], v194 offset:1072
	v_fma_f64 v[133:134], v[3:4], v[133:134], v[137:138]
	s_waitcnt vmcnt(51)
	v_fma_f64 v[195:196], v[195:196], v[157:158], -v[135:136]
	v_fma_f64 v[157:158], v[197:198], v[157:158], v[208:209]
	v_add_f64 v[199:200], v[199:200], 0
	v_add_f64 v[137:138], v[139:140], 0
	s_clause 0x4
	buffer_load_dword v140, off, s[0:3], 0 offset:332
	buffer_load_dword v207, off, s[0:3], 0 offset:344
	;; [unrolled: 1-line block ×5, first 2 shown]
	s_waitcnt lgkmcnt(0)
	v_mul_f64 v[213:214], v[5:6], v[145:146]
	v_mul_f64 v[145:146], v[7:8], v[145:146]
	ds_read_b128 v[1:4], v194 offset:1088
	s_clause 0x2
	buffer_load_dword v208, off, s[0:3], 0 offset:348
	buffer_load_dword v198, off, s[0:3], 0 offset:324
	;; [unrolled: 1-line block ×3, first 2 shown]
	v_add_f64 v[199:200], v[199:200], v[210:211]
	v_add_f64 v[137:138], v[137:138], v[133:134]
	ds_read_b128 v[133:136], v194 offset:1104
	s_waitcnt vmcnt(58) lgkmcnt(1)
	v_mul_f64 v[209:210], v[1:2], v[149:150]
	v_mul_f64 v[149:150], v[3:4], v[149:150]
	s_waitcnt vmcnt(56)
	v_fma_f64 v[145:146], v[5:6], v[151:152], -v[145:146]
	v_fma_f64 v[151:152], v[7:8], v[151:152], v[213:214]
	s_waitcnt vmcnt(52) lgkmcnt(0)
	v_mul_f64 v[215:216], v[133:134], v[153:154]
	v_add_f64 v[195:196], v[199:200], v[195:196]
	v_add_f64 v[137:138], v[137:138], v[157:158]
	s_clause 0x4
	buffer_load_dword v158, off, s[0:3], 0 offset:364
	buffer_load_dword v199, off, s[0:3], 0 offset:376
	;; [unrolled: 1-line block ×5, first 2 shown]
	v_mul_f64 v[153:154], v[135:136], v[153:154]
	s_waitcnt vmcnt(56)
	v_fma_f64 v[149:150], v[1:2], v[143:144], -v[149:150]
	ds_read_b128 v[5:8], v194 offset:1120
	v_fma_f64 v[143:144], v[3:4], v[143:144], v[209:210]
	v_add_f64 v[145:146], v[195:196], v[145:146]
	v_add_f64 v[137:138], v[137:138], v[151:152]
	s_clause 0x2
	buffer_load_dword v200, off, s[0:3], 0 offset:380
	buffer_load_dword v152, off, s[0:3], 0 offset:356
	;; [unrolled: 1-line block ×3, first 2 shown]
	s_waitcnt vmcnt(58) lgkmcnt(0)
	v_mul_f64 v[195:196], v[5:6], v[159:160]
	v_mul_f64 v[159:160], v[7:8], v[159:160]
	s_waitcnt vmcnt(56)
	v_fma_f64 v[153:154], v[133:134], v[161:162], -v[153:154]
	ds_read_b128 v[1:4], v194 offset:1136
	v_add_f64 v[145:146], v[145:146], v[149:150]
	v_fma_f64 v[149:150], v[135:136], v[161:162], v[215:216]
	v_add_f64 v[137:138], v[137:138], v[143:144]
	s_clause 0x4
	buffer_load_dword v144, off, s[0:3], 0 offset:396
	buffer_load_dword v161, off, s[0:3], 0 offset:408
	;; [unrolled: 1-line block ×5, first 2 shown]
	s_waitcnt vmcnt(57) lgkmcnt(0)
	v_mul_f64 v[210:211], v[1:2], v[163:164]
	v_mul_f64 v[163:164], v[3:4], v[163:164]
	s_waitcnt vmcnt(56)
	v_fma_f64 v[159:160], v[5:6], v[147:148], -v[159:160]
	ds_read_b128 v[133:136], v194 offset:1152
	v_fma_f64 v[147:148], v[7:8], v[147:148], v[195:196]
	v_add_f64 v[145:146], v[145:146], v[153:154]
	v_add_f64 v[137:138], v[137:138], v[149:150]
	s_clause 0x2
	buffer_load_dword v162, off, s[0:3], 0 offset:412
	buffer_load_dword v150, off, s[0:3], 0 offset:388
	;; [unrolled: 1-line block ×3, first 2 shown]
	ds_read_b128 v[5:8], v194 offset:1168
	s_waitcnt vmcnt(58) lgkmcnt(1)
	v_mul_f64 v[153:154], v[133:134], v[167:168]
	v_mul_f64 v[167:168], v[135:136], v[167:168]
	s_waitcnt vmcnt(56)
	v_fma_f64 v[163:164], v[1:2], v[169:170], -v[163:164]
	v_add_f64 v[145:146], v[145:146], v[159:160]
	v_fma_f64 v[159:160], v[3:4], v[169:170], v[210:211]
	v_add_f64 v[137:138], v[137:138], v[147:148]
	s_clause 0x4
	buffer_load_dword v148, off, s[0:3], 0 offset:428
	buffer_load_dword v169, off, s[0:3], 0 offset:440
	;; [unrolled: 1-line block ×5, first 2 shown]
	s_waitcnt vmcnt(57) lgkmcnt(0)
	v_mul_f64 v[216:217], v[5:6], v[171:172]
	v_mul_f64 v[171:172], v[7:8], v[171:172]
	s_waitcnt vmcnt(56)
	v_fma_f64 v[167:168], v[133:134], v[155:156], -v[167:168]
	ds_read_b128 v[1:4], v194 offset:1184
	v_fma_f64 v[153:154], v[135:136], v[155:156], v[153:154]
	s_clause 0x2
	buffer_load_dword v170, off, s[0:3], 0 offset:444
	buffer_load_dword v156, off, s[0:3], 0 offset:420
	;; [unrolled: 1-line block ×3, first 2 shown]
	ds_read_b128 v[133:136], v194 offset:1200
	v_add_f64 v[145:146], v[145:146], v[163:164]
	v_add_f64 v[137:138], v[137:138], v[159:160]
	s_waitcnt vmcnt(58) lgkmcnt(1)
	v_mul_f64 v[163:164], v[3:4], v[175:176]
	s_waitcnt vmcnt(56)
	v_fma_f64 v[171:172], v[5:6], v[177:178], -v[171:172]
	v_mul_f64 v[159:160], v[1:2], v[175:176]
	v_add_f64 v[145:146], v[145:146], v[167:168]
	v_fma_f64 v[167:168], v[7:8], v[177:178], v[216:217]
	v_add_f64 v[137:138], v[137:138], v[153:154]
	s_clause 0x4
	buffer_load_dword v154, off, s[0:3], 0 offset:460
	buffer_load_dword v175, off, s[0:3], 0 offset:472
	;; [unrolled: 1-line block ×5, first 2 shown]
	s_waitcnt vmcnt(57) lgkmcnt(0)
	v_mul_f64 v[216:217], v[133:134], v[179:180]
	v_mul_f64 v[178:179], v[135:136], v[179:180]
	s_waitcnt vmcnt(56)
	v_fma_f64 v[163:164], v[1:2], v[165:166], -v[163:164]
	ds_read_b128 v[5:8], v194 offset:1216
	v_fma_f64 v[159:160], v[3:4], v[165:166], v[159:160]
	s_clause 0x2
	buffer_load_dword v176, off, s[0:3], 0 offset:476
	buffer_load_dword v166, off, s[0:3], 0 offset:452
	;; [unrolled: 1-line block ×3, first 2 shown]
	ds_read_b128 v[1:4], v194 offset:1232
	v_add_f64 v[145:146], v[145:146], v[171:172]
	v_add_f64 v[137:138], v[137:138], v[167:168]
	s_waitcnt vmcnt(58) lgkmcnt(1)
	v_mul_f64 v[171:172], v[7:8], v[183:184]
	s_waitcnt vmcnt(56)
	v_fma_f64 v[179:180], v[133:134], v[185:186], -v[178:179]
	v_mul_f64 v[167:168], v[5:6], v[183:184]
	v_add_f64 v[145:146], v[145:146], v[163:164]
	v_fma_f64 v[163:164], v[135:136], v[185:186], v[216:217]
	v_add_f64 v[137:138], v[137:138], v[159:160]
	s_clause 0x4
	buffer_load_dword v160, off, s[0:3], 0 offset:492
	buffer_load_dword v183, off, s[0:3], 0 offset:504
	;; [unrolled: 1-line block ×5, first 2 shown]
	s_waitcnt vmcnt(57) lgkmcnt(0)
	v_mul_f64 v[216:217], v[1:2], v[187:188]
	v_mul_f64 v[186:187], v[3:4], v[187:188]
	s_waitcnt vmcnt(56)
	v_fma_f64 v[171:172], v[5:6], v[173:174], -v[171:172]
	ds_read_b128 v[133:136], v194 offset:1248
	v_fma_f64 v[167:168], v[7:8], v[173:174], v[167:168]
	v_add_f64 v[145:146], v[145:146], v[179:180]
	v_add_f64 v[137:138], v[137:138], v[163:164]
	s_clause 0x2
	buffer_load_dword v184, off, s[0:3], 0 offset:508
	buffer_load_dword v164, off, s[0:3], 0 offset:484
	;; [unrolled: 1-line block ×3, first 2 shown]
	ds_read_b128 v[5:8], v194 offset:1264
	s_waitcnt vmcnt(58) lgkmcnt(1)
	v_mul_f64 v[179:180], v[135:136], v[189:190]
	s_waitcnt vmcnt(56)
	v_fma_f64 v[187:188], v[1:2], v[191:192], -v[186:187]
	v_mul_f64 v[173:174], v[133:134], v[189:190]
	v_add_f64 v[145:146], v[145:146], v[171:172]
	v_fma_f64 v[171:172], v[3:4], v[191:192], v[216:217]
	v_add_f64 v[137:138], v[137:138], v[167:168]
	s_clause 0x4
	buffer_load_dword v168, off, s[0:3], 0 offset:524
	buffer_load_dword v189, off, s[0:3], 0 offset:536
	;; [unrolled: 1-line block ×5, first 2 shown]
	s_waitcnt vmcnt(57) lgkmcnt(0)
	v_mul_f64 v[216:217], v[5:6], v[201:202]
	v_mul_f64 v[201:202], v[7:8], v[201:202]
	s_waitcnt vmcnt(56)
	v_fma_f64 v[179:180], v[133:134], v[181:182], -v[179:180]
	ds_read_b128 v[1:4], v194 offset:1280
	v_fma_f64 v[173:174], v[135:136], v[181:182], v[173:174]
	v_add_f64 v[145:146], v[145:146], v[187:188]
	v_add_f64 v[137:138], v[137:138], v[171:172]
	s_clause 0x2
	buffer_load_dword v190, off, s[0:3], 0 offset:540
	buffer_load_dword v172, off, s[0:3], 0 offset:516
	;; [unrolled: 1-line block ×3, first 2 shown]
	ds_read_b128 v[133:136], v194 offset:1296
	s_waitcnt vmcnt(58) lgkmcnt(1)
	v_mul_f64 v[187:188], v[3:4], v[203:204]
	v_mul_f64 v[181:182], v[1:2], v[203:204]
	s_waitcnt vmcnt(56)
	v_fma_f64 v[201:202], v[5:6], v[141:142], -v[201:202]
	v_fma_f64 v[141:142], v[7:8], v[141:142], v[216:217]
	v_add_f64 v[145:146], v[145:146], v[179:180]
	v_add_f64 v[137:138], v[137:138], v[173:174]
	s_clause 0x4
	buffer_load_dword v174, off, s[0:3], 0 offset:556
	buffer_load_dword v179, off, s[0:3], 0 offset:568
	;; [unrolled: 1-line block ×5, first 2 shown]
	ds_read_b128 v[5:8], v194 offset:1312
	s_waitcnt vmcnt(57) lgkmcnt(1)
	v_mul_f64 v[216:217], v[133:134], v[139:140]
	v_mul_f64 v[139:140], v[135:136], v[139:140]
	s_waitcnt vmcnt(56)
	v_fma_f64 v[187:188], v[1:2], v[205:206], -v[187:188]
	v_fma_f64 v[181:182], v[3:4], v[205:206], v[181:182]
	v_add_f64 v[145:146], v[145:146], v[201:202]
	v_add_f64 v[137:138], v[137:138], v[141:142]
	s_clause 0x2
	buffer_load_dword v180, off, s[0:3], 0 offset:572
	buffer_load_dword v142, off, s[0:3], 0 offset:548
	;; [unrolled: 1-line block ×3, first 2 shown]
	s_waitcnt vmcnt(58) lgkmcnt(0)
	v_mul_f64 v[205:206], v[7:8], v[207:208]
	ds_read_b128 v[1:4], v194 offset:1328
	v_mul_f64 v[201:202], v[5:6], v[207:208]
	s_waitcnt vmcnt(56)
	v_fma_f64 v[139:140], v[133:134], v[197:198], -v[139:140]
	v_add_f64 v[145:146], v[145:146], v[187:188]
	v_fma_f64 v[187:188], v[135:136], v[197:198], v[216:217]
	v_add_f64 v[137:138], v[137:138], v[181:182]
	s_clause 0x4
	buffer_load_dword v182, off, s[0:3], 0 offset:588
	buffer_load_dword v197, off, s[0:3], 0 offset:600
	;; [unrolled: 1-line block ×5, first 2 shown]
	ds_read_b128 v[133:136], v194 offset:1344
	s_waitcnt vmcnt(57) lgkmcnt(1)
	v_mul_f64 v[216:217], v[1:2], v[157:158]
	v_mul_f64 v[157:158], v[3:4], v[157:158]
	s_waitcnt vmcnt(56)
	v_fma_f64 v[205:206], v[5:6], v[212:213], -v[205:206]
	v_add_f64 v[139:140], v[145:146], v[139:140]
	v_fma_f64 v[145:146], v[7:8], v[212:213], v[201:202]
	v_add_f64 v[137:138], v[137:138], v[187:188]
	s_clause 0x2
	buffer_load_dword v198, off, s[0:3], 0 offset:604
	buffer_load_dword v188, off, s[0:3], 0 offset:580
	;; [unrolled: 1-line block ×3, first 2 shown]
	ds_read_b128 v[5:8], v194 offset:1360
	s_waitcnt vmcnt(58) lgkmcnt(1)
	v_mul_f64 v[201:202], v[133:134], v[199:200]
	v_mul_f64 v[199:200], v[135:136], v[199:200]
	s_waitcnt vmcnt(56)
	v_fma_f64 v[157:158], v[1:2], v[151:152], -v[157:158]
	v_fma_f64 v[151:152], v[3:4], v[151:152], v[216:217]
	v_add_f64 v[139:140], v[139:140], v[205:206]
	v_add_f64 v[137:138], v[137:138], v[145:146]
	s_clause 0x4
	buffer_load_dword v146, off, s[0:3], 0 offset:620
	buffer_load_dword v205, off, s[0:3], 0 offset:632
	;; [unrolled: 1-line block ×5, first 2 shown]
	ds_read_b128 v[1:4], v194 offset:1376
	s_waitcnt vmcnt(57) lgkmcnt(1)
	v_mul_f64 v[212:213], v[5:6], v[143:144]
	v_mul_f64 v[143:144], v[7:8], v[143:144]
	s_waitcnt vmcnt(56)
	v_fma_f64 v[199:200], v[133:134], v[214:215], -v[199:200]
	v_add_f64 v[139:140], v[139:140], v[157:158]
	v_fma_f64 v[157:158], v[135:136], v[214:215], v[201:202]
	v_add_f64 v[137:138], v[137:138], v[151:152]
	s_clause 0x2
	buffer_load_dword v206, off, s[0:3], 0 offset:636
	buffer_load_dword v152, off, s[0:3], 0 offset:612
	;; [unrolled: 1-line block ×3, first 2 shown]
	ds_read_b128 v[133:136], v194 offset:1392
	s_waitcnt vmcnt(58) lgkmcnt(1)
	v_mul_f64 v[201:202], v[1:2], v[161:162]
	v_mul_f64 v[161:162], v[3:4], v[161:162]
	s_waitcnt vmcnt(56)
	v_fma_f64 v[143:144], v[5:6], v[149:150], -v[143:144]
	v_fma_f64 v[149:150], v[7:8], v[149:150], v[212:213]
	v_add_f64 v[139:140], v[139:140], v[199:200]
	v_add_f64 v[137:138], v[137:138], v[157:158]
	s_clause 0x4
	buffer_load_dword v158, off, s[0:3], 0 offset:652
	buffer_load_dword v199, off, s[0:3], 0 offset:664
	buffer_load_dword v213, off, s[0:3], 0 offset:656
	buffer_load_dword v157, off, s[0:3], 0 offset:648
	buffer_load_dword v212, off, s[0:3], 0 offset:628
	ds_read_b128 v[5:8], v194 offset:1408
	s_waitcnt vmcnt(57) lgkmcnt(1)
	v_mul_f64 v[214:215], v[133:134], v[147:148]
	v_mul_f64 v[147:148], v[135:136], v[147:148]
	s_waitcnt vmcnt(56)
	v_fma_f64 v[161:162], v[1:2], v[209:210], -v[161:162]
	v_add_f64 v[139:140], v[139:140], v[143:144]
	v_fma_f64 v[143:144], v[3:4], v[209:210], v[201:202]
	v_add_f64 v[137:138], v[137:138], v[149:150]
	s_clause 0x2
	buffer_load_dword v200, off, s[0:3], 0 offset:668
	buffer_load_dword v150, off, s[0:3], 0 offset:644
	;; [unrolled: 1-line block ×3, first 2 shown]
	s_waitcnt vmcnt(58) lgkmcnt(0)
	v_mul_f64 v[201:202], v[5:6], v[169:170]
	v_mul_f64 v[169:170], v[7:8], v[169:170]
	ds_read_b128 v[1:4], v194 offset:1424
	s_waitcnt vmcnt(56)
	v_fma_f64 v[147:148], v[133:134], v[155:156], -v[147:148]
	v_fma_f64 v[155:156], v[135:136], v[155:156], v[214:215]
	v_add_f64 v[139:140], v[139:140], v[161:162]
	v_add_f64 v[137:138], v[137:138], v[143:144]
	s_clause 0x4
	buffer_load_dword v144, off, s[0:3], 0 offset:684
	buffer_load_dword v161, off, s[0:3], 0 offset:696
	;; [unrolled: 1-line block ×5, first 2 shown]
	ds_read_b128 v[133:136], v194 offset:1440
	s_waitcnt vmcnt(57) lgkmcnt(1)
	v_mul_f64 v[215:216], v[1:2], v[153:154]
	v_mul_f64 v[153:154], v[3:4], v[153:154]
	s_waitcnt vmcnt(56)
	v_fma_f64 v[169:170], v[5:6], v[195:196], -v[169:170]
	v_add_f64 v[139:140], v[139:140], v[147:148]
	v_fma_f64 v[147:148], v[7:8], v[195:196], v[201:202]
	v_add_f64 v[137:138], v[137:138], v[155:156]
	s_clause 0x2
	buffer_load_dword v162, off, s[0:3], 0 offset:700
	buffer_load_dword v156, off, s[0:3], 0 offset:676
	;; [unrolled: 1-line block ×3, first 2 shown]
	s_waitcnt vmcnt(58) lgkmcnt(0)
	v_mul_f64 v[195:196], v[133:134], v[175:176]
	v_mul_f64 v[175:176], v[135:136], v[175:176]
	ds_read_b128 v[5:8], v194 offset:1456
	s_waitcnt vmcnt(56)
	v_fma_f64 v[153:154], v[1:2], v[165:166], -v[153:154]
	v_fma_f64 v[165:166], v[3:4], v[165:166], v[215:216]
	v_add_f64 v[139:140], v[139:140], v[169:170]
	v_add_f64 v[137:138], v[137:138], v[147:148]
	s_clause 0x4
	buffer_load_dword v148, off, s[0:3], 0 offset:716
	buffer_load_dword v169, off, s[0:3], 0 offset:728
	buffer_load_dword v201, off, s[0:3], 0 offset:720
	buffer_load_dword v147, off, s[0:3], 0 offset:712
	buffer_load_dword v210, off, s[0:3], 0 offset:692
	ds_read_b128 v[1:4], v194 offset:1472
	s_waitcnt vmcnt(57) lgkmcnt(1)
	v_mul_f64 v[215:216], v[5:6], v[159:160]
	v_mul_f64 v[159:160], v[7:8], v[159:160]
	s_waitcnt vmcnt(56)
	v_fma_f64 v[175:176], v[133:134], v[177:178], -v[175:176]
	v_add_f64 v[139:140], v[139:140], v[153:154]
	v_fma_f64 v[153:154], v[135:136], v[177:178], v[195:196]
	v_add_f64 v[137:138], v[137:138], v[165:166]
	s_clause 0x2
	buffer_load_dword v170, off, s[0:3], 0 offset:732
	buffer_load_dword v166, off, s[0:3], 0 offset:708
	buffer_load_dword v165, off, s[0:3], 0 offset:704
	ds_read_b128 v[133:136], v194 offset:1488
	s_waitcnt vmcnt(58) lgkmcnt(1)
	v_mul_f64 v[177:178], v[1:2], v[183:184]
	v_mul_f64 v[183:184], v[3:4], v[183:184]
	s_waitcnt vmcnt(56)
	v_fma_f64 v[159:160], v[5:6], v[163:164], -v[159:160]
	v_fma_f64 v[163:164], v[7:8], v[163:164], v[215:216]
	v_add_f64 v[139:140], v[139:140], v[175:176]
	v_add_f64 v[137:138], v[137:138], v[153:154]
	s_clause 0x4
	buffer_load_dword v154, off, s[0:3], 0 offset:748
	buffer_load_dword v175, off, s[0:3], 0 offset:760
	buffer_load_dword v195, off, s[0:3], 0 offset:752
	buffer_load_dword v153, off, s[0:3], 0 offset:744
	buffer_load_dword v202, off, s[0:3], 0 offset:724
	ds_read_b128 v[5:8], v194 offset:1504
	s_waitcnt vmcnt(57) lgkmcnt(1)
	v_mul_f64 v[215:216], v[133:134], v[167:168]
	v_mul_f64 v[167:168], v[135:136], v[167:168]
	s_waitcnt vmcnt(56)
	v_fma_f64 v[183:184], v[1:2], v[185:186], -v[183:184]
	v_add_f64 v[139:140], v[139:140], v[159:160]
	v_fma_f64 v[159:160], v[3:4], v[185:186], v[177:178]
	v_add_f64 v[137:138], v[137:138], v[163:164]
	s_clause 0x2
	buffer_load_dword v176, off, s[0:3], 0 offset:764
	buffer_load_dword v164, off, s[0:3], 0 offset:740
	buffer_load_dword v163, off, s[0:3], 0 offset:736
	ds_read_b128 v[1:4], v194 offset:1520
	s_waitcnt vmcnt(58) lgkmcnt(1)
	v_mul_f64 v[185:186], v[7:8], v[189:190]
	v_mul_f64 v[177:178], v[5:6], v[189:190]
	;; [unrolled: 28-line block ×4, first 2 shown]
	s_waitcnt vmcnt(56)
	v_fma_f64 v[181:182], v[5:6], v[187:188], -v[181:182]
	v_add_f64 v[139:140], v[139:140], v[179:180]
	v_fma_f64 v[179:180], v[7:8], v[187:188], v[215:216]
	v_add_f64 v[137:138], v[137:138], v[173:174]
	s_clause 0x4
	buffer_load_dword v174, off, s[0:3], 0 offset:844
	buffer_load_dword v187, off, s[0:3], 0 offset:856
	;; [unrolled: 1-line block ×5, first 2 shown]
	ds_read_b128 v[5:8], v194 offset:1600
	s_waitcnt vmcnt(57) lgkmcnt(1)
	v_mul_f64 v[215:216], v[133:134], v[145:146]
	v_mul_f64 v[145:146], v[135:136], v[145:146]
	s_waitcnt vmcnt(56)
	v_fma_f64 v[197:198], v[1:2], v[207:208], -v[197:198]
	v_fma_f64 v[177:178], v[3:4], v[207:208], v[177:178]
	v_add_f64 v[139:140], v[139:140], v[181:182]
	v_add_f64 v[137:138], v[137:138], v[179:180]
	s_clause 0x2
	buffer_load_dword v188, off, s[0:3], 0 offset:860
	buffer_load_dword v180, off, s[0:3], 0 offset:836
	buffer_load_dword v179, off, s[0:3], 0 offset:832
	ds_read_b128 v[1:4], v194 offset:1616
	s_waitcnt vmcnt(58) lgkmcnt(1)
	v_mul_f64 v[181:182], v[5:6], v[205:206]
	v_mul_f64 v[205:206], v[7:8], v[205:206]
	s_waitcnt vmcnt(56)
	v_fma_f64 v[145:146], v[133:134], v[151:152], -v[145:146]
	v_fma_f64 v[151:152], v[135:136], v[151:152], v[215:216]
	v_add_f64 v[139:140], v[139:140], v[197:198]
	v_add_f64 v[137:138], v[137:138], v[177:178]
	s_clause 0x4
	buffer_load_dword v178, off, s[0:3], 0 offset:876
	buffer_load_dword v197, off, s[0:3], 0 offset:888
	buffer_load_dword v207, off, s[0:3], 0 offset:880
	buffer_load_dword v177, off, s[0:3], 0 offset:872
	buffer_load_dword v204, off, s[0:3], 0 offset:852
	ds_read_b128 v[133:136], v194 offset:1632
	s_waitcnt vmcnt(57) lgkmcnt(1)
	v_mul_f64 v[215:216], v[1:2], v[157:158]
	v_mul_f64 v[157:158], v[3:4], v[157:158]
	s_waitcnt vmcnt(56)
	v_fma_f64 v[205:206], v[5:6], v[211:212], -v[205:206]
	v_add_f64 v[139:140], v[139:140], v[145:146]
	v_fma_f64 v[145:146], v[7:8], v[211:212], v[181:182]
	v_add_f64 v[137:138], v[137:138], v[151:152]
	s_clause 0x2
	buffer_load_dword v198, off, s[0:3], 0 offset:892
	buffer_load_dword v152, off, s[0:3], 0 offset:868
	buffer_load_dword v151, off, s[0:3], 0 offset:864
	ds_read_b128 v[5:8], v194 offset:1648
	s_waitcnt vmcnt(58) lgkmcnt(1)
	v_mul_f64 v[181:182], v[133:134], v[199:200]
	v_mul_f64 v[199:200], v[135:136], v[199:200]
	s_waitcnt vmcnt(56)
	v_fma_f64 v[157:158], v[1:2], v[149:150], -v[157:158]
	v_fma_f64 v[149:150], v[3:4], v[149:150], v[215:216]
	v_add_f64 v[139:140], v[139:140], v[205:206]
	v_add_f64 v[137:138], v[137:138], v[145:146]
	s_clause 0x4
	buffer_load_dword v146, off, s[0:3], 0 offset:908
	buffer_load_dword v205, off, s[0:3], 0 offset:920
	buffer_load_dword v211, off, s[0:3], 0 offset:912
	buffer_load_dword v145, off, s[0:3], 0 offset:904
	buffer_load_dword v208, off, s[0:3], 0 offset:884
	ds_read_b128 v[1:4], v194 offset:1664
	s_waitcnt vmcnt(57) lgkmcnt(1)
	v_mul_f64 v[215:216], v[5:6], v[143:144]
	v_mul_f64 v[143:144], v[7:8], v[143:144]
	s_waitcnt vmcnt(56)
	v_fma_f64 v[199:200], v[133:134], v[213:214], -v[199:200]
	v_add_f64 v[139:140], v[139:140], v[157:158]
	v_fma_f64 v[157:158], v[135:136], v[213:214], v[181:182]
	;; [unrolled: 28-line block ×3, first 2 shown]
	v_add_f64 v[137:138], v[137:138], v[155:156]
	s_clause 0x2
	buffer_load_dword v200, off, s[0:3], 0 offset:956
	buffer_load_dword v156, off, s[0:3], 0 offset:932
	;; [unrolled: 1-line block ×3, first 2 shown]
	ds_read_b128 v[1:4], v194 offset:1712
	s_waitcnt vmcnt(58) lgkmcnt(1)
	v_mul_f64 v[181:182], v[5:6], v[169:170]
	v_mul_f64 v[169:170], v[7:8], v[169:170]
	s_waitcnt vmcnt(56)
	v_fma_f64 v[147:148], v[133:134], v[165:166], -v[147:148]
	v_add_f64 v[139:140], v[139:140], v[161:162]
	v_fma_f64 v[161:162], v[135:136], v[165:166], v[214:215]
	v_add_f64 v[137:138], v[137:138], v[143:144]
	s_clause 0x4
	buffer_load_dword v144, off, s[0:3], 0 offset:972
	buffer_load_dword v165, off, s[0:3], 0 offset:984
	;; [unrolled: 1-line block ×5, first 2 shown]
	ds_read_b128 v[133:136], v194 offset:1728
	s_waitcnt vmcnt(57) lgkmcnt(1)
	v_mul_f64 v[215:216], v[1:2], v[153:154]
	v_mul_f64 v[153:154], v[3:4], v[153:154]
	s_waitcnt vmcnt(56)
	v_fma_f64 v[169:170], v[5:6], v[201:202], -v[169:170]
	v_add_f64 v[139:140], v[139:140], v[147:148]
	v_fma_f64 v[147:148], v[7:8], v[201:202], v[181:182]
	v_add_f64 v[137:138], v[137:138], v[161:162]
	s_clause 0x2
	buffer_load_dword v166, off, s[0:3], 0 offset:988
	buffer_load_dword v162, off, s[0:3], 0 offset:964
	;; [unrolled: 1-line block ×3, first 2 shown]
	ds_read_b128 v[5:8], v194 offset:1744
	s_waitcnt vmcnt(58) lgkmcnt(1)
	v_mul_f64 v[181:182], v[133:134], v[175:176]
	v_mul_f64 v[175:176], v[135:136], v[175:176]
	s_waitcnt vmcnt(56)
	v_fma_f64 v[153:154], v[1:2], v[163:164], -v[153:154]
	v_fma_f64 v[163:164], v[3:4], v[163:164], v[215:216]
	v_add_f64 v[139:140], v[139:140], v[169:170]
	v_add_f64 v[137:138], v[137:138], v[147:148]
	s_clause 0x2
	buffer_load_dword v148, off, s[0:3], 0 offset:1004
	buffer_load_dword v147, off, s[0:3], 0 offset:1000
	;; [unrolled: 1-line block ×3, first 2 shown]
	ds_read_b128 v[1:4], v194 offset:1760
	s_waitcnt vmcnt(55) lgkmcnt(1)
	v_mul_f64 v[169:170], v[5:6], v[159:160]
	v_mul_f64 v[159:160], v[7:8], v[159:160]
	s_waitcnt vmcnt(54)
	v_fma_f64 v[175:176], v[133:134], v[195:196], -v[175:176]
	v_add_f64 v[139:140], v[139:140], v[153:154]
	v_fma_f64 v[153:154], v[135:136], v[195:196], v[181:182]
	v_add_f64 v[137:138], v[137:138], v[163:164]
	s_clause 0x1
	buffer_load_dword v164, off, s[0:3], 0 offset:996
	buffer_load_dword v163, off, s[0:3], 0 offset:992
	ds_read_b128 v[133:136], v194 offset:1776
	s_waitcnt vmcnt(55) lgkmcnt(1)
	v_mul_f64 v[181:182], v[1:2], v[183:184]
	v_mul_f64 v[183:184], v[3:4], v[183:184]
	s_waitcnt vmcnt(53)
	v_fma_f64 v[159:160], v[5:6], v[171:172], -v[159:160]
	v_fma_f64 v[169:170], v[7:8], v[171:172], v[169:170]
	ds_read_b128 v[5:8], v194 offset:1792
	v_add_f64 v[139:140], v[139:140], v[175:176]
	v_add_f64 v[137:138], v[137:138], v[153:154]
	s_waitcnt vmcnt(49) lgkmcnt(1)
	v_mul_f64 v[153:154], v[133:134], v[167:168]
	v_mul_f64 v[167:168], v[135:136], v[167:168]
	s_waitcnt vmcnt(48)
	v_fma_f64 v[171:172], v[1:2], v[189:190], -v[183:184]
	v_add_f64 v[139:140], v[139:140], v[159:160]
	v_fma_f64 v[159:160], v[3:4], v[189:190], v[181:182]
	v_add_f64 v[137:138], v[137:138], v[169:170]
	s_clause 0x3
	buffer_load_dword v169, off, s[0:3], 0 offset:32
	buffer_load_dword v170, off, s[0:3], 0 offset:36
	;; [unrolled: 1-line block ×4, first 2 shown]
	ds_read_b128 v[1:4], v194 offset:1808
	s_waitcnt vmcnt(51) lgkmcnt(1)
	v_mul_f64 v[183:184], v[7:8], v[185:186]
	v_mul_f64 v[181:182], v[5:6], v[185:186]
	s_waitcnt vmcnt(49)
	v_fma_f64 v[167:168], v[133:134], v[141:142], -v[167:168]
	v_fma_f64 v[141:142], v[135:136], v[141:142], v[153:154]
	ds_read_b128 v[133:136], v194 offset:1824
	v_add_f64 v[139:140], v[139:140], v[171:172]
	v_add_f64 v[137:138], v[137:138], v[159:160]
	s_waitcnt vmcnt(45) lgkmcnt(1)
	v_mul_f64 v[159:160], v[3:4], v[173:174]
	s_waitcnt vmcnt(44)
	v_fma_f64 v[171:172], v[5:6], v[191:192], -v[183:184]
	v_mul_f64 v[153:154], v[1:2], v[173:174]
	v_add_f64 v[139:140], v[139:140], v[167:168]
	v_fma_f64 v[167:168], v[7:8], v[191:192], v[181:182]
	v_add_f64 v[137:138], v[137:138], v[141:142]
	ds_read_b128 v[5:8], v194 offset:1840
	s_waitcnt vmcnt(43) lgkmcnt(1)
	v_mul_f64 v[173:174], v[135:136], v[187:188]
	v_mul_f64 v[141:142], v[133:134], v[187:188]
	s_waitcnt vmcnt(41)
	v_fma_f64 v[159:160], v[1:2], v[179:180], -v[159:160]
	v_fma_f64 v[153:154], v[3:4], v[179:180], v[153:154]
	ds_read_b128 v[1:4], v194 offset:1856
	v_add_f64 v[139:140], v[139:140], v[171:172]
	v_add_f64 v[137:138], v[137:138], v[167:168]
	s_waitcnt vmcnt(37) lgkmcnt(1)
	v_mul_f64 v[171:172], v[7:8], v[177:178]
	s_waitcnt vmcnt(36)
	v_fma_f64 v[173:174], v[133:134], v[203:204], -v[173:174]
	v_mul_f64 v[167:168], v[5:6], v[177:178]
	v_fma_f64 v[141:142], v[135:136], v[203:204], v[141:142]
	ds_read_b128 v[133:136], v194 offset:1872
	v_add_f64 v[139:140], v[139:140], v[159:160]
	v_add_f64 v[137:138], v[137:138], v[153:154]
	s_waitcnt vmcnt(35) lgkmcnt(1)
	v_mul_f64 v[159:160], v[3:4], v[197:198]
	v_mul_f64 v[153:154], v[1:2], v[197:198]
	s_waitcnt vmcnt(33)
	v_fma_f64 v[171:172], v[5:6], v[151:152], -v[171:172]
	v_fma_f64 v[151:152], v[7:8], v[151:152], v[167:168]
	ds_read_b128 v[5:8], v194 offset:1888
	v_add_f64 v[139:140], v[139:140], v[173:174]
	v_add_f64 v[137:138], v[137:138], v[141:142]
	s_waitcnt vmcnt(29) lgkmcnt(1)
	v_mul_f64 v[141:142], v[133:134], v[145:146]
	v_mul_f64 v[145:146], v[135:136], v[145:146]
	s_waitcnt vmcnt(28)
	v_fma_f64 v[159:160], v[1:2], v[207:208], -v[159:160]
	;; [unrolled: 9-line block ×4, first 2 shown]
	v_add_f64 v[139:140], v[139:140], v[145:146]
	v_fma_f64 v[145:146], v[7:8], v[211:212], v[151:152]
	v_add_f64 v[137:138], v[137:138], v[141:142]
	ds_read_b128 v[5:8], v194 offset:1936
	s_waitcnt vmcnt(19) lgkmcnt(1)
	v_mul_f64 v[151:152], v[135:136], v[199:200]
	v_mul_f64 v[141:142], v[133:134], v[199:200]
	s_waitcnt vmcnt(17)
	v_fma_f64 v[153:154], v[1:2], v[155:156], -v[153:154]
	v_fma_f64 v[149:150], v[3:4], v[155:156], v[149:150]
	ds_read_b128 v[1:4], v194 offset:1952
	v_add_f64 v[139:140], v[139:140], v[157:158]
	v_add_f64 v[137:138], v[137:138], v[145:146]
	s_waitcnt vmcnt(13) lgkmcnt(1)
	v_mul_f64 v[145:146], v[5:6], v[143:144]
	v_mul_f64 v[143:144], v[7:8], v[143:144]
	s_waitcnt vmcnt(12)
	v_fma_f64 v[151:152], v[133:134], v[213:214], -v[151:152]
	v_fma_f64 v[141:142], v[135:136], v[213:214], v[141:142]
	ds_read_b128 v[133:136], v194 offset:1968
	v_add_f64 v[139:140], v[139:140], v[153:154]
	v_add_f64 v[137:138], v[137:138], v[149:150]
	s_waitcnt vmcnt(11) lgkmcnt(1)
	v_mul_f64 v[153:154], v[3:4], v[165:166]
	v_mul_f64 v[149:150], v[1:2], v[165:166]
	s_waitcnt vmcnt(9)
	v_fma_f64 v[5:6], v[5:6], v[161:162], -v[143:144]
	v_fma_f64 v[7:8], v[7:8], v[161:162], v[145:146]
	v_add_f64 v[139:140], v[139:140], v[151:152]
	v_add_f64 v[137:138], v[137:138], v[141:142]
	s_waitcnt vmcnt(7) lgkmcnt(0)
	v_mul_f64 v[143:144], v[135:136], v[147:148]
	s_waitcnt vmcnt(6)
	v_fma_f64 v[1:2], v[1:2], v[209:210], -v[153:154]
	v_mul_f64 v[141:142], v[133:134], v[147:148]
	v_fma_f64 v[3:4], v[3:4], v[209:210], v[149:150]
	v_add_f64 v[5:6], v[139:140], v[5:6]
	v_add_f64 v[7:8], v[137:138], v[7:8]
	s_waitcnt vmcnt(4)
	v_fma_f64 v[133:134], v[133:134], v[163:164], -v[143:144]
	v_add_f64 v[1:2], v[5:6], v[1:2]
	v_fma_f64 v[5:6], v[135:136], v[163:164], v[141:142]
	v_add_f64 v[3:4], v[7:8], v[3:4]
	v_add_f64 v[1:2], v[1:2], v[133:134]
	;; [unrolled: 1-line block ×3, first 2 shown]
	s_waitcnt vmcnt(2)
	v_add_f64 v[1:2], v[169:170], -v[1:2]
	s_waitcnt vmcnt(0)
	v_add_f64 v[3:4], v[175:176], -v[3:4]
	buffer_store_dword v2, off, s[0:3], 0 offset:36
	buffer_store_dword v1, off, s[0:3], 0 offset:32
	;; [unrolled: 1-line block ×4, first 2 shown]
	v_cmpx_ne_u32_e32 0, v0
	s_cbranch_execz .LBB125_397
; %bb.396:
	s_clause 0x3
	buffer_load_dword v0, off, s[0:3], 0 offset:16
	buffer_load_dword v1, off, s[0:3], 0 offset:20
	;; [unrolled: 1-line block ×4, first 2 shown]
	v_mov_b32_e32 v4, 0
	buffer_store_dword v4, off, s[0:3], 0 offset:16
	buffer_store_dword v4, off, s[0:3], 0 offset:20
	;; [unrolled: 1-line block ×4, first 2 shown]
	s_waitcnt vmcnt(0)
	ds_write_b128 v193, v[0:3]
.LBB125_397:
	s_or_b32 exec_lo, exec_lo, s4
	s_waitcnt lgkmcnt(0)
	s_waitcnt_vscnt null, 0x0
	s_barrier
	buffer_gl0_inv
	s_clause 0x37
	buffer_load_dword v141, off, s[0:3], 0 offset:40
	buffer_load_dword v142, off, s[0:3], 0 offset:44
	;; [unrolled: 1-line block ×56, first 2 shown]
	v_mov_b32_e32 v8, 0
	s_and_b32 vcc_lo, exec_lo, s76
	ds_read_b128 v[4:7], v8 offset:1008
	s_clause 0x2
	buffer_load_dword v190, off, s[0:3], 0 offset:268
	buffer_load_dword v192, off, s[0:3], 0 offset:244
	;; [unrolled: 1-line block ×3, first 2 shown]
	ds_read_b128 v[0:3], v8 offset:1024
	s_clause 0x4
	buffer_load_dword v200, off, s[0:3], 0 offset:284
	buffer_load_dword v201, off, s[0:3], 0 offset:296
	;; [unrolled: 1-line block ×5, first 2 shown]
	ds_read_b128 v[193:196], v8 offset:1040
	s_waitcnt vmcnt(62) lgkmcnt(2)
	v_mul_f64 v[197:198], v[6:7], v[141:142]
	v_mul_f64 v[141:142], v[4:5], v[141:142]
	s_waitcnt vmcnt(60) lgkmcnt(1)
	v_mul_f64 v[204:205], v[2:3], v[137:138]
	v_mul_f64 v[137:138], v[0:1], v[137:138]
	;; [unrolled: 3-line block ×3, first 2 shown]
	v_fma_f64 v[197:198], v[4:5], v[139:140], -v[197:198]
	v_fma_f64 v[139:140], v[6:7], v[139:140], v[141:142]
	s_clause 0x2
	buffer_load_dword v202, off, s[0:3], 0 offset:300
	buffer_load_dword v142, off, s[0:3], 0 offset:276
	;; [unrolled: 1-line block ×3, first 2 shown]
	s_waitcnt vmcnt(57)
	v_fma_f64 v[208:209], v[0:1], v[133:134], -v[204:205]
	ds_read_b128 v[4:7], v8 offset:1056
	v_fma_f64 v[133:134], v[2:3], v[133:134], v[137:138]
	s_waitcnt vmcnt(51)
	v_fma_f64 v[193:194], v[193:194], v[157:158], -v[135:136]
	v_fma_f64 v[157:158], v[195:196], v[157:158], v[206:207]
	v_add_f64 v[197:198], v[197:198], 0
	v_add_f64 v[137:138], v[139:140], 0
	s_clause 0x4
	buffer_load_dword v140, off, s[0:3], 0 offset:316
	buffer_load_dword v205, off, s[0:3], 0 offset:328
	;; [unrolled: 1-line block ×5, first 2 shown]
	s_waitcnt lgkmcnt(0)
	v_mul_f64 v[211:212], v[4:5], v[145:146]
	v_mul_f64 v[145:146], v[6:7], v[145:146]
	ds_read_b128 v[0:3], v8 offset:1072
	s_clause 0x2
	buffer_load_dword v206, off, s[0:3], 0 offset:332
	buffer_load_dword v196, off, s[0:3], 0 offset:308
	;; [unrolled: 1-line block ×3, first 2 shown]
	v_add_f64 v[197:198], v[197:198], v[208:209]
	v_add_f64 v[137:138], v[137:138], v[133:134]
	ds_read_b128 v[133:136], v8 offset:1088
	s_waitcnt vmcnt(58) lgkmcnt(1)
	v_mul_f64 v[207:208], v[0:1], v[149:150]
	v_mul_f64 v[149:150], v[2:3], v[149:150]
	s_waitcnt vmcnt(56)
	v_fma_f64 v[145:146], v[4:5], v[151:152], -v[145:146]
	v_fma_f64 v[151:152], v[6:7], v[151:152], v[211:212]
	s_waitcnt vmcnt(52) lgkmcnt(0)
	v_mul_f64 v[213:214], v[133:134], v[153:154]
	v_add_f64 v[193:194], v[197:198], v[193:194]
	v_add_f64 v[137:138], v[137:138], v[157:158]
	s_clause 0x4
	buffer_load_dword v158, off, s[0:3], 0 offset:348
	buffer_load_dword v197, off, s[0:3], 0 offset:360
	;; [unrolled: 1-line block ×5, first 2 shown]
	v_mul_f64 v[153:154], v[135:136], v[153:154]
	s_waitcnt vmcnt(56)
	v_fma_f64 v[149:150], v[0:1], v[143:144], -v[149:150]
	ds_read_b128 v[4:7], v8 offset:1104
	v_fma_f64 v[143:144], v[2:3], v[143:144], v[207:208]
	v_add_f64 v[145:146], v[193:194], v[145:146]
	v_add_f64 v[137:138], v[137:138], v[151:152]
	s_clause 0x2
	buffer_load_dword v198, off, s[0:3], 0 offset:364
	buffer_load_dword v152, off, s[0:3], 0 offset:340
	;; [unrolled: 1-line block ×3, first 2 shown]
	s_waitcnt vmcnt(58) lgkmcnt(0)
	v_mul_f64 v[193:194], v[4:5], v[159:160]
	v_mul_f64 v[159:160], v[6:7], v[159:160]
	s_waitcnt vmcnt(56)
	v_fma_f64 v[153:154], v[133:134], v[161:162], -v[153:154]
	ds_read_b128 v[0:3], v8 offset:1120
	v_add_f64 v[145:146], v[145:146], v[149:150]
	v_fma_f64 v[149:150], v[135:136], v[161:162], v[213:214]
	v_add_f64 v[137:138], v[137:138], v[143:144]
	s_clause 0x4
	buffer_load_dword v144, off, s[0:3], 0 offset:380
	buffer_load_dword v161, off, s[0:3], 0 offset:392
	;; [unrolled: 1-line block ×5, first 2 shown]
	s_waitcnt vmcnt(57) lgkmcnt(0)
	v_mul_f64 v[208:209], v[0:1], v[163:164]
	v_mul_f64 v[163:164], v[2:3], v[163:164]
	s_waitcnt vmcnt(56)
	v_fma_f64 v[159:160], v[4:5], v[147:148], -v[159:160]
	ds_read_b128 v[133:136], v8 offset:1136
	v_fma_f64 v[147:148], v[6:7], v[147:148], v[193:194]
	v_add_f64 v[145:146], v[145:146], v[153:154]
	v_add_f64 v[137:138], v[137:138], v[149:150]
	s_clause 0x2
	buffer_load_dword v162, off, s[0:3], 0 offset:396
	buffer_load_dword v150, off, s[0:3], 0 offset:372
	;; [unrolled: 1-line block ×3, first 2 shown]
	ds_read_b128 v[4:7], v8 offset:1152
	s_waitcnt vmcnt(58) lgkmcnt(1)
	v_mul_f64 v[153:154], v[133:134], v[167:168]
	v_mul_f64 v[167:168], v[135:136], v[167:168]
	s_waitcnt vmcnt(56)
	v_fma_f64 v[163:164], v[0:1], v[169:170], -v[163:164]
	v_add_f64 v[145:146], v[145:146], v[159:160]
	v_fma_f64 v[159:160], v[2:3], v[169:170], v[208:209]
	v_add_f64 v[137:138], v[137:138], v[147:148]
	s_clause 0x4
	buffer_load_dword v148, off, s[0:3], 0 offset:412
	buffer_load_dword v169, off, s[0:3], 0 offset:424
	;; [unrolled: 1-line block ×5, first 2 shown]
	s_waitcnt vmcnt(57) lgkmcnt(0)
	v_mul_f64 v[214:215], v[4:5], v[171:172]
	v_mul_f64 v[171:172], v[6:7], v[171:172]
	s_waitcnt vmcnt(56)
	v_fma_f64 v[167:168], v[133:134], v[155:156], -v[167:168]
	ds_read_b128 v[0:3], v8 offset:1168
	v_fma_f64 v[153:154], v[135:136], v[155:156], v[153:154]
	s_clause 0x2
	buffer_load_dword v170, off, s[0:3], 0 offset:428
	buffer_load_dword v156, off, s[0:3], 0 offset:404
	;; [unrolled: 1-line block ×3, first 2 shown]
	ds_read_b128 v[133:136], v8 offset:1184
	v_add_f64 v[145:146], v[145:146], v[163:164]
	v_add_f64 v[137:138], v[137:138], v[159:160]
	s_waitcnt vmcnt(58) lgkmcnt(1)
	v_mul_f64 v[163:164], v[2:3], v[175:176]
	s_waitcnt vmcnt(56)
	v_fma_f64 v[171:172], v[4:5], v[177:178], -v[171:172]
	v_mul_f64 v[159:160], v[0:1], v[175:176]
	v_add_f64 v[145:146], v[145:146], v[167:168]
	v_fma_f64 v[167:168], v[6:7], v[177:178], v[214:215]
	v_add_f64 v[137:138], v[137:138], v[153:154]
	s_clause 0x4
	buffer_load_dword v154, off, s[0:3], 0 offset:444
	buffer_load_dword v175, off, s[0:3], 0 offset:456
	;; [unrolled: 1-line block ×5, first 2 shown]
	s_waitcnt vmcnt(57) lgkmcnt(0)
	v_mul_f64 v[214:215], v[133:134], v[179:180]
	v_mul_f64 v[178:179], v[135:136], v[179:180]
	s_waitcnt vmcnt(56)
	v_fma_f64 v[163:164], v[0:1], v[165:166], -v[163:164]
	ds_read_b128 v[4:7], v8 offset:1200
	v_fma_f64 v[159:160], v[2:3], v[165:166], v[159:160]
	s_clause 0x2
	buffer_load_dword v176, off, s[0:3], 0 offset:460
	buffer_load_dword v166, off, s[0:3], 0 offset:436
	;; [unrolled: 1-line block ×3, first 2 shown]
	ds_read_b128 v[0:3], v8 offset:1216
	v_add_f64 v[145:146], v[145:146], v[171:172]
	v_add_f64 v[137:138], v[137:138], v[167:168]
	s_waitcnt vmcnt(58) lgkmcnt(1)
	v_mul_f64 v[171:172], v[6:7], v[183:184]
	s_waitcnt vmcnt(56)
	v_fma_f64 v[179:180], v[133:134], v[185:186], -v[178:179]
	v_mul_f64 v[167:168], v[4:5], v[183:184]
	v_add_f64 v[145:146], v[145:146], v[163:164]
	v_fma_f64 v[163:164], v[135:136], v[185:186], v[214:215]
	v_add_f64 v[137:138], v[137:138], v[159:160]
	s_clause 0x4
	buffer_load_dword v160, off, s[0:3], 0 offset:476
	buffer_load_dword v183, off, s[0:3], 0 offset:488
	buffer_load_dword v185, off, s[0:3], 0 offset:480
	buffer_load_dword v159, off, s[0:3], 0 offset:472
	buffer_load_dword v178, off, s[0:3], 0 offset:452
	s_waitcnt vmcnt(57) lgkmcnt(0)
	v_mul_f64 v[214:215], v[0:1], v[187:188]
	v_mul_f64 v[186:187], v[2:3], v[187:188]
	s_waitcnt vmcnt(56)
	v_fma_f64 v[171:172], v[4:5], v[173:174], -v[171:172]
	ds_read_b128 v[133:136], v8 offset:1232
	v_fma_f64 v[167:168], v[6:7], v[173:174], v[167:168]
	v_add_f64 v[145:146], v[145:146], v[179:180]
	v_add_f64 v[137:138], v[137:138], v[163:164]
	s_clause 0x2
	buffer_load_dword v184, off, s[0:3], 0 offset:492
	buffer_load_dword v164, off, s[0:3], 0 offset:468
	;; [unrolled: 1-line block ×3, first 2 shown]
	ds_read_b128 v[4:7], v8 offset:1248
	s_waitcnt vmcnt(58) lgkmcnt(1)
	v_mul_f64 v[179:180], v[135:136], v[189:190]
	s_waitcnt vmcnt(56)
	v_fma_f64 v[187:188], v[0:1], v[191:192], -v[186:187]
	v_mul_f64 v[173:174], v[133:134], v[189:190]
	v_add_f64 v[145:146], v[145:146], v[171:172]
	v_fma_f64 v[171:172], v[2:3], v[191:192], v[214:215]
	v_add_f64 v[137:138], v[137:138], v[167:168]
	s_clause 0x4
	buffer_load_dword v168, off, s[0:3], 0 offset:508
	buffer_load_dword v189, off, s[0:3], 0 offset:520
	;; [unrolled: 1-line block ×5, first 2 shown]
	s_waitcnt vmcnt(57) lgkmcnt(0)
	v_mul_f64 v[214:215], v[4:5], v[199:200]
	v_mul_f64 v[199:200], v[6:7], v[199:200]
	s_waitcnt vmcnt(56)
	v_fma_f64 v[179:180], v[133:134], v[181:182], -v[179:180]
	ds_read_b128 v[0:3], v8 offset:1264
	v_fma_f64 v[173:174], v[135:136], v[181:182], v[173:174]
	v_add_f64 v[145:146], v[145:146], v[187:188]
	v_add_f64 v[137:138], v[137:138], v[171:172]
	s_clause 0x2
	buffer_load_dword v190, off, s[0:3], 0 offset:524
	buffer_load_dword v172, off, s[0:3], 0 offset:500
	;; [unrolled: 1-line block ×3, first 2 shown]
	ds_read_b128 v[133:136], v8 offset:1280
	s_waitcnt vmcnt(58) lgkmcnt(1)
	v_mul_f64 v[187:188], v[2:3], v[201:202]
	v_mul_f64 v[181:182], v[0:1], v[201:202]
	s_waitcnt vmcnt(56)
	v_fma_f64 v[199:200], v[4:5], v[141:142], -v[199:200]
	v_fma_f64 v[141:142], v[6:7], v[141:142], v[214:215]
	v_add_f64 v[145:146], v[145:146], v[179:180]
	v_add_f64 v[137:138], v[137:138], v[173:174]
	s_clause 0x4
	buffer_load_dword v174, off, s[0:3], 0 offset:540
	buffer_load_dword v179, off, s[0:3], 0 offset:552
	;; [unrolled: 1-line block ×5, first 2 shown]
	ds_read_b128 v[4:7], v8 offset:1296
	s_waitcnt vmcnt(57) lgkmcnt(1)
	v_mul_f64 v[214:215], v[133:134], v[139:140]
	v_mul_f64 v[139:140], v[135:136], v[139:140]
	s_waitcnt vmcnt(56)
	v_fma_f64 v[187:188], v[0:1], v[203:204], -v[187:188]
	v_fma_f64 v[181:182], v[2:3], v[203:204], v[181:182]
	v_add_f64 v[145:146], v[145:146], v[199:200]
	v_add_f64 v[137:138], v[137:138], v[141:142]
	s_clause 0x2
	buffer_load_dword v180, off, s[0:3], 0 offset:556
	buffer_load_dword v142, off, s[0:3], 0 offset:532
	;; [unrolled: 1-line block ×3, first 2 shown]
	s_waitcnt vmcnt(58) lgkmcnt(0)
	v_mul_f64 v[203:204], v[6:7], v[205:206]
	ds_read_b128 v[0:3], v8 offset:1312
	v_mul_f64 v[199:200], v[4:5], v[205:206]
	s_waitcnt vmcnt(56)
	v_fma_f64 v[139:140], v[133:134], v[195:196], -v[139:140]
	v_add_f64 v[145:146], v[145:146], v[187:188]
	v_fma_f64 v[187:188], v[135:136], v[195:196], v[214:215]
	v_add_f64 v[137:138], v[137:138], v[181:182]
	s_clause 0x4
	buffer_load_dword v182, off, s[0:3], 0 offset:572
	buffer_load_dword v195, off, s[0:3], 0 offset:584
	;; [unrolled: 1-line block ×5, first 2 shown]
	ds_read_b128 v[133:136], v8 offset:1328
	s_waitcnt vmcnt(57) lgkmcnt(1)
	v_mul_f64 v[214:215], v[0:1], v[157:158]
	v_mul_f64 v[157:158], v[2:3], v[157:158]
	s_waitcnt vmcnt(56)
	v_fma_f64 v[203:204], v[4:5], v[210:211], -v[203:204]
	v_add_f64 v[139:140], v[145:146], v[139:140]
	v_fma_f64 v[145:146], v[6:7], v[210:211], v[199:200]
	v_add_f64 v[137:138], v[137:138], v[187:188]
	s_clause 0x2
	buffer_load_dword v196, off, s[0:3], 0 offset:588
	buffer_load_dword v188, off, s[0:3], 0 offset:564
	;; [unrolled: 1-line block ×3, first 2 shown]
	ds_read_b128 v[4:7], v8 offset:1344
	s_waitcnt vmcnt(58) lgkmcnt(1)
	v_mul_f64 v[199:200], v[133:134], v[197:198]
	v_mul_f64 v[197:198], v[135:136], v[197:198]
	s_waitcnt vmcnt(56)
	v_fma_f64 v[157:158], v[0:1], v[151:152], -v[157:158]
	v_fma_f64 v[151:152], v[2:3], v[151:152], v[214:215]
	v_add_f64 v[139:140], v[139:140], v[203:204]
	v_add_f64 v[137:138], v[137:138], v[145:146]
	s_clause 0x4
	buffer_load_dword v146, off, s[0:3], 0 offset:604
	buffer_load_dword v203, off, s[0:3], 0 offset:616
	;; [unrolled: 1-line block ×5, first 2 shown]
	ds_read_b128 v[0:3], v8 offset:1360
	s_waitcnt vmcnt(57) lgkmcnt(1)
	v_mul_f64 v[210:211], v[4:5], v[143:144]
	v_mul_f64 v[143:144], v[6:7], v[143:144]
	s_waitcnt vmcnt(56)
	v_fma_f64 v[197:198], v[133:134], v[212:213], -v[197:198]
	v_add_f64 v[139:140], v[139:140], v[157:158]
	v_fma_f64 v[157:158], v[135:136], v[212:213], v[199:200]
	v_add_f64 v[137:138], v[137:138], v[151:152]
	s_clause 0x2
	buffer_load_dword v204, off, s[0:3], 0 offset:620
	buffer_load_dword v152, off, s[0:3], 0 offset:596
	;; [unrolled: 1-line block ×3, first 2 shown]
	ds_read_b128 v[133:136], v8 offset:1376
	s_waitcnt vmcnt(58) lgkmcnt(1)
	v_mul_f64 v[199:200], v[0:1], v[161:162]
	v_mul_f64 v[161:162], v[2:3], v[161:162]
	s_waitcnt vmcnt(56)
	v_fma_f64 v[143:144], v[4:5], v[149:150], -v[143:144]
	v_fma_f64 v[149:150], v[6:7], v[149:150], v[210:211]
	v_add_f64 v[139:140], v[139:140], v[197:198]
	v_add_f64 v[137:138], v[137:138], v[157:158]
	s_clause 0x4
	buffer_load_dword v158, off, s[0:3], 0 offset:636
	buffer_load_dword v197, off, s[0:3], 0 offset:648
	;; [unrolled: 1-line block ×5, first 2 shown]
	ds_read_b128 v[4:7], v8 offset:1392
	s_waitcnt vmcnt(57) lgkmcnt(1)
	v_mul_f64 v[212:213], v[133:134], v[147:148]
	v_mul_f64 v[147:148], v[135:136], v[147:148]
	s_waitcnt vmcnt(56)
	v_fma_f64 v[161:162], v[0:1], v[207:208], -v[161:162]
	v_add_f64 v[139:140], v[139:140], v[143:144]
	v_fma_f64 v[143:144], v[2:3], v[207:208], v[199:200]
	v_add_f64 v[137:138], v[137:138], v[149:150]
	s_clause 0x2
	buffer_load_dword v198, off, s[0:3], 0 offset:652
	buffer_load_dword v150, off, s[0:3], 0 offset:628
	;; [unrolled: 1-line block ×3, first 2 shown]
	s_waitcnt vmcnt(58) lgkmcnt(0)
	v_mul_f64 v[199:200], v[4:5], v[169:170]
	v_mul_f64 v[169:170], v[6:7], v[169:170]
	ds_read_b128 v[0:3], v8 offset:1408
	s_waitcnt vmcnt(56)
	v_fma_f64 v[147:148], v[133:134], v[155:156], -v[147:148]
	v_fma_f64 v[155:156], v[135:136], v[155:156], v[212:213]
	v_add_f64 v[139:140], v[139:140], v[161:162]
	v_add_f64 v[137:138], v[137:138], v[143:144]
	s_clause 0x4
	buffer_load_dword v144, off, s[0:3], 0 offset:668
	buffer_load_dword v161, off, s[0:3], 0 offset:680
	;; [unrolled: 1-line block ×5, first 2 shown]
	ds_read_b128 v[133:136], v8 offset:1424
	s_waitcnt vmcnt(57) lgkmcnt(1)
	v_mul_f64 v[213:214], v[0:1], v[153:154]
	v_mul_f64 v[153:154], v[2:3], v[153:154]
	s_waitcnt vmcnt(56)
	v_fma_f64 v[169:170], v[4:5], v[193:194], -v[169:170]
	v_add_f64 v[139:140], v[139:140], v[147:148]
	v_fma_f64 v[147:148], v[6:7], v[193:194], v[199:200]
	v_add_f64 v[137:138], v[137:138], v[155:156]
	s_clause 0x2
	buffer_load_dword v162, off, s[0:3], 0 offset:684
	buffer_load_dword v156, off, s[0:3], 0 offset:660
	;; [unrolled: 1-line block ×3, first 2 shown]
	s_waitcnt vmcnt(58) lgkmcnt(0)
	v_mul_f64 v[193:194], v[133:134], v[175:176]
	v_mul_f64 v[175:176], v[135:136], v[175:176]
	ds_read_b128 v[4:7], v8 offset:1440
	s_waitcnt vmcnt(56)
	v_fma_f64 v[153:154], v[0:1], v[165:166], -v[153:154]
	v_fma_f64 v[165:166], v[2:3], v[165:166], v[213:214]
	v_add_f64 v[139:140], v[139:140], v[169:170]
	v_add_f64 v[137:138], v[137:138], v[147:148]
	s_clause 0x4
	buffer_load_dword v148, off, s[0:3], 0 offset:700
	buffer_load_dword v169, off, s[0:3], 0 offset:712
	buffer_load_dword v199, off, s[0:3], 0 offset:704
	buffer_load_dword v147, off, s[0:3], 0 offset:696
	buffer_load_dword v208, off, s[0:3], 0 offset:676
	ds_read_b128 v[0:3], v8 offset:1456
	s_waitcnt vmcnt(57) lgkmcnt(1)
	v_mul_f64 v[213:214], v[4:5], v[159:160]
	v_mul_f64 v[159:160], v[6:7], v[159:160]
	s_waitcnt vmcnt(56)
	v_fma_f64 v[175:176], v[133:134], v[177:178], -v[175:176]
	v_add_f64 v[139:140], v[139:140], v[153:154]
	v_fma_f64 v[153:154], v[135:136], v[177:178], v[193:194]
	v_add_f64 v[137:138], v[137:138], v[165:166]
	s_clause 0x2
	buffer_load_dword v170, off, s[0:3], 0 offset:716
	buffer_load_dword v166, off, s[0:3], 0 offset:692
	buffer_load_dword v165, off, s[0:3], 0 offset:688
	ds_read_b128 v[133:136], v8 offset:1472
	s_waitcnt vmcnt(58) lgkmcnt(1)
	v_mul_f64 v[177:178], v[0:1], v[183:184]
	v_mul_f64 v[183:184], v[2:3], v[183:184]
	s_waitcnt vmcnt(56)
	v_fma_f64 v[159:160], v[4:5], v[163:164], -v[159:160]
	v_fma_f64 v[163:164], v[6:7], v[163:164], v[213:214]
	v_add_f64 v[139:140], v[139:140], v[175:176]
	v_add_f64 v[137:138], v[137:138], v[153:154]
	s_clause 0x4
	buffer_load_dword v154, off, s[0:3], 0 offset:732
	buffer_load_dword v175, off, s[0:3], 0 offset:744
	buffer_load_dword v193, off, s[0:3], 0 offset:736
	buffer_load_dword v153, off, s[0:3], 0 offset:728
	buffer_load_dword v200, off, s[0:3], 0 offset:708
	ds_read_b128 v[4:7], v8 offset:1488
	s_waitcnt vmcnt(57) lgkmcnt(1)
	v_mul_f64 v[213:214], v[133:134], v[167:168]
	v_mul_f64 v[167:168], v[135:136], v[167:168]
	s_waitcnt vmcnt(56)
	v_fma_f64 v[183:184], v[0:1], v[185:186], -v[183:184]
	v_add_f64 v[139:140], v[139:140], v[159:160]
	v_fma_f64 v[159:160], v[2:3], v[185:186], v[177:178]
	v_add_f64 v[137:138], v[137:138], v[163:164]
	s_clause 0x2
	buffer_load_dword v176, off, s[0:3], 0 offset:748
	buffer_load_dword v164, off, s[0:3], 0 offset:724
	buffer_load_dword v163, off, s[0:3], 0 offset:720
	ds_read_b128 v[0:3], v8 offset:1504
	s_waitcnt vmcnt(58) lgkmcnt(1)
	v_mul_f64 v[185:186], v[6:7], v[189:190]
	v_mul_f64 v[177:178], v[4:5], v[189:190]
	;; [unrolled: 28-line block ×4, first 2 shown]
	s_waitcnt vmcnt(56)
	v_fma_f64 v[181:182], v[4:5], v[187:188], -v[181:182]
	v_add_f64 v[139:140], v[139:140], v[179:180]
	v_fma_f64 v[179:180], v[6:7], v[187:188], v[213:214]
	v_add_f64 v[137:138], v[137:138], v[173:174]
	s_clause 0x4
	buffer_load_dword v174, off, s[0:3], 0 offset:828
	buffer_load_dword v187, off, s[0:3], 0 offset:840
	;; [unrolled: 1-line block ×5, first 2 shown]
	ds_read_b128 v[4:7], v8 offset:1584
	s_waitcnt vmcnt(57) lgkmcnt(1)
	v_mul_f64 v[213:214], v[133:134], v[145:146]
	v_mul_f64 v[145:146], v[135:136], v[145:146]
	s_waitcnt vmcnt(56)
	v_fma_f64 v[195:196], v[0:1], v[205:206], -v[195:196]
	v_fma_f64 v[177:178], v[2:3], v[205:206], v[177:178]
	v_add_f64 v[139:140], v[139:140], v[181:182]
	v_add_f64 v[137:138], v[137:138], v[179:180]
	s_clause 0x2
	buffer_load_dword v188, off, s[0:3], 0 offset:844
	buffer_load_dword v180, off, s[0:3], 0 offset:820
	buffer_load_dword v179, off, s[0:3], 0 offset:816
	ds_read_b128 v[0:3], v8 offset:1600
	s_waitcnt vmcnt(58) lgkmcnt(1)
	v_mul_f64 v[181:182], v[4:5], v[203:204]
	v_mul_f64 v[203:204], v[6:7], v[203:204]
	s_waitcnt vmcnt(56)
	v_fma_f64 v[145:146], v[133:134], v[151:152], -v[145:146]
	v_fma_f64 v[151:152], v[135:136], v[151:152], v[213:214]
	v_add_f64 v[139:140], v[139:140], v[195:196]
	v_add_f64 v[137:138], v[137:138], v[177:178]
	s_clause 0x4
	buffer_load_dword v178, off, s[0:3], 0 offset:860
	buffer_load_dword v195, off, s[0:3], 0 offset:872
	buffer_load_dword v205, off, s[0:3], 0 offset:864
	buffer_load_dword v177, off, s[0:3], 0 offset:856
	buffer_load_dword v202, off, s[0:3], 0 offset:836
	ds_read_b128 v[133:136], v8 offset:1616
	s_waitcnt vmcnt(57) lgkmcnt(1)
	v_mul_f64 v[213:214], v[0:1], v[157:158]
	v_mul_f64 v[157:158], v[2:3], v[157:158]
	s_waitcnt vmcnt(56)
	v_fma_f64 v[203:204], v[4:5], v[209:210], -v[203:204]
	v_add_f64 v[139:140], v[139:140], v[145:146]
	v_fma_f64 v[145:146], v[6:7], v[209:210], v[181:182]
	v_add_f64 v[137:138], v[137:138], v[151:152]
	s_clause 0x2
	buffer_load_dword v196, off, s[0:3], 0 offset:876
	buffer_load_dword v152, off, s[0:3], 0 offset:852
	buffer_load_dword v151, off, s[0:3], 0 offset:848
	ds_read_b128 v[4:7], v8 offset:1632
	s_waitcnt vmcnt(58) lgkmcnt(1)
	v_mul_f64 v[181:182], v[133:134], v[197:198]
	v_mul_f64 v[197:198], v[135:136], v[197:198]
	s_waitcnt vmcnt(56)
	v_fma_f64 v[157:158], v[0:1], v[149:150], -v[157:158]
	v_fma_f64 v[149:150], v[2:3], v[149:150], v[213:214]
	v_add_f64 v[139:140], v[139:140], v[203:204]
	v_add_f64 v[137:138], v[137:138], v[145:146]
	s_clause 0x4
	buffer_load_dword v146, off, s[0:3], 0 offset:892
	buffer_load_dword v203, off, s[0:3], 0 offset:904
	buffer_load_dword v209, off, s[0:3], 0 offset:896
	buffer_load_dword v145, off, s[0:3], 0 offset:888
	buffer_load_dword v206, off, s[0:3], 0 offset:868
	ds_read_b128 v[0:3], v8 offset:1648
	s_waitcnt vmcnt(57) lgkmcnt(1)
	v_mul_f64 v[213:214], v[4:5], v[143:144]
	v_mul_f64 v[143:144], v[6:7], v[143:144]
	s_waitcnt vmcnt(56)
	v_fma_f64 v[197:198], v[133:134], v[211:212], -v[197:198]
	v_add_f64 v[139:140], v[139:140], v[157:158]
	v_fma_f64 v[157:158], v[135:136], v[211:212], v[181:182]
	;; [unrolled: 28-line block ×3, first 2 shown]
	v_add_f64 v[137:138], v[137:138], v[155:156]
	s_clause 0x2
	buffer_load_dword v198, off, s[0:3], 0 offset:940
	buffer_load_dword v156, off, s[0:3], 0 offset:916
	;; [unrolled: 1-line block ×3, first 2 shown]
	ds_read_b128 v[0:3], v8 offset:1696
	s_waitcnt vmcnt(58) lgkmcnt(1)
	v_mul_f64 v[181:182], v[4:5], v[169:170]
	v_mul_f64 v[169:170], v[6:7], v[169:170]
	s_waitcnt vmcnt(56)
	v_fma_f64 v[147:148], v[133:134], v[165:166], -v[147:148]
	v_add_f64 v[139:140], v[139:140], v[161:162]
	v_fma_f64 v[161:162], v[135:136], v[165:166], v[212:213]
	v_add_f64 v[137:138], v[137:138], v[143:144]
	s_clause 0x4
	buffer_load_dword v144, off, s[0:3], 0 offset:956
	buffer_load_dword v165, off, s[0:3], 0 offset:968
	;; [unrolled: 1-line block ×5, first 2 shown]
	ds_read_b128 v[133:136], v8 offset:1712
	s_waitcnt vmcnt(57) lgkmcnt(1)
	v_mul_f64 v[213:214], v[0:1], v[153:154]
	v_mul_f64 v[153:154], v[2:3], v[153:154]
	s_waitcnt vmcnt(56)
	v_fma_f64 v[169:170], v[4:5], v[199:200], -v[169:170]
	v_add_f64 v[139:140], v[139:140], v[147:148]
	v_fma_f64 v[147:148], v[6:7], v[199:200], v[181:182]
	v_add_f64 v[137:138], v[137:138], v[161:162]
	s_clause 0x2
	buffer_load_dword v166, off, s[0:3], 0 offset:972
	buffer_load_dword v162, off, s[0:3], 0 offset:948
	buffer_load_dword v161, off, s[0:3], 0 offset:944
	ds_read_b128 v[4:7], v8 offset:1728
	s_waitcnt vmcnt(58) lgkmcnt(1)
	v_mul_f64 v[181:182], v[133:134], v[175:176]
	v_mul_f64 v[175:176], v[135:136], v[175:176]
	s_waitcnt vmcnt(56)
	v_fma_f64 v[153:154], v[0:1], v[163:164], -v[153:154]
	v_fma_f64 v[163:164], v[2:3], v[163:164], v[213:214]
	v_add_f64 v[139:140], v[139:140], v[169:170]
	v_add_f64 v[137:138], v[137:138], v[147:148]
	s_clause 0x4
	buffer_load_dword v148, off, s[0:3], 0 offset:988
	buffer_load_dword v169, off, s[0:3], 0 offset:1000
	;; [unrolled: 1-line block ×5, first 2 shown]
	ds_read_b128 v[0:3], v8 offset:1744
	s_waitcnt vmcnt(57) lgkmcnt(1)
	v_mul_f64 v[213:214], v[4:5], v[159:160]
	v_mul_f64 v[159:160], v[6:7], v[159:160]
	s_waitcnt vmcnt(56)
	v_fma_f64 v[175:176], v[133:134], v[193:194], -v[175:176]
	v_add_f64 v[139:140], v[139:140], v[153:154]
	v_fma_f64 v[153:154], v[135:136], v[193:194], v[181:182]
	v_add_f64 v[137:138], v[137:138], v[163:164]
	s_clause 0x2
	buffer_load_dword v170, off, s[0:3], 0 offset:1004
	buffer_load_dword v164, off, s[0:3], 0 offset:980
	;; [unrolled: 1-line block ×3, first 2 shown]
	ds_read_b128 v[133:136], v8 offset:1760
	buffer_load_dword v200, off, s[0:3], 0 offset:996
	s_waitcnt vmcnt(59) lgkmcnt(1)
	v_mul_f64 v[181:182], v[0:1], v[183:184]
	v_mul_f64 v[183:184], v[2:3], v[183:184]
	s_waitcnt vmcnt(57)
	v_fma_f64 v[159:160], v[4:5], v[171:172], -v[159:160]
	v_fma_f64 v[171:172], v[6:7], v[171:172], v[213:214]
	ds_read_b128 v[4:7], v8 offset:1776
	v_add_f64 v[139:140], v[139:140], v[175:176]
	v_add_f64 v[137:138], v[137:138], v[153:154]
	s_waitcnt vmcnt(53) lgkmcnt(1)
	v_mul_f64 v[153:154], v[133:134], v[167:168]
	v_mul_f64 v[167:168], v[135:136], v[167:168]
	s_waitcnt vmcnt(52)
	v_fma_f64 v[175:176], v[0:1], v[189:190], -v[183:184]
	v_add_f64 v[139:140], v[139:140], v[159:160]
	v_fma_f64 v[159:160], v[2:3], v[189:190], v[181:182]
	v_add_f64 v[137:138], v[137:138], v[171:172]
	ds_read_b128 v[0:3], v8 offset:1792
	s_waitcnt vmcnt(51) lgkmcnt(1)
	v_mul_f64 v[181:182], v[6:7], v[185:186]
	v_mul_f64 v[171:172], v[4:5], v[185:186]
	s_waitcnt vmcnt(49)
	v_fma_f64 v[167:168], v[133:134], v[141:142], -v[167:168]
	v_fma_f64 v[141:142], v[135:136], v[141:142], v[153:154]
	v_add_f64 v[139:140], v[139:140], v[175:176]
	v_add_f64 v[137:138], v[137:138], v[159:160]
	s_clause 0x3
	buffer_load_dword v153, off, s[0:3], 0 offset:16
	buffer_load_dword v154, off, s[0:3], 0 offset:20
	;; [unrolled: 1-line block ×4, first 2 shown]
	ds_read_b128 v[133:136], v8 offset:1808
	s_waitcnt vmcnt(49) lgkmcnt(1)
	v_mul_f64 v[175:176], v[0:1], v[173:174]
	v_mul_f64 v[173:174], v[2:3], v[173:174]
	s_waitcnt vmcnt(48)
	v_fma_f64 v[181:182], v[4:5], v[191:192], -v[181:182]
	v_add_f64 v[139:140], v[139:140], v[167:168]
	v_fma_f64 v[167:168], v[6:7], v[191:192], v[171:172]
	v_add_f64 v[137:138], v[137:138], v[141:142]
	ds_read_b128 v[4:7], v8 offset:1824
	s_waitcnt vmcnt(47) lgkmcnt(1)
	v_mul_f64 v[171:172], v[135:136], v[187:188]
	v_mul_f64 v[141:142], v[133:134], v[187:188]
	s_waitcnt vmcnt(45)
	v_fma_f64 v[173:174], v[0:1], v[179:180], -v[173:174]
	v_fma_f64 v[175:176], v[2:3], v[179:180], v[175:176]
	ds_read_b128 v[0:3], v8 offset:1840
	v_add_f64 v[139:140], v[139:140], v[181:182]
	v_add_f64 v[137:138], v[137:138], v[167:168]
	s_waitcnt vmcnt(41) lgkmcnt(1)
	v_mul_f64 v[167:168], v[4:5], v[177:178]
	v_mul_f64 v[177:178], v[6:7], v[177:178]
	s_waitcnt vmcnt(40)
	v_fma_f64 v[171:172], v[133:134], v[201:202], -v[171:172]
	v_fma_f64 v[141:142], v[135:136], v[201:202], v[141:142]
	ds_read_b128 v[133:136], v8 offset:1856
	v_add_f64 v[139:140], v[139:140], v[173:174]
	v_add_f64 v[137:138], v[137:138], v[175:176]
	;; [unrolled: 9-line block ×5, first 2 shown]
	s_waitcnt vmcnt(25) lgkmcnt(1)
	v_mul_f64 v[149:150], v[0:1], v[157:158]
	v_mul_f64 v[157:158], v[2:3], v[157:158]
	s_waitcnt vmcnt(24)
	v_fma_f64 v[167:168], v[4:5], v[209:210], -v[173:174]
	v_add_f64 v[139:140], v[139:140], v[145:146]
	v_fma_f64 v[145:146], v[6:7], v[209:210], v[151:152]
	v_add_f64 v[137:138], v[137:138], v[141:142]
	ds_read_b128 v[4:7], v8 offset:1920
	s_waitcnt vmcnt(23) lgkmcnt(1)
	v_mul_f64 v[151:152], v[135:136], v[197:198]
	v_mul_f64 v[141:142], v[133:134], v[197:198]
	s_waitcnt vmcnt(21)
	v_fma_f64 v[157:158], v[0:1], v[155:156], -v[157:158]
	v_fma_f64 v[149:150], v[2:3], v[155:156], v[149:150]
	ds_read_b128 v[0:3], v8 offset:1936
	v_add_f64 v[139:140], v[139:140], v[167:168]
	v_add_f64 v[137:138], v[137:138], v[145:146]
	s_waitcnt vmcnt(17) lgkmcnt(1)
	v_mul_f64 v[145:146], v[4:5], v[143:144]
	v_mul_f64 v[143:144], v[6:7], v[143:144]
	s_waitcnt vmcnt(16)
	v_fma_f64 v[151:152], v[133:134], v[211:212], -v[151:152]
	v_fma_f64 v[141:142], v[135:136], v[211:212], v[141:142]
	ds_read_b128 v[133:136], v8 offset:1952
	v_add_f64 v[139:140], v[139:140], v[157:158]
	v_add_f64 v[137:138], v[137:138], v[149:150]
	;; [unrolled: 9-line block ×3, first 2 shown]
	s_waitcnt vmcnt(9) lgkmcnt(1)
	v_mul_f64 v[141:142], v[133:134], v[147:148]
	v_mul_f64 v[147:148], v[135:136], v[147:148]
	s_waitcnt vmcnt(8)
	v_fma_f64 v[0:1], v[0:1], v[207:208], -v[155:156]
	v_fma_f64 v[2:3], v[2:3], v[207:208], v[149:150]
	v_add_f64 v[139:140], v[139:140], v[143:144]
	v_add_f64 v[137:138], v[137:138], v[145:146]
	s_waitcnt vmcnt(7) lgkmcnt(0)
	v_mul_f64 v[145:146], v[6:7], v[169:170]
	v_mul_f64 v[143:144], v[4:5], v[169:170]
	s_waitcnt vmcnt(5)
	v_fma_f64 v[133:134], v[133:134], v[163:164], -v[147:148]
	v_fma_f64 v[135:136], v[135:136], v[163:164], v[141:142]
	v_add_f64 v[0:1], v[139:140], v[0:1]
	v_add_f64 v[2:3], v[137:138], v[2:3]
	s_waitcnt vmcnt(4)
	v_fma_f64 v[4:5], v[4:5], v[199:200], -v[145:146]
	v_fma_f64 v[6:7], v[6:7], v[199:200], v[143:144]
	v_add_f64 v[0:1], v[0:1], v[133:134]
	v_add_f64 v[2:3], v[2:3], v[135:136]
	;; [unrolled: 1-line block ×4, first 2 shown]
	s_waitcnt vmcnt(2)
	v_add_f64 v[0:1], v[153:154], -v[0:1]
	s_waitcnt vmcnt(0)
	v_add_f64 v[2:3], v[159:160], -v[2:3]
	buffer_store_dword v1, off, s[0:3], 0 offset:20
	buffer_store_dword v0, off, s[0:3], 0 offset:16
	;; [unrolled: 1-line block ×4, first 2 shown]
	s_cbranch_vccz .LBB125_520
; %bb.398:
	global_load_dword v0, v8, s[12:13] offset:240
	s_waitcnt vmcnt(0)
	v_add_nc_u32_e32 v0, -1, v0
	v_cmp_ne_u32_e32 vcc_lo, 60, v0
	s_cbranch_vccz .LBB125_400
; %bb.399:
	v_lshlrev_b32_e32 v0, 4, v0
	v_mov_b32_e32 v1, s15
	v_add_nc_u32_e32 v0, 16, v0
	s_clause 0x7
	buffer_load_dword v2, v0, s[0:3], 0 offen
	buffer_load_dword v3, v0, s[0:3], 0 offen offset:4
	buffer_load_dword v4, v0, s[0:3], 0 offen offset:8
	buffer_load_dword v5, v0, s[0:3], 0 offen offset:12
	buffer_load_dword v6, v1, s[0:3], 0 offen offset:12
	buffer_load_dword v7, v1, s[0:3], 0 offen offset:8
	buffer_load_dword v8, v1, s[0:3], 0 offen offset:4
	buffer_load_dword v133, v1, s[0:3], 0 offen
	s_waitcnt vmcnt(7)
	buffer_store_dword v2, v1, s[0:3], 0 offen
	s_waitcnt vmcnt(6)
	buffer_store_dword v3, v1, s[0:3], 0 offen offset:4
	s_waitcnt vmcnt(5)
	buffer_store_dword v4, v1, s[0:3], 0 offen offset:8
	;; [unrolled: 2-line block ×6, first 2 shown]
	s_waitcnt vmcnt(0)
	buffer_store_dword v133, v0, s[0:3], 0 offen
.LBB125_400:
	v_mov_b32_e32 v0, 0
	global_load_dword v1, v0, s[12:13] offset:236
	s_waitcnt vmcnt(0)
	v_add_nc_u32_e32 v1, -1, v1
	v_cmp_eq_u32_e32 vcc_lo, 59, v1
	s_cbranch_vccnz .LBB125_402
; %bb.401:
	v_lshlrev_b32_e32 v1, 4, v1
	v_mov_b32_e32 v2, s16
	v_add_nc_u32_e32 v1, 16, v1
	s_clause 0x7
	buffer_load_dword v3, v1, s[0:3], 0 offen
	buffer_load_dword v4, v1, s[0:3], 0 offen offset:4
	buffer_load_dword v5, v1, s[0:3], 0 offen offset:8
	;; [unrolled: 1-line block ×6, first 2 shown]
	buffer_load_dword v134, v2, s[0:3], 0 offen
	s_waitcnt vmcnt(7)
	buffer_store_dword v3, v2, s[0:3], 0 offen
	s_waitcnt vmcnt(6)
	buffer_store_dword v4, v2, s[0:3], 0 offen offset:4
	s_waitcnt vmcnt(5)
	buffer_store_dword v5, v2, s[0:3], 0 offen offset:8
	;; [unrolled: 2-line block ×6, first 2 shown]
	s_waitcnt vmcnt(0)
	buffer_store_dword v134, v1, s[0:3], 0 offen
.LBB125_402:
	global_load_dword v0, v0, s[12:13] offset:232
	s_waitcnt vmcnt(0)
	v_add_nc_u32_e32 v0, -1, v0
	v_cmp_eq_u32_e32 vcc_lo, 58, v0
	s_cbranch_vccnz .LBB125_404
; %bb.403:
	v_lshlrev_b32_e32 v0, 4, v0
	v_mov_b32_e32 v1, s17
	v_add_nc_u32_e32 v0, 16, v0
	s_clause 0x7
	buffer_load_dword v2, v0, s[0:3], 0 offen
	buffer_load_dword v3, v0, s[0:3], 0 offen offset:4
	buffer_load_dword v4, v0, s[0:3], 0 offen offset:8
	;; [unrolled: 1-line block ×6, first 2 shown]
	buffer_load_dword v133, v1, s[0:3], 0 offen
	s_waitcnt vmcnt(7)
	buffer_store_dword v2, v1, s[0:3], 0 offen
	s_waitcnt vmcnt(6)
	buffer_store_dword v3, v1, s[0:3], 0 offen offset:4
	s_waitcnt vmcnt(5)
	buffer_store_dword v4, v1, s[0:3], 0 offen offset:8
	;; [unrolled: 2-line block ×6, first 2 shown]
	s_waitcnt vmcnt(0)
	buffer_store_dword v133, v0, s[0:3], 0 offen
.LBB125_404:
	v_mov_b32_e32 v0, 0
	global_load_dword v1, v0, s[12:13] offset:228
	s_waitcnt vmcnt(0)
	v_add_nc_u32_e32 v1, -1, v1
	v_cmp_eq_u32_e32 vcc_lo, 57, v1
	s_cbranch_vccnz .LBB125_406
; %bb.405:
	v_lshlrev_b32_e32 v1, 4, v1
	v_mov_b32_e32 v2, s18
	v_add_nc_u32_e32 v1, 16, v1
	s_clause 0x7
	buffer_load_dword v3, v1, s[0:3], 0 offen
	buffer_load_dword v4, v1, s[0:3], 0 offen offset:4
	buffer_load_dword v5, v1, s[0:3], 0 offen offset:8
	;; [unrolled: 1-line block ×6, first 2 shown]
	buffer_load_dword v134, v2, s[0:3], 0 offen
	s_waitcnt vmcnt(7)
	buffer_store_dword v3, v2, s[0:3], 0 offen
	s_waitcnt vmcnt(6)
	buffer_store_dword v4, v2, s[0:3], 0 offen offset:4
	s_waitcnt vmcnt(5)
	buffer_store_dword v5, v2, s[0:3], 0 offen offset:8
	;; [unrolled: 2-line block ×6, first 2 shown]
	s_waitcnt vmcnt(0)
	buffer_store_dword v134, v1, s[0:3], 0 offen
.LBB125_406:
	global_load_dword v0, v0, s[12:13] offset:224
	s_waitcnt vmcnt(0)
	v_add_nc_u32_e32 v0, -1, v0
	v_cmp_eq_u32_e32 vcc_lo, 56, v0
	s_cbranch_vccnz .LBB125_408
; %bb.407:
	v_lshlrev_b32_e32 v0, 4, v0
	v_mov_b32_e32 v1, s19
	v_add_nc_u32_e32 v0, 16, v0
	s_clause 0x7
	buffer_load_dword v2, v0, s[0:3], 0 offen
	buffer_load_dword v3, v0, s[0:3], 0 offen offset:4
	buffer_load_dword v4, v0, s[0:3], 0 offen offset:8
	;; [unrolled: 1-line block ×6, first 2 shown]
	buffer_load_dword v133, v1, s[0:3], 0 offen
	s_waitcnt vmcnt(7)
	buffer_store_dword v2, v1, s[0:3], 0 offen
	s_waitcnt vmcnt(6)
	buffer_store_dword v3, v1, s[0:3], 0 offen offset:4
	s_waitcnt vmcnt(5)
	buffer_store_dword v4, v1, s[0:3], 0 offen offset:8
	s_waitcnt vmcnt(4)
	buffer_store_dword v5, v1, s[0:3], 0 offen offset:12
	s_waitcnt vmcnt(3)
	buffer_store_dword v6, v0, s[0:3], 0 offen offset:12
	s_waitcnt vmcnt(2)
	buffer_store_dword v7, v0, s[0:3], 0 offen offset:8
	s_waitcnt vmcnt(1)
	buffer_store_dword v8, v0, s[0:3], 0 offen offset:4
	s_waitcnt vmcnt(0)
	buffer_store_dword v133, v0, s[0:3], 0 offen
.LBB125_408:
	v_mov_b32_e32 v0, 0
	global_load_dword v1, v0, s[12:13] offset:220
	s_waitcnt vmcnt(0)
	v_add_nc_u32_e32 v1, -1, v1
	v_cmp_eq_u32_e32 vcc_lo, 55, v1
	s_cbranch_vccnz .LBB125_410
; %bb.409:
	v_lshlrev_b32_e32 v1, 4, v1
	v_mov_b32_e32 v2, s20
	v_add_nc_u32_e32 v1, 16, v1
	s_clause 0x7
	buffer_load_dword v3, v1, s[0:3], 0 offen
	buffer_load_dword v4, v1, s[0:3], 0 offen offset:4
	buffer_load_dword v5, v1, s[0:3], 0 offen offset:8
	;; [unrolled: 1-line block ×6, first 2 shown]
	buffer_load_dword v134, v2, s[0:3], 0 offen
	s_waitcnt vmcnt(7)
	buffer_store_dword v3, v2, s[0:3], 0 offen
	s_waitcnt vmcnt(6)
	buffer_store_dword v4, v2, s[0:3], 0 offen offset:4
	s_waitcnt vmcnt(5)
	buffer_store_dword v5, v2, s[0:3], 0 offen offset:8
	;; [unrolled: 2-line block ×6, first 2 shown]
	s_waitcnt vmcnt(0)
	buffer_store_dword v134, v1, s[0:3], 0 offen
.LBB125_410:
	global_load_dword v0, v0, s[12:13] offset:216
	s_waitcnt vmcnt(0)
	v_add_nc_u32_e32 v0, -1, v0
	v_cmp_eq_u32_e32 vcc_lo, 54, v0
	s_cbranch_vccnz .LBB125_412
; %bb.411:
	v_lshlrev_b32_e32 v0, 4, v0
	v_mov_b32_e32 v1, s21
	v_add_nc_u32_e32 v0, 16, v0
	s_clause 0x7
	buffer_load_dword v2, v0, s[0:3], 0 offen
	buffer_load_dword v3, v0, s[0:3], 0 offen offset:4
	buffer_load_dword v4, v0, s[0:3], 0 offen offset:8
	;; [unrolled: 1-line block ×6, first 2 shown]
	buffer_load_dword v133, v1, s[0:3], 0 offen
	s_waitcnt vmcnt(7)
	buffer_store_dword v2, v1, s[0:3], 0 offen
	s_waitcnt vmcnt(6)
	buffer_store_dword v3, v1, s[0:3], 0 offen offset:4
	s_waitcnt vmcnt(5)
	buffer_store_dword v4, v1, s[0:3], 0 offen offset:8
	;; [unrolled: 2-line block ×6, first 2 shown]
	s_waitcnt vmcnt(0)
	buffer_store_dword v133, v0, s[0:3], 0 offen
.LBB125_412:
	v_mov_b32_e32 v0, 0
	global_load_dword v1, v0, s[12:13] offset:212
	s_waitcnt vmcnt(0)
	v_add_nc_u32_e32 v1, -1, v1
	v_cmp_eq_u32_e32 vcc_lo, 53, v1
	s_cbranch_vccnz .LBB125_414
; %bb.413:
	v_lshlrev_b32_e32 v1, 4, v1
	v_mov_b32_e32 v2, s22
	v_add_nc_u32_e32 v1, 16, v1
	s_clause 0x7
	buffer_load_dword v3, v1, s[0:3], 0 offen
	buffer_load_dword v4, v1, s[0:3], 0 offen offset:4
	buffer_load_dword v5, v1, s[0:3], 0 offen offset:8
	;; [unrolled: 1-line block ×6, first 2 shown]
	buffer_load_dword v134, v2, s[0:3], 0 offen
	s_waitcnt vmcnt(7)
	buffer_store_dword v3, v2, s[0:3], 0 offen
	s_waitcnt vmcnt(6)
	buffer_store_dword v4, v2, s[0:3], 0 offen offset:4
	s_waitcnt vmcnt(5)
	buffer_store_dword v5, v2, s[0:3], 0 offen offset:8
	;; [unrolled: 2-line block ×6, first 2 shown]
	s_waitcnt vmcnt(0)
	buffer_store_dword v134, v1, s[0:3], 0 offen
.LBB125_414:
	global_load_dword v0, v0, s[12:13] offset:208
	s_waitcnt vmcnt(0)
	v_add_nc_u32_e32 v0, -1, v0
	v_cmp_eq_u32_e32 vcc_lo, 52, v0
	s_cbranch_vccnz .LBB125_416
; %bb.415:
	v_lshlrev_b32_e32 v0, 4, v0
	v_mov_b32_e32 v1, s23
	v_add_nc_u32_e32 v0, 16, v0
	s_clause 0x7
	buffer_load_dword v2, v0, s[0:3], 0 offen
	buffer_load_dword v3, v0, s[0:3], 0 offen offset:4
	buffer_load_dword v4, v0, s[0:3], 0 offen offset:8
	buffer_load_dword v5, v0, s[0:3], 0 offen offset:12
	buffer_load_dword v6, v1, s[0:3], 0 offen offset:12
	buffer_load_dword v7, v1, s[0:3], 0 offen offset:8
	buffer_load_dword v8, v1, s[0:3], 0 offen offset:4
	buffer_load_dword v133, v1, s[0:3], 0 offen
	s_waitcnt vmcnt(7)
	buffer_store_dword v2, v1, s[0:3], 0 offen
	s_waitcnt vmcnt(6)
	buffer_store_dword v3, v1, s[0:3], 0 offen offset:4
	s_waitcnt vmcnt(5)
	buffer_store_dword v4, v1, s[0:3], 0 offen offset:8
	;; [unrolled: 2-line block ×6, first 2 shown]
	s_waitcnt vmcnt(0)
	buffer_store_dword v133, v0, s[0:3], 0 offen
.LBB125_416:
	v_mov_b32_e32 v0, 0
	global_load_dword v1, v0, s[12:13] offset:204
	s_waitcnt vmcnt(0)
	v_add_nc_u32_e32 v1, -1, v1
	v_cmp_eq_u32_e32 vcc_lo, 51, v1
	s_cbranch_vccnz .LBB125_418
; %bb.417:
	v_lshlrev_b32_e32 v1, 4, v1
	v_mov_b32_e32 v2, s24
	v_add_nc_u32_e32 v1, 16, v1
	s_clause 0x7
	buffer_load_dword v3, v1, s[0:3], 0 offen
	buffer_load_dword v4, v1, s[0:3], 0 offen offset:4
	buffer_load_dword v5, v1, s[0:3], 0 offen offset:8
	buffer_load_dword v6, v1, s[0:3], 0 offen offset:12
	buffer_load_dword v7, v2, s[0:3], 0 offen offset:12
	buffer_load_dword v8, v2, s[0:3], 0 offen offset:8
	buffer_load_dword v133, v2, s[0:3], 0 offen offset:4
	buffer_load_dword v134, v2, s[0:3], 0 offen
	s_waitcnt vmcnt(7)
	buffer_store_dword v3, v2, s[0:3], 0 offen
	s_waitcnt vmcnt(6)
	buffer_store_dword v4, v2, s[0:3], 0 offen offset:4
	s_waitcnt vmcnt(5)
	buffer_store_dword v5, v2, s[0:3], 0 offen offset:8
	;; [unrolled: 2-line block ×6, first 2 shown]
	s_waitcnt vmcnt(0)
	buffer_store_dword v134, v1, s[0:3], 0 offen
.LBB125_418:
	global_load_dword v0, v0, s[12:13] offset:200
	s_waitcnt vmcnt(0)
	v_add_nc_u32_e32 v0, -1, v0
	v_cmp_eq_u32_e32 vcc_lo, 50, v0
	s_cbranch_vccnz .LBB125_420
; %bb.419:
	v_lshlrev_b32_e32 v0, 4, v0
	v_mov_b32_e32 v1, s25
	v_add_nc_u32_e32 v0, 16, v0
	s_clause 0x7
	buffer_load_dword v2, v0, s[0:3], 0 offen
	buffer_load_dword v3, v0, s[0:3], 0 offen offset:4
	buffer_load_dword v4, v0, s[0:3], 0 offen offset:8
	;; [unrolled: 1-line block ×6, first 2 shown]
	buffer_load_dword v133, v1, s[0:3], 0 offen
	s_waitcnt vmcnt(7)
	buffer_store_dword v2, v1, s[0:3], 0 offen
	s_waitcnt vmcnt(6)
	buffer_store_dword v3, v1, s[0:3], 0 offen offset:4
	s_waitcnt vmcnt(5)
	buffer_store_dword v4, v1, s[0:3], 0 offen offset:8
	;; [unrolled: 2-line block ×6, first 2 shown]
	s_waitcnt vmcnt(0)
	buffer_store_dword v133, v0, s[0:3], 0 offen
.LBB125_420:
	v_mov_b32_e32 v0, 0
	global_load_dword v1, v0, s[12:13] offset:196
	s_waitcnt vmcnt(0)
	v_add_nc_u32_e32 v1, -1, v1
	v_cmp_eq_u32_e32 vcc_lo, 49, v1
	s_cbranch_vccnz .LBB125_422
; %bb.421:
	v_lshlrev_b32_e32 v1, 4, v1
	v_mov_b32_e32 v2, s26
	v_add_nc_u32_e32 v1, 16, v1
	s_clause 0x7
	buffer_load_dword v3, v1, s[0:3], 0 offen
	buffer_load_dword v4, v1, s[0:3], 0 offen offset:4
	buffer_load_dword v5, v1, s[0:3], 0 offen offset:8
	;; [unrolled: 1-line block ×6, first 2 shown]
	buffer_load_dword v134, v2, s[0:3], 0 offen
	s_waitcnt vmcnt(7)
	buffer_store_dword v3, v2, s[0:3], 0 offen
	s_waitcnt vmcnt(6)
	buffer_store_dword v4, v2, s[0:3], 0 offen offset:4
	s_waitcnt vmcnt(5)
	buffer_store_dword v5, v2, s[0:3], 0 offen offset:8
	;; [unrolled: 2-line block ×6, first 2 shown]
	s_waitcnt vmcnt(0)
	buffer_store_dword v134, v1, s[0:3], 0 offen
.LBB125_422:
	global_load_dword v0, v0, s[12:13] offset:192
	s_waitcnt vmcnt(0)
	v_add_nc_u32_e32 v0, -1, v0
	v_cmp_eq_u32_e32 vcc_lo, 48, v0
	s_cbranch_vccnz .LBB125_424
; %bb.423:
	v_lshlrev_b32_e32 v0, 4, v0
	v_mov_b32_e32 v1, s27
	v_add_nc_u32_e32 v0, 16, v0
	s_clause 0x7
	buffer_load_dword v2, v0, s[0:3], 0 offen
	buffer_load_dword v3, v0, s[0:3], 0 offen offset:4
	buffer_load_dword v4, v0, s[0:3], 0 offen offset:8
	;; [unrolled: 1-line block ×6, first 2 shown]
	buffer_load_dword v133, v1, s[0:3], 0 offen
	s_waitcnt vmcnt(7)
	buffer_store_dword v2, v1, s[0:3], 0 offen
	s_waitcnt vmcnt(6)
	buffer_store_dword v3, v1, s[0:3], 0 offen offset:4
	s_waitcnt vmcnt(5)
	buffer_store_dword v4, v1, s[0:3], 0 offen offset:8
	;; [unrolled: 2-line block ×6, first 2 shown]
	s_waitcnt vmcnt(0)
	buffer_store_dword v133, v0, s[0:3], 0 offen
.LBB125_424:
	v_mov_b32_e32 v0, 0
	global_load_dword v1, v0, s[12:13] offset:188
	s_waitcnt vmcnt(0)
	v_add_nc_u32_e32 v1, -1, v1
	v_cmp_eq_u32_e32 vcc_lo, 47, v1
	s_cbranch_vccnz .LBB125_426
; %bb.425:
	v_lshlrev_b32_e32 v1, 4, v1
	v_mov_b32_e32 v2, s28
	v_add_nc_u32_e32 v1, 16, v1
	s_clause 0x7
	buffer_load_dword v3, v1, s[0:3], 0 offen
	buffer_load_dword v4, v1, s[0:3], 0 offen offset:4
	buffer_load_dword v5, v1, s[0:3], 0 offen offset:8
	;; [unrolled: 1-line block ×6, first 2 shown]
	buffer_load_dword v134, v2, s[0:3], 0 offen
	s_waitcnt vmcnt(7)
	buffer_store_dword v3, v2, s[0:3], 0 offen
	s_waitcnt vmcnt(6)
	buffer_store_dword v4, v2, s[0:3], 0 offen offset:4
	s_waitcnt vmcnt(5)
	buffer_store_dword v5, v2, s[0:3], 0 offen offset:8
	;; [unrolled: 2-line block ×6, first 2 shown]
	s_waitcnt vmcnt(0)
	buffer_store_dword v134, v1, s[0:3], 0 offen
.LBB125_426:
	global_load_dword v0, v0, s[12:13] offset:184
	s_waitcnt vmcnt(0)
	v_add_nc_u32_e32 v0, -1, v0
	v_cmp_eq_u32_e32 vcc_lo, 46, v0
	s_cbranch_vccnz .LBB125_428
; %bb.427:
	v_lshlrev_b32_e32 v0, 4, v0
	v_mov_b32_e32 v1, s29
	v_add_nc_u32_e32 v0, 16, v0
	s_clause 0x7
	buffer_load_dword v2, v0, s[0:3], 0 offen
	buffer_load_dword v3, v0, s[0:3], 0 offen offset:4
	buffer_load_dword v4, v0, s[0:3], 0 offen offset:8
	;; [unrolled: 1-line block ×6, first 2 shown]
	buffer_load_dword v133, v1, s[0:3], 0 offen
	s_waitcnt vmcnt(7)
	buffer_store_dword v2, v1, s[0:3], 0 offen
	s_waitcnt vmcnt(6)
	buffer_store_dword v3, v1, s[0:3], 0 offen offset:4
	s_waitcnt vmcnt(5)
	buffer_store_dword v4, v1, s[0:3], 0 offen offset:8
	;; [unrolled: 2-line block ×6, first 2 shown]
	s_waitcnt vmcnt(0)
	buffer_store_dword v133, v0, s[0:3], 0 offen
.LBB125_428:
	v_mov_b32_e32 v0, 0
	global_load_dword v1, v0, s[12:13] offset:180
	s_waitcnt vmcnt(0)
	v_add_nc_u32_e32 v1, -1, v1
	v_cmp_eq_u32_e32 vcc_lo, 45, v1
	s_cbranch_vccnz .LBB125_430
; %bb.429:
	v_lshlrev_b32_e32 v1, 4, v1
	v_mov_b32_e32 v2, s30
	v_add_nc_u32_e32 v1, 16, v1
	s_clause 0x7
	buffer_load_dword v3, v1, s[0:3], 0 offen
	buffer_load_dword v4, v1, s[0:3], 0 offen offset:4
	buffer_load_dword v5, v1, s[0:3], 0 offen offset:8
	;; [unrolled: 1-line block ×6, first 2 shown]
	buffer_load_dword v134, v2, s[0:3], 0 offen
	s_waitcnt vmcnt(7)
	buffer_store_dword v3, v2, s[0:3], 0 offen
	s_waitcnt vmcnt(6)
	buffer_store_dword v4, v2, s[0:3], 0 offen offset:4
	s_waitcnt vmcnt(5)
	buffer_store_dword v5, v2, s[0:3], 0 offen offset:8
	;; [unrolled: 2-line block ×6, first 2 shown]
	s_waitcnt vmcnt(0)
	buffer_store_dword v134, v1, s[0:3], 0 offen
.LBB125_430:
	global_load_dword v0, v0, s[12:13] offset:176
	s_waitcnt vmcnt(0)
	v_add_nc_u32_e32 v0, -1, v0
	v_cmp_eq_u32_e32 vcc_lo, 44, v0
	s_cbranch_vccnz .LBB125_432
; %bb.431:
	v_lshlrev_b32_e32 v0, 4, v0
	v_mov_b32_e32 v1, s31
	v_add_nc_u32_e32 v0, 16, v0
	s_clause 0x7
	buffer_load_dword v2, v0, s[0:3], 0 offen
	buffer_load_dword v3, v0, s[0:3], 0 offen offset:4
	buffer_load_dword v4, v0, s[0:3], 0 offen offset:8
	;; [unrolled: 1-line block ×6, first 2 shown]
	buffer_load_dword v133, v1, s[0:3], 0 offen
	s_waitcnt vmcnt(7)
	buffer_store_dword v2, v1, s[0:3], 0 offen
	s_waitcnt vmcnt(6)
	buffer_store_dword v3, v1, s[0:3], 0 offen offset:4
	s_waitcnt vmcnt(5)
	buffer_store_dword v4, v1, s[0:3], 0 offen offset:8
	;; [unrolled: 2-line block ×6, first 2 shown]
	s_waitcnt vmcnt(0)
	buffer_store_dword v133, v0, s[0:3], 0 offen
.LBB125_432:
	v_mov_b32_e32 v0, 0
	global_load_dword v1, v0, s[12:13] offset:172
	s_waitcnt vmcnt(0)
	v_add_nc_u32_e32 v1, -1, v1
	v_cmp_eq_u32_e32 vcc_lo, 43, v1
	s_cbranch_vccnz .LBB125_434
; %bb.433:
	v_lshlrev_b32_e32 v1, 4, v1
	v_mov_b32_e32 v2, s33
	v_add_nc_u32_e32 v1, 16, v1
	s_clause 0x7
	buffer_load_dword v3, v1, s[0:3], 0 offen
	buffer_load_dword v4, v1, s[0:3], 0 offen offset:4
	buffer_load_dword v5, v1, s[0:3], 0 offen offset:8
	;; [unrolled: 1-line block ×6, first 2 shown]
	buffer_load_dword v134, v2, s[0:3], 0 offen
	s_waitcnt vmcnt(7)
	buffer_store_dword v3, v2, s[0:3], 0 offen
	s_waitcnt vmcnt(6)
	buffer_store_dword v4, v2, s[0:3], 0 offen offset:4
	s_waitcnt vmcnt(5)
	buffer_store_dword v5, v2, s[0:3], 0 offen offset:8
	;; [unrolled: 2-line block ×6, first 2 shown]
	s_waitcnt vmcnt(0)
	buffer_store_dword v134, v1, s[0:3], 0 offen
.LBB125_434:
	global_load_dword v0, v0, s[12:13] offset:168
	s_waitcnt vmcnt(0)
	v_add_nc_u32_e32 v0, -1, v0
	v_cmp_eq_u32_e32 vcc_lo, 42, v0
	s_cbranch_vccnz .LBB125_436
; %bb.435:
	v_lshlrev_b32_e32 v0, 4, v0
	v_mov_b32_e32 v1, s34
	v_add_nc_u32_e32 v0, 16, v0
	s_clause 0x7
	buffer_load_dword v2, v0, s[0:3], 0 offen
	buffer_load_dword v3, v0, s[0:3], 0 offen offset:4
	buffer_load_dword v4, v0, s[0:3], 0 offen offset:8
	;; [unrolled: 1-line block ×6, first 2 shown]
	buffer_load_dword v133, v1, s[0:3], 0 offen
	s_waitcnt vmcnt(7)
	buffer_store_dword v2, v1, s[0:3], 0 offen
	s_waitcnt vmcnt(6)
	buffer_store_dword v3, v1, s[0:3], 0 offen offset:4
	s_waitcnt vmcnt(5)
	buffer_store_dword v4, v1, s[0:3], 0 offen offset:8
	;; [unrolled: 2-line block ×6, first 2 shown]
	s_waitcnt vmcnt(0)
	buffer_store_dword v133, v0, s[0:3], 0 offen
.LBB125_436:
	v_mov_b32_e32 v0, 0
	global_load_dword v1, v0, s[12:13] offset:164
	s_waitcnt vmcnt(0)
	v_add_nc_u32_e32 v1, -1, v1
	v_cmp_eq_u32_e32 vcc_lo, 41, v1
	s_cbranch_vccnz .LBB125_438
; %bb.437:
	v_lshlrev_b32_e32 v1, 4, v1
	v_mov_b32_e32 v2, s35
	v_add_nc_u32_e32 v1, 16, v1
	s_clause 0x7
	buffer_load_dword v3, v1, s[0:3], 0 offen
	buffer_load_dword v4, v1, s[0:3], 0 offen offset:4
	buffer_load_dword v5, v1, s[0:3], 0 offen offset:8
	;; [unrolled: 1-line block ×6, first 2 shown]
	buffer_load_dword v134, v2, s[0:3], 0 offen
	s_waitcnt vmcnt(7)
	buffer_store_dword v3, v2, s[0:3], 0 offen
	s_waitcnt vmcnt(6)
	buffer_store_dword v4, v2, s[0:3], 0 offen offset:4
	s_waitcnt vmcnt(5)
	buffer_store_dword v5, v2, s[0:3], 0 offen offset:8
	;; [unrolled: 2-line block ×6, first 2 shown]
	s_waitcnt vmcnt(0)
	buffer_store_dword v134, v1, s[0:3], 0 offen
.LBB125_438:
	global_load_dword v0, v0, s[12:13] offset:160
	s_waitcnt vmcnt(0)
	v_add_nc_u32_e32 v0, -1, v0
	v_cmp_eq_u32_e32 vcc_lo, 40, v0
	s_cbranch_vccnz .LBB125_440
; %bb.439:
	v_lshlrev_b32_e32 v0, 4, v0
	v_mov_b32_e32 v1, s36
	v_add_nc_u32_e32 v0, 16, v0
	s_clause 0x7
	buffer_load_dword v2, v0, s[0:3], 0 offen
	buffer_load_dword v3, v0, s[0:3], 0 offen offset:4
	buffer_load_dword v4, v0, s[0:3], 0 offen offset:8
	;; [unrolled: 1-line block ×6, first 2 shown]
	buffer_load_dword v133, v1, s[0:3], 0 offen
	s_waitcnt vmcnt(7)
	buffer_store_dword v2, v1, s[0:3], 0 offen
	s_waitcnt vmcnt(6)
	buffer_store_dword v3, v1, s[0:3], 0 offen offset:4
	s_waitcnt vmcnt(5)
	buffer_store_dword v4, v1, s[0:3], 0 offen offset:8
	;; [unrolled: 2-line block ×6, first 2 shown]
	s_waitcnt vmcnt(0)
	buffer_store_dword v133, v0, s[0:3], 0 offen
.LBB125_440:
	v_mov_b32_e32 v0, 0
	global_load_dword v1, v0, s[12:13] offset:156
	s_waitcnt vmcnt(0)
	v_add_nc_u32_e32 v1, -1, v1
	v_cmp_eq_u32_e32 vcc_lo, 39, v1
	s_cbranch_vccnz .LBB125_442
; %bb.441:
	v_lshlrev_b32_e32 v1, 4, v1
	v_mov_b32_e32 v2, s37
	v_add_nc_u32_e32 v1, 16, v1
	s_clause 0x7
	buffer_load_dword v3, v1, s[0:3], 0 offen
	buffer_load_dword v4, v1, s[0:3], 0 offen offset:4
	buffer_load_dword v5, v1, s[0:3], 0 offen offset:8
	;; [unrolled: 1-line block ×6, first 2 shown]
	buffer_load_dword v134, v2, s[0:3], 0 offen
	s_waitcnt vmcnt(7)
	buffer_store_dword v3, v2, s[0:3], 0 offen
	s_waitcnt vmcnt(6)
	buffer_store_dword v4, v2, s[0:3], 0 offen offset:4
	s_waitcnt vmcnt(5)
	buffer_store_dword v5, v2, s[0:3], 0 offen offset:8
	;; [unrolled: 2-line block ×6, first 2 shown]
	s_waitcnt vmcnt(0)
	buffer_store_dword v134, v1, s[0:3], 0 offen
.LBB125_442:
	global_load_dword v0, v0, s[12:13] offset:152
	s_waitcnt vmcnt(0)
	v_add_nc_u32_e32 v0, -1, v0
	v_cmp_eq_u32_e32 vcc_lo, 38, v0
	s_cbranch_vccnz .LBB125_444
; %bb.443:
	v_lshlrev_b32_e32 v0, 4, v0
	v_mov_b32_e32 v1, s38
	v_add_nc_u32_e32 v0, 16, v0
	s_clause 0x7
	buffer_load_dword v2, v0, s[0:3], 0 offen
	buffer_load_dword v3, v0, s[0:3], 0 offen offset:4
	buffer_load_dword v4, v0, s[0:3], 0 offen offset:8
	;; [unrolled: 1-line block ×6, first 2 shown]
	buffer_load_dword v133, v1, s[0:3], 0 offen
	s_waitcnt vmcnt(7)
	buffer_store_dword v2, v1, s[0:3], 0 offen
	s_waitcnt vmcnt(6)
	buffer_store_dword v3, v1, s[0:3], 0 offen offset:4
	s_waitcnt vmcnt(5)
	buffer_store_dword v4, v1, s[0:3], 0 offen offset:8
	;; [unrolled: 2-line block ×6, first 2 shown]
	s_waitcnt vmcnt(0)
	buffer_store_dword v133, v0, s[0:3], 0 offen
.LBB125_444:
	v_mov_b32_e32 v0, 0
	global_load_dword v1, v0, s[12:13] offset:148
	s_waitcnt vmcnt(0)
	v_add_nc_u32_e32 v1, -1, v1
	v_cmp_eq_u32_e32 vcc_lo, 37, v1
	s_cbranch_vccnz .LBB125_446
; %bb.445:
	v_lshlrev_b32_e32 v1, 4, v1
	v_mov_b32_e32 v2, s39
	v_add_nc_u32_e32 v1, 16, v1
	s_clause 0x7
	buffer_load_dword v3, v1, s[0:3], 0 offen
	buffer_load_dword v4, v1, s[0:3], 0 offen offset:4
	buffer_load_dword v5, v1, s[0:3], 0 offen offset:8
	;; [unrolled: 1-line block ×6, first 2 shown]
	buffer_load_dword v134, v2, s[0:3], 0 offen
	s_waitcnt vmcnt(7)
	buffer_store_dword v3, v2, s[0:3], 0 offen
	s_waitcnt vmcnt(6)
	buffer_store_dword v4, v2, s[0:3], 0 offen offset:4
	s_waitcnt vmcnt(5)
	buffer_store_dword v5, v2, s[0:3], 0 offen offset:8
	;; [unrolled: 2-line block ×6, first 2 shown]
	s_waitcnt vmcnt(0)
	buffer_store_dword v134, v1, s[0:3], 0 offen
.LBB125_446:
	global_load_dword v0, v0, s[12:13] offset:144
	s_waitcnt vmcnt(0)
	v_add_nc_u32_e32 v0, -1, v0
	v_cmp_eq_u32_e32 vcc_lo, 36, v0
	s_cbranch_vccnz .LBB125_448
; %bb.447:
	v_lshlrev_b32_e32 v0, 4, v0
	v_mov_b32_e32 v1, s40
	v_add_nc_u32_e32 v0, 16, v0
	s_clause 0x7
	buffer_load_dword v2, v0, s[0:3], 0 offen
	buffer_load_dword v3, v0, s[0:3], 0 offen offset:4
	buffer_load_dword v4, v0, s[0:3], 0 offen offset:8
	;; [unrolled: 1-line block ×6, first 2 shown]
	buffer_load_dword v133, v1, s[0:3], 0 offen
	s_waitcnt vmcnt(7)
	buffer_store_dword v2, v1, s[0:3], 0 offen
	s_waitcnt vmcnt(6)
	buffer_store_dword v3, v1, s[0:3], 0 offen offset:4
	s_waitcnt vmcnt(5)
	buffer_store_dword v4, v1, s[0:3], 0 offen offset:8
	;; [unrolled: 2-line block ×6, first 2 shown]
	s_waitcnt vmcnt(0)
	buffer_store_dword v133, v0, s[0:3], 0 offen
.LBB125_448:
	v_mov_b32_e32 v0, 0
	global_load_dword v1, v0, s[12:13] offset:140
	s_waitcnt vmcnt(0)
	v_add_nc_u32_e32 v1, -1, v1
	v_cmp_eq_u32_e32 vcc_lo, 35, v1
	s_cbranch_vccnz .LBB125_450
; %bb.449:
	v_lshlrev_b32_e32 v1, 4, v1
	v_mov_b32_e32 v2, s41
	v_add_nc_u32_e32 v1, 16, v1
	s_clause 0x7
	buffer_load_dword v3, v1, s[0:3], 0 offen
	buffer_load_dword v4, v1, s[0:3], 0 offen offset:4
	buffer_load_dword v5, v1, s[0:3], 0 offen offset:8
	;; [unrolled: 1-line block ×6, first 2 shown]
	buffer_load_dword v134, v2, s[0:3], 0 offen
	s_waitcnt vmcnt(7)
	buffer_store_dword v3, v2, s[0:3], 0 offen
	s_waitcnt vmcnt(6)
	buffer_store_dword v4, v2, s[0:3], 0 offen offset:4
	s_waitcnt vmcnt(5)
	buffer_store_dword v5, v2, s[0:3], 0 offen offset:8
	;; [unrolled: 2-line block ×6, first 2 shown]
	s_waitcnt vmcnt(0)
	buffer_store_dword v134, v1, s[0:3], 0 offen
.LBB125_450:
	global_load_dword v0, v0, s[12:13] offset:136
	s_waitcnt vmcnt(0)
	v_add_nc_u32_e32 v0, -1, v0
	v_cmp_eq_u32_e32 vcc_lo, 34, v0
	s_cbranch_vccnz .LBB125_452
; %bb.451:
	v_lshlrev_b32_e32 v0, 4, v0
	v_mov_b32_e32 v1, s42
	v_add_nc_u32_e32 v0, 16, v0
	s_clause 0x7
	buffer_load_dword v2, v0, s[0:3], 0 offen
	buffer_load_dword v3, v0, s[0:3], 0 offen offset:4
	buffer_load_dword v4, v0, s[0:3], 0 offen offset:8
	;; [unrolled: 1-line block ×6, first 2 shown]
	buffer_load_dword v133, v1, s[0:3], 0 offen
	s_waitcnt vmcnt(7)
	buffer_store_dword v2, v1, s[0:3], 0 offen
	s_waitcnt vmcnt(6)
	buffer_store_dword v3, v1, s[0:3], 0 offen offset:4
	s_waitcnt vmcnt(5)
	buffer_store_dword v4, v1, s[0:3], 0 offen offset:8
	;; [unrolled: 2-line block ×6, first 2 shown]
	s_waitcnt vmcnt(0)
	buffer_store_dword v133, v0, s[0:3], 0 offen
.LBB125_452:
	v_mov_b32_e32 v0, 0
	global_load_dword v1, v0, s[12:13] offset:132
	s_waitcnt vmcnt(0)
	v_add_nc_u32_e32 v1, -1, v1
	v_cmp_eq_u32_e32 vcc_lo, 33, v1
	s_cbranch_vccnz .LBB125_454
; %bb.453:
	v_lshlrev_b32_e32 v1, 4, v1
	v_mov_b32_e32 v2, s43
	v_add_nc_u32_e32 v1, 16, v1
	s_clause 0x7
	buffer_load_dword v3, v1, s[0:3], 0 offen
	buffer_load_dword v4, v1, s[0:3], 0 offen offset:4
	buffer_load_dword v5, v1, s[0:3], 0 offen offset:8
	;; [unrolled: 1-line block ×6, first 2 shown]
	buffer_load_dword v134, v2, s[0:3], 0 offen
	s_waitcnt vmcnt(7)
	buffer_store_dword v3, v2, s[0:3], 0 offen
	s_waitcnt vmcnt(6)
	buffer_store_dword v4, v2, s[0:3], 0 offen offset:4
	s_waitcnt vmcnt(5)
	buffer_store_dword v5, v2, s[0:3], 0 offen offset:8
	;; [unrolled: 2-line block ×6, first 2 shown]
	s_waitcnt vmcnt(0)
	buffer_store_dword v134, v1, s[0:3], 0 offen
.LBB125_454:
	global_load_dword v0, v0, s[12:13] offset:128
	s_waitcnt vmcnt(0)
	v_add_nc_u32_e32 v0, -1, v0
	v_cmp_eq_u32_e32 vcc_lo, 32, v0
	s_cbranch_vccnz .LBB125_456
; %bb.455:
	v_lshlrev_b32_e32 v0, 4, v0
	v_mov_b32_e32 v1, s44
	v_add_nc_u32_e32 v0, 16, v0
	s_clause 0x7
	buffer_load_dword v2, v0, s[0:3], 0 offen
	buffer_load_dword v3, v0, s[0:3], 0 offen offset:4
	buffer_load_dword v4, v0, s[0:3], 0 offen offset:8
	;; [unrolled: 1-line block ×6, first 2 shown]
	buffer_load_dword v133, v1, s[0:3], 0 offen
	s_waitcnt vmcnt(7)
	buffer_store_dword v2, v1, s[0:3], 0 offen
	s_waitcnt vmcnt(6)
	buffer_store_dword v3, v1, s[0:3], 0 offen offset:4
	s_waitcnt vmcnt(5)
	buffer_store_dword v4, v1, s[0:3], 0 offen offset:8
	;; [unrolled: 2-line block ×6, first 2 shown]
	s_waitcnt vmcnt(0)
	buffer_store_dword v133, v0, s[0:3], 0 offen
.LBB125_456:
	v_mov_b32_e32 v0, 0
	global_load_dword v1, v0, s[12:13] offset:124
	s_waitcnt vmcnt(0)
	v_add_nc_u32_e32 v1, -1, v1
	v_cmp_eq_u32_e32 vcc_lo, 31, v1
	s_cbranch_vccnz .LBB125_458
; %bb.457:
	v_lshlrev_b32_e32 v1, 4, v1
	v_mov_b32_e32 v2, s45
	v_add_nc_u32_e32 v1, 16, v1
	s_clause 0x7
	buffer_load_dword v3, v1, s[0:3], 0 offen
	buffer_load_dword v4, v1, s[0:3], 0 offen offset:4
	buffer_load_dword v5, v1, s[0:3], 0 offen offset:8
	;; [unrolled: 1-line block ×6, first 2 shown]
	buffer_load_dword v134, v2, s[0:3], 0 offen
	s_waitcnt vmcnt(7)
	buffer_store_dword v3, v2, s[0:3], 0 offen
	s_waitcnt vmcnt(6)
	buffer_store_dword v4, v2, s[0:3], 0 offen offset:4
	s_waitcnt vmcnt(5)
	buffer_store_dword v5, v2, s[0:3], 0 offen offset:8
	s_waitcnt vmcnt(4)
	buffer_store_dword v6, v2, s[0:3], 0 offen offset:12
	s_waitcnt vmcnt(3)
	buffer_store_dword v7, v1, s[0:3], 0 offen offset:12
	s_waitcnt vmcnt(2)
	buffer_store_dword v8, v1, s[0:3], 0 offen offset:8
	s_waitcnt vmcnt(1)
	buffer_store_dword v133, v1, s[0:3], 0 offen offset:4
	s_waitcnt vmcnt(0)
	buffer_store_dword v134, v1, s[0:3], 0 offen
.LBB125_458:
	global_load_dword v0, v0, s[12:13] offset:120
	s_waitcnt vmcnt(0)
	v_add_nc_u32_e32 v0, -1, v0
	v_cmp_eq_u32_e32 vcc_lo, 30, v0
	s_cbranch_vccnz .LBB125_460
; %bb.459:
	v_lshlrev_b32_e32 v0, 4, v0
	v_mov_b32_e32 v1, s46
	v_add_nc_u32_e32 v0, 16, v0
	s_clause 0x7
	buffer_load_dword v2, v0, s[0:3], 0 offen
	buffer_load_dword v3, v0, s[0:3], 0 offen offset:4
	buffer_load_dword v4, v0, s[0:3], 0 offen offset:8
	;; [unrolled: 1-line block ×6, first 2 shown]
	buffer_load_dword v133, v1, s[0:3], 0 offen
	s_waitcnt vmcnt(7)
	buffer_store_dword v2, v1, s[0:3], 0 offen
	s_waitcnt vmcnt(6)
	buffer_store_dword v3, v1, s[0:3], 0 offen offset:4
	s_waitcnt vmcnt(5)
	buffer_store_dword v4, v1, s[0:3], 0 offen offset:8
	s_waitcnt vmcnt(4)
	buffer_store_dword v5, v1, s[0:3], 0 offen offset:12
	s_waitcnt vmcnt(3)
	buffer_store_dword v6, v0, s[0:3], 0 offen offset:12
	s_waitcnt vmcnt(2)
	buffer_store_dword v7, v0, s[0:3], 0 offen offset:8
	s_waitcnt vmcnt(1)
	buffer_store_dword v8, v0, s[0:3], 0 offen offset:4
	s_waitcnt vmcnt(0)
	buffer_store_dword v133, v0, s[0:3], 0 offen
.LBB125_460:
	v_mov_b32_e32 v0, 0
	global_load_dword v1, v0, s[12:13] offset:116
	s_waitcnt vmcnt(0)
	v_add_nc_u32_e32 v1, -1, v1
	v_cmp_eq_u32_e32 vcc_lo, 29, v1
	s_cbranch_vccnz .LBB125_462
; %bb.461:
	v_lshlrev_b32_e32 v1, 4, v1
	v_mov_b32_e32 v2, s47
	v_add_nc_u32_e32 v1, 16, v1
	s_clause 0x7
	buffer_load_dword v3, v1, s[0:3], 0 offen
	buffer_load_dword v4, v1, s[0:3], 0 offen offset:4
	buffer_load_dword v5, v1, s[0:3], 0 offen offset:8
	buffer_load_dword v6, v1, s[0:3], 0 offen offset:12
	buffer_load_dword v7, v2, s[0:3], 0 offen offset:12
	buffer_load_dword v8, v2, s[0:3], 0 offen offset:8
	buffer_load_dword v133, v2, s[0:3], 0 offen offset:4
	buffer_load_dword v134, v2, s[0:3], 0 offen
	s_waitcnt vmcnt(7)
	buffer_store_dword v3, v2, s[0:3], 0 offen
	s_waitcnt vmcnt(6)
	buffer_store_dword v4, v2, s[0:3], 0 offen offset:4
	s_waitcnt vmcnt(5)
	buffer_store_dword v5, v2, s[0:3], 0 offen offset:8
	;; [unrolled: 2-line block ×6, first 2 shown]
	s_waitcnt vmcnt(0)
	buffer_store_dword v134, v1, s[0:3], 0 offen
.LBB125_462:
	global_load_dword v0, v0, s[12:13] offset:112
	s_waitcnt vmcnt(0)
	v_add_nc_u32_e32 v0, -1, v0
	v_cmp_eq_u32_e32 vcc_lo, 28, v0
	s_cbranch_vccnz .LBB125_464
; %bb.463:
	v_lshlrev_b32_e32 v0, 4, v0
	v_mov_b32_e32 v1, s48
	v_add_nc_u32_e32 v0, 16, v0
	s_clause 0x7
	buffer_load_dword v2, v0, s[0:3], 0 offen
	buffer_load_dword v3, v0, s[0:3], 0 offen offset:4
	buffer_load_dword v4, v0, s[0:3], 0 offen offset:8
	;; [unrolled: 1-line block ×6, first 2 shown]
	buffer_load_dword v133, v1, s[0:3], 0 offen
	s_waitcnt vmcnt(7)
	buffer_store_dword v2, v1, s[0:3], 0 offen
	s_waitcnt vmcnt(6)
	buffer_store_dword v3, v1, s[0:3], 0 offen offset:4
	s_waitcnt vmcnt(5)
	buffer_store_dword v4, v1, s[0:3], 0 offen offset:8
	;; [unrolled: 2-line block ×6, first 2 shown]
	s_waitcnt vmcnt(0)
	buffer_store_dword v133, v0, s[0:3], 0 offen
.LBB125_464:
	v_mov_b32_e32 v0, 0
	global_load_dword v1, v0, s[12:13] offset:108
	s_waitcnt vmcnt(0)
	v_add_nc_u32_e32 v1, -1, v1
	v_cmp_eq_u32_e32 vcc_lo, 27, v1
	s_cbranch_vccnz .LBB125_466
; %bb.465:
	v_lshlrev_b32_e32 v1, 4, v1
	v_mov_b32_e32 v2, s49
	v_add_nc_u32_e32 v1, 16, v1
	s_clause 0x7
	buffer_load_dword v3, v1, s[0:3], 0 offen
	buffer_load_dword v4, v1, s[0:3], 0 offen offset:4
	buffer_load_dword v5, v1, s[0:3], 0 offen offset:8
	;; [unrolled: 1-line block ×6, first 2 shown]
	buffer_load_dword v134, v2, s[0:3], 0 offen
	s_waitcnt vmcnt(7)
	buffer_store_dword v3, v2, s[0:3], 0 offen
	s_waitcnt vmcnt(6)
	buffer_store_dword v4, v2, s[0:3], 0 offen offset:4
	s_waitcnt vmcnt(5)
	buffer_store_dword v5, v2, s[0:3], 0 offen offset:8
	s_waitcnt vmcnt(4)
	buffer_store_dword v6, v2, s[0:3], 0 offen offset:12
	s_waitcnt vmcnt(3)
	buffer_store_dword v7, v1, s[0:3], 0 offen offset:12
	s_waitcnt vmcnt(2)
	buffer_store_dword v8, v1, s[0:3], 0 offen offset:8
	s_waitcnt vmcnt(1)
	buffer_store_dword v133, v1, s[0:3], 0 offen offset:4
	s_waitcnt vmcnt(0)
	buffer_store_dword v134, v1, s[0:3], 0 offen
.LBB125_466:
	global_load_dword v0, v0, s[12:13] offset:104
	s_waitcnt vmcnt(0)
	v_add_nc_u32_e32 v0, -1, v0
	v_cmp_eq_u32_e32 vcc_lo, 26, v0
	s_cbranch_vccnz .LBB125_468
; %bb.467:
	v_lshlrev_b32_e32 v0, 4, v0
	v_mov_b32_e32 v1, s50
	v_add_nc_u32_e32 v0, 16, v0
	s_clause 0x7
	buffer_load_dword v2, v0, s[0:3], 0 offen
	buffer_load_dword v3, v0, s[0:3], 0 offen offset:4
	buffer_load_dword v4, v0, s[0:3], 0 offen offset:8
	;; [unrolled: 1-line block ×6, first 2 shown]
	buffer_load_dword v133, v1, s[0:3], 0 offen
	s_waitcnt vmcnt(7)
	buffer_store_dword v2, v1, s[0:3], 0 offen
	s_waitcnt vmcnt(6)
	buffer_store_dword v3, v1, s[0:3], 0 offen offset:4
	s_waitcnt vmcnt(5)
	buffer_store_dword v4, v1, s[0:3], 0 offen offset:8
	;; [unrolled: 2-line block ×6, first 2 shown]
	s_waitcnt vmcnt(0)
	buffer_store_dword v133, v0, s[0:3], 0 offen
.LBB125_468:
	v_mov_b32_e32 v0, 0
	global_load_dword v1, v0, s[12:13] offset:100
	s_waitcnt vmcnt(0)
	v_add_nc_u32_e32 v1, -1, v1
	v_cmp_eq_u32_e32 vcc_lo, 25, v1
	s_cbranch_vccnz .LBB125_470
; %bb.469:
	v_lshlrev_b32_e32 v1, 4, v1
	v_mov_b32_e32 v2, s51
	v_add_nc_u32_e32 v1, 16, v1
	s_clause 0x7
	buffer_load_dword v3, v1, s[0:3], 0 offen
	buffer_load_dword v4, v1, s[0:3], 0 offen offset:4
	buffer_load_dword v5, v1, s[0:3], 0 offen offset:8
	;; [unrolled: 1-line block ×6, first 2 shown]
	buffer_load_dword v134, v2, s[0:3], 0 offen
	s_waitcnt vmcnt(7)
	buffer_store_dword v3, v2, s[0:3], 0 offen
	s_waitcnt vmcnt(6)
	buffer_store_dword v4, v2, s[0:3], 0 offen offset:4
	s_waitcnt vmcnt(5)
	buffer_store_dword v5, v2, s[0:3], 0 offen offset:8
	;; [unrolled: 2-line block ×6, first 2 shown]
	s_waitcnt vmcnt(0)
	buffer_store_dword v134, v1, s[0:3], 0 offen
.LBB125_470:
	global_load_dword v0, v0, s[12:13] offset:96
	s_waitcnt vmcnt(0)
	v_add_nc_u32_e32 v0, -1, v0
	v_cmp_eq_u32_e32 vcc_lo, 24, v0
	s_cbranch_vccnz .LBB125_472
; %bb.471:
	v_lshlrev_b32_e32 v0, 4, v0
	v_mov_b32_e32 v1, s52
	v_add_nc_u32_e32 v0, 16, v0
	s_clause 0x7
	buffer_load_dword v2, v0, s[0:3], 0 offen
	buffer_load_dword v3, v0, s[0:3], 0 offen offset:4
	buffer_load_dword v4, v0, s[0:3], 0 offen offset:8
	;; [unrolled: 1-line block ×6, first 2 shown]
	buffer_load_dword v133, v1, s[0:3], 0 offen
	s_waitcnt vmcnt(7)
	buffer_store_dword v2, v1, s[0:3], 0 offen
	s_waitcnt vmcnt(6)
	buffer_store_dword v3, v1, s[0:3], 0 offen offset:4
	s_waitcnt vmcnt(5)
	buffer_store_dword v4, v1, s[0:3], 0 offen offset:8
	;; [unrolled: 2-line block ×6, first 2 shown]
	s_waitcnt vmcnt(0)
	buffer_store_dword v133, v0, s[0:3], 0 offen
.LBB125_472:
	v_mov_b32_e32 v0, 0
	global_load_dword v1, v0, s[12:13] offset:92
	s_waitcnt vmcnt(0)
	v_add_nc_u32_e32 v1, -1, v1
	v_cmp_eq_u32_e32 vcc_lo, 23, v1
	s_cbranch_vccnz .LBB125_474
; %bb.473:
	v_lshlrev_b32_e32 v1, 4, v1
	v_mov_b32_e32 v2, s53
	v_add_nc_u32_e32 v1, 16, v1
	s_clause 0x7
	buffer_load_dword v3, v1, s[0:3], 0 offen
	buffer_load_dword v4, v1, s[0:3], 0 offen offset:4
	buffer_load_dword v5, v1, s[0:3], 0 offen offset:8
	;; [unrolled: 1-line block ×6, first 2 shown]
	buffer_load_dword v134, v2, s[0:3], 0 offen
	s_waitcnt vmcnt(7)
	buffer_store_dword v3, v2, s[0:3], 0 offen
	s_waitcnt vmcnt(6)
	buffer_store_dword v4, v2, s[0:3], 0 offen offset:4
	s_waitcnt vmcnt(5)
	buffer_store_dword v5, v2, s[0:3], 0 offen offset:8
	;; [unrolled: 2-line block ×6, first 2 shown]
	s_waitcnt vmcnt(0)
	buffer_store_dword v134, v1, s[0:3], 0 offen
.LBB125_474:
	global_load_dword v0, v0, s[12:13] offset:88
	s_waitcnt vmcnt(0)
	v_add_nc_u32_e32 v0, -1, v0
	v_cmp_eq_u32_e32 vcc_lo, 22, v0
	s_cbranch_vccnz .LBB125_476
; %bb.475:
	v_lshlrev_b32_e32 v0, 4, v0
	v_mov_b32_e32 v1, s54
	v_add_nc_u32_e32 v0, 16, v0
	s_clause 0x7
	buffer_load_dword v2, v0, s[0:3], 0 offen
	buffer_load_dword v3, v0, s[0:3], 0 offen offset:4
	buffer_load_dword v4, v0, s[0:3], 0 offen offset:8
	;; [unrolled: 1-line block ×6, first 2 shown]
	buffer_load_dword v133, v1, s[0:3], 0 offen
	s_waitcnt vmcnt(7)
	buffer_store_dword v2, v1, s[0:3], 0 offen
	s_waitcnt vmcnt(6)
	buffer_store_dword v3, v1, s[0:3], 0 offen offset:4
	s_waitcnt vmcnt(5)
	buffer_store_dword v4, v1, s[0:3], 0 offen offset:8
	;; [unrolled: 2-line block ×6, first 2 shown]
	s_waitcnt vmcnt(0)
	buffer_store_dword v133, v0, s[0:3], 0 offen
.LBB125_476:
	v_mov_b32_e32 v0, 0
	global_load_dword v1, v0, s[12:13] offset:84
	s_waitcnt vmcnt(0)
	v_add_nc_u32_e32 v1, -1, v1
	v_cmp_eq_u32_e32 vcc_lo, 21, v1
	s_cbranch_vccnz .LBB125_478
; %bb.477:
	v_lshlrev_b32_e32 v1, 4, v1
	v_mov_b32_e32 v2, s55
	v_add_nc_u32_e32 v1, 16, v1
	s_clause 0x7
	buffer_load_dword v3, v1, s[0:3], 0 offen
	buffer_load_dword v4, v1, s[0:3], 0 offen offset:4
	buffer_load_dword v5, v1, s[0:3], 0 offen offset:8
	;; [unrolled: 1-line block ×6, first 2 shown]
	buffer_load_dword v134, v2, s[0:3], 0 offen
	s_waitcnt vmcnt(7)
	buffer_store_dword v3, v2, s[0:3], 0 offen
	s_waitcnt vmcnt(6)
	buffer_store_dword v4, v2, s[0:3], 0 offen offset:4
	s_waitcnt vmcnt(5)
	buffer_store_dword v5, v2, s[0:3], 0 offen offset:8
	;; [unrolled: 2-line block ×6, first 2 shown]
	s_waitcnt vmcnt(0)
	buffer_store_dword v134, v1, s[0:3], 0 offen
.LBB125_478:
	global_load_dword v0, v0, s[12:13] offset:80
	s_waitcnt vmcnt(0)
	v_add_nc_u32_e32 v0, -1, v0
	v_cmp_eq_u32_e32 vcc_lo, 20, v0
	s_cbranch_vccnz .LBB125_480
; %bb.479:
	v_lshlrev_b32_e32 v0, 4, v0
	v_mov_b32_e32 v1, s56
	v_add_nc_u32_e32 v0, 16, v0
	s_clause 0x7
	buffer_load_dword v2, v0, s[0:3], 0 offen
	buffer_load_dword v3, v0, s[0:3], 0 offen offset:4
	buffer_load_dword v4, v0, s[0:3], 0 offen offset:8
	;; [unrolled: 1-line block ×6, first 2 shown]
	buffer_load_dword v133, v1, s[0:3], 0 offen
	s_waitcnt vmcnt(7)
	buffer_store_dword v2, v1, s[0:3], 0 offen
	s_waitcnt vmcnt(6)
	buffer_store_dword v3, v1, s[0:3], 0 offen offset:4
	s_waitcnt vmcnt(5)
	buffer_store_dword v4, v1, s[0:3], 0 offen offset:8
	;; [unrolled: 2-line block ×6, first 2 shown]
	s_waitcnt vmcnt(0)
	buffer_store_dword v133, v0, s[0:3], 0 offen
.LBB125_480:
	v_mov_b32_e32 v0, 0
	global_load_dword v1, v0, s[12:13] offset:76
	s_waitcnt vmcnt(0)
	v_add_nc_u32_e32 v1, -1, v1
	v_cmp_eq_u32_e32 vcc_lo, 19, v1
	s_cbranch_vccnz .LBB125_482
; %bb.481:
	v_lshlrev_b32_e32 v1, 4, v1
	v_mov_b32_e32 v2, s57
	v_add_nc_u32_e32 v1, 16, v1
	s_clause 0x7
	buffer_load_dword v3, v1, s[0:3], 0 offen
	buffer_load_dword v4, v1, s[0:3], 0 offen offset:4
	buffer_load_dword v5, v1, s[0:3], 0 offen offset:8
	;; [unrolled: 1-line block ×6, first 2 shown]
	buffer_load_dword v134, v2, s[0:3], 0 offen
	s_waitcnt vmcnt(7)
	buffer_store_dword v3, v2, s[0:3], 0 offen
	s_waitcnt vmcnt(6)
	buffer_store_dword v4, v2, s[0:3], 0 offen offset:4
	s_waitcnt vmcnt(5)
	buffer_store_dword v5, v2, s[0:3], 0 offen offset:8
	s_waitcnt vmcnt(4)
	buffer_store_dword v6, v2, s[0:3], 0 offen offset:12
	s_waitcnt vmcnt(3)
	buffer_store_dword v7, v1, s[0:3], 0 offen offset:12
	s_waitcnt vmcnt(2)
	buffer_store_dword v8, v1, s[0:3], 0 offen offset:8
	s_waitcnt vmcnt(1)
	buffer_store_dword v133, v1, s[0:3], 0 offen offset:4
	s_waitcnt vmcnt(0)
	buffer_store_dword v134, v1, s[0:3], 0 offen
.LBB125_482:
	global_load_dword v0, v0, s[12:13] offset:72
	s_waitcnt vmcnt(0)
	v_add_nc_u32_e32 v0, -1, v0
	v_cmp_eq_u32_e32 vcc_lo, 18, v0
	s_cbranch_vccnz .LBB125_484
; %bb.483:
	v_lshlrev_b32_e32 v0, 4, v0
	v_mov_b32_e32 v1, s58
	v_add_nc_u32_e32 v0, 16, v0
	s_clause 0x7
	buffer_load_dword v2, v0, s[0:3], 0 offen
	buffer_load_dword v3, v0, s[0:3], 0 offen offset:4
	buffer_load_dword v4, v0, s[0:3], 0 offen offset:8
	;; [unrolled: 1-line block ×6, first 2 shown]
	buffer_load_dword v133, v1, s[0:3], 0 offen
	s_waitcnt vmcnt(7)
	buffer_store_dword v2, v1, s[0:3], 0 offen
	s_waitcnt vmcnt(6)
	buffer_store_dword v3, v1, s[0:3], 0 offen offset:4
	s_waitcnt vmcnt(5)
	buffer_store_dword v4, v1, s[0:3], 0 offen offset:8
	;; [unrolled: 2-line block ×6, first 2 shown]
	s_waitcnt vmcnt(0)
	buffer_store_dword v133, v0, s[0:3], 0 offen
.LBB125_484:
	v_mov_b32_e32 v0, 0
	global_load_dword v1, v0, s[12:13] offset:68
	s_waitcnt vmcnt(0)
	v_add_nc_u32_e32 v1, -1, v1
	v_cmp_eq_u32_e32 vcc_lo, 17, v1
	s_cbranch_vccnz .LBB125_486
; %bb.485:
	v_lshlrev_b32_e32 v1, 4, v1
	v_mov_b32_e32 v2, s59
	v_add_nc_u32_e32 v1, 16, v1
	s_clause 0x7
	buffer_load_dword v3, v1, s[0:3], 0 offen
	buffer_load_dword v4, v1, s[0:3], 0 offen offset:4
	buffer_load_dword v5, v1, s[0:3], 0 offen offset:8
	;; [unrolled: 1-line block ×6, first 2 shown]
	buffer_load_dword v134, v2, s[0:3], 0 offen
	s_waitcnt vmcnt(7)
	buffer_store_dword v3, v2, s[0:3], 0 offen
	s_waitcnt vmcnt(6)
	buffer_store_dword v4, v2, s[0:3], 0 offen offset:4
	s_waitcnt vmcnt(5)
	buffer_store_dword v5, v2, s[0:3], 0 offen offset:8
	;; [unrolled: 2-line block ×6, first 2 shown]
	s_waitcnt vmcnt(0)
	buffer_store_dword v134, v1, s[0:3], 0 offen
.LBB125_486:
	global_load_dword v0, v0, s[12:13] offset:64
	s_waitcnt vmcnt(0)
	v_add_nc_u32_e32 v0, -1, v0
	v_cmp_eq_u32_e32 vcc_lo, 16, v0
	s_cbranch_vccnz .LBB125_488
; %bb.487:
	v_lshlrev_b32_e32 v0, 4, v0
	v_mov_b32_e32 v1, s60
	v_add_nc_u32_e32 v0, 16, v0
	s_clause 0x7
	buffer_load_dword v2, v0, s[0:3], 0 offen
	buffer_load_dword v3, v0, s[0:3], 0 offen offset:4
	buffer_load_dword v4, v0, s[0:3], 0 offen offset:8
	;; [unrolled: 1-line block ×6, first 2 shown]
	buffer_load_dword v133, v1, s[0:3], 0 offen
	s_waitcnt vmcnt(7)
	buffer_store_dword v2, v1, s[0:3], 0 offen
	s_waitcnt vmcnt(6)
	buffer_store_dword v3, v1, s[0:3], 0 offen offset:4
	s_waitcnt vmcnt(5)
	buffer_store_dword v4, v1, s[0:3], 0 offen offset:8
	;; [unrolled: 2-line block ×6, first 2 shown]
	s_waitcnt vmcnt(0)
	buffer_store_dword v133, v0, s[0:3], 0 offen
.LBB125_488:
	v_mov_b32_e32 v0, 0
	global_load_dword v1, v0, s[12:13] offset:60
	s_waitcnt vmcnt(0)
	v_add_nc_u32_e32 v1, -1, v1
	v_cmp_eq_u32_e32 vcc_lo, 15, v1
	s_cbranch_vccnz .LBB125_490
; %bb.489:
	v_lshlrev_b32_e32 v1, 4, v1
	v_mov_b32_e32 v2, s61
	v_add_nc_u32_e32 v1, 16, v1
	s_clause 0x7
	buffer_load_dword v3, v1, s[0:3], 0 offen
	buffer_load_dword v4, v1, s[0:3], 0 offen offset:4
	buffer_load_dword v5, v1, s[0:3], 0 offen offset:8
	;; [unrolled: 1-line block ×6, first 2 shown]
	buffer_load_dword v134, v2, s[0:3], 0 offen
	s_waitcnt vmcnt(7)
	buffer_store_dword v3, v2, s[0:3], 0 offen
	s_waitcnt vmcnt(6)
	buffer_store_dword v4, v2, s[0:3], 0 offen offset:4
	s_waitcnt vmcnt(5)
	buffer_store_dword v5, v2, s[0:3], 0 offen offset:8
	;; [unrolled: 2-line block ×6, first 2 shown]
	s_waitcnt vmcnt(0)
	buffer_store_dword v134, v1, s[0:3], 0 offen
.LBB125_490:
	global_load_dword v0, v0, s[12:13] offset:56
	s_waitcnt vmcnt(0)
	v_add_nc_u32_e32 v0, -1, v0
	v_cmp_eq_u32_e32 vcc_lo, 14, v0
	s_cbranch_vccnz .LBB125_492
; %bb.491:
	v_lshlrev_b32_e32 v0, 4, v0
	v_mov_b32_e32 v1, s62
	v_add_nc_u32_e32 v0, 16, v0
	s_clause 0x7
	buffer_load_dword v2, v0, s[0:3], 0 offen
	buffer_load_dword v3, v0, s[0:3], 0 offen offset:4
	buffer_load_dword v4, v0, s[0:3], 0 offen offset:8
	;; [unrolled: 1-line block ×6, first 2 shown]
	buffer_load_dword v133, v1, s[0:3], 0 offen
	s_waitcnt vmcnt(7)
	buffer_store_dword v2, v1, s[0:3], 0 offen
	s_waitcnt vmcnt(6)
	buffer_store_dword v3, v1, s[0:3], 0 offen offset:4
	s_waitcnt vmcnt(5)
	buffer_store_dword v4, v1, s[0:3], 0 offen offset:8
	;; [unrolled: 2-line block ×6, first 2 shown]
	s_waitcnt vmcnt(0)
	buffer_store_dword v133, v0, s[0:3], 0 offen
.LBB125_492:
	v_mov_b32_e32 v0, 0
	global_load_dword v1, v0, s[12:13] offset:52
	s_waitcnt vmcnt(0)
	v_add_nc_u32_e32 v1, -1, v1
	v_cmp_eq_u32_e32 vcc_lo, 13, v1
	s_cbranch_vccnz .LBB125_494
; %bb.493:
	v_lshlrev_b32_e32 v1, 4, v1
	v_mov_b32_e32 v2, s63
	v_add_nc_u32_e32 v1, 16, v1
	s_clause 0x7
	buffer_load_dword v3, v1, s[0:3], 0 offen
	buffer_load_dword v4, v1, s[0:3], 0 offen offset:4
	buffer_load_dword v5, v1, s[0:3], 0 offen offset:8
	;; [unrolled: 1-line block ×6, first 2 shown]
	buffer_load_dword v134, v2, s[0:3], 0 offen
	s_waitcnt vmcnt(7)
	buffer_store_dword v3, v2, s[0:3], 0 offen
	s_waitcnt vmcnt(6)
	buffer_store_dword v4, v2, s[0:3], 0 offen offset:4
	s_waitcnt vmcnt(5)
	buffer_store_dword v5, v2, s[0:3], 0 offen offset:8
	;; [unrolled: 2-line block ×6, first 2 shown]
	s_waitcnt vmcnt(0)
	buffer_store_dword v134, v1, s[0:3], 0 offen
.LBB125_494:
	global_load_dword v0, v0, s[12:13] offset:48
	s_waitcnt vmcnt(0)
	v_add_nc_u32_e32 v0, -1, v0
	v_cmp_eq_u32_e32 vcc_lo, 12, v0
	s_cbranch_vccnz .LBB125_496
; %bb.495:
	v_lshlrev_b32_e32 v0, 4, v0
	v_mov_b32_e32 v1, s64
	v_add_nc_u32_e32 v0, 16, v0
	s_clause 0x7
	buffer_load_dword v2, v0, s[0:3], 0 offen
	buffer_load_dword v3, v0, s[0:3], 0 offen offset:4
	buffer_load_dword v4, v0, s[0:3], 0 offen offset:8
	;; [unrolled: 1-line block ×6, first 2 shown]
	buffer_load_dword v133, v1, s[0:3], 0 offen
	s_waitcnt vmcnt(7)
	buffer_store_dword v2, v1, s[0:3], 0 offen
	s_waitcnt vmcnt(6)
	buffer_store_dword v3, v1, s[0:3], 0 offen offset:4
	s_waitcnt vmcnt(5)
	buffer_store_dword v4, v1, s[0:3], 0 offen offset:8
	;; [unrolled: 2-line block ×6, first 2 shown]
	s_waitcnt vmcnt(0)
	buffer_store_dword v133, v0, s[0:3], 0 offen
.LBB125_496:
	v_mov_b32_e32 v0, 0
	global_load_dword v1, v0, s[12:13] offset:44
	s_waitcnt vmcnt(0)
	v_add_nc_u32_e32 v1, -1, v1
	v_cmp_eq_u32_e32 vcc_lo, 11, v1
	s_cbranch_vccnz .LBB125_498
; %bb.497:
	v_lshlrev_b32_e32 v1, 4, v1
	v_mov_b32_e32 v2, s65
	v_add_nc_u32_e32 v1, 16, v1
	s_clause 0x7
	buffer_load_dword v3, v1, s[0:3], 0 offen
	buffer_load_dword v4, v1, s[0:3], 0 offen offset:4
	buffer_load_dword v5, v1, s[0:3], 0 offen offset:8
	;; [unrolled: 1-line block ×6, first 2 shown]
	buffer_load_dword v134, v2, s[0:3], 0 offen
	s_waitcnt vmcnt(7)
	buffer_store_dword v3, v2, s[0:3], 0 offen
	s_waitcnt vmcnt(6)
	buffer_store_dword v4, v2, s[0:3], 0 offen offset:4
	s_waitcnt vmcnt(5)
	buffer_store_dword v5, v2, s[0:3], 0 offen offset:8
	;; [unrolled: 2-line block ×6, first 2 shown]
	s_waitcnt vmcnt(0)
	buffer_store_dword v134, v1, s[0:3], 0 offen
.LBB125_498:
	global_load_dword v0, v0, s[12:13] offset:40
	s_waitcnt vmcnt(0)
	v_add_nc_u32_e32 v0, -1, v0
	v_cmp_eq_u32_e32 vcc_lo, 10, v0
	s_cbranch_vccnz .LBB125_500
; %bb.499:
	v_lshlrev_b32_e32 v0, 4, v0
	v_mov_b32_e32 v1, s66
	v_add_nc_u32_e32 v0, 16, v0
	s_clause 0x7
	buffer_load_dword v2, v0, s[0:3], 0 offen
	buffer_load_dword v3, v0, s[0:3], 0 offen offset:4
	buffer_load_dword v4, v0, s[0:3], 0 offen offset:8
	;; [unrolled: 1-line block ×6, first 2 shown]
	buffer_load_dword v133, v1, s[0:3], 0 offen
	s_waitcnt vmcnt(7)
	buffer_store_dword v2, v1, s[0:3], 0 offen
	s_waitcnt vmcnt(6)
	buffer_store_dword v3, v1, s[0:3], 0 offen offset:4
	s_waitcnt vmcnt(5)
	buffer_store_dword v4, v1, s[0:3], 0 offen offset:8
	;; [unrolled: 2-line block ×6, first 2 shown]
	s_waitcnt vmcnt(0)
	buffer_store_dword v133, v0, s[0:3], 0 offen
.LBB125_500:
	v_mov_b32_e32 v0, 0
	global_load_dword v1, v0, s[12:13] offset:36
	s_waitcnt vmcnt(0)
	v_add_nc_u32_e32 v1, -1, v1
	v_cmp_eq_u32_e32 vcc_lo, 9, v1
	s_cbranch_vccnz .LBB125_502
; %bb.501:
	v_lshlrev_b32_e32 v1, 4, v1
	v_mov_b32_e32 v2, s67
	v_add_nc_u32_e32 v1, 16, v1
	s_clause 0x7
	buffer_load_dword v3, v1, s[0:3], 0 offen
	buffer_load_dword v4, v1, s[0:3], 0 offen offset:4
	buffer_load_dword v5, v1, s[0:3], 0 offen offset:8
	;; [unrolled: 1-line block ×6, first 2 shown]
	buffer_load_dword v134, v2, s[0:3], 0 offen
	s_waitcnt vmcnt(7)
	buffer_store_dword v3, v2, s[0:3], 0 offen
	s_waitcnt vmcnt(6)
	buffer_store_dword v4, v2, s[0:3], 0 offen offset:4
	s_waitcnt vmcnt(5)
	buffer_store_dword v5, v2, s[0:3], 0 offen offset:8
	;; [unrolled: 2-line block ×6, first 2 shown]
	s_waitcnt vmcnt(0)
	buffer_store_dword v134, v1, s[0:3], 0 offen
.LBB125_502:
	global_load_dword v0, v0, s[12:13] offset:32
	s_waitcnt vmcnt(0)
	v_add_nc_u32_e32 v0, -1, v0
	v_cmp_eq_u32_e32 vcc_lo, 8, v0
	s_cbranch_vccnz .LBB125_504
; %bb.503:
	v_lshlrev_b32_e32 v0, 4, v0
	v_mov_b32_e32 v1, s68
	v_add_nc_u32_e32 v0, 16, v0
	s_clause 0x7
	buffer_load_dword v2, v0, s[0:3], 0 offen
	buffer_load_dword v3, v0, s[0:3], 0 offen offset:4
	buffer_load_dword v4, v0, s[0:3], 0 offen offset:8
	;; [unrolled: 1-line block ×6, first 2 shown]
	buffer_load_dword v133, v1, s[0:3], 0 offen
	s_waitcnt vmcnt(7)
	buffer_store_dword v2, v1, s[0:3], 0 offen
	s_waitcnt vmcnt(6)
	buffer_store_dword v3, v1, s[0:3], 0 offen offset:4
	s_waitcnt vmcnt(5)
	buffer_store_dword v4, v1, s[0:3], 0 offen offset:8
	;; [unrolled: 2-line block ×6, first 2 shown]
	s_waitcnt vmcnt(0)
	buffer_store_dword v133, v0, s[0:3], 0 offen
.LBB125_504:
	v_mov_b32_e32 v0, 0
	global_load_dword v1, v0, s[12:13] offset:28
	s_waitcnt vmcnt(0)
	v_add_nc_u32_e32 v1, -1, v1
	v_cmp_eq_u32_e32 vcc_lo, 7, v1
	s_cbranch_vccnz .LBB125_506
; %bb.505:
	v_lshlrev_b32_e32 v1, 4, v1
	v_mov_b32_e32 v2, s69
	v_add_nc_u32_e32 v1, 16, v1
	s_clause 0x7
	buffer_load_dword v3, v1, s[0:3], 0 offen
	buffer_load_dword v4, v1, s[0:3], 0 offen offset:4
	buffer_load_dword v5, v1, s[0:3], 0 offen offset:8
	;; [unrolled: 1-line block ×6, first 2 shown]
	buffer_load_dword v134, v2, s[0:3], 0 offen
	s_waitcnt vmcnt(7)
	buffer_store_dword v3, v2, s[0:3], 0 offen
	s_waitcnt vmcnt(6)
	buffer_store_dword v4, v2, s[0:3], 0 offen offset:4
	s_waitcnt vmcnt(5)
	buffer_store_dword v5, v2, s[0:3], 0 offen offset:8
	;; [unrolled: 2-line block ×6, first 2 shown]
	s_waitcnt vmcnt(0)
	buffer_store_dword v134, v1, s[0:3], 0 offen
.LBB125_506:
	global_load_dword v0, v0, s[12:13] offset:24
	s_waitcnt vmcnt(0)
	v_add_nc_u32_e32 v0, -1, v0
	v_cmp_eq_u32_e32 vcc_lo, 6, v0
	s_cbranch_vccnz .LBB125_508
; %bb.507:
	v_lshlrev_b32_e32 v0, 4, v0
	v_mov_b32_e32 v1, s70
	v_add_nc_u32_e32 v0, 16, v0
	s_clause 0x7
	buffer_load_dword v2, v0, s[0:3], 0 offen
	buffer_load_dword v3, v0, s[0:3], 0 offen offset:4
	buffer_load_dword v4, v0, s[0:3], 0 offen offset:8
	buffer_load_dword v5, v0, s[0:3], 0 offen offset:12
	buffer_load_dword v6, v1, s[0:3], 0 offen offset:12
	buffer_load_dword v7, v1, s[0:3], 0 offen offset:8
	buffer_load_dword v8, v1, s[0:3], 0 offen offset:4
	buffer_load_dword v133, v1, s[0:3], 0 offen
	s_waitcnt vmcnt(7)
	buffer_store_dword v2, v1, s[0:3], 0 offen
	s_waitcnt vmcnt(6)
	buffer_store_dword v3, v1, s[0:3], 0 offen offset:4
	s_waitcnt vmcnt(5)
	buffer_store_dword v4, v1, s[0:3], 0 offen offset:8
	;; [unrolled: 2-line block ×6, first 2 shown]
	s_waitcnt vmcnt(0)
	buffer_store_dword v133, v0, s[0:3], 0 offen
.LBB125_508:
	v_mov_b32_e32 v0, 0
	global_load_dword v1, v0, s[12:13] offset:20
	s_waitcnt vmcnt(0)
	v_add_nc_u32_e32 v1, -1, v1
	v_cmp_eq_u32_e32 vcc_lo, 5, v1
	s_cbranch_vccnz .LBB125_510
; %bb.509:
	v_lshlrev_b32_e32 v1, 4, v1
	v_mov_b32_e32 v2, s71
	v_add_nc_u32_e32 v1, 16, v1
	s_clause 0x7
	buffer_load_dword v3, v1, s[0:3], 0 offen
	buffer_load_dword v4, v1, s[0:3], 0 offen offset:4
	buffer_load_dword v5, v1, s[0:3], 0 offen offset:8
	;; [unrolled: 1-line block ×6, first 2 shown]
	buffer_load_dword v134, v2, s[0:3], 0 offen
	s_waitcnt vmcnt(7)
	buffer_store_dword v3, v2, s[0:3], 0 offen
	s_waitcnt vmcnt(6)
	buffer_store_dword v4, v2, s[0:3], 0 offen offset:4
	s_waitcnt vmcnt(5)
	buffer_store_dword v5, v2, s[0:3], 0 offen offset:8
	;; [unrolled: 2-line block ×6, first 2 shown]
	s_waitcnt vmcnt(0)
	buffer_store_dword v134, v1, s[0:3], 0 offen
.LBB125_510:
	global_load_dword v0, v0, s[12:13] offset:16
	s_waitcnt vmcnt(0)
	v_add_nc_u32_e32 v0, -1, v0
	v_cmp_eq_u32_e32 vcc_lo, 4, v0
	s_cbranch_vccnz .LBB125_512
; %bb.511:
	v_lshlrev_b32_e32 v0, 4, v0
	v_mov_b32_e32 v1, s72
	v_add_nc_u32_e32 v0, 16, v0
	s_clause 0x7
	buffer_load_dword v2, v0, s[0:3], 0 offen
	buffer_load_dword v3, v0, s[0:3], 0 offen offset:4
	buffer_load_dword v4, v0, s[0:3], 0 offen offset:8
	;; [unrolled: 1-line block ×6, first 2 shown]
	buffer_load_dword v133, v1, s[0:3], 0 offen
	s_waitcnt vmcnt(7)
	buffer_store_dword v2, v1, s[0:3], 0 offen
	s_waitcnt vmcnt(6)
	buffer_store_dword v3, v1, s[0:3], 0 offen offset:4
	s_waitcnt vmcnt(5)
	buffer_store_dword v4, v1, s[0:3], 0 offen offset:8
	;; [unrolled: 2-line block ×6, first 2 shown]
	s_waitcnt vmcnt(0)
	buffer_store_dword v133, v0, s[0:3], 0 offen
.LBB125_512:
	v_mov_b32_e32 v0, 0
	global_load_dword v1, v0, s[12:13] offset:12
	s_waitcnt vmcnt(0)
	v_add_nc_u32_e32 v1, -1, v1
	v_cmp_eq_u32_e32 vcc_lo, 3, v1
	s_cbranch_vccnz .LBB125_514
; %bb.513:
	v_lshlrev_b32_e32 v1, 4, v1
	v_mov_b32_e32 v2, s73
	v_add_nc_u32_e32 v1, 16, v1
	s_clause 0x7
	buffer_load_dword v3, v1, s[0:3], 0 offen
	buffer_load_dword v4, v1, s[0:3], 0 offen offset:4
	buffer_load_dword v5, v1, s[0:3], 0 offen offset:8
	;; [unrolled: 1-line block ×6, first 2 shown]
	buffer_load_dword v134, v2, s[0:3], 0 offen
	s_waitcnt vmcnt(7)
	buffer_store_dword v3, v2, s[0:3], 0 offen
	s_waitcnt vmcnt(6)
	buffer_store_dword v4, v2, s[0:3], 0 offen offset:4
	s_waitcnt vmcnt(5)
	buffer_store_dword v5, v2, s[0:3], 0 offen offset:8
	s_waitcnt vmcnt(4)
	buffer_store_dword v6, v2, s[0:3], 0 offen offset:12
	s_waitcnt vmcnt(3)
	buffer_store_dword v7, v1, s[0:3], 0 offen offset:12
	s_waitcnt vmcnt(2)
	buffer_store_dword v8, v1, s[0:3], 0 offen offset:8
	s_waitcnt vmcnt(1)
	buffer_store_dword v133, v1, s[0:3], 0 offen offset:4
	s_waitcnt vmcnt(0)
	buffer_store_dword v134, v1, s[0:3], 0 offen
.LBB125_514:
	global_load_dword v0, v0, s[12:13] offset:8
	s_waitcnt vmcnt(0)
	v_add_nc_u32_e32 v0, -1, v0
	v_cmp_eq_u32_e32 vcc_lo, 2, v0
	s_cbranch_vccnz .LBB125_516
; %bb.515:
	v_lshlrev_b32_e32 v0, 4, v0
	v_mov_b32_e32 v1, s74
	v_add_nc_u32_e32 v0, 16, v0
	s_clause 0x7
	buffer_load_dword v2, v0, s[0:3], 0 offen
	buffer_load_dword v3, v0, s[0:3], 0 offen offset:4
	buffer_load_dword v4, v0, s[0:3], 0 offen offset:8
	;; [unrolled: 1-line block ×6, first 2 shown]
	buffer_load_dword v133, v1, s[0:3], 0 offen
	s_waitcnt vmcnt(7)
	buffer_store_dword v2, v1, s[0:3], 0 offen
	s_waitcnt vmcnt(6)
	buffer_store_dword v3, v1, s[0:3], 0 offen offset:4
	s_waitcnt vmcnt(5)
	buffer_store_dword v4, v1, s[0:3], 0 offen offset:8
	;; [unrolled: 2-line block ×6, first 2 shown]
	s_waitcnt vmcnt(0)
	buffer_store_dword v133, v0, s[0:3], 0 offen
.LBB125_516:
	v_mov_b32_e32 v0, 0
	global_load_dword v1, v0, s[12:13] offset:4
	s_waitcnt vmcnt(0)
	v_add_nc_u32_e32 v1, -1, v1
	v_cmp_eq_u32_e32 vcc_lo, 1, v1
	s_cbranch_vccnz .LBB125_518
; %bb.517:
	v_lshlrev_b32_e32 v1, 4, v1
	v_mov_b32_e32 v2, s75
	v_add_nc_u32_e32 v1, 16, v1
	s_clause 0x7
	buffer_load_dword v3, v1, s[0:3], 0 offen
	buffer_load_dword v4, v1, s[0:3], 0 offen offset:4
	buffer_load_dword v5, v1, s[0:3], 0 offen offset:8
	;; [unrolled: 1-line block ×6, first 2 shown]
	buffer_load_dword v134, v2, s[0:3], 0 offen
	s_waitcnt vmcnt(7)
	buffer_store_dword v3, v2, s[0:3], 0 offen
	s_waitcnt vmcnt(6)
	buffer_store_dword v4, v2, s[0:3], 0 offen offset:4
	s_waitcnt vmcnt(5)
	buffer_store_dword v5, v2, s[0:3], 0 offen offset:8
	;; [unrolled: 2-line block ×6, first 2 shown]
	s_waitcnt vmcnt(0)
	buffer_store_dword v134, v1, s[0:3], 0 offen
.LBB125_518:
	global_load_dword v0, v0, s[12:13]
	s_waitcnt vmcnt(0)
	v_add_nc_u32_e32 v0, -1, v0
	v_cmp_eq_u32_e32 vcc_lo, 0, v0
	s_cbranch_vccnz .LBB125_520
; %bb.519:
	v_lshlrev_b32_e32 v0, 4, v0
	v_add_nc_u32_e32 v0, 16, v0
	s_clause 0x7
	buffer_load_dword v1, v0, s[0:3], 0 offen
	buffer_load_dword v2, v0, s[0:3], 0 offen offset:4
	buffer_load_dword v3, v0, s[0:3], 0 offen offset:8
	;; [unrolled: 1-line block ×3, first 2 shown]
	buffer_load_dword v5, off, s[0:3], 0 offset:28
	buffer_load_dword v6, off, s[0:3], 0 offset:24
	;; [unrolled: 1-line block ×4, first 2 shown]
	s_waitcnt vmcnt(7)
	buffer_store_dword v1, off, s[0:3], 0 offset:16
	s_waitcnt vmcnt(6)
	buffer_store_dword v2, off, s[0:3], 0 offset:20
	;; [unrolled: 2-line block ×4, first 2 shown]
	s_waitcnt vmcnt(3)
	buffer_store_dword v5, v0, s[0:3], 0 offen offset:12
	s_waitcnt vmcnt(2)
	buffer_store_dword v6, v0, s[0:3], 0 offen offset:8
	;; [unrolled: 2-line block ×3, first 2 shown]
	s_waitcnt vmcnt(0)
	buffer_store_dword v8, v0, s[0:3], 0 offen
.LBB125_520:
	s_clause 0x3
	buffer_load_dword v0, off, s[0:3], 0 offset:16
	buffer_load_dword v1, off, s[0:3], 0 offset:20
	;; [unrolled: 1-line block ×4, first 2 shown]
	v_mov_b32_e32 v4, s75
	s_waitcnt vmcnt(0)
	flat_store_dwordx4 v[9:10], v[0:3]
	s_clause 0x3
	buffer_load_dword v0, v4, s[0:3], 0 offen
	buffer_load_dword v1, v4, s[0:3], 0 offen offset:4
	buffer_load_dword v2, v4, s[0:3], 0 offen offset:8
	buffer_load_dword v3, v4, s[0:3], 0 offen offset:12
	v_mov_b32_e32 v4, s74
	s_waitcnt vmcnt(0)
	flat_store_dwordx4 v[63:64], v[0:3]
	s_clause 0x3
	buffer_load_dword v0, v4, s[0:3], 0 offen
	buffer_load_dword v1, v4, s[0:3], 0 offen offset:4
	buffer_load_dword v2, v4, s[0:3], 0 offen offset:8
	buffer_load_dword v3, v4, s[0:3], 0 offen offset:12
	;; [unrolled: 8-line block ×61, first 2 shown]
	s_waitcnt vmcnt(0)
	flat_store_dwordx4 v[131:132], v[0:3]
	s_endpgm
	.section	.rodata,"a",@progbits
	.p2align	6, 0x0
	.amdhsa_kernel _ZN9rocsolver6v33100L18getri_kernel_smallILi62E19rocblas_complex_numIdEPKPS3_EEvT1_iilPiilS8_bb
		.amdhsa_group_segment_fixed_size 1992
		.amdhsa_private_segment_fixed_size 1024
		.amdhsa_kernarg_size 60
		.amdhsa_user_sgpr_count 6
		.amdhsa_user_sgpr_private_segment_buffer 1
		.amdhsa_user_sgpr_dispatch_ptr 0
		.amdhsa_user_sgpr_queue_ptr 0
		.amdhsa_user_sgpr_kernarg_segment_ptr 1
		.amdhsa_user_sgpr_dispatch_id 0
		.amdhsa_user_sgpr_flat_scratch_init 0
		.amdhsa_user_sgpr_private_segment_size 0
		.amdhsa_wavefront_size32 1
		.amdhsa_uses_dynamic_stack 0
		.amdhsa_system_sgpr_private_segment_wavefront_offset 1
		.amdhsa_system_sgpr_workgroup_id_x 1
		.amdhsa_system_sgpr_workgroup_id_y 0
		.amdhsa_system_sgpr_workgroup_id_z 0
		.amdhsa_system_sgpr_workgroup_info 0
		.amdhsa_system_vgpr_workitem_id 0
		.amdhsa_next_free_vgpr 219
		.amdhsa_next_free_sgpr 105
		.amdhsa_reserve_vcc 1
		.amdhsa_reserve_flat_scratch 0
		.amdhsa_float_round_mode_32 0
		.amdhsa_float_round_mode_16_64 0
		.amdhsa_float_denorm_mode_32 3
		.amdhsa_float_denorm_mode_16_64 3
		.amdhsa_dx10_clamp 1
		.amdhsa_ieee_mode 1
		.amdhsa_fp16_overflow 0
		.amdhsa_workgroup_processor_mode 1
		.amdhsa_memory_ordered 1
		.amdhsa_forward_progress 1
		.amdhsa_shared_vgpr_count 0
		.amdhsa_exception_fp_ieee_invalid_op 0
		.amdhsa_exception_fp_denorm_src 0
		.amdhsa_exception_fp_ieee_div_zero 0
		.amdhsa_exception_fp_ieee_overflow 0
		.amdhsa_exception_fp_ieee_underflow 0
		.amdhsa_exception_fp_ieee_inexact 0
		.amdhsa_exception_int_div_zero 0
	.end_amdhsa_kernel
	.section	.text._ZN9rocsolver6v33100L18getri_kernel_smallILi62E19rocblas_complex_numIdEPKPS3_EEvT1_iilPiilS8_bb,"axG",@progbits,_ZN9rocsolver6v33100L18getri_kernel_smallILi62E19rocblas_complex_numIdEPKPS3_EEvT1_iilPiilS8_bb,comdat
.Lfunc_end125:
	.size	_ZN9rocsolver6v33100L18getri_kernel_smallILi62E19rocblas_complex_numIdEPKPS3_EEvT1_iilPiilS8_bb, .Lfunc_end125-_ZN9rocsolver6v33100L18getri_kernel_smallILi62E19rocblas_complex_numIdEPKPS3_EEvT1_iilPiilS8_bb
                                        ; -- End function
	.set _ZN9rocsolver6v33100L18getri_kernel_smallILi62E19rocblas_complex_numIdEPKPS3_EEvT1_iilPiilS8_bb.num_vgpr, 219
	.set _ZN9rocsolver6v33100L18getri_kernel_smallILi62E19rocblas_complex_numIdEPKPS3_EEvT1_iilPiilS8_bb.num_agpr, 0
	.set _ZN9rocsolver6v33100L18getri_kernel_smallILi62E19rocblas_complex_numIdEPKPS3_EEvT1_iilPiilS8_bb.numbered_sgpr, 105
	.set _ZN9rocsolver6v33100L18getri_kernel_smallILi62E19rocblas_complex_numIdEPKPS3_EEvT1_iilPiilS8_bb.num_named_barrier, 0
	.set _ZN9rocsolver6v33100L18getri_kernel_smallILi62E19rocblas_complex_numIdEPKPS3_EEvT1_iilPiilS8_bb.private_seg_size, 1024
	.set _ZN9rocsolver6v33100L18getri_kernel_smallILi62E19rocblas_complex_numIdEPKPS3_EEvT1_iilPiilS8_bb.uses_vcc, 1
	.set _ZN9rocsolver6v33100L18getri_kernel_smallILi62E19rocblas_complex_numIdEPKPS3_EEvT1_iilPiilS8_bb.uses_flat_scratch, 0
	.set _ZN9rocsolver6v33100L18getri_kernel_smallILi62E19rocblas_complex_numIdEPKPS3_EEvT1_iilPiilS8_bb.has_dyn_sized_stack, 0
	.set _ZN9rocsolver6v33100L18getri_kernel_smallILi62E19rocblas_complex_numIdEPKPS3_EEvT1_iilPiilS8_bb.has_recursion, 0
	.set _ZN9rocsolver6v33100L18getri_kernel_smallILi62E19rocblas_complex_numIdEPKPS3_EEvT1_iilPiilS8_bb.has_indirect_call, 0
	.section	.AMDGPU.csdata,"",@progbits
; Kernel info:
; codeLenInByte = 245192
; TotalNumSgprs: 107
; NumVgprs: 219
; ScratchSize: 1024
; MemoryBound: 0
; FloatMode: 240
; IeeeMode: 1
; LDSByteSize: 1992 bytes/workgroup (compile time only)
; SGPRBlocks: 0
; VGPRBlocks: 27
; NumSGPRsForWavesPerEU: 107
; NumVGPRsForWavesPerEU: 219
; Occupancy: 4
; WaveLimiterHint : 1
; COMPUTE_PGM_RSRC2:SCRATCH_EN: 1
; COMPUTE_PGM_RSRC2:USER_SGPR: 6
; COMPUTE_PGM_RSRC2:TRAP_HANDLER: 0
; COMPUTE_PGM_RSRC2:TGID_X_EN: 1
; COMPUTE_PGM_RSRC2:TGID_Y_EN: 0
; COMPUTE_PGM_RSRC2:TGID_Z_EN: 0
; COMPUTE_PGM_RSRC2:TIDIG_COMP_CNT: 0
	.section	.text._ZN9rocsolver6v33100L18getri_kernel_smallILi63E19rocblas_complex_numIdEPKPS3_EEvT1_iilPiilS8_bb,"axG",@progbits,_ZN9rocsolver6v33100L18getri_kernel_smallILi63E19rocblas_complex_numIdEPKPS3_EEvT1_iilPiilS8_bb,comdat
	.globl	_ZN9rocsolver6v33100L18getri_kernel_smallILi63E19rocblas_complex_numIdEPKPS3_EEvT1_iilPiilS8_bb ; -- Begin function _ZN9rocsolver6v33100L18getri_kernel_smallILi63E19rocblas_complex_numIdEPKPS3_EEvT1_iilPiilS8_bb
	.p2align	8
	.type	_ZN9rocsolver6v33100L18getri_kernel_smallILi63E19rocblas_complex_numIdEPKPS3_EEvT1_iilPiilS8_bb,@function
_ZN9rocsolver6v33100L18getri_kernel_smallILi63E19rocblas_complex_numIdEPKPS3_EEvT1_iilPiilS8_bb: ; @_ZN9rocsolver6v33100L18getri_kernel_smallILi63E19rocblas_complex_numIdEPKPS3_EEvT1_iilPiilS8_bb
; %bb.0:
	s_add_u32 s0, s0, s7
	s_addc_u32 s1, s1, 0
	s_mov_b32 s7, exec_lo
	v_cmpx_gt_u32_e32 63, v0
	s_cbranch_execz .LBB126_278
; %bb.1:
	s_clause 0x2
	s_load_dword s16, s[4:5], 0x38
	s_load_dwordx2 s[12:13], s[4:5], 0x0
	; meta instruction
	s_load_dwordx4 s[8:11], s[4:5], 0x28
	s_waitcnt lgkmcnt(0)
	s_bitcmp1_b32 s16, 8
	s_cselect_b32 s7, -1, 0
	v_writelane_b32 v221, s7, 0
	s_ashr_i32 s7, s6, 31
	s_lshl_b64 s[14:15], s[6:7], 3
	s_add_u32 s12, s12, s14
	s_addc_u32 s13, s13, s15
	s_load_dwordx2 s[14:15], s[12:13], 0x0
	s_bfe_u32 s12, s16, 0x10008
	s_cmp_eq_u32 s12, 0
                                        ; implicit-def: $sgpr12_sgpr13
	s_cbranch_scc1 .LBB126_3
; %bb.2:
	s_clause 0x1
	s_load_dword s12, s[4:5], 0x20
	s_load_dwordx2 s[16:17], s[4:5], 0x18
	s_mul_i32 s13, s8, s7
	s_mul_hi_u32 s18, s8, s6
	s_mul_i32 s9, s9, s6
	s_add_i32 s13, s18, s13
	s_mul_i32 s8, s8, s6
	s_add_i32 s9, s13, s9
	s_lshl_b64 s[8:9], s[8:9], 2
	s_waitcnt lgkmcnt(0)
	s_ashr_i32 s13, s12, 31
	s_add_u32 s16, s16, s8
	s_addc_u32 s17, s17, s9
	s_lshl_b64 s[8:9], s[12:13], 2
	s_add_u32 s12, s16, s8
	s_addc_u32 s13, s17, s9
.LBB126_3:
	s_clause 0x1
	s_load_dwordx2 s[8:9], s[4:5], 0x8
	s_load_dword s78, s[4:5], 0x38
	v_lshlrev_b32_e32 v137, 4, v0
	s_movk_i32 s16, 0xa0
	s_movk_i32 s17, 0xb0
	;; [unrolled: 1-line block ×17, first 2 shown]
	s_waitcnt lgkmcnt(0)
	s_ashr_i32 s5, s8, 31
	s_mov_b32 s4, s8
	v_add3_u32 v5, s9, s9, v0
	s_lshl_b64 s[4:5], s[4:5], 4
	s_movk_i32 s34, 0x1b0
	s_add_u32 s8, s14, s4
	s_addc_u32 s14, s15, s5
	v_add_co_u32 v9, s4, s8, v137
	v_add_co_ci_u32_e64 v10, null, s14, 0, s4
	s_mov_b32 s4, s9
	s_ashr_i32 s5, s9, 31
	v_ashrrev_i32_e32 v6, 31, v5
	flat_load_dwordx4 v[1:4], v[9:10]
	s_lshl_b64 s[4:5], s[4:5], 4
	s_movk_i32 s15, 0x90
	v_add_co_u32 v63, vcc_lo, v9, s4
	v_add_co_ci_u32_e64 v64, null, s5, v10, vcc_lo
	v_lshlrev_b64 v[6:7], 4, v[5:6]
	v_add_nc_u32_e32 v5, s9, v5
	s_movk_i32 s4, 0x50
	s_movk_i32 s35, 0x1c0
	s_movk_i32 s36, 0x1d0
	s_movk_i32 s37, 0x1e0
	v_add_co_u32 v61, vcc_lo, s8, v6
	v_add_co_ci_u32_e64 v62, null, s14, v7, vcc_lo
	v_ashrrev_i32_e32 v6, 31, v5
	s_movk_i32 s38, 0x1f0
	s_movk_i32 s39, 0x200
	s_movk_i32 s40, 0x210
	s_movk_i32 s41, 0x220
	v_lshlrev_b64 v[6:7], 4, v[5:6]
	v_add_nc_u32_e32 v5, s9, v5
	s_movk_i32 s42, 0x230
	s_movk_i32 s79, 0x240
	s_movk_i32 s80, 0x250
	s_movk_i32 s81, 0x260
	v_add_co_u32 v57, vcc_lo, s8, v6
	v_add_co_ci_u32_e64 v58, null, s14, v7, vcc_lo
	v_ashrrev_i32_e32 v6, 31, v5
	s_movk_i32 s82, 0x270
	s_movk_i32 s83, 0x280
	s_movk_i32 s84, 0x290
	s_movk_i32 s85, 0x2a0
	;; [unrolled: 13-line block ×4, first 2 shown]
	v_lshlrev_b64 v[6:7], 4, v[5:6]
	v_add_nc_u32_e32 v5, s9, v5
	s_movk_i32 s104, 0x3b0
	s_movk_i32 vcc_hi, 0x3d0
	s_movk_i32 s77, 0x3e0
	s_add_i32 s72, s4, 16
	v_add_co_u32 v51, vcc_lo, s8, v6
	v_add_co_ci_u32_e64 v52, null, s14, v7, vcc_lo
	v_ashrrev_i32_e32 v6, 31, v5
	s_add_i32 s68, s15, 16
	s_add_i32 s67, s16, 16
	s_add_i32 s66, s17, 16
	s_add_i32 s65, s18, 16
	v_lshlrev_b64 v[6:7], 4, v[5:6]
	v_add_nc_u32_e32 v5, s9, v5
	s_add_i32 s64, s19, 16
	s_add_i32 s63, s20, 16
	s_add_i32 s62, s21, 16
	s_add_i32 s61, s22, 16
	v_add_co_u32 v49, vcc_lo, s8, v6
	v_add_co_ci_u32_e64 v50, null, s14, v7, vcc_lo
	v_ashrrev_i32_e32 v6, 31, v5
	s_add_i32 s60, s23, 16
	s_add_i32 s59, s24, 16
	s_add_i32 s58, s25, 16
	s_add_i32 s57, s26, 16
	v_lshlrev_b64 v[6:7], 4, v[5:6]
	v_add_nc_u32_e32 v5, s9, v5
	s_add_i32 s56, s27, 16
	s_add_i32 s55, s28, 16
	s_add_i32 s54, s29, 16
	s_add_i32 s53, s30, 16
	v_add_co_u32 v47, vcc_lo, s8, v6
	v_add_co_ci_u32_e64 v48, null, s14, v7, vcc_lo
	v_ashrrev_i32_e32 v6, 31, v5
	s_add_i32 s52, s31, 16
	s_add_i32 s51, s33, 16
	s_add_i32 s50, s34, 16
	s_add_i32 s49, s35, 16
	v_lshlrev_b64 v[6:7], 4, v[5:6]
	v_add_nc_u32_e32 v5, s9, v5
	s_add_i32 s48, s36, 16
	s_add_i32 s47, s37, 16
	s_add_i32 s46, s38, 16
	s_add_i32 s45, s39, 16
	v_add_co_u32 v45, vcc_lo, s8, v6
	v_add_co_ci_u32_e64 v46, null, s14, v7, vcc_lo
	v_ashrrev_i32_e32 v6, 31, v5
	s_add_i32 s44, s40, 16
	s_add_i32 s43, s41, 16
	s_add_i32 s42, s42, 16
	s_add_i32 s41, s79, 16
	v_lshlrev_b64 v[6:7], 4, v[5:6]
	v_add_nc_u32_e32 v5, s9, v5
	s_add_i32 s40, s80, 16
	s_add_i32 s39, s81, 16
	s_add_i32 s38, s82, 16
	s_add_i32 s37, s83, 16
	v_add_co_u32 v43, vcc_lo, s8, v6
	v_add_co_ci_u32_e64 v44, null, s14, v7, vcc_lo
	v_ashrrev_i32_e32 v6, 31, v5
	s_add_i32 s36, s84, 16
	s_add_i32 s35, s85, 16
	s_add_i32 s34, s86, 16
	s_add_i32 s33, s87, 16
	v_lshlrev_b64 v[6:7], 4, v[5:6]
	v_add_nc_u32_e32 v5, s9, v5
	s_add_i32 s31, s88, 16
	s_add_i32 s30, s89, 16
	s_add_i32 s29, s90, 16
	s_add_i32 s28, s91, 16
	v_add_co_u32 v41, vcc_lo, s8, v6
	v_add_co_ci_u32_e64 v42, null, s14, v7, vcc_lo
	v_ashrrev_i32_e32 v6, 31, v5
	s_add_i32 s27, s92, 16
	s_add_i32 s26, s93, 16
	s_add_i32 s25, s94, 16
	s_add_i32 s24, s95, 16
	v_lshlrev_b64 v[6:7], 4, v[5:6]
	v_add_nc_u32_e32 v5, s9, v5
	s_add_i32 s23, s96, 16
	s_add_i32 s22, s97, 16
	s_add_i32 s21, s98, 16
	s_add_i32 s20, s99, 16
	v_add_co_u32 v37, vcc_lo, s8, v6
	v_add_co_ci_u32_e64 v38, null, s14, v7, vcc_lo
	v_ashrrev_i32_e32 v6, 31, v5
	s_add_i32 s19, s100, 16
	s_add_i32 s18, s101, 16
	;; [unrolled: 1-line block ×3, first 2 shown]
	s_add_i32 s15, vcc_hi, 16
	v_lshlrev_b64 v[6:7], 4, v[5:6]
	v_add_nc_u32_e32 v5, s9, v5
	s_mov_b32 s5, -1
	s_mov_b32 s76, 32
	s_mov_b32 s75, 48
	s_mov_b32 s74, 64
	v_add_co_u32 v35, vcc_lo, s8, v6
	v_add_co_ci_u32_e64 v36, null, s14, v7, vcc_lo
	v_ashrrev_i32_e32 v6, 31, v5
	s_movk_i32 s73, 0x50
	s_waitcnt vmcnt(0) lgkmcnt(0)
	buffer_store_dword v4, off, s[0:3], 0 offset:28
	buffer_store_dword v3, off, s[0:3], 0 offset:24
	buffer_store_dword v2, off, s[0:3], 0 offset:20
	buffer_store_dword v1, off, s[0:3], 0 offset:16
	flat_load_dwordx4 v[1:4], v[63:64]
	v_lshlrev_b64 v[6:7], 4, v[5:6]
	v_add_nc_u32_e32 v5, s9, v5
	s_waitcnt vmcnt(0) lgkmcnt(0)
	buffer_store_dword v4, off, s[0:3], 0 offset:44
	buffer_store_dword v3, off, s[0:3], 0 offset:40
	buffer_store_dword v2, off, s[0:3], 0 offset:36
	buffer_store_dword v1, off, s[0:3], 0 offset:32
	flat_load_dwordx4 v[1:4], v[61:62]
	v_add_co_u32 v33, vcc_lo, s8, v6
	v_add_co_ci_u32_e64 v34, null, s14, v7, vcc_lo
	v_ashrrev_i32_e32 v6, 31, v5
	s_waitcnt vmcnt(0) lgkmcnt(0)
	buffer_store_dword v4, off, s[0:3], 0 offset:60
	buffer_store_dword v3, off, s[0:3], 0 offset:56
	buffer_store_dword v2, off, s[0:3], 0 offset:52
	buffer_store_dword v1, off, s[0:3], 0 offset:48
	flat_load_dwordx4 v[1:4], v[57:58]
	v_lshlrev_b64 v[6:7], 4, v[5:6]
	v_add_nc_u32_e32 v5, s9, v5
	s_waitcnt vmcnt(0) lgkmcnt(0)
	buffer_store_dword v4, off, s[0:3], 0 offset:76
	buffer_store_dword v3, off, s[0:3], 0 offset:72
	buffer_store_dword v2, off, s[0:3], 0 offset:68
	buffer_store_dword v1, off, s[0:3], 0 offset:64
	flat_load_dwordx4 v[1:4], v[55:56]
	v_add_co_u32 v31, vcc_lo, s8, v6
	v_add_co_ci_u32_e64 v32, null, s14, v7, vcc_lo
	v_ashrrev_i32_e32 v6, 31, v5
	s_waitcnt vmcnt(0) lgkmcnt(0)
	buffer_store_dword v4, off, s[0:3], 0 offset:92
	buffer_store_dword v3, off, s[0:3], 0 offset:88
	buffer_store_dword v2, off, s[0:3], 0 offset:84
	buffer_store_dword v1, off, s[0:3], 0 offset:80
	flat_load_dwordx4 v[1:4], v[53:54]
	v_lshlrev_b64 v[6:7], 4, v[5:6]
	v_add_nc_u32_e32 v5, s9, v5
	s_waitcnt vmcnt(0) lgkmcnt(0)
	buffer_store_dword v4, off, s[0:3], 0 offset:108
	buffer_store_dword v3, off, s[0:3], 0 offset:104
	buffer_store_dword v2, off, s[0:3], 0 offset:100
	buffer_store_dword v1, off, s[0:3], 0 offset:96
	flat_load_dwordx4 v[1:4], v[51:52]
	v_add_co_u32 v29, vcc_lo, s8, v6
	v_add_co_ci_u32_e64 v30, null, s14, v7, vcc_lo
	v_ashrrev_i32_e32 v6, 31, v5
	s_waitcnt vmcnt(0) lgkmcnt(0)
	buffer_store_dword v4, off, s[0:3], 0 offset:124
	buffer_store_dword v3, off, s[0:3], 0 offset:120
	buffer_store_dword v2, off, s[0:3], 0 offset:116
	buffer_store_dword v1, off, s[0:3], 0 offset:112
	flat_load_dwordx4 v[1:4], v[49:50]
	v_lshlrev_b64 v[6:7], 4, v[5:6]
	v_add_nc_u32_e32 v5, s9, v5
	s_waitcnt vmcnt(0) lgkmcnt(0)
	buffer_store_dword v4, off, s[0:3], 0 offset:140
	buffer_store_dword v3, off, s[0:3], 0 offset:136
	buffer_store_dword v2, off, s[0:3], 0 offset:132
	buffer_store_dword v1, off, s[0:3], 0 offset:128
	flat_load_dwordx4 v[1:4], v[47:48]
	v_add_co_u32 v27, vcc_lo, s8, v6
	v_add_co_ci_u32_e64 v28, null, s14, v7, vcc_lo
	v_ashrrev_i32_e32 v6, 31, v5
	s_waitcnt vmcnt(0) lgkmcnt(0)
	buffer_store_dword v4, off, s[0:3], 0 offset:156
	buffer_store_dword v3, off, s[0:3], 0 offset:152
	buffer_store_dword v2, off, s[0:3], 0 offset:148
	buffer_store_dword v1, off, s[0:3], 0 offset:144
	flat_load_dwordx4 v[1:4], v[45:46]
	v_lshlrev_b64 v[6:7], 4, v[5:6]
	v_add_nc_u32_e32 v5, s9, v5
	s_waitcnt vmcnt(0) lgkmcnt(0)
	buffer_store_dword v4, off, s[0:3], 0 offset:172
	buffer_store_dword v3, off, s[0:3], 0 offset:168
	buffer_store_dword v2, off, s[0:3], 0 offset:164
	buffer_store_dword v1, off, s[0:3], 0 offset:160
	flat_load_dwordx4 v[1:4], v[43:44]
	v_add_co_u32 v25, vcc_lo, s8, v6
	v_add_co_ci_u32_e64 v26, null, s14, v7, vcc_lo
	v_ashrrev_i32_e32 v6, 31, v5
	s_waitcnt vmcnt(0) lgkmcnt(0)
	buffer_store_dword v4, off, s[0:3], 0 offset:188
	buffer_store_dword v3, off, s[0:3], 0 offset:184
	buffer_store_dword v2, off, s[0:3], 0 offset:180
	buffer_store_dword v1, off, s[0:3], 0 offset:176
	flat_load_dwordx4 v[1:4], v[41:42]
	v_lshlrev_b64 v[6:7], 4, v[5:6]
	v_add_nc_u32_e32 v5, s9, v5
	s_waitcnt vmcnt(0) lgkmcnt(0)
	buffer_store_dword v4, off, s[0:3], 0 offset:204
	buffer_store_dword v3, off, s[0:3], 0 offset:200
	buffer_store_dword v2, off, s[0:3], 0 offset:196
	buffer_store_dword v1, off, s[0:3], 0 offset:192
	flat_load_dwordx4 v[1:4], v[37:38]
	v_add_co_u32 v23, vcc_lo, s8, v6
	v_add_co_ci_u32_e64 v24, null, s14, v7, vcc_lo
	v_ashrrev_i32_e32 v6, 31, v5
	s_waitcnt vmcnt(0) lgkmcnt(0)
	buffer_store_dword v4, off, s[0:3], 0 offset:220
	buffer_store_dword v3, off, s[0:3], 0 offset:216
	buffer_store_dword v2, off, s[0:3], 0 offset:212
	buffer_store_dword v1, off, s[0:3], 0 offset:208
	flat_load_dwordx4 v[1:4], v[35:36]
	v_lshlrev_b64 v[6:7], 4, v[5:6]
	v_add_nc_u32_e32 v5, s9, v5
	s_waitcnt vmcnt(0) lgkmcnt(0)
	buffer_store_dword v4, off, s[0:3], 0 offset:236
	buffer_store_dword v3, off, s[0:3], 0 offset:232
	buffer_store_dword v2, off, s[0:3], 0 offset:228
	buffer_store_dword v1, off, s[0:3], 0 offset:224
	flat_load_dwordx4 v[1:4], v[33:34]
	v_add_co_u32 v21, vcc_lo, s8, v6
	v_add_co_ci_u32_e64 v22, null, s14, v7, vcc_lo
	v_ashrrev_i32_e32 v6, 31, v5
	s_waitcnt vmcnt(0) lgkmcnt(0)
	buffer_store_dword v4, off, s[0:3], 0 offset:252
	buffer_store_dword v3, off, s[0:3], 0 offset:248
	buffer_store_dword v2, off, s[0:3], 0 offset:244
	buffer_store_dword v1, off, s[0:3], 0 offset:240
	flat_load_dwordx4 v[1:4], v[31:32]
	v_lshlrev_b64 v[6:7], 4, v[5:6]
	v_add_nc_u32_e32 v5, s9, v5
	s_waitcnt vmcnt(0) lgkmcnt(0)
	buffer_store_dword v4, off, s[0:3], 0 offset:268
	buffer_store_dword v3, off, s[0:3], 0 offset:264
	buffer_store_dword v2, off, s[0:3], 0 offset:260
	buffer_store_dword v1, off, s[0:3], 0 offset:256
	flat_load_dwordx4 v[1:4], v[29:30]
	v_add_co_u32 v19, vcc_lo, s8, v6
	v_add_co_ci_u32_e64 v20, null, s14, v7, vcc_lo
	v_ashrrev_i32_e32 v6, 31, v5
	s_waitcnt vmcnt(0) lgkmcnt(0)
	buffer_store_dword v4, off, s[0:3], 0 offset:284
	buffer_store_dword v3, off, s[0:3], 0 offset:280
	buffer_store_dword v2, off, s[0:3], 0 offset:276
	buffer_store_dword v1, off, s[0:3], 0 offset:272
	flat_load_dwordx4 v[1:4], v[27:28]
	v_lshlrev_b64 v[6:7], 4, v[5:6]
	v_add_nc_u32_e32 v5, s9, v5
	s_waitcnt vmcnt(0) lgkmcnt(0)
	buffer_store_dword v4, off, s[0:3], 0 offset:300
	buffer_store_dword v3, off, s[0:3], 0 offset:296
	buffer_store_dword v2, off, s[0:3], 0 offset:292
	buffer_store_dword v1, off, s[0:3], 0 offset:288
	flat_load_dwordx4 v[1:4], v[25:26]
	v_add_co_u32 v17, vcc_lo, s8, v6
	v_add_co_ci_u32_e64 v18, null, s14, v7, vcc_lo
	v_ashrrev_i32_e32 v6, 31, v5
	s_waitcnt vmcnt(0) lgkmcnt(0)
	buffer_store_dword v4, off, s[0:3], 0 offset:316
	buffer_store_dword v3, off, s[0:3], 0 offset:312
	buffer_store_dword v2, off, s[0:3], 0 offset:308
	buffer_store_dword v1, off, s[0:3], 0 offset:304
	flat_load_dwordx4 v[1:4], v[23:24]
	v_lshlrev_b64 v[6:7], 4, v[5:6]
	v_add_nc_u32_e32 v5, s9, v5
	s_waitcnt vmcnt(0) lgkmcnt(0)
	buffer_store_dword v4, off, s[0:3], 0 offset:332
	buffer_store_dword v3, off, s[0:3], 0 offset:328
	buffer_store_dword v2, off, s[0:3], 0 offset:324
	buffer_store_dword v1, off, s[0:3], 0 offset:320
	flat_load_dwordx4 v[1:4], v[21:22]
	v_add_co_u32 v15, vcc_lo, s8, v6
	v_add_co_ci_u32_e64 v16, null, s14, v7, vcc_lo
	v_ashrrev_i32_e32 v6, 31, v5
	s_waitcnt vmcnt(0) lgkmcnt(0)
	buffer_store_dword v4, off, s[0:3], 0 offset:348
	buffer_store_dword v3, off, s[0:3], 0 offset:344
	buffer_store_dword v2, off, s[0:3], 0 offset:340
	buffer_store_dword v1, off, s[0:3], 0 offset:336
	flat_load_dwordx4 v[1:4], v[19:20]
	v_lshlrev_b64 v[6:7], 4, v[5:6]
	v_add_nc_u32_e32 v5, s9, v5
	s_waitcnt vmcnt(0) lgkmcnt(0)
	buffer_store_dword v4, off, s[0:3], 0 offset:364
	buffer_store_dword v3, off, s[0:3], 0 offset:360
	buffer_store_dword v2, off, s[0:3], 0 offset:356
	buffer_store_dword v1, off, s[0:3], 0 offset:352
	flat_load_dwordx4 v[1:4], v[17:18]
	v_add_co_u32 v13, vcc_lo, s8, v6
	v_add_co_ci_u32_e64 v14, null, s14, v7, vcc_lo
	v_ashrrev_i32_e32 v6, 31, v5
	s_waitcnt vmcnt(0) lgkmcnt(0)
	buffer_store_dword v4, off, s[0:3], 0 offset:380
	buffer_store_dword v3, off, s[0:3], 0 offset:376
	buffer_store_dword v2, off, s[0:3], 0 offset:372
	buffer_store_dword v1, off, s[0:3], 0 offset:368
	flat_load_dwordx4 v[1:4], v[15:16]
	v_lshlrev_b64 v[6:7], 4, v[5:6]
	v_add_nc_u32_e32 v5, s9, v5
	s_waitcnt vmcnt(0) lgkmcnt(0)
	buffer_store_dword v4, off, s[0:3], 0 offset:396
	buffer_store_dword v3, off, s[0:3], 0 offset:392
	buffer_store_dword v2, off, s[0:3], 0 offset:388
	buffer_store_dword v1, off, s[0:3], 0 offset:384
	flat_load_dwordx4 v[1:4], v[13:14]
	v_add_co_u32 v11, vcc_lo, s8, v6
	v_add_co_ci_u32_e64 v12, null, s14, v7, vcc_lo
	v_ashrrev_i32_e32 v6, 31, v5
	s_waitcnt vmcnt(0) lgkmcnt(0)
	buffer_store_dword v4, off, s[0:3], 0 offset:412
	buffer_store_dword v3, off, s[0:3], 0 offset:408
	;; [unrolled: 1-line block ×4, first 2 shown]
	flat_load_dwordx4 v[1:4], v[11:12]
	v_lshlrev_b64 v[6:7], 4, v[5:6]
	v_add_nc_u32_e32 v5, s9, v5
	s_waitcnt vmcnt(0) lgkmcnt(0)
	buffer_store_dword v4, off, s[0:3], 0 offset:428
	buffer_store_dword v3, off, s[0:3], 0 offset:424
	;; [unrolled: 1-line block ×4, first 2 shown]
	v_add_co_u32 v39, vcc_lo, s8, v6
	v_add_co_ci_u32_e64 v40, null, s14, v7, vcc_lo
	v_ashrrev_i32_e32 v6, 31, v5
	flat_load_dwordx4 v[1:4], v[39:40]
	s_waitcnt vmcnt(0) lgkmcnt(0)
	buffer_store_dword v4, off, s[0:3], 0 offset:444
	buffer_store_dword v3, off, s[0:3], 0 offset:440
	buffer_store_dword v2, off, s[0:3], 0 offset:436
	buffer_store_dword v1, off, s[0:3], 0 offset:432
	v_lshlrev_b64 v[6:7], 4, v[5:6]
	v_add_nc_u32_e32 v5, s9, v5
	v_add_co_u32 v59, vcc_lo, s8, v6
	v_add_co_ci_u32_e64 v60, null, s14, v7, vcc_lo
	v_ashrrev_i32_e32 v6, 31, v5
	flat_load_dwordx4 v[1:4], v[59:60]
	s_waitcnt vmcnt(0) lgkmcnt(0)
	buffer_store_dword v4, off, s[0:3], 0 offset:460
	buffer_store_dword v3, off, s[0:3], 0 offset:456
	buffer_store_dword v2, off, s[0:3], 0 offset:452
	buffer_store_dword v1, off, s[0:3], 0 offset:448
	v_lshlrev_b64 v[6:7], 4, v[5:6]
	v_add_nc_u32_e32 v5, s9, v5
	;; [unrolled: 11-line block ×35, first 2 shown]
	s_movk_i32 s9, 0x70
	s_add_i32 s70, s9, 16
	v_add_co_u32 v131, vcc_lo, s8, v6
	v_add_co_ci_u32_e64 v132, null, s14, v7, vcc_lo
	v_ashrrev_i32_e32 v6, 31, v5
	flat_load_dwordx4 v[1:4], v[131:132]
	s_waitcnt vmcnt(0) lgkmcnt(0)
	buffer_store_dword v4, off, s[0:3], 0 offset:1004
	buffer_store_dword v3, off, s[0:3], 0 offset:1000
	;; [unrolled: 1-line block ×4, first 2 shown]
	v_lshlrev_b64 v[5:6], 4, v[5:6]
	v_add_co_u32 v133, vcc_lo, s8, v5
	v_add_co_ci_u32_e64 v134, null, s14, v6, vcc_lo
	s_movk_i32 s8, 0x60
	s_movk_i32 s14, 0x80
	s_movk_i32 vcc_lo, 0x3c0
	flat_load_dwordx4 v[1:4], v[133:134]
	s_add_i32 s71, s8, 16
	s_add_i32 s69, s14, 16
	s_add_i32 s16, vcc_lo, 16
	s_add_i32 s14, s77, 16
	s_bitcmp0_b32 s78, 0
	s_waitcnt vmcnt(0) lgkmcnt(0)
	buffer_store_dword v4, off, s[0:3], 0 offset:1020
	buffer_store_dword v3, off, s[0:3], 0 offset:1016
	;; [unrolled: 1-line block ×4, first 2 shown]
	s_cbranch_scc1 .LBB126_276
; %bb.4:
	v_cmp_eq_u32_e64 s4, 0, v0
	s_and_saveexec_b32 s5, s4
; %bb.5:
	v_mov_b32_e32 v1, 0
	ds_write_b32 v1, v1 offset:2016
; %bb.6:
	s_or_b32 exec_lo, exec_lo, s5
	v_lshl_add_u32 v138, v0, 4, 16
	s_waitcnt lgkmcnt(0)
	s_waitcnt_vscnt null, 0x0
	s_barrier
	buffer_gl0_inv
	s_clause 0x3
	buffer_load_dword v1, v138, s[0:3], 0 offen
	buffer_load_dword v2, v138, s[0:3], 0 offen offset:4
	buffer_load_dword v3, v138, s[0:3], 0 offen offset:8
	;; [unrolled: 1-line block ×3, first 2 shown]
	s_waitcnt vmcnt(2)
	v_cmp_eq_f64_e32 vcc_lo, 0, v[1:2]
	s_waitcnt vmcnt(0)
	v_cmp_eq_f64_e64 s5, 0, v[3:4]
	s_and_b32 s5, vcc_lo, s5
	s_and_saveexec_b32 s8, s5
	s_cbranch_execz .LBB126_10
; %bb.7:
	v_mov_b32_e32 v1, 0
	s_mov_b32 s9, 0
	ds_read_b32 v2, v1 offset:2016
	s_waitcnt lgkmcnt(0)
	v_readfirstlane_b32 s5, v2
	v_add_nc_u32_e32 v2, 1, v0
	s_cmp_eq_u32 s5, 0
	v_cmp_gt_i32_e32 vcc_lo, s5, v2
	s_cselect_b32 s77, -1, 0
	s_or_b32 s77, s77, vcc_lo
	s_and_b32 exec_lo, exec_lo, s77
	s_cbranch_execz .LBB126_10
; %bb.8:
	v_mov_b32_e32 v3, s5
.LBB126_9:                              ; =>This Inner Loop Header: Depth=1
	ds_cmpst_rtn_b32 v3, v1, v3, v2 offset:2016
	s_waitcnt lgkmcnt(0)
	v_cmp_ne_u32_e32 vcc_lo, 0, v3
	v_cmp_le_i32_e64 s5, v3, v2
	s_and_b32 s5, vcc_lo, s5
	s_and_b32 s5, exec_lo, s5
	s_or_b32 s9, s5, s9
	s_andn2_b32 exec_lo, exec_lo, s9
	s_cbranch_execnz .LBB126_9
.LBB126_10:
	s_or_b32 exec_lo, exec_lo, s8
	v_mov_b32_e32 v1, 0
	s_barrier
	buffer_gl0_inv
	ds_read_b32 v2, v1 offset:2016
	s_and_saveexec_b32 s5, s4
	s_cbranch_execz .LBB126_12
; %bb.11:
	s_lshl_b64 s[8:9], s[6:7], 2
	s_add_u32 s8, s10, s8
	s_addc_u32 s9, s11, s9
	s_waitcnt lgkmcnt(0)
	global_store_dword v1, v2, s[8:9]
.LBB126_12:
	s_or_b32 exec_lo, exec_lo, s5
	s_waitcnt lgkmcnt(0)
	v_cmp_ne_u32_e32 vcc_lo, 0, v2
	s_mov_b32 s5, 0
	s_cbranch_vccnz .LBB126_276
; %bb.13:
	s_clause 0x3
	buffer_load_dword v7, v138, s[0:3], 0 offen
	buffer_load_dword v8, v138, s[0:3], 0 offen offset:4
	buffer_load_dword v135, v138, s[0:3], 0 offen offset:8
	;; [unrolled: 1-line block ×3, first 2 shown]
                                        ; implicit-def: $vgpr5_vgpr6
                                        ; implicit-def: $vgpr3_vgpr4
	s_waitcnt vmcnt(0)
	v_cmp_ngt_f64_e64 s5, |v[7:8]|, |v[135:136]|
	s_and_saveexec_b32 s8, s5
	s_xor_b32 s5, exec_lo, s8
	s_cbranch_execz .LBB126_15
; %bb.14:
	v_div_scale_f64 v[1:2], null, v[135:136], v[135:136], v[7:8]
	v_div_scale_f64 v[139:140], vcc_lo, v[7:8], v[135:136], v[7:8]
	v_rcp_f64_e32 v[3:4], v[1:2]
	v_fma_f64 v[5:6], -v[1:2], v[3:4], 1.0
	v_fma_f64 v[3:4], v[3:4], v[5:6], v[3:4]
	v_fma_f64 v[5:6], -v[1:2], v[3:4], 1.0
	v_fma_f64 v[3:4], v[3:4], v[5:6], v[3:4]
	v_mul_f64 v[5:6], v[139:140], v[3:4]
	v_fma_f64 v[1:2], -v[1:2], v[5:6], v[139:140]
	v_div_fmas_f64 v[1:2], v[1:2], v[3:4], v[5:6]
	v_div_fixup_f64 v[1:2], v[1:2], v[135:136], v[7:8]
	v_fma_f64 v[3:4], v[7:8], v[1:2], v[135:136]
	v_div_scale_f64 v[5:6], null, v[3:4], v[3:4], 1.0
	v_div_scale_f64 v[139:140], vcc_lo, 1.0, v[3:4], 1.0
	v_rcp_f64_e32 v[7:8], v[5:6]
	v_fma_f64 v[135:136], -v[5:6], v[7:8], 1.0
	v_fma_f64 v[7:8], v[7:8], v[135:136], v[7:8]
	v_fma_f64 v[135:136], -v[5:6], v[7:8], 1.0
	v_fma_f64 v[7:8], v[7:8], v[135:136], v[7:8]
	v_mul_f64 v[135:136], v[139:140], v[7:8]
	v_fma_f64 v[5:6], -v[5:6], v[135:136], v[139:140]
	v_div_fmas_f64 v[5:6], v[5:6], v[7:8], v[135:136]
                                        ; implicit-def: $vgpr7_vgpr8
                                        ; implicit-def: $vgpr135_vgpr136
	v_div_fixup_f64 v[3:4], v[5:6], v[3:4], 1.0
	v_mul_f64 v[5:6], v[1:2], v[3:4]
	v_xor_b32_e32 v4, 0x80000000, v4
	v_xor_b32_e32 v2, 0x80000000, v6
	v_mov_b32_e32 v1, v5
.LBB126_15:
	s_andn2_saveexec_b32 s5, s5
	s_cbranch_execz .LBB126_17
; %bb.16:
	v_div_scale_f64 v[1:2], null, v[7:8], v[7:8], v[135:136]
	v_div_scale_f64 v[139:140], vcc_lo, v[135:136], v[7:8], v[135:136]
	v_rcp_f64_e32 v[3:4], v[1:2]
	v_fma_f64 v[5:6], -v[1:2], v[3:4], 1.0
	v_fma_f64 v[3:4], v[3:4], v[5:6], v[3:4]
	v_fma_f64 v[5:6], -v[1:2], v[3:4], 1.0
	v_fma_f64 v[3:4], v[3:4], v[5:6], v[3:4]
	v_mul_f64 v[5:6], v[139:140], v[3:4]
	v_fma_f64 v[1:2], -v[1:2], v[5:6], v[139:140]
	v_div_fmas_f64 v[1:2], v[1:2], v[3:4], v[5:6]
	v_div_fixup_f64 v[1:2], v[1:2], v[7:8], v[135:136]
	v_fma_f64 v[3:4], v[135:136], v[1:2], v[7:8]
	v_div_scale_f64 v[5:6], null, v[3:4], v[3:4], 1.0
	v_rcp_f64_e32 v[7:8], v[5:6]
	v_fma_f64 v[135:136], -v[5:6], v[7:8], 1.0
	v_fma_f64 v[7:8], v[7:8], v[135:136], v[7:8]
	v_fma_f64 v[135:136], -v[5:6], v[7:8], 1.0
	v_fma_f64 v[7:8], v[7:8], v[135:136], v[7:8]
	v_div_scale_f64 v[135:136], vcc_lo, 1.0, v[3:4], 1.0
	v_mul_f64 v[139:140], v[135:136], v[7:8]
	v_fma_f64 v[5:6], -v[5:6], v[139:140], v[135:136]
	v_div_fmas_f64 v[5:6], v[5:6], v[7:8], v[139:140]
	v_div_fixup_f64 v[5:6], v[5:6], v[3:4], 1.0
	v_mul_f64 v[3:4], v[1:2], -v[5:6]
	v_xor_b32_e32 v2, 0x80000000, v6
	v_mov_b32_e32 v1, v5
.LBB126_17:
	s_or_b32 exec_lo, exec_lo, s5
	v_mov_b32_e32 v7, s76
	buffer_store_dword v6, v138, s[0:3], 0 offen offset:4
	buffer_store_dword v5, v138, s[0:3], 0 offen
	buffer_store_dword v4, v138, s[0:3], 0 offen offset:12
	buffer_store_dword v3, v138, s[0:3], 0 offen offset:8
	v_xor_b32_e32 v4, 0x80000000, v4
	v_add_nc_u32_e32 v5, 0x3f0, v137
	s_clause 0x3
	buffer_load_dword v142, v7, s[0:3], 0 offen offset:12
	buffer_load_dword v141, v7, s[0:3], 0 offen offset:8
	buffer_load_dword v140, v7, s[0:3], 0 offen offset:4
	buffer_load_dword v139, v7, s[0:3], 0 offen
	ds_write_b128 v137, v[1:4]
	s_waitcnt vmcnt(0)
	ds_write_b128 v137, v[139:142] offset:1008
	s_waitcnt lgkmcnt(0)
	s_waitcnt_vscnt null, 0x0
	s_barrier
	buffer_gl0_inv
	s_and_saveexec_b32 s5, s4
	s_cbranch_execz .LBB126_19
; %bb.18:
	s_clause 0x3
	buffer_load_dword v6, v138, s[0:3], 0 offen offset:8
	buffer_load_dword v7, v138, s[0:3], 0 offen offset:12
	buffer_load_dword v135, v138, s[0:3], 0 offen
	buffer_load_dword v136, v138, s[0:3], 0 offen offset:4
	ds_read_b128 v[1:4], v5
	v_mov_b32_e32 v8, 0
	ds_read_b128 v[139:142], v8 offset:16
	s_waitcnt vmcnt(2) lgkmcnt(1)
	v_mul_f64 v[143:144], v[1:2], v[6:7]
	v_mul_f64 v[6:7], v[3:4], v[6:7]
	s_waitcnt vmcnt(0)
	v_fma_f64 v[3:4], v[3:4], v[135:136], v[143:144]
	v_fma_f64 v[1:2], v[1:2], v[135:136], -v[6:7]
	v_add_f64 v[3:4], v[3:4], 0
	v_add_f64 v[1:2], v[1:2], 0
	s_waitcnt lgkmcnt(0)
	v_mul_f64 v[6:7], v[3:4], v[141:142]
	v_mul_f64 v[135:136], v[1:2], v[141:142]
	v_fma_f64 v[1:2], v[1:2], v[139:140], -v[6:7]
	v_fma_f64 v[3:4], v[3:4], v[139:140], v[135:136]
	buffer_store_dword v1, off, s[0:3], 0 offset:32
	buffer_store_dword v2, off, s[0:3], 0 offset:36
	;; [unrolled: 1-line block ×4, first 2 shown]
.LBB126_19:
	s_or_b32 exec_lo, exec_lo, s5
	v_mov_b32_e32 v4, s75
	s_waitcnt_vscnt null, 0x0
	s_barrier
	buffer_gl0_inv
	v_cmp_gt_u32_e32 vcc_lo, 2, v0
	s_clause 0x3
	buffer_load_dword v1, v4, s[0:3], 0 offen
	buffer_load_dword v2, v4, s[0:3], 0 offen offset:4
	buffer_load_dword v3, v4, s[0:3], 0 offen offset:8
	;; [unrolled: 1-line block ×3, first 2 shown]
	s_waitcnt vmcnt(0)
	ds_write_b128 v5, v[1:4]
	s_waitcnt lgkmcnt(0)
	s_barrier
	buffer_gl0_inv
	s_and_saveexec_b32 s5, vcc_lo
	s_cbranch_execz .LBB126_23
; %bb.20:
	s_clause 0x3
	buffer_load_dword v6, v138, s[0:3], 0 offen offset:8
	buffer_load_dword v7, v138, s[0:3], 0 offen offset:12
	buffer_load_dword v135, v138, s[0:3], 0 offen
	buffer_load_dword v136, v138, s[0:3], 0 offen offset:4
	ds_read_b128 v[1:4], v5
	s_waitcnt vmcnt(2) lgkmcnt(0)
	v_mul_f64 v[139:140], v[3:4], v[6:7]
	v_mul_f64 v[6:7], v[1:2], v[6:7]
	s_waitcnt vmcnt(0)
	v_fma_f64 v[1:2], v[1:2], v[135:136], -v[139:140]
	v_fma_f64 v[3:4], v[3:4], v[135:136], v[6:7]
	v_add_f64 v[1:2], v[1:2], 0
	v_add_f64 v[3:4], v[3:4], 0
	s_and_saveexec_b32 s8, s4
	s_cbranch_execz .LBB126_22
; %bb.21:
	s_clause 0x3
	buffer_load_dword v6, off, s[0:3], 0 offset:40
	buffer_load_dword v7, off, s[0:3], 0 offset:44
	buffer_load_dword v135, off, s[0:3], 0 offset:32
	buffer_load_dword v136, off, s[0:3], 0 offset:36
	v_mov_b32_e32 v8, 0
	ds_read_b128 v[139:142], v8 offset:1024
	s_waitcnt vmcnt(2) lgkmcnt(0)
	v_mul_f64 v[143:144], v[139:140], v[6:7]
	v_mul_f64 v[6:7], v[141:142], v[6:7]
	s_waitcnt vmcnt(0)
	v_fma_f64 v[141:142], v[141:142], v[135:136], v[143:144]
	v_fma_f64 v[6:7], v[139:140], v[135:136], -v[6:7]
	v_add_f64 v[3:4], v[3:4], v[141:142]
	v_add_f64 v[1:2], v[1:2], v[6:7]
.LBB126_22:
	s_or_b32 exec_lo, exec_lo, s8
	v_mov_b32_e32 v6, 0
	ds_read_b128 v[139:142], v6 offset:32
	s_waitcnt lgkmcnt(0)
	v_mul_f64 v[6:7], v[3:4], v[141:142]
	v_mul_f64 v[135:136], v[1:2], v[141:142]
	v_fma_f64 v[1:2], v[1:2], v[139:140], -v[6:7]
	v_fma_f64 v[3:4], v[3:4], v[139:140], v[135:136]
	buffer_store_dword v2, off, s[0:3], 0 offset:52
	buffer_store_dword v1, off, s[0:3], 0 offset:48
	;; [unrolled: 1-line block ×4, first 2 shown]
.LBB126_23:
	s_or_b32 exec_lo, exec_lo, s5
	v_mov_b32_e32 v4, s74
	s_waitcnt_vscnt null, 0x0
	s_barrier
	buffer_gl0_inv
	v_add_nc_u32_e32 v6, -1, v0
	s_clause 0x3
	buffer_load_dword v1, v4, s[0:3], 0 offen
	buffer_load_dword v2, v4, s[0:3], 0 offen offset:4
	buffer_load_dword v3, v4, s[0:3], 0 offen offset:8
	buffer_load_dword v4, v4, s[0:3], 0 offen offset:12
	s_mov_b32 s8, exec_lo
	s_waitcnt vmcnt(0)
	ds_write_b128 v5, v[1:4]
	s_waitcnt lgkmcnt(0)
	s_barrier
	buffer_gl0_inv
	v_cmpx_gt_u32_e32 3, v0
	s_cbranch_execz .LBB126_27
; %bb.24:
	v_mov_b32_e32 v1, 0
	v_mov_b32_e32 v3, 0
	v_add_nc_u32_e32 v7, -1, v0
	v_add_nc_u32_e32 v8, 0x3f0, v137
	v_mov_b32_e32 v2, 0
	v_mov_b32_e32 v4, 0
	v_add_nc_u32_e32 v135, 16, v137
	s_mov_b32 s9, 0
	.p2align	6
.LBB126_25:                             ; =>This Inner Loop Header: Depth=1
	s_clause 0x3
	buffer_load_dword v143, v135, s[0:3], 0 offen offset:8
	buffer_load_dword v144, v135, s[0:3], 0 offen offset:12
	buffer_load_dword v145, v135, s[0:3], 0 offen
	buffer_load_dword v146, v135, s[0:3], 0 offen offset:4
	ds_read_b128 v[139:142], v8
	v_add_nc_u32_e32 v7, 1, v7
	v_add_nc_u32_e32 v8, 16, v8
	;; [unrolled: 1-line block ×3, first 2 shown]
	v_cmp_lt_u32_e64 s5, 1, v7
	s_or_b32 s9, s5, s9
	s_waitcnt vmcnt(2) lgkmcnt(0)
	v_mul_f64 v[147:148], v[141:142], v[143:144]
	v_mul_f64 v[143:144], v[139:140], v[143:144]
	s_waitcnt vmcnt(0)
	v_fma_f64 v[139:140], v[139:140], v[145:146], -v[147:148]
	v_fma_f64 v[141:142], v[141:142], v[145:146], v[143:144]
	v_add_f64 v[3:4], v[3:4], v[139:140]
	v_add_f64 v[1:2], v[1:2], v[141:142]
	s_andn2_b32 exec_lo, exec_lo, s9
	s_cbranch_execnz .LBB126_25
; %bb.26:
	s_or_b32 exec_lo, exec_lo, s9
	v_mov_b32_e32 v7, 0
	ds_read_b128 v[139:142], v7 offset:48
	s_waitcnt lgkmcnt(0)
	v_mul_f64 v[7:8], v[1:2], v[141:142]
	v_mul_f64 v[135:136], v[3:4], v[141:142]
	v_fma_f64 v[3:4], v[3:4], v[139:140], -v[7:8]
	v_fma_f64 v[1:2], v[1:2], v[139:140], v[135:136]
	buffer_store_dword v4, off, s[0:3], 0 offset:68
	buffer_store_dword v3, off, s[0:3], 0 offset:64
	;; [unrolled: 1-line block ×4, first 2 shown]
.LBB126_27:
	s_or_b32 exec_lo, exec_lo, s8
	v_mov_b32_e32 v4, s73
	s_waitcnt_vscnt null, 0x0
	s_barrier
	buffer_gl0_inv
	v_cmp_gt_u32_e64 s5, 4, v0
	s_clause 0x3
	buffer_load_dword v1, v4, s[0:3], 0 offen
	buffer_load_dword v2, v4, s[0:3], 0 offen offset:4
	buffer_load_dword v3, v4, s[0:3], 0 offen offset:8
	;; [unrolled: 1-line block ×3, first 2 shown]
	s_waitcnt vmcnt(0)
	ds_write_b128 v5, v[1:4]
	s_waitcnt lgkmcnt(0)
	s_barrier
	buffer_gl0_inv
	s_and_saveexec_b32 s9, s5
	s_cbranch_execz .LBB126_31
; %bb.28:
	v_mov_b32_e32 v1, 0
	v_mov_b32_e32 v3, 0
	v_add_nc_u32_e32 v7, -1, v0
	v_add_nc_u32_e32 v8, 0x3f0, v137
	v_mov_b32_e32 v2, 0
	v_mov_b32_e32 v4, 0
	v_add_nc_u32_e32 v135, 16, v137
	s_mov_b32 s78, 0
	.p2align	6
.LBB126_29:                             ; =>This Inner Loop Header: Depth=1
	s_clause 0x3
	buffer_load_dword v143, v135, s[0:3], 0 offen offset:8
	buffer_load_dword v144, v135, s[0:3], 0 offen offset:12
	buffer_load_dword v145, v135, s[0:3], 0 offen
	buffer_load_dword v146, v135, s[0:3], 0 offen offset:4
	ds_read_b128 v[139:142], v8
	v_add_nc_u32_e32 v7, 1, v7
	v_add_nc_u32_e32 v8, 16, v8
	;; [unrolled: 1-line block ×3, first 2 shown]
	v_cmp_lt_u32_e64 s8, 2, v7
	s_or_b32 s78, s8, s78
	s_waitcnt vmcnt(2) lgkmcnt(0)
	v_mul_f64 v[147:148], v[141:142], v[143:144]
	v_mul_f64 v[143:144], v[139:140], v[143:144]
	s_waitcnt vmcnt(0)
	v_fma_f64 v[139:140], v[139:140], v[145:146], -v[147:148]
	v_fma_f64 v[141:142], v[141:142], v[145:146], v[143:144]
	v_add_f64 v[3:4], v[3:4], v[139:140]
	v_add_f64 v[1:2], v[1:2], v[141:142]
	s_andn2_b32 exec_lo, exec_lo, s78
	s_cbranch_execnz .LBB126_29
; %bb.30:
	s_or_b32 exec_lo, exec_lo, s78
	v_mov_b32_e32 v7, 0
	ds_read_b128 v[139:142], v7 offset:64
	s_waitcnt lgkmcnt(0)
	v_mul_f64 v[7:8], v[1:2], v[141:142]
	v_mul_f64 v[135:136], v[3:4], v[141:142]
	v_fma_f64 v[3:4], v[3:4], v[139:140], -v[7:8]
	v_fma_f64 v[1:2], v[1:2], v[139:140], v[135:136]
	buffer_store_dword v4, off, s[0:3], 0 offset:84
	buffer_store_dword v3, off, s[0:3], 0 offset:80
	;; [unrolled: 1-line block ×4, first 2 shown]
.LBB126_31:
	s_or_b32 exec_lo, exec_lo, s9
	v_mov_b32_e32 v4, s72
	s_waitcnt_vscnt null, 0x0
	s_barrier
	buffer_gl0_inv
	s_mov_b32 s9, exec_lo
	s_clause 0x3
	buffer_load_dword v1, v4, s[0:3], 0 offen
	buffer_load_dword v2, v4, s[0:3], 0 offen offset:4
	buffer_load_dword v3, v4, s[0:3], 0 offen offset:8
	;; [unrolled: 1-line block ×3, first 2 shown]
	s_waitcnt vmcnt(0)
	ds_write_b128 v5, v[1:4]
	s_waitcnt lgkmcnt(0)
	s_barrier
	buffer_gl0_inv
	v_cmpx_gt_u32_e32 5, v0
	s_cbranch_execz .LBB126_35
; %bb.32:
	v_mov_b32_e32 v1, 0
	v_mov_b32_e32 v3, 0
	v_add_nc_u32_e32 v7, -1, v0
	v_add_nc_u32_e32 v8, 0x3f0, v137
	v_mov_b32_e32 v2, 0
	v_mov_b32_e32 v4, 0
	v_add_nc_u32_e32 v135, 16, v137
	s_mov_b32 s78, 0
	.p2align	6
.LBB126_33:                             ; =>This Inner Loop Header: Depth=1
	s_clause 0x3
	buffer_load_dword v143, v135, s[0:3], 0 offen offset:8
	buffer_load_dword v144, v135, s[0:3], 0 offen offset:12
	buffer_load_dword v145, v135, s[0:3], 0 offen
	buffer_load_dword v146, v135, s[0:3], 0 offen offset:4
	ds_read_b128 v[139:142], v8
	v_add_nc_u32_e32 v7, 1, v7
	v_add_nc_u32_e32 v8, 16, v8
	;; [unrolled: 1-line block ×3, first 2 shown]
	v_cmp_lt_u32_e64 s8, 3, v7
	s_or_b32 s78, s8, s78
	s_waitcnt vmcnt(2) lgkmcnt(0)
	v_mul_f64 v[147:148], v[141:142], v[143:144]
	v_mul_f64 v[143:144], v[139:140], v[143:144]
	s_waitcnt vmcnt(0)
	v_fma_f64 v[139:140], v[139:140], v[145:146], -v[147:148]
	v_fma_f64 v[141:142], v[141:142], v[145:146], v[143:144]
	v_add_f64 v[3:4], v[3:4], v[139:140]
	v_add_f64 v[1:2], v[1:2], v[141:142]
	s_andn2_b32 exec_lo, exec_lo, s78
	s_cbranch_execnz .LBB126_33
; %bb.34:
	s_or_b32 exec_lo, exec_lo, s78
	v_mov_b32_e32 v7, 0
	ds_read_b128 v[139:142], v7 offset:80
	s_waitcnt lgkmcnt(0)
	v_mul_f64 v[7:8], v[1:2], v[141:142]
	v_mul_f64 v[135:136], v[3:4], v[141:142]
	v_fma_f64 v[3:4], v[3:4], v[139:140], -v[7:8]
	v_fma_f64 v[1:2], v[1:2], v[139:140], v[135:136]
	buffer_store_dword v4, off, s[0:3], 0 offset:100
	buffer_store_dword v3, off, s[0:3], 0 offset:96
	;; [unrolled: 1-line block ×4, first 2 shown]
.LBB126_35:
	s_or_b32 exec_lo, exec_lo, s9
	v_mov_b32_e32 v4, s71
	s_waitcnt_vscnt null, 0x0
	s_barrier
	buffer_gl0_inv
	v_cmp_gt_u32_e64 s8, 6, v0
	s_clause 0x3
	buffer_load_dword v1, v4, s[0:3], 0 offen
	buffer_load_dword v2, v4, s[0:3], 0 offen offset:4
	buffer_load_dword v3, v4, s[0:3], 0 offen offset:8
	;; [unrolled: 1-line block ×3, first 2 shown]
	s_waitcnt vmcnt(0)
	ds_write_b128 v5, v[1:4]
	s_waitcnt lgkmcnt(0)
	s_barrier
	buffer_gl0_inv
	s_and_saveexec_b32 s78, s8
	s_cbranch_execz .LBB126_39
; %bb.36:
	v_mov_b32_e32 v1, 0
	v_mov_b32_e32 v3, 0
	v_add_nc_u32_e32 v7, -1, v0
	v_add_nc_u32_e32 v8, 0x3f0, v137
	v_mov_b32_e32 v2, 0
	v_mov_b32_e32 v4, 0
	v_add_nc_u32_e32 v135, 16, v137
	s_mov_b32 s79, 0
	.p2align	6
.LBB126_37:                             ; =>This Inner Loop Header: Depth=1
	s_clause 0x3
	buffer_load_dword v143, v135, s[0:3], 0 offen offset:8
	buffer_load_dword v144, v135, s[0:3], 0 offen offset:12
	buffer_load_dword v145, v135, s[0:3], 0 offen
	buffer_load_dword v146, v135, s[0:3], 0 offen offset:4
	ds_read_b128 v[139:142], v8
	v_add_nc_u32_e32 v7, 1, v7
	v_add_nc_u32_e32 v8, 16, v8
	;; [unrolled: 1-line block ×3, first 2 shown]
	v_cmp_lt_u32_e64 s9, 4, v7
	s_or_b32 s79, s9, s79
	s_waitcnt vmcnt(2) lgkmcnt(0)
	v_mul_f64 v[147:148], v[141:142], v[143:144]
	v_mul_f64 v[143:144], v[139:140], v[143:144]
	s_waitcnt vmcnt(0)
	v_fma_f64 v[139:140], v[139:140], v[145:146], -v[147:148]
	v_fma_f64 v[141:142], v[141:142], v[145:146], v[143:144]
	v_add_f64 v[3:4], v[3:4], v[139:140]
	v_add_f64 v[1:2], v[1:2], v[141:142]
	s_andn2_b32 exec_lo, exec_lo, s79
	s_cbranch_execnz .LBB126_37
; %bb.38:
	s_or_b32 exec_lo, exec_lo, s79
	v_mov_b32_e32 v7, 0
	ds_read_b128 v[139:142], v7 offset:96
	s_waitcnt lgkmcnt(0)
	v_mul_f64 v[7:8], v[1:2], v[141:142]
	v_mul_f64 v[135:136], v[3:4], v[141:142]
	v_fma_f64 v[3:4], v[3:4], v[139:140], -v[7:8]
	v_fma_f64 v[1:2], v[1:2], v[139:140], v[135:136]
	buffer_store_dword v4, off, s[0:3], 0 offset:116
	buffer_store_dword v3, off, s[0:3], 0 offset:112
	;; [unrolled: 1-line block ×4, first 2 shown]
.LBB126_39:
	s_or_b32 exec_lo, exec_lo, s78
	v_mov_b32_e32 v4, s70
	s_waitcnt_vscnt null, 0x0
	s_barrier
	buffer_gl0_inv
	s_mov_b32 s78, exec_lo
	s_clause 0x3
	buffer_load_dword v1, v4, s[0:3], 0 offen
	buffer_load_dword v2, v4, s[0:3], 0 offen offset:4
	buffer_load_dword v3, v4, s[0:3], 0 offen offset:8
	;; [unrolled: 1-line block ×3, first 2 shown]
	s_waitcnt vmcnt(0)
	ds_write_b128 v5, v[1:4]
	s_waitcnt lgkmcnt(0)
	s_barrier
	buffer_gl0_inv
	v_cmpx_gt_u32_e32 7, v0
	s_cbranch_execz .LBB126_43
; %bb.40:
	v_mov_b32_e32 v1, 0
	v_mov_b32_e32 v3, 0
	v_add_nc_u32_e32 v7, -1, v0
	v_add_nc_u32_e32 v8, 0x3f0, v137
	v_mov_b32_e32 v2, 0
	v_mov_b32_e32 v4, 0
	v_add_nc_u32_e32 v135, 16, v137
	s_mov_b32 s79, 0
	.p2align	6
.LBB126_41:                             ; =>This Inner Loop Header: Depth=1
	s_clause 0x3
	buffer_load_dword v143, v135, s[0:3], 0 offen offset:8
	buffer_load_dword v144, v135, s[0:3], 0 offen offset:12
	buffer_load_dword v145, v135, s[0:3], 0 offen
	buffer_load_dword v146, v135, s[0:3], 0 offen offset:4
	ds_read_b128 v[139:142], v8
	v_add_nc_u32_e32 v7, 1, v7
	v_add_nc_u32_e32 v8, 16, v8
	;; [unrolled: 1-line block ×3, first 2 shown]
	v_cmp_lt_u32_e64 s9, 5, v7
	s_or_b32 s79, s9, s79
	s_waitcnt vmcnt(2) lgkmcnt(0)
	v_mul_f64 v[147:148], v[141:142], v[143:144]
	v_mul_f64 v[143:144], v[139:140], v[143:144]
	s_waitcnt vmcnt(0)
	v_fma_f64 v[139:140], v[139:140], v[145:146], -v[147:148]
	v_fma_f64 v[141:142], v[141:142], v[145:146], v[143:144]
	v_add_f64 v[3:4], v[3:4], v[139:140]
	v_add_f64 v[1:2], v[1:2], v[141:142]
	s_andn2_b32 exec_lo, exec_lo, s79
	s_cbranch_execnz .LBB126_41
; %bb.42:
	s_or_b32 exec_lo, exec_lo, s79
	v_mov_b32_e32 v7, 0
	ds_read_b128 v[139:142], v7 offset:112
	s_waitcnt lgkmcnt(0)
	v_mul_f64 v[7:8], v[1:2], v[141:142]
	v_mul_f64 v[135:136], v[3:4], v[141:142]
	v_fma_f64 v[3:4], v[3:4], v[139:140], -v[7:8]
	v_fma_f64 v[1:2], v[1:2], v[139:140], v[135:136]
	buffer_store_dword v4, off, s[0:3], 0 offset:132
	buffer_store_dword v3, off, s[0:3], 0 offset:128
	;; [unrolled: 1-line block ×4, first 2 shown]
.LBB126_43:
	s_or_b32 exec_lo, exec_lo, s78
	v_mov_b32_e32 v4, s69
	s_waitcnt_vscnt null, 0x0
	s_barrier
	buffer_gl0_inv
	s_mov_b32 s78, exec_lo
	s_clause 0x3
	buffer_load_dword v1, v4, s[0:3], 0 offen
	buffer_load_dword v2, v4, s[0:3], 0 offen offset:4
	buffer_load_dword v3, v4, s[0:3], 0 offen offset:8
	;; [unrolled: 1-line block ×3, first 2 shown]
	s_waitcnt vmcnt(0)
	ds_write_b128 v5, v[1:4]
	s_waitcnt lgkmcnt(0)
	s_barrier
	buffer_gl0_inv
	v_cmpx_gt_u32_e32 8, v0
	s_cbranch_execz .LBB126_59
; %bb.44:
	s_clause 0x3
	buffer_load_dword v7, v138, s[0:3], 0 offen offset:8
	buffer_load_dword v8, v138, s[0:3], 0 offen offset:12
	buffer_load_dword v135, v138, s[0:3], 0 offen
	buffer_load_dword v136, v138, s[0:3], 0 offen offset:4
	ds_read_b128 v[1:4], v5
	s_mov_b32 s79, exec_lo
	s_waitcnt vmcnt(2) lgkmcnt(0)
	v_mul_f64 v[139:140], v[3:4], v[7:8]
	v_mul_f64 v[7:8], v[1:2], v[7:8]
	s_waitcnt vmcnt(0)
	v_fma_f64 v[1:2], v[1:2], v[135:136], -v[139:140]
	v_fma_f64 v[7:8], v[3:4], v[135:136], v[7:8]
	v_add_f64 v[3:4], v[1:2], 0
	v_add_f64 v[1:2], v[7:8], 0
	v_cmpx_ne_u32_e32 7, v0
	s_cbranch_execz .LBB126_58
; %bb.45:
	s_clause 0x3
	buffer_load_dword v7, v138, s[0:3], 0 offen offset:24
	buffer_load_dword v8, v138, s[0:3], 0 offen offset:28
	;; [unrolled: 1-line block ×4, first 2 shown]
	ds_read_b128 v[139:142], v5 offset:16
	s_waitcnt vmcnt(2) lgkmcnt(0)
	v_mul_f64 v[143:144], v[141:142], v[7:8]
	v_mul_f64 v[7:8], v[139:140], v[7:8]
	s_waitcnt vmcnt(0)
	v_fma_f64 v[139:140], v[139:140], v[135:136], -v[143:144]
	v_fma_f64 v[7:8], v[141:142], v[135:136], v[7:8]
	v_add_f64 v[3:4], v[3:4], v[139:140]
	v_add_f64 v[1:2], v[1:2], v[7:8]
	s_and_saveexec_b32 s9, s8
	s_cbranch_execz .LBB126_57
; %bb.46:
	s_clause 0x3
	buffer_load_dword v7, v138, s[0:3], 0 offen offset:40
	buffer_load_dword v8, v138, s[0:3], 0 offen offset:44
	;; [unrolled: 1-line block ×4, first 2 shown]
	ds_read_b128 v[139:142], v5 offset:32
	s_mov_b32 s80, exec_lo
	s_waitcnt vmcnt(2) lgkmcnt(0)
	v_mul_f64 v[143:144], v[141:142], v[7:8]
	v_mul_f64 v[7:8], v[139:140], v[7:8]
	s_waitcnt vmcnt(0)
	v_fma_f64 v[139:140], v[139:140], v[135:136], -v[143:144]
	v_fma_f64 v[7:8], v[141:142], v[135:136], v[7:8]
	v_add_f64 v[3:4], v[3:4], v[139:140]
	v_add_f64 v[1:2], v[1:2], v[7:8]
	v_cmpx_ne_u32_e32 5, v0
	s_cbranch_execz .LBB126_56
; %bb.47:
	s_clause 0x3
	buffer_load_dword v7, v138, s[0:3], 0 offen offset:56
	buffer_load_dword v8, v138, s[0:3], 0 offen offset:60
	;; [unrolled: 1-line block ×4, first 2 shown]
	ds_read_b128 v[139:142], v5 offset:48
	s_waitcnt vmcnt(2) lgkmcnt(0)
	v_mul_f64 v[143:144], v[141:142], v[7:8]
	v_mul_f64 v[7:8], v[139:140], v[7:8]
	s_waitcnt vmcnt(0)
	v_fma_f64 v[139:140], v[139:140], v[135:136], -v[143:144]
	v_fma_f64 v[7:8], v[141:142], v[135:136], v[7:8]
	v_add_f64 v[3:4], v[3:4], v[139:140]
	v_add_f64 v[1:2], v[1:2], v[7:8]
	s_and_saveexec_b32 s8, s5
	s_cbranch_execz .LBB126_55
; %bb.48:
	s_clause 0x3
	buffer_load_dword v7, v138, s[0:3], 0 offen offset:72
	buffer_load_dword v8, v138, s[0:3], 0 offen offset:76
	;; [unrolled: 1-line block ×4, first 2 shown]
	ds_read_b128 v[139:142], v5 offset:64
	s_mov_b32 s81, exec_lo
	s_waitcnt vmcnt(2) lgkmcnt(0)
	v_mul_f64 v[143:144], v[141:142], v[7:8]
	v_mul_f64 v[7:8], v[139:140], v[7:8]
	s_waitcnt vmcnt(0)
	v_fma_f64 v[139:140], v[139:140], v[135:136], -v[143:144]
	v_fma_f64 v[7:8], v[141:142], v[135:136], v[7:8]
	v_add_f64 v[3:4], v[3:4], v[139:140]
	v_add_f64 v[1:2], v[1:2], v[7:8]
	v_cmpx_ne_u32_e32 3, v0
	s_cbranch_execz .LBB126_54
; %bb.49:
	s_clause 0x3
	buffer_load_dword v7, v138, s[0:3], 0 offen offset:88
	buffer_load_dword v8, v138, s[0:3], 0 offen offset:92
	buffer_load_dword v135, v138, s[0:3], 0 offen offset:80
	buffer_load_dword v136, v138, s[0:3], 0 offen offset:84
	ds_read_b128 v[139:142], v5 offset:80
	s_waitcnt vmcnt(2) lgkmcnt(0)
	v_mul_f64 v[143:144], v[141:142], v[7:8]
	v_mul_f64 v[7:8], v[139:140], v[7:8]
	s_waitcnt vmcnt(0)
	v_fma_f64 v[139:140], v[139:140], v[135:136], -v[143:144]
	v_fma_f64 v[7:8], v[141:142], v[135:136], v[7:8]
	v_add_f64 v[3:4], v[3:4], v[139:140]
	v_add_f64 v[1:2], v[1:2], v[7:8]
	s_and_saveexec_b32 s5, vcc_lo
	s_cbranch_execz .LBB126_53
; %bb.50:
	s_clause 0x3
	buffer_load_dword v7, v138, s[0:3], 0 offen offset:104
	buffer_load_dword v8, v138, s[0:3], 0 offen offset:108
	;; [unrolled: 1-line block ×4, first 2 shown]
	ds_read_b128 v[139:142], v5 offset:96
	s_waitcnt vmcnt(2) lgkmcnt(0)
	v_mul_f64 v[143:144], v[141:142], v[7:8]
	v_mul_f64 v[7:8], v[139:140], v[7:8]
	s_waitcnt vmcnt(0)
	v_fma_f64 v[139:140], v[139:140], v[135:136], -v[143:144]
	v_fma_f64 v[7:8], v[141:142], v[135:136], v[7:8]
	v_add_f64 v[3:4], v[3:4], v[139:140]
	v_add_f64 v[1:2], v[1:2], v[7:8]
	s_and_saveexec_b32 s82, s4
	s_cbranch_execz .LBB126_52
; %bb.51:
	s_clause 0x3
	buffer_load_dword v7, v138, s[0:3], 0 offen offset:120
	buffer_load_dword v8, v138, s[0:3], 0 offen offset:124
	;; [unrolled: 1-line block ×4, first 2 shown]
	ds_read_b128 v[138:141], v5 offset:112
	s_waitcnt vmcnt(2) lgkmcnt(0)
	v_mul_f64 v[142:143], v[140:141], v[7:8]
	v_mul_f64 v[7:8], v[138:139], v[7:8]
	s_waitcnt vmcnt(0)
	v_fma_f64 v[138:139], v[138:139], v[135:136], -v[142:143]
	v_fma_f64 v[7:8], v[140:141], v[135:136], v[7:8]
	v_add_f64 v[3:4], v[3:4], v[138:139]
	v_add_f64 v[1:2], v[1:2], v[7:8]
.LBB126_52:
	s_or_b32 exec_lo, exec_lo, s82
.LBB126_53:
	s_or_b32 exec_lo, exec_lo, s5
.LBB126_54:
	s_or_b32 exec_lo, exec_lo, s81
.LBB126_55:
	s_or_b32 exec_lo, exec_lo, s8
.LBB126_56:
	s_or_b32 exec_lo, exec_lo, s80
.LBB126_57:
	s_or_b32 exec_lo, exec_lo, s9
.LBB126_58:
	s_or_b32 exec_lo, exec_lo, s79
	v_mov_b32_e32 v7, 0
	ds_read_b128 v[138:141], v7 offset:128
	s_waitcnt lgkmcnt(0)
	v_mul_f64 v[7:8], v[1:2], v[140:141]
	v_mul_f64 v[135:136], v[3:4], v[140:141]
	v_fma_f64 v[3:4], v[3:4], v[138:139], -v[7:8]
	v_fma_f64 v[1:2], v[1:2], v[138:139], v[135:136]
	buffer_store_dword v4, off, s[0:3], 0 offset:148
	buffer_store_dword v3, off, s[0:3], 0 offset:144
	;; [unrolled: 1-line block ×4, first 2 shown]
.LBB126_59:
	s_or_b32 exec_lo, exec_lo, s78
	v_mov_b32_e32 v4, s68
	s_waitcnt_vscnt null, 0x0
	s_barrier
	buffer_gl0_inv
	s_mov_b32 s4, exec_lo
	s_clause 0x3
	buffer_load_dword v1, v4, s[0:3], 0 offen
	buffer_load_dword v2, v4, s[0:3], 0 offen offset:4
	buffer_load_dword v3, v4, s[0:3], 0 offen offset:8
	;; [unrolled: 1-line block ×3, first 2 shown]
	s_waitcnt vmcnt(0)
	ds_write_b128 v5, v[1:4]
	s_waitcnt lgkmcnt(0)
	s_barrier
	buffer_gl0_inv
	v_cmpx_gt_u32_e32 9, v0
	s_cbranch_execz .LBB126_63
; %bb.60:
	v_mov_b32_e32 v1, 0
	v_mov_b32_e32 v3, 0
	v_add_nc_u32_e32 v7, -1, v0
	v_add_nc_u32_e32 v8, 0x3f0, v137
	v_mov_b32_e32 v2, 0
	v_mov_b32_e32 v4, 0
	v_add_nc_u32_e32 v135, 16, v137
	s_mov_b32 s5, 0
	.p2align	6
.LBB126_61:                             ; =>This Inner Loop Header: Depth=1
	s_clause 0x3
	buffer_load_dword v142, v135, s[0:3], 0 offen offset:8
	buffer_load_dword v143, v135, s[0:3], 0 offen offset:12
	buffer_load_dword v144, v135, s[0:3], 0 offen
	buffer_load_dword v145, v135, s[0:3], 0 offen offset:4
	ds_read_b128 v[138:141], v8
	v_add_nc_u32_e32 v7, 1, v7
	v_add_nc_u32_e32 v8, 16, v8
	;; [unrolled: 1-line block ×3, first 2 shown]
	v_cmp_lt_u32_e32 vcc_lo, 7, v7
	s_or_b32 s5, vcc_lo, s5
	s_waitcnt vmcnt(2) lgkmcnt(0)
	v_mul_f64 v[146:147], v[140:141], v[142:143]
	v_mul_f64 v[142:143], v[138:139], v[142:143]
	s_waitcnt vmcnt(0)
	v_fma_f64 v[138:139], v[138:139], v[144:145], -v[146:147]
	v_fma_f64 v[140:141], v[140:141], v[144:145], v[142:143]
	v_add_f64 v[3:4], v[3:4], v[138:139]
	v_add_f64 v[1:2], v[1:2], v[140:141]
	s_andn2_b32 exec_lo, exec_lo, s5
	s_cbranch_execnz .LBB126_61
; %bb.62:
	s_or_b32 exec_lo, exec_lo, s5
	v_mov_b32_e32 v7, 0
	ds_read_b128 v[138:141], v7 offset:144
	s_waitcnt lgkmcnt(0)
	v_mul_f64 v[7:8], v[1:2], v[140:141]
	v_mul_f64 v[135:136], v[3:4], v[140:141]
	v_fma_f64 v[3:4], v[3:4], v[138:139], -v[7:8]
	v_fma_f64 v[1:2], v[1:2], v[138:139], v[135:136]
	buffer_store_dword v4, off, s[0:3], 0 offset:164
	buffer_store_dword v3, off, s[0:3], 0 offset:160
	;; [unrolled: 1-line block ×4, first 2 shown]
.LBB126_63:
	s_or_b32 exec_lo, exec_lo, s4
	v_mov_b32_e32 v4, s67
	s_waitcnt_vscnt null, 0x0
	s_barrier
	buffer_gl0_inv
	s_mov_b32 s4, exec_lo
	s_clause 0x3
	buffer_load_dword v1, v4, s[0:3], 0 offen
	buffer_load_dword v2, v4, s[0:3], 0 offen offset:4
	buffer_load_dword v3, v4, s[0:3], 0 offen offset:8
	;; [unrolled: 1-line block ×3, first 2 shown]
	s_waitcnt vmcnt(0)
	ds_write_b128 v5, v[1:4]
	s_waitcnt lgkmcnt(0)
	s_barrier
	buffer_gl0_inv
	v_cmpx_gt_u32_e32 10, v0
	s_cbranch_execz .LBB126_67
; %bb.64:
	v_mov_b32_e32 v1, 0
	v_mov_b32_e32 v3, 0
	v_add_nc_u32_e32 v7, -1, v0
	v_add_nc_u32_e32 v8, 0x3f0, v137
	v_mov_b32_e32 v2, 0
	v_mov_b32_e32 v4, 0
	v_add_nc_u32_e32 v135, 16, v137
	s_mov_b32 s5, 0
	.p2align	6
.LBB126_65:                             ; =>This Inner Loop Header: Depth=1
	s_clause 0x3
	buffer_load_dword v142, v135, s[0:3], 0 offen offset:8
	buffer_load_dword v143, v135, s[0:3], 0 offen offset:12
	buffer_load_dword v144, v135, s[0:3], 0 offen
	buffer_load_dword v145, v135, s[0:3], 0 offen offset:4
	ds_read_b128 v[138:141], v8
	v_add_nc_u32_e32 v7, 1, v7
	v_add_nc_u32_e32 v8, 16, v8
	;; [unrolled: 1-line block ×3, first 2 shown]
	v_cmp_lt_u32_e32 vcc_lo, 8, v7
	s_or_b32 s5, vcc_lo, s5
	s_waitcnt vmcnt(2) lgkmcnt(0)
	v_mul_f64 v[146:147], v[140:141], v[142:143]
	v_mul_f64 v[142:143], v[138:139], v[142:143]
	s_waitcnt vmcnt(0)
	v_fma_f64 v[138:139], v[138:139], v[144:145], -v[146:147]
	v_fma_f64 v[140:141], v[140:141], v[144:145], v[142:143]
	v_add_f64 v[3:4], v[3:4], v[138:139]
	v_add_f64 v[1:2], v[1:2], v[140:141]
	s_andn2_b32 exec_lo, exec_lo, s5
	s_cbranch_execnz .LBB126_65
; %bb.66:
	s_or_b32 exec_lo, exec_lo, s5
	v_mov_b32_e32 v7, 0
	ds_read_b128 v[138:141], v7 offset:160
	s_waitcnt lgkmcnt(0)
	v_mul_f64 v[7:8], v[1:2], v[140:141]
	v_mul_f64 v[135:136], v[3:4], v[140:141]
	v_fma_f64 v[3:4], v[3:4], v[138:139], -v[7:8]
	v_fma_f64 v[1:2], v[1:2], v[138:139], v[135:136]
	buffer_store_dword v4, off, s[0:3], 0 offset:180
	buffer_store_dword v3, off, s[0:3], 0 offset:176
	;; [unrolled: 1-line block ×4, first 2 shown]
.LBB126_67:
	s_or_b32 exec_lo, exec_lo, s4
	v_mov_b32_e32 v4, s66
	s_waitcnt_vscnt null, 0x0
	s_barrier
	buffer_gl0_inv
	s_mov_b32 s4, exec_lo
	s_clause 0x3
	buffer_load_dword v1, v4, s[0:3], 0 offen
	buffer_load_dword v2, v4, s[0:3], 0 offen offset:4
	buffer_load_dword v3, v4, s[0:3], 0 offen offset:8
	;; [unrolled: 1-line block ×3, first 2 shown]
	s_waitcnt vmcnt(0)
	ds_write_b128 v5, v[1:4]
	s_waitcnt lgkmcnt(0)
	s_barrier
	buffer_gl0_inv
	v_cmpx_gt_u32_e32 11, v0
	s_cbranch_execz .LBB126_71
; %bb.68:
	v_mov_b32_e32 v1, 0
	v_mov_b32_e32 v3, 0
	v_add_nc_u32_e32 v7, -1, v0
	v_add_nc_u32_e32 v8, 0x3f0, v137
	v_mov_b32_e32 v2, 0
	v_mov_b32_e32 v4, 0
	v_add_nc_u32_e32 v135, 16, v137
	s_mov_b32 s5, 0
	.p2align	6
.LBB126_69:                             ; =>This Inner Loop Header: Depth=1
	s_clause 0x3
	buffer_load_dword v142, v135, s[0:3], 0 offen offset:8
	buffer_load_dword v143, v135, s[0:3], 0 offen offset:12
	buffer_load_dword v144, v135, s[0:3], 0 offen
	buffer_load_dword v145, v135, s[0:3], 0 offen offset:4
	ds_read_b128 v[138:141], v8
	v_add_nc_u32_e32 v7, 1, v7
	v_add_nc_u32_e32 v8, 16, v8
	;; [unrolled: 1-line block ×3, first 2 shown]
	v_cmp_lt_u32_e32 vcc_lo, 9, v7
	s_or_b32 s5, vcc_lo, s5
	s_waitcnt vmcnt(2) lgkmcnt(0)
	v_mul_f64 v[146:147], v[140:141], v[142:143]
	v_mul_f64 v[142:143], v[138:139], v[142:143]
	s_waitcnt vmcnt(0)
	v_fma_f64 v[138:139], v[138:139], v[144:145], -v[146:147]
	v_fma_f64 v[140:141], v[140:141], v[144:145], v[142:143]
	v_add_f64 v[3:4], v[3:4], v[138:139]
	v_add_f64 v[1:2], v[1:2], v[140:141]
	s_andn2_b32 exec_lo, exec_lo, s5
	s_cbranch_execnz .LBB126_69
; %bb.70:
	s_or_b32 exec_lo, exec_lo, s5
	v_mov_b32_e32 v7, 0
	ds_read_b128 v[138:141], v7 offset:176
	s_waitcnt lgkmcnt(0)
	v_mul_f64 v[7:8], v[1:2], v[140:141]
	v_mul_f64 v[135:136], v[3:4], v[140:141]
	v_fma_f64 v[3:4], v[3:4], v[138:139], -v[7:8]
	v_fma_f64 v[1:2], v[1:2], v[138:139], v[135:136]
	buffer_store_dword v4, off, s[0:3], 0 offset:196
	buffer_store_dword v3, off, s[0:3], 0 offset:192
	;; [unrolled: 1-line block ×4, first 2 shown]
.LBB126_71:
	s_or_b32 exec_lo, exec_lo, s4
	v_mov_b32_e32 v4, s65
	s_waitcnt_vscnt null, 0x0
	s_barrier
	buffer_gl0_inv
	s_mov_b32 s4, exec_lo
	s_clause 0x3
	buffer_load_dword v1, v4, s[0:3], 0 offen
	buffer_load_dword v2, v4, s[0:3], 0 offen offset:4
	buffer_load_dword v3, v4, s[0:3], 0 offen offset:8
	buffer_load_dword v4, v4, s[0:3], 0 offen offset:12
	s_waitcnt vmcnt(0)
	ds_write_b128 v5, v[1:4]
	s_waitcnt lgkmcnt(0)
	s_barrier
	buffer_gl0_inv
	v_cmpx_gt_u32_e32 12, v0
	s_cbranch_execz .LBB126_75
; %bb.72:
	v_mov_b32_e32 v1, 0
	v_mov_b32_e32 v3, 0
	v_add_nc_u32_e32 v7, -1, v0
	v_add_nc_u32_e32 v8, 0x3f0, v137
	v_mov_b32_e32 v2, 0
	v_mov_b32_e32 v4, 0
	v_add_nc_u32_e32 v135, 16, v137
	s_mov_b32 s5, 0
	.p2align	6
.LBB126_73:                             ; =>This Inner Loop Header: Depth=1
	s_clause 0x3
	buffer_load_dword v142, v135, s[0:3], 0 offen offset:8
	buffer_load_dword v143, v135, s[0:3], 0 offen offset:12
	buffer_load_dword v144, v135, s[0:3], 0 offen
	buffer_load_dword v145, v135, s[0:3], 0 offen offset:4
	ds_read_b128 v[138:141], v8
	v_add_nc_u32_e32 v7, 1, v7
	v_add_nc_u32_e32 v8, 16, v8
	;; [unrolled: 1-line block ×3, first 2 shown]
	v_cmp_lt_u32_e32 vcc_lo, 10, v7
	s_or_b32 s5, vcc_lo, s5
	s_waitcnt vmcnt(2) lgkmcnt(0)
	v_mul_f64 v[146:147], v[140:141], v[142:143]
	v_mul_f64 v[142:143], v[138:139], v[142:143]
	s_waitcnt vmcnt(0)
	v_fma_f64 v[138:139], v[138:139], v[144:145], -v[146:147]
	v_fma_f64 v[140:141], v[140:141], v[144:145], v[142:143]
	v_add_f64 v[3:4], v[3:4], v[138:139]
	v_add_f64 v[1:2], v[1:2], v[140:141]
	s_andn2_b32 exec_lo, exec_lo, s5
	s_cbranch_execnz .LBB126_73
; %bb.74:
	s_or_b32 exec_lo, exec_lo, s5
	v_mov_b32_e32 v7, 0
	ds_read_b128 v[138:141], v7 offset:192
	s_waitcnt lgkmcnt(0)
	v_mul_f64 v[7:8], v[1:2], v[140:141]
	v_mul_f64 v[135:136], v[3:4], v[140:141]
	v_fma_f64 v[3:4], v[3:4], v[138:139], -v[7:8]
	v_fma_f64 v[1:2], v[1:2], v[138:139], v[135:136]
	buffer_store_dword v4, off, s[0:3], 0 offset:212
	buffer_store_dword v3, off, s[0:3], 0 offset:208
	;; [unrolled: 1-line block ×4, first 2 shown]
.LBB126_75:
	s_or_b32 exec_lo, exec_lo, s4
	v_mov_b32_e32 v4, s64
	s_waitcnt_vscnt null, 0x0
	s_barrier
	buffer_gl0_inv
	s_mov_b32 s4, exec_lo
	s_clause 0x3
	buffer_load_dword v1, v4, s[0:3], 0 offen
	buffer_load_dword v2, v4, s[0:3], 0 offen offset:4
	buffer_load_dword v3, v4, s[0:3], 0 offen offset:8
	buffer_load_dword v4, v4, s[0:3], 0 offen offset:12
	s_waitcnt vmcnt(0)
	ds_write_b128 v5, v[1:4]
	s_waitcnt lgkmcnt(0)
	s_barrier
	buffer_gl0_inv
	v_cmpx_gt_u32_e32 13, v0
	s_cbranch_execz .LBB126_79
; %bb.76:
	v_mov_b32_e32 v1, 0
	v_mov_b32_e32 v3, 0
	v_add_nc_u32_e32 v7, -1, v0
	v_add_nc_u32_e32 v8, 0x3f0, v137
	v_mov_b32_e32 v2, 0
	v_mov_b32_e32 v4, 0
	v_add_nc_u32_e32 v135, 16, v137
	s_mov_b32 s5, 0
	.p2align	6
.LBB126_77:                             ; =>This Inner Loop Header: Depth=1
	s_clause 0x3
	buffer_load_dword v142, v135, s[0:3], 0 offen offset:8
	buffer_load_dword v143, v135, s[0:3], 0 offen offset:12
	buffer_load_dword v144, v135, s[0:3], 0 offen
	buffer_load_dword v145, v135, s[0:3], 0 offen offset:4
	ds_read_b128 v[138:141], v8
	v_add_nc_u32_e32 v7, 1, v7
	v_add_nc_u32_e32 v8, 16, v8
	;; [unrolled: 1-line block ×3, first 2 shown]
	v_cmp_lt_u32_e32 vcc_lo, 11, v7
	s_or_b32 s5, vcc_lo, s5
	s_waitcnt vmcnt(2) lgkmcnt(0)
	v_mul_f64 v[146:147], v[140:141], v[142:143]
	v_mul_f64 v[142:143], v[138:139], v[142:143]
	s_waitcnt vmcnt(0)
	v_fma_f64 v[138:139], v[138:139], v[144:145], -v[146:147]
	v_fma_f64 v[140:141], v[140:141], v[144:145], v[142:143]
	v_add_f64 v[3:4], v[3:4], v[138:139]
	v_add_f64 v[1:2], v[1:2], v[140:141]
	s_andn2_b32 exec_lo, exec_lo, s5
	s_cbranch_execnz .LBB126_77
; %bb.78:
	s_or_b32 exec_lo, exec_lo, s5
	v_mov_b32_e32 v7, 0
	ds_read_b128 v[138:141], v7 offset:208
	s_waitcnt lgkmcnt(0)
	v_mul_f64 v[7:8], v[1:2], v[140:141]
	v_mul_f64 v[135:136], v[3:4], v[140:141]
	v_fma_f64 v[3:4], v[3:4], v[138:139], -v[7:8]
	v_fma_f64 v[1:2], v[1:2], v[138:139], v[135:136]
	buffer_store_dword v4, off, s[0:3], 0 offset:228
	buffer_store_dword v3, off, s[0:3], 0 offset:224
	buffer_store_dword v2, off, s[0:3], 0 offset:236
	buffer_store_dword v1, off, s[0:3], 0 offset:232
.LBB126_79:
	s_or_b32 exec_lo, exec_lo, s4
	v_mov_b32_e32 v4, s63
	s_waitcnt_vscnt null, 0x0
	s_barrier
	buffer_gl0_inv
	s_mov_b32 s4, exec_lo
	s_clause 0x3
	buffer_load_dword v1, v4, s[0:3], 0 offen
	buffer_load_dword v2, v4, s[0:3], 0 offen offset:4
	buffer_load_dword v3, v4, s[0:3], 0 offen offset:8
	;; [unrolled: 1-line block ×3, first 2 shown]
	s_waitcnt vmcnt(0)
	ds_write_b128 v5, v[1:4]
	s_waitcnt lgkmcnt(0)
	s_barrier
	buffer_gl0_inv
	v_cmpx_gt_u32_e32 14, v0
	s_cbranch_execz .LBB126_83
; %bb.80:
	v_mov_b32_e32 v1, 0
	v_mov_b32_e32 v3, 0
	v_add_nc_u32_e32 v7, -1, v0
	v_add_nc_u32_e32 v8, 0x3f0, v137
	v_mov_b32_e32 v2, 0
	v_mov_b32_e32 v4, 0
	v_add_nc_u32_e32 v135, 16, v137
	s_mov_b32 s5, 0
	.p2align	6
.LBB126_81:                             ; =>This Inner Loop Header: Depth=1
	s_clause 0x3
	buffer_load_dword v142, v135, s[0:3], 0 offen offset:8
	buffer_load_dword v143, v135, s[0:3], 0 offen offset:12
	buffer_load_dword v144, v135, s[0:3], 0 offen
	buffer_load_dword v145, v135, s[0:3], 0 offen offset:4
	ds_read_b128 v[138:141], v8
	v_add_nc_u32_e32 v7, 1, v7
	v_add_nc_u32_e32 v8, 16, v8
	v_add_nc_u32_e32 v135, 16, v135
	v_cmp_lt_u32_e32 vcc_lo, 12, v7
	s_or_b32 s5, vcc_lo, s5
	s_waitcnt vmcnt(2) lgkmcnt(0)
	v_mul_f64 v[146:147], v[140:141], v[142:143]
	v_mul_f64 v[142:143], v[138:139], v[142:143]
	s_waitcnt vmcnt(0)
	v_fma_f64 v[138:139], v[138:139], v[144:145], -v[146:147]
	v_fma_f64 v[140:141], v[140:141], v[144:145], v[142:143]
	v_add_f64 v[3:4], v[3:4], v[138:139]
	v_add_f64 v[1:2], v[1:2], v[140:141]
	s_andn2_b32 exec_lo, exec_lo, s5
	s_cbranch_execnz .LBB126_81
; %bb.82:
	s_or_b32 exec_lo, exec_lo, s5
	v_mov_b32_e32 v7, 0
	ds_read_b128 v[138:141], v7 offset:224
	s_waitcnt lgkmcnt(0)
	v_mul_f64 v[7:8], v[1:2], v[140:141]
	v_mul_f64 v[135:136], v[3:4], v[140:141]
	v_fma_f64 v[3:4], v[3:4], v[138:139], -v[7:8]
	v_fma_f64 v[1:2], v[1:2], v[138:139], v[135:136]
	buffer_store_dword v4, off, s[0:3], 0 offset:244
	buffer_store_dword v3, off, s[0:3], 0 offset:240
	;; [unrolled: 1-line block ×4, first 2 shown]
.LBB126_83:
	s_or_b32 exec_lo, exec_lo, s4
	v_mov_b32_e32 v4, s62
	s_waitcnt_vscnt null, 0x0
	s_barrier
	buffer_gl0_inv
	s_mov_b32 s4, exec_lo
	s_clause 0x3
	buffer_load_dword v1, v4, s[0:3], 0 offen
	buffer_load_dword v2, v4, s[0:3], 0 offen offset:4
	buffer_load_dword v3, v4, s[0:3], 0 offen offset:8
	;; [unrolled: 1-line block ×3, first 2 shown]
	s_waitcnt vmcnt(0)
	ds_write_b128 v5, v[1:4]
	s_waitcnt lgkmcnt(0)
	s_barrier
	buffer_gl0_inv
	v_cmpx_gt_u32_e32 15, v0
	s_cbranch_execz .LBB126_87
; %bb.84:
	v_mov_b32_e32 v1, 0
	v_mov_b32_e32 v3, 0
	v_add_nc_u32_e32 v7, -1, v0
	v_add_nc_u32_e32 v8, 0x3f0, v137
	v_mov_b32_e32 v2, 0
	v_mov_b32_e32 v4, 0
	v_add_nc_u32_e32 v135, 16, v137
	s_mov_b32 s5, 0
	.p2align	6
.LBB126_85:                             ; =>This Inner Loop Header: Depth=1
	s_clause 0x3
	buffer_load_dword v142, v135, s[0:3], 0 offen offset:8
	buffer_load_dword v143, v135, s[0:3], 0 offen offset:12
	buffer_load_dword v144, v135, s[0:3], 0 offen
	buffer_load_dword v145, v135, s[0:3], 0 offen offset:4
	ds_read_b128 v[138:141], v8
	v_add_nc_u32_e32 v7, 1, v7
	v_add_nc_u32_e32 v8, 16, v8
	;; [unrolled: 1-line block ×3, first 2 shown]
	v_cmp_lt_u32_e32 vcc_lo, 13, v7
	s_or_b32 s5, vcc_lo, s5
	s_waitcnt vmcnt(2) lgkmcnt(0)
	v_mul_f64 v[146:147], v[140:141], v[142:143]
	v_mul_f64 v[142:143], v[138:139], v[142:143]
	s_waitcnt vmcnt(0)
	v_fma_f64 v[138:139], v[138:139], v[144:145], -v[146:147]
	v_fma_f64 v[140:141], v[140:141], v[144:145], v[142:143]
	v_add_f64 v[3:4], v[3:4], v[138:139]
	v_add_f64 v[1:2], v[1:2], v[140:141]
	s_andn2_b32 exec_lo, exec_lo, s5
	s_cbranch_execnz .LBB126_85
; %bb.86:
	s_or_b32 exec_lo, exec_lo, s5
	v_mov_b32_e32 v7, 0
	ds_read_b128 v[138:141], v7 offset:240
	s_waitcnt lgkmcnt(0)
	v_mul_f64 v[7:8], v[1:2], v[140:141]
	v_mul_f64 v[135:136], v[3:4], v[140:141]
	v_fma_f64 v[3:4], v[3:4], v[138:139], -v[7:8]
	v_fma_f64 v[1:2], v[1:2], v[138:139], v[135:136]
	buffer_store_dword v4, off, s[0:3], 0 offset:260
	buffer_store_dword v3, off, s[0:3], 0 offset:256
	;; [unrolled: 1-line block ×4, first 2 shown]
.LBB126_87:
	s_or_b32 exec_lo, exec_lo, s4
	v_mov_b32_e32 v4, s61
	s_waitcnt_vscnt null, 0x0
	s_barrier
	buffer_gl0_inv
	s_mov_b32 s4, exec_lo
	s_clause 0x3
	buffer_load_dword v1, v4, s[0:3], 0 offen
	buffer_load_dword v2, v4, s[0:3], 0 offen offset:4
	buffer_load_dword v3, v4, s[0:3], 0 offen offset:8
	;; [unrolled: 1-line block ×3, first 2 shown]
	s_waitcnt vmcnt(0)
	ds_write_b128 v5, v[1:4]
	s_waitcnt lgkmcnt(0)
	s_barrier
	buffer_gl0_inv
	v_cmpx_gt_u32_e32 16, v0
	s_cbranch_execz .LBB126_91
; %bb.88:
	v_mov_b32_e32 v1, 0
	v_mov_b32_e32 v3, 0
	v_add_nc_u32_e32 v7, -1, v0
	v_add_nc_u32_e32 v8, 0x3f0, v137
	v_mov_b32_e32 v2, 0
	v_mov_b32_e32 v4, 0
	v_add_nc_u32_e32 v135, 16, v137
	s_mov_b32 s5, 0
	.p2align	6
.LBB126_89:                             ; =>This Inner Loop Header: Depth=1
	s_clause 0x3
	buffer_load_dword v142, v135, s[0:3], 0 offen offset:8
	buffer_load_dword v143, v135, s[0:3], 0 offen offset:12
	buffer_load_dword v144, v135, s[0:3], 0 offen
	buffer_load_dword v145, v135, s[0:3], 0 offen offset:4
	ds_read_b128 v[138:141], v8
	v_add_nc_u32_e32 v7, 1, v7
	v_add_nc_u32_e32 v8, 16, v8
	;; [unrolled: 1-line block ×3, first 2 shown]
	v_cmp_lt_u32_e32 vcc_lo, 14, v7
	s_or_b32 s5, vcc_lo, s5
	s_waitcnt vmcnt(2) lgkmcnt(0)
	v_mul_f64 v[146:147], v[140:141], v[142:143]
	v_mul_f64 v[142:143], v[138:139], v[142:143]
	s_waitcnt vmcnt(0)
	v_fma_f64 v[138:139], v[138:139], v[144:145], -v[146:147]
	v_fma_f64 v[140:141], v[140:141], v[144:145], v[142:143]
	v_add_f64 v[3:4], v[3:4], v[138:139]
	v_add_f64 v[1:2], v[1:2], v[140:141]
	s_andn2_b32 exec_lo, exec_lo, s5
	s_cbranch_execnz .LBB126_89
; %bb.90:
	s_or_b32 exec_lo, exec_lo, s5
	v_mov_b32_e32 v7, 0
	ds_read_b128 v[138:141], v7 offset:256
	s_waitcnt lgkmcnt(0)
	v_mul_f64 v[7:8], v[1:2], v[140:141]
	v_mul_f64 v[135:136], v[3:4], v[140:141]
	v_fma_f64 v[3:4], v[3:4], v[138:139], -v[7:8]
	v_fma_f64 v[1:2], v[1:2], v[138:139], v[135:136]
	buffer_store_dword v4, off, s[0:3], 0 offset:276
	buffer_store_dword v3, off, s[0:3], 0 offset:272
	;; [unrolled: 1-line block ×4, first 2 shown]
.LBB126_91:
	s_or_b32 exec_lo, exec_lo, s4
	v_mov_b32_e32 v4, s60
	s_waitcnt_vscnt null, 0x0
	s_barrier
	buffer_gl0_inv
	s_mov_b32 s4, exec_lo
	s_clause 0x3
	buffer_load_dword v1, v4, s[0:3], 0 offen
	buffer_load_dword v2, v4, s[0:3], 0 offen offset:4
	buffer_load_dword v3, v4, s[0:3], 0 offen offset:8
	;; [unrolled: 1-line block ×3, first 2 shown]
	s_waitcnt vmcnt(0)
	ds_write_b128 v5, v[1:4]
	s_waitcnt lgkmcnt(0)
	s_barrier
	buffer_gl0_inv
	v_cmpx_gt_u32_e32 17, v0
	s_cbranch_execz .LBB126_95
; %bb.92:
	v_mov_b32_e32 v1, 0
	v_mov_b32_e32 v3, 0
	v_add_nc_u32_e32 v7, -1, v0
	v_add_nc_u32_e32 v8, 0x3f0, v137
	v_mov_b32_e32 v2, 0
	v_mov_b32_e32 v4, 0
	v_add_nc_u32_e32 v135, 16, v137
	s_mov_b32 s5, 0
	.p2align	6
.LBB126_93:                             ; =>This Inner Loop Header: Depth=1
	s_clause 0x3
	buffer_load_dword v142, v135, s[0:3], 0 offen offset:8
	buffer_load_dword v143, v135, s[0:3], 0 offen offset:12
	buffer_load_dword v144, v135, s[0:3], 0 offen
	buffer_load_dword v145, v135, s[0:3], 0 offen offset:4
	ds_read_b128 v[138:141], v8
	v_add_nc_u32_e32 v7, 1, v7
	v_add_nc_u32_e32 v8, 16, v8
	;; [unrolled: 1-line block ×3, first 2 shown]
	v_cmp_lt_u32_e32 vcc_lo, 15, v7
	s_or_b32 s5, vcc_lo, s5
	s_waitcnt vmcnt(2) lgkmcnt(0)
	v_mul_f64 v[146:147], v[140:141], v[142:143]
	v_mul_f64 v[142:143], v[138:139], v[142:143]
	s_waitcnt vmcnt(0)
	v_fma_f64 v[138:139], v[138:139], v[144:145], -v[146:147]
	v_fma_f64 v[140:141], v[140:141], v[144:145], v[142:143]
	v_add_f64 v[3:4], v[3:4], v[138:139]
	v_add_f64 v[1:2], v[1:2], v[140:141]
	s_andn2_b32 exec_lo, exec_lo, s5
	s_cbranch_execnz .LBB126_93
; %bb.94:
	s_or_b32 exec_lo, exec_lo, s5
	v_mov_b32_e32 v7, 0
	ds_read_b128 v[138:141], v7 offset:272
	s_waitcnt lgkmcnt(0)
	v_mul_f64 v[7:8], v[1:2], v[140:141]
	v_mul_f64 v[135:136], v[3:4], v[140:141]
	v_fma_f64 v[3:4], v[3:4], v[138:139], -v[7:8]
	v_fma_f64 v[1:2], v[1:2], v[138:139], v[135:136]
	buffer_store_dword v4, off, s[0:3], 0 offset:292
	buffer_store_dword v3, off, s[0:3], 0 offset:288
	;; [unrolled: 1-line block ×4, first 2 shown]
.LBB126_95:
	s_or_b32 exec_lo, exec_lo, s4
	v_mov_b32_e32 v4, s59
	s_waitcnt_vscnt null, 0x0
	s_barrier
	buffer_gl0_inv
	s_mov_b32 s4, exec_lo
	s_clause 0x3
	buffer_load_dword v1, v4, s[0:3], 0 offen
	buffer_load_dword v2, v4, s[0:3], 0 offen offset:4
	buffer_load_dword v3, v4, s[0:3], 0 offen offset:8
	;; [unrolled: 1-line block ×3, first 2 shown]
	s_waitcnt vmcnt(0)
	ds_write_b128 v5, v[1:4]
	s_waitcnt lgkmcnt(0)
	s_barrier
	buffer_gl0_inv
	v_cmpx_gt_u32_e32 18, v0
	s_cbranch_execz .LBB126_99
; %bb.96:
	v_mov_b32_e32 v1, 0
	v_mov_b32_e32 v3, 0
	v_add_nc_u32_e32 v7, -1, v0
	v_add_nc_u32_e32 v8, 0x3f0, v137
	v_mov_b32_e32 v2, 0
	v_mov_b32_e32 v4, 0
	v_add_nc_u32_e32 v135, 16, v137
	s_mov_b32 s5, 0
	.p2align	6
.LBB126_97:                             ; =>This Inner Loop Header: Depth=1
	s_clause 0x3
	buffer_load_dword v142, v135, s[0:3], 0 offen offset:8
	buffer_load_dword v143, v135, s[0:3], 0 offen offset:12
	buffer_load_dword v144, v135, s[0:3], 0 offen
	buffer_load_dword v145, v135, s[0:3], 0 offen offset:4
	ds_read_b128 v[138:141], v8
	v_add_nc_u32_e32 v7, 1, v7
	v_add_nc_u32_e32 v8, 16, v8
	;; [unrolled: 1-line block ×3, first 2 shown]
	v_cmp_lt_u32_e32 vcc_lo, 16, v7
	s_or_b32 s5, vcc_lo, s5
	s_waitcnt vmcnt(2) lgkmcnt(0)
	v_mul_f64 v[146:147], v[140:141], v[142:143]
	v_mul_f64 v[142:143], v[138:139], v[142:143]
	s_waitcnt vmcnt(0)
	v_fma_f64 v[138:139], v[138:139], v[144:145], -v[146:147]
	v_fma_f64 v[140:141], v[140:141], v[144:145], v[142:143]
	v_add_f64 v[3:4], v[3:4], v[138:139]
	v_add_f64 v[1:2], v[1:2], v[140:141]
	s_andn2_b32 exec_lo, exec_lo, s5
	s_cbranch_execnz .LBB126_97
; %bb.98:
	s_or_b32 exec_lo, exec_lo, s5
	v_mov_b32_e32 v7, 0
	ds_read_b128 v[138:141], v7 offset:288
	s_waitcnt lgkmcnt(0)
	v_mul_f64 v[7:8], v[1:2], v[140:141]
	v_mul_f64 v[135:136], v[3:4], v[140:141]
	v_fma_f64 v[3:4], v[3:4], v[138:139], -v[7:8]
	v_fma_f64 v[1:2], v[1:2], v[138:139], v[135:136]
	buffer_store_dword v4, off, s[0:3], 0 offset:308
	buffer_store_dword v3, off, s[0:3], 0 offset:304
	buffer_store_dword v2, off, s[0:3], 0 offset:316
	buffer_store_dword v1, off, s[0:3], 0 offset:312
.LBB126_99:
	s_or_b32 exec_lo, exec_lo, s4
	v_mov_b32_e32 v4, s58
	s_waitcnt_vscnt null, 0x0
	s_barrier
	buffer_gl0_inv
	s_mov_b32 s4, exec_lo
	s_clause 0x3
	buffer_load_dword v1, v4, s[0:3], 0 offen
	buffer_load_dword v2, v4, s[0:3], 0 offen offset:4
	buffer_load_dword v3, v4, s[0:3], 0 offen offset:8
	;; [unrolled: 1-line block ×3, first 2 shown]
	s_waitcnt vmcnt(0)
	ds_write_b128 v5, v[1:4]
	s_waitcnt lgkmcnt(0)
	s_barrier
	buffer_gl0_inv
	v_cmpx_gt_u32_e32 19, v0
	s_cbranch_execz .LBB126_103
; %bb.100:
	v_mov_b32_e32 v1, 0
	v_mov_b32_e32 v3, 0
	v_add_nc_u32_e32 v7, -1, v0
	v_add_nc_u32_e32 v8, 0x3f0, v137
	v_mov_b32_e32 v2, 0
	v_mov_b32_e32 v4, 0
	v_add_nc_u32_e32 v135, 16, v137
	s_mov_b32 s5, 0
	.p2align	6
.LBB126_101:                            ; =>This Inner Loop Header: Depth=1
	s_clause 0x3
	buffer_load_dword v142, v135, s[0:3], 0 offen offset:8
	buffer_load_dword v143, v135, s[0:3], 0 offen offset:12
	buffer_load_dword v144, v135, s[0:3], 0 offen
	buffer_load_dword v145, v135, s[0:3], 0 offen offset:4
	ds_read_b128 v[138:141], v8
	v_add_nc_u32_e32 v7, 1, v7
	v_add_nc_u32_e32 v8, 16, v8
	;; [unrolled: 1-line block ×3, first 2 shown]
	v_cmp_lt_u32_e32 vcc_lo, 17, v7
	s_or_b32 s5, vcc_lo, s5
	s_waitcnt vmcnt(2) lgkmcnt(0)
	v_mul_f64 v[146:147], v[140:141], v[142:143]
	v_mul_f64 v[142:143], v[138:139], v[142:143]
	s_waitcnt vmcnt(0)
	v_fma_f64 v[138:139], v[138:139], v[144:145], -v[146:147]
	v_fma_f64 v[140:141], v[140:141], v[144:145], v[142:143]
	v_add_f64 v[3:4], v[3:4], v[138:139]
	v_add_f64 v[1:2], v[1:2], v[140:141]
	s_andn2_b32 exec_lo, exec_lo, s5
	s_cbranch_execnz .LBB126_101
; %bb.102:
	s_or_b32 exec_lo, exec_lo, s5
	v_mov_b32_e32 v7, 0
	ds_read_b128 v[138:141], v7 offset:304
	s_waitcnt lgkmcnt(0)
	v_mul_f64 v[7:8], v[1:2], v[140:141]
	v_mul_f64 v[135:136], v[3:4], v[140:141]
	v_fma_f64 v[3:4], v[3:4], v[138:139], -v[7:8]
	v_fma_f64 v[1:2], v[1:2], v[138:139], v[135:136]
	buffer_store_dword v4, off, s[0:3], 0 offset:324
	buffer_store_dword v3, off, s[0:3], 0 offset:320
	buffer_store_dword v2, off, s[0:3], 0 offset:332
	buffer_store_dword v1, off, s[0:3], 0 offset:328
.LBB126_103:
	s_or_b32 exec_lo, exec_lo, s4
	v_mov_b32_e32 v4, s57
	s_waitcnt_vscnt null, 0x0
	s_barrier
	buffer_gl0_inv
	s_mov_b32 s4, exec_lo
	s_clause 0x3
	buffer_load_dword v1, v4, s[0:3], 0 offen
	buffer_load_dword v2, v4, s[0:3], 0 offen offset:4
	buffer_load_dword v3, v4, s[0:3], 0 offen offset:8
	;; [unrolled: 1-line block ×3, first 2 shown]
	s_waitcnt vmcnt(0)
	ds_write_b128 v5, v[1:4]
	s_waitcnt lgkmcnt(0)
	s_barrier
	buffer_gl0_inv
	v_cmpx_gt_u32_e32 20, v0
	s_cbranch_execz .LBB126_107
; %bb.104:
	v_mov_b32_e32 v1, 0
	v_mov_b32_e32 v3, 0
	v_add_nc_u32_e32 v7, -1, v0
	v_add_nc_u32_e32 v8, 0x3f0, v137
	v_mov_b32_e32 v2, 0
	v_mov_b32_e32 v4, 0
	v_add_nc_u32_e32 v135, 16, v137
	s_mov_b32 s5, 0
	.p2align	6
.LBB126_105:                            ; =>This Inner Loop Header: Depth=1
	s_clause 0x3
	buffer_load_dword v142, v135, s[0:3], 0 offen offset:8
	buffer_load_dword v143, v135, s[0:3], 0 offen offset:12
	buffer_load_dword v144, v135, s[0:3], 0 offen
	buffer_load_dword v145, v135, s[0:3], 0 offen offset:4
	ds_read_b128 v[138:141], v8
	v_add_nc_u32_e32 v7, 1, v7
	v_add_nc_u32_e32 v8, 16, v8
	v_add_nc_u32_e32 v135, 16, v135
	v_cmp_lt_u32_e32 vcc_lo, 18, v7
	s_or_b32 s5, vcc_lo, s5
	s_waitcnt vmcnt(2) lgkmcnt(0)
	v_mul_f64 v[146:147], v[140:141], v[142:143]
	v_mul_f64 v[142:143], v[138:139], v[142:143]
	s_waitcnt vmcnt(0)
	v_fma_f64 v[138:139], v[138:139], v[144:145], -v[146:147]
	v_fma_f64 v[140:141], v[140:141], v[144:145], v[142:143]
	v_add_f64 v[3:4], v[3:4], v[138:139]
	v_add_f64 v[1:2], v[1:2], v[140:141]
	s_andn2_b32 exec_lo, exec_lo, s5
	s_cbranch_execnz .LBB126_105
; %bb.106:
	s_or_b32 exec_lo, exec_lo, s5
	v_mov_b32_e32 v7, 0
	ds_read_b128 v[138:141], v7 offset:320
	s_waitcnt lgkmcnt(0)
	v_mul_f64 v[7:8], v[1:2], v[140:141]
	v_mul_f64 v[135:136], v[3:4], v[140:141]
	v_fma_f64 v[3:4], v[3:4], v[138:139], -v[7:8]
	v_fma_f64 v[1:2], v[1:2], v[138:139], v[135:136]
	buffer_store_dword v4, off, s[0:3], 0 offset:340
	buffer_store_dword v3, off, s[0:3], 0 offset:336
	;; [unrolled: 1-line block ×4, first 2 shown]
.LBB126_107:
	s_or_b32 exec_lo, exec_lo, s4
	v_mov_b32_e32 v4, s56
	s_waitcnt_vscnt null, 0x0
	s_barrier
	buffer_gl0_inv
	s_mov_b32 s4, exec_lo
	s_clause 0x3
	buffer_load_dword v1, v4, s[0:3], 0 offen
	buffer_load_dword v2, v4, s[0:3], 0 offen offset:4
	buffer_load_dword v3, v4, s[0:3], 0 offen offset:8
	;; [unrolled: 1-line block ×3, first 2 shown]
	s_waitcnt vmcnt(0)
	ds_write_b128 v5, v[1:4]
	s_waitcnt lgkmcnt(0)
	s_barrier
	buffer_gl0_inv
	v_cmpx_gt_u32_e32 21, v0
	s_cbranch_execz .LBB126_111
; %bb.108:
	v_mov_b32_e32 v1, 0
	v_mov_b32_e32 v3, 0
	v_add_nc_u32_e32 v7, -1, v0
	v_add_nc_u32_e32 v8, 0x3f0, v137
	v_mov_b32_e32 v2, 0
	v_mov_b32_e32 v4, 0
	v_add_nc_u32_e32 v135, 16, v137
	s_mov_b32 s5, 0
	.p2align	6
.LBB126_109:                            ; =>This Inner Loop Header: Depth=1
	s_clause 0x3
	buffer_load_dword v142, v135, s[0:3], 0 offen offset:8
	buffer_load_dword v143, v135, s[0:3], 0 offen offset:12
	buffer_load_dword v144, v135, s[0:3], 0 offen
	buffer_load_dword v145, v135, s[0:3], 0 offen offset:4
	ds_read_b128 v[138:141], v8
	v_add_nc_u32_e32 v7, 1, v7
	v_add_nc_u32_e32 v8, 16, v8
	;; [unrolled: 1-line block ×3, first 2 shown]
	v_cmp_lt_u32_e32 vcc_lo, 19, v7
	s_or_b32 s5, vcc_lo, s5
	s_waitcnt vmcnt(2) lgkmcnt(0)
	v_mul_f64 v[146:147], v[140:141], v[142:143]
	v_mul_f64 v[142:143], v[138:139], v[142:143]
	s_waitcnt vmcnt(0)
	v_fma_f64 v[138:139], v[138:139], v[144:145], -v[146:147]
	v_fma_f64 v[140:141], v[140:141], v[144:145], v[142:143]
	v_add_f64 v[3:4], v[3:4], v[138:139]
	v_add_f64 v[1:2], v[1:2], v[140:141]
	s_andn2_b32 exec_lo, exec_lo, s5
	s_cbranch_execnz .LBB126_109
; %bb.110:
	s_or_b32 exec_lo, exec_lo, s5
	v_mov_b32_e32 v7, 0
	ds_read_b128 v[138:141], v7 offset:336
	s_waitcnt lgkmcnt(0)
	v_mul_f64 v[7:8], v[1:2], v[140:141]
	v_mul_f64 v[135:136], v[3:4], v[140:141]
	v_fma_f64 v[3:4], v[3:4], v[138:139], -v[7:8]
	v_fma_f64 v[1:2], v[1:2], v[138:139], v[135:136]
	buffer_store_dword v4, off, s[0:3], 0 offset:356
	buffer_store_dword v3, off, s[0:3], 0 offset:352
	;; [unrolled: 1-line block ×4, first 2 shown]
.LBB126_111:
	s_or_b32 exec_lo, exec_lo, s4
	v_mov_b32_e32 v4, s55
	s_waitcnt_vscnt null, 0x0
	s_barrier
	buffer_gl0_inv
	s_mov_b32 s4, exec_lo
	s_clause 0x3
	buffer_load_dword v1, v4, s[0:3], 0 offen
	buffer_load_dword v2, v4, s[0:3], 0 offen offset:4
	buffer_load_dword v3, v4, s[0:3], 0 offen offset:8
	;; [unrolled: 1-line block ×3, first 2 shown]
	s_waitcnt vmcnt(0)
	ds_write_b128 v5, v[1:4]
	s_waitcnt lgkmcnt(0)
	s_barrier
	buffer_gl0_inv
	v_cmpx_gt_u32_e32 22, v0
	s_cbranch_execz .LBB126_115
; %bb.112:
	v_mov_b32_e32 v1, 0
	v_mov_b32_e32 v3, 0
	v_add_nc_u32_e32 v7, -1, v0
	v_add_nc_u32_e32 v8, 0x3f0, v137
	v_mov_b32_e32 v2, 0
	v_mov_b32_e32 v4, 0
	v_add_nc_u32_e32 v135, 16, v137
	s_mov_b32 s5, 0
	.p2align	6
.LBB126_113:                            ; =>This Inner Loop Header: Depth=1
	s_clause 0x3
	buffer_load_dword v142, v135, s[0:3], 0 offen offset:8
	buffer_load_dword v143, v135, s[0:3], 0 offen offset:12
	buffer_load_dword v144, v135, s[0:3], 0 offen
	buffer_load_dword v145, v135, s[0:3], 0 offen offset:4
	ds_read_b128 v[138:141], v8
	v_add_nc_u32_e32 v7, 1, v7
	v_add_nc_u32_e32 v8, 16, v8
	;; [unrolled: 1-line block ×3, first 2 shown]
	v_cmp_lt_u32_e32 vcc_lo, 20, v7
	s_or_b32 s5, vcc_lo, s5
	s_waitcnt vmcnt(2) lgkmcnt(0)
	v_mul_f64 v[146:147], v[140:141], v[142:143]
	v_mul_f64 v[142:143], v[138:139], v[142:143]
	s_waitcnt vmcnt(0)
	v_fma_f64 v[138:139], v[138:139], v[144:145], -v[146:147]
	v_fma_f64 v[140:141], v[140:141], v[144:145], v[142:143]
	v_add_f64 v[3:4], v[3:4], v[138:139]
	v_add_f64 v[1:2], v[1:2], v[140:141]
	s_andn2_b32 exec_lo, exec_lo, s5
	s_cbranch_execnz .LBB126_113
; %bb.114:
	s_or_b32 exec_lo, exec_lo, s5
	v_mov_b32_e32 v7, 0
	ds_read_b128 v[138:141], v7 offset:352
	s_waitcnt lgkmcnt(0)
	v_mul_f64 v[7:8], v[1:2], v[140:141]
	v_mul_f64 v[135:136], v[3:4], v[140:141]
	v_fma_f64 v[3:4], v[3:4], v[138:139], -v[7:8]
	v_fma_f64 v[1:2], v[1:2], v[138:139], v[135:136]
	buffer_store_dword v4, off, s[0:3], 0 offset:372
	buffer_store_dword v3, off, s[0:3], 0 offset:368
	;; [unrolled: 1-line block ×4, first 2 shown]
.LBB126_115:
	s_or_b32 exec_lo, exec_lo, s4
	v_mov_b32_e32 v4, s54
	s_waitcnt_vscnt null, 0x0
	s_barrier
	buffer_gl0_inv
	s_mov_b32 s4, exec_lo
	s_clause 0x3
	buffer_load_dword v1, v4, s[0:3], 0 offen
	buffer_load_dword v2, v4, s[0:3], 0 offen offset:4
	buffer_load_dword v3, v4, s[0:3], 0 offen offset:8
	;; [unrolled: 1-line block ×3, first 2 shown]
	s_waitcnt vmcnt(0)
	ds_write_b128 v5, v[1:4]
	s_waitcnt lgkmcnt(0)
	s_barrier
	buffer_gl0_inv
	v_cmpx_gt_u32_e32 23, v0
	s_cbranch_execz .LBB126_119
; %bb.116:
	v_mov_b32_e32 v1, 0
	v_mov_b32_e32 v3, 0
	v_add_nc_u32_e32 v7, -1, v0
	v_add_nc_u32_e32 v8, 0x3f0, v137
	v_mov_b32_e32 v2, 0
	v_mov_b32_e32 v4, 0
	v_add_nc_u32_e32 v135, 16, v137
	s_mov_b32 s5, 0
	.p2align	6
.LBB126_117:                            ; =>This Inner Loop Header: Depth=1
	s_clause 0x3
	buffer_load_dword v142, v135, s[0:3], 0 offen offset:8
	buffer_load_dword v143, v135, s[0:3], 0 offen offset:12
	buffer_load_dword v144, v135, s[0:3], 0 offen
	buffer_load_dword v145, v135, s[0:3], 0 offen offset:4
	ds_read_b128 v[138:141], v8
	v_add_nc_u32_e32 v7, 1, v7
	v_add_nc_u32_e32 v8, 16, v8
	;; [unrolled: 1-line block ×3, first 2 shown]
	v_cmp_lt_u32_e32 vcc_lo, 21, v7
	s_or_b32 s5, vcc_lo, s5
	s_waitcnt vmcnt(2) lgkmcnt(0)
	v_mul_f64 v[146:147], v[140:141], v[142:143]
	v_mul_f64 v[142:143], v[138:139], v[142:143]
	s_waitcnt vmcnt(0)
	v_fma_f64 v[138:139], v[138:139], v[144:145], -v[146:147]
	v_fma_f64 v[140:141], v[140:141], v[144:145], v[142:143]
	v_add_f64 v[3:4], v[3:4], v[138:139]
	v_add_f64 v[1:2], v[1:2], v[140:141]
	s_andn2_b32 exec_lo, exec_lo, s5
	s_cbranch_execnz .LBB126_117
; %bb.118:
	s_or_b32 exec_lo, exec_lo, s5
	v_mov_b32_e32 v7, 0
	ds_read_b128 v[138:141], v7 offset:368
	s_waitcnt lgkmcnt(0)
	v_mul_f64 v[7:8], v[1:2], v[140:141]
	v_mul_f64 v[135:136], v[3:4], v[140:141]
	v_fma_f64 v[3:4], v[3:4], v[138:139], -v[7:8]
	v_fma_f64 v[1:2], v[1:2], v[138:139], v[135:136]
	buffer_store_dword v4, off, s[0:3], 0 offset:388
	buffer_store_dword v3, off, s[0:3], 0 offset:384
	;; [unrolled: 1-line block ×4, first 2 shown]
.LBB126_119:
	s_or_b32 exec_lo, exec_lo, s4
	v_mov_b32_e32 v4, s53
	s_waitcnt_vscnt null, 0x0
	s_barrier
	buffer_gl0_inv
	s_mov_b32 s4, exec_lo
	s_clause 0x3
	buffer_load_dword v1, v4, s[0:3], 0 offen
	buffer_load_dword v2, v4, s[0:3], 0 offen offset:4
	buffer_load_dword v3, v4, s[0:3], 0 offen offset:8
	;; [unrolled: 1-line block ×3, first 2 shown]
	s_waitcnt vmcnt(0)
	ds_write_b128 v5, v[1:4]
	s_waitcnt lgkmcnt(0)
	s_barrier
	buffer_gl0_inv
	v_cmpx_gt_u32_e32 24, v0
	s_cbranch_execz .LBB126_123
; %bb.120:
	v_mov_b32_e32 v1, 0
	v_mov_b32_e32 v3, 0
	v_add_nc_u32_e32 v7, -1, v0
	v_add_nc_u32_e32 v8, 0x3f0, v137
	v_mov_b32_e32 v2, 0
	v_mov_b32_e32 v4, 0
	v_add_nc_u32_e32 v135, 16, v137
	s_mov_b32 s5, 0
	.p2align	6
.LBB126_121:                            ; =>This Inner Loop Header: Depth=1
	s_clause 0x3
	buffer_load_dword v142, v135, s[0:3], 0 offen offset:8
	buffer_load_dword v143, v135, s[0:3], 0 offen offset:12
	buffer_load_dword v144, v135, s[0:3], 0 offen
	buffer_load_dword v145, v135, s[0:3], 0 offen offset:4
	ds_read_b128 v[138:141], v8
	v_add_nc_u32_e32 v7, 1, v7
	v_add_nc_u32_e32 v8, 16, v8
	v_add_nc_u32_e32 v135, 16, v135
	v_cmp_lt_u32_e32 vcc_lo, 22, v7
	s_or_b32 s5, vcc_lo, s5
	s_waitcnt vmcnt(2) lgkmcnt(0)
	v_mul_f64 v[146:147], v[140:141], v[142:143]
	v_mul_f64 v[142:143], v[138:139], v[142:143]
	s_waitcnt vmcnt(0)
	v_fma_f64 v[138:139], v[138:139], v[144:145], -v[146:147]
	v_fma_f64 v[140:141], v[140:141], v[144:145], v[142:143]
	v_add_f64 v[3:4], v[3:4], v[138:139]
	v_add_f64 v[1:2], v[1:2], v[140:141]
	s_andn2_b32 exec_lo, exec_lo, s5
	s_cbranch_execnz .LBB126_121
; %bb.122:
	s_or_b32 exec_lo, exec_lo, s5
	v_mov_b32_e32 v7, 0
	ds_read_b128 v[138:141], v7 offset:384
	s_waitcnt lgkmcnt(0)
	v_mul_f64 v[7:8], v[1:2], v[140:141]
	v_mul_f64 v[135:136], v[3:4], v[140:141]
	v_fma_f64 v[3:4], v[3:4], v[138:139], -v[7:8]
	v_fma_f64 v[1:2], v[1:2], v[138:139], v[135:136]
	buffer_store_dword v4, off, s[0:3], 0 offset:404
	buffer_store_dword v3, off, s[0:3], 0 offset:400
	;; [unrolled: 1-line block ×4, first 2 shown]
.LBB126_123:
	s_or_b32 exec_lo, exec_lo, s4
	v_mov_b32_e32 v4, s52
	s_waitcnt_vscnt null, 0x0
	s_barrier
	buffer_gl0_inv
	s_mov_b32 s4, exec_lo
	s_clause 0x3
	buffer_load_dword v1, v4, s[0:3], 0 offen
	buffer_load_dword v2, v4, s[0:3], 0 offen offset:4
	buffer_load_dword v3, v4, s[0:3], 0 offen offset:8
	buffer_load_dword v4, v4, s[0:3], 0 offen offset:12
	s_waitcnt vmcnt(0)
	ds_write_b128 v5, v[1:4]
	s_waitcnt lgkmcnt(0)
	s_barrier
	buffer_gl0_inv
	v_cmpx_gt_u32_e32 25, v0
	s_cbranch_execz .LBB126_127
; %bb.124:
	v_mov_b32_e32 v1, 0
	v_mov_b32_e32 v3, 0
	v_add_nc_u32_e32 v7, -1, v0
	v_add_nc_u32_e32 v8, 0x3f0, v137
	v_mov_b32_e32 v2, 0
	v_mov_b32_e32 v4, 0
	v_add_nc_u32_e32 v135, 16, v137
	s_mov_b32 s5, 0
	.p2align	6
.LBB126_125:                            ; =>This Inner Loop Header: Depth=1
	s_clause 0x3
	buffer_load_dword v142, v135, s[0:3], 0 offen offset:8
	buffer_load_dword v143, v135, s[0:3], 0 offen offset:12
	buffer_load_dword v144, v135, s[0:3], 0 offen
	buffer_load_dword v145, v135, s[0:3], 0 offen offset:4
	ds_read_b128 v[138:141], v8
	v_add_nc_u32_e32 v7, 1, v7
	v_add_nc_u32_e32 v8, 16, v8
	v_add_nc_u32_e32 v135, 16, v135
	v_cmp_lt_u32_e32 vcc_lo, 23, v7
	s_or_b32 s5, vcc_lo, s5
	s_waitcnt vmcnt(2) lgkmcnt(0)
	v_mul_f64 v[146:147], v[140:141], v[142:143]
	v_mul_f64 v[142:143], v[138:139], v[142:143]
	s_waitcnt vmcnt(0)
	v_fma_f64 v[138:139], v[138:139], v[144:145], -v[146:147]
	v_fma_f64 v[140:141], v[140:141], v[144:145], v[142:143]
	v_add_f64 v[3:4], v[3:4], v[138:139]
	v_add_f64 v[1:2], v[1:2], v[140:141]
	s_andn2_b32 exec_lo, exec_lo, s5
	s_cbranch_execnz .LBB126_125
; %bb.126:
	s_or_b32 exec_lo, exec_lo, s5
	v_mov_b32_e32 v7, 0
	ds_read_b128 v[138:141], v7 offset:400
	s_waitcnt lgkmcnt(0)
	v_mul_f64 v[7:8], v[1:2], v[140:141]
	v_mul_f64 v[135:136], v[3:4], v[140:141]
	v_fma_f64 v[3:4], v[3:4], v[138:139], -v[7:8]
	v_fma_f64 v[1:2], v[1:2], v[138:139], v[135:136]
	buffer_store_dword v4, off, s[0:3], 0 offset:420
	buffer_store_dword v3, off, s[0:3], 0 offset:416
	;; [unrolled: 1-line block ×4, first 2 shown]
.LBB126_127:
	s_or_b32 exec_lo, exec_lo, s4
	v_mov_b32_e32 v4, s51
	s_waitcnt_vscnt null, 0x0
	s_barrier
	buffer_gl0_inv
	s_mov_b32 s4, exec_lo
	s_clause 0x3
	buffer_load_dword v1, v4, s[0:3], 0 offen
	buffer_load_dword v2, v4, s[0:3], 0 offen offset:4
	buffer_load_dword v3, v4, s[0:3], 0 offen offset:8
	;; [unrolled: 1-line block ×3, first 2 shown]
	s_waitcnt vmcnt(0)
	ds_write_b128 v5, v[1:4]
	s_waitcnt lgkmcnt(0)
	s_barrier
	buffer_gl0_inv
	v_cmpx_gt_u32_e32 26, v0
	s_cbranch_execz .LBB126_131
; %bb.128:
	v_mov_b32_e32 v1, 0
	v_mov_b32_e32 v3, 0
	v_add_nc_u32_e32 v7, -1, v0
	v_add_nc_u32_e32 v8, 0x3f0, v137
	v_mov_b32_e32 v2, 0
	v_mov_b32_e32 v4, 0
	v_add_nc_u32_e32 v135, 16, v137
	s_mov_b32 s5, 0
	.p2align	6
.LBB126_129:                            ; =>This Inner Loop Header: Depth=1
	s_clause 0x3
	buffer_load_dword v142, v135, s[0:3], 0 offen offset:8
	buffer_load_dword v143, v135, s[0:3], 0 offen offset:12
	buffer_load_dword v144, v135, s[0:3], 0 offen
	buffer_load_dword v145, v135, s[0:3], 0 offen offset:4
	ds_read_b128 v[138:141], v8
	v_add_nc_u32_e32 v7, 1, v7
	v_add_nc_u32_e32 v8, 16, v8
	;; [unrolled: 1-line block ×3, first 2 shown]
	v_cmp_lt_u32_e32 vcc_lo, 24, v7
	s_or_b32 s5, vcc_lo, s5
	s_waitcnt vmcnt(2) lgkmcnt(0)
	v_mul_f64 v[146:147], v[140:141], v[142:143]
	v_mul_f64 v[142:143], v[138:139], v[142:143]
	s_waitcnt vmcnt(0)
	v_fma_f64 v[138:139], v[138:139], v[144:145], -v[146:147]
	v_fma_f64 v[140:141], v[140:141], v[144:145], v[142:143]
	v_add_f64 v[3:4], v[3:4], v[138:139]
	v_add_f64 v[1:2], v[1:2], v[140:141]
	s_andn2_b32 exec_lo, exec_lo, s5
	s_cbranch_execnz .LBB126_129
; %bb.130:
	s_or_b32 exec_lo, exec_lo, s5
	v_mov_b32_e32 v7, 0
	ds_read_b128 v[138:141], v7 offset:416
	s_waitcnt lgkmcnt(0)
	v_mul_f64 v[7:8], v[1:2], v[140:141]
	v_mul_f64 v[135:136], v[3:4], v[140:141]
	v_fma_f64 v[3:4], v[3:4], v[138:139], -v[7:8]
	v_fma_f64 v[1:2], v[1:2], v[138:139], v[135:136]
	buffer_store_dword v4, off, s[0:3], 0 offset:436
	buffer_store_dword v3, off, s[0:3], 0 offset:432
	buffer_store_dword v2, off, s[0:3], 0 offset:444
	buffer_store_dword v1, off, s[0:3], 0 offset:440
.LBB126_131:
	s_or_b32 exec_lo, exec_lo, s4
	v_mov_b32_e32 v4, s50
	s_waitcnt_vscnt null, 0x0
	s_barrier
	buffer_gl0_inv
	s_mov_b32 s4, exec_lo
	s_clause 0x3
	buffer_load_dword v1, v4, s[0:3], 0 offen
	buffer_load_dword v2, v4, s[0:3], 0 offen offset:4
	buffer_load_dword v3, v4, s[0:3], 0 offen offset:8
	;; [unrolled: 1-line block ×3, first 2 shown]
	s_waitcnt vmcnt(0)
	ds_write_b128 v5, v[1:4]
	s_waitcnt lgkmcnt(0)
	s_barrier
	buffer_gl0_inv
	v_cmpx_gt_u32_e32 27, v0
	s_cbranch_execz .LBB126_135
; %bb.132:
	v_mov_b32_e32 v1, 0
	v_mov_b32_e32 v3, 0
	v_add_nc_u32_e32 v7, -1, v0
	v_add_nc_u32_e32 v8, 0x3f0, v137
	v_mov_b32_e32 v2, 0
	v_mov_b32_e32 v4, 0
	v_add_nc_u32_e32 v135, 16, v137
	s_mov_b32 s5, 0
	.p2align	6
.LBB126_133:                            ; =>This Inner Loop Header: Depth=1
	s_clause 0x3
	buffer_load_dword v142, v135, s[0:3], 0 offen offset:8
	buffer_load_dword v143, v135, s[0:3], 0 offen offset:12
	buffer_load_dword v144, v135, s[0:3], 0 offen
	buffer_load_dword v145, v135, s[0:3], 0 offen offset:4
	ds_read_b128 v[138:141], v8
	v_add_nc_u32_e32 v7, 1, v7
	v_add_nc_u32_e32 v8, 16, v8
	;; [unrolled: 1-line block ×3, first 2 shown]
	v_cmp_lt_u32_e32 vcc_lo, 25, v7
	s_or_b32 s5, vcc_lo, s5
	s_waitcnt vmcnt(2) lgkmcnt(0)
	v_mul_f64 v[146:147], v[140:141], v[142:143]
	v_mul_f64 v[142:143], v[138:139], v[142:143]
	s_waitcnt vmcnt(0)
	v_fma_f64 v[138:139], v[138:139], v[144:145], -v[146:147]
	v_fma_f64 v[140:141], v[140:141], v[144:145], v[142:143]
	v_add_f64 v[3:4], v[3:4], v[138:139]
	v_add_f64 v[1:2], v[1:2], v[140:141]
	s_andn2_b32 exec_lo, exec_lo, s5
	s_cbranch_execnz .LBB126_133
; %bb.134:
	s_or_b32 exec_lo, exec_lo, s5
	v_mov_b32_e32 v7, 0
	ds_read_b128 v[138:141], v7 offset:432
	s_waitcnt lgkmcnt(0)
	v_mul_f64 v[7:8], v[1:2], v[140:141]
	v_mul_f64 v[135:136], v[3:4], v[140:141]
	v_fma_f64 v[3:4], v[3:4], v[138:139], -v[7:8]
	v_fma_f64 v[1:2], v[1:2], v[138:139], v[135:136]
	buffer_store_dword v4, off, s[0:3], 0 offset:452
	buffer_store_dword v3, off, s[0:3], 0 offset:448
	;; [unrolled: 1-line block ×4, first 2 shown]
.LBB126_135:
	s_or_b32 exec_lo, exec_lo, s4
	v_mov_b32_e32 v4, s49
	s_waitcnt_vscnt null, 0x0
	s_barrier
	buffer_gl0_inv
	s_mov_b32 s4, exec_lo
	s_clause 0x3
	buffer_load_dword v1, v4, s[0:3], 0 offen
	buffer_load_dword v2, v4, s[0:3], 0 offen offset:4
	buffer_load_dword v3, v4, s[0:3], 0 offen offset:8
	;; [unrolled: 1-line block ×3, first 2 shown]
	s_waitcnt vmcnt(0)
	ds_write_b128 v5, v[1:4]
	s_waitcnt lgkmcnt(0)
	s_barrier
	buffer_gl0_inv
	v_cmpx_gt_u32_e32 28, v0
	s_cbranch_execz .LBB126_139
; %bb.136:
	v_mov_b32_e32 v1, 0
	v_mov_b32_e32 v3, 0
	v_add_nc_u32_e32 v7, -1, v0
	v_add_nc_u32_e32 v8, 0x3f0, v137
	v_mov_b32_e32 v2, 0
	v_mov_b32_e32 v4, 0
	v_add_nc_u32_e32 v135, 16, v137
	s_mov_b32 s5, 0
	.p2align	6
.LBB126_137:                            ; =>This Inner Loop Header: Depth=1
	s_clause 0x3
	buffer_load_dword v142, v135, s[0:3], 0 offen offset:8
	buffer_load_dword v143, v135, s[0:3], 0 offen offset:12
	buffer_load_dword v144, v135, s[0:3], 0 offen
	buffer_load_dword v145, v135, s[0:3], 0 offen offset:4
	ds_read_b128 v[138:141], v8
	v_add_nc_u32_e32 v7, 1, v7
	v_add_nc_u32_e32 v8, 16, v8
	;; [unrolled: 1-line block ×3, first 2 shown]
	v_cmp_lt_u32_e32 vcc_lo, 26, v7
	s_or_b32 s5, vcc_lo, s5
	s_waitcnt vmcnt(2) lgkmcnt(0)
	v_mul_f64 v[146:147], v[140:141], v[142:143]
	v_mul_f64 v[142:143], v[138:139], v[142:143]
	s_waitcnt vmcnt(0)
	v_fma_f64 v[138:139], v[138:139], v[144:145], -v[146:147]
	v_fma_f64 v[140:141], v[140:141], v[144:145], v[142:143]
	v_add_f64 v[3:4], v[3:4], v[138:139]
	v_add_f64 v[1:2], v[1:2], v[140:141]
	s_andn2_b32 exec_lo, exec_lo, s5
	s_cbranch_execnz .LBB126_137
; %bb.138:
	s_or_b32 exec_lo, exec_lo, s5
	v_mov_b32_e32 v7, 0
	ds_read_b128 v[138:141], v7 offset:448
	s_waitcnt lgkmcnt(0)
	v_mul_f64 v[7:8], v[1:2], v[140:141]
	v_mul_f64 v[135:136], v[3:4], v[140:141]
	v_fma_f64 v[3:4], v[3:4], v[138:139], -v[7:8]
	v_fma_f64 v[1:2], v[1:2], v[138:139], v[135:136]
	buffer_store_dword v4, off, s[0:3], 0 offset:468
	buffer_store_dword v3, off, s[0:3], 0 offset:464
	;; [unrolled: 1-line block ×4, first 2 shown]
.LBB126_139:
	s_or_b32 exec_lo, exec_lo, s4
	v_mov_b32_e32 v4, s48
	s_waitcnt_vscnt null, 0x0
	s_barrier
	buffer_gl0_inv
	s_mov_b32 s4, exec_lo
	s_clause 0x3
	buffer_load_dword v1, v4, s[0:3], 0 offen
	buffer_load_dword v2, v4, s[0:3], 0 offen offset:4
	buffer_load_dword v3, v4, s[0:3], 0 offen offset:8
	;; [unrolled: 1-line block ×3, first 2 shown]
	s_waitcnt vmcnt(0)
	ds_write_b128 v5, v[1:4]
	s_waitcnt lgkmcnt(0)
	s_barrier
	buffer_gl0_inv
	v_cmpx_gt_u32_e32 29, v0
	s_cbranch_execz .LBB126_143
; %bb.140:
	v_mov_b32_e32 v1, 0
	v_mov_b32_e32 v3, 0
	v_add_nc_u32_e32 v7, -1, v0
	v_add_nc_u32_e32 v8, 0x3f0, v137
	v_mov_b32_e32 v2, 0
	v_mov_b32_e32 v4, 0
	v_add_nc_u32_e32 v135, 16, v137
	s_mov_b32 s5, 0
	.p2align	6
.LBB126_141:                            ; =>This Inner Loop Header: Depth=1
	s_clause 0x3
	buffer_load_dword v142, v135, s[0:3], 0 offen offset:8
	buffer_load_dword v143, v135, s[0:3], 0 offen offset:12
	buffer_load_dword v144, v135, s[0:3], 0 offen
	buffer_load_dword v145, v135, s[0:3], 0 offen offset:4
	ds_read_b128 v[138:141], v8
	v_add_nc_u32_e32 v7, 1, v7
	v_add_nc_u32_e32 v8, 16, v8
	;; [unrolled: 1-line block ×3, first 2 shown]
	v_cmp_lt_u32_e32 vcc_lo, 27, v7
	s_or_b32 s5, vcc_lo, s5
	s_waitcnt vmcnt(2) lgkmcnt(0)
	v_mul_f64 v[146:147], v[140:141], v[142:143]
	v_mul_f64 v[142:143], v[138:139], v[142:143]
	s_waitcnt vmcnt(0)
	v_fma_f64 v[138:139], v[138:139], v[144:145], -v[146:147]
	v_fma_f64 v[140:141], v[140:141], v[144:145], v[142:143]
	v_add_f64 v[3:4], v[3:4], v[138:139]
	v_add_f64 v[1:2], v[1:2], v[140:141]
	s_andn2_b32 exec_lo, exec_lo, s5
	s_cbranch_execnz .LBB126_141
; %bb.142:
	s_or_b32 exec_lo, exec_lo, s5
	v_mov_b32_e32 v7, 0
	ds_read_b128 v[138:141], v7 offset:464
	s_waitcnt lgkmcnt(0)
	v_mul_f64 v[7:8], v[1:2], v[140:141]
	v_mul_f64 v[135:136], v[3:4], v[140:141]
	v_fma_f64 v[3:4], v[3:4], v[138:139], -v[7:8]
	v_fma_f64 v[1:2], v[1:2], v[138:139], v[135:136]
	buffer_store_dword v4, off, s[0:3], 0 offset:484
	buffer_store_dword v3, off, s[0:3], 0 offset:480
	;; [unrolled: 1-line block ×4, first 2 shown]
.LBB126_143:
	s_or_b32 exec_lo, exec_lo, s4
	v_mov_b32_e32 v4, s47
	s_waitcnt_vscnt null, 0x0
	s_barrier
	buffer_gl0_inv
	s_mov_b32 s4, exec_lo
	s_clause 0x3
	buffer_load_dword v1, v4, s[0:3], 0 offen
	buffer_load_dword v2, v4, s[0:3], 0 offen offset:4
	buffer_load_dword v3, v4, s[0:3], 0 offen offset:8
	;; [unrolled: 1-line block ×3, first 2 shown]
	s_waitcnt vmcnt(0)
	ds_write_b128 v5, v[1:4]
	s_waitcnt lgkmcnt(0)
	s_barrier
	buffer_gl0_inv
	v_cmpx_gt_u32_e32 30, v0
	s_cbranch_execz .LBB126_147
; %bb.144:
	v_mov_b32_e32 v1, 0
	v_mov_b32_e32 v3, 0
	v_add_nc_u32_e32 v7, -1, v0
	v_add_nc_u32_e32 v8, 0x3f0, v137
	v_mov_b32_e32 v2, 0
	v_mov_b32_e32 v4, 0
	v_add_nc_u32_e32 v135, 16, v137
	s_mov_b32 s5, 0
	.p2align	6
.LBB126_145:                            ; =>This Inner Loop Header: Depth=1
	s_clause 0x3
	buffer_load_dword v142, v135, s[0:3], 0 offen offset:8
	buffer_load_dword v143, v135, s[0:3], 0 offen offset:12
	buffer_load_dword v144, v135, s[0:3], 0 offen
	buffer_load_dword v145, v135, s[0:3], 0 offen offset:4
	ds_read_b128 v[138:141], v8
	v_add_nc_u32_e32 v7, 1, v7
	v_add_nc_u32_e32 v8, 16, v8
	;; [unrolled: 1-line block ×3, first 2 shown]
	v_cmp_lt_u32_e32 vcc_lo, 28, v7
	s_or_b32 s5, vcc_lo, s5
	s_waitcnt vmcnt(2) lgkmcnt(0)
	v_mul_f64 v[146:147], v[140:141], v[142:143]
	v_mul_f64 v[142:143], v[138:139], v[142:143]
	s_waitcnt vmcnt(0)
	v_fma_f64 v[138:139], v[138:139], v[144:145], -v[146:147]
	v_fma_f64 v[140:141], v[140:141], v[144:145], v[142:143]
	v_add_f64 v[3:4], v[3:4], v[138:139]
	v_add_f64 v[1:2], v[1:2], v[140:141]
	s_andn2_b32 exec_lo, exec_lo, s5
	s_cbranch_execnz .LBB126_145
; %bb.146:
	s_or_b32 exec_lo, exec_lo, s5
	v_mov_b32_e32 v7, 0
	ds_read_b128 v[138:141], v7 offset:480
	s_waitcnt lgkmcnt(0)
	v_mul_f64 v[7:8], v[1:2], v[140:141]
	v_mul_f64 v[135:136], v[3:4], v[140:141]
	v_fma_f64 v[3:4], v[3:4], v[138:139], -v[7:8]
	v_fma_f64 v[1:2], v[1:2], v[138:139], v[135:136]
	buffer_store_dword v4, off, s[0:3], 0 offset:500
	buffer_store_dword v3, off, s[0:3], 0 offset:496
	;; [unrolled: 1-line block ×4, first 2 shown]
.LBB126_147:
	s_or_b32 exec_lo, exec_lo, s4
	v_mov_b32_e32 v4, s46
	s_waitcnt_vscnt null, 0x0
	s_barrier
	buffer_gl0_inv
	s_mov_b32 s4, exec_lo
	s_clause 0x3
	buffer_load_dword v1, v4, s[0:3], 0 offen
	buffer_load_dword v2, v4, s[0:3], 0 offen offset:4
	buffer_load_dword v3, v4, s[0:3], 0 offen offset:8
	;; [unrolled: 1-line block ×3, first 2 shown]
	s_waitcnt vmcnt(0)
	ds_write_b128 v5, v[1:4]
	s_waitcnt lgkmcnt(0)
	s_barrier
	buffer_gl0_inv
	v_cmpx_gt_u32_e32 31, v0
	s_cbranch_execz .LBB126_151
; %bb.148:
	v_mov_b32_e32 v1, 0
	v_mov_b32_e32 v3, 0
	v_add_nc_u32_e32 v7, -1, v0
	v_add_nc_u32_e32 v8, 0x3f0, v137
	v_mov_b32_e32 v2, 0
	v_mov_b32_e32 v4, 0
	v_add_nc_u32_e32 v135, 16, v137
	s_mov_b32 s5, 0
	.p2align	6
.LBB126_149:                            ; =>This Inner Loop Header: Depth=1
	s_clause 0x3
	buffer_load_dword v142, v135, s[0:3], 0 offen offset:8
	buffer_load_dword v143, v135, s[0:3], 0 offen offset:12
	buffer_load_dword v144, v135, s[0:3], 0 offen
	buffer_load_dword v145, v135, s[0:3], 0 offen offset:4
	ds_read_b128 v[138:141], v8
	v_add_nc_u32_e32 v7, 1, v7
	v_add_nc_u32_e32 v8, 16, v8
	;; [unrolled: 1-line block ×3, first 2 shown]
	v_cmp_lt_u32_e32 vcc_lo, 29, v7
	s_or_b32 s5, vcc_lo, s5
	s_waitcnt vmcnt(2) lgkmcnt(0)
	v_mul_f64 v[146:147], v[140:141], v[142:143]
	v_mul_f64 v[142:143], v[138:139], v[142:143]
	s_waitcnt vmcnt(0)
	v_fma_f64 v[138:139], v[138:139], v[144:145], -v[146:147]
	v_fma_f64 v[140:141], v[140:141], v[144:145], v[142:143]
	v_add_f64 v[3:4], v[3:4], v[138:139]
	v_add_f64 v[1:2], v[1:2], v[140:141]
	s_andn2_b32 exec_lo, exec_lo, s5
	s_cbranch_execnz .LBB126_149
; %bb.150:
	s_or_b32 exec_lo, exec_lo, s5
	v_mov_b32_e32 v7, 0
	ds_read_b128 v[138:141], v7 offset:496
	s_waitcnt lgkmcnt(0)
	v_mul_f64 v[7:8], v[1:2], v[140:141]
	v_mul_f64 v[135:136], v[3:4], v[140:141]
	v_fma_f64 v[3:4], v[3:4], v[138:139], -v[7:8]
	v_fma_f64 v[1:2], v[1:2], v[138:139], v[135:136]
	buffer_store_dword v4, off, s[0:3], 0 offset:516
	buffer_store_dword v3, off, s[0:3], 0 offset:512
	;; [unrolled: 1-line block ×4, first 2 shown]
.LBB126_151:
	s_or_b32 exec_lo, exec_lo, s4
	v_mov_b32_e32 v4, s45
	s_waitcnt_vscnt null, 0x0
	s_barrier
	buffer_gl0_inv
	s_mov_b32 s4, exec_lo
	s_clause 0x3
	buffer_load_dword v1, v4, s[0:3], 0 offen
	buffer_load_dword v2, v4, s[0:3], 0 offen offset:4
	buffer_load_dword v3, v4, s[0:3], 0 offen offset:8
	;; [unrolled: 1-line block ×3, first 2 shown]
	s_waitcnt vmcnt(0)
	ds_write_b128 v5, v[1:4]
	s_waitcnt lgkmcnt(0)
	s_barrier
	buffer_gl0_inv
	v_cmpx_gt_u32_e32 32, v0
	s_cbranch_execz .LBB126_155
; %bb.152:
	v_mov_b32_e32 v1, 0
	v_mov_b32_e32 v3, 0
	v_add_nc_u32_e32 v7, -1, v0
	v_add_nc_u32_e32 v8, 0x3f0, v137
	v_mov_b32_e32 v2, 0
	v_mov_b32_e32 v4, 0
	v_add_nc_u32_e32 v135, 16, v137
	s_mov_b32 s5, 0
	.p2align	6
.LBB126_153:                            ; =>This Inner Loop Header: Depth=1
	s_clause 0x3
	buffer_load_dword v142, v135, s[0:3], 0 offen offset:8
	buffer_load_dword v143, v135, s[0:3], 0 offen offset:12
	buffer_load_dword v144, v135, s[0:3], 0 offen
	buffer_load_dword v145, v135, s[0:3], 0 offen offset:4
	ds_read_b128 v[138:141], v8
	v_add_nc_u32_e32 v7, 1, v7
	v_add_nc_u32_e32 v8, 16, v8
	;; [unrolled: 1-line block ×3, first 2 shown]
	v_cmp_lt_u32_e32 vcc_lo, 30, v7
	s_or_b32 s5, vcc_lo, s5
	s_waitcnt vmcnt(2) lgkmcnt(0)
	v_mul_f64 v[146:147], v[140:141], v[142:143]
	v_mul_f64 v[142:143], v[138:139], v[142:143]
	s_waitcnt vmcnt(0)
	v_fma_f64 v[138:139], v[138:139], v[144:145], -v[146:147]
	v_fma_f64 v[140:141], v[140:141], v[144:145], v[142:143]
	v_add_f64 v[3:4], v[3:4], v[138:139]
	v_add_f64 v[1:2], v[1:2], v[140:141]
	s_andn2_b32 exec_lo, exec_lo, s5
	s_cbranch_execnz .LBB126_153
; %bb.154:
	s_or_b32 exec_lo, exec_lo, s5
	v_mov_b32_e32 v7, 0
	ds_read_b128 v[138:141], v7 offset:512
	s_waitcnt lgkmcnt(0)
	v_mul_f64 v[7:8], v[1:2], v[140:141]
	v_mul_f64 v[135:136], v[3:4], v[140:141]
	v_fma_f64 v[3:4], v[3:4], v[138:139], -v[7:8]
	v_fma_f64 v[1:2], v[1:2], v[138:139], v[135:136]
	buffer_store_dword v4, off, s[0:3], 0 offset:532
	buffer_store_dword v3, off, s[0:3], 0 offset:528
	;; [unrolled: 1-line block ×4, first 2 shown]
.LBB126_155:
	s_or_b32 exec_lo, exec_lo, s4
	v_mov_b32_e32 v4, s44
	s_waitcnt_vscnt null, 0x0
	s_barrier
	buffer_gl0_inv
	s_mov_b32 s4, exec_lo
	s_clause 0x3
	buffer_load_dword v1, v4, s[0:3], 0 offen
	buffer_load_dword v2, v4, s[0:3], 0 offen offset:4
	buffer_load_dword v3, v4, s[0:3], 0 offen offset:8
	;; [unrolled: 1-line block ×3, first 2 shown]
	s_waitcnt vmcnt(0)
	ds_write_b128 v5, v[1:4]
	s_waitcnt lgkmcnt(0)
	s_barrier
	buffer_gl0_inv
	v_cmpx_gt_u32_e32 33, v0
	s_cbranch_execz .LBB126_159
; %bb.156:
	v_mov_b32_e32 v1, 0
	v_mov_b32_e32 v3, 0
	v_add_nc_u32_e32 v7, -1, v0
	v_add_nc_u32_e32 v8, 0x3f0, v137
	v_mov_b32_e32 v2, 0
	v_mov_b32_e32 v4, 0
	v_add_nc_u32_e32 v135, 16, v137
	s_mov_b32 s5, 0
	.p2align	6
.LBB126_157:                            ; =>This Inner Loop Header: Depth=1
	s_clause 0x3
	buffer_load_dword v142, v135, s[0:3], 0 offen offset:8
	buffer_load_dword v143, v135, s[0:3], 0 offen offset:12
	buffer_load_dword v144, v135, s[0:3], 0 offen
	buffer_load_dword v145, v135, s[0:3], 0 offen offset:4
	ds_read_b128 v[138:141], v8
	v_add_nc_u32_e32 v7, 1, v7
	v_add_nc_u32_e32 v8, 16, v8
	;; [unrolled: 1-line block ×3, first 2 shown]
	v_cmp_lt_u32_e32 vcc_lo, 31, v7
	s_or_b32 s5, vcc_lo, s5
	s_waitcnt vmcnt(2) lgkmcnt(0)
	v_mul_f64 v[146:147], v[140:141], v[142:143]
	v_mul_f64 v[142:143], v[138:139], v[142:143]
	s_waitcnt vmcnt(0)
	v_fma_f64 v[138:139], v[138:139], v[144:145], -v[146:147]
	v_fma_f64 v[140:141], v[140:141], v[144:145], v[142:143]
	v_add_f64 v[3:4], v[3:4], v[138:139]
	v_add_f64 v[1:2], v[1:2], v[140:141]
	s_andn2_b32 exec_lo, exec_lo, s5
	s_cbranch_execnz .LBB126_157
; %bb.158:
	s_or_b32 exec_lo, exec_lo, s5
	v_mov_b32_e32 v7, 0
	ds_read_b128 v[138:141], v7 offset:528
	s_waitcnt lgkmcnt(0)
	v_mul_f64 v[7:8], v[1:2], v[140:141]
	v_mul_f64 v[135:136], v[3:4], v[140:141]
	v_fma_f64 v[3:4], v[3:4], v[138:139], -v[7:8]
	v_fma_f64 v[1:2], v[1:2], v[138:139], v[135:136]
	buffer_store_dword v4, off, s[0:3], 0 offset:548
	buffer_store_dword v3, off, s[0:3], 0 offset:544
	;; [unrolled: 1-line block ×4, first 2 shown]
.LBB126_159:
	s_or_b32 exec_lo, exec_lo, s4
	v_mov_b32_e32 v4, s43
	s_waitcnt_vscnt null, 0x0
	s_barrier
	buffer_gl0_inv
	s_mov_b32 s4, exec_lo
	s_clause 0x3
	buffer_load_dword v1, v4, s[0:3], 0 offen
	buffer_load_dword v2, v4, s[0:3], 0 offen offset:4
	buffer_load_dword v3, v4, s[0:3], 0 offen offset:8
	;; [unrolled: 1-line block ×3, first 2 shown]
	s_waitcnt vmcnt(0)
	ds_write_b128 v5, v[1:4]
	s_waitcnt lgkmcnt(0)
	s_barrier
	buffer_gl0_inv
	v_cmpx_gt_u32_e32 34, v0
	s_cbranch_execz .LBB126_163
; %bb.160:
	v_mov_b32_e32 v1, 0
	v_mov_b32_e32 v3, 0
	v_add_nc_u32_e32 v7, -1, v0
	v_add_nc_u32_e32 v8, 0x3f0, v137
	v_mov_b32_e32 v2, 0
	v_mov_b32_e32 v4, 0
	v_add_nc_u32_e32 v135, 16, v137
	s_mov_b32 s5, 0
	.p2align	6
.LBB126_161:                            ; =>This Inner Loop Header: Depth=1
	s_clause 0x3
	buffer_load_dword v142, v135, s[0:3], 0 offen offset:8
	buffer_load_dword v143, v135, s[0:3], 0 offen offset:12
	buffer_load_dword v144, v135, s[0:3], 0 offen
	buffer_load_dword v145, v135, s[0:3], 0 offen offset:4
	ds_read_b128 v[138:141], v8
	v_add_nc_u32_e32 v7, 1, v7
	v_add_nc_u32_e32 v8, 16, v8
	;; [unrolled: 1-line block ×3, first 2 shown]
	v_cmp_lt_u32_e32 vcc_lo, 32, v7
	s_or_b32 s5, vcc_lo, s5
	s_waitcnt vmcnt(2) lgkmcnt(0)
	v_mul_f64 v[146:147], v[140:141], v[142:143]
	v_mul_f64 v[142:143], v[138:139], v[142:143]
	s_waitcnt vmcnt(0)
	v_fma_f64 v[138:139], v[138:139], v[144:145], -v[146:147]
	v_fma_f64 v[140:141], v[140:141], v[144:145], v[142:143]
	v_add_f64 v[3:4], v[3:4], v[138:139]
	v_add_f64 v[1:2], v[1:2], v[140:141]
	s_andn2_b32 exec_lo, exec_lo, s5
	s_cbranch_execnz .LBB126_161
; %bb.162:
	s_or_b32 exec_lo, exec_lo, s5
	v_mov_b32_e32 v7, 0
	ds_read_b128 v[138:141], v7 offset:544
	s_waitcnt lgkmcnt(0)
	v_mul_f64 v[7:8], v[1:2], v[140:141]
	v_mul_f64 v[135:136], v[3:4], v[140:141]
	v_fma_f64 v[3:4], v[3:4], v[138:139], -v[7:8]
	v_fma_f64 v[1:2], v[1:2], v[138:139], v[135:136]
	buffer_store_dword v4, off, s[0:3], 0 offset:564
	buffer_store_dword v3, off, s[0:3], 0 offset:560
	;; [unrolled: 1-line block ×4, first 2 shown]
.LBB126_163:
	s_or_b32 exec_lo, exec_lo, s4
	v_mov_b32_e32 v4, s42
	s_waitcnt_vscnt null, 0x0
	s_barrier
	buffer_gl0_inv
	s_mov_b32 s4, exec_lo
	s_clause 0x3
	buffer_load_dword v1, v4, s[0:3], 0 offen
	buffer_load_dword v2, v4, s[0:3], 0 offen offset:4
	buffer_load_dword v3, v4, s[0:3], 0 offen offset:8
	;; [unrolled: 1-line block ×3, first 2 shown]
	s_waitcnt vmcnt(0)
	ds_write_b128 v5, v[1:4]
	s_waitcnt lgkmcnt(0)
	s_barrier
	buffer_gl0_inv
	v_cmpx_gt_u32_e32 35, v0
	s_cbranch_execz .LBB126_167
; %bb.164:
	v_mov_b32_e32 v1, 0
	v_mov_b32_e32 v3, 0
	v_add_nc_u32_e32 v7, -1, v0
	v_add_nc_u32_e32 v8, 0x3f0, v137
	v_mov_b32_e32 v2, 0
	v_mov_b32_e32 v4, 0
	v_add_nc_u32_e32 v135, 16, v137
	s_mov_b32 s5, 0
	.p2align	6
.LBB126_165:                            ; =>This Inner Loop Header: Depth=1
	s_clause 0x3
	buffer_load_dword v142, v135, s[0:3], 0 offen offset:8
	buffer_load_dword v143, v135, s[0:3], 0 offen offset:12
	buffer_load_dword v144, v135, s[0:3], 0 offen
	buffer_load_dword v145, v135, s[0:3], 0 offen offset:4
	ds_read_b128 v[138:141], v8
	v_add_nc_u32_e32 v7, 1, v7
	v_add_nc_u32_e32 v8, 16, v8
	;; [unrolled: 1-line block ×3, first 2 shown]
	v_cmp_lt_u32_e32 vcc_lo, 33, v7
	s_or_b32 s5, vcc_lo, s5
	s_waitcnt vmcnt(2) lgkmcnt(0)
	v_mul_f64 v[146:147], v[140:141], v[142:143]
	v_mul_f64 v[142:143], v[138:139], v[142:143]
	s_waitcnt vmcnt(0)
	v_fma_f64 v[138:139], v[138:139], v[144:145], -v[146:147]
	v_fma_f64 v[140:141], v[140:141], v[144:145], v[142:143]
	v_add_f64 v[3:4], v[3:4], v[138:139]
	v_add_f64 v[1:2], v[1:2], v[140:141]
	s_andn2_b32 exec_lo, exec_lo, s5
	s_cbranch_execnz .LBB126_165
; %bb.166:
	s_or_b32 exec_lo, exec_lo, s5
	v_mov_b32_e32 v7, 0
	ds_read_b128 v[138:141], v7 offset:560
	s_waitcnt lgkmcnt(0)
	v_mul_f64 v[7:8], v[1:2], v[140:141]
	v_mul_f64 v[135:136], v[3:4], v[140:141]
	v_fma_f64 v[3:4], v[3:4], v[138:139], -v[7:8]
	v_fma_f64 v[1:2], v[1:2], v[138:139], v[135:136]
	buffer_store_dword v4, off, s[0:3], 0 offset:580
	buffer_store_dword v3, off, s[0:3], 0 offset:576
	;; [unrolled: 1-line block ×4, first 2 shown]
.LBB126_167:
	s_or_b32 exec_lo, exec_lo, s4
	v_mov_b32_e32 v4, s41
	s_waitcnt_vscnt null, 0x0
	s_barrier
	buffer_gl0_inv
	s_mov_b32 s4, exec_lo
	s_clause 0x3
	buffer_load_dword v1, v4, s[0:3], 0 offen
	buffer_load_dword v2, v4, s[0:3], 0 offen offset:4
	buffer_load_dword v3, v4, s[0:3], 0 offen offset:8
	;; [unrolled: 1-line block ×3, first 2 shown]
	s_waitcnt vmcnt(0)
	ds_write_b128 v5, v[1:4]
	s_waitcnt lgkmcnt(0)
	s_barrier
	buffer_gl0_inv
	v_cmpx_gt_u32_e32 36, v0
	s_cbranch_execz .LBB126_171
; %bb.168:
	v_mov_b32_e32 v1, 0
	v_mov_b32_e32 v3, 0
	v_add_nc_u32_e32 v7, -1, v0
	v_add_nc_u32_e32 v8, 0x3f0, v137
	v_mov_b32_e32 v2, 0
	v_mov_b32_e32 v4, 0
	v_add_nc_u32_e32 v135, 16, v137
	s_mov_b32 s5, 0
	.p2align	6
.LBB126_169:                            ; =>This Inner Loop Header: Depth=1
	s_clause 0x3
	buffer_load_dword v142, v135, s[0:3], 0 offen offset:8
	buffer_load_dword v143, v135, s[0:3], 0 offen offset:12
	buffer_load_dword v144, v135, s[0:3], 0 offen
	buffer_load_dword v145, v135, s[0:3], 0 offen offset:4
	ds_read_b128 v[138:141], v8
	v_add_nc_u32_e32 v7, 1, v7
	v_add_nc_u32_e32 v8, 16, v8
	;; [unrolled: 1-line block ×3, first 2 shown]
	v_cmp_lt_u32_e32 vcc_lo, 34, v7
	s_or_b32 s5, vcc_lo, s5
	s_waitcnt vmcnt(2) lgkmcnt(0)
	v_mul_f64 v[146:147], v[140:141], v[142:143]
	v_mul_f64 v[142:143], v[138:139], v[142:143]
	s_waitcnt vmcnt(0)
	v_fma_f64 v[138:139], v[138:139], v[144:145], -v[146:147]
	v_fma_f64 v[140:141], v[140:141], v[144:145], v[142:143]
	v_add_f64 v[3:4], v[3:4], v[138:139]
	v_add_f64 v[1:2], v[1:2], v[140:141]
	s_andn2_b32 exec_lo, exec_lo, s5
	s_cbranch_execnz .LBB126_169
; %bb.170:
	s_or_b32 exec_lo, exec_lo, s5
	v_mov_b32_e32 v7, 0
	ds_read_b128 v[138:141], v7 offset:576
	s_waitcnt lgkmcnt(0)
	v_mul_f64 v[7:8], v[1:2], v[140:141]
	v_mul_f64 v[135:136], v[3:4], v[140:141]
	v_fma_f64 v[3:4], v[3:4], v[138:139], -v[7:8]
	v_fma_f64 v[1:2], v[1:2], v[138:139], v[135:136]
	buffer_store_dword v4, off, s[0:3], 0 offset:596
	buffer_store_dword v3, off, s[0:3], 0 offset:592
	;; [unrolled: 1-line block ×4, first 2 shown]
.LBB126_171:
	s_or_b32 exec_lo, exec_lo, s4
	v_mov_b32_e32 v4, s40
	s_waitcnt_vscnt null, 0x0
	s_barrier
	buffer_gl0_inv
	s_mov_b32 s4, exec_lo
	s_clause 0x3
	buffer_load_dword v1, v4, s[0:3], 0 offen
	buffer_load_dword v2, v4, s[0:3], 0 offen offset:4
	buffer_load_dword v3, v4, s[0:3], 0 offen offset:8
	;; [unrolled: 1-line block ×3, first 2 shown]
	s_waitcnt vmcnt(0)
	ds_write_b128 v5, v[1:4]
	s_waitcnt lgkmcnt(0)
	s_barrier
	buffer_gl0_inv
	v_cmpx_gt_u32_e32 37, v0
	s_cbranch_execz .LBB126_175
; %bb.172:
	v_mov_b32_e32 v1, 0
	v_mov_b32_e32 v3, 0
	v_add_nc_u32_e32 v7, -1, v0
	v_add_nc_u32_e32 v8, 0x3f0, v137
	v_mov_b32_e32 v2, 0
	v_mov_b32_e32 v4, 0
	v_add_nc_u32_e32 v135, 16, v137
	s_mov_b32 s5, 0
	.p2align	6
.LBB126_173:                            ; =>This Inner Loop Header: Depth=1
	s_clause 0x3
	buffer_load_dword v142, v135, s[0:3], 0 offen offset:8
	buffer_load_dword v143, v135, s[0:3], 0 offen offset:12
	buffer_load_dword v144, v135, s[0:3], 0 offen
	buffer_load_dword v145, v135, s[0:3], 0 offen offset:4
	ds_read_b128 v[138:141], v8
	v_add_nc_u32_e32 v7, 1, v7
	v_add_nc_u32_e32 v8, 16, v8
	;; [unrolled: 1-line block ×3, first 2 shown]
	v_cmp_lt_u32_e32 vcc_lo, 35, v7
	s_or_b32 s5, vcc_lo, s5
	s_waitcnt vmcnt(2) lgkmcnt(0)
	v_mul_f64 v[146:147], v[140:141], v[142:143]
	v_mul_f64 v[142:143], v[138:139], v[142:143]
	s_waitcnt vmcnt(0)
	v_fma_f64 v[138:139], v[138:139], v[144:145], -v[146:147]
	v_fma_f64 v[140:141], v[140:141], v[144:145], v[142:143]
	v_add_f64 v[3:4], v[3:4], v[138:139]
	v_add_f64 v[1:2], v[1:2], v[140:141]
	s_andn2_b32 exec_lo, exec_lo, s5
	s_cbranch_execnz .LBB126_173
; %bb.174:
	s_or_b32 exec_lo, exec_lo, s5
	v_mov_b32_e32 v7, 0
	ds_read_b128 v[138:141], v7 offset:592
	s_waitcnt lgkmcnt(0)
	v_mul_f64 v[7:8], v[1:2], v[140:141]
	v_mul_f64 v[135:136], v[3:4], v[140:141]
	v_fma_f64 v[3:4], v[3:4], v[138:139], -v[7:8]
	v_fma_f64 v[1:2], v[1:2], v[138:139], v[135:136]
	buffer_store_dword v4, off, s[0:3], 0 offset:612
	buffer_store_dword v3, off, s[0:3], 0 offset:608
	;; [unrolled: 1-line block ×4, first 2 shown]
.LBB126_175:
	s_or_b32 exec_lo, exec_lo, s4
	v_mov_b32_e32 v4, s39
	s_waitcnt_vscnt null, 0x0
	s_barrier
	buffer_gl0_inv
	s_mov_b32 s4, exec_lo
	s_clause 0x3
	buffer_load_dword v1, v4, s[0:3], 0 offen
	buffer_load_dword v2, v4, s[0:3], 0 offen offset:4
	buffer_load_dword v3, v4, s[0:3], 0 offen offset:8
	;; [unrolled: 1-line block ×3, first 2 shown]
	s_waitcnt vmcnt(0)
	ds_write_b128 v5, v[1:4]
	s_waitcnt lgkmcnt(0)
	s_barrier
	buffer_gl0_inv
	v_cmpx_gt_u32_e32 38, v0
	s_cbranch_execz .LBB126_179
; %bb.176:
	v_mov_b32_e32 v1, 0
	v_mov_b32_e32 v3, 0
	v_add_nc_u32_e32 v7, -1, v0
	v_add_nc_u32_e32 v8, 0x3f0, v137
	v_mov_b32_e32 v2, 0
	v_mov_b32_e32 v4, 0
	v_add_nc_u32_e32 v135, 16, v137
	s_mov_b32 s5, 0
	.p2align	6
.LBB126_177:                            ; =>This Inner Loop Header: Depth=1
	s_clause 0x3
	buffer_load_dword v142, v135, s[0:3], 0 offen offset:8
	buffer_load_dword v143, v135, s[0:3], 0 offen offset:12
	buffer_load_dword v144, v135, s[0:3], 0 offen
	buffer_load_dword v145, v135, s[0:3], 0 offen offset:4
	ds_read_b128 v[138:141], v8
	v_add_nc_u32_e32 v7, 1, v7
	v_add_nc_u32_e32 v8, 16, v8
	v_add_nc_u32_e32 v135, 16, v135
	v_cmp_lt_u32_e32 vcc_lo, 36, v7
	s_or_b32 s5, vcc_lo, s5
	s_waitcnt vmcnt(2) lgkmcnt(0)
	v_mul_f64 v[146:147], v[140:141], v[142:143]
	v_mul_f64 v[142:143], v[138:139], v[142:143]
	s_waitcnt vmcnt(0)
	v_fma_f64 v[138:139], v[138:139], v[144:145], -v[146:147]
	v_fma_f64 v[140:141], v[140:141], v[144:145], v[142:143]
	v_add_f64 v[3:4], v[3:4], v[138:139]
	v_add_f64 v[1:2], v[1:2], v[140:141]
	s_andn2_b32 exec_lo, exec_lo, s5
	s_cbranch_execnz .LBB126_177
; %bb.178:
	s_or_b32 exec_lo, exec_lo, s5
	v_mov_b32_e32 v7, 0
	ds_read_b128 v[138:141], v7 offset:608
	s_waitcnt lgkmcnt(0)
	v_mul_f64 v[7:8], v[1:2], v[140:141]
	v_mul_f64 v[135:136], v[3:4], v[140:141]
	v_fma_f64 v[3:4], v[3:4], v[138:139], -v[7:8]
	v_fma_f64 v[1:2], v[1:2], v[138:139], v[135:136]
	buffer_store_dword v4, off, s[0:3], 0 offset:628
	buffer_store_dword v3, off, s[0:3], 0 offset:624
	;; [unrolled: 1-line block ×4, first 2 shown]
.LBB126_179:
	s_or_b32 exec_lo, exec_lo, s4
	v_mov_b32_e32 v4, s38
	s_waitcnt_vscnt null, 0x0
	s_barrier
	buffer_gl0_inv
	s_mov_b32 s4, exec_lo
	s_clause 0x3
	buffer_load_dword v1, v4, s[0:3], 0 offen
	buffer_load_dword v2, v4, s[0:3], 0 offen offset:4
	buffer_load_dword v3, v4, s[0:3], 0 offen offset:8
	buffer_load_dword v4, v4, s[0:3], 0 offen offset:12
	s_waitcnt vmcnt(0)
	ds_write_b128 v5, v[1:4]
	s_waitcnt lgkmcnt(0)
	s_barrier
	buffer_gl0_inv
	v_cmpx_gt_u32_e32 39, v0
	s_cbranch_execz .LBB126_183
; %bb.180:
	v_mov_b32_e32 v1, 0
	v_mov_b32_e32 v3, 0
	v_add_nc_u32_e32 v7, -1, v0
	v_add_nc_u32_e32 v8, 0x3f0, v137
	v_mov_b32_e32 v2, 0
	v_mov_b32_e32 v4, 0
	v_add_nc_u32_e32 v135, 16, v137
	s_mov_b32 s5, 0
	.p2align	6
.LBB126_181:                            ; =>This Inner Loop Header: Depth=1
	s_clause 0x3
	buffer_load_dword v142, v135, s[0:3], 0 offen offset:8
	buffer_load_dword v143, v135, s[0:3], 0 offen offset:12
	buffer_load_dword v144, v135, s[0:3], 0 offen
	buffer_load_dword v145, v135, s[0:3], 0 offen offset:4
	ds_read_b128 v[138:141], v8
	v_add_nc_u32_e32 v7, 1, v7
	v_add_nc_u32_e32 v8, 16, v8
	;; [unrolled: 1-line block ×3, first 2 shown]
	v_cmp_lt_u32_e32 vcc_lo, 37, v7
	s_or_b32 s5, vcc_lo, s5
	s_waitcnt vmcnt(2) lgkmcnt(0)
	v_mul_f64 v[146:147], v[140:141], v[142:143]
	v_mul_f64 v[142:143], v[138:139], v[142:143]
	s_waitcnt vmcnt(0)
	v_fma_f64 v[138:139], v[138:139], v[144:145], -v[146:147]
	v_fma_f64 v[140:141], v[140:141], v[144:145], v[142:143]
	v_add_f64 v[3:4], v[3:4], v[138:139]
	v_add_f64 v[1:2], v[1:2], v[140:141]
	s_andn2_b32 exec_lo, exec_lo, s5
	s_cbranch_execnz .LBB126_181
; %bb.182:
	s_or_b32 exec_lo, exec_lo, s5
	v_mov_b32_e32 v7, 0
	ds_read_b128 v[138:141], v7 offset:624
	s_waitcnt lgkmcnt(0)
	v_mul_f64 v[7:8], v[1:2], v[140:141]
	v_mul_f64 v[135:136], v[3:4], v[140:141]
	v_fma_f64 v[3:4], v[3:4], v[138:139], -v[7:8]
	v_fma_f64 v[1:2], v[1:2], v[138:139], v[135:136]
	buffer_store_dword v4, off, s[0:3], 0 offset:644
	buffer_store_dword v3, off, s[0:3], 0 offset:640
	;; [unrolled: 1-line block ×4, first 2 shown]
.LBB126_183:
	s_or_b32 exec_lo, exec_lo, s4
	v_mov_b32_e32 v4, s37
	s_waitcnt_vscnt null, 0x0
	s_barrier
	buffer_gl0_inv
	s_mov_b32 s4, exec_lo
	s_clause 0x3
	buffer_load_dword v1, v4, s[0:3], 0 offen
	buffer_load_dword v2, v4, s[0:3], 0 offen offset:4
	buffer_load_dword v3, v4, s[0:3], 0 offen offset:8
	;; [unrolled: 1-line block ×3, first 2 shown]
	s_waitcnt vmcnt(0)
	ds_write_b128 v5, v[1:4]
	s_waitcnt lgkmcnt(0)
	s_barrier
	buffer_gl0_inv
	v_cmpx_gt_u32_e32 40, v0
	s_cbranch_execz .LBB126_187
; %bb.184:
	v_mov_b32_e32 v1, 0
	v_mov_b32_e32 v3, 0
	v_add_nc_u32_e32 v7, -1, v0
	v_add_nc_u32_e32 v8, 0x3f0, v137
	v_mov_b32_e32 v2, 0
	v_mov_b32_e32 v4, 0
	v_add_nc_u32_e32 v135, 16, v137
	s_mov_b32 s5, 0
	.p2align	6
.LBB126_185:                            ; =>This Inner Loop Header: Depth=1
	s_clause 0x3
	buffer_load_dword v142, v135, s[0:3], 0 offen offset:8
	buffer_load_dword v143, v135, s[0:3], 0 offen offset:12
	buffer_load_dword v144, v135, s[0:3], 0 offen
	buffer_load_dword v145, v135, s[0:3], 0 offen offset:4
	ds_read_b128 v[138:141], v8
	v_add_nc_u32_e32 v7, 1, v7
	v_add_nc_u32_e32 v8, 16, v8
	;; [unrolled: 1-line block ×3, first 2 shown]
	v_cmp_lt_u32_e32 vcc_lo, 38, v7
	s_or_b32 s5, vcc_lo, s5
	s_waitcnt vmcnt(2) lgkmcnt(0)
	v_mul_f64 v[146:147], v[140:141], v[142:143]
	v_mul_f64 v[142:143], v[138:139], v[142:143]
	s_waitcnt vmcnt(0)
	v_fma_f64 v[138:139], v[138:139], v[144:145], -v[146:147]
	v_fma_f64 v[140:141], v[140:141], v[144:145], v[142:143]
	v_add_f64 v[3:4], v[3:4], v[138:139]
	v_add_f64 v[1:2], v[1:2], v[140:141]
	s_andn2_b32 exec_lo, exec_lo, s5
	s_cbranch_execnz .LBB126_185
; %bb.186:
	s_or_b32 exec_lo, exec_lo, s5
	v_mov_b32_e32 v7, 0
	ds_read_b128 v[138:141], v7 offset:640
	s_waitcnt lgkmcnt(0)
	v_mul_f64 v[7:8], v[1:2], v[140:141]
	v_mul_f64 v[135:136], v[3:4], v[140:141]
	v_fma_f64 v[3:4], v[3:4], v[138:139], -v[7:8]
	v_fma_f64 v[1:2], v[1:2], v[138:139], v[135:136]
	buffer_store_dword v4, off, s[0:3], 0 offset:660
	buffer_store_dword v3, off, s[0:3], 0 offset:656
	;; [unrolled: 1-line block ×4, first 2 shown]
.LBB126_187:
	s_or_b32 exec_lo, exec_lo, s4
	v_mov_b32_e32 v4, s36
	s_waitcnt_vscnt null, 0x0
	s_barrier
	buffer_gl0_inv
	s_mov_b32 s4, exec_lo
	s_clause 0x3
	buffer_load_dword v1, v4, s[0:3], 0 offen
	buffer_load_dword v2, v4, s[0:3], 0 offen offset:4
	buffer_load_dword v3, v4, s[0:3], 0 offen offset:8
	;; [unrolled: 1-line block ×3, first 2 shown]
	s_waitcnt vmcnt(0)
	ds_write_b128 v5, v[1:4]
	s_waitcnt lgkmcnt(0)
	s_barrier
	buffer_gl0_inv
	v_cmpx_gt_u32_e32 41, v0
	s_cbranch_execz .LBB126_191
; %bb.188:
	v_mov_b32_e32 v1, 0
	v_mov_b32_e32 v3, 0
	v_add_nc_u32_e32 v7, -1, v0
	v_add_nc_u32_e32 v8, 0x3f0, v137
	v_mov_b32_e32 v2, 0
	v_mov_b32_e32 v4, 0
	v_add_nc_u32_e32 v135, 16, v137
	s_mov_b32 s5, 0
	.p2align	6
.LBB126_189:                            ; =>This Inner Loop Header: Depth=1
	s_clause 0x3
	buffer_load_dword v142, v135, s[0:3], 0 offen offset:8
	buffer_load_dword v143, v135, s[0:3], 0 offen offset:12
	buffer_load_dword v144, v135, s[0:3], 0 offen
	buffer_load_dword v145, v135, s[0:3], 0 offen offset:4
	ds_read_b128 v[138:141], v8
	v_add_nc_u32_e32 v7, 1, v7
	v_add_nc_u32_e32 v8, 16, v8
	;; [unrolled: 1-line block ×3, first 2 shown]
	v_cmp_lt_u32_e32 vcc_lo, 39, v7
	s_or_b32 s5, vcc_lo, s5
	s_waitcnt vmcnt(2) lgkmcnt(0)
	v_mul_f64 v[146:147], v[140:141], v[142:143]
	v_mul_f64 v[142:143], v[138:139], v[142:143]
	s_waitcnt vmcnt(0)
	v_fma_f64 v[138:139], v[138:139], v[144:145], -v[146:147]
	v_fma_f64 v[140:141], v[140:141], v[144:145], v[142:143]
	v_add_f64 v[3:4], v[3:4], v[138:139]
	v_add_f64 v[1:2], v[1:2], v[140:141]
	s_andn2_b32 exec_lo, exec_lo, s5
	s_cbranch_execnz .LBB126_189
; %bb.190:
	s_or_b32 exec_lo, exec_lo, s5
	v_mov_b32_e32 v7, 0
	ds_read_b128 v[138:141], v7 offset:656
	s_waitcnt lgkmcnt(0)
	v_mul_f64 v[7:8], v[1:2], v[140:141]
	v_mul_f64 v[135:136], v[3:4], v[140:141]
	v_fma_f64 v[3:4], v[3:4], v[138:139], -v[7:8]
	v_fma_f64 v[1:2], v[1:2], v[138:139], v[135:136]
	buffer_store_dword v4, off, s[0:3], 0 offset:676
	buffer_store_dword v3, off, s[0:3], 0 offset:672
	;; [unrolled: 1-line block ×4, first 2 shown]
.LBB126_191:
	s_or_b32 exec_lo, exec_lo, s4
	v_mov_b32_e32 v4, s35
	s_waitcnt_vscnt null, 0x0
	s_barrier
	buffer_gl0_inv
	s_mov_b32 s4, exec_lo
	s_clause 0x3
	buffer_load_dword v1, v4, s[0:3], 0 offen
	buffer_load_dword v2, v4, s[0:3], 0 offen offset:4
	buffer_load_dword v3, v4, s[0:3], 0 offen offset:8
	;; [unrolled: 1-line block ×3, first 2 shown]
	s_waitcnt vmcnt(0)
	ds_write_b128 v5, v[1:4]
	s_waitcnt lgkmcnt(0)
	s_barrier
	buffer_gl0_inv
	v_cmpx_gt_u32_e32 42, v0
	s_cbranch_execz .LBB126_195
; %bb.192:
	v_mov_b32_e32 v1, 0
	v_mov_b32_e32 v3, 0
	v_add_nc_u32_e32 v7, -1, v0
	v_add_nc_u32_e32 v8, 0x3f0, v137
	v_mov_b32_e32 v2, 0
	v_mov_b32_e32 v4, 0
	v_add_nc_u32_e32 v135, 16, v137
	s_mov_b32 s5, 0
	.p2align	6
.LBB126_193:                            ; =>This Inner Loop Header: Depth=1
	s_clause 0x3
	buffer_load_dword v142, v135, s[0:3], 0 offen offset:8
	buffer_load_dword v143, v135, s[0:3], 0 offen offset:12
	buffer_load_dword v144, v135, s[0:3], 0 offen
	buffer_load_dword v145, v135, s[0:3], 0 offen offset:4
	ds_read_b128 v[138:141], v8
	v_add_nc_u32_e32 v7, 1, v7
	v_add_nc_u32_e32 v8, 16, v8
	;; [unrolled: 1-line block ×3, first 2 shown]
	v_cmp_lt_u32_e32 vcc_lo, 40, v7
	s_or_b32 s5, vcc_lo, s5
	s_waitcnt vmcnt(2) lgkmcnt(0)
	v_mul_f64 v[146:147], v[140:141], v[142:143]
	v_mul_f64 v[142:143], v[138:139], v[142:143]
	s_waitcnt vmcnt(0)
	v_fma_f64 v[138:139], v[138:139], v[144:145], -v[146:147]
	v_fma_f64 v[140:141], v[140:141], v[144:145], v[142:143]
	v_add_f64 v[3:4], v[3:4], v[138:139]
	v_add_f64 v[1:2], v[1:2], v[140:141]
	s_andn2_b32 exec_lo, exec_lo, s5
	s_cbranch_execnz .LBB126_193
; %bb.194:
	s_or_b32 exec_lo, exec_lo, s5
	v_mov_b32_e32 v7, 0
	ds_read_b128 v[138:141], v7 offset:672
	s_waitcnt lgkmcnt(0)
	v_mul_f64 v[7:8], v[1:2], v[140:141]
	v_mul_f64 v[135:136], v[3:4], v[140:141]
	v_fma_f64 v[3:4], v[3:4], v[138:139], -v[7:8]
	v_fma_f64 v[1:2], v[1:2], v[138:139], v[135:136]
	buffer_store_dword v4, off, s[0:3], 0 offset:692
	buffer_store_dword v3, off, s[0:3], 0 offset:688
	;; [unrolled: 1-line block ×4, first 2 shown]
.LBB126_195:
	s_or_b32 exec_lo, exec_lo, s4
	v_mov_b32_e32 v4, s34
	s_waitcnt_vscnt null, 0x0
	s_barrier
	buffer_gl0_inv
	s_mov_b32 s4, exec_lo
	s_clause 0x3
	buffer_load_dword v1, v4, s[0:3], 0 offen
	buffer_load_dword v2, v4, s[0:3], 0 offen offset:4
	buffer_load_dword v3, v4, s[0:3], 0 offen offset:8
	;; [unrolled: 1-line block ×3, first 2 shown]
	s_waitcnt vmcnt(0)
	ds_write_b128 v5, v[1:4]
	s_waitcnt lgkmcnt(0)
	s_barrier
	buffer_gl0_inv
	v_cmpx_gt_u32_e32 43, v0
	s_cbranch_execz .LBB126_199
; %bb.196:
	v_mov_b32_e32 v1, 0
	v_mov_b32_e32 v3, 0
	v_add_nc_u32_e32 v7, -1, v0
	v_add_nc_u32_e32 v8, 0x3f0, v137
	v_mov_b32_e32 v2, 0
	v_mov_b32_e32 v4, 0
	v_add_nc_u32_e32 v135, 16, v137
	s_mov_b32 s5, 0
	.p2align	6
.LBB126_197:                            ; =>This Inner Loop Header: Depth=1
	s_clause 0x3
	buffer_load_dword v142, v135, s[0:3], 0 offen offset:8
	buffer_load_dword v143, v135, s[0:3], 0 offen offset:12
	buffer_load_dword v144, v135, s[0:3], 0 offen
	buffer_load_dword v145, v135, s[0:3], 0 offen offset:4
	ds_read_b128 v[138:141], v8
	v_add_nc_u32_e32 v7, 1, v7
	v_add_nc_u32_e32 v8, 16, v8
	;; [unrolled: 1-line block ×3, first 2 shown]
	v_cmp_lt_u32_e32 vcc_lo, 41, v7
	s_or_b32 s5, vcc_lo, s5
	s_waitcnt vmcnt(2) lgkmcnt(0)
	v_mul_f64 v[146:147], v[140:141], v[142:143]
	v_mul_f64 v[142:143], v[138:139], v[142:143]
	s_waitcnt vmcnt(0)
	v_fma_f64 v[138:139], v[138:139], v[144:145], -v[146:147]
	v_fma_f64 v[140:141], v[140:141], v[144:145], v[142:143]
	v_add_f64 v[3:4], v[3:4], v[138:139]
	v_add_f64 v[1:2], v[1:2], v[140:141]
	s_andn2_b32 exec_lo, exec_lo, s5
	s_cbranch_execnz .LBB126_197
; %bb.198:
	s_or_b32 exec_lo, exec_lo, s5
	v_mov_b32_e32 v7, 0
	ds_read_b128 v[138:141], v7 offset:688
	s_waitcnt lgkmcnt(0)
	v_mul_f64 v[7:8], v[1:2], v[140:141]
	v_mul_f64 v[135:136], v[3:4], v[140:141]
	v_fma_f64 v[3:4], v[3:4], v[138:139], -v[7:8]
	v_fma_f64 v[1:2], v[1:2], v[138:139], v[135:136]
	buffer_store_dword v4, off, s[0:3], 0 offset:708
	buffer_store_dword v3, off, s[0:3], 0 offset:704
	;; [unrolled: 1-line block ×4, first 2 shown]
.LBB126_199:
	s_or_b32 exec_lo, exec_lo, s4
	v_mov_b32_e32 v4, s33
	s_waitcnt_vscnt null, 0x0
	s_barrier
	buffer_gl0_inv
	s_mov_b32 s4, exec_lo
	s_clause 0x3
	buffer_load_dword v1, v4, s[0:3], 0 offen
	buffer_load_dword v2, v4, s[0:3], 0 offen offset:4
	buffer_load_dword v3, v4, s[0:3], 0 offen offset:8
	;; [unrolled: 1-line block ×3, first 2 shown]
	s_waitcnt vmcnt(0)
	ds_write_b128 v5, v[1:4]
	s_waitcnt lgkmcnt(0)
	s_barrier
	buffer_gl0_inv
	v_cmpx_gt_u32_e32 44, v0
	s_cbranch_execz .LBB126_203
; %bb.200:
	v_mov_b32_e32 v1, 0
	v_mov_b32_e32 v3, 0
	v_add_nc_u32_e32 v7, -1, v0
	v_add_nc_u32_e32 v8, 0x3f0, v137
	v_mov_b32_e32 v2, 0
	v_mov_b32_e32 v4, 0
	v_add_nc_u32_e32 v135, 16, v137
	s_mov_b32 s5, 0
	.p2align	6
.LBB126_201:                            ; =>This Inner Loop Header: Depth=1
	s_clause 0x3
	buffer_load_dword v142, v135, s[0:3], 0 offen offset:8
	buffer_load_dword v143, v135, s[0:3], 0 offen offset:12
	buffer_load_dword v144, v135, s[0:3], 0 offen
	buffer_load_dword v145, v135, s[0:3], 0 offen offset:4
	ds_read_b128 v[138:141], v8
	v_add_nc_u32_e32 v7, 1, v7
	v_add_nc_u32_e32 v8, 16, v8
	;; [unrolled: 1-line block ×3, first 2 shown]
	v_cmp_lt_u32_e32 vcc_lo, 42, v7
	s_or_b32 s5, vcc_lo, s5
	s_waitcnt vmcnt(2) lgkmcnt(0)
	v_mul_f64 v[146:147], v[140:141], v[142:143]
	v_mul_f64 v[142:143], v[138:139], v[142:143]
	s_waitcnt vmcnt(0)
	v_fma_f64 v[138:139], v[138:139], v[144:145], -v[146:147]
	v_fma_f64 v[140:141], v[140:141], v[144:145], v[142:143]
	v_add_f64 v[3:4], v[3:4], v[138:139]
	v_add_f64 v[1:2], v[1:2], v[140:141]
	s_andn2_b32 exec_lo, exec_lo, s5
	s_cbranch_execnz .LBB126_201
; %bb.202:
	s_or_b32 exec_lo, exec_lo, s5
	v_mov_b32_e32 v7, 0
	ds_read_b128 v[138:141], v7 offset:704
	s_waitcnt lgkmcnt(0)
	v_mul_f64 v[7:8], v[1:2], v[140:141]
	v_mul_f64 v[135:136], v[3:4], v[140:141]
	v_fma_f64 v[3:4], v[3:4], v[138:139], -v[7:8]
	v_fma_f64 v[1:2], v[1:2], v[138:139], v[135:136]
	buffer_store_dword v4, off, s[0:3], 0 offset:724
	buffer_store_dword v3, off, s[0:3], 0 offset:720
	buffer_store_dword v2, off, s[0:3], 0 offset:732
	buffer_store_dword v1, off, s[0:3], 0 offset:728
.LBB126_203:
	s_or_b32 exec_lo, exec_lo, s4
	v_mov_b32_e32 v4, s31
	s_waitcnt_vscnt null, 0x0
	s_barrier
	buffer_gl0_inv
	s_mov_b32 s4, exec_lo
	s_clause 0x3
	buffer_load_dword v1, v4, s[0:3], 0 offen
	buffer_load_dword v2, v4, s[0:3], 0 offen offset:4
	buffer_load_dword v3, v4, s[0:3], 0 offen offset:8
	;; [unrolled: 1-line block ×3, first 2 shown]
	s_waitcnt vmcnt(0)
	ds_write_b128 v5, v[1:4]
	s_waitcnt lgkmcnt(0)
	s_barrier
	buffer_gl0_inv
	v_cmpx_gt_u32_e32 45, v0
	s_cbranch_execz .LBB126_207
; %bb.204:
	v_mov_b32_e32 v1, 0
	v_mov_b32_e32 v3, 0
	v_add_nc_u32_e32 v7, -1, v0
	v_add_nc_u32_e32 v8, 0x3f0, v137
	v_mov_b32_e32 v2, 0
	v_mov_b32_e32 v4, 0
	v_add_nc_u32_e32 v135, 16, v137
	s_mov_b32 s5, 0
	.p2align	6
.LBB126_205:                            ; =>This Inner Loop Header: Depth=1
	s_clause 0x3
	buffer_load_dword v142, v135, s[0:3], 0 offen offset:8
	buffer_load_dword v143, v135, s[0:3], 0 offen offset:12
	buffer_load_dword v144, v135, s[0:3], 0 offen
	buffer_load_dword v145, v135, s[0:3], 0 offen offset:4
	ds_read_b128 v[138:141], v8
	v_add_nc_u32_e32 v7, 1, v7
	v_add_nc_u32_e32 v8, 16, v8
	;; [unrolled: 1-line block ×3, first 2 shown]
	v_cmp_lt_u32_e32 vcc_lo, 43, v7
	s_or_b32 s5, vcc_lo, s5
	s_waitcnt vmcnt(2) lgkmcnt(0)
	v_mul_f64 v[146:147], v[140:141], v[142:143]
	v_mul_f64 v[142:143], v[138:139], v[142:143]
	s_waitcnt vmcnt(0)
	v_fma_f64 v[138:139], v[138:139], v[144:145], -v[146:147]
	v_fma_f64 v[140:141], v[140:141], v[144:145], v[142:143]
	v_add_f64 v[3:4], v[3:4], v[138:139]
	v_add_f64 v[1:2], v[1:2], v[140:141]
	s_andn2_b32 exec_lo, exec_lo, s5
	s_cbranch_execnz .LBB126_205
; %bb.206:
	s_or_b32 exec_lo, exec_lo, s5
	v_mov_b32_e32 v7, 0
	ds_read_b128 v[138:141], v7 offset:720
	s_waitcnt lgkmcnt(0)
	v_mul_f64 v[7:8], v[1:2], v[140:141]
	v_mul_f64 v[135:136], v[3:4], v[140:141]
	v_fma_f64 v[3:4], v[3:4], v[138:139], -v[7:8]
	v_fma_f64 v[1:2], v[1:2], v[138:139], v[135:136]
	buffer_store_dword v4, off, s[0:3], 0 offset:740
	buffer_store_dword v3, off, s[0:3], 0 offset:736
	buffer_store_dword v2, off, s[0:3], 0 offset:748
	buffer_store_dword v1, off, s[0:3], 0 offset:744
.LBB126_207:
	s_or_b32 exec_lo, exec_lo, s4
	v_mov_b32_e32 v4, s30
	s_waitcnt_vscnt null, 0x0
	s_barrier
	buffer_gl0_inv
	s_mov_b32 s4, exec_lo
	s_clause 0x3
	buffer_load_dword v1, v4, s[0:3], 0 offen
	buffer_load_dword v2, v4, s[0:3], 0 offen offset:4
	buffer_load_dword v3, v4, s[0:3], 0 offen offset:8
	;; [unrolled: 1-line block ×3, first 2 shown]
	s_waitcnt vmcnt(0)
	ds_write_b128 v5, v[1:4]
	s_waitcnt lgkmcnt(0)
	s_barrier
	buffer_gl0_inv
	v_cmpx_gt_u32_e32 46, v0
	s_cbranch_execz .LBB126_211
; %bb.208:
	v_mov_b32_e32 v1, 0
	v_mov_b32_e32 v3, 0
	v_add_nc_u32_e32 v7, -1, v0
	v_add_nc_u32_e32 v8, 0x3f0, v137
	v_mov_b32_e32 v2, 0
	v_mov_b32_e32 v4, 0
	v_add_nc_u32_e32 v135, 16, v137
	s_mov_b32 s5, 0
	.p2align	6
.LBB126_209:                            ; =>This Inner Loop Header: Depth=1
	s_clause 0x3
	buffer_load_dword v142, v135, s[0:3], 0 offen offset:8
	buffer_load_dword v143, v135, s[0:3], 0 offen offset:12
	buffer_load_dword v144, v135, s[0:3], 0 offen
	buffer_load_dword v145, v135, s[0:3], 0 offen offset:4
	ds_read_b128 v[138:141], v8
	v_add_nc_u32_e32 v7, 1, v7
	v_add_nc_u32_e32 v8, 16, v8
	;; [unrolled: 1-line block ×3, first 2 shown]
	v_cmp_lt_u32_e32 vcc_lo, 44, v7
	s_or_b32 s5, vcc_lo, s5
	s_waitcnt vmcnt(2) lgkmcnt(0)
	v_mul_f64 v[146:147], v[140:141], v[142:143]
	v_mul_f64 v[142:143], v[138:139], v[142:143]
	s_waitcnt vmcnt(0)
	v_fma_f64 v[138:139], v[138:139], v[144:145], -v[146:147]
	v_fma_f64 v[140:141], v[140:141], v[144:145], v[142:143]
	v_add_f64 v[3:4], v[3:4], v[138:139]
	v_add_f64 v[1:2], v[1:2], v[140:141]
	s_andn2_b32 exec_lo, exec_lo, s5
	s_cbranch_execnz .LBB126_209
; %bb.210:
	s_or_b32 exec_lo, exec_lo, s5
	v_mov_b32_e32 v7, 0
	ds_read_b128 v[138:141], v7 offset:736
	s_waitcnt lgkmcnt(0)
	v_mul_f64 v[7:8], v[1:2], v[140:141]
	v_mul_f64 v[135:136], v[3:4], v[140:141]
	v_fma_f64 v[3:4], v[3:4], v[138:139], -v[7:8]
	v_fma_f64 v[1:2], v[1:2], v[138:139], v[135:136]
	buffer_store_dword v4, off, s[0:3], 0 offset:756
	buffer_store_dword v3, off, s[0:3], 0 offset:752
	;; [unrolled: 1-line block ×4, first 2 shown]
.LBB126_211:
	s_or_b32 exec_lo, exec_lo, s4
	v_mov_b32_e32 v4, s29
	s_waitcnt_vscnt null, 0x0
	s_barrier
	buffer_gl0_inv
	s_mov_b32 s4, exec_lo
	s_clause 0x3
	buffer_load_dword v1, v4, s[0:3], 0 offen
	buffer_load_dword v2, v4, s[0:3], 0 offen offset:4
	buffer_load_dword v3, v4, s[0:3], 0 offen offset:8
	;; [unrolled: 1-line block ×3, first 2 shown]
	s_waitcnt vmcnt(0)
	ds_write_b128 v5, v[1:4]
	s_waitcnt lgkmcnt(0)
	s_barrier
	buffer_gl0_inv
	v_cmpx_gt_u32_e32 47, v0
	s_cbranch_execz .LBB126_215
; %bb.212:
	v_mov_b32_e32 v1, 0
	v_mov_b32_e32 v3, 0
	v_add_nc_u32_e32 v7, -1, v0
	v_add_nc_u32_e32 v8, 0x3f0, v137
	v_mov_b32_e32 v2, 0
	v_mov_b32_e32 v4, 0
	v_add_nc_u32_e32 v135, 16, v137
	s_mov_b32 s5, 0
	.p2align	6
.LBB126_213:                            ; =>This Inner Loop Header: Depth=1
	s_clause 0x3
	buffer_load_dword v142, v135, s[0:3], 0 offen offset:8
	buffer_load_dword v143, v135, s[0:3], 0 offen offset:12
	buffer_load_dword v144, v135, s[0:3], 0 offen
	buffer_load_dword v145, v135, s[0:3], 0 offen offset:4
	ds_read_b128 v[138:141], v8
	v_add_nc_u32_e32 v7, 1, v7
	v_add_nc_u32_e32 v8, 16, v8
	v_add_nc_u32_e32 v135, 16, v135
	v_cmp_lt_u32_e32 vcc_lo, 45, v7
	s_or_b32 s5, vcc_lo, s5
	s_waitcnt vmcnt(2) lgkmcnt(0)
	v_mul_f64 v[146:147], v[140:141], v[142:143]
	v_mul_f64 v[142:143], v[138:139], v[142:143]
	s_waitcnt vmcnt(0)
	v_fma_f64 v[138:139], v[138:139], v[144:145], -v[146:147]
	v_fma_f64 v[140:141], v[140:141], v[144:145], v[142:143]
	v_add_f64 v[3:4], v[3:4], v[138:139]
	v_add_f64 v[1:2], v[1:2], v[140:141]
	s_andn2_b32 exec_lo, exec_lo, s5
	s_cbranch_execnz .LBB126_213
; %bb.214:
	s_or_b32 exec_lo, exec_lo, s5
	v_mov_b32_e32 v7, 0
	ds_read_b128 v[138:141], v7 offset:752
	s_waitcnt lgkmcnt(0)
	v_mul_f64 v[7:8], v[1:2], v[140:141]
	v_mul_f64 v[135:136], v[3:4], v[140:141]
	v_fma_f64 v[3:4], v[3:4], v[138:139], -v[7:8]
	v_fma_f64 v[1:2], v[1:2], v[138:139], v[135:136]
	buffer_store_dword v4, off, s[0:3], 0 offset:772
	buffer_store_dword v3, off, s[0:3], 0 offset:768
	;; [unrolled: 1-line block ×4, first 2 shown]
.LBB126_215:
	s_or_b32 exec_lo, exec_lo, s4
	v_mov_b32_e32 v4, s28
	s_waitcnt_vscnt null, 0x0
	s_barrier
	buffer_gl0_inv
	s_mov_b32 s4, exec_lo
	s_clause 0x3
	buffer_load_dword v1, v4, s[0:3], 0 offen
	buffer_load_dword v2, v4, s[0:3], 0 offen offset:4
	buffer_load_dword v3, v4, s[0:3], 0 offen offset:8
	buffer_load_dword v4, v4, s[0:3], 0 offen offset:12
	s_waitcnt vmcnt(0)
	ds_write_b128 v5, v[1:4]
	s_waitcnt lgkmcnt(0)
	s_barrier
	buffer_gl0_inv
	v_cmpx_gt_u32_e32 48, v0
	s_cbranch_execz .LBB126_219
; %bb.216:
	v_mov_b32_e32 v1, 0
	v_mov_b32_e32 v3, 0
	v_add_nc_u32_e32 v7, -1, v0
	v_add_nc_u32_e32 v8, 0x3f0, v137
	v_mov_b32_e32 v2, 0
	v_mov_b32_e32 v4, 0
	v_add_nc_u32_e32 v135, 16, v137
	s_mov_b32 s5, 0
	.p2align	6
.LBB126_217:                            ; =>This Inner Loop Header: Depth=1
	s_clause 0x3
	buffer_load_dword v142, v135, s[0:3], 0 offen offset:8
	buffer_load_dword v143, v135, s[0:3], 0 offen offset:12
	buffer_load_dword v144, v135, s[0:3], 0 offen
	buffer_load_dword v145, v135, s[0:3], 0 offen offset:4
	ds_read_b128 v[138:141], v8
	v_add_nc_u32_e32 v7, 1, v7
	v_add_nc_u32_e32 v8, 16, v8
	;; [unrolled: 1-line block ×3, first 2 shown]
	v_cmp_lt_u32_e32 vcc_lo, 46, v7
	s_or_b32 s5, vcc_lo, s5
	s_waitcnt vmcnt(2) lgkmcnt(0)
	v_mul_f64 v[146:147], v[140:141], v[142:143]
	v_mul_f64 v[142:143], v[138:139], v[142:143]
	s_waitcnt vmcnt(0)
	v_fma_f64 v[138:139], v[138:139], v[144:145], -v[146:147]
	v_fma_f64 v[140:141], v[140:141], v[144:145], v[142:143]
	v_add_f64 v[3:4], v[3:4], v[138:139]
	v_add_f64 v[1:2], v[1:2], v[140:141]
	s_andn2_b32 exec_lo, exec_lo, s5
	s_cbranch_execnz .LBB126_217
; %bb.218:
	s_or_b32 exec_lo, exec_lo, s5
	v_mov_b32_e32 v7, 0
	ds_read_b128 v[138:141], v7 offset:768
	s_waitcnt lgkmcnt(0)
	v_mul_f64 v[7:8], v[1:2], v[140:141]
	v_mul_f64 v[135:136], v[3:4], v[140:141]
	v_fma_f64 v[3:4], v[3:4], v[138:139], -v[7:8]
	v_fma_f64 v[1:2], v[1:2], v[138:139], v[135:136]
	buffer_store_dword v4, off, s[0:3], 0 offset:788
	buffer_store_dword v3, off, s[0:3], 0 offset:784
	;; [unrolled: 1-line block ×4, first 2 shown]
.LBB126_219:
	s_or_b32 exec_lo, exec_lo, s4
	v_mov_b32_e32 v4, s27
	s_waitcnt_vscnt null, 0x0
	s_barrier
	buffer_gl0_inv
	s_mov_b32 s4, exec_lo
	s_clause 0x3
	buffer_load_dword v1, v4, s[0:3], 0 offen
	buffer_load_dword v2, v4, s[0:3], 0 offen offset:4
	buffer_load_dword v3, v4, s[0:3], 0 offen offset:8
	;; [unrolled: 1-line block ×3, first 2 shown]
	s_waitcnt vmcnt(0)
	ds_write_b128 v5, v[1:4]
	s_waitcnt lgkmcnt(0)
	s_barrier
	buffer_gl0_inv
	v_cmpx_gt_u32_e32 49, v0
	s_cbranch_execz .LBB126_223
; %bb.220:
	v_mov_b32_e32 v1, 0
	v_mov_b32_e32 v3, 0
	v_add_nc_u32_e32 v7, -1, v0
	v_add_nc_u32_e32 v8, 0x3f0, v137
	v_mov_b32_e32 v2, 0
	v_mov_b32_e32 v4, 0
	v_add_nc_u32_e32 v135, 16, v137
	s_mov_b32 s5, 0
	.p2align	6
.LBB126_221:                            ; =>This Inner Loop Header: Depth=1
	s_clause 0x3
	buffer_load_dword v142, v135, s[0:3], 0 offen offset:8
	buffer_load_dword v143, v135, s[0:3], 0 offen offset:12
	buffer_load_dword v144, v135, s[0:3], 0 offen
	buffer_load_dword v145, v135, s[0:3], 0 offen offset:4
	ds_read_b128 v[138:141], v8
	v_add_nc_u32_e32 v7, 1, v7
	v_add_nc_u32_e32 v8, 16, v8
	;; [unrolled: 1-line block ×3, first 2 shown]
	v_cmp_lt_u32_e32 vcc_lo, 47, v7
	s_or_b32 s5, vcc_lo, s5
	s_waitcnt vmcnt(2) lgkmcnt(0)
	v_mul_f64 v[146:147], v[140:141], v[142:143]
	v_mul_f64 v[142:143], v[138:139], v[142:143]
	s_waitcnt vmcnt(0)
	v_fma_f64 v[138:139], v[138:139], v[144:145], -v[146:147]
	v_fma_f64 v[140:141], v[140:141], v[144:145], v[142:143]
	v_add_f64 v[3:4], v[3:4], v[138:139]
	v_add_f64 v[1:2], v[1:2], v[140:141]
	s_andn2_b32 exec_lo, exec_lo, s5
	s_cbranch_execnz .LBB126_221
; %bb.222:
	s_or_b32 exec_lo, exec_lo, s5
	v_mov_b32_e32 v7, 0
	ds_read_b128 v[138:141], v7 offset:784
	s_waitcnt lgkmcnt(0)
	v_mul_f64 v[7:8], v[1:2], v[140:141]
	v_mul_f64 v[135:136], v[3:4], v[140:141]
	v_fma_f64 v[3:4], v[3:4], v[138:139], -v[7:8]
	v_fma_f64 v[1:2], v[1:2], v[138:139], v[135:136]
	buffer_store_dword v4, off, s[0:3], 0 offset:804
	buffer_store_dword v3, off, s[0:3], 0 offset:800
	buffer_store_dword v2, off, s[0:3], 0 offset:812
	buffer_store_dword v1, off, s[0:3], 0 offset:808
.LBB126_223:
	s_or_b32 exec_lo, exec_lo, s4
	v_mov_b32_e32 v4, s26
	s_waitcnt_vscnt null, 0x0
	s_barrier
	buffer_gl0_inv
	s_mov_b32 s4, exec_lo
	s_clause 0x3
	buffer_load_dword v1, v4, s[0:3], 0 offen
	buffer_load_dword v2, v4, s[0:3], 0 offen offset:4
	buffer_load_dword v3, v4, s[0:3], 0 offen offset:8
	buffer_load_dword v4, v4, s[0:3], 0 offen offset:12
	s_waitcnt vmcnt(0)
	ds_write_b128 v5, v[1:4]
	s_waitcnt lgkmcnt(0)
	s_barrier
	buffer_gl0_inv
	v_cmpx_gt_u32_e32 50, v0
	s_cbranch_execz .LBB126_227
; %bb.224:
	v_mov_b32_e32 v1, 0
	v_mov_b32_e32 v3, 0
	v_add_nc_u32_e32 v7, -1, v0
	v_add_nc_u32_e32 v8, 0x3f0, v137
	v_mov_b32_e32 v2, 0
	v_mov_b32_e32 v4, 0
	v_add_nc_u32_e32 v135, 16, v137
	s_mov_b32 s5, 0
	.p2align	6
.LBB126_225:                            ; =>This Inner Loop Header: Depth=1
	s_clause 0x3
	buffer_load_dword v142, v135, s[0:3], 0 offen offset:8
	buffer_load_dword v143, v135, s[0:3], 0 offen offset:12
	buffer_load_dword v144, v135, s[0:3], 0 offen
	buffer_load_dword v145, v135, s[0:3], 0 offen offset:4
	ds_read_b128 v[138:141], v8
	v_add_nc_u32_e32 v7, 1, v7
	v_add_nc_u32_e32 v8, 16, v8
	;; [unrolled: 1-line block ×3, first 2 shown]
	v_cmp_lt_u32_e32 vcc_lo, 48, v7
	s_or_b32 s5, vcc_lo, s5
	s_waitcnt vmcnt(2) lgkmcnt(0)
	v_mul_f64 v[146:147], v[140:141], v[142:143]
	v_mul_f64 v[142:143], v[138:139], v[142:143]
	s_waitcnt vmcnt(0)
	v_fma_f64 v[138:139], v[138:139], v[144:145], -v[146:147]
	v_fma_f64 v[140:141], v[140:141], v[144:145], v[142:143]
	v_add_f64 v[3:4], v[3:4], v[138:139]
	v_add_f64 v[1:2], v[1:2], v[140:141]
	s_andn2_b32 exec_lo, exec_lo, s5
	s_cbranch_execnz .LBB126_225
; %bb.226:
	s_or_b32 exec_lo, exec_lo, s5
	v_mov_b32_e32 v7, 0
	ds_read_b128 v[138:141], v7 offset:800
	s_waitcnt lgkmcnt(0)
	v_mul_f64 v[7:8], v[1:2], v[140:141]
	v_mul_f64 v[135:136], v[3:4], v[140:141]
	v_fma_f64 v[3:4], v[3:4], v[138:139], -v[7:8]
	v_fma_f64 v[1:2], v[1:2], v[138:139], v[135:136]
	buffer_store_dword v4, off, s[0:3], 0 offset:820
	buffer_store_dword v3, off, s[0:3], 0 offset:816
	;; [unrolled: 1-line block ×4, first 2 shown]
.LBB126_227:
	s_or_b32 exec_lo, exec_lo, s4
	v_mov_b32_e32 v4, s25
	s_waitcnt_vscnt null, 0x0
	s_barrier
	buffer_gl0_inv
	s_mov_b32 s4, exec_lo
	s_clause 0x3
	buffer_load_dword v1, v4, s[0:3], 0 offen
	buffer_load_dword v2, v4, s[0:3], 0 offen offset:4
	buffer_load_dword v3, v4, s[0:3], 0 offen offset:8
	;; [unrolled: 1-line block ×3, first 2 shown]
	s_waitcnt vmcnt(0)
	ds_write_b128 v5, v[1:4]
	s_waitcnt lgkmcnt(0)
	s_barrier
	buffer_gl0_inv
	v_cmpx_gt_u32_e32 51, v0
	s_cbranch_execz .LBB126_231
; %bb.228:
	v_mov_b32_e32 v1, 0
	v_mov_b32_e32 v3, 0
	v_add_nc_u32_e32 v7, -1, v0
	v_add_nc_u32_e32 v8, 0x3f0, v137
	v_mov_b32_e32 v2, 0
	v_mov_b32_e32 v4, 0
	v_add_nc_u32_e32 v135, 16, v137
	s_mov_b32 s5, 0
	.p2align	6
.LBB126_229:                            ; =>This Inner Loop Header: Depth=1
	s_clause 0x3
	buffer_load_dword v142, v135, s[0:3], 0 offen offset:8
	buffer_load_dword v143, v135, s[0:3], 0 offen offset:12
	buffer_load_dword v144, v135, s[0:3], 0 offen
	buffer_load_dword v145, v135, s[0:3], 0 offen offset:4
	ds_read_b128 v[138:141], v8
	v_add_nc_u32_e32 v7, 1, v7
	v_add_nc_u32_e32 v8, 16, v8
	;; [unrolled: 1-line block ×3, first 2 shown]
	v_cmp_lt_u32_e32 vcc_lo, 49, v7
	s_or_b32 s5, vcc_lo, s5
	s_waitcnt vmcnt(2) lgkmcnt(0)
	v_mul_f64 v[146:147], v[140:141], v[142:143]
	v_mul_f64 v[142:143], v[138:139], v[142:143]
	s_waitcnt vmcnt(0)
	v_fma_f64 v[138:139], v[138:139], v[144:145], -v[146:147]
	v_fma_f64 v[140:141], v[140:141], v[144:145], v[142:143]
	v_add_f64 v[3:4], v[3:4], v[138:139]
	v_add_f64 v[1:2], v[1:2], v[140:141]
	s_andn2_b32 exec_lo, exec_lo, s5
	s_cbranch_execnz .LBB126_229
; %bb.230:
	s_or_b32 exec_lo, exec_lo, s5
	v_mov_b32_e32 v7, 0
	ds_read_b128 v[138:141], v7 offset:816
	s_waitcnt lgkmcnt(0)
	v_mul_f64 v[7:8], v[1:2], v[140:141]
	v_mul_f64 v[135:136], v[3:4], v[140:141]
	v_fma_f64 v[3:4], v[3:4], v[138:139], -v[7:8]
	v_fma_f64 v[1:2], v[1:2], v[138:139], v[135:136]
	buffer_store_dword v4, off, s[0:3], 0 offset:836
	buffer_store_dword v3, off, s[0:3], 0 offset:832
	;; [unrolled: 1-line block ×4, first 2 shown]
.LBB126_231:
	s_or_b32 exec_lo, exec_lo, s4
	v_mov_b32_e32 v4, s24
	s_waitcnt_vscnt null, 0x0
	s_barrier
	buffer_gl0_inv
	s_mov_b32 s4, exec_lo
	s_clause 0x3
	buffer_load_dword v1, v4, s[0:3], 0 offen
	buffer_load_dword v2, v4, s[0:3], 0 offen offset:4
	buffer_load_dword v3, v4, s[0:3], 0 offen offset:8
	;; [unrolled: 1-line block ×3, first 2 shown]
	s_waitcnt vmcnt(0)
	ds_write_b128 v5, v[1:4]
	s_waitcnt lgkmcnt(0)
	s_barrier
	buffer_gl0_inv
	v_cmpx_gt_u32_e32 52, v0
	s_cbranch_execz .LBB126_235
; %bb.232:
	v_mov_b32_e32 v1, 0
	v_mov_b32_e32 v3, 0
	v_add_nc_u32_e32 v7, -1, v0
	v_add_nc_u32_e32 v8, 0x3f0, v137
	v_mov_b32_e32 v2, 0
	v_mov_b32_e32 v4, 0
	v_add_nc_u32_e32 v135, 16, v137
	s_mov_b32 s5, 0
	.p2align	6
.LBB126_233:                            ; =>This Inner Loop Header: Depth=1
	s_clause 0x3
	buffer_load_dword v142, v135, s[0:3], 0 offen offset:8
	buffer_load_dword v143, v135, s[0:3], 0 offen offset:12
	buffer_load_dword v144, v135, s[0:3], 0 offen
	buffer_load_dword v145, v135, s[0:3], 0 offen offset:4
	ds_read_b128 v[138:141], v8
	v_add_nc_u32_e32 v7, 1, v7
	v_add_nc_u32_e32 v8, 16, v8
	;; [unrolled: 1-line block ×3, first 2 shown]
	v_cmp_lt_u32_e32 vcc_lo, 50, v7
	s_or_b32 s5, vcc_lo, s5
	s_waitcnt vmcnt(2) lgkmcnt(0)
	v_mul_f64 v[146:147], v[140:141], v[142:143]
	v_mul_f64 v[142:143], v[138:139], v[142:143]
	s_waitcnt vmcnt(0)
	v_fma_f64 v[138:139], v[138:139], v[144:145], -v[146:147]
	v_fma_f64 v[140:141], v[140:141], v[144:145], v[142:143]
	v_add_f64 v[3:4], v[3:4], v[138:139]
	v_add_f64 v[1:2], v[1:2], v[140:141]
	s_andn2_b32 exec_lo, exec_lo, s5
	s_cbranch_execnz .LBB126_233
; %bb.234:
	s_or_b32 exec_lo, exec_lo, s5
	v_mov_b32_e32 v7, 0
	ds_read_b128 v[138:141], v7 offset:832
	s_waitcnt lgkmcnt(0)
	v_mul_f64 v[7:8], v[1:2], v[140:141]
	v_mul_f64 v[135:136], v[3:4], v[140:141]
	v_fma_f64 v[3:4], v[3:4], v[138:139], -v[7:8]
	v_fma_f64 v[1:2], v[1:2], v[138:139], v[135:136]
	buffer_store_dword v4, off, s[0:3], 0 offset:852
	buffer_store_dword v3, off, s[0:3], 0 offset:848
	;; [unrolled: 1-line block ×4, first 2 shown]
.LBB126_235:
	s_or_b32 exec_lo, exec_lo, s4
	v_mov_b32_e32 v4, s23
	s_waitcnt_vscnt null, 0x0
	s_barrier
	buffer_gl0_inv
	s_mov_b32 s4, exec_lo
	s_clause 0x3
	buffer_load_dword v1, v4, s[0:3], 0 offen
	buffer_load_dword v2, v4, s[0:3], 0 offen offset:4
	buffer_load_dword v3, v4, s[0:3], 0 offen offset:8
	buffer_load_dword v4, v4, s[0:3], 0 offen offset:12
	s_waitcnt vmcnt(0)
	ds_write_b128 v5, v[1:4]
	s_waitcnt lgkmcnt(0)
	s_barrier
	buffer_gl0_inv
	v_cmpx_gt_u32_e32 53, v0
	s_cbranch_execz .LBB126_239
; %bb.236:
	v_mov_b32_e32 v1, 0
	v_mov_b32_e32 v3, 0
	v_add_nc_u32_e32 v7, -1, v0
	v_add_nc_u32_e32 v8, 0x3f0, v137
	v_mov_b32_e32 v2, 0
	v_mov_b32_e32 v4, 0
	v_add_nc_u32_e32 v135, 16, v137
	s_mov_b32 s5, 0
	.p2align	6
.LBB126_237:                            ; =>This Inner Loop Header: Depth=1
	s_clause 0x3
	buffer_load_dword v142, v135, s[0:3], 0 offen offset:8
	buffer_load_dword v143, v135, s[0:3], 0 offen offset:12
	buffer_load_dword v144, v135, s[0:3], 0 offen
	buffer_load_dword v145, v135, s[0:3], 0 offen offset:4
	ds_read_b128 v[138:141], v8
	v_add_nc_u32_e32 v7, 1, v7
	v_add_nc_u32_e32 v8, 16, v8
	;; [unrolled: 1-line block ×3, first 2 shown]
	v_cmp_lt_u32_e32 vcc_lo, 51, v7
	s_or_b32 s5, vcc_lo, s5
	s_waitcnt vmcnt(2) lgkmcnt(0)
	v_mul_f64 v[146:147], v[140:141], v[142:143]
	v_mul_f64 v[142:143], v[138:139], v[142:143]
	s_waitcnt vmcnt(0)
	v_fma_f64 v[138:139], v[138:139], v[144:145], -v[146:147]
	v_fma_f64 v[140:141], v[140:141], v[144:145], v[142:143]
	v_add_f64 v[3:4], v[3:4], v[138:139]
	v_add_f64 v[1:2], v[1:2], v[140:141]
	s_andn2_b32 exec_lo, exec_lo, s5
	s_cbranch_execnz .LBB126_237
; %bb.238:
	s_or_b32 exec_lo, exec_lo, s5
	v_mov_b32_e32 v7, 0
	ds_read_b128 v[138:141], v7 offset:848
	s_waitcnt lgkmcnt(0)
	v_mul_f64 v[7:8], v[1:2], v[140:141]
	v_mul_f64 v[135:136], v[3:4], v[140:141]
	v_fma_f64 v[3:4], v[3:4], v[138:139], -v[7:8]
	v_fma_f64 v[1:2], v[1:2], v[138:139], v[135:136]
	buffer_store_dword v4, off, s[0:3], 0 offset:868
	buffer_store_dword v3, off, s[0:3], 0 offset:864
	;; [unrolled: 1-line block ×4, first 2 shown]
.LBB126_239:
	s_or_b32 exec_lo, exec_lo, s4
	v_mov_b32_e32 v4, s22
	s_waitcnt_vscnt null, 0x0
	s_barrier
	buffer_gl0_inv
	s_mov_b32 s4, exec_lo
	s_clause 0x3
	buffer_load_dword v1, v4, s[0:3], 0 offen
	buffer_load_dword v2, v4, s[0:3], 0 offen offset:4
	buffer_load_dword v3, v4, s[0:3], 0 offen offset:8
	;; [unrolled: 1-line block ×3, first 2 shown]
	s_waitcnt vmcnt(0)
	ds_write_b128 v5, v[1:4]
	s_waitcnt lgkmcnt(0)
	s_barrier
	buffer_gl0_inv
	v_cmpx_gt_u32_e32 54, v0
	s_cbranch_execz .LBB126_243
; %bb.240:
	v_mov_b32_e32 v1, 0
	v_mov_b32_e32 v3, 0
	v_add_nc_u32_e32 v7, -1, v0
	v_add_nc_u32_e32 v8, 0x3f0, v137
	v_mov_b32_e32 v2, 0
	v_mov_b32_e32 v4, 0
	v_add_nc_u32_e32 v135, 16, v137
	s_mov_b32 s5, 0
	.p2align	6
.LBB126_241:                            ; =>This Inner Loop Header: Depth=1
	s_clause 0x3
	buffer_load_dword v142, v135, s[0:3], 0 offen offset:8
	buffer_load_dword v143, v135, s[0:3], 0 offen offset:12
	buffer_load_dword v144, v135, s[0:3], 0 offen
	buffer_load_dword v145, v135, s[0:3], 0 offen offset:4
	ds_read_b128 v[138:141], v8
	v_add_nc_u32_e32 v7, 1, v7
	v_add_nc_u32_e32 v8, 16, v8
	;; [unrolled: 1-line block ×3, first 2 shown]
	v_cmp_lt_u32_e32 vcc_lo, 52, v7
	s_or_b32 s5, vcc_lo, s5
	s_waitcnt vmcnt(2) lgkmcnt(0)
	v_mul_f64 v[146:147], v[140:141], v[142:143]
	v_mul_f64 v[142:143], v[138:139], v[142:143]
	s_waitcnt vmcnt(0)
	v_fma_f64 v[138:139], v[138:139], v[144:145], -v[146:147]
	v_fma_f64 v[140:141], v[140:141], v[144:145], v[142:143]
	v_add_f64 v[3:4], v[3:4], v[138:139]
	v_add_f64 v[1:2], v[1:2], v[140:141]
	s_andn2_b32 exec_lo, exec_lo, s5
	s_cbranch_execnz .LBB126_241
; %bb.242:
	s_or_b32 exec_lo, exec_lo, s5
	v_mov_b32_e32 v7, 0
	ds_read_b128 v[138:141], v7 offset:864
	s_waitcnt lgkmcnt(0)
	v_mul_f64 v[7:8], v[1:2], v[140:141]
	v_mul_f64 v[135:136], v[3:4], v[140:141]
	v_fma_f64 v[3:4], v[3:4], v[138:139], -v[7:8]
	v_fma_f64 v[1:2], v[1:2], v[138:139], v[135:136]
	buffer_store_dword v4, off, s[0:3], 0 offset:884
	buffer_store_dword v3, off, s[0:3], 0 offset:880
	;; [unrolled: 1-line block ×4, first 2 shown]
.LBB126_243:
	s_or_b32 exec_lo, exec_lo, s4
	v_mov_b32_e32 v4, s21
	s_waitcnt_vscnt null, 0x0
	s_barrier
	buffer_gl0_inv
	s_mov_b32 s4, exec_lo
	s_clause 0x3
	buffer_load_dword v1, v4, s[0:3], 0 offen
	buffer_load_dword v2, v4, s[0:3], 0 offen offset:4
	buffer_load_dword v3, v4, s[0:3], 0 offen offset:8
	;; [unrolled: 1-line block ×3, first 2 shown]
	s_waitcnt vmcnt(0)
	ds_write_b128 v5, v[1:4]
	s_waitcnt lgkmcnt(0)
	s_barrier
	buffer_gl0_inv
	v_cmpx_gt_u32_e32 55, v0
	s_cbranch_execz .LBB126_247
; %bb.244:
	v_mov_b32_e32 v1, 0
	v_mov_b32_e32 v3, 0
	v_add_nc_u32_e32 v7, -1, v0
	v_add_nc_u32_e32 v8, 0x3f0, v137
	v_mov_b32_e32 v2, 0
	v_mov_b32_e32 v4, 0
	v_add_nc_u32_e32 v135, 16, v137
	s_mov_b32 s5, 0
	.p2align	6
.LBB126_245:                            ; =>This Inner Loop Header: Depth=1
	s_clause 0x3
	buffer_load_dword v142, v135, s[0:3], 0 offen offset:8
	buffer_load_dword v143, v135, s[0:3], 0 offen offset:12
	buffer_load_dword v144, v135, s[0:3], 0 offen
	buffer_load_dword v145, v135, s[0:3], 0 offen offset:4
	ds_read_b128 v[138:141], v8
	v_add_nc_u32_e32 v7, 1, v7
	v_add_nc_u32_e32 v8, 16, v8
	;; [unrolled: 1-line block ×3, first 2 shown]
	v_cmp_lt_u32_e32 vcc_lo, 53, v7
	s_or_b32 s5, vcc_lo, s5
	s_waitcnt vmcnt(2) lgkmcnt(0)
	v_mul_f64 v[146:147], v[140:141], v[142:143]
	v_mul_f64 v[142:143], v[138:139], v[142:143]
	s_waitcnt vmcnt(0)
	v_fma_f64 v[138:139], v[138:139], v[144:145], -v[146:147]
	v_fma_f64 v[140:141], v[140:141], v[144:145], v[142:143]
	v_add_f64 v[3:4], v[3:4], v[138:139]
	v_add_f64 v[1:2], v[1:2], v[140:141]
	s_andn2_b32 exec_lo, exec_lo, s5
	s_cbranch_execnz .LBB126_245
; %bb.246:
	s_or_b32 exec_lo, exec_lo, s5
	v_mov_b32_e32 v7, 0
	ds_read_b128 v[138:141], v7 offset:880
	s_waitcnt lgkmcnt(0)
	v_mul_f64 v[7:8], v[1:2], v[140:141]
	v_mul_f64 v[135:136], v[3:4], v[140:141]
	v_fma_f64 v[3:4], v[3:4], v[138:139], -v[7:8]
	v_fma_f64 v[1:2], v[1:2], v[138:139], v[135:136]
	buffer_store_dword v4, off, s[0:3], 0 offset:900
	buffer_store_dword v3, off, s[0:3], 0 offset:896
	buffer_store_dword v2, off, s[0:3], 0 offset:908
	buffer_store_dword v1, off, s[0:3], 0 offset:904
.LBB126_247:
	s_or_b32 exec_lo, exec_lo, s4
	v_mov_b32_e32 v4, s20
	s_waitcnt_vscnt null, 0x0
	s_barrier
	buffer_gl0_inv
	s_mov_b32 s4, exec_lo
	s_clause 0x3
	buffer_load_dword v1, v4, s[0:3], 0 offen
	buffer_load_dword v2, v4, s[0:3], 0 offen offset:4
	buffer_load_dword v3, v4, s[0:3], 0 offen offset:8
	;; [unrolled: 1-line block ×3, first 2 shown]
	s_waitcnt vmcnt(0)
	ds_write_b128 v5, v[1:4]
	s_waitcnt lgkmcnt(0)
	s_barrier
	buffer_gl0_inv
	v_cmpx_gt_u32_e32 56, v0
	s_cbranch_execz .LBB126_251
; %bb.248:
	v_mov_b32_e32 v1, 0
	v_mov_b32_e32 v3, 0
	v_add_nc_u32_e32 v7, -1, v0
	v_add_nc_u32_e32 v8, 0x3f0, v137
	v_mov_b32_e32 v2, 0
	v_mov_b32_e32 v4, 0
	v_add_nc_u32_e32 v135, 16, v137
	s_mov_b32 s5, 0
	.p2align	6
.LBB126_249:                            ; =>This Inner Loop Header: Depth=1
	s_clause 0x3
	buffer_load_dword v142, v135, s[0:3], 0 offen offset:8
	buffer_load_dword v143, v135, s[0:3], 0 offen offset:12
	buffer_load_dword v144, v135, s[0:3], 0 offen
	buffer_load_dword v145, v135, s[0:3], 0 offen offset:4
	ds_read_b128 v[138:141], v8
	v_add_nc_u32_e32 v7, 1, v7
	v_add_nc_u32_e32 v8, 16, v8
	;; [unrolled: 1-line block ×3, first 2 shown]
	v_cmp_lt_u32_e32 vcc_lo, 54, v7
	s_or_b32 s5, vcc_lo, s5
	s_waitcnt vmcnt(2) lgkmcnt(0)
	v_mul_f64 v[146:147], v[140:141], v[142:143]
	v_mul_f64 v[142:143], v[138:139], v[142:143]
	s_waitcnt vmcnt(0)
	v_fma_f64 v[138:139], v[138:139], v[144:145], -v[146:147]
	v_fma_f64 v[140:141], v[140:141], v[144:145], v[142:143]
	v_add_f64 v[3:4], v[3:4], v[138:139]
	v_add_f64 v[1:2], v[1:2], v[140:141]
	s_andn2_b32 exec_lo, exec_lo, s5
	s_cbranch_execnz .LBB126_249
; %bb.250:
	s_or_b32 exec_lo, exec_lo, s5
	v_mov_b32_e32 v7, 0
	ds_read_b128 v[138:141], v7 offset:896
	s_waitcnt lgkmcnt(0)
	v_mul_f64 v[7:8], v[1:2], v[140:141]
	v_mul_f64 v[135:136], v[3:4], v[140:141]
	v_fma_f64 v[3:4], v[3:4], v[138:139], -v[7:8]
	v_fma_f64 v[1:2], v[1:2], v[138:139], v[135:136]
	buffer_store_dword v4, off, s[0:3], 0 offset:916
	buffer_store_dword v3, off, s[0:3], 0 offset:912
	;; [unrolled: 1-line block ×4, first 2 shown]
.LBB126_251:
	s_or_b32 exec_lo, exec_lo, s4
	v_mov_b32_e32 v4, s19
	s_waitcnt_vscnt null, 0x0
	s_barrier
	buffer_gl0_inv
	s_mov_b32 s4, exec_lo
	s_clause 0x3
	buffer_load_dword v1, v4, s[0:3], 0 offen
	buffer_load_dword v2, v4, s[0:3], 0 offen offset:4
	buffer_load_dword v3, v4, s[0:3], 0 offen offset:8
	;; [unrolled: 1-line block ×3, first 2 shown]
	s_waitcnt vmcnt(0)
	ds_write_b128 v5, v[1:4]
	s_waitcnt lgkmcnt(0)
	s_barrier
	buffer_gl0_inv
	v_cmpx_gt_u32_e32 57, v0
	s_cbranch_execz .LBB126_255
; %bb.252:
	v_mov_b32_e32 v1, 0
	v_mov_b32_e32 v3, 0
	v_add_nc_u32_e32 v7, -1, v0
	v_add_nc_u32_e32 v8, 0x3f0, v137
	v_mov_b32_e32 v2, 0
	v_mov_b32_e32 v4, 0
	v_add_nc_u32_e32 v135, 16, v137
	s_mov_b32 s5, 0
	.p2align	6
.LBB126_253:                            ; =>This Inner Loop Header: Depth=1
	s_clause 0x3
	buffer_load_dword v142, v135, s[0:3], 0 offen offset:8
	buffer_load_dword v143, v135, s[0:3], 0 offen offset:12
	buffer_load_dword v144, v135, s[0:3], 0 offen
	buffer_load_dword v145, v135, s[0:3], 0 offen offset:4
	ds_read_b128 v[138:141], v8
	v_add_nc_u32_e32 v7, 1, v7
	v_add_nc_u32_e32 v8, 16, v8
	v_add_nc_u32_e32 v135, 16, v135
	v_cmp_lt_u32_e32 vcc_lo, 55, v7
	s_or_b32 s5, vcc_lo, s5
	s_waitcnt vmcnt(2) lgkmcnt(0)
	v_mul_f64 v[146:147], v[140:141], v[142:143]
	v_mul_f64 v[142:143], v[138:139], v[142:143]
	s_waitcnt vmcnt(0)
	v_fma_f64 v[138:139], v[138:139], v[144:145], -v[146:147]
	v_fma_f64 v[140:141], v[140:141], v[144:145], v[142:143]
	v_add_f64 v[3:4], v[3:4], v[138:139]
	v_add_f64 v[1:2], v[1:2], v[140:141]
	s_andn2_b32 exec_lo, exec_lo, s5
	s_cbranch_execnz .LBB126_253
; %bb.254:
	s_or_b32 exec_lo, exec_lo, s5
	v_mov_b32_e32 v7, 0
	ds_read_b128 v[138:141], v7 offset:912
	s_waitcnt lgkmcnt(0)
	v_mul_f64 v[7:8], v[1:2], v[140:141]
	v_mul_f64 v[135:136], v[3:4], v[140:141]
	v_fma_f64 v[3:4], v[3:4], v[138:139], -v[7:8]
	v_fma_f64 v[1:2], v[1:2], v[138:139], v[135:136]
	buffer_store_dword v4, off, s[0:3], 0 offset:932
	buffer_store_dword v3, off, s[0:3], 0 offset:928
	;; [unrolled: 1-line block ×4, first 2 shown]
.LBB126_255:
	s_or_b32 exec_lo, exec_lo, s4
	v_mov_b32_e32 v4, s18
	s_waitcnt_vscnt null, 0x0
	s_barrier
	buffer_gl0_inv
	s_mov_b32 s4, exec_lo
	s_clause 0x3
	buffer_load_dword v1, v4, s[0:3], 0 offen
	buffer_load_dword v2, v4, s[0:3], 0 offen offset:4
	buffer_load_dword v3, v4, s[0:3], 0 offen offset:8
	;; [unrolled: 1-line block ×3, first 2 shown]
	s_waitcnt vmcnt(0)
	ds_write_b128 v5, v[1:4]
	s_waitcnt lgkmcnt(0)
	s_barrier
	buffer_gl0_inv
	v_cmpx_gt_u32_e32 58, v0
	s_cbranch_execz .LBB126_259
; %bb.256:
	v_mov_b32_e32 v1, 0
	v_mov_b32_e32 v3, 0
	v_add_nc_u32_e32 v7, -1, v0
	v_add_nc_u32_e32 v8, 0x3f0, v137
	v_mov_b32_e32 v2, 0
	v_mov_b32_e32 v4, 0
	v_add_nc_u32_e32 v135, 16, v137
	s_mov_b32 s5, 0
	.p2align	6
.LBB126_257:                            ; =>This Inner Loop Header: Depth=1
	s_clause 0x3
	buffer_load_dword v142, v135, s[0:3], 0 offen offset:8
	buffer_load_dword v143, v135, s[0:3], 0 offen offset:12
	buffer_load_dword v144, v135, s[0:3], 0 offen
	buffer_load_dword v145, v135, s[0:3], 0 offen offset:4
	ds_read_b128 v[138:141], v8
	v_add_nc_u32_e32 v7, 1, v7
	v_add_nc_u32_e32 v8, 16, v8
	;; [unrolled: 1-line block ×3, first 2 shown]
	v_cmp_lt_u32_e32 vcc_lo, 56, v7
	s_or_b32 s5, vcc_lo, s5
	s_waitcnt vmcnt(2) lgkmcnt(0)
	v_mul_f64 v[146:147], v[140:141], v[142:143]
	v_mul_f64 v[142:143], v[138:139], v[142:143]
	s_waitcnt vmcnt(0)
	v_fma_f64 v[138:139], v[138:139], v[144:145], -v[146:147]
	v_fma_f64 v[140:141], v[140:141], v[144:145], v[142:143]
	v_add_f64 v[3:4], v[3:4], v[138:139]
	v_add_f64 v[1:2], v[1:2], v[140:141]
	s_andn2_b32 exec_lo, exec_lo, s5
	s_cbranch_execnz .LBB126_257
; %bb.258:
	s_or_b32 exec_lo, exec_lo, s5
	v_mov_b32_e32 v7, 0
	ds_read_b128 v[138:141], v7 offset:928
	s_waitcnt lgkmcnt(0)
	v_mul_f64 v[7:8], v[1:2], v[140:141]
	v_mul_f64 v[135:136], v[3:4], v[140:141]
	v_fma_f64 v[3:4], v[3:4], v[138:139], -v[7:8]
	v_fma_f64 v[1:2], v[1:2], v[138:139], v[135:136]
	buffer_store_dword v4, off, s[0:3], 0 offset:948
	buffer_store_dword v3, off, s[0:3], 0 offset:944
	;; [unrolled: 1-line block ×4, first 2 shown]
.LBB126_259:
	s_or_b32 exec_lo, exec_lo, s4
	v_mov_b32_e32 v4, s17
	s_waitcnt_vscnt null, 0x0
	s_barrier
	buffer_gl0_inv
	s_mov_b32 s4, exec_lo
	s_clause 0x3
	buffer_load_dword v1, v4, s[0:3], 0 offen
	buffer_load_dword v2, v4, s[0:3], 0 offen offset:4
	buffer_load_dword v3, v4, s[0:3], 0 offen offset:8
	;; [unrolled: 1-line block ×3, first 2 shown]
	s_waitcnt vmcnt(0)
	ds_write_b128 v5, v[1:4]
	s_waitcnt lgkmcnt(0)
	s_barrier
	buffer_gl0_inv
	v_cmpx_gt_u32_e32 59, v0
	s_cbranch_execz .LBB126_263
; %bb.260:
	v_mov_b32_e32 v1, 0
	v_mov_b32_e32 v3, 0
	v_add_nc_u32_e32 v7, -1, v0
	v_add_nc_u32_e32 v8, 0x3f0, v137
	v_mov_b32_e32 v2, 0
	v_mov_b32_e32 v4, 0
	v_add_nc_u32_e32 v135, 16, v137
	s_mov_b32 s5, 0
	.p2align	6
.LBB126_261:                            ; =>This Inner Loop Header: Depth=1
	s_clause 0x3
	buffer_load_dword v142, v135, s[0:3], 0 offen offset:8
	buffer_load_dword v143, v135, s[0:3], 0 offen offset:12
	buffer_load_dword v144, v135, s[0:3], 0 offen
	buffer_load_dword v145, v135, s[0:3], 0 offen offset:4
	ds_read_b128 v[138:141], v8
	v_add_nc_u32_e32 v7, 1, v7
	v_add_nc_u32_e32 v8, 16, v8
	;; [unrolled: 1-line block ×3, first 2 shown]
	v_cmp_lt_u32_e32 vcc_lo, 57, v7
	s_or_b32 s5, vcc_lo, s5
	s_waitcnt vmcnt(2) lgkmcnt(0)
	v_mul_f64 v[146:147], v[140:141], v[142:143]
	v_mul_f64 v[142:143], v[138:139], v[142:143]
	s_waitcnt vmcnt(0)
	v_fma_f64 v[138:139], v[138:139], v[144:145], -v[146:147]
	v_fma_f64 v[140:141], v[140:141], v[144:145], v[142:143]
	v_add_f64 v[3:4], v[3:4], v[138:139]
	v_add_f64 v[1:2], v[1:2], v[140:141]
	s_andn2_b32 exec_lo, exec_lo, s5
	s_cbranch_execnz .LBB126_261
; %bb.262:
	s_or_b32 exec_lo, exec_lo, s5
	v_mov_b32_e32 v7, 0
	ds_read_b128 v[138:141], v7 offset:944
	s_waitcnt lgkmcnt(0)
	v_mul_f64 v[7:8], v[1:2], v[140:141]
	v_mul_f64 v[135:136], v[3:4], v[140:141]
	v_fma_f64 v[3:4], v[3:4], v[138:139], -v[7:8]
	v_fma_f64 v[1:2], v[1:2], v[138:139], v[135:136]
	buffer_store_dword v4, off, s[0:3], 0 offset:964
	buffer_store_dword v3, off, s[0:3], 0 offset:960
	;; [unrolled: 1-line block ×4, first 2 shown]
.LBB126_263:
	s_or_b32 exec_lo, exec_lo, s4
	v_mov_b32_e32 v4, s16
	s_waitcnt_vscnt null, 0x0
	s_barrier
	buffer_gl0_inv
	s_mov_b32 s4, exec_lo
	s_clause 0x3
	buffer_load_dword v1, v4, s[0:3], 0 offen
	buffer_load_dword v2, v4, s[0:3], 0 offen offset:4
	buffer_load_dword v3, v4, s[0:3], 0 offen offset:8
	buffer_load_dword v4, v4, s[0:3], 0 offen offset:12
	s_waitcnt vmcnt(0)
	ds_write_b128 v5, v[1:4]
	s_waitcnt lgkmcnt(0)
	s_barrier
	buffer_gl0_inv
	v_cmpx_gt_u32_e32 60, v0
	s_cbranch_execz .LBB126_267
; %bb.264:
	v_mov_b32_e32 v1, 0
	v_mov_b32_e32 v3, 0
	v_add_nc_u32_e32 v7, -1, v0
	v_add_nc_u32_e32 v8, 0x3f0, v137
	v_mov_b32_e32 v2, 0
	v_mov_b32_e32 v4, 0
	v_add_nc_u32_e32 v135, 16, v137
	s_mov_b32 s5, 0
	.p2align	6
.LBB126_265:                            ; =>This Inner Loop Header: Depth=1
	s_clause 0x3
	buffer_load_dword v142, v135, s[0:3], 0 offen offset:8
	buffer_load_dword v143, v135, s[0:3], 0 offen offset:12
	buffer_load_dword v144, v135, s[0:3], 0 offen
	buffer_load_dword v145, v135, s[0:3], 0 offen offset:4
	ds_read_b128 v[138:141], v8
	v_add_nc_u32_e32 v7, 1, v7
	v_add_nc_u32_e32 v8, 16, v8
	;; [unrolled: 1-line block ×3, first 2 shown]
	v_cmp_lt_u32_e32 vcc_lo, 58, v7
	s_or_b32 s5, vcc_lo, s5
	s_waitcnt vmcnt(2) lgkmcnt(0)
	v_mul_f64 v[146:147], v[140:141], v[142:143]
	v_mul_f64 v[142:143], v[138:139], v[142:143]
	s_waitcnt vmcnt(0)
	v_fma_f64 v[138:139], v[138:139], v[144:145], -v[146:147]
	v_fma_f64 v[140:141], v[140:141], v[144:145], v[142:143]
	v_add_f64 v[3:4], v[3:4], v[138:139]
	v_add_f64 v[1:2], v[1:2], v[140:141]
	s_andn2_b32 exec_lo, exec_lo, s5
	s_cbranch_execnz .LBB126_265
; %bb.266:
	s_or_b32 exec_lo, exec_lo, s5
	v_mov_b32_e32 v7, 0
	ds_read_b128 v[138:141], v7 offset:960
	s_waitcnt lgkmcnt(0)
	v_mul_f64 v[7:8], v[1:2], v[140:141]
	v_mul_f64 v[135:136], v[3:4], v[140:141]
	v_fma_f64 v[3:4], v[3:4], v[138:139], -v[7:8]
	v_fma_f64 v[1:2], v[1:2], v[138:139], v[135:136]
	buffer_store_dword v4, off, s[0:3], 0 offset:980
	buffer_store_dword v3, off, s[0:3], 0 offset:976
	;; [unrolled: 1-line block ×4, first 2 shown]
.LBB126_267:
	s_or_b32 exec_lo, exec_lo, s4
	v_mov_b32_e32 v4, s15
	s_waitcnt_vscnt null, 0x0
	s_barrier
	buffer_gl0_inv
	s_mov_b32 s4, exec_lo
	s_clause 0x3
	buffer_load_dword v1, v4, s[0:3], 0 offen
	buffer_load_dword v2, v4, s[0:3], 0 offen offset:4
	buffer_load_dword v3, v4, s[0:3], 0 offen offset:8
	;; [unrolled: 1-line block ×3, first 2 shown]
	s_waitcnt vmcnt(0)
	ds_write_b128 v5, v[1:4]
	s_waitcnt lgkmcnt(0)
	s_barrier
	buffer_gl0_inv
	v_cmpx_gt_u32_e32 61, v0
	s_cbranch_execz .LBB126_271
; %bb.268:
	v_mov_b32_e32 v1, 0
	v_mov_b32_e32 v3, 0
	v_add_nc_u32_e32 v7, -1, v0
	v_add_nc_u32_e32 v8, 0x3f0, v137
	v_mov_b32_e32 v2, 0
	v_mov_b32_e32 v4, 0
	v_add_nc_u32_e32 v135, 16, v137
	s_mov_b32 s5, 0
	.p2align	6
.LBB126_269:                            ; =>This Inner Loop Header: Depth=1
	s_clause 0x3
	buffer_load_dword v142, v135, s[0:3], 0 offen offset:8
	buffer_load_dword v143, v135, s[0:3], 0 offen offset:12
	buffer_load_dword v144, v135, s[0:3], 0 offen
	buffer_load_dword v145, v135, s[0:3], 0 offen offset:4
	ds_read_b128 v[138:141], v8
	v_add_nc_u32_e32 v7, 1, v7
	v_add_nc_u32_e32 v8, 16, v8
	;; [unrolled: 1-line block ×3, first 2 shown]
	v_cmp_lt_u32_e32 vcc_lo, 59, v7
	s_or_b32 s5, vcc_lo, s5
	s_waitcnt vmcnt(2) lgkmcnt(0)
	v_mul_f64 v[146:147], v[140:141], v[142:143]
	v_mul_f64 v[142:143], v[138:139], v[142:143]
	s_waitcnt vmcnt(0)
	v_fma_f64 v[138:139], v[138:139], v[144:145], -v[146:147]
	v_fma_f64 v[140:141], v[140:141], v[144:145], v[142:143]
	v_add_f64 v[3:4], v[3:4], v[138:139]
	v_add_f64 v[1:2], v[1:2], v[140:141]
	s_andn2_b32 exec_lo, exec_lo, s5
	s_cbranch_execnz .LBB126_269
; %bb.270:
	s_or_b32 exec_lo, exec_lo, s5
	v_mov_b32_e32 v7, 0
	ds_read_b128 v[138:141], v7 offset:976
	s_waitcnt lgkmcnt(0)
	v_mul_f64 v[7:8], v[1:2], v[140:141]
	v_mul_f64 v[135:136], v[3:4], v[140:141]
	v_fma_f64 v[3:4], v[3:4], v[138:139], -v[7:8]
	v_fma_f64 v[1:2], v[1:2], v[138:139], v[135:136]
	buffer_store_dword v4, off, s[0:3], 0 offset:996
	buffer_store_dword v3, off, s[0:3], 0 offset:992
	;; [unrolled: 1-line block ×4, first 2 shown]
.LBB126_271:
	s_or_b32 exec_lo, exec_lo, s4
	v_mov_b32_e32 v4, s14
	s_waitcnt_vscnt null, 0x0
	s_barrier
	buffer_gl0_inv
	s_mov_b32 s4, exec_lo
	s_clause 0x3
	buffer_load_dword v1, v4, s[0:3], 0 offen
	buffer_load_dword v2, v4, s[0:3], 0 offen offset:4
	buffer_load_dword v3, v4, s[0:3], 0 offen offset:8
	;; [unrolled: 1-line block ×3, first 2 shown]
	s_waitcnt vmcnt(0)
	ds_write_b128 v5, v[1:4]
	s_waitcnt lgkmcnt(0)
	s_barrier
	buffer_gl0_inv
	v_cmpx_ne_u32_e32 62, v0
	s_cbranch_execz .LBB126_275
; %bb.272:
	v_mov_b32_e32 v1, 0
	v_mov_b32_e32 v3, 0
	;; [unrolled: 1-line block ×4, first 2 shown]
	v_add_nc_u32_e32 v7, 16, v137
	s_mov_b32 s5, 0
	.p2align	6
.LBB126_273:                            ; =>This Inner Loop Header: Depth=1
	s_clause 0x3
	buffer_load_dword v139, v7, s[0:3], 0 offen offset:8
	buffer_load_dword v140, v7, s[0:3], 0 offen offset:12
	buffer_load_dword v141, v7, s[0:3], 0 offen
	buffer_load_dword v142, v7, s[0:3], 0 offen offset:4
	ds_read_b128 v[135:138], v5
	v_add_nc_u32_e32 v6, 1, v6
	v_add_nc_u32_e32 v5, 16, v5
	;; [unrolled: 1-line block ×3, first 2 shown]
	v_cmp_lt_u32_e32 vcc_lo, 60, v6
	s_or_b32 s5, vcc_lo, s5
	s_waitcnt vmcnt(2) lgkmcnt(0)
	v_mul_f64 v[143:144], v[137:138], v[139:140]
	v_mul_f64 v[139:140], v[135:136], v[139:140]
	s_waitcnt vmcnt(0)
	v_fma_f64 v[135:136], v[135:136], v[141:142], -v[143:144]
	v_fma_f64 v[137:138], v[137:138], v[141:142], v[139:140]
	v_add_f64 v[3:4], v[3:4], v[135:136]
	v_add_f64 v[1:2], v[1:2], v[137:138]
	s_andn2_b32 exec_lo, exec_lo, s5
	s_cbranch_execnz .LBB126_273
; %bb.274:
	s_or_b32 exec_lo, exec_lo, s5
	v_mov_b32_e32 v5, 0
	ds_read_b128 v[5:8], v5 offset:992
	s_waitcnt lgkmcnt(0)
	v_mul_f64 v[135:136], v[1:2], v[7:8]
	v_mul_f64 v[7:8], v[3:4], v[7:8]
	v_fma_f64 v[3:4], v[3:4], v[5:6], -v[135:136]
	v_fma_f64 v[1:2], v[1:2], v[5:6], v[7:8]
	buffer_store_dword v4, off, s[0:3], 0 offset:1012
	buffer_store_dword v3, off, s[0:3], 0 offset:1008
	;; [unrolled: 1-line block ×4, first 2 shown]
.LBB126_275:
	s_or_b32 exec_lo, exec_lo, s4
	s_mov_b32 s5, -1
	s_waitcnt_vscnt null, 0x0
	s_barrier
	buffer_gl0_inv
.LBB126_276:
	s_and_b32 vcc_lo, exec_lo, s5
	s_cbranch_vccz .LBB126_278
; %bb.277:
	s_lshl_b64 s[4:5], s[6:7], 2
	v_mov_b32_e32 v1, 0
	s_add_u32 s4, s10, s4
	s_addc_u32 s5, s11, s5
	global_load_dword v1, v1, s[4:5]
	s_waitcnt vmcnt(0)
	v_cmp_ne_u32_e32 vcc_lo, 0, v1
	s_cbranch_vccz .LBB126_279
.LBB126_278:
	s_endpgm
.LBB126_279:
	v_lshl_add_u32 v195, v0, 4, 0x3f0
	s_mov_b32 s4, exec_lo
	v_cmpx_eq_u32_e32 62, v0
	s_cbranch_execz .LBB126_281
; %bb.280:
	v_mov_b32_e32 v4, s15
	v_mov_b32_e32 v5, 0
	s_clause 0x3
	buffer_load_dword v1, v4, s[0:3], 0 offen
	buffer_load_dword v2, v4, s[0:3], 0 offen offset:4
	buffer_load_dword v3, v4, s[0:3], 0 offen offset:8
	;; [unrolled: 1-line block ×3, first 2 shown]
	buffer_store_dword v5, off, s[0:3], 0 offset:992
	buffer_store_dword v5, off, s[0:3], 0 offset:996
	;; [unrolled: 1-line block ×4, first 2 shown]
	s_waitcnt vmcnt(0)
	ds_write_b128 v195, v[1:4]
.LBB126_281:
	s_or_b32 exec_lo, exec_lo, s4
	s_waitcnt lgkmcnt(0)
	s_waitcnt_vscnt null, 0x0
	s_barrier
	buffer_gl0_inv
	s_clause 0x7
	buffer_load_dword v6, off, s[0:3], 0 offset:1016
	buffer_load_dword v7, off, s[0:3], 0 offset:1020
	;; [unrolled: 1-line block ×8, first 2 shown]
	v_mov_b32_e32 v1, 0
	s_mov_b32 s4, exec_lo
	ds_read_b128 v[2:5], v1 offset:2000
	s_waitcnt vmcnt(6) lgkmcnt(0)
	v_mul_f64 v[141:142], v[4:5], v[6:7]
	v_mul_f64 v[6:7], v[2:3], v[6:7]
	s_waitcnt vmcnt(4)
	v_fma_f64 v[2:3], v[2:3], v[135:136], -v[141:142]
	v_fma_f64 v[4:5], v[4:5], v[135:136], v[6:7]
	v_add_f64 v[2:3], v[2:3], 0
	v_add_f64 v[4:5], v[4:5], 0
	s_waitcnt vmcnt(2)
	v_add_f64 v[2:3], v[137:138], -v[2:3]
	s_waitcnt vmcnt(0)
	v_add_f64 v[4:5], v[139:140], -v[4:5]
	buffer_store_dword v2, off, s[0:3], 0 offset:992
	buffer_store_dword v3, off, s[0:3], 0 offset:996
	;; [unrolled: 1-line block ×4, first 2 shown]
	v_cmpx_lt_u32_e32 60, v0
	s_cbranch_execz .LBB126_283
; %bb.282:
	v_mov_b32_e32 v5, s16
	s_clause 0x3
	buffer_load_dword v2, v5, s[0:3], 0 offen
	buffer_load_dword v3, v5, s[0:3], 0 offen offset:4
	buffer_load_dword v4, v5, s[0:3], 0 offen offset:8
	;; [unrolled: 1-line block ×3, first 2 shown]
	buffer_store_dword v1, off, s[0:3], 0 offset:976
	buffer_store_dword v1, off, s[0:3], 0 offset:980
	;; [unrolled: 1-line block ×4, first 2 shown]
	s_waitcnt vmcnt(0)
	ds_write_b128 v195, v[2:5]
.LBB126_283:
	s_or_b32 exec_lo, exec_lo, s4
	s_waitcnt lgkmcnt(0)
	s_waitcnt_vscnt null, 0x0
	s_barrier
	buffer_gl0_inv
	s_clause 0xb
	buffer_load_dword v6, off, s[0:3], 0 offset:1000
	buffer_load_dword v7, off, s[0:3], 0 offset:1004
	;; [unrolled: 1-line block ×12, first 2 shown]
	ds_read_b128 v[2:5], v1 offset:1984
	ds_read_b128 v[135:138], v1 offset:2000
	s_mov_b32 s4, exec_lo
	s_waitcnt vmcnt(10) lgkmcnt(1)
	v_mul_f64 v[149:150], v[4:5], v[6:7]
	v_mul_f64 v[6:7], v[2:3], v[6:7]
	s_waitcnt vmcnt(8) lgkmcnt(0)
	v_mul_f64 v[151:152], v[137:138], v[139:140]
	v_mul_f64 v[139:140], v[135:136], v[139:140]
	s_waitcnt vmcnt(6)
	v_fma_f64 v[1:2], v[2:3], v[141:142], -v[149:150]
	v_fma_f64 v[3:4], v[4:5], v[141:142], v[6:7]
	s_waitcnt vmcnt(4)
	v_fma_f64 v[5:6], v[135:136], v[143:144], -v[151:152]
	v_fma_f64 v[7:8], v[137:138], v[143:144], v[139:140]
	v_add_f64 v[1:2], v[1:2], 0
	v_add_f64 v[3:4], v[3:4], 0
	;; [unrolled: 1-line block ×4, first 2 shown]
	s_waitcnt vmcnt(2)
	v_add_f64 v[1:2], v[145:146], -v[1:2]
	s_waitcnt vmcnt(0)
	v_add_f64 v[3:4], v[147:148], -v[3:4]
	buffer_store_dword v1, off, s[0:3], 0 offset:976
	buffer_store_dword v2, off, s[0:3], 0 offset:980
	;; [unrolled: 1-line block ×4, first 2 shown]
	v_cmpx_lt_u32_e32 59, v0
	s_cbranch_execz .LBB126_285
; %bb.284:
	v_mov_b32_e32 v4, s17
	v_mov_b32_e32 v5, 0
	s_clause 0x3
	buffer_load_dword v1, v4, s[0:3], 0 offen
	buffer_load_dword v2, v4, s[0:3], 0 offen offset:4
	buffer_load_dword v3, v4, s[0:3], 0 offen offset:8
	;; [unrolled: 1-line block ×3, first 2 shown]
	buffer_store_dword v5, off, s[0:3], 0 offset:960
	buffer_store_dword v5, off, s[0:3], 0 offset:964
	;; [unrolled: 1-line block ×4, first 2 shown]
	s_waitcnt vmcnt(0)
	ds_write_b128 v195, v[1:4]
.LBB126_285:
	s_or_b32 exec_lo, exec_lo, s4
	s_waitcnt lgkmcnt(0)
	s_waitcnt_vscnt null, 0x0
	s_barrier
	buffer_gl0_inv
	s_clause 0xf
	buffer_load_dword v6, off, s[0:3], 0 offset:984
	buffer_load_dword v7, off, s[0:3], 0 offset:988
	;; [unrolled: 1-line block ×16, first 2 shown]
	v_mov_b32_e32 v1, 0
	ds_read_b128 v[2:5], v1 offset:1968
	ds_read_b128 v[135:138], v1 offset:1984
	;; [unrolled: 1-line block ×3, first 2 shown]
	s_mov_b32 s4, exec_lo
	s_waitcnt vmcnt(14) lgkmcnt(2)
	v_mul_f64 v[157:158], v[4:5], v[6:7]
	v_mul_f64 v[6:7], v[2:3], v[6:7]
	s_waitcnt vmcnt(12) lgkmcnt(1)
	v_mul_f64 v[159:160], v[137:138], v[143:144]
	v_mul_f64 v[143:144], v[135:136], v[143:144]
	s_waitcnt vmcnt(10)
	v_fma_f64 v[2:3], v[2:3], v[145:146], -v[157:158]
	v_fma_f64 v[4:5], v[4:5], v[145:146], v[6:7]
	s_waitcnt vmcnt(8) lgkmcnt(0)
	v_mul_f64 v[145:146], v[141:142], v[147:148]
	s_waitcnt vmcnt(6)
	v_fma_f64 v[135:136], v[135:136], v[149:150], -v[159:160]
	v_mul_f64 v[6:7], v[139:140], v[147:148]
	v_fma_f64 v[137:138], v[137:138], v[149:150], v[143:144]
	v_add_f64 v[2:3], v[2:3], 0
	v_add_f64 v[4:5], v[4:5], 0
	s_waitcnt vmcnt(4)
	v_fma_f64 v[139:140], v[139:140], v[151:152], -v[145:146]
	v_fma_f64 v[6:7], v[141:142], v[151:152], v[6:7]
	v_add_f64 v[2:3], v[2:3], v[135:136]
	v_add_f64 v[4:5], v[4:5], v[137:138]
	;; [unrolled: 1-line block ×4, first 2 shown]
	s_waitcnt vmcnt(2)
	v_add_f64 v[2:3], v[153:154], -v[2:3]
	s_waitcnt vmcnt(0)
	v_add_f64 v[4:5], v[155:156], -v[4:5]
	buffer_store_dword v2, off, s[0:3], 0 offset:960
	buffer_store_dword v3, off, s[0:3], 0 offset:964
	;; [unrolled: 1-line block ×4, first 2 shown]
	v_cmpx_lt_u32_e32 58, v0
	s_cbranch_execz .LBB126_287
; %bb.286:
	v_mov_b32_e32 v5, s18
	s_clause 0x3
	buffer_load_dword v2, v5, s[0:3], 0 offen
	buffer_load_dword v3, v5, s[0:3], 0 offen offset:4
	buffer_load_dword v4, v5, s[0:3], 0 offen offset:8
	;; [unrolled: 1-line block ×3, first 2 shown]
	buffer_store_dword v1, off, s[0:3], 0 offset:944
	buffer_store_dword v1, off, s[0:3], 0 offset:948
	;; [unrolled: 1-line block ×4, first 2 shown]
	s_waitcnt vmcnt(0)
	ds_write_b128 v195, v[2:5]
.LBB126_287:
	s_or_b32 exec_lo, exec_lo, s4
	s_waitcnt lgkmcnt(0)
	s_waitcnt_vscnt null, 0x0
	s_barrier
	buffer_gl0_inv
	s_clause 0x13
	buffer_load_dword v6, off, s[0:3], 0 offset:968
	buffer_load_dword v7, off, s[0:3], 0 offset:972
	;; [unrolled: 1-line block ×20, first 2 shown]
	ds_read_b128 v[2:5], v1 offset:1952
	ds_read_b128 v[135:138], v1 offset:1968
	;; [unrolled: 1-line block ×3, first 2 shown]
	s_mov_b32 s4, exec_lo
	s_waitcnt vmcnt(18) lgkmcnt(2)
	v_mul_f64 v[161:162], v[4:5], v[6:7]
	v_mul_f64 v[6:7], v[2:3], v[6:7]
	s_waitcnt vmcnt(16) lgkmcnt(1)
	v_mul_f64 v[163:164], v[137:138], v[143:144]
	v_mul_f64 v[143:144], v[135:136], v[143:144]
	s_waitcnt vmcnt(14)
	v_fma_f64 v[161:162], v[2:3], v[145:146], -v[161:162]
	v_fma_f64 v[5:6], v[4:5], v[145:146], v[6:7]
	s_waitcnt vmcnt(12) lgkmcnt(0)
	v_mul_f64 v[7:8], v[139:140], v[147:148]
	v_mul_f64 v[145:146], v[141:142], v[147:148]
	s_waitcnt vmcnt(10)
	v_fma_f64 v[135:136], v[135:136], v[149:150], -v[163:164]
	ds_read_b128 v[1:4], v1 offset:2000
	v_fma_f64 v[137:138], v[137:138], v[149:150], v[143:144]
	v_add_f64 v[147:148], v[161:162], 0
	v_add_f64 v[5:6], v[5:6], 0
	s_waitcnt vmcnt(6)
	v_fma_f64 v[7:8], v[141:142], v[153:154], v[7:8]
	s_waitcnt lgkmcnt(0)
	v_mul_f64 v[149:150], v[3:4], v[151:152]
	v_fma_f64 v[139:140], v[139:140], v[153:154], -v[145:146]
	v_mul_f64 v[143:144], v[1:2], v[151:152]
	v_add_f64 v[135:136], v[147:148], v[135:136]
	v_add_f64 v[5:6], v[5:6], v[137:138]
	s_waitcnt vmcnt(4)
	v_fma_f64 v[1:2], v[1:2], v[155:156], -v[149:150]
	v_fma_f64 v[3:4], v[3:4], v[155:156], v[143:144]
	v_add_f64 v[135:136], v[135:136], v[139:140]
	v_add_f64 v[5:6], v[5:6], v[7:8]
	;; [unrolled: 1-line block ×4, first 2 shown]
	s_waitcnt vmcnt(2)
	v_add_f64 v[1:2], v[157:158], -v[1:2]
	s_waitcnt vmcnt(0)
	v_add_f64 v[3:4], v[159:160], -v[3:4]
	buffer_store_dword v1, off, s[0:3], 0 offset:944
	buffer_store_dword v2, off, s[0:3], 0 offset:948
	;; [unrolled: 1-line block ×4, first 2 shown]
	v_cmpx_lt_u32_e32 57, v0
	s_cbranch_execz .LBB126_289
; %bb.288:
	v_mov_b32_e32 v4, s19
	v_mov_b32_e32 v5, 0
	s_clause 0x3
	buffer_load_dword v1, v4, s[0:3], 0 offen
	buffer_load_dword v2, v4, s[0:3], 0 offen offset:4
	buffer_load_dword v3, v4, s[0:3], 0 offen offset:8
	;; [unrolled: 1-line block ×3, first 2 shown]
	buffer_store_dword v5, off, s[0:3], 0 offset:928
	buffer_store_dword v5, off, s[0:3], 0 offset:932
	;; [unrolled: 1-line block ×4, first 2 shown]
	s_waitcnt vmcnt(0)
	ds_write_b128 v195, v[1:4]
.LBB126_289:
	s_or_b32 exec_lo, exec_lo, s4
	s_waitcnt lgkmcnt(0)
	s_waitcnt_vscnt null, 0x0
	s_barrier
	buffer_gl0_inv
	s_clause 0x17
	buffer_load_dword v6, off, s[0:3], 0 offset:952
	buffer_load_dword v7, off, s[0:3], 0 offset:956
	;; [unrolled: 1-line block ×24, first 2 shown]
	v_mov_b32_e32 v1, 0
	ds_read_b128 v[2:5], v1 offset:1936
	ds_read_b128 v[135:138], v1 offset:1952
	;; [unrolled: 1-line block ×3, first 2 shown]
	s_mov_b32 s4, exec_lo
	s_waitcnt vmcnt(22) lgkmcnt(2)
	v_mul_f64 v[165:166], v[4:5], v[6:7]
	v_mul_f64 v[6:7], v[2:3], v[6:7]
	s_waitcnt vmcnt(20) lgkmcnt(1)
	v_mul_f64 v[167:168], v[137:138], v[143:144]
	v_mul_f64 v[143:144], v[135:136], v[143:144]
	s_waitcnt vmcnt(18)
	v_fma_f64 v[165:166], v[2:3], v[145:146], -v[165:166]
	v_fma_f64 v[6:7], v[4:5], v[145:146], v[6:7]
	ds_read_b128 v[2:5], v1 offset:1984
	s_waitcnt vmcnt(16) lgkmcnt(1)
	v_mul_f64 v[145:146], v[139:140], v[147:148]
	v_mul_f64 v[147:148], v[141:142], v[147:148]
	s_waitcnt vmcnt(14)
	v_fma_f64 v[167:168], v[135:136], v[149:150], -v[167:168]
	v_fma_f64 v[143:144], v[137:138], v[149:150], v[143:144]
	ds_read_b128 v[135:138], v1 offset:2000
	s_waitcnt vmcnt(10) lgkmcnt(1)
	v_mul_f64 v[149:150], v[2:3], v[151:152]
	v_add_f64 v[165:166], v[165:166], 0
	v_add_f64 v[6:7], v[6:7], 0
	v_mul_f64 v[151:152], v[4:5], v[151:152]
	s_waitcnt vmcnt(8)
	v_fma_f64 v[139:140], v[139:140], v[157:158], -v[147:148]
	v_fma_f64 v[141:142], v[141:142], v[157:158], v[145:146]
	s_waitcnt vmcnt(7) lgkmcnt(0)
	v_mul_f64 v[145:146], v[137:138], v[153:154]
	s_waitcnt vmcnt(5)
	v_fma_f64 v[4:5], v[4:5], v[159:160], v[149:150]
	v_add_f64 v[147:148], v[165:166], v[167:168]
	v_add_f64 v[6:7], v[6:7], v[143:144]
	v_fma_f64 v[2:3], v[2:3], v[159:160], -v[151:152]
	v_mul_f64 v[143:144], v[135:136], v[153:154]
	s_waitcnt vmcnt(4)
	v_fma_f64 v[135:136], v[135:136], v[155:156], -v[145:146]
	v_add_f64 v[139:140], v[147:148], v[139:140]
	v_add_f64 v[6:7], v[6:7], v[141:142]
	v_fma_f64 v[137:138], v[137:138], v[155:156], v[143:144]
	v_add_f64 v[2:3], v[139:140], v[2:3]
	v_add_f64 v[4:5], v[6:7], v[4:5]
	;; [unrolled: 1-line block ×4, first 2 shown]
	s_waitcnt vmcnt(2)
	v_add_f64 v[2:3], v[161:162], -v[2:3]
	s_waitcnt vmcnt(0)
	v_add_f64 v[4:5], v[163:164], -v[4:5]
	buffer_store_dword v3, off, s[0:3], 0 offset:932
	buffer_store_dword v2, off, s[0:3], 0 offset:928
	;; [unrolled: 1-line block ×4, first 2 shown]
	v_cmpx_lt_u32_e32 56, v0
	s_cbranch_execz .LBB126_291
; %bb.290:
	v_mov_b32_e32 v5, s20
	s_clause 0x3
	buffer_load_dword v2, v5, s[0:3], 0 offen
	buffer_load_dword v3, v5, s[0:3], 0 offen offset:4
	buffer_load_dword v4, v5, s[0:3], 0 offen offset:8
	;; [unrolled: 1-line block ×3, first 2 shown]
	buffer_store_dword v1, off, s[0:3], 0 offset:912
	buffer_store_dword v1, off, s[0:3], 0 offset:916
	;; [unrolled: 1-line block ×4, first 2 shown]
	s_waitcnt vmcnt(0)
	ds_write_b128 v195, v[2:5]
.LBB126_291:
	s_or_b32 exec_lo, exec_lo, s4
	s_waitcnt lgkmcnt(0)
	s_waitcnt_vscnt null, 0x0
	s_barrier
	buffer_gl0_inv
	s_clause 0x1b
	buffer_load_dword v6, off, s[0:3], 0 offset:936
	buffer_load_dword v7, off, s[0:3], 0 offset:940
	;; [unrolled: 1-line block ×28, first 2 shown]
	ds_read_b128 v[2:5], v1 offset:1920
	ds_read_b128 v[135:138], v1 offset:1936
	;; [unrolled: 1-line block ×3, first 2 shown]
	s_mov_b32 s4, exec_lo
	s_waitcnt vmcnt(26) lgkmcnt(2)
	v_mul_f64 v[169:170], v[4:5], v[6:7]
	v_mul_f64 v[6:7], v[2:3], v[6:7]
	s_waitcnt vmcnt(24) lgkmcnt(1)
	v_mul_f64 v[171:172], v[137:138], v[143:144]
	v_mul_f64 v[143:144], v[135:136], v[143:144]
	s_waitcnt vmcnt(22)
	v_fma_f64 v[169:170], v[2:3], v[145:146], -v[169:170]
	v_fma_f64 v[6:7], v[4:5], v[145:146], v[6:7]
	ds_read_b128 v[2:5], v1 offset:1968
	s_waitcnt vmcnt(20) lgkmcnt(1)
	v_mul_f64 v[145:146], v[139:140], v[147:148]
	v_mul_f64 v[147:148], v[141:142], v[147:148]
	s_waitcnt vmcnt(18)
	v_fma_f64 v[171:172], v[135:136], v[149:150], -v[171:172]
	v_fma_f64 v[143:144], v[137:138], v[149:150], v[143:144]
	ds_read_b128 v[135:138], v1 offset:1984
	s_waitcnt vmcnt(14) lgkmcnt(1)
	v_mul_f64 v[149:150], v[2:3], v[151:152]
	v_add_f64 v[169:170], v[169:170], 0
	v_add_f64 v[6:7], v[6:7], 0
	v_mul_f64 v[151:152], v[4:5], v[151:152]
	s_waitcnt vmcnt(12)
	v_fma_f64 v[147:148], v[139:140], v[157:158], -v[147:148]
	v_fma_f64 v[145:146], v[141:142], v[157:158], v[145:146]
	ds_read_b128 v[139:142], v1 offset:2000
	v_add_f64 v[169:170], v[169:170], v[171:172]
	v_add_f64 v[6:7], v[6:7], v[143:144]
	s_waitcnt vmcnt(11) lgkmcnt(1)
	v_mul_f64 v[143:144], v[135:136], v[153:154]
	v_mul_f64 v[153:154], v[137:138], v[153:154]
	s_waitcnt vmcnt(9)
	v_fma_f64 v[1:2], v[2:3], v[159:160], -v[151:152]
	v_fma_f64 v[3:4], v[4:5], v[159:160], v[149:150]
	v_add_f64 v[147:148], v[169:170], v[147:148]
	v_add_f64 v[5:6], v[6:7], v[145:146]
	s_waitcnt vmcnt(7) lgkmcnt(0)
	v_mul_f64 v[145:146], v[141:142], v[161:162]
	s_waitcnt vmcnt(6)
	v_fma_f64 v[135:136], v[135:136], v[155:156], -v[153:154]
	v_mul_f64 v[7:8], v[139:140], v[161:162]
	v_fma_f64 v[137:138], v[137:138], v[155:156], v[143:144]
	v_add_f64 v[1:2], v[147:148], v[1:2]
	v_add_f64 v[3:4], v[5:6], v[3:4]
	s_waitcnt vmcnt(4)
	v_fma_f64 v[5:6], v[139:140], v[163:164], -v[145:146]
	v_fma_f64 v[7:8], v[141:142], v[163:164], v[7:8]
	v_add_f64 v[1:2], v[1:2], v[135:136]
	v_add_f64 v[3:4], v[3:4], v[137:138]
	;; [unrolled: 1-line block ×4, first 2 shown]
	s_waitcnt vmcnt(2)
	v_add_f64 v[1:2], v[165:166], -v[1:2]
	s_waitcnt vmcnt(0)
	v_add_f64 v[3:4], v[167:168], -v[3:4]
	buffer_store_dword v2, off, s[0:3], 0 offset:916
	buffer_store_dword v1, off, s[0:3], 0 offset:912
	;; [unrolled: 1-line block ×4, first 2 shown]
	v_cmpx_lt_u32_e32 55, v0
	s_cbranch_execz .LBB126_293
; %bb.292:
	v_mov_b32_e32 v4, s21
	v_mov_b32_e32 v5, 0
	s_clause 0x3
	buffer_load_dword v1, v4, s[0:3], 0 offen
	buffer_load_dword v2, v4, s[0:3], 0 offen offset:4
	buffer_load_dword v3, v4, s[0:3], 0 offen offset:8
	;; [unrolled: 1-line block ×3, first 2 shown]
	buffer_store_dword v5, off, s[0:3], 0 offset:896
	buffer_store_dword v5, off, s[0:3], 0 offset:900
	;; [unrolled: 1-line block ×4, first 2 shown]
	s_waitcnt vmcnt(0)
	ds_write_b128 v195, v[1:4]
.LBB126_293:
	s_or_b32 exec_lo, exec_lo, s4
	s_waitcnt lgkmcnt(0)
	s_waitcnt_vscnt null, 0x0
	s_barrier
	buffer_gl0_inv
	s_clause 0x1f
	buffer_load_dword v6, off, s[0:3], 0 offset:920
	buffer_load_dword v7, off, s[0:3], 0 offset:924
	;; [unrolled: 1-line block ×32, first 2 shown]
	v_mov_b32_e32 v1, 0
	ds_read_b128 v[2:5], v1 offset:1904
	ds_read_b128 v[135:138], v1 offset:1920
	;; [unrolled: 1-line block ×3, first 2 shown]
	s_mov_b32 s4, exec_lo
	s_waitcnt vmcnt(30) lgkmcnt(2)
	v_mul_f64 v[173:174], v[4:5], v[6:7]
	v_mul_f64 v[6:7], v[2:3], v[6:7]
	s_waitcnt vmcnt(28) lgkmcnt(1)
	v_mul_f64 v[175:176], v[137:138], v[143:144]
	v_mul_f64 v[143:144], v[135:136], v[143:144]
	s_waitcnt vmcnt(26)
	v_fma_f64 v[173:174], v[2:3], v[145:146], -v[173:174]
	v_fma_f64 v[6:7], v[4:5], v[145:146], v[6:7]
	ds_read_b128 v[2:5], v1 offset:1952
	s_waitcnt vmcnt(24) lgkmcnt(1)
	v_mul_f64 v[145:146], v[139:140], v[147:148]
	v_mul_f64 v[147:148], v[141:142], v[147:148]
	s_waitcnt vmcnt(22)
	v_fma_f64 v[175:176], v[135:136], v[149:150], -v[175:176]
	v_fma_f64 v[143:144], v[137:138], v[149:150], v[143:144]
	ds_read_b128 v[135:138], v1 offset:1968
	s_waitcnt vmcnt(18) lgkmcnt(1)
	v_mul_f64 v[149:150], v[2:3], v[151:152]
	v_add_f64 v[173:174], v[173:174], 0
	v_add_f64 v[6:7], v[6:7], 0
	v_mul_f64 v[151:152], v[4:5], v[151:152]
	s_waitcnt vmcnt(16)
	v_fma_f64 v[147:148], v[139:140], v[157:158], -v[147:148]
	v_fma_f64 v[145:146], v[141:142], v[157:158], v[145:146]
	ds_read_b128 v[139:142], v1 offset:1984
	s_waitcnt vmcnt(13)
	v_fma_f64 v[149:150], v[4:5], v[159:160], v[149:150]
	v_add_f64 v[173:174], v[173:174], v[175:176]
	v_add_f64 v[6:7], v[6:7], v[143:144]
	s_waitcnt lgkmcnt(1)
	v_mul_f64 v[143:144], v[135:136], v[153:154]
	v_mul_f64 v[153:154], v[137:138], v[153:154]
	v_fma_f64 v[151:152], v[2:3], v[159:160], -v[151:152]
	s_waitcnt vmcnt(9) lgkmcnt(0)
	v_mul_f64 v[157:158], v[141:142], v[161:162]
	ds_read_b128 v[2:5], v1 offset:2000
	v_add_f64 v[147:148], v[173:174], v[147:148]
	v_add_f64 v[6:7], v[6:7], v[145:146]
	v_mul_f64 v[145:146], v[139:140], v[161:162]
	s_waitcnt vmcnt(8)
	v_fma_f64 v[135:136], v[135:136], v[155:156], -v[153:154]
	v_fma_f64 v[137:138], v[137:138], v[155:156], v[143:144]
	s_waitcnt vmcnt(5)
	v_fma_f64 v[139:140], v[139:140], v[167:168], -v[157:158]
	s_waitcnt lgkmcnt(0)
	v_mul_f64 v[143:144], v[2:3], v[163:164]
	v_add_f64 v[147:148], v[147:148], v[151:152]
	v_add_f64 v[6:7], v[6:7], v[149:150]
	v_mul_f64 v[149:150], v[4:5], v[163:164]
	v_fma_f64 v[141:142], v[141:142], v[167:168], v[145:146]
	s_waitcnt vmcnt(4)
	v_fma_f64 v[4:5], v[4:5], v[165:166], v[143:144]
	v_add_f64 v[135:136], v[147:148], v[135:136]
	v_add_f64 v[6:7], v[6:7], v[137:138]
	v_fma_f64 v[2:3], v[2:3], v[165:166], -v[149:150]
	v_add_f64 v[135:136], v[135:136], v[139:140]
	v_add_f64 v[6:7], v[6:7], v[141:142]
	;; [unrolled: 1-line block ×4, first 2 shown]
	s_waitcnt vmcnt(2)
	v_add_f64 v[2:3], v[169:170], -v[2:3]
	s_waitcnt vmcnt(0)
	v_add_f64 v[4:5], v[171:172], -v[4:5]
	buffer_store_dword v3, off, s[0:3], 0 offset:900
	buffer_store_dword v2, off, s[0:3], 0 offset:896
	;; [unrolled: 1-line block ×4, first 2 shown]
	v_cmpx_lt_u32_e32 54, v0
	s_cbranch_execz .LBB126_295
; %bb.294:
	v_mov_b32_e32 v5, s22
	s_clause 0x3
	buffer_load_dword v2, v5, s[0:3], 0 offen
	buffer_load_dword v3, v5, s[0:3], 0 offen offset:4
	buffer_load_dword v4, v5, s[0:3], 0 offen offset:8
	buffer_load_dword v5, v5, s[0:3], 0 offen offset:12
	buffer_store_dword v1, off, s[0:3], 0 offset:880
	buffer_store_dword v1, off, s[0:3], 0 offset:884
	;; [unrolled: 1-line block ×4, first 2 shown]
	s_waitcnt vmcnt(0)
	ds_write_b128 v195, v[2:5]
.LBB126_295:
	s_or_b32 exec_lo, exec_lo, s4
	s_waitcnt lgkmcnt(0)
	s_waitcnt_vscnt null, 0x0
	s_barrier
	buffer_gl0_inv
	s_clause 0x23
	buffer_load_dword v6, off, s[0:3], 0 offset:904
	buffer_load_dword v7, off, s[0:3], 0 offset:908
	buffer_load_dword v143, off, s[0:3], 0 offset:920
	buffer_load_dword v144, off, s[0:3], 0 offset:924
	buffer_load_dword v145, off, s[0:3], 0 offset:896
	buffer_load_dword v146, off, s[0:3], 0 offset:900
	buffer_load_dword v147, off, s[0:3], 0 offset:936
	buffer_load_dword v148, off, s[0:3], 0 offset:940
	buffer_load_dword v149, off, s[0:3], 0 offset:912
	buffer_load_dword v150, off, s[0:3], 0 offset:916
	buffer_load_dword v152, off, s[0:3], 0 offset:956
	buffer_load_dword v153, off, s[0:3], 0 offset:968
	buffer_load_dword v155, off, s[0:3], 0 offset:960
	buffer_load_dword v151, off, s[0:3], 0 offset:952
	buffer_load_dword v157, off, s[0:3], 0 offset:928
	buffer_load_dword v158, off, s[0:3], 0 offset:932
	buffer_load_dword v154, off, s[0:3], 0 offset:972
	buffer_load_dword v160, off, s[0:3], 0 offset:948
	buffer_load_dword v159, off, s[0:3], 0 offset:944
	buffer_load_dword v162, off, s[0:3], 0 offset:988
	buffer_load_dword v163, off, s[0:3], 0 offset:1000
	buffer_load_dword v165, off, s[0:3], 0 offset:992
	buffer_load_dword v161, off, s[0:3], 0 offset:984
	buffer_load_dword v156, off, s[0:3], 0 offset:964
	buffer_load_dword v164, off, s[0:3], 0 offset:1004
	buffer_load_dword v168, off, s[0:3], 0 offset:980
	buffer_load_dword v167, off, s[0:3], 0 offset:976
	buffer_load_dword v170, off, s[0:3], 0 offset:1020
	buffer_load_dword v169, off, s[0:3], 0 offset:1016
	buffer_load_dword v166, off, s[0:3], 0 offset:996
	buffer_load_dword v172, off, s[0:3], 0 offset:1012
	buffer_load_dword v171, off, s[0:3], 0 offset:1008
	buffer_load_dword v173, off, s[0:3], 0 offset:880
	buffer_load_dword v174, off, s[0:3], 0 offset:884
	buffer_load_dword v175, off, s[0:3], 0 offset:888
	buffer_load_dword v176, off, s[0:3], 0 offset:892
	ds_read_b128 v[2:5], v1 offset:1888
	ds_read_b128 v[135:138], v1 offset:1904
	;; [unrolled: 1-line block ×3, first 2 shown]
	s_mov_b32 s4, exec_lo
	s_waitcnt vmcnt(34) lgkmcnt(2)
	v_mul_f64 v[177:178], v[4:5], v[6:7]
	v_mul_f64 v[6:7], v[2:3], v[6:7]
	s_waitcnt vmcnt(32) lgkmcnt(1)
	v_mul_f64 v[179:180], v[137:138], v[143:144]
	v_mul_f64 v[143:144], v[135:136], v[143:144]
	s_waitcnt vmcnt(30)
	v_fma_f64 v[177:178], v[2:3], v[145:146], -v[177:178]
	v_fma_f64 v[6:7], v[4:5], v[145:146], v[6:7]
	ds_read_b128 v[2:5], v1 offset:1936
	s_waitcnt vmcnt(28) lgkmcnt(1)
	v_mul_f64 v[145:146], v[139:140], v[147:148]
	v_mul_f64 v[147:148], v[141:142], v[147:148]
	s_waitcnt vmcnt(26)
	v_fma_f64 v[179:180], v[135:136], v[149:150], -v[179:180]
	v_fma_f64 v[143:144], v[137:138], v[149:150], v[143:144]
	ds_read_b128 v[135:138], v1 offset:1952
	s_waitcnt vmcnt(22) lgkmcnt(1)
	v_mul_f64 v[149:150], v[2:3], v[151:152]
	v_add_f64 v[177:178], v[177:178], 0
	v_add_f64 v[6:7], v[6:7], 0
	v_mul_f64 v[151:152], v[4:5], v[151:152]
	s_waitcnt vmcnt(20)
	v_fma_f64 v[147:148], v[139:140], v[157:158], -v[147:148]
	v_fma_f64 v[145:146], v[141:142], v[157:158], v[145:146]
	ds_read_b128 v[139:142], v1 offset:1968
	s_waitcnt vmcnt(17)
	v_fma_f64 v[149:150], v[4:5], v[159:160], v[149:150]
	v_add_f64 v[177:178], v[177:178], v[179:180]
	v_add_f64 v[6:7], v[6:7], v[143:144]
	s_waitcnt lgkmcnt(1)
	v_mul_f64 v[143:144], v[135:136], v[153:154]
	v_mul_f64 v[153:154], v[137:138], v[153:154]
	v_fma_f64 v[151:152], v[2:3], v[159:160], -v[151:152]
	s_waitcnt vmcnt(13) lgkmcnt(0)
	v_mul_f64 v[157:158], v[141:142], v[161:162]
	ds_read_b128 v[2:5], v1 offset:1984
	v_add_f64 v[147:148], v[177:178], v[147:148]
	v_add_f64 v[6:7], v[6:7], v[145:146]
	v_mul_f64 v[145:146], v[139:140], v[161:162]
	s_waitcnt vmcnt(12)
	v_fma_f64 v[153:154], v[135:136], v[155:156], -v[153:154]
	v_fma_f64 v[143:144], v[137:138], v[155:156], v[143:144]
	ds_read_b128 v[135:138], v1 offset:2000
	s_waitcnt vmcnt(9)
	v_fma_f64 v[139:140], v[139:140], v[167:168], -v[157:158]
	v_add_f64 v[147:148], v[147:148], v[151:152]
	v_add_f64 v[6:7], v[6:7], v[149:150]
	s_waitcnt lgkmcnt(1)
	v_mul_f64 v[151:152], v[4:5], v[163:164]
	v_mul_f64 v[149:150], v[2:3], v[163:164]
	v_fma_f64 v[141:142], v[141:142], v[167:168], v[145:146]
	s_waitcnt vmcnt(7) lgkmcnt(0)
	v_mul_f64 v[145:146], v[137:138], v[169:170]
	v_add_f64 v[147:148], v[147:148], v[153:154]
	v_add_f64 v[6:7], v[6:7], v[143:144]
	s_waitcnt vmcnt(6)
	v_fma_f64 v[1:2], v[2:3], v[165:166], -v[151:152]
	v_mul_f64 v[143:144], v[135:136], v[169:170]
	v_fma_f64 v[3:4], v[4:5], v[165:166], v[149:150]
	v_add_f64 v[139:140], v[147:148], v[139:140]
	v_add_f64 v[5:6], v[6:7], v[141:142]
	s_waitcnt vmcnt(4)
	v_fma_f64 v[7:8], v[135:136], v[171:172], -v[145:146]
	v_fma_f64 v[135:136], v[137:138], v[171:172], v[143:144]
	v_add_f64 v[1:2], v[139:140], v[1:2]
	v_add_f64 v[3:4], v[5:6], v[3:4]
	;; [unrolled: 1-line block ×4, first 2 shown]
	s_waitcnt vmcnt(2)
	v_add_f64 v[1:2], v[173:174], -v[1:2]
	s_waitcnt vmcnt(0)
	v_add_f64 v[3:4], v[175:176], -v[3:4]
	buffer_store_dword v2, off, s[0:3], 0 offset:884
	buffer_store_dword v1, off, s[0:3], 0 offset:880
	;; [unrolled: 1-line block ×4, first 2 shown]
	v_cmpx_lt_u32_e32 53, v0
	s_cbranch_execz .LBB126_297
; %bb.296:
	v_mov_b32_e32 v4, s23
	v_mov_b32_e32 v5, 0
	s_clause 0x3
	buffer_load_dword v1, v4, s[0:3], 0 offen
	buffer_load_dword v2, v4, s[0:3], 0 offen offset:4
	buffer_load_dword v3, v4, s[0:3], 0 offen offset:8
	;; [unrolled: 1-line block ×3, first 2 shown]
	buffer_store_dword v5, off, s[0:3], 0 offset:864
	buffer_store_dword v5, off, s[0:3], 0 offset:868
	;; [unrolled: 1-line block ×4, first 2 shown]
	s_waitcnt vmcnt(0)
	ds_write_b128 v195, v[1:4]
.LBB126_297:
	s_or_b32 exec_lo, exec_lo, s4
	s_waitcnt lgkmcnt(0)
	s_waitcnt_vscnt null, 0x0
	s_barrier
	buffer_gl0_inv
	s_clause 0x27
	buffer_load_dword v6, off, s[0:3], 0 offset:888
	buffer_load_dword v7, off, s[0:3], 0 offset:892
	buffer_load_dword v143, off, s[0:3], 0 offset:904
	buffer_load_dword v144, off, s[0:3], 0 offset:908
	buffer_load_dword v145, off, s[0:3], 0 offset:880
	buffer_load_dword v146, off, s[0:3], 0 offset:884
	buffer_load_dword v147, off, s[0:3], 0 offset:920
	buffer_load_dword v148, off, s[0:3], 0 offset:924
	buffer_load_dword v149, off, s[0:3], 0 offset:896
	buffer_load_dword v150, off, s[0:3], 0 offset:900
	buffer_load_dword v152, off, s[0:3], 0 offset:940
	buffer_load_dword v153, off, s[0:3], 0 offset:952
	buffer_load_dword v155, off, s[0:3], 0 offset:944
	buffer_load_dword v151, off, s[0:3], 0 offset:936
	buffer_load_dword v157, off, s[0:3], 0 offset:912
	buffer_load_dword v158, off, s[0:3], 0 offset:916
	buffer_load_dword v154, off, s[0:3], 0 offset:956
	buffer_load_dword v160, off, s[0:3], 0 offset:932
	buffer_load_dword v159, off, s[0:3], 0 offset:928
	buffer_load_dword v162, off, s[0:3], 0 offset:972
	buffer_load_dword v163, off, s[0:3], 0 offset:984
	buffer_load_dword v165, off, s[0:3], 0 offset:976
	buffer_load_dword v161, off, s[0:3], 0 offset:968
	buffer_load_dword v156, off, s[0:3], 0 offset:948
	buffer_load_dword v164, off, s[0:3], 0 offset:988
	buffer_load_dword v168, off, s[0:3], 0 offset:964
	buffer_load_dword v167, off, s[0:3], 0 offset:960
	buffer_load_dword v170, off, s[0:3], 0 offset:1004
	buffer_load_dword v171, off, s[0:3], 0 offset:1016
	buffer_load_dword v173, off, s[0:3], 0 offset:1008
	buffer_load_dword v169, off, s[0:3], 0 offset:1000
	buffer_load_dword v166, off, s[0:3], 0 offset:980
	buffer_load_dword v172, off, s[0:3], 0 offset:1020
	buffer_load_dword v176, off, s[0:3], 0 offset:996
	buffer_load_dword v175, off, s[0:3], 0 offset:992
	buffer_load_dword v174, off, s[0:3], 0 offset:1012
	buffer_load_dword v177, off, s[0:3], 0 offset:864
	buffer_load_dword v178, off, s[0:3], 0 offset:868
	buffer_load_dword v179, off, s[0:3], 0 offset:872
	buffer_load_dword v180, off, s[0:3], 0 offset:876
	v_mov_b32_e32 v1, 0
	ds_read_b128 v[2:5], v1 offset:1872
	ds_read_b128 v[135:138], v1 offset:1888
	;; [unrolled: 1-line block ×3, first 2 shown]
	s_mov_b32 s4, exec_lo
	s_waitcnt vmcnt(38) lgkmcnt(2)
	v_mul_f64 v[181:182], v[4:5], v[6:7]
	v_mul_f64 v[6:7], v[2:3], v[6:7]
	s_waitcnt vmcnt(36) lgkmcnt(1)
	v_mul_f64 v[183:184], v[137:138], v[143:144]
	v_mul_f64 v[143:144], v[135:136], v[143:144]
	s_waitcnt vmcnt(34)
	v_fma_f64 v[181:182], v[2:3], v[145:146], -v[181:182]
	v_fma_f64 v[6:7], v[4:5], v[145:146], v[6:7]
	ds_read_b128 v[2:5], v1 offset:1920
	s_waitcnt vmcnt(32) lgkmcnt(1)
	v_mul_f64 v[145:146], v[139:140], v[147:148]
	v_mul_f64 v[147:148], v[141:142], v[147:148]
	s_waitcnt vmcnt(30)
	v_fma_f64 v[183:184], v[135:136], v[149:150], -v[183:184]
	v_fma_f64 v[143:144], v[137:138], v[149:150], v[143:144]
	ds_read_b128 v[135:138], v1 offset:1936
	s_waitcnt vmcnt(26) lgkmcnt(1)
	v_mul_f64 v[149:150], v[2:3], v[151:152]
	v_add_f64 v[181:182], v[181:182], 0
	v_add_f64 v[6:7], v[6:7], 0
	v_mul_f64 v[151:152], v[4:5], v[151:152]
	s_waitcnt vmcnt(24)
	v_fma_f64 v[147:148], v[139:140], v[157:158], -v[147:148]
	v_fma_f64 v[145:146], v[141:142], v[157:158], v[145:146]
	ds_read_b128 v[139:142], v1 offset:1952
	s_waitcnt vmcnt(21)
	v_fma_f64 v[149:150], v[4:5], v[159:160], v[149:150]
	v_add_f64 v[181:182], v[181:182], v[183:184]
	v_add_f64 v[6:7], v[6:7], v[143:144]
	s_waitcnt lgkmcnt(1)
	v_mul_f64 v[143:144], v[135:136], v[153:154]
	v_mul_f64 v[153:154], v[137:138], v[153:154]
	v_fma_f64 v[151:152], v[2:3], v[159:160], -v[151:152]
	s_waitcnt vmcnt(17) lgkmcnt(0)
	v_mul_f64 v[157:158], v[141:142], v[161:162]
	ds_read_b128 v[2:5], v1 offset:1968
	v_add_f64 v[147:148], v[181:182], v[147:148]
	v_add_f64 v[6:7], v[6:7], v[145:146]
	v_mul_f64 v[145:146], v[139:140], v[161:162]
	s_waitcnt vmcnt(16)
	v_fma_f64 v[153:154], v[135:136], v[155:156], -v[153:154]
	v_fma_f64 v[143:144], v[137:138], v[155:156], v[143:144]
	ds_read_b128 v[135:138], v1 offset:1984
	s_waitcnt vmcnt(13)
	v_fma_f64 v[155:156], v[139:140], v[167:168], -v[157:158]
	v_add_f64 v[147:148], v[147:148], v[151:152]
	v_add_f64 v[6:7], v[6:7], v[149:150]
	s_waitcnt lgkmcnt(1)
	v_mul_f64 v[151:152], v[4:5], v[163:164]
	v_mul_f64 v[149:150], v[2:3], v[163:164]
	v_fma_f64 v[145:146], v[141:142], v[167:168], v[145:146]
	ds_read_b128 v[139:142], v1 offset:2000
	v_add_f64 v[147:148], v[147:148], v[153:154]
	v_add_f64 v[6:7], v[6:7], v[143:144]
	s_waitcnt vmcnt(9) lgkmcnt(1)
	v_mul_f64 v[153:154], v[137:138], v[169:170]
	s_waitcnt vmcnt(8)
	v_fma_f64 v[2:3], v[2:3], v[165:166], -v[151:152]
	v_mul_f64 v[143:144], v[135:136], v[169:170]
	v_fma_f64 v[4:5], v[4:5], v[165:166], v[149:150]
	s_waitcnt vmcnt(7) lgkmcnt(0)
	v_mul_f64 v[149:150], v[141:142], v[171:172]
	v_add_f64 v[147:148], v[147:148], v[155:156]
	v_add_f64 v[6:7], v[6:7], v[145:146]
	s_waitcnt vmcnt(5)
	v_fma_f64 v[135:136], v[135:136], v[175:176], -v[153:154]
	v_mul_f64 v[145:146], v[139:140], v[171:172]
	v_fma_f64 v[137:138], v[137:138], v[175:176], v[143:144]
	v_add_f64 v[2:3], v[147:148], v[2:3]
	v_add_f64 v[4:5], v[6:7], v[4:5]
	s_waitcnt vmcnt(4)
	v_fma_f64 v[6:7], v[139:140], v[173:174], -v[149:150]
	v_add_f64 v[2:3], v[2:3], v[135:136]
	v_fma_f64 v[135:136], v[141:142], v[173:174], v[145:146]
	v_add_f64 v[4:5], v[4:5], v[137:138]
	v_add_f64 v[2:3], v[2:3], v[6:7]
	;; [unrolled: 1-line block ×3, first 2 shown]
	s_waitcnt vmcnt(2)
	v_add_f64 v[2:3], v[177:178], -v[2:3]
	s_waitcnt vmcnt(0)
	v_add_f64 v[4:5], v[179:180], -v[4:5]
	buffer_store_dword v3, off, s[0:3], 0 offset:868
	buffer_store_dword v2, off, s[0:3], 0 offset:864
	;; [unrolled: 1-line block ×4, first 2 shown]
	v_cmpx_lt_u32_e32 52, v0
	s_cbranch_execz .LBB126_299
; %bb.298:
	v_mov_b32_e32 v5, s24
	s_clause 0x3
	buffer_load_dword v2, v5, s[0:3], 0 offen
	buffer_load_dword v3, v5, s[0:3], 0 offen offset:4
	buffer_load_dword v4, v5, s[0:3], 0 offen offset:8
	;; [unrolled: 1-line block ×3, first 2 shown]
	buffer_store_dword v1, off, s[0:3], 0 offset:848
	buffer_store_dword v1, off, s[0:3], 0 offset:852
	;; [unrolled: 1-line block ×4, first 2 shown]
	s_waitcnt vmcnt(0)
	ds_write_b128 v195, v[2:5]
.LBB126_299:
	s_or_b32 exec_lo, exec_lo, s4
	s_waitcnt lgkmcnt(0)
	s_waitcnt_vscnt null, 0x0
	s_barrier
	buffer_gl0_inv
	s_clause 0x2b
	buffer_load_dword v6, off, s[0:3], 0 offset:872
	buffer_load_dword v7, off, s[0:3], 0 offset:876
	;; [unrolled: 1-line block ×44, first 2 shown]
	ds_read_b128 v[2:5], v1 offset:1856
	ds_read_b128 v[135:138], v1 offset:1872
	;; [unrolled: 1-line block ×3, first 2 shown]
	s_mov_b32 s4, exec_lo
	s_waitcnt vmcnt(42) lgkmcnt(2)
	v_mul_f64 v[185:186], v[4:5], v[6:7]
	v_mul_f64 v[6:7], v[2:3], v[6:7]
	s_waitcnt vmcnt(40) lgkmcnt(1)
	v_mul_f64 v[187:188], v[137:138], v[143:144]
	v_mul_f64 v[143:144], v[135:136], v[143:144]
	s_waitcnt vmcnt(38)
	v_fma_f64 v[185:186], v[2:3], v[145:146], -v[185:186]
	v_fma_f64 v[6:7], v[4:5], v[145:146], v[6:7]
	ds_read_b128 v[2:5], v1 offset:1904
	s_waitcnt vmcnt(36) lgkmcnt(1)
	v_mul_f64 v[145:146], v[139:140], v[147:148]
	v_mul_f64 v[147:148], v[141:142], v[147:148]
	s_waitcnt vmcnt(34)
	v_fma_f64 v[187:188], v[135:136], v[149:150], -v[187:188]
	v_fma_f64 v[143:144], v[137:138], v[149:150], v[143:144]
	ds_read_b128 v[135:138], v1 offset:1920
	s_waitcnt vmcnt(30) lgkmcnt(1)
	v_mul_f64 v[149:150], v[2:3], v[151:152]
	v_add_f64 v[185:186], v[185:186], 0
	v_add_f64 v[6:7], v[6:7], 0
	v_mul_f64 v[151:152], v[4:5], v[151:152]
	s_waitcnt vmcnt(28)
	v_fma_f64 v[147:148], v[139:140], v[157:158], -v[147:148]
	v_fma_f64 v[145:146], v[141:142], v[157:158], v[145:146]
	ds_read_b128 v[139:142], v1 offset:1936
	s_waitcnt vmcnt(25)
	v_fma_f64 v[149:150], v[4:5], v[159:160], v[149:150]
	v_add_f64 v[185:186], v[185:186], v[187:188]
	v_add_f64 v[6:7], v[6:7], v[143:144]
	s_waitcnt lgkmcnt(1)
	v_mul_f64 v[143:144], v[135:136], v[153:154]
	v_mul_f64 v[153:154], v[137:138], v[153:154]
	v_fma_f64 v[151:152], v[2:3], v[159:160], -v[151:152]
	s_waitcnt vmcnt(21) lgkmcnt(0)
	v_mul_f64 v[157:158], v[141:142], v[161:162]
	ds_read_b128 v[2:5], v1 offset:1952
	v_add_f64 v[147:148], v[185:186], v[147:148]
	v_add_f64 v[6:7], v[6:7], v[145:146]
	v_mul_f64 v[145:146], v[139:140], v[161:162]
	s_waitcnt vmcnt(20)
	v_fma_f64 v[153:154], v[135:136], v[155:156], -v[153:154]
	v_fma_f64 v[143:144], v[137:138], v[155:156], v[143:144]
	ds_read_b128 v[135:138], v1 offset:1968
	s_waitcnt vmcnt(17)
	v_fma_f64 v[155:156], v[139:140], v[167:168], -v[157:158]
	v_add_f64 v[147:148], v[147:148], v[151:152]
	v_add_f64 v[6:7], v[6:7], v[149:150]
	s_waitcnt lgkmcnt(1)
	v_mul_f64 v[151:152], v[4:5], v[163:164]
	v_mul_f64 v[149:150], v[2:3], v[163:164]
	v_fma_f64 v[145:146], v[141:142], v[167:168], v[145:146]
	ds_read_b128 v[139:142], v1 offset:1984
	v_add_f64 v[147:148], v[147:148], v[153:154]
	v_add_f64 v[6:7], v[6:7], v[143:144]
	s_waitcnt vmcnt(13) lgkmcnt(1)
	v_mul_f64 v[153:154], v[137:138], v[169:170]
	s_waitcnt vmcnt(12)
	v_fma_f64 v[151:152], v[2:3], v[165:166], -v[151:152]
	v_mul_f64 v[143:144], v[135:136], v[169:170]
	v_fma_f64 v[149:150], v[4:5], v[165:166], v[149:150]
	ds_read_b128 v[1:4], v1 offset:2000
	v_add_f64 v[147:148], v[147:148], v[155:156]
	v_add_f64 v[5:6], v[6:7], v[145:146]
	s_waitcnt vmcnt(11) lgkmcnt(1)
	v_mul_f64 v[145:146], v[141:142], v[171:172]
	s_waitcnt vmcnt(9)
	v_fma_f64 v[135:136], v[135:136], v[175:176], -v[153:154]
	v_mul_f64 v[7:8], v[139:140], v[171:172]
	v_fma_f64 v[137:138], v[137:138], v[175:176], v[143:144]
	s_waitcnt vmcnt(7) lgkmcnt(0)
	v_mul_f64 v[143:144], v[1:2], v[177:178]
	v_add_f64 v[147:148], v[147:148], v[151:152]
	v_add_f64 v[5:6], v[5:6], v[149:150]
	v_mul_f64 v[149:150], v[3:4], v[177:178]
	s_waitcnt vmcnt(6)
	v_fma_f64 v[139:140], v[139:140], v[173:174], -v[145:146]
	v_fma_f64 v[7:8], v[141:142], v[173:174], v[7:8]
	s_waitcnt vmcnt(4)
	v_fma_f64 v[3:4], v[3:4], v[179:180], v[143:144]
	v_add_f64 v[135:136], v[147:148], v[135:136]
	v_add_f64 v[5:6], v[5:6], v[137:138]
	v_fma_f64 v[1:2], v[1:2], v[179:180], -v[149:150]
	v_add_f64 v[135:136], v[135:136], v[139:140]
	v_add_f64 v[5:6], v[5:6], v[7:8]
	;; [unrolled: 1-line block ×4, first 2 shown]
	s_waitcnt vmcnt(2)
	v_add_f64 v[1:2], v[181:182], -v[1:2]
	s_waitcnt vmcnt(0)
	v_add_f64 v[3:4], v[183:184], -v[3:4]
	buffer_store_dword v2, off, s[0:3], 0 offset:852
	buffer_store_dword v1, off, s[0:3], 0 offset:848
	;; [unrolled: 1-line block ×4, first 2 shown]
	v_cmpx_lt_u32_e32 51, v0
	s_cbranch_execz .LBB126_301
; %bb.300:
	v_mov_b32_e32 v4, s25
	v_mov_b32_e32 v5, 0
	s_clause 0x3
	buffer_load_dword v1, v4, s[0:3], 0 offen
	buffer_load_dword v2, v4, s[0:3], 0 offen offset:4
	buffer_load_dword v3, v4, s[0:3], 0 offen offset:8
	;; [unrolled: 1-line block ×3, first 2 shown]
	buffer_store_dword v5, off, s[0:3], 0 offset:832
	buffer_store_dword v5, off, s[0:3], 0 offset:836
	;; [unrolled: 1-line block ×4, first 2 shown]
	s_waitcnt vmcnt(0)
	ds_write_b128 v195, v[1:4]
.LBB126_301:
	s_or_b32 exec_lo, exec_lo, s4
	s_waitcnt lgkmcnt(0)
	s_waitcnt_vscnt null, 0x0
	s_barrier
	buffer_gl0_inv
	s_clause 0x2f
	buffer_load_dword v6, off, s[0:3], 0 offset:856
	buffer_load_dword v7, off, s[0:3], 0 offset:860
	;; [unrolled: 1-line block ×48, first 2 shown]
	v_mov_b32_e32 v1, 0
	s_mov_b32 s4, exec_lo
	ds_read_b128 v[2:5], v1 offset:1840
	ds_read_b128 v[135:138], v1 offset:1856
	;; [unrolled: 1-line block ×3, first 2 shown]
	s_waitcnt vmcnt(46) lgkmcnt(2)
	v_mul_f64 v[189:190], v[4:5], v[6:7]
	v_mul_f64 v[6:7], v[2:3], v[6:7]
	s_waitcnt vmcnt(44) lgkmcnt(1)
	v_mul_f64 v[191:192], v[137:138], v[143:144]
	v_mul_f64 v[143:144], v[135:136], v[143:144]
	s_waitcnt vmcnt(42)
	v_fma_f64 v[189:190], v[2:3], v[145:146], -v[189:190]
	v_fma_f64 v[6:7], v[4:5], v[145:146], v[6:7]
	ds_read_b128 v[2:5], v1 offset:1888
	s_waitcnt vmcnt(40) lgkmcnt(1)
	v_mul_f64 v[145:146], v[139:140], v[147:148]
	v_mul_f64 v[147:148], v[141:142], v[147:148]
	s_waitcnt vmcnt(38)
	v_fma_f64 v[191:192], v[135:136], v[149:150], -v[191:192]
	v_fma_f64 v[143:144], v[137:138], v[149:150], v[143:144]
	ds_read_b128 v[135:138], v1 offset:1904
	s_waitcnt vmcnt(36) lgkmcnt(1)
	v_mul_f64 v[149:150], v[2:3], v[151:152]
	v_add_f64 v[189:190], v[189:190], 0
	v_add_f64 v[6:7], v[6:7], 0
	v_mul_f64 v[151:152], v[4:5], v[151:152]
	s_waitcnt vmcnt(34)
	v_fma_f64 v[147:148], v[139:140], v[153:154], -v[147:148]
	v_fma_f64 v[145:146], v[141:142], v[153:154], v[145:146]
	ds_read_b128 v[139:142], v1 offset:1920
	s_waitcnt vmcnt(32) lgkmcnt(1)
	v_mul_f64 v[153:154], v[137:138], v[155:156]
	s_waitcnt vmcnt(30)
	v_fma_f64 v[149:150], v[4:5], v[157:158], v[149:150]
	v_add_f64 v[189:190], v[189:190], v[191:192]
	v_add_f64 v[6:7], v[6:7], v[143:144]
	v_fma_f64 v[151:152], v[2:3], v[157:158], -v[151:152]
	v_mul_f64 v[143:144], v[135:136], v[155:156]
	s_waitcnt vmcnt(28) lgkmcnt(0)
	v_mul_f64 v[155:156], v[141:142], v[159:160]
	ds_read_b128 v[2:5], v1 offset:1936
	s_waitcnt vmcnt(26)
	v_fma_f64 v[153:154], v[135:136], v[161:162], -v[153:154]
	v_add_f64 v[147:148], v[189:190], v[147:148]
	v_add_f64 v[6:7], v[6:7], v[145:146]
	v_mul_f64 v[145:146], v[139:140], v[159:160]
	v_fma_f64 v[143:144], v[137:138], v[161:162], v[143:144]
	ds_read_b128 v[135:138], v1 offset:1952
	s_waitcnt vmcnt(22)
	v_fma_f64 v[155:156], v[139:140], v[165:166], -v[155:156]
	v_add_f64 v[147:148], v[147:148], v[151:152]
	v_add_f64 v[6:7], v[6:7], v[149:150]
	s_waitcnt lgkmcnt(1)
	v_mul_f64 v[151:152], v[4:5], v[163:164]
	v_mul_f64 v[149:150], v[2:3], v[163:164]
	v_fma_f64 v[145:146], v[141:142], v[165:166], v[145:146]
	ds_read_b128 v[139:142], v1 offset:1968
	v_add_f64 v[147:148], v[147:148], v[153:154]
	v_add_f64 v[6:7], v[6:7], v[143:144]
	s_waitcnt vmcnt(20) lgkmcnt(1)
	v_mul_f64 v[153:154], v[137:138], v[167:168]
	s_waitcnt vmcnt(18)
	v_fma_f64 v[151:152], v[2:3], v[169:170], -v[151:152]
	v_mul_f64 v[143:144], v[135:136], v[167:168]
	v_fma_f64 v[149:150], v[4:5], v[169:170], v[149:150]
	ds_read_b128 v[2:5], v1 offset:1984
	v_add_f64 v[147:148], v[147:148], v[155:156]
	v_add_f64 v[6:7], v[6:7], v[145:146]
	s_waitcnt vmcnt(16) lgkmcnt(1)
	v_mul_f64 v[155:156], v[141:142], v[171:172]
	s_waitcnt vmcnt(14)
	v_fma_f64 v[153:154], v[135:136], v[173:174], -v[153:154]
	;; [unrolled: 9-line block ×3, first 2 shown]
	v_mul_f64 v[149:150], v[2:3], v[175:176]
	v_fma_f64 v[141:142], v[141:142], v[177:178], v[145:146]
	s_waitcnt vmcnt(8) lgkmcnt(0)
	v_mul_f64 v[145:146], v[137:138], v[179:180]
	v_add_f64 v[147:148], v[147:148], v[153:154]
	v_add_f64 v[6:7], v[6:7], v[143:144]
	s_waitcnt vmcnt(6)
	v_fma_f64 v[2:3], v[2:3], v[181:182], -v[151:152]
	v_mul_f64 v[143:144], v[135:136], v[179:180]
	v_fma_f64 v[4:5], v[4:5], v[181:182], v[149:150]
	s_waitcnt vmcnt(4)
	v_fma_f64 v[135:136], v[135:136], v[183:184], -v[145:146]
	v_add_f64 v[139:140], v[147:148], v[139:140]
	v_add_f64 v[6:7], v[6:7], v[141:142]
	v_fma_f64 v[137:138], v[137:138], v[183:184], v[143:144]
	v_add_f64 v[2:3], v[139:140], v[2:3]
	v_add_f64 v[4:5], v[6:7], v[4:5]
	;; [unrolled: 1-line block ×4, first 2 shown]
	s_waitcnt vmcnt(2)
	v_add_f64 v[2:3], v[185:186], -v[2:3]
	s_waitcnt vmcnt(0)
	v_add_f64 v[4:5], v[187:188], -v[4:5]
	buffer_store_dword v3, off, s[0:3], 0 offset:836
	buffer_store_dword v2, off, s[0:3], 0 offset:832
	;; [unrolled: 1-line block ×4, first 2 shown]
	v_cmpx_lt_u32_e32 50, v0
	s_cbranch_execz .LBB126_303
; %bb.302:
	v_mov_b32_e32 v5, s26
	s_clause 0x3
	buffer_load_dword v2, v5, s[0:3], 0 offen
	buffer_load_dword v3, v5, s[0:3], 0 offen offset:4
	buffer_load_dword v4, v5, s[0:3], 0 offen offset:8
	;; [unrolled: 1-line block ×3, first 2 shown]
	buffer_store_dword v1, off, s[0:3], 0 offset:816
	buffer_store_dword v1, off, s[0:3], 0 offset:820
	buffer_store_dword v1, off, s[0:3], 0 offset:824
	buffer_store_dword v1, off, s[0:3], 0 offset:828
	s_waitcnt vmcnt(0)
	ds_write_b128 v195, v[2:5]
.LBB126_303:
	s_or_b32 exec_lo, exec_lo, s4
	s_waitcnt lgkmcnt(0)
	s_waitcnt_vscnt null, 0x0
	s_barrier
	buffer_gl0_inv
	s_clause 0x2f
	buffer_load_dword v6, off, s[0:3], 0 offset:840
	buffer_load_dword v7, off, s[0:3], 0 offset:844
	;; [unrolled: 1-line block ×48, first 2 shown]
	ds_read_b128 v[2:5], v1 offset:1824
	s_clause 0x3
	buffer_load_dword v189, off, s[0:3], 0 offset:816
	buffer_load_dword v190, off, s[0:3], 0 offset:820
	;; [unrolled: 1-line block ×4, first 2 shown]
	ds_read_b128 v[135:138], v1 offset:1840
	ds_read_b128 v[139:142], v1 offset:1856
	s_mov_b32 s4, exec_lo
	s_waitcnt vmcnt(50) lgkmcnt(2)
	v_mul_f64 v[193:194], v[4:5], v[6:7]
	v_mul_f64 v[6:7], v[2:3], v[6:7]
	s_waitcnt vmcnt(48) lgkmcnt(1)
	v_mul_f64 v[196:197], v[137:138], v[143:144]
	v_mul_f64 v[143:144], v[135:136], v[143:144]
	s_waitcnt vmcnt(46)
	v_fma_f64 v[193:194], v[2:3], v[145:146], -v[193:194]
	v_fma_f64 v[6:7], v[4:5], v[145:146], v[6:7]
	s_waitcnt vmcnt(44) lgkmcnt(0)
	v_mul_f64 v[145:146], v[139:140], v[147:148]
	v_mul_f64 v[147:148], v[141:142], v[147:148]
	s_waitcnt vmcnt(42)
	v_fma_f64 v[196:197], v[135:136], v[149:150], -v[196:197]
	ds_read_b128 v[2:5], v1 offset:1872
	v_fma_f64 v[143:144], v[137:138], v[149:150], v[143:144]
	ds_read_b128 v[135:138], v1 offset:1888
	v_add_f64 v[193:194], v[193:194], 0
	v_add_f64 v[6:7], v[6:7], 0
	s_waitcnt vmcnt(36)
	v_fma_f64 v[145:146], v[141:142], v[157:158], v[145:146]
	s_waitcnt lgkmcnt(1)
	v_mul_f64 v[149:150], v[2:3], v[151:152]
	v_mul_f64 v[151:152], v[4:5], v[151:152]
	v_fma_f64 v[147:148], v[139:140], v[157:158], -v[147:148]
	ds_read_b128 v[139:142], v1 offset:1904
	v_add_f64 v[193:194], v[193:194], v[196:197]
	v_add_f64 v[6:7], v[6:7], v[143:144]
	s_waitcnt vmcnt(35) lgkmcnt(1)
	v_mul_f64 v[143:144], v[135:136], v[153:154]
	v_mul_f64 v[153:154], v[137:138], v[153:154]
	s_waitcnt vmcnt(33)
	v_fma_f64 v[151:152], v[2:3], v[159:160], -v[151:152]
	v_fma_f64 v[149:150], v[4:5], v[159:160], v[149:150]
	ds_read_b128 v[2:5], v1 offset:1920
	s_waitcnt vmcnt(29) lgkmcnt(1)
	v_mul_f64 v[157:158], v[141:142], v[161:162]
	v_add_f64 v[147:148], v[193:194], v[147:148]
	v_add_f64 v[6:7], v[6:7], v[145:146]
	v_mul_f64 v[145:146], v[139:140], v[161:162]
	s_waitcnt vmcnt(28)
	v_fma_f64 v[153:154], v[135:136], v[155:156], -v[153:154]
	v_fma_f64 v[143:144], v[137:138], v[155:156], v[143:144]
	ds_read_b128 v[135:138], v1 offset:1936
	s_waitcnt vmcnt(25)
	v_fma_f64 v[155:156], v[139:140], v[167:168], -v[157:158]
	v_add_f64 v[147:148], v[147:148], v[151:152]
	v_add_f64 v[6:7], v[6:7], v[149:150]
	s_waitcnt lgkmcnt(1)
	v_mul_f64 v[151:152], v[4:5], v[163:164]
	v_mul_f64 v[149:150], v[2:3], v[163:164]
	v_fma_f64 v[145:146], v[141:142], v[167:168], v[145:146]
	ds_read_b128 v[139:142], v1 offset:1952
	v_add_f64 v[147:148], v[147:148], v[153:154]
	v_add_f64 v[6:7], v[6:7], v[143:144]
	s_waitcnt vmcnt(21) lgkmcnt(1)
	v_mul_f64 v[153:154], v[137:138], v[169:170]
	s_waitcnt vmcnt(20)
	v_fma_f64 v[151:152], v[2:3], v[165:166], -v[151:152]
	v_mul_f64 v[143:144], v[135:136], v[169:170]
	v_fma_f64 v[149:150], v[4:5], v[165:166], v[149:150]
	ds_read_b128 v[2:5], v1 offset:1968
	v_add_f64 v[147:148], v[147:148], v[155:156]
	v_add_f64 v[6:7], v[6:7], v[145:146]
	s_waitcnt vmcnt(19) lgkmcnt(1)
	v_mul_f64 v[155:156], v[141:142], v[171:172]
	s_waitcnt vmcnt(17)
	v_fma_f64 v[153:154], v[135:136], v[175:176], -v[153:154]
	;; [unrolled: 9-line block ×4, first 2 shown]
	v_mul_f64 v[143:144], v[135:136], v[179:180]
	v_fma_f64 v[3:4], v[4:5], v[183:184], v[149:150]
	v_add_f64 v[147:148], v[147:148], v[155:156]
	v_add_f64 v[5:6], v[6:7], v[145:146]
	s_waitcnt vmcnt(7) lgkmcnt(0)
	v_mul_f64 v[145:146], v[141:142], v[185:186]
	s_waitcnt vmcnt(6)
	v_fma_f64 v[135:136], v[135:136], v[181:182], -v[153:154]
	v_mul_f64 v[7:8], v[139:140], v[185:186]
	v_fma_f64 v[137:138], v[137:138], v[181:182], v[143:144]
	v_add_f64 v[1:2], v[147:148], v[1:2]
	v_add_f64 v[3:4], v[5:6], v[3:4]
	s_waitcnt vmcnt(4)
	v_fma_f64 v[5:6], v[139:140], v[187:188], -v[145:146]
	v_fma_f64 v[7:8], v[141:142], v[187:188], v[7:8]
	v_add_f64 v[1:2], v[1:2], v[135:136]
	v_add_f64 v[3:4], v[3:4], v[137:138]
	;; [unrolled: 1-line block ×4, first 2 shown]
	s_waitcnt vmcnt(2)
	v_add_f64 v[1:2], v[189:190], -v[1:2]
	s_waitcnt vmcnt(0)
	v_add_f64 v[3:4], v[191:192], -v[3:4]
	buffer_store_dword v2, off, s[0:3], 0 offset:820
	buffer_store_dword v1, off, s[0:3], 0 offset:816
	;; [unrolled: 1-line block ×4, first 2 shown]
	v_cmpx_lt_u32_e32 49, v0
	s_cbranch_execz .LBB126_305
; %bb.304:
	v_mov_b32_e32 v4, s27
	v_mov_b32_e32 v5, 0
	s_clause 0x3
	buffer_load_dword v1, v4, s[0:3], 0 offen
	buffer_load_dword v2, v4, s[0:3], 0 offen offset:4
	buffer_load_dword v3, v4, s[0:3], 0 offen offset:8
	;; [unrolled: 1-line block ×3, first 2 shown]
	buffer_store_dword v5, off, s[0:3], 0 offset:800
	buffer_store_dword v5, off, s[0:3], 0 offset:804
	;; [unrolled: 1-line block ×4, first 2 shown]
	s_waitcnt vmcnt(0)
	ds_write_b128 v195, v[1:4]
.LBB126_305:
	s_or_b32 exec_lo, exec_lo, s4
	s_waitcnt lgkmcnt(0)
	s_waitcnt_vscnt null, 0x0
	s_barrier
	buffer_gl0_inv
	s_clause 0x33
	buffer_load_dword v6, off, s[0:3], 0 offset:824
	buffer_load_dword v7, off, s[0:3], 0 offset:828
	;; [unrolled: 1-line block ×52, first 2 shown]
	v_mov_b32_e32 v1, 0
	ds_read_b128 v[2:5], v1 offset:1808
	ds_read_b128 v[135:138], v1 offset:1824
	s_clause 0x3
	buffer_load_dword v196, off, s[0:3], 0 offset:800
	buffer_load_dword v197, off, s[0:3], 0 offset:804
	;; [unrolled: 1-line block ×4, first 2 shown]
	ds_read_b128 v[139:142], v1 offset:1840
	s_mov_b32 s4, exec_lo
	s_waitcnt vmcnt(54) lgkmcnt(2)
	v_mul_f64 v[193:194], v[4:5], v[6:7]
	v_mul_f64 v[6:7], v[2:3], v[6:7]
	s_waitcnt vmcnt(52) lgkmcnt(1)
	v_mul_f64 v[200:201], v[137:138], v[143:144]
	v_mul_f64 v[143:144], v[135:136], v[143:144]
	s_waitcnt vmcnt(50)
	v_fma_f64 v[193:194], v[2:3], v[145:146], -v[193:194]
	v_fma_f64 v[6:7], v[4:5], v[145:146], v[6:7]
	ds_read_b128 v[2:5], v1 offset:1856
	s_waitcnt vmcnt(48) lgkmcnt(1)
	v_mul_f64 v[145:146], v[139:140], v[147:148]
	v_mul_f64 v[147:148], v[141:142], v[147:148]
	s_waitcnt vmcnt(46)
	v_fma_f64 v[200:201], v[135:136], v[149:150], -v[200:201]
	v_fma_f64 v[143:144], v[137:138], v[149:150], v[143:144]
	ds_read_b128 v[135:138], v1 offset:1872
	s_waitcnt vmcnt(42) lgkmcnt(1)
	v_mul_f64 v[149:150], v[2:3], v[151:152]
	v_add_f64 v[193:194], v[193:194], 0
	v_add_f64 v[6:7], v[6:7], 0
	v_mul_f64 v[151:152], v[4:5], v[151:152]
	s_waitcnt vmcnt(40)
	v_fma_f64 v[147:148], v[139:140], v[157:158], -v[147:148]
	v_fma_f64 v[145:146], v[141:142], v[157:158], v[145:146]
	ds_read_b128 v[139:142], v1 offset:1888
	s_waitcnt vmcnt(37)
	v_fma_f64 v[149:150], v[4:5], v[159:160], v[149:150]
	v_add_f64 v[193:194], v[193:194], v[200:201]
	v_add_f64 v[6:7], v[6:7], v[143:144]
	s_waitcnt lgkmcnt(1)
	v_mul_f64 v[143:144], v[135:136], v[153:154]
	v_mul_f64 v[153:154], v[137:138], v[153:154]
	v_fma_f64 v[151:152], v[2:3], v[159:160], -v[151:152]
	s_waitcnt vmcnt(33) lgkmcnt(0)
	v_mul_f64 v[157:158], v[141:142], v[161:162]
	ds_read_b128 v[2:5], v1 offset:1904
	v_add_f64 v[147:148], v[193:194], v[147:148]
	v_add_f64 v[6:7], v[6:7], v[145:146]
	v_mul_f64 v[145:146], v[139:140], v[161:162]
	s_waitcnt vmcnt(32)
	v_fma_f64 v[153:154], v[135:136], v[155:156], -v[153:154]
	v_fma_f64 v[143:144], v[137:138], v[155:156], v[143:144]
	ds_read_b128 v[135:138], v1 offset:1920
	s_waitcnt vmcnt(29)
	v_fma_f64 v[155:156], v[139:140], v[167:168], -v[157:158]
	v_add_f64 v[147:148], v[147:148], v[151:152]
	v_add_f64 v[6:7], v[6:7], v[149:150]
	s_waitcnt lgkmcnt(1)
	v_mul_f64 v[151:152], v[4:5], v[163:164]
	v_mul_f64 v[149:150], v[2:3], v[163:164]
	v_fma_f64 v[145:146], v[141:142], v[167:168], v[145:146]
	ds_read_b128 v[139:142], v1 offset:1936
	v_add_f64 v[147:148], v[147:148], v[153:154]
	v_add_f64 v[6:7], v[6:7], v[143:144]
	s_waitcnt vmcnt(25) lgkmcnt(1)
	v_mul_f64 v[153:154], v[137:138], v[169:170]
	s_waitcnt vmcnt(24)
	v_fma_f64 v[151:152], v[2:3], v[165:166], -v[151:152]
	v_mul_f64 v[143:144], v[135:136], v[169:170]
	v_fma_f64 v[149:150], v[4:5], v[165:166], v[149:150]
	ds_read_b128 v[2:5], v1 offset:1952
	v_add_f64 v[147:148], v[147:148], v[155:156]
	v_add_f64 v[6:7], v[6:7], v[145:146]
	s_waitcnt vmcnt(23) lgkmcnt(1)
	v_mul_f64 v[155:156], v[141:142], v[171:172]
	s_waitcnt vmcnt(21)
	v_fma_f64 v[153:154], v[135:136], v[175:176], -v[153:154]
	;; [unrolled: 9-line block ×5, first 2 shown]
	v_mul_f64 v[145:146], v[139:140], v[185:186]
	v_fma_f64 v[137:138], v[137:138], v[181:182], v[143:144]
	s_waitcnt vmcnt(7) lgkmcnt(0)
	v_mul_f64 v[143:144], v[2:3], v[187:188]
	v_add_f64 v[147:148], v[147:148], v[151:152]
	v_add_f64 v[6:7], v[6:7], v[149:150]
	v_mul_f64 v[149:150], v[4:5], v[187:188]
	s_waitcnt vmcnt(5)
	v_fma_f64 v[139:140], v[139:140], v[191:192], -v[155:156]
	v_fma_f64 v[141:142], v[141:142], v[191:192], v[145:146]
	s_waitcnt vmcnt(4)
	v_fma_f64 v[4:5], v[4:5], v[189:190], v[143:144]
	v_add_f64 v[135:136], v[147:148], v[135:136]
	v_add_f64 v[6:7], v[6:7], v[137:138]
	v_fma_f64 v[2:3], v[2:3], v[189:190], -v[149:150]
	v_add_f64 v[135:136], v[135:136], v[139:140]
	v_add_f64 v[6:7], v[6:7], v[141:142]
	;; [unrolled: 1-line block ×4, first 2 shown]
	s_waitcnt vmcnt(2)
	v_add_f64 v[2:3], v[196:197], -v[2:3]
	s_waitcnt vmcnt(0)
	v_add_f64 v[4:5], v[198:199], -v[4:5]
	buffer_store_dword v3, off, s[0:3], 0 offset:804
	buffer_store_dword v2, off, s[0:3], 0 offset:800
	;; [unrolled: 1-line block ×4, first 2 shown]
	v_cmpx_lt_u32_e32 48, v0
	s_cbranch_execz .LBB126_307
; %bb.306:
	v_mov_b32_e32 v5, s28
	s_clause 0x3
	buffer_load_dword v2, v5, s[0:3], 0 offen
	buffer_load_dword v3, v5, s[0:3], 0 offen offset:4
	buffer_load_dword v4, v5, s[0:3], 0 offen offset:8
	;; [unrolled: 1-line block ×3, first 2 shown]
	buffer_store_dword v1, off, s[0:3], 0 offset:784
	buffer_store_dword v1, off, s[0:3], 0 offset:788
	;; [unrolled: 1-line block ×4, first 2 shown]
	s_waitcnt vmcnt(0)
	ds_write_b128 v195, v[2:5]
.LBB126_307:
	s_or_b32 exec_lo, exec_lo, s4
	s_waitcnt lgkmcnt(0)
	s_waitcnt_vscnt null, 0x0
	s_barrier
	buffer_gl0_inv
	s_clause 0x35
	buffer_load_dword v6, off, s[0:3], 0 offset:808
	buffer_load_dword v7, off, s[0:3], 0 offset:812
	;; [unrolled: 1-line block ×54, first 2 shown]
	ds_read_b128 v[2:5], v1 offset:1792
	s_clause 0x1
	buffer_load_dword v197, off, s[0:3], 0 offset:1012
	buffer_load_dword v196, off, s[0:3], 0 offset:1008
	ds_read_b128 v[135:138], v1 offset:1808
	ds_read_b128 v[139:142], v1 offset:1824
	s_mov_b32 s4, exec_lo
	s_waitcnt vmcnt(54) lgkmcnt(2)
	v_mul_f64 v[198:199], v[4:5], v[6:7]
	v_mul_f64 v[6:7], v[2:3], v[6:7]
	s_waitcnt vmcnt(52) lgkmcnt(1)
	v_mul_f64 v[200:201], v[137:138], v[143:144]
	v_mul_f64 v[143:144], v[135:136], v[143:144]
	;; [unrolled: 3-line block ×3, first 2 shown]
	v_fma_f64 v[198:199], v[2:3], v[145:146], -v[198:199]
	v_fma_f64 v[6:7], v[4:5], v[145:146], v[6:7]
	s_clause 0x3
	buffer_load_dword v145, off, s[0:3], 0 offset:784
	buffer_load_dword v146, off, s[0:3], 0 offset:788
	;; [unrolled: 1-line block ×4, first 2 shown]
	s_waitcnt vmcnt(50)
	v_fma_f64 v[200:201], v[135:136], v[149:150], -v[200:201]
	ds_read_b128 v[2:5], v1 offset:1840
	v_fma_f64 v[143:144], v[137:138], v[149:150], v[143:144]
	ds_read_b128 v[135:138], v1 offset:1856
	s_waitcnt vmcnt(44)
	v_fma_f64 v[147:148], v[139:140], v[157:158], -v[147:148]
	v_fma_f64 v[157:158], v[141:142], v[157:158], v[204:205]
	ds_read_b128 v[139:142], v1 offset:1872
	v_add_f64 v[198:199], v[198:199], 0
	v_add_f64 v[6:7], v[6:7], 0
	s_waitcnt lgkmcnt(2)
	v_mul_f64 v[149:150], v[2:3], v[151:152]
	v_mul_f64 v[151:152], v[4:5], v[151:152]
	v_add_f64 v[198:199], v[198:199], v[200:201]
	v_add_f64 v[6:7], v[6:7], v[143:144]
	s_waitcnt vmcnt(43) lgkmcnt(1)
	v_mul_f64 v[143:144], v[135:136], v[153:154]
	v_mul_f64 v[153:154], v[137:138], v[153:154]
	s_waitcnt vmcnt(41)
	v_fma_f64 v[151:152], v[2:3], v[159:160], -v[151:152]
	v_fma_f64 v[149:150], v[4:5], v[159:160], v[149:150]
	ds_read_b128 v[2:5], v1 offset:1888
	s_waitcnt vmcnt(37) lgkmcnt(1)
	v_mul_f64 v[159:160], v[141:142], v[161:162]
	v_add_f64 v[147:148], v[198:199], v[147:148]
	v_add_f64 v[6:7], v[6:7], v[157:158]
	v_mul_f64 v[157:158], v[139:140], v[161:162]
	s_waitcnt vmcnt(36)
	v_fma_f64 v[153:154], v[135:136], v[155:156], -v[153:154]
	v_fma_f64 v[143:144], v[137:138], v[155:156], v[143:144]
	ds_read_b128 v[135:138], v1 offset:1904
	s_waitcnt vmcnt(33)
	v_fma_f64 v[155:156], v[139:140], v[167:168], -v[159:160]
	v_add_f64 v[147:148], v[147:148], v[151:152]
	v_add_f64 v[6:7], v[6:7], v[149:150]
	s_waitcnt lgkmcnt(1)
	v_mul_f64 v[151:152], v[4:5], v[163:164]
	v_mul_f64 v[149:150], v[2:3], v[163:164]
	v_add_f64 v[147:148], v[147:148], v[153:154]
	v_fma_f64 v[153:154], v[141:142], v[167:168], v[157:158]
	v_add_f64 v[6:7], v[6:7], v[143:144]
	ds_read_b128 v[139:142], v1 offset:1920
	s_waitcnt vmcnt(29) lgkmcnt(1)
	v_mul_f64 v[157:158], v[137:138], v[169:170]
	s_waitcnt vmcnt(28)
	v_fma_f64 v[151:152], v[2:3], v[165:166], -v[151:152]
	v_mul_f64 v[143:144], v[135:136], v[169:170]
	v_fma_f64 v[149:150], v[4:5], v[165:166], v[149:150]
	ds_read_b128 v[2:5], v1 offset:1936
	v_add_f64 v[147:148], v[147:148], v[155:156]
	s_waitcnt vmcnt(27) lgkmcnt(1)
	v_mul_f64 v[155:156], v[141:142], v[171:172]
	v_add_f64 v[6:7], v[6:7], v[153:154]
	v_mul_f64 v[153:154], v[139:140], v[171:172]
	s_waitcnt vmcnt(25)
	v_fma_f64 v[157:158], v[135:136], v[175:176], -v[157:158]
	v_fma_f64 v[143:144], v[137:138], v[175:176], v[143:144]
	ds_read_b128 v[135:138], v1 offset:1952
	v_add_f64 v[147:148], v[147:148], v[151:152]
	s_waitcnt vmcnt(21) lgkmcnt(1)
	v_mul_f64 v[151:152], v[4:5], v[177:178]
	v_add_f64 v[6:7], v[6:7], v[149:150]
	s_waitcnt vmcnt(20)
	v_fma_f64 v[155:156], v[139:140], v[173:174], -v[155:156]
	v_mul_f64 v[149:150], v[2:3], v[177:178]
	v_fma_f64 v[153:154], v[141:142], v[173:174], v[153:154]
	ds_read_b128 v[139:142], v1 offset:1968
	v_add_f64 v[147:148], v[147:148], v[157:158]
	s_waitcnt vmcnt(19) lgkmcnt(1)
	v_mul_f64 v[157:158], v[137:138], v[179:180]
	v_add_f64 v[6:7], v[6:7], v[143:144]
	s_waitcnt vmcnt(17)
	v_fma_f64 v[151:152], v[2:3], v[183:184], -v[151:152]
	v_mul_f64 v[143:144], v[135:136], v[179:180]
	;; [unrolled: 9-line block ×4, first 2 shown]
	v_fma_f64 v[141:142], v[141:142], v[191:192], v[153:154]
	s_waitcnt vmcnt(7) lgkmcnt(0)
	v_mul_f64 v[153:154], v[137:138], v[193:194]
	v_add_f64 v[147:148], v[147:148], v[157:158]
	s_waitcnt vmcnt(6)
	v_fma_f64 v[1:2], v[2:3], v[189:190], -v[151:152]
	v_add_f64 v[6:7], v[6:7], v[143:144]
	v_mul_f64 v[143:144], v[135:136], v[193:194]
	v_fma_f64 v[3:4], v[4:5], v[189:190], v[149:150]
	v_add_f64 v[139:140], v[147:148], v[139:140]
	v_add_f64 v[5:6], v[6:7], v[141:142]
	s_waitcnt vmcnt(4)
	v_fma_f64 v[7:8], v[135:136], v[196:197], -v[153:154]
	v_fma_f64 v[135:136], v[137:138], v[196:197], v[143:144]
	v_add_f64 v[1:2], v[139:140], v[1:2]
	v_add_f64 v[3:4], v[5:6], v[3:4]
	;; [unrolled: 1-line block ×4, first 2 shown]
	s_waitcnt vmcnt(2)
	v_add_f64 v[1:2], v[145:146], -v[1:2]
	s_waitcnt vmcnt(0)
	v_add_f64 v[3:4], v[202:203], -v[3:4]
	buffer_store_dword v2, off, s[0:3], 0 offset:788
	buffer_store_dword v1, off, s[0:3], 0 offset:784
	;; [unrolled: 1-line block ×4, first 2 shown]
	v_cmpx_lt_u32_e32 47, v0
	s_cbranch_execz .LBB126_309
; %bb.308:
	v_mov_b32_e32 v4, s29
	v_mov_b32_e32 v5, 0
	s_clause 0x3
	buffer_load_dword v1, v4, s[0:3], 0 offen
	buffer_load_dword v2, v4, s[0:3], 0 offen offset:4
	buffer_load_dword v3, v4, s[0:3], 0 offen offset:8
	;; [unrolled: 1-line block ×3, first 2 shown]
	buffer_store_dword v5, off, s[0:3], 0 offset:768
	buffer_store_dword v5, off, s[0:3], 0 offset:772
	;; [unrolled: 1-line block ×4, first 2 shown]
	s_waitcnt vmcnt(0)
	ds_write_b128 v195, v[1:4]
.LBB126_309:
	s_or_b32 exec_lo, exec_lo, s4
	s_waitcnt lgkmcnt(0)
	s_waitcnt_vscnt null, 0x0
	s_barrier
	buffer_gl0_inv
	s_clause 0x37
	buffer_load_dword v6, off, s[0:3], 0 offset:792
	buffer_load_dword v7, off, s[0:3], 0 offset:796
	;; [unrolled: 1-line block ×56, first 2 shown]
	v_mov_b32_e32 v1, 0
	s_mov_b32 s4, exec_lo
	ds_read_b128 v[2:5], v1 offset:1776
	s_clause 0x2
	buffer_load_dword v197, off, s[0:3], 0 offset:1020
	buffer_load_dword v201, off, s[0:3], 0 offset:996
	;; [unrolled: 1-line block ×3, first 2 shown]
	ds_read_b128 v[135:138], v1 offset:1792
	ds_read_b128 v[139:142], v1 offset:1808
	buffer_load_dword v199, off, s[0:3], 0 offset:1012
	s_waitcnt vmcnt(58) lgkmcnt(2)
	v_mul_f64 v[202:203], v[4:5], v[6:7]
	v_mul_f64 v[6:7], v[2:3], v[6:7]
	s_waitcnt vmcnt(56) lgkmcnt(1)
	v_mul_f64 v[204:205], v[137:138], v[143:144]
	v_mul_f64 v[143:144], v[135:136], v[143:144]
	s_waitcnt vmcnt(54)
	v_fma_f64 v[202:203], v[2:3], v[145:146], -v[202:203]
	v_fma_f64 v[6:7], v[4:5], v[145:146], v[6:7]
	s_waitcnt vmcnt(52) lgkmcnt(0)
	v_mul_f64 v[145:146], v[139:140], v[147:148]
	v_mul_f64 v[147:148], v[141:142], v[147:148]
	s_waitcnt vmcnt(50)
	v_fma_f64 v[204:205], v[135:136], v[149:150], -v[204:205]
	ds_read_b128 v[2:5], v1 offset:1824
	v_fma_f64 v[143:144], v[137:138], v[149:150], v[143:144]
	s_clause 0x3
	buffer_load_dword v149, off, s[0:3], 0 offset:768
	buffer_load_dword v150, off, s[0:3], 0 offset:772
	;; [unrolled: 1-line block ×4, first 2 shown]
	ds_read_b128 v[135:138], v1 offset:1840
	v_add_f64 v[202:203], v[202:203], 0
	v_add_f64 v[6:7], v[6:7], 0
	s_waitcnt vmcnt(48)
	v_fma_f64 v[145:146], v[141:142], v[157:158], v[145:146]
	s_waitcnt lgkmcnt(1)
	v_mul_f64 v[208:209], v[2:3], v[151:152]
	v_mul_f64 v[151:152], v[4:5], v[151:152]
	v_fma_f64 v[147:148], v[139:140], v[157:158], -v[147:148]
	ds_read_b128 v[139:142], v1 offset:1856
	v_add_f64 v[202:203], v[202:203], v[204:205]
	v_add_f64 v[6:7], v[6:7], v[143:144]
	s_waitcnt vmcnt(47) lgkmcnt(1)
	v_mul_f64 v[143:144], v[135:136], v[153:154]
	v_mul_f64 v[153:154], v[137:138], v[153:154]
	s_waitcnt vmcnt(45)
	v_fma_f64 v[151:152], v[2:3], v[159:160], -v[151:152]
	v_fma_f64 v[157:158], v[4:5], v[159:160], v[208:209]
	s_waitcnt vmcnt(41) lgkmcnt(0)
	v_mul_f64 v[159:160], v[141:142], v[161:162]
	ds_read_b128 v[2:5], v1 offset:1872
	v_add_f64 v[147:148], v[202:203], v[147:148]
	v_add_f64 v[6:7], v[6:7], v[145:146]
	v_mul_f64 v[145:146], v[139:140], v[161:162]
	s_waitcnt vmcnt(40)
	v_fma_f64 v[153:154], v[135:136], v[155:156], -v[153:154]
	v_fma_f64 v[143:144], v[137:138], v[155:156], v[143:144]
	ds_read_b128 v[135:138], v1 offset:1888
	s_waitcnt vmcnt(39) lgkmcnt(1)
	v_mul_f64 v[155:156], v[4:5], v[163:164]
	v_add_f64 v[147:148], v[147:148], v[151:152]
	v_add_f64 v[6:7], v[6:7], v[157:158]
	s_waitcnt vmcnt(37)
	v_fma_f64 v[157:158], v[139:140], v[167:168], -v[159:160]
	v_mul_f64 v[151:152], v[2:3], v[163:164]
	v_fma_f64 v[145:146], v[141:142], v[167:168], v[145:146]
	ds_read_b128 v[139:142], v1 offset:1904
	s_waitcnt vmcnt(32)
	v_fma_f64 v[155:156], v[2:3], v[165:166], -v[155:156]
	v_add_f64 v[147:148], v[147:148], v[153:154]
	v_add_f64 v[6:7], v[6:7], v[143:144]
	s_waitcnt lgkmcnt(1)
	v_mul_f64 v[153:154], v[137:138], v[169:170]
	v_mul_f64 v[143:144], v[135:136], v[169:170]
	v_fma_f64 v[151:152], v[4:5], v[165:166], v[151:152]
	ds_read_b128 v[2:5], v1 offset:1920
	v_add_f64 v[147:148], v[147:148], v[157:158]
	v_add_f64 v[6:7], v[6:7], v[145:146]
	s_waitcnt vmcnt(31) lgkmcnt(1)
	v_mul_f64 v[157:158], v[141:142], v[171:172]
	s_waitcnt vmcnt(29)
	v_fma_f64 v[153:154], v[135:136], v[175:176], -v[153:154]
	v_mul_f64 v[145:146], v[139:140], v[171:172]
	v_fma_f64 v[143:144], v[137:138], v[175:176], v[143:144]
	ds_read_b128 v[135:138], v1 offset:1936
	v_add_f64 v[147:148], v[147:148], v[155:156]
	v_add_f64 v[6:7], v[6:7], v[151:152]
	s_waitcnt vmcnt(25) lgkmcnt(1)
	v_mul_f64 v[155:156], v[4:5], v[177:178]
	s_waitcnt vmcnt(24)
	v_fma_f64 v[157:158], v[139:140], v[173:174], -v[157:158]
	v_mul_f64 v[151:152], v[2:3], v[177:178]
	v_fma_f64 v[145:146], v[141:142], v[173:174], v[145:146]
	ds_read_b128 v[139:142], v1 offset:1952
	v_add_f64 v[147:148], v[147:148], v[153:154]
	v_add_f64 v[6:7], v[6:7], v[143:144]
	s_waitcnt vmcnt(23) lgkmcnt(1)
	v_mul_f64 v[153:154], v[137:138], v[179:180]
	s_waitcnt vmcnt(21)
	v_fma_f64 v[155:156], v[2:3], v[183:184], -v[155:156]
	v_mul_f64 v[143:144], v[135:136], v[179:180]
	v_fma_f64 v[151:152], v[4:5], v[183:184], v[151:152]
	ds_read_b128 v[2:5], v1 offset:1968
	v_add_f64 v[147:148], v[147:148], v[157:158]
	v_add_f64 v[6:7], v[6:7], v[145:146]
	s_waitcnt vmcnt(17) lgkmcnt(1)
	v_mul_f64 v[157:158], v[141:142], v[185:186]
	s_waitcnt vmcnt(16)
	v_fma_f64 v[153:154], v[135:136], v[181:182], -v[153:154]
	v_mul_f64 v[145:146], v[139:140], v[185:186]
	v_fma_f64 v[143:144], v[137:138], v[181:182], v[143:144]
	ds_read_b128 v[135:138], v1 offset:1984
	v_add_f64 v[147:148], v[147:148], v[155:156]
	v_add_f64 v[6:7], v[6:7], v[151:152]
	s_waitcnt vmcnt(15) lgkmcnt(1)
	v_mul_f64 v[155:156], v[4:5], v[187:188]
	s_waitcnt vmcnt(13)
	v_fma_f64 v[157:158], v[139:140], v[191:192], -v[157:158]
	v_mul_f64 v[151:152], v[2:3], v[187:188]
	v_fma_f64 v[145:146], v[141:142], v[191:192], v[145:146]
	ds_read_b128 v[139:142], v1 offset:2000
	v_add_f64 v[147:148], v[147:148], v[153:154]
	v_add_f64 v[6:7], v[6:7], v[143:144]
	s_waitcnt vmcnt(9) lgkmcnt(1)
	v_mul_f64 v[153:154], v[137:138], v[193:194]
	s_waitcnt vmcnt(8)
	v_fma_f64 v[2:3], v[2:3], v[189:190], -v[155:156]
	v_mul_f64 v[143:144], v[135:136], v[193:194]
	v_fma_f64 v[4:5], v[4:5], v[189:190], v[151:152]
	s_waitcnt vmcnt(7) lgkmcnt(0)
	v_mul_f64 v[151:152], v[141:142], v[196:197]
	v_add_f64 v[147:148], v[147:148], v[157:158]
	v_add_f64 v[6:7], v[6:7], v[145:146]
	s_waitcnt vmcnt(5)
	v_fma_f64 v[135:136], v[135:136], v[200:201], -v[153:154]
	v_mul_f64 v[145:146], v[139:140], v[196:197]
	v_fma_f64 v[137:138], v[137:138], v[200:201], v[143:144]
	v_add_f64 v[2:3], v[147:148], v[2:3]
	v_add_f64 v[4:5], v[6:7], v[4:5]
	s_waitcnt vmcnt(4)
	v_fma_f64 v[6:7], v[139:140], v[198:199], -v[151:152]
	v_add_f64 v[2:3], v[2:3], v[135:136]
	v_fma_f64 v[135:136], v[141:142], v[198:199], v[145:146]
	v_add_f64 v[4:5], v[4:5], v[137:138]
	v_add_f64 v[2:3], v[2:3], v[6:7]
	;; [unrolled: 1-line block ×3, first 2 shown]
	s_waitcnt vmcnt(2)
	v_add_f64 v[2:3], v[149:150], -v[2:3]
	s_waitcnt vmcnt(0)
	v_add_f64 v[4:5], v[206:207], -v[4:5]
	buffer_store_dword v3, off, s[0:3], 0 offset:772
	buffer_store_dword v2, off, s[0:3], 0 offset:768
	;; [unrolled: 1-line block ×4, first 2 shown]
	v_cmpx_lt_u32_e32 46, v0
	s_cbranch_execz .LBB126_311
; %bb.310:
	v_mov_b32_e32 v5, s30
	s_clause 0x3
	buffer_load_dword v2, v5, s[0:3], 0 offen
	buffer_load_dword v3, v5, s[0:3], 0 offen offset:4
	buffer_load_dword v4, v5, s[0:3], 0 offen offset:8
	;; [unrolled: 1-line block ×3, first 2 shown]
	buffer_store_dword v1, off, s[0:3], 0 offset:752
	buffer_store_dword v1, off, s[0:3], 0 offset:756
	;; [unrolled: 1-line block ×4, first 2 shown]
	s_waitcnt vmcnt(0)
	ds_write_b128 v195, v[2:5]
.LBB126_311:
	s_or_b32 exec_lo, exec_lo, s4
	s_waitcnt lgkmcnt(0)
	s_waitcnt_vscnt null, 0x0
	s_barrier
	buffer_gl0_inv
	s_clause 0x37
	buffer_load_dword v6, off, s[0:3], 0 offset:776
	buffer_load_dword v7, off, s[0:3], 0 offset:780
	;; [unrolled: 1-line block ×56, first 2 shown]
	ds_read_b128 v[2:5], v1 offset:1760
	s_clause 0x2
	buffer_load_dword v197, off, s[0:3], 0 offset:1004
	buffer_load_dword v201, off, s[0:3], 0 offset:980
	;; [unrolled: 1-line block ×3, first 2 shown]
	ds_read_b128 v[135:138], v1 offset:1776
	s_clause 0x2
	buffer_load_dword v205, off, s[0:3], 0 offset:1020
	buffer_load_dword v204, off, s[0:3], 0 offset:1016
	;; [unrolled: 1-line block ×3, first 2 shown]
	ds_read_b128 v[139:142], v1 offset:1792
	s_mov_b32 s4, exec_lo
	s_waitcnt vmcnt(60) lgkmcnt(2)
	v_mul_f64 v[202:203], v[4:5], v[6:7]
	v_mul_f64 v[6:7], v[2:3], v[6:7]
	s_waitcnt vmcnt(58) lgkmcnt(1)
	v_mul_f64 v[206:207], v[137:138], v[143:144]
	v_mul_f64 v[143:144], v[135:136], v[143:144]
	;; [unrolled: 3-line block ×3, first 2 shown]
	v_fma_f64 v[202:203], v[2:3], v[145:146], -v[202:203]
	v_fma_f64 v[6:7], v[4:5], v[145:146], v[6:7]
	s_clause 0x1
	buffer_load_dword v146, off, s[0:3], 0 offset:1012
	buffer_load_dword v145, off, s[0:3], 0 offset:1008
	s_waitcnt vmcnt(54)
	v_fma_f64 v[206:207], v[135:136], v[149:150], -v[206:207]
	ds_read_b128 v[2:5], v1 offset:1808
	v_fma_f64 v[143:144], v[137:138], v[149:150], v[143:144]
	ds_read_b128 v[135:138], v1 offset:1824
	s_waitcnt vmcnt(48)
	v_fma_f64 v[147:148], v[139:140], v[157:158], -v[147:148]
	v_fma_f64 v[157:158], v[141:142], v[157:158], v[208:209]
	v_add_f64 v[202:203], v[202:203], 0
	v_add_f64 v[6:7], v[6:7], 0
	s_waitcnt lgkmcnt(1)
	v_mul_f64 v[149:150], v[2:3], v[151:152]
	v_mul_f64 v[151:152], v[4:5], v[151:152]
	s_waitcnt vmcnt(47) lgkmcnt(0)
	v_mul_f64 v[208:209], v[135:136], v[153:154]
	v_mul_f64 v[153:154], v[137:138], v[153:154]
	v_add_f64 v[202:203], v[202:203], v[206:207]
	v_add_f64 v[6:7], v[6:7], v[143:144]
	s_clause 0x3
	buffer_load_dword v143, off, s[0:3], 0 offset:752
	buffer_load_dword v144, off, s[0:3], 0 offset:756
	;; [unrolled: 1-line block ×4, first 2 shown]
	s_waitcnt vmcnt(49)
	v_fma_f64 v[151:152], v[2:3], v[159:160], -v[151:152]
	ds_read_b128 v[139:142], v1 offset:1840
	v_fma_f64 v[149:150], v[4:5], v[159:160], v[149:150]
	ds_read_b128 v[2:5], v1 offset:1856
	s_waitcnt vmcnt(44)
	v_fma_f64 v[153:154], v[135:136], v[155:156], -v[153:154]
	v_add_f64 v[147:148], v[202:203], v[147:148]
	v_add_f64 v[6:7], v[6:7], v[157:158]
	s_waitcnt lgkmcnt(1)
	v_mul_f64 v[159:160], v[141:142], v[161:162]
	v_mul_f64 v[157:158], v[139:140], v[161:162]
	v_add_f64 v[147:148], v[147:148], v[151:152]
	v_fma_f64 v[151:152], v[137:138], v[155:156], v[208:209]
	v_add_f64 v[6:7], v[6:7], v[149:150]
	s_waitcnt vmcnt(43) lgkmcnt(0)
	v_mul_f64 v[155:156], v[4:5], v[163:164]
	s_waitcnt vmcnt(41)
	v_fma_f64 v[159:160], v[139:140], v[167:168], -v[159:160]
	ds_read_b128 v[135:138], v1 offset:1872
	v_mul_f64 v[149:150], v[2:3], v[163:164]
	v_add_f64 v[147:148], v[147:148], v[153:154]
	v_fma_f64 v[153:154], v[141:142], v[167:168], v[157:158]
	v_add_f64 v[6:7], v[6:7], v[151:152]
	ds_read_b128 v[139:142], v1 offset:1888
	s_waitcnt vmcnt(37) lgkmcnt(1)
	v_mul_f64 v[157:158], v[137:138], v[169:170]
	s_waitcnt vmcnt(36)
	v_fma_f64 v[155:156], v[2:3], v[165:166], -v[155:156]
	v_mul_f64 v[151:152], v[135:136], v[169:170]
	v_fma_f64 v[149:150], v[4:5], v[165:166], v[149:150]
	ds_read_b128 v[2:5], v1 offset:1904
	v_add_f64 v[147:148], v[147:148], v[159:160]
	s_waitcnt vmcnt(35) lgkmcnt(1)
	v_mul_f64 v[159:160], v[141:142], v[171:172]
	v_add_f64 v[6:7], v[6:7], v[153:154]
	v_mul_f64 v[153:154], v[139:140], v[171:172]
	s_waitcnt vmcnt(33)
	v_fma_f64 v[157:158], v[135:136], v[175:176], -v[157:158]
	v_fma_f64 v[151:152], v[137:138], v[175:176], v[151:152]
	ds_read_b128 v[135:138], v1 offset:1920
	v_add_f64 v[147:148], v[147:148], v[155:156]
	s_waitcnt vmcnt(29) lgkmcnt(1)
	v_mul_f64 v[155:156], v[4:5], v[177:178]
	v_add_f64 v[6:7], v[6:7], v[149:150]
	s_waitcnt vmcnt(28)
	v_fma_f64 v[159:160], v[139:140], v[173:174], -v[159:160]
	v_mul_f64 v[149:150], v[2:3], v[177:178]
	v_fma_f64 v[153:154], v[141:142], v[173:174], v[153:154]
	ds_read_b128 v[139:142], v1 offset:1936
	v_add_f64 v[147:148], v[147:148], v[157:158]
	s_waitcnt vmcnt(27) lgkmcnt(1)
	v_mul_f64 v[157:158], v[137:138], v[179:180]
	v_add_f64 v[6:7], v[6:7], v[151:152]
	s_waitcnt vmcnt(25)
	v_fma_f64 v[155:156], v[2:3], v[183:184], -v[155:156]
	v_mul_f64 v[151:152], v[135:136], v[179:180]
	;; [unrolled: 9-line block ×5, first 2 shown]
	v_fma_f64 v[149:150], v[4:5], v[189:190], v[149:150]
	ds_read_b128 v[1:4], v1 offset:2000
	v_add_f64 v[147:148], v[147:148], v[159:160]
	s_waitcnt vmcnt(9)
	v_fma_f64 v[135:136], v[135:136], v[200:201], -v[157:158]
	v_add_f64 v[5:6], v[6:7], v[153:154]
	s_waitcnt lgkmcnt(1)
	v_mul_f64 v[153:154], v[141:142], v[196:197]
	v_mul_f64 v[7:8], v[139:140], v[196:197]
	v_fma_f64 v[137:138], v[137:138], v[200:201], v[151:152]
	s_waitcnt vmcnt(7) lgkmcnt(0)
	v_mul_f64 v[151:152], v[3:4], v[204:205]
	v_add_f64 v[147:148], v[147:148], v[155:156]
	v_add_f64 v[5:6], v[5:6], v[149:150]
	s_waitcnt vmcnt(6)
	v_fma_f64 v[139:140], v[139:140], v[198:199], -v[153:154]
	v_mul_f64 v[149:150], v[1:2], v[204:205]
	v_fma_f64 v[7:8], v[141:142], v[198:199], v[7:8]
	v_add_f64 v[135:136], v[147:148], v[135:136]
	v_add_f64 v[5:6], v[5:6], v[137:138]
	s_waitcnt vmcnt(4)
	v_fma_f64 v[1:2], v[1:2], v[145:146], -v[151:152]
	v_fma_f64 v[3:4], v[3:4], v[145:146], v[149:150]
	v_add_f64 v[135:136], v[135:136], v[139:140]
	v_add_f64 v[5:6], v[5:6], v[7:8]
	;; [unrolled: 1-line block ×4, first 2 shown]
	s_waitcnt vmcnt(2)
	v_add_f64 v[1:2], v[143:144], -v[1:2]
	s_waitcnt vmcnt(0)
	v_add_f64 v[3:4], v[206:207], -v[3:4]
	buffer_store_dword v2, off, s[0:3], 0 offset:756
	buffer_store_dword v1, off, s[0:3], 0 offset:752
	;; [unrolled: 1-line block ×4, first 2 shown]
	v_cmpx_lt_u32_e32 45, v0
	s_cbranch_execz .LBB126_313
; %bb.312:
	v_mov_b32_e32 v4, s31
	v_mov_b32_e32 v5, 0
	s_clause 0x3
	buffer_load_dword v1, v4, s[0:3], 0 offen
	buffer_load_dword v2, v4, s[0:3], 0 offen offset:4
	buffer_load_dword v3, v4, s[0:3], 0 offen offset:8
	;; [unrolled: 1-line block ×3, first 2 shown]
	buffer_store_dword v5, off, s[0:3], 0 offset:736
	buffer_store_dword v5, off, s[0:3], 0 offset:740
	;; [unrolled: 1-line block ×4, first 2 shown]
	s_waitcnt vmcnt(0)
	ds_write_b128 v195, v[1:4]
.LBB126_313:
	s_or_b32 exec_lo, exec_lo, s4
	s_waitcnt lgkmcnt(0)
	s_waitcnt_vscnt null, 0x0
	s_barrier
	buffer_gl0_inv
	s_clause 0x37
	buffer_load_dword v6, off, s[0:3], 0 offset:760
	buffer_load_dword v7, off, s[0:3], 0 offset:764
	;; [unrolled: 1-line block ×56, first 2 shown]
	v_mov_b32_e32 v1, 0
	s_mov_b32 s4, exec_lo
	ds_read_b128 v[2:5], v1 offset:1744
	s_clause 0x2
	buffer_load_dword v197, off, s[0:3], 0 offset:988
	buffer_load_dword v201, off, s[0:3], 0 offset:964
	;; [unrolled: 1-line block ×3, first 2 shown]
	ds_read_b128 v[135:138], v1 offset:1760
	s_clause 0x4
	buffer_load_dword v205, off, s[0:3], 0 offset:1004
	buffer_load_dword v206, off, s[0:3], 0 offset:1016
	;; [unrolled: 1-line block ×5, first 2 shown]
	ds_read_b128 v[139:142], v1 offset:1776
	s_waitcnt vmcnt(62) lgkmcnt(2)
	v_mul_f64 v[202:203], v[4:5], v[6:7]
	v_mul_f64 v[6:7], v[2:3], v[6:7]
	s_waitcnt vmcnt(60) lgkmcnt(1)
	v_mul_f64 v[209:210], v[137:138], v[143:144]
	v_mul_f64 v[143:144], v[135:136], v[143:144]
	;; [unrolled: 3-line block ×3, first 2 shown]
	v_fma_f64 v[202:203], v[2:3], v[145:146], -v[202:203]
	v_fma_f64 v[6:7], v[4:5], v[145:146], v[6:7]
	s_clause 0x2
	buffer_load_dword v207, off, s[0:3], 0 offset:1020
	buffer_load_dword v146, off, s[0:3], 0 offset:996
	;; [unrolled: 1-line block ×3, first 2 shown]
	s_waitcnt vmcnt(57)
	v_fma_f64 v[213:214], v[135:136], v[149:150], -v[209:210]
	ds_read_b128 v[2:5], v1 offset:1792
	v_fma_f64 v[143:144], v[137:138], v[149:150], v[143:144]
	buffer_load_dword v209, off, s[0:3], 0 offset:1012
	ds_read_b128 v[135:138], v1 offset:1808
	s_waitcnt vmcnt(52)
	v_fma_f64 v[147:148], v[139:140], v[157:158], -v[147:148]
	v_fma_f64 v[157:158], v[141:142], v[157:158], v[211:212]
	ds_read_b128 v[139:142], v1 offset:1824
	v_add_f64 v[202:203], v[202:203], 0
	v_add_f64 v[6:7], v[6:7], 0
	s_waitcnt lgkmcnt(2)
	v_mul_f64 v[149:150], v[2:3], v[151:152]
	v_mul_f64 v[151:152], v[4:5], v[151:152]
	v_add_f64 v[202:203], v[202:203], v[213:214]
	v_add_f64 v[6:7], v[6:7], v[143:144]
	s_waitcnt vmcnt(51) lgkmcnt(1)
	v_mul_f64 v[143:144], v[135:136], v[153:154]
	v_mul_f64 v[153:154], v[137:138], v[153:154]
	s_waitcnt vmcnt(49)
	v_fma_f64 v[151:152], v[2:3], v[159:160], -v[151:152]
	v_fma_f64 v[149:150], v[4:5], v[159:160], v[149:150]
	v_add_f64 v[147:148], v[202:203], v[147:148]
	v_add_f64 v[6:7], v[6:7], v[157:158]
	s_clause 0x3
	buffer_load_dword v157, off, s[0:3], 0 offset:736
	buffer_load_dword v158, off, s[0:3], 0 offset:740
	buffer_load_dword v159, off, s[0:3], 0 offset:744
	buffer_load_dword v160, off, s[0:3], 0 offset:748
	s_waitcnt vmcnt(49) lgkmcnt(0)
	v_mul_f64 v[202:203], v[139:140], v[161:162]
	v_mul_f64 v[161:162], v[141:142], v[161:162]
	s_waitcnt vmcnt(48)
	v_fma_f64 v[153:154], v[135:136], v[155:156], -v[153:154]
	ds_read_b128 v[2:5], v1 offset:1840
	v_fma_f64 v[143:144], v[137:138], v[155:156], v[143:144]
	ds_read_b128 v[135:138], v1 offset:1856
	v_add_f64 v[147:148], v[147:148], v[151:152]
	v_add_f64 v[6:7], v[6:7], v[149:150]
	s_waitcnt vmcnt(47) lgkmcnt(1)
	v_mul_f64 v[151:152], v[4:5], v[163:164]
	s_waitcnt vmcnt(45)
	v_fma_f64 v[155:156], v[139:140], v[167:168], -v[161:162]
	v_mul_f64 v[149:150], v[2:3], v[163:164]
	s_waitcnt vmcnt(41) lgkmcnt(0)
	v_mul_f64 v[161:162], v[137:138], v[169:170]
	v_add_f64 v[147:148], v[147:148], v[153:154]
	v_fma_f64 v[153:154], v[141:142], v[167:168], v[202:203]
	v_add_f64 v[6:7], v[6:7], v[143:144]
	ds_read_b128 v[139:142], v1 offset:1872
	s_waitcnt vmcnt(40)
	v_fma_f64 v[151:152], v[2:3], v[165:166], -v[151:152]
	v_mul_f64 v[143:144], v[135:136], v[169:170]
	v_fma_f64 v[149:150], v[4:5], v[165:166], v[149:150]
	ds_read_b128 v[2:5], v1 offset:1888
	s_waitcnt vmcnt(37)
	v_fma_f64 v[161:162], v[135:136], v[175:176], -v[161:162]
	v_add_f64 v[147:148], v[147:148], v[155:156]
	s_waitcnt lgkmcnt(1)
	v_mul_f64 v[155:156], v[141:142], v[171:172]
	v_add_f64 v[6:7], v[6:7], v[153:154]
	v_mul_f64 v[153:154], v[139:140], v[171:172]
	v_fma_f64 v[143:144], v[137:138], v[175:176], v[143:144]
	ds_read_b128 v[135:138], v1 offset:1904
	v_add_f64 v[147:148], v[147:148], v[151:152]
	s_waitcnt vmcnt(33) lgkmcnt(1)
	v_mul_f64 v[151:152], v[4:5], v[177:178]
	v_add_f64 v[6:7], v[6:7], v[149:150]
	s_waitcnt vmcnt(32)
	v_fma_f64 v[155:156], v[139:140], v[173:174], -v[155:156]
	v_mul_f64 v[149:150], v[2:3], v[177:178]
	v_fma_f64 v[153:154], v[141:142], v[173:174], v[153:154]
	ds_read_b128 v[139:142], v1 offset:1920
	v_add_f64 v[147:148], v[147:148], v[161:162]
	s_waitcnt vmcnt(31) lgkmcnt(1)
	v_mul_f64 v[161:162], v[137:138], v[179:180]
	v_add_f64 v[6:7], v[6:7], v[143:144]
	s_waitcnt vmcnt(29)
	v_fma_f64 v[151:152], v[2:3], v[183:184], -v[151:152]
	;; [unrolled: 9-line block ×7, first 2 shown]
	v_mul_f64 v[149:150], v[2:3], v[204:205]
	v_fma_f64 v[141:142], v[141:142], v[198:199], v[153:154]
	v_add_f64 v[147:148], v[147:148], v[161:162]
	v_add_f64 v[6:7], v[6:7], v[143:144]
	s_waitcnt vmcnt(7) lgkmcnt(0)
	v_mul_f64 v[153:154], v[137:138], v[206:207]
	v_mul_f64 v[143:144], v[135:136], v[206:207]
	s_waitcnt vmcnt(5)
	v_fma_f64 v[2:3], v[2:3], v[145:146], -v[151:152]
	v_fma_f64 v[4:5], v[4:5], v[145:146], v[149:150]
	v_add_f64 v[139:140], v[147:148], v[139:140]
	v_add_f64 v[6:7], v[6:7], v[141:142]
	s_waitcnt vmcnt(4)
	v_fma_f64 v[135:136], v[135:136], v[208:209], -v[153:154]
	v_fma_f64 v[137:138], v[137:138], v[208:209], v[143:144]
	v_add_f64 v[2:3], v[139:140], v[2:3]
	v_add_f64 v[4:5], v[6:7], v[4:5]
	;; [unrolled: 1-line block ×4, first 2 shown]
	s_waitcnt vmcnt(2)
	v_add_f64 v[2:3], v[157:158], -v[2:3]
	s_waitcnt vmcnt(0)
	v_add_f64 v[4:5], v[159:160], -v[4:5]
	buffer_store_dword v3, off, s[0:3], 0 offset:740
	buffer_store_dword v2, off, s[0:3], 0 offset:736
	;; [unrolled: 1-line block ×4, first 2 shown]
	v_cmpx_lt_u32_e32 44, v0
	s_cbranch_execz .LBB126_315
; %bb.314:
	v_mov_b32_e32 v5, s33
	s_clause 0x3
	buffer_load_dword v2, v5, s[0:3], 0 offen
	buffer_load_dword v3, v5, s[0:3], 0 offen offset:4
	buffer_load_dword v4, v5, s[0:3], 0 offen offset:8
	;; [unrolled: 1-line block ×3, first 2 shown]
	buffer_store_dword v1, off, s[0:3], 0 offset:720
	buffer_store_dword v1, off, s[0:3], 0 offset:724
	;; [unrolled: 1-line block ×4, first 2 shown]
	s_waitcnt vmcnt(0)
	ds_write_b128 v195, v[2:5]
.LBB126_315:
	s_or_b32 exec_lo, exec_lo, s4
	s_waitcnt lgkmcnt(0)
	s_waitcnt_vscnt null, 0x0
	s_barrier
	buffer_gl0_inv
	s_clause 0x37
	buffer_load_dword v6, off, s[0:3], 0 offset:744
	buffer_load_dword v7, off, s[0:3], 0 offset:748
	;; [unrolled: 1-line block ×56, first 2 shown]
	ds_read_b128 v[2:5], v1 offset:1728
	s_clause 0x2
	buffer_load_dword v197, off, s[0:3], 0 offset:972
	buffer_load_dword v201, off, s[0:3], 0 offset:948
	;; [unrolled: 1-line block ×3, first 2 shown]
	ds_read_b128 v[135:138], v1 offset:1744
	s_clause 0x4
	buffer_load_dword v205, off, s[0:3], 0 offset:988
	buffer_load_dword v206, off, s[0:3], 0 offset:1000
	;; [unrolled: 1-line block ×5, first 2 shown]
	ds_read_b128 v[139:142], v1 offset:1760
	s_mov_b32 s4, exec_lo
	s_waitcnt vmcnt(62) lgkmcnt(2)
	v_mul_f64 v[202:203], v[4:5], v[6:7]
	v_mul_f64 v[6:7], v[2:3], v[6:7]
	s_waitcnt vmcnt(60) lgkmcnt(1)
	v_mul_f64 v[209:210], v[137:138], v[143:144]
	v_mul_f64 v[143:144], v[135:136], v[143:144]
	;; [unrolled: 3-line block ×3, first 2 shown]
	v_fma_f64 v[202:203], v[2:3], v[145:146], -v[202:203]
	v_fma_f64 v[6:7], v[4:5], v[145:146], v[6:7]
	s_clause 0x2
	buffer_load_dword v207, off, s[0:3], 0 offset:1004
	buffer_load_dword v146, off, s[0:3], 0 offset:980
	;; [unrolled: 1-line block ×3, first 2 shown]
	s_waitcnt vmcnt(57)
	v_fma_f64 v[213:214], v[135:136], v[149:150], -v[209:210]
	ds_read_b128 v[2:5], v1 offset:1776
	v_fma_f64 v[143:144], v[137:138], v[149:150], v[143:144]
	s_clause 0x2
	buffer_load_dword v150, off, s[0:3], 0 offset:1020
	buffer_load_dword v149, off, s[0:3], 0 offset:1016
	;; [unrolled: 1-line block ×3, first 2 shown]
	s_waitcnt vmcnt(54)
	v_fma_f64 v[147:148], v[139:140], v[157:158], -v[147:148]
	ds_read_b128 v[135:138], v1 offset:1792
	v_fma_f64 v[157:158], v[141:142], v[157:158], v[211:212]
	v_add_f64 v[202:203], v[202:203], 0
	v_add_f64 v[6:7], v[6:7], 0
	s_waitcnt lgkmcnt(1)
	v_mul_f64 v[215:216], v[2:3], v[151:152]
	v_mul_f64 v[151:152], v[4:5], v[151:152]
	s_waitcnt vmcnt(53) lgkmcnt(0)
	v_mul_f64 v[210:211], v[135:136], v[153:154]
	v_mul_f64 v[153:154], v[137:138], v[153:154]
	v_add_f64 v[202:203], v[202:203], v[213:214]
	v_add_f64 v[6:7], v[6:7], v[143:144]
	s_clause 0x1
	buffer_load_dword v144, off, s[0:3], 0 offset:1012
	buffer_load_dword v143, off, s[0:3], 0 offset:1008
	s_waitcnt vmcnt(53)
	v_fma_f64 v[151:152], v[2:3], v[159:160], -v[151:152]
	ds_read_b128 v[139:142], v1 offset:1808
	v_fma_f64 v[159:160], v[4:5], v[159:160], v[215:216]
	ds_read_b128 v[2:5], v1 offset:1824
	s_waitcnt vmcnt(48)
	v_fma_f64 v[153:154], v[135:136], v[155:156], -v[153:154]
	v_add_f64 v[147:148], v[202:203], v[147:148]
	v_add_f64 v[6:7], v[6:7], v[157:158]
	s_waitcnt lgkmcnt(1)
	v_mul_f64 v[157:158], v[139:140], v[161:162]
	v_mul_f64 v[161:162], v[141:142], v[161:162]
	s_waitcnt vmcnt(47) lgkmcnt(0)
	v_mul_f64 v[202:203], v[2:3], v[163:164]
	v_mul_f64 v[163:164], v[4:5], v[163:164]
	v_add_f64 v[147:148], v[147:148], v[151:152]
	v_fma_f64 v[151:152], v[137:138], v[155:156], v[210:211]
	v_add_f64 v[6:7], v[6:7], v[159:160]
	s_clause 0x3
	buffer_load_dword v155, off, s[0:3], 0 offset:720
	buffer_load_dword v156, off, s[0:3], 0 offset:724
	;; [unrolled: 1-line block ×4, first 2 shown]
	s_waitcnt vmcnt(49)
	v_fma_f64 v[161:162], v[139:140], v[167:168], -v[161:162]
	ds_read_b128 v[135:138], v1 offset:1840
	s_waitcnt vmcnt(44)
	v_fma_f64 v[163:164], v[2:3], v[165:166], -v[163:164]
	v_add_f64 v[147:148], v[147:148], v[153:154]
	v_fma_f64 v[153:154], v[141:142], v[167:168], v[157:158]
	v_add_f64 v[6:7], v[6:7], v[151:152]
	ds_read_b128 v[139:142], v1 offset:1856
	s_waitcnt lgkmcnt(1)
	v_mul_f64 v[157:158], v[137:138], v[169:170]
	v_mul_f64 v[151:152], v[135:136], v[169:170]
	v_add_f64 v[147:148], v[147:148], v[161:162]
	v_fma_f64 v[161:162], v[4:5], v[165:166], v[202:203]
	v_add_f64 v[6:7], v[6:7], v[153:154]
	s_waitcnt vmcnt(43) lgkmcnt(0)
	v_mul_f64 v[165:166], v[141:142], v[171:172]
	s_waitcnt vmcnt(41)
	v_fma_f64 v[157:158], v[135:136], v[175:176], -v[157:158]
	ds_read_b128 v[2:5], v1 offset:1872
	v_mul_f64 v[153:154], v[139:140], v[171:172]
	v_fma_f64 v[151:152], v[137:138], v[175:176], v[151:152]
	ds_read_b128 v[135:138], v1 offset:1888
	v_add_f64 v[147:148], v[147:148], v[163:164]
	v_add_f64 v[6:7], v[6:7], v[161:162]
	s_waitcnt vmcnt(37) lgkmcnt(1)
	v_mul_f64 v[163:164], v[4:5], v[177:178]
	s_waitcnt vmcnt(36)
	v_fma_f64 v[165:166], v[139:140], v[173:174], -v[165:166]
	v_mul_f64 v[161:162], v[2:3], v[177:178]
	v_fma_f64 v[153:154], v[141:142], v[173:174], v[153:154]
	ds_read_b128 v[139:142], v1 offset:1904
	v_add_f64 v[147:148], v[147:148], v[157:158]
	s_waitcnt vmcnt(35) lgkmcnt(1)
	v_mul_f64 v[157:158], v[137:138], v[179:180]
	v_add_f64 v[6:7], v[6:7], v[151:152]
	s_waitcnt vmcnt(33)
	v_fma_f64 v[163:164], v[2:3], v[183:184], -v[163:164]
	v_mul_f64 v[151:152], v[135:136], v[179:180]
	v_fma_f64 v[161:162], v[4:5], v[183:184], v[161:162]
	ds_read_b128 v[2:5], v1 offset:1920
	v_add_f64 v[147:148], v[147:148], v[165:166]
	s_waitcnt vmcnt(29) lgkmcnt(1)
	v_mul_f64 v[165:166], v[141:142], v[185:186]
	v_add_f64 v[6:7], v[6:7], v[153:154]
	;; [unrolled: 9-line block ×6, first 2 shown]
	s_waitcnt vmcnt(12)
	v_fma_f64 v[165:166], v[139:140], v[198:199], -v[165:166]
	v_mul_f64 v[161:162], v[2:3], v[204:205]
	v_fma_f64 v[153:154], v[141:142], v[198:199], v[153:154]
	ds_read_b128 v[139:142], v1 offset:2000
	v_add_f64 v[147:148], v[147:148], v[157:158]
	v_add_f64 v[6:7], v[6:7], v[151:152]
	s_waitcnt vmcnt(11) lgkmcnt(1)
	v_mul_f64 v[157:158], v[137:138], v[206:207]
	v_mul_f64 v[151:152], v[135:136], v[206:207]
	s_waitcnt vmcnt(9)
	v_fma_f64 v[1:2], v[2:3], v[145:146], -v[163:164]
	v_fma_f64 v[3:4], v[4:5], v[145:146], v[161:162]
	s_waitcnt vmcnt(7) lgkmcnt(0)
	v_mul_f64 v[145:146], v[141:142], v[149:150]
	v_add_f64 v[147:148], v[147:148], v[165:166]
	v_add_f64 v[5:6], v[6:7], v[153:154]
	v_mul_f64 v[7:8], v[139:140], v[149:150]
	s_waitcnt vmcnt(6)
	v_fma_f64 v[135:136], v[135:136], v[208:209], -v[157:158]
	v_fma_f64 v[137:138], v[137:138], v[208:209], v[151:152]
	v_add_f64 v[1:2], v[147:148], v[1:2]
	v_add_f64 v[3:4], v[5:6], v[3:4]
	s_waitcnt vmcnt(4)
	v_fma_f64 v[5:6], v[139:140], v[143:144], -v[145:146]
	v_fma_f64 v[7:8], v[141:142], v[143:144], v[7:8]
	v_add_f64 v[1:2], v[1:2], v[135:136]
	v_add_f64 v[3:4], v[3:4], v[137:138]
	;; [unrolled: 1-line block ×4, first 2 shown]
	s_waitcnt vmcnt(2)
	v_add_f64 v[1:2], v[155:156], -v[1:2]
	s_waitcnt vmcnt(0)
	v_add_f64 v[3:4], v[159:160], -v[3:4]
	buffer_store_dword v2, off, s[0:3], 0 offset:724
	buffer_store_dword v1, off, s[0:3], 0 offset:720
	buffer_store_dword v4, off, s[0:3], 0 offset:732
	buffer_store_dword v3, off, s[0:3], 0 offset:728
	v_cmpx_lt_u32_e32 43, v0
	s_cbranch_execz .LBB126_317
; %bb.316:
	v_mov_b32_e32 v4, s34
	v_mov_b32_e32 v5, 0
	s_clause 0x3
	buffer_load_dword v1, v4, s[0:3], 0 offen
	buffer_load_dword v2, v4, s[0:3], 0 offen offset:4
	buffer_load_dword v3, v4, s[0:3], 0 offen offset:8
	;; [unrolled: 1-line block ×3, first 2 shown]
	buffer_store_dword v5, off, s[0:3], 0 offset:704
	buffer_store_dword v5, off, s[0:3], 0 offset:708
	;; [unrolled: 1-line block ×4, first 2 shown]
	s_waitcnt vmcnt(0)
	ds_write_b128 v195, v[1:4]
.LBB126_317:
	s_or_b32 exec_lo, exec_lo, s4
	s_waitcnt lgkmcnt(0)
	s_waitcnt_vscnt null, 0x0
	s_barrier
	buffer_gl0_inv
	s_clause 0x37
	buffer_load_dword v6, off, s[0:3], 0 offset:728
	buffer_load_dword v7, off, s[0:3], 0 offset:732
	;; [unrolled: 1-line block ×56, first 2 shown]
	v_mov_b32_e32 v1, 0
	s_mov_b32 s4, exec_lo
	ds_read_b128 v[2:5], v1 offset:1712
	s_clause 0x2
	buffer_load_dword v197, off, s[0:3], 0 offset:956
	buffer_load_dword v201, off, s[0:3], 0 offset:932
	;; [unrolled: 1-line block ×3, first 2 shown]
	ds_read_b128 v[135:138], v1 offset:1728
	s_clause 0x4
	buffer_load_dword v205, off, s[0:3], 0 offset:972
	buffer_load_dword v206, off, s[0:3], 0 offset:984
	;; [unrolled: 1-line block ×5, first 2 shown]
	ds_read_b128 v[139:142], v1 offset:1744
	s_waitcnt vmcnt(62) lgkmcnt(2)
	v_mul_f64 v[202:203], v[4:5], v[6:7]
	v_mul_f64 v[6:7], v[2:3], v[6:7]
	s_waitcnt vmcnt(60) lgkmcnt(1)
	v_mul_f64 v[209:210], v[137:138], v[143:144]
	v_mul_f64 v[143:144], v[135:136], v[143:144]
	s_waitcnt vmcnt(56) lgkmcnt(0)
	v_mul_f64 v[211:212], v[139:140], v[147:148]
	v_mul_f64 v[147:148], v[141:142], v[147:148]
	v_fma_f64 v[202:203], v[2:3], v[145:146], -v[202:203]
	v_fma_f64 v[6:7], v[4:5], v[145:146], v[6:7]
	s_clause 0x2
	buffer_load_dword v207, off, s[0:3], 0 offset:988
	buffer_load_dword v146, off, s[0:3], 0 offset:964
	;; [unrolled: 1-line block ×3, first 2 shown]
	s_waitcnt vmcnt(57)
	v_fma_f64 v[213:214], v[135:136], v[149:150], -v[209:210]
	ds_read_b128 v[2:5], v1 offset:1760
	v_fma_f64 v[143:144], v[137:138], v[149:150], v[143:144]
	s_clause 0x4
	buffer_load_dword v150, off, s[0:3], 0 offset:1004
	buffer_load_dword v210, off, s[0:3], 0 offset:1016
	;; [unrolled: 1-line block ×5, first 2 shown]
	s_waitcnt vmcnt(56)
	v_fma_f64 v[147:148], v[139:140], v[157:158], -v[147:148]
	ds_read_b128 v[135:138], v1 offset:1776
	v_fma_f64 v[157:158], v[141:142], v[157:158], v[211:212]
	v_add_f64 v[202:203], v[202:203], 0
	v_add_f64 v[6:7], v[6:7], 0
	s_waitcnt lgkmcnt(1)
	v_mul_f64 v[216:217], v[2:3], v[151:152]
	v_mul_f64 v[151:152], v[4:5], v[151:152]
	v_add_f64 v[202:203], v[202:203], v[213:214]
	v_add_f64 v[6:7], v[6:7], v[143:144]
	s_clause 0x2
	buffer_load_dword v211, off, s[0:3], 0 offset:1020
	buffer_load_dword v144, off, s[0:3], 0 offset:996
	;; [unrolled: 1-line block ×3, first 2 shown]
	s_waitcnt vmcnt(58) lgkmcnt(0)
	v_mul_f64 v[212:213], v[135:136], v[153:154]
	v_mul_f64 v[153:154], v[137:138], v[153:154]
	s_waitcnt vmcnt(56)
	v_fma_f64 v[151:152], v[2:3], v[159:160], -v[151:152]
	ds_read_b128 v[139:142], v1 offset:1792
	v_fma_f64 v[159:160], v[4:5], v[159:160], v[216:217]
	buffer_load_dword v216, off, s[0:3], 0 offset:1012
	ds_read_b128 v[2:5], v1 offset:1808
	v_add_f64 v[147:148], v[202:203], v[147:148]
	v_add_f64 v[6:7], v[6:7], v[157:158]
	s_waitcnt vmcnt(53) lgkmcnt(1)
	v_mul_f64 v[157:158], v[139:140], v[161:162]
	v_mul_f64 v[161:162], v[141:142], v[161:162]
	s_waitcnt vmcnt(52)
	v_fma_f64 v[153:154], v[135:136], v[155:156], -v[153:154]
	v_add_f64 v[147:148], v[147:148], v[151:152]
	v_fma_f64 v[151:152], v[137:138], v[155:156], v[212:213]
	v_add_f64 v[6:7], v[6:7], v[159:160]
	s_waitcnt vmcnt(51) lgkmcnt(0)
	v_mul_f64 v[159:160], v[4:5], v[163:164]
	ds_read_b128 v[135:138], v1 offset:1824
	s_waitcnt vmcnt(49)
	v_fma_f64 v[161:162], v[139:140], v[167:168], -v[161:162]
	v_mul_f64 v[155:156], v[2:3], v[163:164]
	v_add_f64 v[147:148], v[147:148], v[153:154]
	v_fma_f64 v[153:154], v[141:142], v[167:168], v[157:158]
	v_add_f64 v[6:7], v[6:7], v[151:152]
	s_clause 0x3
	buffer_load_dword v151, off, s[0:3], 0 offset:704
	buffer_load_dword v152, off, s[0:3], 0 offset:708
	;; [unrolled: 1-line block ×4, first 2 shown]
	s_waitcnt vmcnt(49) lgkmcnt(0)
	v_mul_f64 v[167:168], v[137:138], v[169:170]
	s_waitcnt vmcnt(48)
	v_fma_f64 v[159:160], v[2:3], v[165:166], -v[159:160]
	ds_read_b128 v[139:142], v1 offset:1840
	v_mul_f64 v[163:164], v[135:136], v[169:170]
	v_fma_f64 v[155:156], v[4:5], v[165:166], v[155:156]
	ds_read_b128 v[2:5], v1 offset:1856
	v_add_f64 v[147:148], v[147:148], v[161:162]
	v_add_f64 v[6:7], v[6:7], v[153:154]
	s_waitcnt vmcnt(47) lgkmcnt(1)
	v_mul_f64 v[161:162], v[141:142], v[171:172]
	s_waitcnt vmcnt(45)
	v_fma_f64 v[165:166], v[135:136], v[175:176], -v[167:168]
	v_mul_f64 v[153:154], v[139:140], v[171:172]
	v_add_f64 v[147:148], v[147:148], v[159:160]
	v_fma_f64 v[159:160], v[137:138], v[175:176], v[163:164]
	v_add_f64 v[6:7], v[6:7], v[155:156]
	s_waitcnt vmcnt(41) lgkmcnt(0)
	v_mul_f64 v[163:164], v[4:5], v[177:178]
	s_waitcnt vmcnt(40)
	v_fma_f64 v[161:162], v[139:140], v[173:174], -v[161:162]
	ds_read_b128 v[135:138], v1 offset:1872
	v_mul_f64 v[155:156], v[2:3], v[177:178]
	v_fma_f64 v[153:154], v[141:142], v[173:174], v[153:154]
	ds_read_b128 v[139:142], v1 offset:1888
	v_add_f64 v[147:148], v[147:148], v[165:166]
	v_add_f64 v[6:7], v[6:7], v[159:160]
	s_waitcnt vmcnt(39) lgkmcnt(1)
	v_mul_f64 v[165:166], v[137:138], v[179:180]
	s_waitcnt vmcnt(37)
	v_fma_f64 v[163:164], v[2:3], v[183:184], -v[163:164]
	v_mul_f64 v[159:160], v[135:136], v[179:180]
	v_fma_f64 v[155:156], v[4:5], v[183:184], v[155:156]
	ds_read_b128 v[2:5], v1 offset:1904
	v_add_f64 v[147:148], v[147:148], v[161:162]
	s_waitcnt vmcnt(33) lgkmcnt(1)
	v_mul_f64 v[161:162], v[141:142], v[185:186]
	v_add_f64 v[6:7], v[6:7], v[153:154]
	s_waitcnt vmcnt(32)
	v_fma_f64 v[165:166], v[135:136], v[181:182], -v[165:166]
	v_mul_f64 v[153:154], v[139:140], v[185:186]
	v_fma_f64 v[159:160], v[137:138], v[181:182], v[159:160]
	ds_read_b128 v[135:138], v1 offset:1920
	v_add_f64 v[147:148], v[147:148], v[163:164]
	s_waitcnt vmcnt(31) lgkmcnt(1)
	v_mul_f64 v[163:164], v[4:5], v[187:188]
	v_add_f64 v[6:7], v[6:7], v[155:156]
	;; [unrolled: 9-line block ×5, first 2 shown]
	s_waitcnt vmcnt(16)
	v_fma_f64 v[161:162], v[139:140], v[198:199], -v[161:162]
	v_mul_f64 v[155:156], v[2:3], v[204:205]
	v_fma_f64 v[153:154], v[141:142], v[198:199], v[153:154]
	ds_read_b128 v[139:142], v1 offset:1984
	v_add_f64 v[147:148], v[147:148], v[165:166]
	v_add_f64 v[6:7], v[6:7], v[159:160]
	s_waitcnt vmcnt(15) lgkmcnt(1)
	v_mul_f64 v[165:166], v[137:138], v[206:207]
	v_mul_f64 v[159:160], v[135:136], v[206:207]
	s_waitcnt vmcnt(13)
	v_fma_f64 v[163:164], v[2:3], v[145:146], -v[163:164]
	v_fma_f64 v[145:146], v[4:5], v[145:146], v[155:156]
	ds_read_b128 v[2:5], v1 offset:2000
	v_add_f64 v[147:148], v[147:148], v[161:162]
	v_add_f64 v[6:7], v[6:7], v[153:154]
	s_waitcnt vmcnt(9) lgkmcnt(1)
	v_mul_f64 v[153:154], v[139:140], v[149:150]
	v_mul_f64 v[149:150], v[141:142], v[149:150]
	s_waitcnt vmcnt(8)
	v_fma_f64 v[135:136], v[135:136], v[208:209], -v[165:166]
	v_fma_f64 v[137:138], v[137:138], v[208:209], v[159:160]
	v_add_f64 v[147:148], v[147:148], v[163:164]
	v_add_f64 v[6:7], v[6:7], v[145:146]
	s_waitcnt vmcnt(7) lgkmcnt(0)
	v_mul_f64 v[155:156], v[4:5], v[210:211]
	v_mul_f64 v[145:146], v[2:3], v[210:211]
	s_waitcnt vmcnt(5)
	v_fma_f64 v[139:140], v[139:140], v[143:144], -v[149:150]
	v_fma_f64 v[141:142], v[141:142], v[143:144], v[153:154]
	v_add_f64 v[135:136], v[147:148], v[135:136]
	v_add_f64 v[6:7], v[6:7], v[137:138]
	s_waitcnt vmcnt(4)
	v_fma_f64 v[2:3], v[2:3], v[215:216], -v[155:156]
	v_fma_f64 v[4:5], v[4:5], v[215:216], v[145:146]
	v_add_f64 v[135:136], v[135:136], v[139:140]
	v_add_f64 v[6:7], v[6:7], v[141:142]
	;; [unrolled: 1-line block ×4, first 2 shown]
	s_waitcnt vmcnt(2)
	v_add_f64 v[2:3], v[151:152], -v[2:3]
	s_waitcnt vmcnt(0)
	v_add_f64 v[4:5], v[157:158], -v[4:5]
	buffer_store_dword v3, off, s[0:3], 0 offset:708
	buffer_store_dword v2, off, s[0:3], 0 offset:704
	;; [unrolled: 1-line block ×4, first 2 shown]
	v_cmpx_lt_u32_e32 42, v0
	s_cbranch_execz .LBB126_319
; %bb.318:
	v_mov_b32_e32 v5, s35
	s_clause 0x3
	buffer_load_dword v2, v5, s[0:3], 0 offen
	buffer_load_dword v3, v5, s[0:3], 0 offen offset:4
	buffer_load_dword v4, v5, s[0:3], 0 offen offset:8
	;; [unrolled: 1-line block ×3, first 2 shown]
	buffer_store_dword v1, off, s[0:3], 0 offset:688
	buffer_store_dword v1, off, s[0:3], 0 offset:692
	;; [unrolled: 1-line block ×4, first 2 shown]
	s_waitcnt vmcnt(0)
	ds_write_b128 v195, v[2:5]
.LBB126_319:
	s_or_b32 exec_lo, exec_lo, s4
	s_waitcnt lgkmcnt(0)
	s_waitcnt_vscnt null, 0x0
	s_barrier
	buffer_gl0_inv
	s_clause 0x37
	buffer_load_dword v6, off, s[0:3], 0 offset:712
	buffer_load_dword v7, off, s[0:3], 0 offset:716
	buffer_load_dword v143, off, s[0:3], 0 offset:728
	buffer_load_dword v144, off, s[0:3], 0 offset:732
	buffer_load_dword v145, off, s[0:3], 0 offset:704
	buffer_load_dword v146, off, s[0:3], 0 offset:708
	buffer_load_dword v147, off, s[0:3], 0 offset:744
	buffer_load_dword v148, off, s[0:3], 0 offset:748
	buffer_load_dword v149, off, s[0:3], 0 offset:720
	buffer_load_dword v150, off, s[0:3], 0 offset:724
	buffer_load_dword v152, off, s[0:3], 0 offset:764
	buffer_load_dword v153, off, s[0:3], 0 offset:776
	buffer_load_dword v155, off, s[0:3], 0 offset:768
	buffer_load_dword v151, off, s[0:3], 0 offset:760
	buffer_load_dword v157, off, s[0:3], 0 offset:736
	buffer_load_dword v158, off, s[0:3], 0 offset:740
	buffer_load_dword v154, off, s[0:3], 0 offset:780
	buffer_load_dword v160, off, s[0:3], 0 offset:756
	buffer_load_dword v159, off, s[0:3], 0 offset:752
	buffer_load_dword v162, off, s[0:3], 0 offset:796
	buffer_load_dword v163, off, s[0:3], 0 offset:808
	buffer_load_dword v165, off, s[0:3], 0 offset:800
	buffer_load_dword v161, off, s[0:3], 0 offset:792
	buffer_load_dword v156, off, s[0:3], 0 offset:772
	buffer_load_dword v164, off, s[0:3], 0 offset:812
	buffer_load_dword v168, off, s[0:3], 0 offset:788
	buffer_load_dword v167, off, s[0:3], 0 offset:784
	buffer_load_dword v170, off, s[0:3], 0 offset:828
	buffer_load_dword v171, off, s[0:3], 0 offset:840
	buffer_load_dword v173, off, s[0:3], 0 offset:832
	buffer_load_dword v169, off, s[0:3], 0 offset:824
	buffer_load_dword v166, off, s[0:3], 0 offset:804
	buffer_load_dword v172, off, s[0:3], 0 offset:844
	buffer_load_dword v176, off, s[0:3], 0 offset:820
	buffer_load_dword v175, off, s[0:3], 0 offset:816
	buffer_load_dword v178, off, s[0:3], 0 offset:860
	buffer_load_dword v179, off, s[0:3], 0 offset:872
	buffer_load_dword v181, off, s[0:3], 0 offset:864
	buffer_load_dword v177, off, s[0:3], 0 offset:856
	buffer_load_dword v174, off, s[0:3], 0 offset:836
	buffer_load_dword v180, off, s[0:3], 0 offset:876
	buffer_load_dword v184, off, s[0:3], 0 offset:852
	buffer_load_dword v183, off, s[0:3], 0 offset:848
	buffer_load_dword v186, off, s[0:3], 0 offset:892
	buffer_load_dword v187, off, s[0:3], 0 offset:904
	buffer_load_dword v189, off, s[0:3], 0 offset:896
	buffer_load_dword v185, off, s[0:3], 0 offset:888
	buffer_load_dword v182, off, s[0:3], 0 offset:868
	buffer_load_dword v188, off, s[0:3], 0 offset:908
	buffer_load_dword v192, off, s[0:3], 0 offset:884
	buffer_load_dword v191, off, s[0:3], 0 offset:880
	buffer_load_dword v194, off, s[0:3], 0 offset:924
	buffer_load_dword v196, off, s[0:3], 0 offset:936
	buffer_load_dword v198, off, s[0:3], 0 offset:928
	buffer_load_dword v193, off, s[0:3], 0 offset:920
	buffer_load_dword v190, off, s[0:3], 0 offset:900
	ds_read_b128 v[2:5], v1 offset:1696
	s_clause 0x2
	buffer_load_dword v197, off, s[0:3], 0 offset:940
	buffer_load_dword v201, off, s[0:3], 0 offset:916
	;; [unrolled: 1-line block ×3, first 2 shown]
	ds_read_b128 v[135:138], v1 offset:1712
	s_clause 0x4
	buffer_load_dword v205, off, s[0:3], 0 offset:956
	buffer_load_dword v206, off, s[0:3], 0 offset:968
	;; [unrolled: 1-line block ×5, first 2 shown]
	ds_read_b128 v[139:142], v1 offset:1728
	s_mov_b32 s4, exec_lo
	s_waitcnt vmcnt(62) lgkmcnt(2)
	v_mul_f64 v[202:203], v[4:5], v[6:7]
	v_mul_f64 v[6:7], v[2:3], v[6:7]
	s_waitcnt vmcnt(60) lgkmcnt(1)
	v_mul_f64 v[209:210], v[137:138], v[143:144]
	v_mul_f64 v[143:144], v[135:136], v[143:144]
	;; [unrolled: 3-line block ×3, first 2 shown]
	v_fma_f64 v[202:203], v[2:3], v[145:146], -v[202:203]
	v_fma_f64 v[6:7], v[4:5], v[145:146], v[6:7]
	s_clause 0x2
	buffer_load_dword v207, off, s[0:3], 0 offset:972
	buffer_load_dword v146, off, s[0:3], 0 offset:948
	buffer_load_dword v145, off, s[0:3], 0 offset:944
	s_waitcnt vmcnt(57)
	v_fma_f64 v[213:214], v[135:136], v[149:150], -v[209:210]
	ds_read_b128 v[2:5], v1 offset:1744
	v_fma_f64 v[143:144], v[137:138], v[149:150], v[143:144]
	s_clause 0x4
	buffer_load_dword v150, off, s[0:3], 0 offset:988
	buffer_load_dword v210, off, s[0:3], 0 offset:1000
	;; [unrolled: 1-line block ×5, first 2 shown]
	s_waitcnt vmcnt(56)
	v_fma_f64 v[147:148], v[139:140], v[157:158], -v[147:148]
	ds_read_b128 v[135:138], v1 offset:1760
	v_fma_f64 v[157:158], v[141:142], v[157:158], v[211:212]
	v_add_f64 v[202:203], v[202:203], 0
	v_add_f64 v[6:7], v[6:7], 0
	s_waitcnt lgkmcnt(1)
	v_mul_f64 v[216:217], v[2:3], v[151:152]
	v_mul_f64 v[151:152], v[4:5], v[151:152]
	v_add_f64 v[202:203], v[202:203], v[213:214]
	v_add_f64 v[6:7], v[6:7], v[143:144]
	s_clause 0x2
	buffer_load_dword v211, off, s[0:3], 0 offset:1004
	buffer_load_dword v144, off, s[0:3], 0 offset:980
	;; [unrolled: 1-line block ×3, first 2 shown]
	s_waitcnt vmcnt(58) lgkmcnt(0)
	v_mul_f64 v[212:213], v[135:136], v[153:154]
	v_mul_f64 v[153:154], v[137:138], v[153:154]
	s_waitcnt vmcnt(56)
	v_fma_f64 v[151:152], v[2:3], v[159:160], -v[151:152]
	ds_read_b128 v[139:142], v1 offset:1776
	v_fma_f64 v[159:160], v[4:5], v[159:160], v[216:217]
	v_add_f64 v[147:148], v[202:203], v[147:148]
	v_add_f64 v[6:7], v[6:7], v[157:158]
	s_clause 0x2
	buffer_load_dword v158, off, s[0:3], 0 offset:1020
	buffer_load_dword v157, off, s[0:3], 0 offset:1016
	;; [unrolled: 1-line block ×3, first 2 shown]
	ds_read_b128 v[2:5], v1 offset:1792
	s_waitcnt vmcnt(55) lgkmcnt(1)
	v_mul_f64 v[202:203], v[139:140], v[161:162]
	v_mul_f64 v[161:162], v[141:142], v[161:162]
	s_waitcnt vmcnt(54)
	v_fma_f64 v[153:154], v[135:136], v[155:156], -v[153:154]
	v_add_f64 v[147:148], v[147:148], v[151:152]
	v_fma_f64 v[151:152], v[137:138], v[155:156], v[212:213]
	v_add_f64 v[6:7], v[6:7], v[159:160]
	s_clause 0x1
	buffer_load_dword v156, off, s[0:3], 0 offset:1012
	buffer_load_dword v155, off, s[0:3], 0 offset:1008
	s_waitcnt vmcnt(55) lgkmcnt(0)
	v_mul_f64 v[159:160], v[2:3], v[163:164]
	v_mul_f64 v[163:164], v[4:5], v[163:164]
	s_waitcnt vmcnt(53)
	v_fma_f64 v[161:162], v[139:140], v[167:168], -v[161:162]
	ds_read_b128 v[135:138], v1 offset:1808
	v_add_f64 v[147:148], v[147:148], v[153:154]
	v_fma_f64 v[153:154], v[141:142], v[167:168], v[202:203]
	v_add_f64 v[6:7], v[6:7], v[151:152]
	ds_read_b128 v[139:142], v1 offset:1824
	s_waitcnt vmcnt(48)
	v_fma_f64 v[159:160], v[4:5], v[165:166], v[159:160]
	s_waitcnt lgkmcnt(1)
	v_mul_f64 v[167:168], v[137:138], v[169:170]
	v_fma_f64 v[163:164], v[2:3], v[165:166], -v[163:164]
	v_mul_f64 v[151:152], v[135:136], v[169:170]
	v_add_f64 v[147:148], v[147:148], v[161:162]
	s_waitcnt vmcnt(47) lgkmcnt(0)
	v_mul_f64 v[169:170], v[141:142], v[171:172]
	v_add_f64 v[6:7], v[6:7], v[153:154]
	s_clause 0x3
	buffer_load_dword v153, off, s[0:3], 0 offset:688
	buffer_load_dword v154, off, s[0:3], 0 offset:692
	buffer_load_dword v161, off, s[0:3], 0 offset:696
	buffer_load_dword v162, off, s[0:3], 0 offset:700
	ds_read_b128 v[2:5], v1 offset:1840
	s_waitcnt vmcnt(49)
	v_fma_f64 v[167:168], v[135:136], v[175:176], -v[167:168]
	v_mul_f64 v[165:166], v[139:140], v[171:172]
	v_fma_f64 v[151:152], v[137:138], v[175:176], v[151:152]
	ds_read_b128 v[135:138], v1 offset:1856
	v_add_f64 v[147:148], v[147:148], v[163:164]
	s_waitcnt vmcnt(44)
	v_fma_f64 v[169:170], v[139:140], v[173:174], -v[169:170]
	v_add_f64 v[6:7], v[6:7], v[159:160]
	s_waitcnt lgkmcnt(1)
	v_mul_f64 v[163:164], v[4:5], v[177:178]
	v_mul_f64 v[159:160], v[2:3], v[177:178]
	v_fma_f64 v[165:166], v[141:142], v[173:174], v[165:166]
	ds_read_b128 v[139:142], v1 offset:1872
	v_add_f64 v[147:148], v[147:148], v[167:168]
	s_waitcnt vmcnt(43) lgkmcnt(1)
	v_mul_f64 v[167:168], v[137:138], v[179:180]
	v_add_f64 v[6:7], v[6:7], v[151:152]
	s_waitcnt vmcnt(41)
	v_fma_f64 v[163:164], v[2:3], v[183:184], -v[163:164]
	v_mul_f64 v[151:152], v[135:136], v[179:180]
	v_fma_f64 v[159:160], v[4:5], v[183:184], v[159:160]
	ds_read_b128 v[2:5], v1 offset:1888
	v_add_f64 v[147:148], v[147:148], v[169:170]
	s_waitcnt vmcnt(37) lgkmcnt(1)
	v_mul_f64 v[169:170], v[141:142], v[185:186]
	v_add_f64 v[6:7], v[6:7], v[165:166]
	s_waitcnt vmcnt(36)
	v_fma_f64 v[167:168], v[135:136], v[181:182], -v[167:168]
	;; [unrolled: 9-line block ×6, first 2 shown]
	v_mul_f64 v[159:160], v[2:3], v[204:205]
	v_fma_f64 v[165:166], v[141:142], v[198:199], v[165:166]
	ds_read_b128 v[139:142], v1 offset:1968
	v_add_f64 v[147:148], v[147:148], v[167:168]
	v_add_f64 v[6:7], v[6:7], v[151:152]
	s_waitcnt vmcnt(19) lgkmcnt(1)
	v_mul_f64 v[167:168], v[137:138], v[206:207]
	v_mul_f64 v[151:152], v[135:136], v[206:207]
	s_waitcnt vmcnt(17)
	v_fma_f64 v[163:164], v[2:3], v[145:146], -v[163:164]
	v_fma_f64 v[145:146], v[4:5], v[145:146], v[159:160]
	ds_read_b128 v[2:5], v1 offset:1984
	s_waitcnt vmcnt(13) lgkmcnt(1)
	v_mul_f64 v[159:160], v[139:140], v[149:150]
	v_mul_f64 v[149:150], v[141:142], v[149:150]
	v_add_f64 v[147:148], v[147:148], v[169:170]
	v_add_f64 v[6:7], v[6:7], v[165:166]
	s_waitcnt vmcnt(12)
	v_fma_f64 v[165:166], v[135:136], v[208:209], -v[167:168]
	v_fma_f64 v[151:152], v[137:138], v[208:209], v[151:152]
	ds_read_b128 v[135:138], v1 offset:2000
	v_add_f64 v[147:148], v[147:148], v[163:164]
	v_add_f64 v[6:7], v[6:7], v[145:146]
	s_waitcnt vmcnt(11) lgkmcnt(1)
	v_mul_f64 v[163:164], v[4:5], v[210:211]
	v_mul_f64 v[145:146], v[2:3], v[210:211]
	s_waitcnt vmcnt(9)
	v_fma_f64 v[139:140], v[139:140], v[143:144], -v[149:150]
	v_fma_f64 v[141:142], v[141:142], v[143:144], v[159:160]
	v_add_f64 v[147:148], v[147:148], v[165:166]
	v_add_f64 v[6:7], v[6:7], v[151:152]
	s_waitcnt vmcnt(7) lgkmcnt(0)
	v_mul_f64 v[149:150], v[137:138], v[157:158]
	s_waitcnt vmcnt(6)
	v_fma_f64 v[1:2], v[2:3], v[215:216], -v[163:164]
	v_mul_f64 v[143:144], v[135:136], v[157:158]
	v_fma_f64 v[3:4], v[4:5], v[215:216], v[145:146]
	v_add_f64 v[139:140], v[147:148], v[139:140]
	v_add_f64 v[5:6], v[6:7], v[141:142]
	s_waitcnt vmcnt(4)
	v_fma_f64 v[7:8], v[135:136], v[155:156], -v[149:150]
	v_fma_f64 v[135:136], v[137:138], v[155:156], v[143:144]
	v_add_f64 v[1:2], v[139:140], v[1:2]
	v_add_f64 v[3:4], v[5:6], v[3:4]
	;; [unrolled: 1-line block ×4, first 2 shown]
	s_waitcnt vmcnt(2)
	v_add_f64 v[1:2], v[153:154], -v[1:2]
	s_waitcnt vmcnt(0)
	v_add_f64 v[3:4], v[161:162], -v[3:4]
	buffer_store_dword v2, off, s[0:3], 0 offset:692
	buffer_store_dword v1, off, s[0:3], 0 offset:688
	;; [unrolled: 1-line block ×4, first 2 shown]
	v_cmpx_lt_u32_e32 41, v0
	s_cbranch_execz .LBB126_321
; %bb.320:
	v_mov_b32_e32 v4, s36
	v_mov_b32_e32 v5, 0
	s_clause 0x3
	buffer_load_dword v1, v4, s[0:3], 0 offen
	buffer_load_dword v2, v4, s[0:3], 0 offen offset:4
	buffer_load_dword v3, v4, s[0:3], 0 offen offset:8
	;; [unrolled: 1-line block ×3, first 2 shown]
	buffer_store_dword v5, off, s[0:3], 0 offset:672
	buffer_store_dword v5, off, s[0:3], 0 offset:676
	;; [unrolled: 1-line block ×4, first 2 shown]
	s_waitcnt vmcnt(0)
	ds_write_b128 v195, v[1:4]
.LBB126_321:
	s_or_b32 exec_lo, exec_lo, s4
	s_waitcnt lgkmcnt(0)
	s_waitcnt_vscnt null, 0x0
	s_barrier
	buffer_gl0_inv
	s_clause 0x37
	buffer_load_dword v6, off, s[0:3], 0 offset:696
	buffer_load_dword v7, off, s[0:3], 0 offset:700
	;; [unrolled: 1-line block ×56, first 2 shown]
	v_mov_b32_e32 v1, 0
	s_mov_b32 s4, exec_lo
	ds_read_b128 v[2:5], v1 offset:1680
	s_clause 0x2
	buffer_load_dword v197, off, s[0:3], 0 offset:924
	buffer_load_dword v201, off, s[0:3], 0 offset:900
	;; [unrolled: 1-line block ×3, first 2 shown]
	ds_read_b128 v[135:138], v1 offset:1696
	s_clause 0x4
	buffer_load_dword v205, off, s[0:3], 0 offset:940
	buffer_load_dword v206, off, s[0:3], 0 offset:952
	;; [unrolled: 1-line block ×5, first 2 shown]
	ds_read_b128 v[139:142], v1 offset:1712
	s_waitcnt vmcnt(62) lgkmcnt(2)
	v_mul_f64 v[202:203], v[4:5], v[6:7]
	v_mul_f64 v[6:7], v[2:3], v[6:7]
	s_waitcnt vmcnt(60) lgkmcnt(1)
	v_mul_f64 v[209:210], v[137:138], v[143:144]
	v_mul_f64 v[143:144], v[135:136], v[143:144]
	;; [unrolled: 3-line block ×3, first 2 shown]
	v_fma_f64 v[202:203], v[2:3], v[145:146], -v[202:203]
	v_fma_f64 v[6:7], v[4:5], v[145:146], v[6:7]
	s_clause 0x2
	buffer_load_dword v207, off, s[0:3], 0 offset:956
	buffer_load_dword v146, off, s[0:3], 0 offset:932
	;; [unrolled: 1-line block ×3, first 2 shown]
	s_waitcnt vmcnt(57)
	v_fma_f64 v[213:214], v[135:136], v[149:150], -v[209:210]
	ds_read_b128 v[2:5], v1 offset:1728
	v_fma_f64 v[143:144], v[137:138], v[149:150], v[143:144]
	s_clause 0x4
	buffer_load_dword v150, off, s[0:3], 0 offset:972
	buffer_load_dword v210, off, s[0:3], 0 offset:984
	;; [unrolled: 1-line block ×5, first 2 shown]
	s_waitcnt vmcnt(56)
	v_fma_f64 v[147:148], v[139:140], v[157:158], -v[147:148]
	ds_read_b128 v[135:138], v1 offset:1744
	v_fma_f64 v[157:158], v[141:142], v[157:158], v[211:212]
	v_add_f64 v[202:203], v[202:203], 0
	v_add_f64 v[6:7], v[6:7], 0
	s_waitcnt lgkmcnt(1)
	v_mul_f64 v[216:217], v[2:3], v[151:152]
	v_mul_f64 v[151:152], v[4:5], v[151:152]
	v_add_f64 v[202:203], v[202:203], v[213:214]
	v_add_f64 v[6:7], v[6:7], v[143:144]
	s_clause 0x2
	buffer_load_dword v211, off, s[0:3], 0 offset:988
	buffer_load_dword v144, off, s[0:3], 0 offset:964
	;; [unrolled: 1-line block ×3, first 2 shown]
	s_waitcnt vmcnt(58) lgkmcnt(0)
	v_mul_f64 v[212:213], v[135:136], v[153:154]
	v_mul_f64 v[153:154], v[137:138], v[153:154]
	s_waitcnt vmcnt(56)
	v_fma_f64 v[151:152], v[2:3], v[159:160], -v[151:152]
	ds_read_b128 v[139:142], v1 offset:1760
	v_fma_f64 v[159:160], v[4:5], v[159:160], v[216:217]
	v_add_f64 v[147:148], v[202:203], v[147:148]
	v_add_f64 v[6:7], v[6:7], v[157:158]
	s_clause 0x4
	buffer_load_dword v158, off, s[0:3], 0 offset:1004
	buffer_load_dword v202, off, s[0:3], 0 offset:1016
	;; [unrolled: 1-line block ×5, first 2 shown]
	ds_read_b128 v[2:5], v1 offset:1776
	s_waitcnt vmcnt(57) lgkmcnt(1)
	v_mul_f64 v[218:219], v[139:140], v[161:162]
	v_mul_f64 v[161:162], v[141:142], v[161:162]
	s_waitcnt vmcnt(56)
	v_fma_f64 v[153:154], v[135:136], v[155:156], -v[153:154]
	v_add_f64 v[147:148], v[147:148], v[151:152]
	v_fma_f64 v[151:152], v[137:138], v[155:156], v[212:213]
	v_add_f64 v[6:7], v[6:7], v[159:160]
	s_clause 0x2
	buffer_load_dword v203, off, s[0:3], 0 offset:1020
	buffer_load_dword v156, off, s[0:3], 0 offset:996
	;; [unrolled: 1-line block ×3, first 2 shown]
	s_waitcnt vmcnt(58) lgkmcnt(0)
	v_mul_f64 v[159:160], v[2:3], v[163:164]
	v_mul_f64 v[163:164], v[4:5], v[163:164]
	s_waitcnt vmcnt(56)
	v_fma_f64 v[161:162], v[139:140], v[167:168], -v[161:162]
	ds_read_b128 v[135:138], v1 offset:1792
	v_add_f64 v[147:148], v[147:148], v[153:154]
	v_fma_f64 v[153:154], v[141:142], v[167:168], v[218:219]
	v_add_f64 v[6:7], v[6:7], v[151:152]
	buffer_load_dword v218, off, s[0:3], 0 offset:1012
	ds_read_b128 v[139:142], v1 offset:1808
	s_waitcnt vmcnt(53) lgkmcnt(1)
	v_mul_f64 v[167:168], v[137:138], v[169:170]
	s_waitcnt vmcnt(52)
	v_fma_f64 v[163:164], v[2:3], v[165:166], -v[163:164]
	v_mul_f64 v[151:152], v[135:136], v[169:170]
	v_fma_f64 v[159:160], v[4:5], v[165:166], v[159:160]
	ds_read_b128 v[2:5], v1 offset:1824
	v_add_f64 v[147:148], v[147:148], v[161:162]
	v_add_f64 v[6:7], v[6:7], v[153:154]
	s_waitcnt vmcnt(51) lgkmcnt(1)
	v_mul_f64 v[161:162], v[141:142], v[171:172]
	v_mul_f64 v[153:154], v[139:140], v[171:172]
	s_waitcnt vmcnt(49)
	v_fma_f64 v[165:166], v[135:136], v[175:176], -v[167:168]
	v_fma_f64 v[151:152], v[137:138], v[175:176], v[151:152]
	s_waitcnt vmcnt(45) lgkmcnt(0)
	v_mul_f64 v[169:170], v[4:5], v[177:178]
	v_mul_f64 v[167:168], v[2:3], v[177:178]
	v_add_f64 v[147:148], v[147:148], v[163:164]
	v_add_f64 v[6:7], v[6:7], v[159:160]
	s_clause 0x3
	buffer_load_dword v159, off, s[0:3], 0 offset:672
	buffer_load_dword v160, off, s[0:3], 0 offset:676
	buffer_load_dword v163, off, s[0:3], 0 offset:680
	buffer_load_dword v164, off, s[0:3], 0 offset:684
	s_waitcnt vmcnt(48)
	v_fma_f64 v[161:162], v[139:140], v[173:174], -v[161:162]
	ds_read_b128 v[135:138], v1 offset:1840
	v_fma_f64 v[153:154], v[141:142], v[173:174], v[153:154]
	ds_read_b128 v[139:142], v1 offset:1856
	s_waitcnt vmcnt(45)
	v_fma_f64 v[169:170], v[2:3], v[183:184], -v[169:170]
	v_add_f64 v[147:148], v[147:148], v[165:166]
	v_add_f64 v[6:7], v[6:7], v[151:152]
	s_waitcnt lgkmcnt(1)
	v_mul_f64 v[165:166], v[137:138], v[179:180]
	v_mul_f64 v[151:152], v[135:136], v[179:180]
	v_add_f64 v[147:148], v[147:148], v[161:162]
	v_fma_f64 v[161:162], v[4:5], v[183:184], v[167:168]
	v_add_f64 v[6:7], v[6:7], v[153:154]
	s_waitcnt vmcnt(41) lgkmcnt(0)
	v_mul_f64 v[167:168], v[141:142], v[185:186]
	s_waitcnt vmcnt(40)
	v_fma_f64 v[165:166], v[135:136], v[181:182], -v[165:166]
	ds_read_b128 v[2:5], v1 offset:1872
	v_mul_f64 v[153:154], v[139:140], v[185:186]
	v_fma_f64 v[151:152], v[137:138], v[181:182], v[151:152]
	ds_read_b128 v[135:138], v1 offset:1888
	v_add_f64 v[147:148], v[147:148], v[169:170]
	v_add_f64 v[6:7], v[6:7], v[161:162]
	s_waitcnt vmcnt(39) lgkmcnt(1)
	v_mul_f64 v[169:170], v[4:5], v[187:188]
	s_waitcnt vmcnt(37)
	v_fma_f64 v[167:168], v[139:140], v[191:192], -v[167:168]
	v_mul_f64 v[161:162], v[2:3], v[187:188]
	v_fma_f64 v[153:154], v[141:142], v[191:192], v[153:154]
	ds_read_b128 v[139:142], v1 offset:1904
	v_add_f64 v[147:148], v[147:148], v[165:166]
	s_waitcnt vmcnt(33) lgkmcnt(1)
	v_mul_f64 v[165:166], v[137:138], v[193:194]
	v_add_f64 v[6:7], v[6:7], v[151:152]
	s_waitcnt vmcnt(32)
	v_fma_f64 v[169:170], v[2:3], v[189:190], -v[169:170]
	v_mul_f64 v[151:152], v[135:136], v[193:194]
	v_fma_f64 v[161:162], v[4:5], v[189:190], v[161:162]
	ds_read_b128 v[2:5], v1 offset:1920
	v_add_f64 v[147:148], v[147:148], v[167:168]
	s_waitcnt vmcnt(31) lgkmcnt(1)
	v_mul_f64 v[167:168], v[141:142], v[196:197]
	v_add_f64 v[6:7], v[6:7], v[153:154]
	;; [unrolled: 9-line block ×3, first 2 shown]
	s_waitcnt vmcnt(24)
	v_fma_f64 v[167:168], v[139:140], v[198:199], -v[167:168]
	v_mul_f64 v[161:162], v[2:3], v[204:205]
	v_fma_f64 v[153:154], v[141:142], v[198:199], v[153:154]
	ds_read_b128 v[139:142], v1 offset:1952
	v_add_f64 v[147:148], v[147:148], v[165:166]
	v_add_f64 v[6:7], v[6:7], v[151:152]
	s_waitcnt vmcnt(23) lgkmcnt(1)
	v_mul_f64 v[165:166], v[137:138], v[206:207]
	v_mul_f64 v[151:152], v[135:136], v[206:207]
	s_waitcnt vmcnt(21)
	v_fma_f64 v[169:170], v[2:3], v[145:146], -v[169:170]
	v_fma_f64 v[145:146], v[4:5], v[145:146], v[161:162]
	ds_read_b128 v[2:5], v1 offset:1968
	v_add_f64 v[147:148], v[147:148], v[167:168]
	v_add_f64 v[6:7], v[6:7], v[153:154]
	s_waitcnt vmcnt(17) lgkmcnt(1)
	v_mul_f64 v[153:154], v[139:140], v[149:150]
	v_mul_f64 v[149:150], v[141:142], v[149:150]
	s_waitcnt vmcnt(16)
	v_fma_f64 v[161:162], v[135:136], v[208:209], -v[165:166]
	;; [unrolled: 9-line block ×3, first 2 shown]
	v_fma_f64 v[143:144], v[141:142], v[143:144], v[153:154]
	ds_read_b128 v[139:142], v1 offset:2000
	v_add_f64 v[147:148], v[147:148], v[161:162]
	v_add_f64 v[6:7], v[6:7], v[151:152]
	s_waitcnt vmcnt(9) lgkmcnt(1)
	v_mul_f64 v[153:154], v[137:138], v[157:158]
	s_waitcnt vmcnt(8)
	v_fma_f64 v[2:3], v[2:3], v[215:216], -v[165:166]
	v_mul_f64 v[151:152], v[135:136], v[157:158]
	v_fma_f64 v[4:5], v[4:5], v[215:216], v[145:146]
	v_add_f64 v[147:148], v[147:148], v[149:150]
	v_add_f64 v[6:7], v[6:7], v[143:144]
	s_waitcnt vmcnt(7) lgkmcnt(0)
	v_mul_f64 v[145:146], v[141:142], v[202:203]
	v_mul_f64 v[143:144], v[139:140], v[202:203]
	s_waitcnt vmcnt(5)
	v_fma_f64 v[135:136], v[135:136], v[155:156], -v[153:154]
	v_fma_f64 v[137:138], v[137:138], v[155:156], v[151:152]
	v_add_f64 v[2:3], v[147:148], v[2:3]
	v_add_f64 v[4:5], v[6:7], v[4:5]
	s_waitcnt vmcnt(4)
	v_fma_f64 v[6:7], v[139:140], v[217:218], -v[145:146]
	v_add_f64 v[2:3], v[2:3], v[135:136]
	v_fma_f64 v[135:136], v[141:142], v[217:218], v[143:144]
	v_add_f64 v[4:5], v[4:5], v[137:138]
	v_add_f64 v[2:3], v[2:3], v[6:7]
	;; [unrolled: 1-line block ×3, first 2 shown]
	s_waitcnt vmcnt(2)
	v_add_f64 v[2:3], v[159:160], -v[2:3]
	s_waitcnt vmcnt(0)
	v_add_f64 v[4:5], v[163:164], -v[4:5]
	buffer_store_dword v3, off, s[0:3], 0 offset:676
	buffer_store_dword v2, off, s[0:3], 0 offset:672
	;; [unrolled: 1-line block ×4, first 2 shown]
	v_cmpx_lt_u32_e32 40, v0
	s_cbranch_execz .LBB126_323
; %bb.322:
	v_mov_b32_e32 v5, s37
	s_clause 0x3
	buffer_load_dword v2, v5, s[0:3], 0 offen
	buffer_load_dword v3, v5, s[0:3], 0 offen offset:4
	buffer_load_dword v4, v5, s[0:3], 0 offen offset:8
	;; [unrolled: 1-line block ×3, first 2 shown]
	buffer_store_dword v1, off, s[0:3], 0 offset:656
	buffer_store_dword v1, off, s[0:3], 0 offset:660
	buffer_store_dword v1, off, s[0:3], 0 offset:664
	buffer_store_dword v1, off, s[0:3], 0 offset:668
	s_waitcnt vmcnt(0)
	ds_write_b128 v195, v[2:5]
.LBB126_323:
	s_or_b32 exec_lo, exec_lo, s4
	s_waitcnt lgkmcnt(0)
	s_waitcnt_vscnt null, 0x0
	s_barrier
	buffer_gl0_inv
	s_clause 0x37
	buffer_load_dword v6, off, s[0:3], 0 offset:680
	buffer_load_dword v7, off, s[0:3], 0 offset:684
	;; [unrolled: 1-line block ×56, first 2 shown]
	ds_read_b128 v[2:5], v1 offset:1664
	s_clause 0x2
	buffer_load_dword v197, off, s[0:3], 0 offset:908
	buffer_load_dword v201, off, s[0:3], 0 offset:884
	;; [unrolled: 1-line block ×3, first 2 shown]
	ds_read_b128 v[135:138], v1 offset:1680
	s_clause 0x4
	buffer_load_dword v205, off, s[0:3], 0 offset:924
	buffer_load_dword v206, off, s[0:3], 0 offset:936
	;; [unrolled: 1-line block ×5, first 2 shown]
	ds_read_b128 v[139:142], v1 offset:1696
	s_mov_b32 s4, exec_lo
	s_waitcnt vmcnt(62) lgkmcnt(2)
	v_mul_f64 v[202:203], v[4:5], v[6:7]
	v_mul_f64 v[6:7], v[2:3], v[6:7]
	s_waitcnt vmcnt(60) lgkmcnt(1)
	v_mul_f64 v[209:210], v[137:138], v[143:144]
	v_mul_f64 v[143:144], v[135:136], v[143:144]
	;; [unrolled: 3-line block ×3, first 2 shown]
	v_fma_f64 v[202:203], v[2:3], v[145:146], -v[202:203]
	v_fma_f64 v[6:7], v[4:5], v[145:146], v[6:7]
	s_clause 0x2
	buffer_load_dword v207, off, s[0:3], 0 offset:940
	buffer_load_dword v146, off, s[0:3], 0 offset:916
	;; [unrolled: 1-line block ×3, first 2 shown]
	s_waitcnt vmcnt(57)
	v_fma_f64 v[213:214], v[135:136], v[149:150], -v[209:210]
	ds_read_b128 v[2:5], v1 offset:1712
	v_fma_f64 v[143:144], v[137:138], v[149:150], v[143:144]
	s_clause 0x4
	buffer_load_dword v150, off, s[0:3], 0 offset:956
	buffer_load_dword v210, off, s[0:3], 0 offset:968
	;; [unrolled: 1-line block ×5, first 2 shown]
	s_waitcnt vmcnt(56)
	v_fma_f64 v[147:148], v[139:140], v[157:158], -v[147:148]
	ds_read_b128 v[135:138], v1 offset:1728
	v_fma_f64 v[157:158], v[141:142], v[157:158], v[211:212]
	v_add_f64 v[202:203], v[202:203], 0
	v_add_f64 v[6:7], v[6:7], 0
	s_waitcnt lgkmcnt(1)
	v_mul_f64 v[216:217], v[2:3], v[151:152]
	v_mul_f64 v[151:152], v[4:5], v[151:152]
	v_add_f64 v[202:203], v[202:203], v[213:214]
	v_add_f64 v[6:7], v[6:7], v[143:144]
	s_clause 0x2
	buffer_load_dword v211, off, s[0:3], 0 offset:972
	buffer_load_dword v144, off, s[0:3], 0 offset:948
	;; [unrolled: 1-line block ×3, first 2 shown]
	s_waitcnt vmcnt(58) lgkmcnt(0)
	v_mul_f64 v[212:213], v[135:136], v[153:154]
	v_mul_f64 v[153:154], v[137:138], v[153:154]
	s_waitcnt vmcnt(56)
	v_fma_f64 v[151:152], v[2:3], v[159:160], -v[151:152]
	ds_read_b128 v[139:142], v1 offset:1744
	v_fma_f64 v[159:160], v[4:5], v[159:160], v[216:217]
	v_add_f64 v[147:148], v[202:203], v[147:148]
	v_add_f64 v[6:7], v[6:7], v[157:158]
	s_clause 0x4
	buffer_load_dword v158, off, s[0:3], 0 offset:988
	buffer_load_dword v202, off, s[0:3], 0 offset:1000
	;; [unrolled: 1-line block ×5, first 2 shown]
	ds_read_b128 v[2:5], v1 offset:1760
	s_waitcnt vmcnt(57) lgkmcnt(1)
	v_mul_f64 v[218:219], v[139:140], v[161:162]
	v_mul_f64 v[161:162], v[141:142], v[161:162]
	s_waitcnt vmcnt(56)
	v_fma_f64 v[153:154], v[135:136], v[155:156], -v[153:154]
	v_add_f64 v[147:148], v[147:148], v[151:152]
	v_fma_f64 v[151:152], v[137:138], v[155:156], v[212:213]
	v_add_f64 v[6:7], v[6:7], v[159:160]
	s_clause 0x2
	buffer_load_dword v203, off, s[0:3], 0 offset:1004
	buffer_load_dword v156, off, s[0:3], 0 offset:980
	;; [unrolled: 1-line block ×3, first 2 shown]
	s_waitcnt vmcnt(58) lgkmcnt(0)
	v_mul_f64 v[159:160], v[2:3], v[163:164]
	v_mul_f64 v[163:164], v[4:5], v[163:164]
	s_waitcnt vmcnt(56)
	v_fma_f64 v[161:162], v[139:140], v[167:168], -v[161:162]
	ds_read_b128 v[135:138], v1 offset:1776
	v_add_f64 v[147:148], v[147:148], v[153:154]
	v_fma_f64 v[153:154], v[141:142], v[167:168], v[218:219]
	v_add_f64 v[6:7], v[6:7], v[151:152]
	s_clause 0x2
	buffer_load_dword v152, off, s[0:3], 0 offset:1020
	buffer_load_dword v151, off, s[0:3], 0 offset:1016
	;; [unrolled: 1-line block ×3, first 2 shown]
	ds_read_b128 v[139:142], v1 offset:1792
	s_waitcnt vmcnt(55) lgkmcnt(1)
	v_mul_f64 v[167:168], v[135:136], v[169:170]
	v_mul_f64 v[169:170], v[137:138], v[169:170]
	s_waitcnt vmcnt(54)
	v_fma_f64 v[163:164], v[2:3], v[165:166], -v[163:164]
	v_fma_f64 v[159:160], v[4:5], v[165:166], v[159:160]
	v_add_f64 v[147:148], v[147:148], v[161:162]
	v_add_f64 v[6:7], v[6:7], v[153:154]
	s_clause 0x1
	buffer_load_dword v154, off, s[0:3], 0 offset:1012
	buffer_load_dword v153, off, s[0:3], 0 offset:1008
	s_waitcnt vmcnt(55) lgkmcnt(0)
	v_mul_f64 v[165:166], v[141:142], v[171:172]
	ds_read_b128 v[2:5], v1 offset:1808
	s_waitcnt vmcnt(53)
	v_fma_f64 v[169:170], v[135:136], v[175:176], -v[169:170]
	v_mul_f64 v[161:162], v[139:140], v[171:172]
	v_add_f64 v[147:148], v[147:148], v[163:164]
	v_fma_f64 v[163:164], v[137:138], v[175:176], v[167:168]
	v_add_f64 v[6:7], v[6:7], v[159:160]
	ds_read_b128 v[135:138], v1 offset:1824
	s_waitcnt vmcnt(49) lgkmcnt(1)
	v_mul_f64 v[167:168], v[4:5], v[177:178]
	s_waitcnt vmcnt(48)
	v_fma_f64 v[165:166], v[139:140], v[173:174], -v[165:166]
	v_mul_f64 v[159:160], v[2:3], v[177:178]
	v_fma_f64 v[161:162], v[141:142], v[173:174], v[161:162]
	v_add_f64 v[147:148], v[147:148], v[169:170]
	s_waitcnt vmcnt(47) lgkmcnt(0)
	v_mul_f64 v[173:174], v[137:138], v[179:180]
	v_add_f64 v[6:7], v[6:7], v[163:164]
	s_clause 0x3
	buffer_load_dword v163, off, s[0:3], 0 offset:656
	buffer_load_dword v164, off, s[0:3], 0 offset:660
	;; [unrolled: 1-line block ×4, first 2 shown]
	s_waitcnt vmcnt(49)
	v_fma_f64 v[167:168], v[2:3], v[183:184], -v[167:168]
	ds_read_b128 v[139:142], v1 offset:1840
	v_mul_f64 v[171:172], v[135:136], v[179:180]
	v_fma_f64 v[159:160], v[4:5], v[183:184], v[159:160]
	ds_read_b128 v[2:5], v1 offset:1856
	v_add_f64 v[147:148], v[147:148], v[165:166]
	s_waitcnt vmcnt(44)
	v_fma_f64 v[173:174], v[135:136], v[181:182], -v[173:174]
	v_add_f64 v[6:7], v[6:7], v[161:162]
	s_waitcnt lgkmcnt(1)
	v_mul_f64 v[165:166], v[141:142], v[185:186]
	v_mul_f64 v[161:162], v[139:140], v[185:186]
	v_add_f64 v[147:148], v[147:148], v[167:168]
	v_fma_f64 v[167:168], v[137:138], v[181:182], v[171:172]
	v_add_f64 v[6:7], v[6:7], v[159:160]
	s_waitcnt vmcnt(43) lgkmcnt(0)
	v_mul_f64 v[171:172], v[4:5], v[187:188]
	s_waitcnt vmcnt(41)
	v_fma_f64 v[165:166], v[139:140], v[191:192], -v[165:166]
	ds_read_b128 v[135:138], v1 offset:1872
	v_mul_f64 v[159:160], v[2:3], v[187:188]
	v_fma_f64 v[161:162], v[141:142], v[191:192], v[161:162]
	ds_read_b128 v[139:142], v1 offset:1888
	v_add_f64 v[147:148], v[147:148], v[173:174]
	v_add_f64 v[6:7], v[6:7], v[167:168]
	s_waitcnt vmcnt(37) lgkmcnt(1)
	v_mul_f64 v[173:174], v[137:138], v[193:194]
	s_waitcnt vmcnt(36)
	v_fma_f64 v[171:172], v[2:3], v[189:190], -v[171:172]
	v_mul_f64 v[167:168], v[135:136], v[193:194]
	v_fma_f64 v[159:160], v[4:5], v[189:190], v[159:160]
	ds_read_b128 v[2:5], v1 offset:1904
	v_add_f64 v[147:148], v[147:148], v[165:166]
	s_waitcnt vmcnt(35) lgkmcnt(1)
	v_mul_f64 v[165:166], v[141:142], v[196:197]
	v_add_f64 v[6:7], v[6:7], v[161:162]
	s_waitcnt vmcnt(33)
	v_fma_f64 v[173:174], v[135:136], v[200:201], -v[173:174]
	v_mul_f64 v[161:162], v[139:140], v[196:197]
	v_fma_f64 v[167:168], v[137:138], v[200:201], v[167:168]
	ds_read_b128 v[135:138], v1 offset:1920
	v_add_f64 v[147:148], v[147:148], v[171:172]
	s_waitcnt vmcnt(29) lgkmcnt(1)
	v_mul_f64 v[171:172], v[4:5], v[204:205]
	v_add_f64 v[6:7], v[6:7], v[159:160]
	s_waitcnt vmcnt(28)
	v_fma_f64 v[165:166], v[139:140], v[198:199], -v[165:166]
	v_mul_f64 v[159:160], v[2:3], v[204:205]
	v_fma_f64 v[161:162], v[141:142], v[198:199], v[161:162]
	ds_read_b128 v[139:142], v1 offset:1936
	v_add_f64 v[147:148], v[147:148], v[173:174]
	v_add_f64 v[6:7], v[6:7], v[167:168]
	s_waitcnt vmcnt(27) lgkmcnt(1)
	v_mul_f64 v[173:174], v[137:138], v[206:207]
	v_mul_f64 v[167:168], v[135:136], v[206:207]
	s_waitcnt vmcnt(25)
	v_fma_f64 v[171:172], v[2:3], v[145:146], -v[171:172]
	v_fma_f64 v[145:146], v[4:5], v[145:146], v[159:160]
	ds_read_b128 v[2:5], v1 offset:1952
	s_waitcnt vmcnt(21) lgkmcnt(1)
	v_mul_f64 v[159:160], v[139:140], v[149:150]
	v_mul_f64 v[149:150], v[141:142], v[149:150]
	v_add_f64 v[147:148], v[147:148], v[165:166]
	v_add_f64 v[6:7], v[6:7], v[161:162]
	s_waitcnt vmcnt(20)
	v_fma_f64 v[161:162], v[135:136], v[208:209], -v[173:174]
	v_fma_f64 v[165:166], v[137:138], v[208:209], v[167:168]
	ds_read_b128 v[135:138], v1 offset:1968
	v_add_f64 v[147:148], v[147:148], v[171:172]
	v_add_f64 v[6:7], v[6:7], v[145:146]
	s_waitcnt vmcnt(19) lgkmcnt(1)
	v_mul_f64 v[167:168], v[4:5], v[210:211]
	v_mul_f64 v[145:146], v[2:3], v[210:211]
	s_waitcnt vmcnt(17)
	v_fma_f64 v[149:150], v[139:140], v[143:144], -v[149:150]
	v_fma_f64 v[143:144], v[141:142], v[143:144], v[159:160]
	ds_read_b128 v[139:142], v1 offset:1984
	v_add_f64 v[147:148], v[147:148], v[161:162]
	v_add_f64 v[6:7], v[6:7], v[165:166]
	s_waitcnt vmcnt(13) lgkmcnt(1)
	v_mul_f64 v[159:160], v[135:136], v[157:158]
	v_mul_f64 v[157:158], v[137:138], v[157:158]
	;; [unrolled: 9-line block ×3, first 2 shown]
	s_waitcnt vmcnt(9)
	v_fma_f64 v[135:136], v[135:136], v[155:156], -v[157:158]
	v_fma_f64 v[137:138], v[137:138], v[155:156], v[159:160]
	v_add_f64 v[147:148], v[147:148], v[161:162]
	v_add_f64 v[5:6], v[5:6], v[145:146]
	s_waitcnt vmcnt(7) lgkmcnt(0)
	v_mul_f64 v[149:150], v[3:4], v[151:152]
	s_waitcnt vmcnt(6)
	v_fma_f64 v[139:140], v[139:140], v[217:218], -v[143:144]
	v_mul_f64 v[145:146], v[1:2], v[151:152]
	v_fma_f64 v[7:8], v[141:142], v[217:218], v[7:8]
	v_add_f64 v[135:136], v[147:148], v[135:136]
	v_add_f64 v[5:6], v[5:6], v[137:138]
	s_waitcnt vmcnt(4)
	v_fma_f64 v[1:2], v[1:2], v[153:154], -v[149:150]
	v_fma_f64 v[3:4], v[3:4], v[153:154], v[145:146]
	v_add_f64 v[135:136], v[135:136], v[139:140]
	v_add_f64 v[5:6], v[5:6], v[7:8]
	;; [unrolled: 1-line block ×4, first 2 shown]
	s_waitcnt vmcnt(2)
	v_add_f64 v[1:2], v[163:164], -v[1:2]
	s_waitcnt vmcnt(0)
	v_add_f64 v[3:4], v[169:170], -v[3:4]
	buffer_store_dword v2, off, s[0:3], 0 offset:660
	buffer_store_dword v1, off, s[0:3], 0 offset:656
	;; [unrolled: 1-line block ×4, first 2 shown]
	v_cmpx_lt_u32_e32 39, v0
	s_cbranch_execz .LBB126_325
; %bb.324:
	v_mov_b32_e32 v4, s38
	v_mov_b32_e32 v5, 0
	s_clause 0x3
	buffer_load_dword v1, v4, s[0:3], 0 offen
	buffer_load_dword v2, v4, s[0:3], 0 offen offset:4
	buffer_load_dword v3, v4, s[0:3], 0 offen offset:8
	;; [unrolled: 1-line block ×3, first 2 shown]
	buffer_store_dword v5, off, s[0:3], 0 offset:640
	buffer_store_dword v5, off, s[0:3], 0 offset:644
	;; [unrolled: 1-line block ×4, first 2 shown]
	s_waitcnt vmcnt(0)
	ds_write_b128 v195, v[1:4]
.LBB126_325:
	s_or_b32 exec_lo, exec_lo, s4
	s_waitcnt lgkmcnt(0)
	s_waitcnt_vscnt null, 0x0
	s_barrier
	buffer_gl0_inv
	s_clause 0x37
	buffer_load_dword v6, off, s[0:3], 0 offset:664
	buffer_load_dword v7, off, s[0:3], 0 offset:668
	;; [unrolled: 1-line block ×56, first 2 shown]
	v_mov_b32_e32 v1, 0
	s_mov_b32 s4, exec_lo
	ds_read_b128 v[2:5], v1 offset:1648
	s_clause 0x2
	buffer_load_dword v197, off, s[0:3], 0 offset:892
	buffer_load_dword v201, off, s[0:3], 0 offset:868
	;; [unrolled: 1-line block ×3, first 2 shown]
	ds_read_b128 v[135:138], v1 offset:1664
	s_clause 0x4
	buffer_load_dword v205, off, s[0:3], 0 offset:908
	buffer_load_dword v206, off, s[0:3], 0 offset:920
	;; [unrolled: 1-line block ×5, first 2 shown]
	ds_read_b128 v[139:142], v1 offset:1680
	s_waitcnt vmcnt(62) lgkmcnt(2)
	v_mul_f64 v[202:203], v[4:5], v[6:7]
	v_mul_f64 v[6:7], v[2:3], v[6:7]
	s_waitcnt vmcnt(60) lgkmcnt(1)
	v_mul_f64 v[209:210], v[137:138], v[143:144]
	v_mul_f64 v[143:144], v[135:136], v[143:144]
	;; [unrolled: 3-line block ×3, first 2 shown]
	v_fma_f64 v[202:203], v[2:3], v[145:146], -v[202:203]
	v_fma_f64 v[6:7], v[4:5], v[145:146], v[6:7]
	s_clause 0x2
	buffer_load_dword v207, off, s[0:3], 0 offset:924
	buffer_load_dword v146, off, s[0:3], 0 offset:900
	;; [unrolled: 1-line block ×3, first 2 shown]
	s_waitcnt vmcnt(57)
	v_fma_f64 v[213:214], v[135:136], v[149:150], -v[209:210]
	ds_read_b128 v[2:5], v1 offset:1696
	v_fma_f64 v[143:144], v[137:138], v[149:150], v[143:144]
	s_clause 0x4
	buffer_load_dword v150, off, s[0:3], 0 offset:940
	buffer_load_dword v210, off, s[0:3], 0 offset:952
	;; [unrolled: 1-line block ×5, first 2 shown]
	s_waitcnt vmcnt(56)
	v_fma_f64 v[147:148], v[139:140], v[157:158], -v[147:148]
	ds_read_b128 v[135:138], v1 offset:1712
	v_fma_f64 v[157:158], v[141:142], v[157:158], v[211:212]
	v_add_f64 v[202:203], v[202:203], 0
	v_add_f64 v[6:7], v[6:7], 0
	s_waitcnt lgkmcnt(1)
	v_mul_f64 v[216:217], v[2:3], v[151:152]
	v_mul_f64 v[151:152], v[4:5], v[151:152]
	v_add_f64 v[202:203], v[202:203], v[213:214]
	v_add_f64 v[6:7], v[6:7], v[143:144]
	s_clause 0x2
	buffer_load_dword v211, off, s[0:3], 0 offset:956
	buffer_load_dword v144, off, s[0:3], 0 offset:932
	;; [unrolled: 1-line block ×3, first 2 shown]
	s_waitcnt vmcnt(58) lgkmcnt(0)
	v_mul_f64 v[212:213], v[135:136], v[153:154]
	v_mul_f64 v[153:154], v[137:138], v[153:154]
	s_waitcnt vmcnt(56)
	v_fma_f64 v[151:152], v[2:3], v[159:160], -v[151:152]
	ds_read_b128 v[139:142], v1 offset:1728
	v_fma_f64 v[159:160], v[4:5], v[159:160], v[216:217]
	v_add_f64 v[147:148], v[202:203], v[147:148]
	v_add_f64 v[6:7], v[6:7], v[157:158]
	s_clause 0x4
	buffer_load_dword v158, off, s[0:3], 0 offset:972
	buffer_load_dword v202, off, s[0:3], 0 offset:984
	;; [unrolled: 1-line block ×5, first 2 shown]
	ds_read_b128 v[2:5], v1 offset:1744
	s_waitcnt vmcnt(57) lgkmcnt(1)
	v_mul_f64 v[218:219], v[139:140], v[161:162]
	v_mul_f64 v[161:162], v[141:142], v[161:162]
	s_waitcnt vmcnt(56)
	v_fma_f64 v[153:154], v[135:136], v[155:156], -v[153:154]
	v_add_f64 v[147:148], v[147:148], v[151:152]
	v_fma_f64 v[151:152], v[137:138], v[155:156], v[212:213]
	v_add_f64 v[6:7], v[6:7], v[159:160]
	s_clause 0x2
	buffer_load_dword v203, off, s[0:3], 0 offset:988
	buffer_load_dword v156, off, s[0:3], 0 offset:964
	;; [unrolled: 1-line block ×3, first 2 shown]
	s_waitcnt vmcnt(58) lgkmcnt(0)
	v_mul_f64 v[159:160], v[2:3], v[163:164]
	v_mul_f64 v[163:164], v[4:5], v[163:164]
	s_waitcnt vmcnt(56)
	v_fma_f64 v[161:162], v[139:140], v[167:168], -v[161:162]
	ds_read_b128 v[135:138], v1 offset:1760
	v_add_f64 v[147:148], v[147:148], v[153:154]
	v_fma_f64 v[153:154], v[141:142], v[167:168], v[218:219]
	v_add_f64 v[6:7], v[6:7], v[151:152]
	s_clause 0x4
	buffer_load_dword v152, off, s[0:3], 0 offset:1004
	buffer_load_dword v167, off, s[0:3], 0 offset:1016
	;; [unrolled: 1-line block ×5, first 2 shown]
	ds_read_b128 v[139:142], v1 offset:1776
	s_waitcnt vmcnt(57) lgkmcnt(1)
	v_mul_f64 v[213:214], v[135:136], v[169:170]
	v_mul_f64 v[169:170], v[137:138], v[169:170]
	s_waitcnt vmcnt(56)
	v_fma_f64 v[163:164], v[2:3], v[165:166], -v[163:164]
	v_fma_f64 v[159:160], v[4:5], v[165:166], v[159:160]
	v_add_f64 v[147:148], v[147:148], v[161:162]
	v_add_f64 v[6:7], v[6:7], v[153:154]
	s_clause 0x2
	buffer_load_dword v168, off, s[0:3], 0 offset:1020
	buffer_load_dword v154, off, s[0:3], 0 offset:996
	;; [unrolled: 1-line block ×3, first 2 shown]
	s_waitcnt vmcnt(58) lgkmcnt(0)
	v_mul_f64 v[165:166], v[141:142], v[171:172]
	ds_read_b128 v[2:5], v1 offset:1792
	s_waitcnt vmcnt(56)
	v_fma_f64 v[169:170], v[135:136], v[175:176], -v[169:170]
	v_mul_f64 v[161:162], v[139:140], v[171:172]
	v_add_f64 v[147:148], v[147:148], v[163:164]
	v_fma_f64 v[163:164], v[137:138], v[175:176], v[213:214]
	v_add_f64 v[6:7], v[6:7], v[159:160]
	buffer_load_dword v213, off, s[0:3], 0 offset:1012
	ds_read_b128 v[135:138], v1 offset:1808
	s_waitcnt vmcnt(53) lgkmcnt(1)
	v_mul_f64 v[171:172], v[4:5], v[177:178]
	s_waitcnt vmcnt(52)
	v_fma_f64 v[165:166], v[139:140], v[173:174], -v[165:166]
	v_mul_f64 v[159:160], v[2:3], v[177:178]
	v_fma_f64 v[161:162], v[141:142], v[173:174], v[161:162]
	ds_read_b128 v[139:142], v1 offset:1824
	v_add_f64 v[147:148], v[147:148], v[169:170]
	v_add_f64 v[6:7], v[6:7], v[163:164]
	s_waitcnt vmcnt(51) lgkmcnt(1)
	v_mul_f64 v[169:170], v[137:138], v[179:180]
	v_mul_f64 v[163:164], v[135:136], v[179:180]
	s_waitcnt vmcnt(49)
	v_fma_f64 v[171:172], v[2:3], v[183:184], -v[171:172]
	v_fma_f64 v[159:160], v[4:5], v[183:184], v[159:160]
	s_waitcnt vmcnt(45) lgkmcnt(0)
	v_mul_f64 v[175:176], v[141:142], v[185:186]
	v_mul_f64 v[173:174], v[139:140], v[185:186]
	v_add_f64 v[147:148], v[147:148], v[165:166]
	v_add_f64 v[6:7], v[6:7], v[161:162]
	s_clause 0x3
	buffer_load_dword v161, off, s[0:3], 0 offset:640
	buffer_load_dword v162, off, s[0:3], 0 offset:644
	;; [unrolled: 1-line block ×4, first 2 shown]
	s_waitcnt vmcnt(48)
	v_fma_f64 v[169:170], v[135:136], v[181:182], -v[169:170]
	ds_read_b128 v[2:5], v1 offset:1840
	v_fma_f64 v[163:164], v[137:138], v[181:182], v[163:164]
	ds_read_b128 v[135:138], v1 offset:1856
	s_waitcnt vmcnt(45)
	v_fma_f64 v[175:176], v[139:140], v[191:192], -v[175:176]
	v_add_f64 v[147:148], v[147:148], v[171:172]
	v_add_f64 v[6:7], v[6:7], v[159:160]
	s_waitcnt lgkmcnt(1)
	v_mul_f64 v[171:172], v[4:5], v[187:188]
	v_mul_f64 v[159:160], v[2:3], v[187:188]
	v_add_f64 v[147:148], v[147:148], v[169:170]
	v_fma_f64 v[169:170], v[141:142], v[191:192], v[173:174]
	v_add_f64 v[6:7], v[6:7], v[163:164]
	s_waitcnt vmcnt(41) lgkmcnt(0)
	v_mul_f64 v[173:174], v[137:138], v[193:194]
	s_waitcnt vmcnt(40)
	v_fma_f64 v[171:172], v[2:3], v[189:190], -v[171:172]
	ds_read_b128 v[139:142], v1 offset:1872
	v_mul_f64 v[163:164], v[135:136], v[193:194]
	v_fma_f64 v[159:160], v[4:5], v[189:190], v[159:160]
	ds_read_b128 v[2:5], v1 offset:1888
	v_add_f64 v[147:148], v[147:148], v[175:176]
	v_add_f64 v[6:7], v[6:7], v[169:170]
	s_waitcnt vmcnt(39) lgkmcnt(1)
	v_mul_f64 v[175:176], v[141:142], v[196:197]
	s_waitcnt vmcnt(37)
	v_fma_f64 v[173:174], v[135:136], v[200:201], -v[173:174]
	v_mul_f64 v[169:170], v[139:140], v[196:197]
	v_fma_f64 v[163:164], v[137:138], v[200:201], v[163:164]
	ds_read_b128 v[135:138], v1 offset:1904
	v_add_f64 v[147:148], v[147:148], v[171:172]
	s_waitcnt vmcnt(33) lgkmcnt(1)
	v_mul_f64 v[171:172], v[4:5], v[204:205]
	v_add_f64 v[6:7], v[6:7], v[159:160]
	s_waitcnt vmcnt(32)
	v_fma_f64 v[175:176], v[139:140], v[198:199], -v[175:176]
	v_mul_f64 v[159:160], v[2:3], v[204:205]
	v_fma_f64 v[169:170], v[141:142], v[198:199], v[169:170]
	ds_read_b128 v[139:142], v1 offset:1920
	v_add_f64 v[147:148], v[147:148], v[173:174]
	v_add_f64 v[6:7], v[6:7], v[163:164]
	s_waitcnt vmcnt(31) lgkmcnt(1)
	v_mul_f64 v[173:174], v[137:138], v[206:207]
	v_mul_f64 v[163:164], v[135:136], v[206:207]
	s_waitcnt vmcnt(29)
	v_fma_f64 v[171:172], v[2:3], v[145:146], -v[171:172]
	v_fma_f64 v[145:146], v[4:5], v[145:146], v[159:160]
	ds_read_b128 v[2:5], v1 offset:1936
	s_waitcnt vmcnt(25) lgkmcnt(1)
	v_mul_f64 v[159:160], v[139:140], v[149:150]
	v_mul_f64 v[149:150], v[141:142], v[149:150]
	v_add_f64 v[147:148], v[147:148], v[175:176]
	v_add_f64 v[6:7], v[6:7], v[169:170]
	s_waitcnt vmcnt(24)
	v_fma_f64 v[169:170], v[135:136], v[208:209], -v[173:174]
	v_fma_f64 v[163:164], v[137:138], v[208:209], v[163:164]
	ds_read_b128 v[135:138], v1 offset:1952
	v_add_f64 v[147:148], v[147:148], v[171:172]
	v_add_f64 v[6:7], v[6:7], v[145:146]
	s_waitcnt vmcnt(23) lgkmcnt(1)
	v_mul_f64 v[171:172], v[4:5], v[210:211]
	v_mul_f64 v[145:146], v[2:3], v[210:211]
	s_waitcnt vmcnt(21)
	v_fma_f64 v[149:150], v[139:140], v[143:144], -v[149:150]
	v_fma_f64 v[143:144], v[141:142], v[143:144], v[159:160]
	ds_read_b128 v[139:142], v1 offset:1968
	v_add_f64 v[147:148], v[147:148], v[169:170]
	v_add_f64 v[6:7], v[6:7], v[163:164]
	s_waitcnt vmcnt(17) lgkmcnt(1)
	v_mul_f64 v[159:160], v[135:136], v[157:158]
	v_mul_f64 v[157:158], v[137:138], v[157:158]
	;; [unrolled: 9-line block ×4, first 2 shown]
	s_waitcnt vmcnt(8)
	v_fma_f64 v[139:140], v[139:140], v[217:218], -v[149:150]
	v_fma_f64 v[141:142], v[141:142], v[217:218], v[143:144]
	v_add_f64 v[147:148], v[147:148], v[157:158]
	v_add_f64 v[6:7], v[6:7], v[155:156]
	s_waitcnt vmcnt(7) lgkmcnt(0)
	v_mul_f64 v[149:150], v[137:138], v[167:168]
	v_mul_f64 v[143:144], v[135:136], v[167:168]
	s_waitcnt vmcnt(5)
	v_fma_f64 v[2:3], v[2:3], v[153:154], -v[151:152]
	v_fma_f64 v[4:5], v[4:5], v[153:154], v[145:146]
	v_add_f64 v[139:140], v[147:148], v[139:140]
	v_add_f64 v[6:7], v[6:7], v[141:142]
	s_waitcnt vmcnt(4)
	v_fma_f64 v[135:136], v[135:136], v[212:213], -v[149:150]
	v_fma_f64 v[137:138], v[137:138], v[212:213], v[143:144]
	v_add_f64 v[2:3], v[139:140], v[2:3]
	v_add_f64 v[4:5], v[6:7], v[4:5]
	;; [unrolled: 1-line block ×4, first 2 shown]
	s_waitcnt vmcnt(2)
	v_add_f64 v[2:3], v[161:162], -v[2:3]
	s_waitcnt vmcnt(0)
	v_add_f64 v[4:5], v[165:166], -v[4:5]
	buffer_store_dword v3, off, s[0:3], 0 offset:644
	buffer_store_dword v2, off, s[0:3], 0 offset:640
	;; [unrolled: 1-line block ×4, first 2 shown]
	v_cmpx_lt_u32_e32 38, v0
	s_cbranch_execz .LBB126_327
; %bb.326:
	v_mov_b32_e32 v5, s39
	s_clause 0x3
	buffer_load_dword v2, v5, s[0:3], 0 offen
	buffer_load_dword v3, v5, s[0:3], 0 offen offset:4
	buffer_load_dword v4, v5, s[0:3], 0 offen offset:8
	;; [unrolled: 1-line block ×3, first 2 shown]
	buffer_store_dword v1, off, s[0:3], 0 offset:624
	buffer_store_dword v1, off, s[0:3], 0 offset:628
	;; [unrolled: 1-line block ×4, first 2 shown]
	s_waitcnt vmcnt(0)
	ds_write_b128 v195, v[2:5]
.LBB126_327:
	s_or_b32 exec_lo, exec_lo, s4
	s_waitcnt lgkmcnt(0)
	s_waitcnt_vscnt null, 0x0
	s_barrier
	buffer_gl0_inv
	s_clause 0x37
	buffer_load_dword v6, off, s[0:3], 0 offset:648
	buffer_load_dword v7, off, s[0:3], 0 offset:652
	;; [unrolled: 1-line block ×56, first 2 shown]
	ds_read_b128 v[2:5], v1 offset:1632
	s_clause 0x2
	buffer_load_dword v197, off, s[0:3], 0 offset:876
	buffer_load_dword v201, off, s[0:3], 0 offset:852
	;; [unrolled: 1-line block ×3, first 2 shown]
	ds_read_b128 v[135:138], v1 offset:1648
	s_clause 0x4
	buffer_load_dword v205, off, s[0:3], 0 offset:892
	buffer_load_dword v206, off, s[0:3], 0 offset:904
	;; [unrolled: 1-line block ×5, first 2 shown]
	ds_read_b128 v[139:142], v1 offset:1664
	s_mov_b32 s4, exec_lo
	s_waitcnt vmcnt(62) lgkmcnt(2)
	v_mul_f64 v[202:203], v[4:5], v[6:7]
	v_mul_f64 v[6:7], v[2:3], v[6:7]
	s_waitcnt vmcnt(60) lgkmcnt(1)
	v_mul_f64 v[209:210], v[137:138], v[143:144]
	v_mul_f64 v[143:144], v[135:136], v[143:144]
	;; [unrolled: 3-line block ×3, first 2 shown]
	v_fma_f64 v[202:203], v[2:3], v[145:146], -v[202:203]
	v_fma_f64 v[6:7], v[4:5], v[145:146], v[6:7]
	s_clause 0x2
	buffer_load_dword v207, off, s[0:3], 0 offset:908
	buffer_load_dword v146, off, s[0:3], 0 offset:884
	buffer_load_dword v145, off, s[0:3], 0 offset:880
	s_waitcnt vmcnt(57)
	v_fma_f64 v[213:214], v[135:136], v[149:150], -v[209:210]
	ds_read_b128 v[2:5], v1 offset:1680
	v_fma_f64 v[143:144], v[137:138], v[149:150], v[143:144]
	s_clause 0x4
	buffer_load_dword v150, off, s[0:3], 0 offset:924
	buffer_load_dword v210, off, s[0:3], 0 offset:936
	;; [unrolled: 1-line block ×5, first 2 shown]
	s_waitcnt vmcnt(56)
	v_fma_f64 v[147:148], v[139:140], v[157:158], -v[147:148]
	ds_read_b128 v[135:138], v1 offset:1696
	v_fma_f64 v[157:158], v[141:142], v[157:158], v[211:212]
	v_add_f64 v[202:203], v[202:203], 0
	v_add_f64 v[6:7], v[6:7], 0
	s_waitcnt lgkmcnt(1)
	v_mul_f64 v[216:217], v[2:3], v[151:152]
	v_mul_f64 v[151:152], v[4:5], v[151:152]
	v_add_f64 v[202:203], v[202:203], v[213:214]
	v_add_f64 v[6:7], v[6:7], v[143:144]
	s_clause 0x2
	buffer_load_dword v211, off, s[0:3], 0 offset:940
	buffer_load_dword v144, off, s[0:3], 0 offset:916
	;; [unrolled: 1-line block ×3, first 2 shown]
	s_waitcnt vmcnt(58) lgkmcnt(0)
	v_mul_f64 v[212:213], v[135:136], v[153:154]
	v_mul_f64 v[153:154], v[137:138], v[153:154]
	s_waitcnt vmcnt(56)
	v_fma_f64 v[151:152], v[2:3], v[159:160], -v[151:152]
	ds_read_b128 v[139:142], v1 offset:1712
	v_fma_f64 v[159:160], v[4:5], v[159:160], v[216:217]
	v_add_f64 v[147:148], v[202:203], v[147:148]
	v_add_f64 v[6:7], v[6:7], v[157:158]
	s_clause 0x4
	buffer_load_dword v158, off, s[0:3], 0 offset:956
	buffer_load_dword v202, off, s[0:3], 0 offset:968
	;; [unrolled: 1-line block ×5, first 2 shown]
	ds_read_b128 v[2:5], v1 offset:1728
	s_waitcnt vmcnt(57) lgkmcnt(1)
	v_mul_f64 v[218:219], v[139:140], v[161:162]
	v_mul_f64 v[161:162], v[141:142], v[161:162]
	s_waitcnt vmcnt(56)
	v_fma_f64 v[153:154], v[135:136], v[155:156], -v[153:154]
	v_add_f64 v[147:148], v[147:148], v[151:152]
	v_fma_f64 v[151:152], v[137:138], v[155:156], v[212:213]
	v_add_f64 v[6:7], v[6:7], v[159:160]
	s_clause 0x2
	buffer_load_dword v203, off, s[0:3], 0 offset:972
	buffer_load_dword v156, off, s[0:3], 0 offset:948
	;; [unrolled: 1-line block ×3, first 2 shown]
	s_waitcnt vmcnt(58) lgkmcnt(0)
	v_mul_f64 v[159:160], v[2:3], v[163:164]
	v_mul_f64 v[163:164], v[4:5], v[163:164]
	s_waitcnt vmcnt(56)
	v_fma_f64 v[161:162], v[139:140], v[167:168], -v[161:162]
	ds_read_b128 v[135:138], v1 offset:1744
	v_add_f64 v[147:148], v[147:148], v[153:154]
	v_fma_f64 v[153:154], v[141:142], v[167:168], v[218:219]
	v_add_f64 v[6:7], v[6:7], v[151:152]
	s_clause 0x4
	buffer_load_dword v152, off, s[0:3], 0 offset:988
	buffer_load_dword v167, off, s[0:3], 0 offset:1000
	;; [unrolled: 1-line block ×5, first 2 shown]
	ds_read_b128 v[139:142], v1 offset:1760
	s_waitcnt vmcnt(57) lgkmcnt(1)
	v_mul_f64 v[213:214], v[135:136], v[169:170]
	v_mul_f64 v[169:170], v[137:138], v[169:170]
	s_waitcnt vmcnt(56)
	v_fma_f64 v[163:164], v[2:3], v[165:166], -v[163:164]
	v_fma_f64 v[159:160], v[4:5], v[165:166], v[159:160]
	v_add_f64 v[147:148], v[147:148], v[161:162]
	v_add_f64 v[6:7], v[6:7], v[153:154]
	s_clause 0x2
	buffer_load_dword v168, off, s[0:3], 0 offset:1004
	buffer_load_dword v154, off, s[0:3], 0 offset:980
	;; [unrolled: 1-line block ×3, first 2 shown]
	s_waitcnt vmcnt(58) lgkmcnt(0)
	v_mul_f64 v[165:166], v[141:142], v[171:172]
	ds_read_b128 v[2:5], v1 offset:1776
	s_waitcnt vmcnt(56)
	v_fma_f64 v[169:170], v[135:136], v[175:176], -v[169:170]
	v_mul_f64 v[161:162], v[139:140], v[171:172]
	v_add_f64 v[147:148], v[147:148], v[163:164]
	v_fma_f64 v[163:164], v[137:138], v[175:176], v[213:214]
	v_add_f64 v[6:7], v[6:7], v[159:160]
	s_clause 0x2
	buffer_load_dword v160, off, s[0:3], 0 offset:1020
	buffer_load_dword v159, off, s[0:3], 0 offset:1016
	;; [unrolled: 1-line block ×3, first 2 shown]
	s_waitcnt vmcnt(55) lgkmcnt(0)
	v_mul_f64 v[175:176], v[4:5], v[177:178]
	s_waitcnt vmcnt(54)
	v_fma_f64 v[165:166], v[139:140], v[173:174], -v[165:166]
	ds_read_b128 v[135:138], v1 offset:1792
	v_mul_f64 v[171:172], v[2:3], v[177:178]
	v_fma_f64 v[161:162], v[141:142], v[173:174], v[161:162]
	v_add_f64 v[147:148], v[147:148], v[169:170]
	v_add_f64 v[6:7], v[6:7], v[163:164]
	s_clause 0x1
	buffer_load_dword v164, off, s[0:3], 0 offset:1012
	buffer_load_dword v163, off, s[0:3], 0 offset:1008
	s_waitcnt vmcnt(55) lgkmcnt(0)
	v_mul_f64 v[173:174], v[137:138], v[179:180]
	s_waitcnt vmcnt(53)
	v_fma_f64 v[175:176], v[2:3], v[183:184], -v[175:176]
	ds_read_b128 v[139:142], v1 offset:1808
	v_mul_f64 v[169:170], v[135:136], v[179:180]
	v_add_f64 v[147:148], v[147:148], v[165:166]
	v_fma_f64 v[165:166], v[4:5], v[183:184], v[171:172]
	v_add_f64 v[6:7], v[6:7], v[161:162]
	ds_read_b128 v[2:5], v1 offset:1824
	s_waitcnt vmcnt(49) lgkmcnt(1)
	v_mul_f64 v[171:172], v[141:142], v[185:186]
	s_waitcnt vmcnt(48)
	v_fma_f64 v[173:174], v[135:136], v[181:182], -v[173:174]
	v_mul_f64 v[161:162], v[139:140], v[185:186]
	v_fma_f64 v[169:170], v[137:138], v[181:182], v[169:170]
	v_add_f64 v[147:148], v[147:148], v[175:176]
	s_waitcnt vmcnt(47) lgkmcnt(0)
	v_mul_f64 v[179:180], v[4:5], v[187:188]
	v_add_f64 v[6:7], v[6:7], v[165:166]
	s_clause 0x3
	buffer_load_dword v165, off, s[0:3], 0 offset:624
	buffer_load_dword v166, off, s[0:3], 0 offset:628
	;; [unrolled: 1-line block ×4, first 2 shown]
	s_waitcnt vmcnt(49)
	v_fma_f64 v[171:172], v[139:140], v[191:192], -v[171:172]
	ds_read_b128 v[135:138], v1 offset:1840
	v_mul_f64 v[177:178], v[2:3], v[187:188]
	v_fma_f64 v[161:162], v[141:142], v[191:192], v[161:162]
	ds_read_b128 v[139:142], v1 offset:1856
	v_add_f64 v[147:148], v[147:148], v[173:174]
	s_waitcnt vmcnt(44)
	v_fma_f64 v[179:180], v[2:3], v[189:190], -v[179:180]
	v_add_f64 v[6:7], v[6:7], v[169:170]
	s_waitcnt lgkmcnt(1)
	v_mul_f64 v[173:174], v[137:138], v[193:194]
	v_mul_f64 v[169:170], v[135:136], v[193:194]
	v_add_f64 v[147:148], v[147:148], v[171:172]
	v_fma_f64 v[171:172], v[4:5], v[189:190], v[177:178]
	v_add_f64 v[6:7], v[6:7], v[161:162]
	s_waitcnt vmcnt(43) lgkmcnt(0)
	v_mul_f64 v[177:178], v[141:142], v[196:197]
	s_waitcnt vmcnt(41)
	v_fma_f64 v[173:174], v[135:136], v[200:201], -v[173:174]
	ds_read_b128 v[2:5], v1 offset:1872
	v_mul_f64 v[161:162], v[139:140], v[196:197]
	v_fma_f64 v[169:170], v[137:138], v[200:201], v[169:170]
	ds_read_b128 v[135:138], v1 offset:1888
	v_add_f64 v[147:148], v[147:148], v[179:180]
	v_add_f64 v[6:7], v[6:7], v[171:172]
	s_waitcnt vmcnt(37) lgkmcnt(1)
	v_mul_f64 v[179:180], v[4:5], v[204:205]
	s_waitcnt vmcnt(36)
	v_fma_f64 v[177:178], v[139:140], v[198:199], -v[177:178]
	v_mul_f64 v[171:172], v[2:3], v[204:205]
	v_fma_f64 v[161:162], v[141:142], v[198:199], v[161:162]
	ds_read_b128 v[139:142], v1 offset:1904
	v_add_f64 v[147:148], v[147:148], v[173:174]
	v_add_f64 v[6:7], v[6:7], v[169:170]
	s_waitcnt vmcnt(35) lgkmcnt(1)
	v_mul_f64 v[173:174], v[137:138], v[206:207]
	v_mul_f64 v[169:170], v[135:136], v[206:207]
	s_waitcnt vmcnt(33)
	v_fma_f64 v[179:180], v[2:3], v[145:146], -v[179:180]
	v_fma_f64 v[145:146], v[4:5], v[145:146], v[171:172]
	ds_read_b128 v[2:5], v1 offset:1920
	v_add_f64 v[147:148], v[147:148], v[177:178]
	v_add_f64 v[6:7], v[6:7], v[161:162]
	s_waitcnt vmcnt(29) lgkmcnt(1)
	v_mul_f64 v[161:162], v[139:140], v[149:150]
	v_mul_f64 v[149:150], v[141:142], v[149:150]
	s_waitcnt vmcnt(28)
	v_fma_f64 v[171:172], v[135:136], v[208:209], -v[173:174]
	;; [unrolled: 9-line block ×7, first 2 shown]
	v_fma_f64 v[3:4], v[4:5], v[153:154], v[145:146]
	v_add_f64 v[147:148], v[147:148], v[149:150]
	v_add_f64 v[5:6], v[6:7], v[143:144]
	s_waitcnt vmcnt(7) lgkmcnt(0)
	v_mul_f64 v[143:144], v[141:142], v[159:160]
	s_waitcnt vmcnt(6)
	v_fma_f64 v[135:136], v[135:136], v[212:213], -v[157:158]
	v_mul_f64 v[7:8], v[139:140], v[159:160]
	v_fma_f64 v[137:138], v[137:138], v[212:213], v[155:156]
	v_add_f64 v[1:2], v[147:148], v[1:2]
	v_add_f64 v[3:4], v[5:6], v[3:4]
	s_waitcnt vmcnt(4)
	v_fma_f64 v[5:6], v[139:140], v[163:164], -v[143:144]
	v_fma_f64 v[7:8], v[141:142], v[163:164], v[7:8]
	v_add_f64 v[1:2], v[1:2], v[135:136]
	v_add_f64 v[3:4], v[3:4], v[137:138]
	;; [unrolled: 1-line block ×4, first 2 shown]
	s_waitcnt vmcnt(2)
	v_add_f64 v[1:2], v[165:166], -v[1:2]
	s_waitcnt vmcnt(0)
	v_add_f64 v[3:4], v[175:176], -v[3:4]
	buffer_store_dword v2, off, s[0:3], 0 offset:628
	buffer_store_dword v1, off, s[0:3], 0 offset:624
	;; [unrolled: 1-line block ×4, first 2 shown]
	v_cmpx_lt_u32_e32 37, v0
	s_cbranch_execz .LBB126_329
; %bb.328:
	v_mov_b32_e32 v4, s40
	v_mov_b32_e32 v5, 0
	s_clause 0x3
	buffer_load_dword v1, v4, s[0:3], 0 offen
	buffer_load_dword v2, v4, s[0:3], 0 offen offset:4
	buffer_load_dword v3, v4, s[0:3], 0 offen offset:8
	;; [unrolled: 1-line block ×3, first 2 shown]
	buffer_store_dword v5, off, s[0:3], 0 offset:608
	buffer_store_dword v5, off, s[0:3], 0 offset:612
	;; [unrolled: 1-line block ×4, first 2 shown]
	s_waitcnt vmcnt(0)
	ds_write_b128 v195, v[1:4]
.LBB126_329:
	s_or_b32 exec_lo, exec_lo, s4
	s_waitcnt lgkmcnt(0)
	s_waitcnt_vscnt null, 0x0
	s_barrier
	buffer_gl0_inv
	s_clause 0x37
	buffer_load_dword v6, off, s[0:3], 0 offset:632
	buffer_load_dword v7, off, s[0:3], 0 offset:636
	;; [unrolled: 1-line block ×56, first 2 shown]
	v_mov_b32_e32 v1, 0
	s_mov_b32 s4, exec_lo
	ds_read_b128 v[2:5], v1 offset:1616
	s_clause 0x2
	buffer_load_dword v197, off, s[0:3], 0 offset:860
	buffer_load_dword v201, off, s[0:3], 0 offset:836
	;; [unrolled: 1-line block ×3, first 2 shown]
	ds_read_b128 v[135:138], v1 offset:1632
	s_clause 0x4
	buffer_load_dword v205, off, s[0:3], 0 offset:876
	buffer_load_dword v206, off, s[0:3], 0 offset:888
	;; [unrolled: 1-line block ×5, first 2 shown]
	ds_read_b128 v[139:142], v1 offset:1648
	s_waitcnt vmcnt(62) lgkmcnt(2)
	v_mul_f64 v[202:203], v[4:5], v[6:7]
	v_mul_f64 v[6:7], v[2:3], v[6:7]
	s_waitcnt vmcnt(60) lgkmcnt(1)
	v_mul_f64 v[209:210], v[137:138], v[143:144]
	v_mul_f64 v[143:144], v[135:136], v[143:144]
	;; [unrolled: 3-line block ×3, first 2 shown]
	v_fma_f64 v[202:203], v[2:3], v[145:146], -v[202:203]
	v_fma_f64 v[6:7], v[4:5], v[145:146], v[6:7]
	s_clause 0x2
	buffer_load_dword v207, off, s[0:3], 0 offset:892
	buffer_load_dword v146, off, s[0:3], 0 offset:868
	;; [unrolled: 1-line block ×3, first 2 shown]
	s_waitcnt vmcnt(57)
	v_fma_f64 v[213:214], v[135:136], v[149:150], -v[209:210]
	ds_read_b128 v[2:5], v1 offset:1664
	v_fma_f64 v[143:144], v[137:138], v[149:150], v[143:144]
	s_clause 0x4
	buffer_load_dword v150, off, s[0:3], 0 offset:908
	buffer_load_dword v210, off, s[0:3], 0 offset:920
	;; [unrolled: 1-line block ×5, first 2 shown]
	s_waitcnt vmcnt(56)
	v_fma_f64 v[147:148], v[139:140], v[157:158], -v[147:148]
	ds_read_b128 v[135:138], v1 offset:1680
	v_fma_f64 v[157:158], v[141:142], v[157:158], v[211:212]
	v_add_f64 v[202:203], v[202:203], 0
	v_add_f64 v[6:7], v[6:7], 0
	s_waitcnt lgkmcnt(1)
	v_mul_f64 v[216:217], v[2:3], v[151:152]
	v_mul_f64 v[151:152], v[4:5], v[151:152]
	v_add_f64 v[202:203], v[202:203], v[213:214]
	v_add_f64 v[6:7], v[6:7], v[143:144]
	s_clause 0x2
	buffer_load_dword v211, off, s[0:3], 0 offset:924
	buffer_load_dword v144, off, s[0:3], 0 offset:900
	;; [unrolled: 1-line block ×3, first 2 shown]
	s_waitcnt vmcnt(58) lgkmcnt(0)
	v_mul_f64 v[212:213], v[135:136], v[153:154]
	v_mul_f64 v[153:154], v[137:138], v[153:154]
	s_waitcnt vmcnt(56)
	v_fma_f64 v[151:152], v[2:3], v[159:160], -v[151:152]
	ds_read_b128 v[139:142], v1 offset:1696
	v_fma_f64 v[159:160], v[4:5], v[159:160], v[216:217]
	v_add_f64 v[147:148], v[202:203], v[147:148]
	v_add_f64 v[6:7], v[6:7], v[157:158]
	s_clause 0x4
	buffer_load_dword v158, off, s[0:3], 0 offset:940
	buffer_load_dword v202, off, s[0:3], 0 offset:952
	;; [unrolled: 1-line block ×5, first 2 shown]
	ds_read_b128 v[2:5], v1 offset:1712
	s_waitcnt vmcnt(57) lgkmcnt(1)
	v_mul_f64 v[218:219], v[139:140], v[161:162]
	v_mul_f64 v[161:162], v[141:142], v[161:162]
	s_waitcnt vmcnt(56)
	v_fma_f64 v[153:154], v[135:136], v[155:156], -v[153:154]
	v_add_f64 v[147:148], v[147:148], v[151:152]
	v_fma_f64 v[151:152], v[137:138], v[155:156], v[212:213]
	v_add_f64 v[6:7], v[6:7], v[159:160]
	s_clause 0x2
	buffer_load_dword v203, off, s[0:3], 0 offset:956
	buffer_load_dword v156, off, s[0:3], 0 offset:932
	;; [unrolled: 1-line block ×3, first 2 shown]
	s_waitcnt vmcnt(58) lgkmcnt(0)
	v_mul_f64 v[159:160], v[2:3], v[163:164]
	v_mul_f64 v[163:164], v[4:5], v[163:164]
	s_waitcnt vmcnt(56)
	v_fma_f64 v[161:162], v[139:140], v[167:168], -v[161:162]
	ds_read_b128 v[135:138], v1 offset:1728
	v_add_f64 v[147:148], v[147:148], v[153:154]
	v_fma_f64 v[153:154], v[141:142], v[167:168], v[218:219]
	v_add_f64 v[6:7], v[6:7], v[151:152]
	s_clause 0x4
	buffer_load_dword v152, off, s[0:3], 0 offset:972
	buffer_load_dword v167, off, s[0:3], 0 offset:984
	;; [unrolled: 1-line block ×5, first 2 shown]
	ds_read_b128 v[139:142], v1 offset:1744
	s_waitcnt vmcnt(57) lgkmcnt(1)
	v_mul_f64 v[213:214], v[135:136], v[169:170]
	v_mul_f64 v[169:170], v[137:138], v[169:170]
	s_waitcnt vmcnt(56)
	v_fma_f64 v[163:164], v[2:3], v[165:166], -v[163:164]
	v_fma_f64 v[159:160], v[4:5], v[165:166], v[159:160]
	v_add_f64 v[147:148], v[147:148], v[161:162]
	v_add_f64 v[6:7], v[6:7], v[153:154]
	s_clause 0x2
	buffer_load_dword v168, off, s[0:3], 0 offset:988
	buffer_load_dword v154, off, s[0:3], 0 offset:964
	;; [unrolled: 1-line block ×3, first 2 shown]
	s_waitcnt vmcnt(58) lgkmcnt(0)
	v_mul_f64 v[165:166], v[141:142], v[171:172]
	ds_read_b128 v[2:5], v1 offset:1760
	s_waitcnt vmcnt(56)
	v_fma_f64 v[169:170], v[135:136], v[175:176], -v[169:170]
	v_mul_f64 v[161:162], v[139:140], v[171:172]
	v_add_f64 v[147:148], v[147:148], v[163:164]
	v_fma_f64 v[163:164], v[137:138], v[175:176], v[213:214]
	v_add_f64 v[6:7], v[6:7], v[159:160]
	s_clause 0x4
	buffer_load_dword v160, off, s[0:3], 0 offset:1004
	buffer_load_dword v171, off, s[0:3], 0 offset:1016
	;; [unrolled: 1-line block ×5, first 2 shown]
	s_waitcnt vmcnt(57) lgkmcnt(0)
	v_mul_f64 v[219:220], v[2:3], v[177:178]
	v_mul_f64 v[176:177], v[4:5], v[177:178]
	s_waitcnt vmcnt(56)
	v_fma_f64 v[165:166], v[139:140], v[173:174], -v[165:166]
	ds_read_b128 v[135:138], v1 offset:1776
	v_fma_f64 v[161:162], v[141:142], v[173:174], v[161:162]
	v_add_f64 v[147:148], v[147:148], v[169:170]
	v_add_f64 v[6:7], v[6:7], v[163:164]
	s_clause 0x2
	buffer_load_dword v172, off, s[0:3], 0 offset:1020
	buffer_load_dword v164, off, s[0:3], 0 offset:996
	;; [unrolled: 1-line block ×3, first 2 shown]
	ds_read_b128 v[139:142], v1 offset:1792
	s_waitcnt vmcnt(58) lgkmcnt(1)
	v_mul_f64 v[173:174], v[137:138], v[179:180]
	s_waitcnt vmcnt(56)
	v_fma_f64 v[177:178], v[2:3], v[183:184], -v[176:177]
	v_mul_f64 v[169:170], v[135:136], v[179:180]
	buffer_load_dword v176, off, s[0:3], 0 offset:1012
	v_add_f64 v[147:148], v[147:148], v[165:166]
	v_fma_f64 v[165:166], v[4:5], v[183:184], v[219:220]
	v_add_f64 v[6:7], v[6:7], v[161:162]
	ds_read_b128 v[2:5], v1 offset:1808
	s_waitcnt vmcnt(53) lgkmcnt(1)
	v_mul_f64 v[179:180], v[141:142], v[185:186]
	s_waitcnt vmcnt(52)
	v_fma_f64 v[173:174], v[135:136], v[181:182], -v[173:174]
	v_mul_f64 v[161:162], v[139:140], v[185:186]
	v_fma_f64 v[169:170], v[137:138], v[181:182], v[169:170]
	ds_read_b128 v[135:138], v1 offset:1824
	v_add_f64 v[147:148], v[147:148], v[177:178]
	s_waitcnt vmcnt(51) lgkmcnt(1)
	v_mul_f64 v[177:178], v[4:5], v[187:188]
	v_add_f64 v[6:7], v[6:7], v[165:166]
	v_mul_f64 v[165:166], v[2:3], v[187:188]
	s_waitcnt vmcnt(49)
	v_fma_f64 v[179:180], v[139:140], v[191:192], -v[179:180]
	v_fma_f64 v[161:162], v[141:142], v[191:192], v[161:162]
	s_waitcnt vmcnt(45) lgkmcnt(0)
	v_mul_f64 v[183:184], v[137:138], v[193:194]
	v_mul_f64 v[181:182], v[135:136], v[193:194]
	v_add_f64 v[147:148], v[147:148], v[173:174]
	s_waitcnt vmcnt(44)
	v_fma_f64 v[177:178], v[2:3], v[189:190], -v[177:178]
	v_add_f64 v[6:7], v[6:7], v[169:170]
	s_clause 0x3
	buffer_load_dword v169, off, s[0:3], 0 offset:608
	buffer_load_dword v170, off, s[0:3], 0 offset:612
	;; [unrolled: 1-line block ×4, first 2 shown]
	ds_read_b128 v[139:142], v1 offset:1840
	v_fma_f64 v[165:166], v[4:5], v[189:190], v[165:166]
	ds_read_b128 v[2:5], v1 offset:1856
	s_waitcnt vmcnt(45)
	v_fma_f64 v[183:184], v[135:136], v[200:201], -v[183:184]
	v_add_f64 v[147:148], v[147:148], v[179:180]
	v_add_f64 v[6:7], v[6:7], v[161:162]
	s_waitcnt lgkmcnt(1)
	v_mul_f64 v[179:180], v[141:142], v[196:197]
	v_mul_f64 v[161:162], v[139:140], v[196:197]
	v_add_f64 v[147:148], v[147:148], v[177:178]
	v_fma_f64 v[177:178], v[137:138], v[200:201], v[181:182]
	v_add_f64 v[6:7], v[6:7], v[165:166]
	s_waitcnt vmcnt(41) lgkmcnt(0)
	v_mul_f64 v[181:182], v[4:5], v[204:205]
	s_waitcnt vmcnt(40)
	v_fma_f64 v[179:180], v[139:140], v[198:199], -v[179:180]
	ds_read_b128 v[135:138], v1 offset:1872
	v_mul_f64 v[165:166], v[2:3], v[204:205]
	v_fma_f64 v[161:162], v[141:142], v[198:199], v[161:162]
	ds_read_b128 v[139:142], v1 offset:1888
	v_add_f64 v[147:148], v[147:148], v[183:184]
	v_add_f64 v[6:7], v[6:7], v[177:178]
	s_waitcnt vmcnt(39) lgkmcnt(1)
	v_mul_f64 v[183:184], v[137:138], v[206:207]
	v_mul_f64 v[177:178], v[135:136], v[206:207]
	s_waitcnt vmcnt(37)
	v_fma_f64 v[181:182], v[2:3], v[145:146], -v[181:182]
	v_fma_f64 v[145:146], v[4:5], v[145:146], v[165:166]
	ds_read_b128 v[2:5], v1 offset:1904
	v_add_f64 v[147:148], v[147:148], v[179:180]
	v_add_f64 v[6:7], v[6:7], v[161:162]
	s_waitcnt vmcnt(33) lgkmcnt(1)
	v_mul_f64 v[161:162], v[139:140], v[149:150]
	v_mul_f64 v[149:150], v[141:142], v[149:150]
	s_waitcnt vmcnt(32)
	v_fma_f64 v[165:166], v[135:136], v[208:209], -v[183:184]
	v_fma_f64 v[177:178], v[137:138], v[208:209], v[177:178]
	ds_read_b128 v[135:138], v1 offset:1920
	v_add_f64 v[147:148], v[147:148], v[181:182]
	v_add_f64 v[6:7], v[6:7], v[145:146]
	s_waitcnt vmcnt(31) lgkmcnt(1)
	v_mul_f64 v[179:180], v[4:5], v[210:211]
	v_mul_f64 v[145:146], v[2:3], v[210:211]
	s_waitcnt vmcnt(29)
	v_fma_f64 v[149:150], v[139:140], v[143:144], -v[149:150]
	v_fma_f64 v[143:144], v[141:142], v[143:144], v[161:162]
	ds_read_b128 v[139:142], v1 offset:1936
	v_add_f64 v[147:148], v[147:148], v[165:166]
	v_add_f64 v[6:7], v[6:7], v[177:178]
	s_waitcnt vmcnt(25) lgkmcnt(1)
	v_mul_f64 v[161:162], v[135:136], v[157:158]
	v_mul_f64 v[157:158], v[137:138], v[157:158]
	s_waitcnt vmcnt(24)
	v_fma_f64 v[165:166], v[2:3], v[215:216], -v[179:180]
	v_fma_f64 v[145:146], v[4:5], v[215:216], v[145:146]
	ds_read_b128 v[2:5], v1 offset:1952
	v_add_f64 v[147:148], v[147:148], v[149:150]
	v_add_f64 v[6:7], v[6:7], v[143:144]
	s_waitcnt vmcnt(23) lgkmcnt(1)
	v_mul_f64 v[149:150], v[141:142], v[202:203]
	v_mul_f64 v[143:144], v[139:140], v[202:203]
	s_waitcnt vmcnt(21)
	v_fma_f64 v[157:158], v[135:136], v[155:156], -v[157:158]
	v_fma_f64 v[155:156], v[137:138], v[155:156], v[161:162]
	ds_read_b128 v[135:138], v1 offset:1968
	v_add_f64 v[147:148], v[147:148], v[165:166]
	v_add_f64 v[6:7], v[6:7], v[145:146]
	s_waitcnt vmcnt(17) lgkmcnt(1)
	v_mul_f64 v[145:146], v[2:3], v[151:152]
	v_mul_f64 v[151:152], v[4:5], v[151:152]
	s_waitcnt vmcnt(16)
	v_fma_f64 v[149:150], v[139:140], v[217:218], -v[149:150]
	v_fma_f64 v[143:144], v[141:142], v[217:218], v[143:144]
	ds_read_b128 v[139:142], v1 offset:1984
	v_add_f64 v[147:148], v[147:148], v[157:158]
	v_add_f64 v[6:7], v[6:7], v[155:156]
	s_waitcnt vmcnt(15) lgkmcnt(1)
	v_mul_f64 v[157:158], v[137:138], v[167:168]
	v_mul_f64 v[155:156], v[135:136], v[167:168]
	s_waitcnt vmcnt(13)
	v_fma_f64 v[151:152], v[2:3], v[153:154], -v[151:152]
	v_fma_f64 v[145:146], v[4:5], v[153:154], v[145:146]
	ds_read_b128 v[2:5], v1 offset:2000
	v_add_f64 v[147:148], v[147:148], v[149:150]
	v_add_f64 v[6:7], v[6:7], v[143:144]
	s_waitcnt vmcnt(9) lgkmcnt(1)
	v_mul_f64 v[149:150], v[141:142], v[159:160]
	s_waitcnt vmcnt(8)
	v_fma_f64 v[135:136], v[135:136], v[212:213], -v[157:158]
	v_mul_f64 v[143:144], v[139:140], v[159:160]
	v_fma_f64 v[137:138], v[137:138], v[212:213], v[155:156]
	v_add_f64 v[147:148], v[147:148], v[151:152]
	v_add_f64 v[6:7], v[6:7], v[145:146]
	s_waitcnt vmcnt(7) lgkmcnt(0)
	v_mul_f64 v[151:152], v[4:5], v[171:172]
	v_mul_f64 v[145:146], v[2:3], v[171:172]
	s_waitcnt vmcnt(5)
	v_fma_f64 v[139:140], v[139:140], v[163:164], -v[149:150]
	v_fma_f64 v[141:142], v[141:142], v[163:164], v[143:144]
	v_add_f64 v[135:136], v[147:148], v[135:136]
	v_add_f64 v[6:7], v[6:7], v[137:138]
	s_waitcnt vmcnt(4)
	v_fma_f64 v[2:3], v[2:3], v[175:176], -v[151:152]
	v_fma_f64 v[4:5], v[4:5], v[175:176], v[145:146]
	v_add_f64 v[135:136], v[135:136], v[139:140]
	v_add_f64 v[6:7], v[6:7], v[141:142]
	v_add_f64 v[2:3], v[135:136], v[2:3]
	v_add_f64 v[4:5], v[6:7], v[4:5]
	s_waitcnt vmcnt(2)
	v_add_f64 v[2:3], v[169:170], -v[2:3]
	s_waitcnt vmcnt(0)
	v_add_f64 v[4:5], v[173:174], -v[4:5]
	buffer_store_dword v3, off, s[0:3], 0 offset:612
	buffer_store_dword v2, off, s[0:3], 0 offset:608
	;; [unrolled: 1-line block ×4, first 2 shown]
	v_cmpx_lt_u32_e32 36, v0
	s_cbranch_execz .LBB126_331
; %bb.330:
	v_mov_b32_e32 v5, s41
	s_clause 0x3
	buffer_load_dword v2, v5, s[0:3], 0 offen
	buffer_load_dword v3, v5, s[0:3], 0 offen offset:4
	buffer_load_dword v4, v5, s[0:3], 0 offen offset:8
	;; [unrolled: 1-line block ×3, first 2 shown]
	buffer_store_dword v1, off, s[0:3], 0 offset:592
	buffer_store_dword v1, off, s[0:3], 0 offset:596
	;; [unrolled: 1-line block ×4, first 2 shown]
	s_waitcnt vmcnt(0)
	ds_write_b128 v195, v[2:5]
.LBB126_331:
	s_or_b32 exec_lo, exec_lo, s4
	s_waitcnt lgkmcnt(0)
	s_waitcnt_vscnt null, 0x0
	s_barrier
	buffer_gl0_inv
	s_clause 0x37
	buffer_load_dword v6, off, s[0:3], 0 offset:616
	buffer_load_dword v7, off, s[0:3], 0 offset:620
	;; [unrolled: 1-line block ×56, first 2 shown]
	ds_read_b128 v[2:5], v1 offset:1600
	s_clause 0x2
	buffer_load_dword v197, off, s[0:3], 0 offset:844
	buffer_load_dword v201, off, s[0:3], 0 offset:820
	buffer_load_dword v200, off, s[0:3], 0 offset:816
	ds_read_b128 v[135:138], v1 offset:1616
	s_clause 0x4
	buffer_load_dword v205, off, s[0:3], 0 offset:860
	buffer_load_dword v206, off, s[0:3], 0 offset:872
	;; [unrolled: 1-line block ×5, first 2 shown]
	ds_read_b128 v[139:142], v1 offset:1632
	s_mov_b32 s4, exec_lo
	s_waitcnt vmcnt(62) lgkmcnt(2)
	v_mul_f64 v[202:203], v[4:5], v[6:7]
	v_mul_f64 v[6:7], v[2:3], v[6:7]
	s_waitcnt vmcnt(60) lgkmcnt(1)
	v_mul_f64 v[209:210], v[137:138], v[143:144]
	v_mul_f64 v[143:144], v[135:136], v[143:144]
	;; [unrolled: 3-line block ×3, first 2 shown]
	v_fma_f64 v[202:203], v[2:3], v[145:146], -v[202:203]
	v_fma_f64 v[6:7], v[4:5], v[145:146], v[6:7]
	s_clause 0x2
	buffer_load_dword v207, off, s[0:3], 0 offset:876
	buffer_load_dword v146, off, s[0:3], 0 offset:852
	buffer_load_dword v145, off, s[0:3], 0 offset:848
	s_waitcnt vmcnt(57)
	v_fma_f64 v[213:214], v[135:136], v[149:150], -v[209:210]
	ds_read_b128 v[2:5], v1 offset:1648
	v_fma_f64 v[143:144], v[137:138], v[149:150], v[143:144]
	s_clause 0x4
	buffer_load_dword v150, off, s[0:3], 0 offset:892
	buffer_load_dword v210, off, s[0:3], 0 offset:904
	;; [unrolled: 1-line block ×5, first 2 shown]
	s_waitcnt vmcnt(56)
	v_fma_f64 v[147:148], v[139:140], v[157:158], -v[147:148]
	ds_read_b128 v[135:138], v1 offset:1664
	v_fma_f64 v[157:158], v[141:142], v[157:158], v[211:212]
	v_add_f64 v[202:203], v[202:203], 0
	v_add_f64 v[6:7], v[6:7], 0
	s_waitcnt lgkmcnt(1)
	v_mul_f64 v[216:217], v[2:3], v[151:152]
	v_mul_f64 v[151:152], v[4:5], v[151:152]
	v_add_f64 v[202:203], v[202:203], v[213:214]
	v_add_f64 v[6:7], v[6:7], v[143:144]
	s_clause 0x2
	buffer_load_dword v211, off, s[0:3], 0 offset:908
	buffer_load_dword v144, off, s[0:3], 0 offset:884
	;; [unrolled: 1-line block ×3, first 2 shown]
	s_waitcnt vmcnt(58) lgkmcnt(0)
	v_mul_f64 v[212:213], v[135:136], v[153:154]
	v_mul_f64 v[153:154], v[137:138], v[153:154]
	s_waitcnt vmcnt(56)
	v_fma_f64 v[151:152], v[2:3], v[159:160], -v[151:152]
	ds_read_b128 v[139:142], v1 offset:1680
	v_fma_f64 v[159:160], v[4:5], v[159:160], v[216:217]
	v_add_f64 v[147:148], v[202:203], v[147:148]
	v_add_f64 v[6:7], v[6:7], v[157:158]
	s_clause 0x4
	buffer_load_dword v158, off, s[0:3], 0 offset:924
	buffer_load_dword v202, off, s[0:3], 0 offset:936
	;; [unrolled: 1-line block ×5, first 2 shown]
	ds_read_b128 v[2:5], v1 offset:1696
	s_waitcnt vmcnt(57) lgkmcnt(1)
	v_mul_f64 v[218:219], v[139:140], v[161:162]
	v_mul_f64 v[161:162], v[141:142], v[161:162]
	s_waitcnt vmcnt(56)
	v_fma_f64 v[153:154], v[135:136], v[155:156], -v[153:154]
	v_add_f64 v[147:148], v[147:148], v[151:152]
	v_fma_f64 v[151:152], v[137:138], v[155:156], v[212:213]
	v_add_f64 v[6:7], v[6:7], v[159:160]
	s_clause 0x2
	buffer_load_dword v203, off, s[0:3], 0 offset:940
	buffer_load_dword v156, off, s[0:3], 0 offset:916
	;; [unrolled: 1-line block ×3, first 2 shown]
	s_waitcnt vmcnt(58) lgkmcnt(0)
	v_mul_f64 v[159:160], v[2:3], v[163:164]
	v_mul_f64 v[163:164], v[4:5], v[163:164]
	s_waitcnt vmcnt(56)
	v_fma_f64 v[161:162], v[139:140], v[167:168], -v[161:162]
	ds_read_b128 v[135:138], v1 offset:1712
	v_add_f64 v[147:148], v[147:148], v[153:154]
	v_fma_f64 v[153:154], v[141:142], v[167:168], v[218:219]
	v_add_f64 v[6:7], v[6:7], v[151:152]
	s_clause 0x4
	buffer_load_dword v152, off, s[0:3], 0 offset:956
	buffer_load_dword v167, off, s[0:3], 0 offset:968
	;; [unrolled: 1-line block ×5, first 2 shown]
	ds_read_b128 v[139:142], v1 offset:1728
	s_waitcnt vmcnt(57) lgkmcnt(1)
	v_mul_f64 v[213:214], v[135:136], v[169:170]
	v_mul_f64 v[169:170], v[137:138], v[169:170]
	s_waitcnt vmcnt(56)
	v_fma_f64 v[163:164], v[2:3], v[165:166], -v[163:164]
	v_fma_f64 v[159:160], v[4:5], v[165:166], v[159:160]
	v_add_f64 v[147:148], v[147:148], v[161:162]
	v_add_f64 v[6:7], v[6:7], v[153:154]
	s_clause 0x2
	buffer_load_dword v168, off, s[0:3], 0 offset:972
	buffer_load_dword v154, off, s[0:3], 0 offset:948
	;; [unrolled: 1-line block ×3, first 2 shown]
	s_waitcnt vmcnt(58) lgkmcnt(0)
	v_mul_f64 v[165:166], v[141:142], v[171:172]
	ds_read_b128 v[2:5], v1 offset:1744
	s_waitcnt vmcnt(56)
	v_fma_f64 v[169:170], v[135:136], v[175:176], -v[169:170]
	v_mul_f64 v[161:162], v[139:140], v[171:172]
	v_add_f64 v[147:148], v[147:148], v[163:164]
	v_fma_f64 v[163:164], v[137:138], v[175:176], v[213:214]
	v_add_f64 v[6:7], v[6:7], v[159:160]
	s_clause 0x4
	buffer_load_dword v160, off, s[0:3], 0 offset:988
	buffer_load_dword v171, off, s[0:3], 0 offset:1000
	buffer_load_dword v175, off, s[0:3], 0 offset:992
	buffer_load_dword v159, off, s[0:3], 0 offset:984
	buffer_load_dword v213, off, s[0:3], 0 offset:964
	s_waitcnt vmcnt(57) lgkmcnt(0)
	v_mul_f64 v[219:220], v[2:3], v[177:178]
	v_mul_f64 v[176:177], v[4:5], v[177:178]
	s_waitcnt vmcnt(56)
	v_fma_f64 v[165:166], v[139:140], v[173:174], -v[165:166]
	ds_read_b128 v[135:138], v1 offset:1760
	v_fma_f64 v[161:162], v[141:142], v[173:174], v[161:162]
	v_add_f64 v[147:148], v[147:148], v[169:170]
	v_add_f64 v[6:7], v[6:7], v[163:164]
	s_clause 0x2
	buffer_load_dword v172, off, s[0:3], 0 offset:1004
	buffer_load_dword v164, off, s[0:3], 0 offset:980
	;; [unrolled: 1-line block ×3, first 2 shown]
	ds_read_b128 v[139:142], v1 offset:1776
	s_waitcnt vmcnt(58) lgkmcnt(1)
	v_mul_f64 v[173:174], v[137:138], v[179:180]
	s_waitcnt vmcnt(56)
	v_fma_f64 v[177:178], v[2:3], v[183:184], -v[176:177]
	v_mul_f64 v[169:170], v[135:136], v[179:180]
	v_add_f64 v[147:148], v[147:148], v[165:166]
	v_fma_f64 v[165:166], v[4:5], v[183:184], v[219:220]
	v_add_f64 v[6:7], v[6:7], v[161:162]
	s_clause 0x2
	buffer_load_dword v162, off, s[0:3], 0 offset:1020
	buffer_load_dword v161, off, s[0:3], 0 offset:1016
	;; [unrolled: 1-line block ×3, first 2 shown]
	s_waitcnt vmcnt(55) lgkmcnt(0)
	v_mul_f64 v[183:184], v[141:142], v[185:186]
	s_waitcnt vmcnt(54)
	v_fma_f64 v[173:174], v[135:136], v[181:182], -v[173:174]
	ds_read_b128 v[2:5], v1 offset:1792
	v_mul_f64 v[179:180], v[139:140], v[185:186]
	v_fma_f64 v[169:170], v[137:138], v[181:182], v[169:170]
	v_add_f64 v[147:148], v[147:148], v[177:178]
	v_add_f64 v[6:7], v[6:7], v[165:166]
	s_clause 0x1
	buffer_load_dword v166, off, s[0:3], 0 offset:1012
	buffer_load_dword v165, off, s[0:3], 0 offset:1008
	s_waitcnt vmcnt(55) lgkmcnt(0)
	v_mul_f64 v[181:182], v[4:5], v[187:188]
	s_waitcnt vmcnt(53)
	v_fma_f64 v[183:184], v[139:140], v[191:192], -v[183:184]
	ds_read_b128 v[135:138], v1 offset:1808
	v_mul_f64 v[177:178], v[2:3], v[187:188]
	v_add_f64 v[147:148], v[147:148], v[173:174]
	v_fma_f64 v[173:174], v[141:142], v[191:192], v[179:180]
	v_add_f64 v[6:7], v[6:7], v[169:170]
	ds_read_b128 v[139:142], v1 offset:1824
	s_waitcnt vmcnt(49) lgkmcnt(1)
	v_mul_f64 v[179:180], v[137:138], v[193:194]
	s_waitcnt vmcnt(48)
	v_fma_f64 v[181:182], v[2:3], v[189:190], -v[181:182]
	v_mul_f64 v[169:170], v[135:136], v[193:194]
	v_fma_f64 v[177:178], v[4:5], v[189:190], v[177:178]
	v_add_f64 v[147:148], v[147:148], v[183:184]
	s_waitcnt vmcnt(47) lgkmcnt(0)
	v_mul_f64 v[187:188], v[141:142], v[196:197]
	v_add_f64 v[6:7], v[6:7], v[173:174]
	s_clause 0x3
	buffer_load_dword v173, off, s[0:3], 0 offset:592
	buffer_load_dword v174, off, s[0:3], 0 offset:596
	;; [unrolled: 1-line block ×4, first 2 shown]
	s_waitcnt vmcnt(49)
	v_fma_f64 v[179:180], v[135:136], v[200:201], -v[179:180]
	ds_read_b128 v[2:5], v1 offset:1840
	v_mul_f64 v[185:186], v[139:140], v[196:197]
	v_fma_f64 v[169:170], v[137:138], v[200:201], v[169:170]
	ds_read_b128 v[135:138], v1 offset:1856
	v_add_f64 v[147:148], v[147:148], v[181:182]
	s_waitcnt vmcnt(44)
	v_fma_f64 v[187:188], v[139:140], v[198:199], -v[187:188]
	v_add_f64 v[6:7], v[6:7], v[177:178]
	s_waitcnt lgkmcnt(1)
	v_mul_f64 v[181:182], v[4:5], v[204:205]
	v_mul_f64 v[177:178], v[2:3], v[204:205]
	v_add_f64 v[147:148], v[147:148], v[179:180]
	v_fma_f64 v[179:180], v[141:142], v[198:199], v[185:186]
	v_add_f64 v[6:7], v[6:7], v[169:170]
	ds_read_b128 v[139:142], v1 offset:1872
	s_waitcnt vmcnt(43) lgkmcnt(1)
	v_mul_f64 v[185:186], v[137:138], v[206:207]
	v_mul_f64 v[169:170], v[135:136], v[206:207]
	s_waitcnt vmcnt(41)
	v_fma_f64 v[181:182], v[2:3], v[145:146], -v[181:182]
	v_fma_f64 v[145:146], v[4:5], v[145:146], v[177:178]
	ds_read_b128 v[2:5], v1 offset:1888
	v_add_f64 v[147:148], v[147:148], v[187:188]
	s_waitcnt vmcnt(37) lgkmcnt(1)
	v_mul_f64 v[177:178], v[139:140], v[149:150]
	v_add_f64 v[6:7], v[6:7], v[179:180]
	v_mul_f64 v[149:150], v[141:142], v[149:150]
	s_waitcnt vmcnt(36)
	v_fma_f64 v[179:180], v[135:136], v[208:209], -v[185:186]
	v_fma_f64 v[169:170], v[137:138], v[208:209], v[169:170]
	ds_read_b128 v[135:138], v1 offset:1904
	v_add_f64 v[147:148], v[147:148], v[181:182]
	v_add_f64 v[6:7], v[6:7], v[145:146]
	s_waitcnt vmcnt(35) lgkmcnt(1)
	v_mul_f64 v[181:182], v[4:5], v[210:211]
	v_mul_f64 v[145:146], v[2:3], v[210:211]
	s_waitcnt vmcnt(33)
	v_fma_f64 v[149:150], v[139:140], v[143:144], -v[149:150]
	v_fma_f64 v[143:144], v[141:142], v[143:144], v[177:178]
	ds_read_b128 v[139:142], v1 offset:1920
	v_add_f64 v[147:148], v[147:148], v[179:180]
	v_add_f64 v[6:7], v[6:7], v[169:170]
	s_waitcnt vmcnt(29) lgkmcnt(1)
	v_mul_f64 v[169:170], v[135:136], v[157:158]
	;; [unrolled: 9-line block ×6, first 2 shown]
	s_waitcnt vmcnt(12)
	v_fma_f64 v[153:154], v[135:136], v[212:213], -v[157:158]
	v_mul_f64 v[143:144], v[139:140], v[159:160]
	v_add_f64 v[147:148], v[147:148], v[151:152]
	v_fma_f64 v[151:152], v[137:138], v[212:213], v[155:156]
	v_add_f64 v[6:7], v[6:7], v[145:146]
	ds_read_b128 v[135:138], v1 offset:2000
	s_waitcnt vmcnt(11) lgkmcnt(1)
	v_mul_f64 v[155:156], v[4:5], v[171:172]
	v_mul_f64 v[145:146], v[2:3], v[171:172]
	s_waitcnt vmcnt(9)
	v_fma_f64 v[139:140], v[139:140], v[163:164], -v[149:150]
	v_fma_f64 v[141:142], v[141:142], v[163:164], v[143:144]
	v_add_f64 v[147:148], v[147:148], v[153:154]
	v_add_f64 v[6:7], v[6:7], v[151:152]
	s_waitcnt vmcnt(7) lgkmcnt(0)
	v_mul_f64 v[149:150], v[137:138], v[161:162]
	s_waitcnt vmcnt(6)
	v_fma_f64 v[1:2], v[2:3], v[175:176], -v[155:156]
	v_mul_f64 v[143:144], v[135:136], v[161:162]
	v_fma_f64 v[3:4], v[4:5], v[175:176], v[145:146]
	v_add_f64 v[139:140], v[147:148], v[139:140]
	v_add_f64 v[5:6], v[6:7], v[141:142]
	s_waitcnt vmcnt(4)
	v_fma_f64 v[7:8], v[135:136], v[165:166], -v[149:150]
	v_fma_f64 v[135:136], v[137:138], v[165:166], v[143:144]
	v_add_f64 v[1:2], v[139:140], v[1:2]
	v_add_f64 v[3:4], v[5:6], v[3:4]
	;; [unrolled: 1-line block ×4, first 2 shown]
	s_waitcnt vmcnt(2)
	v_add_f64 v[1:2], v[173:174], -v[1:2]
	s_waitcnt vmcnt(0)
	v_add_f64 v[3:4], v[183:184], -v[3:4]
	buffer_store_dword v2, off, s[0:3], 0 offset:596
	buffer_store_dword v1, off, s[0:3], 0 offset:592
	;; [unrolled: 1-line block ×4, first 2 shown]
	v_cmpx_lt_u32_e32 35, v0
	s_cbranch_execz .LBB126_333
; %bb.332:
	v_mov_b32_e32 v4, s42
	v_mov_b32_e32 v5, 0
	s_clause 0x3
	buffer_load_dword v1, v4, s[0:3], 0 offen
	buffer_load_dword v2, v4, s[0:3], 0 offen offset:4
	buffer_load_dword v3, v4, s[0:3], 0 offen offset:8
	;; [unrolled: 1-line block ×3, first 2 shown]
	buffer_store_dword v5, off, s[0:3], 0 offset:576
	buffer_store_dword v5, off, s[0:3], 0 offset:580
	;; [unrolled: 1-line block ×4, first 2 shown]
	s_waitcnt vmcnt(0)
	ds_write_b128 v195, v[1:4]
.LBB126_333:
	s_or_b32 exec_lo, exec_lo, s4
	s_waitcnt lgkmcnt(0)
	s_waitcnt_vscnt null, 0x0
	s_barrier
	buffer_gl0_inv
	s_clause 0x37
	buffer_load_dword v6, off, s[0:3], 0 offset:600
	buffer_load_dword v7, off, s[0:3], 0 offset:604
	;; [unrolled: 1-line block ×56, first 2 shown]
	v_mov_b32_e32 v1, 0
	s_mov_b32 s4, exec_lo
	ds_read_b128 v[2:5], v1 offset:1584
	s_clause 0x2
	buffer_load_dword v197, off, s[0:3], 0 offset:828
	buffer_load_dword v201, off, s[0:3], 0 offset:804
	;; [unrolled: 1-line block ×3, first 2 shown]
	ds_read_b128 v[135:138], v1 offset:1600
	s_clause 0x4
	buffer_load_dword v205, off, s[0:3], 0 offset:844
	buffer_load_dword v206, off, s[0:3], 0 offset:856
	;; [unrolled: 1-line block ×5, first 2 shown]
	ds_read_b128 v[139:142], v1 offset:1616
	s_waitcnt vmcnt(62) lgkmcnt(2)
	v_mul_f64 v[202:203], v[4:5], v[6:7]
	v_mul_f64 v[6:7], v[2:3], v[6:7]
	s_waitcnt vmcnt(60) lgkmcnt(1)
	v_mul_f64 v[209:210], v[137:138], v[143:144]
	v_mul_f64 v[143:144], v[135:136], v[143:144]
	;; [unrolled: 3-line block ×3, first 2 shown]
	v_fma_f64 v[202:203], v[2:3], v[145:146], -v[202:203]
	v_fma_f64 v[6:7], v[4:5], v[145:146], v[6:7]
	s_clause 0x2
	buffer_load_dword v207, off, s[0:3], 0 offset:860
	buffer_load_dword v146, off, s[0:3], 0 offset:836
	;; [unrolled: 1-line block ×3, first 2 shown]
	s_waitcnt vmcnt(57)
	v_fma_f64 v[213:214], v[135:136], v[149:150], -v[209:210]
	ds_read_b128 v[2:5], v1 offset:1632
	v_fma_f64 v[143:144], v[137:138], v[149:150], v[143:144]
	s_clause 0x4
	buffer_load_dword v150, off, s[0:3], 0 offset:876
	buffer_load_dword v210, off, s[0:3], 0 offset:888
	;; [unrolled: 1-line block ×5, first 2 shown]
	s_waitcnt vmcnt(56)
	v_fma_f64 v[147:148], v[139:140], v[157:158], -v[147:148]
	ds_read_b128 v[135:138], v1 offset:1648
	v_fma_f64 v[157:158], v[141:142], v[157:158], v[211:212]
	v_add_f64 v[202:203], v[202:203], 0
	v_add_f64 v[6:7], v[6:7], 0
	s_waitcnt lgkmcnt(1)
	v_mul_f64 v[216:217], v[2:3], v[151:152]
	v_mul_f64 v[151:152], v[4:5], v[151:152]
	v_add_f64 v[202:203], v[202:203], v[213:214]
	v_add_f64 v[6:7], v[6:7], v[143:144]
	s_clause 0x2
	buffer_load_dword v211, off, s[0:3], 0 offset:892
	buffer_load_dword v144, off, s[0:3], 0 offset:868
	;; [unrolled: 1-line block ×3, first 2 shown]
	s_waitcnt vmcnt(58) lgkmcnt(0)
	v_mul_f64 v[212:213], v[135:136], v[153:154]
	v_mul_f64 v[153:154], v[137:138], v[153:154]
	s_waitcnt vmcnt(56)
	v_fma_f64 v[151:152], v[2:3], v[159:160], -v[151:152]
	ds_read_b128 v[139:142], v1 offset:1664
	v_fma_f64 v[159:160], v[4:5], v[159:160], v[216:217]
	v_add_f64 v[147:148], v[202:203], v[147:148]
	v_add_f64 v[6:7], v[6:7], v[157:158]
	s_clause 0x4
	buffer_load_dword v158, off, s[0:3], 0 offset:908
	buffer_load_dword v202, off, s[0:3], 0 offset:920
	;; [unrolled: 1-line block ×5, first 2 shown]
	ds_read_b128 v[2:5], v1 offset:1680
	s_waitcnt vmcnt(57) lgkmcnt(1)
	v_mul_f64 v[218:219], v[139:140], v[161:162]
	v_mul_f64 v[161:162], v[141:142], v[161:162]
	s_waitcnt vmcnt(56)
	v_fma_f64 v[153:154], v[135:136], v[155:156], -v[153:154]
	v_add_f64 v[147:148], v[147:148], v[151:152]
	v_fma_f64 v[151:152], v[137:138], v[155:156], v[212:213]
	v_add_f64 v[6:7], v[6:7], v[159:160]
	s_clause 0x2
	buffer_load_dword v203, off, s[0:3], 0 offset:924
	buffer_load_dword v156, off, s[0:3], 0 offset:900
	;; [unrolled: 1-line block ×3, first 2 shown]
	s_waitcnt vmcnt(58) lgkmcnt(0)
	v_mul_f64 v[159:160], v[2:3], v[163:164]
	v_mul_f64 v[163:164], v[4:5], v[163:164]
	s_waitcnt vmcnt(56)
	v_fma_f64 v[161:162], v[139:140], v[167:168], -v[161:162]
	ds_read_b128 v[135:138], v1 offset:1696
	v_add_f64 v[147:148], v[147:148], v[153:154]
	v_fma_f64 v[153:154], v[141:142], v[167:168], v[218:219]
	v_add_f64 v[6:7], v[6:7], v[151:152]
	s_clause 0x4
	buffer_load_dword v152, off, s[0:3], 0 offset:940
	buffer_load_dword v167, off, s[0:3], 0 offset:952
	;; [unrolled: 1-line block ×5, first 2 shown]
	ds_read_b128 v[139:142], v1 offset:1712
	s_waitcnt vmcnt(57) lgkmcnt(1)
	v_mul_f64 v[213:214], v[135:136], v[169:170]
	v_mul_f64 v[169:170], v[137:138], v[169:170]
	s_waitcnt vmcnt(56)
	v_fma_f64 v[163:164], v[2:3], v[165:166], -v[163:164]
	v_fma_f64 v[159:160], v[4:5], v[165:166], v[159:160]
	v_add_f64 v[147:148], v[147:148], v[161:162]
	v_add_f64 v[6:7], v[6:7], v[153:154]
	s_clause 0x2
	buffer_load_dword v168, off, s[0:3], 0 offset:956
	buffer_load_dword v154, off, s[0:3], 0 offset:932
	;; [unrolled: 1-line block ×3, first 2 shown]
	s_waitcnt vmcnt(58) lgkmcnt(0)
	v_mul_f64 v[165:166], v[141:142], v[171:172]
	ds_read_b128 v[2:5], v1 offset:1728
	s_waitcnt vmcnt(56)
	v_fma_f64 v[169:170], v[135:136], v[175:176], -v[169:170]
	v_mul_f64 v[161:162], v[139:140], v[171:172]
	v_add_f64 v[147:148], v[147:148], v[163:164]
	v_fma_f64 v[163:164], v[137:138], v[175:176], v[213:214]
	v_add_f64 v[6:7], v[6:7], v[159:160]
	s_clause 0x4
	buffer_load_dword v160, off, s[0:3], 0 offset:972
	buffer_load_dword v171, off, s[0:3], 0 offset:984
	;; [unrolled: 1-line block ×5, first 2 shown]
	s_waitcnt vmcnt(57) lgkmcnt(0)
	v_mul_f64 v[219:220], v[2:3], v[177:178]
	v_mul_f64 v[176:177], v[4:5], v[177:178]
	s_waitcnt vmcnt(56)
	v_fma_f64 v[165:166], v[139:140], v[173:174], -v[165:166]
	ds_read_b128 v[135:138], v1 offset:1744
	v_fma_f64 v[161:162], v[141:142], v[173:174], v[161:162]
	v_add_f64 v[147:148], v[147:148], v[169:170]
	v_add_f64 v[6:7], v[6:7], v[163:164]
	s_clause 0x2
	buffer_load_dword v172, off, s[0:3], 0 offset:988
	buffer_load_dword v164, off, s[0:3], 0 offset:964
	;; [unrolled: 1-line block ×3, first 2 shown]
	ds_read_b128 v[139:142], v1 offset:1760
	s_waitcnt vmcnt(58) lgkmcnt(1)
	v_mul_f64 v[173:174], v[137:138], v[179:180]
	s_waitcnt vmcnt(56)
	v_fma_f64 v[177:178], v[2:3], v[183:184], -v[176:177]
	v_mul_f64 v[169:170], v[135:136], v[179:180]
	v_add_f64 v[147:148], v[147:148], v[165:166]
	v_fma_f64 v[165:166], v[4:5], v[183:184], v[219:220]
	v_add_f64 v[6:7], v[6:7], v[161:162]
	s_clause 0x4
	buffer_load_dword v162, off, s[0:3], 0 offset:1004
	buffer_load_dword v179, off, s[0:3], 0 offset:1016
	;; [unrolled: 1-line block ×5, first 2 shown]
	s_waitcnt vmcnt(57) lgkmcnt(0)
	v_mul_f64 v[219:220], v[139:140], v[185:186]
	v_mul_f64 v[184:185], v[141:142], v[185:186]
	s_waitcnt vmcnt(56)
	v_fma_f64 v[173:174], v[135:136], v[181:182], -v[173:174]
	ds_read_b128 v[2:5], v1 offset:1776
	v_fma_f64 v[169:170], v[137:138], v[181:182], v[169:170]
	v_add_f64 v[147:148], v[147:148], v[177:178]
	v_add_f64 v[6:7], v[6:7], v[165:166]
	s_clause 0x2
	buffer_load_dword v180, off, s[0:3], 0 offset:1020
	buffer_load_dword v166, off, s[0:3], 0 offset:996
	;; [unrolled: 1-line block ×3, first 2 shown]
	ds_read_b128 v[135:138], v1 offset:1792
	s_waitcnt vmcnt(58) lgkmcnt(1)
	v_mul_f64 v[181:182], v[4:5], v[187:188]
	s_waitcnt vmcnt(56)
	v_fma_f64 v[185:186], v[139:140], v[191:192], -v[184:185]
	v_mul_f64 v[177:178], v[2:3], v[187:188]
	buffer_load_dword v184, off, s[0:3], 0 offset:1012
	v_add_f64 v[147:148], v[147:148], v[173:174]
	v_fma_f64 v[173:174], v[141:142], v[191:192], v[219:220]
	v_add_f64 v[6:7], v[6:7], v[169:170]
	ds_read_b128 v[139:142], v1 offset:1808
	s_waitcnt vmcnt(53) lgkmcnt(1)
	v_mul_f64 v[187:188], v[137:138], v[193:194]
	s_waitcnt vmcnt(52)
	v_fma_f64 v[181:182], v[2:3], v[189:190], -v[181:182]
	v_mul_f64 v[169:170], v[135:136], v[193:194]
	v_fma_f64 v[177:178], v[4:5], v[189:190], v[177:178]
	ds_read_b128 v[2:5], v1 offset:1824
	v_add_f64 v[147:148], v[147:148], v[185:186]
	s_waitcnt vmcnt(51) lgkmcnt(1)
	v_mul_f64 v[185:186], v[141:142], v[196:197]
	v_add_f64 v[6:7], v[6:7], v[173:174]
	v_mul_f64 v[173:174], v[139:140], v[196:197]
	s_waitcnt vmcnt(49)
	v_fma_f64 v[187:188], v[135:136], v[200:201], -v[187:188]
	v_fma_f64 v[169:170], v[137:138], v[200:201], v[169:170]
	s_waitcnt vmcnt(45) lgkmcnt(0)
	v_mul_f64 v[191:192], v[4:5], v[204:205]
	v_mul_f64 v[189:190], v[2:3], v[204:205]
	v_add_f64 v[147:148], v[147:148], v[181:182]
	s_waitcnt vmcnt(44)
	v_fma_f64 v[185:186], v[139:140], v[198:199], -v[185:186]
	v_add_f64 v[6:7], v[6:7], v[177:178]
	s_clause 0x3
	buffer_load_dword v177, off, s[0:3], 0 offset:576
	buffer_load_dword v178, off, s[0:3], 0 offset:580
	;; [unrolled: 1-line block ×4, first 2 shown]
	ds_read_b128 v[135:138], v1 offset:1840
	v_fma_f64 v[173:174], v[141:142], v[198:199], v[173:174]
	ds_read_b128 v[139:142], v1 offset:1856
	v_add_f64 v[147:148], v[147:148], v[187:188]
	v_add_f64 v[6:7], v[6:7], v[169:170]
	s_waitcnt vmcnt(47) lgkmcnt(1)
	v_mul_f64 v[187:188], v[137:138], v[206:207]
	v_mul_f64 v[169:170], v[135:136], v[206:207]
	s_waitcnt vmcnt(45)
	v_fma_f64 v[191:192], v[2:3], v[145:146], -v[191:192]
	v_fma_f64 v[145:146], v[4:5], v[145:146], v[189:190]
	ds_read_b128 v[2:5], v1 offset:1872
	v_add_f64 v[147:148], v[147:148], v[185:186]
	v_add_f64 v[6:7], v[6:7], v[173:174]
	s_waitcnt vmcnt(41) lgkmcnt(1)
	v_mul_f64 v[173:174], v[139:140], v[149:150]
	v_mul_f64 v[149:150], v[141:142], v[149:150]
	s_waitcnt vmcnt(40)
	v_fma_f64 v[185:186], v[135:136], v[208:209], -v[187:188]
	;; [unrolled: 9-line block ×7, first 2 shown]
	v_fma_f64 v[145:146], v[4:5], v[153:154], v[145:146]
	ds_read_b128 v[2:5], v1 offset:1968
	v_add_f64 v[147:148], v[147:148], v[149:150]
	v_add_f64 v[6:7], v[6:7], v[143:144]
	s_waitcnt vmcnt(17) lgkmcnt(1)
	v_mul_f64 v[149:150], v[141:142], v[159:160]
	s_waitcnt vmcnt(16)
	v_fma_f64 v[153:154], v[135:136], v[212:213], -v[157:158]
	v_mul_f64 v[143:144], v[139:140], v[159:160]
	v_add_f64 v[147:148], v[147:148], v[151:152]
	v_fma_f64 v[151:152], v[137:138], v[212:213], v[155:156]
	v_add_f64 v[6:7], v[6:7], v[145:146]
	ds_read_b128 v[135:138], v1 offset:1984
	s_waitcnt vmcnt(15) lgkmcnt(1)
	v_mul_f64 v[155:156], v[4:5], v[171:172]
	v_mul_f64 v[145:146], v[2:3], v[171:172]
	s_waitcnt vmcnt(13)
	v_fma_f64 v[149:150], v[139:140], v[163:164], -v[149:150]
	v_fma_f64 v[143:144], v[141:142], v[163:164], v[143:144]
	ds_read_b128 v[139:142], v1 offset:2000
	v_add_f64 v[147:148], v[147:148], v[153:154]
	v_add_f64 v[6:7], v[6:7], v[151:152]
	s_waitcnt vmcnt(9) lgkmcnt(1)
	v_mul_f64 v[153:154], v[137:138], v[161:162]
	s_waitcnt vmcnt(8)
	v_fma_f64 v[2:3], v[2:3], v[175:176], -v[155:156]
	v_mul_f64 v[151:152], v[135:136], v[161:162]
	v_fma_f64 v[4:5], v[4:5], v[175:176], v[145:146]
	v_add_f64 v[147:148], v[147:148], v[149:150]
	v_add_f64 v[6:7], v[6:7], v[143:144]
	s_waitcnt vmcnt(7) lgkmcnt(0)
	v_mul_f64 v[145:146], v[141:142], v[179:180]
	v_mul_f64 v[143:144], v[139:140], v[179:180]
	s_waitcnt vmcnt(5)
	v_fma_f64 v[135:136], v[135:136], v[165:166], -v[153:154]
	v_fma_f64 v[137:138], v[137:138], v[165:166], v[151:152]
	v_add_f64 v[2:3], v[147:148], v[2:3]
	v_add_f64 v[4:5], v[6:7], v[4:5]
	s_waitcnt vmcnt(4)
	v_fma_f64 v[6:7], v[139:140], v[183:184], -v[145:146]
	v_add_f64 v[2:3], v[2:3], v[135:136]
	v_fma_f64 v[135:136], v[141:142], v[183:184], v[143:144]
	v_add_f64 v[4:5], v[4:5], v[137:138]
	v_add_f64 v[2:3], v[2:3], v[6:7]
	v_add_f64 v[4:5], v[4:5], v[135:136]
	s_waitcnt vmcnt(2)
	v_add_f64 v[2:3], v[177:178], -v[2:3]
	s_waitcnt vmcnt(0)
	v_add_f64 v[4:5], v[181:182], -v[4:5]
	buffer_store_dword v3, off, s[0:3], 0 offset:580
	buffer_store_dword v2, off, s[0:3], 0 offset:576
	;; [unrolled: 1-line block ×4, first 2 shown]
	v_cmpx_lt_u32_e32 34, v0
	s_cbranch_execz .LBB126_335
; %bb.334:
	v_mov_b32_e32 v5, s43
	s_clause 0x3
	buffer_load_dword v2, v5, s[0:3], 0 offen
	buffer_load_dword v3, v5, s[0:3], 0 offen offset:4
	buffer_load_dword v4, v5, s[0:3], 0 offen offset:8
	;; [unrolled: 1-line block ×3, first 2 shown]
	buffer_store_dword v1, off, s[0:3], 0 offset:560
	buffer_store_dword v1, off, s[0:3], 0 offset:564
	;; [unrolled: 1-line block ×4, first 2 shown]
	s_waitcnt vmcnt(0)
	ds_write_b128 v195, v[2:5]
.LBB126_335:
	s_or_b32 exec_lo, exec_lo, s4
	s_waitcnt lgkmcnt(0)
	s_waitcnt_vscnt null, 0x0
	s_barrier
	buffer_gl0_inv
	s_clause 0x37
	buffer_load_dword v6, off, s[0:3], 0 offset:584
	buffer_load_dword v7, off, s[0:3], 0 offset:588
	;; [unrolled: 1-line block ×56, first 2 shown]
	ds_read_b128 v[2:5], v1 offset:1568
	s_clause 0x2
	buffer_load_dword v197, off, s[0:3], 0 offset:812
	buffer_load_dword v201, off, s[0:3], 0 offset:788
	;; [unrolled: 1-line block ×3, first 2 shown]
	ds_read_b128 v[135:138], v1 offset:1584
	s_clause 0x4
	buffer_load_dword v205, off, s[0:3], 0 offset:828
	buffer_load_dword v206, off, s[0:3], 0 offset:840
	;; [unrolled: 1-line block ×5, first 2 shown]
	ds_read_b128 v[139:142], v1 offset:1600
	s_mov_b32 s4, exec_lo
	s_waitcnt vmcnt(62) lgkmcnt(2)
	v_mul_f64 v[202:203], v[4:5], v[6:7]
	v_mul_f64 v[6:7], v[2:3], v[6:7]
	s_waitcnt vmcnt(60) lgkmcnt(1)
	v_mul_f64 v[209:210], v[137:138], v[143:144]
	v_mul_f64 v[143:144], v[135:136], v[143:144]
	;; [unrolled: 3-line block ×3, first 2 shown]
	v_fma_f64 v[202:203], v[2:3], v[145:146], -v[202:203]
	v_fma_f64 v[6:7], v[4:5], v[145:146], v[6:7]
	s_clause 0x2
	buffer_load_dword v207, off, s[0:3], 0 offset:844
	buffer_load_dword v146, off, s[0:3], 0 offset:820
	buffer_load_dword v145, off, s[0:3], 0 offset:816
	s_waitcnt vmcnt(57)
	v_fma_f64 v[213:214], v[135:136], v[149:150], -v[209:210]
	ds_read_b128 v[2:5], v1 offset:1616
	v_fma_f64 v[143:144], v[137:138], v[149:150], v[143:144]
	s_clause 0x4
	buffer_load_dword v150, off, s[0:3], 0 offset:860
	buffer_load_dword v210, off, s[0:3], 0 offset:872
	;; [unrolled: 1-line block ×5, first 2 shown]
	s_waitcnt vmcnt(56)
	v_fma_f64 v[147:148], v[139:140], v[157:158], -v[147:148]
	ds_read_b128 v[135:138], v1 offset:1632
	v_fma_f64 v[157:158], v[141:142], v[157:158], v[211:212]
	v_add_f64 v[202:203], v[202:203], 0
	v_add_f64 v[6:7], v[6:7], 0
	s_waitcnt lgkmcnt(1)
	v_mul_f64 v[216:217], v[2:3], v[151:152]
	v_mul_f64 v[151:152], v[4:5], v[151:152]
	v_add_f64 v[202:203], v[202:203], v[213:214]
	v_add_f64 v[6:7], v[6:7], v[143:144]
	s_clause 0x2
	buffer_load_dword v211, off, s[0:3], 0 offset:876
	buffer_load_dword v144, off, s[0:3], 0 offset:852
	;; [unrolled: 1-line block ×3, first 2 shown]
	s_waitcnt vmcnt(58) lgkmcnt(0)
	v_mul_f64 v[212:213], v[135:136], v[153:154]
	v_mul_f64 v[153:154], v[137:138], v[153:154]
	s_waitcnt vmcnt(56)
	v_fma_f64 v[151:152], v[2:3], v[159:160], -v[151:152]
	ds_read_b128 v[139:142], v1 offset:1648
	v_fma_f64 v[159:160], v[4:5], v[159:160], v[216:217]
	v_add_f64 v[147:148], v[202:203], v[147:148]
	v_add_f64 v[6:7], v[6:7], v[157:158]
	s_clause 0x4
	buffer_load_dword v158, off, s[0:3], 0 offset:892
	buffer_load_dword v202, off, s[0:3], 0 offset:904
	;; [unrolled: 1-line block ×5, first 2 shown]
	ds_read_b128 v[2:5], v1 offset:1664
	s_waitcnt vmcnt(57) lgkmcnt(1)
	v_mul_f64 v[218:219], v[139:140], v[161:162]
	v_mul_f64 v[161:162], v[141:142], v[161:162]
	s_waitcnt vmcnt(56)
	v_fma_f64 v[153:154], v[135:136], v[155:156], -v[153:154]
	v_add_f64 v[147:148], v[147:148], v[151:152]
	v_fma_f64 v[151:152], v[137:138], v[155:156], v[212:213]
	v_add_f64 v[6:7], v[6:7], v[159:160]
	s_clause 0x2
	buffer_load_dword v203, off, s[0:3], 0 offset:908
	buffer_load_dword v156, off, s[0:3], 0 offset:884
	;; [unrolled: 1-line block ×3, first 2 shown]
	s_waitcnt vmcnt(58) lgkmcnt(0)
	v_mul_f64 v[159:160], v[2:3], v[163:164]
	v_mul_f64 v[163:164], v[4:5], v[163:164]
	s_waitcnt vmcnt(56)
	v_fma_f64 v[161:162], v[139:140], v[167:168], -v[161:162]
	ds_read_b128 v[135:138], v1 offset:1680
	v_add_f64 v[147:148], v[147:148], v[153:154]
	v_fma_f64 v[153:154], v[141:142], v[167:168], v[218:219]
	v_add_f64 v[6:7], v[6:7], v[151:152]
	s_clause 0x4
	buffer_load_dword v152, off, s[0:3], 0 offset:924
	buffer_load_dword v167, off, s[0:3], 0 offset:936
	buffer_load_dword v212, off, s[0:3], 0 offset:928
	buffer_load_dword v151, off, s[0:3], 0 offset:920
	buffer_load_dword v218, off, s[0:3], 0 offset:900
	ds_read_b128 v[139:142], v1 offset:1696
	s_waitcnt vmcnt(57) lgkmcnt(1)
	v_mul_f64 v[213:214], v[135:136], v[169:170]
	v_mul_f64 v[169:170], v[137:138], v[169:170]
	s_waitcnt vmcnt(56)
	v_fma_f64 v[163:164], v[2:3], v[165:166], -v[163:164]
	v_fma_f64 v[159:160], v[4:5], v[165:166], v[159:160]
	v_add_f64 v[147:148], v[147:148], v[161:162]
	v_add_f64 v[6:7], v[6:7], v[153:154]
	s_clause 0x2
	buffer_load_dword v168, off, s[0:3], 0 offset:940
	buffer_load_dword v154, off, s[0:3], 0 offset:916
	;; [unrolled: 1-line block ×3, first 2 shown]
	s_waitcnt vmcnt(58) lgkmcnt(0)
	v_mul_f64 v[165:166], v[141:142], v[171:172]
	ds_read_b128 v[2:5], v1 offset:1712
	s_waitcnt vmcnt(56)
	v_fma_f64 v[169:170], v[135:136], v[175:176], -v[169:170]
	v_mul_f64 v[161:162], v[139:140], v[171:172]
	v_add_f64 v[147:148], v[147:148], v[163:164]
	v_fma_f64 v[163:164], v[137:138], v[175:176], v[213:214]
	v_add_f64 v[6:7], v[6:7], v[159:160]
	s_clause 0x4
	buffer_load_dword v160, off, s[0:3], 0 offset:956
	buffer_load_dword v171, off, s[0:3], 0 offset:968
	;; [unrolled: 1-line block ×5, first 2 shown]
	s_waitcnt vmcnt(57) lgkmcnt(0)
	v_mul_f64 v[219:220], v[2:3], v[177:178]
	v_mul_f64 v[176:177], v[4:5], v[177:178]
	s_waitcnt vmcnt(56)
	v_fma_f64 v[165:166], v[139:140], v[173:174], -v[165:166]
	ds_read_b128 v[135:138], v1 offset:1728
	v_fma_f64 v[161:162], v[141:142], v[173:174], v[161:162]
	v_add_f64 v[147:148], v[147:148], v[169:170]
	v_add_f64 v[6:7], v[6:7], v[163:164]
	s_clause 0x2
	buffer_load_dword v172, off, s[0:3], 0 offset:972
	buffer_load_dword v164, off, s[0:3], 0 offset:948
	;; [unrolled: 1-line block ×3, first 2 shown]
	ds_read_b128 v[139:142], v1 offset:1744
	s_waitcnt vmcnt(58) lgkmcnt(1)
	v_mul_f64 v[173:174], v[137:138], v[179:180]
	s_waitcnt vmcnt(56)
	v_fma_f64 v[177:178], v[2:3], v[183:184], -v[176:177]
	v_mul_f64 v[169:170], v[135:136], v[179:180]
	v_add_f64 v[147:148], v[147:148], v[165:166]
	v_fma_f64 v[165:166], v[4:5], v[183:184], v[219:220]
	v_add_f64 v[6:7], v[6:7], v[161:162]
	s_clause 0x4
	buffer_load_dword v162, off, s[0:3], 0 offset:988
	buffer_load_dword v179, off, s[0:3], 0 offset:1000
	;; [unrolled: 1-line block ×5, first 2 shown]
	s_waitcnt vmcnt(57) lgkmcnt(0)
	v_mul_f64 v[219:220], v[139:140], v[185:186]
	v_mul_f64 v[184:185], v[141:142], v[185:186]
	s_waitcnt vmcnt(56)
	v_fma_f64 v[173:174], v[135:136], v[181:182], -v[173:174]
	ds_read_b128 v[2:5], v1 offset:1760
	v_fma_f64 v[169:170], v[137:138], v[181:182], v[169:170]
	v_add_f64 v[147:148], v[147:148], v[177:178]
	v_add_f64 v[6:7], v[6:7], v[165:166]
	s_clause 0x2
	buffer_load_dword v180, off, s[0:3], 0 offset:1004
	buffer_load_dword v166, off, s[0:3], 0 offset:980
	;; [unrolled: 1-line block ×3, first 2 shown]
	ds_read_b128 v[135:138], v1 offset:1776
	s_waitcnt vmcnt(58) lgkmcnt(1)
	v_mul_f64 v[181:182], v[4:5], v[187:188]
	s_waitcnt vmcnt(56)
	v_fma_f64 v[185:186], v[139:140], v[191:192], -v[184:185]
	v_mul_f64 v[177:178], v[2:3], v[187:188]
	v_add_f64 v[147:148], v[147:148], v[173:174]
	v_fma_f64 v[173:174], v[141:142], v[191:192], v[219:220]
	v_add_f64 v[6:7], v[6:7], v[169:170]
	s_clause 0x2
	buffer_load_dword v170, off, s[0:3], 0 offset:1020
	buffer_load_dword v169, off, s[0:3], 0 offset:1016
	;; [unrolled: 1-line block ×3, first 2 shown]
	s_waitcnt vmcnt(55) lgkmcnt(0)
	v_mul_f64 v[191:192], v[137:138], v[193:194]
	s_waitcnt vmcnt(54)
	v_fma_f64 v[181:182], v[2:3], v[189:190], -v[181:182]
	ds_read_b128 v[139:142], v1 offset:1792
	v_mul_f64 v[187:188], v[135:136], v[193:194]
	v_fma_f64 v[177:178], v[4:5], v[189:190], v[177:178]
	v_add_f64 v[147:148], v[147:148], v[185:186]
	v_add_f64 v[6:7], v[6:7], v[173:174]
	s_clause 0x1
	buffer_load_dword v174, off, s[0:3], 0 offset:1012
	buffer_load_dword v173, off, s[0:3], 0 offset:1008
	s_waitcnt vmcnt(55) lgkmcnt(0)
	v_mul_f64 v[189:190], v[141:142], v[196:197]
	s_waitcnt vmcnt(53)
	v_fma_f64 v[191:192], v[135:136], v[200:201], -v[191:192]
	ds_read_b128 v[2:5], v1 offset:1808
	v_mul_f64 v[185:186], v[139:140], v[196:197]
	v_add_f64 v[147:148], v[147:148], v[181:182]
	v_fma_f64 v[181:182], v[137:138], v[200:201], v[187:188]
	v_add_f64 v[6:7], v[6:7], v[177:178]
	ds_read_b128 v[135:138], v1 offset:1824
	s_waitcnt vmcnt(49) lgkmcnt(1)
	v_mul_f64 v[187:188], v[4:5], v[204:205]
	s_waitcnt vmcnt(48)
	v_fma_f64 v[189:190], v[139:140], v[198:199], -v[189:190]
	v_mul_f64 v[177:178], v[2:3], v[204:205]
	v_fma_f64 v[185:186], v[141:142], v[198:199], v[185:186]
	v_add_f64 v[147:148], v[147:148], v[191:192]
	v_add_f64 v[6:7], v[6:7], v[181:182]
	s_clause 0x3
	buffer_load_dword v181, off, s[0:3], 0 offset:560
	buffer_load_dword v182, off, s[0:3], 0 offset:564
	;; [unrolled: 1-line block ×4, first 2 shown]
	ds_read_b128 v[139:142], v1 offset:1840
	s_waitcnt vmcnt(51) lgkmcnt(1)
	v_mul_f64 v[196:197], v[137:138], v[206:207]
	v_mul_f64 v[193:194], v[135:136], v[206:207]
	s_waitcnt vmcnt(49)
	v_fma_f64 v[187:188], v[2:3], v[145:146], -v[187:188]
	v_fma_f64 v[145:146], v[4:5], v[145:146], v[177:178]
	ds_read_b128 v[2:5], v1 offset:1856
	v_add_f64 v[147:148], v[147:148], v[189:190]
	v_add_f64 v[6:7], v[6:7], v[185:186]
	s_waitcnt vmcnt(45) lgkmcnt(1)
	v_mul_f64 v[177:178], v[139:140], v[149:150]
	v_mul_f64 v[149:150], v[141:142], v[149:150]
	s_waitcnt vmcnt(44)
	v_fma_f64 v[185:186], v[135:136], v[208:209], -v[196:197]
	v_add_f64 v[147:148], v[147:148], v[187:188]
	v_fma_f64 v[187:188], v[137:138], v[208:209], v[193:194]
	v_add_f64 v[6:7], v[6:7], v[145:146]
	ds_read_b128 v[135:138], v1 offset:1872
	s_waitcnt vmcnt(43) lgkmcnt(1)
	v_mul_f64 v[189:190], v[4:5], v[210:211]
	v_mul_f64 v[145:146], v[2:3], v[210:211]
	s_waitcnt vmcnt(41)
	v_fma_f64 v[149:150], v[139:140], v[143:144], -v[149:150]
	v_fma_f64 v[143:144], v[141:142], v[143:144], v[177:178]
	ds_read_b128 v[139:142], v1 offset:1888
	v_add_f64 v[147:148], v[147:148], v[185:186]
	v_add_f64 v[6:7], v[6:7], v[187:188]
	s_waitcnt vmcnt(37) lgkmcnt(1)
	v_mul_f64 v[177:178], v[135:136], v[157:158]
	v_mul_f64 v[157:158], v[137:138], v[157:158]
	s_waitcnt vmcnt(36)
	v_fma_f64 v[185:186], v[2:3], v[215:216], -v[189:190]
	v_fma_f64 v[145:146], v[4:5], v[215:216], v[145:146]
	ds_read_b128 v[2:5], v1 offset:1904
	v_add_f64 v[147:148], v[147:148], v[149:150]
	v_add_f64 v[6:7], v[6:7], v[143:144]
	s_waitcnt vmcnt(35) lgkmcnt(1)
	v_mul_f64 v[149:150], v[141:142], v[202:203]
	v_mul_f64 v[143:144], v[139:140], v[202:203]
	s_waitcnt vmcnt(33)
	v_fma_f64 v[157:158], v[135:136], v[155:156], -v[157:158]
	v_fma_f64 v[155:156], v[137:138], v[155:156], v[177:178]
	ds_read_b128 v[135:138], v1 offset:1920
	v_add_f64 v[147:148], v[147:148], v[185:186]
	v_add_f64 v[6:7], v[6:7], v[145:146]
	s_waitcnt vmcnt(29) lgkmcnt(1)
	v_mul_f64 v[145:146], v[2:3], v[151:152]
	v_mul_f64 v[151:152], v[4:5], v[151:152]
	s_waitcnt vmcnt(28)
	v_fma_f64 v[149:150], v[139:140], v[217:218], -v[149:150]
	v_fma_f64 v[143:144], v[141:142], v[217:218], v[143:144]
	ds_read_b128 v[139:142], v1 offset:1936
	v_add_f64 v[147:148], v[147:148], v[157:158]
	v_add_f64 v[6:7], v[6:7], v[155:156]
	s_waitcnt vmcnt(27) lgkmcnt(1)
	v_mul_f64 v[157:158], v[137:138], v[167:168]
	v_mul_f64 v[155:156], v[135:136], v[167:168]
	s_waitcnt vmcnt(25)
	v_fma_f64 v[151:152], v[2:3], v[153:154], -v[151:152]
	v_fma_f64 v[145:146], v[4:5], v[153:154], v[145:146]
	ds_read_b128 v[2:5], v1 offset:1952
	v_add_f64 v[147:148], v[147:148], v[149:150]
	v_add_f64 v[6:7], v[6:7], v[143:144]
	s_waitcnt vmcnt(21) lgkmcnt(1)
	v_mul_f64 v[149:150], v[141:142], v[159:160]
	s_waitcnt vmcnt(20)
	v_fma_f64 v[153:154], v[135:136], v[212:213], -v[157:158]
	v_mul_f64 v[143:144], v[139:140], v[159:160]
	v_add_f64 v[147:148], v[147:148], v[151:152]
	v_fma_f64 v[151:152], v[137:138], v[212:213], v[155:156]
	v_add_f64 v[6:7], v[6:7], v[145:146]
	ds_read_b128 v[135:138], v1 offset:1968
	s_waitcnt vmcnt(19) lgkmcnt(1)
	v_mul_f64 v[155:156], v[4:5], v[171:172]
	v_mul_f64 v[145:146], v[2:3], v[171:172]
	s_waitcnt vmcnt(17)
	v_fma_f64 v[149:150], v[139:140], v[163:164], -v[149:150]
	v_fma_f64 v[143:144], v[141:142], v[163:164], v[143:144]
	ds_read_b128 v[139:142], v1 offset:1984
	v_add_f64 v[147:148], v[147:148], v[153:154]
	v_add_f64 v[6:7], v[6:7], v[151:152]
	s_waitcnt vmcnt(13) lgkmcnt(1)
	v_mul_f64 v[153:154], v[137:138], v[161:162]
	s_waitcnt vmcnt(12)
	v_fma_f64 v[155:156], v[2:3], v[175:176], -v[155:156]
	v_mul_f64 v[151:152], v[135:136], v[161:162]
	v_fma_f64 v[145:146], v[4:5], v[175:176], v[145:146]
	ds_read_b128 v[1:4], v1 offset:2000
	v_add_f64 v[147:148], v[147:148], v[149:150]
	v_add_f64 v[5:6], v[6:7], v[143:144]
	s_waitcnt vmcnt(11) lgkmcnt(1)
	v_mul_f64 v[143:144], v[141:142], v[179:180]
	v_mul_f64 v[7:8], v[139:140], v[179:180]
	s_waitcnt vmcnt(9)
	v_fma_f64 v[135:136], v[135:136], v[165:166], -v[153:154]
	v_fma_f64 v[137:138], v[137:138], v[165:166], v[151:152]
	v_add_f64 v[147:148], v[147:148], v[155:156]
	v_add_f64 v[5:6], v[5:6], v[145:146]
	s_waitcnt vmcnt(7) lgkmcnt(0)
	v_mul_f64 v[149:150], v[3:4], v[169:170]
	s_waitcnt vmcnt(6)
	v_fma_f64 v[139:140], v[139:140], v[183:184], -v[143:144]
	v_mul_f64 v[145:146], v[1:2], v[169:170]
	v_fma_f64 v[7:8], v[141:142], v[183:184], v[7:8]
	v_add_f64 v[135:136], v[147:148], v[135:136]
	v_add_f64 v[5:6], v[5:6], v[137:138]
	s_waitcnt vmcnt(4)
	v_fma_f64 v[1:2], v[1:2], v[173:174], -v[149:150]
	v_fma_f64 v[3:4], v[3:4], v[173:174], v[145:146]
	v_add_f64 v[135:136], v[135:136], v[139:140]
	v_add_f64 v[5:6], v[5:6], v[7:8]
	v_add_f64 v[1:2], v[135:136], v[1:2]
	v_add_f64 v[3:4], v[5:6], v[3:4]
	s_waitcnt vmcnt(2)
	v_add_f64 v[1:2], v[181:182], -v[1:2]
	s_waitcnt vmcnt(0)
	v_add_f64 v[3:4], v[191:192], -v[3:4]
	buffer_store_dword v2, off, s[0:3], 0 offset:564
	buffer_store_dword v1, off, s[0:3], 0 offset:560
	;; [unrolled: 1-line block ×4, first 2 shown]
	v_cmpx_lt_u32_e32 33, v0
	s_cbranch_execz .LBB126_337
; %bb.336:
	v_mov_b32_e32 v4, s44
	v_mov_b32_e32 v5, 0
	s_clause 0x3
	buffer_load_dword v1, v4, s[0:3], 0 offen
	buffer_load_dword v2, v4, s[0:3], 0 offen offset:4
	buffer_load_dword v3, v4, s[0:3], 0 offen offset:8
	;; [unrolled: 1-line block ×3, first 2 shown]
	buffer_store_dword v5, off, s[0:3], 0 offset:544
	buffer_store_dword v5, off, s[0:3], 0 offset:548
	;; [unrolled: 1-line block ×4, first 2 shown]
	s_waitcnt vmcnt(0)
	ds_write_b128 v195, v[1:4]
.LBB126_337:
	s_or_b32 exec_lo, exec_lo, s4
	s_waitcnt lgkmcnt(0)
	s_waitcnt_vscnt null, 0x0
	s_barrier
	buffer_gl0_inv
	s_clause 0x37
	buffer_load_dword v7, off, s[0:3], 0 offset:568
	buffer_load_dword v8, off, s[0:3], 0 offset:572
	;; [unrolled: 1-line block ×56, first 2 shown]
	v_mov_b32_e32 v137, 0
	s_mov_b32 s4, exec_lo
	ds_read_b128 v[138:141], v137 offset:1552
	s_clause 0x2
	buffer_load_dword v197, off, s[0:3], 0 offset:796
	buffer_load_dword v201, off, s[0:3], 0 offset:772
	;; [unrolled: 1-line block ×3, first 2 shown]
	ds_read_b128 v[142:145], v137 offset:1568
	s_clause 0x4
	buffer_load_dword v205, off, s[0:3], 0 offset:812
	buffer_load_dword v206, off, s[0:3], 0 offset:824
	;; [unrolled: 1-line block ×5, first 2 shown]
	ds_read_b128 v[146:149], v137 offset:1584
	s_clause 0x2
	buffer_load_dword v207, off, s[0:3], 0 offset:828
	buffer_load_dword v212, off, s[0:3], 0 offset:804
	;; [unrolled: 1-line block ×3, first 2 shown]
	s_waitcnt vmcnt(62) lgkmcnt(2)
	v_mul_f64 v[202:203], v[140:141], v[7:8]
	v_mul_f64 v[7:8], v[138:139], v[7:8]
	s_waitcnt lgkmcnt(1)
	v_mul_f64 v[209:210], v[144:145], v[5:6]
	s_waitcnt vmcnt(59) lgkmcnt(0)
	v_mul_f64 v[213:214], v[148:149], v[3:4]
	v_fma_f64 v[138:139], v[138:139], v[135:136], -v[202:203]
	v_mul_f64 v[202:203], v[142:143], v[5:6]
	v_fma_f64 v[135:136], v[140:141], v[135:136], v[7:8]
	s_waitcnt vmcnt(57)
	v_fma_f64 v[142:143], v[142:143], v[1:2], -v[209:210]
	ds_read_b128 v[5:8], v137 offset:1600
	v_mul_f64 v[140:141], v[146:147], v[3:4]
	s_waitcnt vmcnt(51)
	v_fma_f64 v[146:147], v[146:147], v[156:157], -v[213:214]
	v_add_f64 v[138:139], v[138:139], 0
	v_fma_f64 v[144:145], v[144:145], v[1:2], v[202:203]
	v_add_f64 v[135:136], v[135:136], 0
	s_clause 0x4
	buffer_load_dword v203, off, s[0:3], 0 offset:844
	buffer_load_dword v215, off, s[0:3], 0 offset:856
	;; [unrolled: 1-line block ×5, first 2 shown]
	s_waitcnt lgkmcnt(0)
	v_mul_f64 v[218:219], v[5:6], v[150:151]
	v_mul_f64 v[150:151], v[7:8], v[150:151]
	ds_read_b128 v[1:4], v137 offset:1616
	v_fma_f64 v[148:149], v[148:149], v[156:157], v[140:141]
	v_add_f64 v[142:143], v[138:139], v[142:143]
	v_add_f64 v[135:136], v[135:136], v[144:145]
	s_clause 0x2
	buffer_load_dword v216, off, s[0:3], 0 offset:860
	buffer_load_dword v145, off, s[0:3], 0 offset:836
	;; [unrolled: 1-line block ×3, first 2 shown]
	s_waitcnt vmcnt(58) lgkmcnt(0)
	v_mul_f64 v[156:157], v[1:2], v[152:153]
	v_mul_f64 v[152:153], v[3:4], v[152:153]
	s_waitcnt vmcnt(56)
	v_fma_f64 v[150:151], v[5:6], v[158:159], -v[150:151]
	ds_read_b128 v[138:141], v137 offset:1632
	v_add_f64 v[142:143], v[142:143], v[146:147]
	v_fma_f64 v[146:147], v[7:8], v[158:159], v[218:219]
	v_add_f64 v[135:136], v[135:136], v[148:149]
	s_clause 0x4
	buffer_load_dword v149, off, s[0:3], 0 offset:876
	buffer_load_dword v158, off, s[0:3], 0 offset:888
	buffer_load_dword v213, off, s[0:3], 0 offset:880
	buffer_load_dword v148, off, s[0:3], 0 offset:872
	buffer_load_dword v218, off, s[0:3], 0 offset:852
	ds_read_b128 v[5:8], v137 offset:1648
	s_waitcnt vmcnt(57) lgkmcnt(1)
	v_mul_f64 v[219:220], v[138:139], v[160:161]
	v_mul_f64 v[160:161], v[140:141], v[160:161]
	s_waitcnt vmcnt(56)
	v_fma_f64 v[152:153], v[1:2], v[154:155], -v[152:153]
	v_add_f64 v[142:143], v[142:143], v[150:151]
	v_fma_f64 v[150:151], v[3:4], v[154:155], v[156:157]
	v_add_f64 v[135:136], v[135:136], v[146:147]
	s_clause 0x2
	buffer_load_dword v159, off, s[0:3], 0 offset:892
	buffer_load_dword v147, off, s[0:3], 0 offset:868
	;; [unrolled: 1-line block ×3, first 2 shown]
	s_waitcnt vmcnt(58) lgkmcnt(0)
	v_mul_f64 v[156:157], v[7:8], v[162:163]
	ds_read_b128 v[1:4], v137 offset:1664
	s_waitcnt vmcnt(56)
	v_fma_f64 v[160:161], v[138:139], v[166:167], -v[160:161]
	v_mul_f64 v[154:155], v[5:6], v[162:163]
	v_add_f64 v[142:143], v[142:143], v[152:153]
	v_fma_f64 v[152:153], v[140:141], v[166:167], v[219:220]
	v_add_f64 v[135:136], v[135:136], v[150:151]
	s_clause 0x4
	buffer_load_dword v151, off, s[0:3], 0 offset:908
	buffer_load_dword v162, off, s[0:3], 0 offset:920
	buffer_load_dword v166, off, s[0:3], 0 offset:912
	buffer_load_dword v150, off, s[0:3], 0 offset:904
	buffer_load_dword v214, off, s[0:3], 0 offset:884
	s_waitcnt vmcnt(57) lgkmcnt(0)
	v_mul_f64 v[219:220], v[1:2], v[168:169]
	v_mul_f64 v[167:168], v[3:4], v[168:169]
	s_waitcnt vmcnt(56)
	v_fma_f64 v[156:157], v[5:6], v[164:165], -v[156:157]
	ds_read_b128 v[138:141], v137 offset:1680
	v_fma_f64 v[154:155], v[7:8], v[164:165], v[154:155]
	v_add_f64 v[142:143], v[142:143], v[160:161]
	v_add_f64 v[135:136], v[135:136], v[152:153]
	s_clause 0x2
	buffer_load_dword v163, off, s[0:3], 0 offset:924
	buffer_load_dword v153, off, s[0:3], 0 offset:900
	buffer_load_dword v152, off, s[0:3], 0 offset:896
	ds_read_b128 v[5:8], v137 offset:1696
	s_waitcnt vmcnt(58) lgkmcnt(1)
	v_mul_f64 v[164:165], v[140:141], v[170:171]
	s_waitcnt vmcnt(56)
	v_fma_f64 v[168:169], v[1:2], v[174:175], -v[167:168]
	v_mul_f64 v[160:161], v[138:139], v[170:171]
	v_add_f64 v[142:143], v[142:143], v[156:157]
	v_fma_f64 v[156:157], v[3:4], v[174:175], v[219:220]
	v_add_f64 v[135:136], v[135:136], v[154:155]
	s_clause 0x4
	buffer_load_dword v155, off, s[0:3], 0 offset:940
	buffer_load_dword v170, off, s[0:3], 0 offset:952
	buffer_load_dword v174, off, s[0:3], 0 offset:944
	buffer_load_dword v154, off, s[0:3], 0 offset:936
	buffer_load_dword v167, off, s[0:3], 0 offset:916
	s_waitcnt vmcnt(57) lgkmcnt(0)
	v_mul_f64 v[219:220], v[5:6], v[176:177]
	v_mul_f64 v[175:176], v[7:8], v[176:177]
	s_waitcnt vmcnt(56)
	v_fma_f64 v[164:165], v[138:139], v[172:173], -v[164:165]
	ds_read_b128 v[1:4], v137 offset:1712
	v_fma_f64 v[160:161], v[140:141], v[172:173], v[160:161]
	v_add_f64 v[142:143], v[142:143], v[168:169]
	v_add_f64 v[135:136], v[135:136], v[156:157]
	s_clause 0x2
	buffer_load_dword v171, off, s[0:3], 0 offset:956
	buffer_load_dword v157, off, s[0:3], 0 offset:932
	buffer_load_dword v156, off, s[0:3], 0 offset:928
	ds_read_b128 v[138:141], v137 offset:1728
	s_waitcnt vmcnt(58) lgkmcnt(1)
	v_mul_f64 v[172:173], v[3:4], v[178:179]
	;; [unrolled: 28-line block ×4, first 2 shown]
	s_waitcnt vmcnt(56)
	v_fma_f64 v[192:193], v[1:2], v[200:201], -v[191:192]
	v_mul_f64 v[184:185], v[138:139], v[196:197]
	buffer_load_dword v191, off, s[0:3], 0 offset:1012
	v_add_f64 v[142:143], v[142:143], v[180:181]
	v_fma_f64 v[180:181], v[3:4], v[200:201], v[219:220]
	v_add_f64 v[135:136], v[135:136], v[176:177]
	ds_read_b128 v[1:4], v137 offset:1808
	s_waitcnt vmcnt(53) lgkmcnt(1)
	v_mul_f64 v[196:197], v[7:8], v[204:205]
	s_waitcnt vmcnt(52)
	v_fma_f64 v[188:189], v[138:139], v[198:199], -v[188:189]
	v_mul_f64 v[176:177], v[5:6], v[204:205]
	v_fma_f64 v[184:185], v[140:141], v[198:199], v[184:185]
	ds_read_b128 v[138:141], v137 offset:1824
	v_add_f64 v[142:143], v[142:143], v[192:193]
	s_waitcnt vmcnt(51) lgkmcnt(1)
	v_mul_f64 v[192:193], v[3:4], v[206:207]
	v_add_f64 v[135:136], v[135:136], v[180:181]
	v_mul_f64 v[180:181], v[1:2], v[206:207]
	s_waitcnt vmcnt(49)
	v_fma_f64 v[196:197], v[5:6], v[211:212], -v[196:197]
	v_fma_f64 v[176:177], v[7:8], v[211:212], v[176:177]
	v_add_f64 v[142:143], v[142:143], v[188:189]
	v_add_f64 v[135:136], v[135:136], v[184:185]
	s_clause 0x3
	buffer_load_dword v184, off, s[0:3], 0 offset:544
	buffer_load_dword v185, off, s[0:3], 0 offset:548
	;; [unrolled: 1-line block ×4, first 2 shown]
	ds_read_b128 v[5:8], v137 offset:1840
	s_waitcnt vmcnt(49) lgkmcnt(1)
	v_mul_f64 v[200:201], v[140:141], v[202:203]
	s_waitcnt vmcnt(48)
	v_fma_f64 v[192:193], v[1:2], v[208:209], -v[192:193]
	v_mul_f64 v[198:199], v[138:139], v[202:203]
	v_fma_f64 v[180:181], v[3:4], v[208:209], v[180:181]
	ds_read_b128 v[1:4], v137 offset:1856
	v_add_f64 v[142:143], v[142:143], v[196:197]
	v_add_f64 v[135:136], v[135:136], v[176:177]
	s_waitcnt vmcnt(47) lgkmcnt(1)
	v_mul_f64 v[196:197], v[7:8], v[215:216]
	v_mul_f64 v[176:177], v[5:6], v[215:216]
	s_waitcnt vmcnt(45)
	v_fma_f64 v[200:201], v[138:139], v[144:145], -v[200:201]
	v_fma_f64 v[144:145], v[140:141], v[144:145], v[198:199]
	ds_read_b128 v[138:141], v137 offset:1872
	v_add_f64 v[142:143], v[142:143], v[192:193]
	v_add_f64 v[135:136], v[135:136], v[180:181]
	s_waitcnt vmcnt(41) lgkmcnt(1)
	v_mul_f64 v[180:181], v[1:2], v[148:149]
	v_mul_f64 v[148:149], v[3:4], v[148:149]
	s_waitcnt vmcnt(40)
	v_fma_f64 v[192:193], v[5:6], v[217:218], -v[196:197]
	;; [unrolled: 9-line block ×7, first 2 shown]
	v_fma_f64 v[144:145], v[140:141], v[156:157], v[144:145]
	ds_read_b128 v[138:141], v137 offset:1968
	v_add_f64 v[142:143], v[142:143], v[148:149]
	v_add_f64 v[135:136], v[135:136], v[146:147]
	s_waitcnt vmcnt(17) lgkmcnt(1)
	v_mul_f64 v[148:149], v[3:4], v[160:161]
	s_waitcnt vmcnt(16)
	v_fma_f64 v[152:153], v[5:6], v[174:175], -v[152:153]
	v_mul_f64 v[146:147], v[1:2], v[160:161]
	v_fma_f64 v[150:151], v[7:8], v[174:175], v[150:151]
	ds_read_b128 v[5:8], v137 offset:1984
	v_add_f64 v[142:143], v[142:143], v[154:155]
	v_add_f64 v[135:136], v[135:136], v[144:145]
	s_waitcnt vmcnt(15) lgkmcnt(1)
	v_mul_f64 v[154:155], v[140:141], v[178:179]
	v_mul_f64 v[144:145], v[138:139], v[178:179]
	s_waitcnt vmcnt(13)
	v_fma_f64 v[148:149], v[1:2], v[164:165], -v[148:149]
	v_fma_f64 v[146:147], v[3:4], v[164:165], v[146:147]
	ds_read_b128 v[1:4], v137 offset:2000
	v_add_f64 v[142:143], v[142:143], v[152:153]
	v_add_f64 v[135:136], v[135:136], v[150:151]
	s_waitcnt vmcnt(9) lgkmcnt(1)
	v_mul_f64 v[152:153], v[7:8], v[168:169]
	s_waitcnt vmcnt(8)
	v_fma_f64 v[138:139], v[138:139], v[182:183], -v[154:155]
	v_mul_f64 v[150:151], v[5:6], v[168:169]
	v_fma_f64 v[140:141], v[140:141], v[182:183], v[144:145]
	v_add_f64 v[142:143], v[142:143], v[148:149]
	v_add_f64 v[135:136], v[135:136], v[146:147]
	s_waitcnt vmcnt(7) lgkmcnt(0)
	v_mul_f64 v[146:147], v[3:4], v[186:187]
	v_mul_f64 v[144:145], v[1:2], v[186:187]
	s_waitcnt vmcnt(5)
	v_fma_f64 v[5:6], v[5:6], v[172:173], -v[152:153]
	v_fma_f64 v[7:8], v[7:8], v[172:173], v[150:151]
	v_add_f64 v[138:139], v[142:143], v[138:139]
	v_add_f64 v[135:136], v[135:136], v[140:141]
	s_waitcnt vmcnt(4)
	v_fma_f64 v[1:2], v[1:2], v[190:191], -v[146:147]
	v_fma_f64 v[3:4], v[3:4], v[190:191], v[144:145]
	v_add_f64 v[5:6], v[138:139], v[5:6]
	v_add_f64 v[7:8], v[135:136], v[7:8]
	;; [unrolled: 1-line block ×4, first 2 shown]
	s_waitcnt vmcnt(2)
	v_add_f64 v[1:2], v[184:185], -v[1:2]
	s_waitcnt vmcnt(0)
	v_add_f64 v[3:4], v[188:189], -v[3:4]
	buffer_store_dword v2, off, s[0:3], 0 offset:548
	buffer_store_dword v1, off, s[0:3], 0 offset:544
	;; [unrolled: 1-line block ×4, first 2 shown]
	v_cmpx_lt_u32_e32 32, v0
	s_cbranch_execz .LBB126_339
; %bb.338:
	v_mov_b32_e32 v4, s45
	s_clause 0x3
	buffer_load_dword v1, v4, s[0:3], 0 offen
	buffer_load_dword v2, v4, s[0:3], 0 offen offset:4
	buffer_load_dword v3, v4, s[0:3], 0 offen offset:8
	;; [unrolled: 1-line block ×3, first 2 shown]
	buffer_store_dword v137, off, s[0:3], 0 offset:528
	buffer_store_dword v137, off, s[0:3], 0 offset:532
	;; [unrolled: 1-line block ×4, first 2 shown]
	s_waitcnt vmcnt(0)
	ds_write_b128 v195, v[1:4]
.LBB126_339:
	s_or_b32 exec_lo, exec_lo, s4
	s_waitcnt lgkmcnt(0)
	s_waitcnt_vscnt null, 0x0
	s_barrier
	buffer_gl0_inv
	s_clause 0x37
	buffer_load_dword v135, off, s[0:3], 0 offset:552
	buffer_load_dword v136, off, s[0:3], 0 offset:556
	;; [unrolled: 1-line block ×56, first 2 shown]
	ds_read_b128 v[138:141], v137 offset:1536
	s_clause 0x2
	buffer_load_dword v197, off, s[0:3], 0 offset:780
	buffer_load_dword v201, off, s[0:3], 0 offset:756
	buffer_load_dword v200, off, s[0:3], 0 offset:752
	ds_read_b128 v[142:145], v137 offset:1552
	s_clause 0x4
	buffer_load_dword v205, off, s[0:3], 0 offset:796
	buffer_load_dword v206, off, s[0:3], 0 offset:808
	;; [unrolled: 1-line block ×5, first 2 shown]
	ds_read_b128 v[146:149], v137 offset:1568
	s_clause 0x2
	buffer_load_dword v207, off, s[0:3], 0 offset:812
	buffer_load_dword v212, off, s[0:3], 0 offset:788
	;; [unrolled: 1-line block ×3, first 2 shown]
	s_mov_b32 s4, exec_lo
	s_waitcnt vmcnt(62) lgkmcnt(2)
	v_mul_f64 v[202:203], v[140:141], v[135:136]
	v_mul_f64 v[135:136], v[138:139], v[135:136]
	s_waitcnt lgkmcnt(1)
	v_mul_f64 v[209:210], v[144:145], v[5:6]
	s_waitcnt vmcnt(59) lgkmcnt(0)
	v_mul_f64 v[213:214], v[148:149], v[3:4]
	v_fma_f64 v[138:139], v[138:139], v[7:8], -v[202:203]
	v_mul_f64 v[202:203], v[142:143], v[5:6]
	v_fma_f64 v[135:136], v[140:141], v[7:8], v[135:136]
	s_waitcnt vmcnt(57)
	v_fma_f64 v[142:143], v[142:143], v[1:2], -v[209:210]
	ds_read_b128 v[5:8], v137 offset:1584
	v_mul_f64 v[140:141], v[146:147], v[3:4]
	s_waitcnt vmcnt(51)
	v_fma_f64 v[146:147], v[146:147], v[156:157], -v[213:214]
	v_add_f64 v[138:139], v[138:139], 0
	v_fma_f64 v[144:145], v[144:145], v[1:2], v[202:203]
	v_add_f64 v[135:136], v[135:136], 0
	s_clause 0x4
	buffer_load_dword v203, off, s[0:3], 0 offset:828
	buffer_load_dword v215, off, s[0:3], 0 offset:840
	;; [unrolled: 1-line block ×5, first 2 shown]
	s_waitcnt lgkmcnt(0)
	v_mul_f64 v[218:219], v[5:6], v[150:151]
	v_mul_f64 v[150:151], v[7:8], v[150:151]
	ds_read_b128 v[1:4], v137 offset:1600
	v_fma_f64 v[148:149], v[148:149], v[156:157], v[140:141]
	v_add_f64 v[142:143], v[138:139], v[142:143]
	v_add_f64 v[135:136], v[135:136], v[144:145]
	s_clause 0x2
	buffer_load_dword v216, off, s[0:3], 0 offset:844
	buffer_load_dword v145, off, s[0:3], 0 offset:820
	;; [unrolled: 1-line block ×3, first 2 shown]
	s_waitcnt vmcnt(58) lgkmcnt(0)
	v_mul_f64 v[156:157], v[1:2], v[152:153]
	v_mul_f64 v[152:153], v[3:4], v[152:153]
	s_waitcnt vmcnt(56)
	v_fma_f64 v[150:151], v[5:6], v[158:159], -v[150:151]
	ds_read_b128 v[138:141], v137 offset:1616
	v_add_f64 v[142:143], v[142:143], v[146:147]
	v_fma_f64 v[146:147], v[7:8], v[158:159], v[218:219]
	v_add_f64 v[135:136], v[135:136], v[148:149]
	s_clause 0x4
	buffer_load_dword v149, off, s[0:3], 0 offset:860
	buffer_load_dword v158, off, s[0:3], 0 offset:872
	buffer_load_dword v213, off, s[0:3], 0 offset:864
	buffer_load_dword v148, off, s[0:3], 0 offset:856
	buffer_load_dword v218, off, s[0:3], 0 offset:836
	ds_read_b128 v[5:8], v137 offset:1632
	s_waitcnt vmcnt(57) lgkmcnt(1)
	v_mul_f64 v[219:220], v[138:139], v[160:161]
	v_mul_f64 v[160:161], v[140:141], v[160:161]
	s_waitcnt vmcnt(56)
	v_fma_f64 v[152:153], v[1:2], v[154:155], -v[152:153]
	v_add_f64 v[142:143], v[142:143], v[150:151]
	v_fma_f64 v[150:151], v[3:4], v[154:155], v[156:157]
	v_add_f64 v[135:136], v[135:136], v[146:147]
	s_clause 0x2
	buffer_load_dword v159, off, s[0:3], 0 offset:876
	buffer_load_dword v147, off, s[0:3], 0 offset:852
	;; [unrolled: 1-line block ×3, first 2 shown]
	s_waitcnt vmcnt(58) lgkmcnt(0)
	v_mul_f64 v[156:157], v[7:8], v[162:163]
	ds_read_b128 v[1:4], v137 offset:1648
	s_waitcnt vmcnt(56)
	v_fma_f64 v[160:161], v[138:139], v[166:167], -v[160:161]
	v_mul_f64 v[154:155], v[5:6], v[162:163]
	v_add_f64 v[142:143], v[142:143], v[152:153]
	v_fma_f64 v[152:153], v[140:141], v[166:167], v[219:220]
	v_add_f64 v[135:136], v[135:136], v[150:151]
	s_clause 0x4
	buffer_load_dword v151, off, s[0:3], 0 offset:892
	buffer_load_dword v162, off, s[0:3], 0 offset:904
	buffer_load_dword v166, off, s[0:3], 0 offset:896
	buffer_load_dword v150, off, s[0:3], 0 offset:888
	buffer_load_dword v214, off, s[0:3], 0 offset:868
	s_waitcnt vmcnt(57) lgkmcnt(0)
	v_mul_f64 v[219:220], v[1:2], v[168:169]
	v_mul_f64 v[167:168], v[3:4], v[168:169]
	s_waitcnt vmcnt(56)
	v_fma_f64 v[156:157], v[5:6], v[164:165], -v[156:157]
	ds_read_b128 v[138:141], v137 offset:1664
	v_fma_f64 v[154:155], v[7:8], v[164:165], v[154:155]
	v_add_f64 v[142:143], v[142:143], v[160:161]
	v_add_f64 v[135:136], v[135:136], v[152:153]
	s_clause 0x2
	buffer_load_dword v163, off, s[0:3], 0 offset:908
	buffer_load_dword v153, off, s[0:3], 0 offset:884
	buffer_load_dword v152, off, s[0:3], 0 offset:880
	ds_read_b128 v[5:8], v137 offset:1680
	s_waitcnt vmcnt(58) lgkmcnt(1)
	v_mul_f64 v[164:165], v[140:141], v[170:171]
	s_waitcnt vmcnt(56)
	v_fma_f64 v[168:169], v[1:2], v[174:175], -v[167:168]
	v_mul_f64 v[160:161], v[138:139], v[170:171]
	v_add_f64 v[142:143], v[142:143], v[156:157]
	v_fma_f64 v[156:157], v[3:4], v[174:175], v[219:220]
	v_add_f64 v[135:136], v[135:136], v[154:155]
	s_clause 0x4
	buffer_load_dword v155, off, s[0:3], 0 offset:924
	buffer_load_dword v170, off, s[0:3], 0 offset:936
	buffer_load_dword v174, off, s[0:3], 0 offset:928
	buffer_load_dword v154, off, s[0:3], 0 offset:920
	buffer_load_dword v167, off, s[0:3], 0 offset:900
	s_waitcnt vmcnt(57) lgkmcnt(0)
	v_mul_f64 v[219:220], v[5:6], v[176:177]
	v_mul_f64 v[175:176], v[7:8], v[176:177]
	s_waitcnt vmcnt(56)
	v_fma_f64 v[164:165], v[138:139], v[172:173], -v[164:165]
	ds_read_b128 v[1:4], v137 offset:1696
	v_fma_f64 v[160:161], v[140:141], v[172:173], v[160:161]
	v_add_f64 v[142:143], v[142:143], v[168:169]
	v_add_f64 v[135:136], v[135:136], v[156:157]
	s_clause 0x2
	buffer_load_dword v171, off, s[0:3], 0 offset:940
	buffer_load_dword v157, off, s[0:3], 0 offset:916
	buffer_load_dword v156, off, s[0:3], 0 offset:912
	ds_read_b128 v[138:141], v137 offset:1712
	s_waitcnt vmcnt(58) lgkmcnt(1)
	v_mul_f64 v[172:173], v[3:4], v[178:179]
	;; [unrolled: 28-line block ×4, first 2 shown]
	s_waitcnt vmcnt(56)
	v_fma_f64 v[192:193], v[1:2], v[200:201], -v[191:192]
	v_mul_f64 v[184:185], v[138:139], v[196:197]
	v_add_f64 v[142:143], v[142:143], v[180:181]
	v_fma_f64 v[180:181], v[3:4], v[200:201], v[219:220]
	v_add_f64 v[135:136], v[135:136], v[176:177]
	s_clause 0x2
	buffer_load_dword v177, off, s[0:3], 0 offset:1020
	buffer_load_dword v176, off, s[0:3], 0 offset:1016
	;; [unrolled: 1-line block ×3, first 2 shown]
	s_waitcnt vmcnt(55) lgkmcnt(0)
	v_mul_f64 v[200:201], v[7:8], v[204:205]
	s_waitcnt vmcnt(54)
	v_fma_f64 v[188:189], v[138:139], v[198:199], -v[188:189]
	ds_read_b128 v[1:4], v137 offset:1792
	v_mul_f64 v[196:197], v[5:6], v[204:205]
	v_fma_f64 v[184:185], v[140:141], v[198:199], v[184:185]
	v_add_f64 v[142:143], v[142:143], v[192:193]
	v_add_f64 v[135:136], v[135:136], v[180:181]
	s_clause 0x1
	buffer_load_dword v181, off, s[0:3], 0 offset:1012
	buffer_load_dword v180, off, s[0:3], 0 offset:1008
	s_waitcnt vmcnt(55) lgkmcnt(0)
	v_mul_f64 v[198:199], v[3:4], v[206:207]
	s_waitcnt vmcnt(53)
	v_fma_f64 v[200:201], v[5:6], v[211:212], -v[200:201]
	ds_read_b128 v[138:141], v137 offset:1808
	v_mul_f64 v[192:193], v[1:2], v[206:207]
	v_add_f64 v[142:143], v[142:143], v[188:189]
	v_fma_f64 v[188:189], v[7:8], v[211:212], v[196:197]
	v_add_f64 v[135:136], v[135:136], v[184:185]
	ds_read_b128 v[5:8], v137 offset:1824
	s_waitcnt vmcnt(49) lgkmcnt(1)
	v_mul_f64 v[196:197], v[140:141], v[202:203]
	s_waitcnt vmcnt(48)
	v_fma_f64 v[198:199], v[1:2], v[208:209], -v[198:199]
	v_mul_f64 v[184:185], v[138:139], v[202:203]
	v_fma_f64 v[192:193], v[3:4], v[208:209], v[192:193]
	v_add_f64 v[142:143], v[142:143], v[200:201]
	v_add_f64 v[135:136], v[135:136], v[188:189]
	s_clause 0x3
	buffer_load_dword v188, off, s[0:3], 0 offset:528
	buffer_load_dword v189, off, s[0:3], 0 offset:532
	;; [unrolled: 1-line block ×4, first 2 shown]
	ds_read_b128 v[1:4], v137 offset:1840
	s_waitcnt vmcnt(51) lgkmcnt(1)
	v_mul_f64 v[204:205], v[7:8], v[215:216]
	v_mul_f64 v[202:203], v[5:6], v[215:216]
	s_waitcnt vmcnt(49)
	v_fma_f64 v[196:197], v[138:139], v[144:145], -v[196:197]
	v_fma_f64 v[144:145], v[140:141], v[144:145], v[184:185]
	ds_read_b128 v[138:141], v137 offset:1856
	v_add_f64 v[142:143], v[142:143], v[198:199]
	v_add_f64 v[135:136], v[135:136], v[192:193]
	s_waitcnt vmcnt(45) lgkmcnt(1)
	v_mul_f64 v[184:185], v[1:2], v[148:149]
	v_mul_f64 v[148:149], v[3:4], v[148:149]
	s_waitcnt vmcnt(44)
	v_fma_f64 v[192:193], v[5:6], v[217:218], -v[204:205]
	v_add_f64 v[142:143], v[142:143], v[196:197]
	v_fma_f64 v[196:197], v[7:8], v[217:218], v[202:203]
	v_add_f64 v[135:136], v[135:136], v[144:145]
	ds_read_b128 v[5:8], v137 offset:1872
	s_waitcnt vmcnt(43) lgkmcnt(1)
	v_mul_f64 v[144:145], v[138:139], v[158:159]
	v_mul_f64 v[158:159], v[140:141], v[158:159]
	s_waitcnt vmcnt(41)
	v_fma_f64 v[148:149], v[1:2], v[146:147], -v[148:149]
	v_fma_f64 v[146:147], v[3:4], v[146:147], v[184:185]
	ds_read_b128 v[1:4], v137 offset:1888
	v_add_f64 v[142:143], v[142:143], v[192:193]
	v_add_f64 v[135:136], v[135:136], v[196:197]
	s_waitcnt vmcnt(37) lgkmcnt(1)
	v_mul_f64 v[184:185], v[5:6], v[150:151]
	v_mul_f64 v[150:151], v[7:8], v[150:151]
	s_waitcnt vmcnt(36)
	v_fma_f64 v[158:159], v[138:139], v[213:214], -v[158:159]
	v_fma_f64 v[144:145], v[140:141], v[213:214], v[144:145]
	ds_read_b128 v[138:141], v137 offset:1904
	v_add_f64 v[142:143], v[142:143], v[148:149]
	v_add_f64 v[135:136], v[135:136], v[146:147]
	;; [unrolled: 9-line block ×5, first 2 shown]
	s_waitcnt vmcnt(21) lgkmcnt(1)
	v_mul_f64 v[148:149], v[3:4], v[160:161]
	s_waitcnt vmcnt(20)
	v_fma_f64 v[152:153], v[5:6], v[174:175], -v[152:153]
	v_mul_f64 v[146:147], v[1:2], v[160:161]
	v_fma_f64 v[150:151], v[7:8], v[174:175], v[150:151]
	ds_read_b128 v[5:8], v137 offset:1968
	v_add_f64 v[142:143], v[142:143], v[154:155]
	v_add_f64 v[135:136], v[135:136], v[144:145]
	s_waitcnt vmcnt(19) lgkmcnt(1)
	v_mul_f64 v[154:155], v[140:141], v[178:179]
	v_mul_f64 v[144:145], v[138:139], v[178:179]
	s_waitcnt vmcnt(17)
	v_fma_f64 v[148:149], v[1:2], v[164:165], -v[148:149]
	v_fma_f64 v[146:147], v[3:4], v[164:165], v[146:147]
	ds_read_b128 v[1:4], v137 offset:1984
	v_add_f64 v[142:143], v[142:143], v[152:153]
	v_add_f64 v[135:136], v[135:136], v[150:151]
	s_waitcnt vmcnt(13) lgkmcnt(1)
	v_mul_f64 v[152:153], v[7:8], v[168:169]
	s_waitcnt vmcnt(12)
	v_fma_f64 v[154:155], v[138:139], v[182:183], -v[154:155]
	v_mul_f64 v[150:151], v[5:6], v[168:169]
	v_fma_f64 v[139:140], v[140:141], v[182:183], v[144:145]
	v_add_f64 v[142:143], v[142:143], v[148:149]
	v_add_f64 v[144:145], v[135:136], v[146:147]
	ds_read_b128 v[135:138], v137 offset:2000
	s_waitcnt vmcnt(11) lgkmcnt(1)
	v_mul_f64 v[148:149], v[3:4], v[186:187]
	v_mul_f64 v[146:147], v[1:2], v[186:187]
	s_waitcnt vmcnt(9)
	v_fma_f64 v[5:6], v[5:6], v[172:173], -v[152:153]
	v_fma_f64 v[7:8], v[7:8], v[172:173], v[150:151]
	v_add_f64 v[141:142], v[142:143], v[154:155]
	v_add_f64 v[139:140], v[144:145], v[139:140]
	s_waitcnt vmcnt(7) lgkmcnt(0)
	v_mul_f64 v[150:151], v[137:138], v[176:177]
	s_waitcnt vmcnt(6)
	v_fma_f64 v[1:2], v[1:2], v[190:191], -v[148:149]
	v_mul_f64 v[143:144], v[135:136], v[176:177]
	v_fma_f64 v[3:4], v[3:4], v[190:191], v[146:147]
	v_add_f64 v[5:6], v[141:142], v[5:6]
	v_add_f64 v[7:8], v[139:140], v[7:8]
	s_waitcnt vmcnt(4)
	v_fma_f64 v[135:136], v[135:136], v[180:181], -v[150:151]
	v_add_f64 v[1:2], v[5:6], v[1:2]
	v_fma_f64 v[5:6], v[137:138], v[180:181], v[143:144]
	v_add_f64 v[3:4], v[7:8], v[3:4]
	v_add_f64 v[1:2], v[1:2], v[135:136]
	;; [unrolled: 1-line block ×3, first 2 shown]
	s_waitcnt vmcnt(2)
	v_add_f64 v[1:2], v[188:189], -v[1:2]
	s_waitcnt vmcnt(0)
	v_add_f64 v[3:4], v[200:201], -v[3:4]
	buffer_store_dword v2, off, s[0:3], 0 offset:532
	buffer_store_dword v1, off, s[0:3], 0 offset:528
	;; [unrolled: 1-line block ×4, first 2 shown]
	v_cmpx_lt_u32_e32 31, v0
	s_cbranch_execz .LBB126_341
; %bb.340:
	v_mov_b32_e32 v4, s46
	v_mov_b32_e32 v5, 0
	s_clause 0x3
	buffer_load_dword v1, v4, s[0:3], 0 offen
	buffer_load_dword v2, v4, s[0:3], 0 offen offset:4
	buffer_load_dword v3, v4, s[0:3], 0 offen offset:8
	;; [unrolled: 1-line block ×3, first 2 shown]
	buffer_store_dword v5, off, s[0:3], 0 offset:512
	buffer_store_dword v5, off, s[0:3], 0 offset:516
	buffer_store_dword v5, off, s[0:3], 0 offset:520
	buffer_store_dword v5, off, s[0:3], 0 offset:524
	s_waitcnt vmcnt(0)
	ds_write_b128 v195, v[1:4]
.LBB126_341:
	s_or_b32 exec_lo, exec_lo, s4
	s_waitcnt lgkmcnt(0)
	s_waitcnt_vscnt null, 0x0
	s_barrier
	buffer_gl0_inv
	s_clause 0x37
	buffer_load_dword v135, off, s[0:3], 0 offset:536
	buffer_load_dword v136, off, s[0:3], 0 offset:540
	;; [unrolled: 1-line block ×56, first 2 shown]
	v_mov_b32_e32 v157, 0
	s_mov_b32 s4, exec_lo
	ds_read_b128 v[145:148], v157 offset:1520
	s_clause 0x2
	buffer_load_dword v197, off, s[0:3], 0 offset:764
	buffer_load_dword v201, off, s[0:3], 0 offset:740
	;; [unrolled: 1-line block ×3, first 2 shown]
	ds_read_b128 v[149:152], v157 offset:1536
	s_clause 0x4
	buffer_load_dword v205, off, s[0:3], 0 offset:780
	buffer_load_dword v206, off, s[0:3], 0 offset:792
	;; [unrolled: 1-line block ×5, first 2 shown]
	ds_read_b128 v[153:156], v157 offset:1552
	s_clause 0x2
	buffer_load_dword v207, off, s[0:3], 0 offset:796
	buffer_load_dword v212, off, s[0:3], 0 offset:772
	;; [unrolled: 1-line block ×3, first 2 shown]
	s_waitcnt vmcnt(62) lgkmcnt(2)
	v_mul_f64 v[202:203], v[147:148], v[135:136]
	v_mul_f64 v[135:136], v[145:146], v[135:136]
	s_waitcnt lgkmcnt(1)
	v_mul_f64 v[209:210], v[151:152], v[5:6]
	s_waitcnt vmcnt(59) lgkmcnt(0)
	v_mul_f64 v[213:214], v[155:156], v[3:4]
	v_fma_f64 v[145:146], v[145:146], v[7:8], -v[202:203]
	v_mul_f64 v[202:203], v[149:150], v[5:6]
	v_fma_f64 v[135:136], v[147:148], v[7:8], v[135:136]
	s_waitcnt vmcnt(57)
	v_fma_f64 v[149:150], v[149:150], v[1:2], -v[209:210]
	ds_read_b128 v[5:8], v157 offset:1568
	v_mul_f64 v[147:148], v[153:154], v[3:4]
	s_waitcnt vmcnt(51)
	v_fma_f64 v[153:154], v[153:154], v[158:159], -v[213:214]
	v_add_f64 v[145:146], v[145:146], 0
	v_fma_f64 v[151:152], v[151:152], v[1:2], v[202:203]
	v_add_f64 v[135:136], v[135:136], 0
	s_clause 0x4
	buffer_load_dword v203, off, s[0:3], 0 offset:812
	buffer_load_dword v215, off, s[0:3], 0 offset:824
	;; [unrolled: 1-line block ×5, first 2 shown]
	s_waitcnt lgkmcnt(0)
	v_mul_f64 v[218:219], v[5:6], v[139:140]
	v_mul_f64 v[139:140], v[7:8], v[139:140]
	ds_read_b128 v[1:4], v157 offset:1584
	v_fma_f64 v[155:156], v[155:156], v[158:159], v[147:148]
	v_add_f64 v[149:150], v[145:146], v[149:150]
	v_add_f64 v[135:136], v[135:136], v[151:152]
	s_clause 0x2
	buffer_load_dword v216, off, s[0:3], 0 offset:828
	buffer_load_dword v152, off, s[0:3], 0 offset:804
	;; [unrolled: 1-line block ×3, first 2 shown]
	s_waitcnt vmcnt(58) lgkmcnt(0)
	v_mul_f64 v[158:159], v[1:2], v[143:144]
	v_mul_f64 v[143:144], v[3:4], v[143:144]
	s_waitcnt vmcnt(56)
	v_fma_f64 v[139:140], v[5:6], v[160:161], -v[139:140]
	ds_read_b128 v[145:148], v157 offset:1600
	v_add_f64 v[149:150], v[149:150], v[153:154]
	v_fma_f64 v[153:154], v[7:8], v[160:161], v[218:219]
	v_add_f64 v[135:136], v[135:136], v[155:156]
	s_clause 0x4
	buffer_load_dword v156, off, s[0:3], 0 offset:844
	buffer_load_dword v160, off, s[0:3], 0 offset:856
	;; [unrolled: 1-line block ×5, first 2 shown]
	ds_read_b128 v[5:8], v157 offset:1616
	s_waitcnt vmcnt(57) lgkmcnt(1)
	v_mul_f64 v[219:220], v[145:146], v[162:163]
	v_mul_f64 v[162:163], v[147:148], v[162:163]
	s_waitcnt vmcnt(56)
	v_fma_f64 v[143:144], v[1:2], v[137:138], -v[143:144]
	v_fma_f64 v[137:138], v[3:4], v[137:138], v[158:159]
	v_add_f64 v[139:140], v[149:150], v[139:140]
	s_clause 0x2
	buffer_load_dword v161, off, s[0:3], 0 offset:860
	buffer_load_dword v150, off, s[0:3], 0 offset:836
	;; [unrolled: 1-line block ×3, first 2 shown]
	v_add_f64 v[135:136], v[135:136], v[153:154]
	s_waitcnt vmcnt(58) lgkmcnt(0)
	v_mul_f64 v[158:159], v[7:8], v[164:165]
	ds_read_b128 v[1:4], v157 offset:1632
	v_mul_f64 v[153:154], v[5:6], v[164:165]
	s_waitcnt vmcnt(56)
	v_fma_f64 v[145:146], v[145:146], v[166:167], -v[162:163]
	v_add_f64 v[139:140], v[139:140], v[143:144]
	v_fma_f64 v[143:144], v[147:148], v[166:167], v[219:220]
	v_add_f64 v[147:148], v[135:136], v[137:138]
	s_clause 0x4
	buffer_load_dword v163, off, s[0:3], 0 offset:876
	buffer_load_dword v164, off, s[0:3], 0 offset:888
	;; [unrolled: 1-line block ×5, first 2 shown]
	s_waitcnt vmcnt(57) lgkmcnt(0)
	v_mul_f64 v[219:220], v[1:2], v[168:169]
	v_mul_f64 v[167:168], v[3:4], v[168:169]
	s_waitcnt vmcnt(56)
	v_fma_f64 v[158:159], v[5:6], v[141:142], -v[158:159]
	ds_read_b128 v[135:138], v157 offset:1648
	v_fma_f64 v[141:142], v[7:8], v[141:142], v[153:154]
	v_add_f64 v[139:140], v[139:140], v[145:146]
	s_clause 0x2
	buffer_load_dword v165, off, s[0:3], 0 offset:892
	buffer_load_dword v146, off, s[0:3], 0 offset:868
	;; [unrolled: 1-line block ×3, first 2 shown]
	v_add_f64 v[143:144], v[147:148], v[143:144]
	ds_read_b128 v[5:8], v157 offset:1664
	s_waitcnt vmcnt(58) lgkmcnt(1)
	v_mul_f64 v[153:154], v[137:138], v[170:171]
	s_waitcnt vmcnt(56)
	v_fma_f64 v[168:169], v[1:2], v[174:175], -v[167:168]
	v_mul_f64 v[147:148], v[135:136], v[170:171]
	v_add_f64 v[139:140], v[139:140], v[158:159]
	v_fma_f64 v[158:159], v[3:4], v[174:175], v[219:220]
	v_add_f64 v[141:142], v[143:144], v[141:142]
	s_clause 0x4
	buffer_load_dword v144, off, s[0:3], 0 offset:908
	buffer_load_dword v170, off, s[0:3], 0 offset:920
	buffer_load_dword v174, off, s[0:3], 0 offset:912
	buffer_load_dword v143, off, s[0:3], 0 offset:904
	buffer_load_dword v167, off, s[0:3], 0 offset:884
	s_waitcnt vmcnt(57) lgkmcnt(0)
	v_mul_f64 v[219:220], v[5:6], v[176:177]
	v_mul_f64 v[175:176], v[7:8], v[176:177]
	s_waitcnt vmcnt(56)
	v_fma_f64 v[153:154], v[135:136], v[172:173], -v[153:154]
	ds_read_b128 v[1:4], v157 offset:1680
	v_fma_f64 v[147:148], v[137:138], v[172:173], v[147:148]
	v_add_f64 v[139:140], v[139:140], v[168:169]
	v_add_f64 v[141:142], v[141:142], v[158:159]
	s_clause 0x2
	buffer_load_dword v171, off, s[0:3], 0 offset:924
	buffer_load_dword v159, off, s[0:3], 0 offset:900
	buffer_load_dword v158, off, s[0:3], 0 offset:896
	ds_read_b128 v[135:138], v157 offset:1696
	s_waitcnt vmcnt(58) lgkmcnt(1)
	v_mul_f64 v[172:173], v[3:4], v[178:179]
	s_waitcnt vmcnt(56)
	v_fma_f64 v[176:177], v[5:6], v[182:183], -v[175:176]
	v_mul_f64 v[168:169], v[1:2], v[178:179]
	v_add_f64 v[139:140], v[139:140], v[153:154]
	v_fma_f64 v[153:154], v[7:8], v[182:183], v[219:220]
	v_add_f64 v[141:142], v[141:142], v[147:148]
	s_clause 0x4
	buffer_load_dword v148, off, s[0:3], 0 offset:940
	buffer_load_dword v178, off, s[0:3], 0 offset:952
	buffer_load_dword v182, off, s[0:3], 0 offset:944
	buffer_load_dword v147, off, s[0:3], 0 offset:936
	buffer_load_dword v175, off, s[0:3], 0 offset:916
	s_waitcnt vmcnt(57) lgkmcnt(0)
	v_mul_f64 v[219:220], v[135:136], v[184:185]
	v_mul_f64 v[183:184], v[137:138], v[184:185]
	s_waitcnt vmcnt(56)
	v_fma_f64 v[172:173], v[1:2], v[180:181], -v[172:173]
	ds_read_b128 v[5:8], v157 offset:1712
	v_fma_f64 v[168:169], v[3:4], v[180:181], v[168:169]
	v_add_f64 v[139:140], v[139:140], v[176:177]
	v_add_f64 v[141:142], v[141:142], v[153:154]
	s_clause 0x2
	buffer_load_dword v179, off, s[0:3], 0 offset:956
	buffer_load_dword v154, off, s[0:3], 0 offset:932
	buffer_load_dword v153, off, s[0:3], 0 offset:928
	;; [unrolled: 28-line block ×4, first 2 shown]
	ds_read_b128 v[135:138], v157 offset:1792
	s_waitcnt vmcnt(58) lgkmcnt(1)
	v_mul_f64 v[198:199], v[3:4], v[206:207]
	s_waitcnt vmcnt(56)
	v_fma_f64 v[204:205], v[5:6], v[211:212], -v[204:205]
	v_mul_f64 v[192:193], v[1:2], v[206:207]
	buffer_load_dword v201, off, s[0:3], 0 offset:1012
	v_add_f64 v[139:140], v[139:140], v[188:189]
	v_fma_f64 v[188:189], v[7:8], v[211:212], v[219:220]
	v_add_f64 v[141:142], v[141:142], v[184:185]
	ds_read_b128 v[5:8], v157 offset:1808
	s_waitcnt vmcnt(53) lgkmcnt(1)
	v_mul_f64 v[184:185], v[135:136], v[202:203]
	v_mul_f64 v[202:203], v[137:138], v[202:203]
	s_waitcnt vmcnt(52)
	v_fma_f64 v[198:199], v[1:2], v[208:209], -v[198:199]
	v_fma_f64 v[192:193], v[3:4], v[208:209], v[192:193]
	ds_read_b128 v[1:4], v157 offset:1824
	v_add_f64 v[139:140], v[139:140], v[204:205]
	v_add_f64 v[141:142], v[141:142], v[188:189]
	s_waitcnt vmcnt(51) lgkmcnt(1)
	v_mul_f64 v[204:205], v[7:8], v[215:216]
	v_mul_f64 v[188:189], v[5:6], v[215:216]
	s_waitcnt vmcnt(49)
	v_fma_f64 v[202:203], v[135:136], v[151:152], -v[202:203]
	v_fma_f64 v[151:152], v[137:138], v[151:152], v[184:185]
	v_add_f64 v[139:140], v[139:140], v[198:199]
	v_add_f64 v[141:142], v[141:142], v[192:193]
	s_clause 0x3
	buffer_load_dword v184, off, s[0:3], 0 offset:512
	buffer_load_dword v185, off, s[0:3], 0 offset:516
	;; [unrolled: 1-line block ×4, first 2 shown]
	ds_read_b128 v[135:138], v157 offset:1840
	s_waitcnt vmcnt(49) lgkmcnt(1)
	v_mul_f64 v[198:199], v[1:2], v[155:156]
	v_mul_f64 v[155:156], v[3:4], v[155:156]
	s_waitcnt vmcnt(48)
	v_fma_f64 v[204:205], v[5:6], v[217:218], -v[204:205]
	v_fma_f64 v[188:189], v[7:8], v[217:218], v[188:189]
	ds_read_b128 v[5:8], v157 offset:1856
	v_add_f64 v[139:140], v[139:140], v[202:203]
	v_add_f64 v[141:142], v[141:142], v[151:152]
	s_waitcnt vmcnt(47) lgkmcnt(1)
	v_mul_f64 v[151:152], v[135:136], v[160:161]
	v_mul_f64 v[160:161], v[137:138], v[160:161]
	s_waitcnt vmcnt(45)
	v_fma_f64 v[155:156], v[1:2], v[149:150], -v[155:156]
	v_fma_f64 v[149:150], v[3:4], v[149:150], v[198:199]
	ds_read_b128 v[1:4], v157 offset:1872
	v_add_f64 v[139:140], v[139:140], v[204:205]
	v_add_f64 v[141:142], v[141:142], v[188:189]
	;; [unrolled: 9-line block ×6, first 2 shown]
	s_waitcnt vmcnt(25) lgkmcnt(1)
	v_mul_f64 v[149:150], v[1:2], v[147:148]
	v_mul_f64 v[147:148], v[3:4], v[147:148]
	s_waitcnt vmcnt(24)
	v_fma_f64 v[155:156], v[5:6], v[174:175], -v[160:161]
	v_add_f64 v[139:140], v[139:140], v[143:144]
	v_fma_f64 v[143:144], v[7:8], v[174:175], v[145:146]
	v_add_f64 v[141:142], v[141:142], v[151:152]
	ds_read_b128 v[5:8], v157 offset:1952
	s_waitcnt vmcnt(23) lgkmcnt(1)
	v_mul_f64 v[151:152], v[137:138], v[178:179]
	v_mul_f64 v[145:146], v[135:136], v[178:179]
	s_waitcnt vmcnt(21)
	v_fma_f64 v[147:148], v[1:2], v[153:154], -v[147:148]
	v_fma_f64 v[149:150], v[3:4], v[153:154], v[149:150]
	ds_read_b128 v[1:4], v157 offset:1968
	v_add_f64 v[139:140], v[139:140], v[155:156]
	v_add_f64 v[141:142], v[141:142], v[143:144]
	s_waitcnt vmcnt(17) lgkmcnt(1)
	v_mul_f64 v[153:154], v[7:8], v[168:169]
	s_waitcnt vmcnt(16)
	v_fma_f64 v[151:152], v[135:136], v[182:183], -v[151:152]
	v_mul_f64 v[143:144], v[5:6], v[168:169]
	v_fma_f64 v[145:146], v[137:138], v[182:183], v[145:146]
	ds_read_b128 v[135:138], v157 offset:1984
	v_add_f64 v[139:140], v[139:140], v[147:148]
	v_add_f64 v[141:142], v[141:142], v[149:150]
	s_waitcnt vmcnt(15) lgkmcnt(1)
	v_mul_f64 v[149:150], v[3:4], v[186:187]
	v_mul_f64 v[147:148], v[1:2], v[186:187]
	s_waitcnt vmcnt(13)
	v_fma_f64 v[153:154], v[5:6], v[172:173], -v[153:154]
	v_fma_f64 v[143:144], v[7:8], v[172:173], v[143:144]
	ds_read_b128 v[5:8], v157 offset:2000
	v_add_f64 v[139:140], v[139:140], v[151:152]
	v_add_f64 v[141:142], v[141:142], v[145:146]
	s_waitcnt vmcnt(9) lgkmcnt(1)
	v_mul_f64 v[151:152], v[137:138], v[176:177]
	s_waitcnt vmcnt(8)
	v_fma_f64 v[1:2], v[1:2], v[190:191], -v[149:150]
	v_mul_f64 v[145:146], v[135:136], v[176:177]
	v_fma_f64 v[3:4], v[3:4], v[190:191], v[147:148]
	v_add_f64 v[139:140], v[139:140], v[153:154]
	v_add_f64 v[141:142], v[141:142], v[143:144]
	s_waitcnt vmcnt(7) lgkmcnt(0)
	v_mul_f64 v[147:148], v[7:8], v[196:197]
	v_mul_f64 v[143:144], v[5:6], v[196:197]
	s_waitcnt vmcnt(5)
	v_fma_f64 v[135:136], v[135:136], v[180:181], -v[151:152]
	v_fma_f64 v[137:138], v[137:138], v[180:181], v[145:146]
	v_add_f64 v[1:2], v[139:140], v[1:2]
	v_add_f64 v[3:4], v[141:142], v[3:4]
	s_waitcnt vmcnt(4)
	v_fma_f64 v[5:6], v[5:6], v[200:201], -v[147:148]
	v_fma_f64 v[7:8], v[7:8], v[200:201], v[143:144]
	v_add_f64 v[1:2], v[1:2], v[135:136]
	v_add_f64 v[3:4], v[3:4], v[137:138]
	;; [unrolled: 1-line block ×4, first 2 shown]
	s_waitcnt vmcnt(2)
	v_add_f64 v[1:2], v[184:185], -v[1:2]
	s_waitcnt vmcnt(0)
	v_add_f64 v[3:4], v[192:193], -v[3:4]
	buffer_store_dword v2, off, s[0:3], 0 offset:516
	buffer_store_dword v1, off, s[0:3], 0 offset:512
	;; [unrolled: 1-line block ×4, first 2 shown]
	v_cmpx_lt_u32_e32 30, v0
	s_cbranch_execz .LBB126_343
; %bb.342:
	v_mov_b32_e32 v4, s47
	s_clause 0x3
	buffer_load_dword v1, v4, s[0:3], 0 offen
	buffer_load_dword v2, v4, s[0:3], 0 offen offset:4
	buffer_load_dword v3, v4, s[0:3], 0 offen offset:8
	;; [unrolled: 1-line block ×3, first 2 shown]
	buffer_store_dword v157, off, s[0:3], 0 offset:496
	buffer_store_dword v157, off, s[0:3], 0 offset:500
	buffer_store_dword v157, off, s[0:3], 0 offset:504
	buffer_store_dword v157, off, s[0:3], 0 offset:508
	s_waitcnt vmcnt(0)
	ds_write_b128 v195, v[1:4]
.LBB126_343:
	s_or_b32 exec_lo, exec_lo, s4
	s_waitcnt lgkmcnt(0)
	s_waitcnt_vscnt null, 0x0
	s_barrier
	buffer_gl0_inv
	s_clause 0x37
	buffer_load_dword v135, off, s[0:3], 0 offset:520
	buffer_load_dword v136, off, s[0:3], 0 offset:524
	;; [unrolled: 1-line block ×56, first 2 shown]
	ds_read_b128 v[158:161], v157 offset:1504
	s_clause 0x2
	buffer_load_dword v197, off, s[0:3], 0 offset:748
	buffer_load_dword v201, off, s[0:3], 0 offset:724
	;; [unrolled: 1-line block ×3, first 2 shown]
	ds_read_b128 v[162:165], v157 offset:1520
	s_clause 0x4
	buffer_load_dword v205, off, s[0:3], 0 offset:764
	buffer_load_dword v206, off, s[0:3], 0 offset:776
	;; [unrolled: 1-line block ×5, first 2 shown]
	ds_read_b128 v[166:169], v157 offset:1536
	s_clause 0x2
	buffer_load_dword v207, off, s[0:3], 0 offset:780
	buffer_load_dword v212, off, s[0:3], 0 offset:756
	;; [unrolled: 1-line block ×3, first 2 shown]
	s_mov_b32 s4, exec_lo
	s_waitcnt vmcnt(62) lgkmcnt(2)
	v_mul_f64 v[202:203], v[160:161], v[135:136]
	v_mul_f64 v[135:136], v[158:159], v[135:136]
	s_waitcnt lgkmcnt(1)
	v_mul_f64 v[209:210], v[164:165], v[5:6]
	s_waitcnt vmcnt(59) lgkmcnt(0)
	v_mul_f64 v[213:214], v[168:169], v[3:4]
	v_fma_f64 v[158:159], v[158:159], v[7:8], -v[202:203]
	v_mul_f64 v[202:203], v[162:163], v[5:6]
	v_fma_f64 v[135:136], v[160:161], v[7:8], v[135:136]
	s_waitcnt vmcnt(57)
	v_fma_f64 v[162:163], v[162:163], v[1:2], -v[209:210]
	ds_read_b128 v[5:8], v157 offset:1552
	v_mul_f64 v[160:161], v[166:167], v[3:4]
	s_waitcnt vmcnt(51)
	v_fma_f64 v[166:167], v[166:167], v[151:152], -v[213:214]
	v_add_f64 v[158:159], v[158:159], 0
	v_fma_f64 v[164:165], v[164:165], v[1:2], v[202:203]
	v_add_f64 v[135:136], v[135:136], 0
	s_clause 0x4
	buffer_load_dword v203, off, s[0:3], 0 offset:796
	buffer_load_dword v215, off, s[0:3], 0 offset:808
	;; [unrolled: 1-line block ×5, first 2 shown]
	s_waitcnt lgkmcnt(0)
	v_mul_f64 v[218:219], v[5:6], v[139:140]
	v_mul_f64 v[139:140], v[7:8], v[139:140]
	ds_read_b128 v[1:4], v157 offset:1568
	v_fma_f64 v[151:152], v[168:169], v[151:152], v[160:161]
	v_add_f64 v[162:163], v[158:159], v[162:163]
	v_add_f64 v[135:136], v[135:136], v[164:165]
	s_clause 0x2
	buffer_load_dword v216, off, s[0:3], 0 offset:812
	buffer_load_dword v165, off, s[0:3], 0 offset:788
	;; [unrolled: 1-line block ×3, first 2 shown]
	s_waitcnt vmcnt(58) lgkmcnt(0)
	v_mul_f64 v[168:169], v[1:2], v[143:144]
	v_mul_f64 v[143:144], v[3:4], v[143:144]
	s_waitcnt vmcnt(56)
	v_fma_f64 v[139:140], v[5:6], v[145:146], -v[139:140]
	ds_read_b128 v[158:161], v157 offset:1584
	v_fma_f64 v[145:146], v[7:8], v[145:146], v[218:219]
	v_add_f64 v[162:163], v[162:163], v[166:167]
	v_add_f64 v[135:136], v[135:136], v[151:152]
	s_clause 0x4
	buffer_load_dword v152, off, s[0:3], 0 offset:828
	buffer_load_dword v166, off, s[0:3], 0 offset:840
	;; [unrolled: 1-line block ×5, first 2 shown]
	ds_read_b128 v[5:8], v157 offset:1600
	s_waitcnt vmcnt(57) lgkmcnt(1)
	v_mul_f64 v[219:220], v[158:159], v[147:148]
	v_mul_f64 v[147:148], v[160:161], v[147:148]
	s_waitcnt vmcnt(56)
	v_fma_f64 v[143:144], v[1:2], v[137:138], -v[143:144]
	v_fma_f64 v[137:138], v[3:4], v[137:138], v[168:169]
	v_add_f64 v[139:140], v[162:163], v[139:140]
	v_add_f64 v[135:136], v[135:136], v[145:146]
	s_clause 0x2
	buffer_load_dword v167, off, s[0:3], 0 offset:844
	buffer_load_dword v146, off, s[0:3], 0 offset:820
	;; [unrolled: 1-line block ×3, first 2 shown]
	s_waitcnt vmcnt(58) lgkmcnt(0)
	v_mul_f64 v[162:163], v[5:6], v[153:154]
	v_mul_f64 v[153:154], v[7:8], v[153:154]
	s_waitcnt vmcnt(56)
	v_fma_f64 v[147:148], v[158:159], v[155:156], -v[147:148]
	ds_read_b128 v[1:4], v157 offset:1616
	v_add_f64 v[139:140], v[139:140], v[143:144]
	v_fma_f64 v[143:144], v[160:161], v[155:156], v[219:220]
	v_add_f64 v[155:156], v[135:136], v[137:138]
	s_clause 0x4
	buffer_load_dword v159, off, s[0:3], 0 offset:860
	buffer_load_dword v160, off, s[0:3], 0 offset:872
	;; [unrolled: 1-line block ×5, first 2 shown]
	ds_read_b128 v[135:138], v157 offset:1632
	s_waitcnt vmcnt(57) lgkmcnt(1)
	v_mul_f64 v[219:220], v[1:2], v[170:171]
	v_mul_f64 v[169:170], v[3:4], v[170:171]
	s_waitcnt vmcnt(56)
	v_fma_f64 v[153:154], v[5:6], v[141:142], -v[153:154]
	v_fma_f64 v[141:142], v[7:8], v[141:142], v[162:163]
	v_add_f64 v[139:140], v[139:140], v[147:148]
	s_clause 0x2
	buffer_load_dword v161, off, s[0:3], 0 offset:876
	buffer_load_dword v148, off, s[0:3], 0 offset:852
	;; [unrolled: 1-line block ×3, first 2 shown]
	v_add_f64 v[143:144], v[155:156], v[143:144]
	s_waitcnt vmcnt(58) lgkmcnt(0)
	v_mul_f64 v[162:163], v[137:138], v[172:173]
	ds_read_b128 v[5:8], v157 offset:1648
	v_mul_f64 v[155:156], v[135:136], v[172:173]
	s_waitcnt vmcnt(56)
	v_fma_f64 v[170:171], v[1:2], v[174:175], -v[169:170]
	v_add_f64 v[139:140], v[139:140], v[153:154]
	v_fma_f64 v[153:154], v[3:4], v[174:175], v[219:220]
	v_add_f64 v[141:142], v[143:144], v[141:142]
	s_clause 0x4
	buffer_load_dword v144, off, s[0:3], 0 offset:892
	buffer_load_dword v172, off, s[0:3], 0 offset:904
	buffer_load_dword v174, off, s[0:3], 0 offset:896
	buffer_load_dword v143, off, s[0:3], 0 offset:888
	buffer_load_dword v169, off, s[0:3], 0 offset:868
	s_waitcnt vmcnt(57) lgkmcnt(0)
	v_mul_f64 v[219:220], v[5:6], v[176:177]
	v_mul_f64 v[175:176], v[7:8], v[176:177]
	s_waitcnt vmcnt(56)
	v_fma_f64 v[162:163], v[135:136], v[149:150], -v[162:163]
	ds_read_b128 v[1:4], v157 offset:1664
	v_fma_f64 v[149:150], v[137:138], v[149:150], v[155:156]
	v_add_f64 v[139:140], v[139:140], v[170:171]
	v_add_f64 v[141:142], v[141:142], v[153:154]
	s_clause 0x2
	buffer_load_dword v173, off, s[0:3], 0 offset:908
	buffer_load_dword v154, off, s[0:3], 0 offset:884
	buffer_load_dword v153, off, s[0:3], 0 offset:880
	ds_read_b128 v[135:138], v157 offset:1680
	s_waitcnt vmcnt(58) lgkmcnt(1)
	v_mul_f64 v[170:171], v[3:4], v[178:179]
	s_waitcnt vmcnt(56)
	v_fma_f64 v[176:177], v[5:6], v[182:183], -v[175:176]
	v_mul_f64 v[155:156], v[1:2], v[178:179]
	v_add_f64 v[139:140], v[139:140], v[162:163]
	v_fma_f64 v[162:163], v[7:8], v[182:183], v[219:220]
	v_add_f64 v[141:142], v[141:142], v[149:150]
	s_clause 0x4
	buffer_load_dword v150, off, s[0:3], 0 offset:924
	buffer_load_dword v178, off, s[0:3], 0 offset:936
	buffer_load_dword v182, off, s[0:3], 0 offset:928
	buffer_load_dword v149, off, s[0:3], 0 offset:920
	buffer_load_dword v175, off, s[0:3], 0 offset:900
	s_waitcnt vmcnt(57) lgkmcnt(0)
	v_mul_f64 v[219:220], v[135:136], v[184:185]
	v_mul_f64 v[183:184], v[137:138], v[184:185]
	s_waitcnt vmcnt(56)
	v_fma_f64 v[170:171], v[1:2], v[180:181], -v[170:171]
	ds_read_b128 v[5:8], v157 offset:1696
	v_fma_f64 v[155:156], v[3:4], v[180:181], v[155:156]
	v_add_f64 v[139:140], v[139:140], v[176:177]
	v_add_f64 v[141:142], v[141:142], v[162:163]
	s_clause 0x2
	buffer_load_dword v179, off, s[0:3], 0 offset:940
	buffer_load_dword v163, off, s[0:3], 0 offset:916
	buffer_load_dword v162, off, s[0:3], 0 offset:912
	ds_read_b128 v[1:4], v157 offset:1712
	s_waitcnt vmcnt(58) lgkmcnt(1)
	v_mul_f64 v[180:181], v[7:8], v[186:187]
	s_waitcnt vmcnt(56)
	v_fma_f64 v[184:185], v[135:136], v[190:191], -v[183:184]
	v_mul_f64 v[176:177], v[5:6], v[186:187]
	;; [unrolled: 28-line block ×4, first 2 shown]
	v_add_f64 v[139:140], v[139:140], v[188:189]
	v_fma_f64 v[188:189], v[7:8], v[211:212], v[219:220]
	v_add_f64 v[141:142], v[141:142], v[184:185]
	s_clause 0x2
	buffer_load_dword v185, off, s[0:3], 0 offset:1020
	buffer_load_dword v184, off, s[0:3], 0 offset:1016
	;; [unrolled: 1-line block ×3, first 2 shown]
	ds_read_b128 v[5:8], v157 offset:1792
	s_waitcnt vmcnt(55) lgkmcnt(1)
	v_mul_f64 v[206:207], v[135:136], v[202:203]
	v_mul_f64 v[202:203], v[137:138], v[202:203]
	s_waitcnt vmcnt(54)
	v_fma_f64 v[198:199], v[1:2], v[208:209], -v[198:199]
	v_fma_f64 v[192:193], v[3:4], v[208:209], v[192:193]
	v_add_f64 v[139:140], v[139:140], v[204:205]
	v_add_f64 v[141:142], v[141:142], v[188:189]
	s_clause 0x1
	buffer_load_dword v189, off, s[0:3], 0 offset:1012
	buffer_load_dword v188, off, s[0:3], 0 offset:1008
	ds_read_b128 v[1:4], v157 offset:1808
	s_waitcnt vmcnt(55) lgkmcnt(1)
	v_mul_f64 v[208:209], v[7:8], v[215:216]
	v_mul_f64 v[204:205], v[5:6], v[215:216]
	s_waitcnt vmcnt(53)
	v_fma_f64 v[202:203], v[135:136], v[164:165], -v[202:203]
	v_fma_f64 v[164:165], v[137:138], v[164:165], v[206:207]
	ds_read_b128 v[135:138], v157 offset:1824
	v_add_f64 v[139:140], v[139:140], v[198:199]
	v_add_f64 v[141:142], v[141:142], v[192:193]
	s_waitcnt vmcnt(49) lgkmcnt(1)
	v_mul_f64 v[192:193], v[1:2], v[151:152]
	v_mul_f64 v[151:152], v[3:4], v[151:152]
	s_waitcnt vmcnt(48)
	v_fma_f64 v[198:199], v[5:6], v[217:218], -v[208:209]
	v_add_f64 v[139:140], v[139:140], v[202:203]
	v_fma_f64 v[202:203], v[7:8], v[217:218], v[204:205]
	v_add_f64 v[141:142], v[141:142], v[164:165]
	s_clause 0x3
	buffer_load_dword v164, off, s[0:3], 0 offset:496
	buffer_load_dword v165, off, s[0:3], 0 offset:500
	buffer_load_dword v204, off, s[0:3], 0 offset:504
	buffer_load_dword v205, off, s[0:3], 0 offset:508
	ds_read_b128 v[5:8], v157 offset:1840
	s_waitcnt vmcnt(51) lgkmcnt(1)
	v_mul_f64 v[206:207], v[135:136], v[166:167]
	v_mul_f64 v[166:167], v[137:138], v[166:167]
	s_waitcnt vmcnt(49)
	v_fma_f64 v[151:152], v[1:2], v[145:146], -v[151:152]
	v_fma_f64 v[145:146], v[3:4], v[145:146], v[192:193]
	ds_read_b128 v[1:4], v157 offset:1856
	v_add_f64 v[139:140], v[139:140], v[198:199]
	v_add_f64 v[141:142], v[141:142], v[202:203]
	s_waitcnt vmcnt(45) lgkmcnt(1)
	v_mul_f64 v[192:193], v[5:6], v[158:159]
	v_mul_f64 v[158:159], v[7:8], v[158:159]
	s_waitcnt vmcnt(44)
	v_fma_f64 v[166:167], v[135:136], v[213:214], -v[166:167]
	v_add_f64 v[139:140], v[139:140], v[151:152]
	v_fma_f64 v[151:152], v[137:138], v[213:214], v[206:207]
	v_add_f64 v[141:142], v[141:142], v[145:146]
	ds_read_b128 v[135:138], v157 offset:1872
	s_waitcnt vmcnt(43) lgkmcnt(1)
	v_mul_f64 v[145:146], v[1:2], v[160:161]
	v_mul_f64 v[160:161], v[3:4], v[160:161]
	s_waitcnt vmcnt(41)
	v_fma_f64 v[158:159], v[5:6], v[147:148], -v[158:159]
	v_fma_f64 v[147:148], v[7:8], v[147:148], v[192:193]
	ds_read_b128 v[5:8], v157 offset:1888
	v_add_f64 v[139:140], v[139:140], v[166:167]
	v_add_f64 v[141:142], v[141:142], v[151:152]
	s_waitcnt vmcnt(37) lgkmcnt(1)
	v_mul_f64 v[151:152], v[135:136], v[143:144]
	v_mul_f64 v[143:144], v[137:138], v[143:144]
	s_waitcnt vmcnt(36)
	v_fma_f64 v[160:161], v[1:2], v[168:169], -v[160:161]
	v_fma_f64 v[145:146], v[3:4], v[168:169], v[145:146]
	ds_read_b128 v[1:4], v157 offset:1904
	v_add_f64 v[139:140], v[139:140], v[158:159]
	v_add_f64 v[141:142], v[141:142], v[147:148]
	;; [unrolled: 9-line block ×3, first 2 shown]
	s_waitcnt vmcnt(29) lgkmcnt(1)
	v_mul_f64 v[145:146], v[1:2], v[149:150]
	v_mul_f64 v[149:150], v[3:4], v[149:150]
	s_waitcnt vmcnt(28)
	v_fma_f64 v[153:154], v[5:6], v[174:175], -v[158:159]
	v_add_f64 v[139:140], v[139:140], v[143:144]
	v_fma_f64 v[143:144], v[7:8], v[174:175], v[147:148]
	v_add_f64 v[141:142], v[141:142], v[151:152]
	ds_read_b128 v[5:8], v157 offset:1936
	s_waitcnt vmcnt(27) lgkmcnt(1)
	v_mul_f64 v[151:152], v[137:138], v[178:179]
	v_mul_f64 v[147:148], v[135:136], v[178:179]
	s_waitcnt vmcnt(25)
	v_fma_f64 v[149:150], v[1:2], v[162:163], -v[149:150]
	v_fma_f64 v[145:146], v[3:4], v[162:163], v[145:146]
	ds_read_b128 v[1:4], v157 offset:1952
	v_add_f64 v[139:140], v[139:140], v[153:154]
	v_add_f64 v[141:142], v[141:142], v[143:144]
	s_waitcnt vmcnt(21) lgkmcnt(1)
	v_mul_f64 v[153:154], v[7:8], v[155:156]
	s_waitcnt vmcnt(20)
	v_fma_f64 v[151:152], v[135:136], v[182:183], -v[151:152]
	v_mul_f64 v[143:144], v[5:6], v[155:156]
	v_fma_f64 v[147:148], v[137:138], v[182:183], v[147:148]
	ds_read_b128 v[135:138], v157 offset:1968
	v_add_f64 v[139:140], v[139:140], v[149:150]
	v_add_f64 v[141:142], v[141:142], v[145:146]
	s_waitcnt vmcnt(19) lgkmcnt(1)
	v_mul_f64 v[149:150], v[3:4], v[186:187]
	v_mul_f64 v[145:146], v[1:2], v[186:187]
	s_waitcnt vmcnt(17)
	v_fma_f64 v[153:154], v[5:6], v[170:171], -v[153:154]
	v_fma_f64 v[143:144], v[7:8], v[170:171], v[143:144]
	ds_read_b128 v[5:8], v157 offset:1984
	v_add_f64 v[139:140], v[139:140], v[151:152]
	v_add_f64 v[141:142], v[141:142], v[147:148]
	s_waitcnt vmcnt(13) lgkmcnt(1)
	v_mul_f64 v[151:152], v[137:138], v[176:177]
	s_waitcnt vmcnt(12)
	v_fma_f64 v[149:150], v[1:2], v[190:191], -v[149:150]
	v_mul_f64 v[147:148], v[135:136], v[176:177]
	v_fma_f64 v[145:146], v[3:4], v[190:191], v[145:146]
	ds_read_b128 v[1:4], v157 offset:2000
	v_add_f64 v[139:140], v[139:140], v[153:154]
	v_add_f64 v[141:142], v[141:142], v[143:144]
	s_waitcnt vmcnt(11) lgkmcnt(1)
	v_mul_f64 v[153:154], v[7:8], v[196:197]
	v_mul_f64 v[143:144], v[5:6], v[196:197]
	s_waitcnt vmcnt(9)
	v_fma_f64 v[135:136], v[135:136], v[180:181], -v[151:152]
	v_fma_f64 v[137:138], v[137:138], v[180:181], v[147:148]
	v_add_f64 v[139:140], v[139:140], v[149:150]
	v_add_f64 v[141:142], v[141:142], v[145:146]
	s_waitcnt vmcnt(7) lgkmcnt(0)
	v_mul_f64 v[147:148], v[3:4], v[184:185]
	s_waitcnt vmcnt(6)
	v_fma_f64 v[5:6], v[5:6], v[200:201], -v[153:154]
	v_mul_f64 v[145:146], v[1:2], v[184:185]
	v_fma_f64 v[7:8], v[7:8], v[200:201], v[143:144]
	v_add_f64 v[135:136], v[139:140], v[135:136]
	v_add_f64 v[137:138], v[141:142], v[137:138]
	s_waitcnt vmcnt(4)
	v_fma_f64 v[1:2], v[1:2], v[188:189], -v[147:148]
	v_fma_f64 v[3:4], v[3:4], v[188:189], v[145:146]
	v_add_f64 v[5:6], v[135:136], v[5:6]
	v_add_f64 v[7:8], v[137:138], v[7:8]
	;; [unrolled: 1-line block ×4, first 2 shown]
	s_waitcnt vmcnt(2)
	v_add_f64 v[1:2], v[164:165], -v[1:2]
	s_waitcnt vmcnt(0)
	v_add_f64 v[3:4], v[204:205], -v[3:4]
	buffer_store_dword v2, off, s[0:3], 0 offset:500
	buffer_store_dword v1, off, s[0:3], 0 offset:496
	;; [unrolled: 1-line block ×4, first 2 shown]
	v_cmpx_lt_u32_e32 29, v0
	s_cbranch_execz .LBB126_345
; %bb.344:
	v_mov_b32_e32 v4, s48
	v_mov_b32_e32 v5, 0
	s_clause 0x3
	buffer_load_dword v1, v4, s[0:3], 0 offen
	buffer_load_dword v2, v4, s[0:3], 0 offen offset:4
	buffer_load_dword v3, v4, s[0:3], 0 offen offset:8
	;; [unrolled: 1-line block ×3, first 2 shown]
	buffer_store_dword v5, off, s[0:3], 0 offset:480
	buffer_store_dword v5, off, s[0:3], 0 offset:484
	;; [unrolled: 1-line block ×4, first 2 shown]
	s_waitcnt vmcnt(0)
	ds_write_b128 v195, v[1:4]
.LBB126_345:
	s_or_b32 exec_lo, exec_lo, s4
	s_waitcnt lgkmcnt(0)
	s_waitcnt_vscnt null, 0x0
	s_barrier
	buffer_gl0_inv
	s_clause 0x37
	buffer_load_dword v135, off, s[0:3], 0 offset:504
	buffer_load_dword v136, off, s[0:3], 0 offset:508
	;; [unrolled: 1-line block ×56, first 2 shown]
	v_mov_b32_e32 v177, 0
	s_mov_b32 s4, exec_lo
	ds_read_b128 v[167:170], v177 offset:1488
	s_clause 0x2
	buffer_load_dword v197, off, s[0:3], 0 offset:732
	buffer_load_dword v201, off, s[0:3], 0 offset:708
	;; [unrolled: 1-line block ×3, first 2 shown]
	ds_read_b128 v[171:174], v177 offset:1504
	s_clause 0x4
	buffer_load_dword v205, off, s[0:3], 0 offset:748
	buffer_load_dword v206, off, s[0:3], 0 offset:760
	;; [unrolled: 1-line block ×5, first 2 shown]
	ds_read_b128 v[178:181], v177 offset:1520
	s_clause 0x2
	buffer_load_dword v207, off, s[0:3], 0 offset:764
	buffer_load_dword v212, off, s[0:3], 0 offset:740
	;; [unrolled: 1-line block ×3, first 2 shown]
	s_waitcnt vmcnt(62) lgkmcnt(2)
	v_mul_f64 v[202:203], v[169:170], v[135:136]
	v_mul_f64 v[135:136], v[167:168], v[135:136]
	s_waitcnt lgkmcnt(1)
	v_mul_f64 v[209:210], v[173:174], v[5:6]
	s_waitcnt vmcnt(59) lgkmcnt(0)
	v_mul_f64 v[213:214], v[180:181], v[3:4]
	v_fma_f64 v[167:168], v[167:168], v[7:8], -v[202:203]
	v_mul_f64 v[202:203], v[171:172], v[5:6]
	v_fma_f64 v[135:136], v[169:170], v[7:8], v[135:136]
	s_waitcnt vmcnt(57)
	v_fma_f64 v[171:172], v[171:172], v[1:2], -v[209:210]
	ds_read_b128 v[5:8], v177 offset:1536
	v_mul_f64 v[169:170], v[178:179], v[3:4]
	s_waitcnt vmcnt(51)
	v_fma_f64 v[178:179], v[178:179], v[151:152], -v[213:214]
	v_add_f64 v[167:168], v[167:168], 0
	v_fma_f64 v[173:174], v[173:174], v[1:2], v[202:203]
	v_add_f64 v[135:136], v[135:136], 0
	s_clause 0x4
	buffer_load_dword v203, off, s[0:3], 0 offset:780
	buffer_load_dword v215, off, s[0:3], 0 offset:792
	buffer_load_dword v217, off, s[0:3], 0 offset:784
	buffer_load_dword v202, off, s[0:3], 0 offset:776
	buffer_load_dword v209, off, s[0:3], 0 offset:756
	s_waitcnt lgkmcnt(0)
	v_mul_f64 v[218:219], v[5:6], v[139:140]
	v_mul_f64 v[139:140], v[7:8], v[139:140]
	ds_read_b128 v[1:4], v177 offset:1552
	v_fma_f64 v[151:152], v[180:181], v[151:152], v[169:170]
	v_add_f64 v[171:172], v[167:168], v[171:172]
	v_add_f64 v[135:136], v[135:136], v[173:174]
	s_clause 0x2
	buffer_load_dword v216, off, s[0:3], 0 offset:796
	buffer_load_dword v174, off, s[0:3], 0 offset:772
	;; [unrolled: 1-line block ×3, first 2 shown]
	s_waitcnt vmcnt(58) lgkmcnt(0)
	v_mul_f64 v[180:181], v[1:2], v[143:144]
	v_mul_f64 v[143:144], v[3:4], v[143:144]
	s_waitcnt vmcnt(56)
	v_fma_f64 v[139:140], v[5:6], v[145:146], -v[139:140]
	ds_read_b128 v[167:170], v177 offset:1568
	v_fma_f64 v[145:146], v[7:8], v[145:146], v[218:219]
	v_add_f64 v[171:172], v[171:172], v[178:179]
	v_add_f64 v[135:136], v[135:136], v[151:152]
	s_clause 0x4
	buffer_load_dword v152, off, s[0:3], 0 offset:812
	buffer_load_dword v178, off, s[0:3], 0 offset:824
	;; [unrolled: 1-line block ×5, first 2 shown]
	ds_read_b128 v[5:8], v177 offset:1584
	s_waitcnt vmcnt(57) lgkmcnt(1)
	v_mul_f64 v[219:220], v[167:168], v[147:148]
	v_mul_f64 v[147:148], v[169:170], v[147:148]
	s_waitcnt vmcnt(56)
	v_fma_f64 v[143:144], v[1:2], v[137:138], -v[143:144]
	v_fma_f64 v[137:138], v[3:4], v[137:138], v[180:181]
	v_add_f64 v[139:140], v[171:172], v[139:140]
	v_add_f64 v[135:136], v[135:136], v[145:146]
	s_clause 0x2
	buffer_load_dword v179, off, s[0:3], 0 offset:828
	buffer_load_dword v146, off, s[0:3], 0 offset:804
	;; [unrolled: 1-line block ×3, first 2 shown]
	s_waitcnt vmcnt(58) lgkmcnt(0)
	v_mul_f64 v[171:172], v[5:6], v[153:154]
	v_mul_f64 v[153:154], v[7:8], v[153:154]
	s_waitcnt vmcnt(56)
	v_fma_f64 v[147:148], v[167:168], v[155:156], -v[147:148]
	ds_read_b128 v[1:4], v177 offset:1600
	v_add_f64 v[139:140], v[139:140], v[143:144]
	v_fma_f64 v[143:144], v[169:170], v[155:156], v[219:220]
	v_add_f64 v[155:156], v[135:136], v[137:138]
	s_clause 0x4
	buffer_load_dword v168, off, s[0:3], 0 offset:844
	buffer_load_dword v169, off, s[0:3], 0 offset:856
	;; [unrolled: 1-line block ×5, first 2 shown]
	ds_read_b128 v[135:138], v177 offset:1616
	s_waitcnt vmcnt(57) lgkmcnt(1)
	v_mul_f64 v[219:220], v[1:2], v[157:158]
	v_mul_f64 v[157:158], v[3:4], v[157:158]
	s_waitcnt vmcnt(56)
	v_fma_f64 v[153:154], v[5:6], v[141:142], -v[153:154]
	v_fma_f64 v[141:142], v[7:8], v[141:142], v[171:172]
	v_add_f64 v[139:140], v[139:140], v[147:148]
	s_clause 0x2
	buffer_load_dword v170, off, s[0:3], 0 offset:860
	buffer_load_dword v148, off, s[0:3], 0 offset:836
	;; [unrolled: 1-line block ×3, first 2 shown]
	v_add_f64 v[143:144], v[155:156], v[143:144]
	s_waitcnt vmcnt(58) lgkmcnt(0)
	v_mul_f64 v[155:156], v[135:136], v[161:162]
	v_mul_f64 v[161:162], v[137:138], v[161:162]
	ds_read_b128 v[5:8], v177 offset:1632
	s_waitcnt vmcnt(56)
	v_fma_f64 v[157:158], v[1:2], v[163:164], -v[157:158]
	v_add_f64 v[139:140], v[139:140], v[153:154]
	v_fma_f64 v[153:154], v[3:4], v[163:164], v[219:220]
	v_add_f64 v[141:142], v[143:144], v[141:142]
	s_clause 0x4
	buffer_load_dword v144, off, s[0:3], 0 offset:876
	buffer_load_dword v163, off, s[0:3], 0 offset:888
	;; [unrolled: 1-line block ×5, first 2 shown]
	s_waitcnt vmcnt(57) lgkmcnt(0)
	v_mul_f64 v[219:220], v[5:6], v[165:166]
	v_mul_f64 v[165:166], v[7:8], v[165:166]
	s_waitcnt vmcnt(56)
	v_fma_f64 v[161:162], v[135:136], v[149:150], -v[161:162]
	ds_read_b128 v[1:4], v177 offset:1648
	v_fma_f64 v[149:150], v[137:138], v[149:150], v[155:156]
	v_add_f64 v[139:140], v[139:140], v[157:158]
	v_add_f64 v[141:142], v[141:142], v[153:154]
	s_clause 0x2
	buffer_load_dword v164, off, s[0:3], 0 offset:892
	buffer_load_dword v154, off, s[0:3], 0 offset:868
	;; [unrolled: 1-line block ×3, first 2 shown]
	ds_read_b128 v[135:138], v177 offset:1664
	s_waitcnt vmcnt(58) lgkmcnt(1)
	v_mul_f64 v[157:158], v[3:4], v[175:176]
	s_waitcnt vmcnt(56)
	v_fma_f64 v[165:166], v[5:6], v[182:183], -v[165:166]
	v_mul_f64 v[155:156], v[1:2], v[175:176]
	v_add_f64 v[139:140], v[139:140], v[161:162]
	v_fma_f64 v[161:162], v[7:8], v[182:183], v[219:220]
	v_add_f64 v[141:142], v[141:142], v[149:150]
	s_clause 0x4
	buffer_load_dword v150, off, s[0:3], 0 offset:908
	buffer_load_dword v175, off, s[0:3], 0 offset:920
	;; [unrolled: 1-line block ×5, first 2 shown]
	s_waitcnt vmcnt(57) lgkmcnt(0)
	v_mul_f64 v[219:220], v[135:136], v[184:185]
	v_mul_f64 v[183:184], v[137:138], v[184:185]
	s_waitcnt vmcnt(56)
	v_fma_f64 v[157:158], v[1:2], v[159:160], -v[157:158]
	ds_read_b128 v[5:8], v177 offset:1680
	v_fma_f64 v[155:156], v[3:4], v[159:160], v[155:156]
	s_clause 0x2
	buffer_load_dword v176, off, s[0:3], 0 offset:924
	buffer_load_dword v160, off, s[0:3], 0 offset:900
	;; [unrolled: 1-line block ×3, first 2 shown]
	ds_read_b128 v[1:4], v177 offset:1696
	v_add_f64 v[139:140], v[139:140], v[165:166]
	v_add_f64 v[141:142], v[141:142], v[161:162]
	s_waitcnt vmcnt(58) lgkmcnt(1)
	v_mul_f64 v[165:166], v[7:8], v[186:187]
	s_waitcnt vmcnt(56)
	v_fma_f64 v[184:185], v[135:136], v[190:191], -v[183:184]
	v_mul_f64 v[161:162], v[5:6], v[186:187]
	v_add_f64 v[139:140], v[139:140], v[157:158]
	v_fma_f64 v[157:158], v[137:138], v[190:191], v[219:220]
	v_add_f64 v[141:142], v[141:142], v[155:156]
	s_clause 0x4
	buffer_load_dword v156, off, s[0:3], 0 offset:940
	buffer_load_dword v186, off, s[0:3], 0 offset:952
	;; [unrolled: 1-line block ×5, first 2 shown]
	s_waitcnt vmcnt(57) lgkmcnt(0)
	v_mul_f64 v[219:220], v[1:2], v[192:193]
	v_mul_f64 v[191:192], v[3:4], v[192:193]
	s_waitcnt vmcnt(56)
	v_fma_f64 v[165:166], v[5:6], v[188:189], -v[165:166]
	ds_read_b128 v[135:138], v177 offset:1712
	v_fma_f64 v[161:162], v[7:8], v[188:189], v[161:162]
	v_add_f64 v[139:140], v[139:140], v[184:185]
	v_add_f64 v[141:142], v[141:142], v[157:158]
	s_clause 0x2
	buffer_load_dword v187, off, s[0:3], 0 offset:956
	buffer_load_dword v158, off, s[0:3], 0 offset:932
	;; [unrolled: 1-line block ×3, first 2 shown]
	ds_read_b128 v[5:8], v177 offset:1728
	s_waitcnt vmcnt(58) lgkmcnt(1)
	v_mul_f64 v[188:189], v[137:138], v[196:197]
	s_waitcnt vmcnt(56)
	v_fma_f64 v[192:193], v[1:2], v[200:201], -v[191:192]
	v_mul_f64 v[184:185], v[135:136], v[196:197]
	v_add_f64 v[139:140], v[139:140], v[165:166]
	v_fma_f64 v[165:166], v[3:4], v[200:201], v[219:220]
	v_add_f64 v[141:142], v[141:142], v[161:162]
	s_clause 0x4
	buffer_load_dword v162, off, s[0:3], 0 offset:972
	buffer_load_dword v196, off, s[0:3], 0 offset:984
	;; [unrolled: 1-line block ×5, first 2 shown]
	s_waitcnt vmcnt(57) lgkmcnt(0)
	v_mul_f64 v[219:220], v[5:6], v[204:205]
	v_mul_f64 v[204:205], v[7:8], v[204:205]
	s_waitcnt vmcnt(56)
	v_fma_f64 v[188:189], v[135:136], v[198:199], -v[188:189]
	ds_read_b128 v[1:4], v177 offset:1744
	v_fma_f64 v[184:185], v[137:138], v[198:199], v[184:185]
	v_add_f64 v[139:140], v[139:140], v[192:193]
	v_add_f64 v[141:142], v[141:142], v[165:166]
	s_clause 0x2
	buffer_load_dword v197, off, s[0:3], 0 offset:988
	buffer_load_dword v166, off, s[0:3], 0 offset:964
	;; [unrolled: 1-line block ×3, first 2 shown]
	ds_read_b128 v[135:138], v177 offset:1760
	s_waitcnt vmcnt(58) lgkmcnt(1)
	v_mul_f64 v[198:199], v[3:4], v[206:207]
	s_waitcnt vmcnt(56)
	v_fma_f64 v[204:205], v[5:6], v[211:212], -v[204:205]
	v_mul_f64 v[192:193], v[1:2], v[206:207]
	v_add_f64 v[139:140], v[139:140], v[188:189]
	v_fma_f64 v[188:189], v[7:8], v[211:212], v[219:220]
	v_add_f64 v[141:142], v[141:142], v[184:185]
	s_clause 0x4
	buffer_load_dword v185, off, s[0:3], 0 offset:1004
	buffer_load_dword v206, off, s[0:3], 0 offset:1016
	;; [unrolled: 1-line block ×5, first 2 shown]
	ds_read_b128 v[5:8], v177 offset:1776
	s_waitcnt vmcnt(57) lgkmcnt(1)
	v_mul_f64 v[211:212], v[135:136], v[202:203]
	v_mul_f64 v[202:203], v[137:138], v[202:203]
	s_waitcnt vmcnt(56)
	v_fma_f64 v[198:199], v[1:2], v[208:209], -v[198:199]
	v_fma_f64 v[192:193], v[3:4], v[208:209], v[192:193]
	v_add_f64 v[139:140], v[139:140], v[204:205]
	v_add_f64 v[141:142], v[141:142], v[188:189]
	s_clause 0x2
	buffer_load_dword v207, off, s[0:3], 0 offset:1020
	buffer_load_dword v189, off, s[0:3], 0 offset:996
	;; [unrolled: 1-line block ×3, first 2 shown]
	ds_read_b128 v[1:4], v177 offset:1792
	s_waitcnt vmcnt(58) lgkmcnt(1)
	v_mul_f64 v[208:209], v[7:8], v[215:216]
	v_mul_f64 v[204:205], v[5:6], v[215:216]
	s_waitcnt vmcnt(56)
	v_fma_f64 v[202:203], v[135:136], v[173:174], -v[202:203]
	v_fma_f64 v[173:174], v[137:138], v[173:174], v[211:212]
	buffer_load_dword v211, off, s[0:3], 0 offset:1012
	ds_read_b128 v[135:138], v177 offset:1808
	v_add_f64 v[139:140], v[139:140], v[198:199]
	v_add_f64 v[141:142], v[141:142], v[192:193]
	s_waitcnt vmcnt(53) lgkmcnt(1)
	v_mul_f64 v[192:193], v[1:2], v[151:152]
	v_mul_f64 v[151:152], v[3:4], v[151:152]
	s_waitcnt vmcnt(52)
	v_fma_f64 v[198:199], v[5:6], v[217:218], -v[208:209]
	v_add_f64 v[139:140], v[139:140], v[202:203]
	v_fma_f64 v[202:203], v[7:8], v[217:218], v[204:205]
	v_add_f64 v[141:142], v[141:142], v[173:174]
	ds_read_b128 v[5:8], v177 offset:1824
	s_waitcnt vmcnt(51) lgkmcnt(1)
	v_mul_f64 v[173:174], v[135:136], v[178:179]
	v_mul_f64 v[178:179], v[137:138], v[178:179]
	s_waitcnt vmcnt(49)
	v_fma_f64 v[151:152], v[1:2], v[145:146], -v[151:152]
	v_fma_f64 v[145:146], v[3:4], v[145:146], v[192:193]
	v_add_f64 v[139:140], v[139:140], v[198:199]
	s_clause 0x3
	buffer_load_dword v192, off, s[0:3], 0 offset:480
	buffer_load_dword v193, off, s[0:3], 0 offset:484
	;; [unrolled: 1-line block ×4, first 2 shown]
	v_add_f64 v[141:142], v[141:142], v[202:203]
	ds_read_b128 v[1:4], v177 offset:1840
	s_waitcnt vmcnt(49) lgkmcnt(1)
	v_mul_f64 v[202:203], v[5:6], v[167:168]
	v_mul_f64 v[167:168], v[7:8], v[167:168]
	s_waitcnt vmcnt(48)
	v_fma_f64 v[178:179], v[135:136], v[213:214], -v[178:179]
	v_add_f64 v[139:140], v[139:140], v[151:152]
	v_fma_f64 v[151:152], v[137:138], v[213:214], v[173:174]
	v_add_f64 v[141:142], v[141:142], v[145:146]
	ds_read_b128 v[135:138], v177 offset:1856
	s_waitcnt vmcnt(47) lgkmcnt(1)
	v_mul_f64 v[145:146], v[1:2], v[169:170]
	v_mul_f64 v[169:170], v[3:4], v[169:170]
	s_waitcnt vmcnt(45)
	v_fma_f64 v[167:168], v[5:6], v[147:148], -v[167:168]
	v_fma_f64 v[147:148], v[7:8], v[147:148], v[202:203]
	ds_read_b128 v[5:8], v177 offset:1872
	v_add_f64 v[139:140], v[139:140], v[178:179]
	v_add_f64 v[141:142], v[141:142], v[151:152]
	s_waitcnt vmcnt(41) lgkmcnt(1)
	v_mul_f64 v[151:152], v[135:136], v[143:144]
	v_mul_f64 v[143:144], v[137:138], v[143:144]
	s_waitcnt vmcnt(40)
	v_fma_f64 v[169:170], v[1:2], v[180:181], -v[169:170]
	v_fma_f64 v[145:146], v[3:4], v[180:181], v[145:146]
	ds_read_b128 v[1:4], v177 offset:1888
	v_add_f64 v[139:140], v[139:140], v[167:168]
	v_add_f64 v[141:142], v[141:142], v[147:148]
	;; [unrolled: 9-line block ×3, first 2 shown]
	s_waitcnt vmcnt(33) lgkmcnt(1)
	v_mul_f64 v[145:146], v[1:2], v[149:150]
	v_mul_f64 v[149:150], v[3:4], v[149:150]
	s_waitcnt vmcnt(32)
	v_fma_f64 v[153:154], v[5:6], v[171:172], -v[163:164]
	v_add_f64 v[139:140], v[139:140], v[143:144]
	v_fma_f64 v[143:144], v[7:8], v[171:172], v[147:148]
	v_add_f64 v[141:142], v[141:142], v[151:152]
	ds_read_b128 v[5:8], v177 offset:1920
	s_waitcnt vmcnt(31) lgkmcnt(1)
	v_mul_f64 v[151:152], v[137:138], v[175:176]
	v_mul_f64 v[147:148], v[135:136], v[175:176]
	s_waitcnt vmcnt(29)
	v_fma_f64 v[145:146], v[3:4], v[159:160], v[145:146]
	v_fma_f64 v[149:150], v[1:2], v[159:160], -v[149:150]
	ds_read_b128 v[1:4], v177 offset:1936
	v_add_f64 v[139:140], v[139:140], v[153:154]
	v_add_f64 v[141:142], v[141:142], v[143:144]
	s_waitcnt vmcnt(25) lgkmcnt(1)
	v_mul_f64 v[153:154], v[7:8], v[155:156]
	s_waitcnt vmcnt(24)
	v_fma_f64 v[151:152], v[135:136], v[182:183], -v[151:152]
	v_mul_f64 v[143:144], v[5:6], v[155:156]
	v_fma_f64 v[147:148], v[137:138], v[182:183], v[147:148]
	ds_read_b128 v[135:138], v177 offset:1952
	v_add_f64 v[139:140], v[139:140], v[149:150]
	v_add_f64 v[141:142], v[141:142], v[145:146]
	s_waitcnt vmcnt(23) lgkmcnt(1)
	v_mul_f64 v[149:150], v[3:4], v[186:187]
	v_mul_f64 v[145:146], v[1:2], v[186:187]
	s_waitcnt vmcnt(21)
	v_fma_f64 v[153:154], v[5:6], v[157:158], -v[153:154]
	v_fma_f64 v[143:144], v[7:8], v[157:158], v[143:144]
	ds_read_b128 v[5:8], v177 offset:1968
	v_add_f64 v[139:140], v[139:140], v[151:152]
	v_add_f64 v[141:142], v[141:142], v[147:148]
	s_waitcnt vmcnt(17) lgkmcnt(1)
	v_mul_f64 v[151:152], v[137:138], v[161:162]
	s_waitcnt vmcnt(16)
	v_fma_f64 v[149:150], v[1:2], v[190:191], -v[149:150]
	v_mul_f64 v[147:148], v[135:136], v[161:162]
	v_fma_f64 v[145:146], v[3:4], v[190:191], v[145:146]
	ds_read_b128 v[1:4], v177 offset:1984
	v_add_f64 v[139:140], v[139:140], v[153:154]
	v_add_f64 v[141:142], v[141:142], v[143:144]
	s_waitcnt vmcnt(15) lgkmcnt(1)
	v_mul_f64 v[153:154], v[7:8], v[196:197]
	v_mul_f64 v[143:144], v[5:6], v[196:197]
	s_waitcnt vmcnt(13)
	v_fma_f64 v[151:152], v[135:136], v[165:166], -v[151:152]
	v_fma_f64 v[147:148], v[137:138], v[165:166], v[147:148]
	ds_read_b128 v[135:138], v177 offset:2000
	v_add_f64 v[139:140], v[139:140], v[149:150]
	v_add_f64 v[141:142], v[141:142], v[145:146]
	s_waitcnt vmcnt(9) lgkmcnt(1)
	v_mul_f64 v[149:150], v[3:4], v[184:185]
	s_waitcnt vmcnt(8)
	v_fma_f64 v[5:6], v[5:6], v[200:201], -v[153:154]
	v_mul_f64 v[145:146], v[1:2], v[184:185]
	v_fma_f64 v[7:8], v[7:8], v[200:201], v[143:144]
	v_add_f64 v[139:140], v[139:140], v[151:152]
	v_add_f64 v[141:142], v[141:142], v[147:148]
	s_waitcnt vmcnt(7) lgkmcnt(0)
	v_mul_f64 v[147:148], v[137:138], v[206:207]
	v_mul_f64 v[143:144], v[135:136], v[206:207]
	s_waitcnt vmcnt(5)
	v_fma_f64 v[1:2], v[1:2], v[188:189], -v[149:150]
	v_fma_f64 v[3:4], v[3:4], v[188:189], v[145:146]
	v_add_f64 v[5:6], v[139:140], v[5:6]
	v_add_f64 v[7:8], v[141:142], v[7:8]
	s_waitcnt vmcnt(4)
	v_fma_f64 v[135:136], v[135:136], v[210:211], -v[147:148]
	v_add_f64 v[1:2], v[5:6], v[1:2]
	v_fma_f64 v[5:6], v[137:138], v[210:211], v[143:144]
	v_add_f64 v[3:4], v[7:8], v[3:4]
	v_add_f64 v[1:2], v[1:2], v[135:136]
	;; [unrolled: 1-line block ×3, first 2 shown]
	s_waitcnt vmcnt(2)
	v_add_f64 v[1:2], v[192:193], -v[1:2]
	s_waitcnt vmcnt(0)
	v_add_f64 v[3:4], v[198:199], -v[3:4]
	buffer_store_dword v2, off, s[0:3], 0 offset:484
	buffer_store_dword v1, off, s[0:3], 0 offset:480
	;; [unrolled: 1-line block ×4, first 2 shown]
	v_cmpx_lt_u32_e32 28, v0
	s_cbranch_execz .LBB126_347
; %bb.346:
	v_mov_b32_e32 v4, s49
	s_clause 0x3
	buffer_load_dword v1, v4, s[0:3], 0 offen
	buffer_load_dword v2, v4, s[0:3], 0 offen offset:4
	buffer_load_dword v3, v4, s[0:3], 0 offen offset:8
	;; [unrolled: 1-line block ×3, first 2 shown]
	buffer_store_dword v177, off, s[0:3], 0 offset:464
	buffer_store_dword v177, off, s[0:3], 0 offset:468
	;; [unrolled: 1-line block ×4, first 2 shown]
	s_waitcnt vmcnt(0)
	ds_write_b128 v195, v[1:4]
.LBB126_347:
	s_or_b32 exec_lo, exec_lo, s4
	s_waitcnt lgkmcnt(0)
	s_waitcnt_vscnt null, 0x0
	s_barrier
	buffer_gl0_inv
	s_clause 0x37
	buffer_load_dword v135, off, s[0:3], 0 offset:488
	buffer_load_dword v136, off, s[0:3], 0 offset:492
	;; [unrolled: 1-line block ×56, first 2 shown]
	ds_read_b128 v[178:181], v177 offset:1472
	s_clause 0x2
	buffer_load_dword v199, off, s[0:3], 0 offset:716
	buffer_load_dword v201, off, s[0:3], 0 offset:692
	;; [unrolled: 1-line block ×3, first 2 shown]
	ds_read_b128 v[182:185], v177 offset:1488
	s_clause 0x4
	buffer_load_dword v205, off, s[0:3], 0 offset:732
	buffer_load_dword v206, off, s[0:3], 0 offset:744
	;; [unrolled: 1-line block ×5, first 2 shown]
	ds_read_b128 v[186:189], v177 offset:1504
	s_clause 0x2
	buffer_load_dword v207, off, s[0:3], 0 offset:748
	buffer_load_dword v212, off, s[0:3], 0 offset:724
	;; [unrolled: 1-line block ×3, first 2 shown]
	s_mov_b32 s4, exec_lo
	s_waitcnt vmcnt(62) lgkmcnt(2)
	v_mul_f64 v[202:203], v[180:181], v[135:136]
	v_mul_f64 v[135:136], v[178:179], v[135:136]
	s_waitcnt lgkmcnt(1)
	v_mul_f64 v[209:210], v[184:185], v[5:6]
	s_waitcnt vmcnt(59) lgkmcnt(0)
	v_mul_f64 v[213:214], v[188:189], v[3:4]
	v_fma_f64 v[178:179], v[178:179], v[7:8], -v[202:203]
	v_mul_f64 v[202:203], v[182:183], v[5:6]
	v_fma_f64 v[135:136], v[180:181], v[7:8], v[135:136]
	s_waitcnt vmcnt(57)
	v_fma_f64 v[182:183], v[182:183], v[1:2], -v[209:210]
	ds_read_b128 v[5:8], v177 offset:1520
	v_mul_f64 v[180:181], v[186:187], v[3:4]
	s_waitcnt vmcnt(51)
	v_fma_f64 v[186:187], v[186:187], v[151:152], -v[213:214]
	v_add_f64 v[178:179], v[178:179], 0
	v_fma_f64 v[184:185], v[184:185], v[1:2], v[202:203]
	v_add_f64 v[135:136], v[135:136], 0
	s_clause 0x4
	buffer_load_dword v203, off, s[0:3], 0 offset:764
	buffer_load_dword v215, off, s[0:3], 0 offset:776
	;; [unrolled: 1-line block ×5, first 2 shown]
	s_waitcnt lgkmcnt(0)
	v_mul_f64 v[218:219], v[5:6], v[139:140]
	v_mul_f64 v[139:140], v[7:8], v[139:140]
	ds_read_b128 v[1:4], v177 offset:1536
	v_fma_f64 v[151:152], v[188:189], v[151:152], v[180:181]
	v_add_f64 v[182:183], v[178:179], v[182:183]
	v_add_f64 v[135:136], v[135:136], v[184:185]
	s_clause 0x2
	buffer_load_dword v216, off, s[0:3], 0 offset:780
	buffer_load_dword v185, off, s[0:3], 0 offset:756
	;; [unrolled: 1-line block ×3, first 2 shown]
	s_waitcnt vmcnt(58) lgkmcnt(0)
	v_mul_f64 v[188:189], v[1:2], v[143:144]
	v_mul_f64 v[143:144], v[3:4], v[143:144]
	s_waitcnt vmcnt(56)
	v_fma_f64 v[139:140], v[5:6], v[145:146], -v[139:140]
	ds_read_b128 v[178:181], v177 offset:1552
	v_fma_f64 v[145:146], v[7:8], v[145:146], v[218:219]
	v_add_f64 v[182:183], v[182:183], v[186:187]
	v_add_f64 v[135:136], v[135:136], v[151:152]
	s_clause 0x4
	buffer_load_dword v152, off, s[0:3], 0 offset:796
	buffer_load_dword v186, off, s[0:3], 0 offset:808
	;; [unrolled: 1-line block ×5, first 2 shown]
	ds_read_b128 v[5:8], v177 offset:1568
	s_waitcnt vmcnt(57) lgkmcnt(1)
	v_mul_f64 v[219:220], v[178:179], v[147:148]
	v_mul_f64 v[147:148], v[180:181], v[147:148]
	s_waitcnt vmcnt(56)
	v_fma_f64 v[143:144], v[1:2], v[137:138], -v[143:144]
	v_fma_f64 v[137:138], v[3:4], v[137:138], v[188:189]
	v_add_f64 v[139:140], v[182:183], v[139:140]
	v_add_f64 v[135:136], v[135:136], v[145:146]
	s_clause 0x2
	buffer_load_dword v187, off, s[0:3], 0 offset:812
	buffer_load_dword v146, off, s[0:3], 0 offset:788
	;; [unrolled: 1-line block ×3, first 2 shown]
	s_waitcnt vmcnt(58) lgkmcnt(0)
	v_mul_f64 v[182:183], v[5:6], v[153:154]
	v_mul_f64 v[153:154], v[7:8], v[153:154]
	s_waitcnt vmcnt(56)
	v_fma_f64 v[147:148], v[178:179], v[155:156], -v[147:148]
	ds_read_b128 v[1:4], v177 offset:1584
	v_add_f64 v[139:140], v[139:140], v[143:144]
	v_fma_f64 v[143:144], v[180:181], v[155:156], v[219:220]
	v_add_f64 v[155:156], v[135:136], v[137:138]
	s_clause 0x4
	buffer_load_dword v179, off, s[0:3], 0 offset:828
	buffer_load_dword v180, off, s[0:3], 0 offset:840
	;; [unrolled: 1-line block ×5, first 2 shown]
	ds_read_b128 v[135:138], v177 offset:1600
	s_waitcnt vmcnt(57) lgkmcnt(1)
	v_mul_f64 v[219:220], v[1:2], v[157:158]
	v_mul_f64 v[157:158], v[3:4], v[157:158]
	s_waitcnt vmcnt(56)
	v_fma_f64 v[153:154], v[5:6], v[141:142], -v[153:154]
	v_fma_f64 v[141:142], v[7:8], v[141:142], v[182:183]
	v_add_f64 v[139:140], v[139:140], v[147:148]
	s_clause 0x2
	buffer_load_dword v181, off, s[0:3], 0 offset:844
	buffer_load_dword v148, off, s[0:3], 0 offset:820
	;; [unrolled: 1-line block ×3, first 2 shown]
	v_add_f64 v[143:144], v[155:156], v[143:144]
	s_waitcnt vmcnt(58) lgkmcnt(0)
	v_mul_f64 v[155:156], v[135:136], v[161:162]
	v_mul_f64 v[161:162], v[137:138], v[161:162]
	ds_read_b128 v[5:8], v177 offset:1616
	s_waitcnt vmcnt(56)
	v_fma_f64 v[157:158], v[1:2], v[163:164], -v[157:158]
	v_add_f64 v[139:140], v[139:140], v[153:154]
	v_fma_f64 v[153:154], v[3:4], v[163:164], v[219:220]
	v_add_f64 v[141:142], v[143:144], v[141:142]
	s_clause 0x4
	buffer_load_dword v144, off, s[0:3], 0 offset:860
	buffer_load_dword v163, off, s[0:3], 0 offset:872
	;; [unrolled: 1-line block ×5, first 2 shown]
	s_waitcnt vmcnt(57) lgkmcnt(0)
	v_mul_f64 v[219:220], v[5:6], v[165:166]
	v_mul_f64 v[165:166], v[7:8], v[165:166]
	s_waitcnt vmcnt(56)
	v_fma_f64 v[161:162], v[135:136], v[149:150], -v[161:162]
	ds_read_b128 v[1:4], v177 offset:1632
	v_fma_f64 v[149:150], v[137:138], v[149:150], v[155:156]
	v_add_f64 v[139:140], v[139:140], v[157:158]
	v_add_f64 v[141:142], v[141:142], v[153:154]
	s_clause 0x2
	buffer_load_dword v164, off, s[0:3], 0 offset:876
	buffer_load_dword v154, off, s[0:3], 0 offset:852
	;; [unrolled: 1-line block ×3, first 2 shown]
	ds_read_b128 v[135:138], v177 offset:1648
	s_waitcnt vmcnt(58) lgkmcnt(1)
	v_mul_f64 v[157:158], v[3:4], v[169:170]
	s_waitcnt vmcnt(56)
	v_fma_f64 v[165:166], v[5:6], v[171:172], -v[165:166]
	v_mul_f64 v[155:156], v[1:2], v[169:170]
	v_add_f64 v[139:140], v[139:140], v[161:162]
	v_fma_f64 v[161:162], v[7:8], v[171:172], v[219:220]
	v_add_f64 v[141:142], v[141:142], v[149:150]
	s_clause 0x4
	buffer_load_dword v150, off, s[0:3], 0 offset:892
	buffer_load_dword v169, off, s[0:3], 0 offset:904
	;; [unrolled: 1-line block ×5, first 2 shown]
	s_waitcnt vmcnt(57) lgkmcnt(0)
	v_mul_f64 v[219:220], v[135:136], v[173:174]
	v_mul_f64 v[172:173], v[137:138], v[173:174]
	s_waitcnt vmcnt(56)
	v_fma_f64 v[157:158], v[1:2], v[159:160], -v[157:158]
	ds_read_b128 v[5:8], v177 offset:1664
	v_fma_f64 v[155:156], v[3:4], v[159:160], v[155:156]
	s_clause 0x2
	buffer_load_dword v170, off, s[0:3], 0 offset:908
	buffer_load_dword v160, off, s[0:3], 0 offset:884
	;; [unrolled: 1-line block ×3, first 2 shown]
	ds_read_b128 v[1:4], v177 offset:1680
	v_add_f64 v[139:140], v[139:140], v[165:166]
	v_add_f64 v[141:142], v[141:142], v[161:162]
	s_waitcnt vmcnt(58) lgkmcnt(1)
	v_mul_f64 v[165:166], v[7:8], v[190:191]
	s_waitcnt vmcnt(56)
	v_fma_f64 v[173:174], v[135:136], v[192:193], -v[172:173]
	v_mul_f64 v[161:162], v[5:6], v[190:191]
	v_add_f64 v[139:140], v[139:140], v[157:158]
	v_fma_f64 v[157:158], v[137:138], v[192:193], v[219:220]
	v_add_f64 v[141:142], v[141:142], v[155:156]
	s_clause 0x4
	buffer_load_dword v156, off, s[0:3], 0 offset:924
	buffer_load_dword v190, off, s[0:3], 0 offset:936
	;; [unrolled: 1-line block ×5, first 2 shown]
	s_waitcnt vmcnt(57) lgkmcnt(0)
	v_mul_f64 v[193:194], v[1:2], v[196:197]
	v_mul_f64 v[196:197], v[3:4], v[196:197]
	s_waitcnt vmcnt(56)
	v_fma_f64 v[165:166], v[5:6], v[167:168], -v[165:166]
	ds_read_b128 v[135:138], v177 offset:1696
	v_fma_f64 v[161:162], v[7:8], v[167:168], v[161:162]
	v_add_f64 v[139:140], v[139:140], v[173:174]
	v_add_f64 v[141:142], v[141:142], v[157:158]
	s_clause 0x2
	buffer_load_dword v191, off, s[0:3], 0 offset:940
	buffer_load_dword v158, off, s[0:3], 0 offset:916
	;; [unrolled: 1-line block ×3, first 2 shown]
	ds_read_b128 v[5:8], v177 offset:1712
	s_waitcnt vmcnt(58) lgkmcnt(1)
	v_mul_f64 v[173:174], v[137:138], v[198:199]
	s_waitcnt vmcnt(56)
	v_fma_f64 v[196:197], v[1:2], v[200:201], -v[196:197]
	v_mul_f64 v[167:168], v[135:136], v[198:199]
	v_add_f64 v[139:140], v[139:140], v[165:166]
	v_fma_f64 v[165:166], v[3:4], v[200:201], v[193:194]
	v_add_f64 v[141:142], v[141:142], v[161:162]
	s_clause 0x4
	buffer_load_dword v162, off, s[0:3], 0 offset:956
	buffer_load_dword v198, off, s[0:3], 0 offset:968
	;; [unrolled: 1-line block ×5, first 2 shown]
	s_waitcnt vmcnt(57) lgkmcnt(0)
	v_mul_f64 v[219:220], v[5:6], v[204:205]
	v_mul_f64 v[204:205], v[7:8], v[204:205]
	s_waitcnt vmcnt(56)
	v_fma_f64 v[173:174], v[135:136], v[175:176], -v[173:174]
	ds_read_b128 v[1:4], v177 offset:1728
	v_fma_f64 v[167:168], v[137:138], v[175:176], v[167:168]
	v_add_f64 v[139:140], v[139:140], v[196:197]
	v_add_f64 v[141:142], v[141:142], v[165:166]
	s_clause 0x2
	buffer_load_dword v199, off, s[0:3], 0 offset:972
	buffer_load_dword v166, off, s[0:3], 0 offset:948
	;; [unrolled: 1-line block ×3, first 2 shown]
	ds_read_b128 v[135:138], v177 offset:1744
	s_waitcnt vmcnt(58) lgkmcnt(1)
	v_mul_f64 v[196:197], v[3:4], v[206:207]
	s_waitcnt vmcnt(56)
	v_fma_f64 v[204:205], v[5:6], v[211:212], -v[204:205]
	v_mul_f64 v[175:176], v[1:2], v[206:207]
	v_add_f64 v[139:140], v[139:140], v[173:174]
	v_fma_f64 v[173:174], v[7:8], v[211:212], v[219:220]
	v_add_f64 v[141:142], v[141:142], v[167:168]
	s_clause 0x4
	buffer_load_dword v168, off, s[0:3], 0 offset:988
	buffer_load_dword v206, off, s[0:3], 0 offset:1000
	;; [unrolled: 1-line block ×5, first 2 shown]
	ds_read_b128 v[5:8], v177 offset:1760
	s_waitcnt vmcnt(57) lgkmcnt(1)
	v_mul_f64 v[211:212], v[135:136], v[202:203]
	v_mul_f64 v[202:203], v[137:138], v[202:203]
	s_waitcnt vmcnt(56)
	v_fma_f64 v[196:197], v[1:2], v[208:209], -v[196:197]
	v_fma_f64 v[175:176], v[3:4], v[208:209], v[175:176]
	v_add_f64 v[139:140], v[139:140], v[204:205]
	v_add_f64 v[141:142], v[141:142], v[173:174]
	s_clause 0x2
	buffer_load_dword v207, off, s[0:3], 0 offset:1004
	buffer_load_dword v174, off, s[0:3], 0 offset:980
	;; [unrolled: 1-line block ×3, first 2 shown]
	ds_read_b128 v[1:4], v177 offset:1776
	s_waitcnt vmcnt(58) lgkmcnt(1)
	v_mul_f64 v[208:209], v[7:8], v[215:216]
	v_mul_f64 v[204:205], v[5:6], v[215:216]
	s_waitcnt vmcnt(56)
	v_fma_f64 v[202:203], v[135:136], v[184:185], -v[202:203]
	v_fma_f64 v[184:185], v[137:138], v[184:185], v[211:212]
	v_add_f64 v[139:140], v[139:140], v[196:197]
	v_add_f64 v[141:142], v[141:142], v[175:176]
	s_clause 0x2
	buffer_load_dword v176, off, s[0:3], 0 offset:1020
	buffer_load_dword v175, off, s[0:3], 0 offset:1016
	;; [unrolled: 1-line block ×3, first 2 shown]
	ds_read_b128 v[135:138], v177 offset:1792
	s_waitcnt vmcnt(55) lgkmcnt(1)
	v_mul_f64 v[196:197], v[1:2], v[151:152]
	v_mul_f64 v[151:152], v[3:4], v[151:152]
	s_waitcnt vmcnt(54)
	v_fma_f64 v[208:209], v[5:6], v[217:218], -v[208:209]
	v_add_f64 v[139:140], v[139:140], v[202:203]
	v_fma_f64 v[202:203], v[7:8], v[217:218], v[204:205]
	v_add_f64 v[141:142], v[141:142], v[184:185]
	s_clause 0x1
	buffer_load_dword v185, off, s[0:3], 0 offset:1012
	buffer_load_dword v184, off, s[0:3], 0 offset:1008
	ds_read_b128 v[5:8], v177 offset:1808
	s_waitcnt vmcnt(55) lgkmcnt(1)
	v_mul_f64 v[204:205], v[135:136], v[186:187]
	v_mul_f64 v[186:187], v[137:138], v[186:187]
	s_waitcnt vmcnt(53)
	v_fma_f64 v[151:152], v[1:2], v[145:146], -v[151:152]
	v_fma_f64 v[145:146], v[3:4], v[145:146], v[196:197]
	ds_read_b128 v[1:4], v177 offset:1824
	v_add_f64 v[139:140], v[139:140], v[208:209]
	v_add_f64 v[141:142], v[141:142], v[202:203]
	s_waitcnt vmcnt(49) lgkmcnt(1)
	v_mul_f64 v[196:197], v[5:6], v[178:179]
	v_mul_f64 v[178:179], v[7:8], v[178:179]
	s_waitcnt vmcnt(48)
	v_fma_f64 v[186:187], v[135:136], v[213:214], -v[186:187]
	v_add_f64 v[139:140], v[139:140], v[151:152]
	v_fma_f64 v[151:152], v[137:138], v[213:214], v[204:205]
	v_add_f64 v[141:142], v[141:142], v[145:146]
	s_clause 0x3
	buffer_load_dword v145, off, s[0:3], 0 offset:464
	buffer_load_dword v146, off, s[0:3], 0 offset:468
	;; [unrolled: 1-line block ×4, first 2 shown]
	ds_read_b128 v[135:138], v177 offset:1840
	s_waitcnt vmcnt(51) lgkmcnt(1)
	v_mul_f64 v[204:205], v[1:2], v[180:181]
	v_mul_f64 v[180:181], v[3:4], v[180:181]
	s_waitcnt vmcnt(49)
	v_fma_f64 v[178:179], v[5:6], v[147:148], -v[178:179]
	v_fma_f64 v[147:148], v[7:8], v[147:148], v[196:197]
	ds_read_b128 v[5:8], v177 offset:1856
	v_add_f64 v[139:140], v[139:140], v[186:187]
	v_add_f64 v[141:142], v[141:142], v[151:152]
	s_waitcnt vmcnt(45) lgkmcnt(1)
	v_mul_f64 v[151:152], v[135:136], v[143:144]
	v_mul_f64 v[143:144], v[137:138], v[143:144]
	s_waitcnt vmcnt(44)
	v_fma_f64 v[180:181], v[1:2], v[188:189], -v[180:181]
	v_add_f64 v[139:140], v[139:140], v[178:179]
	v_fma_f64 v[178:179], v[3:4], v[188:189], v[204:205]
	v_add_f64 v[141:142], v[141:142], v[147:148]
	ds_read_b128 v[1:4], v177 offset:1872
	s_waitcnt vmcnt(43) lgkmcnt(1)
	v_mul_f64 v[147:148], v[5:6], v[163:164]
	v_mul_f64 v[163:164], v[7:8], v[163:164]
	s_waitcnt vmcnt(41)
	v_fma_f64 v[143:144], v[135:136], v[153:154], -v[143:144]
	v_fma_f64 v[151:152], v[137:138], v[153:154], v[151:152]
	ds_read_b128 v[135:138], v177 offset:1888
	v_add_f64 v[139:140], v[139:140], v[180:181]
	v_add_f64 v[141:142], v[141:142], v[178:179]
	s_waitcnt vmcnt(37) lgkmcnt(1)
	v_mul_f64 v[153:154], v[1:2], v[149:150]
	v_mul_f64 v[149:150], v[3:4], v[149:150]
	s_waitcnt vmcnt(36)
	v_fma_f64 v[163:164], v[5:6], v[182:183], -v[163:164]
	v_add_f64 v[139:140], v[139:140], v[143:144]
	v_fma_f64 v[143:144], v[7:8], v[182:183], v[147:148]
	v_add_f64 v[141:142], v[141:142], v[151:152]
	s_waitcnt vmcnt(35) lgkmcnt(0)
	v_mul_f64 v[151:152], v[137:138], v[169:170]
	ds_read_b128 v[5:8], v177 offset:1904
	v_mul_f64 v[147:148], v[135:136], v[169:170]
	s_waitcnt vmcnt(33)
	v_fma_f64 v[153:154], v[3:4], v[159:160], v[153:154]
	v_fma_f64 v[149:150], v[1:2], v[159:160], -v[149:150]
	ds_read_b128 v[1:4], v177 offset:1920
	v_add_f64 v[139:140], v[139:140], v[163:164]
	v_add_f64 v[141:142], v[141:142], v[143:144]
	s_waitcnt vmcnt(29) lgkmcnt(1)
	v_mul_f64 v[143:144], v[5:6], v[155:156]
	v_mul_f64 v[155:156], v[7:8], v[155:156]
	s_waitcnt vmcnt(28)
	v_fma_f64 v[151:152], v[135:136], v[171:172], -v[151:152]
	v_fma_f64 v[147:148], v[137:138], v[171:172], v[147:148]
	ds_read_b128 v[135:138], v177 offset:1936
	v_add_f64 v[139:140], v[139:140], v[149:150]
	v_add_f64 v[141:142], v[141:142], v[153:154]
	s_waitcnt vmcnt(27) lgkmcnt(1)
	v_mul_f64 v[153:154], v[3:4], v[190:191]
	v_mul_f64 v[149:150], v[1:2], v[190:191]
	s_waitcnt vmcnt(25)
	v_fma_f64 v[155:156], v[5:6], v[157:158], -v[155:156]
	v_fma_f64 v[143:144], v[7:8], v[157:158], v[143:144]
	ds_read_b128 v[5:8], v177 offset:1952
	v_add_f64 v[139:140], v[139:140], v[151:152]
	v_add_f64 v[141:142], v[141:142], v[147:148]
	s_waitcnt vmcnt(21) lgkmcnt(1)
	v_mul_f64 v[151:152], v[137:138], v[161:162]
	s_waitcnt vmcnt(20)
	v_fma_f64 v[153:154], v[1:2], v[192:193], -v[153:154]
	v_mul_f64 v[147:148], v[135:136], v[161:162]
	v_fma_f64 v[149:150], v[3:4], v[192:193], v[149:150]
	ds_read_b128 v[1:4], v177 offset:1968
	v_add_f64 v[139:140], v[139:140], v[155:156]
	v_add_f64 v[141:142], v[141:142], v[143:144]
	s_waitcnt vmcnt(19) lgkmcnt(1)
	v_mul_f64 v[155:156], v[7:8], v[198:199]
	v_mul_f64 v[143:144], v[5:6], v[198:199]
	s_waitcnt vmcnt(17)
	v_fma_f64 v[151:152], v[135:136], v[165:166], -v[151:152]
	v_fma_f64 v[147:148], v[137:138], v[165:166], v[147:148]
	ds_read_b128 v[135:138], v177 offset:1984
	v_add_f64 v[139:140], v[139:140], v[153:154]
	v_add_f64 v[141:142], v[141:142], v[149:150]
	s_waitcnt vmcnt(13) lgkmcnt(1)
	v_mul_f64 v[153:154], v[3:4], v[167:168]
	s_waitcnt vmcnt(12)
	v_fma_f64 v[155:156], v[5:6], v[200:201], -v[155:156]
	v_mul_f64 v[149:150], v[1:2], v[167:168]
	v_fma_f64 v[143:144], v[7:8], v[200:201], v[143:144]
	ds_read_b128 v[5:8], v177 offset:2000
	v_add_f64 v[139:140], v[139:140], v[151:152]
	v_add_f64 v[141:142], v[141:142], v[147:148]
	s_waitcnt vmcnt(11) lgkmcnt(1)
	v_mul_f64 v[151:152], v[137:138], v[206:207]
	v_mul_f64 v[147:148], v[135:136], v[206:207]
	s_waitcnt vmcnt(9)
	v_fma_f64 v[1:2], v[1:2], v[173:174], -v[153:154]
	v_fma_f64 v[3:4], v[3:4], v[173:174], v[149:150]
	v_add_f64 v[139:140], v[139:140], v[155:156]
	v_add_f64 v[141:142], v[141:142], v[143:144]
	s_waitcnt vmcnt(7) lgkmcnt(0)
	v_mul_f64 v[149:150], v[7:8], v[175:176]
	s_waitcnt vmcnt(6)
	v_fma_f64 v[135:136], v[135:136], v[210:211], -v[151:152]
	v_mul_f64 v[143:144], v[5:6], v[175:176]
	v_fma_f64 v[137:138], v[137:138], v[210:211], v[147:148]
	v_add_f64 v[1:2], v[139:140], v[1:2]
	v_add_f64 v[3:4], v[141:142], v[3:4]
	s_waitcnt vmcnt(4)
	v_fma_f64 v[5:6], v[5:6], v[184:185], -v[149:150]
	v_fma_f64 v[7:8], v[7:8], v[184:185], v[143:144]
	v_add_f64 v[1:2], v[1:2], v[135:136]
	v_add_f64 v[3:4], v[3:4], v[137:138]
	;; [unrolled: 1-line block ×4, first 2 shown]
	s_waitcnt vmcnt(2)
	v_add_f64 v[1:2], v[145:146], -v[1:2]
	s_waitcnt vmcnt(0)
	v_add_f64 v[3:4], v[202:203], -v[3:4]
	buffer_store_dword v2, off, s[0:3], 0 offset:468
	buffer_store_dword v1, off, s[0:3], 0 offset:464
	;; [unrolled: 1-line block ×4, first 2 shown]
	v_cmpx_lt_u32_e32 27, v0
	s_cbranch_execz .LBB126_349
; %bb.348:
	v_mov_b32_e32 v4, s50
	v_mov_b32_e32 v5, 0
	s_clause 0x3
	buffer_load_dword v1, v4, s[0:3], 0 offen
	buffer_load_dword v2, v4, s[0:3], 0 offen offset:4
	buffer_load_dword v3, v4, s[0:3], 0 offen offset:8
	;; [unrolled: 1-line block ×3, first 2 shown]
	buffer_store_dword v5, off, s[0:3], 0 offset:448
	buffer_store_dword v5, off, s[0:3], 0 offset:452
	;; [unrolled: 1-line block ×4, first 2 shown]
	s_waitcnt vmcnt(0)
	ds_write_b128 v195, v[1:4]
.LBB126_349:
	s_or_b32 exec_lo, exec_lo, s4
	s_waitcnt lgkmcnt(0)
	s_waitcnt_vscnt null, 0x0
	s_barrier
	buffer_gl0_inv
	s_clause 0x37
	buffer_load_dword v135, off, s[0:3], 0 offset:472
	buffer_load_dword v136, off, s[0:3], 0 offset:476
	;; [unrolled: 1-line block ×56, first 2 shown]
	v_mov_b32_e32 v187, 0
	s_mov_b32 s4, exec_lo
	ds_read_b128 v[188:191], v187 offset:1456
	s_clause 0x2
	buffer_load_dword v184, off, s[0:3], 0 offset:700
	buffer_load_dword v186, off, s[0:3], 0 offset:676
	;; [unrolled: 1-line block ×3, first 2 shown]
	ds_read_b128 v[196:199], v187 offset:1472
	s_clause 0x4
	buffer_load_dword v205, off, s[0:3], 0 offset:716
	buffer_load_dword v206, off, s[0:3], 0 offset:728
	buffer_load_dword v208, off, s[0:3], 0 offset:720
	buffer_load_dword v204, off, s[0:3], 0 offset:712
	buffer_load_dword v176, off, s[0:3], 0 offset:692
	ds_read_b128 v[200:203], v187 offset:1488
	s_clause 0x2
	buffer_load_dword v207, off, s[0:3], 0 offset:732
	buffer_load_dword v212, off, s[0:3], 0 offset:708
	;; [unrolled: 1-line block ×3, first 2 shown]
	s_waitcnt vmcnt(62) lgkmcnt(2)
	v_mul_f64 v[192:193], v[190:191], v[135:136]
	v_mul_f64 v[135:136], v[188:189], v[135:136]
	s_waitcnt lgkmcnt(1)
	v_mul_f64 v[209:210], v[198:199], v[5:6]
	s_waitcnt vmcnt(59) lgkmcnt(0)
	v_mul_f64 v[213:214], v[202:203], v[3:4]
	v_fma_f64 v[188:189], v[188:189], v[7:8], -v[192:193]
	v_mul_f64 v[192:193], v[196:197], v[5:6]
	v_fma_f64 v[135:136], v[190:191], v[7:8], v[135:136]
	s_waitcnt vmcnt(57)
	v_fma_f64 v[196:197], v[196:197], v[1:2], -v[209:210]
	ds_read_b128 v[5:8], v187 offset:1504
	v_mul_f64 v[190:191], v[200:201], v[3:4]
	s_waitcnt vmcnt(51)
	v_fma_f64 v[200:201], v[200:201], v[151:152], -v[213:214]
	v_add_f64 v[188:189], v[188:189], 0
	v_fma_f64 v[192:193], v[198:199], v[1:2], v[192:193]
	v_add_f64 v[135:136], v[135:136], 0
	s_clause 0x4
	buffer_load_dword v199, off, s[0:3], 0 offset:748
	buffer_load_dword v215, off, s[0:3], 0 offset:760
	;; [unrolled: 1-line block ×5, first 2 shown]
	s_waitcnt lgkmcnt(0)
	v_mul_f64 v[218:219], v[5:6], v[139:140]
	v_mul_f64 v[139:140], v[7:8], v[139:140]
	ds_read_b128 v[1:4], v187 offset:1520
	v_fma_f64 v[151:152], v[202:203], v[151:152], v[190:191]
	v_add_f64 v[196:197], v[188:189], v[196:197]
	v_add_f64 v[135:136], v[135:136], v[192:193]
	s_clause 0x2
	buffer_load_dword v216, off, s[0:3], 0 offset:764
	buffer_load_dword v193, off, s[0:3], 0 offset:740
	;; [unrolled: 1-line block ×3, first 2 shown]
	s_waitcnt vmcnt(58) lgkmcnt(0)
	v_mul_f64 v[202:203], v[1:2], v[143:144]
	v_mul_f64 v[143:144], v[3:4], v[143:144]
	s_waitcnt vmcnt(56)
	v_fma_f64 v[139:140], v[5:6], v[145:146], -v[139:140]
	ds_read_b128 v[188:191], v187 offset:1536
	v_fma_f64 v[145:146], v[7:8], v[145:146], v[218:219]
	v_add_f64 v[196:197], v[196:197], v[200:201]
	v_add_f64 v[135:136], v[135:136], v[151:152]
	s_clause 0x4
	buffer_load_dword v152, off, s[0:3], 0 offset:780
	buffer_load_dword v200, off, s[0:3], 0 offset:792
	;; [unrolled: 1-line block ×5, first 2 shown]
	ds_read_b128 v[5:8], v187 offset:1552
	s_waitcnt vmcnt(57) lgkmcnt(1)
	v_mul_f64 v[219:220], v[188:189], v[147:148]
	v_mul_f64 v[147:148], v[190:191], v[147:148]
	s_waitcnt vmcnt(56)
	v_fma_f64 v[143:144], v[1:2], v[137:138], -v[143:144]
	v_fma_f64 v[137:138], v[3:4], v[137:138], v[202:203]
	v_add_f64 v[139:140], v[196:197], v[139:140]
	v_add_f64 v[135:136], v[135:136], v[145:146]
	s_clause 0x2
	buffer_load_dword v201, off, s[0:3], 0 offset:796
	buffer_load_dword v146, off, s[0:3], 0 offset:772
	;; [unrolled: 1-line block ×3, first 2 shown]
	s_waitcnt vmcnt(58) lgkmcnt(0)
	v_mul_f64 v[196:197], v[5:6], v[153:154]
	v_mul_f64 v[153:154], v[7:8], v[153:154]
	s_waitcnt vmcnt(56)
	v_fma_f64 v[147:148], v[188:189], v[155:156], -v[147:148]
	ds_read_b128 v[1:4], v187 offset:1568
	v_add_f64 v[139:140], v[139:140], v[143:144]
	v_fma_f64 v[143:144], v[190:191], v[155:156], v[219:220]
	v_add_f64 v[155:156], v[135:136], v[137:138]
	s_clause 0x4
	buffer_load_dword v189, off, s[0:3], 0 offset:812
	buffer_load_dword v190, off, s[0:3], 0 offset:824
	buffer_load_dword v202, off, s[0:3], 0 offset:816
	buffer_load_dword v188, off, s[0:3], 0 offset:808
	buffer_load_dword v214, off, s[0:3], 0 offset:788
	ds_read_b128 v[135:138], v187 offset:1584
	s_waitcnt vmcnt(57) lgkmcnt(1)
	v_mul_f64 v[219:220], v[1:2], v[157:158]
	v_mul_f64 v[157:158], v[3:4], v[157:158]
	s_waitcnt vmcnt(56)
	v_fma_f64 v[153:154], v[5:6], v[141:142], -v[153:154]
	v_fma_f64 v[141:142], v[7:8], v[141:142], v[196:197]
	v_add_f64 v[139:140], v[139:140], v[147:148]
	s_clause 0x2
	buffer_load_dword v191, off, s[0:3], 0 offset:828
	buffer_load_dword v148, off, s[0:3], 0 offset:804
	;; [unrolled: 1-line block ×3, first 2 shown]
	v_add_f64 v[143:144], v[155:156], v[143:144]
	s_waitcnt vmcnt(58) lgkmcnt(0)
	v_mul_f64 v[155:156], v[135:136], v[161:162]
	v_mul_f64 v[161:162], v[137:138], v[161:162]
	ds_read_b128 v[5:8], v187 offset:1600
	s_waitcnt vmcnt(56)
	v_fma_f64 v[157:158], v[1:2], v[163:164], -v[157:158]
	v_add_f64 v[139:140], v[139:140], v[153:154]
	v_fma_f64 v[153:154], v[3:4], v[163:164], v[219:220]
	v_add_f64 v[141:142], v[143:144], v[141:142]
	s_clause 0x4
	buffer_load_dword v144, off, s[0:3], 0 offset:844
	buffer_load_dword v163, off, s[0:3], 0 offset:856
	buffer_load_dword v196, off, s[0:3], 0 offset:848
	buffer_load_dword v143, off, s[0:3], 0 offset:840
	buffer_load_dword v203, off, s[0:3], 0 offset:820
	s_waitcnt vmcnt(57) lgkmcnt(0)
	v_mul_f64 v[219:220], v[5:6], v[165:166]
	v_mul_f64 v[165:166], v[7:8], v[165:166]
	s_waitcnt vmcnt(56)
	v_fma_f64 v[161:162], v[135:136], v[149:150], -v[161:162]
	ds_read_b128 v[1:4], v187 offset:1616
	v_fma_f64 v[149:150], v[137:138], v[149:150], v[155:156]
	v_add_f64 v[139:140], v[139:140], v[157:158]
	v_add_f64 v[141:142], v[141:142], v[153:154]
	s_clause 0x2
	buffer_load_dword v164, off, s[0:3], 0 offset:860
	buffer_load_dword v154, off, s[0:3], 0 offset:836
	buffer_load_dword v153, off, s[0:3], 0 offset:832
	ds_read_b128 v[135:138], v187 offset:1632
	s_waitcnt vmcnt(58) lgkmcnt(1)
	v_mul_f64 v[157:158], v[3:4], v[169:170]
	s_waitcnt vmcnt(56)
	v_fma_f64 v[165:166], v[5:6], v[171:172], -v[165:166]
	v_mul_f64 v[155:156], v[1:2], v[169:170]
	v_add_f64 v[139:140], v[139:140], v[161:162]
	v_fma_f64 v[161:162], v[7:8], v[171:172], v[219:220]
	v_add_f64 v[141:142], v[141:142], v[149:150]
	s_clause 0x4
	buffer_load_dword v150, off, s[0:3], 0 offset:876
	buffer_load_dword v169, off, s[0:3], 0 offset:888
	;; [unrolled: 1-line block ×5, first 2 shown]
	s_waitcnt vmcnt(57) lgkmcnt(0)
	v_mul_f64 v[219:220], v[135:136], v[173:174]
	v_mul_f64 v[172:173], v[137:138], v[173:174]
	s_waitcnt vmcnt(56)
	v_fma_f64 v[157:158], v[1:2], v[159:160], -v[157:158]
	ds_read_b128 v[5:8], v187 offset:1648
	v_fma_f64 v[155:156], v[3:4], v[159:160], v[155:156]
	s_clause 0x2
	buffer_load_dword v170, off, s[0:3], 0 offset:892
	buffer_load_dword v160, off, s[0:3], 0 offset:868
	;; [unrolled: 1-line block ×3, first 2 shown]
	ds_read_b128 v[1:4], v187 offset:1664
	v_add_f64 v[139:140], v[139:140], v[165:166]
	v_add_f64 v[141:142], v[141:142], v[161:162]
	s_waitcnt vmcnt(58) lgkmcnt(1)
	v_mul_f64 v[165:166], v[7:8], v[177:178]
	s_waitcnt vmcnt(56)
	v_fma_f64 v[173:174], v[135:136], v[179:180], -v[172:173]
	v_mul_f64 v[161:162], v[5:6], v[177:178]
	v_add_f64 v[139:140], v[139:140], v[157:158]
	v_fma_f64 v[157:158], v[137:138], v[179:180], v[219:220]
	v_add_f64 v[141:142], v[141:142], v[155:156]
	s_clause 0x4
	buffer_load_dword v156, off, s[0:3], 0 offset:908
	buffer_load_dword v177, off, s[0:3], 0 offset:920
	;; [unrolled: 1-line block ×5, first 2 shown]
	s_waitcnt vmcnt(57) lgkmcnt(0)
	v_mul_f64 v[219:220], v[1:2], v[181:182]
	v_mul_f64 v[180:181], v[3:4], v[181:182]
	s_waitcnt vmcnt(56)
	v_fma_f64 v[165:166], v[5:6], v[167:168], -v[165:166]
	ds_read_b128 v[135:138], v187 offset:1680
	v_fma_f64 v[161:162], v[7:8], v[167:168], v[161:162]
	v_add_f64 v[139:140], v[139:140], v[173:174]
	v_add_f64 v[141:142], v[141:142], v[157:158]
	s_clause 0x2
	buffer_load_dword v178, off, s[0:3], 0 offset:924
	buffer_load_dword v158, off, s[0:3], 0 offset:900
	;; [unrolled: 1-line block ×3, first 2 shown]
	ds_read_b128 v[5:8], v187 offset:1696
	s_waitcnt vmcnt(58) lgkmcnt(1)
	v_mul_f64 v[173:174], v[137:138], v[183:184]
	s_waitcnt vmcnt(56)
	v_fma_f64 v[181:182], v[1:2], v[185:186], -v[180:181]
	v_mul_f64 v[167:168], v[135:136], v[183:184]
	v_add_f64 v[139:140], v[139:140], v[165:166]
	v_fma_f64 v[165:166], v[3:4], v[185:186], v[219:220]
	v_add_f64 v[141:142], v[141:142], v[161:162]
	s_clause 0x4
	buffer_load_dword v162, off, s[0:3], 0 offset:940
	buffer_load_dword v183, off, s[0:3], 0 offset:952
	;; [unrolled: 1-line block ×5, first 2 shown]
	s_waitcnt vmcnt(57) lgkmcnt(0)
	v_mul_f64 v[219:220], v[5:6], v[204:205]
	v_mul_f64 v[204:205], v[7:8], v[204:205]
	s_waitcnt vmcnt(56)
	v_fma_f64 v[173:174], v[135:136], v[175:176], -v[173:174]
	ds_read_b128 v[1:4], v187 offset:1712
	v_fma_f64 v[167:168], v[137:138], v[175:176], v[167:168]
	v_add_f64 v[139:140], v[139:140], v[181:182]
	v_add_f64 v[141:142], v[141:142], v[165:166]
	s_clause 0x2
	buffer_load_dword v184, off, s[0:3], 0 offset:956
	buffer_load_dword v166, off, s[0:3], 0 offset:932
	;; [unrolled: 1-line block ×3, first 2 shown]
	ds_read_b128 v[135:138], v187 offset:1728
	s_waitcnt vmcnt(58) lgkmcnt(1)
	v_mul_f64 v[181:182], v[3:4], v[206:207]
	s_waitcnt vmcnt(56)
	v_fma_f64 v[204:205], v[5:6], v[211:212], -v[204:205]
	v_mul_f64 v[175:176], v[1:2], v[206:207]
	v_add_f64 v[139:140], v[139:140], v[173:174]
	v_fma_f64 v[173:174], v[7:8], v[211:212], v[219:220]
	v_add_f64 v[141:142], v[141:142], v[167:168]
	s_clause 0x4
	buffer_load_dword v168, off, s[0:3], 0 offset:972
	buffer_load_dword v206, off, s[0:3], 0 offset:984
	;; [unrolled: 1-line block ×5, first 2 shown]
	ds_read_b128 v[5:8], v187 offset:1744
	s_waitcnt vmcnt(57) lgkmcnt(1)
	v_mul_f64 v[211:212], v[135:136], v[198:199]
	v_mul_f64 v[198:199], v[137:138], v[198:199]
	s_waitcnt vmcnt(56)
	v_fma_f64 v[181:182], v[1:2], v[208:209], -v[181:182]
	v_fma_f64 v[175:176], v[3:4], v[208:209], v[175:176]
	v_add_f64 v[139:140], v[139:140], v[204:205]
	v_add_f64 v[141:142], v[141:142], v[173:174]
	s_clause 0x2
	buffer_load_dword v207, off, s[0:3], 0 offset:988
	buffer_load_dword v174, off, s[0:3], 0 offset:964
	;; [unrolled: 1-line block ×3, first 2 shown]
	ds_read_b128 v[1:4], v187 offset:1760
	s_waitcnt vmcnt(58) lgkmcnt(1)
	v_mul_f64 v[208:209], v[7:8], v[215:216]
	v_mul_f64 v[204:205], v[5:6], v[215:216]
	s_waitcnt vmcnt(56)
	v_fma_f64 v[198:199], v[135:136], v[192:193], -v[198:199]
	v_add_f64 v[139:140], v[139:140], v[181:182]
	v_fma_f64 v[181:182], v[137:138], v[192:193], v[211:212]
	v_add_f64 v[141:142], v[141:142], v[175:176]
	s_clause 0x4
	buffer_load_dword v176, off, s[0:3], 0 offset:1004
	buffer_load_dword v192, off, s[0:3], 0 offset:1016
	;; [unrolled: 1-line block ×5, first 2 shown]
	ds_read_b128 v[135:138], v187 offset:1776
	s_waitcnt vmcnt(57) lgkmcnt(1)
	v_mul_f64 v[219:220], v[1:2], v[151:152]
	v_mul_f64 v[151:152], v[3:4], v[151:152]
	s_waitcnt vmcnt(56)
	v_fma_f64 v[208:209], v[5:6], v[217:218], -v[208:209]
	v_add_f64 v[139:140], v[139:140], v[198:199]
	v_fma_f64 v[198:199], v[7:8], v[217:218], v[204:205]
	v_add_f64 v[141:142], v[141:142], v[181:182]
	s_clause 0x2
	buffer_load_dword v193, off, s[0:3], 0 offset:1020
	buffer_load_dword v182, off, s[0:3], 0 offset:996
	;; [unrolled: 1-line block ×3, first 2 shown]
	ds_read_b128 v[5:8], v187 offset:1792
	buffer_load_dword v216, off, s[0:3], 0 offset:1012
	s_waitcnt vmcnt(59) lgkmcnt(1)
	v_mul_f64 v[204:205], v[135:136], v[200:201]
	v_mul_f64 v[200:201], v[137:138], v[200:201]
	s_waitcnt vmcnt(57)
	v_fma_f64 v[151:152], v[1:2], v[145:146], -v[151:152]
	v_fma_f64 v[145:146], v[3:4], v[145:146], v[219:220]
	ds_read_b128 v[1:4], v187 offset:1808
	v_add_f64 v[139:140], v[139:140], v[208:209]
	v_add_f64 v[141:142], v[141:142], v[198:199]
	s_waitcnt vmcnt(53) lgkmcnt(1)
	v_mul_f64 v[198:199], v[5:6], v[188:189]
	v_mul_f64 v[188:189], v[7:8], v[188:189]
	s_waitcnt vmcnt(52)
	v_fma_f64 v[200:201], v[135:136], v[213:214], -v[200:201]
	v_add_f64 v[139:140], v[139:140], v[151:152]
	v_fma_f64 v[151:152], v[137:138], v[213:214], v[204:205]
	v_add_f64 v[141:142], v[141:142], v[145:146]
	ds_read_b128 v[135:138], v187 offset:1824
	s_waitcnt vmcnt(51) lgkmcnt(1)
	v_mul_f64 v[145:146], v[1:2], v[190:191]
	v_mul_f64 v[190:191], v[3:4], v[190:191]
	s_waitcnt vmcnt(49)
	v_fma_f64 v[188:189], v[5:6], v[147:148], -v[188:189]
	v_fma_f64 v[147:148], v[7:8], v[147:148], v[198:199]
	v_add_f64 v[139:140], v[139:140], v[200:201]
	v_add_f64 v[141:142], v[141:142], v[151:152]
	s_clause 0x3
	buffer_load_dword v151, off, s[0:3], 0 offset:448
	buffer_load_dword v152, off, s[0:3], 0 offset:452
	;; [unrolled: 1-line block ×4, first 2 shown]
	ds_read_b128 v[5:8], v187 offset:1840
	s_waitcnt vmcnt(49) lgkmcnt(1)
	v_mul_f64 v[200:201], v[135:136], v[143:144]
	v_mul_f64 v[143:144], v[137:138], v[143:144]
	s_waitcnt vmcnt(48)
	v_fma_f64 v[190:191], v[1:2], v[202:203], -v[190:191]
	v_fma_f64 v[145:146], v[3:4], v[202:203], v[145:146]
	ds_read_b128 v[1:4], v187 offset:1856
	v_add_f64 v[139:140], v[139:140], v[188:189]
	v_add_f64 v[141:142], v[141:142], v[147:148]
	s_waitcnt vmcnt(47) lgkmcnt(1)
	v_mul_f64 v[147:148], v[5:6], v[163:164]
	v_mul_f64 v[163:164], v[7:8], v[163:164]
	s_waitcnt vmcnt(45)
	v_fma_f64 v[143:144], v[135:136], v[153:154], -v[143:144]
	v_fma_f64 v[153:154], v[137:138], v[153:154], v[200:201]
	ds_read_b128 v[135:138], v187 offset:1872
	v_add_f64 v[139:140], v[139:140], v[190:191]
	v_add_f64 v[141:142], v[141:142], v[145:146]
	s_waitcnt vmcnt(41) lgkmcnt(1)
	v_mul_f64 v[145:146], v[1:2], v[149:150]
	v_mul_f64 v[149:150], v[3:4], v[149:150]
	s_waitcnt vmcnt(40)
	v_fma_f64 v[163:164], v[5:6], v[196:197], -v[163:164]
	v_add_f64 v[139:140], v[139:140], v[143:144]
	v_fma_f64 v[143:144], v[7:8], v[196:197], v[147:148]
	v_add_f64 v[141:142], v[141:142], v[153:154]
	ds_read_b128 v[5:8], v187 offset:1888
	s_waitcnt vmcnt(39) lgkmcnt(1)
	v_mul_f64 v[153:154], v[137:138], v[169:170]
	v_mul_f64 v[147:148], v[135:136], v[169:170]
	s_waitcnt vmcnt(37)
	v_fma_f64 v[145:146], v[3:4], v[159:160], v[145:146]
	v_fma_f64 v[149:150], v[1:2], v[159:160], -v[149:150]
	ds_read_b128 v[1:4], v187 offset:1904
	v_add_f64 v[139:140], v[139:140], v[163:164]
	v_add_f64 v[141:142], v[141:142], v[143:144]
	s_waitcnt vmcnt(33) lgkmcnt(1)
	v_mul_f64 v[143:144], v[5:6], v[155:156]
	v_mul_f64 v[155:156], v[7:8], v[155:156]
	s_waitcnt vmcnt(32)
	v_fma_f64 v[153:154], v[135:136], v[171:172], -v[153:154]
	v_fma_f64 v[147:148], v[137:138], v[171:172], v[147:148]
	ds_read_b128 v[135:138], v187 offset:1920
	v_add_f64 v[139:140], v[139:140], v[149:150]
	v_add_f64 v[141:142], v[141:142], v[145:146]
	s_waitcnt vmcnt(31) lgkmcnt(1)
	v_mul_f64 v[149:150], v[3:4], v[177:178]
	v_mul_f64 v[145:146], v[1:2], v[177:178]
	s_waitcnt vmcnt(29)
	v_fma_f64 v[155:156], v[5:6], v[157:158], -v[155:156]
	v_fma_f64 v[143:144], v[7:8], v[157:158], v[143:144]
	ds_read_b128 v[5:8], v187 offset:1936
	v_add_f64 v[139:140], v[139:140], v[153:154]
	v_add_f64 v[141:142], v[141:142], v[147:148]
	s_waitcnt vmcnt(25) lgkmcnt(1)
	v_mul_f64 v[153:154], v[137:138], v[161:162]
	s_waitcnt vmcnt(24)
	v_fma_f64 v[149:150], v[1:2], v[179:180], -v[149:150]
	v_mul_f64 v[147:148], v[135:136], v[161:162]
	v_fma_f64 v[145:146], v[3:4], v[179:180], v[145:146]
	ds_read_b128 v[1:4], v187 offset:1952
	v_add_f64 v[139:140], v[139:140], v[155:156]
	v_add_f64 v[141:142], v[141:142], v[143:144]
	s_waitcnt vmcnt(23) lgkmcnt(1)
	v_mul_f64 v[155:156], v[7:8], v[183:184]
	v_mul_f64 v[143:144], v[5:6], v[183:184]
	s_waitcnt vmcnt(21)
	v_fma_f64 v[153:154], v[135:136], v[165:166], -v[153:154]
	v_fma_f64 v[147:148], v[137:138], v[165:166], v[147:148]
	ds_read_b128 v[135:138], v187 offset:1968
	v_add_f64 v[139:140], v[139:140], v[149:150]
	v_add_f64 v[141:142], v[141:142], v[145:146]
	s_waitcnt vmcnt(17) lgkmcnt(1)
	v_mul_f64 v[149:150], v[3:4], v[167:168]
	s_waitcnt vmcnt(16)
	v_fma_f64 v[155:156], v[5:6], v[185:186], -v[155:156]
	v_mul_f64 v[145:146], v[1:2], v[167:168]
	;; [unrolled: 18-line block ×3, first 2 shown]
	v_fma_f64 v[137:138], v[137:138], v[210:211], v[147:148]
	v_add_f64 v[139:140], v[139:140], v[149:150]
	v_add_f64 v[141:142], v[141:142], v[145:146]
	s_waitcnt vmcnt(7) lgkmcnt(0)
	v_mul_f64 v[147:148], v[3:4], v[192:193]
	v_mul_f64 v[145:146], v[1:2], v[192:193]
	s_waitcnt vmcnt(5)
	v_fma_f64 v[5:6], v[5:6], v[181:182], -v[155:156]
	v_fma_f64 v[7:8], v[7:8], v[181:182], v[143:144]
	v_add_f64 v[135:136], v[139:140], v[135:136]
	v_add_f64 v[137:138], v[141:142], v[137:138]
	s_waitcnt vmcnt(4)
	v_fma_f64 v[1:2], v[1:2], v[215:216], -v[147:148]
	v_fma_f64 v[3:4], v[3:4], v[215:216], v[145:146]
	v_add_f64 v[5:6], v[135:136], v[5:6]
	v_add_f64 v[7:8], v[137:138], v[7:8]
	;; [unrolled: 1-line block ×4, first 2 shown]
	s_waitcnt vmcnt(2)
	v_add_f64 v[1:2], v[151:152], -v[1:2]
	s_waitcnt vmcnt(0)
	v_add_f64 v[3:4], v[198:199], -v[3:4]
	buffer_store_dword v2, off, s[0:3], 0 offset:452
	buffer_store_dword v1, off, s[0:3], 0 offset:448
	;; [unrolled: 1-line block ×4, first 2 shown]
	v_cmpx_lt_u32_e32 26, v0
	s_cbranch_execz .LBB126_351
; %bb.350:
	v_mov_b32_e32 v4, s51
	s_clause 0x3
	buffer_load_dword v1, v4, s[0:3], 0 offen
	buffer_load_dword v2, v4, s[0:3], 0 offen offset:4
	buffer_load_dword v3, v4, s[0:3], 0 offen offset:8
	;; [unrolled: 1-line block ×3, first 2 shown]
	buffer_store_dword v187, off, s[0:3], 0 offset:432
	buffer_store_dword v187, off, s[0:3], 0 offset:436
	buffer_store_dword v187, off, s[0:3], 0 offset:440
	buffer_store_dword v187, off, s[0:3], 0 offset:444
	s_waitcnt vmcnt(0)
	ds_write_b128 v195, v[1:4]
.LBB126_351:
	s_or_b32 exec_lo, exec_lo, s4
	s_waitcnt lgkmcnt(0)
	s_waitcnt_vscnt null, 0x0
	s_barrier
	buffer_gl0_inv
	s_clause 0x37
	buffer_load_dword v135, off, s[0:3], 0 offset:456
	buffer_load_dword v136, off, s[0:3], 0 offset:460
	buffer_load_dword v5, off, s[0:3], 0 offset:472
	buffer_load_dword v6, off, s[0:3], 0 offset:476
	buffer_load_dword v7, off, s[0:3], 0 offset:448
	buffer_load_dword v8, off, s[0:3], 0 offset:452
	buffer_load_dword v3, off, s[0:3], 0 offset:488
	buffer_load_dword v4, off, s[0:3], 0 offset:492
	buffer_load_dword v1, off, s[0:3], 0 offset:464
	buffer_load_dword v2, off, s[0:3], 0 offset:468
	buffer_load_dword v140, off, s[0:3], 0 offset:508
	buffer_load_dword v143, off, s[0:3], 0 offset:520
	buffer_load_dword v137, off, s[0:3], 0 offset:512
	buffer_load_dword v139, off, s[0:3], 0 offset:504
	buffer_load_dword v151, off, s[0:3], 0 offset:480
	buffer_load_dword v152, off, s[0:3], 0 offset:484
	buffer_load_dword v144, off, s[0:3], 0 offset:524
	buffer_load_dword v146, off, s[0:3], 0 offset:500
	buffer_load_dword v145, off, s[0:3], 0 offset:496
	buffer_load_dword v148, off, s[0:3], 0 offset:540
	buffer_load_dword v153, off, s[0:3], 0 offset:552
	buffer_load_dword v141, off, s[0:3], 0 offset:544
	buffer_load_dword v147, off, s[0:3], 0 offset:536
	buffer_load_dword v138, off, s[0:3], 0 offset:516
	buffer_load_dword v154, off, s[0:3], 0 offset:556
	buffer_load_dword v156, off, s[0:3], 0 offset:532
	buffer_load_dword v155, off, s[0:3], 0 offset:528
	buffer_load_dword v158, off, s[0:3], 0 offset:572
	buffer_load_dword v161, off, s[0:3], 0 offset:584
	buffer_load_dword v149, off, s[0:3], 0 offset:576
	buffer_load_dword v157, off, s[0:3], 0 offset:568
	buffer_load_dword v142, off, s[0:3], 0 offset:548
	buffer_load_dword v162, off, s[0:3], 0 offset:588
	buffer_load_dword v164, off, s[0:3], 0 offset:564
	buffer_load_dword v163, off, s[0:3], 0 offset:560
	buffer_load_dword v166, off, s[0:3], 0 offset:604
	buffer_load_dword v169, off, s[0:3], 0 offset:616
	buffer_load_dword v159, off, s[0:3], 0 offset:608
	buffer_load_dword v165, off, s[0:3], 0 offset:600
	buffer_load_dword v150, off, s[0:3], 0 offset:580
	buffer_load_dword v170, off, s[0:3], 0 offset:620
	buffer_load_dword v172, off, s[0:3], 0 offset:596
	buffer_load_dword v171, off, s[0:3], 0 offset:592
	buffer_load_dword v174, off, s[0:3], 0 offset:636
	buffer_load_dword v177, off, s[0:3], 0 offset:648
	buffer_load_dword v167, off, s[0:3], 0 offset:640
	buffer_load_dword v173, off, s[0:3], 0 offset:632
	buffer_load_dword v160, off, s[0:3], 0 offset:612
	buffer_load_dword v178, off, s[0:3], 0 offset:652
	buffer_load_dword v180, off, s[0:3], 0 offset:628
	buffer_load_dword v179, off, s[0:3], 0 offset:624
	buffer_load_dword v182, off, s[0:3], 0 offset:668
	buffer_load_dword v183, off, s[0:3], 0 offset:680
	buffer_load_dword v175, off, s[0:3], 0 offset:672
	buffer_load_dword v181, off, s[0:3], 0 offset:664
	buffer_load_dword v168, off, s[0:3], 0 offset:644
	ds_read_b128 v[188:191], v187 offset:1440
	s_clause 0x2
	buffer_load_dword v184, off, s[0:3], 0 offset:684
	buffer_load_dword v186, off, s[0:3], 0 offset:660
	;; [unrolled: 1-line block ×3, first 2 shown]
	ds_read_b128 v[196:199], v187 offset:1456
	s_clause 0x4
	buffer_load_dword v205, off, s[0:3], 0 offset:700
	buffer_load_dword v206, off, s[0:3], 0 offset:712
	;; [unrolled: 1-line block ×5, first 2 shown]
	ds_read_b128 v[200:203], v187 offset:1472
	s_clause 0x2
	buffer_load_dword v207, off, s[0:3], 0 offset:716
	buffer_load_dword v212, off, s[0:3], 0 offset:692
	;; [unrolled: 1-line block ×3, first 2 shown]
	s_mov_b32 s4, exec_lo
	s_waitcnt vmcnt(62) lgkmcnt(2)
	v_mul_f64 v[192:193], v[190:191], v[135:136]
	v_mul_f64 v[135:136], v[188:189], v[135:136]
	s_waitcnt lgkmcnt(1)
	v_mul_f64 v[209:210], v[198:199], v[5:6]
	s_waitcnt vmcnt(59) lgkmcnt(0)
	v_mul_f64 v[213:214], v[202:203], v[3:4]
	v_fma_f64 v[188:189], v[188:189], v[7:8], -v[192:193]
	v_mul_f64 v[192:193], v[196:197], v[5:6]
	v_fma_f64 v[135:136], v[190:191], v[7:8], v[135:136]
	s_waitcnt vmcnt(57)
	v_fma_f64 v[196:197], v[196:197], v[1:2], -v[209:210]
	ds_read_b128 v[5:8], v187 offset:1488
	v_mul_f64 v[190:191], v[200:201], v[3:4]
	s_waitcnt vmcnt(51)
	v_fma_f64 v[200:201], v[200:201], v[151:152], -v[213:214]
	v_add_f64 v[188:189], v[188:189], 0
	v_fma_f64 v[192:193], v[198:199], v[1:2], v[192:193]
	v_add_f64 v[135:136], v[135:136], 0
	s_clause 0x4
	buffer_load_dword v199, off, s[0:3], 0 offset:732
	buffer_load_dword v215, off, s[0:3], 0 offset:744
	;; [unrolled: 1-line block ×5, first 2 shown]
	s_waitcnt lgkmcnt(0)
	v_mul_f64 v[218:219], v[5:6], v[139:140]
	v_mul_f64 v[139:140], v[7:8], v[139:140]
	ds_read_b128 v[1:4], v187 offset:1504
	v_fma_f64 v[151:152], v[202:203], v[151:152], v[190:191]
	v_add_f64 v[196:197], v[188:189], v[196:197]
	v_add_f64 v[135:136], v[135:136], v[192:193]
	s_clause 0x2
	buffer_load_dword v216, off, s[0:3], 0 offset:748
	buffer_load_dword v193, off, s[0:3], 0 offset:724
	;; [unrolled: 1-line block ×3, first 2 shown]
	s_waitcnt vmcnt(58) lgkmcnt(0)
	v_mul_f64 v[202:203], v[1:2], v[143:144]
	v_mul_f64 v[143:144], v[3:4], v[143:144]
	s_waitcnt vmcnt(56)
	v_fma_f64 v[139:140], v[5:6], v[145:146], -v[139:140]
	ds_read_b128 v[188:191], v187 offset:1520
	v_fma_f64 v[145:146], v[7:8], v[145:146], v[218:219]
	v_add_f64 v[196:197], v[196:197], v[200:201]
	v_add_f64 v[135:136], v[135:136], v[151:152]
	s_clause 0x4
	buffer_load_dword v152, off, s[0:3], 0 offset:764
	buffer_load_dword v200, off, s[0:3], 0 offset:776
	;; [unrolled: 1-line block ×5, first 2 shown]
	ds_read_b128 v[5:8], v187 offset:1536
	s_waitcnt vmcnt(57) lgkmcnt(1)
	v_mul_f64 v[219:220], v[188:189], v[147:148]
	v_mul_f64 v[147:148], v[190:191], v[147:148]
	s_waitcnt vmcnt(56)
	v_fma_f64 v[143:144], v[1:2], v[137:138], -v[143:144]
	v_fma_f64 v[137:138], v[3:4], v[137:138], v[202:203]
	v_add_f64 v[139:140], v[196:197], v[139:140]
	v_add_f64 v[135:136], v[135:136], v[145:146]
	s_clause 0x2
	buffer_load_dword v201, off, s[0:3], 0 offset:780
	buffer_load_dword v146, off, s[0:3], 0 offset:756
	;; [unrolled: 1-line block ×3, first 2 shown]
	s_waitcnt vmcnt(58) lgkmcnt(0)
	v_mul_f64 v[196:197], v[5:6], v[153:154]
	v_mul_f64 v[153:154], v[7:8], v[153:154]
	s_waitcnt vmcnt(56)
	v_fma_f64 v[147:148], v[188:189], v[155:156], -v[147:148]
	ds_read_b128 v[1:4], v187 offset:1552
	v_add_f64 v[139:140], v[139:140], v[143:144]
	v_fma_f64 v[143:144], v[190:191], v[155:156], v[219:220]
	v_add_f64 v[155:156], v[135:136], v[137:138]
	s_clause 0x4
	buffer_load_dword v189, off, s[0:3], 0 offset:796
	buffer_load_dword v190, off, s[0:3], 0 offset:808
	;; [unrolled: 1-line block ×5, first 2 shown]
	ds_read_b128 v[135:138], v187 offset:1568
	s_waitcnt vmcnt(57) lgkmcnt(1)
	v_mul_f64 v[219:220], v[1:2], v[157:158]
	v_mul_f64 v[157:158], v[3:4], v[157:158]
	s_waitcnt vmcnt(56)
	v_fma_f64 v[153:154], v[5:6], v[141:142], -v[153:154]
	v_fma_f64 v[141:142], v[7:8], v[141:142], v[196:197]
	v_add_f64 v[139:140], v[139:140], v[147:148]
	s_clause 0x2
	buffer_load_dword v191, off, s[0:3], 0 offset:812
	buffer_load_dword v148, off, s[0:3], 0 offset:788
	;; [unrolled: 1-line block ×3, first 2 shown]
	v_add_f64 v[143:144], v[155:156], v[143:144]
	s_waitcnt vmcnt(58) lgkmcnt(0)
	v_mul_f64 v[155:156], v[135:136], v[161:162]
	v_mul_f64 v[161:162], v[137:138], v[161:162]
	ds_read_b128 v[5:8], v187 offset:1584
	s_waitcnt vmcnt(56)
	v_fma_f64 v[157:158], v[1:2], v[163:164], -v[157:158]
	v_add_f64 v[139:140], v[139:140], v[153:154]
	v_fma_f64 v[153:154], v[3:4], v[163:164], v[219:220]
	v_add_f64 v[141:142], v[143:144], v[141:142]
	s_clause 0x4
	buffer_load_dword v144, off, s[0:3], 0 offset:828
	buffer_load_dword v163, off, s[0:3], 0 offset:840
	;; [unrolled: 1-line block ×5, first 2 shown]
	s_waitcnt vmcnt(57) lgkmcnt(0)
	v_mul_f64 v[219:220], v[5:6], v[165:166]
	v_mul_f64 v[165:166], v[7:8], v[165:166]
	s_waitcnt vmcnt(56)
	v_fma_f64 v[161:162], v[135:136], v[149:150], -v[161:162]
	ds_read_b128 v[1:4], v187 offset:1600
	v_fma_f64 v[149:150], v[137:138], v[149:150], v[155:156]
	v_add_f64 v[139:140], v[139:140], v[157:158]
	v_add_f64 v[141:142], v[141:142], v[153:154]
	s_clause 0x2
	buffer_load_dword v164, off, s[0:3], 0 offset:844
	buffer_load_dword v154, off, s[0:3], 0 offset:820
	;; [unrolled: 1-line block ×3, first 2 shown]
	ds_read_b128 v[135:138], v187 offset:1616
	s_waitcnt vmcnt(58) lgkmcnt(1)
	v_mul_f64 v[157:158], v[3:4], v[169:170]
	s_waitcnt vmcnt(56)
	v_fma_f64 v[165:166], v[5:6], v[171:172], -v[165:166]
	v_mul_f64 v[155:156], v[1:2], v[169:170]
	v_add_f64 v[139:140], v[139:140], v[161:162]
	v_fma_f64 v[161:162], v[7:8], v[171:172], v[219:220]
	v_add_f64 v[141:142], v[141:142], v[149:150]
	s_clause 0x4
	buffer_load_dword v150, off, s[0:3], 0 offset:860
	buffer_load_dword v169, off, s[0:3], 0 offset:872
	;; [unrolled: 1-line block ×5, first 2 shown]
	s_waitcnt vmcnt(57) lgkmcnt(0)
	v_mul_f64 v[219:220], v[135:136], v[173:174]
	v_mul_f64 v[172:173], v[137:138], v[173:174]
	s_waitcnt vmcnt(56)
	v_fma_f64 v[157:158], v[1:2], v[159:160], -v[157:158]
	ds_read_b128 v[5:8], v187 offset:1632
	v_fma_f64 v[155:156], v[3:4], v[159:160], v[155:156]
	s_clause 0x2
	buffer_load_dword v170, off, s[0:3], 0 offset:876
	buffer_load_dword v160, off, s[0:3], 0 offset:852
	;; [unrolled: 1-line block ×3, first 2 shown]
	ds_read_b128 v[1:4], v187 offset:1648
	v_add_f64 v[139:140], v[139:140], v[165:166]
	v_add_f64 v[141:142], v[141:142], v[161:162]
	s_waitcnt vmcnt(58) lgkmcnt(1)
	v_mul_f64 v[165:166], v[7:8], v[177:178]
	s_waitcnt vmcnt(56)
	v_fma_f64 v[173:174], v[135:136], v[179:180], -v[172:173]
	v_mul_f64 v[161:162], v[5:6], v[177:178]
	v_add_f64 v[139:140], v[139:140], v[157:158]
	v_fma_f64 v[157:158], v[137:138], v[179:180], v[219:220]
	v_add_f64 v[141:142], v[141:142], v[155:156]
	s_clause 0x4
	buffer_load_dword v156, off, s[0:3], 0 offset:892
	buffer_load_dword v177, off, s[0:3], 0 offset:904
	;; [unrolled: 1-line block ×5, first 2 shown]
	s_waitcnt vmcnt(57) lgkmcnt(0)
	v_mul_f64 v[219:220], v[1:2], v[181:182]
	v_mul_f64 v[180:181], v[3:4], v[181:182]
	s_waitcnt vmcnt(56)
	v_fma_f64 v[165:166], v[5:6], v[167:168], -v[165:166]
	ds_read_b128 v[135:138], v187 offset:1664
	v_fma_f64 v[161:162], v[7:8], v[167:168], v[161:162]
	v_add_f64 v[139:140], v[139:140], v[173:174]
	v_add_f64 v[141:142], v[141:142], v[157:158]
	s_clause 0x2
	buffer_load_dword v178, off, s[0:3], 0 offset:908
	buffer_load_dword v158, off, s[0:3], 0 offset:884
	;; [unrolled: 1-line block ×3, first 2 shown]
	ds_read_b128 v[5:8], v187 offset:1680
	s_waitcnt vmcnt(58) lgkmcnt(1)
	v_mul_f64 v[173:174], v[137:138], v[183:184]
	s_waitcnt vmcnt(56)
	v_fma_f64 v[181:182], v[1:2], v[185:186], -v[180:181]
	v_mul_f64 v[167:168], v[135:136], v[183:184]
	v_add_f64 v[139:140], v[139:140], v[165:166]
	v_fma_f64 v[165:166], v[3:4], v[185:186], v[219:220]
	v_add_f64 v[141:142], v[141:142], v[161:162]
	s_clause 0x4
	buffer_load_dword v162, off, s[0:3], 0 offset:924
	buffer_load_dword v183, off, s[0:3], 0 offset:936
	;; [unrolled: 1-line block ×5, first 2 shown]
	s_waitcnt vmcnt(57) lgkmcnt(0)
	v_mul_f64 v[219:220], v[5:6], v[204:205]
	v_mul_f64 v[204:205], v[7:8], v[204:205]
	s_waitcnt vmcnt(56)
	v_fma_f64 v[173:174], v[135:136], v[175:176], -v[173:174]
	ds_read_b128 v[1:4], v187 offset:1696
	v_fma_f64 v[167:168], v[137:138], v[175:176], v[167:168]
	v_add_f64 v[139:140], v[139:140], v[181:182]
	v_add_f64 v[141:142], v[141:142], v[165:166]
	s_clause 0x2
	buffer_load_dword v184, off, s[0:3], 0 offset:940
	buffer_load_dword v166, off, s[0:3], 0 offset:916
	buffer_load_dword v165, off, s[0:3], 0 offset:912
	ds_read_b128 v[135:138], v187 offset:1712
	s_waitcnt vmcnt(58) lgkmcnt(1)
	v_mul_f64 v[181:182], v[3:4], v[206:207]
	s_waitcnt vmcnt(56)
	v_fma_f64 v[204:205], v[5:6], v[211:212], -v[204:205]
	v_mul_f64 v[175:176], v[1:2], v[206:207]
	v_add_f64 v[139:140], v[139:140], v[173:174]
	v_fma_f64 v[173:174], v[7:8], v[211:212], v[219:220]
	v_add_f64 v[141:142], v[141:142], v[167:168]
	s_clause 0x4
	buffer_load_dword v168, off, s[0:3], 0 offset:956
	buffer_load_dword v206, off, s[0:3], 0 offset:968
	;; [unrolled: 1-line block ×5, first 2 shown]
	ds_read_b128 v[5:8], v187 offset:1728
	s_waitcnt vmcnt(57) lgkmcnt(1)
	v_mul_f64 v[211:212], v[135:136], v[198:199]
	v_mul_f64 v[198:199], v[137:138], v[198:199]
	s_waitcnt vmcnt(56)
	v_fma_f64 v[181:182], v[1:2], v[208:209], -v[181:182]
	v_fma_f64 v[175:176], v[3:4], v[208:209], v[175:176]
	v_add_f64 v[139:140], v[139:140], v[204:205]
	v_add_f64 v[141:142], v[141:142], v[173:174]
	s_clause 0x2
	buffer_load_dword v207, off, s[0:3], 0 offset:972
	buffer_load_dword v174, off, s[0:3], 0 offset:948
	;; [unrolled: 1-line block ×3, first 2 shown]
	ds_read_b128 v[1:4], v187 offset:1744
	s_waitcnt vmcnt(58) lgkmcnt(1)
	v_mul_f64 v[208:209], v[7:8], v[215:216]
	v_mul_f64 v[204:205], v[5:6], v[215:216]
	s_waitcnt vmcnt(56)
	v_fma_f64 v[198:199], v[135:136], v[192:193], -v[198:199]
	v_add_f64 v[139:140], v[139:140], v[181:182]
	v_fma_f64 v[181:182], v[137:138], v[192:193], v[211:212]
	v_add_f64 v[141:142], v[141:142], v[175:176]
	s_clause 0x4
	buffer_load_dword v176, off, s[0:3], 0 offset:988
	buffer_load_dword v192, off, s[0:3], 0 offset:1000
	;; [unrolled: 1-line block ×5, first 2 shown]
	ds_read_b128 v[135:138], v187 offset:1760
	s_waitcnt vmcnt(57) lgkmcnt(1)
	v_mul_f64 v[219:220], v[1:2], v[151:152]
	v_mul_f64 v[151:152], v[3:4], v[151:152]
	s_waitcnt vmcnt(56)
	v_fma_f64 v[208:209], v[5:6], v[217:218], -v[208:209]
	v_add_f64 v[139:140], v[139:140], v[198:199]
	v_fma_f64 v[198:199], v[7:8], v[217:218], v[204:205]
	v_add_f64 v[141:142], v[141:142], v[181:182]
	s_clause 0x2
	buffer_load_dword v193, off, s[0:3], 0 offset:1004
	buffer_load_dword v182, off, s[0:3], 0 offset:980
	;; [unrolled: 1-line block ×3, first 2 shown]
	ds_read_b128 v[5:8], v187 offset:1776
	s_waitcnt vmcnt(58) lgkmcnt(1)
	v_mul_f64 v[204:205], v[135:136], v[200:201]
	v_mul_f64 v[200:201], v[137:138], v[200:201]
	s_waitcnt vmcnt(56)
	v_fma_f64 v[151:152], v[1:2], v[145:146], -v[151:152]
	v_fma_f64 v[145:146], v[3:4], v[145:146], v[219:220]
	v_add_f64 v[139:140], v[139:140], v[208:209]
	v_add_f64 v[141:142], v[141:142], v[198:199]
	s_clause 0x2
	buffer_load_dword v199, off, s[0:3], 0 offset:1020
	buffer_load_dword v198, off, s[0:3], 0 offset:1016
	;; [unrolled: 1-line block ×3, first 2 shown]
	ds_read_b128 v[1:4], v187 offset:1792
	s_waitcnt vmcnt(55) lgkmcnt(1)
	v_mul_f64 v[208:209], v[5:6], v[188:189]
	v_mul_f64 v[188:189], v[7:8], v[188:189]
	s_waitcnt vmcnt(54)
	v_fma_f64 v[200:201], v[135:136], v[213:214], -v[200:201]
	v_add_f64 v[139:140], v[139:140], v[151:152]
	v_fma_f64 v[151:152], v[137:138], v[213:214], v[204:205]
	v_add_f64 v[141:142], v[141:142], v[145:146]
	s_clause 0x1
	buffer_load_dword v146, off, s[0:3], 0 offset:1012
	buffer_load_dword v145, off, s[0:3], 0 offset:1008
	ds_read_b128 v[135:138], v187 offset:1808
	s_waitcnt vmcnt(55) lgkmcnt(1)
	v_mul_f64 v[204:205], v[1:2], v[190:191]
	v_mul_f64 v[190:191], v[3:4], v[190:191]
	s_waitcnt vmcnt(53)
	v_fma_f64 v[188:189], v[5:6], v[147:148], -v[188:189]
	v_fma_f64 v[147:148], v[7:8], v[147:148], v[208:209]
	ds_read_b128 v[5:8], v187 offset:1824
	v_add_f64 v[139:140], v[139:140], v[200:201]
	v_add_f64 v[141:142], v[141:142], v[151:152]
	s_waitcnt vmcnt(49) lgkmcnt(1)
	v_mul_f64 v[151:152], v[135:136], v[143:144]
	v_mul_f64 v[143:144], v[137:138], v[143:144]
	s_waitcnt vmcnt(48)
	v_fma_f64 v[190:191], v[1:2], v[202:203], -v[190:191]
	v_add_f64 v[139:140], v[139:140], v[188:189]
	v_fma_f64 v[188:189], v[3:4], v[202:203], v[204:205]
	v_add_f64 v[141:142], v[141:142], v[147:148]
	s_clause 0x3
	buffer_load_dword v147, off, s[0:3], 0 offset:432
	buffer_load_dword v148, off, s[0:3], 0 offset:436
	;; [unrolled: 1-line block ×4, first 2 shown]
	ds_read_b128 v[1:4], v187 offset:1840
	s_waitcnt vmcnt(51) lgkmcnt(1)
	v_mul_f64 v[202:203], v[5:6], v[163:164]
	v_mul_f64 v[163:164], v[7:8], v[163:164]
	s_waitcnt vmcnt(49)
	v_fma_f64 v[143:144], v[135:136], v[153:154], -v[143:144]
	v_fma_f64 v[151:152], v[137:138], v[153:154], v[151:152]
	ds_read_b128 v[135:138], v187 offset:1856
	v_add_f64 v[139:140], v[139:140], v[190:191]
	v_add_f64 v[141:142], v[141:142], v[188:189]
	s_waitcnt vmcnt(45) lgkmcnt(1)
	v_mul_f64 v[153:154], v[1:2], v[149:150]
	v_mul_f64 v[149:150], v[3:4], v[149:150]
	s_waitcnt vmcnt(44)
	v_fma_f64 v[163:164], v[5:6], v[196:197], -v[163:164]
	v_add_f64 v[139:140], v[139:140], v[143:144]
	v_fma_f64 v[143:144], v[7:8], v[196:197], v[202:203]
	v_add_f64 v[141:142], v[141:142], v[151:152]
	s_waitcnt vmcnt(43) lgkmcnt(0)
	v_mul_f64 v[151:152], v[135:136], v[169:170]
	v_mul_f64 v[169:170], v[137:138], v[169:170]
	ds_read_b128 v[5:8], v187 offset:1872
	s_waitcnt vmcnt(41)
	v_fma_f64 v[153:154], v[3:4], v[159:160], v[153:154]
	v_fma_f64 v[149:150], v[1:2], v[159:160], -v[149:150]
	ds_read_b128 v[1:4], v187 offset:1888
	v_add_f64 v[139:140], v[139:140], v[163:164]
	v_add_f64 v[141:142], v[141:142], v[143:144]
	s_waitcnt vmcnt(37) lgkmcnt(1)
	v_mul_f64 v[143:144], v[5:6], v[155:156]
	v_mul_f64 v[155:156], v[7:8], v[155:156]
	s_waitcnt vmcnt(36)
	v_fma_f64 v[159:160], v[135:136], v[171:172], -v[169:170]
	v_add_f64 v[139:140], v[139:140], v[149:150]
	v_fma_f64 v[149:150], v[137:138], v[171:172], v[151:152]
	v_add_f64 v[141:142], v[141:142], v[153:154]
	ds_read_b128 v[135:138], v187 offset:1904
	s_waitcnt vmcnt(35) lgkmcnt(1)
	v_mul_f64 v[153:154], v[3:4], v[177:178]
	v_mul_f64 v[151:152], v[1:2], v[177:178]
	s_waitcnt vmcnt(33)
	v_fma_f64 v[155:156], v[5:6], v[157:158], -v[155:156]
	v_fma_f64 v[143:144], v[7:8], v[157:158], v[143:144]
	ds_read_b128 v[5:8], v187 offset:1920
	v_add_f64 v[139:140], v[139:140], v[159:160]
	v_add_f64 v[141:142], v[141:142], v[149:150]
	s_waitcnt vmcnt(29) lgkmcnt(1)
	v_mul_f64 v[157:158], v[137:138], v[161:162]
	s_waitcnt vmcnt(28)
	v_fma_f64 v[153:154], v[1:2], v[179:180], -v[153:154]
	v_mul_f64 v[149:150], v[135:136], v[161:162]
	v_fma_f64 v[151:152], v[3:4], v[179:180], v[151:152]
	ds_read_b128 v[1:4], v187 offset:1936
	v_add_f64 v[139:140], v[139:140], v[155:156]
	v_add_f64 v[141:142], v[141:142], v[143:144]
	s_waitcnt vmcnt(27) lgkmcnt(1)
	v_mul_f64 v[155:156], v[7:8], v[183:184]
	v_mul_f64 v[143:144], v[5:6], v[183:184]
	s_waitcnt vmcnt(25)
	v_fma_f64 v[157:158], v[135:136], v[165:166], -v[157:158]
	v_fma_f64 v[149:150], v[137:138], v[165:166], v[149:150]
	ds_read_b128 v[135:138], v187 offset:1952
	v_add_f64 v[139:140], v[139:140], v[153:154]
	v_add_f64 v[141:142], v[141:142], v[151:152]
	s_waitcnt vmcnt(21) lgkmcnt(1)
	v_mul_f64 v[153:154], v[3:4], v[167:168]
	s_waitcnt vmcnt(20)
	v_fma_f64 v[155:156], v[5:6], v[185:186], -v[155:156]
	v_mul_f64 v[151:152], v[1:2], v[167:168]
	v_fma_f64 v[143:144], v[7:8], v[185:186], v[143:144]
	ds_read_b128 v[5:8], v187 offset:1968
	v_add_f64 v[139:140], v[139:140], v[157:158]
	v_add_f64 v[141:142], v[141:142], v[149:150]
	;; [unrolled: 18-line block ×3, first 2 shown]
	s_waitcnt vmcnt(11) lgkmcnt(1)
	v_mul_f64 v[153:154], v[3:4], v[192:193]
	v_mul_f64 v[151:152], v[1:2], v[192:193]
	s_waitcnt vmcnt(9)
	v_fma_f64 v[5:6], v[5:6], v[181:182], -v[155:156]
	v_fma_f64 v[7:8], v[7:8], v[181:182], v[143:144]
	v_add_f64 v[139:140], v[139:140], v[157:158]
	v_add_f64 v[141:142], v[141:142], v[149:150]
	s_waitcnt vmcnt(7) lgkmcnt(0)
	v_mul_f64 v[149:150], v[137:138], v[198:199]
	s_waitcnt vmcnt(6)
	v_fma_f64 v[1:2], v[1:2], v[215:216], -v[153:154]
	v_mul_f64 v[143:144], v[135:136], v[198:199]
	v_fma_f64 v[3:4], v[3:4], v[215:216], v[151:152]
	v_add_f64 v[5:6], v[139:140], v[5:6]
	v_add_f64 v[7:8], v[141:142], v[7:8]
	s_waitcnt vmcnt(4)
	v_fma_f64 v[135:136], v[135:136], v[145:146], -v[149:150]
	v_add_f64 v[1:2], v[5:6], v[1:2]
	v_fma_f64 v[5:6], v[137:138], v[145:146], v[143:144]
	v_add_f64 v[3:4], v[7:8], v[3:4]
	v_add_f64 v[1:2], v[1:2], v[135:136]
	v_add_f64 v[3:4], v[3:4], v[5:6]
	s_waitcnt vmcnt(2)
	v_add_f64 v[1:2], v[147:148], -v[1:2]
	s_waitcnt vmcnt(0)
	v_add_f64 v[3:4], v[200:201], -v[3:4]
	buffer_store_dword v2, off, s[0:3], 0 offset:436
	buffer_store_dword v1, off, s[0:3], 0 offset:432
	;; [unrolled: 1-line block ×4, first 2 shown]
	v_cmpx_lt_u32_e32 25, v0
	s_cbranch_execz .LBB126_353
; %bb.352:
	v_mov_b32_e32 v4, s52
	v_mov_b32_e32 v5, 0
	s_clause 0x3
	buffer_load_dword v1, v4, s[0:3], 0 offen
	buffer_load_dword v2, v4, s[0:3], 0 offen offset:4
	buffer_load_dword v3, v4, s[0:3], 0 offen offset:8
	;; [unrolled: 1-line block ×3, first 2 shown]
	buffer_store_dword v5, off, s[0:3], 0 offset:416
	buffer_store_dword v5, off, s[0:3], 0 offset:420
	;; [unrolled: 1-line block ×4, first 2 shown]
	s_waitcnt vmcnt(0)
	ds_write_b128 v195, v[1:4]
.LBB126_353:
	s_or_b32 exec_lo, exec_lo, s4
	s_waitcnt lgkmcnt(0)
	s_waitcnt_vscnt null, 0x0
	s_barrier
	buffer_gl0_inv
	s_clause 0x37
	buffer_load_dword v135, off, s[0:3], 0 offset:440
	buffer_load_dword v136, off, s[0:3], 0 offset:444
	;; [unrolled: 1-line block ×56, first 2 shown]
	v_mov_b32_e32 v187, 0
	s_mov_b32 s4, exec_lo
	ds_read_b128 v[188:191], v187 offset:1424
	s_clause 0x2
	buffer_load_dword v184, off, s[0:3], 0 offset:668
	buffer_load_dword v186, off, s[0:3], 0 offset:644
	;; [unrolled: 1-line block ×3, first 2 shown]
	ds_read_b128 v[196:199], v187 offset:1440
	s_clause 0x4
	buffer_load_dword v205, off, s[0:3], 0 offset:684
	buffer_load_dword v206, off, s[0:3], 0 offset:696
	;; [unrolled: 1-line block ×5, first 2 shown]
	ds_read_b128 v[200:203], v187 offset:1456
	s_clause 0x2
	buffer_load_dword v207, off, s[0:3], 0 offset:700
	buffer_load_dword v212, off, s[0:3], 0 offset:676
	;; [unrolled: 1-line block ×3, first 2 shown]
	s_waitcnt vmcnt(62) lgkmcnt(2)
	v_mul_f64 v[192:193], v[190:191], v[135:136]
	v_mul_f64 v[135:136], v[188:189], v[135:136]
	s_waitcnt lgkmcnt(1)
	v_mul_f64 v[209:210], v[198:199], v[5:6]
	s_waitcnt vmcnt(59) lgkmcnt(0)
	v_mul_f64 v[213:214], v[202:203], v[3:4]
	v_fma_f64 v[188:189], v[188:189], v[7:8], -v[192:193]
	v_mul_f64 v[192:193], v[196:197], v[5:6]
	v_fma_f64 v[135:136], v[190:191], v[7:8], v[135:136]
	s_waitcnt vmcnt(57)
	v_fma_f64 v[196:197], v[196:197], v[1:2], -v[209:210]
	ds_read_b128 v[5:8], v187 offset:1472
	v_mul_f64 v[190:191], v[200:201], v[3:4]
	s_waitcnt vmcnt(51)
	v_fma_f64 v[200:201], v[200:201], v[151:152], -v[213:214]
	v_add_f64 v[188:189], v[188:189], 0
	v_fma_f64 v[192:193], v[198:199], v[1:2], v[192:193]
	v_add_f64 v[135:136], v[135:136], 0
	s_clause 0x4
	buffer_load_dword v199, off, s[0:3], 0 offset:716
	buffer_load_dword v215, off, s[0:3], 0 offset:728
	;; [unrolled: 1-line block ×5, first 2 shown]
	s_waitcnt lgkmcnt(0)
	v_mul_f64 v[218:219], v[5:6], v[139:140]
	v_mul_f64 v[139:140], v[7:8], v[139:140]
	ds_read_b128 v[1:4], v187 offset:1488
	v_fma_f64 v[151:152], v[202:203], v[151:152], v[190:191]
	v_add_f64 v[196:197], v[188:189], v[196:197]
	v_add_f64 v[135:136], v[135:136], v[192:193]
	s_clause 0x2
	buffer_load_dword v216, off, s[0:3], 0 offset:732
	buffer_load_dword v193, off, s[0:3], 0 offset:708
	buffer_load_dword v192, off, s[0:3], 0 offset:704
	s_waitcnt vmcnt(58) lgkmcnt(0)
	v_mul_f64 v[202:203], v[1:2], v[143:144]
	v_mul_f64 v[143:144], v[3:4], v[143:144]
	s_waitcnt vmcnt(56)
	v_fma_f64 v[139:140], v[5:6], v[145:146], -v[139:140]
	ds_read_b128 v[188:191], v187 offset:1504
	v_fma_f64 v[145:146], v[7:8], v[145:146], v[218:219]
	v_add_f64 v[196:197], v[196:197], v[200:201]
	v_add_f64 v[135:136], v[135:136], v[151:152]
	s_clause 0x4
	buffer_load_dword v152, off, s[0:3], 0 offset:748
	buffer_load_dword v200, off, s[0:3], 0 offset:760
	;; [unrolled: 1-line block ×5, first 2 shown]
	ds_read_b128 v[5:8], v187 offset:1520
	s_waitcnt vmcnt(57) lgkmcnt(1)
	v_mul_f64 v[219:220], v[188:189], v[147:148]
	v_mul_f64 v[147:148], v[190:191], v[147:148]
	s_waitcnt vmcnt(56)
	v_fma_f64 v[143:144], v[1:2], v[137:138], -v[143:144]
	v_fma_f64 v[137:138], v[3:4], v[137:138], v[202:203]
	v_add_f64 v[139:140], v[196:197], v[139:140]
	v_add_f64 v[135:136], v[135:136], v[145:146]
	s_clause 0x2
	buffer_load_dword v201, off, s[0:3], 0 offset:764
	buffer_load_dword v146, off, s[0:3], 0 offset:740
	buffer_load_dword v145, off, s[0:3], 0 offset:736
	s_waitcnt vmcnt(58) lgkmcnt(0)
	v_mul_f64 v[196:197], v[5:6], v[153:154]
	v_mul_f64 v[153:154], v[7:8], v[153:154]
	s_waitcnt vmcnt(56)
	v_fma_f64 v[147:148], v[188:189], v[155:156], -v[147:148]
	ds_read_b128 v[1:4], v187 offset:1536
	v_add_f64 v[139:140], v[139:140], v[143:144]
	v_fma_f64 v[143:144], v[190:191], v[155:156], v[219:220]
	v_add_f64 v[155:156], v[135:136], v[137:138]
	s_clause 0x4
	buffer_load_dword v189, off, s[0:3], 0 offset:780
	buffer_load_dword v190, off, s[0:3], 0 offset:792
	;; [unrolled: 1-line block ×5, first 2 shown]
	ds_read_b128 v[135:138], v187 offset:1552
	s_waitcnt vmcnt(57) lgkmcnt(1)
	v_mul_f64 v[219:220], v[1:2], v[157:158]
	v_mul_f64 v[157:158], v[3:4], v[157:158]
	s_waitcnt vmcnt(56)
	v_fma_f64 v[153:154], v[5:6], v[141:142], -v[153:154]
	v_fma_f64 v[141:142], v[7:8], v[141:142], v[196:197]
	v_add_f64 v[139:140], v[139:140], v[147:148]
	s_clause 0x2
	buffer_load_dword v191, off, s[0:3], 0 offset:796
	buffer_load_dword v148, off, s[0:3], 0 offset:772
	;; [unrolled: 1-line block ×3, first 2 shown]
	v_add_f64 v[143:144], v[155:156], v[143:144]
	s_waitcnt vmcnt(58) lgkmcnt(0)
	v_mul_f64 v[155:156], v[135:136], v[161:162]
	v_mul_f64 v[161:162], v[137:138], v[161:162]
	ds_read_b128 v[5:8], v187 offset:1568
	s_waitcnt vmcnt(56)
	v_fma_f64 v[157:158], v[1:2], v[163:164], -v[157:158]
	v_add_f64 v[139:140], v[139:140], v[153:154]
	v_fma_f64 v[153:154], v[3:4], v[163:164], v[219:220]
	v_add_f64 v[141:142], v[143:144], v[141:142]
	s_clause 0x4
	buffer_load_dword v144, off, s[0:3], 0 offset:812
	buffer_load_dword v163, off, s[0:3], 0 offset:824
	;; [unrolled: 1-line block ×5, first 2 shown]
	s_waitcnt vmcnt(57) lgkmcnt(0)
	v_mul_f64 v[219:220], v[5:6], v[165:166]
	v_mul_f64 v[165:166], v[7:8], v[165:166]
	s_waitcnt vmcnt(56)
	v_fma_f64 v[161:162], v[135:136], v[149:150], -v[161:162]
	ds_read_b128 v[1:4], v187 offset:1584
	v_fma_f64 v[149:150], v[137:138], v[149:150], v[155:156]
	v_add_f64 v[139:140], v[139:140], v[157:158]
	v_add_f64 v[141:142], v[141:142], v[153:154]
	s_clause 0x2
	buffer_load_dword v164, off, s[0:3], 0 offset:828
	buffer_load_dword v154, off, s[0:3], 0 offset:804
	;; [unrolled: 1-line block ×3, first 2 shown]
	ds_read_b128 v[135:138], v187 offset:1600
	s_waitcnt vmcnt(58) lgkmcnt(1)
	v_mul_f64 v[157:158], v[3:4], v[169:170]
	s_waitcnt vmcnt(56)
	v_fma_f64 v[165:166], v[5:6], v[171:172], -v[165:166]
	v_mul_f64 v[155:156], v[1:2], v[169:170]
	v_add_f64 v[139:140], v[139:140], v[161:162]
	v_fma_f64 v[161:162], v[7:8], v[171:172], v[219:220]
	v_add_f64 v[141:142], v[141:142], v[149:150]
	s_clause 0x4
	buffer_load_dword v150, off, s[0:3], 0 offset:844
	buffer_load_dword v169, off, s[0:3], 0 offset:856
	buffer_load_dword v171, off, s[0:3], 0 offset:848
	buffer_load_dword v149, off, s[0:3], 0 offset:840
	buffer_load_dword v197, off, s[0:3], 0 offset:820
	s_waitcnt vmcnt(57) lgkmcnt(0)
	v_mul_f64 v[219:220], v[135:136], v[173:174]
	v_mul_f64 v[172:173], v[137:138], v[173:174]
	s_waitcnt vmcnt(56)
	v_fma_f64 v[157:158], v[1:2], v[159:160], -v[157:158]
	ds_read_b128 v[5:8], v187 offset:1616
	v_fma_f64 v[155:156], v[3:4], v[159:160], v[155:156]
	s_clause 0x2
	buffer_load_dword v170, off, s[0:3], 0 offset:860
	buffer_load_dword v160, off, s[0:3], 0 offset:836
	;; [unrolled: 1-line block ×3, first 2 shown]
	ds_read_b128 v[1:4], v187 offset:1632
	v_add_f64 v[139:140], v[139:140], v[165:166]
	v_add_f64 v[141:142], v[141:142], v[161:162]
	s_waitcnt vmcnt(58) lgkmcnt(1)
	v_mul_f64 v[165:166], v[7:8], v[177:178]
	s_waitcnt vmcnt(56)
	v_fma_f64 v[173:174], v[135:136], v[179:180], -v[172:173]
	v_mul_f64 v[161:162], v[5:6], v[177:178]
	v_add_f64 v[139:140], v[139:140], v[157:158]
	v_fma_f64 v[157:158], v[137:138], v[179:180], v[219:220]
	v_add_f64 v[141:142], v[141:142], v[155:156]
	s_clause 0x4
	buffer_load_dword v156, off, s[0:3], 0 offset:876
	buffer_load_dword v177, off, s[0:3], 0 offset:888
	;; [unrolled: 1-line block ×5, first 2 shown]
	s_waitcnt vmcnt(57) lgkmcnt(0)
	v_mul_f64 v[219:220], v[1:2], v[181:182]
	v_mul_f64 v[180:181], v[3:4], v[181:182]
	s_waitcnt vmcnt(56)
	v_fma_f64 v[165:166], v[5:6], v[167:168], -v[165:166]
	ds_read_b128 v[135:138], v187 offset:1648
	v_fma_f64 v[161:162], v[7:8], v[167:168], v[161:162]
	v_add_f64 v[139:140], v[139:140], v[173:174]
	v_add_f64 v[141:142], v[141:142], v[157:158]
	s_clause 0x2
	buffer_load_dword v178, off, s[0:3], 0 offset:892
	buffer_load_dword v158, off, s[0:3], 0 offset:868
	;; [unrolled: 1-line block ×3, first 2 shown]
	ds_read_b128 v[5:8], v187 offset:1664
	s_waitcnt vmcnt(58) lgkmcnt(1)
	v_mul_f64 v[173:174], v[137:138], v[183:184]
	s_waitcnt vmcnt(56)
	v_fma_f64 v[181:182], v[1:2], v[185:186], -v[180:181]
	v_mul_f64 v[167:168], v[135:136], v[183:184]
	v_add_f64 v[139:140], v[139:140], v[165:166]
	v_fma_f64 v[165:166], v[3:4], v[185:186], v[219:220]
	v_add_f64 v[141:142], v[141:142], v[161:162]
	s_clause 0x4
	buffer_load_dword v162, off, s[0:3], 0 offset:908
	buffer_load_dword v183, off, s[0:3], 0 offset:920
	;; [unrolled: 1-line block ×5, first 2 shown]
	s_waitcnt vmcnt(57) lgkmcnt(0)
	v_mul_f64 v[219:220], v[5:6], v[204:205]
	v_mul_f64 v[204:205], v[7:8], v[204:205]
	s_waitcnt vmcnt(56)
	v_fma_f64 v[173:174], v[135:136], v[175:176], -v[173:174]
	ds_read_b128 v[1:4], v187 offset:1680
	v_fma_f64 v[167:168], v[137:138], v[175:176], v[167:168]
	v_add_f64 v[139:140], v[139:140], v[181:182]
	v_add_f64 v[141:142], v[141:142], v[165:166]
	s_clause 0x2
	buffer_load_dword v184, off, s[0:3], 0 offset:924
	buffer_load_dword v166, off, s[0:3], 0 offset:900
	buffer_load_dword v165, off, s[0:3], 0 offset:896
	ds_read_b128 v[135:138], v187 offset:1696
	s_waitcnt vmcnt(58) lgkmcnt(1)
	v_mul_f64 v[181:182], v[3:4], v[206:207]
	s_waitcnt vmcnt(56)
	v_fma_f64 v[204:205], v[5:6], v[211:212], -v[204:205]
	v_mul_f64 v[175:176], v[1:2], v[206:207]
	v_add_f64 v[139:140], v[139:140], v[173:174]
	v_fma_f64 v[173:174], v[7:8], v[211:212], v[219:220]
	v_add_f64 v[141:142], v[141:142], v[167:168]
	s_clause 0x4
	buffer_load_dword v168, off, s[0:3], 0 offset:940
	buffer_load_dword v206, off, s[0:3], 0 offset:952
	;; [unrolled: 1-line block ×5, first 2 shown]
	ds_read_b128 v[5:8], v187 offset:1712
	s_waitcnt vmcnt(57) lgkmcnt(1)
	v_mul_f64 v[211:212], v[135:136], v[198:199]
	v_mul_f64 v[198:199], v[137:138], v[198:199]
	s_waitcnt vmcnt(56)
	v_fma_f64 v[181:182], v[1:2], v[208:209], -v[181:182]
	v_fma_f64 v[175:176], v[3:4], v[208:209], v[175:176]
	v_add_f64 v[139:140], v[139:140], v[204:205]
	v_add_f64 v[141:142], v[141:142], v[173:174]
	s_clause 0x2
	buffer_load_dword v207, off, s[0:3], 0 offset:956
	buffer_load_dword v174, off, s[0:3], 0 offset:932
	;; [unrolled: 1-line block ×3, first 2 shown]
	ds_read_b128 v[1:4], v187 offset:1728
	s_waitcnt vmcnt(58) lgkmcnt(1)
	v_mul_f64 v[208:209], v[7:8], v[215:216]
	v_mul_f64 v[204:205], v[5:6], v[215:216]
	s_waitcnt vmcnt(56)
	v_fma_f64 v[198:199], v[135:136], v[192:193], -v[198:199]
	v_add_f64 v[139:140], v[139:140], v[181:182]
	v_fma_f64 v[181:182], v[137:138], v[192:193], v[211:212]
	v_add_f64 v[141:142], v[141:142], v[175:176]
	s_clause 0x4
	buffer_load_dword v176, off, s[0:3], 0 offset:972
	buffer_load_dword v192, off, s[0:3], 0 offset:984
	;; [unrolled: 1-line block ×5, first 2 shown]
	ds_read_b128 v[135:138], v187 offset:1744
	s_waitcnt vmcnt(57) lgkmcnt(1)
	v_mul_f64 v[219:220], v[1:2], v[151:152]
	v_mul_f64 v[151:152], v[3:4], v[151:152]
	s_waitcnt vmcnt(56)
	v_fma_f64 v[208:209], v[5:6], v[217:218], -v[208:209]
	v_add_f64 v[139:140], v[139:140], v[198:199]
	v_fma_f64 v[198:199], v[7:8], v[217:218], v[204:205]
	v_add_f64 v[141:142], v[141:142], v[181:182]
	s_clause 0x2
	buffer_load_dword v193, off, s[0:3], 0 offset:988
	buffer_load_dword v182, off, s[0:3], 0 offset:964
	;; [unrolled: 1-line block ×3, first 2 shown]
	ds_read_b128 v[5:8], v187 offset:1760
	s_waitcnt vmcnt(58) lgkmcnt(1)
	v_mul_f64 v[204:205], v[135:136], v[200:201]
	v_mul_f64 v[200:201], v[137:138], v[200:201]
	s_waitcnt vmcnt(56)
	v_fma_f64 v[151:152], v[1:2], v[145:146], -v[151:152]
	v_fma_f64 v[145:146], v[3:4], v[145:146], v[219:220]
	v_add_f64 v[139:140], v[139:140], v[208:209]
	v_add_f64 v[141:142], v[141:142], v[198:199]
	s_clause 0x4
	buffer_load_dword v199, off, s[0:3], 0 offset:1004
	buffer_load_dword v208, off, s[0:3], 0 offset:1016
	;; [unrolled: 1-line block ×5, first 2 shown]
	ds_read_b128 v[1:4], v187 offset:1776
	s_waitcnt vmcnt(57) lgkmcnt(1)
	v_mul_f64 v[217:218], v[5:6], v[188:189]
	v_mul_f64 v[188:189], v[7:8], v[188:189]
	s_waitcnt vmcnt(56)
	v_fma_f64 v[200:201], v[135:136], v[213:214], -v[200:201]
	v_add_f64 v[139:140], v[139:140], v[151:152]
	v_fma_f64 v[151:152], v[137:138], v[213:214], v[204:205]
	v_add_f64 v[141:142], v[141:142], v[145:146]
	s_clause 0x2
	buffer_load_dword v209, off, s[0:3], 0 offset:1020
	buffer_load_dword v146, off, s[0:3], 0 offset:996
	;; [unrolled: 1-line block ×3, first 2 shown]
	ds_read_b128 v[135:138], v187 offset:1792
	buffer_load_dword v213, off, s[0:3], 0 offset:1012
	s_waitcnt vmcnt(59) lgkmcnt(1)
	v_mul_f64 v[204:205], v[1:2], v[190:191]
	v_mul_f64 v[190:191], v[3:4], v[190:191]
	s_waitcnt vmcnt(57)
	v_fma_f64 v[188:189], v[5:6], v[147:148], -v[188:189]
	v_fma_f64 v[147:148], v[7:8], v[147:148], v[217:218]
	ds_read_b128 v[5:8], v187 offset:1808
	v_add_f64 v[139:140], v[139:140], v[200:201]
	v_add_f64 v[141:142], v[141:142], v[151:152]
	s_waitcnt vmcnt(53) lgkmcnt(1)
	v_mul_f64 v[151:152], v[135:136], v[143:144]
	v_mul_f64 v[143:144], v[137:138], v[143:144]
	s_waitcnt vmcnt(52)
	v_fma_f64 v[190:191], v[1:2], v[202:203], -v[190:191]
	v_add_f64 v[139:140], v[139:140], v[188:189]
	v_fma_f64 v[188:189], v[3:4], v[202:203], v[204:205]
	v_add_f64 v[141:142], v[141:142], v[147:148]
	ds_read_b128 v[1:4], v187 offset:1824
	s_waitcnt vmcnt(51) lgkmcnt(1)
	v_mul_f64 v[147:148], v[5:6], v[163:164]
	v_mul_f64 v[163:164], v[7:8], v[163:164]
	s_waitcnt vmcnt(49)
	v_fma_f64 v[143:144], v[135:136], v[153:154], -v[143:144]
	v_fma_f64 v[151:152], v[137:138], v[153:154], v[151:152]
	v_add_f64 v[139:140], v[139:140], v[190:191]
	v_add_f64 v[141:142], v[141:142], v[188:189]
	s_clause 0x3
	buffer_load_dword v153, off, s[0:3], 0 offset:416
	buffer_load_dword v154, off, s[0:3], 0 offset:420
	;; [unrolled: 1-line block ×4, first 2 shown]
	ds_read_b128 v[135:138], v187 offset:1840
	s_waitcnt vmcnt(49) lgkmcnt(1)
	v_mul_f64 v[190:191], v[1:2], v[149:150]
	v_mul_f64 v[149:150], v[3:4], v[149:150]
	s_waitcnt vmcnt(48)
	v_fma_f64 v[163:164], v[5:6], v[196:197], -v[163:164]
	v_add_f64 v[139:140], v[139:140], v[143:144]
	v_fma_f64 v[143:144], v[7:8], v[196:197], v[147:148]
	v_add_f64 v[141:142], v[141:142], v[151:152]
	ds_read_b128 v[5:8], v187 offset:1856
	s_waitcnt vmcnt(47) lgkmcnt(1)
	v_mul_f64 v[151:152], v[137:138], v[169:170]
	v_mul_f64 v[147:148], v[135:136], v[169:170]
	s_waitcnt vmcnt(45)
	v_fma_f64 v[149:150], v[1:2], v[159:160], -v[149:150]
	v_fma_f64 v[159:160], v[3:4], v[159:160], v[190:191]
	ds_read_b128 v[1:4], v187 offset:1872
	v_add_f64 v[139:140], v[139:140], v[163:164]
	v_add_f64 v[141:142], v[141:142], v[143:144]
	s_waitcnt vmcnt(41) lgkmcnt(1)
	v_mul_f64 v[143:144], v[5:6], v[155:156]
	v_mul_f64 v[155:156], v[7:8], v[155:156]
	s_waitcnt vmcnt(40)
	v_fma_f64 v[151:152], v[135:136], v[171:172], -v[151:152]
	v_fma_f64 v[147:148], v[137:138], v[171:172], v[147:148]
	ds_read_b128 v[135:138], v187 offset:1888
	v_add_f64 v[139:140], v[139:140], v[149:150]
	v_add_f64 v[141:142], v[141:142], v[159:160]
	;; [unrolled: 9-line block ×3, first 2 shown]
	s_waitcnt vmcnt(33) lgkmcnt(1)
	v_mul_f64 v[151:152], v[137:138], v[161:162]
	s_waitcnt vmcnt(32)
	v_fma_f64 v[157:158], v[1:2], v[179:180], -v[159:160]
	v_mul_f64 v[147:148], v[135:136], v[161:162]
	v_fma_f64 v[149:150], v[3:4], v[179:180], v[149:150]
	ds_read_b128 v[1:4], v187 offset:1920
	v_add_f64 v[139:140], v[139:140], v[155:156]
	v_add_f64 v[141:142], v[141:142], v[143:144]
	s_waitcnt vmcnt(31) lgkmcnt(1)
	v_mul_f64 v[155:156], v[7:8], v[183:184]
	v_mul_f64 v[143:144], v[5:6], v[183:184]
	s_waitcnt vmcnt(29)
	v_fma_f64 v[151:152], v[135:136], v[165:166], -v[151:152]
	v_fma_f64 v[147:148], v[137:138], v[165:166], v[147:148]
	ds_read_b128 v[135:138], v187 offset:1936
	v_add_f64 v[139:140], v[139:140], v[157:158]
	v_add_f64 v[141:142], v[141:142], v[149:150]
	s_waitcnt vmcnt(25) lgkmcnt(1)
	v_mul_f64 v[157:158], v[3:4], v[167:168]
	s_waitcnt vmcnt(24)
	v_fma_f64 v[155:156], v[5:6], v[185:186], -v[155:156]
	v_mul_f64 v[149:150], v[1:2], v[167:168]
	v_fma_f64 v[143:144], v[7:8], v[185:186], v[143:144]
	ds_read_b128 v[5:8], v187 offset:1952
	v_add_f64 v[139:140], v[139:140], v[151:152]
	v_add_f64 v[141:142], v[141:142], v[147:148]
	s_waitcnt vmcnt(23) lgkmcnt(1)
	v_mul_f64 v[151:152], v[137:138], v[206:207]
	v_mul_f64 v[147:148], v[135:136], v[206:207]
	s_waitcnt vmcnt(21)
	v_fma_f64 v[157:158], v[1:2], v[173:174], -v[157:158]
	v_fma_f64 v[149:150], v[3:4], v[173:174], v[149:150]
	ds_read_b128 v[1:4], v187 offset:1968
	v_add_f64 v[139:140], v[139:140], v[155:156]
	v_add_f64 v[141:142], v[141:142], v[143:144]
	;; [unrolled: 18-line block ×3, first 2 shown]
	s_waitcnt vmcnt(9) lgkmcnt(1)
	v_mul_f64 v[151:152], v[137:138], v[198:199]
	s_waitcnt vmcnt(8)
	v_fma_f64 v[1:2], v[1:2], v[215:216], -v[157:158]
	v_mul_f64 v[147:148], v[135:136], v[198:199]
	v_fma_f64 v[3:4], v[3:4], v[215:216], v[149:150]
	v_add_f64 v[139:140], v[139:140], v[155:156]
	v_add_f64 v[141:142], v[141:142], v[143:144]
	s_waitcnt vmcnt(7) lgkmcnt(0)
	v_mul_f64 v[149:150], v[7:8], v[208:209]
	v_mul_f64 v[143:144], v[5:6], v[208:209]
	s_waitcnt vmcnt(5)
	v_fma_f64 v[135:136], v[135:136], v[145:146], -v[151:152]
	v_fma_f64 v[137:138], v[137:138], v[145:146], v[147:148]
	v_add_f64 v[1:2], v[139:140], v[1:2]
	v_add_f64 v[3:4], v[141:142], v[3:4]
	s_waitcnt vmcnt(4)
	v_fma_f64 v[5:6], v[5:6], v[212:213], -v[149:150]
	v_fma_f64 v[7:8], v[7:8], v[212:213], v[143:144]
	v_add_f64 v[1:2], v[1:2], v[135:136]
	v_add_f64 v[3:4], v[3:4], v[137:138]
	;; [unrolled: 1-line block ×4, first 2 shown]
	s_waitcnt vmcnt(2)
	v_add_f64 v[1:2], v[153:154], -v[1:2]
	s_waitcnt vmcnt(0)
	v_add_f64 v[3:4], v[188:189], -v[3:4]
	buffer_store_dword v2, off, s[0:3], 0 offset:420
	buffer_store_dword v1, off, s[0:3], 0 offset:416
	;; [unrolled: 1-line block ×4, first 2 shown]
	v_cmpx_lt_u32_e32 24, v0
	s_cbranch_execz .LBB126_355
; %bb.354:
	v_mov_b32_e32 v4, s53
	s_clause 0x3
	buffer_load_dword v1, v4, s[0:3], 0 offen
	buffer_load_dword v2, v4, s[0:3], 0 offen offset:4
	buffer_load_dword v3, v4, s[0:3], 0 offen offset:8
	;; [unrolled: 1-line block ×3, first 2 shown]
	buffer_store_dword v187, off, s[0:3], 0 offset:400
	buffer_store_dword v187, off, s[0:3], 0 offset:404
	;; [unrolled: 1-line block ×4, first 2 shown]
	s_waitcnt vmcnt(0)
	ds_write_b128 v195, v[1:4]
.LBB126_355:
	s_or_b32 exec_lo, exec_lo, s4
	s_waitcnt lgkmcnt(0)
	s_waitcnt_vscnt null, 0x0
	s_barrier
	buffer_gl0_inv
	s_clause 0x37
	buffer_load_dword v135, off, s[0:3], 0 offset:424
	buffer_load_dword v136, off, s[0:3], 0 offset:428
	;; [unrolled: 1-line block ×56, first 2 shown]
	ds_read_b128 v[188:191], v187 offset:1408
	s_clause 0x2
	buffer_load_dword v184, off, s[0:3], 0 offset:652
	buffer_load_dword v186, off, s[0:3], 0 offset:628
	;; [unrolled: 1-line block ×3, first 2 shown]
	ds_read_b128 v[196:199], v187 offset:1424
	s_clause 0x4
	buffer_load_dword v205, off, s[0:3], 0 offset:668
	buffer_load_dword v206, off, s[0:3], 0 offset:680
	;; [unrolled: 1-line block ×5, first 2 shown]
	ds_read_b128 v[200:203], v187 offset:1440
	s_clause 0x2
	buffer_load_dword v207, off, s[0:3], 0 offset:684
	buffer_load_dword v212, off, s[0:3], 0 offset:660
	;; [unrolled: 1-line block ×3, first 2 shown]
	s_mov_b32 s4, exec_lo
	s_waitcnt vmcnt(62) lgkmcnt(2)
	v_mul_f64 v[192:193], v[190:191], v[135:136]
	v_mul_f64 v[135:136], v[188:189], v[135:136]
	s_waitcnt lgkmcnt(1)
	v_mul_f64 v[209:210], v[198:199], v[5:6]
	s_waitcnt vmcnt(59) lgkmcnt(0)
	v_mul_f64 v[213:214], v[202:203], v[3:4]
	v_fma_f64 v[188:189], v[188:189], v[7:8], -v[192:193]
	v_mul_f64 v[192:193], v[196:197], v[5:6]
	v_fma_f64 v[135:136], v[190:191], v[7:8], v[135:136]
	s_waitcnt vmcnt(57)
	v_fma_f64 v[196:197], v[196:197], v[1:2], -v[209:210]
	ds_read_b128 v[5:8], v187 offset:1456
	v_mul_f64 v[190:191], v[200:201], v[3:4]
	s_waitcnt vmcnt(51)
	v_fma_f64 v[200:201], v[200:201], v[151:152], -v[213:214]
	v_add_f64 v[188:189], v[188:189], 0
	v_fma_f64 v[192:193], v[198:199], v[1:2], v[192:193]
	v_add_f64 v[135:136], v[135:136], 0
	s_clause 0x4
	buffer_load_dword v199, off, s[0:3], 0 offset:700
	buffer_load_dword v215, off, s[0:3], 0 offset:712
	;; [unrolled: 1-line block ×5, first 2 shown]
	s_waitcnt lgkmcnt(0)
	v_mul_f64 v[218:219], v[5:6], v[139:140]
	v_mul_f64 v[139:140], v[7:8], v[139:140]
	ds_read_b128 v[1:4], v187 offset:1472
	v_fma_f64 v[151:152], v[202:203], v[151:152], v[190:191]
	v_add_f64 v[196:197], v[188:189], v[196:197]
	v_add_f64 v[135:136], v[135:136], v[192:193]
	s_clause 0x2
	buffer_load_dword v216, off, s[0:3], 0 offset:716
	buffer_load_dword v193, off, s[0:3], 0 offset:692
	;; [unrolled: 1-line block ×3, first 2 shown]
	s_waitcnt vmcnt(58) lgkmcnt(0)
	v_mul_f64 v[202:203], v[1:2], v[143:144]
	v_mul_f64 v[143:144], v[3:4], v[143:144]
	s_waitcnt vmcnt(56)
	v_fma_f64 v[139:140], v[5:6], v[145:146], -v[139:140]
	ds_read_b128 v[188:191], v187 offset:1488
	v_fma_f64 v[145:146], v[7:8], v[145:146], v[218:219]
	v_add_f64 v[196:197], v[196:197], v[200:201]
	v_add_f64 v[135:136], v[135:136], v[151:152]
	s_clause 0x4
	buffer_load_dword v152, off, s[0:3], 0 offset:732
	buffer_load_dword v200, off, s[0:3], 0 offset:744
	;; [unrolled: 1-line block ×5, first 2 shown]
	ds_read_b128 v[5:8], v187 offset:1504
	s_waitcnt vmcnt(57) lgkmcnt(1)
	v_mul_f64 v[219:220], v[188:189], v[147:148]
	v_mul_f64 v[147:148], v[190:191], v[147:148]
	s_waitcnt vmcnt(56)
	v_fma_f64 v[143:144], v[1:2], v[137:138], -v[143:144]
	v_fma_f64 v[137:138], v[3:4], v[137:138], v[202:203]
	v_add_f64 v[139:140], v[196:197], v[139:140]
	v_add_f64 v[135:136], v[135:136], v[145:146]
	s_clause 0x2
	buffer_load_dword v201, off, s[0:3], 0 offset:748
	buffer_load_dword v146, off, s[0:3], 0 offset:724
	;; [unrolled: 1-line block ×3, first 2 shown]
	s_waitcnt vmcnt(58) lgkmcnt(0)
	v_mul_f64 v[196:197], v[5:6], v[153:154]
	v_mul_f64 v[153:154], v[7:8], v[153:154]
	s_waitcnt vmcnt(56)
	v_fma_f64 v[147:148], v[188:189], v[155:156], -v[147:148]
	ds_read_b128 v[1:4], v187 offset:1520
	v_add_f64 v[139:140], v[139:140], v[143:144]
	v_fma_f64 v[143:144], v[190:191], v[155:156], v[219:220]
	v_add_f64 v[155:156], v[135:136], v[137:138]
	s_clause 0x4
	buffer_load_dword v189, off, s[0:3], 0 offset:764
	buffer_load_dword v190, off, s[0:3], 0 offset:776
	;; [unrolled: 1-line block ×5, first 2 shown]
	ds_read_b128 v[135:138], v187 offset:1536
	s_waitcnt vmcnt(57) lgkmcnt(1)
	v_mul_f64 v[219:220], v[1:2], v[157:158]
	v_mul_f64 v[157:158], v[3:4], v[157:158]
	s_waitcnt vmcnt(56)
	v_fma_f64 v[153:154], v[5:6], v[141:142], -v[153:154]
	v_fma_f64 v[141:142], v[7:8], v[141:142], v[196:197]
	v_add_f64 v[139:140], v[139:140], v[147:148]
	s_clause 0x2
	buffer_load_dword v191, off, s[0:3], 0 offset:780
	buffer_load_dword v148, off, s[0:3], 0 offset:756
	;; [unrolled: 1-line block ×3, first 2 shown]
	v_add_f64 v[143:144], v[155:156], v[143:144]
	s_waitcnt vmcnt(58) lgkmcnt(0)
	v_mul_f64 v[155:156], v[135:136], v[161:162]
	v_mul_f64 v[161:162], v[137:138], v[161:162]
	ds_read_b128 v[5:8], v187 offset:1552
	s_waitcnt vmcnt(56)
	v_fma_f64 v[157:158], v[1:2], v[163:164], -v[157:158]
	v_add_f64 v[139:140], v[139:140], v[153:154]
	v_fma_f64 v[153:154], v[3:4], v[163:164], v[219:220]
	v_add_f64 v[141:142], v[143:144], v[141:142]
	s_clause 0x4
	buffer_load_dword v144, off, s[0:3], 0 offset:796
	buffer_load_dword v163, off, s[0:3], 0 offset:808
	;; [unrolled: 1-line block ×5, first 2 shown]
	s_waitcnt vmcnt(57) lgkmcnt(0)
	v_mul_f64 v[219:220], v[5:6], v[165:166]
	v_mul_f64 v[165:166], v[7:8], v[165:166]
	s_waitcnt vmcnt(56)
	v_fma_f64 v[161:162], v[135:136], v[149:150], -v[161:162]
	ds_read_b128 v[1:4], v187 offset:1568
	v_fma_f64 v[149:150], v[137:138], v[149:150], v[155:156]
	v_add_f64 v[139:140], v[139:140], v[157:158]
	v_add_f64 v[141:142], v[141:142], v[153:154]
	s_clause 0x2
	buffer_load_dword v164, off, s[0:3], 0 offset:812
	buffer_load_dword v154, off, s[0:3], 0 offset:788
	;; [unrolled: 1-line block ×3, first 2 shown]
	ds_read_b128 v[135:138], v187 offset:1584
	s_waitcnt vmcnt(58) lgkmcnt(1)
	v_mul_f64 v[157:158], v[3:4], v[169:170]
	s_waitcnt vmcnt(56)
	v_fma_f64 v[165:166], v[5:6], v[171:172], -v[165:166]
	v_mul_f64 v[155:156], v[1:2], v[169:170]
	v_add_f64 v[139:140], v[139:140], v[161:162]
	v_fma_f64 v[161:162], v[7:8], v[171:172], v[219:220]
	v_add_f64 v[141:142], v[141:142], v[149:150]
	s_clause 0x4
	buffer_load_dword v150, off, s[0:3], 0 offset:828
	buffer_load_dword v169, off, s[0:3], 0 offset:840
	;; [unrolled: 1-line block ×5, first 2 shown]
	s_waitcnt vmcnt(57) lgkmcnt(0)
	v_mul_f64 v[219:220], v[135:136], v[173:174]
	v_mul_f64 v[172:173], v[137:138], v[173:174]
	s_waitcnt vmcnt(56)
	v_fma_f64 v[157:158], v[1:2], v[159:160], -v[157:158]
	ds_read_b128 v[5:8], v187 offset:1600
	v_fma_f64 v[155:156], v[3:4], v[159:160], v[155:156]
	s_clause 0x2
	buffer_load_dword v170, off, s[0:3], 0 offset:844
	buffer_load_dword v160, off, s[0:3], 0 offset:820
	;; [unrolled: 1-line block ×3, first 2 shown]
	ds_read_b128 v[1:4], v187 offset:1616
	v_add_f64 v[139:140], v[139:140], v[165:166]
	v_add_f64 v[141:142], v[141:142], v[161:162]
	s_waitcnt vmcnt(58) lgkmcnt(1)
	v_mul_f64 v[165:166], v[7:8], v[177:178]
	s_waitcnt vmcnt(56)
	v_fma_f64 v[173:174], v[135:136], v[179:180], -v[172:173]
	v_mul_f64 v[161:162], v[5:6], v[177:178]
	v_add_f64 v[139:140], v[139:140], v[157:158]
	v_fma_f64 v[157:158], v[137:138], v[179:180], v[219:220]
	v_add_f64 v[141:142], v[141:142], v[155:156]
	s_clause 0x4
	buffer_load_dword v156, off, s[0:3], 0 offset:860
	buffer_load_dword v177, off, s[0:3], 0 offset:872
	;; [unrolled: 1-line block ×5, first 2 shown]
	s_waitcnt vmcnt(57) lgkmcnt(0)
	v_mul_f64 v[219:220], v[1:2], v[181:182]
	v_mul_f64 v[180:181], v[3:4], v[181:182]
	s_waitcnt vmcnt(56)
	v_fma_f64 v[165:166], v[5:6], v[167:168], -v[165:166]
	ds_read_b128 v[135:138], v187 offset:1632
	v_fma_f64 v[161:162], v[7:8], v[167:168], v[161:162]
	v_add_f64 v[139:140], v[139:140], v[173:174]
	v_add_f64 v[141:142], v[141:142], v[157:158]
	s_clause 0x2
	buffer_load_dword v178, off, s[0:3], 0 offset:876
	buffer_load_dword v158, off, s[0:3], 0 offset:852
	;; [unrolled: 1-line block ×3, first 2 shown]
	ds_read_b128 v[5:8], v187 offset:1648
	s_waitcnt vmcnt(58) lgkmcnt(1)
	v_mul_f64 v[173:174], v[137:138], v[183:184]
	s_waitcnt vmcnt(56)
	v_fma_f64 v[181:182], v[1:2], v[185:186], -v[180:181]
	v_mul_f64 v[167:168], v[135:136], v[183:184]
	v_add_f64 v[139:140], v[139:140], v[165:166]
	v_fma_f64 v[165:166], v[3:4], v[185:186], v[219:220]
	v_add_f64 v[141:142], v[141:142], v[161:162]
	s_clause 0x4
	buffer_load_dword v162, off, s[0:3], 0 offset:892
	buffer_load_dword v183, off, s[0:3], 0 offset:904
	;; [unrolled: 1-line block ×5, first 2 shown]
	s_waitcnt vmcnt(57) lgkmcnt(0)
	v_mul_f64 v[219:220], v[5:6], v[204:205]
	v_mul_f64 v[204:205], v[7:8], v[204:205]
	s_waitcnt vmcnt(56)
	v_fma_f64 v[173:174], v[135:136], v[175:176], -v[173:174]
	ds_read_b128 v[1:4], v187 offset:1664
	v_fma_f64 v[167:168], v[137:138], v[175:176], v[167:168]
	v_add_f64 v[139:140], v[139:140], v[181:182]
	v_add_f64 v[141:142], v[141:142], v[165:166]
	s_clause 0x2
	buffer_load_dword v184, off, s[0:3], 0 offset:908
	buffer_load_dword v166, off, s[0:3], 0 offset:884
	;; [unrolled: 1-line block ×3, first 2 shown]
	ds_read_b128 v[135:138], v187 offset:1680
	s_waitcnt vmcnt(58) lgkmcnt(1)
	v_mul_f64 v[181:182], v[3:4], v[206:207]
	s_waitcnt vmcnt(56)
	v_fma_f64 v[204:205], v[5:6], v[211:212], -v[204:205]
	v_mul_f64 v[175:176], v[1:2], v[206:207]
	v_add_f64 v[139:140], v[139:140], v[173:174]
	v_fma_f64 v[173:174], v[7:8], v[211:212], v[219:220]
	v_add_f64 v[141:142], v[141:142], v[167:168]
	s_clause 0x4
	buffer_load_dword v168, off, s[0:3], 0 offset:924
	buffer_load_dword v206, off, s[0:3], 0 offset:936
	;; [unrolled: 1-line block ×5, first 2 shown]
	ds_read_b128 v[5:8], v187 offset:1696
	s_waitcnt vmcnt(57) lgkmcnt(1)
	v_mul_f64 v[211:212], v[135:136], v[198:199]
	v_mul_f64 v[198:199], v[137:138], v[198:199]
	s_waitcnt vmcnt(56)
	v_fma_f64 v[181:182], v[1:2], v[208:209], -v[181:182]
	v_fma_f64 v[175:176], v[3:4], v[208:209], v[175:176]
	v_add_f64 v[139:140], v[139:140], v[204:205]
	v_add_f64 v[141:142], v[141:142], v[173:174]
	s_clause 0x2
	buffer_load_dword v207, off, s[0:3], 0 offset:940
	buffer_load_dword v174, off, s[0:3], 0 offset:916
	;; [unrolled: 1-line block ×3, first 2 shown]
	ds_read_b128 v[1:4], v187 offset:1712
	s_waitcnt vmcnt(58) lgkmcnt(1)
	v_mul_f64 v[208:209], v[7:8], v[215:216]
	v_mul_f64 v[204:205], v[5:6], v[215:216]
	s_waitcnt vmcnt(56)
	v_fma_f64 v[198:199], v[135:136], v[192:193], -v[198:199]
	v_add_f64 v[139:140], v[139:140], v[181:182]
	v_fma_f64 v[181:182], v[137:138], v[192:193], v[211:212]
	v_add_f64 v[141:142], v[141:142], v[175:176]
	s_clause 0x4
	buffer_load_dword v176, off, s[0:3], 0 offset:956
	buffer_load_dword v192, off, s[0:3], 0 offset:968
	;; [unrolled: 1-line block ×5, first 2 shown]
	ds_read_b128 v[135:138], v187 offset:1728
	s_waitcnt vmcnt(57) lgkmcnt(1)
	v_mul_f64 v[219:220], v[1:2], v[151:152]
	v_mul_f64 v[151:152], v[3:4], v[151:152]
	s_waitcnt vmcnt(56)
	v_fma_f64 v[208:209], v[5:6], v[217:218], -v[208:209]
	v_add_f64 v[139:140], v[139:140], v[198:199]
	v_fma_f64 v[198:199], v[7:8], v[217:218], v[204:205]
	v_add_f64 v[141:142], v[141:142], v[181:182]
	s_clause 0x2
	buffer_load_dword v193, off, s[0:3], 0 offset:972
	buffer_load_dword v182, off, s[0:3], 0 offset:948
	;; [unrolled: 1-line block ×3, first 2 shown]
	ds_read_b128 v[5:8], v187 offset:1744
	s_waitcnt vmcnt(58) lgkmcnt(1)
	v_mul_f64 v[204:205], v[135:136], v[200:201]
	v_mul_f64 v[200:201], v[137:138], v[200:201]
	s_waitcnt vmcnt(56)
	v_fma_f64 v[151:152], v[1:2], v[145:146], -v[151:152]
	v_fma_f64 v[145:146], v[3:4], v[145:146], v[219:220]
	v_add_f64 v[139:140], v[139:140], v[208:209]
	v_add_f64 v[141:142], v[141:142], v[198:199]
	s_clause 0x4
	buffer_load_dword v199, off, s[0:3], 0 offset:988
	buffer_load_dword v208, off, s[0:3], 0 offset:1000
	;; [unrolled: 1-line block ×5, first 2 shown]
	ds_read_b128 v[1:4], v187 offset:1760
	s_waitcnt vmcnt(57) lgkmcnt(1)
	v_mul_f64 v[217:218], v[5:6], v[188:189]
	v_mul_f64 v[188:189], v[7:8], v[188:189]
	s_waitcnt vmcnt(56)
	v_fma_f64 v[200:201], v[135:136], v[213:214], -v[200:201]
	v_add_f64 v[139:140], v[139:140], v[151:152]
	v_fma_f64 v[151:152], v[137:138], v[213:214], v[204:205]
	v_add_f64 v[141:142], v[141:142], v[145:146]
	s_clause 0x2
	buffer_load_dword v209, off, s[0:3], 0 offset:1004
	buffer_load_dword v146, off, s[0:3], 0 offset:980
	;; [unrolled: 1-line block ×3, first 2 shown]
	ds_read_b128 v[135:138], v187 offset:1776
	s_waitcnt vmcnt(58) lgkmcnt(1)
	v_mul_f64 v[204:205], v[1:2], v[190:191]
	v_mul_f64 v[190:191], v[3:4], v[190:191]
	s_waitcnt vmcnt(56)
	v_fma_f64 v[188:189], v[5:6], v[147:148], -v[188:189]
	v_fma_f64 v[147:148], v[7:8], v[147:148], v[217:218]
	v_add_f64 v[139:140], v[139:140], v[200:201]
	v_add_f64 v[141:142], v[141:142], v[151:152]
	s_clause 0x2
	buffer_load_dword v152, off, s[0:3], 0 offset:1020
	buffer_load_dword v151, off, s[0:3], 0 offset:1016
	;; [unrolled: 1-line block ×3, first 2 shown]
	ds_read_b128 v[5:8], v187 offset:1792
	s_waitcnt vmcnt(55) lgkmcnt(1)
	v_mul_f64 v[200:201], v[135:136], v[143:144]
	v_mul_f64 v[143:144], v[137:138], v[143:144]
	s_waitcnt vmcnt(54)
	v_fma_f64 v[190:191], v[1:2], v[202:203], -v[190:191]
	v_add_f64 v[139:140], v[139:140], v[188:189]
	v_fma_f64 v[188:189], v[3:4], v[202:203], v[204:205]
	v_add_f64 v[141:142], v[141:142], v[147:148]
	s_clause 0x1
	buffer_load_dword v148, off, s[0:3], 0 offset:1012
	buffer_load_dword v147, off, s[0:3], 0 offset:1008
	ds_read_b128 v[1:4], v187 offset:1808
	s_waitcnt vmcnt(55) lgkmcnt(1)
	v_mul_f64 v[202:203], v[5:6], v[163:164]
	v_mul_f64 v[163:164], v[7:8], v[163:164]
	s_waitcnt vmcnt(53)
	v_fma_f64 v[143:144], v[135:136], v[153:154], -v[143:144]
	v_fma_f64 v[153:154], v[137:138], v[153:154], v[200:201]
	ds_read_b128 v[135:138], v187 offset:1824
	v_add_f64 v[139:140], v[139:140], v[190:191]
	v_add_f64 v[141:142], v[141:142], v[188:189]
	s_waitcnt vmcnt(49) lgkmcnt(1)
	v_mul_f64 v[188:189], v[1:2], v[149:150]
	v_mul_f64 v[149:150], v[3:4], v[149:150]
	s_waitcnt vmcnt(48)
	v_fma_f64 v[163:164], v[5:6], v[196:197], -v[163:164]
	v_add_f64 v[139:140], v[139:140], v[143:144]
	v_fma_f64 v[143:144], v[7:8], v[196:197], v[202:203]
	v_add_f64 v[141:142], v[141:142], v[153:154]
	s_clause 0x3
	buffer_load_dword v153, off, s[0:3], 0 offset:400
	buffer_load_dword v154, off, s[0:3], 0 offset:404
	;; [unrolled: 1-line block ×4, first 2 shown]
	s_waitcnt vmcnt(51) lgkmcnt(0)
	v_mul_f64 v[196:197], v[135:136], v[169:170]
	v_mul_f64 v[169:170], v[137:138], v[169:170]
	ds_read_b128 v[5:8], v187 offset:1840
	s_waitcnt vmcnt(49)
	v_fma_f64 v[149:150], v[1:2], v[159:160], -v[149:150]
	v_fma_f64 v[159:160], v[3:4], v[159:160], v[188:189]
	ds_read_b128 v[1:4], v187 offset:1856
	v_add_f64 v[139:140], v[139:140], v[163:164]
	v_add_f64 v[141:142], v[141:142], v[143:144]
	s_waitcnt vmcnt(45) lgkmcnt(1)
	v_mul_f64 v[143:144], v[5:6], v[155:156]
	v_mul_f64 v[155:156], v[7:8], v[155:156]
	s_waitcnt vmcnt(44)
	v_fma_f64 v[163:164], v[135:136], v[171:172], -v[169:170]
	v_add_f64 v[139:140], v[139:140], v[149:150]
	v_fma_f64 v[149:150], v[137:138], v[171:172], v[196:197]
	v_add_f64 v[141:142], v[141:142], v[159:160]
	ds_read_b128 v[135:138], v187 offset:1872
	s_waitcnt vmcnt(43) lgkmcnt(1)
	v_mul_f64 v[169:170], v[3:4], v[177:178]
	v_mul_f64 v[159:160], v[1:2], v[177:178]
	s_waitcnt vmcnt(41)
	v_fma_f64 v[155:156], v[5:6], v[157:158], -v[155:156]
	v_fma_f64 v[143:144], v[7:8], v[157:158], v[143:144]
	ds_read_b128 v[5:8], v187 offset:1888
	v_add_f64 v[139:140], v[139:140], v[163:164]
	v_add_f64 v[141:142], v[141:142], v[149:150]
	s_waitcnt vmcnt(37) lgkmcnt(1)
	v_mul_f64 v[149:150], v[135:136], v[161:162]
	v_mul_f64 v[157:158], v[137:138], v[161:162]
	s_waitcnt vmcnt(36)
	v_fma_f64 v[161:162], v[1:2], v[179:180], -v[169:170]
	v_add_f64 v[139:140], v[139:140], v[155:156]
	v_fma_f64 v[155:156], v[3:4], v[179:180], v[159:160]
	v_add_f64 v[141:142], v[141:142], v[143:144]
	ds_read_b128 v[1:4], v187 offset:1904
	s_waitcnt vmcnt(35) lgkmcnt(1)
	v_mul_f64 v[159:160], v[7:8], v[183:184]
	v_mul_f64 v[143:144], v[5:6], v[183:184]
	s_waitcnt vmcnt(33)
	v_fma_f64 v[157:158], v[135:136], v[165:166], -v[157:158]
	v_fma_f64 v[149:150], v[137:138], v[165:166], v[149:150]
	ds_read_b128 v[135:138], v187 offset:1920
	v_add_f64 v[139:140], v[139:140], v[161:162]
	v_add_f64 v[141:142], v[141:142], v[155:156]
	s_waitcnt vmcnt(29) lgkmcnt(1)
	v_mul_f64 v[161:162], v[3:4], v[167:168]
	s_waitcnt vmcnt(28)
	v_fma_f64 v[159:160], v[5:6], v[185:186], -v[159:160]
	v_mul_f64 v[155:156], v[1:2], v[167:168]
	v_fma_f64 v[143:144], v[7:8], v[185:186], v[143:144]
	ds_read_b128 v[5:8], v187 offset:1936
	v_add_f64 v[139:140], v[139:140], v[157:158]
	v_add_f64 v[141:142], v[141:142], v[149:150]
	s_waitcnt vmcnt(27) lgkmcnt(1)
	v_mul_f64 v[157:158], v[137:138], v[206:207]
	v_mul_f64 v[149:150], v[135:136], v[206:207]
	s_waitcnt vmcnt(25)
	v_fma_f64 v[161:162], v[1:2], v[173:174], -v[161:162]
	v_fma_f64 v[155:156], v[3:4], v[173:174], v[155:156]
	ds_read_b128 v[1:4], v187 offset:1952
	v_add_f64 v[139:140], v[139:140], v[159:160]
	v_add_f64 v[141:142], v[141:142], v[143:144]
	s_waitcnt vmcnt(21) lgkmcnt(1)
	v_mul_f64 v[159:160], v[7:8], v[175:176]
	s_waitcnt vmcnt(20)
	v_fma_f64 v[157:158], v[135:136], v[210:211], -v[157:158]
	v_mul_f64 v[143:144], v[5:6], v[175:176]
	v_fma_f64 v[149:150], v[137:138], v[210:211], v[149:150]
	ds_read_b128 v[135:138], v187 offset:1968
	v_add_f64 v[139:140], v[139:140], v[161:162]
	v_add_f64 v[141:142], v[141:142], v[155:156]
	;; [unrolled: 18-line block ×3, first 2 shown]
	s_waitcnt vmcnt(11) lgkmcnt(1)
	v_mul_f64 v[159:160], v[7:8], v[208:209]
	v_mul_f64 v[143:144], v[5:6], v[208:209]
	s_waitcnt vmcnt(9)
	v_fma_f64 v[135:136], v[135:136], v[145:146], -v[157:158]
	v_fma_f64 v[137:138], v[137:138], v[145:146], v[149:150]
	v_add_f64 v[139:140], v[139:140], v[161:162]
	v_add_f64 v[141:142], v[141:142], v[155:156]
	s_waitcnt vmcnt(7) lgkmcnt(0)
	v_mul_f64 v[149:150], v[3:4], v[151:152]
	s_waitcnt vmcnt(6)
	v_fma_f64 v[5:6], v[5:6], v[212:213], -v[159:160]
	v_mul_f64 v[145:146], v[1:2], v[151:152]
	v_fma_f64 v[7:8], v[7:8], v[212:213], v[143:144]
	v_add_f64 v[135:136], v[139:140], v[135:136]
	v_add_f64 v[137:138], v[141:142], v[137:138]
	s_waitcnt vmcnt(4)
	v_fma_f64 v[1:2], v[1:2], v[147:148], -v[149:150]
	v_fma_f64 v[3:4], v[3:4], v[147:148], v[145:146]
	v_add_f64 v[5:6], v[135:136], v[5:6]
	v_add_f64 v[7:8], v[137:138], v[7:8]
	;; [unrolled: 1-line block ×4, first 2 shown]
	s_waitcnt vmcnt(2)
	v_add_f64 v[1:2], v[153:154], -v[1:2]
	s_waitcnt vmcnt(0)
	v_add_f64 v[3:4], v[190:191], -v[3:4]
	buffer_store_dword v2, off, s[0:3], 0 offset:404
	buffer_store_dword v1, off, s[0:3], 0 offset:400
	;; [unrolled: 1-line block ×4, first 2 shown]
	v_cmpx_lt_u32_e32 23, v0
	s_cbranch_execz .LBB126_357
; %bb.356:
	v_mov_b32_e32 v4, s54
	v_mov_b32_e32 v5, 0
	s_clause 0x3
	buffer_load_dword v1, v4, s[0:3], 0 offen
	buffer_load_dword v2, v4, s[0:3], 0 offen offset:4
	buffer_load_dword v3, v4, s[0:3], 0 offen offset:8
	;; [unrolled: 1-line block ×3, first 2 shown]
	buffer_store_dword v5, off, s[0:3], 0 offset:384
	buffer_store_dword v5, off, s[0:3], 0 offset:388
	buffer_store_dword v5, off, s[0:3], 0 offset:392
	buffer_store_dword v5, off, s[0:3], 0 offset:396
	s_waitcnt vmcnt(0)
	ds_write_b128 v195, v[1:4]
.LBB126_357:
	s_or_b32 exec_lo, exec_lo, s4
	s_waitcnt lgkmcnt(0)
	s_waitcnt_vscnt null, 0x0
	s_barrier
	buffer_gl0_inv
	s_clause 0x37
	buffer_load_dword v135, off, s[0:3], 0 offset:408
	buffer_load_dword v136, off, s[0:3], 0 offset:412
	;; [unrolled: 1-line block ×56, first 2 shown]
	v_mov_b32_e32 v187, 0
	s_mov_b32 s4, exec_lo
	ds_read_b128 v[188:191], v187 offset:1392
	s_clause 0x2
	buffer_load_dword v184, off, s[0:3], 0 offset:636
	buffer_load_dword v186, off, s[0:3], 0 offset:612
	;; [unrolled: 1-line block ×3, first 2 shown]
	ds_read_b128 v[196:199], v187 offset:1408
	s_clause 0x4
	buffer_load_dword v205, off, s[0:3], 0 offset:652
	buffer_load_dword v206, off, s[0:3], 0 offset:664
	;; [unrolled: 1-line block ×5, first 2 shown]
	ds_read_b128 v[200:203], v187 offset:1424
	s_clause 0x2
	buffer_load_dword v207, off, s[0:3], 0 offset:668
	buffer_load_dword v212, off, s[0:3], 0 offset:644
	;; [unrolled: 1-line block ×3, first 2 shown]
	s_waitcnt vmcnt(62) lgkmcnt(2)
	v_mul_f64 v[192:193], v[190:191], v[135:136]
	v_mul_f64 v[135:136], v[188:189], v[135:136]
	s_waitcnt lgkmcnt(1)
	v_mul_f64 v[209:210], v[198:199], v[5:6]
	s_waitcnt vmcnt(59) lgkmcnt(0)
	v_mul_f64 v[213:214], v[202:203], v[3:4]
	v_fma_f64 v[188:189], v[188:189], v[7:8], -v[192:193]
	v_mul_f64 v[192:193], v[196:197], v[5:6]
	v_fma_f64 v[135:136], v[190:191], v[7:8], v[135:136]
	s_waitcnt vmcnt(57)
	v_fma_f64 v[196:197], v[196:197], v[1:2], -v[209:210]
	ds_read_b128 v[5:8], v187 offset:1440
	v_mul_f64 v[190:191], v[200:201], v[3:4]
	s_waitcnt vmcnt(51)
	v_fma_f64 v[200:201], v[200:201], v[151:152], -v[213:214]
	v_add_f64 v[188:189], v[188:189], 0
	v_fma_f64 v[192:193], v[198:199], v[1:2], v[192:193]
	v_add_f64 v[135:136], v[135:136], 0
	s_clause 0x4
	buffer_load_dword v199, off, s[0:3], 0 offset:684
	buffer_load_dword v215, off, s[0:3], 0 offset:696
	;; [unrolled: 1-line block ×5, first 2 shown]
	s_waitcnt lgkmcnt(0)
	v_mul_f64 v[218:219], v[5:6], v[139:140]
	v_mul_f64 v[139:140], v[7:8], v[139:140]
	ds_read_b128 v[1:4], v187 offset:1456
	v_fma_f64 v[151:152], v[202:203], v[151:152], v[190:191]
	v_add_f64 v[196:197], v[188:189], v[196:197]
	v_add_f64 v[135:136], v[135:136], v[192:193]
	s_clause 0x2
	buffer_load_dword v216, off, s[0:3], 0 offset:700
	buffer_load_dword v193, off, s[0:3], 0 offset:676
	;; [unrolled: 1-line block ×3, first 2 shown]
	s_waitcnt vmcnt(58) lgkmcnt(0)
	v_mul_f64 v[202:203], v[1:2], v[143:144]
	v_mul_f64 v[143:144], v[3:4], v[143:144]
	s_waitcnt vmcnt(56)
	v_fma_f64 v[139:140], v[5:6], v[145:146], -v[139:140]
	ds_read_b128 v[188:191], v187 offset:1472
	v_fma_f64 v[145:146], v[7:8], v[145:146], v[218:219]
	v_add_f64 v[196:197], v[196:197], v[200:201]
	v_add_f64 v[135:136], v[135:136], v[151:152]
	s_clause 0x4
	buffer_load_dword v152, off, s[0:3], 0 offset:716
	buffer_load_dword v200, off, s[0:3], 0 offset:728
	;; [unrolled: 1-line block ×5, first 2 shown]
	ds_read_b128 v[5:8], v187 offset:1488
	s_waitcnt vmcnt(57) lgkmcnt(1)
	v_mul_f64 v[219:220], v[188:189], v[147:148]
	v_mul_f64 v[147:148], v[190:191], v[147:148]
	s_waitcnt vmcnt(56)
	v_fma_f64 v[143:144], v[1:2], v[137:138], -v[143:144]
	v_fma_f64 v[137:138], v[3:4], v[137:138], v[202:203]
	v_add_f64 v[139:140], v[196:197], v[139:140]
	v_add_f64 v[135:136], v[135:136], v[145:146]
	s_clause 0x2
	buffer_load_dword v201, off, s[0:3], 0 offset:732
	buffer_load_dword v146, off, s[0:3], 0 offset:708
	;; [unrolled: 1-line block ×3, first 2 shown]
	s_waitcnt vmcnt(58) lgkmcnt(0)
	v_mul_f64 v[196:197], v[5:6], v[153:154]
	v_mul_f64 v[153:154], v[7:8], v[153:154]
	s_waitcnt vmcnt(56)
	v_fma_f64 v[147:148], v[188:189], v[155:156], -v[147:148]
	ds_read_b128 v[1:4], v187 offset:1504
	v_add_f64 v[139:140], v[139:140], v[143:144]
	v_fma_f64 v[143:144], v[190:191], v[155:156], v[219:220]
	v_add_f64 v[155:156], v[135:136], v[137:138]
	s_clause 0x4
	buffer_load_dword v189, off, s[0:3], 0 offset:748
	buffer_load_dword v190, off, s[0:3], 0 offset:760
	;; [unrolled: 1-line block ×5, first 2 shown]
	ds_read_b128 v[135:138], v187 offset:1520
	s_waitcnt vmcnt(57) lgkmcnt(1)
	v_mul_f64 v[219:220], v[1:2], v[157:158]
	v_mul_f64 v[157:158], v[3:4], v[157:158]
	s_waitcnt vmcnt(56)
	v_fma_f64 v[153:154], v[5:6], v[141:142], -v[153:154]
	v_fma_f64 v[141:142], v[7:8], v[141:142], v[196:197]
	v_add_f64 v[139:140], v[139:140], v[147:148]
	s_clause 0x2
	buffer_load_dword v191, off, s[0:3], 0 offset:764
	buffer_load_dword v148, off, s[0:3], 0 offset:740
	;; [unrolled: 1-line block ×3, first 2 shown]
	v_add_f64 v[143:144], v[155:156], v[143:144]
	s_waitcnt vmcnt(58) lgkmcnt(0)
	v_mul_f64 v[155:156], v[135:136], v[161:162]
	v_mul_f64 v[161:162], v[137:138], v[161:162]
	ds_read_b128 v[5:8], v187 offset:1536
	s_waitcnt vmcnt(56)
	v_fma_f64 v[157:158], v[1:2], v[163:164], -v[157:158]
	v_add_f64 v[139:140], v[139:140], v[153:154]
	v_fma_f64 v[153:154], v[3:4], v[163:164], v[219:220]
	v_add_f64 v[141:142], v[143:144], v[141:142]
	s_clause 0x4
	buffer_load_dword v144, off, s[0:3], 0 offset:780
	buffer_load_dword v163, off, s[0:3], 0 offset:792
	;; [unrolled: 1-line block ×5, first 2 shown]
	s_waitcnt vmcnt(57) lgkmcnt(0)
	v_mul_f64 v[219:220], v[5:6], v[165:166]
	v_mul_f64 v[165:166], v[7:8], v[165:166]
	s_waitcnt vmcnt(56)
	v_fma_f64 v[161:162], v[135:136], v[149:150], -v[161:162]
	ds_read_b128 v[1:4], v187 offset:1552
	v_fma_f64 v[149:150], v[137:138], v[149:150], v[155:156]
	v_add_f64 v[139:140], v[139:140], v[157:158]
	v_add_f64 v[141:142], v[141:142], v[153:154]
	s_clause 0x2
	buffer_load_dword v164, off, s[0:3], 0 offset:796
	buffer_load_dword v154, off, s[0:3], 0 offset:772
	;; [unrolled: 1-line block ×3, first 2 shown]
	ds_read_b128 v[135:138], v187 offset:1568
	s_waitcnt vmcnt(58) lgkmcnt(1)
	v_mul_f64 v[157:158], v[3:4], v[169:170]
	s_waitcnt vmcnt(56)
	v_fma_f64 v[165:166], v[5:6], v[171:172], -v[165:166]
	v_mul_f64 v[155:156], v[1:2], v[169:170]
	v_add_f64 v[139:140], v[139:140], v[161:162]
	v_fma_f64 v[161:162], v[7:8], v[171:172], v[219:220]
	v_add_f64 v[141:142], v[141:142], v[149:150]
	s_clause 0x4
	buffer_load_dword v150, off, s[0:3], 0 offset:812
	buffer_load_dword v169, off, s[0:3], 0 offset:824
	;; [unrolled: 1-line block ×5, first 2 shown]
	s_waitcnt vmcnt(57) lgkmcnt(0)
	v_mul_f64 v[219:220], v[135:136], v[173:174]
	v_mul_f64 v[172:173], v[137:138], v[173:174]
	s_waitcnt vmcnt(56)
	v_fma_f64 v[157:158], v[1:2], v[159:160], -v[157:158]
	ds_read_b128 v[5:8], v187 offset:1584
	v_fma_f64 v[155:156], v[3:4], v[159:160], v[155:156]
	s_clause 0x2
	buffer_load_dword v170, off, s[0:3], 0 offset:828
	buffer_load_dword v160, off, s[0:3], 0 offset:804
	;; [unrolled: 1-line block ×3, first 2 shown]
	ds_read_b128 v[1:4], v187 offset:1600
	v_add_f64 v[139:140], v[139:140], v[165:166]
	v_add_f64 v[141:142], v[141:142], v[161:162]
	s_waitcnt vmcnt(58) lgkmcnt(1)
	v_mul_f64 v[165:166], v[7:8], v[177:178]
	s_waitcnt vmcnt(56)
	v_fma_f64 v[173:174], v[135:136], v[179:180], -v[172:173]
	v_mul_f64 v[161:162], v[5:6], v[177:178]
	v_add_f64 v[139:140], v[139:140], v[157:158]
	v_fma_f64 v[157:158], v[137:138], v[179:180], v[219:220]
	v_add_f64 v[141:142], v[141:142], v[155:156]
	s_clause 0x4
	buffer_load_dword v156, off, s[0:3], 0 offset:844
	buffer_load_dword v177, off, s[0:3], 0 offset:856
	;; [unrolled: 1-line block ×5, first 2 shown]
	s_waitcnt vmcnt(57) lgkmcnt(0)
	v_mul_f64 v[219:220], v[1:2], v[181:182]
	v_mul_f64 v[180:181], v[3:4], v[181:182]
	s_waitcnt vmcnt(56)
	v_fma_f64 v[165:166], v[5:6], v[167:168], -v[165:166]
	ds_read_b128 v[135:138], v187 offset:1616
	v_fma_f64 v[161:162], v[7:8], v[167:168], v[161:162]
	v_add_f64 v[139:140], v[139:140], v[173:174]
	v_add_f64 v[141:142], v[141:142], v[157:158]
	s_clause 0x2
	buffer_load_dword v178, off, s[0:3], 0 offset:860
	buffer_load_dword v158, off, s[0:3], 0 offset:836
	buffer_load_dword v157, off, s[0:3], 0 offset:832
	ds_read_b128 v[5:8], v187 offset:1632
	s_waitcnt vmcnt(58) lgkmcnt(1)
	v_mul_f64 v[173:174], v[137:138], v[183:184]
	s_waitcnt vmcnt(56)
	v_fma_f64 v[181:182], v[1:2], v[185:186], -v[180:181]
	v_mul_f64 v[167:168], v[135:136], v[183:184]
	v_add_f64 v[139:140], v[139:140], v[165:166]
	v_fma_f64 v[165:166], v[3:4], v[185:186], v[219:220]
	v_add_f64 v[141:142], v[141:142], v[161:162]
	s_clause 0x4
	buffer_load_dword v162, off, s[0:3], 0 offset:876
	buffer_load_dword v183, off, s[0:3], 0 offset:888
	;; [unrolled: 1-line block ×5, first 2 shown]
	s_waitcnt vmcnt(57) lgkmcnt(0)
	v_mul_f64 v[219:220], v[5:6], v[204:205]
	v_mul_f64 v[204:205], v[7:8], v[204:205]
	s_waitcnt vmcnt(56)
	v_fma_f64 v[173:174], v[135:136], v[175:176], -v[173:174]
	ds_read_b128 v[1:4], v187 offset:1648
	v_fma_f64 v[167:168], v[137:138], v[175:176], v[167:168]
	v_add_f64 v[139:140], v[139:140], v[181:182]
	v_add_f64 v[141:142], v[141:142], v[165:166]
	s_clause 0x2
	buffer_load_dword v184, off, s[0:3], 0 offset:892
	buffer_load_dword v166, off, s[0:3], 0 offset:868
	;; [unrolled: 1-line block ×3, first 2 shown]
	ds_read_b128 v[135:138], v187 offset:1664
	s_waitcnt vmcnt(58) lgkmcnt(1)
	v_mul_f64 v[181:182], v[3:4], v[206:207]
	s_waitcnt vmcnt(56)
	v_fma_f64 v[204:205], v[5:6], v[211:212], -v[204:205]
	v_mul_f64 v[175:176], v[1:2], v[206:207]
	v_add_f64 v[139:140], v[139:140], v[173:174]
	v_fma_f64 v[173:174], v[7:8], v[211:212], v[219:220]
	v_add_f64 v[141:142], v[141:142], v[167:168]
	s_clause 0x4
	buffer_load_dword v168, off, s[0:3], 0 offset:908
	buffer_load_dword v206, off, s[0:3], 0 offset:920
	;; [unrolled: 1-line block ×5, first 2 shown]
	ds_read_b128 v[5:8], v187 offset:1680
	s_waitcnt vmcnt(57) lgkmcnt(1)
	v_mul_f64 v[211:212], v[135:136], v[198:199]
	v_mul_f64 v[198:199], v[137:138], v[198:199]
	s_waitcnt vmcnt(56)
	v_fma_f64 v[181:182], v[1:2], v[208:209], -v[181:182]
	v_fma_f64 v[175:176], v[3:4], v[208:209], v[175:176]
	v_add_f64 v[139:140], v[139:140], v[204:205]
	v_add_f64 v[141:142], v[141:142], v[173:174]
	s_clause 0x2
	buffer_load_dword v207, off, s[0:3], 0 offset:924
	buffer_load_dword v174, off, s[0:3], 0 offset:900
	;; [unrolled: 1-line block ×3, first 2 shown]
	ds_read_b128 v[1:4], v187 offset:1696
	s_waitcnt vmcnt(58) lgkmcnt(1)
	v_mul_f64 v[208:209], v[7:8], v[215:216]
	v_mul_f64 v[204:205], v[5:6], v[215:216]
	s_waitcnt vmcnt(56)
	v_fma_f64 v[198:199], v[135:136], v[192:193], -v[198:199]
	v_add_f64 v[139:140], v[139:140], v[181:182]
	v_fma_f64 v[181:182], v[137:138], v[192:193], v[211:212]
	v_add_f64 v[141:142], v[141:142], v[175:176]
	s_clause 0x4
	buffer_load_dword v176, off, s[0:3], 0 offset:940
	buffer_load_dword v192, off, s[0:3], 0 offset:952
	;; [unrolled: 1-line block ×5, first 2 shown]
	ds_read_b128 v[135:138], v187 offset:1712
	s_waitcnt vmcnt(57) lgkmcnt(1)
	v_mul_f64 v[219:220], v[1:2], v[151:152]
	v_mul_f64 v[151:152], v[3:4], v[151:152]
	s_waitcnt vmcnt(56)
	v_fma_f64 v[208:209], v[5:6], v[217:218], -v[208:209]
	v_add_f64 v[139:140], v[139:140], v[198:199]
	v_fma_f64 v[198:199], v[7:8], v[217:218], v[204:205]
	v_add_f64 v[141:142], v[141:142], v[181:182]
	s_clause 0x2
	buffer_load_dword v193, off, s[0:3], 0 offset:956
	buffer_load_dword v182, off, s[0:3], 0 offset:932
	;; [unrolled: 1-line block ×3, first 2 shown]
	ds_read_b128 v[5:8], v187 offset:1728
	s_waitcnt vmcnt(58) lgkmcnt(1)
	v_mul_f64 v[204:205], v[135:136], v[200:201]
	v_mul_f64 v[200:201], v[137:138], v[200:201]
	s_waitcnt vmcnt(56)
	v_fma_f64 v[151:152], v[1:2], v[145:146], -v[151:152]
	v_fma_f64 v[145:146], v[3:4], v[145:146], v[219:220]
	v_add_f64 v[139:140], v[139:140], v[208:209]
	v_add_f64 v[141:142], v[141:142], v[198:199]
	s_clause 0x4
	buffer_load_dword v199, off, s[0:3], 0 offset:972
	buffer_load_dword v208, off, s[0:3], 0 offset:984
	;; [unrolled: 1-line block ×5, first 2 shown]
	ds_read_b128 v[1:4], v187 offset:1744
	s_waitcnt vmcnt(57) lgkmcnt(1)
	v_mul_f64 v[217:218], v[5:6], v[188:189]
	v_mul_f64 v[188:189], v[7:8], v[188:189]
	s_waitcnt vmcnt(56)
	v_fma_f64 v[200:201], v[135:136], v[213:214], -v[200:201]
	v_add_f64 v[139:140], v[139:140], v[151:152]
	v_fma_f64 v[151:152], v[137:138], v[213:214], v[204:205]
	v_add_f64 v[141:142], v[141:142], v[145:146]
	s_clause 0x2
	buffer_load_dword v209, off, s[0:3], 0 offset:988
	buffer_load_dword v146, off, s[0:3], 0 offset:964
	;; [unrolled: 1-line block ×3, first 2 shown]
	ds_read_b128 v[135:138], v187 offset:1760
	s_waitcnt vmcnt(58) lgkmcnt(1)
	v_mul_f64 v[204:205], v[1:2], v[190:191]
	v_mul_f64 v[190:191], v[3:4], v[190:191]
	s_waitcnt vmcnt(56)
	v_fma_f64 v[188:189], v[5:6], v[147:148], -v[188:189]
	v_fma_f64 v[147:148], v[7:8], v[147:148], v[217:218]
	v_add_f64 v[139:140], v[139:140], v[200:201]
	v_add_f64 v[141:142], v[141:142], v[151:152]
	s_clause 0x4
	buffer_load_dword v152, off, s[0:3], 0 offset:1004
	buffer_load_dword v200, off, s[0:3], 0 offset:1016
	;; [unrolled: 1-line block ×5, first 2 shown]
	ds_read_b128 v[5:8], v187 offset:1776
	s_waitcnt vmcnt(57) lgkmcnt(1)
	v_mul_f64 v[218:219], v[135:136], v[143:144]
	v_mul_f64 v[143:144], v[137:138], v[143:144]
	s_waitcnt vmcnt(56)
	v_fma_f64 v[190:191], v[1:2], v[202:203], -v[190:191]
	v_add_f64 v[139:140], v[139:140], v[188:189]
	v_fma_f64 v[188:189], v[3:4], v[202:203], v[204:205]
	v_add_f64 v[141:142], v[141:142], v[147:148]
	s_clause 0x2
	buffer_load_dword v201, off, s[0:3], 0 offset:1020
	buffer_load_dword v148, off, s[0:3], 0 offset:996
	;; [unrolled: 1-line block ×3, first 2 shown]
	ds_read_b128 v[1:4], v187 offset:1792
	s_waitcnt vmcnt(58) lgkmcnt(1)
	v_mul_f64 v[202:203], v[5:6], v[163:164]
	v_mul_f64 v[163:164], v[7:8], v[163:164]
	s_waitcnt vmcnt(56)
	v_fma_f64 v[143:144], v[135:136], v[153:154], -v[143:144]
	v_fma_f64 v[153:154], v[137:138], v[153:154], v[218:219]
	buffer_load_dword v218, off, s[0:3], 0 offset:1012
	ds_read_b128 v[135:138], v187 offset:1808
	v_add_f64 v[139:140], v[139:140], v[190:191]
	v_add_f64 v[141:142], v[141:142], v[188:189]
	s_waitcnt vmcnt(53) lgkmcnt(1)
	v_mul_f64 v[188:189], v[1:2], v[149:150]
	v_mul_f64 v[149:150], v[3:4], v[149:150]
	s_waitcnt vmcnt(52)
	v_fma_f64 v[163:164], v[5:6], v[196:197], -v[163:164]
	v_add_f64 v[139:140], v[139:140], v[143:144]
	v_fma_f64 v[143:144], v[7:8], v[196:197], v[202:203]
	v_add_f64 v[141:142], v[141:142], v[153:154]
	s_waitcnt vmcnt(51) lgkmcnt(0)
	v_mul_f64 v[153:154], v[135:136], v[169:170]
	v_mul_f64 v[169:170], v[137:138], v[169:170]
	ds_read_b128 v[5:8], v187 offset:1824
	s_waitcnt vmcnt(49)
	v_fma_f64 v[149:150], v[1:2], v[159:160], -v[149:150]
	v_fma_f64 v[159:160], v[3:4], v[159:160], v[188:189]
	v_add_f64 v[139:140], v[139:140], v[163:164]
	v_add_f64 v[141:142], v[141:142], v[143:144]
	s_clause 0x3
	buffer_load_dword v143, off, s[0:3], 0 offset:384
	buffer_load_dword v144, off, s[0:3], 0 offset:388
	;; [unrolled: 1-line block ×4, first 2 shown]
	ds_read_b128 v[1:4], v187 offset:1840
	s_waitcnt vmcnt(49) lgkmcnt(1)
	v_mul_f64 v[188:189], v[5:6], v[155:156]
	v_mul_f64 v[155:156], v[7:8], v[155:156]
	s_waitcnt vmcnt(48)
	v_fma_f64 v[169:170], v[135:136], v[171:172], -v[169:170]
	v_add_f64 v[139:140], v[139:140], v[149:150]
	v_fma_f64 v[149:150], v[137:138], v[171:172], v[153:154]
	v_add_f64 v[141:142], v[141:142], v[159:160]
	ds_read_b128 v[135:138], v187 offset:1856
	s_waitcnt vmcnt(47) lgkmcnt(1)
	v_mul_f64 v[159:160], v[3:4], v[177:178]
	v_mul_f64 v[153:154], v[1:2], v[177:178]
	s_waitcnt vmcnt(45)
	v_fma_f64 v[155:156], v[5:6], v[157:158], -v[155:156]
	v_fma_f64 v[157:158], v[7:8], v[157:158], v[188:189]
	ds_read_b128 v[5:8], v187 offset:1872
	v_add_f64 v[139:140], v[139:140], v[169:170]
	v_add_f64 v[141:142], v[141:142], v[149:150]
	s_waitcnt vmcnt(41) lgkmcnt(1)
	v_mul_f64 v[149:150], v[135:136], v[161:162]
	v_mul_f64 v[161:162], v[137:138], v[161:162]
	s_waitcnt vmcnt(40)
	v_fma_f64 v[159:160], v[1:2], v[179:180], -v[159:160]
	v_fma_f64 v[153:154], v[3:4], v[179:180], v[153:154]
	ds_read_b128 v[1:4], v187 offset:1888
	v_add_f64 v[139:140], v[139:140], v[155:156]
	v_add_f64 v[141:142], v[141:142], v[157:158]
	s_waitcnt vmcnt(39) lgkmcnt(1)
	v_mul_f64 v[157:158], v[7:8], v[183:184]
	v_mul_f64 v[155:156], v[5:6], v[183:184]
	s_waitcnt vmcnt(37)
	v_fma_f64 v[161:162], v[135:136], v[165:166], -v[161:162]
	v_fma_f64 v[149:150], v[137:138], v[165:166], v[149:150]
	ds_read_b128 v[135:138], v187 offset:1904
	v_add_f64 v[139:140], v[139:140], v[159:160]
	v_add_f64 v[141:142], v[141:142], v[153:154]
	s_waitcnt vmcnt(33) lgkmcnt(1)
	v_mul_f64 v[159:160], v[3:4], v[167:168]
	s_waitcnt vmcnt(32)
	v_fma_f64 v[157:158], v[5:6], v[185:186], -v[157:158]
	v_mul_f64 v[153:154], v[1:2], v[167:168]
	v_fma_f64 v[155:156], v[7:8], v[185:186], v[155:156]
	ds_read_b128 v[5:8], v187 offset:1920
	v_add_f64 v[139:140], v[139:140], v[161:162]
	v_add_f64 v[141:142], v[141:142], v[149:150]
	s_waitcnt vmcnt(31) lgkmcnt(1)
	v_mul_f64 v[161:162], v[137:138], v[206:207]
	v_mul_f64 v[149:150], v[135:136], v[206:207]
	s_waitcnt vmcnt(29)
	v_fma_f64 v[159:160], v[1:2], v[173:174], -v[159:160]
	v_fma_f64 v[153:154], v[3:4], v[173:174], v[153:154]
	ds_read_b128 v[1:4], v187 offset:1936
	v_add_f64 v[139:140], v[139:140], v[157:158]
	v_add_f64 v[141:142], v[141:142], v[155:156]
	s_waitcnt vmcnt(25) lgkmcnt(1)
	v_mul_f64 v[157:158], v[7:8], v[175:176]
	s_waitcnt vmcnt(24)
	v_fma_f64 v[161:162], v[135:136], v[210:211], -v[161:162]
	v_mul_f64 v[155:156], v[5:6], v[175:176]
	v_fma_f64 v[149:150], v[137:138], v[210:211], v[149:150]
	ds_read_b128 v[135:138], v187 offset:1952
	v_add_f64 v[139:140], v[139:140], v[159:160]
	v_add_f64 v[141:142], v[141:142], v[153:154]
	s_waitcnt vmcnt(23) lgkmcnt(1)
	v_mul_f64 v[159:160], v[3:4], v[192:193]
	v_mul_f64 v[153:154], v[1:2], v[192:193]
	s_waitcnt vmcnt(21)
	v_fma_f64 v[157:158], v[5:6], v[181:182], -v[157:158]
	v_fma_f64 v[155:156], v[7:8], v[181:182], v[155:156]
	ds_read_b128 v[5:8], v187 offset:1968
	v_add_f64 v[139:140], v[139:140], v[161:162]
	v_add_f64 v[141:142], v[141:142], v[149:150]
	;; [unrolled: 18-line block ×3, first 2 shown]
	s_waitcnt vmcnt(9) lgkmcnt(1)
	v_mul_f64 v[149:150], v[1:2], v[151:152]
	v_mul_f64 v[151:152], v[3:4], v[151:152]
	s_waitcnt vmcnt(8)
	v_fma_f64 v[5:6], v[5:6], v[212:213], -v[157:158]
	v_fma_f64 v[7:8], v[7:8], v[212:213], v[155:156]
	v_add_f64 v[139:140], v[139:140], v[161:162]
	v_add_f64 v[141:142], v[141:142], v[145:146]
	s_waitcnt vmcnt(7) lgkmcnt(0)
	v_mul_f64 v[153:154], v[137:138], v[200:201]
	v_mul_f64 v[145:146], v[135:136], v[200:201]
	s_waitcnt vmcnt(5)
	v_fma_f64 v[1:2], v[1:2], v[147:148], -v[151:152]
	v_fma_f64 v[3:4], v[3:4], v[147:148], v[149:150]
	v_add_f64 v[5:6], v[139:140], v[5:6]
	v_add_f64 v[7:8], v[141:142], v[7:8]
	s_waitcnt vmcnt(4)
	v_fma_f64 v[135:136], v[135:136], v[217:218], -v[153:154]
	v_add_f64 v[1:2], v[5:6], v[1:2]
	v_fma_f64 v[5:6], v[137:138], v[217:218], v[145:146]
	v_add_f64 v[3:4], v[7:8], v[3:4]
	v_add_f64 v[1:2], v[1:2], v[135:136]
	;; [unrolled: 1-line block ×3, first 2 shown]
	s_waitcnt vmcnt(2)
	v_add_f64 v[1:2], v[143:144], -v[1:2]
	s_waitcnt vmcnt(0)
	v_add_f64 v[3:4], v[163:164], -v[3:4]
	buffer_store_dword v2, off, s[0:3], 0 offset:388
	buffer_store_dword v1, off, s[0:3], 0 offset:384
	;; [unrolled: 1-line block ×4, first 2 shown]
	v_cmpx_lt_u32_e32 22, v0
	s_cbranch_execz .LBB126_359
; %bb.358:
	v_mov_b32_e32 v4, s55
	s_clause 0x3
	buffer_load_dword v1, v4, s[0:3], 0 offen
	buffer_load_dword v2, v4, s[0:3], 0 offen offset:4
	buffer_load_dword v3, v4, s[0:3], 0 offen offset:8
	;; [unrolled: 1-line block ×3, first 2 shown]
	buffer_store_dword v187, off, s[0:3], 0 offset:368
	buffer_store_dword v187, off, s[0:3], 0 offset:372
	;; [unrolled: 1-line block ×4, first 2 shown]
	s_waitcnt vmcnt(0)
	ds_write_b128 v195, v[1:4]
.LBB126_359:
	s_or_b32 exec_lo, exec_lo, s4
	s_waitcnt lgkmcnt(0)
	s_waitcnt_vscnt null, 0x0
	s_barrier
	buffer_gl0_inv
	s_clause 0x37
	buffer_load_dword v135, off, s[0:3], 0 offset:392
	buffer_load_dword v136, off, s[0:3], 0 offset:396
	;; [unrolled: 1-line block ×56, first 2 shown]
	ds_read_b128 v[188:191], v187 offset:1376
	s_clause 0x2
	buffer_load_dword v184, off, s[0:3], 0 offset:620
	buffer_load_dword v186, off, s[0:3], 0 offset:596
	buffer_load_dword v185, off, s[0:3], 0 offset:592
	ds_read_b128 v[196:199], v187 offset:1392
	s_clause 0x4
	buffer_load_dword v205, off, s[0:3], 0 offset:636
	buffer_load_dword v206, off, s[0:3], 0 offset:648
	;; [unrolled: 1-line block ×5, first 2 shown]
	ds_read_b128 v[200:203], v187 offset:1408
	s_clause 0x2
	buffer_load_dword v207, off, s[0:3], 0 offset:652
	buffer_load_dword v212, off, s[0:3], 0 offset:628
	;; [unrolled: 1-line block ×3, first 2 shown]
	s_mov_b32 s4, exec_lo
	s_waitcnt vmcnt(62) lgkmcnt(2)
	v_mul_f64 v[192:193], v[190:191], v[135:136]
	v_mul_f64 v[135:136], v[188:189], v[135:136]
	s_waitcnt lgkmcnt(1)
	v_mul_f64 v[209:210], v[198:199], v[5:6]
	s_waitcnt vmcnt(59) lgkmcnt(0)
	v_mul_f64 v[213:214], v[202:203], v[3:4]
	v_fma_f64 v[188:189], v[188:189], v[7:8], -v[192:193]
	v_mul_f64 v[192:193], v[196:197], v[5:6]
	v_fma_f64 v[135:136], v[190:191], v[7:8], v[135:136]
	s_waitcnt vmcnt(57)
	v_fma_f64 v[196:197], v[196:197], v[1:2], -v[209:210]
	ds_read_b128 v[5:8], v187 offset:1424
	v_mul_f64 v[190:191], v[200:201], v[3:4]
	s_waitcnt vmcnt(51)
	v_fma_f64 v[200:201], v[200:201], v[151:152], -v[213:214]
	v_add_f64 v[188:189], v[188:189], 0
	v_fma_f64 v[192:193], v[198:199], v[1:2], v[192:193]
	v_add_f64 v[135:136], v[135:136], 0
	s_clause 0x4
	buffer_load_dword v199, off, s[0:3], 0 offset:668
	buffer_load_dword v215, off, s[0:3], 0 offset:680
	;; [unrolled: 1-line block ×5, first 2 shown]
	s_waitcnt lgkmcnt(0)
	v_mul_f64 v[218:219], v[5:6], v[139:140]
	v_mul_f64 v[139:140], v[7:8], v[139:140]
	ds_read_b128 v[1:4], v187 offset:1440
	v_fma_f64 v[151:152], v[202:203], v[151:152], v[190:191]
	v_add_f64 v[196:197], v[188:189], v[196:197]
	v_add_f64 v[135:136], v[135:136], v[192:193]
	s_clause 0x2
	buffer_load_dword v216, off, s[0:3], 0 offset:684
	buffer_load_dword v193, off, s[0:3], 0 offset:660
	;; [unrolled: 1-line block ×3, first 2 shown]
	s_waitcnt vmcnt(58) lgkmcnt(0)
	v_mul_f64 v[202:203], v[1:2], v[143:144]
	v_mul_f64 v[143:144], v[3:4], v[143:144]
	s_waitcnt vmcnt(56)
	v_fma_f64 v[139:140], v[5:6], v[145:146], -v[139:140]
	ds_read_b128 v[188:191], v187 offset:1456
	v_fma_f64 v[145:146], v[7:8], v[145:146], v[218:219]
	v_add_f64 v[196:197], v[196:197], v[200:201]
	v_add_f64 v[135:136], v[135:136], v[151:152]
	s_clause 0x4
	buffer_load_dword v152, off, s[0:3], 0 offset:700
	buffer_load_dword v200, off, s[0:3], 0 offset:712
	buffer_load_dword v213, off, s[0:3], 0 offset:704
	buffer_load_dword v151, off, s[0:3], 0 offset:696
	buffer_load_dword v218, off, s[0:3], 0 offset:676
	ds_read_b128 v[5:8], v187 offset:1472
	s_waitcnt vmcnt(57) lgkmcnt(1)
	v_mul_f64 v[219:220], v[188:189], v[147:148]
	v_mul_f64 v[147:148], v[190:191], v[147:148]
	s_waitcnt vmcnt(56)
	v_fma_f64 v[143:144], v[1:2], v[137:138], -v[143:144]
	v_fma_f64 v[137:138], v[3:4], v[137:138], v[202:203]
	v_add_f64 v[139:140], v[196:197], v[139:140]
	v_add_f64 v[135:136], v[135:136], v[145:146]
	s_clause 0x2
	buffer_load_dword v201, off, s[0:3], 0 offset:716
	buffer_load_dword v146, off, s[0:3], 0 offset:692
	;; [unrolled: 1-line block ×3, first 2 shown]
	s_waitcnt vmcnt(58) lgkmcnt(0)
	v_mul_f64 v[196:197], v[5:6], v[153:154]
	v_mul_f64 v[153:154], v[7:8], v[153:154]
	s_waitcnt vmcnt(56)
	v_fma_f64 v[147:148], v[188:189], v[155:156], -v[147:148]
	ds_read_b128 v[1:4], v187 offset:1488
	v_add_f64 v[139:140], v[139:140], v[143:144]
	v_fma_f64 v[143:144], v[190:191], v[155:156], v[219:220]
	v_add_f64 v[155:156], v[135:136], v[137:138]
	s_clause 0x4
	buffer_load_dword v189, off, s[0:3], 0 offset:732
	buffer_load_dword v190, off, s[0:3], 0 offset:744
	;; [unrolled: 1-line block ×5, first 2 shown]
	ds_read_b128 v[135:138], v187 offset:1504
	s_waitcnt vmcnt(57) lgkmcnt(1)
	v_mul_f64 v[219:220], v[1:2], v[157:158]
	v_mul_f64 v[157:158], v[3:4], v[157:158]
	s_waitcnt vmcnt(56)
	v_fma_f64 v[153:154], v[5:6], v[141:142], -v[153:154]
	v_fma_f64 v[141:142], v[7:8], v[141:142], v[196:197]
	v_add_f64 v[139:140], v[139:140], v[147:148]
	s_clause 0x2
	buffer_load_dword v191, off, s[0:3], 0 offset:748
	buffer_load_dword v148, off, s[0:3], 0 offset:724
	;; [unrolled: 1-line block ×3, first 2 shown]
	v_add_f64 v[143:144], v[155:156], v[143:144]
	s_waitcnt vmcnt(58) lgkmcnt(0)
	v_mul_f64 v[155:156], v[135:136], v[161:162]
	v_mul_f64 v[161:162], v[137:138], v[161:162]
	ds_read_b128 v[5:8], v187 offset:1520
	s_waitcnt vmcnt(56)
	v_fma_f64 v[157:158], v[1:2], v[163:164], -v[157:158]
	v_add_f64 v[139:140], v[139:140], v[153:154]
	v_fma_f64 v[153:154], v[3:4], v[163:164], v[219:220]
	v_add_f64 v[141:142], v[143:144], v[141:142]
	s_clause 0x4
	buffer_load_dword v144, off, s[0:3], 0 offset:764
	buffer_load_dword v163, off, s[0:3], 0 offset:776
	;; [unrolled: 1-line block ×5, first 2 shown]
	s_waitcnt vmcnt(57) lgkmcnt(0)
	v_mul_f64 v[219:220], v[5:6], v[165:166]
	v_mul_f64 v[165:166], v[7:8], v[165:166]
	s_waitcnt vmcnt(56)
	v_fma_f64 v[161:162], v[135:136], v[149:150], -v[161:162]
	ds_read_b128 v[1:4], v187 offset:1536
	v_fma_f64 v[149:150], v[137:138], v[149:150], v[155:156]
	v_add_f64 v[139:140], v[139:140], v[157:158]
	v_add_f64 v[141:142], v[141:142], v[153:154]
	s_clause 0x2
	buffer_load_dword v164, off, s[0:3], 0 offset:780
	buffer_load_dword v154, off, s[0:3], 0 offset:756
	;; [unrolled: 1-line block ×3, first 2 shown]
	ds_read_b128 v[135:138], v187 offset:1552
	s_waitcnt vmcnt(58) lgkmcnt(1)
	v_mul_f64 v[157:158], v[3:4], v[169:170]
	s_waitcnt vmcnt(56)
	v_fma_f64 v[165:166], v[5:6], v[171:172], -v[165:166]
	v_mul_f64 v[155:156], v[1:2], v[169:170]
	v_add_f64 v[139:140], v[139:140], v[161:162]
	v_fma_f64 v[161:162], v[7:8], v[171:172], v[219:220]
	v_add_f64 v[141:142], v[141:142], v[149:150]
	s_clause 0x4
	buffer_load_dword v150, off, s[0:3], 0 offset:796
	buffer_load_dword v169, off, s[0:3], 0 offset:808
	;; [unrolled: 1-line block ×5, first 2 shown]
	s_waitcnt vmcnt(57) lgkmcnt(0)
	v_mul_f64 v[219:220], v[135:136], v[173:174]
	v_mul_f64 v[172:173], v[137:138], v[173:174]
	s_waitcnt vmcnt(56)
	v_fma_f64 v[157:158], v[1:2], v[159:160], -v[157:158]
	ds_read_b128 v[5:8], v187 offset:1568
	v_fma_f64 v[155:156], v[3:4], v[159:160], v[155:156]
	s_clause 0x2
	buffer_load_dword v170, off, s[0:3], 0 offset:812
	buffer_load_dword v160, off, s[0:3], 0 offset:788
	;; [unrolled: 1-line block ×3, first 2 shown]
	ds_read_b128 v[1:4], v187 offset:1584
	v_add_f64 v[139:140], v[139:140], v[165:166]
	v_add_f64 v[141:142], v[141:142], v[161:162]
	s_waitcnt vmcnt(58) lgkmcnt(1)
	v_mul_f64 v[165:166], v[7:8], v[177:178]
	s_waitcnt vmcnt(56)
	v_fma_f64 v[173:174], v[135:136], v[179:180], -v[172:173]
	v_mul_f64 v[161:162], v[5:6], v[177:178]
	v_add_f64 v[139:140], v[139:140], v[157:158]
	v_fma_f64 v[157:158], v[137:138], v[179:180], v[219:220]
	v_add_f64 v[141:142], v[141:142], v[155:156]
	s_clause 0x4
	buffer_load_dword v156, off, s[0:3], 0 offset:828
	buffer_load_dword v177, off, s[0:3], 0 offset:840
	buffer_load_dword v179, off, s[0:3], 0 offset:832
	buffer_load_dword v155, off, s[0:3], 0 offset:824
	buffer_load_dword v172, off, s[0:3], 0 offset:804
	s_waitcnt vmcnt(57) lgkmcnt(0)
	v_mul_f64 v[219:220], v[1:2], v[181:182]
	v_mul_f64 v[180:181], v[3:4], v[181:182]
	s_waitcnt vmcnt(56)
	v_fma_f64 v[165:166], v[5:6], v[167:168], -v[165:166]
	ds_read_b128 v[135:138], v187 offset:1600
	v_fma_f64 v[161:162], v[7:8], v[167:168], v[161:162]
	v_add_f64 v[139:140], v[139:140], v[173:174]
	v_add_f64 v[141:142], v[141:142], v[157:158]
	s_clause 0x2
	buffer_load_dword v178, off, s[0:3], 0 offset:844
	buffer_load_dword v158, off, s[0:3], 0 offset:820
	;; [unrolled: 1-line block ×3, first 2 shown]
	ds_read_b128 v[5:8], v187 offset:1616
	s_waitcnt vmcnt(58) lgkmcnt(1)
	v_mul_f64 v[173:174], v[137:138], v[183:184]
	s_waitcnt vmcnt(56)
	v_fma_f64 v[181:182], v[1:2], v[185:186], -v[180:181]
	v_mul_f64 v[167:168], v[135:136], v[183:184]
	v_add_f64 v[139:140], v[139:140], v[165:166]
	v_fma_f64 v[165:166], v[3:4], v[185:186], v[219:220]
	v_add_f64 v[141:142], v[141:142], v[161:162]
	s_clause 0x4
	buffer_load_dword v162, off, s[0:3], 0 offset:860
	buffer_load_dword v183, off, s[0:3], 0 offset:872
	;; [unrolled: 1-line block ×5, first 2 shown]
	s_waitcnt vmcnt(57) lgkmcnt(0)
	v_mul_f64 v[219:220], v[5:6], v[204:205]
	v_mul_f64 v[204:205], v[7:8], v[204:205]
	s_waitcnt vmcnt(56)
	v_fma_f64 v[173:174], v[135:136], v[175:176], -v[173:174]
	ds_read_b128 v[1:4], v187 offset:1632
	v_fma_f64 v[167:168], v[137:138], v[175:176], v[167:168]
	v_add_f64 v[139:140], v[139:140], v[181:182]
	v_add_f64 v[141:142], v[141:142], v[165:166]
	s_clause 0x2
	buffer_load_dword v184, off, s[0:3], 0 offset:876
	buffer_load_dword v166, off, s[0:3], 0 offset:852
	;; [unrolled: 1-line block ×3, first 2 shown]
	ds_read_b128 v[135:138], v187 offset:1648
	s_waitcnt vmcnt(58) lgkmcnt(1)
	v_mul_f64 v[181:182], v[3:4], v[206:207]
	s_waitcnt vmcnt(56)
	v_fma_f64 v[204:205], v[5:6], v[211:212], -v[204:205]
	v_mul_f64 v[175:176], v[1:2], v[206:207]
	v_add_f64 v[139:140], v[139:140], v[173:174]
	v_fma_f64 v[173:174], v[7:8], v[211:212], v[219:220]
	v_add_f64 v[141:142], v[141:142], v[167:168]
	s_clause 0x4
	buffer_load_dword v168, off, s[0:3], 0 offset:892
	buffer_load_dword v206, off, s[0:3], 0 offset:904
	;; [unrolled: 1-line block ×5, first 2 shown]
	ds_read_b128 v[5:8], v187 offset:1664
	s_waitcnt vmcnt(57) lgkmcnt(1)
	v_mul_f64 v[211:212], v[135:136], v[198:199]
	v_mul_f64 v[198:199], v[137:138], v[198:199]
	s_waitcnt vmcnt(56)
	v_fma_f64 v[181:182], v[1:2], v[208:209], -v[181:182]
	v_fma_f64 v[175:176], v[3:4], v[208:209], v[175:176]
	v_add_f64 v[139:140], v[139:140], v[204:205]
	v_add_f64 v[141:142], v[141:142], v[173:174]
	s_clause 0x2
	buffer_load_dword v207, off, s[0:3], 0 offset:908
	buffer_load_dword v174, off, s[0:3], 0 offset:884
	;; [unrolled: 1-line block ×3, first 2 shown]
	ds_read_b128 v[1:4], v187 offset:1680
	s_waitcnt vmcnt(58) lgkmcnt(1)
	v_mul_f64 v[208:209], v[7:8], v[215:216]
	v_mul_f64 v[204:205], v[5:6], v[215:216]
	s_waitcnt vmcnt(56)
	v_fma_f64 v[198:199], v[135:136], v[192:193], -v[198:199]
	v_add_f64 v[139:140], v[139:140], v[181:182]
	v_fma_f64 v[181:182], v[137:138], v[192:193], v[211:212]
	v_add_f64 v[141:142], v[141:142], v[175:176]
	s_clause 0x4
	buffer_load_dword v176, off, s[0:3], 0 offset:924
	buffer_load_dword v192, off, s[0:3], 0 offset:936
	buffer_load_dword v215, off, s[0:3], 0 offset:928
	buffer_load_dword v175, off, s[0:3], 0 offset:920
	buffer_load_dword v211, off, s[0:3], 0 offset:900
	ds_read_b128 v[135:138], v187 offset:1696
	s_waitcnt vmcnt(57) lgkmcnt(1)
	v_mul_f64 v[219:220], v[1:2], v[151:152]
	v_mul_f64 v[151:152], v[3:4], v[151:152]
	s_waitcnt vmcnt(56)
	v_fma_f64 v[208:209], v[5:6], v[217:218], -v[208:209]
	v_add_f64 v[139:140], v[139:140], v[198:199]
	v_fma_f64 v[198:199], v[7:8], v[217:218], v[204:205]
	v_add_f64 v[141:142], v[141:142], v[181:182]
	s_clause 0x2
	buffer_load_dword v193, off, s[0:3], 0 offset:940
	buffer_load_dword v182, off, s[0:3], 0 offset:916
	buffer_load_dword v181, off, s[0:3], 0 offset:912
	ds_read_b128 v[5:8], v187 offset:1712
	s_waitcnt vmcnt(58) lgkmcnt(1)
	v_mul_f64 v[204:205], v[135:136], v[200:201]
	v_mul_f64 v[200:201], v[137:138], v[200:201]
	s_waitcnt vmcnt(56)
	v_fma_f64 v[151:152], v[1:2], v[145:146], -v[151:152]
	v_fma_f64 v[145:146], v[3:4], v[145:146], v[219:220]
	v_add_f64 v[139:140], v[139:140], v[208:209]
	v_add_f64 v[141:142], v[141:142], v[198:199]
	s_clause 0x4
	buffer_load_dword v199, off, s[0:3], 0 offset:956
	buffer_load_dword v208, off, s[0:3], 0 offset:968
	buffer_load_dword v212, off, s[0:3], 0 offset:960
	buffer_load_dword v198, off, s[0:3], 0 offset:952
	buffer_load_dword v216, off, s[0:3], 0 offset:932
	ds_read_b128 v[1:4], v187 offset:1728
	s_waitcnt vmcnt(57) lgkmcnt(1)
	v_mul_f64 v[217:218], v[5:6], v[188:189]
	v_mul_f64 v[188:189], v[7:8], v[188:189]
	s_waitcnt vmcnt(56)
	v_fma_f64 v[200:201], v[135:136], v[213:214], -v[200:201]
	v_add_f64 v[139:140], v[139:140], v[151:152]
	v_fma_f64 v[151:152], v[137:138], v[213:214], v[204:205]
	v_add_f64 v[141:142], v[141:142], v[145:146]
	s_clause 0x2
	buffer_load_dword v209, off, s[0:3], 0 offset:972
	buffer_load_dword v146, off, s[0:3], 0 offset:948
	buffer_load_dword v145, off, s[0:3], 0 offset:944
	ds_read_b128 v[135:138], v187 offset:1744
	s_waitcnt vmcnt(58) lgkmcnt(1)
	v_mul_f64 v[204:205], v[1:2], v[190:191]
	v_mul_f64 v[190:191], v[3:4], v[190:191]
	s_waitcnt vmcnt(56)
	v_fma_f64 v[188:189], v[5:6], v[147:148], -v[188:189]
	v_fma_f64 v[147:148], v[7:8], v[147:148], v[217:218]
	v_add_f64 v[139:140], v[139:140], v[200:201]
	;; [unrolled: 28-line block ×3, first 2 shown]
	v_add_f64 v[141:142], v[141:142], v[188:189]
	s_clause 0x2
	buffer_load_dword v189, off, s[0:3], 0 offset:1020
	buffer_load_dword v188, off, s[0:3], 0 offset:1016
	buffer_load_dword v218, off, s[0:3], 0 offset:996
	ds_read_b128 v[135:138], v187 offset:1792
	s_waitcnt vmcnt(55) lgkmcnt(1)
	v_mul_f64 v[190:191], v[1:2], v[149:150]
	v_mul_f64 v[149:150], v[3:4], v[149:150]
	s_waitcnt vmcnt(54)
	v_fma_f64 v[163:164], v[5:6], v[196:197], -v[163:164]
	v_add_f64 v[139:140], v[139:140], v[143:144]
	v_fma_f64 v[143:144], v[7:8], v[196:197], v[202:203]
	v_add_f64 v[141:142], v[141:142], v[153:154]
	s_clause 0x1
	buffer_load_dword v154, off, s[0:3], 0 offset:1012
	buffer_load_dword v153, off, s[0:3], 0 offset:1008
	s_waitcnt vmcnt(55) lgkmcnt(0)
	v_mul_f64 v[196:197], v[135:136], v[169:170]
	v_mul_f64 v[169:170], v[137:138], v[169:170]
	ds_read_b128 v[5:8], v187 offset:1808
	s_waitcnt vmcnt(53)
	v_fma_f64 v[149:150], v[1:2], v[159:160], -v[149:150]
	v_fma_f64 v[159:160], v[3:4], v[159:160], v[190:191]
	ds_read_b128 v[1:4], v187 offset:1824
	v_add_f64 v[139:140], v[139:140], v[163:164]
	v_add_f64 v[141:142], v[141:142], v[143:144]
	s_waitcnt vmcnt(49) lgkmcnt(1)
	v_mul_f64 v[143:144], v[5:6], v[155:156]
	v_mul_f64 v[155:156], v[7:8], v[155:156]
	s_waitcnt vmcnt(48)
	v_fma_f64 v[163:164], v[135:136], v[171:172], -v[169:170]
	v_add_f64 v[139:140], v[139:140], v[149:150]
	v_fma_f64 v[149:150], v[137:138], v[171:172], v[196:197]
	v_add_f64 v[141:142], v[141:142], v[159:160]
	s_clause 0x3
	buffer_load_dword v159, off, s[0:3], 0 offset:368
	buffer_load_dword v160, off, s[0:3], 0 offset:372
	;; [unrolled: 1-line block ×4, first 2 shown]
	ds_read_b128 v[135:138], v187 offset:1840
	s_waitcnt vmcnt(51) lgkmcnt(1)
	v_mul_f64 v[171:172], v[1:2], v[177:178]
	v_mul_f64 v[177:178], v[3:4], v[177:178]
	s_waitcnt vmcnt(49)
	v_fma_f64 v[155:156], v[5:6], v[157:158], -v[155:156]
	v_fma_f64 v[143:144], v[7:8], v[157:158], v[143:144]
	ds_read_b128 v[5:8], v187 offset:1856
	v_add_f64 v[139:140], v[139:140], v[163:164]
	v_add_f64 v[141:142], v[141:142], v[149:150]
	s_waitcnt vmcnt(45) lgkmcnt(1)
	v_mul_f64 v[149:150], v[135:136], v[161:162]
	v_mul_f64 v[157:158], v[137:138], v[161:162]
	s_waitcnt vmcnt(44)
	v_fma_f64 v[161:162], v[1:2], v[179:180], -v[177:178]
	v_add_f64 v[139:140], v[139:140], v[155:156]
	v_fma_f64 v[155:156], v[3:4], v[179:180], v[171:172]
	v_add_f64 v[141:142], v[141:142], v[143:144]
	ds_read_b128 v[1:4], v187 offset:1872
	s_waitcnt vmcnt(43) lgkmcnt(1)
	v_mul_f64 v[163:164], v[7:8], v[183:184]
	v_mul_f64 v[143:144], v[5:6], v[183:184]
	s_waitcnt vmcnt(41)
	v_fma_f64 v[157:158], v[135:136], v[165:166], -v[157:158]
	v_fma_f64 v[149:150], v[137:138], v[165:166], v[149:150]
	ds_read_b128 v[135:138], v187 offset:1888
	v_add_f64 v[139:140], v[139:140], v[161:162]
	v_add_f64 v[141:142], v[141:142], v[155:156]
	s_waitcnt vmcnt(37) lgkmcnt(1)
	v_mul_f64 v[161:162], v[3:4], v[167:168]
	s_waitcnt vmcnt(36)
	v_fma_f64 v[163:164], v[5:6], v[185:186], -v[163:164]
	v_mul_f64 v[155:156], v[1:2], v[167:168]
	v_fma_f64 v[143:144], v[7:8], v[185:186], v[143:144]
	ds_read_b128 v[5:8], v187 offset:1904
	v_add_f64 v[139:140], v[139:140], v[157:158]
	v_add_f64 v[141:142], v[141:142], v[149:150]
	s_waitcnt vmcnt(35) lgkmcnt(1)
	v_mul_f64 v[157:158], v[137:138], v[206:207]
	v_mul_f64 v[149:150], v[135:136], v[206:207]
	s_waitcnt vmcnt(33)
	v_fma_f64 v[161:162], v[1:2], v[173:174], -v[161:162]
	v_fma_f64 v[155:156], v[3:4], v[173:174], v[155:156]
	ds_read_b128 v[1:4], v187 offset:1920
	v_add_f64 v[139:140], v[139:140], v[163:164]
	v_add_f64 v[141:142], v[141:142], v[143:144]
	s_waitcnt vmcnt(29) lgkmcnt(1)
	v_mul_f64 v[163:164], v[7:8], v[175:176]
	s_waitcnt vmcnt(28)
	v_fma_f64 v[157:158], v[135:136], v[210:211], -v[157:158]
	v_mul_f64 v[143:144], v[5:6], v[175:176]
	v_fma_f64 v[149:150], v[137:138], v[210:211], v[149:150]
	ds_read_b128 v[135:138], v187 offset:1936
	v_add_f64 v[139:140], v[139:140], v[161:162]
	v_add_f64 v[141:142], v[141:142], v[155:156]
	;; [unrolled: 18-line block ×3, first 2 shown]
	s_waitcnt vmcnt(19) lgkmcnt(1)
	v_mul_f64 v[163:164], v[7:8], v[208:209]
	v_mul_f64 v[143:144], v[5:6], v[208:209]
	s_waitcnt vmcnt(17)
	v_fma_f64 v[157:158], v[135:136], v[145:146], -v[157:158]
	v_fma_f64 v[145:146], v[137:138], v[145:146], v[149:150]
	ds_read_b128 v[135:138], v187 offset:1984
	v_add_f64 v[139:140], v[139:140], v[161:162]
	v_add_f64 v[141:142], v[141:142], v[155:156]
	s_waitcnt vmcnt(13) lgkmcnt(1)
	v_mul_f64 v[149:150], v[1:2], v[151:152]
	v_mul_f64 v[151:152], v[3:4], v[151:152]
	s_waitcnt vmcnt(12)
	v_fma_f64 v[155:156], v[5:6], v[212:213], -v[163:164]
	v_fma_f64 v[143:144], v[7:8], v[212:213], v[143:144]
	ds_read_b128 v[5:8], v187 offset:2000
	v_add_f64 v[139:140], v[139:140], v[157:158]
	v_add_f64 v[141:142], v[141:142], v[145:146]
	s_waitcnt vmcnt(11) lgkmcnt(1)
	v_mul_f64 v[157:158], v[137:138], v[200:201]
	v_mul_f64 v[145:146], v[135:136], v[200:201]
	s_waitcnt vmcnt(9)
	v_fma_f64 v[1:2], v[1:2], v[147:148], -v[151:152]
	v_fma_f64 v[3:4], v[3:4], v[147:148], v[149:150]
	v_add_f64 v[139:140], v[139:140], v[155:156]
	v_add_f64 v[141:142], v[141:142], v[143:144]
	s_waitcnt vmcnt(7) lgkmcnt(0)
	v_mul_f64 v[147:148], v[7:8], v[188:189]
	s_waitcnt vmcnt(6)
	v_fma_f64 v[135:136], v[135:136], v[217:218], -v[157:158]
	v_mul_f64 v[143:144], v[5:6], v[188:189]
	v_fma_f64 v[137:138], v[137:138], v[217:218], v[145:146]
	v_add_f64 v[1:2], v[139:140], v[1:2]
	v_add_f64 v[3:4], v[141:142], v[3:4]
	s_waitcnt vmcnt(4)
	v_fma_f64 v[5:6], v[5:6], v[153:154], -v[147:148]
	v_fma_f64 v[7:8], v[7:8], v[153:154], v[143:144]
	v_add_f64 v[1:2], v[1:2], v[135:136]
	v_add_f64 v[3:4], v[3:4], v[137:138]
	;; [unrolled: 1-line block ×4, first 2 shown]
	s_waitcnt vmcnt(2)
	v_add_f64 v[1:2], v[159:160], -v[1:2]
	s_waitcnt vmcnt(0)
	v_add_f64 v[3:4], v[169:170], -v[3:4]
	buffer_store_dword v2, off, s[0:3], 0 offset:372
	buffer_store_dword v1, off, s[0:3], 0 offset:368
	;; [unrolled: 1-line block ×4, first 2 shown]
	v_cmpx_lt_u32_e32 21, v0
	s_cbranch_execz .LBB126_361
; %bb.360:
	v_mov_b32_e32 v4, s56
	v_mov_b32_e32 v5, 0
	s_clause 0x3
	buffer_load_dword v1, v4, s[0:3], 0 offen
	buffer_load_dword v2, v4, s[0:3], 0 offen offset:4
	buffer_load_dword v3, v4, s[0:3], 0 offen offset:8
	;; [unrolled: 1-line block ×3, first 2 shown]
	buffer_store_dword v5, off, s[0:3], 0 offset:352
	buffer_store_dword v5, off, s[0:3], 0 offset:356
	buffer_store_dword v5, off, s[0:3], 0 offset:360
	buffer_store_dword v5, off, s[0:3], 0 offset:364
	s_waitcnt vmcnt(0)
	ds_write_b128 v195, v[1:4]
.LBB126_361:
	s_or_b32 exec_lo, exec_lo, s4
	s_waitcnt lgkmcnt(0)
	s_waitcnt_vscnt null, 0x0
	s_barrier
	buffer_gl0_inv
	s_clause 0x37
	buffer_load_dword v135, off, s[0:3], 0 offset:376
	buffer_load_dword v136, off, s[0:3], 0 offset:380
	;; [unrolled: 1-line block ×56, first 2 shown]
	v_mov_b32_e32 v187, 0
	s_mov_b32 s4, exec_lo
	ds_read_b128 v[188:191], v187 offset:1360
	s_clause 0x2
	buffer_load_dword v184, off, s[0:3], 0 offset:604
	buffer_load_dword v186, off, s[0:3], 0 offset:580
	;; [unrolled: 1-line block ×3, first 2 shown]
	ds_read_b128 v[196:199], v187 offset:1376
	s_clause 0x4
	buffer_load_dword v205, off, s[0:3], 0 offset:620
	buffer_load_dword v206, off, s[0:3], 0 offset:632
	;; [unrolled: 1-line block ×5, first 2 shown]
	ds_read_b128 v[200:203], v187 offset:1392
	s_clause 0x2
	buffer_load_dword v207, off, s[0:3], 0 offset:636
	buffer_load_dword v212, off, s[0:3], 0 offset:612
	;; [unrolled: 1-line block ×3, first 2 shown]
	s_waitcnt vmcnt(62) lgkmcnt(2)
	v_mul_f64 v[192:193], v[190:191], v[135:136]
	v_mul_f64 v[135:136], v[188:189], v[135:136]
	s_waitcnt lgkmcnt(1)
	v_mul_f64 v[209:210], v[198:199], v[5:6]
	s_waitcnt vmcnt(59) lgkmcnt(0)
	v_mul_f64 v[213:214], v[202:203], v[3:4]
	v_fma_f64 v[188:189], v[188:189], v[7:8], -v[192:193]
	v_mul_f64 v[192:193], v[196:197], v[5:6]
	v_fma_f64 v[135:136], v[190:191], v[7:8], v[135:136]
	s_waitcnt vmcnt(57)
	v_fma_f64 v[196:197], v[196:197], v[1:2], -v[209:210]
	ds_read_b128 v[5:8], v187 offset:1408
	v_mul_f64 v[190:191], v[200:201], v[3:4]
	s_waitcnt vmcnt(51)
	v_fma_f64 v[200:201], v[200:201], v[151:152], -v[213:214]
	v_add_f64 v[188:189], v[188:189], 0
	v_fma_f64 v[192:193], v[198:199], v[1:2], v[192:193]
	v_add_f64 v[135:136], v[135:136], 0
	s_clause 0x4
	buffer_load_dword v199, off, s[0:3], 0 offset:652
	buffer_load_dword v215, off, s[0:3], 0 offset:664
	;; [unrolled: 1-line block ×5, first 2 shown]
	s_waitcnt lgkmcnt(0)
	v_mul_f64 v[218:219], v[5:6], v[139:140]
	v_mul_f64 v[139:140], v[7:8], v[139:140]
	ds_read_b128 v[1:4], v187 offset:1424
	v_fma_f64 v[151:152], v[202:203], v[151:152], v[190:191]
	v_add_f64 v[196:197], v[188:189], v[196:197]
	v_add_f64 v[135:136], v[135:136], v[192:193]
	s_clause 0x2
	buffer_load_dword v216, off, s[0:3], 0 offset:668
	buffer_load_dword v193, off, s[0:3], 0 offset:644
	;; [unrolled: 1-line block ×3, first 2 shown]
	s_waitcnt vmcnt(58) lgkmcnt(0)
	v_mul_f64 v[202:203], v[1:2], v[143:144]
	v_mul_f64 v[143:144], v[3:4], v[143:144]
	s_waitcnt vmcnt(56)
	v_fma_f64 v[139:140], v[5:6], v[145:146], -v[139:140]
	ds_read_b128 v[188:191], v187 offset:1440
	v_fma_f64 v[145:146], v[7:8], v[145:146], v[218:219]
	v_add_f64 v[196:197], v[196:197], v[200:201]
	v_add_f64 v[135:136], v[135:136], v[151:152]
	s_clause 0x4
	buffer_load_dword v152, off, s[0:3], 0 offset:684
	buffer_load_dword v200, off, s[0:3], 0 offset:696
	;; [unrolled: 1-line block ×5, first 2 shown]
	ds_read_b128 v[5:8], v187 offset:1456
	s_waitcnt vmcnt(57) lgkmcnt(1)
	v_mul_f64 v[219:220], v[188:189], v[147:148]
	v_mul_f64 v[147:148], v[190:191], v[147:148]
	s_waitcnt vmcnt(56)
	v_fma_f64 v[143:144], v[1:2], v[137:138], -v[143:144]
	v_fma_f64 v[137:138], v[3:4], v[137:138], v[202:203]
	v_add_f64 v[139:140], v[196:197], v[139:140]
	v_add_f64 v[135:136], v[135:136], v[145:146]
	s_clause 0x2
	buffer_load_dword v201, off, s[0:3], 0 offset:700
	buffer_load_dword v146, off, s[0:3], 0 offset:676
	;; [unrolled: 1-line block ×3, first 2 shown]
	s_waitcnt vmcnt(58) lgkmcnt(0)
	v_mul_f64 v[196:197], v[5:6], v[153:154]
	v_mul_f64 v[153:154], v[7:8], v[153:154]
	s_waitcnt vmcnt(56)
	v_fma_f64 v[147:148], v[188:189], v[155:156], -v[147:148]
	ds_read_b128 v[1:4], v187 offset:1472
	v_add_f64 v[139:140], v[139:140], v[143:144]
	v_fma_f64 v[143:144], v[190:191], v[155:156], v[219:220]
	v_add_f64 v[155:156], v[135:136], v[137:138]
	s_clause 0x4
	buffer_load_dword v189, off, s[0:3], 0 offset:716
	buffer_load_dword v190, off, s[0:3], 0 offset:728
	;; [unrolled: 1-line block ×5, first 2 shown]
	ds_read_b128 v[135:138], v187 offset:1488
	s_waitcnt vmcnt(57) lgkmcnt(1)
	v_mul_f64 v[219:220], v[1:2], v[157:158]
	v_mul_f64 v[157:158], v[3:4], v[157:158]
	s_waitcnt vmcnt(56)
	v_fma_f64 v[153:154], v[5:6], v[141:142], -v[153:154]
	v_fma_f64 v[141:142], v[7:8], v[141:142], v[196:197]
	v_add_f64 v[139:140], v[139:140], v[147:148]
	s_clause 0x2
	buffer_load_dword v191, off, s[0:3], 0 offset:732
	buffer_load_dword v148, off, s[0:3], 0 offset:708
	;; [unrolled: 1-line block ×3, first 2 shown]
	v_add_f64 v[143:144], v[155:156], v[143:144]
	s_waitcnt vmcnt(58) lgkmcnt(0)
	v_mul_f64 v[155:156], v[135:136], v[161:162]
	v_mul_f64 v[161:162], v[137:138], v[161:162]
	ds_read_b128 v[5:8], v187 offset:1504
	s_waitcnt vmcnt(56)
	v_fma_f64 v[157:158], v[1:2], v[163:164], -v[157:158]
	v_add_f64 v[139:140], v[139:140], v[153:154]
	v_fma_f64 v[153:154], v[3:4], v[163:164], v[219:220]
	v_add_f64 v[141:142], v[143:144], v[141:142]
	s_clause 0x4
	buffer_load_dword v144, off, s[0:3], 0 offset:748
	buffer_load_dword v163, off, s[0:3], 0 offset:760
	;; [unrolled: 1-line block ×5, first 2 shown]
	s_waitcnt vmcnt(57) lgkmcnt(0)
	v_mul_f64 v[219:220], v[5:6], v[165:166]
	v_mul_f64 v[165:166], v[7:8], v[165:166]
	s_waitcnt vmcnt(56)
	v_fma_f64 v[161:162], v[135:136], v[149:150], -v[161:162]
	ds_read_b128 v[1:4], v187 offset:1520
	v_fma_f64 v[149:150], v[137:138], v[149:150], v[155:156]
	v_add_f64 v[139:140], v[139:140], v[157:158]
	v_add_f64 v[141:142], v[141:142], v[153:154]
	s_clause 0x2
	buffer_load_dword v164, off, s[0:3], 0 offset:764
	buffer_load_dword v154, off, s[0:3], 0 offset:740
	;; [unrolled: 1-line block ×3, first 2 shown]
	ds_read_b128 v[135:138], v187 offset:1536
	s_waitcnt vmcnt(58) lgkmcnt(1)
	v_mul_f64 v[157:158], v[3:4], v[169:170]
	s_waitcnt vmcnt(56)
	v_fma_f64 v[165:166], v[5:6], v[171:172], -v[165:166]
	v_mul_f64 v[155:156], v[1:2], v[169:170]
	v_add_f64 v[139:140], v[139:140], v[161:162]
	v_fma_f64 v[161:162], v[7:8], v[171:172], v[219:220]
	v_add_f64 v[141:142], v[141:142], v[149:150]
	s_clause 0x4
	buffer_load_dword v150, off, s[0:3], 0 offset:780
	buffer_load_dword v169, off, s[0:3], 0 offset:792
	;; [unrolled: 1-line block ×5, first 2 shown]
	s_waitcnt vmcnt(57) lgkmcnt(0)
	v_mul_f64 v[219:220], v[135:136], v[173:174]
	v_mul_f64 v[172:173], v[137:138], v[173:174]
	s_waitcnt vmcnt(56)
	v_fma_f64 v[157:158], v[1:2], v[159:160], -v[157:158]
	ds_read_b128 v[5:8], v187 offset:1552
	v_fma_f64 v[155:156], v[3:4], v[159:160], v[155:156]
	s_clause 0x2
	buffer_load_dword v170, off, s[0:3], 0 offset:796
	buffer_load_dword v160, off, s[0:3], 0 offset:772
	;; [unrolled: 1-line block ×3, first 2 shown]
	ds_read_b128 v[1:4], v187 offset:1568
	v_add_f64 v[139:140], v[139:140], v[165:166]
	v_add_f64 v[141:142], v[141:142], v[161:162]
	s_waitcnt vmcnt(58) lgkmcnt(1)
	v_mul_f64 v[165:166], v[7:8], v[177:178]
	s_waitcnt vmcnt(56)
	v_fma_f64 v[173:174], v[135:136], v[179:180], -v[172:173]
	v_mul_f64 v[161:162], v[5:6], v[177:178]
	v_add_f64 v[139:140], v[139:140], v[157:158]
	v_fma_f64 v[157:158], v[137:138], v[179:180], v[219:220]
	v_add_f64 v[141:142], v[141:142], v[155:156]
	s_clause 0x4
	buffer_load_dword v156, off, s[0:3], 0 offset:812
	buffer_load_dword v177, off, s[0:3], 0 offset:824
	;; [unrolled: 1-line block ×5, first 2 shown]
	s_waitcnt vmcnt(57) lgkmcnt(0)
	v_mul_f64 v[219:220], v[1:2], v[181:182]
	v_mul_f64 v[180:181], v[3:4], v[181:182]
	s_waitcnt vmcnt(56)
	v_fma_f64 v[165:166], v[5:6], v[167:168], -v[165:166]
	ds_read_b128 v[135:138], v187 offset:1584
	v_fma_f64 v[161:162], v[7:8], v[167:168], v[161:162]
	v_add_f64 v[139:140], v[139:140], v[173:174]
	v_add_f64 v[141:142], v[141:142], v[157:158]
	s_clause 0x2
	buffer_load_dword v178, off, s[0:3], 0 offset:828
	buffer_load_dword v158, off, s[0:3], 0 offset:804
	;; [unrolled: 1-line block ×3, first 2 shown]
	ds_read_b128 v[5:8], v187 offset:1600
	s_waitcnt vmcnt(58) lgkmcnt(1)
	v_mul_f64 v[173:174], v[137:138], v[183:184]
	s_waitcnt vmcnt(56)
	v_fma_f64 v[181:182], v[1:2], v[185:186], -v[180:181]
	v_mul_f64 v[167:168], v[135:136], v[183:184]
	v_add_f64 v[139:140], v[139:140], v[165:166]
	v_fma_f64 v[165:166], v[3:4], v[185:186], v[219:220]
	v_add_f64 v[141:142], v[141:142], v[161:162]
	s_clause 0x4
	buffer_load_dword v162, off, s[0:3], 0 offset:844
	buffer_load_dword v183, off, s[0:3], 0 offset:856
	;; [unrolled: 1-line block ×5, first 2 shown]
	s_waitcnt vmcnt(57) lgkmcnt(0)
	v_mul_f64 v[219:220], v[5:6], v[204:205]
	v_mul_f64 v[204:205], v[7:8], v[204:205]
	s_waitcnt vmcnt(56)
	v_fma_f64 v[173:174], v[135:136], v[175:176], -v[173:174]
	ds_read_b128 v[1:4], v187 offset:1616
	v_fma_f64 v[167:168], v[137:138], v[175:176], v[167:168]
	v_add_f64 v[139:140], v[139:140], v[181:182]
	v_add_f64 v[141:142], v[141:142], v[165:166]
	s_clause 0x2
	buffer_load_dword v184, off, s[0:3], 0 offset:860
	buffer_load_dword v166, off, s[0:3], 0 offset:836
	;; [unrolled: 1-line block ×3, first 2 shown]
	ds_read_b128 v[135:138], v187 offset:1632
	s_waitcnt vmcnt(58) lgkmcnt(1)
	v_mul_f64 v[181:182], v[3:4], v[206:207]
	s_waitcnt vmcnt(56)
	v_fma_f64 v[204:205], v[5:6], v[211:212], -v[204:205]
	v_mul_f64 v[175:176], v[1:2], v[206:207]
	v_add_f64 v[139:140], v[139:140], v[173:174]
	v_fma_f64 v[173:174], v[7:8], v[211:212], v[219:220]
	v_add_f64 v[141:142], v[141:142], v[167:168]
	s_clause 0x4
	buffer_load_dword v168, off, s[0:3], 0 offset:876
	buffer_load_dword v206, off, s[0:3], 0 offset:888
	;; [unrolled: 1-line block ×5, first 2 shown]
	ds_read_b128 v[5:8], v187 offset:1648
	s_waitcnt vmcnt(57) lgkmcnt(1)
	v_mul_f64 v[211:212], v[135:136], v[198:199]
	v_mul_f64 v[198:199], v[137:138], v[198:199]
	s_waitcnt vmcnt(56)
	v_fma_f64 v[181:182], v[1:2], v[208:209], -v[181:182]
	v_fma_f64 v[175:176], v[3:4], v[208:209], v[175:176]
	v_add_f64 v[139:140], v[139:140], v[204:205]
	v_add_f64 v[141:142], v[141:142], v[173:174]
	s_clause 0x2
	buffer_load_dword v207, off, s[0:3], 0 offset:892
	buffer_load_dword v174, off, s[0:3], 0 offset:868
	buffer_load_dword v173, off, s[0:3], 0 offset:864
	ds_read_b128 v[1:4], v187 offset:1664
	s_waitcnt vmcnt(58) lgkmcnt(1)
	v_mul_f64 v[208:209], v[7:8], v[215:216]
	v_mul_f64 v[204:205], v[5:6], v[215:216]
	s_waitcnt vmcnt(56)
	v_fma_f64 v[198:199], v[135:136], v[192:193], -v[198:199]
	v_add_f64 v[139:140], v[139:140], v[181:182]
	v_fma_f64 v[181:182], v[137:138], v[192:193], v[211:212]
	v_add_f64 v[141:142], v[141:142], v[175:176]
	s_clause 0x4
	buffer_load_dword v176, off, s[0:3], 0 offset:908
	buffer_load_dword v192, off, s[0:3], 0 offset:920
	buffer_load_dword v215, off, s[0:3], 0 offset:912
	buffer_load_dword v175, off, s[0:3], 0 offset:904
	buffer_load_dword v211, off, s[0:3], 0 offset:884
	ds_read_b128 v[135:138], v187 offset:1680
	s_waitcnt vmcnt(57) lgkmcnt(1)
	v_mul_f64 v[219:220], v[1:2], v[151:152]
	v_mul_f64 v[151:152], v[3:4], v[151:152]
	s_waitcnt vmcnt(56)
	v_fma_f64 v[208:209], v[5:6], v[217:218], -v[208:209]
	v_add_f64 v[139:140], v[139:140], v[198:199]
	v_fma_f64 v[198:199], v[7:8], v[217:218], v[204:205]
	v_add_f64 v[141:142], v[141:142], v[181:182]
	s_clause 0x2
	buffer_load_dword v193, off, s[0:3], 0 offset:924
	buffer_load_dword v182, off, s[0:3], 0 offset:900
	buffer_load_dword v181, off, s[0:3], 0 offset:896
	ds_read_b128 v[5:8], v187 offset:1696
	s_waitcnt vmcnt(58) lgkmcnt(1)
	v_mul_f64 v[204:205], v[135:136], v[200:201]
	v_mul_f64 v[200:201], v[137:138], v[200:201]
	s_waitcnt vmcnt(56)
	v_fma_f64 v[151:152], v[1:2], v[145:146], -v[151:152]
	v_fma_f64 v[145:146], v[3:4], v[145:146], v[219:220]
	v_add_f64 v[139:140], v[139:140], v[208:209]
	v_add_f64 v[141:142], v[141:142], v[198:199]
	s_clause 0x4
	buffer_load_dword v199, off, s[0:3], 0 offset:940
	buffer_load_dword v208, off, s[0:3], 0 offset:952
	buffer_load_dword v212, off, s[0:3], 0 offset:944
	buffer_load_dword v198, off, s[0:3], 0 offset:936
	buffer_load_dword v216, off, s[0:3], 0 offset:916
	ds_read_b128 v[1:4], v187 offset:1712
	s_waitcnt vmcnt(57) lgkmcnt(1)
	v_mul_f64 v[217:218], v[5:6], v[188:189]
	v_mul_f64 v[188:189], v[7:8], v[188:189]
	s_waitcnt vmcnt(56)
	v_fma_f64 v[200:201], v[135:136], v[213:214], -v[200:201]
	v_add_f64 v[139:140], v[139:140], v[151:152]
	v_fma_f64 v[151:152], v[137:138], v[213:214], v[204:205]
	v_add_f64 v[141:142], v[141:142], v[145:146]
	s_clause 0x2
	buffer_load_dword v209, off, s[0:3], 0 offset:956
	buffer_load_dword v146, off, s[0:3], 0 offset:932
	buffer_load_dword v145, off, s[0:3], 0 offset:928
	ds_read_b128 v[135:138], v187 offset:1728
	s_waitcnt vmcnt(58) lgkmcnt(1)
	v_mul_f64 v[204:205], v[1:2], v[190:191]
	v_mul_f64 v[190:191], v[3:4], v[190:191]
	s_waitcnt vmcnt(56)
	v_fma_f64 v[188:189], v[5:6], v[147:148], -v[188:189]
	v_fma_f64 v[147:148], v[7:8], v[147:148], v[217:218]
	v_add_f64 v[139:140], v[139:140], v[200:201]
	;; [unrolled: 28-line block ×3, first 2 shown]
	v_add_f64 v[141:142], v[141:142], v[188:189]
	s_clause 0x4
	buffer_load_dword v189, off, s[0:3], 0 offset:1004
	buffer_load_dword v190, off, s[0:3], 0 offset:1016
	;; [unrolled: 1-line block ×5, first 2 shown]
	ds_read_b128 v[135:138], v187 offset:1776
	s_waitcnt vmcnt(57) lgkmcnt(1)
	v_mul_f64 v[219:220], v[1:2], v[149:150]
	v_mul_f64 v[149:150], v[3:4], v[149:150]
	s_waitcnt vmcnt(56)
	v_fma_f64 v[163:164], v[5:6], v[196:197], -v[163:164]
	v_add_f64 v[139:140], v[139:140], v[143:144]
	v_fma_f64 v[143:144], v[7:8], v[196:197], v[202:203]
	v_add_f64 v[141:142], v[141:142], v[153:154]
	s_clause 0x2
	buffer_load_dword v191, off, s[0:3], 0 offset:1020
	buffer_load_dword v154, off, s[0:3], 0 offset:996
	;; [unrolled: 1-line block ×3, first 2 shown]
	s_waitcnt vmcnt(58) lgkmcnt(0)
	v_mul_f64 v[196:197], v[135:136], v[169:170]
	v_mul_f64 v[169:170], v[137:138], v[169:170]
	ds_read_b128 v[5:8], v187 offset:1792
	buffer_load_dword v205, off, s[0:3], 0 offset:1012
	s_waitcnt vmcnt(57)
	v_fma_f64 v[149:150], v[1:2], v[159:160], -v[149:150]
	v_fma_f64 v[159:160], v[3:4], v[159:160], v[219:220]
	ds_read_b128 v[1:4], v187 offset:1808
	v_add_f64 v[139:140], v[139:140], v[163:164]
	v_add_f64 v[141:142], v[141:142], v[143:144]
	s_waitcnt vmcnt(53) lgkmcnt(1)
	v_mul_f64 v[143:144], v[5:6], v[155:156]
	v_mul_f64 v[155:156], v[7:8], v[155:156]
	s_waitcnt vmcnt(52)
	v_fma_f64 v[163:164], v[135:136], v[171:172], -v[169:170]
	v_add_f64 v[139:140], v[139:140], v[149:150]
	v_fma_f64 v[149:150], v[137:138], v[171:172], v[196:197]
	v_add_f64 v[141:142], v[141:142], v[159:160]
	ds_read_b128 v[135:138], v187 offset:1824
	s_waitcnt vmcnt(51) lgkmcnt(1)
	v_mul_f64 v[169:170], v[3:4], v[177:178]
	v_mul_f64 v[159:160], v[1:2], v[177:178]
	s_waitcnt vmcnt(49)
	v_fma_f64 v[155:156], v[5:6], v[157:158], -v[155:156]
	v_fma_f64 v[143:144], v[7:8], v[157:158], v[143:144]
	v_add_f64 v[139:140], v[139:140], v[163:164]
	v_add_f64 v[141:142], v[141:142], v[149:150]
	s_clause 0x3
	buffer_load_dword v149, off, s[0:3], 0 offset:352
	buffer_load_dword v150, off, s[0:3], 0 offset:356
	;; [unrolled: 1-line block ×4, first 2 shown]
	ds_read_b128 v[5:8], v187 offset:1840
	s_waitcnt vmcnt(49) lgkmcnt(1)
	v_mul_f64 v[163:164], v[135:136], v[161:162]
	v_mul_f64 v[161:162], v[137:138], v[161:162]
	s_waitcnt vmcnt(48)
	v_fma_f64 v[169:170], v[1:2], v[179:180], -v[169:170]
	v_add_f64 v[139:140], v[139:140], v[155:156]
	v_fma_f64 v[155:156], v[3:4], v[179:180], v[159:160]
	v_add_f64 v[141:142], v[141:142], v[143:144]
	ds_read_b128 v[1:4], v187 offset:1856
	s_waitcnt vmcnt(47) lgkmcnt(1)
	v_mul_f64 v[159:160], v[7:8], v[183:184]
	v_mul_f64 v[143:144], v[5:6], v[183:184]
	s_waitcnt vmcnt(45)
	v_fma_f64 v[161:162], v[135:136], v[165:166], -v[161:162]
	v_fma_f64 v[163:164], v[137:138], v[165:166], v[163:164]
	ds_read_b128 v[135:138], v187 offset:1872
	v_add_f64 v[139:140], v[139:140], v[169:170]
	v_add_f64 v[141:142], v[141:142], v[155:156]
	s_waitcnt vmcnt(41) lgkmcnt(1)
	v_mul_f64 v[165:166], v[3:4], v[167:168]
	s_waitcnt vmcnt(40)
	v_fma_f64 v[159:160], v[5:6], v[185:186], -v[159:160]
	v_mul_f64 v[155:156], v[1:2], v[167:168]
	v_fma_f64 v[143:144], v[7:8], v[185:186], v[143:144]
	ds_read_b128 v[5:8], v187 offset:1888
	v_add_f64 v[139:140], v[139:140], v[161:162]
	v_add_f64 v[141:142], v[141:142], v[163:164]
	s_waitcnt vmcnt(39) lgkmcnt(1)
	v_mul_f64 v[163:164], v[137:138], v[206:207]
	v_mul_f64 v[161:162], v[135:136], v[206:207]
	s_waitcnt vmcnt(37)
	v_fma_f64 v[165:166], v[1:2], v[173:174], -v[165:166]
	v_fma_f64 v[155:156], v[3:4], v[173:174], v[155:156]
	ds_read_b128 v[1:4], v187 offset:1904
	v_add_f64 v[139:140], v[139:140], v[159:160]
	v_add_f64 v[141:142], v[141:142], v[143:144]
	s_waitcnt vmcnt(33) lgkmcnt(1)
	v_mul_f64 v[159:160], v[7:8], v[175:176]
	s_waitcnt vmcnt(32)
	v_fma_f64 v[163:164], v[135:136], v[210:211], -v[163:164]
	v_mul_f64 v[143:144], v[5:6], v[175:176]
	v_fma_f64 v[161:162], v[137:138], v[210:211], v[161:162]
	ds_read_b128 v[135:138], v187 offset:1920
	v_add_f64 v[139:140], v[139:140], v[165:166]
	v_add_f64 v[141:142], v[141:142], v[155:156]
	;; [unrolled: 18-line block ×3, first 2 shown]
	s_waitcnt vmcnt(23) lgkmcnt(1)
	v_mul_f64 v[159:160], v[7:8], v[208:209]
	v_mul_f64 v[143:144], v[5:6], v[208:209]
	s_waitcnt vmcnt(21)
	v_fma_f64 v[163:164], v[135:136], v[145:146], -v[163:164]
	v_fma_f64 v[145:146], v[137:138], v[145:146], v[161:162]
	ds_read_b128 v[135:138], v187 offset:1968
	v_add_f64 v[139:140], v[139:140], v[165:166]
	v_add_f64 v[141:142], v[141:142], v[155:156]
	s_waitcnt vmcnt(17) lgkmcnt(1)
	v_mul_f64 v[155:156], v[1:2], v[151:152]
	v_mul_f64 v[151:152], v[3:4], v[151:152]
	s_waitcnt vmcnt(16)
	v_fma_f64 v[159:160], v[5:6], v[212:213], -v[159:160]
	v_fma_f64 v[143:144], v[7:8], v[212:213], v[143:144]
	ds_read_b128 v[5:8], v187 offset:1984
	v_add_f64 v[139:140], v[139:140], v[163:164]
	v_add_f64 v[141:142], v[141:142], v[145:146]
	s_waitcnt vmcnt(15) lgkmcnt(1)
	v_mul_f64 v[161:162], v[137:138], v[200:201]
	v_mul_f64 v[145:146], v[135:136], v[200:201]
	s_waitcnt vmcnt(13)
	v_fma_f64 v[151:152], v[1:2], v[147:148], -v[151:152]
	v_fma_f64 v[147:148], v[3:4], v[147:148], v[155:156]
	ds_read_b128 v[1:4], v187 offset:2000
	v_add_f64 v[139:140], v[139:140], v[159:160]
	v_add_f64 v[141:142], v[141:142], v[143:144]
	s_waitcnt vmcnt(9) lgkmcnt(1)
	v_mul_f64 v[155:156], v[7:8], v[188:189]
	s_waitcnt vmcnt(8)
	v_fma_f64 v[135:136], v[135:136], v[217:218], -v[161:162]
	v_mul_f64 v[143:144], v[5:6], v[188:189]
	v_fma_f64 v[137:138], v[137:138], v[217:218], v[145:146]
	v_add_f64 v[139:140], v[139:140], v[151:152]
	v_add_f64 v[141:142], v[141:142], v[147:148]
	s_waitcnt vmcnt(7) lgkmcnt(0)
	v_mul_f64 v[147:148], v[3:4], v[190:191]
	v_mul_f64 v[145:146], v[1:2], v[190:191]
	s_waitcnt vmcnt(5)
	v_fma_f64 v[5:6], v[5:6], v[153:154], -v[155:156]
	v_fma_f64 v[7:8], v[7:8], v[153:154], v[143:144]
	v_add_f64 v[135:136], v[139:140], v[135:136]
	v_add_f64 v[137:138], v[141:142], v[137:138]
	s_waitcnt vmcnt(4)
	v_fma_f64 v[1:2], v[1:2], v[204:205], -v[147:148]
	v_fma_f64 v[3:4], v[3:4], v[204:205], v[145:146]
	v_add_f64 v[5:6], v[135:136], v[5:6]
	v_add_f64 v[7:8], v[137:138], v[7:8]
	;; [unrolled: 1-line block ×4, first 2 shown]
	s_waitcnt vmcnt(2)
	v_add_f64 v[1:2], v[149:150], -v[1:2]
	s_waitcnt vmcnt(0)
	v_add_f64 v[3:4], v[157:158], -v[3:4]
	buffer_store_dword v2, off, s[0:3], 0 offset:356
	buffer_store_dword v1, off, s[0:3], 0 offset:352
	;; [unrolled: 1-line block ×4, first 2 shown]
	v_cmpx_lt_u32_e32 20, v0
	s_cbranch_execz .LBB126_363
; %bb.362:
	v_mov_b32_e32 v4, s57
	s_clause 0x3
	buffer_load_dword v1, v4, s[0:3], 0 offen
	buffer_load_dword v2, v4, s[0:3], 0 offen offset:4
	buffer_load_dword v3, v4, s[0:3], 0 offen offset:8
	buffer_load_dword v4, v4, s[0:3], 0 offen offset:12
	buffer_store_dword v187, off, s[0:3], 0 offset:336
	buffer_store_dword v187, off, s[0:3], 0 offset:340
	;; [unrolled: 1-line block ×4, first 2 shown]
	s_waitcnt vmcnt(0)
	ds_write_b128 v195, v[1:4]
.LBB126_363:
	s_or_b32 exec_lo, exec_lo, s4
	s_waitcnt lgkmcnt(0)
	s_waitcnt_vscnt null, 0x0
	s_barrier
	buffer_gl0_inv
	s_clause 0x37
	buffer_load_dword v135, off, s[0:3], 0 offset:360
	buffer_load_dword v136, off, s[0:3], 0 offset:364
	;; [unrolled: 1-line block ×56, first 2 shown]
	ds_read_b128 v[188:191], v187 offset:1344
	s_clause 0x2
	buffer_load_dword v184, off, s[0:3], 0 offset:588
	buffer_load_dword v186, off, s[0:3], 0 offset:564
	;; [unrolled: 1-line block ×3, first 2 shown]
	ds_read_b128 v[196:199], v187 offset:1360
	s_clause 0x4
	buffer_load_dword v205, off, s[0:3], 0 offset:604
	buffer_load_dword v206, off, s[0:3], 0 offset:616
	buffer_load_dword v208, off, s[0:3], 0 offset:608
	buffer_load_dword v204, off, s[0:3], 0 offset:600
	buffer_load_dword v176, off, s[0:3], 0 offset:580
	ds_read_b128 v[200:203], v187 offset:1376
	s_clause 0x2
	buffer_load_dword v207, off, s[0:3], 0 offset:620
	buffer_load_dword v212, off, s[0:3], 0 offset:596
	;; [unrolled: 1-line block ×3, first 2 shown]
	s_mov_b32 s4, exec_lo
	s_waitcnt vmcnt(62) lgkmcnt(2)
	v_mul_f64 v[192:193], v[190:191], v[135:136]
	v_mul_f64 v[135:136], v[188:189], v[135:136]
	s_waitcnt lgkmcnt(1)
	v_mul_f64 v[209:210], v[198:199], v[5:6]
	s_waitcnt vmcnt(59) lgkmcnt(0)
	v_mul_f64 v[213:214], v[202:203], v[3:4]
	v_fma_f64 v[188:189], v[188:189], v[7:8], -v[192:193]
	v_mul_f64 v[192:193], v[196:197], v[5:6]
	v_fma_f64 v[135:136], v[190:191], v[7:8], v[135:136]
	s_waitcnt vmcnt(57)
	v_fma_f64 v[196:197], v[196:197], v[1:2], -v[209:210]
	ds_read_b128 v[5:8], v187 offset:1392
	v_mul_f64 v[190:191], v[200:201], v[3:4]
	s_waitcnt vmcnt(51)
	v_fma_f64 v[200:201], v[200:201], v[151:152], -v[213:214]
	v_add_f64 v[188:189], v[188:189], 0
	v_fma_f64 v[192:193], v[198:199], v[1:2], v[192:193]
	v_add_f64 v[135:136], v[135:136], 0
	s_clause 0x4
	buffer_load_dword v199, off, s[0:3], 0 offset:636
	buffer_load_dword v215, off, s[0:3], 0 offset:648
	;; [unrolled: 1-line block ×5, first 2 shown]
	s_waitcnt lgkmcnt(0)
	v_mul_f64 v[218:219], v[5:6], v[139:140]
	v_mul_f64 v[139:140], v[7:8], v[139:140]
	ds_read_b128 v[1:4], v187 offset:1408
	v_fma_f64 v[151:152], v[202:203], v[151:152], v[190:191]
	v_add_f64 v[196:197], v[188:189], v[196:197]
	v_add_f64 v[135:136], v[135:136], v[192:193]
	s_clause 0x2
	buffer_load_dword v216, off, s[0:3], 0 offset:652
	buffer_load_dword v193, off, s[0:3], 0 offset:628
	buffer_load_dword v192, off, s[0:3], 0 offset:624
	s_waitcnt vmcnt(58) lgkmcnt(0)
	v_mul_f64 v[202:203], v[1:2], v[143:144]
	v_mul_f64 v[143:144], v[3:4], v[143:144]
	s_waitcnt vmcnt(56)
	v_fma_f64 v[139:140], v[5:6], v[145:146], -v[139:140]
	ds_read_b128 v[188:191], v187 offset:1424
	v_fma_f64 v[145:146], v[7:8], v[145:146], v[218:219]
	v_add_f64 v[196:197], v[196:197], v[200:201]
	v_add_f64 v[135:136], v[135:136], v[151:152]
	s_clause 0x4
	buffer_load_dword v152, off, s[0:3], 0 offset:668
	buffer_load_dword v200, off, s[0:3], 0 offset:680
	;; [unrolled: 1-line block ×5, first 2 shown]
	ds_read_b128 v[5:8], v187 offset:1440
	s_waitcnt vmcnt(57) lgkmcnt(1)
	v_mul_f64 v[219:220], v[188:189], v[147:148]
	v_mul_f64 v[147:148], v[190:191], v[147:148]
	s_waitcnt vmcnt(56)
	v_fma_f64 v[143:144], v[1:2], v[137:138], -v[143:144]
	v_fma_f64 v[137:138], v[3:4], v[137:138], v[202:203]
	v_add_f64 v[139:140], v[196:197], v[139:140]
	v_add_f64 v[135:136], v[135:136], v[145:146]
	s_clause 0x2
	buffer_load_dword v201, off, s[0:3], 0 offset:684
	buffer_load_dword v146, off, s[0:3], 0 offset:660
	;; [unrolled: 1-line block ×3, first 2 shown]
	s_waitcnt vmcnt(58) lgkmcnt(0)
	v_mul_f64 v[196:197], v[5:6], v[153:154]
	v_mul_f64 v[153:154], v[7:8], v[153:154]
	s_waitcnt vmcnt(56)
	v_fma_f64 v[147:148], v[188:189], v[155:156], -v[147:148]
	ds_read_b128 v[1:4], v187 offset:1456
	v_add_f64 v[139:140], v[139:140], v[143:144]
	v_fma_f64 v[143:144], v[190:191], v[155:156], v[219:220]
	v_add_f64 v[155:156], v[135:136], v[137:138]
	s_clause 0x4
	buffer_load_dword v189, off, s[0:3], 0 offset:700
	buffer_load_dword v190, off, s[0:3], 0 offset:712
	;; [unrolled: 1-line block ×5, first 2 shown]
	ds_read_b128 v[135:138], v187 offset:1472
	s_waitcnt vmcnt(57) lgkmcnt(1)
	v_mul_f64 v[219:220], v[1:2], v[157:158]
	v_mul_f64 v[157:158], v[3:4], v[157:158]
	s_waitcnt vmcnt(56)
	v_fma_f64 v[153:154], v[5:6], v[141:142], -v[153:154]
	v_fma_f64 v[141:142], v[7:8], v[141:142], v[196:197]
	v_add_f64 v[139:140], v[139:140], v[147:148]
	s_clause 0x2
	buffer_load_dword v191, off, s[0:3], 0 offset:716
	buffer_load_dword v148, off, s[0:3], 0 offset:692
	;; [unrolled: 1-line block ×3, first 2 shown]
	v_add_f64 v[143:144], v[155:156], v[143:144]
	s_waitcnt vmcnt(58) lgkmcnt(0)
	v_mul_f64 v[155:156], v[135:136], v[161:162]
	v_mul_f64 v[161:162], v[137:138], v[161:162]
	ds_read_b128 v[5:8], v187 offset:1488
	s_waitcnt vmcnt(56)
	v_fma_f64 v[157:158], v[1:2], v[163:164], -v[157:158]
	v_add_f64 v[139:140], v[139:140], v[153:154]
	v_fma_f64 v[153:154], v[3:4], v[163:164], v[219:220]
	v_add_f64 v[141:142], v[143:144], v[141:142]
	s_clause 0x4
	buffer_load_dword v144, off, s[0:3], 0 offset:732
	buffer_load_dword v163, off, s[0:3], 0 offset:744
	;; [unrolled: 1-line block ×5, first 2 shown]
	s_waitcnt vmcnt(57) lgkmcnt(0)
	v_mul_f64 v[219:220], v[5:6], v[165:166]
	v_mul_f64 v[165:166], v[7:8], v[165:166]
	s_waitcnt vmcnt(56)
	v_fma_f64 v[161:162], v[135:136], v[149:150], -v[161:162]
	ds_read_b128 v[1:4], v187 offset:1504
	v_fma_f64 v[149:150], v[137:138], v[149:150], v[155:156]
	v_add_f64 v[139:140], v[139:140], v[157:158]
	v_add_f64 v[141:142], v[141:142], v[153:154]
	s_clause 0x2
	buffer_load_dword v164, off, s[0:3], 0 offset:748
	buffer_load_dword v154, off, s[0:3], 0 offset:724
	;; [unrolled: 1-line block ×3, first 2 shown]
	ds_read_b128 v[135:138], v187 offset:1520
	s_waitcnt vmcnt(58) lgkmcnt(1)
	v_mul_f64 v[157:158], v[3:4], v[169:170]
	s_waitcnt vmcnt(56)
	v_fma_f64 v[165:166], v[5:6], v[171:172], -v[165:166]
	v_mul_f64 v[155:156], v[1:2], v[169:170]
	v_add_f64 v[139:140], v[139:140], v[161:162]
	v_fma_f64 v[161:162], v[7:8], v[171:172], v[219:220]
	v_add_f64 v[141:142], v[141:142], v[149:150]
	s_clause 0x4
	buffer_load_dword v150, off, s[0:3], 0 offset:764
	buffer_load_dword v169, off, s[0:3], 0 offset:776
	;; [unrolled: 1-line block ×5, first 2 shown]
	s_waitcnt vmcnt(57) lgkmcnt(0)
	v_mul_f64 v[219:220], v[135:136], v[173:174]
	v_mul_f64 v[172:173], v[137:138], v[173:174]
	s_waitcnt vmcnt(56)
	v_fma_f64 v[157:158], v[1:2], v[159:160], -v[157:158]
	ds_read_b128 v[5:8], v187 offset:1536
	v_fma_f64 v[155:156], v[3:4], v[159:160], v[155:156]
	s_clause 0x2
	buffer_load_dword v170, off, s[0:3], 0 offset:780
	buffer_load_dword v160, off, s[0:3], 0 offset:756
	;; [unrolled: 1-line block ×3, first 2 shown]
	ds_read_b128 v[1:4], v187 offset:1552
	v_add_f64 v[139:140], v[139:140], v[165:166]
	v_add_f64 v[141:142], v[141:142], v[161:162]
	s_waitcnt vmcnt(58) lgkmcnt(1)
	v_mul_f64 v[165:166], v[7:8], v[177:178]
	s_waitcnt vmcnt(56)
	v_fma_f64 v[173:174], v[135:136], v[179:180], -v[172:173]
	v_mul_f64 v[161:162], v[5:6], v[177:178]
	v_add_f64 v[139:140], v[139:140], v[157:158]
	v_fma_f64 v[157:158], v[137:138], v[179:180], v[219:220]
	v_add_f64 v[141:142], v[141:142], v[155:156]
	s_clause 0x4
	buffer_load_dword v156, off, s[0:3], 0 offset:796
	buffer_load_dword v177, off, s[0:3], 0 offset:808
	;; [unrolled: 1-line block ×5, first 2 shown]
	s_waitcnt vmcnt(57) lgkmcnt(0)
	v_mul_f64 v[219:220], v[1:2], v[181:182]
	v_mul_f64 v[180:181], v[3:4], v[181:182]
	s_waitcnt vmcnt(56)
	v_fma_f64 v[165:166], v[5:6], v[167:168], -v[165:166]
	ds_read_b128 v[135:138], v187 offset:1568
	v_fma_f64 v[161:162], v[7:8], v[167:168], v[161:162]
	v_add_f64 v[139:140], v[139:140], v[173:174]
	v_add_f64 v[141:142], v[141:142], v[157:158]
	s_clause 0x2
	buffer_load_dword v178, off, s[0:3], 0 offset:812
	buffer_load_dword v158, off, s[0:3], 0 offset:788
	;; [unrolled: 1-line block ×3, first 2 shown]
	ds_read_b128 v[5:8], v187 offset:1584
	s_waitcnt vmcnt(58) lgkmcnt(1)
	v_mul_f64 v[173:174], v[137:138], v[183:184]
	s_waitcnt vmcnt(56)
	v_fma_f64 v[181:182], v[1:2], v[185:186], -v[180:181]
	v_mul_f64 v[167:168], v[135:136], v[183:184]
	v_add_f64 v[139:140], v[139:140], v[165:166]
	v_fma_f64 v[165:166], v[3:4], v[185:186], v[219:220]
	v_add_f64 v[141:142], v[141:142], v[161:162]
	s_clause 0x4
	buffer_load_dword v162, off, s[0:3], 0 offset:828
	buffer_load_dword v183, off, s[0:3], 0 offset:840
	;; [unrolled: 1-line block ×5, first 2 shown]
	s_waitcnt vmcnt(57) lgkmcnt(0)
	v_mul_f64 v[219:220], v[5:6], v[204:205]
	v_mul_f64 v[204:205], v[7:8], v[204:205]
	s_waitcnt vmcnt(56)
	v_fma_f64 v[173:174], v[135:136], v[175:176], -v[173:174]
	ds_read_b128 v[1:4], v187 offset:1600
	v_fma_f64 v[167:168], v[137:138], v[175:176], v[167:168]
	v_add_f64 v[139:140], v[139:140], v[181:182]
	v_add_f64 v[141:142], v[141:142], v[165:166]
	s_clause 0x2
	buffer_load_dword v184, off, s[0:3], 0 offset:844
	buffer_load_dword v166, off, s[0:3], 0 offset:820
	;; [unrolled: 1-line block ×3, first 2 shown]
	ds_read_b128 v[135:138], v187 offset:1616
	s_waitcnt vmcnt(58) lgkmcnt(1)
	v_mul_f64 v[181:182], v[3:4], v[206:207]
	s_waitcnt vmcnt(56)
	v_fma_f64 v[204:205], v[5:6], v[211:212], -v[204:205]
	v_mul_f64 v[175:176], v[1:2], v[206:207]
	v_add_f64 v[139:140], v[139:140], v[173:174]
	v_fma_f64 v[173:174], v[7:8], v[211:212], v[219:220]
	v_add_f64 v[141:142], v[141:142], v[167:168]
	s_clause 0x4
	buffer_load_dword v168, off, s[0:3], 0 offset:860
	buffer_load_dword v206, off, s[0:3], 0 offset:872
	;; [unrolled: 1-line block ×5, first 2 shown]
	ds_read_b128 v[5:8], v187 offset:1632
	s_waitcnt vmcnt(57) lgkmcnt(1)
	v_mul_f64 v[211:212], v[135:136], v[198:199]
	v_mul_f64 v[198:199], v[137:138], v[198:199]
	s_waitcnt vmcnt(56)
	v_fma_f64 v[181:182], v[1:2], v[208:209], -v[181:182]
	v_fma_f64 v[175:176], v[3:4], v[208:209], v[175:176]
	v_add_f64 v[139:140], v[139:140], v[204:205]
	v_add_f64 v[141:142], v[141:142], v[173:174]
	s_clause 0x2
	buffer_load_dword v207, off, s[0:3], 0 offset:876
	buffer_load_dword v174, off, s[0:3], 0 offset:852
	;; [unrolled: 1-line block ×3, first 2 shown]
	ds_read_b128 v[1:4], v187 offset:1648
	s_waitcnt vmcnt(58) lgkmcnt(1)
	v_mul_f64 v[208:209], v[7:8], v[215:216]
	v_mul_f64 v[204:205], v[5:6], v[215:216]
	s_waitcnt vmcnt(56)
	v_fma_f64 v[198:199], v[135:136], v[192:193], -v[198:199]
	v_add_f64 v[139:140], v[139:140], v[181:182]
	v_fma_f64 v[181:182], v[137:138], v[192:193], v[211:212]
	v_add_f64 v[141:142], v[141:142], v[175:176]
	s_clause 0x4
	buffer_load_dword v176, off, s[0:3], 0 offset:892
	buffer_load_dword v192, off, s[0:3], 0 offset:904
	buffer_load_dword v215, off, s[0:3], 0 offset:896
	buffer_load_dword v175, off, s[0:3], 0 offset:888
	buffer_load_dword v211, off, s[0:3], 0 offset:868
	ds_read_b128 v[135:138], v187 offset:1664
	s_waitcnt vmcnt(57) lgkmcnt(1)
	v_mul_f64 v[219:220], v[1:2], v[151:152]
	v_mul_f64 v[151:152], v[3:4], v[151:152]
	s_waitcnt vmcnt(56)
	v_fma_f64 v[208:209], v[5:6], v[217:218], -v[208:209]
	v_add_f64 v[139:140], v[139:140], v[198:199]
	v_fma_f64 v[198:199], v[7:8], v[217:218], v[204:205]
	v_add_f64 v[141:142], v[141:142], v[181:182]
	s_clause 0x2
	buffer_load_dword v193, off, s[0:3], 0 offset:908
	buffer_load_dword v182, off, s[0:3], 0 offset:884
	buffer_load_dword v181, off, s[0:3], 0 offset:880
	ds_read_b128 v[5:8], v187 offset:1680
	s_waitcnt vmcnt(58) lgkmcnt(1)
	v_mul_f64 v[204:205], v[135:136], v[200:201]
	v_mul_f64 v[200:201], v[137:138], v[200:201]
	s_waitcnt vmcnt(56)
	v_fma_f64 v[151:152], v[1:2], v[145:146], -v[151:152]
	v_fma_f64 v[145:146], v[3:4], v[145:146], v[219:220]
	v_add_f64 v[139:140], v[139:140], v[208:209]
	v_add_f64 v[141:142], v[141:142], v[198:199]
	s_clause 0x4
	buffer_load_dword v199, off, s[0:3], 0 offset:924
	buffer_load_dword v208, off, s[0:3], 0 offset:936
	buffer_load_dword v212, off, s[0:3], 0 offset:928
	buffer_load_dword v198, off, s[0:3], 0 offset:920
	buffer_load_dword v216, off, s[0:3], 0 offset:900
	ds_read_b128 v[1:4], v187 offset:1696
	s_waitcnt vmcnt(57) lgkmcnt(1)
	v_mul_f64 v[217:218], v[5:6], v[188:189]
	v_mul_f64 v[188:189], v[7:8], v[188:189]
	s_waitcnt vmcnt(56)
	v_fma_f64 v[200:201], v[135:136], v[213:214], -v[200:201]
	v_add_f64 v[139:140], v[139:140], v[151:152]
	v_fma_f64 v[151:152], v[137:138], v[213:214], v[204:205]
	v_add_f64 v[141:142], v[141:142], v[145:146]
	s_clause 0x2
	buffer_load_dword v209, off, s[0:3], 0 offset:940
	buffer_load_dword v146, off, s[0:3], 0 offset:916
	buffer_load_dword v145, off, s[0:3], 0 offset:912
	ds_read_b128 v[135:138], v187 offset:1712
	s_waitcnt vmcnt(58) lgkmcnt(1)
	v_mul_f64 v[204:205], v[1:2], v[190:191]
	v_mul_f64 v[190:191], v[3:4], v[190:191]
	s_waitcnt vmcnt(56)
	v_fma_f64 v[188:189], v[5:6], v[147:148], -v[188:189]
	v_fma_f64 v[147:148], v[7:8], v[147:148], v[217:218]
	v_add_f64 v[139:140], v[139:140], v[200:201]
	;; [unrolled: 28-line block ×3, first 2 shown]
	v_add_f64 v[141:142], v[141:142], v[188:189]
	s_clause 0x4
	buffer_load_dword v189, off, s[0:3], 0 offset:988
	buffer_load_dword v190, off, s[0:3], 0 offset:1000
	;; [unrolled: 1-line block ×5, first 2 shown]
	ds_read_b128 v[135:138], v187 offset:1760
	s_waitcnt vmcnt(57) lgkmcnt(1)
	v_mul_f64 v[219:220], v[1:2], v[149:150]
	v_mul_f64 v[149:150], v[3:4], v[149:150]
	s_waitcnt vmcnt(56)
	v_fma_f64 v[163:164], v[5:6], v[196:197], -v[163:164]
	v_add_f64 v[139:140], v[139:140], v[143:144]
	v_fma_f64 v[143:144], v[7:8], v[196:197], v[202:203]
	v_add_f64 v[141:142], v[141:142], v[153:154]
	s_clause 0x2
	buffer_load_dword v191, off, s[0:3], 0 offset:1004
	buffer_load_dword v154, off, s[0:3], 0 offset:980
	;; [unrolled: 1-line block ×3, first 2 shown]
	s_waitcnt vmcnt(58) lgkmcnt(0)
	v_mul_f64 v[196:197], v[135:136], v[169:170]
	v_mul_f64 v[169:170], v[137:138], v[169:170]
	ds_read_b128 v[5:8], v187 offset:1776
	s_waitcnt vmcnt(56)
	v_fma_f64 v[149:150], v[1:2], v[159:160], -v[149:150]
	v_fma_f64 v[159:160], v[3:4], v[159:160], v[219:220]
	v_add_f64 v[139:140], v[139:140], v[163:164]
	v_add_f64 v[141:142], v[141:142], v[143:144]
	s_clause 0x2
	buffer_load_dword v144, off, s[0:3], 0 offset:1020
	buffer_load_dword v143, off, s[0:3], 0 offset:1016
	;; [unrolled: 1-line block ×3, first 2 shown]
	ds_read_b128 v[1:4], v187 offset:1792
	s_waitcnt vmcnt(55) lgkmcnt(1)
	v_mul_f64 v[163:164], v[5:6], v[155:156]
	v_mul_f64 v[155:156], v[7:8], v[155:156]
	s_waitcnt vmcnt(54)
	v_fma_f64 v[169:170], v[135:136], v[171:172], -v[169:170]
	v_add_f64 v[139:140], v[139:140], v[149:150]
	v_fma_f64 v[149:150], v[137:138], v[171:172], v[196:197]
	v_add_f64 v[141:142], v[141:142], v[159:160]
	s_clause 0x1
	buffer_load_dword v160, off, s[0:3], 0 offset:1012
	buffer_load_dword v159, off, s[0:3], 0 offset:1008
	ds_read_b128 v[135:138], v187 offset:1808
	s_waitcnt vmcnt(55) lgkmcnt(1)
	v_mul_f64 v[171:172], v[1:2], v[177:178]
	v_mul_f64 v[177:178], v[3:4], v[177:178]
	s_waitcnt vmcnt(53)
	v_fma_f64 v[155:156], v[5:6], v[157:158], -v[155:156]
	v_fma_f64 v[157:158], v[7:8], v[157:158], v[163:164]
	ds_read_b128 v[5:8], v187 offset:1824
	v_add_f64 v[139:140], v[139:140], v[169:170]
	v_add_f64 v[141:142], v[141:142], v[149:150]
	s_waitcnt vmcnt(49) lgkmcnt(1)
	v_mul_f64 v[149:150], v[135:136], v[161:162]
	v_mul_f64 v[161:162], v[137:138], v[161:162]
	s_waitcnt vmcnt(48)
	v_fma_f64 v[163:164], v[1:2], v[179:180], -v[177:178]
	v_add_f64 v[139:140], v[139:140], v[155:156]
	v_fma_f64 v[155:156], v[3:4], v[179:180], v[171:172]
	v_add_f64 v[141:142], v[141:142], v[157:158]
	s_clause 0x3
	buffer_load_dword v157, off, s[0:3], 0 offset:336
	buffer_load_dword v158, off, s[0:3], 0 offset:340
	;; [unrolled: 1-line block ×4, first 2 shown]
	ds_read_b128 v[1:4], v187 offset:1840
	s_waitcnt vmcnt(51) lgkmcnt(1)
	v_mul_f64 v[177:178], v[7:8], v[183:184]
	v_mul_f64 v[171:172], v[5:6], v[183:184]
	s_waitcnt vmcnt(49)
	v_fma_f64 v[161:162], v[135:136], v[165:166], -v[161:162]
	v_fma_f64 v[149:150], v[137:138], v[165:166], v[149:150]
	ds_read_b128 v[135:138], v187 offset:1856
	v_add_f64 v[139:140], v[139:140], v[163:164]
	v_add_f64 v[141:142], v[141:142], v[155:156]
	s_waitcnt vmcnt(45) lgkmcnt(1)
	v_mul_f64 v[163:164], v[3:4], v[167:168]
	s_waitcnt vmcnt(44)
	v_fma_f64 v[165:166], v[5:6], v[185:186], -v[177:178]
	v_mul_f64 v[155:156], v[1:2], v[167:168]
	v_add_f64 v[139:140], v[139:140], v[161:162]
	v_fma_f64 v[161:162], v[7:8], v[185:186], v[171:172]
	v_add_f64 v[141:142], v[141:142], v[149:150]
	ds_read_b128 v[5:8], v187 offset:1872
	s_waitcnt vmcnt(43) lgkmcnt(1)
	v_mul_f64 v[167:168], v[137:138], v[206:207]
	v_mul_f64 v[149:150], v[135:136], v[206:207]
	s_waitcnt vmcnt(41)
	v_fma_f64 v[163:164], v[1:2], v[173:174], -v[163:164]
	v_fma_f64 v[155:156], v[3:4], v[173:174], v[155:156]
	ds_read_b128 v[1:4], v187 offset:1888
	v_add_f64 v[139:140], v[139:140], v[165:166]
	v_add_f64 v[141:142], v[141:142], v[161:162]
	s_waitcnt vmcnt(37) lgkmcnt(1)
	v_mul_f64 v[165:166], v[7:8], v[175:176]
	s_waitcnt vmcnt(36)
	v_fma_f64 v[167:168], v[135:136], v[210:211], -v[167:168]
	v_mul_f64 v[161:162], v[5:6], v[175:176]
	v_fma_f64 v[149:150], v[137:138], v[210:211], v[149:150]
	ds_read_b128 v[135:138], v187 offset:1904
	v_add_f64 v[139:140], v[139:140], v[163:164]
	v_add_f64 v[141:142], v[141:142], v[155:156]
	s_waitcnt vmcnt(35) lgkmcnt(1)
	v_mul_f64 v[163:164], v[3:4], v[192:193]
	v_mul_f64 v[155:156], v[1:2], v[192:193]
	s_waitcnt vmcnt(33)
	v_fma_f64 v[165:166], v[5:6], v[181:182], -v[165:166]
	v_fma_f64 v[161:162], v[7:8], v[181:182], v[161:162]
	ds_read_b128 v[5:8], v187 offset:1920
	v_add_f64 v[139:140], v[139:140], v[167:168]
	v_add_f64 v[141:142], v[141:142], v[149:150]
	s_waitcnt vmcnt(29) lgkmcnt(1)
	v_mul_f64 v[167:168], v[137:138], v[198:199]
	s_waitcnt vmcnt(28)
	v_fma_f64 v[163:164], v[1:2], v[215:216], -v[163:164]
	v_mul_f64 v[149:150], v[135:136], v[198:199]
	v_fma_f64 v[155:156], v[3:4], v[215:216], v[155:156]
	ds_read_b128 v[1:4], v187 offset:1936
	v_add_f64 v[139:140], v[139:140], v[165:166]
	v_add_f64 v[141:142], v[141:142], v[161:162]
	s_waitcnt vmcnt(27) lgkmcnt(1)
	v_mul_f64 v[165:166], v[7:8], v[208:209]
	v_mul_f64 v[161:162], v[5:6], v[208:209]
	s_waitcnt vmcnt(25)
	v_fma_f64 v[167:168], v[135:136], v[145:146], -v[167:168]
	v_fma_f64 v[145:146], v[137:138], v[145:146], v[149:150]
	ds_read_b128 v[135:138], v187 offset:1952
	v_add_f64 v[139:140], v[139:140], v[163:164]
	v_add_f64 v[141:142], v[141:142], v[155:156]
	s_waitcnt vmcnt(21) lgkmcnt(1)
	v_mul_f64 v[149:150], v[1:2], v[151:152]
	v_mul_f64 v[151:152], v[3:4], v[151:152]
	s_waitcnt vmcnt(20)
	v_fma_f64 v[155:156], v[5:6], v[212:213], -v[165:166]
	;; [unrolled: 9-line block ×3, first 2 shown]
	v_fma_f64 v[147:148], v[3:4], v[147:148], v[149:150]
	ds_read_b128 v[1:4], v187 offset:1984
	v_add_f64 v[139:140], v[139:140], v[155:156]
	v_add_f64 v[141:142], v[141:142], v[161:162]
	s_waitcnt vmcnt(13) lgkmcnt(1)
	v_mul_f64 v[155:156], v[7:8], v[188:189]
	s_waitcnt vmcnt(12)
	v_fma_f64 v[161:162], v[135:136], v[217:218], -v[163:164]
	v_mul_f64 v[149:150], v[5:6], v[188:189]
	v_fma_f64 v[145:146], v[137:138], v[217:218], v[145:146]
	ds_read_b128 v[135:138], v187 offset:2000
	v_add_f64 v[139:140], v[139:140], v[151:152]
	v_add_f64 v[141:142], v[141:142], v[147:148]
	s_waitcnt vmcnt(11) lgkmcnt(1)
	v_mul_f64 v[151:152], v[3:4], v[190:191]
	v_mul_f64 v[147:148], v[1:2], v[190:191]
	s_waitcnt vmcnt(9)
	v_fma_f64 v[5:6], v[5:6], v[153:154], -v[155:156]
	v_fma_f64 v[7:8], v[7:8], v[153:154], v[149:150]
	v_add_f64 v[139:140], v[139:140], v[161:162]
	v_add_f64 v[141:142], v[141:142], v[145:146]
	s_waitcnt vmcnt(7) lgkmcnt(0)
	v_mul_f64 v[145:146], v[135:136], v[143:144]
	v_mul_f64 v[143:144], v[137:138], v[143:144]
	s_waitcnt vmcnt(6)
	v_fma_f64 v[1:2], v[1:2], v[204:205], -v[151:152]
	v_fma_f64 v[3:4], v[3:4], v[204:205], v[147:148]
	v_add_f64 v[5:6], v[139:140], v[5:6]
	v_add_f64 v[7:8], v[141:142], v[7:8]
	s_waitcnt vmcnt(4)
	v_fma_f64 v[135:136], v[135:136], v[159:160], -v[143:144]
	v_add_f64 v[1:2], v[5:6], v[1:2]
	v_fma_f64 v[5:6], v[137:138], v[159:160], v[145:146]
	v_add_f64 v[3:4], v[7:8], v[3:4]
	v_add_f64 v[1:2], v[1:2], v[135:136]
	v_add_f64 v[3:4], v[3:4], v[5:6]
	s_waitcnt vmcnt(2)
	v_add_f64 v[1:2], v[157:158], -v[1:2]
	s_waitcnt vmcnt(0)
	v_add_f64 v[3:4], v[169:170], -v[3:4]
	buffer_store_dword v2, off, s[0:3], 0 offset:340
	buffer_store_dword v1, off, s[0:3], 0 offset:336
	;; [unrolled: 1-line block ×4, first 2 shown]
	v_cmpx_lt_u32_e32 19, v0
	s_cbranch_execz .LBB126_365
; %bb.364:
	v_mov_b32_e32 v4, s58
	v_mov_b32_e32 v5, 0
	s_clause 0x3
	buffer_load_dword v1, v4, s[0:3], 0 offen
	buffer_load_dword v2, v4, s[0:3], 0 offen offset:4
	buffer_load_dword v3, v4, s[0:3], 0 offen offset:8
	;; [unrolled: 1-line block ×3, first 2 shown]
	buffer_store_dword v5, off, s[0:3], 0 offset:320
	buffer_store_dword v5, off, s[0:3], 0 offset:324
	;; [unrolled: 1-line block ×4, first 2 shown]
	s_waitcnt vmcnt(0)
	ds_write_b128 v195, v[1:4]
.LBB126_365:
	s_or_b32 exec_lo, exec_lo, s4
	s_waitcnt lgkmcnt(0)
	s_waitcnt_vscnt null, 0x0
	s_barrier
	buffer_gl0_inv
	s_clause 0x37
	buffer_load_dword v135, off, s[0:3], 0 offset:344
	buffer_load_dword v136, off, s[0:3], 0 offset:348
	;; [unrolled: 1-line block ×56, first 2 shown]
	v_mov_b32_e32 v187, 0
	s_mov_b32 s4, exec_lo
	ds_read_b128 v[188:191], v187 offset:1328
	s_clause 0x2
	buffer_load_dword v184, off, s[0:3], 0 offset:572
	buffer_load_dword v186, off, s[0:3], 0 offset:548
	;; [unrolled: 1-line block ×3, first 2 shown]
	ds_read_b128 v[196:199], v187 offset:1344
	s_clause 0x4
	buffer_load_dword v205, off, s[0:3], 0 offset:588
	buffer_load_dword v206, off, s[0:3], 0 offset:600
	;; [unrolled: 1-line block ×5, first 2 shown]
	ds_read_b128 v[200:203], v187 offset:1360
	s_clause 0x2
	buffer_load_dword v207, off, s[0:3], 0 offset:604
	buffer_load_dword v212, off, s[0:3], 0 offset:580
	;; [unrolled: 1-line block ×3, first 2 shown]
	s_waitcnt vmcnt(62) lgkmcnt(2)
	v_mul_f64 v[192:193], v[190:191], v[135:136]
	v_mul_f64 v[135:136], v[188:189], v[135:136]
	s_waitcnt lgkmcnt(1)
	v_mul_f64 v[209:210], v[198:199], v[5:6]
	s_waitcnt vmcnt(59) lgkmcnt(0)
	v_mul_f64 v[213:214], v[202:203], v[3:4]
	v_fma_f64 v[188:189], v[188:189], v[7:8], -v[192:193]
	v_mul_f64 v[192:193], v[196:197], v[5:6]
	v_fma_f64 v[135:136], v[190:191], v[7:8], v[135:136]
	s_waitcnt vmcnt(57)
	v_fma_f64 v[196:197], v[196:197], v[1:2], -v[209:210]
	ds_read_b128 v[5:8], v187 offset:1376
	v_mul_f64 v[190:191], v[200:201], v[3:4]
	s_waitcnt vmcnt(51)
	v_fma_f64 v[200:201], v[200:201], v[151:152], -v[213:214]
	v_add_f64 v[188:189], v[188:189], 0
	v_fma_f64 v[192:193], v[198:199], v[1:2], v[192:193]
	v_add_f64 v[135:136], v[135:136], 0
	s_clause 0x4
	buffer_load_dword v199, off, s[0:3], 0 offset:620
	buffer_load_dword v215, off, s[0:3], 0 offset:632
	;; [unrolled: 1-line block ×5, first 2 shown]
	s_waitcnt lgkmcnt(0)
	v_mul_f64 v[218:219], v[5:6], v[139:140]
	v_mul_f64 v[139:140], v[7:8], v[139:140]
	ds_read_b128 v[1:4], v187 offset:1392
	v_fma_f64 v[151:152], v[202:203], v[151:152], v[190:191]
	v_add_f64 v[196:197], v[188:189], v[196:197]
	v_add_f64 v[135:136], v[135:136], v[192:193]
	s_clause 0x2
	buffer_load_dword v216, off, s[0:3], 0 offset:636
	buffer_load_dword v193, off, s[0:3], 0 offset:612
	;; [unrolled: 1-line block ×3, first 2 shown]
	s_waitcnt vmcnt(58) lgkmcnt(0)
	v_mul_f64 v[202:203], v[1:2], v[143:144]
	v_mul_f64 v[143:144], v[3:4], v[143:144]
	s_waitcnt vmcnt(56)
	v_fma_f64 v[139:140], v[5:6], v[145:146], -v[139:140]
	ds_read_b128 v[188:191], v187 offset:1408
	v_fma_f64 v[145:146], v[7:8], v[145:146], v[218:219]
	v_add_f64 v[196:197], v[196:197], v[200:201]
	v_add_f64 v[135:136], v[135:136], v[151:152]
	s_clause 0x4
	buffer_load_dword v152, off, s[0:3], 0 offset:652
	buffer_load_dword v200, off, s[0:3], 0 offset:664
	;; [unrolled: 1-line block ×5, first 2 shown]
	ds_read_b128 v[5:8], v187 offset:1424
	s_waitcnt vmcnt(57) lgkmcnt(1)
	v_mul_f64 v[219:220], v[188:189], v[147:148]
	v_mul_f64 v[147:148], v[190:191], v[147:148]
	s_waitcnt vmcnt(56)
	v_fma_f64 v[143:144], v[1:2], v[137:138], -v[143:144]
	v_fma_f64 v[137:138], v[3:4], v[137:138], v[202:203]
	v_add_f64 v[139:140], v[196:197], v[139:140]
	v_add_f64 v[135:136], v[135:136], v[145:146]
	s_clause 0x2
	buffer_load_dword v201, off, s[0:3], 0 offset:668
	buffer_load_dword v146, off, s[0:3], 0 offset:644
	;; [unrolled: 1-line block ×3, first 2 shown]
	s_waitcnt vmcnt(58) lgkmcnt(0)
	v_mul_f64 v[196:197], v[5:6], v[153:154]
	v_mul_f64 v[153:154], v[7:8], v[153:154]
	s_waitcnt vmcnt(56)
	v_fma_f64 v[147:148], v[188:189], v[155:156], -v[147:148]
	ds_read_b128 v[1:4], v187 offset:1440
	v_add_f64 v[139:140], v[139:140], v[143:144]
	v_fma_f64 v[143:144], v[190:191], v[155:156], v[219:220]
	v_add_f64 v[155:156], v[135:136], v[137:138]
	s_clause 0x4
	buffer_load_dword v189, off, s[0:3], 0 offset:684
	buffer_load_dword v190, off, s[0:3], 0 offset:696
	;; [unrolled: 1-line block ×5, first 2 shown]
	ds_read_b128 v[135:138], v187 offset:1456
	s_waitcnt vmcnt(57) lgkmcnt(1)
	v_mul_f64 v[219:220], v[1:2], v[157:158]
	v_mul_f64 v[157:158], v[3:4], v[157:158]
	s_waitcnt vmcnt(56)
	v_fma_f64 v[153:154], v[5:6], v[141:142], -v[153:154]
	v_fma_f64 v[141:142], v[7:8], v[141:142], v[196:197]
	v_add_f64 v[139:140], v[139:140], v[147:148]
	s_clause 0x2
	buffer_load_dword v191, off, s[0:3], 0 offset:700
	buffer_load_dword v148, off, s[0:3], 0 offset:676
	;; [unrolled: 1-line block ×3, first 2 shown]
	v_add_f64 v[143:144], v[155:156], v[143:144]
	s_waitcnt vmcnt(58) lgkmcnt(0)
	v_mul_f64 v[155:156], v[135:136], v[161:162]
	v_mul_f64 v[161:162], v[137:138], v[161:162]
	ds_read_b128 v[5:8], v187 offset:1472
	s_waitcnt vmcnt(56)
	v_fma_f64 v[157:158], v[1:2], v[163:164], -v[157:158]
	v_add_f64 v[139:140], v[139:140], v[153:154]
	v_fma_f64 v[153:154], v[3:4], v[163:164], v[219:220]
	v_add_f64 v[141:142], v[143:144], v[141:142]
	s_clause 0x4
	buffer_load_dword v144, off, s[0:3], 0 offset:716
	buffer_load_dword v163, off, s[0:3], 0 offset:728
	;; [unrolled: 1-line block ×5, first 2 shown]
	s_waitcnt vmcnt(57) lgkmcnt(0)
	v_mul_f64 v[219:220], v[5:6], v[165:166]
	v_mul_f64 v[165:166], v[7:8], v[165:166]
	s_waitcnt vmcnt(56)
	v_fma_f64 v[161:162], v[135:136], v[149:150], -v[161:162]
	ds_read_b128 v[1:4], v187 offset:1488
	v_fma_f64 v[149:150], v[137:138], v[149:150], v[155:156]
	v_add_f64 v[139:140], v[139:140], v[157:158]
	v_add_f64 v[141:142], v[141:142], v[153:154]
	s_clause 0x2
	buffer_load_dword v164, off, s[0:3], 0 offset:732
	buffer_load_dword v154, off, s[0:3], 0 offset:708
	;; [unrolled: 1-line block ×3, first 2 shown]
	ds_read_b128 v[135:138], v187 offset:1504
	s_waitcnt vmcnt(58) lgkmcnt(1)
	v_mul_f64 v[157:158], v[3:4], v[169:170]
	s_waitcnt vmcnt(56)
	v_fma_f64 v[165:166], v[5:6], v[171:172], -v[165:166]
	v_mul_f64 v[155:156], v[1:2], v[169:170]
	v_add_f64 v[139:140], v[139:140], v[161:162]
	v_fma_f64 v[161:162], v[7:8], v[171:172], v[219:220]
	v_add_f64 v[141:142], v[141:142], v[149:150]
	s_clause 0x4
	buffer_load_dword v150, off, s[0:3], 0 offset:748
	buffer_load_dword v169, off, s[0:3], 0 offset:760
	;; [unrolled: 1-line block ×5, first 2 shown]
	s_waitcnt vmcnt(57) lgkmcnt(0)
	v_mul_f64 v[219:220], v[135:136], v[173:174]
	v_mul_f64 v[172:173], v[137:138], v[173:174]
	s_waitcnt vmcnt(56)
	v_fma_f64 v[157:158], v[1:2], v[159:160], -v[157:158]
	ds_read_b128 v[5:8], v187 offset:1520
	v_fma_f64 v[155:156], v[3:4], v[159:160], v[155:156]
	s_clause 0x2
	buffer_load_dword v170, off, s[0:3], 0 offset:764
	buffer_load_dword v160, off, s[0:3], 0 offset:740
	;; [unrolled: 1-line block ×3, first 2 shown]
	ds_read_b128 v[1:4], v187 offset:1536
	v_add_f64 v[139:140], v[139:140], v[165:166]
	v_add_f64 v[141:142], v[141:142], v[161:162]
	s_waitcnt vmcnt(58) lgkmcnt(1)
	v_mul_f64 v[165:166], v[7:8], v[177:178]
	s_waitcnt vmcnt(56)
	v_fma_f64 v[173:174], v[135:136], v[179:180], -v[172:173]
	v_mul_f64 v[161:162], v[5:6], v[177:178]
	v_add_f64 v[139:140], v[139:140], v[157:158]
	v_fma_f64 v[157:158], v[137:138], v[179:180], v[219:220]
	v_add_f64 v[141:142], v[141:142], v[155:156]
	s_clause 0x4
	buffer_load_dword v156, off, s[0:3], 0 offset:780
	buffer_load_dword v177, off, s[0:3], 0 offset:792
	;; [unrolled: 1-line block ×5, first 2 shown]
	s_waitcnt vmcnt(57) lgkmcnt(0)
	v_mul_f64 v[219:220], v[1:2], v[181:182]
	v_mul_f64 v[180:181], v[3:4], v[181:182]
	s_waitcnt vmcnt(56)
	v_fma_f64 v[165:166], v[5:6], v[167:168], -v[165:166]
	ds_read_b128 v[135:138], v187 offset:1552
	v_fma_f64 v[161:162], v[7:8], v[167:168], v[161:162]
	v_add_f64 v[139:140], v[139:140], v[173:174]
	v_add_f64 v[141:142], v[141:142], v[157:158]
	s_clause 0x2
	buffer_load_dword v178, off, s[0:3], 0 offset:796
	buffer_load_dword v158, off, s[0:3], 0 offset:772
	;; [unrolled: 1-line block ×3, first 2 shown]
	ds_read_b128 v[5:8], v187 offset:1568
	s_waitcnt vmcnt(58) lgkmcnt(1)
	v_mul_f64 v[173:174], v[137:138], v[183:184]
	s_waitcnt vmcnt(56)
	v_fma_f64 v[181:182], v[1:2], v[185:186], -v[180:181]
	v_mul_f64 v[167:168], v[135:136], v[183:184]
	v_add_f64 v[139:140], v[139:140], v[165:166]
	v_fma_f64 v[165:166], v[3:4], v[185:186], v[219:220]
	v_add_f64 v[141:142], v[141:142], v[161:162]
	s_clause 0x4
	buffer_load_dword v162, off, s[0:3], 0 offset:812
	buffer_load_dword v183, off, s[0:3], 0 offset:824
	;; [unrolled: 1-line block ×5, first 2 shown]
	s_waitcnt vmcnt(57) lgkmcnt(0)
	v_mul_f64 v[219:220], v[5:6], v[204:205]
	v_mul_f64 v[204:205], v[7:8], v[204:205]
	s_waitcnt vmcnt(56)
	v_fma_f64 v[173:174], v[135:136], v[175:176], -v[173:174]
	ds_read_b128 v[1:4], v187 offset:1584
	v_fma_f64 v[167:168], v[137:138], v[175:176], v[167:168]
	v_add_f64 v[139:140], v[139:140], v[181:182]
	v_add_f64 v[141:142], v[141:142], v[165:166]
	s_clause 0x2
	buffer_load_dword v184, off, s[0:3], 0 offset:828
	buffer_load_dword v166, off, s[0:3], 0 offset:804
	;; [unrolled: 1-line block ×3, first 2 shown]
	ds_read_b128 v[135:138], v187 offset:1600
	s_waitcnt vmcnt(58) lgkmcnt(1)
	v_mul_f64 v[181:182], v[3:4], v[206:207]
	s_waitcnt vmcnt(56)
	v_fma_f64 v[204:205], v[5:6], v[211:212], -v[204:205]
	v_mul_f64 v[175:176], v[1:2], v[206:207]
	v_add_f64 v[139:140], v[139:140], v[173:174]
	v_fma_f64 v[173:174], v[7:8], v[211:212], v[219:220]
	v_add_f64 v[141:142], v[141:142], v[167:168]
	s_clause 0x4
	buffer_load_dword v168, off, s[0:3], 0 offset:844
	buffer_load_dword v206, off, s[0:3], 0 offset:856
	;; [unrolled: 1-line block ×5, first 2 shown]
	ds_read_b128 v[5:8], v187 offset:1616
	s_waitcnt vmcnt(57) lgkmcnt(1)
	v_mul_f64 v[211:212], v[135:136], v[198:199]
	v_mul_f64 v[198:199], v[137:138], v[198:199]
	s_waitcnt vmcnt(56)
	v_fma_f64 v[181:182], v[1:2], v[208:209], -v[181:182]
	v_fma_f64 v[175:176], v[3:4], v[208:209], v[175:176]
	v_add_f64 v[139:140], v[139:140], v[204:205]
	v_add_f64 v[141:142], v[141:142], v[173:174]
	s_clause 0x2
	buffer_load_dword v207, off, s[0:3], 0 offset:860
	buffer_load_dword v174, off, s[0:3], 0 offset:836
	;; [unrolled: 1-line block ×3, first 2 shown]
	ds_read_b128 v[1:4], v187 offset:1632
	s_waitcnt vmcnt(58) lgkmcnt(1)
	v_mul_f64 v[208:209], v[7:8], v[215:216]
	v_mul_f64 v[204:205], v[5:6], v[215:216]
	s_waitcnt vmcnt(56)
	v_fma_f64 v[198:199], v[135:136], v[192:193], -v[198:199]
	v_add_f64 v[139:140], v[139:140], v[181:182]
	v_fma_f64 v[181:182], v[137:138], v[192:193], v[211:212]
	v_add_f64 v[141:142], v[141:142], v[175:176]
	s_clause 0x4
	buffer_load_dword v176, off, s[0:3], 0 offset:876
	buffer_load_dword v192, off, s[0:3], 0 offset:888
	buffer_load_dword v215, off, s[0:3], 0 offset:880
	buffer_load_dword v175, off, s[0:3], 0 offset:872
	buffer_load_dword v211, off, s[0:3], 0 offset:852
	ds_read_b128 v[135:138], v187 offset:1648
	s_waitcnt vmcnt(57) lgkmcnt(1)
	v_mul_f64 v[219:220], v[1:2], v[151:152]
	v_mul_f64 v[151:152], v[3:4], v[151:152]
	s_waitcnt vmcnt(56)
	v_fma_f64 v[208:209], v[5:6], v[217:218], -v[208:209]
	v_add_f64 v[139:140], v[139:140], v[198:199]
	v_fma_f64 v[198:199], v[7:8], v[217:218], v[204:205]
	v_add_f64 v[141:142], v[141:142], v[181:182]
	s_clause 0x2
	buffer_load_dword v193, off, s[0:3], 0 offset:892
	buffer_load_dword v182, off, s[0:3], 0 offset:868
	buffer_load_dword v181, off, s[0:3], 0 offset:864
	ds_read_b128 v[5:8], v187 offset:1664
	s_waitcnt vmcnt(58) lgkmcnt(1)
	v_mul_f64 v[204:205], v[135:136], v[200:201]
	v_mul_f64 v[200:201], v[137:138], v[200:201]
	s_waitcnt vmcnt(56)
	v_fma_f64 v[151:152], v[1:2], v[145:146], -v[151:152]
	v_fma_f64 v[145:146], v[3:4], v[145:146], v[219:220]
	v_add_f64 v[139:140], v[139:140], v[208:209]
	v_add_f64 v[141:142], v[141:142], v[198:199]
	s_clause 0x4
	buffer_load_dword v199, off, s[0:3], 0 offset:908
	buffer_load_dword v208, off, s[0:3], 0 offset:920
	buffer_load_dword v212, off, s[0:3], 0 offset:912
	buffer_load_dword v198, off, s[0:3], 0 offset:904
	buffer_load_dword v216, off, s[0:3], 0 offset:884
	ds_read_b128 v[1:4], v187 offset:1680
	s_waitcnt vmcnt(57) lgkmcnt(1)
	v_mul_f64 v[217:218], v[5:6], v[188:189]
	v_mul_f64 v[188:189], v[7:8], v[188:189]
	s_waitcnt vmcnt(56)
	v_fma_f64 v[200:201], v[135:136], v[213:214], -v[200:201]
	v_add_f64 v[139:140], v[139:140], v[151:152]
	v_fma_f64 v[151:152], v[137:138], v[213:214], v[204:205]
	v_add_f64 v[141:142], v[141:142], v[145:146]
	s_clause 0x2
	buffer_load_dword v209, off, s[0:3], 0 offset:924
	buffer_load_dword v146, off, s[0:3], 0 offset:900
	buffer_load_dword v145, off, s[0:3], 0 offset:896
	ds_read_b128 v[135:138], v187 offset:1696
	s_waitcnt vmcnt(58) lgkmcnt(1)
	v_mul_f64 v[204:205], v[1:2], v[190:191]
	v_mul_f64 v[190:191], v[3:4], v[190:191]
	s_waitcnt vmcnt(56)
	v_fma_f64 v[188:189], v[5:6], v[147:148], -v[188:189]
	v_fma_f64 v[147:148], v[7:8], v[147:148], v[217:218]
	v_add_f64 v[139:140], v[139:140], v[200:201]
	;; [unrolled: 28-line block ×3, first 2 shown]
	v_add_f64 v[141:142], v[141:142], v[188:189]
	s_clause 0x4
	buffer_load_dword v189, off, s[0:3], 0 offset:972
	buffer_load_dword v190, off, s[0:3], 0 offset:984
	;; [unrolled: 1-line block ×5, first 2 shown]
	ds_read_b128 v[135:138], v187 offset:1744
	s_waitcnt vmcnt(57) lgkmcnt(1)
	v_mul_f64 v[219:220], v[1:2], v[149:150]
	v_mul_f64 v[149:150], v[3:4], v[149:150]
	s_waitcnt vmcnt(56)
	v_fma_f64 v[163:164], v[5:6], v[196:197], -v[163:164]
	v_add_f64 v[139:140], v[139:140], v[143:144]
	v_fma_f64 v[143:144], v[7:8], v[196:197], v[202:203]
	v_add_f64 v[141:142], v[141:142], v[153:154]
	s_clause 0x2
	buffer_load_dword v191, off, s[0:3], 0 offset:988
	buffer_load_dword v154, off, s[0:3], 0 offset:964
	;; [unrolled: 1-line block ×3, first 2 shown]
	s_waitcnt vmcnt(58) lgkmcnt(0)
	v_mul_f64 v[196:197], v[135:136], v[169:170]
	v_mul_f64 v[169:170], v[137:138], v[169:170]
	ds_read_b128 v[5:8], v187 offset:1760
	s_waitcnt vmcnt(56)
	v_fma_f64 v[149:150], v[1:2], v[159:160], -v[149:150]
	v_fma_f64 v[159:160], v[3:4], v[159:160], v[219:220]
	v_add_f64 v[139:140], v[139:140], v[163:164]
	v_add_f64 v[141:142], v[141:142], v[143:144]
	s_clause 0x4
	buffer_load_dword v144, off, s[0:3], 0 offset:1004
	buffer_load_dword v163, off, s[0:3], 0 offset:1016
	;; [unrolled: 1-line block ×5, first 2 shown]
	ds_read_b128 v[1:4], v187 offset:1776
	s_waitcnt vmcnt(57) lgkmcnt(1)
	v_mul_f64 v[219:220], v[5:6], v[155:156]
	v_mul_f64 v[155:156], v[7:8], v[155:156]
	s_waitcnt vmcnt(56)
	v_fma_f64 v[169:170], v[135:136], v[171:172], -v[169:170]
	v_add_f64 v[139:140], v[139:140], v[149:150]
	v_fma_f64 v[149:150], v[137:138], v[171:172], v[196:197]
	v_add_f64 v[141:142], v[141:142], v[159:160]
	s_clause 0x2
	buffer_load_dword v164, off, s[0:3], 0 offset:1020
	buffer_load_dword v160, off, s[0:3], 0 offset:996
	;; [unrolled: 1-line block ×3, first 2 shown]
	ds_read_b128 v[135:138], v187 offset:1792
	buffer_load_dword v203, off, s[0:3], 0 offset:1012
	s_waitcnt vmcnt(59) lgkmcnt(1)
	v_mul_f64 v[171:172], v[1:2], v[177:178]
	v_mul_f64 v[177:178], v[3:4], v[177:178]
	s_waitcnt vmcnt(57)
	v_fma_f64 v[155:156], v[5:6], v[157:158], -v[155:156]
	v_fma_f64 v[157:158], v[7:8], v[157:158], v[219:220]
	ds_read_b128 v[5:8], v187 offset:1808
	v_add_f64 v[139:140], v[139:140], v[169:170]
	v_add_f64 v[141:142], v[141:142], v[149:150]
	s_waitcnt vmcnt(53) lgkmcnt(1)
	v_mul_f64 v[149:150], v[135:136], v[161:162]
	v_mul_f64 v[161:162], v[137:138], v[161:162]
	s_waitcnt vmcnt(52)
	v_fma_f64 v[169:170], v[1:2], v[179:180], -v[177:178]
	v_add_f64 v[139:140], v[139:140], v[155:156]
	v_fma_f64 v[155:156], v[3:4], v[179:180], v[171:172]
	v_add_f64 v[141:142], v[141:142], v[157:158]
	ds_read_b128 v[1:4], v187 offset:1824
	s_waitcnt vmcnt(51) lgkmcnt(1)
	v_mul_f64 v[171:172], v[7:8], v[183:184]
	v_mul_f64 v[157:158], v[5:6], v[183:184]
	s_waitcnt vmcnt(49)
	v_fma_f64 v[161:162], v[135:136], v[165:166], -v[161:162]
	v_fma_f64 v[149:150], v[137:138], v[165:166], v[149:150]
	v_add_f64 v[139:140], v[139:140], v[169:170]
	v_add_f64 v[141:142], v[141:142], v[155:156]
	s_clause 0x3
	buffer_load_dword v155, off, s[0:3], 0 offset:320
	buffer_load_dword v156, off, s[0:3], 0 offset:324
	;; [unrolled: 1-line block ×4, first 2 shown]
	ds_read_b128 v[135:138], v187 offset:1840
	s_waitcnt vmcnt(49) lgkmcnt(1)
	v_mul_f64 v[169:170], v[1:2], v[167:168]
	v_mul_f64 v[167:168], v[3:4], v[167:168]
	s_waitcnt vmcnt(48)
	v_fma_f64 v[171:172], v[5:6], v[185:186], -v[171:172]
	v_fma_f64 v[157:158], v[7:8], v[185:186], v[157:158]
	ds_read_b128 v[5:8], v187 offset:1856
	v_add_f64 v[139:140], v[139:140], v[161:162]
	v_add_f64 v[141:142], v[141:142], v[149:150]
	s_waitcnt vmcnt(47) lgkmcnt(1)
	v_mul_f64 v[161:162], v[137:138], v[206:207]
	v_mul_f64 v[149:150], v[135:136], v[206:207]
	s_waitcnt vmcnt(45)
	v_fma_f64 v[167:168], v[1:2], v[173:174], -v[167:168]
	v_fma_f64 v[169:170], v[3:4], v[173:174], v[169:170]
	ds_read_b128 v[1:4], v187 offset:1872
	v_add_f64 v[139:140], v[139:140], v[171:172]
	v_add_f64 v[141:142], v[141:142], v[157:158]
	s_waitcnt vmcnt(41) lgkmcnt(1)
	v_mul_f64 v[171:172], v[7:8], v[175:176]
	s_waitcnt vmcnt(40)
	v_fma_f64 v[161:162], v[135:136], v[210:211], -v[161:162]
	v_mul_f64 v[157:158], v[5:6], v[175:176]
	v_fma_f64 v[149:150], v[137:138], v[210:211], v[149:150]
	ds_read_b128 v[135:138], v187 offset:1888
	v_add_f64 v[139:140], v[139:140], v[167:168]
	v_add_f64 v[141:142], v[141:142], v[169:170]
	s_waitcnt vmcnt(39) lgkmcnt(1)
	v_mul_f64 v[169:170], v[3:4], v[192:193]
	v_mul_f64 v[167:168], v[1:2], v[192:193]
	s_waitcnt vmcnt(37)
	v_fma_f64 v[171:172], v[5:6], v[181:182], -v[171:172]
	v_fma_f64 v[157:158], v[7:8], v[181:182], v[157:158]
	ds_read_b128 v[5:8], v187 offset:1904
	v_add_f64 v[139:140], v[139:140], v[161:162]
	v_add_f64 v[141:142], v[141:142], v[149:150]
	s_waitcnt vmcnt(33) lgkmcnt(1)
	v_mul_f64 v[161:162], v[137:138], v[198:199]
	s_waitcnt vmcnt(32)
	v_fma_f64 v[169:170], v[1:2], v[215:216], -v[169:170]
	v_mul_f64 v[149:150], v[135:136], v[198:199]
	v_fma_f64 v[167:168], v[3:4], v[215:216], v[167:168]
	ds_read_b128 v[1:4], v187 offset:1920
	v_add_f64 v[139:140], v[139:140], v[171:172]
	v_add_f64 v[141:142], v[141:142], v[157:158]
	s_waitcnt vmcnt(31) lgkmcnt(1)
	v_mul_f64 v[171:172], v[7:8], v[208:209]
	v_mul_f64 v[157:158], v[5:6], v[208:209]
	s_waitcnt vmcnt(29)
	v_fma_f64 v[161:162], v[135:136], v[145:146], -v[161:162]
	v_fma_f64 v[145:146], v[137:138], v[145:146], v[149:150]
	ds_read_b128 v[135:138], v187 offset:1936
	v_add_f64 v[139:140], v[139:140], v[169:170]
	v_add_f64 v[141:142], v[141:142], v[167:168]
	s_waitcnt vmcnt(25) lgkmcnt(1)
	v_mul_f64 v[149:150], v[1:2], v[151:152]
	v_mul_f64 v[151:152], v[3:4], v[151:152]
	s_waitcnt vmcnt(24)
	v_fma_f64 v[167:168], v[5:6], v[212:213], -v[171:172]
	;; [unrolled: 9-line block ×3, first 2 shown]
	v_fma_f64 v[147:148], v[3:4], v[147:148], v[149:150]
	ds_read_b128 v[1:4], v187 offset:1968
	v_add_f64 v[139:140], v[139:140], v[167:168]
	v_add_f64 v[141:142], v[141:142], v[157:158]
	s_waitcnt vmcnt(17) lgkmcnt(1)
	v_mul_f64 v[157:158], v[7:8], v[188:189]
	s_waitcnt vmcnt(16)
	v_fma_f64 v[161:162], v[135:136], v[217:218], -v[161:162]
	v_mul_f64 v[149:150], v[5:6], v[188:189]
	v_fma_f64 v[145:146], v[137:138], v[217:218], v[145:146]
	ds_read_b128 v[135:138], v187 offset:1984
	v_add_f64 v[139:140], v[139:140], v[151:152]
	v_add_f64 v[141:142], v[141:142], v[147:148]
	s_waitcnt vmcnt(15) lgkmcnt(1)
	v_mul_f64 v[151:152], v[3:4], v[190:191]
	v_mul_f64 v[147:148], v[1:2], v[190:191]
	s_waitcnt vmcnt(13)
	v_fma_f64 v[157:158], v[5:6], v[153:154], -v[157:158]
	v_fma_f64 v[149:150], v[7:8], v[153:154], v[149:150]
	ds_read_b128 v[5:8], v187 offset:2000
	v_add_f64 v[139:140], v[139:140], v[161:162]
	v_add_f64 v[141:142], v[141:142], v[145:146]
	s_waitcnt vmcnt(9) lgkmcnt(1)
	v_mul_f64 v[145:146], v[135:136], v[143:144]
	v_mul_f64 v[143:144], v[137:138], v[143:144]
	s_waitcnt vmcnt(8)
	v_fma_f64 v[1:2], v[1:2], v[204:205], -v[151:152]
	v_fma_f64 v[3:4], v[3:4], v[204:205], v[147:148]
	v_add_f64 v[139:140], v[139:140], v[157:158]
	v_add_f64 v[141:142], v[141:142], v[149:150]
	s_waitcnt vmcnt(7) lgkmcnt(0)
	v_mul_f64 v[149:150], v[7:8], v[163:164]
	v_mul_f64 v[147:148], v[5:6], v[163:164]
	s_waitcnt vmcnt(5)
	v_fma_f64 v[135:136], v[135:136], v[159:160], -v[143:144]
	v_fma_f64 v[137:138], v[137:138], v[159:160], v[145:146]
	v_add_f64 v[1:2], v[139:140], v[1:2]
	v_add_f64 v[3:4], v[141:142], v[3:4]
	s_waitcnt vmcnt(4)
	v_fma_f64 v[5:6], v[5:6], v[202:203], -v[149:150]
	v_fma_f64 v[7:8], v[7:8], v[202:203], v[147:148]
	v_add_f64 v[1:2], v[1:2], v[135:136]
	v_add_f64 v[3:4], v[3:4], v[137:138]
	;; [unrolled: 1-line block ×4, first 2 shown]
	s_waitcnt vmcnt(2)
	v_add_f64 v[1:2], v[155:156], -v[1:2]
	s_waitcnt vmcnt(0)
	v_add_f64 v[3:4], v[165:166], -v[3:4]
	buffer_store_dword v2, off, s[0:3], 0 offset:324
	buffer_store_dword v1, off, s[0:3], 0 offset:320
	;; [unrolled: 1-line block ×4, first 2 shown]
	v_cmpx_lt_u32_e32 18, v0
	s_cbranch_execz .LBB126_367
; %bb.366:
	v_mov_b32_e32 v4, s59
	s_clause 0x3
	buffer_load_dword v1, v4, s[0:3], 0 offen
	buffer_load_dword v2, v4, s[0:3], 0 offen offset:4
	buffer_load_dword v3, v4, s[0:3], 0 offen offset:8
	;; [unrolled: 1-line block ×3, first 2 shown]
	buffer_store_dword v187, off, s[0:3], 0 offset:304
	buffer_store_dword v187, off, s[0:3], 0 offset:308
	;; [unrolled: 1-line block ×4, first 2 shown]
	s_waitcnt vmcnt(0)
	ds_write_b128 v195, v[1:4]
.LBB126_367:
	s_or_b32 exec_lo, exec_lo, s4
	s_waitcnt lgkmcnt(0)
	s_waitcnt_vscnt null, 0x0
	s_barrier
	buffer_gl0_inv
	s_clause 0x37
	buffer_load_dword v135, off, s[0:3], 0 offset:328
	buffer_load_dword v136, off, s[0:3], 0 offset:332
	;; [unrolled: 1-line block ×56, first 2 shown]
	ds_read_b128 v[188:191], v187 offset:1312
	s_clause 0x2
	buffer_load_dword v184, off, s[0:3], 0 offset:556
	buffer_load_dword v186, off, s[0:3], 0 offset:532
	buffer_load_dword v185, off, s[0:3], 0 offset:528
	ds_read_b128 v[196:199], v187 offset:1328
	s_clause 0x4
	buffer_load_dword v205, off, s[0:3], 0 offset:572
	buffer_load_dword v206, off, s[0:3], 0 offset:584
	;; [unrolled: 1-line block ×5, first 2 shown]
	ds_read_b128 v[200:203], v187 offset:1344
	s_clause 0x2
	buffer_load_dword v207, off, s[0:3], 0 offset:588
	buffer_load_dword v212, off, s[0:3], 0 offset:564
	;; [unrolled: 1-line block ×3, first 2 shown]
	s_mov_b32 s4, exec_lo
	s_waitcnt vmcnt(62) lgkmcnt(2)
	v_mul_f64 v[192:193], v[190:191], v[135:136]
	v_mul_f64 v[135:136], v[188:189], v[135:136]
	s_waitcnt lgkmcnt(1)
	v_mul_f64 v[209:210], v[198:199], v[5:6]
	s_waitcnt vmcnt(59) lgkmcnt(0)
	v_mul_f64 v[213:214], v[202:203], v[3:4]
	v_fma_f64 v[188:189], v[188:189], v[7:8], -v[192:193]
	v_mul_f64 v[192:193], v[196:197], v[5:6]
	v_fma_f64 v[135:136], v[190:191], v[7:8], v[135:136]
	s_waitcnt vmcnt(57)
	v_fma_f64 v[196:197], v[196:197], v[1:2], -v[209:210]
	ds_read_b128 v[5:8], v187 offset:1360
	v_mul_f64 v[190:191], v[200:201], v[3:4]
	s_waitcnt vmcnt(51)
	v_fma_f64 v[200:201], v[200:201], v[151:152], -v[213:214]
	v_add_f64 v[188:189], v[188:189], 0
	v_fma_f64 v[192:193], v[198:199], v[1:2], v[192:193]
	v_add_f64 v[135:136], v[135:136], 0
	s_clause 0x4
	buffer_load_dword v199, off, s[0:3], 0 offset:604
	buffer_load_dword v215, off, s[0:3], 0 offset:616
	;; [unrolled: 1-line block ×5, first 2 shown]
	s_waitcnt lgkmcnt(0)
	v_mul_f64 v[218:219], v[5:6], v[139:140]
	v_mul_f64 v[139:140], v[7:8], v[139:140]
	ds_read_b128 v[1:4], v187 offset:1376
	v_fma_f64 v[151:152], v[202:203], v[151:152], v[190:191]
	v_add_f64 v[196:197], v[188:189], v[196:197]
	v_add_f64 v[135:136], v[135:136], v[192:193]
	s_clause 0x2
	buffer_load_dword v216, off, s[0:3], 0 offset:620
	buffer_load_dword v193, off, s[0:3], 0 offset:596
	;; [unrolled: 1-line block ×3, first 2 shown]
	s_waitcnt vmcnt(58) lgkmcnt(0)
	v_mul_f64 v[202:203], v[1:2], v[143:144]
	v_mul_f64 v[143:144], v[3:4], v[143:144]
	s_waitcnt vmcnt(56)
	v_fma_f64 v[139:140], v[5:6], v[145:146], -v[139:140]
	ds_read_b128 v[188:191], v187 offset:1392
	v_fma_f64 v[145:146], v[7:8], v[145:146], v[218:219]
	v_add_f64 v[196:197], v[196:197], v[200:201]
	v_add_f64 v[135:136], v[135:136], v[151:152]
	s_clause 0x4
	buffer_load_dword v152, off, s[0:3], 0 offset:636
	buffer_load_dword v200, off, s[0:3], 0 offset:648
	;; [unrolled: 1-line block ×5, first 2 shown]
	ds_read_b128 v[5:8], v187 offset:1408
	s_waitcnt vmcnt(57) lgkmcnt(1)
	v_mul_f64 v[219:220], v[188:189], v[147:148]
	v_mul_f64 v[147:148], v[190:191], v[147:148]
	s_waitcnt vmcnt(56)
	v_fma_f64 v[143:144], v[1:2], v[137:138], -v[143:144]
	v_fma_f64 v[137:138], v[3:4], v[137:138], v[202:203]
	v_add_f64 v[139:140], v[196:197], v[139:140]
	v_add_f64 v[135:136], v[135:136], v[145:146]
	s_clause 0x2
	buffer_load_dword v201, off, s[0:3], 0 offset:652
	buffer_load_dword v146, off, s[0:3], 0 offset:628
	;; [unrolled: 1-line block ×3, first 2 shown]
	s_waitcnt vmcnt(58) lgkmcnt(0)
	v_mul_f64 v[196:197], v[5:6], v[153:154]
	v_mul_f64 v[153:154], v[7:8], v[153:154]
	s_waitcnt vmcnt(56)
	v_fma_f64 v[147:148], v[188:189], v[155:156], -v[147:148]
	ds_read_b128 v[1:4], v187 offset:1424
	v_add_f64 v[139:140], v[139:140], v[143:144]
	v_fma_f64 v[143:144], v[190:191], v[155:156], v[219:220]
	v_add_f64 v[155:156], v[135:136], v[137:138]
	s_clause 0x4
	buffer_load_dword v189, off, s[0:3], 0 offset:668
	buffer_load_dword v190, off, s[0:3], 0 offset:680
	;; [unrolled: 1-line block ×5, first 2 shown]
	ds_read_b128 v[135:138], v187 offset:1440
	s_waitcnt vmcnt(57) lgkmcnt(1)
	v_mul_f64 v[219:220], v[1:2], v[157:158]
	v_mul_f64 v[157:158], v[3:4], v[157:158]
	s_waitcnt vmcnt(56)
	v_fma_f64 v[153:154], v[5:6], v[141:142], -v[153:154]
	v_fma_f64 v[141:142], v[7:8], v[141:142], v[196:197]
	v_add_f64 v[139:140], v[139:140], v[147:148]
	s_clause 0x2
	buffer_load_dword v191, off, s[0:3], 0 offset:684
	buffer_load_dword v148, off, s[0:3], 0 offset:660
	;; [unrolled: 1-line block ×3, first 2 shown]
	v_add_f64 v[143:144], v[155:156], v[143:144]
	s_waitcnt vmcnt(58) lgkmcnt(0)
	v_mul_f64 v[155:156], v[135:136], v[161:162]
	v_mul_f64 v[161:162], v[137:138], v[161:162]
	ds_read_b128 v[5:8], v187 offset:1456
	s_waitcnt vmcnt(56)
	v_fma_f64 v[157:158], v[1:2], v[163:164], -v[157:158]
	v_add_f64 v[139:140], v[139:140], v[153:154]
	v_fma_f64 v[153:154], v[3:4], v[163:164], v[219:220]
	v_add_f64 v[141:142], v[143:144], v[141:142]
	s_clause 0x4
	buffer_load_dword v144, off, s[0:3], 0 offset:700
	buffer_load_dword v163, off, s[0:3], 0 offset:712
	;; [unrolled: 1-line block ×5, first 2 shown]
	s_waitcnt vmcnt(57) lgkmcnt(0)
	v_mul_f64 v[219:220], v[5:6], v[165:166]
	v_mul_f64 v[165:166], v[7:8], v[165:166]
	s_waitcnt vmcnt(56)
	v_fma_f64 v[161:162], v[135:136], v[149:150], -v[161:162]
	ds_read_b128 v[1:4], v187 offset:1472
	v_fma_f64 v[149:150], v[137:138], v[149:150], v[155:156]
	v_add_f64 v[139:140], v[139:140], v[157:158]
	v_add_f64 v[141:142], v[141:142], v[153:154]
	s_clause 0x2
	buffer_load_dword v164, off, s[0:3], 0 offset:716
	buffer_load_dword v154, off, s[0:3], 0 offset:692
	;; [unrolled: 1-line block ×3, first 2 shown]
	ds_read_b128 v[135:138], v187 offset:1488
	s_waitcnt vmcnt(58) lgkmcnt(1)
	v_mul_f64 v[157:158], v[3:4], v[169:170]
	s_waitcnt vmcnt(56)
	v_fma_f64 v[165:166], v[5:6], v[171:172], -v[165:166]
	v_mul_f64 v[155:156], v[1:2], v[169:170]
	v_add_f64 v[139:140], v[139:140], v[161:162]
	v_fma_f64 v[161:162], v[7:8], v[171:172], v[219:220]
	v_add_f64 v[141:142], v[141:142], v[149:150]
	s_clause 0x4
	buffer_load_dword v150, off, s[0:3], 0 offset:732
	buffer_load_dword v169, off, s[0:3], 0 offset:744
	;; [unrolled: 1-line block ×5, first 2 shown]
	s_waitcnt vmcnt(57) lgkmcnt(0)
	v_mul_f64 v[219:220], v[135:136], v[173:174]
	v_mul_f64 v[172:173], v[137:138], v[173:174]
	s_waitcnt vmcnt(56)
	v_fma_f64 v[157:158], v[1:2], v[159:160], -v[157:158]
	ds_read_b128 v[5:8], v187 offset:1504
	v_fma_f64 v[155:156], v[3:4], v[159:160], v[155:156]
	s_clause 0x2
	buffer_load_dword v170, off, s[0:3], 0 offset:748
	buffer_load_dword v160, off, s[0:3], 0 offset:724
	;; [unrolled: 1-line block ×3, first 2 shown]
	ds_read_b128 v[1:4], v187 offset:1520
	v_add_f64 v[139:140], v[139:140], v[165:166]
	v_add_f64 v[141:142], v[141:142], v[161:162]
	s_waitcnt vmcnt(58) lgkmcnt(1)
	v_mul_f64 v[165:166], v[7:8], v[177:178]
	s_waitcnt vmcnt(56)
	v_fma_f64 v[173:174], v[135:136], v[179:180], -v[172:173]
	v_mul_f64 v[161:162], v[5:6], v[177:178]
	v_add_f64 v[139:140], v[139:140], v[157:158]
	v_fma_f64 v[157:158], v[137:138], v[179:180], v[219:220]
	v_add_f64 v[141:142], v[141:142], v[155:156]
	s_clause 0x4
	buffer_load_dword v156, off, s[0:3], 0 offset:764
	buffer_load_dword v177, off, s[0:3], 0 offset:776
	;; [unrolled: 1-line block ×5, first 2 shown]
	s_waitcnt vmcnt(57) lgkmcnt(0)
	v_mul_f64 v[219:220], v[1:2], v[181:182]
	v_mul_f64 v[180:181], v[3:4], v[181:182]
	s_waitcnt vmcnt(56)
	v_fma_f64 v[165:166], v[5:6], v[167:168], -v[165:166]
	ds_read_b128 v[135:138], v187 offset:1536
	v_fma_f64 v[161:162], v[7:8], v[167:168], v[161:162]
	v_add_f64 v[139:140], v[139:140], v[173:174]
	v_add_f64 v[141:142], v[141:142], v[157:158]
	s_clause 0x2
	buffer_load_dword v178, off, s[0:3], 0 offset:780
	buffer_load_dword v158, off, s[0:3], 0 offset:756
	;; [unrolled: 1-line block ×3, first 2 shown]
	ds_read_b128 v[5:8], v187 offset:1552
	s_waitcnt vmcnt(58) lgkmcnt(1)
	v_mul_f64 v[173:174], v[137:138], v[183:184]
	s_waitcnt vmcnt(56)
	v_fma_f64 v[181:182], v[1:2], v[185:186], -v[180:181]
	v_mul_f64 v[167:168], v[135:136], v[183:184]
	v_add_f64 v[139:140], v[139:140], v[165:166]
	v_fma_f64 v[165:166], v[3:4], v[185:186], v[219:220]
	v_add_f64 v[141:142], v[141:142], v[161:162]
	s_clause 0x4
	buffer_load_dword v162, off, s[0:3], 0 offset:796
	buffer_load_dword v183, off, s[0:3], 0 offset:808
	;; [unrolled: 1-line block ×5, first 2 shown]
	s_waitcnt vmcnt(57) lgkmcnt(0)
	v_mul_f64 v[219:220], v[5:6], v[204:205]
	v_mul_f64 v[204:205], v[7:8], v[204:205]
	s_waitcnt vmcnt(56)
	v_fma_f64 v[173:174], v[135:136], v[175:176], -v[173:174]
	ds_read_b128 v[1:4], v187 offset:1568
	v_fma_f64 v[167:168], v[137:138], v[175:176], v[167:168]
	v_add_f64 v[139:140], v[139:140], v[181:182]
	v_add_f64 v[141:142], v[141:142], v[165:166]
	s_clause 0x2
	buffer_load_dword v184, off, s[0:3], 0 offset:812
	buffer_load_dword v166, off, s[0:3], 0 offset:788
	buffer_load_dword v165, off, s[0:3], 0 offset:784
	ds_read_b128 v[135:138], v187 offset:1584
	s_waitcnt vmcnt(58) lgkmcnt(1)
	v_mul_f64 v[181:182], v[3:4], v[206:207]
	s_waitcnt vmcnt(56)
	v_fma_f64 v[204:205], v[5:6], v[211:212], -v[204:205]
	v_mul_f64 v[175:176], v[1:2], v[206:207]
	v_add_f64 v[139:140], v[139:140], v[173:174]
	v_fma_f64 v[173:174], v[7:8], v[211:212], v[219:220]
	v_add_f64 v[141:142], v[141:142], v[167:168]
	s_clause 0x4
	buffer_load_dword v168, off, s[0:3], 0 offset:828
	buffer_load_dword v206, off, s[0:3], 0 offset:840
	;; [unrolled: 1-line block ×5, first 2 shown]
	ds_read_b128 v[5:8], v187 offset:1600
	s_waitcnt vmcnt(57) lgkmcnt(1)
	v_mul_f64 v[211:212], v[135:136], v[198:199]
	v_mul_f64 v[198:199], v[137:138], v[198:199]
	s_waitcnt vmcnt(56)
	v_fma_f64 v[181:182], v[1:2], v[208:209], -v[181:182]
	v_fma_f64 v[175:176], v[3:4], v[208:209], v[175:176]
	v_add_f64 v[139:140], v[139:140], v[204:205]
	v_add_f64 v[141:142], v[141:142], v[173:174]
	s_clause 0x2
	buffer_load_dword v207, off, s[0:3], 0 offset:844
	buffer_load_dword v174, off, s[0:3], 0 offset:820
	;; [unrolled: 1-line block ×3, first 2 shown]
	ds_read_b128 v[1:4], v187 offset:1616
	s_waitcnt vmcnt(58) lgkmcnt(1)
	v_mul_f64 v[208:209], v[7:8], v[215:216]
	v_mul_f64 v[204:205], v[5:6], v[215:216]
	s_waitcnt vmcnt(56)
	v_fma_f64 v[198:199], v[135:136], v[192:193], -v[198:199]
	v_add_f64 v[139:140], v[139:140], v[181:182]
	v_fma_f64 v[181:182], v[137:138], v[192:193], v[211:212]
	v_add_f64 v[141:142], v[141:142], v[175:176]
	s_clause 0x4
	buffer_load_dword v176, off, s[0:3], 0 offset:860
	buffer_load_dword v192, off, s[0:3], 0 offset:872
	buffer_load_dword v215, off, s[0:3], 0 offset:864
	buffer_load_dword v175, off, s[0:3], 0 offset:856
	buffer_load_dword v211, off, s[0:3], 0 offset:836
	ds_read_b128 v[135:138], v187 offset:1632
	s_waitcnt vmcnt(57) lgkmcnt(1)
	v_mul_f64 v[219:220], v[1:2], v[151:152]
	v_mul_f64 v[151:152], v[3:4], v[151:152]
	s_waitcnt vmcnt(56)
	v_fma_f64 v[208:209], v[5:6], v[217:218], -v[208:209]
	v_add_f64 v[139:140], v[139:140], v[198:199]
	v_fma_f64 v[198:199], v[7:8], v[217:218], v[204:205]
	v_add_f64 v[141:142], v[141:142], v[181:182]
	s_clause 0x2
	buffer_load_dword v193, off, s[0:3], 0 offset:876
	buffer_load_dword v182, off, s[0:3], 0 offset:852
	buffer_load_dword v181, off, s[0:3], 0 offset:848
	ds_read_b128 v[5:8], v187 offset:1648
	s_waitcnt vmcnt(58) lgkmcnt(1)
	v_mul_f64 v[204:205], v[135:136], v[200:201]
	v_mul_f64 v[200:201], v[137:138], v[200:201]
	s_waitcnt vmcnt(56)
	v_fma_f64 v[151:152], v[1:2], v[145:146], -v[151:152]
	v_fma_f64 v[145:146], v[3:4], v[145:146], v[219:220]
	v_add_f64 v[139:140], v[139:140], v[208:209]
	v_add_f64 v[141:142], v[141:142], v[198:199]
	s_clause 0x4
	buffer_load_dword v199, off, s[0:3], 0 offset:892
	buffer_load_dword v208, off, s[0:3], 0 offset:904
	buffer_load_dword v212, off, s[0:3], 0 offset:896
	buffer_load_dword v198, off, s[0:3], 0 offset:888
	buffer_load_dword v216, off, s[0:3], 0 offset:868
	ds_read_b128 v[1:4], v187 offset:1664
	s_waitcnt vmcnt(57) lgkmcnt(1)
	v_mul_f64 v[217:218], v[5:6], v[188:189]
	v_mul_f64 v[188:189], v[7:8], v[188:189]
	s_waitcnt vmcnt(56)
	v_fma_f64 v[200:201], v[135:136], v[213:214], -v[200:201]
	v_add_f64 v[139:140], v[139:140], v[151:152]
	v_fma_f64 v[151:152], v[137:138], v[213:214], v[204:205]
	v_add_f64 v[141:142], v[141:142], v[145:146]
	s_clause 0x2
	buffer_load_dword v209, off, s[0:3], 0 offset:908
	buffer_load_dword v146, off, s[0:3], 0 offset:884
	buffer_load_dword v145, off, s[0:3], 0 offset:880
	ds_read_b128 v[135:138], v187 offset:1680
	s_waitcnt vmcnt(58) lgkmcnt(1)
	v_mul_f64 v[204:205], v[1:2], v[190:191]
	v_mul_f64 v[190:191], v[3:4], v[190:191]
	s_waitcnt vmcnt(56)
	v_fma_f64 v[188:189], v[5:6], v[147:148], -v[188:189]
	v_fma_f64 v[147:148], v[7:8], v[147:148], v[217:218]
	v_add_f64 v[139:140], v[139:140], v[200:201]
	;; [unrolled: 28-line block ×3, first 2 shown]
	v_add_f64 v[141:142], v[141:142], v[188:189]
	s_clause 0x4
	buffer_load_dword v189, off, s[0:3], 0 offset:956
	buffer_load_dword v190, off, s[0:3], 0 offset:968
	;; [unrolled: 1-line block ×5, first 2 shown]
	ds_read_b128 v[135:138], v187 offset:1728
	s_waitcnt vmcnt(57) lgkmcnt(1)
	v_mul_f64 v[219:220], v[1:2], v[149:150]
	v_mul_f64 v[149:150], v[3:4], v[149:150]
	s_waitcnt vmcnt(56)
	v_fma_f64 v[163:164], v[5:6], v[196:197], -v[163:164]
	v_add_f64 v[139:140], v[139:140], v[143:144]
	v_fma_f64 v[143:144], v[7:8], v[196:197], v[202:203]
	v_add_f64 v[141:142], v[141:142], v[153:154]
	s_clause 0x2
	buffer_load_dword v191, off, s[0:3], 0 offset:972
	buffer_load_dword v154, off, s[0:3], 0 offset:948
	;; [unrolled: 1-line block ×3, first 2 shown]
	s_waitcnt vmcnt(58) lgkmcnt(0)
	v_mul_f64 v[196:197], v[135:136], v[169:170]
	v_mul_f64 v[169:170], v[137:138], v[169:170]
	ds_read_b128 v[5:8], v187 offset:1744
	s_waitcnt vmcnt(56)
	v_fma_f64 v[149:150], v[1:2], v[159:160], -v[149:150]
	v_fma_f64 v[159:160], v[3:4], v[159:160], v[219:220]
	v_add_f64 v[139:140], v[139:140], v[163:164]
	v_add_f64 v[141:142], v[141:142], v[143:144]
	s_clause 0x4
	buffer_load_dword v144, off, s[0:3], 0 offset:988
	buffer_load_dword v163, off, s[0:3], 0 offset:1000
	;; [unrolled: 1-line block ×5, first 2 shown]
	ds_read_b128 v[1:4], v187 offset:1760
	s_waitcnt vmcnt(57) lgkmcnt(1)
	v_mul_f64 v[219:220], v[5:6], v[155:156]
	v_mul_f64 v[155:156], v[7:8], v[155:156]
	s_waitcnt vmcnt(56)
	v_fma_f64 v[169:170], v[135:136], v[171:172], -v[169:170]
	v_add_f64 v[139:140], v[139:140], v[149:150]
	v_fma_f64 v[149:150], v[137:138], v[171:172], v[196:197]
	v_add_f64 v[141:142], v[141:142], v[159:160]
	s_clause 0x2
	buffer_load_dword v164, off, s[0:3], 0 offset:1004
	buffer_load_dword v160, off, s[0:3], 0 offset:980
	;; [unrolled: 1-line block ×3, first 2 shown]
	ds_read_b128 v[135:138], v187 offset:1776
	s_waitcnt vmcnt(58) lgkmcnt(1)
	v_mul_f64 v[171:172], v[1:2], v[177:178]
	v_mul_f64 v[177:178], v[3:4], v[177:178]
	s_waitcnt vmcnt(56)
	v_fma_f64 v[155:156], v[5:6], v[157:158], -v[155:156]
	v_fma_f64 v[157:158], v[7:8], v[157:158], v[219:220]
	v_add_f64 v[139:140], v[139:140], v[169:170]
	v_add_f64 v[141:142], v[141:142], v[149:150]
	s_clause 0x2
	buffer_load_dword v150, off, s[0:3], 0 offset:1020
	buffer_load_dword v149, off, s[0:3], 0 offset:1016
	;; [unrolled: 1-line block ×3, first 2 shown]
	ds_read_b128 v[5:8], v187 offset:1792
	s_waitcnt vmcnt(55) lgkmcnt(1)
	v_mul_f64 v[169:170], v[135:136], v[161:162]
	v_mul_f64 v[161:162], v[137:138], v[161:162]
	s_waitcnt vmcnt(54)
	v_fma_f64 v[177:178], v[1:2], v[179:180], -v[177:178]
	v_add_f64 v[139:140], v[139:140], v[155:156]
	v_fma_f64 v[155:156], v[3:4], v[179:180], v[171:172]
	v_add_f64 v[141:142], v[141:142], v[157:158]
	s_clause 0x1
	buffer_load_dword v158, off, s[0:3], 0 offset:1012
	buffer_load_dword v157, off, s[0:3], 0 offset:1008
	ds_read_b128 v[1:4], v187 offset:1808
	s_waitcnt vmcnt(55) lgkmcnt(1)
	v_mul_f64 v[179:180], v[7:8], v[183:184]
	v_mul_f64 v[171:172], v[5:6], v[183:184]
	s_waitcnt vmcnt(53)
	v_fma_f64 v[161:162], v[135:136], v[165:166], -v[161:162]
	v_fma_f64 v[165:166], v[137:138], v[165:166], v[169:170]
	ds_read_b128 v[135:138], v187 offset:1824
	v_add_f64 v[139:140], v[139:140], v[177:178]
	v_add_f64 v[141:142], v[141:142], v[155:156]
	s_waitcnt vmcnt(49) lgkmcnt(1)
	v_mul_f64 v[155:156], v[1:2], v[167:168]
	v_mul_f64 v[167:168], v[3:4], v[167:168]
	s_waitcnt vmcnt(48)
	v_fma_f64 v[169:170], v[5:6], v[185:186], -v[179:180]
	v_add_f64 v[139:140], v[139:140], v[161:162]
	v_fma_f64 v[161:162], v[7:8], v[185:186], v[171:172]
	v_add_f64 v[141:142], v[141:142], v[165:166]
	s_clause 0x3
	buffer_load_dword v165, off, s[0:3], 0 offset:304
	buffer_load_dword v166, off, s[0:3], 0 offset:308
	;; [unrolled: 1-line block ×4, first 2 shown]
	ds_read_b128 v[5:8], v187 offset:1840
	s_waitcnt vmcnt(51) lgkmcnt(1)
	v_mul_f64 v[179:180], v[137:138], v[206:207]
	v_mul_f64 v[177:178], v[135:136], v[206:207]
	s_waitcnt vmcnt(49)
	v_fma_f64 v[167:168], v[1:2], v[173:174], -v[167:168]
	v_fma_f64 v[155:156], v[3:4], v[173:174], v[155:156]
	ds_read_b128 v[1:4], v187 offset:1856
	v_add_f64 v[139:140], v[139:140], v[169:170]
	v_add_f64 v[141:142], v[141:142], v[161:162]
	s_waitcnt vmcnt(45) lgkmcnt(1)
	v_mul_f64 v[169:170], v[7:8], v[175:176]
	s_waitcnt vmcnt(44)
	v_fma_f64 v[173:174], v[135:136], v[210:211], -v[179:180]
	v_mul_f64 v[161:162], v[5:6], v[175:176]
	v_add_f64 v[139:140], v[139:140], v[167:168]
	v_fma_f64 v[167:168], v[137:138], v[210:211], v[177:178]
	v_add_f64 v[141:142], v[141:142], v[155:156]
	ds_read_b128 v[135:138], v187 offset:1872
	s_waitcnt vmcnt(43) lgkmcnt(1)
	v_mul_f64 v[175:176], v[3:4], v[192:193]
	v_mul_f64 v[155:156], v[1:2], v[192:193]
	s_waitcnt vmcnt(41)
	v_fma_f64 v[169:170], v[5:6], v[181:182], -v[169:170]
	v_fma_f64 v[161:162], v[7:8], v[181:182], v[161:162]
	ds_read_b128 v[5:8], v187 offset:1888
	v_add_f64 v[139:140], v[139:140], v[173:174]
	v_add_f64 v[141:142], v[141:142], v[167:168]
	s_waitcnt vmcnt(37) lgkmcnt(1)
	v_mul_f64 v[173:174], v[137:138], v[198:199]
	s_waitcnt vmcnt(36)
	v_fma_f64 v[175:176], v[1:2], v[215:216], -v[175:176]
	v_mul_f64 v[167:168], v[135:136], v[198:199]
	v_fma_f64 v[155:156], v[3:4], v[215:216], v[155:156]
	ds_read_b128 v[1:4], v187 offset:1904
	v_add_f64 v[139:140], v[139:140], v[169:170]
	v_add_f64 v[141:142], v[141:142], v[161:162]
	s_waitcnt vmcnt(35) lgkmcnt(1)
	v_mul_f64 v[169:170], v[7:8], v[208:209]
	v_mul_f64 v[161:162], v[5:6], v[208:209]
	s_waitcnt vmcnt(33)
	v_fma_f64 v[173:174], v[135:136], v[145:146], -v[173:174]
	v_fma_f64 v[145:146], v[137:138], v[145:146], v[167:168]
	ds_read_b128 v[135:138], v187 offset:1920
	v_add_f64 v[139:140], v[139:140], v[175:176]
	v_add_f64 v[141:142], v[141:142], v[155:156]
	s_waitcnt vmcnt(29) lgkmcnt(1)
	v_mul_f64 v[155:156], v[1:2], v[151:152]
	v_mul_f64 v[151:152], v[3:4], v[151:152]
	s_waitcnt vmcnt(28)
	v_fma_f64 v[167:168], v[5:6], v[212:213], -v[169:170]
	;; [unrolled: 9-line block ×3, first 2 shown]
	v_fma_f64 v[147:148], v[3:4], v[147:148], v[155:156]
	ds_read_b128 v[1:4], v187 offset:1952
	v_add_f64 v[139:140], v[139:140], v[167:168]
	v_add_f64 v[141:142], v[141:142], v[161:162]
	s_waitcnt vmcnt(21) lgkmcnt(1)
	v_mul_f64 v[161:162], v[7:8], v[188:189]
	s_waitcnt vmcnt(20)
	v_fma_f64 v[167:168], v[135:136], v[217:218], -v[169:170]
	v_mul_f64 v[155:156], v[5:6], v[188:189]
	v_fma_f64 v[145:146], v[137:138], v[217:218], v[145:146]
	ds_read_b128 v[135:138], v187 offset:1968
	v_add_f64 v[139:140], v[139:140], v[151:152]
	v_add_f64 v[141:142], v[141:142], v[147:148]
	s_waitcnt vmcnt(19) lgkmcnt(1)
	v_mul_f64 v[151:152], v[3:4], v[190:191]
	v_mul_f64 v[147:148], v[1:2], v[190:191]
	s_waitcnt vmcnt(17)
	v_fma_f64 v[161:162], v[5:6], v[153:154], -v[161:162]
	v_fma_f64 v[153:154], v[7:8], v[153:154], v[155:156]
	ds_read_b128 v[5:8], v187 offset:1984
	v_add_f64 v[139:140], v[139:140], v[167:168]
	v_add_f64 v[141:142], v[141:142], v[145:146]
	s_waitcnt vmcnt(13) lgkmcnt(1)
	v_mul_f64 v[145:146], v[135:136], v[143:144]
	v_mul_f64 v[143:144], v[137:138], v[143:144]
	s_waitcnt vmcnt(12)
	v_fma_f64 v[151:152], v[1:2], v[204:205], -v[151:152]
	;; [unrolled: 9-line block ×3, first 2 shown]
	v_fma_f64 v[137:138], v[137:138], v[159:160], v[145:146]
	v_add_f64 v[139:140], v[139:140], v[151:152]
	v_add_f64 v[141:142], v[141:142], v[147:148]
	s_waitcnt vmcnt(7) lgkmcnt(0)
	v_mul_f64 v[145:146], v[3:4], v[149:150]
	s_waitcnt vmcnt(6)
	v_fma_f64 v[5:6], v[5:6], v[202:203], -v[155:156]
	v_mul_f64 v[143:144], v[1:2], v[149:150]
	v_fma_f64 v[7:8], v[7:8], v[202:203], v[153:154]
	v_add_f64 v[135:136], v[139:140], v[135:136]
	v_add_f64 v[137:138], v[141:142], v[137:138]
	s_waitcnt vmcnt(4)
	v_fma_f64 v[1:2], v[1:2], v[157:158], -v[145:146]
	v_fma_f64 v[3:4], v[3:4], v[157:158], v[143:144]
	v_add_f64 v[5:6], v[135:136], v[5:6]
	v_add_f64 v[7:8], v[137:138], v[7:8]
	;; [unrolled: 1-line block ×4, first 2 shown]
	s_waitcnt vmcnt(2)
	v_add_f64 v[1:2], v[165:166], -v[1:2]
	s_waitcnt vmcnt(0)
	v_add_f64 v[3:4], v[171:172], -v[3:4]
	buffer_store_dword v2, off, s[0:3], 0 offset:308
	buffer_store_dword v1, off, s[0:3], 0 offset:304
	;; [unrolled: 1-line block ×4, first 2 shown]
	v_cmpx_lt_u32_e32 17, v0
	s_cbranch_execz .LBB126_369
; %bb.368:
	v_mov_b32_e32 v4, s60
	v_mov_b32_e32 v5, 0
	s_clause 0x3
	buffer_load_dword v1, v4, s[0:3], 0 offen
	buffer_load_dword v2, v4, s[0:3], 0 offen offset:4
	buffer_load_dword v3, v4, s[0:3], 0 offen offset:8
	;; [unrolled: 1-line block ×3, first 2 shown]
	buffer_store_dword v5, off, s[0:3], 0 offset:288
	buffer_store_dword v5, off, s[0:3], 0 offset:292
	;; [unrolled: 1-line block ×4, first 2 shown]
	s_waitcnt vmcnt(0)
	ds_write_b128 v195, v[1:4]
.LBB126_369:
	s_or_b32 exec_lo, exec_lo, s4
	s_waitcnt lgkmcnt(0)
	s_waitcnt_vscnt null, 0x0
	s_barrier
	buffer_gl0_inv
	s_clause 0x37
	buffer_load_dword v139, off, s[0:3], 0 offset:312
	buffer_load_dword v140, off, s[0:3], 0 offset:316
	;; [unrolled: 1-line block ×56, first 2 shown]
	v_mov_b32_e32 v196, 0
	s_mov_b32 s4, exec_lo
	ds_read_b128 v[191:194], v196 offset:1296
	s_clause 0x2
	buffer_load_dword v188, off, s[0:3], 0 offset:540
	buffer_load_dword v190, off, s[0:3], 0 offset:516
	;; [unrolled: 1-line block ×3, first 2 shown]
	ds_read_b128 v[1:4], v196 offset:1312
	s_clause 0x4
	buffer_load_dword v204, off, s[0:3], 0 offset:556
	buffer_load_dword v205, off, s[0:3], 0 offset:568
	buffer_load_dword v207, off, s[0:3], 0 offset:560
	buffer_load_dword v203, off, s[0:3], 0 offset:552
	buffer_load_dword v180, off, s[0:3], 0 offset:532
	ds_read_b128 v[197:200], v196 offset:1328
	s_waitcnt vmcnt(62) lgkmcnt(2)
	v_mul_f64 v[201:202], v[193:194], v[139:140]
	v_mul_f64 v[139:140], v[191:192], v[139:140]
	s_waitcnt vmcnt(60) lgkmcnt(1)
	v_mul_f64 v[208:209], v[3:4], v[135:136]
	s_waitcnt vmcnt(56) lgkmcnt(0)
	v_mul_f64 v[210:211], v[197:198], v[7:8]
	v_mul_f64 v[7:8], v[199:200], v[7:8]
	v_fma_f64 v[191:192], v[191:192], v[137:138], -v[201:202]
	v_mul_f64 v[201:202], v[1:2], v[135:136]
	v_fma_f64 v[139:140], v[193:194], v[137:138], v[139:140]
	s_clause 0x2
	buffer_load_dword v206, off, s[0:3], 0 offset:572
	buffer_load_dword v194, off, s[0:3], 0 offset:548
	buffer_load_dword v193, off, s[0:3], 0 offset:544
	s_waitcnt vmcnt(57)
	v_fma_f64 v[212:213], v[1:2], v[5:6], -v[208:209]
	ds_read_b128 v[135:138], v196 offset:1344
	s_waitcnt vmcnt(51)
	v_fma_f64 v[197:198], v[197:198], v[155:156], -v[7:8]
	v_fma_f64 v[155:156], v[199:200], v[155:156], v[210:211]
	v_add_f64 v[191:192], v[191:192], 0
	v_fma_f64 v[5:6], v[3:4], v[5:6], v[201:202]
	v_add_f64 v[139:140], v[139:140], 0
	s_clause 0x4
	buffer_load_dword v202, off, s[0:3], 0 offset:588
	buffer_load_dword v209, off, s[0:3], 0 offset:600
	;; [unrolled: 1-line block ×5, first 2 shown]
	s_waitcnt lgkmcnt(0)
	v_mul_f64 v[215:216], v[135:136], v[143:144]
	v_mul_f64 v[143:144], v[137:138], v[143:144]
	ds_read_b128 v[1:4], v196 offset:1360
	s_clause 0x2
	buffer_load_dword v210, off, s[0:3], 0 offset:604
	buffer_load_dword v200, off, s[0:3], 0 offset:580
	;; [unrolled: 1-line block ×3, first 2 shown]
	v_add_f64 v[191:192], v[191:192], v[212:213]
	v_add_f64 v[139:140], v[139:140], v[5:6]
	ds_read_b128 v[5:8], v196 offset:1376
	s_waitcnt vmcnt(58) lgkmcnt(1)
	v_mul_f64 v[211:212], v[1:2], v[147:148]
	v_mul_f64 v[147:148], v[3:4], v[147:148]
	s_waitcnt vmcnt(56)
	v_fma_f64 v[143:144], v[135:136], v[149:150], -v[143:144]
	v_fma_f64 v[149:150], v[137:138], v[149:150], v[215:216]
	v_add_f64 v[191:192], v[191:192], v[197:198]
	s_waitcnt vmcnt(52) lgkmcnt(0)
	v_mul_f64 v[217:218], v[5:6], v[151:152]
	v_add_f64 v[139:140], v[139:140], v[155:156]
	s_clause 0x4
	buffer_load_dword v156, off, s[0:3], 0 offset:620
	buffer_load_dword v197, off, s[0:3], 0 offset:632
	;; [unrolled: 1-line block ×5, first 2 shown]
	v_mul_f64 v[151:152], v[7:8], v[151:152]
	s_waitcnt vmcnt(56)
	v_fma_f64 v[147:148], v[1:2], v[141:142], -v[147:148]
	ds_read_b128 v[135:138], v196 offset:1392
	v_fma_f64 v[141:142], v[3:4], v[141:142], v[211:212]
	v_add_f64 v[143:144], v[191:192], v[143:144]
	v_add_f64 v[139:140], v[139:140], v[149:150]
	s_clause 0x2
	buffer_load_dword v198, off, s[0:3], 0 offset:636
	buffer_load_dword v150, off, s[0:3], 0 offset:612
	;; [unrolled: 1-line block ×3, first 2 shown]
	s_waitcnt vmcnt(58) lgkmcnt(0)
	v_mul_f64 v[191:192], v[135:136], v[157:158]
	v_mul_f64 v[157:158], v[137:138], v[157:158]
	s_waitcnt vmcnt(56)
	v_fma_f64 v[151:152], v[5:6], v[159:160], -v[151:152]
	ds_read_b128 v[1:4], v196 offset:1408
	v_add_f64 v[143:144], v[143:144], v[147:148]
	v_fma_f64 v[147:148], v[7:8], v[159:160], v[217:218]
	v_add_f64 v[139:140], v[139:140], v[141:142]
	s_clause 0x4
	buffer_load_dword v142, off, s[0:3], 0 offset:652
	buffer_load_dword v159, off, s[0:3], 0 offset:664
	buffer_load_dword v211, off, s[0:3], 0 offset:656
	buffer_load_dword v141, off, s[0:3], 0 offset:648
	buffer_load_dword v217, off, s[0:3], 0 offset:628
	ds_read_b128 v[5:8], v196 offset:1424
	s_waitcnt vmcnt(57) lgkmcnt(1)
	v_mul_f64 v[212:213], v[1:2], v[161:162]
	v_mul_f64 v[161:162], v[3:4], v[161:162]
	s_waitcnt vmcnt(56)
	v_fma_f64 v[157:158], v[135:136], v[145:146], -v[157:158]
	v_fma_f64 v[145:146], v[137:138], v[145:146], v[191:192]
	v_add_f64 v[143:144], v[143:144], v[151:152]
	v_add_f64 v[139:140], v[139:140], v[147:148]
	s_clause 0x2
	buffer_load_dword v160, off, s[0:3], 0 offset:668
	buffer_load_dword v148, off, s[0:3], 0 offset:644
	;; [unrolled: 1-line block ×3, first 2 shown]
	s_waitcnt vmcnt(58) lgkmcnt(0)
	v_mul_f64 v[151:152], v[5:6], v[165:166]
	v_mul_f64 v[165:166], v[7:8], v[165:166]
	s_waitcnt vmcnt(56)
	v_fma_f64 v[161:162], v[1:2], v[167:168], -v[161:162]
	ds_read_b128 v[135:138], v196 offset:1440
	v_add_f64 v[143:144], v[143:144], v[157:158]
	v_fma_f64 v[157:158], v[3:4], v[167:168], v[212:213]
	v_add_f64 v[139:140], v[139:140], v[145:146]
	s_clause 0x4
	buffer_load_dword v146, off, s[0:3], 0 offset:684
	buffer_load_dword v167, off, s[0:3], 0 offset:696
	;; [unrolled: 1-line block ×5, first 2 shown]
	ds_read_b128 v[1:4], v196 offset:1456
	s_waitcnt vmcnt(57) lgkmcnt(1)
	v_mul_f64 v[218:219], v[135:136], v[169:170]
	v_mul_f64 v[169:170], v[137:138], v[169:170]
	s_waitcnt vmcnt(56)
	v_fma_f64 v[165:166], v[5:6], v[153:154], -v[165:166]
	v_fma_f64 v[151:152], v[7:8], v[153:154], v[151:152]
	s_clause 0x2
	buffer_load_dword v168, off, s[0:3], 0 offset:700
	buffer_load_dword v154, off, s[0:3], 0 offset:676
	;; [unrolled: 1-line block ×3, first 2 shown]
	ds_read_b128 v[5:8], v196 offset:1472
	v_add_f64 v[143:144], v[143:144], v[161:162]
	v_add_f64 v[139:140], v[139:140], v[157:158]
	s_waitcnt vmcnt(58) lgkmcnt(1)
	v_mul_f64 v[161:162], v[3:4], v[173:174]
	v_mul_f64 v[157:158], v[1:2], v[173:174]
	s_waitcnt vmcnt(56)
	v_fma_f64 v[169:170], v[135:136], v[175:176], -v[169:170]
	v_add_f64 v[143:144], v[143:144], v[165:166]
	v_fma_f64 v[165:166], v[137:138], v[175:176], v[218:219]
	v_add_f64 v[139:140], v[139:140], v[151:152]
	s_clause 0x4
	buffer_load_dword v152, off, s[0:3], 0 offset:716
	buffer_load_dword v173, off, s[0:3], 0 offset:728
	;; [unrolled: 1-line block ×5, first 2 shown]
	s_waitcnt vmcnt(57) lgkmcnt(0)
	v_mul_f64 v[218:219], v[5:6], v[177:178]
	v_mul_f64 v[176:177], v[7:8], v[177:178]
	s_waitcnt vmcnt(56)
	v_fma_f64 v[161:162], v[1:2], v[163:164], -v[161:162]
	ds_read_b128 v[135:138], v196 offset:1488
	v_fma_f64 v[157:158], v[3:4], v[163:164], v[157:158]
	s_clause 0x2
	buffer_load_dword v174, off, s[0:3], 0 offset:732
	buffer_load_dword v164, off, s[0:3], 0 offset:708
	buffer_load_dword v163, off, s[0:3], 0 offset:704
	ds_read_b128 v[1:4], v196 offset:1504
	v_add_f64 v[143:144], v[143:144], v[169:170]
	v_add_f64 v[139:140], v[139:140], v[165:166]
	s_waitcnt vmcnt(58) lgkmcnt(1)
	v_mul_f64 v[169:170], v[137:138], v[181:182]
	s_waitcnt vmcnt(56)
	v_fma_f64 v[177:178], v[5:6], v[183:184], -v[176:177]
	v_mul_f64 v[165:166], v[135:136], v[181:182]
	v_add_f64 v[143:144], v[143:144], v[161:162]
	v_fma_f64 v[161:162], v[7:8], v[183:184], v[218:219]
	v_add_f64 v[139:140], v[139:140], v[157:158]
	s_clause 0x4
	buffer_load_dword v158, off, s[0:3], 0 offset:748
	buffer_load_dword v181, off, s[0:3], 0 offset:760
	;; [unrolled: 1-line block ×5, first 2 shown]
	s_waitcnt vmcnt(57) lgkmcnt(0)
	v_mul_f64 v[218:219], v[1:2], v[185:186]
	v_mul_f64 v[184:185], v[3:4], v[185:186]
	s_waitcnt vmcnt(56)
	v_fma_f64 v[169:170], v[135:136], v[171:172], -v[169:170]
	ds_read_b128 v[5:8], v196 offset:1520
	v_fma_f64 v[165:166], v[137:138], v[171:172], v[165:166]
	v_add_f64 v[143:144], v[143:144], v[177:178]
	v_add_f64 v[139:140], v[139:140], v[161:162]
	s_clause 0x2
	buffer_load_dword v182, off, s[0:3], 0 offset:764
	buffer_load_dword v162, off, s[0:3], 0 offset:740
	;; [unrolled: 1-line block ×3, first 2 shown]
	ds_read_b128 v[135:138], v196 offset:1536
	s_waitcnt vmcnt(58) lgkmcnt(1)
	v_mul_f64 v[177:178], v[7:8], v[187:188]
	s_waitcnt vmcnt(56)
	v_fma_f64 v[185:186], v[1:2], v[189:190], -v[184:185]
	v_mul_f64 v[171:172], v[5:6], v[187:188]
	v_add_f64 v[143:144], v[143:144], v[169:170]
	v_fma_f64 v[169:170], v[3:4], v[189:190], v[218:219]
	v_add_f64 v[139:140], v[139:140], v[165:166]
	s_clause 0x4
	buffer_load_dword v166, off, s[0:3], 0 offset:780
	buffer_load_dword v187, off, s[0:3], 0 offset:792
	;; [unrolled: 1-line block ×5, first 2 shown]
	s_waitcnt vmcnt(57) lgkmcnt(0)
	v_mul_f64 v[218:219], v[135:136], v[203:204]
	v_mul_f64 v[203:204], v[137:138], v[203:204]
	s_waitcnt vmcnt(56)
	v_fma_f64 v[177:178], v[5:6], v[179:180], -v[177:178]
	ds_read_b128 v[1:4], v196 offset:1552
	v_fma_f64 v[171:172], v[7:8], v[179:180], v[171:172]
	v_add_f64 v[143:144], v[143:144], v[185:186]
	v_add_f64 v[139:140], v[139:140], v[169:170]
	s_clause 0x2
	buffer_load_dword v188, off, s[0:3], 0 offset:796
	buffer_load_dword v170, off, s[0:3], 0 offset:772
	;; [unrolled: 1-line block ×3, first 2 shown]
	ds_read_b128 v[5:8], v196 offset:1568
	s_waitcnt vmcnt(58) lgkmcnt(1)
	v_mul_f64 v[185:186], v[3:4], v[205:206]
	v_mul_f64 v[179:180], v[1:2], v[205:206]
	s_waitcnt vmcnt(56)
	v_fma_f64 v[203:204], v[135:136], v[193:194], -v[203:204]
	v_add_f64 v[143:144], v[143:144], v[177:178]
	v_fma_f64 v[177:178], v[137:138], v[193:194], v[218:219]
	v_add_f64 v[139:140], v[139:140], v[171:172]
	s_clause 0x4
	buffer_load_dword v172, off, s[0:3], 0 offset:812
	buffer_load_dword v193, off, s[0:3], 0 offset:824
	;; [unrolled: 1-line block ×5, first 2 shown]
	ds_read_b128 v[135:138], v196 offset:1584
	s_waitcnt vmcnt(57) lgkmcnt(1)
	v_mul_f64 v[218:219], v[5:6], v[201:202]
	v_mul_f64 v[201:202], v[7:8], v[201:202]
	s_waitcnt vmcnt(56)
	v_fma_f64 v[185:186], v[1:2], v[207:208], -v[185:186]
	v_fma_f64 v[179:180], v[3:4], v[207:208], v[179:180]
	v_add_f64 v[143:144], v[143:144], v[203:204]
	v_add_f64 v[139:140], v[139:140], v[177:178]
	s_clause 0x2
	buffer_load_dword v194, off, s[0:3], 0 offset:828
	buffer_load_dword v178, off, s[0:3], 0 offset:804
	;; [unrolled: 1-line block ×3, first 2 shown]
	s_waitcnt vmcnt(58) lgkmcnt(0)
	v_mul_f64 v[207:208], v[137:138], v[209:210]
	ds_read_b128 v[1:4], v196 offset:1600
	v_mul_f64 v[203:204], v[135:136], v[209:210]
	s_waitcnt vmcnt(56)
	v_fma_f64 v[201:202], v[5:6], v[199:200], -v[201:202]
	v_add_f64 v[143:144], v[143:144], v[185:186]
	v_fma_f64 v[185:186], v[7:8], v[199:200], v[218:219]
	v_add_f64 v[139:140], v[139:140], v[179:180]
	s_clause 0x4
	buffer_load_dword v180, off, s[0:3], 0 offset:844
	buffer_load_dword v199, off, s[0:3], 0 offset:856
	buffer_load_dword v209, off, s[0:3], 0 offset:848
	buffer_load_dword v179, off, s[0:3], 0 offset:840
	buffer_load_dword v206, off, s[0:3], 0 offset:820
	ds_read_b128 v[5:8], v196 offset:1616
	s_waitcnt vmcnt(57) lgkmcnt(1)
	v_mul_f64 v[218:219], v[1:2], v[155:156]
	v_mul_f64 v[155:156], v[3:4], v[155:156]
	s_waitcnt vmcnt(56)
	v_fma_f64 v[207:208], v[135:136], v[214:215], -v[207:208]
	v_add_f64 v[143:144], v[143:144], v[201:202]
	v_fma_f64 v[201:202], v[137:138], v[214:215], v[203:204]
	v_add_f64 v[139:140], v[139:140], v[185:186]
	s_clause 0x2
	buffer_load_dword v200, off, s[0:3], 0 offset:860
	buffer_load_dword v186, off, s[0:3], 0 offset:836
	;; [unrolled: 1-line block ×3, first 2 shown]
	ds_read_b128 v[135:138], v196 offset:1632
	s_waitcnt vmcnt(58) lgkmcnt(1)
	v_mul_f64 v[203:204], v[5:6], v[197:198]
	v_mul_f64 v[197:198], v[7:8], v[197:198]
	s_waitcnt vmcnt(56)
	v_fma_f64 v[155:156], v[1:2], v[149:150], -v[155:156]
	v_fma_f64 v[149:150], v[3:4], v[149:150], v[218:219]
	v_add_f64 v[143:144], v[143:144], v[207:208]
	v_add_f64 v[139:140], v[139:140], v[201:202]
	s_clause 0x4
	buffer_load_dword v202, off, s[0:3], 0 offset:876
	buffer_load_dword v207, off, s[0:3], 0 offset:888
	;; [unrolled: 1-line block ×5, first 2 shown]
	ds_read_b128 v[1:4], v196 offset:1648
	s_waitcnt vmcnt(57) lgkmcnt(1)
	v_mul_f64 v[214:215], v[135:136], v[141:142]
	v_mul_f64 v[141:142], v[137:138], v[141:142]
	s_waitcnt vmcnt(56)
	v_fma_f64 v[197:198], v[5:6], v[216:217], -v[197:198]
	v_add_f64 v[143:144], v[143:144], v[155:156]
	v_fma_f64 v[155:156], v[7:8], v[216:217], v[203:204]
	v_add_f64 v[139:140], v[139:140], v[149:150]
	s_clause 0x2
	buffer_load_dword v208, off, s[0:3], 0 offset:892
	buffer_load_dword v150, off, s[0:3], 0 offset:868
	;; [unrolled: 1-line block ×3, first 2 shown]
	ds_read_b128 v[5:8], v196 offset:1664
	s_waitcnt vmcnt(58) lgkmcnt(1)
	v_mul_f64 v[203:204], v[1:2], v[159:160]
	v_mul_f64 v[159:160], v[3:4], v[159:160]
	s_waitcnt vmcnt(56)
	v_fma_f64 v[141:142], v[135:136], v[147:148], -v[141:142]
	v_fma_f64 v[147:148], v[137:138], v[147:148], v[214:215]
	v_add_f64 v[143:144], v[143:144], v[197:198]
	v_add_f64 v[139:140], v[139:140], v[155:156]
	s_clause 0x4
	buffer_load_dword v156, off, s[0:3], 0 offset:908
	buffer_load_dword v197, off, s[0:3], 0 offset:920
	;; [unrolled: 1-line block ×5, first 2 shown]
	ds_read_b128 v[135:138], v196 offset:1680
	s_waitcnt vmcnt(57) lgkmcnt(1)
	v_mul_f64 v[216:217], v[5:6], v[145:146]
	v_mul_f64 v[145:146], v[7:8], v[145:146]
	s_waitcnt vmcnt(56)
	v_fma_f64 v[159:160], v[1:2], v[211:212], -v[159:160]
	v_add_f64 v[141:142], v[143:144], v[141:142]
	v_fma_f64 v[143:144], v[3:4], v[211:212], v[203:204]
	v_add_f64 v[139:140], v[139:140], v[147:148]
	s_clause 0x2
	buffer_load_dword v198, off, s[0:3], 0 offset:924
	buffer_load_dword v148, off, s[0:3], 0 offset:900
	;; [unrolled: 1-line block ×3, first 2 shown]
	s_waitcnt vmcnt(58) lgkmcnt(0)
	v_mul_f64 v[203:204], v[135:136], v[167:168]
	v_mul_f64 v[167:168], v[137:138], v[167:168]
	ds_read_b128 v[1:4], v196 offset:1696
	s_waitcnt vmcnt(56)
	v_fma_f64 v[145:146], v[5:6], v[153:154], -v[145:146]
	v_fma_f64 v[153:154], v[7:8], v[153:154], v[216:217]
	v_add_f64 v[141:142], v[141:142], v[159:160]
	v_add_f64 v[139:140], v[139:140], v[143:144]
	s_clause 0x4
	buffer_load_dword v144, off, s[0:3], 0 offset:940
	buffer_load_dword v159, off, s[0:3], 0 offset:952
	;; [unrolled: 1-line block ×5, first 2 shown]
	ds_read_b128 v[5:8], v196 offset:1712
	s_waitcnt vmcnt(57) lgkmcnt(1)
	v_mul_f64 v[217:218], v[1:2], v[151:152]
	v_mul_f64 v[151:152], v[3:4], v[151:152]
	s_waitcnt vmcnt(56)
	v_fma_f64 v[167:168], v[135:136], v[191:192], -v[167:168]
	v_add_f64 v[141:142], v[141:142], v[145:146]
	v_fma_f64 v[145:146], v[137:138], v[191:192], v[203:204]
	v_add_f64 v[139:140], v[139:140], v[153:154]
	s_clause 0x2
	buffer_load_dword v160, off, s[0:3], 0 offset:956
	buffer_load_dword v154, off, s[0:3], 0 offset:932
	;; [unrolled: 1-line block ×3, first 2 shown]
	s_waitcnt vmcnt(58) lgkmcnt(0)
	v_mul_f64 v[191:192], v[5:6], v[173:174]
	v_mul_f64 v[173:174], v[7:8], v[173:174]
	ds_read_b128 v[135:138], v196 offset:1728
	s_waitcnt vmcnt(56)
	v_fma_f64 v[151:152], v[1:2], v[163:164], -v[151:152]
	v_fma_f64 v[163:164], v[3:4], v[163:164], v[217:218]
	v_add_f64 v[141:142], v[141:142], v[167:168]
	v_add_f64 v[139:140], v[139:140], v[145:146]
	s_clause 0x4
	buffer_load_dword v146, off, s[0:3], 0 offset:972
	buffer_load_dword v167, off, s[0:3], 0 offset:984
	;; [unrolled: 1-line block ×5, first 2 shown]
	ds_read_b128 v[1:4], v196 offset:1744
	s_waitcnt vmcnt(57) lgkmcnt(1)
	v_mul_f64 v[217:218], v[135:136], v[157:158]
	v_mul_f64 v[157:158], v[137:138], v[157:158]
	s_waitcnt vmcnt(56)
	v_fma_f64 v[173:174], v[5:6], v[175:176], -v[173:174]
	v_add_f64 v[141:142], v[141:142], v[151:152]
	v_fma_f64 v[151:152], v[7:8], v[175:176], v[191:192]
	v_add_f64 v[139:140], v[139:140], v[163:164]
	s_clause 0x2
	buffer_load_dword v168, off, s[0:3], 0 offset:988
	buffer_load_dword v164, off, s[0:3], 0 offset:964
	;; [unrolled: 1-line block ×3, first 2 shown]
	ds_read_b128 v[5:8], v196 offset:1760
	s_waitcnt vmcnt(58) lgkmcnt(1)
	v_mul_f64 v[175:176], v[1:2], v[181:182]
	v_mul_f64 v[181:182], v[3:4], v[181:182]
	s_waitcnt vmcnt(56)
	v_fma_f64 v[157:158], v[135:136], v[161:162], -v[157:158]
	v_fma_f64 v[161:162], v[137:138], v[161:162], v[217:218]
	v_add_f64 v[141:142], v[141:142], v[173:174]
	v_add_f64 v[139:140], v[139:140], v[151:152]
	s_clause 0x4
	buffer_load_dword v152, off, s[0:3], 0 offset:1004
	buffer_load_dword v173, off, s[0:3], 0 offset:1016
	;; [unrolled: 1-line block ×5, first 2 shown]
	ds_read_b128 v[135:138], v196 offset:1776
	s_waitcnt vmcnt(57) lgkmcnt(1)
	v_mul_f64 v[217:218], v[5:6], v[165:166]
	v_mul_f64 v[165:166], v[7:8], v[165:166]
	s_waitcnt vmcnt(56)
	v_fma_f64 v[181:182], v[1:2], v[183:184], -v[181:182]
	v_add_f64 v[141:142], v[141:142], v[157:158]
	v_fma_f64 v[157:158], v[3:4], v[183:184], v[175:176]
	v_add_f64 v[139:140], v[139:140], v[161:162]
	s_clause 0x2
	buffer_load_dword v174, off, s[0:3], 0 offset:1020
	buffer_load_dword v162, off, s[0:3], 0 offset:996
	;; [unrolled: 1-line block ×3, first 2 shown]
	ds_read_b128 v[1:4], v196 offset:1792
	buffer_load_dword v192, off, s[0:3], 0 offset:1012
	s_waitcnt vmcnt(59) lgkmcnt(1)
	v_mul_f64 v[183:184], v[137:138], v[187:188]
	v_mul_f64 v[175:176], v[135:136], v[187:188]
	s_waitcnt vmcnt(57)
	v_fma_f64 v[165:166], v[5:6], v[169:170], -v[165:166]
	v_fma_f64 v[169:170], v[7:8], v[169:170], v[217:218]
	ds_read_b128 v[5:8], v196 offset:1808
	v_add_f64 v[141:142], v[141:142], v[181:182]
	v_add_f64 v[139:140], v[139:140], v[157:158]
	s_waitcnt vmcnt(53) lgkmcnt(1)
	v_mul_f64 v[157:158], v[1:2], v[171:172]
	v_mul_f64 v[171:172], v[3:4], v[171:172]
	s_waitcnt vmcnt(52)
	v_fma_f64 v[181:182], v[135:136], v[189:190], -v[183:184]
	v_add_f64 v[141:142], v[141:142], v[165:166]
	v_fma_f64 v[165:166], v[137:138], v[189:190], v[175:176]
	v_add_f64 v[139:140], v[139:140], v[169:170]
	ds_read_b128 v[135:138], v196 offset:1824
	s_waitcnt vmcnt(51) lgkmcnt(1)
	v_mul_f64 v[175:176], v[7:8], v[193:194]
	v_mul_f64 v[169:170], v[5:6], v[193:194]
	s_waitcnt vmcnt(49)
	v_fma_f64 v[171:172], v[1:2], v[177:178], -v[171:172]
	v_fma_f64 v[157:158], v[3:4], v[177:178], v[157:158]
	v_add_f64 v[141:142], v[141:142], v[181:182]
	v_add_f64 v[139:140], v[139:140], v[165:166]
	s_clause 0x3
	buffer_load_dword v165, off, s[0:3], 0 offset:288
	buffer_load_dword v166, off, s[0:3], 0 offset:292
	;; [unrolled: 1-line block ×4, first 2 shown]
	ds_read_b128 v[1:4], v196 offset:1840
	s_waitcnt vmcnt(49) lgkmcnt(1)
	v_mul_f64 v[181:182], v[135:136], v[179:180]
	v_mul_f64 v[179:180], v[137:138], v[179:180]
	s_waitcnt vmcnt(48)
	v_fma_f64 v[175:176], v[5:6], v[205:206], -v[175:176]
	v_fma_f64 v[169:170], v[7:8], v[205:206], v[169:170]
	ds_read_b128 v[5:8], v196 offset:1856
	v_add_f64 v[141:142], v[141:142], v[171:172]
	v_add_f64 v[139:140], v[139:140], v[157:158]
	s_waitcnt vmcnt(47) lgkmcnt(1)
	v_mul_f64 v[171:172], v[3:4], v[199:200]
	v_mul_f64 v[157:158], v[1:2], v[199:200]
	s_waitcnt vmcnt(45)
	v_fma_f64 v[179:180], v[135:136], v[185:186], -v[179:180]
	v_add_f64 v[141:142], v[141:142], v[175:176]
	v_fma_f64 v[175:176], v[137:138], v[185:186], v[181:182]
	v_add_f64 v[139:140], v[139:140], v[169:170]
	ds_read_b128 v[135:138], v196 offset:1872
	s_waitcnt vmcnt(41) lgkmcnt(1)
	v_mul_f64 v[181:182], v[7:8], v[201:202]
	s_waitcnt vmcnt(40)
	v_fma_f64 v[171:172], v[1:2], v[209:210], -v[171:172]
	v_mul_f64 v[169:170], v[5:6], v[201:202]
	v_fma_f64 v[157:158], v[3:4], v[209:210], v[157:158]
	ds_read_b128 v[1:4], v196 offset:1888
	v_add_f64 v[141:142], v[141:142], v[179:180]
	v_add_f64 v[139:140], v[139:140], v[175:176]
	s_waitcnt vmcnt(39) lgkmcnt(1)
	v_mul_f64 v[179:180], v[137:138], v[207:208]
	v_mul_f64 v[175:176], v[135:136], v[207:208]
	s_waitcnt vmcnt(37)
	v_fma_f64 v[181:182], v[5:6], v[149:150], -v[181:182]
	v_fma_f64 v[149:150], v[7:8], v[149:150], v[169:170]
	ds_read_b128 v[5:8], v196 offset:1904
	v_add_f64 v[141:142], v[141:142], v[171:172]
	v_add_f64 v[139:140], v[139:140], v[157:158]
	s_waitcnt vmcnt(33) lgkmcnt(1)
	v_mul_f64 v[157:158], v[1:2], v[155:156]
	v_mul_f64 v[155:156], v[3:4], v[155:156]
	s_waitcnt vmcnt(32)
	v_fma_f64 v[169:170], v[135:136], v[213:214], -v[179:180]
	;; [unrolled: 9-line block ×6, first 2 shown]
	v_add_f64 v[141:142], v[141:142], v[143:144]
	v_fma_f64 v[143:144], v[3:4], v[211:212], v[147:148]
	v_add_f64 v[139:140], v[139:140], v[153:154]
	ds_read_b128 v[1:4], v196 offset:1984
	s_waitcnt vmcnt(15) lgkmcnt(1)
	v_mul_f64 v[153:154], v[137:138], v[167:168]
	v_mul_f64 v[147:148], v[135:136], v[167:168]
	s_waitcnt vmcnt(13)
	v_fma_f64 v[145:146], v[5:6], v[163:164], -v[145:146]
	v_fma_f64 v[149:150], v[7:8], v[163:164], v[149:150]
	ds_read_b128 v[5:8], v196 offset:2000
	v_add_f64 v[141:142], v[141:142], v[155:156]
	v_add_f64 v[139:140], v[139:140], v[143:144]
	s_waitcnt vmcnt(9) lgkmcnt(1)
	v_mul_f64 v[143:144], v[1:2], v[151:152]
	v_mul_f64 v[151:152], v[3:4], v[151:152]
	s_waitcnt vmcnt(8)
	v_fma_f64 v[135:136], v[135:136], v[203:204], -v[153:154]
	v_fma_f64 v[137:138], v[137:138], v[203:204], v[147:148]
	v_add_f64 v[141:142], v[141:142], v[145:146]
	v_add_f64 v[139:140], v[139:140], v[149:150]
	s_waitcnt vmcnt(7) lgkmcnt(0)
	v_mul_f64 v[147:148], v[7:8], v[173:174]
	v_mul_f64 v[145:146], v[5:6], v[173:174]
	s_waitcnt vmcnt(5)
	v_fma_f64 v[1:2], v[1:2], v[161:162], -v[151:152]
	v_fma_f64 v[3:4], v[3:4], v[161:162], v[143:144]
	v_add_f64 v[135:136], v[141:142], v[135:136]
	v_add_f64 v[137:138], v[139:140], v[137:138]
	s_waitcnt vmcnt(4)
	v_fma_f64 v[5:6], v[5:6], v[191:192], -v[147:148]
	v_fma_f64 v[7:8], v[7:8], v[191:192], v[145:146]
	v_add_f64 v[1:2], v[135:136], v[1:2]
	v_add_f64 v[3:4], v[137:138], v[3:4]
	;; [unrolled: 1-line block ×4, first 2 shown]
	s_waitcnt vmcnt(2)
	v_add_f64 v[1:2], v[165:166], -v[1:2]
	s_waitcnt vmcnt(0)
	v_add_f64 v[3:4], v[177:178], -v[3:4]
	buffer_store_dword v2, off, s[0:3], 0 offset:292
	buffer_store_dword v1, off, s[0:3], 0 offset:288
	;; [unrolled: 1-line block ×4, first 2 shown]
	v_cmpx_lt_u32_e32 16, v0
	s_cbranch_execz .LBB126_371
; %bb.370:
	v_mov_b32_e32 v4, s61
	s_clause 0x3
	buffer_load_dword v1, v4, s[0:3], 0 offen
	buffer_load_dword v2, v4, s[0:3], 0 offen offset:4
	buffer_load_dword v3, v4, s[0:3], 0 offen offset:8
	buffer_load_dword v4, v4, s[0:3], 0 offen offset:12
	buffer_store_dword v196, off, s[0:3], 0 offset:272
	buffer_store_dword v196, off, s[0:3], 0 offset:276
	;; [unrolled: 1-line block ×4, first 2 shown]
	s_waitcnt vmcnt(0)
	ds_write_b128 v195, v[1:4]
.LBB126_371:
	s_or_b32 exec_lo, exec_lo, s4
	s_waitcnt lgkmcnt(0)
	s_waitcnt_vscnt null, 0x0
	s_barrier
	buffer_gl0_inv
	s_clause 0x37
	buffer_load_dword v143, off, s[0:3], 0 offset:296
	buffer_load_dword v144, off, s[0:3], 0 offset:300
	;; [unrolled: 1-line block ×56, first 2 shown]
	ds_read_b128 v[5:8], v196 offset:1280
	s_clause 0x2
	buffer_load_dword v192, off, s[0:3], 0 offset:524
	buffer_load_dword v194, off, s[0:3], 0 offset:500
	;; [unrolled: 1-line block ×3, first 2 shown]
	ds_read_b128 v[1:4], v196 offset:1296
	s_clause 0x4
	buffer_load_dword v204, off, s[0:3], 0 offset:540
	buffer_load_dword v205, off, s[0:3], 0 offset:552
	;; [unrolled: 1-line block ×5, first 2 shown]
	ds_read_b128 v[197:200], v196 offset:1312
	s_mov_b32 s4, exec_lo
	s_waitcnt vmcnt(62) lgkmcnt(2)
	v_mul_f64 v[201:202], v[7:8], v[143:144]
	v_mul_f64 v[143:144], v[5:6], v[143:144]
	s_waitcnt vmcnt(60) lgkmcnt(1)
	v_mul_f64 v[208:209], v[3:4], v[139:140]
	v_mul_f64 v[139:140], v[1:2], v[139:140]
	;; [unrolled: 3-line block ×3, first 2 shown]
	v_fma_f64 v[201:202], v[5:6], v[141:142], -v[201:202]
	v_fma_f64 v[141:142], v[7:8], v[141:142], v[143:144]
	s_clause 0x2
	buffer_load_dword v206, off, s[0:3], 0 offset:556
	buffer_load_dword v144, off, s[0:3], 0 offset:532
	;; [unrolled: 1-line block ×3, first 2 shown]
	s_waitcnt vmcnt(57)
	v_fma_f64 v[212:213], v[1:2], v[135:136], -v[208:209]
	ds_read_b128 v[5:8], v196 offset:1328
	v_fma_f64 v[135:136], v[3:4], v[135:136], v[139:140]
	s_waitcnt vmcnt(51)
	v_fma_f64 v[197:198], v[197:198], v[159:160], -v[137:138]
	v_fma_f64 v[159:160], v[199:200], v[159:160], v[210:211]
	v_add_f64 v[201:202], v[201:202], 0
	v_add_f64 v[139:140], v[141:142], 0
	s_clause 0x4
	buffer_load_dword v142, off, s[0:3], 0 offset:572
	buffer_load_dword v209, off, s[0:3], 0 offset:584
	;; [unrolled: 1-line block ×5, first 2 shown]
	s_waitcnt lgkmcnt(0)
	v_mul_f64 v[215:216], v[5:6], v[147:148]
	v_mul_f64 v[147:148], v[7:8], v[147:148]
	ds_read_b128 v[1:4], v196 offset:1344
	s_clause 0x2
	buffer_load_dword v210, off, s[0:3], 0 offset:588
	buffer_load_dword v200, off, s[0:3], 0 offset:564
	;; [unrolled: 1-line block ×3, first 2 shown]
	v_add_f64 v[201:202], v[201:202], v[212:213]
	v_add_f64 v[139:140], v[139:140], v[135:136]
	ds_read_b128 v[135:138], v196 offset:1360
	s_waitcnt vmcnt(58) lgkmcnt(1)
	v_mul_f64 v[211:212], v[1:2], v[151:152]
	v_mul_f64 v[151:152], v[3:4], v[151:152]
	s_waitcnt vmcnt(56)
	v_fma_f64 v[147:148], v[5:6], v[153:154], -v[147:148]
	v_fma_f64 v[153:154], v[7:8], v[153:154], v[215:216]
	s_waitcnt vmcnt(52) lgkmcnt(0)
	v_mul_f64 v[217:218], v[135:136], v[155:156]
	v_add_f64 v[197:198], v[201:202], v[197:198]
	v_add_f64 v[139:140], v[139:140], v[159:160]
	s_clause 0x4
	buffer_load_dword v160, off, s[0:3], 0 offset:604
	buffer_load_dword v201, off, s[0:3], 0 offset:616
	;; [unrolled: 1-line block ×5, first 2 shown]
	v_mul_f64 v[155:156], v[137:138], v[155:156]
	s_waitcnt vmcnt(56)
	v_fma_f64 v[151:152], v[1:2], v[145:146], -v[151:152]
	ds_read_b128 v[5:8], v196 offset:1376
	v_fma_f64 v[145:146], v[3:4], v[145:146], v[211:212]
	v_add_f64 v[147:148], v[197:198], v[147:148]
	v_add_f64 v[139:140], v[139:140], v[153:154]
	s_clause 0x2
	buffer_load_dword v202, off, s[0:3], 0 offset:620
	buffer_load_dword v154, off, s[0:3], 0 offset:596
	;; [unrolled: 1-line block ×3, first 2 shown]
	s_waitcnt vmcnt(58) lgkmcnt(0)
	v_mul_f64 v[197:198], v[5:6], v[161:162]
	v_mul_f64 v[161:162], v[7:8], v[161:162]
	s_waitcnt vmcnt(56)
	v_fma_f64 v[155:156], v[135:136], v[163:164], -v[155:156]
	ds_read_b128 v[1:4], v196 offset:1392
	v_add_f64 v[147:148], v[147:148], v[151:152]
	v_fma_f64 v[151:152], v[137:138], v[163:164], v[217:218]
	v_add_f64 v[139:140], v[139:140], v[145:146]
	s_clause 0x4
	buffer_load_dword v146, off, s[0:3], 0 offset:636
	buffer_load_dword v163, off, s[0:3], 0 offset:648
	;; [unrolled: 1-line block ×5, first 2 shown]
	s_waitcnt vmcnt(57) lgkmcnt(0)
	v_mul_f64 v[212:213], v[1:2], v[165:166]
	v_mul_f64 v[165:166], v[3:4], v[165:166]
	s_waitcnt vmcnt(56)
	v_fma_f64 v[161:162], v[5:6], v[149:150], -v[161:162]
	ds_read_b128 v[135:138], v196 offset:1408
	v_fma_f64 v[149:150], v[7:8], v[149:150], v[197:198]
	v_add_f64 v[147:148], v[147:148], v[155:156]
	v_add_f64 v[139:140], v[139:140], v[151:152]
	s_clause 0x2
	buffer_load_dword v164, off, s[0:3], 0 offset:652
	buffer_load_dword v152, off, s[0:3], 0 offset:628
	;; [unrolled: 1-line block ×3, first 2 shown]
	ds_read_b128 v[5:8], v196 offset:1424
	s_waitcnt vmcnt(58) lgkmcnt(1)
	v_mul_f64 v[155:156], v[135:136], v[169:170]
	v_mul_f64 v[169:170], v[137:138], v[169:170]
	s_waitcnt vmcnt(56)
	v_fma_f64 v[165:166], v[1:2], v[171:172], -v[165:166]
	v_add_f64 v[147:148], v[147:148], v[161:162]
	v_fma_f64 v[161:162], v[3:4], v[171:172], v[212:213]
	v_add_f64 v[139:140], v[139:140], v[149:150]
	s_clause 0x4
	buffer_load_dword v150, off, s[0:3], 0 offset:668
	buffer_load_dword v171, off, s[0:3], 0 offset:680
	;; [unrolled: 1-line block ×5, first 2 shown]
	s_waitcnt vmcnt(57) lgkmcnt(0)
	v_mul_f64 v[218:219], v[5:6], v[173:174]
	v_mul_f64 v[173:174], v[7:8], v[173:174]
	s_waitcnt vmcnt(56)
	v_fma_f64 v[169:170], v[135:136], v[157:158], -v[169:170]
	ds_read_b128 v[1:4], v196 offset:1440
	v_fma_f64 v[155:156], v[137:138], v[157:158], v[155:156]
	s_clause 0x2
	buffer_load_dword v172, off, s[0:3], 0 offset:684
	buffer_load_dword v158, off, s[0:3], 0 offset:660
	;; [unrolled: 1-line block ×3, first 2 shown]
	ds_read_b128 v[135:138], v196 offset:1456
	v_add_f64 v[147:148], v[147:148], v[165:166]
	v_add_f64 v[139:140], v[139:140], v[161:162]
	s_waitcnt vmcnt(58) lgkmcnt(1)
	v_mul_f64 v[165:166], v[3:4], v[177:178]
	s_waitcnt vmcnt(56)
	v_fma_f64 v[173:174], v[5:6], v[179:180], -v[173:174]
	v_mul_f64 v[161:162], v[1:2], v[177:178]
	v_add_f64 v[147:148], v[147:148], v[169:170]
	v_fma_f64 v[169:170], v[7:8], v[179:180], v[218:219]
	v_add_f64 v[139:140], v[139:140], v[155:156]
	s_clause 0x4
	buffer_load_dword v156, off, s[0:3], 0 offset:700
	buffer_load_dword v177, off, s[0:3], 0 offset:712
	;; [unrolled: 1-line block ×5, first 2 shown]
	s_waitcnt vmcnt(57) lgkmcnt(0)
	v_mul_f64 v[218:219], v[135:136], v[181:182]
	v_mul_f64 v[180:181], v[137:138], v[181:182]
	s_waitcnt vmcnt(56)
	v_fma_f64 v[165:166], v[1:2], v[167:168], -v[165:166]
	ds_read_b128 v[5:8], v196 offset:1472
	v_fma_f64 v[161:162], v[3:4], v[167:168], v[161:162]
	s_clause 0x2
	buffer_load_dword v178, off, s[0:3], 0 offset:716
	buffer_load_dword v168, off, s[0:3], 0 offset:692
	buffer_load_dword v167, off, s[0:3], 0 offset:688
	ds_read_b128 v[1:4], v196 offset:1488
	v_add_f64 v[147:148], v[147:148], v[173:174]
	v_add_f64 v[139:140], v[139:140], v[169:170]
	s_waitcnt vmcnt(58) lgkmcnt(1)
	v_mul_f64 v[173:174], v[7:8], v[185:186]
	s_waitcnt vmcnt(56)
	v_fma_f64 v[181:182], v[135:136], v[187:188], -v[180:181]
	v_mul_f64 v[169:170], v[5:6], v[185:186]
	v_add_f64 v[147:148], v[147:148], v[165:166]
	v_fma_f64 v[165:166], v[137:138], v[187:188], v[218:219]
	v_add_f64 v[139:140], v[139:140], v[161:162]
	s_clause 0x4
	buffer_load_dword v162, off, s[0:3], 0 offset:732
	buffer_load_dword v185, off, s[0:3], 0 offset:744
	;; [unrolled: 1-line block ×5, first 2 shown]
	s_waitcnt vmcnt(57) lgkmcnt(0)
	v_mul_f64 v[218:219], v[1:2], v[189:190]
	v_mul_f64 v[188:189], v[3:4], v[189:190]
	s_waitcnt vmcnt(56)
	v_fma_f64 v[173:174], v[5:6], v[175:176], -v[173:174]
	ds_read_b128 v[135:138], v196 offset:1504
	v_fma_f64 v[169:170], v[7:8], v[175:176], v[169:170]
	v_add_f64 v[147:148], v[147:148], v[181:182]
	v_add_f64 v[139:140], v[139:140], v[165:166]
	s_clause 0x2
	buffer_load_dword v186, off, s[0:3], 0 offset:748
	buffer_load_dword v166, off, s[0:3], 0 offset:724
	;; [unrolled: 1-line block ×3, first 2 shown]
	ds_read_b128 v[5:8], v196 offset:1520
	s_waitcnt vmcnt(58) lgkmcnt(1)
	v_mul_f64 v[181:182], v[137:138], v[191:192]
	s_waitcnt vmcnt(56)
	v_fma_f64 v[189:190], v[1:2], v[193:194], -v[188:189]
	v_mul_f64 v[175:176], v[135:136], v[191:192]
	v_add_f64 v[147:148], v[147:148], v[173:174]
	v_fma_f64 v[173:174], v[3:4], v[193:194], v[218:219]
	v_add_f64 v[139:140], v[139:140], v[169:170]
	s_clause 0x4
	buffer_load_dword v170, off, s[0:3], 0 offset:764
	buffer_load_dword v191, off, s[0:3], 0 offset:776
	;; [unrolled: 1-line block ×5, first 2 shown]
	s_waitcnt vmcnt(57) lgkmcnt(0)
	v_mul_f64 v[218:219], v[5:6], v[203:204]
	v_mul_f64 v[203:204], v[7:8], v[203:204]
	s_waitcnt vmcnt(56)
	v_fma_f64 v[181:182], v[135:136], v[183:184], -v[181:182]
	ds_read_b128 v[1:4], v196 offset:1536
	v_fma_f64 v[175:176], v[137:138], v[183:184], v[175:176]
	v_add_f64 v[147:148], v[147:148], v[189:190]
	v_add_f64 v[139:140], v[139:140], v[173:174]
	s_clause 0x2
	buffer_load_dword v192, off, s[0:3], 0 offset:780
	buffer_load_dword v174, off, s[0:3], 0 offset:756
	;; [unrolled: 1-line block ×3, first 2 shown]
	ds_read_b128 v[135:138], v196 offset:1552
	s_waitcnt vmcnt(58) lgkmcnt(1)
	v_mul_f64 v[189:190], v[3:4], v[205:206]
	v_mul_f64 v[183:184], v[1:2], v[205:206]
	s_waitcnt vmcnt(56)
	v_fma_f64 v[203:204], v[5:6], v[143:144], -v[203:204]
	v_fma_f64 v[143:144], v[7:8], v[143:144], v[218:219]
	v_add_f64 v[147:148], v[147:148], v[181:182]
	v_add_f64 v[139:140], v[139:140], v[175:176]
	s_clause 0x4
	buffer_load_dword v176, off, s[0:3], 0 offset:796
	buffer_load_dword v181, off, s[0:3], 0 offset:808
	buffer_load_dword v205, off, s[0:3], 0 offset:800
	buffer_load_dword v175, off, s[0:3], 0 offset:792
	buffer_load_dword v194, off, s[0:3], 0 offset:772
	ds_read_b128 v[5:8], v196 offset:1568
	s_waitcnt vmcnt(57) lgkmcnt(1)
	v_mul_f64 v[218:219], v[135:136], v[141:142]
	v_mul_f64 v[141:142], v[137:138], v[141:142]
	s_waitcnt vmcnt(56)
	v_fma_f64 v[189:190], v[1:2], v[207:208], -v[189:190]
	v_fma_f64 v[183:184], v[3:4], v[207:208], v[183:184]
	v_add_f64 v[147:148], v[147:148], v[203:204]
	v_add_f64 v[139:140], v[139:140], v[143:144]
	s_clause 0x2
	buffer_load_dword v182, off, s[0:3], 0 offset:812
	buffer_load_dword v144, off, s[0:3], 0 offset:788
	;; [unrolled: 1-line block ×3, first 2 shown]
	s_waitcnt vmcnt(58) lgkmcnt(0)
	v_mul_f64 v[207:208], v[7:8], v[209:210]
	ds_read_b128 v[1:4], v196 offset:1584
	v_mul_f64 v[203:204], v[5:6], v[209:210]
	s_waitcnt vmcnt(56)
	v_fma_f64 v[141:142], v[135:136], v[199:200], -v[141:142]
	v_add_f64 v[147:148], v[147:148], v[189:190]
	v_fma_f64 v[189:190], v[137:138], v[199:200], v[218:219]
	v_add_f64 v[139:140], v[139:140], v[183:184]
	s_clause 0x4
	buffer_load_dword v184, off, s[0:3], 0 offset:828
	buffer_load_dword v199, off, s[0:3], 0 offset:840
	;; [unrolled: 1-line block ×5, first 2 shown]
	ds_read_b128 v[135:138], v196 offset:1600
	s_waitcnt vmcnt(57) lgkmcnt(1)
	v_mul_f64 v[218:219], v[1:2], v[159:160]
	v_mul_f64 v[159:160], v[3:4], v[159:160]
	s_waitcnt vmcnt(56)
	v_fma_f64 v[207:208], v[5:6], v[214:215], -v[207:208]
	v_add_f64 v[141:142], v[147:148], v[141:142]
	v_fma_f64 v[147:148], v[7:8], v[214:215], v[203:204]
	v_add_f64 v[139:140], v[139:140], v[189:190]
	s_clause 0x2
	buffer_load_dword v200, off, s[0:3], 0 offset:844
	buffer_load_dword v190, off, s[0:3], 0 offset:820
	buffer_load_dword v189, off, s[0:3], 0 offset:816
	ds_read_b128 v[5:8], v196 offset:1616
	s_waitcnt vmcnt(58) lgkmcnt(1)
	v_mul_f64 v[203:204], v[135:136], v[201:202]
	v_mul_f64 v[201:202], v[137:138], v[201:202]
	s_waitcnt vmcnt(56)
	v_fma_f64 v[159:160], v[1:2], v[153:154], -v[159:160]
	v_fma_f64 v[153:154], v[3:4], v[153:154], v[218:219]
	v_add_f64 v[141:142], v[141:142], v[207:208]
	v_add_f64 v[139:140], v[139:140], v[147:148]
	s_clause 0x4
	buffer_load_dword v148, off, s[0:3], 0 offset:860
	buffer_load_dword v207, off, s[0:3], 0 offset:872
	buffer_load_dword v213, off, s[0:3], 0 offset:864
	buffer_load_dword v147, off, s[0:3], 0 offset:856
	buffer_load_dword v210, off, s[0:3], 0 offset:836
	ds_read_b128 v[1:4], v196 offset:1632
	s_waitcnt vmcnt(57) lgkmcnt(1)
	v_mul_f64 v[214:215], v[5:6], v[145:146]
	v_mul_f64 v[145:146], v[7:8], v[145:146]
	s_waitcnt vmcnt(56)
	v_fma_f64 v[201:202], v[135:136], v[216:217], -v[201:202]
	v_add_f64 v[141:142], v[141:142], v[159:160]
	v_fma_f64 v[159:160], v[137:138], v[216:217], v[203:204]
	v_add_f64 v[139:140], v[139:140], v[153:154]
	s_clause 0x2
	buffer_load_dword v208, off, s[0:3], 0 offset:876
	buffer_load_dword v154, off, s[0:3], 0 offset:852
	;; [unrolled: 1-line block ×3, first 2 shown]
	ds_read_b128 v[135:138], v196 offset:1648
	s_waitcnt vmcnt(58) lgkmcnt(1)
	v_mul_f64 v[203:204], v[1:2], v[163:164]
	v_mul_f64 v[163:164], v[3:4], v[163:164]
	s_waitcnt vmcnt(56)
	v_fma_f64 v[145:146], v[5:6], v[151:152], -v[145:146]
	v_fma_f64 v[151:152], v[7:8], v[151:152], v[214:215]
	v_add_f64 v[141:142], v[141:142], v[201:202]
	v_add_f64 v[139:140], v[139:140], v[159:160]
	s_clause 0x4
	buffer_load_dword v160, off, s[0:3], 0 offset:892
	buffer_load_dword v201, off, s[0:3], 0 offset:904
	;; [unrolled: 1-line block ×5, first 2 shown]
	ds_read_b128 v[5:8], v196 offset:1664
	s_waitcnt vmcnt(57) lgkmcnt(1)
	v_mul_f64 v[216:217], v[135:136], v[149:150]
	v_mul_f64 v[149:150], v[137:138], v[149:150]
	s_waitcnt vmcnt(56)
	v_fma_f64 v[163:164], v[1:2], v[211:212], -v[163:164]
	v_add_f64 v[141:142], v[141:142], v[145:146]
	v_fma_f64 v[145:146], v[3:4], v[211:212], v[203:204]
	v_add_f64 v[139:140], v[139:140], v[151:152]
	s_clause 0x2
	buffer_load_dword v202, off, s[0:3], 0 offset:908
	buffer_load_dword v152, off, s[0:3], 0 offset:884
	;; [unrolled: 1-line block ×3, first 2 shown]
	s_waitcnt vmcnt(58) lgkmcnt(0)
	v_mul_f64 v[203:204], v[5:6], v[171:172]
	v_mul_f64 v[171:172], v[7:8], v[171:172]
	ds_read_b128 v[1:4], v196 offset:1680
	s_waitcnt vmcnt(56)
	v_fma_f64 v[149:150], v[135:136], v[157:158], -v[149:150]
	v_fma_f64 v[157:158], v[137:138], v[157:158], v[216:217]
	v_add_f64 v[141:142], v[141:142], v[163:164]
	v_add_f64 v[139:140], v[139:140], v[145:146]
	s_clause 0x4
	buffer_load_dword v146, off, s[0:3], 0 offset:924
	buffer_load_dword v163, off, s[0:3], 0 offset:936
	buffer_load_dword v211, off, s[0:3], 0 offset:928
	buffer_load_dword v145, off, s[0:3], 0 offset:920
	buffer_load_dword v216, off, s[0:3], 0 offset:900
	ds_read_b128 v[135:138], v196 offset:1696
	s_waitcnt vmcnt(57) lgkmcnt(1)
	v_mul_f64 v[217:218], v[1:2], v[155:156]
	v_mul_f64 v[155:156], v[3:4], v[155:156]
	s_waitcnt vmcnt(56)
	v_fma_f64 v[171:172], v[5:6], v[197:198], -v[171:172]
	v_add_f64 v[141:142], v[141:142], v[149:150]
	v_fma_f64 v[149:150], v[7:8], v[197:198], v[203:204]
	v_add_f64 v[139:140], v[139:140], v[157:158]
	s_clause 0x2
	buffer_load_dword v164, off, s[0:3], 0 offset:940
	buffer_load_dword v158, off, s[0:3], 0 offset:916
	;; [unrolled: 1-line block ×3, first 2 shown]
	s_waitcnt vmcnt(58) lgkmcnt(0)
	v_mul_f64 v[197:198], v[135:136], v[177:178]
	v_mul_f64 v[177:178], v[137:138], v[177:178]
	ds_read_b128 v[5:8], v196 offset:1712
	s_waitcnt vmcnt(56)
	v_fma_f64 v[155:156], v[1:2], v[167:168], -v[155:156]
	v_fma_f64 v[167:168], v[3:4], v[167:168], v[217:218]
	v_add_f64 v[141:142], v[141:142], v[171:172]
	v_add_f64 v[139:140], v[139:140], v[149:150]
	s_clause 0x4
	buffer_load_dword v150, off, s[0:3], 0 offset:956
	buffer_load_dword v171, off, s[0:3], 0 offset:968
	;; [unrolled: 1-line block ×5, first 2 shown]
	ds_read_b128 v[1:4], v196 offset:1728
	s_waitcnt vmcnt(57) lgkmcnt(1)
	v_mul_f64 v[217:218], v[5:6], v[161:162]
	v_mul_f64 v[161:162], v[7:8], v[161:162]
	s_waitcnt vmcnt(56)
	v_fma_f64 v[177:178], v[135:136], v[179:180], -v[177:178]
	v_add_f64 v[141:142], v[141:142], v[155:156]
	v_fma_f64 v[155:156], v[137:138], v[179:180], v[197:198]
	v_add_f64 v[139:140], v[139:140], v[167:168]
	s_clause 0x2
	buffer_load_dword v172, off, s[0:3], 0 offset:972
	buffer_load_dword v168, off, s[0:3], 0 offset:948
	buffer_load_dword v167, off, s[0:3], 0 offset:944
	ds_read_b128 v[135:138], v196 offset:1744
	s_waitcnt vmcnt(58) lgkmcnt(1)
	v_mul_f64 v[179:180], v[1:2], v[185:186]
	v_mul_f64 v[185:186], v[3:4], v[185:186]
	s_waitcnt vmcnt(56)
	v_fma_f64 v[161:162], v[5:6], v[165:166], -v[161:162]
	v_fma_f64 v[165:166], v[7:8], v[165:166], v[217:218]
	v_add_f64 v[141:142], v[141:142], v[177:178]
	v_add_f64 v[139:140], v[139:140], v[155:156]
	s_clause 0x4
	buffer_load_dword v156, off, s[0:3], 0 offset:988
	buffer_load_dword v177, off, s[0:3], 0 offset:1000
	;; [unrolled: 1-line block ×5, first 2 shown]
	ds_read_b128 v[5:8], v196 offset:1760
	s_waitcnt vmcnt(57) lgkmcnt(1)
	v_mul_f64 v[217:218], v[135:136], v[169:170]
	v_mul_f64 v[169:170], v[137:138], v[169:170]
	s_waitcnt vmcnt(56)
	v_fma_f64 v[185:186], v[1:2], v[187:188], -v[185:186]
	v_add_f64 v[141:142], v[141:142], v[161:162]
	v_fma_f64 v[161:162], v[3:4], v[187:188], v[179:180]
	v_add_f64 v[139:140], v[139:140], v[165:166]
	s_clause 0x2
	buffer_load_dword v178, off, s[0:3], 0 offset:1004
	buffer_load_dword v166, off, s[0:3], 0 offset:980
	;; [unrolled: 1-line block ×3, first 2 shown]
	ds_read_b128 v[1:4], v196 offset:1776
	s_waitcnt vmcnt(58) lgkmcnt(1)
	v_mul_f64 v[187:188], v[7:8], v[191:192]
	v_mul_f64 v[179:180], v[5:6], v[191:192]
	s_waitcnt vmcnt(56)
	v_fma_f64 v[169:170], v[135:136], v[173:174], -v[169:170]
	v_fma_f64 v[173:174], v[137:138], v[173:174], v[217:218]
	v_add_f64 v[141:142], v[141:142], v[185:186]
	v_add_f64 v[139:140], v[139:140], v[161:162]
	s_clause 0x2
	buffer_load_dword v162, off, s[0:3], 0 offset:1020
	buffer_load_dword v161, off, s[0:3], 0 offset:1016
	;; [unrolled: 1-line block ×3, first 2 shown]
	ds_read_b128 v[135:138], v196 offset:1792
	s_waitcnt vmcnt(55) lgkmcnt(1)
	v_mul_f64 v[185:186], v[1:2], v[175:176]
	v_mul_f64 v[175:176], v[3:4], v[175:176]
	s_waitcnt vmcnt(54)
	v_fma_f64 v[187:188], v[5:6], v[193:194], -v[187:188]
	v_add_f64 v[141:142], v[141:142], v[169:170]
	v_fma_f64 v[169:170], v[7:8], v[193:194], v[179:180]
	v_add_f64 v[139:140], v[139:140], v[173:174]
	s_clause 0x1
	buffer_load_dword v174, off, s[0:3], 0 offset:1012
	buffer_load_dword v173, off, s[0:3], 0 offset:1008
	ds_read_b128 v[5:8], v196 offset:1808
	s_waitcnt vmcnt(55) lgkmcnt(1)
	v_mul_f64 v[179:180], v[135:136], v[181:182]
	v_mul_f64 v[181:182], v[137:138], v[181:182]
	s_waitcnt vmcnt(53)
	v_fma_f64 v[175:176], v[1:2], v[143:144], -v[175:176]
	v_fma_f64 v[143:144], v[3:4], v[143:144], v[185:186]
	ds_read_b128 v[1:4], v196 offset:1824
	v_add_f64 v[141:142], v[141:142], v[187:188]
	v_add_f64 v[139:140], v[139:140], v[169:170]
	s_waitcnt vmcnt(49) lgkmcnt(1)
	v_mul_f64 v[169:170], v[5:6], v[183:184]
	v_mul_f64 v[183:184], v[7:8], v[183:184]
	s_waitcnt vmcnt(48)
	v_fma_f64 v[181:182], v[135:136], v[205:206], -v[181:182]
	v_add_f64 v[141:142], v[141:142], v[175:176]
	v_fma_f64 v[175:176], v[137:138], v[205:206], v[179:180]
	v_add_f64 v[139:140], v[139:140], v[143:144]
	s_clause 0x3
	buffer_load_dword v143, off, s[0:3], 0 offset:272
	buffer_load_dword v144, off, s[0:3], 0 offset:276
	buffer_load_dword v179, off, s[0:3], 0 offset:280
	buffer_load_dword v180, off, s[0:3], 0 offset:284
	ds_read_b128 v[135:138], v196 offset:1840
	s_waitcnt vmcnt(51) lgkmcnt(1)
	v_mul_f64 v[187:188], v[3:4], v[199:200]
	v_mul_f64 v[185:186], v[1:2], v[199:200]
	s_waitcnt vmcnt(49)
	v_fma_f64 v[183:184], v[5:6], v[189:190], -v[183:184]
	v_fma_f64 v[169:170], v[7:8], v[189:190], v[169:170]
	ds_read_b128 v[5:8], v196 offset:1856
	v_add_f64 v[141:142], v[141:142], v[181:182]
	v_add_f64 v[139:140], v[139:140], v[175:176]
	s_waitcnt vmcnt(45) lgkmcnt(1)
	v_mul_f64 v[175:176], v[135:136], v[147:148]
	v_mul_f64 v[147:148], v[137:138], v[147:148]
	s_waitcnt vmcnt(44)
	v_fma_f64 v[181:182], v[1:2], v[209:210], -v[187:188]
	v_add_f64 v[141:142], v[141:142], v[183:184]
	v_fma_f64 v[183:184], v[3:4], v[209:210], v[185:186]
	v_add_f64 v[139:140], v[139:140], v[169:170]
	ds_read_b128 v[1:4], v196 offset:1872
	s_waitcnt vmcnt(43) lgkmcnt(1)
	v_mul_f64 v[185:186], v[7:8], v[207:208]
	v_mul_f64 v[169:170], v[5:6], v[207:208]
	s_waitcnt vmcnt(41)
	v_fma_f64 v[147:148], v[135:136], v[153:154], -v[147:148]
	v_fma_f64 v[153:154], v[137:138], v[153:154], v[175:176]
	ds_read_b128 v[135:138], v196 offset:1888
	v_add_f64 v[141:142], v[141:142], v[181:182]
	v_add_f64 v[139:140], v[139:140], v[183:184]
	s_waitcnt vmcnt(37) lgkmcnt(1)
	v_mul_f64 v[175:176], v[1:2], v[159:160]
	v_mul_f64 v[159:160], v[3:4], v[159:160]
	s_waitcnt vmcnt(36)
	v_fma_f64 v[181:182], v[5:6], v[213:214], -v[185:186]
	v_add_f64 v[141:142], v[141:142], v[147:148]
	v_fma_f64 v[147:148], v[7:8], v[213:214], v[169:170]
	v_add_f64 v[139:140], v[139:140], v[153:154]
	ds_read_b128 v[5:8], v196 offset:1904
	s_waitcnt vmcnt(35) lgkmcnt(1)
	v_mul_f64 v[169:170], v[137:138], v[201:202]
	v_mul_f64 v[153:154], v[135:136], v[201:202]
	s_waitcnt vmcnt(33)
	v_fma_f64 v[159:160], v[1:2], v[151:152], -v[159:160]
	v_fma_f64 v[151:152], v[3:4], v[151:152], v[175:176]
	ds_read_b128 v[1:4], v196 offset:1920
	v_add_f64 v[141:142], v[141:142], v[181:182]
	v_add_f64 v[139:140], v[139:140], v[147:148]
	s_waitcnt vmcnt(29) lgkmcnt(1)
	v_mul_f64 v[147:148], v[5:6], v[145:146]
	v_mul_f64 v[145:146], v[7:8], v[145:146]
	s_waitcnt vmcnt(28)
	v_fma_f64 v[169:170], v[135:136], v[215:216], -v[169:170]
	v_fma_f64 v[153:154], v[137:138], v[215:216], v[153:154]
	ds_read_b128 v[135:138], v196 offset:1936
	v_add_f64 v[141:142], v[141:142], v[159:160]
	v_add_f64 v[139:140], v[139:140], v[151:152]
	;; [unrolled: 9-line block ×3, first 2 shown]
	s_waitcnt vmcnt(21) lgkmcnt(1)
	v_mul_f64 v[153:154], v[135:136], v[149:150]
	v_mul_f64 v[149:150], v[137:138], v[149:150]
	s_waitcnt vmcnt(20)
	v_fma_f64 v[157:158], v[1:2], v[211:212], -v[159:160]
	v_add_f64 v[141:142], v[141:142], v[145:146]
	v_fma_f64 v[145:146], v[3:4], v[211:212], v[151:152]
	v_add_f64 v[139:140], v[139:140], v[147:148]
	ds_read_b128 v[1:4], v196 offset:1968
	s_waitcnt vmcnt(19) lgkmcnt(1)
	v_mul_f64 v[151:152], v[7:8], v[171:172]
	v_mul_f64 v[147:148], v[5:6], v[171:172]
	s_waitcnt vmcnt(17)
	v_fma_f64 v[149:150], v[135:136], v[167:168], -v[149:150]
	v_fma_f64 v[153:154], v[137:138], v[167:168], v[153:154]
	ds_read_b128 v[135:138], v196 offset:1984
	v_add_f64 v[141:142], v[141:142], v[157:158]
	v_add_f64 v[139:140], v[139:140], v[145:146]
	s_waitcnt vmcnt(13) lgkmcnt(1)
	v_mul_f64 v[145:146], v[1:2], v[155:156]
	v_mul_f64 v[155:156], v[3:4], v[155:156]
	s_waitcnt vmcnt(12)
	v_fma_f64 v[151:152], v[5:6], v[203:204], -v[151:152]
	v_fma_f64 v[147:148], v[7:8], v[203:204], v[147:148]
	ds_read_b128 v[5:8], v196 offset:2000
	v_add_f64 v[141:142], v[141:142], v[149:150]
	v_add_f64 v[139:140], v[139:140], v[153:154]
	s_waitcnt vmcnt(11) lgkmcnt(1)
	v_mul_f64 v[153:154], v[137:138], v[177:178]
	v_mul_f64 v[149:150], v[135:136], v[177:178]
	s_waitcnt vmcnt(9)
	v_fma_f64 v[1:2], v[1:2], v[165:166], -v[155:156]
	v_fma_f64 v[3:4], v[3:4], v[165:166], v[145:146]
	v_add_f64 v[141:142], v[141:142], v[151:152]
	v_add_f64 v[139:140], v[139:140], v[147:148]
	s_waitcnt vmcnt(7) lgkmcnt(0)
	v_mul_f64 v[147:148], v[7:8], v[161:162]
	s_waitcnt vmcnt(6)
	v_fma_f64 v[135:136], v[135:136], v[197:198], -v[153:154]
	v_mul_f64 v[145:146], v[5:6], v[161:162]
	v_fma_f64 v[137:138], v[137:138], v[197:198], v[149:150]
	v_add_f64 v[1:2], v[141:142], v[1:2]
	v_add_f64 v[3:4], v[139:140], v[3:4]
	s_waitcnt vmcnt(4)
	v_fma_f64 v[5:6], v[5:6], v[173:174], -v[147:148]
	v_fma_f64 v[7:8], v[7:8], v[173:174], v[145:146]
	v_add_f64 v[1:2], v[1:2], v[135:136]
	v_add_f64 v[3:4], v[3:4], v[137:138]
	;; [unrolled: 1-line block ×4, first 2 shown]
	s_waitcnt vmcnt(2)
	v_add_f64 v[1:2], v[143:144], -v[1:2]
	s_waitcnt vmcnt(0)
	v_add_f64 v[3:4], v[179:180], -v[3:4]
	buffer_store_dword v2, off, s[0:3], 0 offset:276
	buffer_store_dword v1, off, s[0:3], 0 offset:272
	buffer_store_dword v4, off, s[0:3], 0 offset:284
	buffer_store_dword v3, off, s[0:3], 0 offset:280
	v_cmpx_lt_u32_e32 15, v0
	s_cbranch_execz .LBB126_373
; %bb.372:
	v_mov_b32_e32 v4, s62
	v_mov_b32_e32 v5, 0
	s_clause 0x3
	buffer_load_dword v1, v4, s[0:3], 0 offen
	buffer_load_dword v2, v4, s[0:3], 0 offen offset:4
	buffer_load_dword v3, v4, s[0:3], 0 offen offset:8
	;; [unrolled: 1-line block ×3, first 2 shown]
	buffer_store_dword v5, off, s[0:3], 0 offset:256
	buffer_store_dword v5, off, s[0:3], 0 offset:260
	;; [unrolled: 1-line block ×4, first 2 shown]
	s_waitcnt vmcnt(0)
	ds_write_b128 v195, v[1:4]
.LBB126_373:
	s_or_b32 exec_lo, exec_lo, s4
	s_waitcnt lgkmcnt(0)
	s_waitcnt_vscnt null, 0x0
	s_barrier
	buffer_gl0_inv
	s_clause 0x37
	buffer_load_dword v143, off, s[0:3], 0 offset:280
	buffer_load_dword v144, off, s[0:3], 0 offset:284
	;; [unrolled: 1-line block ×56, first 2 shown]
	v_mov_b32_e32 v196, 0
	s_mov_b32 s4, exec_lo
	ds_read_b128 v[5:8], v196 offset:1264
	s_clause 0x2
	buffer_load_dword v192, off, s[0:3], 0 offset:508
	buffer_load_dword v194, off, s[0:3], 0 offset:484
	;; [unrolled: 1-line block ×3, first 2 shown]
	ds_read_b128 v[1:4], v196 offset:1280
	s_clause 0x4
	buffer_load_dword v204, off, s[0:3], 0 offset:524
	buffer_load_dword v205, off, s[0:3], 0 offset:536
	;; [unrolled: 1-line block ×5, first 2 shown]
	ds_read_b128 v[197:200], v196 offset:1296
	s_waitcnt vmcnt(62) lgkmcnt(2)
	v_mul_f64 v[201:202], v[7:8], v[143:144]
	v_mul_f64 v[143:144], v[5:6], v[143:144]
	s_waitcnt vmcnt(60) lgkmcnt(1)
	v_mul_f64 v[208:209], v[3:4], v[139:140]
	v_mul_f64 v[139:140], v[1:2], v[139:140]
	;; [unrolled: 3-line block ×3, first 2 shown]
	v_fma_f64 v[201:202], v[5:6], v[141:142], -v[201:202]
	v_fma_f64 v[141:142], v[7:8], v[141:142], v[143:144]
	s_clause 0x2
	buffer_load_dword v206, off, s[0:3], 0 offset:540
	buffer_load_dword v144, off, s[0:3], 0 offset:516
	;; [unrolled: 1-line block ×3, first 2 shown]
	s_waitcnt vmcnt(57)
	v_fma_f64 v[212:213], v[1:2], v[135:136], -v[208:209]
	ds_read_b128 v[5:8], v196 offset:1312
	v_fma_f64 v[135:136], v[3:4], v[135:136], v[139:140]
	s_waitcnt vmcnt(51)
	v_fma_f64 v[197:198], v[197:198], v[159:160], -v[137:138]
	v_fma_f64 v[159:160], v[199:200], v[159:160], v[210:211]
	v_add_f64 v[201:202], v[201:202], 0
	v_add_f64 v[139:140], v[141:142], 0
	s_clause 0x4
	buffer_load_dword v142, off, s[0:3], 0 offset:556
	buffer_load_dword v209, off, s[0:3], 0 offset:568
	;; [unrolled: 1-line block ×5, first 2 shown]
	s_waitcnt lgkmcnt(0)
	v_mul_f64 v[215:216], v[5:6], v[147:148]
	v_mul_f64 v[147:148], v[7:8], v[147:148]
	ds_read_b128 v[1:4], v196 offset:1328
	s_clause 0x2
	buffer_load_dword v210, off, s[0:3], 0 offset:572
	buffer_load_dword v200, off, s[0:3], 0 offset:548
	;; [unrolled: 1-line block ×3, first 2 shown]
	v_add_f64 v[201:202], v[201:202], v[212:213]
	v_add_f64 v[139:140], v[139:140], v[135:136]
	ds_read_b128 v[135:138], v196 offset:1344
	s_waitcnt vmcnt(58) lgkmcnt(1)
	v_mul_f64 v[211:212], v[1:2], v[151:152]
	v_mul_f64 v[151:152], v[3:4], v[151:152]
	s_waitcnt vmcnt(56)
	v_fma_f64 v[147:148], v[5:6], v[153:154], -v[147:148]
	v_fma_f64 v[153:154], v[7:8], v[153:154], v[215:216]
	s_waitcnt vmcnt(52) lgkmcnt(0)
	v_mul_f64 v[217:218], v[135:136], v[155:156]
	v_add_f64 v[197:198], v[201:202], v[197:198]
	v_add_f64 v[139:140], v[139:140], v[159:160]
	s_clause 0x4
	buffer_load_dword v160, off, s[0:3], 0 offset:588
	buffer_load_dword v201, off, s[0:3], 0 offset:600
	;; [unrolled: 1-line block ×5, first 2 shown]
	v_mul_f64 v[155:156], v[137:138], v[155:156]
	s_waitcnt vmcnt(56)
	v_fma_f64 v[151:152], v[1:2], v[145:146], -v[151:152]
	ds_read_b128 v[5:8], v196 offset:1360
	v_fma_f64 v[145:146], v[3:4], v[145:146], v[211:212]
	v_add_f64 v[147:148], v[197:198], v[147:148]
	v_add_f64 v[139:140], v[139:140], v[153:154]
	s_clause 0x2
	buffer_load_dword v202, off, s[0:3], 0 offset:604
	buffer_load_dword v154, off, s[0:3], 0 offset:580
	;; [unrolled: 1-line block ×3, first 2 shown]
	s_waitcnt vmcnt(58) lgkmcnt(0)
	v_mul_f64 v[197:198], v[5:6], v[161:162]
	v_mul_f64 v[161:162], v[7:8], v[161:162]
	s_waitcnt vmcnt(56)
	v_fma_f64 v[155:156], v[135:136], v[163:164], -v[155:156]
	ds_read_b128 v[1:4], v196 offset:1376
	v_add_f64 v[147:148], v[147:148], v[151:152]
	v_fma_f64 v[151:152], v[137:138], v[163:164], v[217:218]
	v_add_f64 v[139:140], v[139:140], v[145:146]
	s_clause 0x4
	buffer_load_dword v146, off, s[0:3], 0 offset:620
	buffer_load_dword v163, off, s[0:3], 0 offset:632
	;; [unrolled: 1-line block ×5, first 2 shown]
	s_waitcnt vmcnt(57) lgkmcnt(0)
	v_mul_f64 v[212:213], v[1:2], v[165:166]
	v_mul_f64 v[165:166], v[3:4], v[165:166]
	s_waitcnt vmcnt(56)
	v_fma_f64 v[161:162], v[5:6], v[149:150], -v[161:162]
	ds_read_b128 v[135:138], v196 offset:1392
	v_fma_f64 v[149:150], v[7:8], v[149:150], v[197:198]
	v_add_f64 v[147:148], v[147:148], v[155:156]
	v_add_f64 v[139:140], v[139:140], v[151:152]
	s_clause 0x2
	buffer_load_dword v164, off, s[0:3], 0 offset:636
	buffer_load_dword v152, off, s[0:3], 0 offset:612
	;; [unrolled: 1-line block ×3, first 2 shown]
	ds_read_b128 v[5:8], v196 offset:1408
	s_waitcnt vmcnt(58) lgkmcnt(1)
	v_mul_f64 v[155:156], v[135:136], v[169:170]
	v_mul_f64 v[169:170], v[137:138], v[169:170]
	s_waitcnt vmcnt(56)
	v_fma_f64 v[165:166], v[1:2], v[171:172], -v[165:166]
	v_add_f64 v[147:148], v[147:148], v[161:162]
	v_fma_f64 v[161:162], v[3:4], v[171:172], v[212:213]
	v_add_f64 v[139:140], v[139:140], v[149:150]
	s_clause 0x4
	buffer_load_dword v150, off, s[0:3], 0 offset:652
	buffer_load_dword v171, off, s[0:3], 0 offset:664
	buffer_load_dword v197, off, s[0:3], 0 offset:656
	buffer_load_dword v149, off, s[0:3], 0 offset:648
	buffer_load_dword v212, off, s[0:3], 0 offset:628
	s_waitcnt vmcnt(57) lgkmcnt(0)
	v_mul_f64 v[218:219], v[5:6], v[173:174]
	v_mul_f64 v[173:174], v[7:8], v[173:174]
	s_waitcnt vmcnt(56)
	v_fma_f64 v[169:170], v[135:136], v[157:158], -v[169:170]
	ds_read_b128 v[1:4], v196 offset:1424
	v_fma_f64 v[155:156], v[137:138], v[157:158], v[155:156]
	s_clause 0x2
	buffer_load_dword v172, off, s[0:3], 0 offset:668
	buffer_load_dword v158, off, s[0:3], 0 offset:644
	buffer_load_dword v157, off, s[0:3], 0 offset:640
	ds_read_b128 v[135:138], v196 offset:1440
	v_add_f64 v[147:148], v[147:148], v[165:166]
	v_add_f64 v[139:140], v[139:140], v[161:162]
	s_waitcnt vmcnt(58) lgkmcnt(1)
	v_mul_f64 v[165:166], v[3:4], v[177:178]
	s_waitcnt vmcnt(56)
	v_fma_f64 v[173:174], v[5:6], v[179:180], -v[173:174]
	v_mul_f64 v[161:162], v[1:2], v[177:178]
	v_add_f64 v[147:148], v[147:148], v[169:170]
	v_fma_f64 v[169:170], v[7:8], v[179:180], v[218:219]
	v_add_f64 v[139:140], v[139:140], v[155:156]
	s_clause 0x4
	buffer_load_dword v156, off, s[0:3], 0 offset:684
	buffer_load_dword v177, off, s[0:3], 0 offset:696
	;; [unrolled: 1-line block ×5, first 2 shown]
	s_waitcnt vmcnt(57) lgkmcnt(0)
	v_mul_f64 v[218:219], v[135:136], v[181:182]
	v_mul_f64 v[180:181], v[137:138], v[181:182]
	s_waitcnt vmcnt(56)
	v_fma_f64 v[165:166], v[1:2], v[167:168], -v[165:166]
	ds_read_b128 v[5:8], v196 offset:1456
	v_fma_f64 v[161:162], v[3:4], v[167:168], v[161:162]
	s_clause 0x2
	buffer_load_dword v178, off, s[0:3], 0 offset:700
	buffer_load_dword v168, off, s[0:3], 0 offset:676
	;; [unrolled: 1-line block ×3, first 2 shown]
	ds_read_b128 v[1:4], v196 offset:1472
	v_add_f64 v[147:148], v[147:148], v[173:174]
	v_add_f64 v[139:140], v[139:140], v[169:170]
	s_waitcnt vmcnt(58) lgkmcnt(1)
	v_mul_f64 v[173:174], v[7:8], v[185:186]
	s_waitcnt vmcnt(56)
	v_fma_f64 v[181:182], v[135:136], v[187:188], -v[180:181]
	v_mul_f64 v[169:170], v[5:6], v[185:186]
	v_add_f64 v[147:148], v[147:148], v[165:166]
	v_fma_f64 v[165:166], v[137:138], v[187:188], v[218:219]
	v_add_f64 v[139:140], v[139:140], v[161:162]
	s_clause 0x4
	buffer_load_dword v162, off, s[0:3], 0 offset:716
	buffer_load_dword v185, off, s[0:3], 0 offset:728
	;; [unrolled: 1-line block ×5, first 2 shown]
	s_waitcnt vmcnt(57) lgkmcnt(0)
	v_mul_f64 v[218:219], v[1:2], v[189:190]
	v_mul_f64 v[188:189], v[3:4], v[189:190]
	s_waitcnt vmcnt(56)
	v_fma_f64 v[173:174], v[5:6], v[175:176], -v[173:174]
	ds_read_b128 v[135:138], v196 offset:1488
	v_fma_f64 v[169:170], v[7:8], v[175:176], v[169:170]
	v_add_f64 v[147:148], v[147:148], v[181:182]
	v_add_f64 v[139:140], v[139:140], v[165:166]
	s_clause 0x2
	buffer_load_dword v186, off, s[0:3], 0 offset:732
	buffer_load_dword v166, off, s[0:3], 0 offset:708
	;; [unrolled: 1-line block ×3, first 2 shown]
	ds_read_b128 v[5:8], v196 offset:1504
	s_waitcnt vmcnt(58) lgkmcnt(1)
	v_mul_f64 v[181:182], v[137:138], v[191:192]
	s_waitcnt vmcnt(56)
	v_fma_f64 v[189:190], v[1:2], v[193:194], -v[188:189]
	v_mul_f64 v[175:176], v[135:136], v[191:192]
	v_add_f64 v[147:148], v[147:148], v[173:174]
	v_fma_f64 v[173:174], v[3:4], v[193:194], v[218:219]
	v_add_f64 v[139:140], v[139:140], v[169:170]
	s_clause 0x4
	buffer_load_dword v170, off, s[0:3], 0 offset:748
	buffer_load_dword v191, off, s[0:3], 0 offset:760
	;; [unrolled: 1-line block ×5, first 2 shown]
	s_waitcnt vmcnt(57) lgkmcnt(0)
	v_mul_f64 v[218:219], v[5:6], v[203:204]
	v_mul_f64 v[203:204], v[7:8], v[203:204]
	s_waitcnt vmcnt(56)
	v_fma_f64 v[181:182], v[135:136], v[183:184], -v[181:182]
	ds_read_b128 v[1:4], v196 offset:1520
	v_fma_f64 v[175:176], v[137:138], v[183:184], v[175:176]
	v_add_f64 v[147:148], v[147:148], v[189:190]
	v_add_f64 v[139:140], v[139:140], v[173:174]
	s_clause 0x2
	buffer_load_dword v192, off, s[0:3], 0 offset:764
	buffer_load_dword v174, off, s[0:3], 0 offset:740
	;; [unrolled: 1-line block ×3, first 2 shown]
	ds_read_b128 v[135:138], v196 offset:1536
	s_waitcnt vmcnt(58) lgkmcnt(1)
	v_mul_f64 v[189:190], v[3:4], v[205:206]
	v_mul_f64 v[183:184], v[1:2], v[205:206]
	s_waitcnt vmcnt(56)
	v_fma_f64 v[203:204], v[5:6], v[143:144], -v[203:204]
	v_fma_f64 v[143:144], v[7:8], v[143:144], v[218:219]
	v_add_f64 v[147:148], v[147:148], v[181:182]
	v_add_f64 v[139:140], v[139:140], v[175:176]
	s_clause 0x4
	buffer_load_dword v176, off, s[0:3], 0 offset:780
	buffer_load_dword v181, off, s[0:3], 0 offset:792
	;; [unrolled: 1-line block ×5, first 2 shown]
	ds_read_b128 v[5:8], v196 offset:1552
	s_waitcnt vmcnt(57) lgkmcnt(1)
	v_mul_f64 v[218:219], v[135:136], v[141:142]
	v_mul_f64 v[141:142], v[137:138], v[141:142]
	s_waitcnt vmcnt(56)
	v_fma_f64 v[189:190], v[1:2], v[207:208], -v[189:190]
	v_fma_f64 v[183:184], v[3:4], v[207:208], v[183:184]
	v_add_f64 v[147:148], v[147:148], v[203:204]
	v_add_f64 v[139:140], v[139:140], v[143:144]
	s_clause 0x2
	buffer_load_dword v182, off, s[0:3], 0 offset:796
	buffer_load_dword v144, off, s[0:3], 0 offset:772
	buffer_load_dword v143, off, s[0:3], 0 offset:768
	s_waitcnt vmcnt(58) lgkmcnt(0)
	v_mul_f64 v[207:208], v[7:8], v[209:210]
	ds_read_b128 v[1:4], v196 offset:1568
	v_mul_f64 v[203:204], v[5:6], v[209:210]
	s_waitcnt vmcnt(56)
	v_fma_f64 v[141:142], v[135:136], v[199:200], -v[141:142]
	v_add_f64 v[147:148], v[147:148], v[189:190]
	v_fma_f64 v[189:190], v[137:138], v[199:200], v[218:219]
	v_add_f64 v[139:140], v[139:140], v[183:184]
	s_clause 0x4
	buffer_load_dword v184, off, s[0:3], 0 offset:812
	buffer_load_dword v199, off, s[0:3], 0 offset:824
	;; [unrolled: 1-line block ×5, first 2 shown]
	ds_read_b128 v[135:138], v196 offset:1584
	s_waitcnt vmcnt(57) lgkmcnt(1)
	v_mul_f64 v[218:219], v[1:2], v[159:160]
	v_mul_f64 v[159:160], v[3:4], v[159:160]
	s_waitcnt vmcnt(56)
	v_fma_f64 v[207:208], v[5:6], v[214:215], -v[207:208]
	v_add_f64 v[141:142], v[147:148], v[141:142]
	v_fma_f64 v[147:148], v[7:8], v[214:215], v[203:204]
	v_add_f64 v[139:140], v[139:140], v[189:190]
	s_clause 0x2
	buffer_load_dword v200, off, s[0:3], 0 offset:828
	buffer_load_dword v190, off, s[0:3], 0 offset:804
	;; [unrolled: 1-line block ×3, first 2 shown]
	ds_read_b128 v[5:8], v196 offset:1600
	s_waitcnt vmcnt(58) lgkmcnt(1)
	v_mul_f64 v[203:204], v[135:136], v[201:202]
	v_mul_f64 v[201:202], v[137:138], v[201:202]
	s_waitcnt vmcnt(56)
	v_fma_f64 v[159:160], v[1:2], v[153:154], -v[159:160]
	v_fma_f64 v[153:154], v[3:4], v[153:154], v[218:219]
	v_add_f64 v[141:142], v[141:142], v[207:208]
	v_add_f64 v[139:140], v[139:140], v[147:148]
	s_clause 0x4
	buffer_load_dword v148, off, s[0:3], 0 offset:844
	buffer_load_dword v207, off, s[0:3], 0 offset:856
	buffer_load_dword v213, off, s[0:3], 0 offset:848
	buffer_load_dword v147, off, s[0:3], 0 offset:840
	buffer_load_dword v210, off, s[0:3], 0 offset:820
	ds_read_b128 v[1:4], v196 offset:1616
	s_waitcnt vmcnt(57) lgkmcnt(1)
	v_mul_f64 v[214:215], v[5:6], v[145:146]
	v_mul_f64 v[145:146], v[7:8], v[145:146]
	s_waitcnt vmcnt(56)
	v_fma_f64 v[201:202], v[135:136], v[216:217], -v[201:202]
	v_add_f64 v[141:142], v[141:142], v[159:160]
	v_fma_f64 v[159:160], v[137:138], v[216:217], v[203:204]
	v_add_f64 v[139:140], v[139:140], v[153:154]
	s_clause 0x2
	buffer_load_dword v208, off, s[0:3], 0 offset:860
	buffer_load_dword v154, off, s[0:3], 0 offset:836
	;; [unrolled: 1-line block ×3, first 2 shown]
	ds_read_b128 v[135:138], v196 offset:1632
	s_waitcnt vmcnt(58) lgkmcnt(1)
	v_mul_f64 v[203:204], v[1:2], v[163:164]
	v_mul_f64 v[163:164], v[3:4], v[163:164]
	s_waitcnt vmcnt(56)
	v_fma_f64 v[145:146], v[5:6], v[151:152], -v[145:146]
	v_fma_f64 v[151:152], v[7:8], v[151:152], v[214:215]
	v_add_f64 v[141:142], v[141:142], v[201:202]
	v_add_f64 v[139:140], v[139:140], v[159:160]
	s_clause 0x4
	buffer_load_dword v160, off, s[0:3], 0 offset:876
	buffer_load_dword v201, off, s[0:3], 0 offset:888
	;; [unrolled: 1-line block ×5, first 2 shown]
	ds_read_b128 v[5:8], v196 offset:1648
	s_waitcnt vmcnt(57) lgkmcnt(1)
	v_mul_f64 v[216:217], v[135:136], v[149:150]
	v_mul_f64 v[149:150], v[137:138], v[149:150]
	s_waitcnt vmcnt(56)
	v_fma_f64 v[163:164], v[1:2], v[211:212], -v[163:164]
	v_add_f64 v[141:142], v[141:142], v[145:146]
	v_fma_f64 v[145:146], v[3:4], v[211:212], v[203:204]
	v_add_f64 v[139:140], v[139:140], v[151:152]
	s_clause 0x2
	buffer_load_dword v202, off, s[0:3], 0 offset:892
	buffer_load_dword v152, off, s[0:3], 0 offset:868
	;; [unrolled: 1-line block ×3, first 2 shown]
	s_waitcnt vmcnt(58) lgkmcnt(0)
	v_mul_f64 v[203:204], v[5:6], v[171:172]
	v_mul_f64 v[171:172], v[7:8], v[171:172]
	ds_read_b128 v[1:4], v196 offset:1664
	s_waitcnt vmcnt(56)
	v_fma_f64 v[149:150], v[135:136], v[157:158], -v[149:150]
	v_fma_f64 v[157:158], v[137:138], v[157:158], v[216:217]
	v_add_f64 v[141:142], v[141:142], v[163:164]
	v_add_f64 v[139:140], v[139:140], v[145:146]
	s_clause 0x4
	buffer_load_dword v146, off, s[0:3], 0 offset:908
	buffer_load_dword v163, off, s[0:3], 0 offset:920
	;; [unrolled: 1-line block ×5, first 2 shown]
	ds_read_b128 v[135:138], v196 offset:1680
	s_waitcnt vmcnt(57) lgkmcnt(1)
	v_mul_f64 v[217:218], v[1:2], v[155:156]
	v_mul_f64 v[155:156], v[3:4], v[155:156]
	s_waitcnt vmcnt(56)
	v_fma_f64 v[171:172], v[5:6], v[197:198], -v[171:172]
	v_add_f64 v[141:142], v[141:142], v[149:150]
	v_fma_f64 v[149:150], v[7:8], v[197:198], v[203:204]
	v_add_f64 v[139:140], v[139:140], v[157:158]
	s_clause 0x2
	buffer_load_dword v164, off, s[0:3], 0 offset:924
	buffer_load_dword v158, off, s[0:3], 0 offset:900
	;; [unrolled: 1-line block ×3, first 2 shown]
	s_waitcnt vmcnt(58) lgkmcnt(0)
	v_mul_f64 v[197:198], v[135:136], v[177:178]
	v_mul_f64 v[177:178], v[137:138], v[177:178]
	ds_read_b128 v[5:8], v196 offset:1696
	s_waitcnt vmcnt(56)
	v_fma_f64 v[155:156], v[1:2], v[167:168], -v[155:156]
	v_fma_f64 v[167:168], v[3:4], v[167:168], v[217:218]
	v_add_f64 v[141:142], v[141:142], v[171:172]
	v_add_f64 v[139:140], v[139:140], v[149:150]
	s_clause 0x4
	buffer_load_dword v150, off, s[0:3], 0 offset:940
	buffer_load_dword v171, off, s[0:3], 0 offset:952
	;; [unrolled: 1-line block ×5, first 2 shown]
	ds_read_b128 v[1:4], v196 offset:1712
	s_waitcnt vmcnt(57) lgkmcnt(1)
	v_mul_f64 v[217:218], v[5:6], v[161:162]
	v_mul_f64 v[161:162], v[7:8], v[161:162]
	s_waitcnt vmcnt(56)
	v_fma_f64 v[177:178], v[135:136], v[179:180], -v[177:178]
	v_add_f64 v[141:142], v[141:142], v[155:156]
	v_fma_f64 v[155:156], v[137:138], v[179:180], v[197:198]
	v_add_f64 v[139:140], v[139:140], v[167:168]
	s_clause 0x2
	buffer_load_dword v172, off, s[0:3], 0 offset:956
	buffer_load_dword v168, off, s[0:3], 0 offset:932
	buffer_load_dword v167, off, s[0:3], 0 offset:928
	ds_read_b128 v[135:138], v196 offset:1728
	s_waitcnt vmcnt(58) lgkmcnt(1)
	v_mul_f64 v[179:180], v[1:2], v[185:186]
	v_mul_f64 v[185:186], v[3:4], v[185:186]
	s_waitcnt vmcnt(56)
	v_fma_f64 v[161:162], v[5:6], v[165:166], -v[161:162]
	v_fma_f64 v[165:166], v[7:8], v[165:166], v[217:218]
	v_add_f64 v[141:142], v[141:142], v[177:178]
	v_add_f64 v[139:140], v[139:140], v[155:156]
	s_clause 0x4
	buffer_load_dword v156, off, s[0:3], 0 offset:972
	buffer_load_dword v177, off, s[0:3], 0 offset:984
	;; [unrolled: 1-line block ×5, first 2 shown]
	ds_read_b128 v[5:8], v196 offset:1744
	s_waitcnt vmcnt(57) lgkmcnt(1)
	v_mul_f64 v[217:218], v[135:136], v[169:170]
	v_mul_f64 v[169:170], v[137:138], v[169:170]
	s_waitcnt vmcnt(56)
	v_fma_f64 v[185:186], v[1:2], v[187:188], -v[185:186]
	v_add_f64 v[141:142], v[141:142], v[161:162]
	v_fma_f64 v[161:162], v[3:4], v[187:188], v[179:180]
	v_add_f64 v[139:140], v[139:140], v[165:166]
	s_clause 0x2
	buffer_load_dword v178, off, s[0:3], 0 offset:988
	buffer_load_dword v166, off, s[0:3], 0 offset:964
	;; [unrolled: 1-line block ×3, first 2 shown]
	ds_read_b128 v[1:4], v196 offset:1760
	s_waitcnt vmcnt(58) lgkmcnt(1)
	v_mul_f64 v[187:188], v[7:8], v[191:192]
	v_mul_f64 v[179:180], v[5:6], v[191:192]
	s_waitcnt vmcnt(56)
	v_fma_f64 v[169:170], v[135:136], v[173:174], -v[169:170]
	v_fma_f64 v[173:174], v[137:138], v[173:174], v[217:218]
	v_add_f64 v[141:142], v[141:142], v[185:186]
	v_add_f64 v[139:140], v[139:140], v[161:162]
	s_clause 0x4
	buffer_load_dword v162, off, s[0:3], 0 offset:1004
	buffer_load_dword v185, off, s[0:3], 0 offset:1016
	;; [unrolled: 1-line block ×5, first 2 shown]
	ds_read_b128 v[135:138], v196 offset:1776
	s_waitcnt vmcnt(57) lgkmcnt(1)
	v_mul_f64 v[217:218], v[1:2], v[175:176]
	v_mul_f64 v[175:176], v[3:4], v[175:176]
	s_waitcnt vmcnt(56)
	v_fma_f64 v[187:188], v[5:6], v[193:194], -v[187:188]
	v_add_f64 v[141:142], v[141:142], v[169:170]
	v_fma_f64 v[169:170], v[7:8], v[193:194], v[179:180]
	v_add_f64 v[139:140], v[139:140], v[173:174]
	s_clause 0x2
	buffer_load_dword v186, off, s[0:3], 0 offset:1020
	buffer_load_dword v174, off, s[0:3], 0 offset:996
	;; [unrolled: 1-line block ×3, first 2 shown]
	ds_read_b128 v[5:8], v196 offset:1792
	buffer_load_dword v192, off, s[0:3], 0 offset:1012
	s_waitcnt vmcnt(59) lgkmcnt(1)
	v_mul_f64 v[179:180], v[135:136], v[181:182]
	v_mul_f64 v[181:182], v[137:138], v[181:182]
	s_waitcnt vmcnt(57)
	v_fma_f64 v[175:176], v[1:2], v[143:144], -v[175:176]
	v_fma_f64 v[143:144], v[3:4], v[143:144], v[217:218]
	ds_read_b128 v[1:4], v196 offset:1808
	v_add_f64 v[141:142], v[141:142], v[187:188]
	v_add_f64 v[139:140], v[139:140], v[169:170]
	s_waitcnt vmcnt(53) lgkmcnt(1)
	v_mul_f64 v[169:170], v[5:6], v[183:184]
	v_mul_f64 v[183:184], v[7:8], v[183:184]
	s_waitcnt vmcnt(52)
	v_fma_f64 v[181:182], v[135:136], v[205:206], -v[181:182]
	v_add_f64 v[141:142], v[141:142], v[175:176]
	v_fma_f64 v[175:176], v[137:138], v[205:206], v[179:180]
	v_add_f64 v[139:140], v[139:140], v[143:144]
	ds_read_b128 v[135:138], v196 offset:1824
	s_waitcnt vmcnt(51) lgkmcnt(1)
	v_mul_f64 v[179:180], v[3:4], v[199:200]
	v_mul_f64 v[143:144], v[1:2], v[199:200]
	s_waitcnt vmcnt(49)
	v_fma_f64 v[183:184], v[5:6], v[189:190], -v[183:184]
	v_fma_f64 v[169:170], v[7:8], v[189:190], v[169:170]
	v_add_f64 v[141:142], v[141:142], v[181:182]
	v_add_f64 v[139:140], v[139:140], v[175:176]
	s_clause 0x3
	buffer_load_dword v175, off, s[0:3], 0 offset:256
	buffer_load_dword v176, off, s[0:3], 0 offset:260
	;; [unrolled: 1-line block ×4, first 2 shown]
	ds_read_b128 v[5:8], v196 offset:1840
	s_waitcnt vmcnt(49) lgkmcnt(1)
	v_mul_f64 v[187:188], v[135:136], v[147:148]
	v_mul_f64 v[147:148], v[137:138], v[147:148]
	s_waitcnt vmcnt(48)
	v_fma_f64 v[179:180], v[1:2], v[209:210], -v[179:180]
	v_fma_f64 v[143:144], v[3:4], v[209:210], v[143:144]
	ds_read_b128 v[1:4], v196 offset:1856
	v_add_f64 v[141:142], v[141:142], v[183:184]
	v_add_f64 v[139:140], v[139:140], v[169:170]
	s_waitcnt vmcnt(47) lgkmcnt(1)
	v_mul_f64 v[183:184], v[7:8], v[207:208]
	v_mul_f64 v[169:170], v[5:6], v[207:208]
	s_waitcnt vmcnt(45)
	v_fma_f64 v[147:148], v[135:136], v[153:154], -v[147:148]
	v_fma_f64 v[153:154], v[137:138], v[153:154], v[187:188]
	ds_read_b128 v[135:138], v196 offset:1872
	v_add_f64 v[141:142], v[141:142], v[179:180]
	v_add_f64 v[139:140], v[139:140], v[143:144]
	s_waitcnt vmcnt(41) lgkmcnt(1)
	v_mul_f64 v[143:144], v[1:2], v[159:160]
	v_mul_f64 v[159:160], v[3:4], v[159:160]
	s_waitcnt vmcnt(40)
	v_fma_f64 v[179:180], v[5:6], v[213:214], -v[183:184]
	v_add_f64 v[141:142], v[141:142], v[147:148]
	v_fma_f64 v[147:148], v[7:8], v[213:214], v[169:170]
	v_add_f64 v[139:140], v[139:140], v[153:154]
	ds_read_b128 v[5:8], v196 offset:1888
	s_waitcnt vmcnt(39) lgkmcnt(1)
	v_mul_f64 v[169:170], v[137:138], v[201:202]
	v_mul_f64 v[153:154], v[135:136], v[201:202]
	s_waitcnt vmcnt(37)
	v_fma_f64 v[159:160], v[1:2], v[151:152], -v[159:160]
	v_fma_f64 v[143:144], v[3:4], v[151:152], v[143:144]
	ds_read_b128 v[1:4], v196 offset:1904
	v_add_f64 v[141:142], v[141:142], v[179:180]
	v_add_f64 v[139:140], v[139:140], v[147:148]
	s_waitcnt vmcnt(33) lgkmcnt(1)
	v_mul_f64 v[147:148], v[5:6], v[145:146]
	v_mul_f64 v[145:146], v[7:8], v[145:146]
	s_waitcnt vmcnt(32)
	v_fma_f64 v[151:152], v[135:136], v[215:216], -v[169:170]
	v_fma_f64 v[153:154], v[137:138], v[215:216], v[153:154]
	ds_read_b128 v[135:138], v196 offset:1920
	v_add_f64 v[141:142], v[141:142], v[159:160]
	v_add_f64 v[139:140], v[139:140], v[143:144]
	;; [unrolled: 9-line block ×5, first 2 shown]
	s_waitcnt vmcnt(17) lgkmcnt(1)
	v_mul_f64 v[153:154], v[3:4], v[155:156]
	s_waitcnt vmcnt(16)
	v_fma_f64 v[147:148], v[5:6], v[203:204], -v[147:148]
	v_mul_f64 v[143:144], v[1:2], v[155:156]
	v_fma_f64 v[145:146], v[7:8], v[203:204], v[145:146]
	ds_read_b128 v[5:8], v196 offset:1984
	v_add_f64 v[141:142], v[141:142], v[149:150]
	v_add_f64 v[139:140], v[139:140], v[151:152]
	s_waitcnt vmcnt(15) lgkmcnt(1)
	v_mul_f64 v[151:152], v[137:138], v[177:178]
	v_mul_f64 v[149:150], v[135:136], v[177:178]
	s_waitcnt vmcnt(13)
	v_fma_f64 v[153:154], v[1:2], v[165:166], -v[153:154]
	v_fma_f64 v[143:144], v[3:4], v[165:166], v[143:144]
	ds_read_b128 v[1:4], v196 offset:2000
	v_add_f64 v[141:142], v[141:142], v[147:148]
	v_add_f64 v[139:140], v[139:140], v[145:146]
	s_waitcnt vmcnt(9) lgkmcnt(1)
	v_mul_f64 v[147:148], v[7:8], v[161:162]
	s_waitcnt vmcnt(8)
	v_fma_f64 v[135:136], v[135:136], v[197:198], -v[151:152]
	v_mul_f64 v[145:146], v[5:6], v[161:162]
	v_fma_f64 v[137:138], v[137:138], v[197:198], v[149:150]
	v_add_f64 v[141:142], v[141:142], v[153:154]
	v_add_f64 v[139:140], v[139:140], v[143:144]
	s_waitcnt vmcnt(7) lgkmcnt(0)
	v_mul_f64 v[149:150], v[3:4], v[185:186]
	v_mul_f64 v[143:144], v[1:2], v[185:186]
	s_waitcnt vmcnt(5)
	v_fma_f64 v[5:6], v[5:6], v[173:174], -v[147:148]
	v_fma_f64 v[7:8], v[7:8], v[173:174], v[145:146]
	v_add_f64 v[135:136], v[141:142], v[135:136]
	v_add_f64 v[137:138], v[139:140], v[137:138]
	s_waitcnt vmcnt(4)
	v_fma_f64 v[1:2], v[1:2], v[191:192], -v[149:150]
	v_fma_f64 v[3:4], v[3:4], v[191:192], v[143:144]
	v_add_f64 v[5:6], v[135:136], v[5:6]
	v_add_f64 v[7:8], v[137:138], v[7:8]
	;; [unrolled: 1-line block ×4, first 2 shown]
	s_waitcnt vmcnt(2)
	v_add_f64 v[1:2], v[175:176], -v[1:2]
	s_waitcnt vmcnt(0)
	v_add_f64 v[3:4], v[181:182], -v[3:4]
	buffer_store_dword v2, off, s[0:3], 0 offset:260
	buffer_store_dword v1, off, s[0:3], 0 offset:256
	;; [unrolled: 1-line block ×4, first 2 shown]
	v_cmpx_lt_u32_e32 14, v0
	s_cbranch_execz .LBB126_375
; %bb.374:
	v_mov_b32_e32 v4, s63
	s_clause 0x3
	buffer_load_dword v1, v4, s[0:3], 0 offen
	buffer_load_dword v2, v4, s[0:3], 0 offen offset:4
	buffer_load_dword v3, v4, s[0:3], 0 offen offset:8
	;; [unrolled: 1-line block ×3, first 2 shown]
	buffer_store_dword v196, off, s[0:3], 0 offset:240
	buffer_store_dword v196, off, s[0:3], 0 offset:244
	;; [unrolled: 1-line block ×4, first 2 shown]
	s_waitcnt vmcnt(0)
	ds_write_b128 v195, v[1:4]
.LBB126_375:
	s_or_b32 exec_lo, exec_lo, s4
	s_waitcnt lgkmcnt(0)
	s_waitcnt_vscnt null, 0x0
	s_barrier
	buffer_gl0_inv
	s_clause 0x37
	buffer_load_dword v143, off, s[0:3], 0 offset:264
	buffer_load_dword v144, off, s[0:3], 0 offset:268
	;; [unrolled: 1-line block ×56, first 2 shown]
	ds_read_b128 v[5:8], v196 offset:1248
	s_clause 0x2
	buffer_load_dword v192, off, s[0:3], 0 offset:492
	buffer_load_dword v194, off, s[0:3], 0 offset:468
	;; [unrolled: 1-line block ×3, first 2 shown]
	ds_read_b128 v[1:4], v196 offset:1264
	s_clause 0x4
	buffer_load_dword v204, off, s[0:3], 0 offset:508
	buffer_load_dword v205, off, s[0:3], 0 offset:520
	;; [unrolled: 1-line block ×5, first 2 shown]
	ds_read_b128 v[197:200], v196 offset:1280
	s_mov_b32 s4, exec_lo
	s_waitcnt vmcnt(62) lgkmcnt(2)
	v_mul_f64 v[201:202], v[7:8], v[143:144]
	v_mul_f64 v[143:144], v[5:6], v[143:144]
	s_waitcnt vmcnt(60) lgkmcnt(1)
	v_mul_f64 v[208:209], v[3:4], v[139:140]
	v_mul_f64 v[139:140], v[1:2], v[139:140]
	s_waitcnt vmcnt(56) lgkmcnt(0)
	v_mul_f64 v[210:211], v[197:198], v[137:138]
	v_mul_f64 v[137:138], v[199:200], v[137:138]
	v_fma_f64 v[201:202], v[5:6], v[141:142], -v[201:202]
	v_fma_f64 v[141:142], v[7:8], v[141:142], v[143:144]
	s_clause 0x2
	buffer_load_dword v206, off, s[0:3], 0 offset:524
	buffer_load_dword v144, off, s[0:3], 0 offset:500
	;; [unrolled: 1-line block ×3, first 2 shown]
	s_waitcnt vmcnt(57)
	v_fma_f64 v[212:213], v[1:2], v[135:136], -v[208:209]
	ds_read_b128 v[5:8], v196 offset:1296
	v_fma_f64 v[135:136], v[3:4], v[135:136], v[139:140]
	s_waitcnt vmcnt(51)
	v_fma_f64 v[197:198], v[197:198], v[159:160], -v[137:138]
	v_fma_f64 v[159:160], v[199:200], v[159:160], v[210:211]
	v_add_f64 v[201:202], v[201:202], 0
	v_add_f64 v[139:140], v[141:142], 0
	s_clause 0x4
	buffer_load_dword v142, off, s[0:3], 0 offset:540
	buffer_load_dword v209, off, s[0:3], 0 offset:552
	;; [unrolled: 1-line block ×5, first 2 shown]
	s_waitcnt lgkmcnt(0)
	v_mul_f64 v[215:216], v[5:6], v[147:148]
	v_mul_f64 v[147:148], v[7:8], v[147:148]
	ds_read_b128 v[1:4], v196 offset:1312
	s_clause 0x2
	buffer_load_dword v210, off, s[0:3], 0 offset:556
	buffer_load_dword v200, off, s[0:3], 0 offset:532
	buffer_load_dword v199, off, s[0:3], 0 offset:528
	v_add_f64 v[201:202], v[201:202], v[212:213]
	v_add_f64 v[139:140], v[139:140], v[135:136]
	ds_read_b128 v[135:138], v196 offset:1328
	s_waitcnt vmcnt(58) lgkmcnt(1)
	v_mul_f64 v[211:212], v[1:2], v[151:152]
	v_mul_f64 v[151:152], v[3:4], v[151:152]
	s_waitcnt vmcnt(56)
	v_fma_f64 v[147:148], v[5:6], v[153:154], -v[147:148]
	v_fma_f64 v[153:154], v[7:8], v[153:154], v[215:216]
	s_waitcnt vmcnt(52) lgkmcnt(0)
	v_mul_f64 v[217:218], v[135:136], v[155:156]
	v_add_f64 v[197:198], v[201:202], v[197:198]
	v_add_f64 v[139:140], v[139:140], v[159:160]
	s_clause 0x4
	buffer_load_dword v160, off, s[0:3], 0 offset:572
	buffer_load_dword v201, off, s[0:3], 0 offset:584
	;; [unrolled: 1-line block ×5, first 2 shown]
	v_mul_f64 v[155:156], v[137:138], v[155:156]
	s_waitcnt vmcnt(56)
	v_fma_f64 v[151:152], v[1:2], v[145:146], -v[151:152]
	ds_read_b128 v[5:8], v196 offset:1344
	v_fma_f64 v[145:146], v[3:4], v[145:146], v[211:212]
	v_add_f64 v[147:148], v[197:198], v[147:148]
	v_add_f64 v[139:140], v[139:140], v[153:154]
	s_clause 0x2
	buffer_load_dword v202, off, s[0:3], 0 offset:588
	buffer_load_dword v154, off, s[0:3], 0 offset:564
	buffer_load_dword v153, off, s[0:3], 0 offset:560
	s_waitcnt vmcnt(58) lgkmcnt(0)
	v_mul_f64 v[197:198], v[5:6], v[161:162]
	v_mul_f64 v[161:162], v[7:8], v[161:162]
	s_waitcnt vmcnt(56)
	v_fma_f64 v[155:156], v[135:136], v[163:164], -v[155:156]
	ds_read_b128 v[1:4], v196 offset:1360
	v_add_f64 v[147:148], v[147:148], v[151:152]
	v_fma_f64 v[151:152], v[137:138], v[163:164], v[217:218]
	v_add_f64 v[139:140], v[139:140], v[145:146]
	s_clause 0x4
	buffer_load_dword v146, off, s[0:3], 0 offset:604
	buffer_load_dword v163, off, s[0:3], 0 offset:616
	;; [unrolled: 1-line block ×5, first 2 shown]
	s_waitcnt vmcnt(57) lgkmcnt(0)
	v_mul_f64 v[212:213], v[1:2], v[165:166]
	v_mul_f64 v[165:166], v[3:4], v[165:166]
	s_waitcnt vmcnt(56)
	v_fma_f64 v[161:162], v[5:6], v[149:150], -v[161:162]
	ds_read_b128 v[135:138], v196 offset:1376
	v_fma_f64 v[149:150], v[7:8], v[149:150], v[197:198]
	v_add_f64 v[147:148], v[147:148], v[155:156]
	v_add_f64 v[139:140], v[139:140], v[151:152]
	s_clause 0x2
	buffer_load_dword v164, off, s[0:3], 0 offset:620
	buffer_load_dword v152, off, s[0:3], 0 offset:596
	buffer_load_dword v151, off, s[0:3], 0 offset:592
	ds_read_b128 v[5:8], v196 offset:1392
	s_waitcnt vmcnt(58) lgkmcnt(1)
	v_mul_f64 v[155:156], v[135:136], v[169:170]
	v_mul_f64 v[169:170], v[137:138], v[169:170]
	s_waitcnt vmcnt(56)
	v_fma_f64 v[165:166], v[1:2], v[171:172], -v[165:166]
	v_add_f64 v[147:148], v[147:148], v[161:162]
	v_fma_f64 v[161:162], v[3:4], v[171:172], v[212:213]
	v_add_f64 v[139:140], v[139:140], v[149:150]
	s_clause 0x4
	buffer_load_dword v150, off, s[0:3], 0 offset:636
	buffer_load_dword v171, off, s[0:3], 0 offset:648
	;; [unrolled: 1-line block ×5, first 2 shown]
	s_waitcnt vmcnt(57) lgkmcnt(0)
	v_mul_f64 v[218:219], v[5:6], v[173:174]
	v_mul_f64 v[173:174], v[7:8], v[173:174]
	s_waitcnt vmcnt(56)
	v_fma_f64 v[169:170], v[135:136], v[157:158], -v[169:170]
	ds_read_b128 v[1:4], v196 offset:1408
	v_fma_f64 v[155:156], v[137:138], v[157:158], v[155:156]
	s_clause 0x2
	buffer_load_dword v172, off, s[0:3], 0 offset:652
	buffer_load_dword v158, off, s[0:3], 0 offset:628
	;; [unrolled: 1-line block ×3, first 2 shown]
	ds_read_b128 v[135:138], v196 offset:1424
	v_add_f64 v[147:148], v[147:148], v[165:166]
	v_add_f64 v[139:140], v[139:140], v[161:162]
	s_waitcnt vmcnt(58) lgkmcnt(1)
	v_mul_f64 v[165:166], v[3:4], v[177:178]
	s_waitcnt vmcnt(56)
	v_fma_f64 v[173:174], v[5:6], v[179:180], -v[173:174]
	v_mul_f64 v[161:162], v[1:2], v[177:178]
	v_add_f64 v[147:148], v[147:148], v[169:170]
	v_fma_f64 v[169:170], v[7:8], v[179:180], v[218:219]
	v_add_f64 v[139:140], v[139:140], v[155:156]
	s_clause 0x4
	buffer_load_dword v156, off, s[0:3], 0 offset:668
	buffer_load_dword v177, off, s[0:3], 0 offset:680
	;; [unrolled: 1-line block ×5, first 2 shown]
	s_waitcnt vmcnt(57) lgkmcnt(0)
	v_mul_f64 v[218:219], v[135:136], v[181:182]
	v_mul_f64 v[180:181], v[137:138], v[181:182]
	s_waitcnt vmcnt(56)
	v_fma_f64 v[165:166], v[1:2], v[167:168], -v[165:166]
	ds_read_b128 v[5:8], v196 offset:1440
	v_fma_f64 v[161:162], v[3:4], v[167:168], v[161:162]
	s_clause 0x2
	buffer_load_dword v178, off, s[0:3], 0 offset:684
	buffer_load_dword v168, off, s[0:3], 0 offset:660
	;; [unrolled: 1-line block ×3, first 2 shown]
	ds_read_b128 v[1:4], v196 offset:1456
	v_add_f64 v[147:148], v[147:148], v[173:174]
	v_add_f64 v[139:140], v[139:140], v[169:170]
	s_waitcnt vmcnt(58) lgkmcnt(1)
	v_mul_f64 v[173:174], v[7:8], v[185:186]
	s_waitcnt vmcnt(56)
	v_fma_f64 v[181:182], v[135:136], v[187:188], -v[180:181]
	v_mul_f64 v[169:170], v[5:6], v[185:186]
	v_add_f64 v[147:148], v[147:148], v[165:166]
	v_fma_f64 v[165:166], v[137:138], v[187:188], v[218:219]
	v_add_f64 v[139:140], v[139:140], v[161:162]
	s_clause 0x4
	buffer_load_dword v162, off, s[0:3], 0 offset:700
	buffer_load_dword v185, off, s[0:3], 0 offset:712
	;; [unrolled: 1-line block ×5, first 2 shown]
	s_waitcnt vmcnt(57) lgkmcnt(0)
	v_mul_f64 v[218:219], v[1:2], v[189:190]
	v_mul_f64 v[188:189], v[3:4], v[189:190]
	s_waitcnt vmcnt(56)
	v_fma_f64 v[173:174], v[5:6], v[175:176], -v[173:174]
	ds_read_b128 v[135:138], v196 offset:1472
	v_fma_f64 v[169:170], v[7:8], v[175:176], v[169:170]
	v_add_f64 v[147:148], v[147:148], v[181:182]
	v_add_f64 v[139:140], v[139:140], v[165:166]
	s_clause 0x2
	buffer_load_dword v186, off, s[0:3], 0 offset:716
	buffer_load_dword v166, off, s[0:3], 0 offset:692
	;; [unrolled: 1-line block ×3, first 2 shown]
	ds_read_b128 v[5:8], v196 offset:1488
	s_waitcnt vmcnt(58) lgkmcnt(1)
	v_mul_f64 v[181:182], v[137:138], v[191:192]
	s_waitcnt vmcnt(56)
	v_fma_f64 v[189:190], v[1:2], v[193:194], -v[188:189]
	v_mul_f64 v[175:176], v[135:136], v[191:192]
	v_add_f64 v[147:148], v[147:148], v[173:174]
	v_fma_f64 v[173:174], v[3:4], v[193:194], v[218:219]
	v_add_f64 v[139:140], v[139:140], v[169:170]
	s_clause 0x4
	buffer_load_dword v170, off, s[0:3], 0 offset:732
	buffer_load_dword v191, off, s[0:3], 0 offset:744
	;; [unrolled: 1-line block ×5, first 2 shown]
	s_waitcnt vmcnt(57) lgkmcnt(0)
	v_mul_f64 v[218:219], v[5:6], v[203:204]
	v_mul_f64 v[203:204], v[7:8], v[203:204]
	s_waitcnt vmcnt(56)
	v_fma_f64 v[181:182], v[135:136], v[183:184], -v[181:182]
	ds_read_b128 v[1:4], v196 offset:1504
	v_fma_f64 v[175:176], v[137:138], v[183:184], v[175:176]
	v_add_f64 v[147:148], v[147:148], v[189:190]
	v_add_f64 v[139:140], v[139:140], v[173:174]
	s_clause 0x2
	buffer_load_dword v192, off, s[0:3], 0 offset:748
	buffer_load_dword v174, off, s[0:3], 0 offset:724
	;; [unrolled: 1-line block ×3, first 2 shown]
	ds_read_b128 v[135:138], v196 offset:1520
	s_waitcnt vmcnt(58) lgkmcnt(1)
	v_mul_f64 v[189:190], v[3:4], v[205:206]
	v_mul_f64 v[183:184], v[1:2], v[205:206]
	s_waitcnt vmcnt(56)
	v_fma_f64 v[203:204], v[5:6], v[143:144], -v[203:204]
	v_fma_f64 v[143:144], v[7:8], v[143:144], v[218:219]
	v_add_f64 v[147:148], v[147:148], v[181:182]
	v_add_f64 v[139:140], v[139:140], v[175:176]
	s_clause 0x4
	buffer_load_dword v176, off, s[0:3], 0 offset:764
	buffer_load_dword v181, off, s[0:3], 0 offset:776
	;; [unrolled: 1-line block ×5, first 2 shown]
	ds_read_b128 v[5:8], v196 offset:1536
	s_waitcnt vmcnt(57) lgkmcnt(1)
	v_mul_f64 v[218:219], v[135:136], v[141:142]
	v_mul_f64 v[141:142], v[137:138], v[141:142]
	s_waitcnt vmcnt(56)
	v_fma_f64 v[189:190], v[1:2], v[207:208], -v[189:190]
	v_fma_f64 v[183:184], v[3:4], v[207:208], v[183:184]
	v_add_f64 v[147:148], v[147:148], v[203:204]
	v_add_f64 v[139:140], v[139:140], v[143:144]
	s_clause 0x2
	buffer_load_dword v182, off, s[0:3], 0 offset:780
	buffer_load_dword v144, off, s[0:3], 0 offset:756
	;; [unrolled: 1-line block ×3, first 2 shown]
	s_waitcnt vmcnt(58) lgkmcnt(0)
	v_mul_f64 v[207:208], v[7:8], v[209:210]
	ds_read_b128 v[1:4], v196 offset:1552
	v_mul_f64 v[203:204], v[5:6], v[209:210]
	s_waitcnt vmcnt(56)
	v_fma_f64 v[141:142], v[135:136], v[199:200], -v[141:142]
	v_add_f64 v[147:148], v[147:148], v[189:190]
	v_fma_f64 v[189:190], v[137:138], v[199:200], v[218:219]
	v_add_f64 v[139:140], v[139:140], v[183:184]
	s_clause 0x4
	buffer_load_dword v184, off, s[0:3], 0 offset:796
	buffer_load_dword v199, off, s[0:3], 0 offset:808
	;; [unrolled: 1-line block ×5, first 2 shown]
	ds_read_b128 v[135:138], v196 offset:1568
	s_waitcnt vmcnt(57) lgkmcnt(1)
	v_mul_f64 v[218:219], v[1:2], v[159:160]
	v_mul_f64 v[159:160], v[3:4], v[159:160]
	s_waitcnt vmcnt(56)
	v_fma_f64 v[207:208], v[5:6], v[214:215], -v[207:208]
	v_add_f64 v[141:142], v[147:148], v[141:142]
	v_fma_f64 v[147:148], v[7:8], v[214:215], v[203:204]
	v_add_f64 v[139:140], v[139:140], v[189:190]
	s_clause 0x2
	buffer_load_dword v200, off, s[0:3], 0 offset:812
	buffer_load_dword v190, off, s[0:3], 0 offset:788
	;; [unrolled: 1-line block ×3, first 2 shown]
	ds_read_b128 v[5:8], v196 offset:1584
	s_waitcnt vmcnt(58) lgkmcnt(1)
	v_mul_f64 v[203:204], v[135:136], v[201:202]
	v_mul_f64 v[201:202], v[137:138], v[201:202]
	s_waitcnt vmcnt(56)
	v_fma_f64 v[159:160], v[1:2], v[153:154], -v[159:160]
	v_fma_f64 v[153:154], v[3:4], v[153:154], v[218:219]
	v_add_f64 v[141:142], v[141:142], v[207:208]
	v_add_f64 v[139:140], v[139:140], v[147:148]
	s_clause 0x4
	buffer_load_dword v148, off, s[0:3], 0 offset:828
	buffer_load_dword v207, off, s[0:3], 0 offset:840
	;; [unrolled: 1-line block ×5, first 2 shown]
	ds_read_b128 v[1:4], v196 offset:1600
	s_waitcnt vmcnt(57) lgkmcnt(1)
	v_mul_f64 v[214:215], v[5:6], v[145:146]
	v_mul_f64 v[145:146], v[7:8], v[145:146]
	s_waitcnt vmcnt(56)
	v_fma_f64 v[201:202], v[135:136], v[216:217], -v[201:202]
	v_add_f64 v[141:142], v[141:142], v[159:160]
	v_fma_f64 v[159:160], v[137:138], v[216:217], v[203:204]
	v_add_f64 v[139:140], v[139:140], v[153:154]
	s_clause 0x2
	buffer_load_dword v208, off, s[0:3], 0 offset:844
	buffer_load_dword v154, off, s[0:3], 0 offset:820
	;; [unrolled: 1-line block ×3, first 2 shown]
	ds_read_b128 v[135:138], v196 offset:1616
	s_waitcnt vmcnt(58) lgkmcnt(1)
	v_mul_f64 v[203:204], v[1:2], v[163:164]
	v_mul_f64 v[163:164], v[3:4], v[163:164]
	s_waitcnt vmcnt(56)
	v_fma_f64 v[145:146], v[5:6], v[151:152], -v[145:146]
	v_fma_f64 v[151:152], v[7:8], v[151:152], v[214:215]
	v_add_f64 v[141:142], v[141:142], v[201:202]
	v_add_f64 v[139:140], v[139:140], v[159:160]
	s_clause 0x4
	buffer_load_dword v160, off, s[0:3], 0 offset:860
	buffer_load_dword v201, off, s[0:3], 0 offset:872
	;; [unrolled: 1-line block ×5, first 2 shown]
	ds_read_b128 v[5:8], v196 offset:1632
	s_waitcnt vmcnt(57) lgkmcnt(1)
	v_mul_f64 v[216:217], v[135:136], v[149:150]
	v_mul_f64 v[149:150], v[137:138], v[149:150]
	s_waitcnt vmcnt(56)
	v_fma_f64 v[163:164], v[1:2], v[211:212], -v[163:164]
	v_add_f64 v[141:142], v[141:142], v[145:146]
	v_fma_f64 v[145:146], v[3:4], v[211:212], v[203:204]
	v_add_f64 v[139:140], v[139:140], v[151:152]
	s_clause 0x2
	buffer_load_dword v202, off, s[0:3], 0 offset:876
	buffer_load_dword v152, off, s[0:3], 0 offset:852
	buffer_load_dword v151, off, s[0:3], 0 offset:848
	s_waitcnt vmcnt(58) lgkmcnt(0)
	v_mul_f64 v[203:204], v[5:6], v[171:172]
	v_mul_f64 v[171:172], v[7:8], v[171:172]
	ds_read_b128 v[1:4], v196 offset:1648
	s_waitcnt vmcnt(56)
	v_fma_f64 v[149:150], v[135:136], v[157:158], -v[149:150]
	v_fma_f64 v[157:158], v[137:138], v[157:158], v[216:217]
	v_add_f64 v[141:142], v[141:142], v[163:164]
	v_add_f64 v[139:140], v[139:140], v[145:146]
	s_clause 0x4
	buffer_load_dword v146, off, s[0:3], 0 offset:892
	buffer_load_dword v163, off, s[0:3], 0 offset:904
	;; [unrolled: 1-line block ×5, first 2 shown]
	ds_read_b128 v[135:138], v196 offset:1664
	s_waitcnt vmcnt(57) lgkmcnt(1)
	v_mul_f64 v[217:218], v[1:2], v[155:156]
	v_mul_f64 v[155:156], v[3:4], v[155:156]
	s_waitcnt vmcnt(56)
	v_fma_f64 v[171:172], v[5:6], v[197:198], -v[171:172]
	v_add_f64 v[141:142], v[141:142], v[149:150]
	v_fma_f64 v[149:150], v[7:8], v[197:198], v[203:204]
	v_add_f64 v[139:140], v[139:140], v[157:158]
	s_clause 0x2
	buffer_load_dword v164, off, s[0:3], 0 offset:908
	buffer_load_dword v158, off, s[0:3], 0 offset:884
	buffer_load_dword v157, off, s[0:3], 0 offset:880
	s_waitcnt vmcnt(58) lgkmcnt(0)
	v_mul_f64 v[197:198], v[135:136], v[177:178]
	v_mul_f64 v[177:178], v[137:138], v[177:178]
	ds_read_b128 v[5:8], v196 offset:1680
	s_waitcnt vmcnt(56)
	v_fma_f64 v[155:156], v[1:2], v[167:168], -v[155:156]
	v_fma_f64 v[167:168], v[3:4], v[167:168], v[217:218]
	v_add_f64 v[141:142], v[141:142], v[171:172]
	v_add_f64 v[139:140], v[139:140], v[149:150]
	s_clause 0x4
	buffer_load_dword v150, off, s[0:3], 0 offset:924
	buffer_load_dword v171, off, s[0:3], 0 offset:936
	buffer_load_dword v203, off, s[0:3], 0 offset:928
	buffer_load_dword v149, off, s[0:3], 0 offset:920
	buffer_load_dword v212, off, s[0:3], 0 offset:900
	ds_read_b128 v[1:4], v196 offset:1696
	s_waitcnt vmcnt(57) lgkmcnt(1)
	v_mul_f64 v[217:218], v[5:6], v[161:162]
	v_mul_f64 v[161:162], v[7:8], v[161:162]
	s_waitcnt vmcnt(56)
	v_fma_f64 v[177:178], v[135:136], v[179:180], -v[177:178]
	v_add_f64 v[141:142], v[141:142], v[155:156]
	v_fma_f64 v[155:156], v[137:138], v[179:180], v[197:198]
	v_add_f64 v[139:140], v[139:140], v[167:168]
	s_clause 0x2
	buffer_load_dword v172, off, s[0:3], 0 offset:940
	buffer_load_dword v168, off, s[0:3], 0 offset:916
	buffer_load_dword v167, off, s[0:3], 0 offset:912
	ds_read_b128 v[135:138], v196 offset:1712
	s_waitcnt vmcnt(58) lgkmcnt(1)
	v_mul_f64 v[179:180], v[1:2], v[185:186]
	v_mul_f64 v[185:186], v[3:4], v[185:186]
	s_waitcnt vmcnt(56)
	v_fma_f64 v[161:162], v[5:6], v[165:166], -v[161:162]
	v_fma_f64 v[165:166], v[7:8], v[165:166], v[217:218]
	v_add_f64 v[141:142], v[141:142], v[177:178]
	v_add_f64 v[139:140], v[139:140], v[155:156]
	s_clause 0x4
	buffer_load_dword v156, off, s[0:3], 0 offset:956
	buffer_load_dword v177, off, s[0:3], 0 offset:968
	buffer_load_dword v197, off, s[0:3], 0 offset:960
	buffer_load_dword v155, off, s[0:3], 0 offset:952
	buffer_load_dword v204, off, s[0:3], 0 offset:932
	ds_read_b128 v[5:8], v196 offset:1728
	s_waitcnt vmcnt(57) lgkmcnt(1)
	v_mul_f64 v[217:218], v[135:136], v[169:170]
	v_mul_f64 v[169:170], v[137:138], v[169:170]
	s_waitcnt vmcnt(56)
	v_fma_f64 v[185:186], v[1:2], v[187:188], -v[185:186]
	v_add_f64 v[141:142], v[141:142], v[161:162]
	v_fma_f64 v[161:162], v[3:4], v[187:188], v[179:180]
	v_add_f64 v[139:140], v[139:140], v[165:166]
	s_clause 0x2
	buffer_load_dword v178, off, s[0:3], 0 offset:972
	buffer_load_dword v166, off, s[0:3], 0 offset:948
	buffer_load_dword v165, off, s[0:3], 0 offset:944
	ds_read_b128 v[1:4], v196 offset:1744
	s_waitcnt vmcnt(58) lgkmcnt(1)
	v_mul_f64 v[187:188], v[7:8], v[191:192]
	v_mul_f64 v[179:180], v[5:6], v[191:192]
	;; [unrolled: 28-line block ×3, first 2 shown]
	s_waitcnt vmcnt(56)
	v_fma_f64 v[175:176], v[1:2], v[143:144], -v[175:176]
	v_fma_f64 v[143:144], v[3:4], v[143:144], v[217:218]
	v_add_f64 v[141:142], v[141:142], v[187:188]
	v_add_f64 v[139:140], v[139:140], v[169:170]
	s_clause 0x2
	buffer_load_dword v170, off, s[0:3], 0 offset:1020
	buffer_load_dword v169, off, s[0:3], 0 offset:1016
	;; [unrolled: 1-line block ×3, first 2 shown]
	ds_read_b128 v[1:4], v196 offset:1792
	s_waitcnt vmcnt(55) lgkmcnt(1)
	v_mul_f64 v[187:188], v[5:6], v[183:184]
	v_mul_f64 v[183:184], v[7:8], v[183:184]
	s_waitcnt vmcnt(54)
	v_fma_f64 v[181:182], v[135:136], v[205:206], -v[181:182]
	v_add_f64 v[141:142], v[141:142], v[175:176]
	v_fma_f64 v[175:176], v[137:138], v[205:206], v[179:180]
	v_add_f64 v[139:140], v[139:140], v[143:144]
	s_clause 0x1
	buffer_load_dword v144, off, s[0:3], 0 offset:1012
	buffer_load_dword v143, off, s[0:3], 0 offset:1008
	ds_read_b128 v[135:138], v196 offset:1808
	s_waitcnt vmcnt(55) lgkmcnt(1)
	v_mul_f64 v[193:194], v[3:4], v[199:200]
	v_mul_f64 v[179:180], v[1:2], v[199:200]
	s_waitcnt vmcnt(53)
	v_fma_f64 v[183:184], v[5:6], v[189:190], -v[183:184]
	v_add_f64 v[141:142], v[141:142], v[181:182]
	v_fma_f64 v[181:182], v[7:8], v[189:190], v[187:188]
	v_add_f64 v[139:140], v[139:140], v[175:176]
	ds_read_b128 v[5:8], v196 offset:1824
	s_waitcnt vmcnt(49) lgkmcnt(1)
	v_mul_f64 v[175:176], v[135:136], v[147:148]
	v_mul_f64 v[147:148], v[137:138], v[147:148]
	s_waitcnt vmcnt(48)
	v_fma_f64 v[187:188], v[1:2], v[209:210], -v[193:194]
	v_fma_f64 v[179:180], v[3:4], v[209:210], v[179:180]
	v_add_f64 v[141:142], v[141:142], v[183:184]
	v_add_f64 v[139:140], v[139:140], v[181:182]
	s_clause 0x3
	buffer_load_dword v181, off, s[0:3], 0 offset:240
	buffer_load_dword v182, off, s[0:3], 0 offset:244
	;; [unrolled: 1-line block ×4, first 2 shown]
	ds_read_b128 v[1:4], v196 offset:1840
	s_waitcnt vmcnt(51) lgkmcnt(1)
	v_mul_f64 v[193:194], v[7:8], v[207:208]
	v_mul_f64 v[189:190], v[5:6], v[207:208]
	s_waitcnt vmcnt(49)
	v_fma_f64 v[147:148], v[135:136], v[153:154], -v[147:148]
	v_fma_f64 v[153:154], v[137:138], v[153:154], v[175:176]
	ds_read_b128 v[135:138], v196 offset:1856
	v_add_f64 v[141:142], v[141:142], v[187:188]
	v_add_f64 v[139:140], v[139:140], v[179:180]
	s_waitcnt vmcnt(45) lgkmcnt(1)
	v_mul_f64 v[175:176], v[1:2], v[159:160]
	v_mul_f64 v[159:160], v[3:4], v[159:160]
	s_waitcnt vmcnt(44)
	v_fma_f64 v[179:180], v[5:6], v[213:214], -v[193:194]
	v_add_f64 v[141:142], v[141:142], v[147:148]
	v_fma_f64 v[147:148], v[7:8], v[213:214], v[189:190]
	v_add_f64 v[139:140], v[139:140], v[153:154]
	ds_read_b128 v[5:8], v196 offset:1872
	s_waitcnt vmcnt(43) lgkmcnt(1)
	v_mul_f64 v[187:188], v[137:138], v[201:202]
	v_mul_f64 v[153:154], v[135:136], v[201:202]
	s_waitcnt vmcnt(41)
	v_fma_f64 v[159:160], v[1:2], v[151:152], -v[159:160]
	v_fma_f64 v[151:152], v[3:4], v[151:152], v[175:176]
	ds_read_b128 v[1:4], v196 offset:1888
	v_add_f64 v[141:142], v[141:142], v[179:180]
	v_add_f64 v[139:140], v[139:140], v[147:148]
	s_waitcnt vmcnt(37) lgkmcnt(1)
	v_mul_f64 v[147:148], v[5:6], v[145:146]
	v_mul_f64 v[145:146], v[7:8], v[145:146]
	s_waitcnt vmcnt(36)
	v_fma_f64 v[175:176], v[135:136], v[215:216], -v[187:188]
	v_fma_f64 v[153:154], v[137:138], v[215:216], v[153:154]
	ds_read_b128 v[135:138], v196 offset:1904
	v_add_f64 v[141:142], v[141:142], v[159:160]
	v_add_f64 v[139:140], v[139:140], v[151:152]
	;; [unrolled: 9-line block ×3, first 2 shown]
	s_waitcnt vmcnt(29) lgkmcnt(1)
	v_mul_f64 v[153:154], v[135:136], v[149:150]
	v_mul_f64 v[149:150], v[137:138], v[149:150]
	s_waitcnt vmcnt(28)
	v_fma_f64 v[157:158], v[1:2], v[211:212], -v[159:160]
	v_add_f64 v[141:142], v[141:142], v[145:146]
	v_fma_f64 v[145:146], v[3:4], v[211:212], v[151:152]
	v_add_f64 v[139:140], v[139:140], v[147:148]
	ds_read_b128 v[1:4], v196 offset:1936
	s_waitcnt vmcnt(27) lgkmcnt(1)
	v_mul_f64 v[151:152], v[7:8], v[171:172]
	v_mul_f64 v[147:148], v[5:6], v[171:172]
	s_waitcnt vmcnt(25)
	v_fma_f64 v[149:150], v[135:136], v[167:168], -v[149:150]
	v_fma_f64 v[153:154], v[137:138], v[167:168], v[153:154]
	ds_read_b128 v[135:138], v196 offset:1952
	v_add_f64 v[141:142], v[141:142], v[157:158]
	v_add_f64 v[139:140], v[139:140], v[145:146]
	s_waitcnt vmcnt(21) lgkmcnt(1)
	v_mul_f64 v[145:146], v[1:2], v[155:156]
	v_mul_f64 v[155:156], v[3:4], v[155:156]
	s_waitcnt vmcnt(20)
	v_fma_f64 v[151:152], v[5:6], v[203:204], -v[151:152]
	v_fma_f64 v[147:148], v[7:8], v[203:204], v[147:148]
	ds_read_b128 v[5:8], v196 offset:1968
	v_add_f64 v[141:142], v[141:142], v[149:150]
	v_add_f64 v[139:140], v[139:140], v[153:154]
	;; [unrolled: 9-line block ×3, first 2 shown]
	s_waitcnt vmcnt(13) lgkmcnt(1)
	v_mul_f64 v[151:152], v[7:8], v[161:162]
	s_waitcnt vmcnt(12)
	v_fma_f64 v[153:154], v[135:136], v[197:198], -v[153:154]
	v_mul_f64 v[147:148], v[5:6], v[161:162]
	v_fma_f64 v[149:150], v[137:138], v[197:198], v[149:150]
	ds_read_b128 v[135:138], v196 offset:2000
	v_add_f64 v[141:142], v[141:142], v[155:156]
	v_add_f64 v[139:140], v[139:140], v[145:146]
	s_waitcnt vmcnt(11) lgkmcnt(1)
	v_mul_f64 v[155:156], v[3:4], v[185:186]
	v_mul_f64 v[145:146], v[1:2], v[185:186]
	s_waitcnt vmcnt(9)
	v_fma_f64 v[5:6], v[5:6], v[173:174], -v[151:152]
	v_fma_f64 v[7:8], v[7:8], v[173:174], v[147:148]
	v_add_f64 v[141:142], v[141:142], v[153:154]
	v_add_f64 v[139:140], v[139:140], v[149:150]
	s_waitcnt vmcnt(7) lgkmcnt(0)
	v_mul_f64 v[149:150], v[137:138], v[169:170]
	s_waitcnt vmcnt(6)
	v_fma_f64 v[1:2], v[1:2], v[191:192], -v[155:156]
	v_mul_f64 v[147:148], v[135:136], v[169:170]
	v_fma_f64 v[3:4], v[3:4], v[191:192], v[145:146]
	v_add_f64 v[5:6], v[141:142], v[5:6]
	v_add_f64 v[7:8], v[139:140], v[7:8]
	s_waitcnt vmcnt(4)
	v_fma_f64 v[135:136], v[135:136], v[143:144], -v[149:150]
	v_add_f64 v[1:2], v[5:6], v[1:2]
	v_fma_f64 v[5:6], v[137:138], v[143:144], v[147:148]
	v_add_f64 v[3:4], v[7:8], v[3:4]
	v_add_f64 v[1:2], v[1:2], v[135:136]
	v_add_f64 v[3:4], v[3:4], v[5:6]
	s_waitcnt vmcnt(2)
	v_add_f64 v[1:2], v[181:182], -v[1:2]
	s_waitcnt vmcnt(0)
	v_add_f64 v[3:4], v[183:184], -v[3:4]
	buffer_store_dword v2, off, s[0:3], 0 offset:244
	buffer_store_dword v1, off, s[0:3], 0 offset:240
	;; [unrolled: 1-line block ×4, first 2 shown]
	v_cmpx_lt_u32_e32 13, v0
	s_cbranch_execz .LBB126_377
; %bb.376:
	v_mov_b32_e32 v4, s64
	v_mov_b32_e32 v5, 0
	s_clause 0x3
	buffer_load_dword v1, v4, s[0:3], 0 offen
	buffer_load_dword v2, v4, s[0:3], 0 offen offset:4
	buffer_load_dword v3, v4, s[0:3], 0 offen offset:8
	;; [unrolled: 1-line block ×3, first 2 shown]
	buffer_store_dword v5, off, s[0:3], 0 offset:224
	buffer_store_dword v5, off, s[0:3], 0 offset:228
	;; [unrolled: 1-line block ×4, first 2 shown]
	s_waitcnt vmcnt(0)
	ds_write_b128 v195, v[1:4]
.LBB126_377:
	s_or_b32 exec_lo, exec_lo, s4
	s_waitcnt lgkmcnt(0)
	s_waitcnt_vscnt null, 0x0
	s_barrier
	buffer_gl0_inv
	s_clause 0x37
	buffer_load_dword v143, off, s[0:3], 0 offset:248
	buffer_load_dword v144, off, s[0:3], 0 offset:252
	;; [unrolled: 1-line block ×56, first 2 shown]
	v_mov_b32_e32 v196, 0
	s_mov_b32 s4, exec_lo
	ds_read_b128 v[5:8], v196 offset:1232
	s_clause 0x2
	buffer_load_dword v192, off, s[0:3], 0 offset:476
	buffer_load_dword v194, off, s[0:3], 0 offset:452
	;; [unrolled: 1-line block ×3, first 2 shown]
	ds_read_b128 v[1:4], v196 offset:1248
	s_clause 0x4
	buffer_load_dword v204, off, s[0:3], 0 offset:492
	buffer_load_dword v205, off, s[0:3], 0 offset:504
	;; [unrolled: 1-line block ×5, first 2 shown]
	ds_read_b128 v[197:200], v196 offset:1264
	s_waitcnt vmcnt(62) lgkmcnt(2)
	v_mul_f64 v[201:202], v[7:8], v[143:144]
	v_mul_f64 v[143:144], v[5:6], v[143:144]
	s_waitcnt vmcnt(60) lgkmcnt(1)
	v_mul_f64 v[208:209], v[3:4], v[139:140]
	v_mul_f64 v[139:140], v[1:2], v[139:140]
	;; [unrolled: 3-line block ×3, first 2 shown]
	v_fma_f64 v[201:202], v[5:6], v[141:142], -v[201:202]
	v_fma_f64 v[141:142], v[7:8], v[141:142], v[143:144]
	s_clause 0x2
	buffer_load_dword v206, off, s[0:3], 0 offset:508
	buffer_load_dword v144, off, s[0:3], 0 offset:484
	;; [unrolled: 1-line block ×3, first 2 shown]
	s_waitcnt vmcnt(57)
	v_fma_f64 v[212:213], v[1:2], v[135:136], -v[208:209]
	ds_read_b128 v[5:8], v196 offset:1280
	v_fma_f64 v[135:136], v[3:4], v[135:136], v[139:140]
	s_waitcnt vmcnt(51)
	v_fma_f64 v[197:198], v[197:198], v[159:160], -v[137:138]
	v_fma_f64 v[159:160], v[199:200], v[159:160], v[210:211]
	v_add_f64 v[201:202], v[201:202], 0
	v_add_f64 v[139:140], v[141:142], 0
	s_clause 0x4
	buffer_load_dword v142, off, s[0:3], 0 offset:524
	buffer_load_dword v209, off, s[0:3], 0 offset:536
	buffer_load_dword v214, off, s[0:3], 0 offset:528
	buffer_load_dword v141, off, s[0:3], 0 offset:520
	buffer_load_dword v208, off, s[0:3], 0 offset:500
	s_waitcnt lgkmcnt(0)
	v_mul_f64 v[215:216], v[5:6], v[147:148]
	v_mul_f64 v[147:148], v[7:8], v[147:148]
	ds_read_b128 v[1:4], v196 offset:1296
	s_clause 0x2
	buffer_load_dword v210, off, s[0:3], 0 offset:540
	buffer_load_dword v200, off, s[0:3], 0 offset:516
	;; [unrolled: 1-line block ×3, first 2 shown]
	v_add_f64 v[201:202], v[201:202], v[212:213]
	v_add_f64 v[139:140], v[139:140], v[135:136]
	ds_read_b128 v[135:138], v196 offset:1312
	s_waitcnt vmcnt(58) lgkmcnt(1)
	v_mul_f64 v[211:212], v[1:2], v[151:152]
	v_mul_f64 v[151:152], v[3:4], v[151:152]
	s_waitcnt vmcnt(56)
	v_fma_f64 v[147:148], v[5:6], v[153:154], -v[147:148]
	v_fma_f64 v[153:154], v[7:8], v[153:154], v[215:216]
	s_waitcnt vmcnt(52) lgkmcnt(0)
	v_mul_f64 v[217:218], v[135:136], v[155:156]
	v_add_f64 v[197:198], v[201:202], v[197:198]
	v_add_f64 v[139:140], v[139:140], v[159:160]
	s_clause 0x4
	buffer_load_dword v160, off, s[0:3], 0 offset:556
	buffer_load_dword v201, off, s[0:3], 0 offset:568
	;; [unrolled: 1-line block ×5, first 2 shown]
	v_mul_f64 v[155:156], v[137:138], v[155:156]
	s_waitcnt vmcnt(56)
	v_fma_f64 v[151:152], v[1:2], v[145:146], -v[151:152]
	ds_read_b128 v[5:8], v196 offset:1328
	v_fma_f64 v[145:146], v[3:4], v[145:146], v[211:212]
	v_add_f64 v[147:148], v[197:198], v[147:148]
	v_add_f64 v[139:140], v[139:140], v[153:154]
	s_clause 0x2
	buffer_load_dword v202, off, s[0:3], 0 offset:572
	buffer_load_dword v154, off, s[0:3], 0 offset:548
	;; [unrolled: 1-line block ×3, first 2 shown]
	s_waitcnt vmcnt(58) lgkmcnt(0)
	v_mul_f64 v[197:198], v[5:6], v[161:162]
	v_mul_f64 v[161:162], v[7:8], v[161:162]
	s_waitcnt vmcnt(56)
	v_fma_f64 v[155:156], v[135:136], v[163:164], -v[155:156]
	ds_read_b128 v[1:4], v196 offset:1344
	v_add_f64 v[147:148], v[147:148], v[151:152]
	v_fma_f64 v[151:152], v[137:138], v[163:164], v[217:218]
	v_add_f64 v[139:140], v[139:140], v[145:146]
	s_clause 0x4
	buffer_load_dword v146, off, s[0:3], 0 offset:588
	buffer_load_dword v163, off, s[0:3], 0 offset:600
	buffer_load_dword v211, off, s[0:3], 0 offset:592
	buffer_load_dword v145, off, s[0:3], 0 offset:584
	buffer_load_dword v217, off, s[0:3], 0 offset:564
	s_waitcnt vmcnt(57) lgkmcnt(0)
	v_mul_f64 v[212:213], v[1:2], v[165:166]
	v_mul_f64 v[165:166], v[3:4], v[165:166]
	s_waitcnt vmcnt(56)
	v_fma_f64 v[161:162], v[5:6], v[149:150], -v[161:162]
	ds_read_b128 v[135:138], v196 offset:1360
	v_fma_f64 v[149:150], v[7:8], v[149:150], v[197:198]
	v_add_f64 v[147:148], v[147:148], v[155:156]
	v_add_f64 v[139:140], v[139:140], v[151:152]
	s_clause 0x2
	buffer_load_dword v164, off, s[0:3], 0 offset:604
	buffer_load_dword v152, off, s[0:3], 0 offset:580
	;; [unrolled: 1-line block ×3, first 2 shown]
	ds_read_b128 v[5:8], v196 offset:1376
	s_waitcnt vmcnt(58) lgkmcnt(1)
	v_mul_f64 v[155:156], v[135:136], v[169:170]
	v_mul_f64 v[169:170], v[137:138], v[169:170]
	s_waitcnt vmcnt(56)
	v_fma_f64 v[165:166], v[1:2], v[171:172], -v[165:166]
	v_add_f64 v[147:148], v[147:148], v[161:162]
	v_fma_f64 v[161:162], v[3:4], v[171:172], v[212:213]
	v_add_f64 v[139:140], v[139:140], v[149:150]
	s_clause 0x4
	buffer_load_dword v150, off, s[0:3], 0 offset:620
	buffer_load_dword v171, off, s[0:3], 0 offset:632
	;; [unrolled: 1-line block ×5, first 2 shown]
	s_waitcnt vmcnt(57) lgkmcnt(0)
	v_mul_f64 v[218:219], v[5:6], v[173:174]
	v_mul_f64 v[173:174], v[7:8], v[173:174]
	s_waitcnt vmcnt(56)
	v_fma_f64 v[169:170], v[135:136], v[157:158], -v[169:170]
	ds_read_b128 v[1:4], v196 offset:1392
	v_fma_f64 v[155:156], v[137:138], v[157:158], v[155:156]
	s_clause 0x2
	buffer_load_dword v172, off, s[0:3], 0 offset:636
	buffer_load_dword v158, off, s[0:3], 0 offset:612
	buffer_load_dword v157, off, s[0:3], 0 offset:608
	ds_read_b128 v[135:138], v196 offset:1408
	v_add_f64 v[147:148], v[147:148], v[165:166]
	v_add_f64 v[139:140], v[139:140], v[161:162]
	s_waitcnt vmcnt(58) lgkmcnt(1)
	v_mul_f64 v[165:166], v[3:4], v[177:178]
	s_waitcnt vmcnt(56)
	v_fma_f64 v[173:174], v[5:6], v[179:180], -v[173:174]
	v_mul_f64 v[161:162], v[1:2], v[177:178]
	v_add_f64 v[147:148], v[147:148], v[169:170]
	v_fma_f64 v[169:170], v[7:8], v[179:180], v[218:219]
	v_add_f64 v[139:140], v[139:140], v[155:156]
	s_clause 0x4
	buffer_load_dword v156, off, s[0:3], 0 offset:652
	buffer_load_dword v177, off, s[0:3], 0 offset:664
	buffer_load_dword v179, off, s[0:3], 0 offset:656
	buffer_load_dword v155, off, s[0:3], 0 offset:648
	buffer_load_dword v198, off, s[0:3], 0 offset:628
	s_waitcnt vmcnt(57) lgkmcnt(0)
	v_mul_f64 v[218:219], v[135:136], v[181:182]
	v_mul_f64 v[180:181], v[137:138], v[181:182]
	s_waitcnt vmcnt(56)
	v_fma_f64 v[165:166], v[1:2], v[167:168], -v[165:166]
	ds_read_b128 v[5:8], v196 offset:1424
	v_fma_f64 v[161:162], v[3:4], v[167:168], v[161:162]
	s_clause 0x2
	buffer_load_dword v178, off, s[0:3], 0 offset:668
	buffer_load_dword v168, off, s[0:3], 0 offset:644
	;; [unrolled: 1-line block ×3, first 2 shown]
	ds_read_b128 v[1:4], v196 offset:1440
	v_add_f64 v[147:148], v[147:148], v[173:174]
	v_add_f64 v[139:140], v[139:140], v[169:170]
	s_waitcnt vmcnt(58) lgkmcnt(1)
	v_mul_f64 v[173:174], v[7:8], v[185:186]
	s_waitcnt vmcnt(56)
	v_fma_f64 v[181:182], v[135:136], v[187:188], -v[180:181]
	v_mul_f64 v[169:170], v[5:6], v[185:186]
	v_add_f64 v[147:148], v[147:148], v[165:166]
	v_fma_f64 v[165:166], v[137:138], v[187:188], v[218:219]
	v_add_f64 v[139:140], v[139:140], v[161:162]
	s_clause 0x4
	buffer_load_dword v162, off, s[0:3], 0 offset:684
	buffer_load_dword v185, off, s[0:3], 0 offset:696
	;; [unrolled: 1-line block ×5, first 2 shown]
	s_waitcnt vmcnt(57) lgkmcnt(0)
	v_mul_f64 v[218:219], v[1:2], v[189:190]
	v_mul_f64 v[188:189], v[3:4], v[189:190]
	s_waitcnt vmcnt(56)
	v_fma_f64 v[173:174], v[5:6], v[175:176], -v[173:174]
	ds_read_b128 v[135:138], v196 offset:1456
	v_fma_f64 v[169:170], v[7:8], v[175:176], v[169:170]
	v_add_f64 v[147:148], v[147:148], v[181:182]
	v_add_f64 v[139:140], v[139:140], v[165:166]
	s_clause 0x2
	buffer_load_dword v186, off, s[0:3], 0 offset:700
	buffer_load_dword v166, off, s[0:3], 0 offset:676
	;; [unrolled: 1-line block ×3, first 2 shown]
	ds_read_b128 v[5:8], v196 offset:1472
	s_waitcnt vmcnt(58) lgkmcnt(1)
	v_mul_f64 v[181:182], v[137:138], v[191:192]
	s_waitcnt vmcnt(56)
	v_fma_f64 v[189:190], v[1:2], v[193:194], -v[188:189]
	v_mul_f64 v[175:176], v[135:136], v[191:192]
	v_add_f64 v[147:148], v[147:148], v[173:174]
	v_fma_f64 v[173:174], v[3:4], v[193:194], v[218:219]
	v_add_f64 v[139:140], v[139:140], v[169:170]
	s_clause 0x4
	buffer_load_dword v170, off, s[0:3], 0 offset:716
	buffer_load_dword v191, off, s[0:3], 0 offset:728
	;; [unrolled: 1-line block ×5, first 2 shown]
	s_waitcnt vmcnt(57) lgkmcnt(0)
	v_mul_f64 v[218:219], v[5:6], v[203:204]
	v_mul_f64 v[203:204], v[7:8], v[203:204]
	s_waitcnt vmcnt(56)
	v_fma_f64 v[181:182], v[135:136], v[183:184], -v[181:182]
	ds_read_b128 v[1:4], v196 offset:1488
	v_fma_f64 v[175:176], v[137:138], v[183:184], v[175:176]
	v_add_f64 v[147:148], v[147:148], v[189:190]
	v_add_f64 v[139:140], v[139:140], v[173:174]
	s_clause 0x2
	buffer_load_dword v192, off, s[0:3], 0 offset:732
	buffer_load_dword v174, off, s[0:3], 0 offset:708
	buffer_load_dword v173, off, s[0:3], 0 offset:704
	ds_read_b128 v[135:138], v196 offset:1504
	s_waitcnt vmcnt(58) lgkmcnt(1)
	v_mul_f64 v[189:190], v[3:4], v[205:206]
	v_mul_f64 v[183:184], v[1:2], v[205:206]
	s_waitcnt vmcnt(56)
	v_fma_f64 v[203:204], v[5:6], v[143:144], -v[203:204]
	v_fma_f64 v[143:144], v[7:8], v[143:144], v[218:219]
	v_add_f64 v[147:148], v[147:148], v[181:182]
	v_add_f64 v[139:140], v[139:140], v[175:176]
	s_clause 0x4
	buffer_load_dword v176, off, s[0:3], 0 offset:748
	buffer_load_dword v181, off, s[0:3], 0 offset:760
	;; [unrolled: 1-line block ×5, first 2 shown]
	ds_read_b128 v[5:8], v196 offset:1520
	s_waitcnt vmcnt(57) lgkmcnt(1)
	v_mul_f64 v[218:219], v[135:136], v[141:142]
	v_mul_f64 v[141:142], v[137:138], v[141:142]
	s_waitcnt vmcnt(56)
	v_fma_f64 v[189:190], v[1:2], v[207:208], -v[189:190]
	v_fma_f64 v[183:184], v[3:4], v[207:208], v[183:184]
	v_add_f64 v[147:148], v[147:148], v[203:204]
	v_add_f64 v[139:140], v[139:140], v[143:144]
	s_clause 0x2
	buffer_load_dword v182, off, s[0:3], 0 offset:764
	buffer_load_dword v144, off, s[0:3], 0 offset:740
	;; [unrolled: 1-line block ×3, first 2 shown]
	s_waitcnt vmcnt(58) lgkmcnt(0)
	v_mul_f64 v[207:208], v[7:8], v[209:210]
	ds_read_b128 v[1:4], v196 offset:1536
	v_mul_f64 v[203:204], v[5:6], v[209:210]
	s_waitcnt vmcnt(56)
	v_fma_f64 v[141:142], v[135:136], v[199:200], -v[141:142]
	v_add_f64 v[147:148], v[147:148], v[189:190]
	v_fma_f64 v[189:190], v[137:138], v[199:200], v[218:219]
	v_add_f64 v[139:140], v[139:140], v[183:184]
	s_clause 0x4
	buffer_load_dword v184, off, s[0:3], 0 offset:780
	buffer_load_dword v199, off, s[0:3], 0 offset:792
	;; [unrolled: 1-line block ×5, first 2 shown]
	ds_read_b128 v[135:138], v196 offset:1552
	s_waitcnt vmcnt(57) lgkmcnt(1)
	v_mul_f64 v[218:219], v[1:2], v[159:160]
	v_mul_f64 v[159:160], v[3:4], v[159:160]
	s_waitcnt vmcnt(56)
	v_fma_f64 v[207:208], v[5:6], v[214:215], -v[207:208]
	v_add_f64 v[141:142], v[147:148], v[141:142]
	v_fma_f64 v[147:148], v[7:8], v[214:215], v[203:204]
	v_add_f64 v[139:140], v[139:140], v[189:190]
	s_clause 0x2
	buffer_load_dword v200, off, s[0:3], 0 offset:796
	buffer_load_dword v190, off, s[0:3], 0 offset:772
	;; [unrolled: 1-line block ×3, first 2 shown]
	ds_read_b128 v[5:8], v196 offset:1568
	s_waitcnt vmcnt(58) lgkmcnt(1)
	v_mul_f64 v[203:204], v[135:136], v[201:202]
	v_mul_f64 v[201:202], v[137:138], v[201:202]
	s_waitcnt vmcnt(56)
	v_fma_f64 v[159:160], v[1:2], v[153:154], -v[159:160]
	v_fma_f64 v[153:154], v[3:4], v[153:154], v[218:219]
	v_add_f64 v[141:142], v[141:142], v[207:208]
	v_add_f64 v[139:140], v[139:140], v[147:148]
	s_clause 0x4
	buffer_load_dword v148, off, s[0:3], 0 offset:812
	buffer_load_dword v207, off, s[0:3], 0 offset:824
	;; [unrolled: 1-line block ×5, first 2 shown]
	ds_read_b128 v[1:4], v196 offset:1584
	s_waitcnt vmcnt(57) lgkmcnt(1)
	v_mul_f64 v[214:215], v[5:6], v[145:146]
	v_mul_f64 v[145:146], v[7:8], v[145:146]
	s_waitcnt vmcnt(56)
	v_fma_f64 v[201:202], v[135:136], v[216:217], -v[201:202]
	v_add_f64 v[141:142], v[141:142], v[159:160]
	v_fma_f64 v[159:160], v[137:138], v[216:217], v[203:204]
	v_add_f64 v[139:140], v[139:140], v[153:154]
	s_clause 0x2
	buffer_load_dword v208, off, s[0:3], 0 offset:828
	buffer_load_dword v154, off, s[0:3], 0 offset:804
	;; [unrolled: 1-line block ×3, first 2 shown]
	ds_read_b128 v[135:138], v196 offset:1600
	s_waitcnt vmcnt(58) lgkmcnt(1)
	v_mul_f64 v[203:204], v[1:2], v[163:164]
	v_mul_f64 v[163:164], v[3:4], v[163:164]
	s_waitcnt vmcnt(56)
	v_fma_f64 v[145:146], v[5:6], v[151:152], -v[145:146]
	v_fma_f64 v[151:152], v[7:8], v[151:152], v[214:215]
	v_add_f64 v[141:142], v[141:142], v[201:202]
	v_add_f64 v[139:140], v[139:140], v[159:160]
	s_clause 0x4
	buffer_load_dword v160, off, s[0:3], 0 offset:844
	buffer_load_dword v201, off, s[0:3], 0 offset:856
	;; [unrolled: 1-line block ×5, first 2 shown]
	ds_read_b128 v[5:8], v196 offset:1616
	s_waitcnt vmcnt(57) lgkmcnt(1)
	v_mul_f64 v[216:217], v[135:136], v[149:150]
	v_mul_f64 v[149:150], v[137:138], v[149:150]
	s_waitcnt vmcnt(56)
	v_fma_f64 v[163:164], v[1:2], v[211:212], -v[163:164]
	v_add_f64 v[141:142], v[141:142], v[145:146]
	v_fma_f64 v[145:146], v[3:4], v[211:212], v[203:204]
	v_add_f64 v[139:140], v[139:140], v[151:152]
	s_clause 0x2
	buffer_load_dword v202, off, s[0:3], 0 offset:860
	buffer_load_dword v152, off, s[0:3], 0 offset:836
	;; [unrolled: 1-line block ×3, first 2 shown]
	s_waitcnt vmcnt(58) lgkmcnt(0)
	v_mul_f64 v[203:204], v[5:6], v[171:172]
	v_mul_f64 v[171:172], v[7:8], v[171:172]
	ds_read_b128 v[1:4], v196 offset:1632
	s_waitcnt vmcnt(56)
	v_fma_f64 v[149:150], v[135:136], v[157:158], -v[149:150]
	v_fma_f64 v[157:158], v[137:138], v[157:158], v[216:217]
	v_add_f64 v[141:142], v[141:142], v[163:164]
	v_add_f64 v[139:140], v[139:140], v[145:146]
	s_clause 0x4
	buffer_load_dword v146, off, s[0:3], 0 offset:876
	buffer_load_dword v163, off, s[0:3], 0 offset:888
	;; [unrolled: 1-line block ×5, first 2 shown]
	ds_read_b128 v[135:138], v196 offset:1648
	s_waitcnt vmcnt(57) lgkmcnt(1)
	v_mul_f64 v[217:218], v[1:2], v[155:156]
	v_mul_f64 v[155:156], v[3:4], v[155:156]
	s_waitcnt vmcnt(56)
	v_fma_f64 v[171:172], v[5:6], v[197:198], -v[171:172]
	v_add_f64 v[141:142], v[141:142], v[149:150]
	v_fma_f64 v[149:150], v[7:8], v[197:198], v[203:204]
	v_add_f64 v[139:140], v[139:140], v[157:158]
	s_clause 0x2
	buffer_load_dword v164, off, s[0:3], 0 offset:892
	buffer_load_dword v158, off, s[0:3], 0 offset:868
	;; [unrolled: 1-line block ×3, first 2 shown]
	s_waitcnt vmcnt(58) lgkmcnt(0)
	v_mul_f64 v[197:198], v[135:136], v[177:178]
	v_mul_f64 v[177:178], v[137:138], v[177:178]
	ds_read_b128 v[5:8], v196 offset:1664
	s_waitcnt vmcnt(56)
	v_fma_f64 v[155:156], v[1:2], v[167:168], -v[155:156]
	v_fma_f64 v[167:168], v[3:4], v[167:168], v[217:218]
	v_add_f64 v[141:142], v[141:142], v[171:172]
	v_add_f64 v[139:140], v[139:140], v[149:150]
	s_clause 0x4
	buffer_load_dword v150, off, s[0:3], 0 offset:908
	buffer_load_dword v171, off, s[0:3], 0 offset:920
	buffer_load_dword v203, off, s[0:3], 0 offset:912
	buffer_load_dword v149, off, s[0:3], 0 offset:904
	buffer_load_dword v212, off, s[0:3], 0 offset:884
	ds_read_b128 v[1:4], v196 offset:1680
	s_waitcnt vmcnt(57) lgkmcnt(1)
	v_mul_f64 v[217:218], v[5:6], v[161:162]
	v_mul_f64 v[161:162], v[7:8], v[161:162]
	s_waitcnt vmcnt(56)
	v_fma_f64 v[177:178], v[135:136], v[179:180], -v[177:178]
	v_add_f64 v[141:142], v[141:142], v[155:156]
	v_fma_f64 v[155:156], v[137:138], v[179:180], v[197:198]
	v_add_f64 v[139:140], v[139:140], v[167:168]
	s_clause 0x2
	buffer_load_dword v172, off, s[0:3], 0 offset:924
	buffer_load_dword v168, off, s[0:3], 0 offset:900
	buffer_load_dword v167, off, s[0:3], 0 offset:896
	ds_read_b128 v[135:138], v196 offset:1696
	s_waitcnt vmcnt(58) lgkmcnt(1)
	v_mul_f64 v[179:180], v[1:2], v[185:186]
	v_mul_f64 v[185:186], v[3:4], v[185:186]
	s_waitcnt vmcnt(56)
	v_fma_f64 v[161:162], v[5:6], v[165:166], -v[161:162]
	v_fma_f64 v[165:166], v[7:8], v[165:166], v[217:218]
	v_add_f64 v[141:142], v[141:142], v[177:178]
	v_add_f64 v[139:140], v[139:140], v[155:156]
	s_clause 0x4
	buffer_load_dword v156, off, s[0:3], 0 offset:940
	buffer_load_dword v177, off, s[0:3], 0 offset:952
	buffer_load_dword v197, off, s[0:3], 0 offset:944
	buffer_load_dword v155, off, s[0:3], 0 offset:936
	buffer_load_dword v204, off, s[0:3], 0 offset:916
	ds_read_b128 v[5:8], v196 offset:1712
	s_waitcnt vmcnt(57) lgkmcnt(1)
	v_mul_f64 v[217:218], v[135:136], v[169:170]
	v_mul_f64 v[169:170], v[137:138], v[169:170]
	s_waitcnt vmcnt(56)
	v_fma_f64 v[185:186], v[1:2], v[187:188], -v[185:186]
	v_add_f64 v[141:142], v[141:142], v[161:162]
	v_fma_f64 v[161:162], v[3:4], v[187:188], v[179:180]
	v_add_f64 v[139:140], v[139:140], v[165:166]
	s_clause 0x2
	buffer_load_dword v178, off, s[0:3], 0 offset:956
	buffer_load_dword v166, off, s[0:3], 0 offset:932
	buffer_load_dword v165, off, s[0:3], 0 offset:928
	ds_read_b128 v[1:4], v196 offset:1728
	s_waitcnt vmcnt(58) lgkmcnt(1)
	v_mul_f64 v[187:188], v[7:8], v[191:192]
	v_mul_f64 v[179:180], v[5:6], v[191:192]
	;; [unrolled: 28-line block ×3, first 2 shown]
	s_waitcnt vmcnt(56)
	v_fma_f64 v[175:176], v[1:2], v[143:144], -v[175:176]
	v_fma_f64 v[143:144], v[3:4], v[143:144], v[217:218]
	v_add_f64 v[141:142], v[141:142], v[187:188]
	v_add_f64 v[139:140], v[139:140], v[169:170]
	s_clause 0x4
	buffer_load_dword v170, off, s[0:3], 0 offset:1004
	buffer_load_dword v187, off, s[0:3], 0 offset:1016
	;; [unrolled: 1-line block ×5, first 2 shown]
	ds_read_b128 v[1:4], v196 offset:1776
	s_waitcnt vmcnt(57) lgkmcnt(1)
	v_mul_f64 v[217:218], v[5:6], v[183:184]
	v_mul_f64 v[183:184], v[7:8], v[183:184]
	s_waitcnt vmcnt(56)
	v_fma_f64 v[181:182], v[135:136], v[205:206], -v[181:182]
	v_add_f64 v[141:142], v[141:142], v[175:176]
	v_fma_f64 v[175:176], v[137:138], v[205:206], v[179:180]
	v_add_f64 v[139:140], v[139:140], v[143:144]
	s_clause 0x2
	buffer_load_dword v188, off, s[0:3], 0 offset:1020
	buffer_load_dword v144, off, s[0:3], 0 offset:996
	;; [unrolled: 1-line block ×3, first 2 shown]
	ds_read_b128 v[135:138], v196 offset:1792
	buffer_load_dword v194, off, s[0:3], 0 offset:1012
	s_waitcnt vmcnt(59) lgkmcnt(1)
	v_mul_f64 v[179:180], v[1:2], v[199:200]
	v_mul_f64 v[199:200], v[3:4], v[199:200]
	s_waitcnt vmcnt(57)
	v_fma_f64 v[183:184], v[5:6], v[189:190], -v[183:184]
	v_add_f64 v[141:142], v[141:142], v[181:182]
	v_fma_f64 v[181:182], v[7:8], v[189:190], v[217:218]
	v_add_f64 v[139:140], v[139:140], v[175:176]
	ds_read_b128 v[5:8], v196 offset:1808
	s_waitcnt vmcnt(53) lgkmcnt(1)
	v_mul_f64 v[175:176], v[135:136], v[147:148]
	v_mul_f64 v[147:148], v[137:138], v[147:148]
	s_waitcnt vmcnt(52)
	v_fma_f64 v[189:190], v[1:2], v[209:210], -v[199:200]
	v_fma_f64 v[179:180], v[3:4], v[209:210], v[179:180]
	ds_read_b128 v[1:4], v196 offset:1824
	v_add_f64 v[141:142], v[141:142], v[183:184]
	v_add_f64 v[139:140], v[139:140], v[181:182]
	s_waitcnt vmcnt(51) lgkmcnt(1)
	v_mul_f64 v[183:184], v[7:8], v[207:208]
	v_mul_f64 v[181:182], v[5:6], v[207:208]
	s_waitcnt vmcnt(49)
	v_fma_f64 v[147:148], v[135:136], v[153:154], -v[147:148]
	v_fma_f64 v[153:154], v[137:138], v[153:154], v[175:176]
	v_add_f64 v[141:142], v[141:142], v[189:190]
	v_add_f64 v[139:140], v[139:140], v[179:180]
	s_clause 0x3
	buffer_load_dword v175, off, s[0:3], 0 offset:224
	buffer_load_dword v176, off, s[0:3], 0 offset:228
	buffer_load_dword v179, off, s[0:3], 0 offset:232
	buffer_load_dword v180, off, s[0:3], 0 offset:236
	ds_read_b128 v[135:138], v196 offset:1840
	s_waitcnt vmcnt(49) lgkmcnt(1)
	v_mul_f64 v[189:190], v[1:2], v[159:160]
	v_mul_f64 v[159:160], v[3:4], v[159:160]
	s_waitcnt vmcnt(48)
	v_fma_f64 v[183:184], v[5:6], v[213:214], -v[183:184]
	v_add_f64 v[141:142], v[141:142], v[147:148]
	v_fma_f64 v[147:148], v[7:8], v[213:214], v[181:182]
	v_add_f64 v[139:140], v[139:140], v[153:154]
	ds_read_b128 v[5:8], v196 offset:1856
	s_waitcnt vmcnt(47) lgkmcnt(1)
	v_mul_f64 v[181:182], v[137:138], v[201:202]
	v_mul_f64 v[153:154], v[135:136], v[201:202]
	s_waitcnt vmcnt(45)
	v_fma_f64 v[159:160], v[1:2], v[151:152], -v[159:160]
	v_fma_f64 v[151:152], v[3:4], v[151:152], v[189:190]
	ds_read_b128 v[1:4], v196 offset:1872
	v_add_f64 v[141:142], v[141:142], v[183:184]
	v_add_f64 v[139:140], v[139:140], v[147:148]
	s_waitcnt vmcnt(41) lgkmcnt(1)
	v_mul_f64 v[147:148], v[5:6], v[145:146]
	v_mul_f64 v[145:146], v[7:8], v[145:146]
	s_waitcnt vmcnt(40)
	v_fma_f64 v[181:182], v[135:136], v[215:216], -v[181:182]
	v_fma_f64 v[153:154], v[137:138], v[215:216], v[153:154]
	ds_read_b128 v[135:138], v196 offset:1888
	v_add_f64 v[141:142], v[141:142], v[159:160]
	v_add_f64 v[139:140], v[139:140], v[151:152]
	;; [unrolled: 9-line block ×3, first 2 shown]
	s_waitcnt vmcnt(33) lgkmcnt(1)
	v_mul_f64 v[153:154], v[135:136], v[149:150]
	v_mul_f64 v[149:150], v[137:138], v[149:150]
	s_waitcnt vmcnt(32)
	v_fma_f64 v[157:158], v[1:2], v[211:212], -v[159:160]
	v_add_f64 v[141:142], v[141:142], v[145:146]
	v_fma_f64 v[145:146], v[3:4], v[211:212], v[151:152]
	v_add_f64 v[139:140], v[139:140], v[147:148]
	ds_read_b128 v[1:4], v196 offset:1920
	s_waitcnt vmcnt(31) lgkmcnt(1)
	v_mul_f64 v[151:152], v[7:8], v[171:172]
	v_mul_f64 v[147:148], v[5:6], v[171:172]
	s_waitcnt vmcnt(29)
	v_fma_f64 v[149:150], v[135:136], v[167:168], -v[149:150]
	v_fma_f64 v[153:154], v[137:138], v[167:168], v[153:154]
	ds_read_b128 v[135:138], v196 offset:1936
	v_add_f64 v[141:142], v[141:142], v[157:158]
	v_add_f64 v[139:140], v[139:140], v[145:146]
	s_waitcnt vmcnt(25) lgkmcnt(1)
	v_mul_f64 v[145:146], v[1:2], v[155:156]
	v_mul_f64 v[155:156], v[3:4], v[155:156]
	s_waitcnt vmcnt(24)
	v_fma_f64 v[151:152], v[5:6], v[203:204], -v[151:152]
	v_fma_f64 v[147:148], v[7:8], v[203:204], v[147:148]
	ds_read_b128 v[5:8], v196 offset:1952
	v_add_f64 v[141:142], v[141:142], v[149:150]
	v_add_f64 v[139:140], v[139:140], v[153:154]
	s_waitcnt vmcnt(23) lgkmcnt(1)
	v_mul_f64 v[153:154], v[137:138], v[177:178]
	v_mul_f64 v[149:150], v[135:136], v[177:178]
	s_waitcnt vmcnt(21)
	v_fma_f64 v[155:156], v[1:2], v[165:166], -v[155:156]
	v_fma_f64 v[145:146], v[3:4], v[165:166], v[145:146]
	ds_read_b128 v[1:4], v196 offset:1968
	v_add_f64 v[141:142], v[141:142], v[151:152]
	v_add_f64 v[139:140], v[139:140], v[147:148]
	s_waitcnt vmcnt(17) lgkmcnt(1)
	v_mul_f64 v[151:152], v[7:8], v[161:162]
	s_waitcnt vmcnt(16)
	v_fma_f64 v[153:154], v[135:136], v[197:198], -v[153:154]
	v_mul_f64 v[147:148], v[5:6], v[161:162]
	v_fma_f64 v[149:150], v[137:138], v[197:198], v[149:150]
	ds_read_b128 v[135:138], v196 offset:1984
	v_add_f64 v[141:142], v[141:142], v[155:156]
	v_add_f64 v[139:140], v[139:140], v[145:146]
	s_waitcnt vmcnt(15) lgkmcnt(1)
	v_mul_f64 v[155:156], v[3:4], v[185:186]
	v_mul_f64 v[145:146], v[1:2], v[185:186]
	s_waitcnt vmcnt(13)
	v_fma_f64 v[151:152], v[5:6], v[173:174], -v[151:152]
	v_fma_f64 v[147:148], v[7:8], v[173:174], v[147:148]
	ds_read_b128 v[5:8], v196 offset:2000
	v_add_f64 v[141:142], v[141:142], v[153:154]
	v_add_f64 v[139:140], v[139:140], v[149:150]
	s_waitcnt vmcnt(9) lgkmcnt(1)
	v_mul_f64 v[153:154], v[137:138], v[169:170]
	s_waitcnt vmcnt(8)
	v_fma_f64 v[1:2], v[1:2], v[191:192], -v[155:156]
	v_mul_f64 v[149:150], v[135:136], v[169:170]
	v_fma_f64 v[3:4], v[3:4], v[191:192], v[145:146]
	v_add_f64 v[141:142], v[141:142], v[151:152]
	v_add_f64 v[139:140], v[139:140], v[147:148]
	s_waitcnt vmcnt(7) lgkmcnt(0)
	v_mul_f64 v[147:148], v[7:8], v[187:188]
	v_mul_f64 v[145:146], v[5:6], v[187:188]
	s_waitcnt vmcnt(5)
	v_fma_f64 v[135:136], v[135:136], v[143:144], -v[153:154]
	v_fma_f64 v[137:138], v[137:138], v[143:144], v[149:150]
	v_add_f64 v[1:2], v[141:142], v[1:2]
	v_add_f64 v[3:4], v[139:140], v[3:4]
	s_waitcnt vmcnt(4)
	v_fma_f64 v[5:6], v[5:6], v[193:194], -v[147:148]
	v_fma_f64 v[7:8], v[7:8], v[193:194], v[145:146]
	v_add_f64 v[1:2], v[1:2], v[135:136]
	v_add_f64 v[3:4], v[3:4], v[137:138]
	;; [unrolled: 1-line block ×4, first 2 shown]
	s_waitcnt vmcnt(2)
	v_add_f64 v[1:2], v[175:176], -v[1:2]
	s_waitcnt vmcnt(0)
	v_add_f64 v[3:4], v[179:180], -v[3:4]
	buffer_store_dword v2, off, s[0:3], 0 offset:228
	buffer_store_dword v1, off, s[0:3], 0 offset:224
	;; [unrolled: 1-line block ×4, first 2 shown]
	v_cmpx_lt_u32_e32 12, v0
	s_cbranch_execz .LBB126_379
; %bb.378:
	v_mov_b32_e32 v4, s65
	s_clause 0x3
	buffer_load_dword v1, v4, s[0:3], 0 offen
	buffer_load_dword v2, v4, s[0:3], 0 offen offset:4
	buffer_load_dword v3, v4, s[0:3], 0 offen offset:8
	;; [unrolled: 1-line block ×3, first 2 shown]
	buffer_store_dword v196, off, s[0:3], 0 offset:208
	buffer_store_dword v196, off, s[0:3], 0 offset:212
	;; [unrolled: 1-line block ×4, first 2 shown]
	s_waitcnt vmcnt(0)
	ds_write_b128 v195, v[1:4]
.LBB126_379:
	s_or_b32 exec_lo, exec_lo, s4
	s_waitcnt lgkmcnt(0)
	s_waitcnt_vscnt null, 0x0
	s_barrier
	buffer_gl0_inv
	s_clause 0x37
	buffer_load_dword v143, off, s[0:3], 0 offset:232
	buffer_load_dword v144, off, s[0:3], 0 offset:236
	;; [unrolled: 1-line block ×56, first 2 shown]
	ds_read_b128 v[5:8], v196 offset:1216
	s_clause 0x2
	buffer_load_dword v192, off, s[0:3], 0 offset:460
	buffer_load_dword v194, off, s[0:3], 0 offset:436
	;; [unrolled: 1-line block ×3, first 2 shown]
	ds_read_b128 v[1:4], v196 offset:1232
	s_clause 0x4
	buffer_load_dword v204, off, s[0:3], 0 offset:476
	buffer_load_dword v205, off, s[0:3], 0 offset:488
	;; [unrolled: 1-line block ×5, first 2 shown]
	ds_read_b128 v[197:200], v196 offset:1248
	s_mov_b32 s4, exec_lo
	s_waitcnt vmcnt(62) lgkmcnt(2)
	v_mul_f64 v[201:202], v[7:8], v[143:144]
	v_mul_f64 v[143:144], v[5:6], v[143:144]
	s_waitcnt vmcnt(60) lgkmcnt(1)
	v_mul_f64 v[208:209], v[3:4], v[139:140]
	v_mul_f64 v[139:140], v[1:2], v[139:140]
	;; [unrolled: 3-line block ×3, first 2 shown]
	v_fma_f64 v[201:202], v[5:6], v[141:142], -v[201:202]
	v_fma_f64 v[141:142], v[7:8], v[141:142], v[143:144]
	s_clause 0x2
	buffer_load_dword v206, off, s[0:3], 0 offset:492
	buffer_load_dword v144, off, s[0:3], 0 offset:468
	;; [unrolled: 1-line block ×3, first 2 shown]
	s_waitcnt vmcnt(57)
	v_fma_f64 v[212:213], v[1:2], v[135:136], -v[208:209]
	ds_read_b128 v[5:8], v196 offset:1264
	v_fma_f64 v[135:136], v[3:4], v[135:136], v[139:140]
	s_waitcnt vmcnt(51)
	v_fma_f64 v[197:198], v[197:198], v[159:160], -v[137:138]
	v_fma_f64 v[159:160], v[199:200], v[159:160], v[210:211]
	v_add_f64 v[201:202], v[201:202], 0
	v_add_f64 v[139:140], v[141:142], 0
	s_clause 0x4
	buffer_load_dword v142, off, s[0:3], 0 offset:508
	buffer_load_dword v209, off, s[0:3], 0 offset:520
	;; [unrolled: 1-line block ×5, first 2 shown]
	s_waitcnt lgkmcnt(0)
	v_mul_f64 v[215:216], v[5:6], v[147:148]
	v_mul_f64 v[147:148], v[7:8], v[147:148]
	ds_read_b128 v[1:4], v196 offset:1280
	s_clause 0x2
	buffer_load_dword v210, off, s[0:3], 0 offset:524
	buffer_load_dword v200, off, s[0:3], 0 offset:500
	;; [unrolled: 1-line block ×3, first 2 shown]
	v_add_f64 v[201:202], v[201:202], v[212:213]
	v_add_f64 v[139:140], v[139:140], v[135:136]
	ds_read_b128 v[135:138], v196 offset:1296
	s_waitcnt vmcnt(58) lgkmcnt(1)
	v_mul_f64 v[211:212], v[1:2], v[151:152]
	v_mul_f64 v[151:152], v[3:4], v[151:152]
	s_waitcnt vmcnt(56)
	v_fma_f64 v[147:148], v[5:6], v[153:154], -v[147:148]
	v_fma_f64 v[153:154], v[7:8], v[153:154], v[215:216]
	s_waitcnt vmcnt(52) lgkmcnt(0)
	v_mul_f64 v[217:218], v[135:136], v[155:156]
	v_add_f64 v[197:198], v[201:202], v[197:198]
	v_add_f64 v[139:140], v[139:140], v[159:160]
	s_clause 0x4
	buffer_load_dword v160, off, s[0:3], 0 offset:540
	buffer_load_dword v201, off, s[0:3], 0 offset:552
	;; [unrolled: 1-line block ×5, first 2 shown]
	v_mul_f64 v[155:156], v[137:138], v[155:156]
	s_waitcnt vmcnt(56)
	v_fma_f64 v[151:152], v[1:2], v[145:146], -v[151:152]
	ds_read_b128 v[5:8], v196 offset:1312
	v_fma_f64 v[145:146], v[3:4], v[145:146], v[211:212]
	v_add_f64 v[147:148], v[197:198], v[147:148]
	v_add_f64 v[139:140], v[139:140], v[153:154]
	s_clause 0x2
	buffer_load_dword v202, off, s[0:3], 0 offset:556
	buffer_load_dword v154, off, s[0:3], 0 offset:532
	;; [unrolled: 1-line block ×3, first 2 shown]
	s_waitcnt vmcnt(58) lgkmcnt(0)
	v_mul_f64 v[197:198], v[5:6], v[161:162]
	v_mul_f64 v[161:162], v[7:8], v[161:162]
	s_waitcnt vmcnt(56)
	v_fma_f64 v[155:156], v[135:136], v[163:164], -v[155:156]
	ds_read_b128 v[1:4], v196 offset:1328
	v_add_f64 v[147:148], v[147:148], v[151:152]
	v_fma_f64 v[151:152], v[137:138], v[163:164], v[217:218]
	v_add_f64 v[139:140], v[139:140], v[145:146]
	s_clause 0x4
	buffer_load_dword v146, off, s[0:3], 0 offset:572
	buffer_load_dword v163, off, s[0:3], 0 offset:584
	;; [unrolled: 1-line block ×5, first 2 shown]
	s_waitcnt vmcnt(57) lgkmcnt(0)
	v_mul_f64 v[212:213], v[1:2], v[165:166]
	v_mul_f64 v[165:166], v[3:4], v[165:166]
	s_waitcnt vmcnt(56)
	v_fma_f64 v[161:162], v[5:6], v[149:150], -v[161:162]
	ds_read_b128 v[135:138], v196 offset:1344
	v_fma_f64 v[149:150], v[7:8], v[149:150], v[197:198]
	v_add_f64 v[147:148], v[147:148], v[155:156]
	v_add_f64 v[139:140], v[139:140], v[151:152]
	s_clause 0x2
	buffer_load_dword v164, off, s[0:3], 0 offset:588
	buffer_load_dword v152, off, s[0:3], 0 offset:564
	;; [unrolled: 1-line block ×3, first 2 shown]
	ds_read_b128 v[5:8], v196 offset:1360
	s_waitcnt vmcnt(58) lgkmcnt(1)
	v_mul_f64 v[155:156], v[135:136], v[169:170]
	v_mul_f64 v[169:170], v[137:138], v[169:170]
	s_waitcnt vmcnt(56)
	v_fma_f64 v[165:166], v[1:2], v[171:172], -v[165:166]
	v_add_f64 v[147:148], v[147:148], v[161:162]
	v_fma_f64 v[161:162], v[3:4], v[171:172], v[212:213]
	v_add_f64 v[139:140], v[139:140], v[149:150]
	s_clause 0x4
	buffer_load_dword v150, off, s[0:3], 0 offset:604
	buffer_load_dword v171, off, s[0:3], 0 offset:616
	;; [unrolled: 1-line block ×5, first 2 shown]
	s_waitcnt vmcnt(57) lgkmcnt(0)
	v_mul_f64 v[218:219], v[5:6], v[173:174]
	v_mul_f64 v[173:174], v[7:8], v[173:174]
	s_waitcnt vmcnt(56)
	v_fma_f64 v[169:170], v[135:136], v[157:158], -v[169:170]
	ds_read_b128 v[1:4], v196 offset:1376
	v_fma_f64 v[155:156], v[137:138], v[157:158], v[155:156]
	s_clause 0x2
	buffer_load_dword v172, off, s[0:3], 0 offset:620
	buffer_load_dword v158, off, s[0:3], 0 offset:596
	;; [unrolled: 1-line block ×3, first 2 shown]
	ds_read_b128 v[135:138], v196 offset:1392
	v_add_f64 v[147:148], v[147:148], v[165:166]
	v_add_f64 v[139:140], v[139:140], v[161:162]
	s_waitcnt vmcnt(58) lgkmcnt(1)
	v_mul_f64 v[165:166], v[3:4], v[177:178]
	s_waitcnt vmcnt(56)
	v_fma_f64 v[173:174], v[5:6], v[179:180], -v[173:174]
	v_mul_f64 v[161:162], v[1:2], v[177:178]
	v_add_f64 v[147:148], v[147:148], v[169:170]
	v_fma_f64 v[169:170], v[7:8], v[179:180], v[218:219]
	v_add_f64 v[139:140], v[139:140], v[155:156]
	s_clause 0x4
	buffer_load_dword v156, off, s[0:3], 0 offset:636
	buffer_load_dword v177, off, s[0:3], 0 offset:648
	;; [unrolled: 1-line block ×5, first 2 shown]
	s_waitcnt vmcnt(57) lgkmcnt(0)
	v_mul_f64 v[218:219], v[135:136], v[181:182]
	v_mul_f64 v[180:181], v[137:138], v[181:182]
	s_waitcnt vmcnt(56)
	v_fma_f64 v[165:166], v[1:2], v[167:168], -v[165:166]
	ds_read_b128 v[5:8], v196 offset:1408
	v_fma_f64 v[161:162], v[3:4], v[167:168], v[161:162]
	s_clause 0x2
	buffer_load_dword v178, off, s[0:3], 0 offset:652
	buffer_load_dword v168, off, s[0:3], 0 offset:628
	;; [unrolled: 1-line block ×3, first 2 shown]
	ds_read_b128 v[1:4], v196 offset:1424
	v_add_f64 v[147:148], v[147:148], v[173:174]
	v_add_f64 v[139:140], v[139:140], v[169:170]
	s_waitcnt vmcnt(58) lgkmcnt(1)
	v_mul_f64 v[173:174], v[7:8], v[185:186]
	s_waitcnt vmcnt(56)
	v_fma_f64 v[181:182], v[135:136], v[187:188], -v[180:181]
	v_mul_f64 v[169:170], v[5:6], v[185:186]
	v_add_f64 v[147:148], v[147:148], v[165:166]
	v_fma_f64 v[165:166], v[137:138], v[187:188], v[218:219]
	v_add_f64 v[139:140], v[139:140], v[161:162]
	s_clause 0x4
	buffer_load_dword v162, off, s[0:3], 0 offset:668
	buffer_load_dword v185, off, s[0:3], 0 offset:680
	buffer_load_dword v187, off, s[0:3], 0 offset:672
	buffer_load_dword v161, off, s[0:3], 0 offset:664
	buffer_load_dword v180, off, s[0:3], 0 offset:644
	s_waitcnt vmcnt(57) lgkmcnt(0)
	v_mul_f64 v[218:219], v[1:2], v[189:190]
	v_mul_f64 v[188:189], v[3:4], v[189:190]
	s_waitcnt vmcnt(56)
	v_fma_f64 v[173:174], v[5:6], v[175:176], -v[173:174]
	ds_read_b128 v[135:138], v196 offset:1440
	v_fma_f64 v[169:170], v[7:8], v[175:176], v[169:170]
	v_add_f64 v[147:148], v[147:148], v[181:182]
	v_add_f64 v[139:140], v[139:140], v[165:166]
	s_clause 0x2
	buffer_load_dword v186, off, s[0:3], 0 offset:684
	buffer_load_dword v166, off, s[0:3], 0 offset:660
	;; [unrolled: 1-line block ×3, first 2 shown]
	ds_read_b128 v[5:8], v196 offset:1456
	s_waitcnt vmcnt(58) lgkmcnt(1)
	v_mul_f64 v[181:182], v[137:138], v[191:192]
	s_waitcnt vmcnt(56)
	v_fma_f64 v[189:190], v[1:2], v[193:194], -v[188:189]
	v_mul_f64 v[175:176], v[135:136], v[191:192]
	v_add_f64 v[147:148], v[147:148], v[173:174]
	v_fma_f64 v[173:174], v[3:4], v[193:194], v[218:219]
	v_add_f64 v[139:140], v[139:140], v[169:170]
	s_clause 0x4
	buffer_load_dword v170, off, s[0:3], 0 offset:700
	buffer_load_dword v191, off, s[0:3], 0 offset:712
	;; [unrolled: 1-line block ×5, first 2 shown]
	s_waitcnt vmcnt(57) lgkmcnt(0)
	v_mul_f64 v[218:219], v[5:6], v[203:204]
	v_mul_f64 v[203:204], v[7:8], v[203:204]
	s_waitcnt vmcnt(56)
	v_fma_f64 v[181:182], v[135:136], v[183:184], -v[181:182]
	ds_read_b128 v[1:4], v196 offset:1472
	v_fma_f64 v[175:176], v[137:138], v[183:184], v[175:176]
	v_add_f64 v[147:148], v[147:148], v[189:190]
	v_add_f64 v[139:140], v[139:140], v[173:174]
	s_clause 0x2
	buffer_load_dword v192, off, s[0:3], 0 offset:716
	buffer_load_dword v174, off, s[0:3], 0 offset:692
	;; [unrolled: 1-line block ×3, first 2 shown]
	ds_read_b128 v[135:138], v196 offset:1488
	s_waitcnt vmcnt(58) lgkmcnt(1)
	v_mul_f64 v[189:190], v[3:4], v[205:206]
	v_mul_f64 v[183:184], v[1:2], v[205:206]
	s_waitcnt vmcnt(56)
	v_fma_f64 v[203:204], v[5:6], v[143:144], -v[203:204]
	v_fma_f64 v[143:144], v[7:8], v[143:144], v[218:219]
	v_add_f64 v[147:148], v[147:148], v[181:182]
	v_add_f64 v[139:140], v[139:140], v[175:176]
	s_clause 0x4
	buffer_load_dword v176, off, s[0:3], 0 offset:732
	buffer_load_dword v181, off, s[0:3], 0 offset:744
	buffer_load_dword v205, off, s[0:3], 0 offset:736
	buffer_load_dword v175, off, s[0:3], 0 offset:728
	buffer_load_dword v194, off, s[0:3], 0 offset:708
	ds_read_b128 v[5:8], v196 offset:1504
	s_waitcnt vmcnt(57) lgkmcnt(1)
	v_mul_f64 v[218:219], v[135:136], v[141:142]
	v_mul_f64 v[141:142], v[137:138], v[141:142]
	s_waitcnt vmcnt(56)
	v_fma_f64 v[189:190], v[1:2], v[207:208], -v[189:190]
	v_fma_f64 v[183:184], v[3:4], v[207:208], v[183:184]
	v_add_f64 v[147:148], v[147:148], v[203:204]
	v_add_f64 v[139:140], v[139:140], v[143:144]
	s_clause 0x2
	buffer_load_dword v182, off, s[0:3], 0 offset:748
	buffer_load_dword v144, off, s[0:3], 0 offset:724
	;; [unrolled: 1-line block ×3, first 2 shown]
	s_waitcnt vmcnt(58) lgkmcnt(0)
	v_mul_f64 v[207:208], v[7:8], v[209:210]
	ds_read_b128 v[1:4], v196 offset:1520
	v_mul_f64 v[203:204], v[5:6], v[209:210]
	s_waitcnt vmcnt(56)
	v_fma_f64 v[141:142], v[135:136], v[199:200], -v[141:142]
	v_add_f64 v[147:148], v[147:148], v[189:190]
	v_fma_f64 v[189:190], v[137:138], v[199:200], v[218:219]
	v_add_f64 v[139:140], v[139:140], v[183:184]
	s_clause 0x4
	buffer_load_dword v184, off, s[0:3], 0 offset:764
	buffer_load_dword v199, off, s[0:3], 0 offset:776
	;; [unrolled: 1-line block ×5, first 2 shown]
	ds_read_b128 v[135:138], v196 offset:1536
	s_waitcnt vmcnt(57) lgkmcnt(1)
	v_mul_f64 v[218:219], v[1:2], v[159:160]
	v_mul_f64 v[159:160], v[3:4], v[159:160]
	s_waitcnt vmcnt(56)
	v_fma_f64 v[207:208], v[5:6], v[214:215], -v[207:208]
	v_add_f64 v[141:142], v[147:148], v[141:142]
	v_fma_f64 v[147:148], v[7:8], v[214:215], v[203:204]
	v_add_f64 v[139:140], v[139:140], v[189:190]
	s_clause 0x2
	buffer_load_dword v200, off, s[0:3], 0 offset:780
	buffer_load_dword v190, off, s[0:3], 0 offset:756
	;; [unrolled: 1-line block ×3, first 2 shown]
	ds_read_b128 v[5:8], v196 offset:1552
	s_waitcnt vmcnt(58) lgkmcnt(1)
	v_mul_f64 v[203:204], v[135:136], v[201:202]
	v_mul_f64 v[201:202], v[137:138], v[201:202]
	s_waitcnt vmcnt(56)
	v_fma_f64 v[159:160], v[1:2], v[153:154], -v[159:160]
	v_fma_f64 v[153:154], v[3:4], v[153:154], v[218:219]
	v_add_f64 v[141:142], v[141:142], v[207:208]
	v_add_f64 v[139:140], v[139:140], v[147:148]
	s_clause 0x4
	buffer_load_dword v148, off, s[0:3], 0 offset:796
	buffer_load_dword v207, off, s[0:3], 0 offset:808
	;; [unrolled: 1-line block ×5, first 2 shown]
	ds_read_b128 v[1:4], v196 offset:1568
	s_waitcnt vmcnt(57) lgkmcnt(1)
	v_mul_f64 v[214:215], v[5:6], v[145:146]
	v_mul_f64 v[145:146], v[7:8], v[145:146]
	s_waitcnt vmcnt(56)
	v_fma_f64 v[201:202], v[135:136], v[216:217], -v[201:202]
	v_add_f64 v[141:142], v[141:142], v[159:160]
	v_fma_f64 v[159:160], v[137:138], v[216:217], v[203:204]
	v_add_f64 v[139:140], v[139:140], v[153:154]
	s_clause 0x2
	buffer_load_dword v208, off, s[0:3], 0 offset:812
	buffer_load_dword v154, off, s[0:3], 0 offset:788
	;; [unrolled: 1-line block ×3, first 2 shown]
	ds_read_b128 v[135:138], v196 offset:1584
	s_waitcnt vmcnt(58) lgkmcnt(1)
	v_mul_f64 v[203:204], v[1:2], v[163:164]
	v_mul_f64 v[163:164], v[3:4], v[163:164]
	s_waitcnt vmcnt(56)
	v_fma_f64 v[145:146], v[5:6], v[151:152], -v[145:146]
	v_fma_f64 v[151:152], v[7:8], v[151:152], v[214:215]
	v_add_f64 v[141:142], v[141:142], v[201:202]
	v_add_f64 v[139:140], v[139:140], v[159:160]
	s_clause 0x4
	buffer_load_dword v160, off, s[0:3], 0 offset:828
	buffer_load_dword v201, off, s[0:3], 0 offset:840
	;; [unrolled: 1-line block ×5, first 2 shown]
	ds_read_b128 v[5:8], v196 offset:1600
	s_waitcnt vmcnt(57) lgkmcnt(1)
	v_mul_f64 v[216:217], v[135:136], v[149:150]
	v_mul_f64 v[149:150], v[137:138], v[149:150]
	s_waitcnt vmcnt(56)
	v_fma_f64 v[163:164], v[1:2], v[211:212], -v[163:164]
	v_add_f64 v[141:142], v[141:142], v[145:146]
	v_fma_f64 v[145:146], v[3:4], v[211:212], v[203:204]
	v_add_f64 v[139:140], v[139:140], v[151:152]
	s_clause 0x2
	buffer_load_dword v202, off, s[0:3], 0 offset:844
	buffer_load_dword v152, off, s[0:3], 0 offset:820
	;; [unrolled: 1-line block ×3, first 2 shown]
	s_waitcnt vmcnt(58) lgkmcnt(0)
	v_mul_f64 v[203:204], v[5:6], v[171:172]
	v_mul_f64 v[171:172], v[7:8], v[171:172]
	ds_read_b128 v[1:4], v196 offset:1616
	s_waitcnt vmcnt(56)
	v_fma_f64 v[149:150], v[135:136], v[157:158], -v[149:150]
	v_fma_f64 v[157:158], v[137:138], v[157:158], v[216:217]
	v_add_f64 v[141:142], v[141:142], v[163:164]
	v_add_f64 v[139:140], v[139:140], v[145:146]
	s_clause 0x4
	buffer_load_dword v146, off, s[0:3], 0 offset:860
	buffer_load_dword v163, off, s[0:3], 0 offset:872
	;; [unrolled: 1-line block ×5, first 2 shown]
	ds_read_b128 v[135:138], v196 offset:1632
	s_waitcnt vmcnt(57) lgkmcnt(1)
	v_mul_f64 v[217:218], v[1:2], v[155:156]
	v_mul_f64 v[155:156], v[3:4], v[155:156]
	s_waitcnt vmcnt(56)
	v_fma_f64 v[171:172], v[5:6], v[197:198], -v[171:172]
	v_add_f64 v[141:142], v[141:142], v[149:150]
	v_fma_f64 v[149:150], v[7:8], v[197:198], v[203:204]
	v_add_f64 v[139:140], v[139:140], v[157:158]
	s_clause 0x2
	buffer_load_dword v164, off, s[0:3], 0 offset:876
	buffer_load_dword v158, off, s[0:3], 0 offset:852
	;; [unrolled: 1-line block ×3, first 2 shown]
	s_waitcnt vmcnt(58) lgkmcnt(0)
	v_mul_f64 v[197:198], v[135:136], v[177:178]
	v_mul_f64 v[177:178], v[137:138], v[177:178]
	ds_read_b128 v[5:8], v196 offset:1648
	s_waitcnt vmcnt(56)
	v_fma_f64 v[155:156], v[1:2], v[167:168], -v[155:156]
	v_fma_f64 v[167:168], v[3:4], v[167:168], v[217:218]
	v_add_f64 v[141:142], v[141:142], v[171:172]
	v_add_f64 v[139:140], v[139:140], v[149:150]
	s_clause 0x4
	buffer_load_dword v150, off, s[0:3], 0 offset:892
	buffer_load_dword v171, off, s[0:3], 0 offset:904
	buffer_load_dword v203, off, s[0:3], 0 offset:896
	buffer_load_dword v149, off, s[0:3], 0 offset:888
	buffer_load_dword v212, off, s[0:3], 0 offset:868
	ds_read_b128 v[1:4], v196 offset:1664
	s_waitcnt vmcnt(57) lgkmcnt(1)
	v_mul_f64 v[217:218], v[5:6], v[161:162]
	v_mul_f64 v[161:162], v[7:8], v[161:162]
	s_waitcnt vmcnt(56)
	v_fma_f64 v[177:178], v[135:136], v[179:180], -v[177:178]
	v_add_f64 v[141:142], v[141:142], v[155:156]
	v_fma_f64 v[155:156], v[137:138], v[179:180], v[197:198]
	v_add_f64 v[139:140], v[139:140], v[167:168]
	s_clause 0x2
	buffer_load_dword v172, off, s[0:3], 0 offset:908
	buffer_load_dword v168, off, s[0:3], 0 offset:884
	buffer_load_dword v167, off, s[0:3], 0 offset:880
	ds_read_b128 v[135:138], v196 offset:1680
	s_waitcnt vmcnt(58) lgkmcnt(1)
	v_mul_f64 v[179:180], v[1:2], v[185:186]
	v_mul_f64 v[185:186], v[3:4], v[185:186]
	s_waitcnt vmcnt(56)
	v_fma_f64 v[161:162], v[5:6], v[165:166], -v[161:162]
	v_fma_f64 v[165:166], v[7:8], v[165:166], v[217:218]
	v_add_f64 v[141:142], v[141:142], v[177:178]
	v_add_f64 v[139:140], v[139:140], v[155:156]
	s_clause 0x4
	buffer_load_dword v156, off, s[0:3], 0 offset:924
	buffer_load_dword v177, off, s[0:3], 0 offset:936
	buffer_load_dword v197, off, s[0:3], 0 offset:928
	buffer_load_dword v155, off, s[0:3], 0 offset:920
	buffer_load_dword v204, off, s[0:3], 0 offset:900
	ds_read_b128 v[5:8], v196 offset:1696
	s_waitcnt vmcnt(57) lgkmcnt(1)
	v_mul_f64 v[217:218], v[135:136], v[169:170]
	v_mul_f64 v[169:170], v[137:138], v[169:170]
	s_waitcnt vmcnt(56)
	v_fma_f64 v[185:186], v[1:2], v[187:188], -v[185:186]
	v_add_f64 v[141:142], v[141:142], v[161:162]
	v_fma_f64 v[161:162], v[3:4], v[187:188], v[179:180]
	v_add_f64 v[139:140], v[139:140], v[165:166]
	s_clause 0x2
	buffer_load_dword v178, off, s[0:3], 0 offset:940
	buffer_load_dword v166, off, s[0:3], 0 offset:916
	buffer_load_dword v165, off, s[0:3], 0 offset:912
	ds_read_b128 v[1:4], v196 offset:1712
	s_waitcnt vmcnt(58) lgkmcnt(1)
	v_mul_f64 v[187:188], v[7:8], v[191:192]
	v_mul_f64 v[179:180], v[5:6], v[191:192]
	;; [unrolled: 28-line block ×4, first 2 shown]
	s_waitcnt vmcnt(56)
	v_fma_f64 v[183:184], v[5:6], v[189:190], -v[183:184]
	v_add_f64 v[141:142], v[141:142], v[181:182]
	v_fma_f64 v[181:182], v[7:8], v[189:190], v[217:218]
	v_add_f64 v[139:140], v[139:140], v[175:176]
	s_clause 0x2
	buffer_load_dword v176, off, s[0:3], 0 offset:1020
	buffer_load_dword v175, off, s[0:3], 0 offset:1016
	;; [unrolled: 1-line block ×3, first 2 shown]
	ds_read_b128 v[5:8], v196 offset:1792
	s_waitcnt vmcnt(55) lgkmcnt(1)
	v_mul_f64 v[189:190], v[135:136], v[147:148]
	v_mul_f64 v[147:148], v[137:138], v[147:148]
	s_waitcnt vmcnt(54)
	v_fma_f64 v[199:200], v[1:2], v[209:210], -v[199:200]
	v_fma_f64 v[179:180], v[3:4], v[209:210], v[179:180]
	v_add_f64 v[141:142], v[141:142], v[183:184]
	v_add_f64 v[139:140], v[139:140], v[181:182]
	s_clause 0x1
	buffer_load_dword v182, off, s[0:3], 0 offset:1012
	buffer_load_dword v181, off, s[0:3], 0 offset:1008
	ds_read_b128 v[1:4], v196 offset:1808
	s_waitcnt vmcnt(55) lgkmcnt(1)
	v_mul_f64 v[205:206], v[7:8], v[207:208]
	v_mul_f64 v[183:184], v[5:6], v[207:208]
	s_waitcnt vmcnt(53)
	v_fma_f64 v[147:148], v[135:136], v[153:154], -v[147:148]
	v_fma_f64 v[153:154], v[137:138], v[153:154], v[189:190]
	ds_read_b128 v[135:138], v196 offset:1824
	v_add_f64 v[141:142], v[141:142], v[199:200]
	v_add_f64 v[139:140], v[139:140], v[179:180]
	s_waitcnt vmcnt(49) lgkmcnt(1)
	v_mul_f64 v[179:180], v[1:2], v[159:160]
	v_mul_f64 v[159:160], v[3:4], v[159:160]
	s_waitcnt vmcnt(48)
	v_fma_f64 v[189:190], v[5:6], v[213:214], -v[205:206]
	v_add_f64 v[141:142], v[141:142], v[147:148]
	v_fma_f64 v[147:148], v[7:8], v[213:214], v[183:184]
	v_add_f64 v[139:140], v[139:140], v[153:154]
	s_clause 0x3
	buffer_load_dword v153, off, s[0:3], 0 offset:208
	buffer_load_dword v154, off, s[0:3], 0 offset:212
	buffer_load_dword v183, off, s[0:3], 0 offset:216
	buffer_load_dword v184, off, s[0:3], 0 offset:220
	ds_read_b128 v[5:8], v196 offset:1840
	s_waitcnt vmcnt(51) lgkmcnt(1)
	v_mul_f64 v[199:200], v[135:136], v[201:202]
	v_mul_f64 v[201:202], v[137:138], v[201:202]
	s_waitcnt vmcnt(49)
	v_fma_f64 v[159:160], v[1:2], v[151:152], -v[159:160]
	v_fma_f64 v[151:152], v[3:4], v[151:152], v[179:180]
	ds_read_b128 v[1:4], v196 offset:1856
	v_add_f64 v[141:142], v[141:142], v[189:190]
	v_add_f64 v[139:140], v[139:140], v[147:148]
	s_waitcnt vmcnt(45) lgkmcnt(1)
	v_mul_f64 v[147:148], v[5:6], v[145:146]
	v_mul_f64 v[145:146], v[7:8], v[145:146]
	s_waitcnt vmcnt(44)
	v_fma_f64 v[179:180], v[135:136], v[215:216], -v[201:202]
	v_add_f64 v[141:142], v[141:142], v[159:160]
	v_fma_f64 v[159:160], v[137:138], v[215:216], v[199:200]
	v_add_f64 v[139:140], v[139:140], v[151:152]
	ds_read_b128 v[135:138], v196 offset:1872
	s_waitcnt vmcnt(43) lgkmcnt(1)
	v_mul_f64 v[151:152], v[1:2], v[163:164]
	v_mul_f64 v[163:164], v[3:4], v[163:164]
	s_waitcnt vmcnt(41)
	v_fma_f64 v[145:146], v[5:6], v[157:158], -v[145:146]
	v_fma_f64 v[147:148], v[7:8], v[157:158], v[147:148]
	ds_read_b128 v[5:8], v196 offset:1888
	v_add_f64 v[141:142], v[141:142], v[179:180]
	v_add_f64 v[139:140], v[139:140], v[159:160]
	s_waitcnt vmcnt(37) lgkmcnt(1)
	v_mul_f64 v[157:158], v[135:136], v[149:150]
	v_mul_f64 v[149:150], v[137:138], v[149:150]
	s_waitcnt vmcnt(36)
	v_fma_f64 v[159:160], v[1:2], v[211:212], -v[163:164]
	v_add_f64 v[141:142], v[141:142], v[145:146]
	v_fma_f64 v[145:146], v[3:4], v[211:212], v[151:152]
	v_add_f64 v[139:140], v[139:140], v[147:148]
	ds_read_b128 v[1:4], v196 offset:1904
	s_waitcnt vmcnt(35) lgkmcnt(1)
	v_mul_f64 v[151:152], v[7:8], v[171:172]
	v_mul_f64 v[147:148], v[5:6], v[171:172]
	s_waitcnt vmcnt(33)
	v_fma_f64 v[149:150], v[135:136], v[167:168], -v[149:150]
	v_fma_f64 v[157:158], v[137:138], v[167:168], v[157:158]
	ds_read_b128 v[135:138], v196 offset:1920
	v_add_f64 v[141:142], v[141:142], v[159:160]
	v_add_f64 v[139:140], v[139:140], v[145:146]
	s_waitcnt vmcnt(29) lgkmcnt(1)
	v_mul_f64 v[145:146], v[1:2], v[155:156]
	v_mul_f64 v[155:156], v[3:4], v[155:156]
	s_waitcnt vmcnt(28)
	v_fma_f64 v[151:152], v[5:6], v[203:204], -v[151:152]
	v_fma_f64 v[147:148], v[7:8], v[203:204], v[147:148]
	ds_read_b128 v[5:8], v196 offset:1936
	v_add_f64 v[141:142], v[141:142], v[149:150]
	v_add_f64 v[139:140], v[139:140], v[157:158]
	;; [unrolled: 9-line block ×3, first 2 shown]
	s_waitcnt vmcnt(21) lgkmcnt(1)
	v_mul_f64 v[151:152], v[7:8], v[161:162]
	s_waitcnt vmcnt(20)
	v_fma_f64 v[157:158], v[135:136], v[197:198], -v[157:158]
	v_mul_f64 v[147:148], v[5:6], v[161:162]
	v_fma_f64 v[149:150], v[137:138], v[197:198], v[149:150]
	ds_read_b128 v[135:138], v196 offset:1968
	v_add_f64 v[141:142], v[141:142], v[155:156]
	v_add_f64 v[139:140], v[139:140], v[145:146]
	s_waitcnt vmcnt(19) lgkmcnt(1)
	v_mul_f64 v[155:156], v[3:4], v[185:186]
	v_mul_f64 v[145:146], v[1:2], v[185:186]
	s_waitcnt vmcnt(17)
	v_fma_f64 v[151:152], v[5:6], v[173:174], -v[151:152]
	v_fma_f64 v[147:148], v[7:8], v[173:174], v[147:148]
	ds_read_b128 v[5:8], v196 offset:1984
	v_add_f64 v[141:142], v[141:142], v[157:158]
	v_add_f64 v[139:140], v[139:140], v[149:150]
	s_waitcnt vmcnt(13) lgkmcnt(1)
	v_mul_f64 v[157:158], v[137:138], v[169:170]
	s_waitcnt vmcnt(12)
	v_fma_f64 v[155:156], v[1:2], v[191:192], -v[155:156]
	v_mul_f64 v[149:150], v[135:136], v[169:170]
	v_fma_f64 v[145:146], v[3:4], v[191:192], v[145:146]
	ds_read_b128 v[1:4], v196 offset:2000
	v_add_f64 v[141:142], v[141:142], v[151:152]
	v_add_f64 v[139:140], v[139:140], v[147:148]
	s_waitcnt vmcnt(11) lgkmcnt(1)
	v_mul_f64 v[151:152], v[7:8], v[187:188]
	v_mul_f64 v[147:148], v[5:6], v[187:188]
	s_waitcnt vmcnt(9)
	v_fma_f64 v[135:136], v[135:136], v[143:144], -v[157:158]
	v_fma_f64 v[137:138], v[137:138], v[143:144], v[149:150]
	v_add_f64 v[141:142], v[141:142], v[155:156]
	v_add_f64 v[139:140], v[139:140], v[145:146]
	s_waitcnt vmcnt(7) lgkmcnt(0)
	v_mul_f64 v[145:146], v[3:4], v[175:176]
	s_waitcnt vmcnt(6)
	v_fma_f64 v[5:6], v[5:6], v[193:194], -v[151:152]
	v_mul_f64 v[143:144], v[1:2], v[175:176]
	v_fma_f64 v[7:8], v[7:8], v[193:194], v[147:148]
	v_add_f64 v[135:136], v[141:142], v[135:136]
	v_add_f64 v[137:138], v[139:140], v[137:138]
	s_waitcnt vmcnt(4)
	v_fma_f64 v[1:2], v[1:2], v[181:182], -v[145:146]
	v_fma_f64 v[3:4], v[3:4], v[181:182], v[143:144]
	v_add_f64 v[5:6], v[135:136], v[5:6]
	v_add_f64 v[7:8], v[137:138], v[7:8]
	;; [unrolled: 1-line block ×4, first 2 shown]
	s_waitcnt vmcnt(2)
	v_add_f64 v[1:2], v[153:154], -v[1:2]
	s_waitcnt vmcnt(0)
	v_add_f64 v[3:4], v[183:184], -v[3:4]
	buffer_store_dword v2, off, s[0:3], 0 offset:212
	buffer_store_dword v1, off, s[0:3], 0 offset:208
	;; [unrolled: 1-line block ×4, first 2 shown]
	v_cmpx_lt_u32_e32 11, v0
	s_cbranch_execz .LBB126_381
; %bb.380:
	v_mov_b32_e32 v4, s66
	v_mov_b32_e32 v5, 0
	s_clause 0x3
	buffer_load_dword v1, v4, s[0:3], 0 offen
	buffer_load_dword v2, v4, s[0:3], 0 offen offset:4
	buffer_load_dword v3, v4, s[0:3], 0 offen offset:8
	;; [unrolled: 1-line block ×3, first 2 shown]
	buffer_store_dword v5, off, s[0:3], 0 offset:192
	buffer_store_dword v5, off, s[0:3], 0 offset:196
	;; [unrolled: 1-line block ×4, first 2 shown]
	s_waitcnt vmcnt(0)
	ds_write_b128 v195, v[1:4]
.LBB126_381:
	s_or_b32 exec_lo, exec_lo, s4
	s_waitcnt lgkmcnt(0)
	s_waitcnt_vscnt null, 0x0
	s_barrier
	buffer_gl0_inv
	s_clause 0x37
	buffer_load_dword v143, off, s[0:3], 0 offset:216
	buffer_load_dword v144, off, s[0:3], 0 offset:220
	;; [unrolled: 1-line block ×56, first 2 shown]
	v_mov_b32_e32 v196, 0
	s_mov_b32 s4, exec_lo
	ds_read_b128 v[5:8], v196 offset:1200
	s_clause 0x2
	buffer_load_dword v192, off, s[0:3], 0 offset:444
	buffer_load_dword v194, off, s[0:3], 0 offset:420
	;; [unrolled: 1-line block ×3, first 2 shown]
	ds_read_b128 v[1:4], v196 offset:1216
	s_clause 0x4
	buffer_load_dword v204, off, s[0:3], 0 offset:460
	buffer_load_dword v205, off, s[0:3], 0 offset:472
	;; [unrolled: 1-line block ×5, first 2 shown]
	ds_read_b128 v[197:200], v196 offset:1232
	s_waitcnt vmcnt(62) lgkmcnt(2)
	v_mul_f64 v[201:202], v[7:8], v[143:144]
	v_mul_f64 v[143:144], v[5:6], v[143:144]
	s_waitcnt vmcnt(60) lgkmcnt(1)
	v_mul_f64 v[208:209], v[3:4], v[139:140]
	v_mul_f64 v[139:140], v[1:2], v[139:140]
	;; [unrolled: 3-line block ×3, first 2 shown]
	v_fma_f64 v[201:202], v[5:6], v[141:142], -v[201:202]
	v_fma_f64 v[141:142], v[7:8], v[141:142], v[143:144]
	s_clause 0x2
	buffer_load_dword v206, off, s[0:3], 0 offset:476
	buffer_load_dword v144, off, s[0:3], 0 offset:452
	;; [unrolled: 1-line block ×3, first 2 shown]
	s_waitcnt vmcnt(57)
	v_fma_f64 v[212:213], v[1:2], v[135:136], -v[208:209]
	ds_read_b128 v[5:8], v196 offset:1248
	v_fma_f64 v[135:136], v[3:4], v[135:136], v[139:140]
	s_waitcnt vmcnt(51)
	v_fma_f64 v[197:198], v[197:198], v[159:160], -v[137:138]
	v_fma_f64 v[159:160], v[199:200], v[159:160], v[210:211]
	v_add_f64 v[201:202], v[201:202], 0
	v_add_f64 v[139:140], v[141:142], 0
	s_clause 0x4
	buffer_load_dword v142, off, s[0:3], 0 offset:492
	buffer_load_dword v209, off, s[0:3], 0 offset:504
	;; [unrolled: 1-line block ×5, first 2 shown]
	s_waitcnt lgkmcnt(0)
	v_mul_f64 v[215:216], v[5:6], v[147:148]
	v_mul_f64 v[147:148], v[7:8], v[147:148]
	ds_read_b128 v[1:4], v196 offset:1264
	s_clause 0x2
	buffer_load_dword v210, off, s[0:3], 0 offset:508
	buffer_load_dword v200, off, s[0:3], 0 offset:484
	buffer_load_dword v199, off, s[0:3], 0 offset:480
	v_add_f64 v[201:202], v[201:202], v[212:213]
	v_add_f64 v[139:140], v[139:140], v[135:136]
	ds_read_b128 v[135:138], v196 offset:1280
	s_waitcnt vmcnt(58) lgkmcnt(1)
	v_mul_f64 v[211:212], v[1:2], v[151:152]
	v_mul_f64 v[151:152], v[3:4], v[151:152]
	s_waitcnt vmcnt(56)
	v_fma_f64 v[147:148], v[5:6], v[153:154], -v[147:148]
	v_fma_f64 v[153:154], v[7:8], v[153:154], v[215:216]
	s_waitcnt vmcnt(52) lgkmcnt(0)
	v_mul_f64 v[217:218], v[135:136], v[155:156]
	v_add_f64 v[197:198], v[201:202], v[197:198]
	v_add_f64 v[139:140], v[139:140], v[159:160]
	s_clause 0x4
	buffer_load_dword v160, off, s[0:3], 0 offset:524
	buffer_load_dword v201, off, s[0:3], 0 offset:536
	buffer_load_dword v216, off, s[0:3], 0 offset:528
	buffer_load_dword v159, off, s[0:3], 0 offset:520
	buffer_load_dword v215, off, s[0:3], 0 offset:500
	v_mul_f64 v[155:156], v[137:138], v[155:156]
	s_waitcnt vmcnt(56)
	v_fma_f64 v[151:152], v[1:2], v[145:146], -v[151:152]
	ds_read_b128 v[5:8], v196 offset:1296
	v_fma_f64 v[145:146], v[3:4], v[145:146], v[211:212]
	v_add_f64 v[147:148], v[197:198], v[147:148]
	v_add_f64 v[139:140], v[139:140], v[153:154]
	s_clause 0x2
	buffer_load_dword v202, off, s[0:3], 0 offset:540
	buffer_load_dword v154, off, s[0:3], 0 offset:516
	;; [unrolled: 1-line block ×3, first 2 shown]
	s_waitcnt vmcnt(58) lgkmcnt(0)
	v_mul_f64 v[197:198], v[5:6], v[161:162]
	v_mul_f64 v[161:162], v[7:8], v[161:162]
	s_waitcnt vmcnt(56)
	v_fma_f64 v[155:156], v[135:136], v[163:164], -v[155:156]
	ds_read_b128 v[1:4], v196 offset:1312
	v_add_f64 v[147:148], v[147:148], v[151:152]
	v_fma_f64 v[151:152], v[137:138], v[163:164], v[217:218]
	v_add_f64 v[139:140], v[139:140], v[145:146]
	s_clause 0x4
	buffer_load_dword v146, off, s[0:3], 0 offset:556
	buffer_load_dword v163, off, s[0:3], 0 offset:568
	;; [unrolled: 1-line block ×5, first 2 shown]
	s_waitcnt vmcnt(57) lgkmcnt(0)
	v_mul_f64 v[212:213], v[1:2], v[165:166]
	v_mul_f64 v[165:166], v[3:4], v[165:166]
	s_waitcnt vmcnt(56)
	v_fma_f64 v[161:162], v[5:6], v[149:150], -v[161:162]
	ds_read_b128 v[135:138], v196 offset:1328
	v_fma_f64 v[149:150], v[7:8], v[149:150], v[197:198]
	v_add_f64 v[147:148], v[147:148], v[155:156]
	v_add_f64 v[139:140], v[139:140], v[151:152]
	s_clause 0x2
	buffer_load_dword v164, off, s[0:3], 0 offset:572
	buffer_load_dword v152, off, s[0:3], 0 offset:548
	;; [unrolled: 1-line block ×3, first 2 shown]
	ds_read_b128 v[5:8], v196 offset:1344
	s_waitcnt vmcnt(58) lgkmcnt(1)
	v_mul_f64 v[155:156], v[135:136], v[169:170]
	v_mul_f64 v[169:170], v[137:138], v[169:170]
	s_waitcnt vmcnt(56)
	v_fma_f64 v[165:166], v[1:2], v[171:172], -v[165:166]
	v_add_f64 v[147:148], v[147:148], v[161:162]
	v_fma_f64 v[161:162], v[3:4], v[171:172], v[212:213]
	v_add_f64 v[139:140], v[139:140], v[149:150]
	s_clause 0x4
	buffer_load_dword v150, off, s[0:3], 0 offset:588
	buffer_load_dword v171, off, s[0:3], 0 offset:600
	;; [unrolled: 1-line block ×5, first 2 shown]
	s_waitcnt vmcnt(57) lgkmcnt(0)
	v_mul_f64 v[218:219], v[5:6], v[173:174]
	v_mul_f64 v[173:174], v[7:8], v[173:174]
	s_waitcnt vmcnt(56)
	v_fma_f64 v[169:170], v[135:136], v[157:158], -v[169:170]
	ds_read_b128 v[1:4], v196 offset:1360
	v_fma_f64 v[155:156], v[137:138], v[157:158], v[155:156]
	s_clause 0x2
	buffer_load_dword v172, off, s[0:3], 0 offset:604
	buffer_load_dword v158, off, s[0:3], 0 offset:580
	;; [unrolled: 1-line block ×3, first 2 shown]
	ds_read_b128 v[135:138], v196 offset:1376
	v_add_f64 v[147:148], v[147:148], v[165:166]
	v_add_f64 v[139:140], v[139:140], v[161:162]
	s_waitcnt vmcnt(58) lgkmcnt(1)
	v_mul_f64 v[165:166], v[3:4], v[177:178]
	s_waitcnt vmcnt(56)
	v_fma_f64 v[173:174], v[5:6], v[179:180], -v[173:174]
	v_mul_f64 v[161:162], v[1:2], v[177:178]
	v_add_f64 v[147:148], v[147:148], v[169:170]
	v_fma_f64 v[169:170], v[7:8], v[179:180], v[218:219]
	v_add_f64 v[139:140], v[139:140], v[155:156]
	s_clause 0x4
	buffer_load_dword v156, off, s[0:3], 0 offset:620
	buffer_load_dword v177, off, s[0:3], 0 offset:632
	;; [unrolled: 1-line block ×5, first 2 shown]
	s_waitcnt vmcnt(57) lgkmcnt(0)
	v_mul_f64 v[218:219], v[135:136], v[181:182]
	v_mul_f64 v[180:181], v[137:138], v[181:182]
	s_waitcnt vmcnt(56)
	v_fma_f64 v[165:166], v[1:2], v[167:168], -v[165:166]
	ds_read_b128 v[5:8], v196 offset:1392
	v_fma_f64 v[161:162], v[3:4], v[167:168], v[161:162]
	s_clause 0x2
	buffer_load_dword v178, off, s[0:3], 0 offset:636
	buffer_load_dword v168, off, s[0:3], 0 offset:612
	;; [unrolled: 1-line block ×3, first 2 shown]
	ds_read_b128 v[1:4], v196 offset:1408
	v_add_f64 v[147:148], v[147:148], v[173:174]
	v_add_f64 v[139:140], v[139:140], v[169:170]
	s_waitcnt vmcnt(58) lgkmcnt(1)
	v_mul_f64 v[173:174], v[7:8], v[185:186]
	s_waitcnt vmcnt(56)
	v_fma_f64 v[181:182], v[135:136], v[187:188], -v[180:181]
	v_mul_f64 v[169:170], v[5:6], v[185:186]
	v_add_f64 v[147:148], v[147:148], v[165:166]
	v_fma_f64 v[165:166], v[137:138], v[187:188], v[218:219]
	v_add_f64 v[139:140], v[139:140], v[161:162]
	s_clause 0x4
	buffer_load_dword v162, off, s[0:3], 0 offset:652
	buffer_load_dword v185, off, s[0:3], 0 offset:664
	;; [unrolled: 1-line block ×5, first 2 shown]
	s_waitcnt vmcnt(57) lgkmcnt(0)
	v_mul_f64 v[218:219], v[1:2], v[189:190]
	v_mul_f64 v[188:189], v[3:4], v[189:190]
	s_waitcnt vmcnt(56)
	v_fma_f64 v[173:174], v[5:6], v[175:176], -v[173:174]
	ds_read_b128 v[135:138], v196 offset:1424
	v_fma_f64 v[169:170], v[7:8], v[175:176], v[169:170]
	v_add_f64 v[147:148], v[147:148], v[181:182]
	v_add_f64 v[139:140], v[139:140], v[165:166]
	s_clause 0x2
	buffer_load_dword v186, off, s[0:3], 0 offset:668
	buffer_load_dword v166, off, s[0:3], 0 offset:644
	;; [unrolled: 1-line block ×3, first 2 shown]
	ds_read_b128 v[5:8], v196 offset:1440
	s_waitcnt vmcnt(58) lgkmcnt(1)
	v_mul_f64 v[181:182], v[137:138], v[191:192]
	s_waitcnt vmcnt(56)
	v_fma_f64 v[189:190], v[1:2], v[193:194], -v[188:189]
	v_mul_f64 v[175:176], v[135:136], v[191:192]
	v_add_f64 v[147:148], v[147:148], v[173:174]
	v_fma_f64 v[173:174], v[3:4], v[193:194], v[218:219]
	v_add_f64 v[139:140], v[139:140], v[169:170]
	s_clause 0x4
	buffer_load_dword v170, off, s[0:3], 0 offset:684
	buffer_load_dword v191, off, s[0:3], 0 offset:696
	;; [unrolled: 1-line block ×5, first 2 shown]
	s_waitcnt vmcnt(57) lgkmcnt(0)
	v_mul_f64 v[218:219], v[5:6], v[203:204]
	v_mul_f64 v[203:204], v[7:8], v[203:204]
	s_waitcnt vmcnt(56)
	v_fma_f64 v[181:182], v[135:136], v[183:184], -v[181:182]
	ds_read_b128 v[1:4], v196 offset:1456
	v_fma_f64 v[175:176], v[137:138], v[183:184], v[175:176]
	v_add_f64 v[147:148], v[147:148], v[189:190]
	v_add_f64 v[139:140], v[139:140], v[173:174]
	s_clause 0x2
	buffer_load_dword v192, off, s[0:3], 0 offset:700
	buffer_load_dword v174, off, s[0:3], 0 offset:676
	buffer_load_dword v173, off, s[0:3], 0 offset:672
	ds_read_b128 v[135:138], v196 offset:1472
	s_waitcnt vmcnt(58) lgkmcnt(1)
	v_mul_f64 v[189:190], v[3:4], v[205:206]
	v_mul_f64 v[183:184], v[1:2], v[205:206]
	s_waitcnt vmcnt(56)
	v_fma_f64 v[203:204], v[5:6], v[143:144], -v[203:204]
	v_fma_f64 v[143:144], v[7:8], v[143:144], v[218:219]
	v_add_f64 v[147:148], v[147:148], v[181:182]
	v_add_f64 v[139:140], v[139:140], v[175:176]
	s_clause 0x4
	buffer_load_dword v176, off, s[0:3], 0 offset:716
	buffer_load_dword v181, off, s[0:3], 0 offset:728
	;; [unrolled: 1-line block ×5, first 2 shown]
	ds_read_b128 v[5:8], v196 offset:1488
	s_waitcnt vmcnt(57) lgkmcnt(1)
	v_mul_f64 v[218:219], v[135:136], v[141:142]
	v_mul_f64 v[141:142], v[137:138], v[141:142]
	s_waitcnt vmcnt(56)
	v_fma_f64 v[189:190], v[1:2], v[207:208], -v[189:190]
	v_fma_f64 v[183:184], v[3:4], v[207:208], v[183:184]
	v_add_f64 v[147:148], v[147:148], v[203:204]
	v_add_f64 v[139:140], v[139:140], v[143:144]
	s_clause 0x2
	buffer_load_dword v182, off, s[0:3], 0 offset:732
	buffer_load_dword v144, off, s[0:3], 0 offset:708
	;; [unrolled: 1-line block ×3, first 2 shown]
	s_waitcnt vmcnt(58) lgkmcnt(0)
	v_mul_f64 v[207:208], v[7:8], v[209:210]
	ds_read_b128 v[1:4], v196 offset:1504
	v_mul_f64 v[203:204], v[5:6], v[209:210]
	s_waitcnt vmcnt(56)
	v_fma_f64 v[141:142], v[135:136], v[199:200], -v[141:142]
	v_add_f64 v[147:148], v[147:148], v[189:190]
	v_fma_f64 v[189:190], v[137:138], v[199:200], v[218:219]
	v_add_f64 v[139:140], v[139:140], v[183:184]
	s_clause 0x4
	buffer_load_dword v184, off, s[0:3], 0 offset:748
	buffer_load_dword v199, off, s[0:3], 0 offset:760
	;; [unrolled: 1-line block ×5, first 2 shown]
	ds_read_b128 v[135:138], v196 offset:1520
	s_waitcnt vmcnt(57) lgkmcnt(1)
	v_mul_f64 v[218:219], v[1:2], v[159:160]
	v_mul_f64 v[159:160], v[3:4], v[159:160]
	s_waitcnt vmcnt(56)
	v_fma_f64 v[207:208], v[5:6], v[214:215], -v[207:208]
	v_add_f64 v[141:142], v[147:148], v[141:142]
	v_fma_f64 v[147:148], v[7:8], v[214:215], v[203:204]
	v_add_f64 v[139:140], v[139:140], v[189:190]
	s_clause 0x2
	buffer_load_dword v200, off, s[0:3], 0 offset:764
	buffer_load_dword v190, off, s[0:3], 0 offset:740
	;; [unrolled: 1-line block ×3, first 2 shown]
	ds_read_b128 v[5:8], v196 offset:1536
	s_waitcnt vmcnt(58) lgkmcnt(1)
	v_mul_f64 v[203:204], v[135:136], v[201:202]
	v_mul_f64 v[201:202], v[137:138], v[201:202]
	s_waitcnt vmcnt(56)
	v_fma_f64 v[159:160], v[1:2], v[153:154], -v[159:160]
	v_fma_f64 v[153:154], v[3:4], v[153:154], v[218:219]
	v_add_f64 v[141:142], v[141:142], v[207:208]
	v_add_f64 v[139:140], v[139:140], v[147:148]
	s_clause 0x4
	buffer_load_dword v148, off, s[0:3], 0 offset:780
	buffer_load_dword v207, off, s[0:3], 0 offset:792
	;; [unrolled: 1-line block ×5, first 2 shown]
	ds_read_b128 v[1:4], v196 offset:1552
	s_waitcnt vmcnt(57) lgkmcnt(1)
	v_mul_f64 v[214:215], v[5:6], v[145:146]
	v_mul_f64 v[145:146], v[7:8], v[145:146]
	s_waitcnt vmcnt(56)
	v_fma_f64 v[201:202], v[135:136], v[216:217], -v[201:202]
	v_add_f64 v[141:142], v[141:142], v[159:160]
	v_fma_f64 v[159:160], v[137:138], v[216:217], v[203:204]
	v_add_f64 v[139:140], v[139:140], v[153:154]
	s_clause 0x2
	buffer_load_dword v208, off, s[0:3], 0 offset:796
	buffer_load_dword v154, off, s[0:3], 0 offset:772
	;; [unrolled: 1-line block ×3, first 2 shown]
	ds_read_b128 v[135:138], v196 offset:1568
	s_waitcnt vmcnt(58) lgkmcnt(1)
	v_mul_f64 v[203:204], v[1:2], v[163:164]
	v_mul_f64 v[163:164], v[3:4], v[163:164]
	s_waitcnt vmcnt(56)
	v_fma_f64 v[145:146], v[5:6], v[151:152], -v[145:146]
	v_fma_f64 v[151:152], v[7:8], v[151:152], v[214:215]
	v_add_f64 v[141:142], v[141:142], v[201:202]
	v_add_f64 v[139:140], v[139:140], v[159:160]
	s_clause 0x4
	buffer_load_dword v160, off, s[0:3], 0 offset:812
	buffer_load_dword v201, off, s[0:3], 0 offset:824
	;; [unrolled: 1-line block ×5, first 2 shown]
	ds_read_b128 v[5:8], v196 offset:1584
	s_waitcnt vmcnt(57) lgkmcnt(1)
	v_mul_f64 v[216:217], v[135:136], v[149:150]
	v_mul_f64 v[149:150], v[137:138], v[149:150]
	s_waitcnt vmcnt(56)
	v_fma_f64 v[163:164], v[1:2], v[211:212], -v[163:164]
	v_add_f64 v[141:142], v[141:142], v[145:146]
	v_fma_f64 v[145:146], v[3:4], v[211:212], v[203:204]
	v_add_f64 v[139:140], v[139:140], v[151:152]
	s_clause 0x2
	buffer_load_dword v202, off, s[0:3], 0 offset:828
	buffer_load_dword v152, off, s[0:3], 0 offset:804
	buffer_load_dword v151, off, s[0:3], 0 offset:800
	s_waitcnt vmcnt(58) lgkmcnt(0)
	v_mul_f64 v[203:204], v[5:6], v[171:172]
	v_mul_f64 v[171:172], v[7:8], v[171:172]
	ds_read_b128 v[1:4], v196 offset:1600
	s_waitcnt vmcnt(56)
	v_fma_f64 v[149:150], v[135:136], v[157:158], -v[149:150]
	v_fma_f64 v[157:158], v[137:138], v[157:158], v[216:217]
	v_add_f64 v[141:142], v[141:142], v[163:164]
	v_add_f64 v[139:140], v[139:140], v[145:146]
	s_clause 0x4
	buffer_load_dword v146, off, s[0:3], 0 offset:844
	buffer_load_dword v163, off, s[0:3], 0 offset:856
	;; [unrolled: 1-line block ×5, first 2 shown]
	ds_read_b128 v[135:138], v196 offset:1616
	s_waitcnt vmcnt(57) lgkmcnt(1)
	v_mul_f64 v[217:218], v[1:2], v[155:156]
	v_mul_f64 v[155:156], v[3:4], v[155:156]
	s_waitcnt vmcnt(56)
	v_fma_f64 v[171:172], v[5:6], v[197:198], -v[171:172]
	v_add_f64 v[141:142], v[141:142], v[149:150]
	v_fma_f64 v[149:150], v[7:8], v[197:198], v[203:204]
	v_add_f64 v[139:140], v[139:140], v[157:158]
	s_clause 0x2
	buffer_load_dword v164, off, s[0:3], 0 offset:860
	buffer_load_dword v158, off, s[0:3], 0 offset:836
	;; [unrolled: 1-line block ×3, first 2 shown]
	s_waitcnt vmcnt(58) lgkmcnt(0)
	v_mul_f64 v[197:198], v[135:136], v[177:178]
	v_mul_f64 v[177:178], v[137:138], v[177:178]
	ds_read_b128 v[5:8], v196 offset:1632
	s_waitcnt vmcnt(56)
	v_fma_f64 v[155:156], v[1:2], v[167:168], -v[155:156]
	v_fma_f64 v[167:168], v[3:4], v[167:168], v[217:218]
	v_add_f64 v[141:142], v[141:142], v[171:172]
	v_add_f64 v[139:140], v[139:140], v[149:150]
	s_clause 0x4
	buffer_load_dword v150, off, s[0:3], 0 offset:876
	buffer_load_dword v171, off, s[0:3], 0 offset:888
	buffer_load_dword v203, off, s[0:3], 0 offset:880
	buffer_load_dword v149, off, s[0:3], 0 offset:872
	buffer_load_dword v212, off, s[0:3], 0 offset:852
	ds_read_b128 v[1:4], v196 offset:1648
	s_waitcnt vmcnt(57) lgkmcnt(1)
	v_mul_f64 v[217:218], v[5:6], v[161:162]
	v_mul_f64 v[161:162], v[7:8], v[161:162]
	s_waitcnt vmcnt(56)
	v_fma_f64 v[177:178], v[135:136], v[179:180], -v[177:178]
	v_add_f64 v[141:142], v[141:142], v[155:156]
	v_fma_f64 v[155:156], v[137:138], v[179:180], v[197:198]
	v_add_f64 v[139:140], v[139:140], v[167:168]
	s_clause 0x2
	buffer_load_dword v172, off, s[0:3], 0 offset:892
	buffer_load_dword v168, off, s[0:3], 0 offset:868
	buffer_load_dword v167, off, s[0:3], 0 offset:864
	ds_read_b128 v[135:138], v196 offset:1664
	s_waitcnt vmcnt(58) lgkmcnt(1)
	v_mul_f64 v[179:180], v[1:2], v[185:186]
	v_mul_f64 v[185:186], v[3:4], v[185:186]
	s_waitcnt vmcnt(56)
	v_fma_f64 v[161:162], v[5:6], v[165:166], -v[161:162]
	v_fma_f64 v[165:166], v[7:8], v[165:166], v[217:218]
	v_add_f64 v[141:142], v[141:142], v[177:178]
	v_add_f64 v[139:140], v[139:140], v[155:156]
	s_clause 0x4
	buffer_load_dword v156, off, s[0:3], 0 offset:908
	buffer_load_dword v177, off, s[0:3], 0 offset:920
	buffer_load_dword v197, off, s[0:3], 0 offset:912
	buffer_load_dword v155, off, s[0:3], 0 offset:904
	buffer_load_dword v204, off, s[0:3], 0 offset:884
	ds_read_b128 v[5:8], v196 offset:1680
	s_waitcnt vmcnt(57) lgkmcnt(1)
	v_mul_f64 v[217:218], v[135:136], v[169:170]
	v_mul_f64 v[169:170], v[137:138], v[169:170]
	s_waitcnt vmcnt(56)
	v_fma_f64 v[185:186], v[1:2], v[187:188], -v[185:186]
	v_add_f64 v[141:142], v[141:142], v[161:162]
	v_fma_f64 v[161:162], v[3:4], v[187:188], v[179:180]
	v_add_f64 v[139:140], v[139:140], v[165:166]
	s_clause 0x2
	buffer_load_dword v178, off, s[0:3], 0 offset:924
	buffer_load_dword v166, off, s[0:3], 0 offset:900
	buffer_load_dword v165, off, s[0:3], 0 offset:896
	ds_read_b128 v[1:4], v196 offset:1696
	s_waitcnt vmcnt(58) lgkmcnt(1)
	v_mul_f64 v[187:188], v[7:8], v[191:192]
	v_mul_f64 v[179:180], v[5:6], v[191:192]
	;; [unrolled: 28-line block ×4, first 2 shown]
	s_waitcnt vmcnt(56)
	v_fma_f64 v[183:184], v[5:6], v[189:190], -v[183:184]
	v_add_f64 v[141:142], v[141:142], v[181:182]
	v_fma_f64 v[181:182], v[7:8], v[189:190], v[217:218]
	v_add_f64 v[139:140], v[139:140], v[175:176]
	s_clause 0x4
	buffer_load_dword v176, off, s[0:3], 0 offset:1004
	buffer_load_dword v189, off, s[0:3], 0 offset:1016
	;; [unrolled: 1-line block ×5, first 2 shown]
	ds_read_b128 v[5:8], v196 offset:1776
	s_waitcnt vmcnt(57) lgkmcnt(1)
	v_mul_f64 v[217:218], v[135:136], v[147:148]
	v_mul_f64 v[147:148], v[137:138], v[147:148]
	s_waitcnt vmcnt(56)
	v_fma_f64 v[199:200], v[1:2], v[209:210], -v[199:200]
	v_fma_f64 v[179:180], v[3:4], v[209:210], v[179:180]
	v_add_f64 v[141:142], v[141:142], v[183:184]
	v_add_f64 v[139:140], v[139:140], v[181:182]
	s_clause 0x2
	buffer_load_dword v190, off, s[0:3], 0 offset:1020
	buffer_load_dword v182, off, s[0:3], 0 offset:996
	;; [unrolled: 1-line block ×3, first 2 shown]
	ds_read_b128 v[1:4], v196 offset:1792
	buffer_load_dword v206, off, s[0:3], 0 offset:1012
	s_waitcnt vmcnt(59) lgkmcnt(1)
	v_mul_f64 v[183:184], v[5:6], v[207:208]
	v_mul_f64 v[207:208], v[7:8], v[207:208]
	s_waitcnt vmcnt(57)
	v_fma_f64 v[147:148], v[135:136], v[153:154], -v[147:148]
	v_fma_f64 v[153:154], v[137:138], v[153:154], v[217:218]
	ds_read_b128 v[135:138], v196 offset:1808
	v_add_f64 v[141:142], v[141:142], v[199:200]
	v_add_f64 v[139:140], v[139:140], v[179:180]
	s_waitcnt vmcnt(53) lgkmcnt(1)
	v_mul_f64 v[179:180], v[1:2], v[159:160]
	v_mul_f64 v[159:160], v[3:4], v[159:160]
	s_waitcnt vmcnt(52)
	v_fma_f64 v[199:200], v[5:6], v[213:214], -v[207:208]
	v_add_f64 v[141:142], v[141:142], v[147:148]
	v_fma_f64 v[147:148], v[7:8], v[213:214], v[183:184]
	v_add_f64 v[139:140], v[139:140], v[153:154]
	ds_read_b128 v[5:8], v196 offset:1824
	s_waitcnt vmcnt(51) lgkmcnt(1)
	v_mul_f64 v[183:184], v[137:138], v[201:202]
	v_mul_f64 v[153:154], v[135:136], v[201:202]
	s_waitcnt vmcnt(49)
	v_fma_f64 v[159:160], v[1:2], v[151:152], -v[159:160]
	v_fma_f64 v[151:152], v[3:4], v[151:152], v[179:180]
	v_add_f64 v[141:142], v[141:142], v[199:200]
	v_add_f64 v[139:140], v[139:140], v[147:148]
	s_clause 0x3
	buffer_load_dword v147, off, s[0:3], 0 offset:192
	buffer_load_dword v148, off, s[0:3], 0 offset:196
	;; [unrolled: 1-line block ×4, first 2 shown]
	ds_read_b128 v[1:4], v196 offset:1840
	s_waitcnt vmcnt(49) lgkmcnt(1)
	v_mul_f64 v[199:200], v[5:6], v[145:146]
	v_mul_f64 v[145:146], v[7:8], v[145:146]
	s_waitcnt vmcnt(48)
	v_fma_f64 v[183:184], v[135:136], v[215:216], -v[183:184]
	v_fma_f64 v[153:154], v[137:138], v[215:216], v[153:154]
	ds_read_b128 v[135:138], v196 offset:1856
	v_add_f64 v[141:142], v[141:142], v[159:160]
	v_add_f64 v[139:140], v[139:140], v[151:152]
	s_waitcnt vmcnt(47) lgkmcnt(1)
	v_mul_f64 v[159:160], v[3:4], v[163:164]
	v_mul_f64 v[151:152], v[1:2], v[163:164]
	s_waitcnt vmcnt(45)
	v_fma_f64 v[145:146], v[5:6], v[157:158], -v[145:146]
	v_fma_f64 v[157:158], v[7:8], v[157:158], v[199:200]
	ds_read_b128 v[5:8], v196 offset:1872
	v_add_f64 v[141:142], v[141:142], v[183:184]
	v_add_f64 v[139:140], v[139:140], v[153:154]
	s_waitcnt vmcnt(41) lgkmcnt(1)
	v_mul_f64 v[153:154], v[135:136], v[149:150]
	v_mul_f64 v[149:150], v[137:138], v[149:150]
	s_waitcnt vmcnt(40)
	v_fma_f64 v[159:160], v[1:2], v[211:212], -v[159:160]
	v_add_f64 v[141:142], v[141:142], v[145:146]
	v_fma_f64 v[145:146], v[3:4], v[211:212], v[151:152]
	v_add_f64 v[139:140], v[139:140], v[157:158]
	ds_read_b128 v[1:4], v196 offset:1888
	s_waitcnt vmcnt(39) lgkmcnt(1)
	v_mul_f64 v[157:158], v[7:8], v[171:172]
	v_mul_f64 v[151:152], v[5:6], v[171:172]
	s_waitcnt vmcnt(37)
	v_fma_f64 v[149:150], v[135:136], v[167:168], -v[149:150]
	v_fma_f64 v[153:154], v[137:138], v[167:168], v[153:154]
	ds_read_b128 v[135:138], v196 offset:1904
	v_add_f64 v[141:142], v[141:142], v[159:160]
	v_add_f64 v[139:140], v[139:140], v[145:146]
	s_waitcnt vmcnt(33) lgkmcnt(1)
	v_mul_f64 v[145:146], v[1:2], v[155:156]
	v_mul_f64 v[155:156], v[3:4], v[155:156]
	s_waitcnt vmcnt(32)
	v_fma_f64 v[157:158], v[5:6], v[203:204], -v[157:158]
	v_add_f64 v[141:142], v[141:142], v[149:150]
	v_fma_f64 v[149:150], v[7:8], v[203:204], v[151:152]
	v_add_f64 v[139:140], v[139:140], v[153:154]
	ds_read_b128 v[5:8], v196 offset:1920
	s_waitcnt vmcnt(31) lgkmcnt(1)
	v_mul_f64 v[153:154], v[137:138], v[177:178]
	v_mul_f64 v[151:152], v[135:136], v[177:178]
	s_waitcnt vmcnt(29)
	v_fma_f64 v[155:156], v[1:2], v[165:166], -v[155:156]
	v_fma_f64 v[145:146], v[3:4], v[165:166], v[145:146]
	ds_read_b128 v[1:4], v196 offset:1936
	v_add_f64 v[141:142], v[141:142], v[157:158]
	v_add_f64 v[139:140], v[139:140], v[149:150]
	s_waitcnt vmcnt(25) lgkmcnt(1)
	v_mul_f64 v[157:158], v[7:8], v[161:162]
	s_waitcnt vmcnt(24)
	v_fma_f64 v[153:154], v[135:136], v[197:198], -v[153:154]
	v_mul_f64 v[149:150], v[5:6], v[161:162]
	v_fma_f64 v[151:152], v[137:138], v[197:198], v[151:152]
	ds_read_b128 v[135:138], v196 offset:1952
	v_add_f64 v[141:142], v[141:142], v[155:156]
	v_add_f64 v[139:140], v[139:140], v[145:146]
	s_waitcnt vmcnt(23) lgkmcnt(1)
	v_mul_f64 v[155:156], v[3:4], v[185:186]
	v_mul_f64 v[145:146], v[1:2], v[185:186]
	s_waitcnt vmcnt(21)
	v_fma_f64 v[157:158], v[5:6], v[173:174], -v[157:158]
	v_fma_f64 v[149:150], v[7:8], v[173:174], v[149:150]
	ds_read_b128 v[5:8], v196 offset:1968
	v_add_f64 v[141:142], v[141:142], v[153:154]
	v_add_f64 v[139:140], v[139:140], v[151:152]
	s_waitcnt vmcnt(17) lgkmcnt(1)
	v_mul_f64 v[153:154], v[137:138], v[169:170]
	s_waitcnt vmcnt(16)
	v_fma_f64 v[155:156], v[1:2], v[191:192], -v[155:156]
	v_mul_f64 v[151:152], v[135:136], v[169:170]
	v_fma_f64 v[145:146], v[3:4], v[191:192], v[145:146]
	ds_read_b128 v[1:4], v196 offset:1984
	v_add_f64 v[141:142], v[141:142], v[157:158]
	v_add_f64 v[139:140], v[139:140], v[149:150]
	s_waitcnt vmcnt(15) lgkmcnt(1)
	v_mul_f64 v[157:158], v[7:8], v[187:188]
	v_mul_f64 v[149:150], v[5:6], v[187:188]
	s_waitcnt vmcnt(13)
	v_fma_f64 v[153:154], v[135:136], v[143:144], -v[153:154]
	v_fma_f64 v[143:144], v[137:138], v[143:144], v[151:152]
	ds_read_b128 v[135:138], v196 offset:2000
	v_add_f64 v[141:142], v[141:142], v[155:156]
	v_add_f64 v[139:140], v[139:140], v[145:146]
	s_waitcnt vmcnt(9) lgkmcnt(1)
	v_mul_f64 v[151:152], v[3:4], v[175:176]
	s_waitcnt vmcnt(8)
	v_fma_f64 v[5:6], v[5:6], v[193:194], -v[157:158]
	v_mul_f64 v[145:146], v[1:2], v[175:176]
	v_fma_f64 v[7:8], v[7:8], v[193:194], v[149:150]
	v_add_f64 v[141:142], v[141:142], v[153:154]
	v_add_f64 v[139:140], v[139:140], v[143:144]
	s_waitcnt vmcnt(7) lgkmcnt(0)
	v_mul_f64 v[149:150], v[137:138], v[189:190]
	v_mul_f64 v[143:144], v[135:136], v[189:190]
	s_waitcnt vmcnt(5)
	v_fma_f64 v[1:2], v[1:2], v[181:182], -v[151:152]
	v_fma_f64 v[3:4], v[3:4], v[181:182], v[145:146]
	v_add_f64 v[5:6], v[141:142], v[5:6]
	v_add_f64 v[7:8], v[139:140], v[7:8]
	s_waitcnt vmcnt(4)
	v_fma_f64 v[135:136], v[135:136], v[205:206], -v[149:150]
	v_add_f64 v[1:2], v[5:6], v[1:2]
	v_fma_f64 v[5:6], v[137:138], v[205:206], v[143:144]
	v_add_f64 v[3:4], v[7:8], v[3:4]
	v_add_f64 v[1:2], v[1:2], v[135:136]
	;; [unrolled: 1-line block ×3, first 2 shown]
	s_waitcnt vmcnt(2)
	v_add_f64 v[1:2], v[147:148], -v[1:2]
	s_waitcnt vmcnt(0)
	v_add_f64 v[3:4], v[179:180], -v[3:4]
	buffer_store_dword v2, off, s[0:3], 0 offset:196
	buffer_store_dword v1, off, s[0:3], 0 offset:192
	;; [unrolled: 1-line block ×4, first 2 shown]
	v_cmpx_lt_u32_e32 10, v0
	s_cbranch_execz .LBB126_383
; %bb.382:
	v_mov_b32_e32 v4, s67
	s_clause 0x3
	buffer_load_dword v1, v4, s[0:3], 0 offen
	buffer_load_dword v2, v4, s[0:3], 0 offen offset:4
	buffer_load_dword v3, v4, s[0:3], 0 offen offset:8
	;; [unrolled: 1-line block ×3, first 2 shown]
	buffer_store_dword v196, off, s[0:3], 0 offset:176
	buffer_store_dword v196, off, s[0:3], 0 offset:180
	;; [unrolled: 1-line block ×4, first 2 shown]
	s_waitcnt vmcnt(0)
	ds_write_b128 v195, v[1:4]
.LBB126_383:
	s_or_b32 exec_lo, exec_lo, s4
	s_waitcnt lgkmcnt(0)
	s_waitcnt_vscnt null, 0x0
	s_barrier
	buffer_gl0_inv
	s_clause 0x37
	buffer_load_dword v143, off, s[0:3], 0 offset:200
	buffer_load_dword v144, off, s[0:3], 0 offset:204
	;; [unrolled: 1-line block ×56, first 2 shown]
	ds_read_b128 v[5:8], v196 offset:1184
	s_clause 0x2
	buffer_load_dword v192, off, s[0:3], 0 offset:428
	buffer_load_dword v194, off, s[0:3], 0 offset:404
	;; [unrolled: 1-line block ×3, first 2 shown]
	ds_read_b128 v[1:4], v196 offset:1200
	s_clause 0x4
	buffer_load_dword v204, off, s[0:3], 0 offset:444
	buffer_load_dword v205, off, s[0:3], 0 offset:456
	buffer_load_dword v207, off, s[0:3], 0 offset:448
	buffer_load_dword v203, off, s[0:3], 0 offset:440
	buffer_load_dword v184, off, s[0:3], 0 offset:420
	ds_read_b128 v[197:200], v196 offset:1216
	s_mov_b32 s4, exec_lo
	s_waitcnt vmcnt(62) lgkmcnt(2)
	v_mul_f64 v[201:202], v[7:8], v[143:144]
	v_mul_f64 v[143:144], v[5:6], v[143:144]
	s_waitcnt vmcnt(60) lgkmcnt(1)
	v_mul_f64 v[208:209], v[3:4], v[139:140]
	v_mul_f64 v[139:140], v[1:2], v[139:140]
	;; [unrolled: 3-line block ×3, first 2 shown]
	v_fma_f64 v[201:202], v[5:6], v[141:142], -v[201:202]
	v_fma_f64 v[141:142], v[7:8], v[141:142], v[143:144]
	s_clause 0x2
	buffer_load_dword v206, off, s[0:3], 0 offset:460
	buffer_load_dword v144, off, s[0:3], 0 offset:436
	;; [unrolled: 1-line block ×3, first 2 shown]
	s_waitcnt vmcnt(57)
	v_fma_f64 v[212:213], v[1:2], v[135:136], -v[208:209]
	ds_read_b128 v[5:8], v196 offset:1232
	v_fma_f64 v[135:136], v[3:4], v[135:136], v[139:140]
	s_waitcnt vmcnt(51)
	v_fma_f64 v[197:198], v[197:198], v[159:160], -v[137:138]
	v_fma_f64 v[159:160], v[199:200], v[159:160], v[210:211]
	v_add_f64 v[201:202], v[201:202], 0
	v_add_f64 v[139:140], v[141:142], 0
	s_clause 0x4
	buffer_load_dword v142, off, s[0:3], 0 offset:476
	buffer_load_dword v209, off, s[0:3], 0 offset:488
	;; [unrolled: 1-line block ×5, first 2 shown]
	s_waitcnt lgkmcnt(0)
	v_mul_f64 v[215:216], v[5:6], v[147:148]
	v_mul_f64 v[147:148], v[7:8], v[147:148]
	ds_read_b128 v[1:4], v196 offset:1248
	s_clause 0x2
	buffer_load_dword v210, off, s[0:3], 0 offset:492
	buffer_load_dword v200, off, s[0:3], 0 offset:468
	;; [unrolled: 1-line block ×3, first 2 shown]
	v_add_f64 v[201:202], v[201:202], v[212:213]
	v_add_f64 v[139:140], v[139:140], v[135:136]
	ds_read_b128 v[135:138], v196 offset:1264
	s_waitcnt vmcnt(58) lgkmcnt(1)
	v_mul_f64 v[211:212], v[1:2], v[151:152]
	v_mul_f64 v[151:152], v[3:4], v[151:152]
	s_waitcnt vmcnt(56)
	v_fma_f64 v[147:148], v[5:6], v[153:154], -v[147:148]
	v_fma_f64 v[153:154], v[7:8], v[153:154], v[215:216]
	s_waitcnt vmcnt(52) lgkmcnt(0)
	v_mul_f64 v[217:218], v[135:136], v[155:156]
	v_add_f64 v[197:198], v[201:202], v[197:198]
	v_add_f64 v[139:140], v[139:140], v[159:160]
	s_clause 0x4
	buffer_load_dword v160, off, s[0:3], 0 offset:508
	buffer_load_dword v201, off, s[0:3], 0 offset:520
	buffer_load_dword v216, off, s[0:3], 0 offset:512
	buffer_load_dword v159, off, s[0:3], 0 offset:504
	buffer_load_dword v215, off, s[0:3], 0 offset:484
	v_mul_f64 v[155:156], v[137:138], v[155:156]
	s_waitcnt vmcnt(56)
	v_fma_f64 v[151:152], v[1:2], v[145:146], -v[151:152]
	ds_read_b128 v[5:8], v196 offset:1280
	v_fma_f64 v[145:146], v[3:4], v[145:146], v[211:212]
	v_add_f64 v[147:148], v[197:198], v[147:148]
	v_add_f64 v[139:140], v[139:140], v[153:154]
	s_clause 0x2
	buffer_load_dword v202, off, s[0:3], 0 offset:524
	buffer_load_dword v154, off, s[0:3], 0 offset:500
	;; [unrolled: 1-line block ×3, first 2 shown]
	s_waitcnt vmcnt(58) lgkmcnt(0)
	v_mul_f64 v[197:198], v[5:6], v[161:162]
	v_mul_f64 v[161:162], v[7:8], v[161:162]
	s_waitcnt vmcnt(56)
	v_fma_f64 v[155:156], v[135:136], v[163:164], -v[155:156]
	ds_read_b128 v[1:4], v196 offset:1296
	v_add_f64 v[147:148], v[147:148], v[151:152]
	v_fma_f64 v[151:152], v[137:138], v[163:164], v[217:218]
	v_add_f64 v[139:140], v[139:140], v[145:146]
	s_clause 0x4
	buffer_load_dword v146, off, s[0:3], 0 offset:540
	buffer_load_dword v163, off, s[0:3], 0 offset:552
	;; [unrolled: 1-line block ×5, first 2 shown]
	s_waitcnt vmcnt(57) lgkmcnt(0)
	v_mul_f64 v[212:213], v[1:2], v[165:166]
	v_mul_f64 v[165:166], v[3:4], v[165:166]
	s_waitcnt vmcnt(56)
	v_fma_f64 v[161:162], v[5:6], v[149:150], -v[161:162]
	ds_read_b128 v[135:138], v196 offset:1312
	v_fma_f64 v[149:150], v[7:8], v[149:150], v[197:198]
	v_add_f64 v[147:148], v[147:148], v[155:156]
	v_add_f64 v[139:140], v[139:140], v[151:152]
	s_clause 0x2
	buffer_load_dword v164, off, s[0:3], 0 offset:556
	buffer_load_dword v152, off, s[0:3], 0 offset:532
	;; [unrolled: 1-line block ×3, first 2 shown]
	ds_read_b128 v[5:8], v196 offset:1328
	s_waitcnt vmcnt(58) lgkmcnt(1)
	v_mul_f64 v[155:156], v[135:136], v[169:170]
	v_mul_f64 v[169:170], v[137:138], v[169:170]
	s_waitcnt vmcnt(56)
	v_fma_f64 v[165:166], v[1:2], v[171:172], -v[165:166]
	v_add_f64 v[147:148], v[147:148], v[161:162]
	v_fma_f64 v[161:162], v[3:4], v[171:172], v[212:213]
	v_add_f64 v[139:140], v[139:140], v[149:150]
	s_clause 0x4
	buffer_load_dword v150, off, s[0:3], 0 offset:572
	buffer_load_dword v171, off, s[0:3], 0 offset:584
	;; [unrolled: 1-line block ×5, first 2 shown]
	s_waitcnt vmcnt(57) lgkmcnt(0)
	v_mul_f64 v[218:219], v[5:6], v[173:174]
	v_mul_f64 v[173:174], v[7:8], v[173:174]
	s_waitcnt vmcnt(56)
	v_fma_f64 v[169:170], v[135:136], v[157:158], -v[169:170]
	ds_read_b128 v[1:4], v196 offset:1344
	v_fma_f64 v[155:156], v[137:138], v[157:158], v[155:156]
	s_clause 0x2
	buffer_load_dword v172, off, s[0:3], 0 offset:588
	buffer_load_dword v158, off, s[0:3], 0 offset:564
	;; [unrolled: 1-line block ×3, first 2 shown]
	ds_read_b128 v[135:138], v196 offset:1360
	v_add_f64 v[147:148], v[147:148], v[165:166]
	v_add_f64 v[139:140], v[139:140], v[161:162]
	s_waitcnt vmcnt(58) lgkmcnt(1)
	v_mul_f64 v[165:166], v[3:4], v[177:178]
	s_waitcnt vmcnt(56)
	v_fma_f64 v[173:174], v[5:6], v[179:180], -v[173:174]
	v_mul_f64 v[161:162], v[1:2], v[177:178]
	v_add_f64 v[147:148], v[147:148], v[169:170]
	v_fma_f64 v[169:170], v[7:8], v[179:180], v[218:219]
	v_add_f64 v[139:140], v[139:140], v[155:156]
	s_clause 0x4
	buffer_load_dword v156, off, s[0:3], 0 offset:604
	buffer_load_dword v177, off, s[0:3], 0 offset:616
	;; [unrolled: 1-line block ×5, first 2 shown]
	s_waitcnt vmcnt(57) lgkmcnt(0)
	v_mul_f64 v[218:219], v[135:136], v[181:182]
	v_mul_f64 v[180:181], v[137:138], v[181:182]
	s_waitcnt vmcnt(56)
	v_fma_f64 v[165:166], v[1:2], v[167:168], -v[165:166]
	ds_read_b128 v[5:8], v196 offset:1376
	v_fma_f64 v[161:162], v[3:4], v[167:168], v[161:162]
	s_clause 0x2
	buffer_load_dword v178, off, s[0:3], 0 offset:620
	buffer_load_dword v168, off, s[0:3], 0 offset:596
	;; [unrolled: 1-line block ×3, first 2 shown]
	ds_read_b128 v[1:4], v196 offset:1392
	v_add_f64 v[147:148], v[147:148], v[173:174]
	v_add_f64 v[139:140], v[139:140], v[169:170]
	s_waitcnt vmcnt(58) lgkmcnt(1)
	v_mul_f64 v[173:174], v[7:8], v[185:186]
	s_waitcnt vmcnt(56)
	v_fma_f64 v[181:182], v[135:136], v[187:188], -v[180:181]
	v_mul_f64 v[169:170], v[5:6], v[185:186]
	v_add_f64 v[147:148], v[147:148], v[165:166]
	v_fma_f64 v[165:166], v[137:138], v[187:188], v[218:219]
	v_add_f64 v[139:140], v[139:140], v[161:162]
	s_clause 0x4
	buffer_load_dword v162, off, s[0:3], 0 offset:636
	buffer_load_dword v185, off, s[0:3], 0 offset:648
	;; [unrolled: 1-line block ×5, first 2 shown]
	s_waitcnt vmcnt(57) lgkmcnt(0)
	v_mul_f64 v[218:219], v[1:2], v[189:190]
	v_mul_f64 v[188:189], v[3:4], v[189:190]
	s_waitcnt vmcnt(56)
	v_fma_f64 v[173:174], v[5:6], v[175:176], -v[173:174]
	ds_read_b128 v[135:138], v196 offset:1408
	v_fma_f64 v[169:170], v[7:8], v[175:176], v[169:170]
	v_add_f64 v[147:148], v[147:148], v[181:182]
	v_add_f64 v[139:140], v[139:140], v[165:166]
	s_clause 0x2
	buffer_load_dword v186, off, s[0:3], 0 offset:652
	buffer_load_dword v166, off, s[0:3], 0 offset:628
	;; [unrolled: 1-line block ×3, first 2 shown]
	ds_read_b128 v[5:8], v196 offset:1424
	s_waitcnt vmcnt(58) lgkmcnt(1)
	v_mul_f64 v[181:182], v[137:138], v[191:192]
	s_waitcnt vmcnt(56)
	v_fma_f64 v[189:190], v[1:2], v[193:194], -v[188:189]
	v_mul_f64 v[175:176], v[135:136], v[191:192]
	v_add_f64 v[147:148], v[147:148], v[173:174]
	v_fma_f64 v[173:174], v[3:4], v[193:194], v[218:219]
	v_add_f64 v[139:140], v[139:140], v[169:170]
	s_clause 0x4
	buffer_load_dword v170, off, s[0:3], 0 offset:668
	buffer_load_dword v191, off, s[0:3], 0 offset:680
	buffer_load_dword v193, off, s[0:3], 0 offset:672
	buffer_load_dword v169, off, s[0:3], 0 offset:664
	buffer_load_dword v188, off, s[0:3], 0 offset:644
	s_waitcnt vmcnt(57) lgkmcnt(0)
	v_mul_f64 v[218:219], v[5:6], v[203:204]
	v_mul_f64 v[203:204], v[7:8], v[203:204]
	s_waitcnt vmcnt(56)
	v_fma_f64 v[181:182], v[135:136], v[183:184], -v[181:182]
	ds_read_b128 v[1:4], v196 offset:1440
	v_fma_f64 v[175:176], v[137:138], v[183:184], v[175:176]
	v_add_f64 v[147:148], v[147:148], v[189:190]
	v_add_f64 v[139:140], v[139:140], v[173:174]
	s_clause 0x2
	buffer_load_dword v192, off, s[0:3], 0 offset:684
	buffer_load_dword v174, off, s[0:3], 0 offset:660
	;; [unrolled: 1-line block ×3, first 2 shown]
	ds_read_b128 v[135:138], v196 offset:1456
	s_waitcnt vmcnt(58) lgkmcnt(1)
	v_mul_f64 v[189:190], v[3:4], v[205:206]
	v_mul_f64 v[183:184], v[1:2], v[205:206]
	s_waitcnt vmcnt(56)
	v_fma_f64 v[203:204], v[5:6], v[143:144], -v[203:204]
	v_fma_f64 v[143:144], v[7:8], v[143:144], v[218:219]
	v_add_f64 v[147:148], v[147:148], v[181:182]
	v_add_f64 v[139:140], v[139:140], v[175:176]
	s_clause 0x4
	buffer_load_dword v176, off, s[0:3], 0 offset:700
	buffer_load_dword v181, off, s[0:3], 0 offset:712
	;; [unrolled: 1-line block ×5, first 2 shown]
	ds_read_b128 v[5:8], v196 offset:1472
	s_waitcnt vmcnt(57) lgkmcnt(1)
	v_mul_f64 v[218:219], v[135:136], v[141:142]
	v_mul_f64 v[141:142], v[137:138], v[141:142]
	s_waitcnt vmcnt(56)
	v_fma_f64 v[189:190], v[1:2], v[207:208], -v[189:190]
	v_fma_f64 v[183:184], v[3:4], v[207:208], v[183:184]
	v_add_f64 v[147:148], v[147:148], v[203:204]
	v_add_f64 v[139:140], v[139:140], v[143:144]
	s_clause 0x2
	buffer_load_dword v182, off, s[0:3], 0 offset:716
	buffer_load_dword v144, off, s[0:3], 0 offset:692
	;; [unrolled: 1-line block ×3, first 2 shown]
	s_waitcnt vmcnt(58) lgkmcnt(0)
	v_mul_f64 v[207:208], v[7:8], v[209:210]
	ds_read_b128 v[1:4], v196 offset:1488
	v_mul_f64 v[203:204], v[5:6], v[209:210]
	s_waitcnt vmcnt(56)
	v_fma_f64 v[141:142], v[135:136], v[199:200], -v[141:142]
	v_add_f64 v[147:148], v[147:148], v[189:190]
	v_fma_f64 v[189:190], v[137:138], v[199:200], v[218:219]
	v_add_f64 v[139:140], v[139:140], v[183:184]
	s_clause 0x4
	buffer_load_dword v184, off, s[0:3], 0 offset:732
	buffer_load_dword v199, off, s[0:3], 0 offset:744
	;; [unrolled: 1-line block ×5, first 2 shown]
	ds_read_b128 v[135:138], v196 offset:1504
	s_waitcnt vmcnt(57) lgkmcnt(1)
	v_mul_f64 v[218:219], v[1:2], v[159:160]
	v_mul_f64 v[159:160], v[3:4], v[159:160]
	s_waitcnt vmcnt(56)
	v_fma_f64 v[207:208], v[5:6], v[214:215], -v[207:208]
	v_add_f64 v[141:142], v[147:148], v[141:142]
	v_fma_f64 v[147:148], v[7:8], v[214:215], v[203:204]
	v_add_f64 v[139:140], v[139:140], v[189:190]
	s_clause 0x2
	buffer_load_dword v200, off, s[0:3], 0 offset:748
	buffer_load_dword v190, off, s[0:3], 0 offset:724
	;; [unrolled: 1-line block ×3, first 2 shown]
	ds_read_b128 v[5:8], v196 offset:1520
	s_waitcnt vmcnt(58) lgkmcnt(1)
	v_mul_f64 v[203:204], v[135:136], v[201:202]
	v_mul_f64 v[201:202], v[137:138], v[201:202]
	s_waitcnt vmcnt(56)
	v_fma_f64 v[159:160], v[1:2], v[153:154], -v[159:160]
	v_fma_f64 v[153:154], v[3:4], v[153:154], v[218:219]
	v_add_f64 v[141:142], v[141:142], v[207:208]
	v_add_f64 v[139:140], v[139:140], v[147:148]
	s_clause 0x4
	buffer_load_dword v148, off, s[0:3], 0 offset:764
	buffer_load_dword v207, off, s[0:3], 0 offset:776
	;; [unrolled: 1-line block ×5, first 2 shown]
	ds_read_b128 v[1:4], v196 offset:1536
	s_waitcnt vmcnt(57) lgkmcnt(1)
	v_mul_f64 v[214:215], v[5:6], v[145:146]
	v_mul_f64 v[145:146], v[7:8], v[145:146]
	s_waitcnt vmcnt(56)
	v_fma_f64 v[201:202], v[135:136], v[216:217], -v[201:202]
	v_add_f64 v[141:142], v[141:142], v[159:160]
	v_fma_f64 v[159:160], v[137:138], v[216:217], v[203:204]
	v_add_f64 v[139:140], v[139:140], v[153:154]
	s_clause 0x2
	buffer_load_dword v208, off, s[0:3], 0 offset:780
	buffer_load_dword v154, off, s[0:3], 0 offset:756
	;; [unrolled: 1-line block ×3, first 2 shown]
	ds_read_b128 v[135:138], v196 offset:1552
	s_waitcnt vmcnt(58) lgkmcnt(1)
	v_mul_f64 v[203:204], v[1:2], v[163:164]
	v_mul_f64 v[163:164], v[3:4], v[163:164]
	s_waitcnt vmcnt(56)
	v_fma_f64 v[145:146], v[5:6], v[151:152], -v[145:146]
	v_fma_f64 v[151:152], v[7:8], v[151:152], v[214:215]
	v_add_f64 v[141:142], v[141:142], v[201:202]
	v_add_f64 v[139:140], v[139:140], v[159:160]
	s_clause 0x4
	buffer_load_dword v160, off, s[0:3], 0 offset:796
	buffer_load_dword v201, off, s[0:3], 0 offset:808
	;; [unrolled: 1-line block ×5, first 2 shown]
	ds_read_b128 v[5:8], v196 offset:1568
	s_waitcnt vmcnt(57) lgkmcnt(1)
	v_mul_f64 v[216:217], v[135:136], v[149:150]
	v_mul_f64 v[149:150], v[137:138], v[149:150]
	s_waitcnt vmcnt(56)
	v_fma_f64 v[163:164], v[1:2], v[211:212], -v[163:164]
	v_add_f64 v[141:142], v[141:142], v[145:146]
	v_fma_f64 v[145:146], v[3:4], v[211:212], v[203:204]
	v_add_f64 v[139:140], v[139:140], v[151:152]
	s_clause 0x2
	buffer_load_dword v202, off, s[0:3], 0 offset:812
	buffer_load_dword v152, off, s[0:3], 0 offset:788
	;; [unrolled: 1-line block ×3, first 2 shown]
	s_waitcnt vmcnt(58) lgkmcnt(0)
	v_mul_f64 v[203:204], v[5:6], v[171:172]
	v_mul_f64 v[171:172], v[7:8], v[171:172]
	ds_read_b128 v[1:4], v196 offset:1584
	s_waitcnt vmcnt(56)
	v_fma_f64 v[149:150], v[135:136], v[157:158], -v[149:150]
	v_fma_f64 v[157:158], v[137:138], v[157:158], v[216:217]
	v_add_f64 v[141:142], v[141:142], v[163:164]
	v_add_f64 v[139:140], v[139:140], v[145:146]
	s_clause 0x4
	buffer_load_dword v146, off, s[0:3], 0 offset:828
	buffer_load_dword v163, off, s[0:3], 0 offset:840
	;; [unrolled: 1-line block ×5, first 2 shown]
	ds_read_b128 v[135:138], v196 offset:1600
	s_waitcnt vmcnt(57) lgkmcnt(1)
	v_mul_f64 v[217:218], v[1:2], v[155:156]
	v_mul_f64 v[155:156], v[3:4], v[155:156]
	s_waitcnt vmcnt(56)
	v_fma_f64 v[171:172], v[5:6], v[197:198], -v[171:172]
	v_add_f64 v[141:142], v[141:142], v[149:150]
	v_fma_f64 v[149:150], v[7:8], v[197:198], v[203:204]
	v_add_f64 v[139:140], v[139:140], v[157:158]
	s_clause 0x2
	buffer_load_dword v164, off, s[0:3], 0 offset:844
	buffer_load_dword v158, off, s[0:3], 0 offset:820
	;; [unrolled: 1-line block ×3, first 2 shown]
	s_waitcnt vmcnt(58) lgkmcnt(0)
	v_mul_f64 v[197:198], v[135:136], v[177:178]
	v_mul_f64 v[177:178], v[137:138], v[177:178]
	ds_read_b128 v[5:8], v196 offset:1616
	s_waitcnt vmcnt(56)
	v_fma_f64 v[155:156], v[1:2], v[167:168], -v[155:156]
	v_fma_f64 v[167:168], v[3:4], v[167:168], v[217:218]
	v_add_f64 v[141:142], v[141:142], v[171:172]
	v_add_f64 v[139:140], v[139:140], v[149:150]
	s_clause 0x4
	buffer_load_dword v150, off, s[0:3], 0 offset:860
	buffer_load_dword v171, off, s[0:3], 0 offset:872
	buffer_load_dword v203, off, s[0:3], 0 offset:864
	buffer_load_dword v149, off, s[0:3], 0 offset:856
	buffer_load_dword v212, off, s[0:3], 0 offset:836
	ds_read_b128 v[1:4], v196 offset:1632
	s_waitcnt vmcnt(57) lgkmcnt(1)
	v_mul_f64 v[217:218], v[5:6], v[161:162]
	v_mul_f64 v[161:162], v[7:8], v[161:162]
	s_waitcnt vmcnt(56)
	v_fma_f64 v[177:178], v[135:136], v[179:180], -v[177:178]
	v_add_f64 v[141:142], v[141:142], v[155:156]
	v_fma_f64 v[155:156], v[137:138], v[179:180], v[197:198]
	v_add_f64 v[139:140], v[139:140], v[167:168]
	s_clause 0x2
	buffer_load_dword v172, off, s[0:3], 0 offset:876
	buffer_load_dword v168, off, s[0:3], 0 offset:852
	buffer_load_dword v167, off, s[0:3], 0 offset:848
	ds_read_b128 v[135:138], v196 offset:1648
	s_waitcnt vmcnt(58) lgkmcnt(1)
	v_mul_f64 v[179:180], v[1:2], v[185:186]
	v_mul_f64 v[185:186], v[3:4], v[185:186]
	s_waitcnt vmcnt(56)
	v_fma_f64 v[161:162], v[5:6], v[165:166], -v[161:162]
	v_fma_f64 v[165:166], v[7:8], v[165:166], v[217:218]
	v_add_f64 v[141:142], v[141:142], v[177:178]
	v_add_f64 v[139:140], v[139:140], v[155:156]
	s_clause 0x4
	buffer_load_dword v156, off, s[0:3], 0 offset:892
	buffer_load_dword v177, off, s[0:3], 0 offset:904
	buffer_load_dword v197, off, s[0:3], 0 offset:896
	buffer_load_dword v155, off, s[0:3], 0 offset:888
	buffer_load_dword v204, off, s[0:3], 0 offset:868
	ds_read_b128 v[5:8], v196 offset:1664
	s_waitcnt vmcnt(57) lgkmcnt(1)
	v_mul_f64 v[217:218], v[135:136], v[169:170]
	v_mul_f64 v[169:170], v[137:138], v[169:170]
	s_waitcnt vmcnt(56)
	v_fma_f64 v[185:186], v[1:2], v[187:188], -v[185:186]
	v_add_f64 v[141:142], v[141:142], v[161:162]
	v_fma_f64 v[161:162], v[3:4], v[187:188], v[179:180]
	v_add_f64 v[139:140], v[139:140], v[165:166]
	s_clause 0x2
	buffer_load_dword v178, off, s[0:3], 0 offset:908
	buffer_load_dword v166, off, s[0:3], 0 offset:884
	buffer_load_dword v165, off, s[0:3], 0 offset:880
	ds_read_b128 v[1:4], v196 offset:1680
	s_waitcnt vmcnt(58) lgkmcnt(1)
	v_mul_f64 v[187:188], v[7:8], v[191:192]
	v_mul_f64 v[179:180], v[5:6], v[191:192]
	;; [unrolled: 28-line block ×4, first 2 shown]
	s_waitcnt vmcnt(56)
	v_fma_f64 v[183:184], v[5:6], v[189:190], -v[183:184]
	v_add_f64 v[141:142], v[141:142], v[181:182]
	v_fma_f64 v[181:182], v[7:8], v[189:190], v[217:218]
	v_add_f64 v[139:140], v[139:140], v[175:176]
	s_clause 0x4
	buffer_load_dword v176, off, s[0:3], 0 offset:988
	buffer_load_dword v189, off, s[0:3], 0 offset:1000
	;; [unrolled: 1-line block ×5, first 2 shown]
	ds_read_b128 v[5:8], v196 offset:1760
	s_waitcnt vmcnt(57) lgkmcnt(1)
	v_mul_f64 v[217:218], v[135:136], v[147:148]
	v_mul_f64 v[147:148], v[137:138], v[147:148]
	s_waitcnt vmcnt(56)
	v_fma_f64 v[199:200], v[1:2], v[209:210], -v[199:200]
	v_fma_f64 v[179:180], v[3:4], v[209:210], v[179:180]
	v_add_f64 v[141:142], v[141:142], v[183:184]
	v_add_f64 v[139:140], v[139:140], v[181:182]
	s_clause 0x2
	buffer_load_dword v190, off, s[0:3], 0 offset:1004
	buffer_load_dword v182, off, s[0:3], 0 offset:980
	;; [unrolled: 1-line block ×3, first 2 shown]
	ds_read_b128 v[1:4], v196 offset:1776
	s_waitcnt vmcnt(58) lgkmcnt(1)
	v_mul_f64 v[183:184], v[5:6], v[207:208]
	v_mul_f64 v[207:208], v[7:8], v[207:208]
	s_waitcnt vmcnt(56)
	v_fma_f64 v[147:148], v[135:136], v[153:154], -v[147:148]
	v_fma_f64 v[153:154], v[137:138], v[153:154], v[217:218]
	v_add_f64 v[141:142], v[141:142], v[199:200]
	v_add_f64 v[139:140], v[139:140], v[179:180]
	s_clause 0x2
	buffer_load_dword v180, off, s[0:3], 0 offset:1020
	buffer_load_dword v179, off, s[0:3], 0 offset:1016
	;; [unrolled: 1-line block ×3, first 2 shown]
	ds_read_b128 v[135:138], v196 offset:1792
	s_waitcnt vmcnt(55) lgkmcnt(1)
	v_mul_f64 v[199:200], v[1:2], v[159:160]
	v_mul_f64 v[159:160], v[3:4], v[159:160]
	s_waitcnt vmcnt(54)
	v_fma_f64 v[207:208], v[5:6], v[213:214], -v[207:208]
	v_add_f64 v[141:142], v[141:142], v[147:148]
	v_fma_f64 v[147:148], v[7:8], v[213:214], v[183:184]
	v_add_f64 v[139:140], v[139:140], v[153:154]
	s_clause 0x1
	buffer_load_dword v154, off, s[0:3], 0 offset:1012
	buffer_load_dword v153, off, s[0:3], 0 offset:1008
	ds_read_b128 v[5:8], v196 offset:1808
	s_waitcnt vmcnt(55) lgkmcnt(1)
	v_mul_f64 v[183:184], v[135:136], v[201:202]
	v_mul_f64 v[201:202], v[137:138], v[201:202]
	s_waitcnt vmcnt(53)
	v_fma_f64 v[159:160], v[1:2], v[151:152], -v[159:160]
	v_fma_f64 v[151:152], v[3:4], v[151:152], v[199:200]
	ds_read_b128 v[1:4], v196 offset:1824
	v_add_f64 v[141:142], v[141:142], v[207:208]
	v_add_f64 v[139:140], v[139:140], v[147:148]
	s_waitcnt vmcnt(49) lgkmcnt(1)
	v_mul_f64 v[147:148], v[5:6], v[145:146]
	v_mul_f64 v[145:146], v[7:8], v[145:146]
	s_waitcnt vmcnt(48)
	v_fma_f64 v[199:200], v[135:136], v[215:216], -v[201:202]
	v_add_f64 v[141:142], v[141:142], v[159:160]
	v_fma_f64 v[159:160], v[137:138], v[215:216], v[183:184]
	v_add_f64 v[139:140], v[139:140], v[151:152]
	s_clause 0x3
	buffer_load_dword v151, off, s[0:3], 0 offset:176
	buffer_load_dword v152, off, s[0:3], 0 offset:180
	;; [unrolled: 1-line block ×4, first 2 shown]
	ds_read_b128 v[135:138], v196 offset:1840
	s_waitcnt vmcnt(51) lgkmcnt(1)
	v_mul_f64 v[201:202], v[1:2], v[163:164]
	v_mul_f64 v[163:164], v[3:4], v[163:164]
	s_waitcnt vmcnt(49)
	v_fma_f64 v[145:146], v[5:6], v[157:158], -v[145:146]
	v_fma_f64 v[147:148], v[7:8], v[157:158], v[147:148]
	ds_read_b128 v[5:8], v196 offset:1856
	v_add_f64 v[141:142], v[141:142], v[199:200]
	v_add_f64 v[139:140], v[139:140], v[159:160]
	s_waitcnt vmcnt(45) lgkmcnt(1)
	v_mul_f64 v[157:158], v[135:136], v[149:150]
	v_mul_f64 v[149:150], v[137:138], v[149:150]
	s_waitcnt vmcnt(44)
	v_fma_f64 v[159:160], v[1:2], v[211:212], -v[163:164]
	v_add_f64 v[141:142], v[141:142], v[145:146]
	v_fma_f64 v[145:146], v[3:4], v[211:212], v[201:202]
	v_add_f64 v[139:140], v[139:140], v[147:148]
	ds_read_b128 v[1:4], v196 offset:1872
	s_waitcnt vmcnt(43) lgkmcnt(1)
	v_mul_f64 v[163:164], v[7:8], v[171:172]
	v_mul_f64 v[147:148], v[5:6], v[171:172]
	s_waitcnt vmcnt(41)
	v_fma_f64 v[149:150], v[135:136], v[167:168], -v[149:150]
	v_fma_f64 v[157:158], v[137:138], v[167:168], v[157:158]
	ds_read_b128 v[135:138], v196 offset:1888
	v_add_f64 v[141:142], v[141:142], v[159:160]
	v_add_f64 v[139:140], v[139:140], v[145:146]
	s_waitcnt vmcnt(37) lgkmcnt(1)
	v_mul_f64 v[145:146], v[1:2], v[155:156]
	v_mul_f64 v[155:156], v[3:4], v[155:156]
	s_waitcnt vmcnt(36)
	v_fma_f64 v[159:160], v[5:6], v[203:204], -v[163:164]
	v_fma_f64 v[147:148], v[7:8], v[203:204], v[147:148]
	ds_read_b128 v[5:8], v196 offset:1904
	v_add_f64 v[141:142], v[141:142], v[149:150]
	v_add_f64 v[139:140], v[139:140], v[157:158]
	;; [unrolled: 9-line block ×3, first 2 shown]
	s_waitcnt vmcnt(29) lgkmcnt(1)
	v_mul_f64 v[159:160], v[7:8], v[161:162]
	s_waitcnt vmcnt(28)
	v_fma_f64 v[157:158], v[135:136], v[197:198], -v[157:158]
	v_mul_f64 v[147:148], v[5:6], v[161:162]
	v_fma_f64 v[149:150], v[137:138], v[197:198], v[149:150]
	ds_read_b128 v[135:138], v196 offset:1936
	v_add_f64 v[141:142], v[141:142], v[155:156]
	v_add_f64 v[139:140], v[139:140], v[145:146]
	s_waitcnt vmcnt(27) lgkmcnt(1)
	v_mul_f64 v[155:156], v[3:4], v[185:186]
	v_mul_f64 v[145:146], v[1:2], v[185:186]
	s_waitcnt vmcnt(25)
	v_fma_f64 v[159:160], v[5:6], v[173:174], -v[159:160]
	v_fma_f64 v[147:148], v[7:8], v[173:174], v[147:148]
	ds_read_b128 v[5:8], v196 offset:1952
	v_add_f64 v[141:142], v[141:142], v[157:158]
	v_add_f64 v[139:140], v[139:140], v[149:150]
	s_waitcnt vmcnt(21) lgkmcnt(1)
	v_mul_f64 v[157:158], v[137:138], v[169:170]
	s_waitcnt vmcnt(20)
	v_fma_f64 v[155:156], v[1:2], v[191:192], -v[155:156]
	v_mul_f64 v[149:150], v[135:136], v[169:170]
	v_fma_f64 v[145:146], v[3:4], v[191:192], v[145:146]
	ds_read_b128 v[1:4], v196 offset:1968
	v_add_f64 v[141:142], v[141:142], v[159:160]
	v_add_f64 v[139:140], v[139:140], v[147:148]
	s_waitcnt vmcnt(19) lgkmcnt(1)
	v_mul_f64 v[159:160], v[7:8], v[187:188]
	v_mul_f64 v[147:148], v[5:6], v[187:188]
	s_waitcnt vmcnt(17)
	v_fma_f64 v[157:158], v[135:136], v[143:144], -v[157:158]
	v_fma_f64 v[143:144], v[137:138], v[143:144], v[149:150]
	ds_read_b128 v[135:138], v196 offset:1984
	v_add_f64 v[141:142], v[141:142], v[155:156]
	v_add_f64 v[139:140], v[139:140], v[145:146]
	s_waitcnt vmcnt(13) lgkmcnt(1)
	v_mul_f64 v[149:150], v[3:4], v[175:176]
	s_waitcnt vmcnt(12)
	v_fma_f64 v[155:156], v[5:6], v[193:194], -v[159:160]
	v_mul_f64 v[145:146], v[1:2], v[175:176]
	v_fma_f64 v[147:148], v[7:8], v[193:194], v[147:148]
	ds_read_b128 v[5:8], v196 offset:2000
	v_add_f64 v[141:142], v[141:142], v[157:158]
	v_add_f64 v[139:140], v[139:140], v[143:144]
	s_waitcnt vmcnt(11) lgkmcnt(1)
	v_mul_f64 v[157:158], v[137:138], v[189:190]
	v_mul_f64 v[143:144], v[135:136], v[189:190]
	s_waitcnt vmcnt(9)
	v_fma_f64 v[1:2], v[1:2], v[181:182], -v[149:150]
	v_fma_f64 v[3:4], v[3:4], v[181:182], v[145:146]
	v_add_f64 v[141:142], v[141:142], v[155:156]
	v_add_f64 v[139:140], v[139:140], v[147:148]
	s_waitcnt vmcnt(7) lgkmcnt(0)
	v_mul_f64 v[147:148], v[7:8], v[179:180]
	s_waitcnt vmcnt(6)
	v_fma_f64 v[135:136], v[135:136], v[205:206], -v[157:158]
	v_mul_f64 v[145:146], v[5:6], v[179:180]
	v_fma_f64 v[137:138], v[137:138], v[205:206], v[143:144]
	v_add_f64 v[1:2], v[141:142], v[1:2]
	v_add_f64 v[3:4], v[139:140], v[3:4]
	s_waitcnt vmcnt(4)
	v_fma_f64 v[5:6], v[5:6], v[153:154], -v[147:148]
	v_fma_f64 v[7:8], v[7:8], v[153:154], v[145:146]
	v_add_f64 v[1:2], v[1:2], v[135:136]
	v_add_f64 v[3:4], v[3:4], v[137:138]
	;; [unrolled: 1-line block ×4, first 2 shown]
	s_waitcnt vmcnt(2)
	v_add_f64 v[1:2], v[151:152], -v[1:2]
	s_waitcnt vmcnt(0)
	v_add_f64 v[3:4], v[183:184], -v[3:4]
	buffer_store_dword v2, off, s[0:3], 0 offset:180
	buffer_store_dword v1, off, s[0:3], 0 offset:176
	;; [unrolled: 1-line block ×4, first 2 shown]
	v_cmpx_lt_u32_e32 9, v0
	s_cbranch_execz .LBB126_385
; %bb.384:
	v_mov_b32_e32 v4, s68
	v_mov_b32_e32 v5, 0
	s_clause 0x3
	buffer_load_dword v1, v4, s[0:3], 0 offen
	buffer_load_dword v2, v4, s[0:3], 0 offen offset:4
	buffer_load_dword v3, v4, s[0:3], 0 offen offset:8
	;; [unrolled: 1-line block ×3, first 2 shown]
	buffer_store_dword v5, off, s[0:3], 0 offset:160
	buffer_store_dword v5, off, s[0:3], 0 offset:164
	;; [unrolled: 1-line block ×4, first 2 shown]
	s_waitcnt vmcnt(0)
	ds_write_b128 v195, v[1:4]
.LBB126_385:
	s_or_b32 exec_lo, exec_lo, s4
	s_waitcnt lgkmcnt(0)
	s_waitcnt_vscnt null, 0x0
	s_barrier
	buffer_gl0_inv
	s_clause 0x37
	buffer_load_dword v143, off, s[0:3], 0 offset:184
	buffer_load_dword v144, off, s[0:3], 0 offset:188
	;; [unrolled: 1-line block ×56, first 2 shown]
	v_mov_b32_e32 v196, 0
	s_mov_b32 s4, exec_lo
	ds_read_b128 v[5:8], v196 offset:1168
	s_clause 0x2
	buffer_load_dword v192, off, s[0:3], 0 offset:412
	buffer_load_dword v194, off, s[0:3], 0 offset:388
	;; [unrolled: 1-line block ×3, first 2 shown]
	ds_read_b128 v[1:4], v196 offset:1184
	s_clause 0x4
	buffer_load_dword v204, off, s[0:3], 0 offset:428
	buffer_load_dword v205, off, s[0:3], 0 offset:440
	;; [unrolled: 1-line block ×5, first 2 shown]
	ds_read_b128 v[197:200], v196 offset:1200
	s_waitcnt vmcnt(62) lgkmcnt(2)
	v_mul_f64 v[201:202], v[7:8], v[143:144]
	v_mul_f64 v[143:144], v[5:6], v[143:144]
	s_waitcnt vmcnt(60) lgkmcnt(1)
	v_mul_f64 v[208:209], v[3:4], v[139:140]
	v_mul_f64 v[139:140], v[1:2], v[139:140]
	;; [unrolled: 3-line block ×3, first 2 shown]
	v_fma_f64 v[201:202], v[5:6], v[141:142], -v[201:202]
	v_fma_f64 v[141:142], v[7:8], v[141:142], v[143:144]
	s_clause 0x2
	buffer_load_dword v206, off, s[0:3], 0 offset:444
	buffer_load_dword v144, off, s[0:3], 0 offset:420
	;; [unrolled: 1-line block ×3, first 2 shown]
	s_waitcnt vmcnt(57)
	v_fma_f64 v[212:213], v[1:2], v[135:136], -v[208:209]
	ds_read_b128 v[5:8], v196 offset:1216
	v_fma_f64 v[135:136], v[3:4], v[135:136], v[139:140]
	s_waitcnt vmcnt(51)
	v_fma_f64 v[197:198], v[197:198], v[159:160], -v[137:138]
	v_fma_f64 v[159:160], v[199:200], v[159:160], v[210:211]
	v_add_f64 v[201:202], v[201:202], 0
	v_add_f64 v[139:140], v[141:142], 0
	s_clause 0x4
	buffer_load_dword v142, off, s[0:3], 0 offset:460
	buffer_load_dword v209, off, s[0:3], 0 offset:472
	;; [unrolled: 1-line block ×5, first 2 shown]
	s_waitcnt lgkmcnt(0)
	v_mul_f64 v[215:216], v[5:6], v[147:148]
	v_mul_f64 v[147:148], v[7:8], v[147:148]
	ds_read_b128 v[1:4], v196 offset:1232
	s_clause 0x2
	buffer_load_dword v210, off, s[0:3], 0 offset:476
	buffer_load_dword v200, off, s[0:3], 0 offset:452
	;; [unrolled: 1-line block ×3, first 2 shown]
	v_add_f64 v[201:202], v[201:202], v[212:213]
	v_add_f64 v[139:140], v[139:140], v[135:136]
	ds_read_b128 v[135:138], v196 offset:1248
	s_waitcnt vmcnt(58) lgkmcnt(1)
	v_mul_f64 v[211:212], v[1:2], v[151:152]
	v_mul_f64 v[151:152], v[3:4], v[151:152]
	s_waitcnt vmcnt(56)
	v_fma_f64 v[147:148], v[5:6], v[153:154], -v[147:148]
	v_fma_f64 v[153:154], v[7:8], v[153:154], v[215:216]
	s_waitcnt vmcnt(52) lgkmcnt(0)
	v_mul_f64 v[217:218], v[135:136], v[155:156]
	v_add_f64 v[197:198], v[201:202], v[197:198]
	v_add_f64 v[139:140], v[139:140], v[159:160]
	s_clause 0x4
	buffer_load_dword v160, off, s[0:3], 0 offset:492
	buffer_load_dword v201, off, s[0:3], 0 offset:504
	;; [unrolled: 1-line block ×5, first 2 shown]
	v_mul_f64 v[155:156], v[137:138], v[155:156]
	s_waitcnt vmcnt(56)
	v_fma_f64 v[151:152], v[1:2], v[145:146], -v[151:152]
	ds_read_b128 v[5:8], v196 offset:1264
	v_fma_f64 v[145:146], v[3:4], v[145:146], v[211:212]
	v_add_f64 v[147:148], v[197:198], v[147:148]
	v_add_f64 v[139:140], v[139:140], v[153:154]
	s_clause 0x2
	buffer_load_dword v202, off, s[0:3], 0 offset:508
	buffer_load_dword v154, off, s[0:3], 0 offset:484
	;; [unrolled: 1-line block ×3, first 2 shown]
	s_waitcnt vmcnt(58) lgkmcnt(0)
	v_mul_f64 v[197:198], v[5:6], v[161:162]
	v_mul_f64 v[161:162], v[7:8], v[161:162]
	s_waitcnt vmcnt(56)
	v_fma_f64 v[155:156], v[135:136], v[163:164], -v[155:156]
	ds_read_b128 v[1:4], v196 offset:1280
	v_add_f64 v[147:148], v[147:148], v[151:152]
	v_fma_f64 v[151:152], v[137:138], v[163:164], v[217:218]
	v_add_f64 v[139:140], v[139:140], v[145:146]
	s_clause 0x4
	buffer_load_dword v146, off, s[0:3], 0 offset:524
	buffer_load_dword v163, off, s[0:3], 0 offset:536
	;; [unrolled: 1-line block ×5, first 2 shown]
	s_waitcnt vmcnt(57) lgkmcnt(0)
	v_mul_f64 v[212:213], v[1:2], v[165:166]
	v_mul_f64 v[165:166], v[3:4], v[165:166]
	s_waitcnt vmcnt(56)
	v_fma_f64 v[161:162], v[5:6], v[149:150], -v[161:162]
	ds_read_b128 v[135:138], v196 offset:1296
	v_fma_f64 v[149:150], v[7:8], v[149:150], v[197:198]
	v_add_f64 v[147:148], v[147:148], v[155:156]
	v_add_f64 v[139:140], v[139:140], v[151:152]
	s_clause 0x2
	buffer_load_dword v164, off, s[0:3], 0 offset:540
	buffer_load_dword v152, off, s[0:3], 0 offset:516
	;; [unrolled: 1-line block ×3, first 2 shown]
	ds_read_b128 v[5:8], v196 offset:1312
	s_waitcnt vmcnt(58) lgkmcnt(1)
	v_mul_f64 v[155:156], v[135:136], v[169:170]
	v_mul_f64 v[169:170], v[137:138], v[169:170]
	s_waitcnt vmcnt(56)
	v_fma_f64 v[165:166], v[1:2], v[171:172], -v[165:166]
	v_add_f64 v[147:148], v[147:148], v[161:162]
	v_fma_f64 v[161:162], v[3:4], v[171:172], v[212:213]
	v_add_f64 v[139:140], v[139:140], v[149:150]
	s_clause 0x4
	buffer_load_dword v150, off, s[0:3], 0 offset:556
	buffer_load_dword v171, off, s[0:3], 0 offset:568
	;; [unrolled: 1-line block ×5, first 2 shown]
	s_waitcnt vmcnt(57) lgkmcnt(0)
	v_mul_f64 v[218:219], v[5:6], v[173:174]
	v_mul_f64 v[173:174], v[7:8], v[173:174]
	s_waitcnt vmcnt(56)
	v_fma_f64 v[169:170], v[135:136], v[157:158], -v[169:170]
	ds_read_b128 v[1:4], v196 offset:1328
	v_fma_f64 v[155:156], v[137:138], v[157:158], v[155:156]
	s_clause 0x2
	buffer_load_dword v172, off, s[0:3], 0 offset:572
	buffer_load_dword v158, off, s[0:3], 0 offset:548
	;; [unrolled: 1-line block ×3, first 2 shown]
	ds_read_b128 v[135:138], v196 offset:1344
	v_add_f64 v[147:148], v[147:148], v[165:166]
	v_add_f64 v[139:140], v[139:140], v[161:162]
	s_waitcnt vmcnt(58) lgkmcnt(1)
	v_mul_f64 v[165:166], v[3:4], v[177:178]
	s_waitcnt vmcnt(56)
	v_fma_f64 v[173:174], v[5:6], v[179:180], -v[173:174]
	v_mul_f64 v[161:162], v[1:2], v[177:178]
	v_add_f64 v[147:148], v[147:148], v[169:170]
	v_fma_f64 v[169:170], v[7:8], v[179:180], v[218:219]
	v_add_f64 v[139:140], v[139:140], v[155:156]
	s_clause 0x4
	buffer_load_dword v156, off, s[0:3], 0 offset:588
	buffer_load_dword v177, off, s[0:3], 0 offset:600
	;; [unrolled: 1-line block ×5, first 2 shown]
	s_waitcnt vmcnt(57) lgkmcnt(0)
	v_mul_f64 v[218:219], v[135:136], v[181:182]
	v_mul_f64 v[180:181], v[137:138], v[181:182]
	s_waitcnt vmcnt(56)
	v_fma_f64 v[165:166], v[1:2], v[167:168], -v[165:166]
	ds_read_b128 v[5:8], v196 offset:1360
	v_fma_f64 v[161:162], v[3:4], v[167:168], v[161:162]
	s_clause 0x2
	buffer_load_dword v178, off, s[0:3], 0 offset:604
	buffer_load_dword v168, off, s[0:3], 0 offset:580
	;; [unrolled: 1-line block ×3, first 2 shown]
	ds_read_b128 v[1:4], v196 offset:1376
	v_add_f64 v[147:148], v[147:148], v[173:174]
	v_add_f64 v[139:140], v[139:140], v[169:170]
	s_waitcnt vmcnt(58) lgkmcnt(1)
	v_mul_f64 v[173:174], v[7:8], v[185:186]
	s_waitcnt vmcnt(56)
	v_fma_f64 v[181:182], v[135:136], v[187:188], -v[180:181]
	v_mul_f64 v[169:170], v[5:6], v[185:186]
	v_add_f64 v[147:148], v[147:148], v[165:166]
	v_fma_f64 v[165:166], v[137:138], v[187:188], v[218:219]
	v_add_f64 v[139:140], v[139:140], v[161:162]
	s_clause 0x4
	buffer_load_dword v162, off, s[0:3], 0 offset:620
	buffer_load_dword v185, off, s[0:3], 0 offset:632
	;; [unrolled: 1-line block ×5, first 2 shown]
	s_waitcnt vmcnt(57) lgkmcnt(0)
	v_mul_f64 v[218:219], v[1:2], v[189:190]
	v_mul_f64 v[188:189], v[3:4], v[189:190]
	s_waitcnt vmcnt(56)
	v_fma_f64 v[173:174], v[5:6], v[175:176], -v[173:174]
	ds_read_b128 v[135:138], v196 offset:1392
	v_fma_f64 v[169:170], v[7:8], v[175:176], v[169:170]
	v_add_f64 v[147:148], v[147:148], v[181:182]
	v_add_f64 v[139:140], v[139:140], v[165:166]
	s_clause 0x2
	buffer_load_dword v186, off, s[0:3], 0 offset:636
	buffer_load_dword v166, off, s[0:3], 0 offset:612
	;; [unrolled: 1-line block ×3, first 2 shown]
	ds_read_b128 v[5:8], v196 offset:1408
	s_waitcnt vmcnt(58) lgkmcnt(1)
	v_mul_f64 v[181:182], v[137:138], v[191:192]
	s_waitcnt vmcnt(56)
	v_fma_f64 v[189:190], v[1:2], v[193:194], -v[188:189]
	v_mul_f64 v[175:176], v[135:136], v[191:192]
	v_add_f64 v[147:148], v[147:148], v[173:174]
	v_fma_f64 v[173:174], v[3:4], v[193:194], v[218:219]
	v_add_f64 v[139:140], v[139:140], v[169:170]
	s_clause 0x4
	buffer_load_dword v170, off, s[0:3], 0 offset:652
	buffer_load_dword v191, off, s[0:3], 0 offset:664
	buffer_load_dword v193, off, s[0:3], 0 offset:656
	buffer_load_dword v169, off, s[0:3], 0 offset:648
	buffer_load_dword v188, off, s[0:3], 0 offset:628
	s_waitcnt vmcnt(57) lgkmcnt(0)
	v_mul_f64 v[218:219], v[5:6], v[203:204]
	v_mul_f64 v[203:204], v[7:8], v[203:204]
	s_waitcnt vmcnt(56)
	v_fma_f64 v[181:182], v[135:136], v[183:184], -v[181:182]
	ds_read_b128 v[1:4], v196 offset:1424
	v_fma_f64 v[175:176], v[137:138], v[183:184], v[175:176]
	v_add_f64 v[147:148], v[147:148], v[189:190]
	v_add_f64 v[139:140], v[139:140], v[173:174]
	s_clause 0x2
	buffer_load_dword v192, off, s[0:3], 0 offset:668
	buffer_load_dword v174, off, s[0:3], 0 offset:644
	;; [unrolled: 1-line block ×3, first 2 shown]
	ds_read_b128 v[135:138], v196 offset:1440
	s_waitcnt vmcnt(58) lgkmcnt(1)
	v_mul_f64 v[189:190], v[3:4], v[205:206]
	v_mul_f64 v[183:184], v[1:2], v[205:206]
	s_waitcnt vmcnt(56)
	v_fma_f64 v[203:204], v[5:6], v[143:144], -v[203:204]
	v_fma_f64 v[143:144], v[7:8], v[143:144], v[218:219]
	v_add_f64 v[147:148], v[147:148], v[181:182]
	v_add_f64 v[139:140], v[139:140], v[175:176]
	s_clause 0x4
	buffer_load_dword v176, off, s[0:3], 0 offset:684
	buffer_load_dword v181, off, s[0:3], 0 offset:696
	;; [unrolled: 1-line block ×5, first 2 shown]
	ds_read_b128 v[5:8], v196 offset:1456
	s_waitcnt vmcnt(57) lgkmcnt(1)
	v_mul_f64 v[218:219], v[135:136], v[141:142]
	v_mul_f64 v[141:142], v[137:138], v[141:142]
	s_waitcnt vmcnt(56)
	v_fma_f64 v[189:190], v[1:2], v[207:208], -v[189:190]
	v_fma_f64 v[183:184], v[3:4], v[207:208], v[183:184]
	v_add_f64 v[147:148], v[147:148], v[203:204]
	v_add_f64 v[139:140], v[139:140], v[143:144]
	s_clause 0x2
	buffer_load_dword v182, off, s[0:3], 0 offset:700
	buffer_load_dword v144, off, s[0:3], 0 offset:676
	;; [unrolled: 1-line block ×3, first 2 shown]
	s_waitcnt vmcnt(58) lgkmcnt(0)
	v_mul_f64 v[207:208], v[7:8], v[209:210]
	ds_read_b128 v[1:4], v196 offset:1472
	v_mul_f64 v[203:204], v[5:6], v[209:210]
	s_waitcnt vmcnt(56)
	v_fma_f64 v[141:142], v[135:136], v[199:200], -v[141:142]
	v_add_f64 v[147:148], v[147:148], v[189:190]
	v_fma_f64 v[189:190], v[137:138], v[199:200], v[218:219]
	v_add_f64 v[139:140], v[139:140], v[183:184]
	s_clause 0x4
	buffer_load_dword v184, off, s[0:3], 0 offset:716
	buffer_load_dword v199, off, s[0:3], 0 offset:728
	;; [unrolled: 1-line block ×5, first 2 shown]
	ds_read_b128 v[135:138], v196 offset:1488
	s_waitcnt vmcnt(57) lgkmcnt(1)
	v_mul_f64 v[218:219], v[1:2], v[159:160]
	v_mul_f64 v[159:160], v[3:4], v[159:160]
	s_waitcnt vmcnt(56)
	v_fma_f64 v[207:208], v[5:6], v[214:215], -v[207:208]
	v_add_f64 v[141:142], v[147:148], v[141:142]
	v_fma_f64 v[147:148], v[7:8], v[214:215], v[203:204]
	v_add_f64 v[139:140], v[139:140], v[189:190]
	s_clause 0x2
	buffer_load_dword v200, off, s[0:3], 0 offset:732
	buffer_load_dword v190, off, s[0:3], 0 offset:708
	;; [unrolled: 1-line block ×3, first 2 shown]
	ds_read_b128 v[5:8], v196 offset:1504
	s_waitcnt vmcnt(58) lgkmcnt(1)
	v_mul_f64 v[203:204], v[135:136], v[201:202]
	v_mul_f64 v[201:202], v[137:138], v[201:202]
	s_waitcnt vmcnt(56)
	v_fma_f64 v[159:160], v[1:2], v[153:154], -v[159:160]
	v_fma_f64 v[153:154], v[3:4], v[153:154], v[218:219]
	v_add_f64 v[141:142], v[141:142], v[207:208]
	v_add_f64 v[139:140], v[139:140], v[147:148]
	s_clause 0x4
	buffer_load_dword v148, off, s[0:3], 0 offset:748
	buffer_load_dword v207, off, s[0:3], 0 offset:760
	;; [unrolled: 1-line block ×5, first 2 shown]
	ds_read_b128 v[1:4], v196 offset:1520
	s_waitcnt vmcnt(57) lgkmcnt(1)
	v_mul_f64 v[214:215], v[5:6], v[145:146]
	v_mul_f64 v[145:146], v[7:8], v[145:146]
	s_waitcnt vmcnt(56)
	v_fma_f64 v[201:202], v[135:136], v[216:217], -v[201:202]
	v_add_f64 v[141:142], v[141:142], v[159:160]
	v_fma_f64 v[159:160], v[137:138], v[216:217], v[203:204]
	v_add_f64 v[139:140], v[139:140], v[153:154]
	s_clause 0x2
	buffer_load_dword v208, off, s[0:3], 0 offset:764
	buffer_load_dword v154, off, s[0:3], 0 offset:740
	;; [unrolled: 1-line block ×3, first 2 shown]
	ds_read_b128 v[135:138], v196 offset:1536
	s_waitcnt vmcnt(58) lgkmcnt(1)
	v_mul_f64 v[203:204], v[1:2], v[163:164]
	v_mul_f64 v[163:164], v[3:4], v[163:164]
	s_waitcnt vmcnt(56)
	v_fma_f64 v[145:146], v[5:6], v[151:152], -v[145:146]
	v_fma_f64 v[151:152], v[7:8], v[151:152], v[214:215]
	v_add_f64 v[141:142], v[141:142], v[201:202]
	v_add_f64 v[139:140], v[139:140], v[159:160]
	s_clause 0x4
	buffer_load_dword v160, off, s[0:3], 0 offset:780
	buffer_load_dword v201, off, s[0:3], 0 offset:792
	;; [unrolled: 1-line block ×5, first 2 shown]
	ds_read_b128 v[5:8], v196 offset:1552
	s_waitcnt vmcnt(57) lgkmcnt(1)
	v_mul_f64 v[216:217], v[135:136], v[149:150]
	v_mul_f64 v[149:150], v[137:138], v[149:150]
	s_waitcnt vmcnt(56)
	v_fma_f64 v[163:164], v[1:2], v[211:212], -v[163:164]
	v_add_f64 v[141:142], v[141:142], v[145:146]
	v_fma_f64 v[145:146], v[3:4], v[211:212], v[203:204]
	v_add_f64 v[139:140], v[139:140], v[151:152]
	s_clause 0x2
	buffer_load_dword v202, off, s[0:3], 0 offset:796
	buffer_load_dword v152, off, s[0:3], 0 offset:772
	;; [unrolled: 1-line block ×3, first 2 shown]
	s_waitcnt vmcnt(58) lgkmcnt(0)
	v_mul_f64 v[203:204], v[5:6], v[171:172]
	v_mul_f64 v[171:172], v[7:8], v[171:172]
	ds_read_b128 v[1:4], v196 offset:1568
	s_waitcnt vmcnt(56)
	v_fma_f64 v[149:150], v[135:136], v[157:158], -v[149:150]
	v_fma_f64 v[157:158], v[137:138], v[157:158], v[216:217]
	v_add_f64 v[141:142], v[141:142], v[163:164]
	v_add_f64 v[139:140], v[139:140], v[145:146]
	s_clause 0x4
	buffer_load_dword v146, off, s[0:3], 0 offset:812
	buffer_load_dword v163, off, s[0:3], 0 offset:824
	buffer_load_dword v211, off, s[0:3], 0 offset:816
	buffer_load_dword v145, off, s[0:3], 0 offset:808
	buffer_load_dword v216, off, s[0:3], 0 offset:788
	ds_read_b128 v[135:138], v196 offset:1584
	s_waitcnt vmcnt(57) lgkmcnt(1)
	v_mul_f64 v[217:218], v[1:2], v[155:156]
	v_mul_f64 v[155:156], v[3:4], v[155:156]
	s_waitcnt vmcnt(56)
	v_fma_f64 v[171:172], v[5:6], v[197:198], -v[171:172]
	v_add_f64 v[141:142], v[141:142], v[149:150]
	v_fma_f64 v[149:150], v[7:8], v[197:198], v[203:204]
	v_add_f64 v[139:140], v[139:140], v[157:158]
	s_clause 0x2
	buffer_load_dword v164, off, s[0:3], 0 offset:828
	buffer_load_dword v158, off, s[0:3], 0 offset:804
	buffer_load_dword v157, off, s[0:3], 0 offset:800
	s_waitcnt vmcnt(58) lgkmcnt(0)
	v_mul_f64 v[197:198], v[135:136], v[177:178]
	v_mul_f64 v[177:178], v[137:138], v[177:178]
	ds_read_b128 v[5:8], v196 offset:1600
	s_waitcnt vmcnt(56)
	v_fma_f64 v[155:156], v[1:2], v[167:168], -v[155:156]
	v_fma_f64 v[167:168], v[3:4], v[167:168], v[217:218]
	v_add_f64 v[141:142], v[141:142], v[171:172]
	v_add_f64 v[139:140], v[139:140], v[149:150]
	s_clause 0x4
	buffer_load_dword v150, off, s[0:3], 0 offset:844
	buffer_load_dword v171, off, s[0:3], 0 offset:856
	buffer_load_dword v203, off, s[0:3], 0 offset:848
	buffer_load_dword v149, off, s[0:3], 0 offset:840
	buffer_load_dword v212, off, s[0:3], 0 offset:820
	ds_read_b128 v[1:4], v196 offset:1616
	s_waitcnt vmcnt(57) lgkmcnt(1)
	v_mul_f64 v[217:218], v[5:6], v[161:162]
	v_mul_f64 v[161:162], v[7:8], v[161:162]
	s_waitcnt vmcnt(56)
	v_fma_f64 v[177:178], v[135:136], v[179:180], -v[177:178]
	v_add_f64 v[141:142], v[141:142], v[155:156]
	v_fma_f64 v[155:156], v[137:138], v[179:180], v[197:198]
	v_add_f64 v[139:140], v[139:140], v[167:168]
	s_clause 0x2
	buffer_load_dword v172, off, s[0:3], 0 offset:860
	buffer_load_dword v168, off, s[0:3], 0 offset:836
	buffer_load_dword v167, off, s[0:3], 0 offset:832
	ds_read_b128 v[135:138], v196 offset:1632
	s_waitcnt vmcnt(58) lgkmcnt(1)
	v_mul_f64 v[179:180], v[1:2], v[185:186]
	v_mul_f64 v[185:186], v[3:4], v[185:186]
	s_waitcnt vmcnt(56)
	v_fma_f64 v[161:162], v[5:6], v[165:166], -v[161:162]
	v_fma_f64 v[165:166], v[7:8], v[165:166], v[217:218]
	v_add_f64 v[141:142], v[141:142], v[177:178]
	v_add_f64 v[139:140], v[139:140], v[155:156]
	s_clause 0x4
	buffer_load_dword v156, off, s[0:3], 0 offset:876
	buffer_load_dword v177, off, s[0:3], 0 offset:888
	buffer_load_dword v197, off, s[0:3], 0 offset:880
	buffer_load_dword v155, off, s[0:3], 0 offset:872
	buffer_load_dword v204, off, s[0:3], 0 offset:852
	ds_read_b128 v[5:8], v196 offset:1648
	s_waitcnt vmcnt(57) lgkmcnt(1)
	v_mul_f64 v[217:218], v[135:136], v[169:170]
	v_mul_f64 v[169:170], v[137:138], v[169:170]
	s_waitcnt vmcnt(56)
	v_fma_f64 v[185:186], v[1:2], v[187:188], -v[185:186]
	v_add_f64 v[141:142], v[141:142], v[161:162]
	v_fma_f64 v[161:162], v[3:4], v[187:188], v[179:180]
	v_add_f64 v[139:140], v[139:140], v[165:166]
	s_clause 0x2
	buffer_load_dword v178, off, s[0:3], 0 offset:892
	buffer_load_dword v166, off, s[0:3], 0 offset:868
	buffer_load_dword v165, off, s[0:3], 0 offset:864
	ds_read_b128 v[1:4], v196 offset:1664
	s_waitcnt vmcnt(58) lgkmcnt(1)
	v_mul_f64 v[187:188], v[7:8], v[191:192]
	v_mul_f64 v[179:180], v[5:6], v[191:192]
	;; [unrolled: 28-line block ×4, first 2 shown]
	s_waitcnt vmcnt(56)
	v_fma_f64 v[183:184], v[5:6], v[189:190], -v[183:184]
	v_add_f64 v[141:142], v[141:142], v[181:182]
	v_fma_f64 v[181:182], v[7:8], v[189:190], v[217:218]
	v_add_f64 v[139:140], v[139:140], v[175:176]
	s_clause 0x4
	buffer_load_dword v176, off, s[0:3], 0 offset:972
	buffer_load_dword v189, off, s[0:3], 0 offset:984
	;; [unrolled: 1-line block ×5, first 2 shown]
	ds_read_b128 v[5:8], v196 offset:1744
	s_waitcnt vmcnt(57) lgkmcnt(1)
	v_mul_f64 v[217:218], v[135:136], v[147:148]
	v_mul_f64 v[147:148], v[137:138], v[147:148]
	s_waitcnt vmcnt(56)
	v_fma_f64 v[199:200], v[1:2], v[209:210], -v[199:200]
	v_fma_f64 v[179:180], v[3:4], v[209:210], v[179:180]
	v_add_f64 v[141:142], v[141:142], v[183:184]
	v_add_f64 v[139:140], v[139:140], v[181:182]
	s_clause 0x2
	buffer_load_dword v190, off, s[0:3], 0 offset:988
	buffer_load_dword v182, off, s[0:3], 0 offset:964
	;; [unrolled: 1-line block ×3, first 2 shown]
	ds_read_b128 v[1:4], v196 offset:1760
	s_waitcnt vmcnt(58) lgkmcnt(1)
	v_mul_f64 v[183:184], v[5:6], v[207:208]
	v_mul_f64 v[207:208], v[7:8], v[207:208]
	s_waitcnt vmcnt(56)
	v_fma_f64 v[147:148], v[135:136], v[153:154], -v[147:148]
	v_fma_f64 v[153:154], v[137:138], v[153:154], v[217:218]
	v_add_f64 v[141:142], v[141:142], v[199:200]
	v_add_f64 v[139:140], v[139:140], v[179:180]
	s_clause 0x4
	buffer_load_dword v180, off, s[0:3], 0 offset:1004
	buffer_load_dword v199, off, s[0:3], 0 offset:1016
	;; [unrolled: 1-line block ×5, first 2 shown]
	ds_read_b128 v[135:138], v196 offset:1776
	s_waitcnt vmcnt(57) lgkmcnt(1)
	v_mul_f64 v[217:218], v[1:2], v[159:160]
	v_mul_f64 v[159:160], v[3:4], v[159:160]
	s_waitcnt vmcnt(56)
	v_fma_f64 v[207:208], v[5:6], v[213:214], -v[207:208]
	v_add_f64 v[141:142], v[141:142], v[147:148]
	v_fma_f64 v[147:148], v[7:8], v[213:214], v[183:184]
	v_add_f64 v[139:140], v[139:140], v[153:154]
	s_clause 0x2
	buffer_load_dword v200, off, s[0:3], 0 offset:1020
	buffer_load_dword v154, off, s[0:3], 0 offset:996
	;; [unrolled: 1-line block ×3, first 2 shown]
	ds_read_b128 v[5:8], v196 offset:1792
	buffer_load_dword v210, off, s[0:3], 0 offset:1012
	s_waitcnt vmcnt(59) lgkmcnt(1)
	v_mul_f64 v[183:184], v[135:136], v[201:202]
	v_mul_f64 v[201:202], v[137:138], v[201:202]
	s_waitcnt vmcnt(57)
	v_fma_f64 v[159:160], v[1:2], v[151:152], -v[159:160]
	v_fma_f64 v[151:152], v[3:4], v[151:152], v[217:218]
	ds_read_b128 v[1:4], v196 offset:1808
	v_add_f64 v[141:142], v[141:142], v[207:208]
	v_add_f64 v[139:140], v[139:140], v[147:148]
	s_waitcnt vmcnt(53) lgkmcnt(1)
	v_mul_f64 v[147:148], v[5:6], v[145:146]
	v_mul_f64 v[145:146], v[7:8], v[145:146]
	s_waitcnt vmcnt(52)
	v_fma_f64 v[201:202], v[135:136], v[215:216], -v[201:202]
	v_add_f64 v[141:142], v[141:142], v[159:160]
	v_fma_f64 v[159:160], v[137:138], v[215:216], v[183:184]
	v_add_f64 v[139:140], v[139:140], v[151:152]
	ds_read_b128 v[135:138], v196 offset:1824
	s_waitcnt vmcnt(51) lgkmcnt(1)
	v_mul_f64 v[151:152], v[1:2], v[163:164]
	v_mul_f64 v[163:164], v[3:4], v[163:164]
	s_waitcnt vmcnt(49)
	v_fma_f64 v[145:146], v[5:6], v[157:158], -v[145:146]
	v_fma_f64 v[147:148], v[7:8], v[157:158], v[147:148]
	v_add_f64 v[141:142], v[141:142], v[201:202]
	v_add_f64 v[139:140], v[139:140], v[159:160]
	s_clause 0x3
	buffer_load_dword v157, off, s[0:3], 0 offset:160
	buffer_load_dword v158, off, s[0:3], 0 offset:164
	;; [unrolled: 1-line block ×4, first 2 shown]
	ds_read_b128 v[5:8], v196 offset:1840
	s_waitcnt vmcnt(49) lgkmcnt(1)
	v_mul_f64 v[183:184], v[135:136], v[149:150]
	v_mul_f64 v[149:150], v[137:138], v[149:150]
	s_waitcnt vmcnt(48)
	v_fma_f64 v[163:164], v[1:2], v[211:212], -v[163:164]
	v_add_f64 v[141:142], v[141:142], v[145:146]
	v_fma_f64 v[145:146], v[3:4], v[211:212], v[151:152]
	v_add_f64 v[139:140], v[139:140], v[147:148]
	ds_read_b128 v[1:4], v196 offset:1856
	s_waitcnt vmcnt(47) lgkmcnt(1)
	v_mul_f64 v[151:152], v[7:8], v[171:172]
	v_mul_f64 v[147:148], v[5:6], v[171:172]
	s_waitcnt vmcnt(45)
	v_fma_f64 v[149:150], v[135:136], v[167:168], -v[149:150]
	v_add_f64 v[141:142], v[141:142], v[163:164]
	v_fma_f64 v[163:164], v[137:138], v[167:168], v[183:184]
	v_add_f64 v[139:140], v[139:140], v[145:146]
	ds_read_b128 v[135:138], v196 offset:1872
	s_waitcnt vmcnt(41) lgkmcnt(1)
	v_mul_f64 v[145:146], v[1:2], v[155:156]
	v_mul_f64 v[155:156], v[3:4], v[155:156]
	s_waitcnt vmcnt(40)
	v_fma_f64 v[151:152], v[5:6], v[203:204], -v[151:152]
	v_fma_f64 v[147:148], v[7:8], v[203:204], v[147:148]
	ds_read_b128 v[5:8], v196 offset:1888
	v_add_f64 v[141:142], v[141:142], v[149:150]
	v_add_f64 v[139:140], v[139:140], v[163:164]
	s_waitcnt vmcnt(39) lgkmcnt(1)
	v_mul_f64 v[163:164], v[137:138], v[177:178]
	v_mul_f64 v[149:150], v[135:136], v[177:178]
	s_waitcnt vmcnt(37)
	v_fma_f64 v[155:156], v[1:2], v[165:166], -v[155:156]
	v_fma_f64 v[145:146], v[3:4], v[165:166], v[145:146]
	ds_read_b128 v[1:4], v196 offset:1904
	v_add_f64 v[141:142], v[141:142], v[151:152]
	v_add_f64 v[139:140], v[139:140], v[147:148]
	;; [unrolled: 9-line block ×4, first 2 shown]
	s_waitcnt vmcnt(25) lgkmcnt(1)
	v_mul_f64 v[161:162], v[137:138], v[169:170]
	s_waitcnt vmcnt(24)
	v_fma_f64 v[155:156], v[1:2], v[191:192], -v[155:156]
	v_mul_f64 v[149:150], v[135:136], v[169:170]
	v_fma_f64 v[145:146], v[3:4], v[191:192], v[145:146]
	ds_read_b128 v[1:4], v196 offset:1952
	v_add_f64 v[141:142], v[141:142], v[151:152]
	v_add_f64 v[139:140], v[139:140], v[147:148]
	s_waitcnt vmcnt(23) lgkmcnt(1)
	v_mul_f64 v[151:152], v[7:8], v[187:188]
	v_mul_f64 v[147:148], v[5:6], v[187:188]
	s_waitcnt vmcnt(21)
	v_fma_f64 v[161:162], v[135:136], v[143:144], -v[161:162]
	v_fma_f64 v[143:144], v[137:138], v[143:144], v[149:150]
	ds_read_b128 v[135:138], v196 offset:1968
	v_add_f64 v[141:142], v[141:142], v[155:156]
	v_add_f64 v[139:140], v[139:140], v[145:146]
	s_waitcnt vmcnt(17) lgkmcnt(1)
	v_mul_f64 v[149:150], v[3:4], v[175:176]
	s_waitcnt vmcnt(16)
	v_fma_f64 v[151:152], v[5:6], v[193:194], -v[151:152]
	v_mul_f64 v[145:146], v[1:2], v[175:176]
	v_fma_f64 v[147:148], v[7:8], v[193:194], v[147:148]
	ds_read_b128 v[5:8], v196 offset:1984
	v_add_f64 v[141:142], v[141:142], v[161:162]
	v_add_f64 v[139:140], v[139:140], v[143:144]
	s_waitcnt vmcnt(15) lgkmcnt(1)
	v_mul_f64 v[155:156], v[137:138], v[189:190]
	v_mul_f64 v[143:144], v[135:136], v[189:190]
	s_waitcnt vmcnt(13)
	v_fma_f64 v[149:150], v[1:2], v[181:182], -v[149:150]
	v_fma_f64 v[145:146], v[3:4], v[181:182], v[145:146]
	ds_read_b128 v[1:4], v196 offset:2000
	v_add_f64 v[141:142], v[141:142], v[151:152]
	v_add_f64 v[139:140], v[139:140], v[147:148]
	s_waitcnt vmcnt(9) lgkmcnt(1)
	v_mul_f64 v[151:152], v[7:8], v[179:180]
	s_waitcnt vmcnt(8)
	v_fma_f64 v[135:136], v[135:136], v[205:206], -v[155:156]
	v_mul_f64 v[147:148], v[5:6], v[179:180]
	v_fma_f64 v[137:138], v[137:138], v[205:206], v[143:144]
	v_add_f64 v[141:142], v[141:142], v[149:150]
	v_add_f64 v[139:140], v[139:140], v[145:146]
	s_waitcnt vmcnt(7) lgkmcnt(0)
	v_mul_f64 v[145:146], v[3:4], v[199:200]
	v_mul_f64 v[143:144], v[1:2], v[199:200]
	s_waitcnt vmcnt(5)
	v_fma_f64 v[5:6], v[5:6], v[153:154], -v[151:152]
	v_fma_f64 v[7:8], v[7:8], v[153:154], v[147:148]
	v_add_f64 v[135:136], v[141:142], v[135:136]
	v_add_f64 v[137:138], v[139:140], v[137:138]
	s_waitcnt vmcnt(4)
	v_fma_f64 v[1:2], v[1:2], v[209:210], -v[145:146]
	v_fma_f64 v[3:4], v[3:4], v[209:210], v[143:144]
	v_add_f64 v[5:6], v[135:136], v[5:6]
	v_add_f64 v[7:8], v[137:138], v[7:8]
	;; [unrolled: 1-line block ×4, first 2 shown]
	s_waitcnt vmcnt(2)
	v_add_f64 v[1:2], v[157:158], -v[1:2]
	s_waitcnt vmcnt(0)
	v_add_f64 v[3:4], v[159:160], -v[3:4]
	buffer_store_dword v2, off, s[0:3], 0 offset:164
	buffer_store_dword v1, off, s[0:3], 0 offset:160
	;; [unrolled: 1-line block ×4, first 2 shown]
	v_cmpx_lt_u32_e32 8, v0
	s_cbranch_execz .LBB126_387
; %bb.386:
	v_mov_b32_e32 v4, s69
	s_clause 0x3
	buffer_load_dword v1, v4, s[0:3], 0 offen
	buffer_load_dword v2, v4, s[0:3], 0 offen offset:4
	buffer_load_dword v3, v4, s[0:3], 0 offen offset:8
	;; [unrolled: 1-line block ×3, first 2 shown]
	buffer_store_dword v196, off, s[0:3], 0 offset:144
	buffer_store_dword v196, off, s[0:3], 0 offset:148
	;; [unrolled: 1-line block ×4, first 2 shown]
	s_waitcnt vmcnt(0)
	ds_write_b128 v195, v[1:4]
.LBB126_387:
	s_or_b32 exec_lo, exec_lo, s4
	s_waitcnt lgkmcnt(0)
	s_waitcnt_vscnt null, 0x0
	s_barrier
	buffer_gl0_inv
	s_clause 0x37
	buffer_load_dword v143, off, s[0:3], 0 offset:168
	buffer_load_dword v144, off, s[0:3], 0 offset:172
	;; [unrolled: 1-line block ×56, first 2 shown]
	ds_read_b128 v[5:8], v196 offset:1152
	s_clause 0x2
	buffer_load_dword v192, off, s[0:3], 0 offset:396
	buffer_load_dword v194, off, s[0:3], 0 offset:372
	;; [unrolled: 1-line block ×3, first 2 shown]
	ds_read_b128 v[1:4], v196 offset:1168
	s_clause 0x4
	buffer_load_dword v204, off, s[0:3], 0 offset:412
	buffer_load_dword v205, off, s[0:3], 0 offset:424
	;; [unrolled: 1-line block ×5, first 2 shown]
	ds_read_b128 v[197:200], v196 offset:1184
	s_mov_b32 s4, exec_lo
	s_waitcnt vmcnt(62) lgkmcnt(2)
	v_mul_f64 v[201:202], v[7:8], v[143:144]
	v_mul_f64 v[143:144], v[5:6], v[143:144]
	s_waitcnt vmcnt(60) lgkmcnt(1)
	v_mul_f64 v[208:209], v[3:4], v[139:140]
	v_mul_f64 v[139:140], v[1:2], v[139:140]
	s_waitcnt vmcnt(56) lgkmcnt(0)
	v_mul_f64 v[210:211], v[197:198], v[137:138]
	v_mul_f64 v[137:138], v[199:200], v[137:138]
	v_fma_f64 v[201:202], v[5:6], v[141:142], -v[201:202]
	v_fma_f64 v[141:142], v[7:8], v[141:142], v[143:144]
	s_clause 0x2
	buffer_load_dword v206, off, s[0:3], 0 offset:428
	buffer_load_dword v144, off, s[0:3], 0 offset:404
	;; [unrolled: 1-line block ×3, first 2 shown]
	s_waitcnt vmcnt(57)
	v_fma_f64 v[212:213], v[1:2], v[135:136], -v[208:209]
	ds_read_b128 v[5:8], v196 offset:1200
	v_fma_f64 v[135:136], v[3:4], v[135:136], v[139:140]
	s_waitcnt vmcnt(51)
	v_fma_f64 v[197:198], v[197:198], v[159:160], -v[137:138]
	v_fma_f64 v[159:160], v[199:200], v[159:160], v[210:211]
	v_add_f64 v[201:202], v[201:202], 0
	v_add_f64 v[139:140], v[141:142], 0
	s_clause 0x4
	buffer_load_dword v142, off, s[0:3], 0 offset:444
	buffer_load_dword v209, off, s[0:3], 0 offset:456
	;; [unrolled: 1-line block ×5, first 2 shown]
	s_waitcnt lgkmcnt(0)
	v_mul_f64 v[215:216], v[5:6], v[147:148]
	v_mul_f64 v[147:148], v[7:8], v[147:148]
	ds_read_b128 v[1:4], v196 offset:1216
	s_clause 0x2
	buffer_load_dword v210, off, s[0:3], 0 offset:460
	buffer_load_dword v200, off, s[0:3], 0 offset:436
	;; [unrolled: 1-line block ×3, first 2 shown]
	v_add_f64 v[201:202], v[201:202], v[212:213]
	v_add_f64 v[139:140], v[139:140], v[135:136]
	ds_read_b128 v[135:138], v196 offset:1232
	s_waitcnt vmcnt(58) lgkmcnt(1)
	v_mul_f64 v[211:212], v[1:2], v[151:152]
	v_mul_f64 v[151:152], v[3:4], v[151:152]
	s_waitcnt vmcnt(56)
	v_fma_f64 v[147:148], v[5:6], v[153:154], -v[147:148]
	v_fma_f64 v[153:154], v[7:8], v[153:154], v[215:216]
	s_waitcnt vmcnt(52) lgkmcnt(0)
	v_mul_f64 v[217:218], v[135:136], v[155:156]
	v_add_f64 v[197:198], v[201:202], v[197:198]
	v_add_f64 v[139:140], v[139:140], v[159:160]
	s_clause 0x4
	buffer_load_dword v160, off, s[0:3], 0 offset:476
	buffer_load_dword v201, off, s[0:3], 0 offset:488
	;; [unrolled: 1-line block ×5, first 2 shown]
	v_mul_f64 v[155:156], v[137:138], v[155:156]
	s_waitcnt vmcnt(56)
	v_fma_f64 v[151:152], v[1:2], v[145:146], -v[151:152]
	ds_read_b128 v[5:8], v196 offset:1248
	v_fma_f64 v[145:146], v[3:4], v[145:146], v[211:212]
	v_add_f64 v[147:148], v[197:198], v[147:148]
	v_add_f64 v[139:140], v[139:140], v[153:154]
	s_clause 0x2
	buffer_load_dword v202, off, s[0:3], 0 offset:492
	buffer_load_dword v154, off, s[0:3], 0 offset:468
	;; [unrolled: 1-line block ×3, first 2 shown]
	s_waitcnt vmcnt(58) lgkmcnt(0)
	v_mul_f64 v[197:198], v[5:6], v[161:162]
	v_mul_f64 v[161:162], v[7:8], v[161:162]
	s_waitcnt vmcnt(56)
	v_fma_f64 v[155:156], v[135:136], v[163:164], -v[155:156]
	ds_read_b128 v[1:4], v196 offset:1264
	v_add_f64 v[147:148], v[147:148], v[151:152]
	v_fma_f64 v[151:152], v[137:138], v[163:164], v[217:218]
	v_add_f64 v[139:140], v[139:140], v[145:146]
	s_clause 0x4
	buffer_load_dword v146, off, s[0:3], 0 offset:508
	buffer_load_dword v163, off, s[0:3], 0 offset:520
	;; [unrolled: 1-line block ×5, first 2 shown]
	s_waitcnt vmcnt(57) lgkmcnt(0)
	v_mul_f64 v[212:213], v[1:2], v[165:166]
	v_mul_f64 v[165:166], v[3:4], v[165:166]
	s_waitcnt vmcnt(56)
	v_fma_f64 v[161:162], v[5:6], v[149:150], -v[161:162]
	ds_read_b128 v[135:138], v196 offset:1280
	v_fma_f64 v[149:150], v[7:8], v[149:150], v[197:198]
	v_add_f64 v[147:148], v[147:148], v[155:156]
	v_add_f64 v[139:140], v[139:140], v[151:152]
	s_clause 0x2
	buffer_load_dword v164, off, s[0:3], 0 offset:524
	buffer_load_dword v152, off, s[0:3], 0 offset:500
	;; [unrolled: 1-line block ×3, first 2 shown]
	ds_read_b128 v[5:8], v196 offset:1296
	s_waitcnt vmcnt(58) lgkmcnt(1)
	v_mul_f64 v[155:156], v[135:136], v[169:170]
	v_mul_f64 v[169:170], v[137:138], v[169:170]
	s_waitcnt vmcnt(56)
	v_fma_f64 v[165:166], v[1:2], v[171:172], -v[165:166]
	v_add_f64 v[147:148], v[147:148], v[161:162]
	v_fma_f64 v[161:162], v[3:4], v[171:172], v[212:213]
	v_add_f64 v[139:140], v[139:140], v[149:150]
	s_clause 0x4
	buffer_load_dword v150, off, s[0:3], 0 offset:540
	buffer_load_dword v171, off, s[0:3], 0 offset:552
	;; [unrolled: 1-line block ×5, first 2 shown]
	s_waitcnt vmcnt(57) lgkmcnt(0)
	v_mul_f64 v[218:219], v[5:6], v[173:174]
	v_mul_f64 v[173:174], v[7:8], v[173:174]
	s_waitcnt vmcnt(56)
	v_fma_f64 v[169:170], v[135:136], v[157:158], -v[169:170]
	ds_read_b128 v[1:4], v196 offset:1312
	v_fma_f64 v[155:156], v[137:138], v[157:158], v[155:156]
	s_clause 0x2
	buffer_load_dword v172, off, s[0:3], 0 offset:556
	buffer_load_dword v158, off, s[0:3], 0 offset:532
	;; [unrolled: 1-line block ×3, first 2 shown]
	ds_read_b128 v[135:138], v196 offset:1328
	v_add_f64 v[147:148], v[147:148], v[165:166]
	v_add_f64 v[139:140], v[139:140], v[161:162]
	s_waitcnt vmcnt(58) lgkmcnt(1)
	v_mul_f64 v[165:166], v[3:4], v[177:178]
	s_waitcnt vmcnt(56)
	v_fma_f64 v[173:174], v[5:6], v[179:180], -v[173:174]
	v_mul_f64 v[161:162], v[1:2], v[177:178]
	v_add_f64 v[147:148], v[147:148], v[169:170]
	v_fma_f64 v[169:170], v[7:8], v[179:180], v[218:219]
	v_add_f64 v[139:140], v[139:140], v[155:156]
	s_clause 0x4
	buffer_load_dword v156, off, s[0:3], 0 offset:572
	buffer_load_dword v177, off, s[0:3], 0 offset:584
	;; [unrolled: 1-line block ×5, first 2 shown]
	s_waitcnt vmcnt(57) lgkmcnt(0)
	v_mul_f64 v[218:219], v[135:136], v[181:182]
	v_mul_f64 v[180:181], v[137:138], v[181:182]
	s_waitcnt vmcnt(56)
	v_fma_f64 v[165:166], v[1:2], v[167:168], -v[165:166]
	ds_read_b128 v[5:8], v196 offset:1344
	v_fma_f64 v[161:162], v[3:4], v[167:168], v[161:162]
	s_clause 0x2
	buffer_load_dword v178, off, s[0:3], 0 offset:588
	buffer_load_dword v168, off, s[0:3], 0 offset:564
	;; [unrolled: 1-line block ×3, first 2 shown]
	ds_read_b128 v[1:4], v196 offset:1360
	v_add_f64 v[147:148], v[147:148], v[173:174]
	v_add_f64 v[139:140], v[139:140], v[169:170]
	s_waitcnt vmcnt(58) lgkmcnt(1)
	v_mul_f64 v[173:174], v[7:8], v[185:186]
	s_waitcnt vmcnt(56)
	v_fma_f64 v[181:182], v[135:136], v[187:188], -v[180:181]
	v_mul_f64 v[169:170], v[5:6], v[185:186]
	v_add_f64 v[147:148], v[147:148], v[165:166]
	v_fma_f64 v[165:166], v[137:138], v[187:188], v[218:219]
	v_add_f64 v[139:140], v[139:140], v[161:162]
	s_clause 0x4
	buffer_load_dword v162, off, s[0:3], 0 offset:604
	buffer_load_dword v185, off, s[0:3], 0 offset:616
	buffer_load_dword v187, off, s[0:3], 0 offset:608
	buffer_load_dword v161, off, s[0:3], 0 offset:600
	buffer_load_dword v180, off, s[0:3], 0 offset:580
	s_waitcnt vmcnt(57) lgkmcnt(0)
	v_mul_f64 v[218:219], v[1:2], v[189:190]
	v_mul_f64 v[188:189], v[3:4], v[189:190]
	s_waitcnt vmcnt(56)
	v_fma_f64 v[173:174], v[5:6], v[175:176], -v[173:174]
	ds_read_b128 v[135:138], v196 offset:1376
	v_fma_f64 v[169:170], v[7:8], v[175:176], v[169:170]
	v_add_f64 v[147:148], v[147:148], v[181:182]
	v_add_f64 v[139:140], v[139:140], v[165:166]
	s_clause 0x2
	buffer_load_dword v186, off, s[0:3], 0 offset:620
	buffer_load_dword v166, off, s[0:3], 0 offset:596
	;; [unrolled: 1-line block ×3, first 2 shown]
	ds_read_b128 v[5:8], v196 offset:1392
	s_waitcnt vmcnt(58) lgkmcnt(1)
	v_mul_f64 v[181:182], v[137:138], v[191:192]
	s_waitcnt vmcnt(56)
	v_fma_f64 v[189:190], v[1:2], v[193:194], -v[188:189]
	v_mul_f64 v[175:176], v[135:136], v[191:192]
	v_add_f64 v[147:148], v[147:148], v[173:174]
	v_fma_f64 v[173:174], v[3:4], v[193:194], v[218:219]
	v_add_f64 v[139:140], v[139:140], v[169:170]
	s_clause 0x4
	buffer_load_dword v170, off, s[0:3], 0 offset:636
	buffer_load_dword v191, off, s[0:3], 0 offset:648
	;; [unrolled: 1-line block ×5, first 2 shown]
	s_waitcnt vmcnt(57) lgkmcnt(0)
	v_mul_f64 v[218:219], v[5:6], v[203:204]
	v_mul_f64 v[203:204], v[7:8], v[203:204]
	s_waitcnt vmcnt(56)
	v_fma_f64 v[181:182], v[135:136], v[183:184], -v[181:182]
	ds_read_b128 v[1:4], v196 offset:1408
	v_fma_f64 v[175:176], v[137:138], v[183:184], v[175:176]
	v_add_f64 v[147:148], v[147:148], v[189:190]
	v_add_f64 v[139:140], v[139:140], v[173:174]
	s_clause 0x2
	buffer_load_dword v192, off, s[0:3], 0 offset:652
	buffer_load_dword v174, off, s[0:3], 0 offset:628
	;; [unrolled: 1-line block ×3, first 2 shown]
	ds_read_b128 v[135:138], v196 offset:1424
	s_waitcnt vmcnt(58) lgkmcnt(1)
	v_mul_f64 v[189:190], v[3:4], v[205:206]
	v_mul_f64 v[183:184], v[1:2], v[205:206]
	s_waitcnt vmcnt(56)
	v_fma_f64 v[203:204], v[5:6], v[143:144], -v[203:204]
	v_fma_f64 v[143:144], v[7:8], v[143:144], v[218:219]
	v_add_f64 v[147:148], v[147:148], v[181:182]
	v_add_f64 v[139:140], v[139:140], v[175:176]
	s_clause 0x4
	buffer_load_dword v176, off, s[0:3], 0 offset:668
	buffer_load_dword v181, off, s[0:3], 0 offset:680
	;; [unrolled: 1-line block ×5, first 2 shown]
	ds_read_b128 v[5:8], v196 offset:1440
	s_waitcnt vmcnt(57) lgkmcnt(1)
	v_mul_f64 v[218:219], v[135:136], v[141:142]
	v_mul_f64 v[141:142], v[137:138], v[141:142]
	s_waitcnt vmcnt(56)
	v_fma_f64 v[189:190], v[1:2], v[207:208], -v[189:190]
	v_fma_f64 v[183:184], v[3:4], v[207:208], v[183:184]
	v_add_f64 v[147:148], v[147:148], v[203:204]
	v_add_f64 v[139:140], v[139:140], v[143:144]
	s_clause 0x2
	buffer_load_dword v182, off, s[0:3], 0 offset:684
	buffer_load_dword v144, off, s[0:3], 0 offset:660
	;; [unrolled: 1-line block ×3, first 2 shown]
	s_waitcnt vmcnt(58) lgkmcnt(0)
	v_mul_f64 v[207:208], v[7:8], v[209:210]
	ds_read_b128 v[1:4], v196 offset:1456
	v_mul_f64 v[203:204], v[5:6], v[209:210]
	s_waitcnt vmcnt(56)
	v_fma_f64 v[141:142], v[135:136], v[199:200], -v[141:142]
	v_add_f64 v[147:148], v[147:148], v[189:190]
	v_fma_f64 v[189:190], v[137:138], v[199:200], v[218:219]
	v_add_f64 v[139:140], v[139:140], v[183:184]
	s_clause 0x4
	buffer_load_dword v184, off, s[0:3], 0 offset:700
	buffer_load_dword v199, off, s[0:3], 0 offset:712
	;; [unrolled: 1-line block ×5, first 2 shown]
	ds_read_b128 v[135:138], v196 offset:1472
	s_waitcnt vmcnt(57) lgkmcnt(1)
	v_mul_f64 v[218:219], v[1:2], v[159:160]
	v_mul_f64 v[159:160], v[3:4], v[159:160]
	s_waitcnt vmcnt(56)
	v_fma_f64 v[207:208], v[5:6], v[214:215], -v[207:208]
	v_add_f64 v[141:142], v[147:148], v[141:142]
	v_fma_f64 v[147:148], v[7:8], v[214:215], v[203:204]
	v_add_f64 v[139:140], v[139:140], v[189:190]
	s_clause 0x2
	buffer_load_dword v200, off, s[0:3], 0 offset:716
	buffer_load_dword v190, off, s[0:3], 0 offset:692
	;; [unrolled: 1-line block ×3, first 2 shown]
	ds_read_b128 v[5:8], v196 offset:1488
	s_waitcnt vmcnt(58) lgkmcnt(1)
	v_mul_f64 v[203:204], v[135:136], v[201:202]
	v_mul_f64 v[201:202], v[137:138], v[201:202]
	s_waitcnt vmcnt(56)
	v_fma_f64 v[159:160], v[1:2], v[153:154], -v[159:160]
	v_fma_f64 v[153:154], v[3:4], v[153:154], v[218:219]
	v_add_f64 v[141:142], v[141:142], v[207:208]
	v_add_f64 v[139:140], v[139:140], v[147:148]
	s_clause 0x4
	buffer_load_dword v148, off, s[0:3], 0 offset:732
	buffer_load_dword v207, off, s[0:3], 0 offset:744
	buffer_load_dword v213, off, s[0:3], 0 offset:736
	buffer_load_dword v147, off, s[0:3], 0 offset:728
	buffer_load_dword v210, off, s[0:3], 0 offset:708
	ds_read_b128 v[1:4], v196 offset:1504
	s_waitcnt vmcnt(57) lgkmcnt(1)
	v_mul_f64 v[214:215], v[5:6], v[145:146]
	v_mul_f64 v[145:146], v[7:8], v[145:146]
	s_waitcnt vmcnt(56)
	v_fma_f64 v[201:202], v[135:136], v[216:217], -v[201:202]
	v_add_f64 v[141:142], v[141:142], v[159:160]
	v_fma_f64 v[159:160], v[137:138], v[216:217], v[203:204]
	v_add_f64 v[139:140], v[139:140], v[153:154]
	s_clause 0x2
	buffer_load_dword v208, off, s[0:3], 0 offset:748
	buffer_load_dword v154, off, s[0:3], 0 offset:724
	;; [unrolled: 1-line block ×3, first 2 shown]
	ds_read_b128 v[135:138], v196 offset:1520
	s_waitcnt vmcnt(58) lgkmcnt(1)
	v_mul_f64 v[203:204], v[1:2], v[163:164]
	v_mul_f64 v[163:164], v[3:4], v[163:164]
	s_waitcnt vmcnt(56)
	v_fma_f64 v[145:146], v[5:6], v[151:152], -v[145:146]
	v_fma_f64 v[151:152], v[7:8], v[151:152], v[214:215]
	v_add_f64 v[141:142], v[141:142], v[201:202]
	v_add_f64 v[139:140], v[139:140], v[159:160]
	s_clause 0x4
	buffer_load_dword v160, off, s[0:3], 0 offset:764
	buffer_load_dword v201, off, s[0:3], 0 offset:776
	;; [unrolled: 1-line block ×5, first 2 shown]
	ds_read_b128 v[5:8], v196 offset:1536
	s_waitcnt vmcnt(57) lgkmcnt(1)
	v_mul_f64 v[216:217], v[135:136], v[149:150]
	v_mul_f64 v[149:150], v[137:138], v[149:150]
	s_waitcnt vmcnt(56)
	v_fma_f64 v[163:164], v[1:2], v[211:212], -v[163:164]
	v_add_f64 v[141:142], v[141:142], v[145:146]
	v_fma_f64 v[145:146], v[3:4], v[211:212], v[203:204]
	v_add_f64 v[139:140], v[139:140], v[151:152]
	s_clause 0x2
	buffer_load_dword v202, off, s[0:3], 0 offset:780
	buffer_load_dword v152, off, s[0:3], 0 offset:756
	;; [unrolled: 1-line block ×3, first 2 shown]
	s_waitcnt vmcnt(58) lgkmcnt(0)
	v_mul_f64 v[203:204], v[5:6], v[171:172]
	v_mul_f64 v[171:172], v[7:8], v[171:172]
	ds_read_b128 v[1:4], v196 offset:1552
	s_waitcnt vmcnt(56)
	v_fma_f64 v[149:150], v[135:136], v[157:158], -v[149:150]
	v_fma_f64 v[157:158], v[137:138], v[157:158], v[216:217]
	v_add_f64 v[141:142], v[141:142], v[163:164]
	v_add_f64 v[139:140], v[139:140], v[145:146]
	s_clause 0x4
	buffer_load_dword v146, off, s[0:3], 0 offset:796
	buffer_load_dword v163, off, s[0:3], 0 offset:808
	;; [unrolled: 1-line block ×5, first 2 shown]
	ds_read_b128 v[135:138], v196 offset:1568
	s_waitcnt vmcnt(57) lgkmcnt(1)
	v_mul_f64 v[217:218], v[1:2], v[155:156]
	v_mul_f64 v[155:156], v[3:4], v[155:156]
	s_waitcnt vmcnt(56)
	v_fma_f64 v[171:172], v[5:6], v[197:198], -v[171:172]
	v_add_f64 v[141:142], v[141:142], v[149:150]
	v_fma_f64 v[149:150], v[7:8], v[197:198], v[203:204]
	v_add_f64 v[139:140], v[139:140], v[157:158]
	s_clause 0x2
	buffer_load_dword v164, off, s[0:3], 0 offset:812
	buffer_load_dword v158, off, s[0:3], 0 offset:788
	;; [unrolled: 1-line block ×3, first 2 shown]
	s_waitcnt vmcnt(58) lgkmcnt(0)
	v_mul_f64 v[197:198], v[135:136], v[177:178]
	v_mul_f64 v[177:178], v[137:138], v[177:178]
	ds_read_b128 v[5:8], v196 offset:1584
	s_waitcnt vmcnt(56)
	v_fma_f64 v[155:156], v[1:2], v[167:168], -v[155:156]
	v_fma_f64 v[167:168], v[3:4], v[167:168], v[217:218]
	v_add_f64 v[141:142], v[141:142], v[171:172]
	v_add_f64 v[139:140], v[139:140], v[149:150]
	s_clause 0x4
	buffer_load_dword v150, off, s[0:3], 0 offset:828
	buffer_load_dword v171, off, s[0:3], 0 offset:840
	buffer_load_dword v203, off, s[0:3], 0 offset:832
	buffer_load_dword v149, off, s[0:3], 0 offset:824
	buffer_load_dword v212, off, s[0:3], 0 offset:804
	ds_read_b128 v[1:4], v196 offset:1600
	s_waitcnt vmcnt(57) lgkmcnt(1)
	v_mul_f64 v[217:218], v[5:6], v[161:162]
	v_mul_f64 v[161:162], v[7:8], v[161:162]
	s_waitcnt vmcnt(56)
	v_fma_f64 v[177:178], v[135:136], v[179:180], -v[177:178]
	v_add_f64 v[141:142], v[141:142], v[155:156]
	v_fma_f64 v[155:156], v[137:138], v[179:180], v[197:198]
	v_add_f64 v[139:140], v[139:140], v[167:168]
	s_clause 0x2
	buffer_load_dword v172, off, s[0:3], 0 offset:844
	buffer_load_dword v168, off, s[0:3], 0 offset:820
	buffer_load_dword v167, off, s[0:3], 0 offset:816
	ds_read_b128 v[135:138], v196 offset:1616
	s_waitcnt vmcnt(58) lgkmcnt(1)
	v_mul_f64 v[179:180], v[1:2], v[185:186]
	v_mul_f64 v[185:186], v[3:4], v[185:186]
	s_waitcnt vmcnt(56)
	v_fma_f64 v[161:162], v[5:6], v[165:166], -v[161:162]
	v_fma_f64 v[165:166], v[7:8], v[165:166], v[217:218]
	v_add_f64 v[141:142], v[141:142], v[177:178]
	v_add_f64 v[139:140], v[139:140], v[155:156]
	s_clause 0x4
	buffer_load_dword v156, off, s[0:3], 0 offset:860
	buffer_load_dword v177, off, s[0:3], 0 offset:872
	buffer_load_dword v197, off, s[0:3], 0 offset:864
	buffer_load_dword v155, off, s[0:3], 0 offset:856
	buffer_load_dword v204, off, s[0:3], 0 offset:836
	ds_read_b128 v[5:8], v196 offset:1632
	s_waitcnt vmcnt(57) lgkmcnt(1)
	v_mul_f64 v[217:218], v[135:136], v[169:170]
	v_mul_f64 v[169:170], v[137:138], v[169:170]
	s_waitcnt vmcnt(56)
	v_fma_f64 v[185:186], v[1:2], v[187:188], -v[185:186]
	v_add_f64 v[141:142], v[141:142], v[161:162]
	v_fma_f64 v[161:162], v[3:4], v[187:188], v[179:180]
	v_add_f64 v[139:140], v[139:140], v[165:166]
	s_clause 0x2
	buffer_load_dword v178, off, s[0:3], 0 offset:876
	buffer_load_dword v166, off, s[0:3], 0 offset:852
	buffer_load_dword v165, off, s[0:3], 0 offset:848
	ds_read_b128 v[1:4], v196 offset:1648
	s_waitcnt vmcnt(58) lgkmcnt(1)
	v_mul_f64 v[187:188], v[7:8], v[191:192]
	v_mul_f64 v[179:180], v[5:6], v[191:192]
	;; [unrolled: 28-line block ×4, first 2 shown]
	s_waitcnt vmcnt(56)
	v_fma_f64 v[183:184], v[5:6], v[189:190], -v[183:184]
	v_add_f64 v[141:142], v[141:142], v[181:182]
	v_fma_f64 v[181:182], v[7:8], v[189:190], v[217:218]
	v_add_f64 v[139:140], v[139:140], v[175:176]
	s_clause 0x4
	buffer_load_dword v176, off, s[0:3], 0 offset:956
	buffer_load_dword v189, off, s[0:3], 0 offset:968
	buffer_load_dword v205, off, s[0:3], 0 offset:960
	buffer_load_dword v175, off, s[0:3], 0 offset:952
	buffer_load_dword v194, off, s[0:3], 0 offset:932
	ds_read_b128 v[5:8], v196 offset:1728
	s_waitcnt vmcnt(57) lgkmcnt(1)
	v_mul_f64 v[217:218], v[135:136], v[147:148]
	v_mul_f64 v[147:148], v[137:138], v[147:148]
	s_waitcnt vmcnt(56)
	v_fma_f64 v[199:200], v[1:2], v[209:210], -v[199:200]
	v_fma_f64 v[179:180], v[3:4], v[209:210], v[179:180]
	v_add_f64 v[141:142], v[141:142], v[183:184]
	v_add_f64 v[139:140], v[139:140], v[181:182]
	s_clause 0x2
	buffer_load_dword v190, off, s[0:3], 0 offset:972
	buffer_load_dword v182, off, s[0:3], 0 offset:948
	;; [unrolled: 1-line block ×3, first 2 shown]
	ds_read_b128 v[1:4], v196 offset:1744
	s_waitcnt vmcnt(58) lgkmcnt(1)
	v_mul_f64 v[183:184], v[5:6], v[207:208]
	v_mul_f64 v[207:208], v[7:8], v[207:208]
	s_waitcnt vmcnt(56)
	v_fma_f64 v[147:148], v[135:136], v[153:154], -v[147:148]
	v_fma_f64 v[153:154], v[137:138], v[153:154], v[217:218]
	v_add_f64 v[141:142], v[141:142], v[199:200]
	v_add_f64 v[139:140], v[139:140], v[179:180]
	s_clause 0x4
	buffer_load_dword v180, off, s[0:3], 0 offset:988
	buffer_load_dword v199, off, s[0:3], 0 offset:1000
	;; [unrolled: 1-line block ×5, first 2 shown]
	ds_read_b128 v[135:138], v196 offset:1760
	s_waitcnt vmcnt(57) lgkmcnt(1)
	v_mul_f64 v[217:218], v[1:2], v[159:160]
	v_mul_f64 v[159:160], v[3:4], v[159:160]
	s_waitcnt vmcnt(56)
	v_fma_f64 v[207:208], v[5:6], v[213:214], -v[207:208]
	v_add_f64 v[141:142], v[141:142], v[147:148]
	v_fma_f64 v[147:148], v[7:8], v[213:214], v[183:184]
	v_add_f64 v[139:140], v[139:140], v[153:154]
	s_clause 0x2
	buffer_load_dword v200, off, s[0:3], 0 offset:1004
	buffer_load_dword v154, off, s[0:3], 0 offset:980
	;; [unrolled: 1-line block ×3, first 2 shown]
	ds_read_b128 v[5:8], v196 offset:1776
	s_waitcnt vmcnt(58) lgkmcnt(1)
	v_mul_f64 v[183:184], v[135:136], v[201:202]
	v_mul_f64 v[201:202], v[137:138], v[201:202]
	s_waitcnt vmcnt(56)
	v_fma_f64 v[159:160], v[1:2], v[151:152], -v[159:160]
	v_fma_f64 v[151:152], v[3:4], v[151:152], v[217:218]
	v_add_f64 v[141:142], v[141:142], v[207:208]
	v_add_f64 v[139:140], v[139:140], v[147:148]
	s_clause 0x2
	buffer_load_dword v148, off, s[0:3], 0 offset:1020
	buffer_load_dword v147, off, s[0:3], 0 offset:1016
	;; [unrolled: 1-line block ×3, first 2 shown]
	ds_read_b128 v[1:4], v196 offset:1792
	s_waitcnt vmcnt(55) lgkmcnt(1)
	v_mul_f64 v[207:208], v[5:6], v[145:146]
	v_mul_f64 v[145:146], v[7:8], v[145:146]
	s_waitcnt vmcnt(54)
	v_fma_f64 v[201:202], v[135:136], v[215:216], -v[201:202]
	v_add_f64 v[141:142], v[141:142], v[159:160]
	v_fma_f64 v[159:160], v[137:138], v[215:216], v[183:184]
	v_add_f64 v[139:140], v[139:140], v[151:152]
	s_clause 0x1
	buffer_load_dword v152, off, s[0:3], 0 offset:1012
	buffer_load_dword v151, off, s[0:3], 0 offset:1008
	ds_read_b128 v[135:138], v196 offset:1808
	s_waitcnt vmcnt(55) lgkmcnt(1)
	v_mul_f64 v[183:184], v[1:2], v[163:164]
	v_mul_f64 v[163:164], v[3:4], v[163:164]
	s_waitcnt vmcnt(53)
	v_fma_f64 v[145:146], v[5:6], v[157:158], -v[145:146]
	v_fma_f64 v[157:158], v[7:8], v[157:158], v[207:208]
	ds_read_b128 v[5:8], v196 offset:1824
	v_add_f64 v[141:142], v[141:142], v[201:202]
	v_add_f64 v[139:140], v[139:140], v[159:160]
	s_waitcnt vmcnt(49) lgkmcnt(1)
	v_mul_f64 v[159:160], v[135:136], v[149:150]
	v_mul_f64 v[149:150], v[137:138], v[149:150]
	s_waitcnt vmcnt(48)
	v_fma_f64 v[163:164], v[1:2], v[211:212], -v[163:164]
	v_add_f64 v[141:142], v[141:142], v[145:146]
	v_fma_f64 v[145:146], v[3:4], v[211:212], v[183:184]
	v_add_f64 v[139:140], v[139:140], v[157:158]
	s_clause 0x3
	buffer_load_dword v157, off, s[0:3], 0 offset:144
	buffer_load_dword v158, off, s[0:3], 0 offset:148
	;; [unrolled: 1-line block ×4, first 2 shown]
	ds_read_b128 v[1:4], v196 offset:1840
	s_waitcnt vmcnt(51) lgkmcnt(1)
	v_mul_f64 v[201:202], v[5:6], v[171:172]
	v_mul_f64 v[171:172], v[7:8], v[171:172]
	s_waitcnt vmcnt(49)
	v_fma_f64 v[149:150], v[135:136], v[167:168], -v[149:150]
	v_fma_f64 v[159:160], v[137:138], v[167:168], v[159:160]
	ds_read_b128 v[135:138], v196 offset:1856
	v_add_f64 v[141:142], v[141:142], v[163:164]
	v_add_f64 v[139:140], v[139:140], v[145:146]
	s_waitcnt vmcnt(45) lgkmcnt(1)
	v_mul_f64 v[145:146], v[1:2], v[155:156]
	v_mul_f64 v[155:156], v[3:4], v[155:156]
	s_waitcnt vmcnt(44)
	v_fma_f64 v[163:164], v[5:6], v[203:204], -v[171:172]
	v_add_f64 v[141:142], v[141:142], v[149:150]
	v_fma_f64 v[149:150], v[7:8], v[203:204], v[201:202]
	v_add_f64 v[139:140], v[139:140], v[159:160]
	ds_read_b128 v[5:8], v196 offset:1872
	s_waitcnt vmcnt(43) lgkmcnt(1)
	v_mul_f64 v[167:168], v[137:138], v[177:178]
	v_mul_f64 v[159:160], v[135:136], v[177:178]
	s_waitcnt vmcnt(41)
	v_fma_f64 v[155:156], v[1:2], v[165:166], -v[155:156]
	v_fma_f64 v[145:146], v[3:4], v[165:166], v[145:146]
	ds_read_b128 v[1:4], v196 offset:1888
	v_add_f64 v[141:142], v[141:142], v[163:164]
	v_add_f64 v[139:140], v[139:140], v[149:150]
	s_waitcnt vmcnt(37) lgkmcnt(1)
	v_mul_f64 v[149:150], v[5:6], v[161:162]
	v_mul_f64 v[161:162], v[7:8], v[161:162]
	s_waitcnt vmcnt(36)
	v_fma_f64 v[163:164], v[135:136], v[197:198], -v[167:168]
	v_add_f64 v[141:142], v[141:142], v[155:156]
	v_fma_f64 v[155:156], v[137:138], v[197:198], v[159:160]
	v_add_f64 v[139:140], v[139:140], v[145:146]
	ds_read_b128 v[135:138], v196 offset:1904
	s_waitcnt vmcnt(35) lgkmcnt(1)
	v_mul_f64 v[159:160], v[3:4], v[185:186]
	v_mul_f64 v[145:146], v[1:2], v[185:186]
	s_waitcnt vmcnt(33)
	v_fma_f64 v[161:162], v[5:6], v[173:174], -v[161:162]
	v_fma_f64 v[149:150], v[7:8], v[173:174], v[149:150]
	ds_read_b128 v[5:8], v196 offset:1920
	v_add_f64 v[141:142], v[141:142], v[163:164]
	v_add_f64 v[139:140], v[139:140], v[155:156]
	s_waitcnt vmcnt(29) lgkmcnt(1)
	v_mul_f64 v[163:164], v[137:138], v[169:170]
	s_waitcnt vmcnt(28)
	v_fma_f64 v[159:160], v[1:2], v[191:192], -v[159:160]
	v_mul_f64 v[155:156], v[135:136], v[169:170]
	v_fma_f64 v[145:146], v[3:4], v[191:192], v[145:146]
	ds_read_b128 v[1:4], v196 offset:1936
	v_add_f64 v[141:142], v[141:142], v[161:162]
	v_add_f64 v[139:140], v[139:140], v[149:150]
	s_waitcnt vmcnt(27) lgkmcnt(1)
	v_mul_f64 v[161:162], v[7:8], v[187:188]
	v_mul_f64 v[149:150], v[5:6], v[187:188]
	s_waitcnt vmcnt(25)
	v_fma_f64 v[163:164], v[135:136], v[143:144], -v[163:164]
	v_fma_f64 v[143:144], v[137:138], v[143:144], v[155:156]
	ds_read_b128 v[135:138], v196 offset:1952
	v_add_f64 v[141:142], v[141:142], v[159:160]
	v_add_f64 v[139:140], v[139:140], v[145:146]
	s_waitcnt vmcnt(21) lgkmcnt(1)
	v_mul_f64 v[155:156], v[3:4], v[175:176]
	s_waitcnt vmcnt(20)
	v_fma_f64 v[159:160], v[5:6], v[193:194], -v[161:162]
	v_mul_f64 v[145:146], v[1:2], v[175:176]
	v_fma_f64 v[149:150], v[7:8], v[193:194], v[149:150]
	ds_read_b128 v[5:8], v196 offset:1968
	v_add_f64 v[141:142], v[141:142], v[163:164]
	v_add_f64 v[139:140], v[139:140], v[143:144]
	;; [unrolled: 18-line block ×3, first 2 shown]
	s_waitcnt vmcnt(11) lgkmcnt(1)
	v_mul_f64 v[155:156], v[3:4], v[199:200]
	v_mul_f64 v[145:146], v[1:2], v[199:200]
	s_waitcnt vmcnt(9)
	v_fma_f64 v[5:6], v[5:6], v[153:154], -v[159:160]
	v_fma_f64 v[7:8], v[7:8], v[153:154], v[149:150]
	v_add_f64 v[141:142], v[141:142], v[161:162]
	v_add_f64 v[139:140], v[139:140], v[143:144]
	s_waitcnt vmcnt(7) lgkmcnt(0)
	v_mul_f64 v[143:144], v[135:136], v[147:148]
	v_mul_f64 v[147:148], v[137:138], v[147:148]
	s_waitcnt vmcnt(6)
	v_fma_f64 v[1:2], v[1:2], v[209:210], -v[155:156]
	v_fma_f64 v[3:4], v[3:4], v[209:210], v[145:146]
	v_add_f64 v[5:6], v[141:142], v[5:6]
	v_add_f64 v[7:8], v[139:140], v[7:8]
	s_waitcnt vmcnt(4)
	v_fma_f64 v[135:136], v[135:136], v[151:152], -v[147:148]
	v_add_f64 v[1:2], v[5:6], v[1:2]
	v_fma_f64 v[5:6], v[137:138], v[151:152], v[143:144]
	v_add_f64 v[3:4], v[7:8], v[3:4]
	v_add_f64 v[1:2], v[1:2], v[135:136]
	;; [unrolled: 1-line block ×3, first 2 shown]
	s_waitcnt vmcnt(2)
	v_add_f64 v[1:2], v[157:158], -v[1:2]
	s_waitcnt vmcnt(0)
	v_add_f64 v[3:4], v[183:184], -v[3:4]
	buffer_store_dword v2, off, s[0:3], 0 offset:148
	buffer_store_dword v1, off, s[0:3], 0 offset:144
	;; [unrolled: 1-line block ×4, first 2 shown]
	v_cmpx_lt_u32_e32 7, v0
	s_cbranch_execz .LBB126_389
; %bb.388:
	v_mov_b32_e32 v4, s70
	v_mov_b32_e32 v5, 0
	s_clause 0x3
	buffer_load_dword v1, v4, s[0:3], 0 offen
	buffer_load_dword v2, v4, s[0:3], 0 offen offset:4
	buffer_load_dword v3, v4, s[0:3], 0 offen offset:8
	;; [unrolled: 1-line block ×3, first 2 shown]
	buffer_store_dword v5, off, s[0:3], 0 offset:128
	buffer_store_dword v5, off, s[0:3], 0 offset:132
	;; [unrolled: 1-line block ×4, first 2 shown]
	s_waitcnt vmcnt(0)
	ds_write_b128 v195, v[1:4]
.LBB126_389:
	s_or_b32 exec_lo, exec_lo, s4
	s_waitcnt lgkmcnt(0)
	s_waitcnt_vscnt null, 0x0
	s_barrier
	buffer_gl0_inv
	s_clause 0x37
	buffer_load_dword v143, off, s[0:3], 0 offset:152
	buffer_load_dword v144, off, s[0:3], 0 offset:156
	buffer_load_dword v139, off, s[0:3], 0 offset:168
	buffer_load_dword v140, off, s[0:3], 0 offset:172
	buffer_load_dword v141, off, s[0:3], 0 offset:144
	buffer_load_dword v142, off, s[0:3], 0 offset:148
	buffer_load_dword v137, off, s[0:3], 0 offset:184
	buffer_load_dword v138, off, s[0:3], 0 offset:188
	buffer_load_dword v135, off, s[0:3], 0 offset:160
	buffer_load_dword v136, off, s[0:3], 0 offset:164
	buffer_load_dword v148, off, s[0:3], 0 offset:204
	buffer_load_dword v151, off, s[0:3], 0 offset:216
	buffer_load_dword v145, off, s[0:3], 0 offset:208
	buffer_load_dword v147, off, s[0:3], 0 offset:200
	buffer_load_dword v159, off, s[0:3], 0 offset:176
	buffer_load_dword v160, off, s[0:3], 0 offset:180
	buffer_load_dword v152, off, s[0:3], 0 offset:220
	buffer_load_dword v154, off, s[0:3], 0 offset:196
	buffer_load_dword v153, off, s[0:3], 0 offset:192
	buffer_load_dword v156, off, s[0:3], 0 offset:236
	buffer_load_dword v161, off, s[0:3], 0 offset:248
	buffer_load_dword v149, off, s[0:3], 0 offset:240
	buffer_load_dword v155, off, s[0:3], 0 offset:232
	buffer_load_dword v146, off, s[0:3], 0 offset:212
	buffer_load_dword v162, off, s[0:3], 0 offset:252
	buffer_load_dword v164, off, s[0:3], 0 offset:228
	buffer_load_dword v163, off, s[0:3], 0 offset:224
	buffer_load_dword v166, off, s[0:3], 0 offset:268
	buffer_load_dword v169, off, s[0:3], 0 offset:280
	buffer_load_dword v157, off, s[0:3], 0 offset:272
	buffer_load_dword v165, off, s[0:3], 0 offset:264
	buffer_load_dword v150, off, s[0:3], 0 offset:244
	buffer_load_dword v170, off, s[0:3], 0 offset:284
	buffer_load_dword v172, off, s[0:3], 0 offset:260
	buffer_load_dword v171, off, s[0:3], 0 offset:256
	buffer_load_dword v174, off, s[0:3], 0 offset:300
	buffer_load_dword v177, off, s[0:3], 0 offset:312
	buffer_load_dword v167, off, s[0:3], 0 offset:304
	buffer_load_dword v173, off, s[0:3], 0 offset:296
	buffer_load_dword v158, off, s[0:3], 0 offset:276
	buffer_load_dword v178, off, s[0:3], 0 offset:316
	buffer_load_dword v180, off, s[0:3], 0 offset:292
	buffer_load_dword v179, off, s[0:3], 0 offset:288
	buffer_load_dword v182, off, s[0:3], 0 offset:332
	buffer_load_dword v185, off, s[0:3], 0 offset:344
	buffer_load_dword v175, off, s[0:3], 0 offset:336
	buffer_load_dword v181, off, s[0:3], 0 offset:328
	buffer_load_dword v168, off, s[0:3], 0 offset:308
	buffer_load_dword v186, off, s[0:3], 0 offset:348
	buffer_load_dword v188, off, s[0:3], 0 offset:324
	buffer_load_dword v187, off, s[0:3], 0 offset:320
	buffer_load_dword v190, off, s[0:3], 0 offset:364
	buffer_load_dword v191, off, s[0:3], 0 offset:376
	buffer_load_dword v183, off, s[0:3], 0 offset:368
	buffer_load_dword v189, off, s[0:3], 0 offset:360
	buffer_load_dword v176, off, s[0:3], 0 offset:340
	v_mov_b32_e32 v196, 0
	s_mov_b32 s4, exec_lo
	ds_read_b128 v[5:8], v196 offset:1136
	s_clause 0x2
	buffer_load_dword v192, off, s[0:3], 0 offset:380
	buffer_load_dword v194, off, s[0:3], 0 offset:356
	;; [unrolled: 1-line block ×3, first 2 shown]
	ds_read_b128 v[1:4], v196 offset:1152
	s_clause 0x4
	buffer_load_dword v204, off, s[0:3], 0 offset:396
	buffer_load_dword v205, off, s[0:3], 0 offset:408
	buffer_load_dword v207, off, s[0:3], 0 offset:400
	buffer_load_dword v203, off, s[0:3], 0 offset:392
	buffer_load_dword v184, off, s[0:3], 0 offset:372
	ds_read_b128 v[197:200], v196 offset:1168
	s_waitcnt vmcnt(62) lgkmcnt(2)
	v_mul_f64 v[201:202], v[7:8], v[143:144]
	v_mul_f64 v[143:144], v[5:6], v[143:144]
	s_waitcnt vmcnt(60) lgkmcnt(1)
	v_mul_f64 v[208:209], v[3:4], v[139:140]
	v_mul_f64 v[139:140], v[1:2], v[139:140]
	;; [unrolled: 3-line block ×3, first 2 shown]
	v_fma_f64 v[201:202], v[5:6], v[141:142], -v[201:202]
	v_fma_f64 v[141:142], v[7:8], v[141:142], v[143:144]
	s_clause 0x2
	buffer_load_dword v206, off, s[0:3], 0 offset:412
	buffer_load_dword v144, off, s[0:3], 0 offset:388
	;; [unrolled: 1-line block ×3, first 2 shown]
	s_waitcnt vmcnt(57)
	v_fma_f64 v[212:213], v[1:2], v[135:136], -v[208:209]
	ds_read_b128 v[5:8], v196 offset:1184
	v_fma_f64 v[135:136], v[3:4], v[135:136], v[139:140]
	s_waitcnt vmcnt(51)
	v_fma_f64 v[197:198], v[197:198], v[159:160], -v[137:138]
	v_fma_f64 v[159:160], v[199:200], v[159:160], v[210:211]
	v_add_f64 v[201:202], v[201:202], 0
	v_add_f64 v[139:140], v[141:142], 0
	s_clause 0x4
	buffer_load_dword v142, off, s[0:3], 0 offset:428
	buffer_load_dword v209, off, s[0:3], 0 offset:440
	;; [unrolled: 1-line block ×5, first 2 shown]
	s_waitcnt lgkmcnt(0)
	v_mul_f64 v[215:216], v[5:6], v[147:148]
	v_mul_f64 v[147:148], v[7:8], v[147:148]
	ds_read_b128 v[1:4], v196 offset:1200
	s_clause 0x2
	buffer_load_dword v210, off, s[0:3], 0 offset:444
	buffer_load_dword v200, off, s[0:3], 0 offset:420
	;; [unrolled: 1-line block ×3, first 2 shown]
	v_add_f64 v[201:202], v[201:202], v[212:213]
	v_add_f64 v[139:140], v[139:140], v[135:136]
	ds_read_b128 v[135:138], v196 offset:1216
	s_waitcnt vmcnt(58) lgkmcnt(1)
	v_mul_f64 v[211:212], v[1:2], v[151:152]
	v_mul_f64 v[151:152], v[3:4], v[151:152]
	s_waitcnt vmcnt(56)
	v_fma_f64 v[147:148], v[5:6], v[153:154], -v[147:148]
	v_fma_f64 v[153:154], v[7:8], v[153:154], v[215:216]
	s_waitcnt vmcnt(52) lgkmcnt(0)
	v_mul_f64 v[217:218], v[135:136], v[155:156]
	v_add_f64 v[197:198], v[201:202], v[197:198]
	v_add_f64 v[139:140], v[139:140], v[159:160]
	s_clause 0x4
	buffer_load_dword v160, off, s[0:3], 0 offset:460
	buffer_load_dword v201, off, s[0:3], 0 offset:472
	;; [unrolled: 1-line block ×5, first 2 shown]
	v_mul_f64 v[155:156], v[137:138], v[155:156]
	s_waitcnt vmcnt(56)
	v_fma_f64 v[151:152], v[1:2], v[145:146], -v[151:152]
	ds_read_b128 v[5:8], v196 offset:1232
	v_fma_f64 v[145:146], v[3:4], v[145:146], v[211:212]
	v_add_f64 v[147:148], v[197:198], v[147:148]
	v_add_f64 v[139:140], v[139:140], v[153:154]
	s_clause 0x2
	buffer_load_dword v202, off, s[0:3], 0 offset:476
	buffer_load_dword v154, off, s[0:3], 0 offset:452
	;; [unrolled: 1-line block ×3, first 2 shown]
	s_waitcnt vmcnt(58) lgkmcnt(0)
	v_mul_f64 v[197:198], v[5:6], v[161:162]
	v_mul_f64 v[161:162], v[7:8], v[161:162]
	s_waitcnt vmcnt(56)
	v_fma_f64 v[155:156], v[135:136], v[163:164], -v[155:156]
	ds_read_b128 v[1:4], v196 offset:1248
	v_add_f64 v[147:148], v[147:148], v[151:152]
	v_fma_f64 v[151:152], v[137:138], v[163:164], v[217:218]
	v_add_f64 v[139:140], v[139:140], v[145:146]
	s_clause 0x4
	buffer_load_dword v146, off, s[0:3], 0 offset:492
	buffer_load_dword v163, off, s[0:3], 0 offset:504
	;; [unrolled: 1-line block ×5, first 2 shown]
	s_waitcnt vmcnt(57) lgkmcnt(0)
	v_mul_f64 v[212:213], v[1:2], v[165:166]
	v_mul_f64 v[165:166], v[3:4], v[165:166]
	s_waitcnt vmcnt(56)
	v_fma_f64 v[161:162], v[5:6], v[149:150], -v[161:162]
	ds_read_b128 v[135:138], v196 offset:1264
	v_fma_f64 v[149:150], v[7:8], v[149:150], v[197:198]
	v_add_f64 v[147:148], v[147:148], v[155:156]
	v_add_f64 v[139:140], v[139:140], v[151:152]
	s_clause 0x2
	buffer_load_dword v164, off, s[0:3], 0 offset:508
	buffer_load_dword v152, off, s[0:3], 0 offset:484
	;; [unrolled: 1-line block ×3, first 2 shown]
	ds_read_b128 v[5:8], v196 offset:1280
	s_waitcnt vmcnt(58) lgkmcnt(1)
	v_mul_f64 v[155:156], v[135:136], v[169:170]
	v_mul_f64 v[169:170], v[137:138], v[169:170]
	s_waitcnt vmcnt(56)
	v_fma_f64 v[165:166], v[1:2], v[171:172], -v[165:166]
	v_add_f64 v[147:148], v[147:148], v[161:162]
	v_fma_f64 v[161:162], v[3:4], v[171:172], v[212:213]
	v_add_f64 v[139:140], v[139:140], v[149:150]
	s_clause 0x4
	buffer_load_dword v150, off, s[0:3], 0 offset:524
	buffer_load_dword v171, off, s[0:3], 0 offset:536
	;; [unrolled: 1-line block ×5, first 2 shown]
	s_waitcnt vmcnt(57) lgkmcnt(0)
	v_mul_f64 v[218:219], v[5:6], v[173:174]
	v_mul_f64 v[173:174], v[7:8], v[173:174]
	s_waitcnt vmcnt(56)
	v_fma_f64 v[169:170], v[135:136], v[157:158], -v[169:170]
	ds_read_b128 v[1:4], v196 offset:1296
	v_fma_f64 v[155:156], v[137:138], v[157:158], v[155:156]
	s_clause 0x2
	buffer_load_dword v172, off, s[0:3], 0 offset:540
	buffer_load_dword v158, off, s[0:3], 0 offset:516
	buffer_load_dword v157, off, s[0:3], 0 offset:512
	ds_read_b128 v[135:138], v196 offset:1312
	v_add_f64 v[147:148], v[147:148], v[165:166]
	v_add_f64 v[139:140], v[139:140], v[161:162]
	s_waitcnt vmcnt(58) lgkmcnt(1)
	v_mul_f64 v[165:166], v[3:4], v[177:178]
	s_waitcnt vmcnt(56)
	v_fma_f64 v[173:174], v[5:6], v[179:180], -v[173:174]
	v_mul_f64 v[161:162], v[1:2], v[177:178]
	v_add_f64 v[147:148], v[147:148], v[169:170]
	v_fma_f64 v[169:170], v[7:8], v[179:180], v[218:219]
	v_add_f64 v[139:140], v[139:140], v[155:156]
	s_clause 0x4
	buffer_load_dword v156, off, s[0:3], 0 offset:556
	buffer_load_dword v177, off, s[0:3], 0 offset:568
	;; [unrolled: 1-line block ×5, first 2 shown]
	s_waitcnt vmcnt(57) lgkmcnt(0)
	v_mul_f64 v[218:219], v[135:136], v[181:182]
	v_mul_f64 v[180:181], v[137:138], v[181:182]
	s_waitcnt vmcnt(56)
	v_fma_f64 v[165:166], v[1:2], v[167:168], -v[165:166]
	ds_read_b128 v[5:8], v196 offset:1328
	v_fma_f64 v[161:162], v[3:4], v[167:168], v[161:162]
	s_clause 0x2
	buffer_load_dword v178, off, s[0:3], 0 offset:572
	buffer_load_dword v168, off, s[0:3], 0 offset:548
	;; [unrolled: 1-line block ×3, first 2 shown]
	ds_read_b128 v[1:4], v196 offset:1344
	v_add_f64 v[147:148], v[147:148], v[173:174]
	v_add_f64 v[139:140], v[139:140], v[169:170]
	s_waitcnt vmcnt(58) lgkmcnt(1)
	v_mul_f64 v[173:174], v[7:8], v[185:186]
	s_waitcnt vmcnt(56)
	v_fma_f64 v[181:182], v[135:136], v[187:188], -v[180:181]
	v_mul_f64 v[169:170], v[5:6], v[185:186]
	v_add_f64 v[147:148], v[147:148], v[165:166]
	v_fma_f64 v[165:166], v[137:138], v[187:188], v[218:219]
	v_add_f64 v[139:140], v[139:140], v[161:162]
	s_clause 0x4
	buffer_load_dword v162, off, s[0:3], 0 offset:588
	buffer_load_dword v185, off, s[0:3], 0 offset:600
	;; [unrolled: 1-line block ×5, first 2 shown]
	s_waitcnt vmcnt(57) lgkmcnt(0)
	v_mul_f64 v[218:219], v[1:2], v[189:190]
	v_mul_f64 v[188:189], v[3:4], v[189:190]
	s_waitcnt vmcnt(56)
	v_fma_f64 v[173:174], v[5:6], v[175:176], -v[173:174]
	ds_read_b128 v[135:138], v196 offset:1360
	v_fma_f64 v[169:170], v[7:8], v[175:176], v[169:170]
	v_add_f64 v[147:148], v[147:148], v[181:182]
	v_add_f64 v[139:140], v[139:140], v[165:166]
	s_clause 0x2
	buffer_load_dword v186, off, s[0:3], 0 offset:604
	buffer_load_dword v166, off, s[0:3], 0 offset:580
	;; [unrolled: 1-line block ×3, first 2 shown]
	ds_read_b128 v[5:8], v196 offset:1376
	s_waitcnt vmcnt(58) lgkmcnt(1)
	v_mul_f64 v[181:182], v[137:138], v[191:192]
	s_waitcnt vmcnt(56)
	v_fma_f64 v[189:190], v[1:2], v[193:194], -v[188:189]
	v_mul_f64 v[175:176], v[135:136], v[191:192]
	v_add_f64 v[147:148], v[147:148], v[173:174]
	v_fma_f64 v[173:174], v[3:4], v[193:194], v[218:219]
	v_add_f64 v[139:140], v[139:140], v[169:170]
	s_clause 0x4
	buffer_load_dword v170, off, s[0:3], 0 offset:620
	buffer_load_dword v191, off, s[0:3], 0 offset:632
	buffer_load_dword v193, off, s[0:3], 0 offset:624
	buffer_load_dword v169, off, s[0:3], 0 offset:616
	buffer_load_dword v188, off, s[0:3], 0 offset:596
	s_waitcnt vmcnt(57) lgkmcnt(0)
	v_mul_f64 v[218:219], v[5:6], v[203:204]
	v_mul_f64 v[203:204], v[7:8], v[203:204]
	s_waitcnt vmcnt(56)
	v_fma_f64 v[181:182], v[135:136], v[183:184], -v[181:182]
	ds_read_b128 v[1:4], v196 offset:1392
	v_fma_f64 v[175:176], v[137:138], v[183:184], v[175:176]
	v_add_f64 v[147:148], v[147:148], v[189:190]
	v_add_f64 v[139:140], v[139:140], v[173:174]
	s_clause 0x2
	buffer_load_dword v192, off, s[0:3], 0 offset:636
	buffer_load_dword v174, off, s[0:3], 0 offset:612
	;; [unrolled: 1-line block ×3, first 2 shown]
	ds_read_b128 v[135:138], v196 offset:1408
	s_waitcnt vmcnt(58) lgkmcnt(1)
	v_mul_f64 v[189:190], v[3:4], v[205:206]
	v_mul_f64 v[183:184], v[1:2], v[205:206]
	s_waitcnt vmcnt(56)
	v_fma_f64 v[203:204], v[5:6], v[143:144], -v[203:204]
	v_fma_f64 v[143:144], v[7:8], v[143:144], v[218:219]
	v_add_f64 v[147:148], v[147:148], v[181:182]
	v_add_f64 v[139:140], v[139:140], v[175:176]
	s_clause 0x4
	buffer_load_dword v176, off, s[0:3], 0 offset:652
	buffer_load_dword v181, off, s[0:3], 0 offset:664
	;; [unrolled: 1-line block ×5, first 2 shown]
	ds_read_b128 v[5:8], v196 offset:1424
	s_waitcnt vmcnt(57) lgkmcnt(1)
	v_mul_f64 v[218:219], v[135:136], v[141:142]
	v_mul_f64 v[141:142], v[137:138], v[141:142]
	s_waitcnt vmcnt(56)
	v_fma_f64 v[189:190], v[1:2], v[207:208], -v[189:190]
	v_fma_f64 v[183:184], v[3:4], v[207:208], v[183:184]
	v_add_f64 v[147:148], v[147:148], v[203:204]
	v_add_f64 v[139:140], v[139:140], v[143:144]
	s_clause 0x2
	buffer_load_dword v182, off, s[0:3], 0 offset:668
	buffer_load_dword v144, off, s[0:3], 0 offset:644
	;; [unrolled: 1-line block ×3, first 2 shown]
	s_waitcnt vmcnt(58) lgkmcnt(0)
	v_mul_f64 v[207:208], v[7:8], v[209:210]
	ds_read_b128 v[1:4], v196 offset:1440
	v_mul_f64 v[203:204], v[5:6], v[209:210]
	s_waitcnt vmcnt(56)
	v_fma_f64 v[141:142], v[135:136], v[199:200], -v[141:142]
	v_add_f64 v[147:148], v[147:148], v[189:190]
	v_fma_f64 v[189:190], v[137:138], v[199:200], v[218:219]
	v_add_f64 v[139:140], v[139:140], v[183:184]
	s_clause 0x4
	buffer_load_dword v184, off, s[0:3], 0 offset:684
	buffer_load_dword v199, off, s[0:3], 0 offset:696
	;; [unrolled: 1-line block ×5, first 2 shown]
	ds_read_b128 v[135:138], v196 offset:1456
	s_waitcnt vmcnt(57) lgkmcnt(1)
	v_mul_f64 v[218:219], v[1:2], v[159:160]
	v_mul_f64 v[159:160], v[3:4], v[159:160]
	s_waitcnt vmcnt(56)
	v_fma_f64 v[207:208], v[5:6], v[214:215], -v[207:208]
	v_add_f64 v[141:142], v[147:148], v[141:142]
	v_fma_f64 v[147:148], v[7:8], v[214:215], v[203:204]
	v_add_f64 v[139:140], v[139:140], v[189:190]
	s_clause 0x2
	buffer_load_dword v200, off, s[0:3], 0 offset:700
	buffer_load_dword v190, off, s[0:3], 0 offset:676
	;; [unrolled: 1-line block ×3, first 2 shown]
	ds_read_b128 v[5:8], v196 offset:1472
	s_waitcnt vmcnt(58) lgkmcnt(1)
	v_mul_f64 v[203:204], v[135:136], v[201:202]
	v_mul_f64 v[201:202], v[137:138], v[201:202]
	s_waitcnt vmcnt(56)
	v_fma_f64 v[159:160], v[1:2], v[153:154], -v[159:160]
	v_fma_f64 v[153:154], v[3:4], v[153:154], v[218:219]
	v_add_f64 v[141:142], v[141:142], v[207:208]
	v_add_f64 v[139:140], v[139:140], v[147:148]
	s_clause 0x4
	buffer_load_dword v148, off, s[0:3], 0 offset:716
	buffer_load_dword v207, off, s[0:3], 0 offset:728
	;; [unrolled: 1-line block ×5, first 2 shown]
	ds_read_b128 v[1:4], v196 offset:1488
	s_waitcnt vmcnt(57) lgkmcnt(1)
	v_mul_f64 v[214:215], v[5:6], v[145:146]
	v_mul_f64 v[145:146], v[7:8], v[145:146]
	s_waitcnt vmcnt(56)
	v_fma_f64 v[201:202], v[135:136], v[216:217], -v[201:202]
	v_add_f64 v[141:142], v[141:142], v[159:160]
	v_fma_f64 v[159:160], v[137:138], v[216:217], v[203:204]
	v_add_f64 v[139:140], v[139:140], v[153:154]
	s_clause 0x2
	buffer_load_dword v208, off, s[0:3], 0 offset:732
	buffer_load_dword v154, off, s[0:3], 0 offset:708
	;; [unrolled: 1-line block ×3, first 2 shown]
	ds_read_b128 v[135:138], v196 offset:1504
	s_waitcnt vmcnt(58) lgkmcnt(1)
	v_mul_f64 v[203:204], v[1:2], v[163:164]
	v_mul_f64 v[163:164], v[3:4], v[163:164]
	s_waitcnt vmcnt(56)
	v_fma_f64 v[145:146], v[5:6], v[151:152], -v[145:146]
	v_fma_f64 v[151:152], v[7:8], v[151:152], v[214:215]
	v_add_f64 v[141:142], v[141:142], v[201:202]
	v_add_f64 v[139:140], v[139:140], v[159:160]
	s_clause 0x4
	buffer_load_dword v160, off, s[0:3], 0 offset:748
	buffer_load_dword v201, off, s[0:3], 0 offset:760
	;; [unrolled: 1-line block ×5, first 2 shown]
	ds_read_b128 v[5:8], v196 offset:1520
	s_waitcnt vmcnt(57) lgkmcnt(1)
	v_mul_f64 v[216:217], v[135:136], v[149:150]
	v_mul_f64 v[149:150], v[137:138], v[149:150]
	s_waitcnt vmcnt(56)
	v_fma_f64 v[163:164], v[1:2], v[211:212], -v[163:164]
	v_add_f64 v[141:142], v[141:142], v[145:146]
	v_fma_f64 v[145:146], v[3:4], v[211:212], v[203:204]
	v_add_f64 v[139:140], v[139:140], v[151:152]
	s_clause 0x2
	buffer_load_dword v202, off, s[0:3], 0 offset:764
	buffer_load_dword v152, off, s[0:3], 0 offset:740
	;; [unrolled: 1-line block ×3, first 2 shown]
	s_waitcnt vmcnt(58) lgkmcnt(0)
	v_mul_f64 v[203:204], v[5:6], v[171:172]
	v_mul_f64 v[171:172], v[7:8], v[171:172]
	ds_read_b128 v[1:4], v196 offset:1536
	s_waitcnt vmcnt(56)
	v_fma_f64 v[149:150], v[135:136], v[157:158], -v[149:150]
	v_fma_f64 v[157:158], v[137:138], v[157:158], v[216:217]
	v_add_f64 v[141:142], v[141:142], v[163:164]
	v_add_f64 v[139:140], v[139:140], v[145:146]
	s_clause 0x4
	buffer_load_dword v146, off, s[0:3], 0 offset:780
	buffer_load_dword v163, off, s[0:3], 0 offset:792
	;; [unrolled: 1-line block ×5, first 2 shown]
	ds_read_b128 v[135:138], v196 offset:1552
	s_waitcnt vmcnt(57) lgkmcnt(1)
	v_mul_f64 v[217:218], v[1:2], v[155:156]
	v_mul_f64 v[155:156], v[3:4], v[155:156]
	s_waitcnt vmcnt(56)
	v_fma_f64 v[171:172], v[5:6], v[197:198], -v[171:172]
	v_add_f64 v[141:142], v[141:142], v[149:150]
	v_fma_f64 v[149:150], v[7:8], v[197:198], v[203:204]
	v_add_f64 v[139:140], v[139:140], v[157:158]
	s_clause 0x2
	buffer_load_dword v164, off, s[0:3], 0 offset:796
	buffer_load_dword v158, off, s[0:3], 0 offset:772
	;; [unrolled: 1-line block ×3, first 2 shown]
	s_waitcnt vmcnt(58) lgkmcnt(0)
	v_mul_f64 v[197:198], v[135:136], v[177:178]
	v_mul_f64 v[177:178], v[137:138], v[177:178]
	ds_read_b128 v[5:8], v196 offset:1568
	s_waitcnt vmcnt(56)
	v_fma_f64 v[155:156], v[1:2], v[167:168], -v[155:156]
	v_fma_f64 v[167:168], v[3:4], v[167:168], v[217:218]
	v_add_f64 v[141:142], v[141:142], v[171:172]
	v_add_f64 v[139:140], v[139:140], v[149:150]
	s_clause 0x4
	buffer_load_dword v150, off, s[0:3], 0 offset:812
	buffer_load_dword v171, off, s[0:3], 0 offset:824
	buffer_load_dword v203, off, s[0:3], 0 offset:816
	buffer_load_dword v149, off, s[0:3], 0 offset:808
	buffer_load_dword v212, off, s[0:3], 0 offset:788
	ds_read_b128 v[1:4], v196 offset:1584
	s_waitcnt vmcnt(57) lgkmcnt(1)
	v_mul_f64 v[217:218], v[5:6], v[161:162]
	v_mul_f64 v[161:162], v[7:8], v[161:162]
	s_waitcnt vmcnt(56)
	v_fma_f64 v[177:178], v[135:136], v[179:180], -v[177:178]
	v_add_f64 v[141:142], v[141:142], v[155:156]
	v_fma_f64 v[155:156], v[137:138], v[179:180], v[197:198]
	v_add_f64 v[139:140], v[139:140], v[167:168]
	s_clause 0x2
	buffer_load_dword v172, off, s[0:3], 0 offset:828
	buffer_load_dword v168, off, s[0:3], 0 offset:804
	buffer_load_dword v167, off, s[0:3], 0 offset:800
	ds_read_b128 v[135:138], v196 offset:1600
	s_waitcnt vmcnt(58) lgkmcnt(1)
	v_mul_f64 v[179:180], v[1:2], v[185:186]
	v_mul_f64 v[185:186], v[3:4], v[185:186]
	s_waitcnt vmcnt(56)
	v_fma_f64 v[161:162], v[5:6], v[165:166], -v[161:162]
	v_fma_f64 v[165:166], v[7:8], v[165:166], v[217:218]
	v_add_f64 v[141:142], v[141:142], v[177:178]
	v_add_f64 v[139:140], v[139:140], v[155:156]
	s_clause 0x4
	buffer_load_dword v156, off, s[0:3], 0 offset:844
	buffer_load_dword v177, off, s[0:3], 0 offset:856
	buffer_load_dword v197, off, s[0:3], 0 offset:848
	buffer_load_dword v155, off, s[0:3], 0 offset:840
	buffer_load_dword v204, off, s[0:3], 0 offset:820
	ds_read_b128 v[5:8], v196 offset:1616
	s_waitcnt vmcnt(57) lgkmcnt(1)
	v_mul_f64 v[217:218], v[135:136], v[169:170]
	v_mul_f64 v[169:170], v[137:138], v[169:170]
	s_waitcnt vmcnt(56)
	v_fma_f64 v[185:186], v[1:2], v[187:188], -v[185:186]
	v_add_f64 v[141:142], v[141:142], v[161:162]
	v_fma_f64 v[161:162], v[3:4], v[187:188], v[179:180]
	v_add_f64 v[139:140], v[139:140], v[165:166]
	s_clause 0x2
	buffer_load_dword v178, off, s[0:3], 0 offset:860
	buffer_load_dword v166, off, s[0:3], 0 offset:836
	buffer_load_dword v165, off, s[0:3], 0 offset:832
	ds_read_b128 v[1:4], v196 offset:1632
	s_waitcnt vmcnt(58) lgkmcnt(1)
	v_mul_f64 v[187:188], v[7:8], v[191:192]
	v_mul_f64 v[179:180], v[5:6], v[191:192]
	;; [unrolled: 28-line block ×4, first 2 shown]
	s_waitcnt vmcnt(56)
	v_fma_f64 v[183:184], v[5:6], v[189:190], -v[183:184]
	v_add_f64 v[141:142], v[141:142], v[181:182]
	v_fma_f64 v[181:182], v[7:8], v[189:190], v[217:218]
	v_add_f64 v[139:140], v[139:140], v[175:176]
	s_clause 0x4
	buffer_load_dword v176, off, s[0:3], 0 offset:940
	buffer_load_dword v189, off, s[0:3], 0 offset:952
	;; [unrolled: 1-line block ×5, first 2 shown]
	ds_read_b128 v[5:8], v196 offset:1712
	s_waitcnt vmcnt(57) lgkmcnt(1)
	v_mul_f64 v[217:218], v[135:136], v[147:148]
	v_mul_f64 v[147:148], v[137:138], v[147:148]
	s_waitcnt vmcnt(56)
	v_fma_f64 v[199:200], v[1:2], v[209:210], -v[199:200]
	v_fma_f64 v[179:180], v[3:4], v[209:210], v[179:180]
	v_add_f64 v[141:142], v[141:142], v[183:184]
	v_add_f64 v[139:140], v[139:140], v[181:182]
	s_clause 0x2
	buffer_load_dword v190, off, s[0:3], 0 offset:956
	buffer_load_dword v182, off, s[0:3], 0 offset:932
	;; [unrolled: 1-line block ×3, first 2 shown]
	ds_read_b128 v[1:4], v196 offset:1728
	s_waitcnt vmcnt(58) lgkmcnt(1)
	v_mul_f64 v[183:184], v[5:6], v[207:208]
	v_mul_f64 v[207:208], v[7:8], v[207:208]
	s_waitcnt vmcnt(56)
	v_fma_f64 v[147:148], v[135:136], v[153:154], -v[147:148]
	v_fma_f64 v[153:154], v[137:138], v[153:154], v[217:218]
	v_add_f64 v[141:142], v[141:142], v[199:200]
	v_add_f64 v[139:140], v[139:140], v[179:180]
	s_clause 0x4
	buffer_load_dword v180, off, s[0:3], 0 offset:972
	buffer_load_dword v199, off, s[0:3], 0 offset:984
	;; [unrolled: 1-line block ×5, first 2 shown]
	ds_read_b128 v[135:138], v196 offset:1744
	s_waitcnt vmcnt(57) lgkmcnt(1)
	v_mul_f64 v[217:218], v[1:2], v[159:160]
	v_mul_f64 v[159:160], v[3:4], v[159:160]
	s_waitcnt vmcnt(56)
	v_fma_f64 v[207:208], v[5:6], v[213:214], -v[207:208]
	v_add_f64 v[141:142], v[141:142], v[147:148]
	v_fma_f64 v[147:148], v[7:8], v[213:214], v[183:184]
	v_add_f64 v[139:140], v[139:140], v[153:154]
	s_clause 0x2
	buffer_load_dword v200, off, s[0:3], 0 offset:988
	buffer_load_dword v154, off, s[0:3], 0 offset:964
	;; [unrolled: 1-line block ×3, first 2 shown]
	ds_read_b128 v[5:8], v196 offset:1760
	s_waitcnt vmcnt(58) lgkmcnt(1)
	v_mul_f64 v[183:184], v[135:136], v[201:202]
	v_mul_f64 v[201:202], v[137:138], v[201:202]
	s_waitcnt vmcnt(56)
	v_fma_f64 v[159:160], v[1:2], v[151:152], -v[159:160]
	v_fma_f64 v[151:152], v[3:4], v[151:152], v[217:218]
	v_add_f64 v[141:142], v[141:142], v[207:208]
	v_add_f64 v[139:140], v[139:140], v[147:148]
	s_clause 0x4
	buffer_load_dword v148, off, s[0:3], 0 offset:1004
	buffer_load_dword v207, off, s[0:3], 0 offset:1016
	;; [unrolled: 1-line block ×5, first 2 shown]
	ds_read_b128 v[1:4], v196 offset:1776
	s_waitcnt vmcnt(57) lgkmcnt(1)
	v_mul_f64 v[217:218], v[5:6], v[145:146]
	v_mul_f64 v[145:146], v[7:8], v[145:146]
	s_waitcnt vmcnt(56)
	v_fma_f64 v[201:202], v[135:136], v[215:216], -v[201:202]
	v_add_f64 v[141:142], v[141:142], v[159:160]
	v_fma_f64 v[159:160], v[137:138], v[215:216], v[183:184]
	v_add_f64 v[139:140], v[139:140], v[151:152]
	s_clause 0x2
	buffer_load_dword v208, off, s[0:3], 0 offset:1020
	buffer_load_dword v152, off, s[0:3], 0 offset:996
	;; [unrolled: 1-line block ×3, first 2 shown]
	ds_read_b128 v[135:138], v196 offset:1792
	buffer_load_dword v214, off, s[0:3], 0 offset:1012
	s_waitcnt vmcnt(59) lgkmcnt(1)
	v_mul_f64 v[183:184], v[1:2], v[163:164]
	v_mul_f64 v[163:164], v[3:4], v[163:164]
	s_waitcnt vmcnt(57)
	v_fma_f64 v[145:146], v[5:6], v[157:158], -v[145:146]
	v_fma_f64 v[157:158], v[7:8], v[157:158], v[217:218]
	ds_read_b128 v[5:8], v196 offset:1808
	v_add_f64 v[141:142], v[141:142], v[201:202]
	v_add_f64 v[139:140], v[139:140], v[159:160]
	s_waitcnt vmcnt(53) lgkmcnt(1)
	v_mul_f64 v[159:160], v[135:136], v[149:150]
	v_mul_f64 v[149:150], v[137:138], v[149:150]
	s_waitcnt vmcnt(52)
	v_fma_f64 v[163:164], v[1:2], v[211:212], -v[163:164]
	v_add_f64 v[141:142], v[141:142], v[145:146]
	v_fma_f64 v[145:146], v[3:4], v[211:212], v[183:184]
	v_add_f64 v[139:140], v[139:140], v[157:158]
	ds_read_b128 v[1:4], v196 offset:1824
	s_waitcnt vmcnt(51) lgkmcnt(1)
	v_mul_f64 v[157:158], v[5:6], v[171:172]
	v_mul_f64 v[171:172], v[7:8], v[171:172]
	s_waitcnt vmcnt(49)
	v_fma_f64 v[149:150], v[135:136], v[167:168], -v[149:150]
	v_fma_f64 v[159:160], v[137:138], v[167:168], v[159:160]
	v_add_f64 v[141:142], v[141:142], v[163:164]
	v_add_f64 v[139:140], v[139:140], v[145:146]
	s_clause 0x3
	buffer_load_dword v145, off, s[0:3], 0 offset:128
	buffer_load_dword v146, off, s[0:3], 0 offset:132
	buffer_load_dword v163, off, s[0:3], 0 offset:136
	buffer_load_dword v164, off, s[0:3], 0 offset:140
	ds_read_b128 v[135:138], v196 offset:1840
	s_waitcnt vmcnt(49) lgkmcnt(1)
	v_mul_f64 v[167:168], v[1:2], v[155:156]
	v_mul_f64 v[155:156], v[3:4], v[155:156]
	s_waitcnt vmcnt(48)
	v_fma_f64 v[171:172], v[5:6], v[203:204], -v[171:172]
	v_add_f64 v[141:142], v[141:142], v[149:150]
	v_fma_f64 v[149:150], v[7:8], v[203:204], v[157:158]
	v_add_f64 v[139:140], v[139:140], v[159:160]
	ds_read_b128 v[5:8], v196 offset:1856
	s_waitcnt vmcnt(47) lgkmcnt(1)
	v_mul_f64 v[159:160], v[137:138], v[177:178]
	v_mul_f64 v[157:158], v[135:136], v[177:178]
	s_waitcnt vmcnt(45)
	v_fma_f64 v[155:156], v[1:2], v[165:166], -v[155:156]
	v_fma_f64 v[165:166], v[3:4], v[165:166], v[167:168]
	ds_read_b128 v[1:4], v196 offset:1872
	v_add_f64 v[141:142], v[141:142], v[171:172]
	v_add_f64 v[139:140], v[139:140], v[149:150]
	s_waitcnt vmcnt(41) lgkmcnt(1)
	v_mul_f64 v[149:150], v[5:6], v[161:162]
	v_mul_f64 v[161:162], v[7:8], v[161:162]
	s_waitcnt vmcnt(40)
	v_fma_f64 v[159:160], v[135:136], v[197:198], -v[159:160]
	v_add_f64 v[141:142], v[141:142], v[155:156]
	v_fma_f64 v[155:156], v[137:138], v[197:198], v[157:158]
	v_add_f64 v[139:140], v[139:140], v[165:166]
	ds_read_b128 v[135:138], v196 offset:1888
	s_waitcnt vmcnt(39) lgkmcnt(1)
	v_mul_f64 v[165:166], v[3:4], v[185:186]
	v_mul_f64 v[157:158], v[1:2], v[185:186]
	s_waitcnt vmcnt(37)
	v_fma_f64 v[161:162], v[5:6], v[173:174], -v[161:162]
	v_fma_f64 v[149:150], v[7:8], v[173:174], v[149:150]
	ds_read_b128 v[5:8], v196 offset:1904
	v_add_f64 v[141:142], v[141:142], v[159:160]
	v_add_f64 v[139:140], v[139:140], v[155:156]
	s_waitcnt vmcnt(33) lgkmcnt(1)
	v_mul_f64 v[159:160], v[137:138], v[169:170]
	s_waitcnt vmcnt(32)
	v_fma_f64 v[165:166], v[1:2], v[191:192], -v[165:166]
	v_mul_f64 v[155:156], v[135:136], v[169:170]
	v_fma_f64 v[157:158], v[3:4], v[191:192], v[157:158]
	ds_read_b128 v[1:4], v196 offset:1920
	v_add_f64 v[141:142], v[141:142], v[161:162]
	v_add_f64 v[139:140], v[139:140], v[149:150]
	s_waitcnt vmcnt(31) lgkmcnt(1)
	v_mul_f64 v[161:162], v[7:8], v[187:188]
	v_mul_f64 v[149:150], v[5:6], v[187:188]
	s_waitcnt vmcnt(29)
	v_fma_f64 v[159:160], v[135:136], v[143:144], -v[159:160]
	v_fma_f64 v[143:144], v[137:138], v[143:144], v[155:156]
	ds_read_b128 v[135:138], v196 offset:1936
	v_add_f64 v[141:142], v[141:142], v[165:166]
	v_add_f64 v[139:140], v[139:140], v[157:158]
	s_waitcnt vmcnt(25) lgkmcnt(1)
	v_mul_f64 v[157:158], v[3:4], v[175:176]
	s_waitcnt vmcnt(24)
	v_fma_f64 v[161:162], v[5:6], v[193:194], -v[161:162]
	v_mul_f64 v[155:156], v[1:2], v[175:176]
	v_fma_f64 v[149:150], v[7:8], v[193:194], v[149:150]
	ds_read_b128 v[5:8], v196 offset:1952
	v_add_f64 v[141:142], v[141:142], v[159:160]
	v_add_f64 v[139:140], v[139:140], v[143:144]
	;; [unrolled: 18-line block ×3, first 2 shown]
	s_waitcnt vmcnt(15) lgkmcnt(1)
	v_mul_f64 v[157:158], v[3:4], v[199:200]
	v_mul_f64 v[155:156], v[1:2], v[199:200]
	s_waitcnt vmcnt(13)
	v_fma_f64 v[161:162], v[5:6], v[153:154], -v[161:162]
	v_fma_f64 v[149:150], v[7:8], v[153:154], v[149:150]
	ds_read_b128 v[5:8], v196 offset:2000
	v_add_f64 v[141:142], v[141:142], v[159:160]
	v_add_f64 v[139:140], v[139:140], v[143:144]
	s_waitcnt vmcnt(9) lgkmcnt(1)
	v_mul_f64 v[143:144], v[135:136], v[147:148]
	v_mul_f64 v[147:148], v[137:138], v[147:148]
	s_waitcnt vmcnt(8)
	v_fma_f64 v[1:2], v[1:2], v[209:210], -v[157:158]
	v_fma_f64 v[3:4], v[3:4], v[209:210], v[155:156]
	v_add_f64 v[141:142], v[141:142], v[161:162]
	v_add_f64 v[139:140], v[139:140], v[149:150]
	s_waitcnt vmcnt(7) lgkmcnt(0)
	v_mul_f64 v[153:154], v[7:8], v[207:208]
	v_mul_f64 v[149:150], v[5:6], v[207:208]
	s_waitcnt vmcnt(5)
	v_fma_f64 v[135:136], v[135:136], v[151:152], -v[147:148]
	v_fma_f64 v[137:138], v[137:138], v[151:152], v[143:144]
	v_add_f64 v[1:2], v[141:142], v[1:2]
	v_add_f64 v[3:4], v[139:140], v[3:4]
	s_waitcnt vmcnt(4)
	v_fma_f64 v[5:6], v[5:6], v[213:214], -v[153:154]
	v_fma_f64 v[7:8], v[7:8], v[213:214], v[149:150]
	v_add_f64 v[1:2], v[1:2], v[135:136]
	v_add_f64 v[3:4], v[3:4], v[137:138]
	;; [unrolled: 1-line block ×4, first 2 shown]
	s_waitcnt vmcnt(2)
	v_add_f64 v[1:2], v[145:146], -v[1:2]
	s_waitcnt vmcnt(0)
	v_add_f64 v[3:4], v[163:164], -v[3:4]
	buffer_store_dword v2, off, s[0:3], 0 offset:132
	buffer_store_dword v1, off, s[0:3], 0 offset:128
	;; [unrolled: 1-line block ×4, first 2 shown]
	v_cmpx_lt_u32_e32 6, v0
	s_cbranch_execz .LBB126_391
; %bb.390:
	v_mov_b32_e32 v4, s71
	s_clause 0x3
	buffer_load_dword v1, v4, s[0:3], 0 offen
	buffer_load_dword v2, v4, s[0:3], 0 offen offset:4
	buffer_load_dword v3, v4, s[0:3], 0 offen offset:8
	;; [unrolled: 1-line block ×3, first 2 shown]
	buffer_store_dword v196, off, s[0:3], 0 offset:112
	buffer_store_dword v196, off, s[0:3], 0 offset:116
	;; [unrolled: 1-line block ×4, first 2 shown]
	s_waitcnt vmcnt(0)
	ds_write_b128 v195, v[1:4]
.LBB126_391:
	s_or_b32 exec_lo, exec_lo, s4
	s_waitcnt lgkmcnt(0)
	s_waitcnt_vscnt null, 0x0
	s_barrier
	buffer_gl0_inv
	s_clause 0x37
	buffer_load_dword v143, off, s[0:3], 0 offset:136
	buffer_load_dword v144, off, s[0:3], 0 offset:140
	;; [unrolled: 1-line block ×56, first 2 shown]
	ds_read_b128 v[5:8], v196 offset:1120
	s_clause 0x2
	buffer_load_dword v192, off, s[0:3], 0 offset:364
	buffer_load_dword v194, off, s[0:3], 0 offset:340
	;; [unrolled: 1-line block ×3, first 2 shown]
	ds_read_b128 v[1:4], v196 offset:1136
	s_clause 0x4
	buffer_load_dword v204, off, s[0:3], 0 offset:380
	buffer_load_dword v205, off, s[0:3], 0 offset:392
	;; [unrolled: 1-line block ×5, first 2 shown]
	ds_read_b128 v[197:200], v196 offset:1152
	s_mov_b32 s4, exec_lo
	s_waitcnt vmcnt(62) lgkmcnt(2)
	v_mul_f64 v[201:202], v[7:8], v[143:144]
	v_mul_f64 v[143:144], v[5:6], v[143:144]
	s_waitcnt vmcnt(60) lgkmcnt(1)
	v_mul_f64 v[208:209], v[3:4], v[139:140]
	v_mul_f64 v[139:140], v[1:2], v[139:140]
	;; [unrolled: 3-line block ×3, first 2 shown]
	v_fma_f64 v[201:202], v[5:6], v[141:142], -v[201:202]
	v_fma_f64 v[141:142], v[7:8], v[141:142], v[143:144]
	s_clause 0x2
	buffer_load_dword v206, off, s[0:3], 0 offset:396
	buffer_load_dword v144, off, s[0:3], 0 offset:372
	;; [unrolled: 1-line block ×3, first 2 shown]
	s_waitcnt vmcnt(57)
	v_fma_f64 v[212:213], v[1:2], v[135:136], -v[208:209]
	ds_read_b128 v[5:8], v196 offset:1168
	v_fma_f64 v[135:136], v[3:4], v[135:136], v[139:140]
	s_waitcnt vmcnt(51)
	v_fma_f64 v[197:198], v[197:198], v[159:160], -v[137:138]
	v_fma_f64 v[159:160], v[199:200], v[159:160], v[210:211]
	v_add_f64 v[201:202], v[201:202], 0
	v_add_f64 v[139:140], v[141:142], 0
	s_clause 0x4
	buffer_load_dword v142, off, s[0:3], 0 offset:412
	buffer_load_dword v209, off, s[0:3], 0 offset:424
	;; [unrolled: 1-line block ×5, first 2 shown]
	s_waitcnt lgkmcnt(0)
	v_mul_f64 v[215:216], v[5:6], v[147:148]
	v_mul_f64 v[147:148], v[7:8], v[147:148]
	ds_read_b128 v[1:4], v196 offset:1184
	s_clause 0x2
	buffer_load_dword v210, off, s[0:3], 0 offset:428
	buffer_load_dword v200, off, s[0:3], 0 offset:404
	buffer_load_dword v199, off, s[0:3], 0 offset:400
	v_add_f64 v[201:202], v[201:202], v[212:213]
	v_add_f64 v[139:140], v[139:140], v[135:136]
	ds_read_b128 v[135:138], v196 offset:1200
	s_waitcnt vmcnt(58) lgkmcnt(1)
	v_mul_f64 v[211:212], v[1:2], v[151:152]
	v_mul_f64 v[151:152], v[3:4], v[151:152]
	s_waitcnt vmcnt(56)
	v_fma_f64 v[147:148], v[5:6], v[153:154], -v[147:148]
	v_fma_f64 v[153:154], v[7:8], v[153:154], v[215:216]
	s_waitcnt vmcnt(52) lgkmcnt(0)
	v_mul_f64 v[217:218], v[135:136], v[155:156]
	v_add_f64 v[197:198], v[201:202], v[197:198]
	v_add_f64 v[139:140], v[139:140], v[159:160]
	s_clause 0x4
	buffer_load_dword v160, off, s[0:3], 0 offset:444
	buffer_load_dword v201, off, s[0:3], 0 offset:456
	;; [unrolled: 1-line block ×5, first 2 shown]
	v_mul_f64 v[155:156], v[137:138], v[155:156]
	s_waitcnt vmcnt(56)
	v_fma_f64 v[151:152], v[1:2], v[145:146], -v[151:152]
	ds_read_b128 v[5:8], v196 offset:1216
	v_fma_f64 v[145:146], v[3:4], v[145:146], v[211:212]
	v_add_f64 v[147:148], v[197:198], v[147:148]
	v_add_f64 v[139:140], v[139:140], v[153:154]
	s_clause 0x2
	buffer_load_dword v202, off, s[0:3], 0 offset:460
	buffer_load_dword v154, off, s[0:3], 0 offset:436
	;; [unrolled: 1-line block ×3, first 2 shown]
	s_waitcnt vmcnt(58) lgkmcnt(0)
	v_mul_f64 v[197:198], v[5:6], v[161:162]
	v_mul_f64 v[161:162], v[7:8], v[161:162]
	s_waitcnt vmcnt(56)
	v_fma_f64 v[155:156], v[135:136], v[163:164], -v[155:156]
	ds_read_b128 v[1:4], v196 offset:1232
	v_add_f64 v[147:148], v[147:148], v[151:152]
	v_fma_f64 v[151:152], v[137:138], v[163:164], v[217:218]
	v_add_f64 v[139:140], v[139:140], v[145:146]
	s_clause 0x4
	buffer_load_dword v146, off, s[0:3], 0 offset:476
	buffer_load_dword v163, off, s[0:3], 0 offset:488
	;; [unrolled: 1-line block ×5, first 2 shown]
	s_waitcnt vmcnt(57) lgkmcnt(0)
	v_mul_f64 v[212:213], v[1:2], v[165:166]
	v_mul_f64 v[165:166], v[3:4], v[165:166]
	s_waitcnt vmcnt(56)
	v_fma_f64 v[161:162], v[5:6], v[149:150], -v[161:162]
	ds_read_b128 v[135:138], v196 offset:1248
	v_fma_f64 v[149:150], v[7:8], v[149:150], v[197:198]
	v_add_f64 v[147:148], v[147:148], v[155:156]
	v_add_f64 v[139:140], v[139:140], v[151:152]
	s_clause 0x2
	buffer_load_dword v164, off, s[0:3], 0 offset:492
	buffer_load_dword v152, off, s[0:3], 0 offset:468
	;; [unrolled: 1-line block ×3, first 2 shown]
	ds_read_b128 v[5:8], v196 offset:1264
	s_waitcnt vmcnt(58) lgkmcnt(1)
	v_mul_f64 v[155:156], v[135:136], v[169:170]
	v_mul_f64 v[169:170], v[137:138], v[169:170]
	s_waitcnt vmcnt(56)
	v_fma_f64 v[165:166], v[1:2], v[171:172], -v[165:166]
	v_add_f64 v[147:148], v[147:148], v[161:162]
	v_fma_f64 v[161:162], v[3:4], v[171:172], v[212:213]
	v_add_f64 v[139:140], v[139:140], v[149:150]
	s_clause 0x4
	buffer_load_dword v150, off, s[0:3], 0 offset:508
	buffer_load_dword v171, off, s[0:3], 0 offset:520
	;; [unrolled: 1-line block ×5, first 2 shown]
	s_waitcnt vmcnt(57) lgkmcnt(0)
	v_mul_f64 v[218:219], v[5:6], v[173:174]
	v_mul_f64 v[173:174], v[7:8], v[173:174]
	s_waitcnt vmcnt(56)
	v_fma_f64 v[169:170], v[135:136], v[157:158], -v[169:170]
	ds_read_b128 v[1:4], v196 offset:1280
	v_fma_f64 v[155:156], v[137:138], v[157:158], v[155:156]
	s_clause 0x2
	buffer_load_dword v172, off, s[0:3], 0 offset:524
	buffer_load_dword v158, off, s[0:3], 0 offset:500
	;; [unrolled: 1-line block ×3, first 2 shown]
	ds_read_b128 v[135:138], v196 offset:1296
	v_add_f64 v[147:148], v[147:148], v[165:166]
	v_add_f64 v[139:140], v[139:140], v[161:162]
	s_waitcnt vmcnt(58) lgkmcnt(1)
	v_mul_f64 v[165:166], v[3:4], v[177:178]
	s_waitcnt vmcnt(56)
	v_fma_f64 v[173:174], v[5:6], v[179:180], -v[173:174]
	v_mul_f64 v[161:162], v[1:2], v[177:178]
	v_add_f64 v[147:148], v[147:148], v[169:170]
	v_fma_f64 v[169:170], v[7:8], v[179:180], v[218:219]
	v_add_f64 v[139:140], v[139:140], v[155:156]
	s_clause 0x4
	buffer_load_dword v156, off, s[0:3], 0 offset:540
	buffer_load_dword v177, off, s[0:3], 0 offset:552
	;; [unrolled: 1-line block ×5, first 2 shown]
	s_waitcnt vmcnt(57) lgkmcnt(0)
	v_mul_f64 v[218:219], v[135:136], v[181:182]
	v_mul_f64 v[180:181], v[137:138], v[181:182]
	s_waitcnt vmcnt(56)
	v_fma_f64 v[165:166], v[1:2], v[167:168], -v[165:166]
	ds_read_b128 v[5:8], v196 offset:1312
	v_fma_f64 v[161:162], v[3:4], v[167:168], v[161:162]
	s_clause 0x2
	buffer_load_dword v178, off, s[0:3], 0 offset:556
	buffer_load_dword v168, off, s[0:3], 0 offset:532
	;; [unrolled: 1-line block ×3, first 2 shown]
	ds_read_b128 v[1:4], v196 offset:1328
	v_add_f64 v[147:148], v[147:148], v[173:174]
	v_add_f64 v[139:140], v[139:140], v[169:170]
	s_waitcnt vmcnt(58) lgkmcnt(1)
	v_mul_f64 v[173:174], v[7:8], v[185:186]
	s_waitcnt vmcnt(56)
	v_fma_f64 v[181:182], v[135:136], v[187:188], -v[180:181]
	v_mul_f64 v[169:170], v[5:6], v[185:186]
	v_add_f64 v[147:148], v[147:148], v[165:166]
	v_fma_f64 v[165:166], v[137:138], v[187:188], v[218:219]
	v_add_f64 v[139:140], v[139:140], v[161:162]
	s_clause 0x4
	buffer_load_dword v162, off, s[0:3], 0 offset:572
	buffer_load_dword v185, off, s[0:3], 0 offset:584
	;; [unrolled: 1-line block ×5, first 2 shown]
	s_waitcnt vmcnt(57) lgkmcnt(0)
	v_mul_f64 v[218:219], v[1:2], v[189:190]
	v_mul_f64 v[188:189], v[3:4], v[189:190]
	s_waitcnt vmcnt(56)
	v_fma_f64 v[173:174], v[5:6], v[175:176], -v[173:174]
	ds_read_b128 v[135:138], v196 offset:1344
	v_fma_f64 v[169:170], v[7:8], v[175:176], v[169:170]
	v_add_f64 v[147:148], v[147:148], v[181:182]
	v_add_f64 v[139:140], v[139:140], v[165:166]
	s_clause 0x2
	buffer_load_dword v186, off, s[0:3], 0 offset:588
	buffer_load_dword v166, off, s[0:3], 0 offset:564
	;; [unrolled: 1-line block ×3, first 2 shown]
	ds_read_b128 v[5:8], v196 offset:1360
	s_waitcnt vmcnt(58) lgkmcnt(1)
	v_mul_f64 v[181:182], v[137:138], v[191:192]
	s_waitcnt vmcnt(56)
	v_fma_f64 v[189:190], v[1:2], v[193:194], -v[188:189]
	v_mul_f64 v[175:176], v[135:136], v[191:192]
	v_add_f64 v[147:148], v[147:148], v[173:174]
	v_fma_f64 v[173:174], v[3:4], v[193:194], v[218:219]
	v_add_f64 v[139:140], v[139:140], v[169:170]
	s_clause 0x4
	buffer_load_dword v170, off, s[0:3], 0 offset:604
	buffer_load_dword v191, off, s[0:3], 0 offset:616
	buffer_load_dword v193, off, s[0:3], 0 offset:608
	buffer_load_dword v169, off, s[0:3], 0 offset:600
	buffer_load_dword v188, off, s[0:3], 0 offset:580
	s_waitcnt vmcnt(57) lgkmcnt(0)
	v_mul_f64 v[218:219], v[5:6], v[203:204]
	v_mul_f64 v[203:204], v[7:8], v[203:204]
	s_waitcnt vmcnt(56)
	v_fma_f64 v[181:182], v[135:136], v[183:184], -v[181:182]
	ds_read_b128 v[1:4], v196 offset:1376
	v_fma_f64 v[175:176], v[137:138], v[183:184], v[175:176]
	v_add_f64 v[147:148], v[147:148], v[189:190]
	v_add_f64 v[139:140], v[139:140], v[173:174]
	s_clause 0x2
	buffer_load_dword v192, off, s[0:3], 0 offset:620
	buffer_load_dword v174, off, s[0:3], 0 offset:596
	;; [unrolled: 1-line block ×3, first 2 shown]
	ds_read_b128 v[135:138], v196 offset:1392
	s_waitcnt vmcnt(58) lgkmcnt(1)
	v_mul_f64 v[189:190], v[3:4], v[205:206]
	v_mul_f64 v[183:184], v[1:2], v[205:206]
	s_waitcnt vmcnt(56)
	v_fma_f64 v[203:204], v[5:6], v[143:144], -v[203:204]
	v_fma_f64 v[143:144], v[7:8], v[143:144], v[218:219]
	v_add_f64 v[147:148], v[147:148], v[181:182]
	v_add_f64 v[139:140], v[139:140], v[175:176]
	s_clause 0x4
	buffer_load_dword v176, off, s[0:3], 0 offset:636
	buffer_load_dword v181, off, s[0:3], 0 offset:648
	;; [unrolled: 1-line block ×5, first 2 shown]
	ds_read_b128 v[5:8], v196 offset:1408
	s_waitcnt vmcnt(57) lgkmcnt(1)
	v_mul_f64 v[218:219], v[135:136], v[141:142]
	v_mul_f64 v[141:142], v[137:138], v[141:142]
	s_waitcnt vmcnt(56)
	v_fma_f64 v[189:190], v[1:2], v[207:208], -v[189:190]
	v_fma_f64 v[183:184], v[3:4], v[207:208], v[183:184]
	v_add_f64 v[147:148], v[147:148], v[203:204]
	v_add_f64 v[139:140], v[139:140], v[143:144]
	s_clause 0x2
	buffer_load_dword v182, off, s[0:3], 0 offset:652
	buffer_load_dword v144, off, s[0:3], 0 offset:628
	;; [unrolled: 1-line block ×3, first 2 shown]
	s_waitcnt vmcnt(58) lgkmcnt(0)
	v_mul_f64 v[207:208], v[7:8], v[209:210]
	ds_read_b128 v[1:4], v196 offset:1424
	v_mul_f64 v[203:204], v[5:6], v[209:210]
	s_waitcnt vmcnt(56)
	v_fma_f64 v[141:142], v[135:136], v[199:200], -v[141:142]
	v_add_f64 v[147:148], v[147:148], v[189:190]
	v_fma_f64 v[189:190], v[137:138], v[199:200], v[218:219]
	v_add_f64 v[139:140], v[139:140], v[183:184]
	s_clause 0x4
	buffer_load_dword v184, off, s[0:3], 0 offset:668
	buffer_load_dword v199, off, s[0:3], 0 offset:680
	;; [unrolled: 1-line block ×5, first 2 shown]
	ds_read_b128 v[135:138], v196 offset:1440
	s_waitcnt vmcnt(57) lgkmcnt(1)
	v_mul_f64 v[218:219], v[1:2], v[159:160]
	v_mul_f64 v[159:160], v[3:4], v[159:160]
	s_waitcnt vmcnt(56)
	v_fma_f64 v[207:208], v[5:6], v[214:215], -v[207:208]
	v_add_f64 v[141:142], v[147:148], v[141:142]
	v_fma_f64 v[147:148], v[7:8], v[214:215], v[203:204]
	v_add_f64 v[139:140], v[139:140], v[189:190]
	s_clause 0x2
	buffer_load_dword v200, off, s[0:3], 0 offset:684
	buffer_load_dword v190, off, s[0:3], 0 offset:660
	;; [unrolled: 1-line block ×3, first 2 shown]
	ds_read_b128 v[5:8], v196 offset:1456
	s_waitcnt vmcnt(58) lgkmcnt(1)
	v_mul_f64 v[203:204], v[135:136], v[201:202]
	v_mul_f64 v[201:202], v[137:138], v[201:202]
	s_waitcnt vmcnt(56)
	v_fma_f64 v[159:160], v[1:2], v[153:154], -v[159:160]
	v_fma_f64 v[153:154], v[3:4], v[153:154], v[218:219]
	v_add_f64 v[141:142], v[141:142], v[207:208]
	v_add_f64 v[139:140], v[139:140], v[147:148]
	s_clause 0x4
	buffer_load_dword v148, off, s[0:3], 0 offset:700
	buffer_load_dword v207, off, s[0:3], 0 offset:712
	;; [unrolled: 1-line block ×5, first 2 shown]
	ds_read_b128 v[1:4], v196 offset:1472
	s_waitcnt vmcnt(57) lgkmcnt(1)
	v_mul_f64 v[214:215], v[5:6], v[145:146]
	v_mul_f64 v[145:146], v[7:8], v[145:146]
	s_waitcnt vmcnt(56)
	v_fma_f64 v[201:202], v[135:136], v[216:217], -v[201:202]
	v_add_f64 v[141:142], v[141:142], v[159:160]
	v_fma_f64 v[159:160], v[137:138], v[216:217], v[203:204]
	v_add_f64 v[139:140], v[139:140], v[153:154]
	s_clause 0x2
	buffer_load_dword v208, off, s[0:3], 0 offset:716
	buffer_load_dword v154, off, s[0:3], 0 offset:692
	;; [unrolled: 1-line block ×3, first 2 shown]
	ds_read_b128 v[135:138], v196 offset:1488
	s_waitcnt vmcnt(58) lgkmcnt(1)
	v_mul_f64 v[203:204], v[1:2], v[163:164]
	v_mul_f64 v[163:164], v[3:4], v[163:164]
	s_waitcnt vmcnt(56)
	v_fma_f64 v[145:146], v[5:6], v[151:152], -v[145:146]
	v_fma_f64 v[151:152], v[7:8], v[151:152], v[214:215]
	v_add_f64 v[141:142], v[141:142], v[201:202]
	v_add_f64 v[139:140], v[139:140], v[159:160]
	s_clause 0x4
	buffer_load_dword v160, off, s[0:3], 0 offset:732
	buffer_load_dword v201, off, s[0:3], 0 offset:744
	;; [unrolled: 1-line block ×5, first 2 shown]
	ds_read_b128 v[5:8], v196 offset:1504
	s_waitcnt vmcnt(57) lgkmcnt(1)
	v_mul_f64 v[216:217], v[135:136], v[149:150]
	v_mul_f64 v[149:150], v[137:138], v[149:150]
	s_waitcnt vmcnt(56)
	v_fma_f64 v[163:164], v[1:2], v[211:212], -v[163:164]
	v_add_f64 v[141:142], v[141:142], v[145:146]
	v_fma_f64 v[145:146], v[3:4], v[211:212], v[203:204]
	v_add_f64 v[139:140], v[139:140], v[151:152]
	s_clause 0x2
	buffer_load_dword v202, off, s[0:3], 0 offset:748
	buffer_load_dword v152, off, s[0:3], 0 offset:724
	;; [unrolled: 1-line block ×3, first 2 shown]
	s_waitcnt vmcnt(58) lgkmcnt(0)
	v_mul_f64 v[203:204], v[5:6], v[171:172]
	v_mul_f64 v[171:172], v[7:8], v[171:172]
	ds_read_b128 v[1:4], v196 offset:1520
	s_waitcnt vmcnt(56)
	v_fma_f64 v[149:150], v[135:136], v[157:158], -v[149:150]
	v_fma_f64 v[157:158], v[137:138], v[157:158], v[216:217]
	v_add_f64 v[141:142], v[141:142], v[163:164]
	v_add_f64 v[139:140], v[139:140], v[145:146]
	s_clause 0x4
	buffer_load_dword v146, off, s[0:3], 0 offset:764
	buffer_load_dword v163, off, s[0:3], 0 offset:776
	;; [unrolled: 1-line block ×5, first 2 shown]
	ds_read_b128 v[135:138], v196 offset:1536
	s_waitcnt vmcnt(57) lgkmcnt(1)
	v_mul_f64 v[217:218], v[1:2], v[155:156]
	v_mul_f64 v[155:156], v[3:4], v[155:156]
	s_waitcnt vmcnt(56)
	v_fma_f64 v[171:172], v[5:6], v[197:198], -v[171:172]
	v_add_f64 v[141:142], v[141:142], v[149:150]
	v_fma_f64 v[149:150], v[7:8], v[197:198], v[203:204]
	v_add_f64 v[139:140], v[139:140], v[157:158]
	s_clause 0x2
	buffer_load_dword v164, off, s[0:3], 0 offset:780
	buffer_load_dword v158, off, s[0:3], 0 offset:756
	buffer_load_dword v157, off, s[0:3], 0 offset:752
	s_waitcnt vmcnt(58) lgkmcnt(0)
	v_mul_f64 v[197:198], v[135:136], v[177:178]
	v_mul_f64 v[177:178], v[137:138], v[177:178]
	ds_read_b128 v[5:8], v196 offset:1552
	s_waitcnt vmcnt(56)
	v_fma_f64 v[155:156], v[1:2], v[167:168], -v[155:156]
	v_fma_f64 v[167:168], v[3:4], v[167:168], v[217:218]
	v_add_f64 v[141:142], v[141:142], v[171:172]
	v_add_f64 v[139:140], v[139:140], v[149:150]
	s_clause 0x4
	buffer_load_dword v150, off, s[0:3], 0 offset:796
	buffer_load_dword v171, off, s[0:3], 0 offset:808
	buffer_load_dword v203, off, s[0:3], 0 offset:800
	buffer_load_dword v149, off, s[0:3], 0 offset:792
	buffer_load_dword v212, off, s[0:3], 0 offset:772
	ds_read_b128 v[1:4], v196 offset:1568
	s_waitcnt vmcnt(57) lgkmcnt(1)
	v_mul_f64 v[217:218], v[5:6], v[161:162]
	v_mul_f64 v[161:162], v[7:8], v[161:162]
	s_waitcnt vmcnt(56)
	v_fma_f64 v[177:178], v[135:136], v[179:180], -v[177:178]
	v_add_f64 v[141:142], v[141:142], v[155:156]
	v_fma_f64 v[155:156], v[137:138], v[179:180], v[197:198]
	v_add_f64 v[139:140], v[139:140], v[167:168]
	s_clause 0x2
	buffer_load_dword v172, off, s[0:3], 0 offset:812
	buffer_load_dword v168, off, s[0:3], 0 offset:788
	buffer_load_dword v167, off, s[0:3], 0 offset:784
	ds_read_b128 v[135:138], v196 offset:1584
	s_waitcnt vmcnt(58) lgkmcnt(1)
	v_mul_f64 v[179:180], v[1:2], v[185:186]
	v_mul_f64 v[185:186], v[3:4], v[185:186]
	s_waitcnt vmcnt(56)
	v_fma_f64 v[161:162], v[5:6], v[165:166], -v[161:162]
	v_fma_f64 v[165:166], v[7:8], v[165:166], v[217:218]
	v_add_f64 v[141:142], v[141:142], v[177:178]
	v_add_f64 v[139:140], v[139:140], v[155:156]
	s_clause 0x4
	buffer_load_dword v156, off, s[0:3], 0 offset:828
	buffer_load_dword v177, off, s[0:3], 0 offset:840
	buffer_load_dword v197, off, s[0:3], 0 offset:832
	buffer_load_dword v155, off, s[0:3], 0 offset:824
	buffer_load_dword v204, off, s[0:3], 0 offset:804
	ds_read_b128 v[5:8], v196 offset:1600
	s_waitcnt vmcnt(57) lgkmcnt(1)
	v_mul_f64 v[217:218], v[135:136], v[169:170]
	v_mul_f64 v[169:170], v[137:138], v[169:170]
	s_waitcnt vmcnt(56)
	v_fma_f64 v[185:186], v[1:2], v[187:188], -v[185:186]
	v_add_f64 v[141:142], v[141:142], v[161:162]
	v_fma_f64 v[161:162], v[3:4], v[187:188], v[179:180]
	v_add_f64 v[139:140], v[139:140], v[165:166]
	s_clause 0x2
	buffer_load_dword v178, off, s[0:3], 0 offset:844
	buffer_load_dword v166, off, s[0:3], 0 offset:820
	buffer_load_dword v165, off, s[0:3], 0 offset:816
	ds_read_b128 v[1:4], v196 offset:1616
	s_waitcnt vmcnt(58) lgkmcnt(1)
	v_mul_f64 v[187:188], v[7:8], v[191:192]
	v_mul_f64 v[179:180], v[5:6], v[191:192]
	;; [unrolled: 28-line block ×4, first 2 shown]
	s_waitcnt vmcnt(56)
	v_fma_f64 v[183:184], v[5:6], v[189:190], -v[183:184]
	v_add_f64 v[141:142], v[141:142], v[181:182]
	v_fma_f64 v[181:182], v[7:8], v[189:190], v[217:218]
	v_add_f64 v[139:140], v[139:140], v[175:176]
	s_clause 0x4
	buffer_load_dword v176, off, s[0:3], 0 offset:924
	buffer_load_dword v189, off, s[0:3], 0 offset:936
	;; [unrolled: 1-line block ×5, first 2 shown]
	ds_read_b128 v[5:8], v196 offset:1696
	s_waitcnt vmcnt(57) lgkmcnt(1)
	v_mul_f64 v[217:218], v[135:136], v[147:148]
	v_mul_f64 v[147:148], v[137:138], v[147:148]
	s_waitcnt vmcnt(56)
	v_fma_f64 v[199:200], v[1:2], v[209:210], -v[199:200]
	v_fma_f64 v[179:180], v[3:4], v[209:210], v[179:180]
	v_add_f64 v[141:142], v[141:142], v[183:184]
	v_add_f64 v[139:140], v[139:140], v[181:182]
	s_clause 0x2
	buffer_load_dword v190, off, s[0:3], 0 offset:940
	buffer_load_dword v182, off, s[0:3], 0 offset:916
	;; [unrolled: 1-line block ×3, first 2 shown]
	ds_read_b128 v[1:4], v196 offset:1712
	s_waitcnt vmcnt(58) lgkmcnt(1)
	v_mul_f64 v[183:184], v[5:6], v[207:208]
	v_mul_f64 v[207:208], v[7:8], v[207:208]
	s_waitcnt vmcnt(56)
	v_fma_f64 v[147:148], v[135:136], v[153:154], -v[147:148]
	v_fma_f64 v[153:154], v[137:138], v[153:154], v[217:218]
	v_add_f64 v[141:142], v[141:142], v[199:200]
	v_add_f64 v[139:140], v[139:140], v[179:180]
	s_clause 0x4
	buffer_load_dword v180, off, s[0:3], 0 offset:956
	buffer_load_dword v199, off, s[0:3], 0 offset:968
	;; [unrolled: 1-line block ×5, first 2 shown]
	ds_read_b128 v[135:138], v196 offset:1728
	s_waitcnt vmcnt(57) lgkmcnt(1)
	v_mul_f64 v[217:218], v[1:2], v[159:160]
	v_mul_f64 v[159:160], v[3:4], v[159:160]
	s_waitcnt vmcnt(56)
	v_fma_f64 v[207:208], v[5:6], v[213:214], -v[207:208]
	v_add_f64 v[141:142], v[141:142], v[147:148]
	v_fma_f64 v[147:148], v[7:8], v[213:214], v[183:184]
	v_add_f64 v[139:140], v[139:140], v[153:154]
	s_clause 0x2
	buffer_load_dword v200, off, s[0:3], 0 offset:972
	buffer_load_dword v154, off, s[0:3], 0 offset:948
	;; [unrolled: 1-line block ×3, first 2 shown]
	ds_read_b128 v[5:8], v196 offset:1744
	s_waitcnt vmcnt(58) lgkmcnt(1)
	v_mul_f64 v[183:184], v[135:136], v[201:202]
	v_mul_f64 v[201:202], v[137:138], v[201:202]
	s_waitcnt vmcnt(56)
	v_fma_f64 v[159:160], v[1:2], v[151:152], -v[159:160]
	v_fma_f64 v[151:152], v[3:4], v[151:152], v[217:218]
	v_add_f64 v[141:142], v[141:142], v[207:208]
	v_add_f64 v[139:140], v[139:140], v[147:148]
	s_clause 0x4
	buffer_load_dword v148, off, s[0:3], 0 offset:988
	buffer_load_dword v207, off, s[0:3], 0 offset:1000
	;; [unrolled: 1-line block ×5, first 2 shown]
	ds_read_b128 v[1:4], v196 offset:1760
	s_waitcnt vmcnt(57) lgkmcnt(1)
	v_mul_f64 v[217:218], v[5:6], v[145:146]
	v_mul_f64 v[145:146], v[7:8], v[145:146]
	s_waitcnt vmcnt(56)
	v_fma_f64 v[201:202], v[135:136], v[215:216], -v[201:202]
	v_add_f64 v[141:142], v[141:142], v[159:160]
	v_fma_f64 v[159:160], v[137:138], v[215:216], v[183:184]
	v_add_f64 v[139:140], v[139:140], v[151:152]
	s_clause 0x2
	buffer_load_dword v208, off, s[0:3], 0 offset:1004
	buffer_load_dword v152, off, s[0:3], 0 offset:980
	;; [unrolled: 1-line block ×3, first 2 shown]
	ds_read_b128 v[135:138], v196 offset:1776
	s_waitcnt vmcnt(58) lgkmcnt(1)
	v_mul_f64 v[183:184], v[1:2], v[163:164]
	v_mul_f64 v[163:164], v[3:4], v[163:164]
	s_waitcnt vmcnt(56)
	v_fma_f64 v[145:146], v[5:6], v[157:158], -v[145:146]
	v_fma_f64 v[157:158], v[7:8], v[157:158], v[217:218]
	v_add_f64 v[141:142], v[141:142], v[201:202]
	v_add_f64 v[139:140], v[139:140], v[159:160]
	s_clause 0x2
	buffer_load_dword v160, off, s[0:3], 0 offset:1020
	buffer_load_dword v159, off, s[0:3], 0 offset:1016
	;; [unrolled: 1-line block ×3, first 2 shown]
	ds_read_b128 v[5:8], v196 offset:1792
	s_waitcnt vmcnt(55) lgkmcnt(1)
	v_mul_f64 v[201:202], v[135:136], v[149:150]
	v_mul_f64 v[149:150], v[137:138], v[149:150]
	s_waitcnt vmcnt(54)
	v_fma_f64 v[163:164], v[1:2], v[211:212], -v[163:164]
	v_add_f64 v[141:142], v[141:142], v[145:146]
	v_fma_f64 v[145:146], v[3:4], v[211:212], v[183:184]
	v_add_f64 v[139:140], v[139:140], v[157:158]
	s_clause 0x1
	buffer_load_dword v158, off, s[0:3], 0 offset:1012
	buffer_load_dword v157, off, s[0:3], 0 offset:1008
	ds_read_b128 v[1:4], v196 offset:1808
	s_waitcnt vmcnt(55) lgkmcnt(1)
	v_mul_f64 v[183:184], v[5:6], v[171:172]
	v_mul_f64 v[171:172], v[7:8], v[171:172]
	s_waitcnt vmcnt(53)
	v_fma_f64 v[149:150], v[135:136], v[167:168], -v[149:150]
	v_add_f64 v[141:142], v[141:142], v[163:164]
	v_fma_f64 v[163:164], v[137:138], v[167:168], v[201:202]
	v_add_f64 v[139:140], v[139:140], v[145:146]
	ds_read_b128 v[135:138], v196 offset:1824
	s_waitcnt vmcnt(49) lgkmcnt(1)
	v_mul_f64 v[145:146], v[1:2], v[155:156]
	v_mul_f64 v[155:156], v[3:4], v[155:156]
	s_waitcnt vmcnt(48)
	v_fma_f64 v[167:168], v[5:6], v[203:204], -v[171:172]
	v_add_f64 v[141:142], v[141:142], v[149:150]
	v_fma_f64 v[149:150], v[7:8], v[203:204], v[183:184]
	v_add_f64 v[139:140], v[139:140], v[163:164]
	s_clause 0x3
	buffer_load_dword v163, off, s[0:3], 0 offset:112
	buffer_load_dword v164, off, s[0:3], 0 offset:116
	;; [unrolled: 1-line block ×4, first 2 shown]
	ds_read_b128 v[5:8], v196 offset:1840
	s_waitcnt vmcnt(51) lgkmcnt(1)
	v_mul_f64 v[183:184], v[135:136], v[177:178]
	v_mul_f64 v[177:178], v[137:138], v[177:178]
	s_waitcnt vmcnt(49)
	v_fma_f64 v[155:156], v[1:2], v[165:166], -v[155:156]
	v_fma_f64 v[145:146], v[3:4], v[165:166], v[145:146]
	ds_read_b128 v[1:4], v196 offset:1856
	v_add_f64 v[141:142], v[141:142], v[167:168]
	v_add_f64 v[139:140], v[139:140], v[149:150]
	s_waitcnt vmcnt(45) lgkmcnt(1)
	v_mul_f64 v[149:150], v[5:6], v[161:162]
	v_mul_f64 v[161:162], v[7:8], v[161:162]
	s_waitcnt vmcnt(44)
	v_fma_f64 v[165:166], v[135:136], v[197:198], -v[177:178]
	v_add_f64 v[141:142], v[141:142], v[155:156]
	v_fma_f64 v[155:156], v[137:138], v[197:198], v[183:184]
	v_add_f64 v[139:140], v[139:140], v[145:146]
	ds_read_b128 v[135:138], v196 offset:1872
	s_waitcnt vmcnt(43) lgkmcnt(1)
	v_mul_f64 v[167:168], v[3:4], v[185:186]
	v_mul_f64 v[145:146], v[1:2], v[185:186]
	s_waitcnt vmcnt(41)
	v_fma_f64 v[161:162], v[5:6], v[173:174], -v[161:162]
	v_fma_f64 v[149:150], v[7:8], v[173:174], v[149:150]
	ds_read_b128 v[5:8], v196 offset:1888
	v_add_f64 v[141:142], v[141:142], v[165:166]
	v_add_f64 v[139:140], v[139:140], v[155:156]
	s_waitcnt vmcnt(37) lgkmcnt(1)
	v_mul_f64 v[165:166], v[137:138], v[169:170]
	s_waitcnt vmcnt(36)
	v_fma_f64 v[167:168], v[1:2], v[191:192], -v[167:168]
	v_mul_f64 v[155:156], v[135:136], v[169:170]
	v_fma_f64 v[145:146], v[3:4], v[191:192], v[145:146]
	ds_read_b128 v[1:4], v196 offset:1904
	v_add_f64 v[141:142], v[141:142], v[161:162]
	v_add_f64 v[139:140], v[139:140], v[149:150]
	s_waitcnt vmcnt(35) lgkmcnt(1)
	v_mul_f64 v[161:162], v[7:8], v[187:188]
	v_mul_f64 v[149:150], v[5:6], v[187:188]
	s_waitcnt vmcnt(33)
	v_fma_f64 v[165:166], v[135:136], v[143:144], -v[165:166]
	v_fma_f64 v[143:144], v[137:138], v[143:144], v[155:156]
	ds_read_b128 v[135:138], v196 offset:1920
	v_add_f64 v[141:142], v[141:142], v[167:168]
	v_add_f64 v[139:140], v[139:140], v[145:146]
	s_waitcnt vmcnt(29) lgkmcnt(1)
	v_mul_f64 v[155:156], v[3:4], v[175:176]
	s_waitcnt vmcnt(28)
	v_fma_f64 v[161:162], v[5:6], v[193:194], -v[161:162]
	v_mul_f64 v[145:146], v[1:2], v[175:176]
	v_fma_f64 v[149:150], v[7:8], v[193:194], v[149:150]
	ds_read_b128 v[5:8], v196 offset:1936
	v_add_f64 v[141:142], v[141:142], v[165:166]
	v_add_f64 v[139:140], v[139:140], v[143:144]
	;; [unrolled: 18-line block ×3, first 2 shown]
	s_waitcnt vmcnt(19) lgkmcnt(1)
	v_mul_f64 v[155:156], v[3:4], v[199:200]
	v_mul_f64 v[145:146], v[1:2], v[199:200]
	s_waitcnt vmcnt(17)
	v_fma_f64 v[161:162], v[5:6], v[153:154], -v[161:162]
	v_fma_f64 v[149:150], v[7:8], v[153:154], v[149:150]
	ds_read_b128 v[5:8], v196 offset:1984
	v_add_f64 v[141:142], v[141:142], v[165:166]
	v_add_f64 v[139:140], v[139:140], v[143:144]
	s_waitcnt vmcnt(13) lgkmcnt(1)
	v_mul_f64 v[143:144], v[135:136], v[147:148]
	v_mul_f64 v[147:148], v[137:138], v[147:148]
	s_waitcnt vmcnt(12)
	v_fma_f64 v[153:154], v[1:2], v[209:210], -v[155:156]
	v_fma_f64 v[145:146], v[3:4], v[209:210], v[145:146]
	ds_read_b128 v[1:4], v196 offset:2000
	v_add_f64 v[141:142], v[141:142], v[161:162]
	v_add_f64 v[139:140], v[139:140], v[149:150]
	s_waitcnt vmcnt(11) lgkmcnt(1)
	v_mul_f64 v[155:156], v[7:8], v[207:208]
	v_mul_f64 v[149:150], v[5:6], v[207:208]
	s_waitcnt vmcnt(9)
	v_fma_f64 v[135:136], v[135:136], v[151:152], -v[147:148]
	v_fma_f64 v[137:138], v[137:138], v[151:152], v[143:144]
	v_add_f64 v[141:142], v[141:142], v[153:154]
	v_add_f64 v[139:140], v[139:140], v[145:146]
	s_waitcnt vmcnt(7) lgkmcnt(0)
	v_mul_f64 v[145:146], v[3:4], v[159:160]
	s_waitcnt vmcnt(6)
	v_fma_f64 v[5:6], v[5:6], v[213:214], -v[155:156]
	v_mul_f64 v[143:144], v[1:2], v[159:160]
	v_fma_f64 v[7:8], v[7:8], v[213:214], v[149:150]
	v_add_f64 v[135:136], v[141:142], v[135:136]
	v_add_f64 v[137:138], v[139:140], v[137:138]
	s_waitcnt vmcnt(4)
	v_fma_f64 v[1:2], v[1:2], v[157:158], -v[145:146]
	v_fma_f64 v[3:4], v[3:4], v[157:158], v[143:144]
	v_add_f64 v[5:6], v[135:136], v[5:6]
	v_add_f64 v[7:8], v[137:138], v[7:8]
	;; [unrolled: 1-line block ×4, first 2 shown]
	s_waitcnt vmcnt(2)
	v_add_f64 v[1:2], v[163:164], -v[1:2]
	s_waitcnt vmcnt(0)
	v_add_f64 v[3:4], v[171:172], -v[3:4]
	buffer_store_dword v2, off, s[0:3], 0 offset:116
	buffer_store_dword v1, off, s[0:3], 0 offset:112
	;; [unrolled: 1-line block ×4, first 2 shown]
	v_cmpx_lt_u32_e32 5, v0
	s_cbranch_execz .LBB126_393
; %bb.392:
	v_mov_b32_e32 v4, s72
	v_mov_b32_e32 v5, 0
	s_clause 0x3
	buffer_load_dword v1, v4, s[0:3], 0 offen
	buffer_load_dword v2, v4, s[0:3], 0 offen offset:4
	buffer_load_dword v3, v4, s[0:3], 0 offen offset:8
	;; [unrolled: 1-line block ×3, first 2 shown]
	buffer_store_dword v5, off, s[0:3], 0 offset:96
	buffer_store_dword v5, off, s[0:3], 0 offset:100
	;; [unrolled: 1-line block ×4, first 2 shown]
	s_waitcnt vmcnt(0)
	ds_write_b128 v195, v[1:4]
.LBB126_393:
	s_or_b32 exec_lo, exec_lo, s4
	s_waitcnt lgkmcnt(0)
	s_waitcnt_vscnt null, 0x0
	s_barrier
	buffer_gl0_inv
	s_clause 0x37
	buffer_load_dword v143, off, s[0:3], 0 offset:120
	buffer_load_dword v144, off, s[0:3], 0 offset:124
	;; [unrolled: 1-line block ×56, first 2 shown]
	v_mov_b32_e32 v196, 0
	s_mov_b32 s4, exec_lo
	ds_read_b128 v[5:8], v196 offset:1104
	s_clause 0x2
	buffer_load_dword v192, off, s[0:3], 0 offset:348
	buffer_load_dword v194, off, s[0:3], 0 offset:324
	;; [unrolled: 1-line block ×3, first 2 shown]
	ds_read_b128 v[1:4], v196 offset:1120
	s_clause 0x4
	buffer_load_dword v204, off, s[0:3], 0 offset:364
	buffer_load_dword v205, off, s[0:3], 0 offset:376
	;; [unrolled: 1-line block ×5, first 2 shown]
	ds_read_b128 v[197:200], v196 offset:1136
	s_waitcnt vmcnt(62) lgkmcnt(2)
	v_mul_f64 v[201:202], v[7:8], v[143:144]
	v_mul_f64 v[143:144], v[5:6], v[143:144]
	s_waitcnt vmcnt(60) lgkmcnt(1)
	v_mul_f64 v[208:209], v[3:4], v[139:140]
	v_mul_f64 v[139:140], v[1:2], v[139:140]
	;; [unrolled: 3-line block ×3, first 2 shown]
	v_fma_f64 v[201:202], v[5:6], v[141:142], -v[201:202]
	v_fma_f64 v[141:142], v[7:8], v[141:142], v[143:144]
	s_clause 0x2
	buffer_load_dword v206, off, s[0:3], 0 offset:380
	buffer_load_dword v144, off, s[0:3], 0 offset:356
	;; [unrolled: 1-line block ×3, first 2 shown]
	s_waitcnt vmcnt(57)
	v_fma_f64 v[212:213], v[1:2], v[135:136], -v[208:209]
	ds_read_b128 v[5:8], v196 offset:1152
	v_fma_f64 v[135:136], v[3:4], v[135:136], v[139:140]
	s_waitcnt vmcnt(51)
	v_fma_f64 v[197:198], v[197:198], v[159:160], -v[137:138]
	v_fma_f64 v[159:160], v[199:200], v[159:160], v[210:211]
	v_add_f64 v[201:202], v[201:202], 0
	v_add_f64 v[139:140], v[141:142], 0
	s_clause 0x4
	buffer_load_dword v142, off, s[0:3], 0 offset:396
	buffer_load_dword v209, off, s[0:3], 0 offset:408
	;; [unrolled: 1-line block ×5, first 2 shown]
	s_waitcnt lgkmcnt(0)
	v_mul_f64 v[215:216], v[5:6], v[147:148]
	v_mul_f64 v[147:148], v[7:8], v[147:148]
	ds_read_b128 v[1:4], v196 offset:1168
	s_clause 0x2
	buffer_load_dword v210, off, s[0:3], 0 offset:412
	buffer_load_dword v200, off, s[0:3], 0 offset:388
	;; [unrolled: 1-line block ×3, first 2 shown]
	v_add_f64 v[201:202], v[201:202], v[212:213]
	v_add_f64 v[139:140], v[139:140], v[135:136]
	ds_read_b128 v[135:138], v196 offset:1184
	s_waitcnt vmcnt(58) lgkmcnt(1)
	v_mul_f64 v[211:212], v[1:2], v[151:152]
	v_mul_f64 v[151:152], v[3:4], v[151:152]
	s_waitcnt vmcnt(56)
	v_fma_f64 v[147:148], v[5:6], v[153:154], -v[147:148]
	v_fma_f64 v[153:154], v[7:8], v[153:154], v[215:216]
	s_waitcnt vmcnt(52) lgkmcnt(0)
	v_mul_f64 v[217:218], v[135:136], v[155:156]
	v_add_f64 v[197:198], v[201:202], v[197:198]
	v_add_f64 v[139:140], v[139:140], v[159:160]
	s_clause 0x4
	buffer_load_dword v160, off, s[0:3], 0 offset:428
	buffer_load_dword v201, off, s[0:3], 0 offset:440
	;; [unrolled: 1-line block ×5, first 2 shown]
	v_mul_f64 v[155:156], v[137:138], v[155:156]
	s_waitcnt vmcnt(56)
	v_fma_f64 v[151:152], v[1:2], v[145:146], -v[151:152]
	ds_read_b128 v[5:8], v196 offset:1200
	v_fma_f64 v[145:146], v[3:4], v[145:146], v[211:212]
	v_add_f64 v[147:148], v[197:198], v[147:148]
	v_add_f64 v[139:140], v[139:140], v[153:154]
	s_clause 0x2
	buffer_load_dword v202, off, s[0:3], 0 offset:444
	buffer_load_dword v154, off, s[0:3], 0 offset:420
	;; [unrolled: 1-line block ×3, first 2 shown]
	s_waitcnt vmcnt(58) lgkmcnt(0)
	v_mul_f64 v[197:198], v[5:6], v[161:162]
	v_mul_f64 v[161:162], v[7:8], v[161:162]
	s_waitcnt vmcnt(56)
	v_fma_f64 v[155:156], v[135:136], v[163:164], -v[155:156]
	ds_read_b128 v[1:4], v196 offset:1216
	v_add_f64 v[147:148], v[147:148], v[151:152]
	v_fma_f64 v[151:152], v[137:138], v[163:164], v[217:218]
	v_add_f64 v[139:140], v[139:140], v[145:146]
	s_clause 0x4
	buffer_load_dword v146, off, s[0:3], 0 offset:460
	buffer_load_dword v163, off, s[0:3], 0 offset:472
	;; [unrolled: 1-line block ×5, first 2 shown]
	s_waitcnt vmcnt(57) lgkmcnt(0)
	v_mul_f64 v[212:213], v[1:2], v[165:166]
	v_mul_f64 v[165:166], v[3:4], v[165:166]
	s_waitcnt vmcnt(56)
	v_fma_f64 v[161:162], v[5:6], v[149:150], -v[161:162]
	ds_read_b128 v[135:138], v196 offset:1232
	v_fma_f64 v[149:150], v[7:8], v[149:150], v[197:198]
	v_add_f64 v[147:148], v[147:148], v[155:156]
	v_add_f64 v[139:140], v[139:140], v[151:152]
	s_clause 0x2
	buffer_load_dword v164, off, s[0:3], 0 offset:476
	buffer_load_dword v152, off, s[0:3], 0 offset:452
	;; [unrolled: 1-line block ×3, first 2 shown]
	ds_read_b128 v[5:8], v196 offset:1248
	s_waitcnt vmcnt(58) lgkmcnt(1)
	v_mul_f64 v[155:156], v[135:136], v[169:170]
	v_mul_f64 v[169:170], v[137:138], v[169:170]
	s_waitcnt vmcnt(56)
	v_fma_f64 v[165:166], v[1:2], v[171:172], -v[165:166]
	v_add_f64 v[147:148], v[147:148], v[161:162]
	v_fma_f64 v[161:162], v[3:4], v[171:172], v[212:213]
	v_add_f64 v[139:140], v[139:140], v[149:150]
	s_clause 0x4
	buffer_load_dword v150, off, s[0:3], 0 offset:492
	buffer_load_dword v171, off, s[0:3], 0 offset:504
	buffer_load_dword v197, off, s[0:3], 0 offset:496
	buffer_load_dword v149, off, s[0:3], 0 offset:488
	buffer_load_dword v212, off, s[0:3], 0 offset:468
	s_waitcnt vmcnt(57) lgkmcnt(0)
	v_mul_f64 v[218:219], v[5:6], v[173:174]
	v_mul_f64 v[173:174], v[7:8], v[173:174]
	s_waitcnt vmcnt(56)
	v_fma_f64 v[169:170], v[135:136], v[157:158], -v[169:170]
	ds_read_b128 v[1:4], v196 offset:1264
	v_fma_f64 v[155:156], v[137:138], v[157:158], v[155:156]
	s_clause 0x2
	buffer_load_dword v172, off, s[0:3], 0 offset:508
	buffer_load_dword v158, off, s[0:3], 0 offset:484
	;; [unrolled: 1-line block ×3, first 2 shown]
	ds_read_b128 v[135:138], v196 offset:1280
	v_add_f64 v[147:148], v[147:148], v[165:166]
	v_add_f64 v[139:140], v[139:140], v[161:162]
	s_waitcnt vmcnt(58) lgkmcnt(1)
	v_mul_f64 v[165:166], v[3:4], v[177:178]
	s_waitcnt vmcnt(56)
	v_fma_f64 v[173:174], v[5:6], v[179:180], -v[173:174]
	v_mul_f64 v[161:162], v[1:2], v[177:178]
	v_add_f64 v[147:148], v[147:148], v[169:170]
	v_fma_f64 v[169:170], v[7:8], v[179:180], v[218:219]
	v_add_f64 v[139:140], v[139:140], v[155:156]
	s_clause 0x4
	buffer_load_dword v156, off, s[0:3], 0 offset:524
	buffer_load_dword v177, off, s[0:3], 0 offset:536
	buffer_load_dword v179, off, s[0:3], 0 offset:528
	buffer_load_dword v155, off, s[0:3], 0 offset:520
	buffer_load_dword v198, off, s[0:3], 0 offset:500
	s_waitcnt vmcnt(57) lgkmcnt(0)
	v_mul_f64 v[218:219], v[135:136], v[181:182]
	v_mul_f64 v[180:181], v[137:138], v[181:182]
	s_waitcnt vmcnt(56)
	v_fma_f64 v[165:166], v[1:2], v[167:168], -v[165:166]
	ds_read_b128 v[5:8], v196 offset:1296
	v_fma_f64 v[161:162], v[3:4], v[167:168], v[161:162]
	s_clause 0x2
	buffer_load_dword v178, off, s[0:3], 0 offset:540
	buffer_load_dword v168, off, s[0:3], 0 offset:516
	;; [unrolled: 1-line block ×3, first 2 shown]
	ds_read_b128 v[1:4], v196 offset:1312
	v_add_f64 v[147:148], v[147:148], v[173:174]
	v_add_f64 v[139:140], v[139:140], v[169:170]
	s_waitcnt vmcnt(58) lgkmcnt(1)
	v_mul_f64 v[173:174], v[7:8], v[185:186]
	s_waitcnt vmcnt(56)
	v_fma_f64 v[181:182], v[135:136], v[187:188], -v[180:181]
	v_mul_f64 v[169:170], v[5:6], v[185:186]
	v_add_f64 v[147:148], v[147:148], v[165:166]
	v_fma_f64 v[165:166], v[137:138], v[187:188], v[218:219]
	v_add_f64 v[139:140], v[139:140], v[161:162]
	s_clause 0x4
	buffer_load_dword v162, off, s[0:3], 0 offset:556
	buffer_load_dword v185, off, s[0:3], 0 offset:568
	;; [unrolled: 1-line block ×5, first 2 shown]
	s_waitcnt vmcnt(57) lgkmcnt(0)
	v_mul_f64 v[218:219], v[1:2], v[189:190]
	v_mul_f64 v[188:189], v[3:4], v[189:190]
	s_waitcnt vmcnt(56)
	v_fma_f64 v[173:174], v[5:6], v[175:176], -v[173:174]
	ds_read_b128 v[135:138], v196 offset:1328
	v_fma_f64 v[169:170], v[7:8], v[175:176], v[169:170]
	v_add_f64 v[147:148], v[147:148], v[181:182]
	v_add_f64 v[139:140], v[139:140], v[165:166]
	s_clause 0x2
	buffer_load_dword v186, off, s[0:3], 0 offset:572
	buffer_load_dword v166, off, s[0:3], 0 offset:548
	;; [unrolled: 1-line block ×3, first 2 shown]
	ds_read_b128 v[5:8], v196 offset:1344
	s_waitcnt vmcnt(58) lgkmcnt(1)
	v_mul_f64 v[181:182], v[137:138], v[191:192]
	s_waitcnt vmcnt(56)
	v_fma_f64 v[189:190], v[1:2], v[193:194], -v[188:189]
	v_mul_f64 v[175:176], v[135:136], v[191:192]
	v_add_f64 v[147:148], v[147:148], v[173:174]
	v_fma_f64 v[173:174], v[3:4], v[193:194], v[218:219]
	v_add_f64 v[139:140], v[139:140], v[169:170]
	s_clause 0x4
	buffer_load_dword v170, off, s[0:3], 0 offset:588
	buffer_load_dword v191, off, s[0:3], 0 offset:600
	;; [unrolled: 1-line block ×5, first 2 shown]
	s_waitcnt vmcnt(57) lgkmcnt(0)
	v_mul_f64 v[218:219], v[5:6], v[203:204]
	v_mul_f64 v[203:204], v[7:8], v[203:204]
	s_waitcnt vmcnt(56)
	v_fma_f64 v[181:182], v[135:136], v[183:184], -v[181:182]
	ds_read_b128 v[1:4], v196 offset:1360
	v_fma_f64 v[175:176], v[137:138], v[183:184], v[175:176]
	v_add_f64 v[147:148], v[147:148], v[189:190]
	v_add_f64 v[139:140], v[139:140], v[173:174]
	s_clause 0x2
	buffer_load_dword v192, off, s[0:3], 0 offset:604
	buffer_load_dword v174, off, s[0:3], 0 offset:580
	;; [unrolled: 1-line block ×3, first 2 shown]
	ds_read_b128 v[135:138], v196 offset:1376
	s_waitcnt vmcnt(58) lgkmcnt(1)
	v_mul_f64 v[189:190], v[3:4], v[205:206]
	v_mul_f64 v[183:184], v[1:2], v[205:206]
	s_waitcnt vmcnt(56)
	v_fma_f64 v[203:204], v[5:6], v[143:144], -v[203:204]
	v_fma_f64 v[143:144], v[7:8], v[143:144], v[218:219]
	v_add_f64 v[147:148], v[147:148], v[181:182]
	v_add_f64 v[139:140], v[139:140], v[175:176]
	s_clause 0x4
	buffer_load_dword v176, off, s[0:3], 0 offset:620
	buffer_load_dword v181, off, s[0:3], 0 offset:632
	;; [unrolled: 1-line block ×5, first 2 shown]
	ds_read_b128 v[5:8], v196 offset:1392
	s_waitcnt vmcnt(57) lgkmcnt(1)
	v_mul_f64 v[218:219], v[135:136], v[141:142]
	v_mul_f64 v[141:142], v[137:138], v[141:142]
	s_waitcnt vmcnt(56)
	v_fma_f64 v[189:190], v[1:2], v[207:208], -v[189:190]
	v_fma_f64 v[183:184], v[3:4], v[207:208], v[183:184]
	v_add_f64 v[147:148], v[147:148], v[203:204]
	v_add_f64 v[139:140], v[139:140], v[143:144]
	s_clause 0x2
	buffer_load_dword v182, off, s[0:3], 0 offset:636
	buffer_load_dword v144, off, s[0:3], 0 offset:612
	;; [unrolled: 1-line block ×3, first 2 shown]
	s_waitcnt vmcnt(58) lgkmcnt(0)
	v_mul_f64 v[207:208], v[7:8], v[209:210]
	ds_read_b128 v[1:4], v196 offset:1408
	v_mul_f64 v[203:204], v[5:6], v[209:210]
	s_waitcnt vmcnt(56)
	v_fma_f64 v[141:142], v[135:136], v[199:200], -v[141:142]
	v_add_f64 v[147:148], v[147:148], v[189:190]
	v_fma_f64 v[189:190], v[137:138], v[199:200], v[218:219]
	v_add_f64 v[139:140], v[139:140], v[183:184]
	s_clause 0x4
	buffer_load_dword v184, off, s[0:3], 0 offset:652
	buffer_load_dword v199, off, s[0:3], 0 offset:664
	;; [unrolled: 1-line block ×5, first 2 shown]
	ds_read_b128 v[135:138], v196 offset:1424
	s_waitcnt vmcnt(57) lgkmcnt(1)
	v_mul_f64 v[218:219], v[1:2], v[159:160]
	v_mul_f64 v[159:160], v[3:4], v[159:160]
	s_waitcnt vmcnt(56)
	v_fma_f64 v[207:208], v[5:6], v[214:215], -v[207:208]
	v_add_f64 v[141:142], v[147:148], v[141:142]
	v_fma_f64 v[147:148], v[7:8], v[214:215], v[203:204]
	v_add_f64 v[139:140], v[139:140], v[189:190]
	s_clause 0x2
	buffer_load_dword v200, off, s[0:3], 0 offset:668
	buffer_load_dword v190, off, s[0:3], 0 offset:644
	;; [unrolled: 1-line block ×3, first 2 shown]
	ds_read_b128 v[5:8], v196 offset:1440
	s_waitcnt vmcnt(58) lgkmcnt(1)
	v_mul_f64 v[203:204], v[135:136], v[201:202]
	v_mul_f64 v[201:202], v[137:138], v[201:202]
	s_waitcnt vmcnt(56)
	v_fma_f64 v[159:160], v[1:2], v[153:154], -v[159:160]
	v_fma_f64 v[153:154], v[3:4], v[153:154], v[218:219]
	v_add_f64 v[141:142], v[141:142], v[207:208]
	v_add_f64 v[139:140], v[139:140], v[147:148]
	s_clause 0x4
	buffer_load_dword v148, off, s[0:3], 0 offset:684
	buffer_load_dword v207, off, s[0:3], 0 offset:696
	;; [unrolled: 1-line block ×5, first 2 shown]
	ds_read_b128 v[1:4], v196 offset:1456
	s_waitcnt vmcnt(57) lgkmcnt(1)
	v_mul_f64 v[214:215], v[5:6], v[145:146]
	v_mul_f64 v[145:146], v[7:8], v[145:146]
	s_waitcnt vmcnt(56)
	v_fma_f64 v[201:202], v[135:136], v[216:217], -v[201:202]
	v_add_f64 v[141:142], v[141:142], v[159:160]
	v_fma_f64 v[159:160], v[137:138], v[216:217], v[203:204]
	v_add_f64 v[139:140], v[139:140], v[153:154]
	s_clause 0x2
	buffer_load_dword v208, off, s[0:3], 0 offset:700
	buffer_load_dword v154, off, s[0:3], 0 offset:676
	;; [unrolled: 1-line block ×3, first 2 shown]
	ds_read_b128 v[135:138], v196 offset:1472
	s_waitcnt vmcnt(58) lgkmcnt(1)
	v_mul_f64 v[203:204], v[1:2], v[163:164]
	v_mul_f64 v[163:164], v[3:4], v[163:164]
	s_waitcnt vmcnt(56)
	v_fma_f64 v[145:146], v[5:6], v[151:152], -v[145:146]
	v_fma_f64 v[151:152], v[7:8], v[151:152], v[214:215]
	v_add_f64 v[141:142], v[141:142], v[201:202]
	v_add_f64 v[139:140], v[139:140], v[159:160]
	s_clause 0x4
	buffer_load_dword v160, off, s[0:3], 0 offset:716
	buffer_load_dword v201, off, s[0:3], 0 offset:728
	;; [unrolled: 1-line block ×5, first 2 shown]
	ds_read_b128 v[5:8], v196 offset:1488
	s_waitcnt vmcnt(57) lgkmcnt(1)
	v_mul_f64 v[216:217], v[135:136], v[149:150]
	v_mul_f64 v[149:150], v[137:138], v[149:150]
	s_waitcnt vmcnt(56)
	v_fma_f64 v[163:164], v[1:2], v[211:212], -v[163:164]
	v_add_f64 v[141:142], v[141:142], v[145:146]
	v_fma_f64 v[145:146], v[3:4], v[211:212], v[203:204]
	v_add_f64 v[139:140], v[139:140], v[151:152]
	s_clause 0x2
	buffer_load_dword v202, off, s[0:3], 0 offset:732
	buffer_load_dword v152, off, s[0:3], 0 offset:708
	;; [unrolled: 1-line block ×3, first 2 shown]
	s_waitcnt vmcnt(58) lgkmcnt(0)
	v_mul_f64 v[203:204], v[5:6], v[171:172]
	v_mul_f64 v[171:172], v[7:8], v[171:172]
	ds_read_b128 v[1:4], v196 offset:1504
	s_waitcnt vmcnt(56)
	v_fma_f64 v[149:150], v[135:136], v[157:158], -v[149:150]
	v_fma_f64 v[157:158], v[137:138], v[157:158], v[216:217]
	v_add_f64 v[141:142], v[141:142], v[163:164]
	v_add_f64 v[139:140], v[139:140], v[145:146]
	s_clause 0x4
	buffer_load_dword v146, off, s[0:3], 0 offset:748
	buffer_load_dword v163, off, s[0:3], 0 offset:760
	;; [unrolled: 1-line block ×5, first 2 shown]
	ds_read_b128 v[135:138], v196 offset:1520
	s_waitcnt vmcnt(57) lgkmcnt(1)
	v_mul_f64 v[217:218], v[1:2], v[155:156]
	v_mul_f64 v[155:156], v[3:4], v[155:156]
	s_waitcnt vmcnt(56)
	v_fma_f64 v[171:172], v[5:6], v[197:198], -v[171:172]
	v_add_f64 v[141:142], v[141:142], v[149:150]
	v_fma_f64 v[149:150], v[7:8], v[197:198], v[203:204]
	v_add_f64 v[139:140], v[139:140], v[157:158]
	s_clause 0x2
	buffer_load_dword v164, off, s[0:3], 0 offset:764
	buffer_load_dword v158, off, s[0:3], 0 offset:740
	buffer_load_dword v157, off, s[0:3], 0 offset:736
	s_waitcnt vmcnt(58) lgkmcnt(0)
	v_mul_f64 v[197:198], v[135:136], v[177:178]
	v_mul_f64 v[177:178], v[137:138], v[177:178]
	ds_read_b128 v[5:8], v196 offset:1536
	s_waitcnt vmcnt(56)
	v_fma_f64 v[155:156], v[1:2], v[167:168], -v[155:156]
	v_fma_f64 v[167:168], v[3:4], v[167:168], v[217:218]
	v_add_f64 v[141:142], v[141:142], v[171:172]
	v_add_f64 v[139:140], v[139:140], v[149:150]
	s_clause 0x4
	buffer_load_dword v150, off, s[0:3], 0 offset:780
	buffer_load_dword v171, off, s[0:3], 0 offset:792
	buffer_load_dword v203, off, s[0:3], 0 offset:784
	buffer_load_dword v149, off, s[0:3], 0 offset:776
	buffer_load_dword v212, off, s[0:3], 0 offset:756
	ds_read_b128 v[1:4], v196 offset:1552
	s_waitcnt vmcnt(57) lgkmcnt(1)
	v_mul_f64 v[217:218], v[5:6], v[161:162]
	v_mul_f64 v[161:162], v[7:8], v[161:162]
	s_waitcnt vmcnt(56)
	v_fma_f64 v[177:178], v[135:136], v[179:180], -v[177:178]
	v_add_f64 v[141:142], v[141:142], v[155:156]
	v_fma_f64 v[155:156], v[137:138], v[179:180], v[197:198]
	v_add_f64 v[139:140], v[139:140], v[167:168]
	s_clause 0x2
	buffer_load_dword v172, off, s[0:3], 0 offset:796
	buffer_load_dword v168, off, s[0:3], 0 offset:772
	buffer_load_dword v167, off, s[0:3], 0 offset:768
	ds_read_b128 v[135:138], v196 offset:1568
	s_waitcnt vmcnt(58) lgkmcnt(1)
	v_mul_f64 v[179:180], v[1:2], v[185:186]
	v_mul_f64 v[185:186], v[3:4], v[185:186]
	s_waitcnt vmcnt(56)
	v_fma_f64 v[161:162], v[5:6], v[165:166], -v[161:162]
	v_fma_f64 v[165:166], v[7:8], v[165:166], v[217:218]
	v_add_f64 v[141:142], v[141:142], v[177:178]
	v_add_f64 v[139:140], v[139:140], v[155:156]
	s_clause 0x4
	buffer_load_dword v156, off, s[0:3], 0 offset:812
	buffer_load_dword v177, off, s[0:3], 0 offset:824
	buffer_load_dword v197, off, s[0:3], 0 offset:816
	buffer_load_dword v155, off, s[0:3], 0 offset:808
	buffer_load_dword v204, off, s[0:3], 0 offset:788
	ds_read_b128 v[5:8], v196 offset:1584
	s_waitcnt vmcnt(57) lgkmcnt(1)
	v_mul_f64 v[217:218], v[135:136], v[169:170]
	v_mul_f64 v[169:170], v[137:138], v[169:170]
	s_waitcnt vmcnt(56)
	v_fma_f64 v[185:186], v[1:2], v[187:188], -v[185:186]
	v_add_f64 v[141:142], v[141:142], v[161:162]
	v_fma_f64 v[161:162], v[3:4], v[187:188], v[179:180]
	v_add_f64 v[139:140], v[139:140], v[165:166]
	s_clause 0x2
	buffer_load_dword v178, off, s[0:3], 0 offset:828
	buffer_load_dword v166, off, s[0:3], 0 offset:804
	buffer_load_dword v165, off, s[0:3], 0 offset:800
	ds_read_b128 v[1:4], v196 offset:1600
	s_waitcnt vmcnt(58) lgkmcnt(1)
	v_mul_f64 v[187:188], v[7:8], v[191:192]
	v_mul_f64 v[179:180], v[5:6], v[191:192]
	;; [unrolled: 28-line block ×4, first 2 shown]
	s_waitcnt vmcnt(56)
	v_fma_f64 v[183:184], v[5:6], v[189:190], -v[183:184]
	v_add_f64 v[141:142], v[141:142], v[181:182]
	v_fma_f64 v[181:182], v[7:8], v[189:190], v[217:218]
	v_add_f64 v[139:140], v[139:140], v[175:176]
	s_clause 0x4
	buffer_load_dword v176, off, s[0:3], 0 offset:908
	buffer_load_dword v189, off, s[0:3], 0 offset:920
	buffer_load_dword v205, off, s[0:3], 0 offset:912
	buffer_load_dword v175, off, s[0:3], 0 offset:904
	buffer_load_dword v194, off, s[0:3], 0 offset:884
	ds_read_b128 v[5:8], v196 offset:1680
	s_waitcnt vmcnt(57) lgkmcnt(1)
	v_mul_f64 v[217:218], v[135:136], v[147:148]
	v_mul_f64 v[147:148], v[137:138], v[147:148]
	s_waitcnt vmcnt(56)
	v_fma_f64 v[199:200], v[1:2], v[209:210], -v[199:200]
	v_fma_f64 v[179:180], v[3:4], v[209:210], v[179:180]
	v_add_f64 v[141:142], v[141:142], v[183:184]
	v_add_f64 v[139:140], v[139:140], v[181:182]
	s_clause 0x2
	buffer_load_dword v190, off, s[0:3], 0 offset:924
	buffer_load_dword v182, off, s[0:3], 0 offset:900
	buffer_load_dword v181, off, s[0:3], 0 offset:896
	ds_read_b128 v[1:4], v196 offset:1696
	s_waitcnt vmcnt(58) lgkmcnt(1)
	v_mul_f64 v[183:184], v[5:6], v[207:208]
	v_mul_f64 v[207:208], v[7:8], v[207:208]
	s_waitcnt vmcnt(56)
	v_fma_f64 v[147:148], v[135:136], v[153:154], -v[147:148]
	v_fma_f64 v[153:154], v[137:138], v[153:154], v[217:218]
	v_add_f64 v[141:142], v[141:142], v[199:200]
	v_add_f64 v[139:140], v[139:140], v[179:180]
	s_clause 0x4
	buffer_load_dword v180, off, s[0:3], 0 offset:940
	buffer_load_dword v199, off, s[0:3], 0 offset:952
	buffer_load_dword v209, off, s[0:3], 0 offset:944
	buffer_load_dword v179, off, s[0:3], 0 offset:936
	buffer_load_dword v206, off, s[0:3], 0 offset:916
	ds_read_b128 v[135:138], v196 offset:1712
	s_waitcnt vmcnt(57) lgkmcnt(1)
	v_mul_f64 v[217:218], v[1:2], v[159:160]
	v_mul_f64 v[159:160], v[3:4], v[159:160]
	s_waitcnt vmcnt(56)
	v_fma_f64 v[207:208], v[5:6], v[213:214], -v[207:208]
	v_add_f64 v[141:142], v[141:142], v[147:148]
	v_fma_f64 v[147:148], v[7:8], v[213:214], v[183:184]
	v_add_f64 v[139:140], v[139:140], v[153:154]
	s_clause 0x2
	buffer_load_dword v200, off, s[0:3], 0 offset:956
	buffer_load_dword v154, off, s[0:3], 0 offset:932
	buffer_load_dword v153, off, s[0:3], 0 offset:928
	ds_read_b128 v[5:8], v196 offset:1728
	s_waitcnt vmcnt(58) lgkmcnt(1)
	v_mul_f64 v[183:184], v[135:136], v[201:202]
	v_mul_f64 v[201:202], v[137:138], v[201:202]
	s_waitcnt vmcnt(56)
	v_fma_f64 v[159:160], v[1:2], v[151:152], -v[159:160]
	v_fma_f64 v[151:152], v[3:4], v[151:152], v[217:218]
	v_add_f64 v[141:142], v[141:142], v[207:208]
	v_add_f64 v[139:140], v[139:140], v[147:148]
	s_clause 0x4
	buffer_load_dword v148, off, s[0:3], 0 offset:972
	buffer_load_dword v207, off, s[0:3], 0 offset:984
	buffer_load_dword v213, off, s[0:3], 0 offset:976
	buffer_load_dword v147, off, s[0:3], 0 offset:968
	buffer_load_dword v210, off, s[0:3], 0 offset:948
	ds_read_b128 v[1:4], v196 offset:1744
	s_waitcnt vmcnt(57) lgkmcnt(1)
	v_mul_f64 v[217:218], v[5:6], v[145:146]
	v_mul_f64 v[145:146], v[7:8], v[145:146]
	s_waitcnt vmcnt(56)
	v_fma_f64 v[201:202], v[135:136], v[215:216], -v[201:202]
	v_add_f64 v[141:142], v[141:142], v[159:160]
	v_fma_f64 v[159:160], v[137:138], v[215:216], v[183:184]
	;; [unrolled: 28-line block ×3, first 2 shown]
	v_add_f64 v[139:140], v[139:140], v[157:158]
	s_clause 0x2
	buffer_load_dword v202, off, s[0:3], 0 offset:1020
	buffer_load_dword v158, off, s[0:3], 0 offset:996
	;; [unrolled: 1-line block ×3, first 2 shown]
	ds_read_b128 v[1:4], v196 offset:1792
	s_waitcnt vmcnt(58) lgkmcnt(1)
	v_mul_f64 v[183:184], v[5:6], v[171:172]
	v_mul_f64 v[171:172], v[7:8], v[171:172]
	s_waitcnt vmcnt(56)
	v_fma_f64 v[149:150], v[135:136], v[167:168], -v[149:150]
	v_add_f64 v[141:142], v[141:142], v[163:164]
	v_fma_f64 v[163:164], v[137:138], v[167:168], v[216:217]
	v_add_f64 v[139:140], v[139:140], v[145:146]
	buffer_load_dword v216, off, s[0:3], 0 offset:1012
	ds_read_b128 v[135:138], v196 offset:1808
	s_waitcnt vmcnt(53) lgkmcnt(1)
	v_mul_f64 v[145:146], v[1:2], v[155:156]
	v_mul_f64 v[155:156], v[3:4], v[155:156]
	s_waitcnt vmcnt(52)
	v_fma_f64 v[167:168], v[5:6], v[203:204], -v[171:172]
	v_add_f64 v[141:142], v[141:142], v[149:150]
	v_fma_f64 v[149:150], v[7:8], v[203:204], v[183:184]
	v_add_f64 v[139:140], v[139:140], v[163:164]
	ds_read_b128 v[5:8], v196 offset:1824
	s_waitcnt vmcnt(51) lgkmcnt(1)
	v_mul_f64 v[171:172], v[137:138], v[177:178]
	v_mul_f64 v[163:164], v[135:136], v[177:178]
	s_waitcnt vmcnt(49)
	v_fma_f64 v[155:156], v[1:2], v[165:166], -v[155:156]
	v_fma_f64 v[145:146], v[3:4], v[165:166], v[145:146]
	v_add_f64 v[141:142], v[141:142], v[167:168]
	v_add_f64 v[139:140], v[139:140], v[149:150]
	s_clause 0x3
	buffer_load_dword v149, off, s[0:3], 0 offset:96
	buffer_load_dword v150, off, s[0:3], 0 offset:100
	;; [unrolled: 1-line block ×4, first 2 shown]
	ds_read_b128 v[1:4], v196 offset:1840
	s_waitcnt vmcnt(49) lgkmcnt(1)
	v_mul_f64 v[167:168], v[5:6], v[161:162]
	v_mul_f64 v[161:162], v[7:8], v[161:162]
	s_waitcnt vmcnt(48)
	v_fma_f64 v[171:172], v[135:136], v[197:198], -v[171:172]
	v_add_f64 v[141:142], v[141:142], v[155:156]
	v_fma_f64 v[155:156], v[137:138], v[197:198], v[163:164]
	v_add_f64 v[139:140], v[139:140], v[145:146]
	ds_read_b128 v[135:138], v196 offset:1856
	s_waitcnt vmcnt(47) lgkmcnt(1)
	v_mul_f64 v[163:164], v[3:4], v[185:186]
	v_mul_f64 v[145:146], v[1:2], v[185:186]
	s_waitcnt vmcnt(45)
	v_fma_f64 v[161:162], v[5:6], v[173:174], -v[161:162]
	v_fma_f64 v[167:168], v[7:8], v[173:174], v[167:168]
	ds_read_b128 v[5:8], v196 offset:1872
	v_add_f64 v[141:142], v[141:142], v[171:172]
	v_add_f64 v[139:140], v[139:140], v[155:156]
	s_waitcnt vmcnt(41) lgkmcnt(1)
	v_mul_f64 v[155:156], v[135:136], v[169:170]
	v_mul_f64 v[169:170], v[137:138], v[169:170]
	s_waitcnt vmcnt(40)
	v_fma_f64 v[163:164], v[1:2], v[191:192], -v[163:164]
	v_fma_f64 v[145:146], v[3:4], v[191:192], v[145:146]
	ds_read_b128 v[1:4], v196 offset:1888
	v_add_f64 v[141:142], v[141:142], v[161:162]
	v_add_f64 v[139:140], v[139:140], v[167:168]
	;; [unrolled: 9-line block ×3, first 2 shown]
	s_waitcnt vmcnt(33) lgkmcnt(1)
	v_mul_f64 v[155:156], v[3:4], v[175:176]
	s_waitcnt vmcnt(32)
	v_fma_f64 v[163:164], v[5:6], v[193:194], -v[167:168]
	v_mul_f64 v[145:146], v[1:2], v[175:176]
	v_fma_f64 v[161:162], v[7:8], v[193:194], v[161:162]
	ds_read_b128 v[5:8], v196 offset:1920
	v_add_f64 v[141:142], v[141:142], v[169:170]
	v_add_f64 v[139:140], v[139:140], v[143:144]
	s_waitcnt vmcnt(31) lgkmcnt(1)
	v_mul_f64 v[167:168], v[137:138], v[189:190]
	v_mul_f64 v[143:144], v[135:136], v[189:190]
	s_waitcnt vmcnt(29)
	v_fma_f64 v[155:156], v[1:2], v[181:182], -v[155:156]
	v_fma_f64 v[145:146], v[3:4], v[181:182], v[145:146]
	ds_read_b128 v[1:4], v196 offset:1936
	v_add_f64 v[141:142], v[141:142], v[163:164]
	v_add_f64 v[139:140], v[139:140], v[161:162]
	s_waitcnt vmcnt(25) lgkmcnt(1)
	v_mul_f64 v[163:164], v[7:8], v[179:180]
	s_waitcnt vmcnt(24)
	v_fma_f64 v[167:168], v[135:136], v[205:206], -v[167:168]
	v_mul_f64 v[161:162], v[5:6], v[179:180]
	v_fma_f64 v[143:144], v[137:138], v[205:206], v[143:144]
	ds_read_b128 v[135:138], v196 offset:1952
	v_add_f64 v[141:142], v[141:142], v[155:156]
	v_add_f64 v[139:140], v[139:140], v[145:146]
	s_waitcnt vmcnt(23) lgkmcnt(1)
	v_mul_f64 v[155:156], v[3:4], v[199:200]
	v_mul_f64 v[145:146], v[1:2], v[199:200]
	s_waitcnt vmcnt(21)
	v_fma_f64 v[163:164], v[5:6], v[153:154], -v[163:164]
	v_fma_f64 v[153:154], v[7:8], v[153:154], v[161:162]
	ds_read_b128 v[5:8], v196 offset:1968
	v_add_f64 v[141:142], v[141:142], v[167:168]
	v_add_f64 v[139:140], v[139:140], v[143:144]
	s_waitcnt vmcnt(17) lgkmcnt(1)
	v_mul_f64 v[143:144], v[135:136], v[147:148]
	v_mul_f64 v[147:148], v[137:138], v[147:148]
	s_waitcnt vmcnt(16)
	v_fma_f64 v[155:156], v[1:2], v[209:210], -v[155:156]
	;; [unrolled: 9-line block ×3, first 2 shown]
	v_fma_f64 v[143:144], v[137:138], v[151:152], v[143:144]
	ds_read_b128 v[135:138], v196 offset:2000
	v_add_f64 v[141:142], v[141:142], v[155:156]
	v_add_f64 v[139:140], v[139:140], v[145:146]
	s_waitcnt vmcnt(9) lgkmcnt(1)
	v_mul_f64 v[151:152], v[3:4], v[159:160]
	s_waitcnt vmcnt(8)
	v_fma_f64 v[5:6], v[5:6], v[213:214], -v[161:162]
	v_mul_f64 v[145:146], v[1:2], v[159:160]
	v_fma_f64 v[7:8], v[7:8], v[213:214], v[153:154]
	v_add_f64 v[141:142], v[141:142], v[147:148]
	v_add_f64 v[139:140], v[139:140], v[143:144]
	s_waitcnt vmcnt(7) lgkmcnt(0)
	v_mul_f64 v[147:148], v[137:138], v[201:202]
	v_mul_f64 v[143:144], v[135:136], v[201:202]
	s_waitcnt vmcnt(5)
	v_fma_f64 v[1:2], v[1:2], v[157:158], -v[151:152]
	v_fma_f64 v[3:4], v[3:4], v[157:158], v[145:146]
	v_add_f64 v[5:6], v[141:142], v[5:6]
	v_add_f64 v[7:8], v[139:140], v[7:8]
	s_waitcnt vmcnt(4)
	v_fma_f64 v[135:136], v[135:136], v[215:216], -v[147:148]
	v_add_f64 v[1:2], v[5:6], v[1:2]
	v_fma_f64 v[5:6], v[137:138], v[215:216], v[143:144]
	v_add_f64 v[3:4], v[7:8], v[3:4]
	v_add_f64 v[1:2], v[1:2], v[135:136]
	v_add_f64 v[3:4], v[3:4], v[5:6]
	s_waitcnt vmcnt(2)
	v_add_f64 v[1:2], v[149:150], -v[1:2]
	s_waitcnt vmcnt(0)
	v_add_f64 v[3:4], v[165:166], -v[3:4]
	buffer_store_dword v2, off, s[0:3], 0 offset:100
	buffer_store_dword v1, off, s[0:3], 0 offset:96
	buffer_store_dword v4, off, s[0:3], 0 offset:108
	buffer_store_dword v3, off, s[0:3], 0 offset:104
	v_cmpx_lt_u32_e32 4, v0
	s_cbranch_execz .LBB126_395
; %bb.394:
	v_mov_b32_e32 v4, s73
	s_clause 0x3
	buffer_load_dword v1, v4, s[0:3], 0 offen
	buffer_load_dword v2, v4, s[0:3], 0 offen offset:4
	buffer_load_dword v3, v4, s[0:3], 0 offen offset:8
	;; [unrolled: 1-line block ×3, first 2 shown]
	buffer_store_dword v196, off, s[0:3], 0 offset:80
	buffer_store_dword v196, off, s[0:3], 0 offset:84
	;; [unrolled: 1-line block ×4, first 2 shown]
	s_waitcnt vmcnt(0)
	ds_write_b128 v195, v[1:4]
.LBB126_395:
	s_or_b32 exec_lo, exec_lo, s4
	s_waitcnt lgkmcnt(0)
	s_waitcnt_vscnt null, 0x0
	s_barrier
	buffer_gl0_inv
	s_clause 0x37
	buffer_load_dword v143, off, s[0:3], 0 offset:104
	buffer_load_dword v144, off, s[0:3], 0 offset:108
	;; [unrolled: 1-line block ×56, first 2 shown]
	ds_read_b128 v[5:8], v196 offset:1088
	s_clause 0x2
	buffer_load_dword v192, off, s[0:3], 0 offset:332
	buffer_load_dword v194, off, s[0:3], 0 offset:308
	;; [unrolled: 1-line block ×3, first 2 shown]
	ds_read_b128 v[1:4], v196 offset:1104
	s_clause 0x4
	buffer_load_dword v204, off, s[0:3], 0 offset:348
	buffer_load_dword v205, off, s[0:3], 0 offset:360
	;; [unrolled: 1-line block ×5, first 2 shown]
	ds_read_b128 v[197:200], v196 offset:1120
	s_mov_b32 s4, exec_lo
	s_waitcnt vmcnt(62) lgkmcnt(2)
	v_mul_f64 v[201:202], v[7:8], v[143:144]
	v_mul_f64 v[143:144], v[5:6], v[143:144]
	s_waitcnt vmcnt(60) lgkmcnt(1)
	v_mul_f64 v[208:209], v[3:4], v[139:140]
	v_mul_f64 v[139:140], v[1:2], v[139:140]
	;; [unrolled: 3-line block ×3, first 2 shown]
	v_fma_f64 v[201:202], v[5:6], v[141:142], -v[201:202]
	v_fma_f64 v[141:142], v[7:8], v[141:142], v[143:144]
	s_clause 0x2
	buffer_load_dword v206, off, s[0:3], 0 offset:364
	buffer_load_dword v144, off, s[0:3], 0 offset:340
	;; [unrolled: 1-line block ×3, first 2 shown]
	s_waitcnt vmcnt(57)
	v_fma_f64 v[212:213], v[1:2], v[135:136], -v[208:209]
	ds_read_b128 v[5:8], v196 offset:1136
	v_fma_f64 v[135:136], v[3:4], v[135:136], v[139:140]
	s_waitcnt vmcnt(51)
	v_fma_f64 v[197:198], v[197:198], v[159:160], -v[137:138]
	v_fma_f64 v[159:160], v[199:200], v[159:160], v[210:211]
	v_add_f64 v[201:202], v[201:202], 0
	v_add_f64 v[139:140], v[141:142], 0
	s_clause 0x4
	buffer_load_dword v142, off, s[0:3], 0 offset:380
	buffer_load_dword v209, off, s[0:3], 0 offset:392
	;; [unrolled: 1-line block ×5, first 2 shown]
	s_waitcnt lgkmcnt(0)
	v_mul_f64 v[215:216], v[5:6], v[147:148]
	v_mul_f64 v[147:148], v[7:8], v[147:148]
	ds_read_b128 v[1:4], v196 offset:1152
	s_clause 0x2
	buffer_load_dword v210, off, s[0:3], 0 offset:396
	buffer_load_dword v200, off, s[0:3], 0 offset:372
	;; [unrolled: 1-line block ×3, first 2 shown]
	v_add_f64 v[201:202], v[201:202], v[212:213]
	v_add_f64 v[139:140], v[139:140], v[135:136]
	ds_read_b128 v[135:138], v196 offset:1168
	s_waitcnt vmcnt(58) lgkmcnt(1)
	v_mul_f64 v[211:212], v[1:2], v[151:152]
	v_mul_f64 v[151:152], v[3:4], v[151:152]
	s_waitcnt vmcnt(56)
	v_fma_f64 v[147:148], v[5:6], v[153:154], -v[147:148]
	v_fma_f64 v[153:154], v[7:8], v[153:154], v[215:216]
	s_waitcnt vmcnt(52) lgkmcnt(0)
	v_mul_f64 v[217:218], v[135:136], v[155:156]
	v_add_f64 v[197:198], v[201:202], v[197:198]
	v_add_f64 v[139:140], v[139:140], v[159:160]
	s_clause 0x4
	buffer_load_dword v160, off, s[0:3], 0 offset:412
	buffer_load_dword v201, off, s[0:3], 0 offset:424
	;; [unrolled: 1-line block ×5, first 2 shown]
	v_mul_f64 v[155:156], v[137:138], v[155:156]
	s_waitcnt vmcnt(56)
	v_fma_f64 v[151:152], v[1:2], v[145:146], -v[151:152]
	ds_read_b128 v[5:8], v196 offset:1184
	v_fma_f64 v[145:146], v[3:4], v[145:146], v[211:212]
	v_add_f64 v[147:148], v[197:198], v[147:148]
	v_add_f64 v[139:140], v[139:140], v[153:154]
	s_clause 0x2
	buffer_load_dword v202, off, s[0:3], 0 offset:428
	buffer_load_dword v154, off, s[0:3], 0 offset:404
	;; [unrolled: 1-line block ×3, first 2 shown]
	s_waitcnt vmcnt(58) lgkmcnt(0)
	v_mul_f64 v[197:198], v[5:6], v[161:162]
	v_mul_f64 v[161:162], v[7:8], v[161:162]
	s_waitcnt vmcnt(56)
	v_fma_f64 v[155:156], v[135:136], v[163:164], -v[155:156]
	ds_read_b128 v[1:4], v196 offset:1200
	v_add_f64 v[147:148], v[147:148], v[151:152]
	v_fma_f64 v[151:152], v[137:138], v[163:164], v[217:218]
	v_add_f64 v[139:140], v[139:140], v[145:146]
	s_clause 0x4
	buffer_load_dword v146, off, s[0:3], 0 offset:444
	buffer_load_dword v163, off, s[0:3], 0 offset:456
	buffer_load_dword v211, off, s[0:3], 0 offset:448
	buffer_load_dword v145, off, s[0:3], 0 offset:440
	buffer_load_dword v217, off, s[0:3], 0 offset:420
	s_waitcnt vmcnt(57) lgkmcnt(0)
	v_mul_f64 v[212:213], v[1:2], v[165:166]
	v_mul_f64 v[165:166], v[3:4], v[165:166]
	s_waitcnt vmcnt(56)
	v_fma_f64 v[161:162], v[5:6], v[149:150], -v[161:162]
	ds_read_b128 v[135:138], v196 offset:1216
	v_fma_f64 v[149:150], v[7:8], v[149:150], v[197:198]
	v_add_f64 v[147:148], v[147:148], v[155:156]
	v_add_f64 v[139:140], v[139:140], v[151:152]
	s_clause 0x2
	buffer_load_dword v164, off, s[0:3], 0 offset:460
	buffer_load_dword v152, off, s[0:3], 0 offset:436
	;; [unrolled: 1-line block ×3, first 2 shown]
	ds_read_b128 v[5:8], v196 offset:1232
	s_waitcnt vmcnt(58) lgkmcnt(1)
	v_mul_f64 v[155:156], v[135:136], v[169:170]
	v_mul_f64 v[169:170], v[137:138], v[169:170]
	s_waitcnt vmcnt(56)
	v_fma_f64 v[165:166], v[1:2], v[171:172], -v[165:166]
	v_add_f64 v[147:148], v[147:148], v[161:162]
	v_fma_f64 v[161:162], v[3:4], v[171:172], v[212:213]
	v_add_f64 v[139:140], v[139:140], v[149:150]
	s_clause 0x4
	buffer_load_dword v150, off, s[0:3], 0 offset:476
	buffer_load_dword v171, off, s[0:3], 0 offset:488
	;; [unrolled: 1-line block ×5, first 2 shown]
	s_waitcnt vmcnt(57) lgkmcnt(0)
	v_mul_f64 v[218:219], v[5:6], v[173:174]
	v_mul_f64 v[173:174], v[7:8], v[173:174]
	s_waitcnt vmcnt(56)
	v_fma_f64 v[169:170], v[135:136], v[157:158], -v[169:170]
	ds_read_b128 v[1:4], v196 offset:1248
	v_fma_f64 v[155:156], v[137:138], v[157:158], v[155:156]
	s_clause 0x2
	buffer_load_dword v172, off, s[0:3], 0 offset:492
	buffer_load_dword v158, off, s[0:3], 0 offset:468
	;; [unrolled: 1-line block ×3, first 2 shown]
	ds_read_b128 v[135:138], v196 offset:1264
	v_add_f64 v[147:148], v[147:148], v[165:166]
	v_add_f64 v[139:140], v[139:140], v[161:162]
	s_waitcnt vmcnt(58) lgkmcnt(1)
	v_mul_f64 v[165:166], v[3:4], v[177:178]
	s_waitcnt vmcnt(56)
	v_fma_f64 v[173:174], v[5:6], v[179:180], -v[173:174]
	v_mul_f64 v[161:162], v[1:2], v[177:178]
	v_add_f64 v[147:148], v[147:148], v[169:170]
	v_fma_f64 v[169:170], v[7:8], v[179:180], v[218:219]
	v_add_f64 v[139:140], v[139:140], v[155:156]
	s_clause 0x4
	buffer_load_dword v156, off, s[0:3], 0 offset:508
	buffer_load_dword v177, off, s[0:3], 0 offset:520
	;; [unrolled: 1-line block ×5, first 2 shown]
	s_waitcnt vmcnt(57) lgkmcnt(0)
	v_mul_f64 v[218:219], v[135:136], v[181:182]
	v_mul_f64 v[180:181], v[137:138], v[181:182]
	s_waitcnt vmcnt(56)
	v_fma_f64 v[165:166], v[1:2], v[167:168], -v[165:166]
	ds_read_b128 v[5:8], v196 offset:1280
	v_fma_f64 v[161:162], v[3:4], v[167:168], v[161:162]
	s_clause 0x2
	buffer_load_dword v178, off, s[0:3], 0 offset:524
	buffer_load_dword v168, off, s[0:3], 0 offset:500
	;; [unrolled: 1-line block ×3, first 2 shown]
	ds_read_b128 v[1:4], v196 offset:1296
	v_add_f64 v[147:148], v[147:148], v[173:174]
	v_add_f64 v[139:140], v[139:140], v[169:170]
	s_waitcnt vmcnt(58) lgkmcnt(1)
	v_mul_f64 v[173:174], v[7:8], v[185:186]
	s_waitcnt vmcnt(56)
	v_fma_f64 v[181:182], v[135:136], v[187:188], -v[180:181]
	v_mul_f64 v[169:170], v[5:6], v[185:186]
	v_add_f64 v[147:148], v[147:148], v[165:166]
	v_fma_f64 v[165:166], v[137:138], v[187:188], v[218:219]
	v_add_f64 v[139:140], v[139:140], v[161:162]
	s_clause 0x4
	buffer_load_dword v162, off, s[0:3], 0 offset:540
	buffer_load_dword v185, off, s[0:3], 0 offset:552
	;; [unrolled: 1-line block ×5, first 2 shown]
	s_waitcnt vmcnt(57) lgkmcnt(0)
	v_mul_f64 v[218:219], v[1:2], v[189:190]
	v_mul_f64 v[188:189], v[3:4], v[189:190]
	s_waitcnt vmcnt(56)
	v_fma_f64 v[173:174], v[5:6], v[175:176], -v[173:174]
	ds_read_b128 v[135:138], v196 offset:1312
	v_fma_f64 v[169:170], v[7:8], v[175:176], v[169:170]
	v_add_f64 v[147:148], v[147:148], v[181:182]
	v_add_f64 v[139:140], v[139:140], v[165:166]
	s_clause 0x2
	buffer_load_dword v186, off, s[0:3], 0 offset:556
	buffer_load_dword v166, off, s[0:3], 0 offset:532
	;; [unrolled: 1-line block ×3, first 2 shown]
	ds_read_b128 v[5:8], v196 offset:1328
	s_waitcnt vmcnt(58) lgkmcnt(1)
	v_mul_f64 v[181:182], v[137:138], v[191:192]
	s_waitcnt vmcnt(56)
	v_fma_f64 v[189:190], v[1:2], v[193:194], -v[188:189]
	v_mul_f64 v[175:176], v[135:136], v[191:192]
	v_add_f64 v[147:148], v[147:148], v[173:174]
	v_fma_f64 v[173:174], v[3:4], v[193:194], v[218:219]
	v_add_f64 v[139:140], v[139:140], v[169:170]
	s_clause 0x4
	buffer_load_dword v170, off, s[0:3], 0 offset:572
	buffer_load_dword v191, off, s[0:3], 0 offset:584
	;; [unrolled: 1-line block ×5, first 2 shown]
	s_waitcnt vmcnt(57) lgkmcnt(0)
	v_mul_f64 v[218:219], v[5:6], v[203:204]
	v_mul_f64 v[203:204], v[7:8], v[203:204]
	s_waitcnt vmcnt(56)
	v_fma_f64 v[181:182], v[135:136], v[183:184], -v[181:182]
	ds_read_b128 v[1:4], v196 offset:1344
	v_fma_f64 v[175:176], v[137:138], v[183:184], v[175:176]
	v_add_f64 v[147:148], v[147:148], v[189:190]
	v_add_f64 v[139:140], v[139:140], v[173:174]
	s_clause 0x2
	buffer_load_dword v192, off, s[0:3], 0 offset:588
	buffer_load_dword v174, off, s[0:3], 0 offset:564
	buffer_load_dword v173, off, s[0:3], 0 offset:560
	ds_read_b128 v[135:138], v196 offset:1360
	s_waitcnt vmcnt(58) lgkmcnt(1)
	v_mul_f64 v[189:190], v[3:4], v[205:206]
	v_mul_f64 v[183:184], v[1:2], v[205:206]
	s_waitcnt vmcnt(56)
	v_fma_f64 v[203:204], v[5:6], v[143:144], -v[203:204]
	v_fma_f64 v[143:144], v[7:8], v[143:144], v[218:219]
	v_add_f64 v[147:148], v[147:148], v[181:182]
	v_add_f64 v[139:140], v[139:140], v[175:176]
	s_clause 0x4
	buffer_load_dword v176, off, s[0:3], 0 offset:604
	buffer_load_dword v181, off, s[0:3], 0 offset:616
	;; [unrolled: 1-line block ×5, first 2 shown]
	ds_read_b128 v[5:8], v196 offset:1376
	s_waitcnt vmcnt(57) lgkmcnt(1)
	v_mul_f64 v[218:219], v[135:136], v[141:142]
	v_mul_f64 v[141:142], v[137:138], v[141:142]
	s_waitcnt vmcnt(56)
	v_fma_f64 v[189:190], v[1:2], v[207:208], -v[189:190]
	v_fma_f64 v[183:184], v[3:4], v[207:208], v[183:184]
	v_add_f64 v[147:148], v[147:148], v[203:204]
	v_add_f64 v[139:140], v[139:140], v[143:144]
	s_clause 0x2
	buffer_load_dword v182, off, s[0:3], 0 offset:620
	buffer_load_dword v144, off, s[0:3], 0 offset:596
	;; [unrolled: 1-line block ×3, first 2 shown]
	s_waitcnt vmcnt(58) lgkmcnt(0)
	v_mul_f64 v[207:208], v[7:8], v[209:210]
	ds_read_b128 v[1:4], v196 offset:1392
	v_mul_f64 v[203:204], v[5:6], v[209:210]
	s_waitcnt vmcnt(56)
	v_fma_f64 v[141:142], v[135:136], v[199:200], -v[141:142]
	v_add_f64 v[147:148], v[147:148], v[189:190]
	v_fma_f64 v[189:190], v[137:138], v[199:200], v[218:219]
	v_add_f64 v[139:140], v[139:140], v[183:184]
	s_clause 0x4
	buffer_load_dword v184, off, s[0:3], 0 offset:636
	buffer_load_dword v199, off, s[0:3], 0 offset:648
	;; [unrolled: 1-line block ×5, first 2 shown]
	ds_read_b128 v[135:138], v196 offset:1408
	s_waitcnt vmcnt(57) lgkmcnt(1)
	v_mul_f64 v[218:219], v[1:2], v[159:160]
	v_mul_f64 v[159:160], v[3:4], v[159:160]
	s_waitcnt vmcnt(56)
	v_fma_f64 v[207:208], v[5:6], v[214:215], -v[207:208]
	v_add_f64 v[141:142], v[147:148], v[141:142]
	v_fma_f64 v[147:148], v[7:8], v[214:215], v[203:204]
	v_add_f64 v[139:140], v[139:140], v[189:190]
	s_clause 0x2
	buffer_load_dword v200, off, s[0:3], 0 offset:652
	buffer_load_dword v190, off, s[0:3], 0 offset:628
	;; [unrolled: 1-line block ×3, first 2 shown]
	ds_read_b128 v[5:8], v196 offset:1424
	s_waitcnt vmcnt(58) lgkmcnt(1)
	v_mul_f64 v[203:204], v[135:136], v[201:202]
	v_mul_f64 v[201:202], v[137:138], v[201:202]
	s_waitcnt vmcnt(56)
	v_fma_f64 v[159:160], v[1:2], v[153:154], -v[159:160]
	v_fma_f64 v[153:154], v[3:4], v[153:154], v[218:219]
	v_add_f64 v[141:142], v[141:142], v[207:208]
	v_add_f64 v[139:140], v[139:140], v[147:148]
	s_clause 0x4
	buffer_load_dword v148, off, s[0:3], 0 offset:668
	buffer_load_dword v207, off, s[0:3], 0 offset:680
	;; [unrolled: 1-line block ×5, first 2 shown]
	ds_read_b128 v[1:4], v196 offset:1440
	s_waitcnt vmcnt(57) lgkmcnt(1)
	v_mul_f64 v[214:215], v[5:6], v[145:146]
	v_mul_f64 v[145:146], v[7:8], v[145:146]
	s_waitcnt vmcnt(56)
	v_fma_f64 v[201:202], v[135:136], v[216:217], -v[201:202]
	v_add_f64 v[141:142], v[141:142], v[159:160]
	v_fma_f64 v[159:160], v[137:138], v[216:217], v[203:204]
	v_add_f64 v[139:140], v[139:140], v[153:154]
	s_clause 0x2
	buffer_load_dword v208, off, s[0:3], 0 offset:684
	buffer_load_dword v154, off, s[0:3], 0 offset:660
	;; [unrolled: 1-line block ×3, first 2 shown]
	ds_read_b128 v[135:138], v196 offset:1456
	s_waitcnt vmcnt(58) lgkmcnt(1)
	v_mul_f64 v[203:204], v[1:2], v[163:164]
	v_mul_f64 v[163:164], v[3:4], v[163:164]
	s_waitcnt vmcnt(56)
	v_fma_f64 v[145:146], v[5:6], v[151:152], -v[145:146]
	v_fma_f64 v[151:152], v[7:8], v[151:152], v[214:215]
	v_add_f64 v[141:142], v[141:142], v[201:202]
	v_add_f64 v[139:140], v[139:140], v[159:160]
	s_clause 0x4
	buffer_load_dword v160, off, s[0:3], 0 offset:700
	buffer_load_dword v201, off, s[0:3], 0 offset:712
	;; [unrolled: 1-line block ×5, first 2 shown]
	ds_read_b128 v[5:8], v196 offset:1472
	s_waitcnt vmcnt(57) lgkmcnt(1)
	v_mul_f64 v[216:217], v[135:136], v[149:150]
	v_mul_f64 v[149:150], v[137:138], v[149:150]
	s_waitcnt vmcnt(56)
	v_fma_f64 v[163:164], v[1:2], v[211:212], -v[163:164]
	v_add_f64 v[141:142], v[141:142], v[145:146]
	v_fma_f64 v[145:146], v[3:4], v[211:212], v[203:204]
	v_add_f64 v[139:140], v[139:140], v[151:152]
	s_clause 0x2
	buffer_load_dword v202, off, s[0:3], 0 offset:716
	buffer_load_dword v152, off, s[0:3], 0 offset:692
	;; [unrolled: 1-line block ×3, first 2 shown]
	s_waitcnt vmcnt(58) lgkmcnt(0)
	v_mul_f64 v[203:204], v[5:6], v[171:172]
	v_mul_f64 v[171:172], v[7:8], v[171:172]
	ds_read_b128 v[1:4], v196 offset:1488
	s_waitcnt vmcnt(56)
	v_fma_f64 v[149:150], v[135:136], v[157:158], -v[149:150]
	v_fma_f64 v[157:158], v[137:138], v[157:158], v[216:217]
	v_add_f64 v[141:142], v[141:142], v[163:164]
	v_add_f64 v[139:140], v[139:140], v[145:146]
	s_clause 0x4
	buffer_load_dword v146, off, s[0:3], 0 offset:732
	buffer_load_dword v163, off, s[0:3], 0 offset:744
	;; [unrolled: 1-line block ×5, first 2 shown]
	ds_read_b128 v[135:138], v196 offset:1504
	s_waitcnt vmcnt(57) lgkmcnt(1)
	v_mul_f64 v[217:218], v[1:2], v[155:156]
	v_mul_f64 v[155:156], v[3:4], v[155:156]
	s_waitcnt vmcnt(56)
	v_fma_f64 v[171:172], v[5:6], v[197:198], -v[171:172]
	v_add_f64 v[141:142], v[141:142], v[149:150]
	v_fma_f64 v[149:150], v[7:8], v[197:198], v[203:204]
	v_add_f64 v[139:140], v[139:140], v[157:158]
	s_clause 0x2
	buffer_load_dword v164, off, s[0:3], 0 offset:748
	buffer_load_dword v158, off, s[0:3], 0 offset:724
	;; [unrolled: 1-line block ×3, first 2 shown]
	s_waitcnt vmcnt(58) lgkmcnt(0)
	v_mul_f64 v[197:198], v[135:136], v[177:178]
	v_mul_f64 v[177:178], v[137:138], v[177:178]
	ds_read_b128 v[5:8], v196 offset:1520
	s_waitcnt vmcnt(56)
	v_fma_f64 v[155:156], v[1:2], v[167:168], -v[155:156]
	v_fma_f64 v[167:168], v[3:4], v[167:168], v[217:218]
	v_add_f64 v[141:142], v[141:142], v[171:172]
	v_add_f64 v[139:140], v[139:140], v[149:150]
	s_clause 0x4
	buffer_load_dword v150, off, s[0:3], 0 offset:764
	buffer_load_dword v171, off, s[0:3], 0 offset:776
	buffer_load_dword v203, off, s[0:3], 0 offset:768
	buffer_load_dword v149, off, s[0:3], 0 offset:760
	buffer_load_dword v212, off, s[0:3], 0 offset:740
	ds_read_b128 v[1:4], v196 offset:1536
	s_waitcnt vmcnt(57) lgkmcnt(1)
	v_mul_f64 v[217:218], v[5:6], v[161:162]
	v_mul_f64 v[161:162], v[7:8], v[161:162]
	s_waitcnt vmcnt(56)
	v_fma_f64 v[177:178], v[135:136], v[179:180], -v[177:178]
	v_add_f64 v[141:142], v[141:142], v[155:156]
	v_fma_f64 v[155:156], v[137:138], v[179:180], v[197:198]
	v_add_f64 v[139:140], v[139:140], v[167:168]
	s_clause 0x2
	buffer_load_dword v172, off, s[0:3], 0 offset:780
	buffer_load_dword v168, off, s[0:3], 0 offset:756
	buffer_load_dword v167, off, s[0:3], 0 offset:752
	ds_read_b128 v[135:138], v196 offset:1552
	s_waitcnt vmcnt(58) lgkmcnt(1)
	v_mul_f64 v[179:180], v[1:2], v[185:186]
	v_mul_f64 v[185:186], v[3:4], v[185:186]
	s_waitcnt vmcnt(56)
	v_fma_f64 v[161:162], v[5:6], v[165:166], -v[161:162]
	v_fma_f64 v[165:166], v[7:8], v[165:166], v[217:218]
	v_add_f64 v[141:142], v[141:142], v[177:178]
	v_add_f64 v[139:140], v[139:140], v[155:156]
	s_clause 0x4
	buffer_load_dword v156, off, s[0:3], 0 offset:796
	buffer_load_dword v177, off, s[0:3], 0 offset:808
	buffer_load_dword v197, off, s[0:3], 0 offset:800
	buffer_load_dword v155, off, s[0:3], 0 offset:792
	buffer_load_dword v204, off, s[0:3], 0 offset:772
	ds_read_b128 v[5:8], v196 offset:1568
	s_waitcnt vmcnt(57) lgkmcnt(1)
	v_mul_f64 v[217:218], v[135:136], v[169:170]
	v_mul_f64 v[169:170], v[137:138], v[169:170]
	s_waitcnt vmcnt(56)
	v_fma_f64 v[185:186], v[1:2], v[187:188], -v[185:186]
	v_add_f64 v[141:142], v[141:142], v[161:162]
	v_fma_f64 v[161:162], v[3:4], v[187:188], v[179:180]
	v_add_f64 v[139:140], v[139:140], v[165:166]
	s_clause 0x2
	buffer_load_dword v178, off, s[0:3], 0 offset:812
	buffer_load_dword v166, off, s[0:3], 0 offset:788
	buffer_load_dword v165, off, s[0:3], 0 offset:784
	ds_read_b128 v[1:4], v196 offset:1584
	s_waitcnt vmcnt(58) lgkmcnt(1)
	v_mul_f64 v[187:188], v[7:8], v[191:192]
	v_mul_f64 v[179:180], v[5:6], v[191:192]
	;; [unrolled: 28-line block ×4, first 2 shown]
	s_waitcnt vmcnt(56)
	v_fma_f64 v[183:184], v[5:6], v[189:190], -v[183:184]
	v_add_f64 v[141:142], v[141:142], v[181:182]
	v_fma_f64 v[181:182], v[7:8], v[189:190], v[217:218]
	v_add_f64 v[139:140], v[139:140], v[175:176]
	s_clause 0x4
	buffer_load_dword v176, off, s[0:3], 0 offset:892
	buffer_load_dword v189, off, s[0:3], 0 offset:904
	;; [unrolled: 1-line block ×5, first 2 shown]
	ds_read_b128 v[5:8], v196 offset:1664
	s_waitcnt vmcnt(57) lgkmcnt(1)
	v_mul_f64 v[217:218], v[135:136], v[147:148]
	v_mul_f64 v[147:148], v[137:138], v[147:148]
	s_waitcnt vmcnt(56)
	v_fma_f64 v[199:200], v[1:2], v[209:210], -v[199:200]
	v_fma_f64 v[179:180], v[3:4], v[209:210], v[179:180]
	v_add_f64 v[141:142], v[141:142], v[183:184]
	v_add_f64 v[139:140], v[139:140], v[181:182]
	s_clause 0x2
	buffer_load_dword v190, off, s[0:3], 0 offset:908
	buffer_load_dword v182, off, s[0:3], 0 offset:884
	buffer_load_dword v181, off, s[0:3], 0 offset:880
	ds_read_b128 v[1:4], v196 offset:1680
	s_waitcnt vmcnt(58) lgkmcnt(1)
	v_mul_f64 v[183:184], v[5:6], v[207:208]
	v_mul_f64 v[207:208], v[7:8], v[207:208]
	s_waitcnt vmcnt(56)
	v_fma_f64 v[147:148], v[135:136], v[153:154], -v[147:148]
	v_fma_f64 v[153:154], v[137:138], v[153:154], v[217:218]
	v_add_f64 v[141:142], v[141:142], v[199:200]
	v_add_f64 v[139:140], v[139:140], v[179:180]
	s_clause 0x4
	buffer_load_dword v180, off, s[0:3], 0 offset:924
	buffer_load_dword v199, off, s[0:3], 0 offset:936
	buffer_load_dword v209, off, s[0:3], 0 offset:928
	buffer_load_dword v179, off, s[0:3], 0 offset:920
	buffer_load_dword v206, off, s[0:3], 0 offset:900
	ds_read_b128 v[135:138], v196 offset:1696
	s_waitcnt vmcnt(57) lgkmcnt(1)
	v_mul_f64 v[217:218], v[1:2], v[159:160]
	v_mul_f64 v[159:160], v[3:4], v[159:160]
	s_waitcnt vmcnt(56)
	v_fma_f64 v[207:208], v[5:6], v[213:214], -v[207:208]
	v_add_f64 v[141:142], v[141:142], v[147:148]
	v_fma_f64 v[147:148], v[7:8], v[213:214], v[183:184]
	v_add_f64 v[139:140], v[139:140], v[153:154]
	s_clause 0x2
	buffer_load_dword v200, off, s[0:3], 0 offset:940
	buffer_load_dword v154, off, s[0:3], 0 offset:916
	buffer_load_dword v153, off, s[0:3], 0 offset:912
	ds_read_b128 v[5:8], v196 offset:1712
	s_waitcnt vmcnt(58) lgkmcnt(1)
	v_mul_f64 v[183:184], v[135:136], v[201:202]
	v_mul_f64 v[201:202], v[137:138], v[201:202]
	s_waitcnt vmcnt(56)
	v_fma_f64 v[159:160], v[1:2], v[151:152], -v[159:160]
	v_fma_f64 v[151:152], v[3:4], v[151:152], v[217:218]
	v_add_f64 v[141:142], v[141:142], v[207:208]
	v_add_f64 v[139:140], v[139:140], v[147:148]
	s_clause 0x4
	buffer_load_dword v148, off, s[0:3], 0 offset:956
	buffer_load_dword v207, off, s[0:3], 0 offset:968
	buffer_load_dword v213, off, s[0:3], 0 offset:960
	buffer_load_dword v147, off, s[0:3], 0 offset:952
	buffer_load_dword v210, off, s[0:3], 0 offset:932
	ds_read_b128 v[1:4], v196 offset:1728
	s_waitcnt vmcnt(57) lgkmcnt(1)
	v_mul_f64 v[217:218], v[5:6], v[145:146]
	v_mul_f64 v[145:146], v[7:8], v[145:146]
	s_waitcnt vmcnt(56)
	v_fma_f64 v[201:202], v[135:136], v[215:216], -v[201:202]
	v_add_f64 v[141:142], v[141:142], v[159:160]
	v_fma_f64 v[159:160], v[137:138], v[215:216], v[183:184]
	;; [unrolled: 28-line block ×3, first 2 shown]
	v_add_f64 v[139:140], v[139:140], v[157:158]
	s_clause 0x2
	buffer_load_dword v202, off, s[0:3], 0 offset:1004
	buffer_load_dword v158, off, s[0:3], 0 offset:980
	;; [unrolled: 1-line block ×3, first 2 shown]
	ds_read_b128 v[1:4], v196 offset:1776
	s_waitcnt vmcnt(58) lgkmcnt(1)
	v_mul_f64 v[183:184], v[5:6], v[171:172]
	v_mul_f64 v[171:172], v[7:8], v[171:172]
	s_waitcnt vmcnt(56)
	v_fma_f64 v[149:150], v[135:136], v[167:168], -v[149:150]
	v_add_f64 v[141:142], v[141:142], v[163:164]
	v_fma_f64 v[163:164], v[137:138], v[167:168], v[216:217]
	v_add_f64 v[139:140], v[139:140], v[145:146]
	s_clause 0x2
	buffer_load_dword v146, off, s[0:3], 0 offset:1020
	buffer_load_dword v145, off, s[0:3], 0 offset:1016
	buffer_load_dword v216, off, s[0:3], 0 offset:996
	ds_read_b128 v[135:138], v196 offset:1792
	s_waitcnt vmcnt(55) lgkmcnt(1)
	v_mul_f64 v[167:168], v[1:2], v[155:156]
	v_mul_f64 v[155:156], v[3:4], v[155:156]
	s_waitcnt vmcnt(54)
	v_fma_f64 v[171:172], v[5:6], v[203:204], -v[171:172]
	v_add_f64 v[141:142], v[141:142], v[149:150]
	v_fma_f64 v[149:150], v[7:8], v[203:204], v[183:184]
	v_add_f64 v[139:140], v[139:140], v[163:164]
	s_clause 0x1
	buffer_load_dword v164, off, s[0:3], 0 offset:1012
	buffer_load_dword v163, off, s[0:3], 0 offset:1008
	ds_read_b128 v[5:8], v196 offset:1808
	s_waitcnt vmcnt(55) lgkmcnt(1)
	v_mul_f64 v[183:184], v[135:136], v[177:178]
	v_mul_f64 v[177:178], v[137:138], v[177:178]
	s_waitcnt vmcnt(53)
	v_fma_f64 v[155:156], v[1:2], v[165:166], -v[155:156]
	v_fma_f64 v[165:166], v[3:4], v[165:166], v[167:168]
	ds_read_b128 v[1:4], v196 offset:1824
	v_add_f64 v[141:142], v[141:142], v[171:172]
	v_add_f64 v[139:140], v[139:140], v[149:150]
	s_waitcnt vmcnt(49) lgkmcnt(1)
	v_mul_f64 v[149:150], v[5:6], v[161:162]
	v_mul_f64 v[161:162], v[7:8], v[161:162]
	s_waitcnt vmcnt(48)
	v_fma_f64 v[167:168], v[135:136], v[197:198], -v[177:178]
	v_add_f64 v[141:142], v[141:142], v[155:156]
	v_fma_f64 v[155:156], v[137:138], v[197:198], v[183:184]
	v_add_f64 v[139:140], v[139:140], v[165:166]
	s_clause 0x3
	buffer_load_dword v165, off, s[0:3], 0 offset:80
	buffer_load_dword v166, off, s[0:3], 0 offset:84
	buffer_load_dword v171, off, s[0:3], 0 offset:88
	buffer_load_dword v172, off, s[0:3], 0 offset:92
	ds_read_b128 v[135:138], v196 offset:1840
	s_waitcnt vmcnt(51) lgkmcnt(1)
	v_mul_f64 v[183:184], v[3:4], v[185:186]
	v_mul_f64 v[177:178], v[1:2], v[185:186]
	s_waitcnt vmcnt(49)
	v_fma_f64 v[161:162], v[5:6], v[173:174], -v[161:162]
	v_fma_f64 v[149:150], v[7:8], v[173:174], v[149:150]
	ds_read_b128 v[5:8], v196 offset:1856
	v_add_f64 v[141:142], v[141:142], v[167:168]
	v_add_f64 v[139:140], v[139:140], v[155:156]
	s_waitcnt vmcnt(45) lgkmcnt(1)
	v_mul_f64 v[155:156], v[135:136], v[169:170]
	v_mul_f64 v[167:168], v[137:138], v[169:170]
	s_waitcnt vmcnt(44)
	v_fma_f64 v[169:170], v[1:2], v[191:192], -v[183:184]
	v_add_f64 v[141:142], v[141:142], v[161:162]
	v_fma_f64 v[161:162], v[3:4], v[191:192], v[177:178]
	v_add_f64 v[139:140], v[139:140], v[149:150]
	ds_read_b128 v[1:4], v196 offset:1872
	s_waitcnt vmcnt(43) lgkmcnt(1)
	v_mul_f64 v[173:174], v[7:8], v[187:188]
	v_mul_f64 v[149:150], v[5:6], v[187:188]
	s_waitcnt vmcnt(41)
	v_fma_f64 v[167:168], v[135:136], v[143:144], -v[167:168]
	v_fma_f64 v[143:144], v[137:138], v[143:144], v[155:156]
	ds_read_b128 v[135:138], v196 offset:1888
	v_add_f64 v[141:142], v[141:142], v[169:170]
	v_add_f64 v[139:140], v[139:140], v[161:162]
	s_waitcnt vmcnt(37) lgkmcnt(1)
	v_mul_f64 v[161:162], v[3:4], v[175:176]
	s_waitcnt vmcnt(36)
	v_fma_f64 v[169:170], v[5:6], v[193:194], -v[173:174]
	v_mul_f64 v[155:156], v[1:2], v[175:176]
	v_fma_f64 v[149:150], v[7:8], v[193:194], v[149:150]
	ds_read_b128 v[5:8], v196 offset:1904
	v_add_f64 v[141:142], v[141:142], v[167:168]
	v_add_f64 v[139:140], v[139:140], v[143:144]
	s_waitcnt vmcnt(35) lgkmcnt(1)
	v_mul_f64 v[167:168], v[137:138], v[189:190]
	v_mul_f64 v[143:144], v[135:136], v[189:190]
	s_waitcnt vmcnt(33)
	v_fma_f64 v[161:162], v[1:2], v[181:182], -v[161:162]
	v_fma_f64 v[155:156], v[3:4], v[181:182], v[155:156]
	ds_read_b128 v[1:4], v196 offset:1920
	v_add_f64 v[141:142], v[141:142], v[169:170]
	v_add_f64 v[139:140], v[139:140], v[149:150]
	s_waitcnt vmcnt(29) lgkmcnt(1)
	v_mul_f64 v[169:170], v[7:8], v[179:180]
	s_waitcnt vmcnt(28)
	v_fma_f64 v[167:168], v[135:136], v[205:206], -v[167:168]
	v_mul_f64 v[149:150], v[5:6], v[179:180]
	v_fma_f64 v[143:144], v[137:138], v[205:206], v[143:144]
	ds_read_b128 v[135:138], v196 offset:1936
	v_add_f64 v[141:142], v[141:142], v[161:162]
	v_add_f64 v[139:140], v[139:140], v[155:156]
	s_waitcnt vmcnt(27) lgkmcnt(1)
	v_mul_f64 v[161:162], v[3:4], v[199:200]
	v_mul_f64 v[155:156], v[1:2], v[199:200]
	s_waitcnt vmcnt(25)
	v_fma_f64 v[169:170], v[5:6], v[153:154], -v[169:170]
	v_fma_f64 v[149:150], v[7:8], v[153:154], v[149:150]
	ds_read_b128 v[5:8], v196 offset:1952
	v_add_f64 v[141:142], v[141:142], v[167:168]
	v_add_f64 v[139:140], v[139:140], v[143:144]
	s_waitcnt vmcnt(21) lgkmcnt(1)
	v_mul_f64 v[143:144], v[135:136], v[147:148]
	v_mul_f64 v[147:148], v[137:138], v[147:148]
	s_waitcnt vmcnt(20)
	v_fma_f64 v[153:154], v[1:2], v[209:210], -v[161:162]
	;; [unrolled: 9-line block ×3, first 2 shown]
	v_fma_f64 v[143:144], v[137:138], v[151:152], v[143:144]
	ds_read_b128 v[135:138], v196 offset:1984
	v_add_f64 v[141:142], v[141:142], v[153:154]
	v_add_f64 v[139:140], v[139:140], v[155:156]
	s_waitcnt vmcnt(13) lgkmcnt(1)
	v_mul_f64 v[153:154], v[3:4], v[159:160]
	s_waitcnt vmcnt(12)
	v_fma_f64 v[155:156], v[5:6], v[213:214], -v[161:162]
	v_mul_f64 v[151:152], v[1:2], v[159:160]
	v_add_f64 v[141:142], v[141:142], v[147:148]
	v_fma_f64 v[147:148], v[7:8], v[213:214], v[149:150]
	v_add_f64 v[139:140], v[139:140], v[143:144]
	ds_read_b128 v[5:8], v196 offset:2000
	s_waitcnt vmcnt(11) lgkmcnt(1)
	v_mul_f64 v[149:150], v[137:138], v[201:202]
	v_mul_f64 v[143:144], v[135:136], v[201:202]
	s_waitcnt vmcnt(9)
	v_fma_f64 v[1:2], v[1:2], v[157:158], -v[153:154]
	v_fma_f64 v[3:4], v[3:4], v[157:158], v[151:152]
	v_add_f64 v[141:142], v[141:142], v[155:156]
	v_add_f64 v[139:140], v[139:140], v[147:148]
	s_waitcnt vmcnt(7) lgkmcnt(0)
	v_mul_f64 v[147:148], v[5:6], v[145:146]
	v_mul_f64 v[145:146], v[7:8], v[145:146]
	s_waitcnt vmcnt(6)
	v_fma_f64 v[135:136], v[135:136], v[215:216], -v[149:150]
	v_fma_f64 v[137:138], v[137:138], v[215:216], v[143:144]
	v_add_f64 v[1:2], v[141:142], v[1:2]
	v_add_f64 v[3:4], v[139:140], v[3:4]
	s_waitcnt vmcnt(4)
	v_fma_f64 v[5:6], v[5:6], v[163:164], -v[145:146]
	v_fma_f64 v[7:8], v[7:8], v[163:164], v[147:148]
	v_add_f64 v[1:2], v[1:2], v[135:136]
	v_add_f64 v[3:4], v[3:4], v[137:138]
	;; [unrolled: 1-line block ×4, first 2 shown]
	s_waitcnt vmcnt(2)
	v_add_f64 v[1:2], v[165:166], -v[1:2]
	s_waitcnt vmcnt(0)
	v_add_f64 v[3:4], v[171:172], -v[3:4]
	buffer_store_dword v2, off, s[0:3], 0 offset:84
	buffer_store_dword v1, off, s[0:3], 0 offset:80
	;; [unrolled: 1-line block ×4, first 2 shown]
	v_cmpx_lt_u32_e32 3, v0
	s_cbranch_execz .LBB126_397
; %bb.396:
	v_mov_b32_e32 v4, s74
	v_mov_b32_e32 v5, 0
	s_clause 0x3
	buffer_load_dword v1, v4, s[0:3], 0 offen
	buffer_load_dword v2, v4, s[0:3], 0 offen offset:4
	buffer_load_dword v3, v4, s[0:3], 0 offen offset:8
	;; [unrolled: 1-line block ×3, first 2 shown]
	buffer_store_dword v5, off, s[0:3], 0 offset:64
	buffer_store_dword v5, off, s[0:3], 0 offset:68
	buffer_store_dword v5, off, s[0:3], 0 offset:72
	buffer_store_dword v5, off, s[0:3], 0 offset:76
	s_waitcnt vmcnt(0)
	ds_write_b128 v195, v[1:4]
.LBB126_397:
	s_or_b32 exec_lo, exec_lo, s4
	s_waitcnt lgkmcnt(0)
	s_waitcnt_vscnt null, 0x0
	s_barrier
	buffer_gl0_inv
	s_clause 0x37
	buffer_load_dword v143, off, s[0:3], 0 offset:88
	buffer_load_dword v144, off, s[0:3], 0 offset:92
	buffer_load_dword v139, off, s[0:3], 0 offset:104
	buffer_load_dword v140, off, s[0:3], 0 offset:108
	buffer_load_dword v141, off, s[0:3], 0 offset:80
	buffer_load_dword v142, off, s[0:3], 0 offset:84
	buffer_load_dword v137, off, s[0:3], 0 offset:120
	buffer_load_dword v138, off, s[0:3], 0 offset:124
	buffer_load_dword v135, off, s[0:3], 0 offset:96
	buffer_load_dword v136, off, s[0:3], 0 offset:100
	buffer_load_dword v148, off, s[0:3], 0 offset:140
	buffer_load_dword v151, off, s[0:3], 0 offset:152
	buffer_load_dword v145, off, s[0:3], 0 offset:144
	buffer_load_dword v147, off, s[0:3], 0 offset:136
	buffer_load_dword v159, off, s[0:3], 0 offset:112
	buffer_load_dword v160, off, s[0:3], 0 offset:116
	buffer_load_dword v152, off, s[0:3], 0 offset:156
	buffer_load_dword v154, off, s[0:3], 0 offset:132
	buffer_load_dword v153, off, s[0:3], 0 offset:128
	buffer_load_dword v156, off, s[0:3], 0 offset:172
	buffer_load_dword v161, off, s[0:3], 0 offset:184
	buffer_load_dword v149, off, s[0:3], 0 offset:176
	buffer_load_dword v155, off, s[0:3], 0 offset:168
	buffer_load_dword v146, off, s[0:3], 0 offset:148
	buffer_load_dword v162, off, s[0:3], 0 offset:188
	buffer_load_dword v164, off, s[0:3], 0 offset:164
	buffer_load_dword v163, off, s[0:3], 0 offset:160
	buffer_load_dword v166, off, s[0:3], 0 offset:204
	buffer_load_dword v169, off, s[0:3], 0 offset:216
	buffer_load_dword v157, off, s[0:3], 0 offset:208
	buffer_load_dword v165, off, s[0:3], 0 offset:200
	buffer_load_dword v150, off, s[0:3], 0 offset:180
	buffer_load_dword v170, off, s[0:3], 0 offset:220
	buffer_load_dword v172, off, s[0:3], 0 offset:196
	buffer_load_dword v171, off, s[0:3], 0 offset:192
	buffer_load_dword v174, off, s[0:3], 0 offset:236
	buffer_load_dword v177, off, s[0:3], 0 offset:248
	buffer_load_dword v167, off, s[0:3], 0 offset:240
	buffer_load_dword v173, off, s[0:3], 0 offset:232
	buffer_load_dword v158, off, s[0:3], 0 offset:212
	buffer_load_dword v178, off, s[0:3], 0 offset:252
	buffer_load_dword v180, off, s[0:3], 0 offset:228
	buffer_load_dword v179, off, s[0:3], 0 offset:224
	buffer_load_dword v182, off, s[0:3], 0 offset:268
	buffer_load_dword v185, off, s[0:3], 0 offset:280
	buffer_load_dword v175, off, s[0:3], 0 offset:272
	buffer_load_dword v181, off, s[0:3], 0 offset:264
	buffer_load_dword v168, off, s[0:3], 0 offset:244
	buffer_load_dword v186, off, s[0:3], 0 offset:284
	buffer_load_dword v188, off, s[0:3], 0 offset:260
	buffer_load_dword v187, off, s[0:3], 0 offset:256
	buffer_load_dword v190, off, s[0:3], 0 offset:300
	buffer_load_dword v191, off, s[0:3], 0 offset:312
	buffer_load_dword v183, off, s[0:3], 0 offset:304
	buffer_load_dword v189, off, s[0:3], 0 offset:296
	buffer_load_dword v176, off, s[0:3], 0 offset:276
	v_mov_b32_e32 v196, 0
	s_mov_b32 s4, exec_lo
	ds_read_b128 v[5:8], v196 offset:1072
	s_clause 0x2
	buffer_load_dword v192, off, s[0:3], 0 offset:316
	buffer_load_dword v194, off, s[0:3], 0 offset:292
	;; [unrolled: 1-line block ×3, first 2 shown]
	ds_read_b128 v[1:4], v196 offset:1088
	s_clause 0x4
	buffer_load_dword v204, off, s[0:3], 0 offset:332
	buffer_load_dword v205, off, s[0:3], 0 offset:344
	;; [unrolled: 1-line block ×5, first 2 shown]
	ds_read_b128 v[197:200], v196 offset:1104
	s_waitcnt vmcnt(62) lgkmcnt(2)
	v_mul_f64 v[201:202], v[7:8], v[143:144]
	v_mul_f64 v[143:144], v[5:6], v[143:144]
	s_waitcnt vmcnt(60) lgkmcnt(1)
	v_mul_f64 v[208:209], v[3:4], v[139:140]
	v_mul_f64 v[139:140], v[1:2], v[139:140]
	;; [unrolled: 3-line block ×3, first 2 shown]
	v_fma_f64 v[201:202], v[5:6], v[141:142], -v[201:202]
	v_fma_f64 v[141:142], v[7:8], v[141:142], v[143:144]
	s_clause 0x2
	buffer_load_dword v206, off, s[0:3], 0 offset:348
	buffer_load_dword v144, off, s[0:3], 0 offset:324
	;; [unrolled: 1-line block ×3, first 2 shown]
	s_waitcnt vmcnt(57)
	v_fma_f64 v[212:213], v[1:2], v[135:136], -v[208:209]
	ds_read_b128 v[5:8], v196 offset:1120
	v_fma_f64 v[135:136], v[3:4], v[135:136], v[139:140]
	s_waitcnt vmcnt(51)
	v_fma_f64 v[197:198], v[197:198], v[159:160], -v[137:138]
	v_fma_f64 v[159:160], v[199:200], v[159:160], v[210:211]
	v_add_f64 v[201:202], v[201:202], 0
	v_add_f64 v[139:140], v[141:142], 0
	s_clause 0x4
	buffer_load_dword v142, off, s[0:3], 0 offset:364
	buffer_load_dword v209, off, s[0:3], 0 offset:376
	;; [unrolled: 1-line block ×5, first 2 shown]
	s_waitcnt lgkmcnt(0)
	v_mul_f64 v[215:216], v[5:6], v[147:148]
	v_mul_f64 v[147:148], v[7:8], v[147:148]
	ds_read_b128 v[1:4], v196 offset:1136
	s_clause 0x2
	buffer_load_dword v210, off, s[0:3], 0 offset:380
	buffer_load_dword v200, off, s[0:3], 0 offset:356
	;; [unrolled: 1-line block ×3, first 2 shown]
	v_add_f64 v[201:202], v[201:202], v[212:213]
	v_add_f64 v[139:140], v[139:140], v[135:136]
	ds_read_b128 v[135:138], v196 offset:1152
	s_waitcnt vmcnt(58) lgkmcnt(1)
	v_mul_f64 v[211:212], v[1:2], v[151:152]
	v_mul_f64 v[151:152], v[3:4], v[151:152]
	s_waitcnt vmcnt(56)
	v_fma_f64 v[147:148], v[5:6], v[153:154], -v[147:148]
	v_fma_f64 v[153:154], v[7:8], v[153:154], v[215:216]
	s_waitcnt vmcnt(52) lgkmcnt(0)
	v_mul_f64 v[217:218], v[135:136], v[155:156]
	v_add_f64 v[197:198], v[201:202], v[197:198]
	v_add_f64 v[139:140], v[139:140], v[159:160]
	s_clause 0x4
	buffer_load_dword v160, off, s[0:3], 0 offset:396
	buffer_load_dword v201, off, s[0:3], 0 offset:408
	;; [unrolled: 1-line block ×5, first 2 shown]
	v_mul_f64 v[155:156], v[137:138], v[155:156]
	s_waitcnt vmcnt(56)
	v_fma_f64 v[151:152], v[1:2], v[145:146], -v[151:152]
	ds_read_b128 v[5:8], v196 offset:1168
	v_fma_f64 v[145:146], v[3:4], v[145:146], v[211:212]
	v_add_f64 v[147:148], v[197:198], v[147:148]
	v_add_f64 v[139:140], v[139:140], v[153:154]
	s_clause 0x2
	buffer_load_dword v202, off, s[0:3], 0 offset:412
	buffer_load_dword v154, off, s[0:3], 0 offset:388
	;; [unrolled: 1-line block ×3, first 2 shown]
	s_waitcnt vmcnt(58) lgkmcnt(0)
	v_mul_f64 v[197:198], v[5:6], v[161:162]
	v_mul_f64 v[161:162], v[7:8], v[161:162]
	s_waitcnt vmcnt(56)
	v_fma_f64 v[155:156], v[135:136], v[163:164], -v[155:156]
	ds_read_b128 v[1:4], v196 offset:1184
	v_add_f64 v[147:148], v[147:148], v[151:152]
	v_fma_f64 v[151:152], v[137:138], v[163:164], v[217:218]
	v_add_f64 v[139:140], v[139:140], v[145:146]
	s_clause 0x4
	buffer_load_dword v146, off, s[0:3], 0 offset:428
	buffer_load_dword v163, off, s[0:3], 0 offset:440
	;; [unrolled: 1-line block ×5, first 2 shown]
	s_waitcnt vmcnt(57) lgkmcnt(0)
	v_mul_f64 v[212:213], v[1:2], v[165:166]
	v_mul_f64 v[165:166], v[3:4], v[165:166]
	s_waitcnt vmcnt(56)
	v_fma_f64 v[161:162], v[5:6], v[149:150], -v[161:162]
	ds_read_b128 v[135:138], v196 offset:1200
	v_fma_f64 v[149:150], v[7:8], v[149:150], v[197:198]
	v_add_f64 v[147:148], v[147:148], v[155:156]
	v_add_f64 v[139:140], v[139:140], v[151:152]
	s_clause 0x2
	buffer_load_dword v164, off, s[0:3], 0 offset:444
	buffer_load_dword v152, off, s[0:3], 0 offset:420
	;; [unrolled: 1-line block ×3, first 2 shown]
	ds_read_b128 v[5:8], v196 offset:1216
	s_waitcnt vmcnt(58) lgkmcnt(1)
	v_mul_f64 v[155:156], v[135:136], v[169:170]
	v_mul_f64 v[169:170], v[137:138], v[169:170]
	s_waitcnt vmcnt(56)
	v_fma_f64 v[165:166], v[1:2], v[171:172], -v[165:166]
	v_add_f64 v[147:148], v[147:148], v[161:162]
	v_fma_f64 v[161:162], v[3:4], v[171:172], v[212:213]
	v_add_f64 v[139:140], v[139:140], v[149:150]
	s_clause 0x4
	buffer_load_dword v150, off, s[0:3], 0 offset:460
	buffer_load_dword v171, off, s[0:3], 0 offset:472
	;; [unrolled: 1-line block ×5, first 2 shown]
	s_waitcnt vmcnt(57) lgkmcnt(0)
	v_mul_f64 v[218:219], v[5:6], v[173:174]
	v_mul_f64 v[173:174], v[7:8], v[173:174]
	s_waitcnt vmcnt(56)
	v_fma_f64 v[169:170], v[135:136], v[157:158], -v[169:170]
	ds_read_b128 v[1:4], v196 offset:1232
	v_fma_f64 v[155:156], v[137:138], v[157:158], v[155:156]
	s_clause 0x2
	buffer_load_dword v172, off, s[0:3], 0 offset:476
	buffer_load_dword v158, off, s[0:3], 0 offset:452
	;; [unrolled: 1-line block ×3, first 2 shown]
	ds_read_b128 v[135:138], v196 offset:1248
	v_add_f64 v[147:148], v[147:148], v[165:166]
	v_add_f64 v[139:140], v[139:140], v[161:162]
	s_waitcnt vmcnt(58) lgkmcnt(1)
	v_mul_f64 v[165:166], v[3:4], v[177:178]
	s_waitcnt vmcnt(56)
	v_fma_f64 v[173:174], v[5:6], v[179:180], -v[173:174]
	v_mul_f64 v[161:162], v[1:2], v[177:178]
	v_add_f64 v[147:148], v[147:148], v[169:170]
	v_fma_f64 v[169:170], v[7:8], v[179:180], v[218:219]
	v_add_f64 v[139:140], v[139:140], v[155:156]
	s_clause 0x4
	buffer_load_dword v156, off, s[0:3], 0 offset:492
	buffer_load_dword v177, off, s[0:3], 0 offset:504
	;; [unrolled: 1-line block ×5, first 2 shown]
	s_waitcnt vmcnt(57) lgkmcnt(0)
	v_mul_f64 v[218:219], v[135:136], v[181:182]
	v_mul_f64 v[180:181], v[137:138], v[181:182]
	s_waitcnt vmcnt(56)
	v_fma_f64 v[165:166], v[1:2], v[167:168], -v[165:166]
	ds_read_b128 v[5:8], v196 offset:1264
	v_fma_f64 v[161:162], v[3:4], v[167:168], v[161:162]
	s_clause 0x2
	buffer_load_dword v178, off, s[0:3], 0 offset:508
	buffer_load_dword v168, off, s[0:3], 0 offset:484
	;; [unrolled: 1-line block ×3, first 2 shown]
	ds_read_b128 v[1:4], v196 offset:1280
	v_add_f64 v[147:148], v[147:148], v[173:174]
	v_add_f64 v[139:140], v[139:140], v[169:170]
	s_waitcnt vmcnt(58) lgkmcnt(1)
	v_mul_f64 v[173:174], v[7:8], v[185:186]
	s_waitcnt vmcnt(56)
	v_fma_f64 v[181:182], v[135:136], v[187:188], -v[180:181]
	v_mul_f64 v[169:170], v[5:6], v[185:186]
	v_add_f64 v[147:148], v[147:148], v[165:166]
	v_fma_f64 v[165:166], v[137:138], v[187:188], v[218:219]
	v_add_f64 v[139:140], v[139:140], v[161:162]
	s_clause 0x4
	buffer_load_dword v162, off, s[0:3], 0 offset:524
	buffer_load_dword v185, off, s[0:3], 0 offset:536
	;; [unrolled: 1-line block ×5, first 2 shown]
	s_waitcnt vmcnt(57) lgkmcnt(0)
	v_mul_f64 v[218:219], v[1:2], v[189:190]
	v_mul_f64 v[188:189], v[3:4], v[189:190]
	s_waitcnt vmcnt(56)
	v_fma_f64 v[173:174], v[5:6], v[175:176], -v[173:174]
	ds_read_b128 v[135:138], v196 offset:1296
	v_fma_f64 v[169:170], v[7:8], v[175:176], v[169:170]
	v_add_f64 v[147:148], v[147:148], v[181:182]
	v_add_f64 v[139:140], v[139:140], v[165:166]
	s_clause 0x2
	buffer_load_dword v186, off, s[0:3], 0 offset:540
	buffer_load_dword v166, off, s[0:3], 0 offset:516
	;; [unrolled: 1-line block ×3, first 2 shown]
	ds_read_b128 v[5:8], v196 offset:1312
	s_waitcnt vmcnt(58) lgkmcnt(1)
	v_mul_f64 v[181:182], v[137:138], v[191:192]
	s_waitcnt vmcnt(56)
	v_fma_f64 v[189:190], v[1:2], v[193:194], -v[188:189]
	v_mul_f64 v[175:176], v[135:136], v[191:192]
	v_add_f64 v[147:148], v[147:148], v[173:174]
	v_fma_f64 v[173:174], v[3:4], v[193:194], v[218:219]
	v_add_f64 v[139:140], v[139:140], v[169:170]
	s_clause 0x4
	buffer_load_dword v170, off, s[0:3], 0 offset:556
	buffer_load_dword v191, off, s[0:3], 0 offset:568
	;; [unrolled: 1-line block ×5, first 2 shown]
	s_waitcnt vmcnt(57) lgkmcnt(0)
	v_mul_f64 v[218:219], v[5:6], v[203:204]
	v_mul_f64 v[203:204], v[7:8], v[203:204]
	s_waitcnt vmcnt(56)
	v_fma_f64 v[181:182], v[135:136], v[183:184], -v[181:182]
	ds_read_b128 v[1:4], v196 offset:1328
	v_fma_f64 v[175:176], v[137:138], v[183:184], v[175:176]
	v_add_f64 v[147:148], v[147:148], v[189:190]
	v_add_f64 v[139:140], v[139:140], v[173:174]
	s_clause 0x2
	buffer_load_dword v192, off, s[0:3], 0 offset:572
	buffer_load_dword v174, off, s[0:3], 0 offset:548
	;; [unrolled: 1-line block ×3, first 2 shown]
	ds_read_b128 v[135:138], v196 offset:1344
	s_waitcnt vmcnt(58) lgkmcnt(1)
	v_mul_f64 v[189:190], v[3:4], v[205:206]
	v_mul_f64 v[183:184], v[1:2], v[205:206]
	s_waitcnt vmcnt(56)
	v_fma_f64 v[203:204], v[5:6], v[143:144], -v[203:204]
	v_fma_f64 v[143:144], v[7:8], v[143:144], v[218:219]
	v_add_f64 v[147:148], v[147:148], v[181:182]
	v_add_f64 v[139:140], v[139:140], v[175:176]
	s_clause 0x4
	buffer_load_dword v176, off, s[0:3], 0 offset:588
	buffer_load_dword v181, off, s[0:3], 0 offset:600
	;; [unrolled: 1-line block ×5, first 2 shown]
	ds_read_b128 v[5:8], v196 offset:1360
	s_waitcnt vmcnt(57) lgkmcnt(1)
	v_mul_f64 v[218:219], v[135:136], v[141:142]
	v_mul_f64 v[141:142], v[137:138], v[141:142]
	s_waitcnt vmcnt(56)
	v_fma_f64 v[189:190], v[1:2], v[207:208], -v[189:190]
	v_fma_f64 v[183:184], v[3:4], v[207:208], v[183:184]
	v_add_f64 v[147:148], v[147:148], v[203:204]
	v_add_f64 v[139:140], v[139:140], v[143:144]
	s_clause 0x2
	buffer_load_dword v182, off, s[0:3], 0 offset:604
	buffer_load_dword v144, off, s[0:3], 0 offset:580
	;; [unrolled: 1-line block ×3, first 2 shown]
	s_waitcnt vmcnt(58) lgkmcnt(0)
	v_mul_f64 v[207:208], v[7:8], v[209:210]
	ds_read_b128 v[1:4], v196 offset:1376
	v_mul_f64 v[203:204], v[5:6], v[209:210]
	s_waitcnt vmcnt(56)
	v_fma_f64 v[141:142], v[135:136], v[199:200], -v[141:142]
	v_add_f64 v[147:148], v[147:148], v[189:190]
	v_fma_f64 v[189:190], v[137:138], v[199:200], v[218:219]
	v_add_f64 v[139:140], v[139:140], v[183:184]
	s_clause 0x4
	buffer_load_dword v184, off, s[0:3], 0 offset:620
	buffer_load_dword v199, off, s[0:3], 0 offset:632
	;; [unrolled: 1-line block ×5, first 2 shown]
	ds_read_b128 v[135:138], v196 offset:1392
	s_waitcnt vmcnt(57) lgkmcnt(1)
	v_mul_f64 v[218:219], v[1:2], v[159:160]
	v_mul_f64 v[159:160], v[3:4], v[159:160]
	s_waitcnt vmcnt(56)
	v_fma_f64 v[207:208], v[5:6], v[214:215], -v[207:208]
	v_add_f64 v[141:142], v[147:148], v[141:142]
	v_fma_f64 v[147:148], v[7:8], v[214:215], v[203:204]
	v_add_f64 v[139:140], v[139:140], v[189:190]
	s_clause 0x2
	buffer_load_dword v200, off, s[0:3], 0 offset:636
	buffer_load_dword v190, off, s[0:3], 0 offset:612
	buffer_load_dword v189, off, s[0:3], 0 offset:608
	ds_read_b128 v[5:8], v196 offset:1408
	s_waitcnt vmcnt(58) lgkmcnt(1)
	v_mul_f64 v[203:204], v[135:136], v[201:202]
	v_mul_f64 v[201:202], v[137:138], v[201:202]
	s_waitcnt vmcnt(56)
	v_fma_f64 v[159:160], v[1:2], v[153:154], -v[159:160]
	v_fma_f64 v[153:154], v[3:4], v[153:154], v[218:219]
	v_add_f64 v[141:142], v[141:142], v[207:208]
	v_add_f64 v[139:140], v[139:140], v[147:148]
	s_clause 0x4
	buffer_load_dword v148, off, s[0:3], 0 offset:652
	buffer_load_dword v207, off, s[0:3], 0 offset:664
	;; [unrolled: 1-line block ×5, first 2 shown]
	ds_read_b128 v[1:4], v196 offset:1424
	s_waitcnt vmcnt(57) lgkmcnt(1)
	v_mul_f64 v[214:215], v[5:6], v[145:146]
	v_mul_f64 v[145:146], v[7:8], v[145:146]
	s_waitcnt vmcnt(56)
	v_fma_f64 v[201:202], v[135:136], v[216:217], -v[201:202]
	v_add_f64 v[141:142], v[141:142], v[159:160]
	v_fma_f64 v[159:160], v[137:138], v[216:217], v[203:204]
	v_add_f64 v[139:140], v[139:140], v[153:154]
	s_clause 0x2
	buffer_load_dword v208, off, s[0:3], 0 offset:668
	buffer_load_dword v154, off, s[0:3], 0 offset:644
	;; [unrolled: 1-line block ×3, first 2 shown]
	ds_read_b128 v[135:138], v196 offset:1440
	s_waitcnt vmcnt(58) lgkmcnt(1)
	v_mul_f64 v[203:204], v[1:2], v[163:164]
	v_mul_f64 v[163:164], v[3:4], v[163:164]
	s_waitcnt vmcnt(56)
	v_fma_f64 v[145:146], v[5:6], v[151:152], -v[145:146]
	v_fma_f64 v[151:152], v[7:8], v[151:152], v[214:215]
	v_add_f64 v[141:142], v[141:142], v[201:202]
	v_add_f64 v[139:140], v[139:140], v[159:160]
	s_clause 0x4
	buffer_load_dword v160, off, s[0:3], 0 offset:684
	buffer_load_dword v201, off, s[0:3], 0 offset:696
	buffer_load_dword v215, off, s[0:3], 0 offset:688
	buffer_load_dword v159, off, s[0:3], 0 offset:680
	buffer_load_dword v214, off, s[0:3], 0 offset:660
	ds_read_b128 v[5:8], v196 offset:1456
	s_waitcnt vmcnt(57) lgkmcnt(1)
	v_mul_f64 v[216:217], v[135:136], v[149:150]
	v_mul_f64 v[149:150], v[137:138], v[149:150]
	s_waitcnt vmcnt(56)
	v_fma_f64 v[163:164], v[1:2], v[211:212], -v[163:164]
	v_add_f64 v[141:142], v[141:142], v[145:146]
	v_fma_f64 v[145:146], v[3:4], v[211:212], v[203:204]
	v_add_f64 v[139:140], v[139:140], v[151:152]
	s_clause 0x2
	buffer_load_dword v202, off, s[0:3], 0 offset:700
	buffer_load_dword v152, off, s[0:3], 0 offset:676
	buffer_load_dword v151, off, s[0:3], 0 offset:672
	s_waitcnt vmcnt(58) lgkmcnt(0)
	v_mul_f64 v[203:204], v[5:6], v[171:172]
	v_mul_f64 v[171:172], v[7:8], v[171:172]
	ds_read_b128 v[1:4], v196 offset:1472
	s_waitcnt vmcnt(56)
	v_fma_f64 v[149:150], v[135:136], v[157:158], -v[149:150]
	v_fma_f64 v[157:158], v[137:138], v[157:158], v[216:217]
	v_add_f64 v[141:142], v[141:142], v[163:164]
	v_add_f64 v[139:140], v[139:140], v[145:146]
	s_clause 0x4
	buffer_load_dword v146, off, s[0:3], 0 offset:716
	buffer_load_dword v163, off, s[0:3], 0 offset:728
	buffer_load_dword v211, off, s[0:3], 0 offset:720
	buffer_load_dword v145, off, s[0:3], 0 offset:712
	buffer_load_dword v216, off, s[0:3], 0 offset:692
	ds_read_b128 v[135:138], v196 offset:1488
	s_waitcnt vmcnt(57) lgkmcnt(1)
	v_mul_f64 v[217:218], v[1:2], v[155:156]
	v_mul_f64 v[155:156], v[3:4], v[155:156]
	s_waitcnt vmcnt(56)
	v_fma_f64 v[171:172], v[5:6], v[197:198], -v[171:172]
	v_add_f64 v[141:142], v[141:142], v[149:150]
	v_fma_f64 v[149:150], v[7:8], v[197:198], v[203:204]
	v_add_f64 v[139:140], v[139:140], v[157:158]
	s_clause 0x2
	buffer_load_dword v164, off, s[0:3], 0 offset:732
	buffer_load_dword v158, off, s[0:3], 0 offset:708
	;; [unrolled: 1-line block ×3, first 2 shown]
	s_waitcnt vmcnt(58) lgkmcnt(0)
	v_mul_f64 v[197:198], v[135:136], v[177:178]
	v_mul_f64 v[177:178], v[137:138], v[177:178]
	ds_read_b128 v[5:8], v196 offset:1504
	s_waitcnt vmcnt(56)
	v_fma_f64 v[155:156], v[1:2], v[167:168], -v[155:156]
	v_fma_f64 v[167:168], v[3:4], v[167:168], v[217:218]
	v_add_f64 v[141:142], v[141:142], v[171:172]
	v_add_f64 v[139:140], v[139:140], v[149:150]
	s_clause 0x4
	buffer_load_dword v150, off, s[0:3], 0 offset:748
	buffer_load_dword v171, off, s[0:3], 0 offset:760
	buffer_load_dword v203, off, s[0:3], 0 offset:752
	buffer_load_dword v149, off, s[0:3], 0 offset:744
	buffer_load_dword v212, off, s[0:3], 0 offset:724
	ds_read_b128 v[1:4], v196 offset:1520
	s_waitcnt vmcnt(57) lgkmcnt(1)
	v_mul_f64 v[217:218], v[5:6], v[161:162]
	v_mul_f64 v[161:162], v[7:8], v[161:162]
	s_waitcnt vmcnt(56)
	v_fma_f64 v[177:178], v[135:136], v[179:180], -v[177:178]
	v_add_f64 v[141:142], v[141:142], v[155:156]
	v_fma_f64 v[155:156], v[137:138], v[179:180], v[197:198]
	v_add_f64 v[139:140], v[139:140], v[167:168]
	s_clause 0x2
	buffer_load_dword v172, off, s[0:3], 0 offset:764
	buffer_load_dword v168, off, s[0:3], 0 offset:740
	buffer_load_dword v167, off, s[0:3], 0 offset:736
	ds_read_b128 v[135:138], v196 offset:1536
	s_waitcnt vmcnt(58) lgkmcnt(1)
	v_mul_f64 v[179:180], v[1:2], v[185:186]
	v_mul_f64 v[185:186], v[3:4], v[185:186]
	s_waitcnt vmcnt(56)
	v_fma_f64 v[161:162], v[5:6], v[165:166], -v[161:162]
	v_fma_f64 v[165:166], v[7:8], v[165:166], v[217:218]
	v_add_f64 v[141:142], v[141:142], v[177:178]
	v_add_f64 v[139:140], v[139:140], v[155:156]
	s_clause 0x4
	buffer_load_dword v156, off, s[0:3], 0 offset:780
	buffer_load_dword v177, off, s[0:3], 0 offset:792
	buffer_load_dword v197, off, s[0:3], 0 offset:784
	buffer_load_dword v155, off, s[0:3], 0 offset:776
	buffer_load_dword v204, off, s[0:3], 0 offset:756
	ds_read_b128 v[5:8], v196 offset:1552
	s_waitcnt vmcnt(57) lgkmcnt(1)
	v_mul_f64 v[217:218], v[135:136], v[169:170]
	v_mul_f64 v[169:170], v[137:138], v[169:170]
	s_waitcnt vmcnt(56)
	v_fma_f64 v[185:186], v[1:2], v[187:188], -v[185:186]
	v_add_f64 v[141:142], v[141:142], v[161:162]
	v_fma_f64 v[161:162], v[3:4], v[187:188], v[179:180]
	v_add_f64 v[139:140], v[139:140], v[165:166]
	s_clause 0x2
	buffer_load_dword v178, off, s[0:3], 0 offset:796
	buffer_load_dword v166, off, s[0:3], 0 offset:772
	buffer_load_dword v165, off, s[0:3], 0 offset:768
	ds_read_b128 v[1:4], v196 offset:1568
	s_waitcnt vmcnt(58) lgkmcnt(1)
	v_mul_f64 v[187:188], v[7:8], v[191:192]
	v_mul_f64 v[179:180], v[5:6], v[191:192]
	;; [unrolled: 28-line block ×4, first 2 shown]
	s_waitcnt vmcnt(56)
	v_fma_f64 v[183:184], v[5:6], v[189:190], -v[183:184]
	v_add_f64 v[141:142], v[141:142], v[181:182]
	v_fma_f64 v[181:182], v[7:8], v[189:190], v[217:218]
	v_add_f64 v[139:140], v[139:140], v[175:176]
	s_clause 0x4
	buffer_load_dword v176, off, s[0:3], 0 offset:876
	buffer_load_dword v189, off, s[0:3], 0 offset:888
	;; [unrolled: 1-line block ×5, first 2 shown]
	ds_read_b128 v[5:8], v196 offset:1648
	s_waitcnt vmcnt(57) lgkmcnt(1)
	v_mul_f64 v[217:218], v[135:136], v[147:148]
	v_mul_f64 v[147:148], v[137:138], v[147:148]
	s_waitcnt vmcnt(56)
	v_fma_f64 v[199:200], v[1:2], v[209:210], -v[199:200]
	v_fma_f64 v[179:180], v[3:4], v[209:210], v[179:180]
	v_add_f64 v[141:142], v[141:142], v[183:184]
	v_add_f64 v[139:140], v[139:140], v[181:182]
	s_clause 0x2
	buffer_load_dword v190, off, s[0:3], 0 offset:892
	buffer_load_dword v182, off, s[0:3], 0 offset:868
	buffer_load_dword v181, off, s[0:3], 0 offset:864
	ds_read_b128 v[1:4], v196 offset:1664
	s_waitcnt vmcnt(58) lgkmcnt(1)
	v_mul_f64 v[183:184], v[5:6], v[207:208]
	v_mul_f64 v[207:208], v[7:8], v[207:208]
	s_waitcnt vmcnt(56)
	v_fma_f64 v[147:148], v[135:136], v[153:154], -v[147:148]
	v_fma_f64 v[153:154], v[137:138], v[153:154], v[217:218]
	v_add_f64 v[141:142], v[141:142], v[199:200]
	v_add_f64 v[139:140], v[139:140], v[179:180]
	s_clause 0x4
	buffer_load_dword v180, off, s[0:3], 0 offset:908
	buffer_load_dword v199, off, s[0:3], 0 offset:920
	buffer_load_dword v209, off, s[0:3], 0 offset:912
	buffer_load_dword v179, off, s[0:3], 0 offset:904
	buffer_load_dword v206, off, s[0:3], 0 offset:884
	ds_read_b128 v[135:138], v196 offset:1680
	s_waitcnt vmcnt(57) lgkmcnt(1)
	v_mul_f64 v[217:218], v[1:2], v[159:160]
	v_mul_f64 v[159:160], v[3:4], v[159:160]
	s_waitcnt vmcnt(56)
	v_fma_f64 v[207:208], v[5:6], v[213:214], -v[207:208]
	v_add_f64 v[141:142], v[141:142], v[147:148]
	v_fma_f64 v[147:148], v[7:8], v[213:214], v[183:184]
	v_add_f64 v[139:140], v[139:140], v[153:154]
	s_clause 0x2
	buffer_load_dword v200, off, s[0:3], 0 offset:924
	buffer_load_dword v154, off, s[0:3], 0 offset:900
	buffer_load_dword v153, off, s[0:3], 0 offset:896
	ds_read_b128 v[5:8], v196 offset:1696
	s_waitcnt vmcnt(58) lgkmcnt(1)
	v_mul_f64 v[183:184], v[135:136], v[201:202]
	v_mul_f64 v[201:202], v[137:138], v[201:202]
	s_waitcnt vmcnt(56)
	v_fma_f64 v[159:160], v[1:2], v[151:152], -v[159:160]
	v_fma_f64 v[151:152], v[3:4], v[151:152], v[217:218]
	v_add_f64 v[141:142], v[141:142], v[207:208]
	v_add_f64 v[139:140], v[139:140], v[147:148]
	s_clause 0x4
	buffer_load_dword v148, off, s[0:3], 0 offset:940
	buffer_load_dword v207, off, s[0:3], 0 offset:952
	buffer_load_dword v213, off, s[0:3], 0 offset:944
	buffer_load_dword v147, off, s[0:3], 0 offset:936
	buffer_load_dword v210, off, s[0:3], 0 offset:916
	ds_read_b128 v[1:4], v196 offset:1712
	s_waitcnt vmcnt(57) lgkmcnt(1)
	v_mul_f64 v[217:218], v[5:6], v[145:146]
	v_mul_f64 v[145:146], v[7:8], v[145:146]
	s_waitcnt vmcnt(56)
	v_fma_f64 v[201:202], v[135:136], v[215:216], -v[201:202]
	v_add_f64 v[141:142], v[141:142], v[159:160]
	v_fma_f64 v[159:160], v[137:138], v[215:216], v[183:184]
	v_add_f64 v[139:140], v[139:140], v[151:152]
	s_clause 0x2
	buffer_load_dword v208, off, s[0:3], 0 offset:956
	buffer_load_dword v152, off, s[0:3], 0 offset:932
	buffer_load_dword v151, off, s[0:3], 0 offset:928
	ds_read_b128 v[135:138], v196 offset:1728
	s_waitcnt vmcnt(58) lgkmcnt(1)
	v_mul_f64 v[183:184], v[1:2], v[163:164]
	v_mul_f64 v[163:164], v[3:4], v[163:164]
	s_waitcnt vmcnt(56)
	v_fma_f64 v[145:146], v[5:6], v[157:158], -v[145:146]
	v_fma_f64 v[157:158], v[7:8], v[157:158], v[217:218]
	v_add_f64 v[141:142], v[141:142], v[201:202]
	v_add_f64 v[139:140], v[139:140], v[159:160]
	s_clause 0x4
	buffer_load_dword v160, off, s[0:3], 0 offset:972
	buffer_load_dword v201, off, s[0:3], 0 offset:984
	buffer_load_dword v215, off, s[0:3], 0 offset:976
	buffer_load_dword v159, off, s[0:3], 0 offset:968
	buffer_load_dword v214, off, s[0:3], 0 offset:948
	ds_read_b128 v[5:8], v196 offset:1744
	s_waitcnt vmcnt(57) lgkmcnt(1)
	v_mul_f64 v[216:217], v[135:136], v[149:150]
	v_mul_f64 v[149:150], v[137:138], v[149:150]
	s_waitcnt vmcnt(56)
	v_fma_f64 v[163:164], v[1:2], v[211:212], -v[163:164]
	v_add_f64 v[141:142], v[141:142], v[145:146]
	v_fma_f64 v[145:146], v[3:4], v[211:212], v[183:184]
	v_add_f64 v[139:140], v[139:140], v[157:158]
	s_clause 0x2
	buffer_load_dword v202, off, s[0:3], 0 offset:988
	buffer_load_dword v158, off, s[0:3], 0 offset:964
	;; [unrolled: 1-line block ×3, first 2 shown]
	ds_read_b128 v[1:4], v196 offset:1760
	s_waitcnt vmcnt(58) lgkmcnt(1)
	v_mul_f64 v[183:184], v[5:6], v[171:172]
	v_mul_f64 v[171:172], v[7:8], v[171:172]
	s_waitcnt vmcnt(56)
	v_fma_f64 v[149:150], v[135:136], v[167:168], -v[149:150]
	v_add_f64 v[141:142], v[141:142], v[163:164]
	v_fma_f64 v[163:164], v[137:138], v[167:168], v[216:217]
	v_add_f64 v[139:140], v[139:140], v[145:146]
	s_clause 0x4
	buffer_load_dword v146, off, s[0:3], 0 offset:1004
	buffer_load_dword v167, off, s[0:3], 0 offset:1016
	;; [unrolled: 1-line block ×5, first 2 shown]
	ds_read_b128 v[135:138], v196 offset:1776
	s_waitcnt vmcnt(57) lgkmcnt(1)
	v_mul_f64 v[217:218], v[1:2], v[155:156]
	v_mul_f64 v[155:156], v[3:4], v[155:156]
	s_waitcnt vmcnt(56)
	v_fma_f64 v[171:172], v[5:6], v[203:204], -v[171:172]
	v_add_f64 v[141:142], v[141:142], v[149:150]
	v_fma_f64 v[149:150], v[7:8], v[203:204], v[183:184]
	v_add_f64 v[139:140], v[139:140], v[163:164]
	s_clause 0x2
	buffer_load_dword v168, off, s[0:3], 0 offset:1020
	buffer_load_dword v164, off, s[0:3], 0 offset:996
	;; [unrolled: 1-line block ×3, first 2 shown]
	ds_read_b128 v[5:8], v196 offset:1792
	buffer_load_dword v212, off, s[0:3], 0 offset:1012
	s_waitcnt vmcnt(59) lgkmcnt(1)
	v_mul_f64 v[183:184], v[135:136], v[177:178]
	v_mul_f64 v[177:178], v[137:138], v[177:178]
	s_waitcnt vmcnt(57)
	v_fma_f64 v[155:156], v[1:2], v[165:166], -v[155:156]
	v_fma_f64 v[165:166], v[3:4], v[165:166], v[217:218]
	ds_read_b128 v[1:4], v196 offset:1808
	v_add_f64 v[141:142], v[141:142], v[171:172]
	v_add_f64 v[139:140], v[139:140], v[149:150]
	s_waitcnt vmcnt(53) lgkmcnt(1)
	v_mul_f64 v[149:150], v[5:6], v[161:162]
	v_mul_f64 v[161:162], v[7:8], v[161:162]
	s_waitcnt vmcnt(52)
	v_fma_f64 v[171:172], v[135:136], v[197:198], -v[177:178]
	v_add_f64 v[141:142], v[141:142], v[155:156]
	v_fma_f64 v[155:156], v[137:138], v[197:198], v[183:184]
	v_add_f64 v[139:140], v[139:140], v[165:166]
	ds_read_b128 v[135:138], v196 offset:1824
	s_waitcnt vmcnt(51) lgkmcnt(1)
	v_mul_f64 v[177:178], v[3:4], v[185:186]
	v_mul_f64 v[165:166], v[1:2], v[185:186]
	s_waitcnt vmcnt(49)
	v_fma_f64 v[161:162], v[5:6], v[173:174], -v[161:162]
	v_fma_f64 v[149:150], v[7:8], v[173:174], v[149:150]
	v_add_f64 v[141:142], v[141:142], v[171:172]
	v_add_f64 v[139:140], v[139:140], v[155:156]
	s_clause 0x3
	buffer_load_dword v155, off, s[0:3], 0 offset:64
	buffer_load_dword v156, off, s[0:3], 0 offset:68
	;; [unrolled: 1-line block ×4, first 2 shown]
	ds_read_b128 v[5:8], v196 offset:1840
	s_waitcnt vmcnt(49) lgkmcnt(1)
	v_mul_f64 v[173:174], v[135:136], v[169:170]
	v_mul_f64 v[169:170], v[137:138], v[169:170]
	s_waitcnt vmcnt(48)
	v_fma_f64 v[177:178], v[1:2], v[191:192], -v[177:178]
	v_add_f64 v[141:142], v[141:142], v[161:162]
	v_fma_f64 v[161:162], v[3:4], v[191:192], v[165:166]
	v_add_f64 v[139:140], v[139:140], v[149:150]
	ds_read_b128 v[1:4], v196 offset:1856
	s_waitcnt vmcnt(47) lgkmcnt(1)
	v_mul_f64 v[165:166], v[7:8], v[187:188]
	v_mul_f64 v[149:150], v[5:6], v[187:188]
	s_waitcnt vmcnt(45)
	v_fma_f64 v[169:170], v[135:136], v[143:144], -v[169:170]
	v_fma_f64 v[143:144], v[137:138], v[143:144], v[173:174]
	ds_read_b128 v[135:138], v196 offset:1872
	v_add_f64 v[141:142], v[141:142], v[177:178]
	v_add_f64 v[139:140], v[139:140], v[161:162]
	s_waitcnt vmcnt(41) lgkmcnt(1)
	v_mul_f64 v[173:174], v[3:4], v[175:176]
	s_waitcnt vmcnt(40)
	v_fma_f64 v[165:166], v[5:6], v[193:194], -v[165:166]
	v_mul_f64 v[161:162], v[1:2], v[175:176]
	v_fma_f64 v[149:150], v[7:8], v[193:194], v[149:150]
	ds_read_b128 v[5:8], v196 offset:1888
	v_add_f64 v[141:142], v[141:142], v[169:170]
	v_add_f64 v[139:140], v[139:140], v[143:144]
	s_waitcnt vmcnt(39) lgkmcnt(1)
	v_mul_f64 v[169:170], v[137:138], v[189:190]
	v_mul_f64 v[143:144], v[135:136], v[189:190]
	s_waitcnt vmcnt(37)
	v_fma_f64 v[173:174], v[1:2], v[181:182], -v[173:174]
	v_fma_f64 v[161:162], v[3:4], v[181:182], v[161:162]
	ds_read_b128 v[1:4], v196 offset:1904
	v_add_f64 v[141:142], v[141:142], v[165:166]
	v_add_f64 v[139:140], v[139:140], v[149:150]
	s_waitcnt vmcnt(33) lgkmcnt(1)
	v_mul_f64 v[165:166], v[7:8], v[179:180]
	s_waitcnt vmcnt(32)
	v_fma_f64 v[169:170], v[135:136], v[205:206], -v[169:170]
	v_mul_f64 v[149:150], v[5:6], v[179:180]
	v_fma_f64 v[143:144], v[137:138], v[205:206], v[143:144]
	ds_read_b128 v[135:138], v196 offset:1920
	v_add_f64 v[141:142], v[141:142], v[173:174]
	v_add_f64 v[139:140], v[139:140], v[161:162]
	s_waitcnt vmcnt(31) lgkmcnt(1)
	v_mul_f64 v[173:174], v[3:4], v[199:200]
	v_mul_f64 v[161:162], v[1:2], v[199:200]
	s_waitcnt vmcnt(29)
	v_fma_f64 v[165:166], v[5:6], v[153:154], -v[165:166]
	v_fma_f64 v[149:150], v[7:8], v[153:154], v[149:150]
	ds_read_b128 v[5:8], v196 offset:1936
	v_add_f64 v[141:142], v[141:142], v[169:170]
	v_add_f64 v[139:140], v[139:140], v[143:144]
	s_waitcnt vmcnt(25) lgkmcnt(1)
	v_mul_f64 v[143:144], v[135:136], v[147:148]
	v_mul_f64 v[147:148], v[137:138], v[147:148]
	s_waitcnt vmcnt(24)
	v_fma_f64 v[153:154], v[1:2], v[209:210], -v[173:174]
	v_fma_f64 v[161:162], v[3:4], v[209:210], v[161:162]
	ds_read_b128 v[1:4], v196 offset:1952
	v_add_f64 v[141:142], v[141:142], v[165:166]
	v_add_f64 v[139:140], v[139:140], v[149:150]
	s_waitcnt vmcnt(23) lgkmcnt(1)
	v_mul_f64 v[165:166], v[7:8], v[207:208]
	v_mul_f64 v[149:150], v[5:6], v[207:208]
	s_waitcnt vmcnt(21)
	v_fma_f64 v[147:148], v[135:136], v[151:152], -v[147:148]
	v_fma_f64 v[143:144], v[137:138], v[151:152], v[143:144]
	ds_read_b128 v[135:138], v196 offset:1968
	v_add_f64 v[141:142], v[141:142], v[153:154]
	v_add_f64 v[139:140], v[139:140], v[161:162]
	s_waitcnt vmcnt(17) lgkmcnt(1)
	v_mul_f64 v[151:152], v[1:2], v[159:160]
	v_mul_f64 v[153:154], v[3:4], v[159:160]
	s_waitcnt vmcnt(16)
	v_fma_f64 v[159:160], v[5:6], v[213:214], -v[165:166]
	v_add_f64 v[141:142], v[141:142], v[147:148]
	v_fma_f64 v[147:148], v[7:8], v[213:214], v[149:150]
	v_add_f64 v[139:140], v[139:140], v[143:144]
	ds_read_b128 v[5:8], v196 offset:1984
	s_waitcnt vmcnt(15) lgkmcnt(1)
	v_mul_f64 v[149:150], v[137:138], v[201:202]
	v_mul_f64 v[143:144], v[135:136], v[201:202]
	s_waitcnt vmcnt(13)
	v_fma_f64 v[153:154], v[1:2], v[157:158], -v[153:154]
	v_fma_f64 v[151:152], v[3:4], v[157:158], v[151:152]
	ds_read_b128 v[1:4], v196 offset:2000
	v_add_f64 v[141:142], v[141:142], v[159:160]
	v_add_f64 v[139:140], v[139:140], v[147:148]
	s_waitcnt vmcnt(9) lgkmcnt(1)
	v_mul_f64 v[147:148], v[5:6], v[145:146]
	v_mul_f64 v[145:146], v[7:8], v[145:146]
	s_waitcnt vmcnt(8)
	v_fma_f64 v[135:136], v[135:136], v[215:216], -v[149:150]
	v_fma_f64 v[137:138], v[137:138], v[215:216], v[143:144]
	v_add_f64 v[141:142], v[141:142], v[153:154]
	v_add_f64 v[139:140], v[139:140], v[151:152]
	s_waitcnt vmcnt(7) lgkmcnt(0)
	v_mul_f64 v[149:150], v[3:4], v[167:168]
	v_mul_f64 v[143:144], v[1:2], v[167:168]
	s_waitcnt vmcnt(5)
	v_fma_f64 v[5:6], v[5:6], v[163:164], -v[145:146]
	v_fma_f64 v[7:8], v[7:8], v[163:164], v[147:148]
	v_add_f64 v[135:136], v[141:142], v[135:136]
	v_add_f64 v[137:138], v[139:140], v[137:138]
	s_waitcnt vmcnt(4)
	v_fma_f64 v[1:2], v[1:2], v[211:212], -v[149:150]
	v_fma_f64 v[3:4], v[3:4], v[211:212], v[143:144]
	v_add_f64 v[5:6], v[135:136], v[5:6]
	v_add_f64 v[7:8], v[137:138], v[7:8]
	;; [unrolled: 1-line block ×4, first 2 shown]
	s_waitcnt vmcnt(2)
	v_add_f64 v[1:2], v[155:156], -v[1:2]
	s_waitcnt vmcnt(0)
	v_add_f64 v[3:4], v[171:172], -v[3:4]
	buffer_store_dword v2, off, s[0:3], 0 offset:68
	buffer_store_dword v1, off, s[0:3], 0 offset:64
	;; [unrolled: 1-line block ×4, first 2 shown]
	v_cmpx_lt_u32_e32 2, v0
	s_cbranch_execz .LBB126_399
; %bb.398:
	v_mov_b32_e32 v4, s75
	s_clause 0x3
	buffer_load_dword v1, v4, s[0:3], 0 offen
	buffer_load_dword v2, v4, s[0:3], 0 offen offset:4
	buffer_load_dword v3, v4, s[0:3], 0 offen offset:8
	;; [unrolled: 1-line block ×3, first 2 shown]
	buffer_store_dword v196, off, s[0:3], 0 offset:48
	buffer_store_dword v196, off, s[0:3], 0 offset:52
	;; [unrolled: 1-line block ×4, first 2 shown]
	s_waitcnt vmcnt(0)
	ds_write_b128 v195, v[1:4]
.LBB126_399:
	s_or_b32 exec_lo, exec_lo, s4
	s_waitcnt lgkmcnt(0)
	s_waitcnt_vscnt null, 0x0
	s_barrier
	buffer_gl0_inv
	s_clause 0x37
	buffer_load_dword v143, off, s[0:3], 0 offset:72
	buffer_load_dword v144, off, s[0:3], 0 offset:76
	;; [unrolled: 1-line block ×56, first 2 shown]
	ds_read_b128 v[5:8], v196 offset:1056
	s_clause 0x2
	buffer_load_dword v192, off, s[0:3], 0 offset:300
	buffer_load_dword v194, off, s[0:3], 0 offset:276
	;; [unrolled: 1-line block ×3, first 2 shown]
	ds_read_b128 v[1:4], v196 offset:1072
	s_clause 0x4
	buffer_load_dword v204, off, s[0:3], 0 offset:316
	buffer_load_dword v205, off, s[0:3], 0 offset:328
	;; [unrolled: 1-line block ×5, first 2 shown]
	ds_read_b128 v[197:200], v196 offset:1088
	s_mov_b32 s4, exec_lo
	s_waitcnt vmcnt(62) lgkmcnt(2)
	v_mul_f64 v[201:202], v[7:8], v[143:144]
	v_mul_f64 v[143:144], v[5:6], v[143:144]
	s_waitcnt vmcnt(60) lgkmcnt(1)
	v_mul_f64 v[208:209], v[3:4], v[139:140]
	v_mul_f64 v[139:140], v[1:2], v[139:140]
	;; [unrolled: 3-line block ×3, first 2 shown]
	v_fma_f64 v[201:202], v[5:6], v[141:142], -v[201:202]
	v_fma_f64 v[141:142], v[7:8], v[141:142], v[143:144]
	s_clause 0x2
	buffer_load_dword v206, off, s[0:3], 0 offset:332
	buffer_load_dword v144, off, s[0:3], 0 offset:308
	;; [unrolled: 1-line block ×3, first 2 shown]
	s_waitcnt vmcnt(57)
	v_fma_f64 v[212:213], v[1:2], v[135:136], -v[208:209]
	ds_read_b128 v[5:8], v196 offset:1104
	v_fma_f64 v[135:136], v[3:4], v[135:136], v[139:140]
	s_waitcnt vmcnt(51)
	v_fma_f64 v[197:198], v[197:198], v[159:160], -v[137:138]
	v_fma_f64 v[159:160], v[199:200], v[159:160], v[210:211]
	v_add_f64 v[201:202], v[201:202], 0
	v_add_f64 v[139:140], v[141:142], 0
	s_clause 0x4
	buffer_load_dword v142, off, s[0:3], 0 offset:348
	buffer_load_dword v209, off, s[0:3], 0 offset:360
	;; [unrolled: 1-line block ×5, first 2 shown]
	s_waitcnt lgkmcnt(0)
	v_mul_f64 v[215:216], v[5:6], v[147:148]
	v_mul_f64 v[147:148], v[7:8], v[147:148]
	ds_read_b128 v[1:4], v196 offset:1120
	s_clause 0x2
	buffer_load_dword v210, off, s[0:3], 0 offset:364
	buffer_load_dword v200, off, s[0:3], 0 offset:340
	;; [unrolled: 1-line block ×3, first 2 shown]
	v_add_f64 v[201:202], v[201:202], v[212:213]
	v_add_f64 v[139:140], v[139:140], v[135:136]
	ds_read_b128 v[135:138], v196 offset:1136
	s_waitcnt vmcnt(58) lgkmcnt(1)
	v_mul_f64 v[211:212], v[1:2], v[151:152]
	v_mul_f64 v[151:152], v[3:4], v[151:152]
	s_waitcnt vmcnt(56)
	v_fma_f64 v[147:148], v[5:6], v[153:154], -v[147:148]
	v_fma_f64 v[153:154], v[7:8], v[153:154], v[215:216]
	s_waitcnt vmcnt(52) lgkmcnt(0)
	v_mul_f64 v[217:218], v[135:136], v[155:156]
	v_add_f64 v[197:198], v[201:202], v[197:198]
	v_add_f64 v[139:140], v[139:140], v[159:160]
	s_clause 0x4
	buffer_load_dword v160, off, s[0:3], 0 offset:380
	buffer_load_dword v201, off, s[0:3], 0 offset:392
	;; [unrolled: 1-line block ×5, first 2 shown]
	v_mul_f64 v[155:156], v[137:138], v[155:156]
	s_waitcnt vmcnt(56)
	v_fma_f64 v[151:152], v[1:2], v[145:146], -v[151:152]
	ds_read_b128 v[5:8], v196 offset:1152
	v_fma_f64 v[145:146], v[3:4], v[145:146], v[211:212]
	v_add_f64 v[147:148], v[197:198], v[147:148]
	v_add_f64 v[139:140], v[139:140], v[153:154]
	s_clause 0x2
	buffer_load_dword v202, off, s[0:3], 0 offset:396
	buffer_load_dword v154, off, s[0:3], 0 offset:372
	;; [unrolled: 1-line block ×3, first 2 shown]
	s_waitcnt vmcnt(58) lgkmcnt(0)
	v_mul_f64 v[197:198], v[5:6], v[161:162]
	v_mul_f64 v[161:162], v[7:8], v[161:162]
	s_waitcnt vmcnt(56)
	v_fma_f64 v[155:156], v[135:136], v[163:164], -v[155:156]
	ds_read_b128 v[1:4], v196 offset:1168
	v_add_f64 v[147:148], v[147:148], v[151:152]
	v_fma_f64 v[151:152], v[137:138], v[163:164], v[217:218]
	v_add_f64 v[139:140], v[139:140], v[145:146]
	s_clause 0x4
	buffer_load_dword v146, off, s[0:3], 0 offset:412
	buffer_load_dword v163, off, s[0:3], 0 offset:424
	;; [unrolled: 1-line block ×5, first 2 shown]
	s_waitcnt vmcnt(57) lgkmcnt(0)
	v_mul_f64 v[212:213], v[1:2], v[165:166]
	v_mul_f64 v[165:166], v[3:4], v[165:166]
	s_waitcnt vmcnt(56)
	v_fma_f64 v[161:162], v[5:6], v[149:150], -v[161:162]
	ds_read_b128 v[135:138], v196 offset:1184
	v_fma_f64 v[149:150], v[7:8], v[149:150], v[197:198]
	v_add_f64 v[147:148], v[147:148], v[155:156]
	v_add_f64 v[139:140], v[139:140], v[151:152]
	s_clause 0x2
	buffer_load_dword v164, off, s[0:3], 0 offset:428
	buffer_load_dword v152, off, s[0:3], 0 offset:404
	;; [unrolled: 1-line block ×3, first 2 shown]
	ds_read_b128 v[5:8], v196 offset:1200
	s_waitcnt vmcnt(58) lgkmcnt(1)
	v_mul_f64 v[155:156], v[135:136], v[169:170]
	v_mul_f64 v[169:170], v[137:138], v[169:170]
	s_waitcnt vmcnt(56)
	v_fma_f64 v[165:166], v[1:2], v[171:172], -v[165:166]
	v_add_f64 v[147:148], v[147:148], v[161:162]
	v_fma_f64 v[161:162], v[3:4], v[171:172], v[212:213]
	v_add_f64 v[139:140], v[139:140], v[149:150]
	s_clause 0x4
	buffer_load_dword v150, off, s[0:3], 0 offset:444
	buffer_load_dword v171, off, s[0:3], 0 offset:456
	;; [unrolled: 1-line block ×5, first 2 shown]
	s_waitcnt vmcnt(57) lgkmcnt(0)
	v_mul_f64 v[218:219], v[5:6], v[173:174]
	v_mul_f64 v[173:174], v[7:8], v[173:174]
	s_waitcnt vmcnt(56)
	v_fma_f64 v[169:170], v[135:136], v[157:158], -v[169:170]
	ds_read_b128 v[1:4], v196 offset:1216
	v_fma_f64 v[155:156], v[137:138], v[157:158], v[155:156]
	s_clause 0x2
	buffer_load_dword v172, off, s[0:3], 0 offset:460
	buffer_load_dword v158, off, s[0:3], 0 offset:436
	;; [unrolled: 1-line block ×3, first 2 shown]
	ds_read_b128 v[135:138], v196 offset:1232
	v_add_f64 v[147:148], v[147:148], v[165:166]
	v_add_f64 v[139:140], v[139:140], v[161:162]
	s_waitcnt vmcnt(58) lgkmcnt(1)
	v_mul_f64 v[165:166], v[3:4], v[177:178]
	s_waitcnt vmcnt(56)
	v_fma_f64 v[173:174], v[5:6], v[179:180], -v[173:174]
	v_mul_f64 v[161:162], v[1:2], v[177:178]
	v_add_f64 v[147:148], v[147:148], v[169:170]
	v_fma_f64 v[169:170], v[7:8], v[179:180], v[218:219]
	v_add_f64 v[139:140], v[139:140], v[155:156]
	s_clause 0x4
	buffer_load_dword v156, off, s[0:3], 0 offset:476
	buffer_load_dword v177, off, s[0:3], 0 offset:488
	;; [unrolled: 1-line block ×5, first 2 shown]
	s_waitcnt vmcnt(57) lgkmcnt(0)
	v_mul_f64 v[218:219], v[135:136], v[181:182]
	v_mul_f64 v[180:181], v[137:138], v[181:182]
	s_waitcnt vmcnt(56)
	v_fma_f64 v[165:166], v[1:2], v[167:168], -v[165:166]
	ds_read_b128 v[5:8], v196 offset:1248
	v_fma_f64 v[161:162], v[3:4], v[167:168], v[161:162]
	s_clause 0x2
	buffer_load_dword v178, off, s[0:3], 0 offset:492
	buffer_load_dword v168, off, s[0:3], 0 offset:468
	;; [unrolled: 1-line block ×3, first 2 shown]
	ds_read_b128 v[1:4], v196 offset:1264
	v_add_f64 v[147:148], v[147:148], v[173:174]
	v_add_f64 v[139:140], v[139:140], v[169:170]
	s_waitcnt vmcnt(58) lgkmcnt(1)
	v_mul_f64 v[173:174], v[7:8], v[185:186]
	s_waitcnt vmcnt(56)
	v_fma_f64 v[181:182], v[135:136], v[187:188], -v[180:181]
	v_mul_f64 v[169:170], v[5:6], v[185:186]
	v_add_f64 v[147:148], v[147:148], v[165:166]
	v_fma_f64 v[165:166], v[137:138], v[187:188], v[218:219]
	v_add_f64 v[139:140], v[139:140], v[161:162]
	s_clause 0x4
	buffer_load_dword v162, off, s[0:3], 0 offset:508
	buffer_load_dword v185, off, s[0:3], 0 offset:520
	;; [unrolled: 1-line block ×5, first 2 shown]
	s_waitcnt vmcnt(57) lgkmcnt(0)
	v_mul_f64 v[218:219], v[1:2], v[189:190]
	v_mul_f64 v[188:189], v[3:4], v[189:190]
	s_waitcnt vmcnt(56)
	v_fma_f64 v[173:174], v[5:6], v[175:176], -v[173:174]
	ds_read_b128 v[135:138], v196 offset:1280
	v_fma_f64 v[169:170], v[7:8], v[175:176], v[169:170]
	v_add_f64 v[147:148], v[147:148], v[181:182]
	v_add_f64 v[139:140], v[139:140], v[165:166]
	s_clause 0x2
	buffer_load_dword v186, off, s[0:3], 0 offset:524
	buffer_load_dword v166, off, s[0:3], 0 offset:500
	buffer_load_dword v165, off, s[0:3], 0 offset:496
	ds_read_b128 v[5:8], v196 offset:1296
	s_waitcnt vmcnt(58) lgkmcnt(1)
	v_mul_f64 v[181:182], v[137:138], v[191:192]
	s_waitcnt vmcnt(56)
	v_fma_f64 v[189:190], v[1:2], v[193:194], -v[188:189]
	v_mul_f64 v[175:176], v[135:136], v[191:192]
	v_add_f64 v[147:148], v[147:148], v[173:174]
	v_fma_f64 v[173:174], v[3:4], v[193:194], v[218:219]
	v_add_f64 v[139:140], v[139:140], v[169:170]
	s_clause 0x4
	buffer_load_dword v170, off, s[0:3], 0 offset:540
	buffer_load_dword v191, off, s[0:3], 0 offset:552
	;; [unrolled: 1-line block ×5, first 2 shown]
	s_waitcnt vmcnt(57) lgkmcnt(0)
	v_mul_f64 v[218:219], v[5:6], v[203:204]
	v_mul_f64 v[203:204], v[7:8], v[203:204]
	s_waitcnt vmcnt(56)
	v_fma_f64 v[181:182], v[135:136], v[183:184], -v[181:182]
	ds_read_b128 v[1:4], v196 offset:1312
	v_fma_f64 v[175:176], v[137:138], v[183:184], v[175:176]
	v_add_f64 v[147:148], v[147:148], v[189:190]
	v_add_f64 v[139:140], v[139:140], v[173:174]
	s_clause 0x2
	buffer_load_dword v192, off, s[0:3], 0 offset:556
	buffer_load_dword v174, off, s[0:3], 0 offset:532
	buffer_load_dword v173, off, s[0:3], 0 offset:528
	ds_read_b128 v[135:138], v196 offset:1328
	s_waitcnt vmcnt(58) lgkmcnt(1)
	v_mul_f64 v[189:190], v[3:4], v[205:206]
	v_mul_f64 v[183:184], v[1:2], v[205:206]
	s_waitcnt vmcnt(56)
	v_fma_f64 v[203:204], v[5:6], v[143:144], -v[203:204]
	v_fma_f64 v[143:144], v[7:8], v[143:144], v[218:219]
	v_add_f64 v[147:148], v[147:148], v[181:182]
	v_add_f64 v[139:140], v[139:140], v[175:176]
	s_clause 0x4
	buffer_load_dword v176, off, s[0:3], 0 offset:572
	buffer_load_dword v181, off, s[0:3], 0 offset:584
	;; [unrolled: 1-line block ×5, first 2 shown]
	ds_read_b128 v[5:8], v196 offset:1344
	s_waitcnt vmcnt(57) lgkmcnt(1)
	v_mul_f64 v[218:219], v[135:136], v[141:142]
	v_mul_f64 v[141:142], v[137:138], v[141:142]
	s_waitcnt vmcnt(56)
	v_fma_f64 v[189:190], v[1:2], v[207:208], -v[189:190]
	v_fma_f64 v[183:184], v[3:4], v[207:208], v[183:184]
	v_add_f64 v[147:148], v[147:148], v[203:204]
	v_add_f64 v[139:140], v[139:140], v[143:144]
	s_clause 0x2
	buffer_load_dword v182, off, s[0:3], 0 offset:588
	buffer_load_dword v144, off, s[0:3], 0 offset:564
	;; [unrolled: 1-line block ×3, first 2 shown]
	s_waitcnt vmcnt(58) lgkmcnt(0)
	v_mul_f64 v[207:208], v[7:8], v[209:210]
	ds_read_b128 v[1:4], v196 offset:1360
	v_mul_f64 v[203:204], v[5:6], v[209:210]
	s_waitcnt vmcnt(56)
	v_fma_f64 v[141:142], v[135:136], v[199:200], -v[141:142]
	v_add_f64 v[147:148], v[147:148], v[189:190]
	v_fma_f64 v[189:190], v[137:138], v[199:200], v[218:219]
	v_add_f64 v[139:140], v[139:140], v[183:184]
	s_clause 0x4
	buffer_load_dword v184, off, s[0:3], 0 offset:604
	buffer_load_dword v199, off, s[0:3], 0 offset:616
	;; [unrolled: 1-line block ×5, first 2 shown]
	ds_read_b128 v[135:138], v196 offset:1376
	s_waitcnt vmcnt(57) lgkmcnt(1)
	v_mul_f64 v[218:219], v[1:2], v[159:160]
	v_mul_f64 v[159:160], v[3:4], v[159:160]
	s_waitcnt vmcnt(56)
	v_fma_f64 v[207:208], v[5:6], v[214:215], -v[207:208]
	v_add_f64 v[141:142], v[147:148], v[141:142]
	v_fma_f64 v[147:148], v[7:8], v[214:215], v[203:204]
	v_add_f64 v[139:140], v[139:140], v[189:190]
	s_clause 0x2
	buffer_load_dword v200, off, s[0:3], 0 offset:620
	buffer_load_dword v190, off, s[0:3], 0 offset:596
	;; [unrolled: 1-line block ×3, first 2 shown]
	ds_read_b128 v[5:8], v196 offset:1392
	s_waitcnt vmcnt(58) lgkmcnt(1)
	v_mul_f64 v[203:204], v[135:136], v[201:202]
	v_mul_f64 v[201:202], v[137:138], v[201:202]
	s_waitcnt vmcnt(56)
	v_fma_f64 v[159:160], v[1:2], v[153:154], -v[159:160]
	v_fma_f64 v[153:154], v[3:4], v[153:154], v[218:219]
	v_add_f64 v[141:142], v[141:142], v[207:208]
	v_add_f64 v[139:140], v[139:140], v[147:148]
	s_clause 0x4
	buffer_load_dword v148, off, s[0:3], 0 offset:636
	buffer_load_dword v207, off, s[0:3], 0 offset:648
	buffer_load_dword v213, off, s[0:3], 0 offset:640
	buffer_load_dword v147, off, s[0:3], 0 offset:632
	buffer_load_dword v210, off, s[0:3], 0 offset:612
	ds_read_b128 v[1:4], v196 offset:1408
	s_waitcnt vmcnt(57) lgkmcnt(1)
	v_mul_f64 v[214:215], v[5:6], v[145:146]
	v_mul_f64 v[145:146], v[7:8], v[145:146]
	s_waitcnt vmcnt(56)
	v_fma_f64 v[201:202], v[135:136], v[216:217], -v[201:202]
	v_add_f64 v[141:142], v[141:142], v[159:160]
	v_fma_f64 v[159:160], v[137:138], v[216:217], v[203:204]
	v_add_f64 v[139:140], v[139:140], v[153:154]
	s_clause 0x2
	buffer_load_dword v208, off, s[0:3], 0 offset:652
	buffer_load_dword v154, off, s[0:3], 0 offset:628
	;; [unrolled: 1-line block ×3, first 2 shown]
	ds_read_b128 v[135:138], v196 offset:1424
	s_waitcnt vmcnt(58) lgkmcnt(1)
	v_mul_f64 v[203:204], v[1:2], v[163:164]
	v_mul_f64 v[163:164], v[3:4], v[163:164]
	s_waitcnt vmcnt(56)
	v_fma_f64 v[145:146], v[5:6], v[151:152], -v[145:146]
	v_fma_f64 v[151:152], v[7:8], v[151:152], v[214:215]
	v_add_f64 v[141:142], v[141:142], v[201:202]
	v_add_f64 v[139:140], v[139:140], v[159:160]
	s_clause 0x4
	buffer_load_dword v160, off, s[0:3], 0 offset:668
	buffer_load_dword v201, off, s[0:3], 0 offset:680
	;; [unrolled: 1-line block ×5, first 2 shown]
	ds_read_b128 v[5:8], v196 offset:1440
	s_waitcnt vmcnt(57) lgkmcnt(1)
	v_mul_f64 v[216:217], v[135:136], v[149:150]
	v_mul_f64 v[149:150], v[137:138], v[149:150]
	s_waitcnt vmcnt(56)
	v_fma_f64 v[163:164], v[1:2], v[211:212], -v[163:164]
	v_add_f64 v[141:142], v[141:142], v[145:146]
	v_fma_f64 v[145:146], v[3:4], v[211:212], v[203:204]
	v_add_f64 v[139:140], v[139:140], v[151:152]
	s_clause 0x2
	buffer_load_dword v202, off, s[0:3], 0 offset:684
	buffer_load_dword v152, off, s[0:3], 0 offset:660
	;; [unrolled: 1-line block ×3, first 2 shown]
	s_waitcnt vmcnt(58) lgkmcnt(0)
	v_mul_f64 v[203:204], v[5:6], v[171:172]
	v_mul_f64 v[171:172], v[7:8], v[171:172]
	ds_read_b128 v[1:4], v196 offset:1456
	s_waitcnt vmcnt(56)
	v_fma_f64 v[149:150], v[135:136], v[157:158], -v[149:150]
	v_fma_f64 v[157:158], v[137:138], v[157:158], v[216:217]
	v_add_f64 v[141:142], v[141:142], v[163:164]
	v_add_f64 v[139:140], v[139:140], v[145:146]
	s_clause 0x4
	buffer_load_dword v146, off, s[0:3], 0 offset:700
	buffer_load_dword v163, off, s[0:3], 0 offset:712
	;; [unrolled: 1-line block ×5, first 2 shown]
	ds_read_b128 v[135:138], v196 offset:1472
	s_waitcnt vmcnt(57) lgkmcnt(1)
	v_mul_f64 v[217:218], v[1:2], v[155:156]
	v_mul_f64 v[155:156], v[3:4], v[155:156]
	s_waitcnt vmcnt(56)
	v_fma_f64 v[171:172], v[5:6], v[197:198], -v[171:172]
	v_add_f64 v[141:142], v[141:142], v[149:150]
	v_fma_f64 v[149:150], v[7:8], v[197:198], v[203:204]
	v_add_f64 v[139:140], v[139:140], v[157:158]
	s_clause 0x2
	buffer_load_dword v164, off, s[0:3], 0 offset:716
	buffer_load_dword v158, off, s[0:3], 0 offset:692
	;; [unrolled: 1-line block ×3, first 2 shown]
	s_waitcnt vmcnt(58) lgkmcnt(0)
	v_mul_f64 v[197:198], v[135:136], v[177:178]
	v_mul_f64 v[177:178], v[137:138], v[177:178]
	ds_read_b128 v[5:8], v196 offset:1488
	s_waitcnt vmcnt(56)
	v_fma_f64 v[155:156], v[1:2], v[167:168], -v[155:156]
	v_fma_f64 v[167:168], v[3:4], v[167:168], v[217:218]
	v_add_f64 v[141:142], v[141:142], v[171:172]
	v_add_f64 v[139:140], v[139:140], v[149:150]
	s_clause 0x4
	buffer_load_dword v150, off, s[0:3], 0 offset:732
	buffer_load_dword v171, off, s[0:3], 0 offset:744
	buffer_load_dword v203, off, s[0:3], 0 offset:736
	buffer_load_dword v149, off, s[0:3], 0 offset:728
	buffer_load_dword v212, off, s[0:3], 0 offset:708
	ds_read_b128 v[1:4], v196 offset:1504
	s_waitcnt vmcnt(57) lgkmcnt(1)
	v_mul_f64 v[217:218], v[5:6], v[161:162]
	v_mul_f64 v[161:162], v[7:8], v[161:162]
	s_waitcnt vmcnt(56)
	v_fma_f64 v[177:178], v[135:136], v[179:180], -v[177:178]
	v_add_f64 v[141:142], v[141:142], v[155:156]
	v_fma_f64 v[155:156], v[137:138], v[179:180], v[197:198]
	v_add_f64 v[139:140], v[139:140], v[167:168]
	s_clause 0x2
	buffer_load_dword v172, off, s[0:3], 0 offset:748
	buffer_load_dword v168, off, s[0:3], 0 offset:724
	buffer_load_dword v167, off, s[0:3], 0 offset:720
	ds_read_b128 v[135:138], v196 offset:1520
	s_waitcnt vmcnt(58) lgkmcnt(1)
	v_mul_f64 v[179:180], v[1:2], v[185:186]
	v_mul_f64 v[185:186], v[3:4], v[185:186]
	s_waitcnt vmcnt(56)
	v_fma_f64 v[161:162], v[5:6], v[165:166], -v[161:162]
	v_fma_f64 v[165:166], v[7:8], v[165:166], v[217:218]
	v_add_f64 v[141:142], v[141:142], v[177:178]
	v_add_f64 v[139:140], v[139:140], v[155:156]
	s_clause 0x4
	buffer_load_dword v156, off, s[0:3], 0 offset:764
	buffer_load_dword v177, off, s[0:3], 0 offset:776
	buffer_load_dword v197, off, s[0:3], 0 offset:768
	buffer_load_dword v155, off, s[0:3], 0 offset:760
	buffer_load_dword v204, off, s[0:3], 0 offset:740
	ds_read_b128 v[5:8], v196 offset:1536
	s_waitcnt vmcnt(57) lgkmcnt(1)
	v_mul_f64 v[217:218], v[135:136], v[169:170]
	v_mul_f64 v[169:170], v[137:138], v[169:170]
	s_waitcnt vmcnt(56)
	v_fma_f64 v[185:186], v[1:2], v[187:188], -v[185:186]
	v_add_f64 v[141:142], v[141:142], v[161:162]
	v_fma_f64 v[161:162], v[3:4], v[187:188], v[179:180]
	v_add_f64 v[139:140], v[139:140], v[165:166]
	s_clause 0x2
	buffer_load_dword v178, off, s[0:3], 0 offset:780
	buffer_load_dword v166, off, s[0:3], 0 offset:756
	buffer_load_dword v165, off, s[0:3], 0 offset:752
	ds_read_b128 v[1:4], v196 offset:1552
	s_waitcnt vmcnt(58) lgkmcnt(1)
	v_mul_f64 v[187:188], v[7:8], v[191:192]
	v_mul_f64 v[179:180], v[5:6], v[191:192]
	;; [unrolled: 28-line block ×4, first 2 shown]
	s_waitcnt vmcnt(56)
	v_fma_f64 v[183:184], v[5:6], v[189:190], -v[183:184]
	v_add_f64 v[141:142], v[141:142], v[181:182]
	v_fma_f64 v[181:182], v[7:8], v[189:190], v[217:218]
	v_add_f64 v[139:140], v[139:140], v[175:176]
	s_clause 0x4
	buffer_load_dword v176, off, s[0:3], 0 offset:860
	buffer_load_dword v189, off, s[0:3], 0 offset:872
	;; [unrolled: 1-line block ×5, first 2 shown]
	ds_read_b128 v[5:8], v196 offset:1632
	s_waitcnt vmcnt(57) lgkmcnt(1)
	v_mul_f64 v[217:218], v[135:136], v[147:148]
	v_mul_f64 v[147:148], v[137:138], v[147:148]
	s_waitcnt vmcnt(56)
	v_fma_f64 v[199:200], v[1:2], v[209:210], -v[199:200]
	v_fma_f64 v[179:180], v[3:4], v[209:210], v[179:180]
	v_add_f64 v[141:142], v[141:142], v[183:184]
	v_add_f64 v[139:140], v[139:140], v[181:182]
	s_clause 0x2
	buffer_load_dword v190, off, s[0:3], 0 offset:876
	buffer_load_dword v182, off, s[0:3], 0 offset:852
	buffer_load_dword v181, off, s[0:3], 0 offset:848
	ds_read_b128 v[1:4], v196 offset:1648
	s_waitcnt vmcnt(58) lgkmcnt(1)
	v_mul_f64 v[183:184], v[5:6], v[207:208]
	v_mul_f64 v[207:208], v[7:8], v[207:208]
	s_waitcnt vmcnt(56)
	v_fma_f64 v[147:148], v[135:136], v[153:154], -v[147:148]
	v_fma_f64 v[153:154], v[137:138], v[153:154], v[217:218]
	v_add_f64 v[141:142], v[141:142], v[199:200]
	v_add_f64 v[139:140], v[139:140], v[179:180]
	s_clause 0x4
	buffer_load_dword v180, off, s[0:3], 0 offset:892
	buffer_load_dword v199, off, s[0:3], 0 offset:904
	buffer_load_dword v209, off, s[0:3], 0 offset:896
	buffer_load_dword v179, off, s[0:3], 0 offset:888
	buffer_load_dword v206, off, s[0:3], 0 offset:868
	ds_read_b128 v[135:138], v196 offset:1664
	s_waitcnt vmcnt(57) lgkmcnt(1)
	v_mul_f64 v[217:218], v[1:2], v[159:160]
	v_mul_f64 v[159:160], v[3:4], v[159:160]
	s_waitcnt vmcnt(56)
	v_fma_f64 v[207:208], v[5:6], v[213:214], -v[207:208]
	v_add_f64 v[141:142], v[141:142], v[147:148]
	v_fma_f64 v[147:148], v[7:8], v[213:214], v[183:184]
	v_add_f64 v[139:140], v[139:140], v[153:154]
	s_clause 0x2
	buffer_load_dword v200, off, s[0:3], 0 offset:908
	buffer_load_dword v154, off, s[0:3], 0 offset:884
	buffer_load_dword v153, off, s[0:3], 0 offset:880
	ds_read_b128 v[5:8], v196 offset:1680
	s_waitcnt vmcnt(58) lgkmcnt(1)
	v_mul_f64 v[183:184], v[135:136], v[201:202]
	v_mul_f64 v[201:202], v[137:138], v[201:202]
	s_waitcnt vmcnt(56)
	v_fma_f64 v[159:160], v[1:2], v[151:152], -v[159:160]
	v_fma_f64 v[151:152], v[3:4], v[151:152], v[217:218]
	v_add_f64 v[141:142], v[141:142], v[207:208]
	v_add_f64 v[139:140], v[139:140], v[147:148]
	s_clause 0x4
	buffer_load_dword v148, off, s[0:3], 0 offset:924
	buffer_load_dword v207, off, s[0:3], 0 offset:936
	buffer_load_dword v213, off, s[0:3], 0 offset:928
	buffer_load_dword v147, off, s[0:3], 0 offset:920
	buffer_load_dword v210, off, s[0:3], 0 offset:900
	ds_read_b128 v[1:4], v196 offset:1696
	s_waitcnt vmcnt(57) lgkmcnt(1)
	v_mul_f64 v[217:218], v[5:6], v[145:146]
	v_mul_f64 v[145:146], v[7:8], v[145:146]
	s_waitcnt vmcnt(56)
	v_fma_f64 v[201:202], v[135:136], v[215:216], -v[201:202]
	v_add_f64 v[141:142], v[141:142], v[159:160]
	v_fma_f64 v[159:160], v[137:138], v[215:216], v[183:184]
	;; [unrolled: 28-line block ×3, first 2 shown]
	v_add_f64 v[139:140], v[139:140], v[157:158]
	s_clause 0x2
	buffer_load_dword v202, off, s[0:3], 0 offset:972
	buffer_load_dword v158, off, s[0:3], 0 offset:948
	;; [unrolled: 1-line block ×3, first 2 shown]
	ds_read_b128 v[1:4], v196 offset:1744
	s_waitcnt vmcnt(58) lgkmcnt(1)
	v_mul_f64 v[183:184], v[5:6], v[171:172]
	v_mul_f64 v[171:172], v[7:8], v[171:172]
	s_waitcnt vmcnt(56)
	v_fma_f64 v[149:150], v[135:136], v[167:168], -v[149:150]
	v_add_f64 v[141:142], v[141:142], v[163:164]
	v_fma_f64 v[163:164], v[137:138], v[167:168], v[216:217]
	v_add_f64 v[139:140], v[139:140], v[145:146]
	s_clause 0x4
	buffer_load_dword v146, off, s[0:3], 0 offset:988
	buffer_load_dword v167, off, s[0:3], 0 offset:1000
	;; [unrolled: 1-line block ×5, first 2 shown]
	ds_read_b128 v[135:138], v196 offset:1760
	s_waitcnt vmcnt(57) lgkmcnt(1)
	v_mul_f64 v[217:218], v[1:2], v[155:156]
	v_mul_f64 v[155:156], v[3:4], v[155:156]
	s_waitcnt vmcnt(56)
	v_fma_f64 v[171:172], v[5:6], v[203:204], -v[171:172]
	v_add_f64 v[141:142], v[141:142], v[149:150]
	v_fma_f64 v[149:150], v[7:8], v[203:204], v[183:184]
	v_add_f64 v[139:140], v[139:140], v[163:164]
	s_clause 0x2
	buffer_load_dword v168, off, s[0:3], 0 offset:1004
	buffer_load_dword v164, off, s[0:3], 0 offset:980
	;; [unrolled: 1-line block ×3, first 2 shown]
	ds_read_b128 v[5:8], v196 offset:1776
	s_waitcnt vmcnt(58) lgkmcnt(1)
	v_mul_f64 v[183:184], v[135:136], v[177:178]
	v_mul_f64 v[177:178], v[137:138], v[177:178]
	s_waitcnt vmcnt(56)
	v_fma_f64 v[155:156], v[1:2], v[165:166], -v[155:156]
	v_fma_f64 v[165:166], v[3:4], v[165:166], v[217:218]
	v_add_f64 v[141:142], v[141:142], v[171:172]
	v_add_f64 v[139:140], v[139:140], v[149:150]
	s_clause 0x2
	buffer_load_dword v150, off, s[0:3], 0 offset:1020
	buffer_load_dword v149, off, s[0:3], 0 offset:1016
	;; [unrolled: 1-line block ×3, first 2 shown]
	ds_read_b128 v[1:4], v196 offset:1792
	s_waitcnt vmcnt(55) lgkmcnt(1)
	v_mul_f64 v[171:172], v[5:6], v[161:162]
	v_mul_f64 v[161:162], v[7:8], v[161:162]
	s_waitcnt vmcnt(54)
	v_fma_f64 v[177:178], v[135:136], v[197:198], -v[177:178]
	v_add_f64 v[141:142], v[141:142], v[155:156]
	v_fma_f64 v[155:156], v[137:138], v[197:198], v[183:184]
	v_add_f64 v[139:140], v[139:140], v[165:166]
	s_clause 0x1
	buffer_load_dword v166, off, s[0:3], 0 offset:1012
	buffer_load_dword v165, off, s[0:3], 0 offset:1008
	ds_read_b128 v[135:138], v196 offset:1808
	s_waitcnt vmcnt(55) lgkmcnt(1)
	v_mul_f64 v[183:184], v[1:2], v[185:186]
	v_mul_f64 v[185:186], v[3:4], v[185:186]
	s_waitcnt vmcnt(53)
	v_fma_f64 v[161:162], v[5:6], v[173:174], -v[161:162]
	v_fma_f64 v[171:172], v[7:8], v[173:174], v[171:172]
	ds_read_b128 v[5:8], v196 offset:1824
	v_add_f64 v[141:142], v[141:142], v[177:178]
	v_add_f64 v[139:140], v[139:140], v[155:156]
	s_waitcnt vmcnt(49) lgkmcnt(1)
	v_mul_f64 v[155:156], v[135:136], v[169:170]
	v_mul_f64 v[169:170], v[137:138], v[169:170]
	s_waitcnt vmcnt(48)
	v_fma_f64 v[173:174], v[1:2], v[191:192], -v[185:186]
	v_add_f64 v[141:142], v[141:142], v[161:162]
	v_fma_f64 v[161:162], v[3:4], v[191:192], v[183:184]
	v_add_f64 v[139:140], v[139:140], v[171:172]
	s_clause 0x3
	buffer_load_dword v171, off, s[0:3], 0 offset:48
	buffer_load_dword v172, off, s[0:3], 0 offset:52
	;; [unrolled: 1-line block ×4, first 2 shown]
	ds_read_b128 v[1:4], v196 offset:1840
	s_waitcnt vmcnt(51) lgkmcnt(1)
	v_mul_f64 v[185:186], v[7:8], v[187:188]
	v_mul_f64 v[183:184], v[5:6], v[187:188]
	s_waitcnt vmcnt(49)
	v_fma_f64 v[169:170], v[135:136], v[143:144], -v[169:170]
	v_fma_f64 v[143:144], v[137:138], v[143:144], v[155:156]
	ds_read_b128 v[135:138], v196 offset:1856
	v_add_f64 v[141:142], v[141:142], v[173:174]
	v_add_f64 v[139:140], v[139:140], v[161:162]
	s_waitcnt vmcnt(45) lgkmcnt(1)
	v_mul_f64 v[161:162], v[3:4], v[175:176]
	s_waitcnt vmcnt(44)
	v_fma_f64 v[173:174], v[5:6], v[193:194], -v[185:186]
	v_mul_f64 v[155:156], v[1:2], v[175:176]
	v_add_f64 v[141:142], v[141:142], v[169:170]
	v_fma_f64 v[169:170], v[7:8], v[193:194], v[183:184]
	v_add_f64 v[139:140], v[139:140], v[143:144]
	ds_read_b128 v[5:8], v196 offset:1872
	s_waitcnt vmcnt(43) lgkmcnt(1)
	v_mul_f64 v[175:176], v[137:138], v[189:190]
	v_mul_f64 v[143:144], v[135:136], v[189:190]
	s_waitcnt vmcnt(41)
	v_fma_f64 v[161:162], v[1:2], v[181:182], -v[161:162]
	v_fma_f64 v[155:156], v[3:4], v[181:182], v[155:156]
	ds_read_b128 v[1:4], v196 offset:1888
	v_add_f64 v[141:142], v[141:142], v[173:174]
	v_add_f64 v[139:140], v[139:140], v[169:170]
	s_waitcnt vmcnt(37) lgkmcnt(1)
	v_mul_f64 v[173:174], v[7:8], v[179:180]
	s_waitcnt vmcnt(36)
	v_fma_f64 v[175:176], v[135:136], v[205:206], -v[175:176]
	v_mul_f64 v[169:170], v[5:6], v[179:180]
	v_fma_f64 v[143:144], v[137:138], v[205:206], v[143:144]
	ds_read_b128 v[135:138], v196 offset:1904
	v_add_f64 v[141:142], v[141:142], v[161:162]
	v_add_f64 v[139:140], v[139:140], v[155:156]
	s_waitcnt vmcnt(35) lgkmcnt(1)
	v_mul_f64 v[161:162], v[3:4], v[199:200]
	v_mul_f64 v[155:156], v[1:2], v[199:200]
	s_waitcnt vmcnt(33)
	v_fma_f64 v[173:174], v[5:6], v[153:154], -v[173:174]
	v_fma_f64 v[153:154], v[7:8], v[153:154], v[169:170]
	ds_read_b128 v[5:8], v196 offset:1920
	v_add_f64 v[141:142], v[141:142], v[175:176]
	v_add_f64 v[139:140], v[139:140], v[143:144]
	s_waitcnt vmcnt(29) lgkmcnt(1)
	v_mul_f64 v[143:144], v[135:136], v[147:148]
	v_mul_f64 v[147:148], v[137:138], v[147:148]
	s_waitcnt vmcnt(28)
	v_fma_f64 v[161:162], v[1:2], v[209:210], -v[161:162]
	;; [unrolled: 9-line block ×4, first 2 shown]
	v_add_f64 v[141:142], v[141:142], v[147:148]
	v_fma_f64 v[147:148], v[7:8], v[213:214], v[153:154]
	v_add_f64 v[139:140], v[139:140], v[143:144]
	ds_read_b128 v[5:8], v196 offset:1968
	s_waitcnt vmcnt(19) lgkmcnt(1)
	v_mul_f64 v[153:154], v[137:138], v[201:202]
	v_mul_f64 v[143:144], v[135:136], v[201:202]
	s_waitcnt vmcnt(17)
	v_fma_f64 v[155:156], v[1:2], v[157:158], -v[155:156]
	v_fma_f64 v[151:152], v[3:4], v[157:158], v[151:152]
	ds_read_b128 v[1:4], v196 offset:1984
	v_add_f64 v[141:142], v[141:142], v[159:160]
	v_add_f64 v[139:140], v[139:140], v[147:148]
	s_waitcnt vmcnt(13) lgkmcnt(1)
	v_mul_f64 v[147:148], v[5:6], v[145:146]
	v_mul_f64 v[145:146], v[7:8], v[145:146]
	s_waitcnt vmcnt(12)
	v_fma_f64 v[153:154], v[135:136], v[215:216], -v[153:154]
	v_fma_f64 v[143:144], v[137:138], v[215:216], v[143:144]
	ds_read_b128 v[135:138], v196 offset:2000
	v_add_f64 v[141:142], v[141:142], v[155:156]
	v_add_f64 v[139:140], v[139:140], v[151:152]
	s_waitcnt vmcnt(11) lgkmcnt(1)
	v_mul_f64 v[155:156], v[3:4], v[167:168]
	v_mul_f64 v[151:152], v[1:2], v[167:168]
	s_waitcnt vmcnt(9)
	v_fma_f64 v[5:6], v[5:6], v[163:164], -v[145:146]
	v_fma_f64 v[7:8], v[7:8], v[163:164], v[147:148]
	v_add_f64 v[141:142], v[141:142], v[153:154]
	v_add_f64 v[139:140], v[139:140], v[143:144]
	s_waitcnt vmcnt(7) lgkmcnt(0)
	v_mul_f64 v[145:146], v[137:138], v[149:150]
	s_waitcnt vmcnt(6)
	v_fma_f64 v[1:2], v[1:2], v[211:212], -v[155:156]
	v_mul_f64 v[143:144], v[135:136], v[149:150]
	v_fma_f64 v[3:4], v[3:4], v[211:212], v[151:152]
	v_add_f64 v[5:6], v[141:142], v[5:6]
	v_add_f64 v[7:8], v[139:140], v[7:8]
	s_waitcnt vmcnt(4)
	v_fma_f64 v[135:136], v[135:136], v[165:166], -v[145:146]
	v_add_f64 v[1:2], v[5:6], v[1:2]
	v_fma_f64 v[5:6], v[137:138], v[165:166], v[143:144]
	v_add_f64 v[3:4], v[7:8], v[3:4]
	v_add_f64 v[1:2], v[1:2], v[135:136]
	;; [unrolled: 1-line block ×3, first 2 shown]
	s_waitcnt vmcnt(2)
	v_add_f64 v[1:2], v[171:172], -v[1:2]
	s_waitcnt vmcnt(0)
	v_add_f64 v[3:4], v[177:178], -v[3:4]
	buffer_store_dword v2, off, s[0:3], 0 offset:52
	buffer_store_dword v1, off, s[0:3], 0 offset:48
	buffer_store_dword v4, off, s[0:3], 0 offset:60
	buffer_store_dword v3, off, s[0:3], 0 offset:56
	v_cmpx_lt_u32_e32 1, v0
	s_cbranch_execz .LBB126_401
; %bb.400:
	v_mov_b32_e32 v4, s76
	v_mov_b32_e32 v5, 0
	s_clause 0x3
	buffer_load_dword v1, v4, s[0:3], 0 offen
	buffer_load_dword v2, v4, s[0:3], 0 offen offset:4
	buffer_load_dword v3, v4, s[0:3], 0 offen offset:8
	;; [unrolled: 1-line block ×3, first 2 shown]
	buffer_store_dword v5, off, s[0:3], 0 offset:32
	buffer_store_dword v5, off, s[0:3], 0 offset:36
	buffer_store_dword v5, off, s[0:3], 0 offset:40
	buffer_store_dword v5, off, s[0:3], 0 offset:44
	s_waitcnt vmcnt(0)
	ds_write_b128 v195, v[1:4]
.LBB126_401:
	s_or_b32 exec_lo, exec_lo, s4
	s_waitcnt lgkmcnt(0)
	s_waitcnt_vscnt null, 0x0
	s_barrier
	buffer_gl0_inv
	s_clause 0x37
	buffer_load_dword v143, off, s[0:3], 0 offset:56
	buffer_load_dword v144, off, s[0:3], 0 offset:60
	;; [unrolled: 1-line block ×56, first 2 shown]
	v_mov_b32_e32 v196, 0
	s_mov_b32 s4, exec_lo
	ds_read_b128 v[5:8], v196 offset:1040
	s_clause 0x2
	buffer_load_dword v192, off, s[0:3], 0 offset:284
	buffer_load_dword v194, off, s[0:3], 0 offset:260
	;; [unrolled: 1-line block ×3, first 2 shown]
	ds_read_b128 v[1:4], v196 offset:1056
	s_clause 0x4
	buffer_load_dword v204, off, s[0:3], 0 offset:300
	buffer_load_dword v205, off, s[0:3], 0 offset:312
	;; [unrolled: 1-line block ×5, first 2 shown]
	ds_read_b128 v[197:200], v196 offset:1072
	s_waitcnt vmcnt(62) lgkmcnt(2)
	v_mul_f64 v[201:202], v[7:8], v[143:144]
	v_mul_f64 v[143:144], v[5:6], v[143:144]
	s_waitcnt vmcnt(60) lgkmcnt(1)
	v_mul_f64 v[208:209], v[3:4], v[139:140]
	v_mul_f64 v[139:140], v[1:2], v[139:140]
	;; [unrolled: 3-line block ×3, first 2 shown]
	v_fma_f64 v[201:202], v[5:6], v[141:142], -v[201:202]
	v_fma_f64 v[141:142], v[7:8], v[141:142], v[143:144]
	s_clause 0x2
	buffer_load_dword v206, off, s[0:3], 0 offset:316
	buffer_load_dword v144, off, s[0:3], 0 offset:292
	;; [unrolled: 1-line block ×3, first 2 shown]
	s_waitcnt vmcnt(57)
	v_fma_f64 v[212:213], v[1:2], v[135:136], -v[208:209]
	ds_read_b128 v[5:8], v196 offset:1088
	v_fma_f64 v[135:136], v[3:4], v[135:136], v[139:140]
	s_waitcnt vmcnt(51)
	v_fma_f64 v[197:198], v[197:198], v[159:160], -v[137:138]
	v_fma_f64 v[159:160], v[199:200], v[159:160], v[210:211]
	v_add_f64 v[201:202], v[201:202], 0
	v_add_f64 v[139:140], v[141:142], 0
	s_clause 0x4
	buffer_load_dword v142, off, s[0:3], 0 offset:332
	buffer_load_dword v209, off, s[0:3], 0 offset:344
	;; [unrolled: 1-line block ×5, first 2 shown]
	s_waitcnt lgkmcnt(0)
	v_mul_f64 v[215:216], v[5:6], v[147:148]
	v_mul_f64 v[147:148], v[7:8], v[147:148]
	ds_read_b128 v[1:4], v196 offset:1104
	s_clause 0x2
	buffer_load_dword v210, off, s[0:3], 0 offset:348
	buffer_load_dword v200, off, s[0:3], 0 offset:324
	;; [unrolled: 1-line block ×3, first 2 shown]
	v_add_f64 v[201:202], v[201:202], v[212:213]
	v_add_f64 v[139:140], v[139:140], v[135:136]
	ds_read_b128 v[135:138], v196 offset:1120
	s_waitcnt vmcnt(58) lgkmcnt(1)
	v_mul_f64 v[211:212], v[1:2], v[151:152]
	v_mul_f64 v[151:152], v[3:4], v[151:152]
	s_waitcnt vmcnt(56)
	v_fma_f64 v[147:148], v[5:6], v[153:154], -v[147:148]
	v_fma_f64 v[153:154], v[7:8], v[153:154], v[215:216]
	s_waitcnt vmcnt(52) lgkmcnt(0)
	v_mul_f64 v[217:218], v[135:136], v[155:156]
	v_add_f64 v[197:198], v[201:202], v[197:198]
	v_add_f64 v[139:140], v[139:140], v[159:160]
	s_clause 0x4
	buffer_load_dword v160, off, s[0:3], 0 offset:364
	buffer_load_dword v201, off, s[0:3], 0 offset:376
	;; [unrolled: 1-line block ×5, first 2 shown]
	v_mul_f64 v[155:156], v[137:138], v[155:156]
	s_waitcnt vmcnt(56)
	v_fma_f64 v[151:152], v[1:2], v[145:146], -v[151:152]
	ds_read_b128 v[5:8], v196 offset:1136
	v_fma_f64 v[145:146], v[3:4], v[145:146], v[211:212]
	v_add_f64 v[147:148], v[197:198], v[147:148]
	v_add_f64 v[139:140], v[139:140], v[153:154]
	s_clause 0x2
	buffer_load_dword v202, off, s[0:3], 0 offset:380
	buffer_load_dword v154, off, s[0:3], 0 offset:356
	;; [unrolled: 1-line block ×3, first 2 shown]
	s_waitcnt vmcnt(58) lgkmcnt(0)
	v_mul_f64 v[197:198], v[5:6], v[161:162]
	v_mul_f64 v[161:162], v[7:8], v[161:162]
	s_waitcnt vmcnt(56)
	v_fma_f64 v[155:156], v[135:136], v[163:164], -v[155:156]
	ds_read_b128 v[1:4], v196 offset:1152
	v_add_f64 v[147:148], v[147:148], v[151:152]
	v_fma_f64 v[151:152], v[137:138], v[163:164], v[217:218]
	v_add_f64 v[139:140], v[139:140], v[145:146]
	s_clause 0x4
	buffer_load_dword v146, off, s[0:3], 0 offset:396
	buffer_load_dword v163, off, s[0:3], 0 offset:408
	;; [unrolled: 1-line block ×5, first 2 shown]
	s_waitcnt vmcnt(57) lgkmcnt(0)
	v_mul_f64 v[212:213], v[1:2], v[165:166]
	v_mul_f64 v[165:166], v[3:4], v[165:166]
	s_waitcnt vmcnt(56)
	v_fma_f64 v[161:162], v[5:6], v[149:150], -v[161:162]
	ds_read_b128 v[135:138], v196 offset:1168
	v_fma_f64 v[149:150], v[7:8], v[149:150], v[197:198]
	v_add_f64 v[147:148], v[147:148], v[155:156]
	v_add_f64 v[139:140], v[139:140], v[151:152]
	s_clause 0x2
	buffer_load_dword v164, off, s[0:3], 0 offset:412
	buffer_load_dword v152, off, s[0:3], 0 offset:388
	;; [unrolled: 1-line block ×3, first 2 shown]
	ds_read_b128 v[5:8], v196 offset:1184
	s_waitcnt vmcnt(58) lgkmcnt(1)
	v_mul_f64 v[155:156], v[135:136], v[169:170]
	v_mul_f64 v[169:170], v[137:138], v[169:170]
	s_waitcnt vmcnt(56)
	v_fma_f64 v[165:166], v[1:2], v[171:172], -v[165:166]
	v_add_f64 v[147:148], v[147:148], v[161:162]
	v_fma_f64 v[161:162], v[3:4], v[171:172], v[212:213]
	v_add_f64 v[139:140], v[139:140], v[149:150]
	s_clause 0x4
	buffer_load_dword v150, off, s[0:3], 0 offset:428
	buffer_load_dword v171, off, s[0:3], 0 offset:440
	;; [unrolled: 1-line block ×5, first 2 shown]
	s_waitcnt vmcnt(57) lgkmcnt(0)
	v_mul_f64 v[218:219], v[5:6], v[173:174]
	v_mul_f64 v[173:174], v[7:8], v[173:174]
	s_waitcnt vmcnt(56)
	v_fma_f64 v[169:170], v[135:136], v[157:158], -v[169:170]
	ds_read_b128 v[1:4], v196 offset:1200
	v_fma_f64 v[155:156], v[137:138], v[157:158], v[155:156]
	s_clause 0x2
	buffer_load_dword v172, off, s[0:3], 0 offset:444
	buffer_load_dword v158, off, s[0:3], 0 offset:420
	;; [unrolled: 1-line block ×3, first 2 shown]
	ds_read_b128 v[135:138], v196 offset:1216
	v_add_f64 v[147:148], v[147:148], v[165:166]
	v_add_f64 v[139:140], v[139:140], v[161:162]
	s_waitcnt vmcnt(58) lgkmcnt(1)
	v_mul_f64 v[165:166], v[3:4], v[177:178]
	s_waitcnt vmcnt(56)
	v_fma_f64 v[173:174], v[5:6], v[179:180], -v[173:174]
	v_mul_f64 v[161:162], v[1:2], v[177:178]
	v_add_f64 v[147:148], v[147:148], v[169:170]
	v_fma_f64 v[169:170], v[7:8], v[179:180], v[218:219]
	v_add_f64 v[139:140], v[139:140], v[155:156]
	s_clause 0x4
	buffer_load_dword v156, off, s[0:3], 0 offset:460
	buffer_load_dword v177, off, s[0:3], 0 offset:472
	;; [unrolled: 1-line block ×5, first 2 shown]
	s_waitcnt vmcnt(57) lgkmcnt(0)
	v_mul_f64 v[218:219], v[135:136], v[181:182]
	v_mul_f64 v[180:181], v[137:138], v[181:182]
	s_waitcnt vmcnt(56)
	v_fma_f64 v[165:166], v[1:2], v[167:168], -v[165:166]
	ds_read_b128 v[5:8], v196 offset:1232
	v_fma_f64 v[161:162], v[3:4], v[167:168], v[161:162]
	s_clause 0x2
	buffer_load_dword v178, off, s[0:3], 0 offset:476
	buffer_load_dword v168, off, s[0:3], 0 offset:452
	;; [unrolled: 1-line block ×3, first 2 shown]
	ds_read_b128 v[1:4], v196 offset:1248
	v_add_f64 v[147:148], v[147:148], v[173:174]
	v_add_f64 v[139:140], v[139:140], v[169:170]
	s_waitcnt vmcnt(58) lgkmcnt(1)
	v_mul_f64 v[173:174], v[7:8], v[185:186]
	s_waitcnt vmcnt(56)
	v_fma_f64 v[181:182], v[135:136], v[187:188], -v[180:181]
	v_mul_f64 v[169:170], v[5:6], v[185:186]
	v_add_f64 v[147:148], v[147:148], v[165:166]
	v_fma_f64 v[165:166], v[137:138], v[187:188], v[218:219]
	v_add_f64 v[139:140], v[139:140], v[161:162]
	s_clause 0x4
	buffer_load_dword v162, off, s[0:3], 0 offset:492
	buffer_load_dword v185, off, s[0:3], 0 offset:504
	buffer_load_dword v187, off, s[0:3], 0 offset:496
	buffer_load_dword v161, off, s[0:3], 0 offset:488
	buffer_load_dword v180, off, s[0:3], 0 offset:468
	s_waitcnt vmcnt(57) lgkmcnt(0)
	v_mul_f64 v[218:219], v[1:2], v[189:190]
	v_mul_f64 v[188:189], v[3:4], v[189:190]
	s_waitcnt vmcnt(56)
	v_fma_f64 v[173:174], v[5:6], v[175:176], -v[173:174]
	ds_read_b128 v[135:138], v196 offset:1264
	v_fma_f64 v[169:170], v[7:8], v[175:176], v[169:170]
	v_add_f64 v[147:148], v[147:148], v[181:182]
	v_add_f64 v[139:140], v[139:140], v[165:166]
	s_clause 0x2
	buffer_load_dword v186, off, s[0:3], 0 offset:508
	buffer_load_dword v166, off, s[0:3], 0 offset:484
	;; [unrolled: 1-line block ×3, first 2 shown]
	ds_read_b128 v[5:8], v196 offset:1280
	s_waitcnt vmcnt(58) lgkmcnt(1)
	v_mul_f64 v[181:182], v[137:138], v[191:192]
	s_waitcnt vmcnt(56)
	v_fma_f64 v[189:190], v[1:2], v[193:194], -v[188:189]
	v_mul_f64 v[175:176], v[135:136], v[191:192]
	v_add_f64 v[147:148], v[147:148], v[173:174]
	v_fma_f64 v[173:174], v[3:4], v[193:194], v[218:219]
	v_add_f64 v[139:140], v[139:140], v[169:170]
	s_clause 0x4
	buffer_load_dword v170, off, s[0:3], 0 offset:524
	buffer_load_dword v191, off, s[0:3], 0 offset:536
	;; [unrolled: 1-line block ×5, first 2 shown]
	s_waitcnt vmcnt(57) lgkmcnt(0)
	v_mul_f64 v[218:219], v[5:6], v[203:204]
	v_mul_f64 v[203:204], v[7:8], v[203:204]
	s_waitcnt vmcnt(56)
	v_fma_f64 v[181:182], v[135:136], v[183:184], -v[181:182]
	ds_read_b128 v[1:4], v196 offset:1296
	v_fma_f64 v[175:176], v[137:138], v[183:184], v[175:176]
	v_add_f64 v[147:148], v[147:148], v[189:190]
	v_add_f64 v[139:140], v[139:140], v[173:174]
	s_clause 0x2
	buffer_load_dword v192, off, s[0:3], 0 offset:540
	buffer_load_dword v174, off, s[0:3], 0 offset:516
	;; [unrolled: 1-line block ×3, first 2 shown]
	ds_read_b128 v[135:138], v196 offset:1312
	s_waitcnt vmcnt(58) lgkmcnt(1)
	v_mul_f64 v[189:190], v[3:4], v[205:206]
	v_mul_f64 v[183:184], v[1:2], v[205:206]
	s_waitcnt vmcnt(56)
	v_fma_f64 v[203:204], v[5:6], v[143:144], -v[203:204]
	v_fma_f64 v[143:144], v[7:8], v[143:144], v[218:219]
	v_add_f64 v[147:148], v[147:148], v[181:182]
	v_add_f64 v[139:140], v[139:140], v[175:176]
	s_clause 0x4
	buffer_load_dword v176, off, s[0:3], 0 offset:556
	buffer_load_dword v181, off, s[0:3], 0 offset:568
	;; [unrolled: 1-line block ×5, first 2 shown]
	ds_read_b128 v[5:8], v196 offset:1328
	s_waitcnt vmcnt(57) lgkmcnt(1)
	v_mul_f64 v[218:219], v[135:136], v[141:142]
	v_mul_f64 v[141:142], v[137:138], v[141:142]
	s_waitcnt vmcnt(56)
	v_fma_f64 v[189:190], v[1:2], v[207:208], -v[189:190]
	v_fma_f64 v[183:184], v[3:4], v[207:208], v[183:184]
	v_add_f64 v[147:148], v[147:148], v[203:204]
	v_add_f64 v[139:140], v[139:140], v[143:144]
	s_clause 0x2
	buffer_load_dword v182, off, s[0:3], 0 offset:572
	buffer_load_dword v144, off, s[0:3], 0 offset:548
	;; [unrolled: 1-line block ×3, first 2 shown]
	s_waitcnt vmcnt(58) lgkmcnt(0)
	v_mul_f64 v[207:208], v[7:8], v[209:210]
	ds_read_b128 v[1:4], v196 offset:1344
	v_mul_f64 v[203:204], v[5:6], v[209:210]
	s_waitcnt vmcnt(56)
	v_fma_f64 v[141:142], v[135:136], v[199:200], -v[141:142]
	v_add_f64 v[147:148], v[147:148], v[189:190]
	v_fma_f64 v[189:190], v[137:138], v[199:200], v[218:219]
	v_add_f64 v[139:140], v[139:140], v[183:184]
	s_clause 0x4
	buffer_load_dword v184, off, s[0:3], 0 offset:588
	buffer_load_dword v199, off, s[0:3], 0 offset:600
	;; [unrolled: 1-line block ×5, first 2 shown]
	ds_read_b128 v[135:138], v196 offset:1360
	s_waitcnt vmcnt(57) lgkmcnt(1)
	v_mul_f64 v[218:219], v[1:2], v[159:160]
	v_mul_f64 v[159:160], v[3:4], v[159:160]
	s_waitcnt vmcnt(56)
	v_fma_f64 v[207:208], v[5:6], v[214:215], -v[207:208]
	v_add_f64 v[141:142], v[147:148], v[141:142]
	v_fma_f64 v[147:148], v[7:8], v[214:215], v[203:204]
	v_add_f64 v[139:140], v[139:140], v[189:190]
	s_clause 0x2
	buffer_load_dword v200, off, s[0:3], 0 offset:604
	buffer_load_dword v190, off, s[0:3], 0 offset:580
	;; [unrolled: 1-line block ×3, first 2 shown]
	ds_read_b128 v[5:8], v196 offset:1376
	s_waitcnt vmcnt(58) lgkmcnt(1)
	v_mul_f64 v[203:204], v[135:136], v[201:202]
	v_mul_f64 v[201:202], v[137:138], v[201:202]
	s_waitcnt vmcnt(56)
	v_fma_f64 v[159:160], v[1:2], v[153:154], -v[159:160]
	v_fma_f64 v[153:154], v[3:4], v[153:154], v[218:219]
	v_add_f64 v[141:142], v[141:142], v[207:208]
	v_add_f64 v[139:140], v[139:140], v[147:148]
	s_clause 0x4
	buffer_load_dword v148, off, s[0:3], 0 offset:620
	buffer_load_dword v207, off, s[0:3], 0 offset:632
	;; [unrolled: 1-line block ×5, first 2 shown]
	ds_read_b128 v[1:4], v196 offset:1392
	s_waitcnt vmcnt(57) lgkmcnt(1)
	v_mul_f64 v[214:215], v[5:6], v[145:146]
	v_mul_f64 v[145:146], v[7:8], v[145:146]
	s_waitcnt vmcnt(56)
	v_fma_f64 v[201:202], v[135:136], v[216:217], -v[201:202]
	v_add_f64 v[141:142], v[141:142], v[159:160]
	v_fma_f64 v[159:160], v[137:138], v[216:217], v[203:204]
	v_add_f64 v[139:140], v[139:140], v[153:154]
	s_clause 0x2
	buffer_load_dword v208, off, s[0:3], 0 offset:636
	buffer_load_dword v154, off, s[0:3], 0 offset:612
	;; [unrolled: 1-line block ×3, first 2 shown]
	ds_read_b128 v[135:138], v196 offset:1408
	s_waitcnt vmcnt(58) lgkmcnt(1)
	v_mul_f64 v[203:204], v[1:2], v[163:164]
	v_mul_f64 v[163:164], v[3:4], v[163:164]
	s_waitcnt vmcnt(56)
	v_fma_f64 v[145:146], v[5:6], v[151:152], -v[145:146]
	v_fma_f64 v[151:152], v[7:8], v[151:152], v[214:215]
	v_add_f64 v[141:142], v[141:142], v[201:202]
	v_add_f64 v[139:140], v[139:140], v[159:160]
	s_clause 0x4
	buffer_load_dword v160, off, s[0:3], 0 offset:652
	buffer_load_dword v201, off, s[0:3], 0 offset:664
	;; [unrolled: 1-line block ×5, first 2 shown]
	ds_read_b128 v[5:8], v196 offset:1424
	s_waitcnt vmcnt(57) lgkmcnt(1)
	v_mul_f64 v[216:217], v[135:136], v[149:150]
	v_mul_f64 v[149:150], v[137:138], v[149:150]
	s_waitcnt vmcnt(56)
	v_fma_f64 v[163:164], v[1:2], v[211:212], -v[163:164]
	v_add_f64 v[141:142], v[141:142], v[145:146]
	v_fma_f64 v[145:146], v[3:4], v[211:212], v[203:204]
	v_add_f64 v[139:140], v[139:140], v[151:152]
	s_clause 0x2
	buffer_load_dword v202, off, s[0:3], 0 offset:668
	buffer_load_dword v152, off, s[0:3], 0 offset:644
	;; [unrolled: 1-line block ×3, first 2 shown]
	s_waitcnt vmcnt(58) lgkmcnt(0)
	v_mul_f64 v[203:204], v[5:6], v[171:172]
	v_mul_f64 v[171:172], v[7:8], v[171:172]
	ds_read_b128 v[1:4], v196 offset:1440
	s_waitcnt vmcnt(56)
	v_fma_f64 v[149:150], v[135:136], v[157:158], -v[149:150]
	v_fma_f64 v[157:158], v[137:138], v[157:158], v[216:217]
	v_add_f64 v[141:142], v[141:142], v[163:164]
	v_add_f64 v[139:140], v[139:140], v[145:146]
	s_clause 0x4
	buffer_load_dword v146, off, s[0:3], 0 offset:684
	buffer_load_dword v163, off, s[0:3], 0 offset:696
	;; [unrolled: 1-line block ×5, first 2 shown]
	ds_read_b128 v[135:138], v196 offset:1456
	s_waitcnt vmcnt(57) lgkmcnt(1)
	v_mul_f64 v[217:218], v[1:2], v[155:156]
	v_mul_f64 v[155:156], v[3:4], v[155:156]
	s_waitcnt vmcnt(56)
	v_fma_f64 v[171:172], v[5:6], v[197:198], -v[171:172]
	v_add_f64 v[141:142], v[141:142], v[149:150]
	v_fma_f64 v[149:150], v[7:8], v[197:198], v[203:204]
	v_add_f64 v[139:140], v[139:140], v[157:158]
	s_clause 0x2
	buffer_load_dword v164, off, s[0:3], 0 offset:700
	buffer_load_dword v158, off, s[0:3], 0 offset:676
	;; [unrolled: 1-line block ×3, first 2 shown]
	s_waitcnt vmcnt(58) lgkmcnt(0)
	v_mul_f64 v[197:198], v[135:136], v[177:178]
	v_mul_f64 v[177:178], v[137:138], v[177:178]
	ds_read_b128 v[5:8], v196 offset:1472
	s_waitcnt vmcnt(56)
	v_fma_f64 v[155:156], v[1:2], v[167:168], -v[155:156]
	v_fma_f64 v[167:168], v[3:4], v[167:168], v[217:218]
	v_add_f64 v[141:142], v[141:142], v[171:172]
	v_add_f64 v[139:140], v[139:140], v[149:150]
	s_clause 0x4
	buffer_load_dword v150, off, s[0:3], 0 offset:716
	buffer_load_dword v171, off, s[0:3], 0 offset:728
	buffer_load_dword v203, off, s[0:3], 0 offset:720
	buffer_load_dword v149, off, s[0:3], 0 offset:712
	buffer_load_dword v212, off, s[0:3], 0 offset:692
	ds_read_b128 v[1:4], v196 offset:1488
	s_waitcnt vmcnt(57) lgkmcnt(1)
	v_mul_f64 v[217:218], v[5:6], v[161:162]
	v_mul_f64 v[161:162], v[7:8], v[161:162]
	s_waitcnt vmcnt(56)
	v_fma_f64 v[177:178], v[135:136], v[179:180], -v[177:178]
	v_add_f64 v[141:142], v[141:142], v[155:156]
	v_fma_f64 v[155:156], v[137:138], v[179:180], v[197:198]
	v_add_f64 v[139:140], v[139:140], v[167:168]
	s_clause 0x2
	buffer_load_dword v172, off, s[0:3], 0 offset:732
	buffer_load_dword v168, off, s[0:3], 0 offset:708
	buffer_load_dword v167, off, s[0:3], 0 offset:704
	ds_read_b128 v[135:138], v196 offset:1504
	s_waitcnt vmcnt(58) lgkmcnt(1)
	v_mul_f64 v[179:180], v[1:2], v[185:186]
	v_mul_f64 v[185:186], v[3:4], v[185:186]
	s_waitcnt vmcnt(56)
	v_fma_f64 v[161:162], v[5:6], v[165:166], -v[161:162]
	v_fma_f64 v[165:166], v[7:8], v[165:166], v[217:218]
	v_add_f64 v[141:142], v[141:142], v[177:178]
	v_add_f64 v[139:140], v[139:140], v[155:156]
	s_clause 0x4
	buffer_load_dword v156, off, s[0:3], 0 offset:748
	buffer_load_dword v177, off, s[0:3], 0 offset:760
	buffer_load_dword v197, off, s[0:3], 0 offset:752
	buffer_load_dword v155, off, s[0:3], 0 offset:744
	buffer_load_dword v204, off, s[0:3], 0 offset:724
	ds_read_b128 v[5:8], v196 offset:1520
	s_waitcnt vmcnt(57) lgkmcnt(1)
	v_mul_f64 v[217:218], v[135:136], v[169:170]
	v_mul_f64 v[169:170], v[137:138], v[169:170]
	s_waitcnt vmcnt(56)
	v_fma_f64 v[185:186], v[1:2], v[187:188], -v[185:186]
	v_add_f64 v[141:142], v[141:142], v[161:162]
	v_fma_f64 v[161:162], v[3:4], v[187:188], v[179:180]
	v_add_f64 v[139:140], v[139:140], v[165:166]
	s_clause 0x2
	buffer_load_dword v178, off, s[0:3], 0 offset:764
	buffer_load_dword v166, off, s[0:3], 0 offset:740
	buffer_load_dword v165, off, s[0:3], 0 offset:736
	ds_read_b128 v[1:4], v196 offset:1536
	s_waitcnt vmcnt(58) lgkmcnt(1)
	v_mul_f64 v[187:188], v[7:8], v[191:192]
	v_mul_f64 v[179:180], v[5:6], v[191:192]
	;; [unrolled: 28-line block ×4, first 2 shown]
	s_waitcnt vmcnt(56)
	v_fma_f64 v[183:184], v[5:6], v[189:190], -v[183:184]
	v_add_f64 v[141:142], v[141:142], v[181:182]
	v_fma_f64 v[181:182], v[7:8], v[189:190], v[217:218]
	v_add_f64 v[139:140], v[139:140], v[175:176]
	s_clause 0x4
	buffer_load_dword v176, off, s[0:3], 0 offset:844
	buffer_load_dword v189, off, s[0:3], 0 offset:856
	;; [unrolled: 1-line block ×5, first 2 shown]
	ds_read_b128 v[5:8], v196 offset:1616
	s_waitcnt vmcnt(57) lgkmcnt(1)
	v_mul_f64 v[217:218], v[135:136], v[147:148]
	v_mul_f64 v[147:148], v[137:138], v[147:148]
	s_waitcnt vmcnt(56)
	v_fma_f64 v[199:200], v[1:2], v[209:210], -v[199:200]
	v_fma_f64 v[179:180], v[3:4], v[209:210], v[179:180]
	v_add_f64 v[141:142], v[141:142], v[183:184]
	v_add_f64 v[139:140], v[139:140], v[181:182]
	s_clause 0x2
	buffer_load_dword v190, off, s[0:3], 0 offset:860
	buffer_load_dword v182, off, s[0:3], 0 offset:836
	buffer_load_dword v181, off, s[0:3], 0 offset:832
	ds_read_b128 v[1:4], v196 offset:1632
	s_waitcnt vmcnt(58) lgkmcnt(1)
	v_mul_f64 v[183:184], v[5:6], v[207:208]
	v_mul_f64 v[207:208], v[7:8], v[207:208]
	s_waitcnt vmcnt(56)
	v_fma_f64 v[147:148], v[135:136], v[153:154], -v[147:148]
	v_fma_f64 v[153:154], v[137:138], v[153:154], v[217:218]
	v_add_f64 v[141:142], v[141:142], v[199:200]
	v_add_f64 v[139:140], v[139:140], v[179:180]
	s_clause 0x4
	buffer_load_dword v180, off, s[0:3], 0 offset:876
	buffer_load_dword v199, off, s[0:3], 0 offset:888
	buffer_load_dword v209, off, s[0:3], 0 offset:880
	buffer_load_dword v179, off, s[0:3], 0 offset:872
	buffer_load_dword v206, off, s[0:3], 0 offset:852
	ds_read_b128 v[135:138], v196 offset:1648
	s_waitcnt vmcnt(57) lgkmcnt(1)
	v_mul_f64 v[217:218], v[1:2], v[159:160]
	v_mul_f64 v[159:160], v[3:4], v[159:160]
	s_waitcnt vmcnt(56)
	v_fma_f64 v[207:208], v[5:6], v[213:214], -v[207:208]
	v_add_f64 v[141:142], v[141:142], v[147:148]
	v_fma_f64 v[147:148], v[7:8], v[213:214], v[183:184]
	v_add_f64 v[139:140], v[139:140], v[153:154]
	s_clause 0x2
	buffer_load_dword v200, off, s[0:3], 0 offset:892
	buffer_load_dword v154, off, s[0:3], 0 offset:868
	buffer_load_dword v153, off, s[0:3], 0 offset:864
	ds_read_b128 v[5:8], v196 offset:1664
	s_waitcnt vmcnt(58) lgkmcnt(1)
	v_mul_f64 v[183:184], v[135:136], v[201:202]
	v_mul_f64 v[201:202], v[137:138], v[201:202]
	s_waitcnt vmcnt(56)
	v_fma_f64 v[159:160], v[1:2], v[151:152], -v[159:160]
	v_fma_f64 v[151:152], v[3:4], v[151:152], v[217:218]
	v_add_f64 v[141:142], v[141:142], v[207:208]
	v_add_f64 v[139:140], v[139:140], v[147:148]
	s_clause 0x4
	buffer_load_dword v148, off, s[0:3], 0 offset:908
	buffer_load_dword v207, off, s[0:3], 0 offset:920
	buffer_load_dword v213, off, s[0:3], 0 offset:912
	buffer_load_dword v147, off, s[0:3], 0 offset:904
	buffer_load_dword v210, off, s[0:3], 0 offset:884
	ds_read_b128 v[1:4], v196 offset:1680
	s_waitcnt vmcnt(57) lgkmcnt(1)
	v_mul_f64 v[217:218], v[5:6], v[145:146]
	v_mul_f64 v[145:146], v[7:8], v[145:146]
	s_waitcnt vmcnt(56)
	v_fma_f64 v[201:202], v[135:136], v[215:216], -v[201:202]
	v_add_f64 v[141:142], v[141:142], v[159:160]
	v_fma_f64 v[159:160], v[137:138], v[215:216], v[183:184]
	;; [unrolled: 28-line block ×3, first 2 shown]
	v_add_f64 v[139:140], v[139:140], v[157:158]
	s_clause 0x2
	buffer_load_dword v202, off, s[0:3], 0 offset:956
	buffer_load_dword v158, off, s[0:3], 0 offset:932
	;; [unrolled: 1-line block ×3, first 2 shown]
	ds_read_b128 v[1:4], v196 offset:1728
	s_waitcnt vmcnt(58) lgkmcnt(1)
	v_mul_f64 v[183:184], v[5:6], v[171:172]
	v_mul_f64 v[171:172], v[7:8], v[171:172]
	s_waitcnt vmcnt(56)
	v_fma_f64 v[149:150], v[135:136], v[167:168], -v[149:150]
	v_add_f64 v[141:142], v[141:142], v[163:164]
	v_fma_f64 v[163:164], v[137:138], v[167:168], v[216:217]
	v_add_f64 v[139:140], v[139:140], v[145:146]
	s_clause 0x4
	buffer_load_dword v146, off, s[0:3], 0 offset:972
	buffer_load_dword v167, off, s[0:3], 0 offset:984
	;; [unrolled: 1-line block ×5, first 2 shown]
	ds_read_b128 v[135:138], v196 offset:1744
	s_waitcnt vmcnt(57) lgkmcnt(1)
	v_mul_f64 v[217:218], v[1:2], v[155:156]
	v_mul_f64 v[155:156], v[3:4], v[155:156]
	s_waitcnt vmcnt(56)
	v_fma_f64 v[171:172], v[5:6], v[203:204], -v[171:172]
	v_add_f64 v[141:142], v[141:142], v[149:150]
	v_fma_f64 v[149:150], v[7:8], v[203:204], v[183:184]
	v_add_f64 v[139:140], v[139:140], v[163:164]
	s_clause 0x2
	buffer_load_dword v168, off, s[0:3], 0 offset:988
	buffer_load_dword v164, off, s[0:3], 0 offset:964
	buffer_load_dword v163, off, s[0:3], 0 offset:960
	ds_read_b128 v[5:8], v196 offset:1760
	s_waitcnt vmcnt(58) lgkmcnt(1)
	v_mul_f64 v[183:184], v[135:136], v[177:178]
	v_mul_f64 v[177:178], v[137:138], v[177:178]
	s_waitcnt vmcnt(56)
	v_fma_f64 v[155:156], v[1:2], v[165:166], -v[155:156]
	v_fma_f64 v[165:166], v[3:4], v[165:166], v[217:218]
	v_add_f64 v[141:142], v[141:142], v[171:172]
	v_add_f64 v[139:140], v[139:140], v[149:150]
	s_clause 0x4
	buffer_load_dword v150, off, s[0:3], 0 offset:1004
	buffer_load_dword v171, off, s[0:3], 0 offset:1016
	;; [unrolled: 1-line block ×5, first 2 shown]
	ds_read_b128 v[1:4], v196 offset:1776
	s_waitcnt vmcnt(57) lgkmcnt(1)
	v_mul_f64 v[217:218], v[5:6], v[161:162]
	v_mul_f64 v[161:162], v[7:8], v[161:162]
	s_waitcnt vmcnt(56)
	v_fma_f64 v[177:178], v[135:136], v[197:198], -v[177:178]
	v_add_f64 v[141:142], v[141:142], v[155:156]
	v_fma_f64 v[155:156], v[137:138], v[197:198], v[183:184]
	v_add_f64 v[139:140], v[139:140], v[165:166]
	s_clause 0x2
	buffer_load_dword v172, off, s[0:3], 0 offset:1020
	buffer_load_dword v166, off, s[0:3], 0 offset:996
	;; [unrolled: 1-line block ×3, first 2 shown]
	ds_read_b128 v[135:138], v196 offset:1792
	buffer_load_dword v204, off, s[0:3], 0 offset:1012
	s_waitcnt vmcnt(59) lgkmcnt(1)
	v_mul_f64 v[183:184], v[1:2], v[185:186]
	v_mul_f64 v[185:186], v[3:4], v[185:186]
	s_waitcnt vmcnt(57)
	v_fma_f64 v[161:162], v[5:6], v[173:174], -v[161:162]
	v_fma_f64 v[173:174], v[7:8], v[173:174], v[217:218]
	ds_read_b128 v[5:8], v196 offset:1808
	v_add_f64 v[141:142], v[141:142], v[177:178]
	v_add_f64 v[139:140], v[139:140], v[155:156]
	s_waitcnt vmcnt(53) lgkmcnt(1)
	v_mul_f64 v[155:156], v[135:136], v[169:170]
	v_mul_f64 v[169:170], v[137:138], v[169:170]
	s_waitcnt vmcnt(52)
	v_fma_f64 v[177:178], v[1:2], v[191:192], -v[185:186]
	v_add_f64 v[141:142], v[141:142], v[161:162]
	v_fma_f64 v[161:162], v[3:4], v[191:192], v[183:184]
	v_add_f64 v[139:140], v[139:140], v[173:174]
	ds_read_b128 v[1:4], v196 offset:1824
	s_waitcnt vmcnt(51) lgkmcnt(1)
	v_mul_f64 v[183:184], v[7:8], v[187:188]
	v_mul_f64 v[173:174], v[5:6], v[187:188]
	s_waitcnt vmcnt(49)
	v_fma_f64 v[169:170], v[135:136], v[143:144], -v[169:170]
	v_fma_f64 v[143:144], v[137:138], v[143:144], v[155:156]
	v_add_f64 v[141:142], v[141:142], v[177:178]
	v_add_f64 v[139:140], v[139:140], v[161:162]
	s_clause 0x3
	buffer_load_dword v155, off, s[0:3], 0 offset:32
	buffer_load_dword v156, off, s[0:3], 0 offset:36
	;; [unrolled: 1-line block ×4, first 2 shown]
	ds_read_b128 v[135:138], v196 offset:1840
	s_waitcnt vmcnt(49) lgkmcnt(1)
	v_mul_f64 v[177:178], v[1:2], v[175:176]
	v_mul_f64 v[175:176], v[3:4], v[175:176]
	s_waitcnt vmcnt(48)
	v_fma_f64 v[183:184], v[5:6], v[193:194], -v[183:184]
	v_add_f64 v[141:142], v[141:142], v[169:170]
	v_fma_f64 v[169:170], v[7:8], v[193:194], v[173:174]
	v_add_f64 v[139:140], v[139:140], v[143:144]
	ds_read_b128 v[5:8], v196 offset:1856
	s_waitcnt vmcnt(47) lgkmcnt(1)
	v_mul_f64 v[173:174], v[137:138], v[189:190]
	v_mul_f64 v[143:144], v[135:136], v[189:190]
	s_waitcnt vmcnt(45)
	v_fma_f64 v[175:176], v[1:2], v[181:182], -v[175:176]
	v_fma_f64 v[177:178], v[3:4], v[181:182], v[177:178]
	ds_read_b128 v[1:4], v196 offset:1872
	v_add_f64 v[141:142], v[141:142], v[183:184]
	v_add_f64 v[139:140], v[139:140], v[169:170]
	s_waitcnt vmcnt(41) lgkmcnt(1)
	v_mul_f64 v[169:170], v[5:6], v[179:180]
	v_mul_f64 v[179:180], v[7:8], v[179:180]
	s_waitcnt vmcnt(40)
	v_fma_f64 v[173:174], v[135:136], v[205:206], -v[173:174]
	v_fma_f64 v[143:144], v[137:138], v[205:206], v[143:144]
	ds_read_b128 v[135:138], v196 offset:1888
	v_add_f64 v[141:142], v[141:142], v[175:176]
	v_add_f64 v[139:140], v[139:140], v[177:178]
	;; [unrolled: 9-line block ×5, first 2 shown]
	s_waitcnt vmcnt(25) lgkmcnt(1)
	v_mul_f64 v[151:152], v[1:2], v[159:160]
	v_mul_f64 v[159:160], v[3:4], v[159:160]
	s_waitcnt vmcnt(24)
	v_fma_f64 v[169:170], v[5:6], v[213:214], -v[175:176]
	v_add_f64 v[141:142], v[141:142], v[147:148]
	v_fma_f64 v[147:148], v[7:8], v[213:214], v[153:154]
	v_add_f64 v[139:140], v[139:140], v[143:144]
	ds_read_b128 v[5:8], v196 offset:1952
	s_waitcnt vmcnt(23) lgkmcnt(1)
	v_mul_f64 v[153:154], v[137:138], v[201:202]
	v_mul_f64 v[143:144], v[135:136], v[201:202]
	s_waitcnt vmcnt(21)
	v_fma_f64 v[159:160], v[1:2], v[157:158], -v[159:160]
	v_fma_f64 v[151:152], v[3:4], v[157:158], v[151:152]
	ds_read_b128 v[1:4], v196 offset:1968
	v_add_f64 v[141:142], v[141:142], v[169:170]
	v_add_f64 v[139:140], v[139:140], v[147:148]
	s_waitcnt vmcnt(17) lgkmcnt(1)
	v_mul_f64 v[147:148], v[5:6], v[145:146]
	v_mul_f64 v[145:146], v[7:8], v[145:146]
	s_waitcnt vmcnt(16)
	v_fma_f64 v[153:154], v[135:136], v[215:216], -v[153:154]
	v_fma_f64 v[143:144], v[137:138], v[215:216], v[143:144]
	ds_read_b128 v[135:138], v196 offset:1984
	v_add_f64 v[141:142], v[141:142], v[159:160]
	v_add_f64 v[139:140], v[139:140], v[151:152]
	;; [unrolled: 9-line block ×3, first 2 shown]
	s_waitcnt vmcnt(9) lgkmcnt(1)
	v_mul_f64 v[143:144], v[135:136], v[149:150]
	v_mul_f64 v[149:150], v[137:138], v[149:150]
	s_waitcnt vmcnt(8)
	v_fma_f64 v[1:2], v[1:2], v[211:212], -v[157:158]
	v_fma_f64 v[3:4], v[3:4], v[211:212], v[151:152]
	v_add_f64 v[141:142], v[141:142], v[145:146]
	v_add_f64 v[139:140], v[139:140], v[147:148]
	s_waitcnt vmcnt(7) lgkmcnt(0)
	v_mul_f64 v[147:148], v[7:8], v[171:172]
	v_mul_f64 v[145:146], v[5:6], v[171:172]
	s_waitcnt vmcnt(5)
	v_fma_f64 v[135:136], v[135:136], v[165:166], -v[149:150]
	v_fma_f64 v[137:138], v[137:138], v[165:166], v[143:144]
	v_add_f64 v[1:2], v[141:142], v[1:2]
	v_add_f64 v[3:4], v[139:140], v[3:4]
	s_waitcnt vmcnt(4)
	v_fma_f64 v[5:6], v[5:6], v[203:204], -v[147:148]
	v_fma_f64 v[7:8], v[7:8], v[203:204], v[145:146]
	v_add_f64 v[1:2], v[1:2], v[135:136]
	v_add_f64 v[3:4], v[3:4], v[137:138]
	;; [unrolled: 1-line block ×4, first 2 shown]
	s_waitcnt vmcnt(2)
	v_add_f64 v[1:2], v[155:156], -v[1:2]
	s_waitcnt vmcnt(0)
	v_add_f64 v[3:4], v[161:162], -v[3:4]
	buffer_store_dword v2, off, s[0:3], 0 offset:36
	buffer_store_dword v1, off, s[0:3], 0 offset:32
	;; [unrolled: 1-line block ×4, first 2 shown]
	v_cmpx_ne_u32_e32 0, v0
	s_cbranch_execz .LBB126_403
; %bb.402:
	s_clause 0x3
	buffer_load_dword v0, off, s[0:3], 0 offset:16
	buffer_load_dword v1, off, s[0:3], 0 offset:20
	;; [unrolled: 1-line block ×4, first 2 shown]
	buffer_store_dword v196, off, s[0:3], 0 offset:16
	buffer_store_dword v196, off, s[0:3], 0 offset:20
	;; [unrolled: 1-line block ×4, first 2 shown]
	s_waitcnt vmcnt(0)
	ds_write_b128 v195, v[0:3]
.LBB126_403:
	s_or_b32 exec_lo, exec_lo, s4
	s_waitcnt lgkmcnt(0)
	s_waitcnt_vscnt null, 0x0
	s_barrier
	buffer_gl0_inv
	s_clause 0x37
	buffer_load_dword v143, off, s[0:3], 0 offset:40
	buffer_load_dword v144, off, s[0:3], 0 offset:44
	;; [unrolled: 1-line block ×56, first 2 shown]
	ds_read_b128 v[4:7], v196 offset:1024
	s_clause 0x2
	buffer_load_dword v192, off, s[0:3], 0 offset:268
	buffer_load_dword v194, off, s[0:3], 0 offset:244
	;; [unrolled: 1-line block ×3, first 2 shown]
	ds_read_b128 v[0:3], v196 offset:1040
	s_clause 0x4
	buffer_load_dword v204, off, s[0:3], 0 offset:284
	buffer_load_dword v205, off, s[0:3], 0 offset:296
	;; [unrolled: 1-line block ×5, first 2 shown]
	ds_read_b128 v[197:200], v196 offset:1056
	v_readlane_b32 s4, v221, 0
	s_and_b32 vcc_lo, exec_lo, s4
	s_waitcnt vmcnt(62) lgkmcnt(2)
	v_mul_f64 v[201:202], v[6:7], v[143:144]
	v_mul_f64 v[143:144], v[4:5], v[143:144]
	s_waitcnt vmcnt(60) lgkmcnt(1)
	v_mul_f64 v[208:209], v[2:3], v[139:140]
	v_mul_f64 v[139:140], v[0:1], v[139:140]
	;; [unrolled: 3-line block ×3, first 2 shown]
	v_fma_f64 v[201:202], v[4:5], v[141:142], -v[201:202]
	v_fma_f64 v[141:142], v[6:7], v[141:142], v[143:144]
	s_clause 0x2
	buffer_load_dword v206, off, s[0:3], 0 offset:300
	buffer_load_dword v144, off, s[0:3], 0 offset:276
	;; [unrolled: 1-line block ×3, first 2 shown]
	s_waitcnt vmcnt(57)
	v_fma_f64 v[212:213], v[0:1], v[135:136], -v[208:209]
	ds_read_b128 v[4:7], v196 offset:1072
	v_fma_f64 v[135:136], v[2:3], v[135:136], v[139:140]
	s_waitcnt vmcnt(51)
	v_fma_f64 v[197:198], v[197:198], v[159:160], -v[137:138]
	v_fma_f64 v[159:160], v[199:200], v[159:160], v[210:211]
	v_add_f64 v[201:202], v[201:202], 0
	v_add_f64 v[139:140], v[141:142], 0
	s_clause 0x4
	buffer_load_dword v142, off, s[0:3], 0 offset:316
	buffer_load_dword v209, off, s[0:3], 0 offset:328
	;; [unrolled: 1-line block ×5, first 2 shown]
	s_waitcnt lgkmcnt(0)
	v_mul_f64 v[215:216], v[4:5], v[147:148]
	v_mul_f64 v[147:148], v[6:7], v[147:148]
	ds_read_b128 v[0:3], v196 offset:1088
	s_clause 0x2
	buffer_load_dword v210, off, s[0:3], 0 offset:332
	buffer_load_dword v200, off, s[0:3], 0 offset:308
	;; [unrolled: 1-line block ×3, first 2 shown]
	v_add_f64 v[201:202], v[201:202], v[212:213]
	v_add_f64 v[139:140], v[139:140], v[135:136]
	ds_read_b128 v[135:138], v196 offset:1104
	s_waitcnt vmcnt(58) lgkmcnt(1)
	v_mul_f64 v[211:212], v[0:1], v[151:152]
	v_mul_f64 v[151:152], v[2:3], v[151:152]
	s_waitcnt vmcnt(56)
	v_fma_f64 v[147:148], v[4:5], v[153:154], -v[147:148]
	v_fma_f64 v[153:154], v[6:7], v[153:154], v[215:216]
	s_waitcnt vmcnt(52) lgkmcnt(0)
	v_mul_f64 v[217:218], v[135:136], v[155:156]
	v_add_f64 v[197:198], v[201:202], v[197:198]
	v_add_f64 v[139:140], v[139:140], v[159:160]
	s_clause 0x4
	buffer_load_dword v160, off, s[0:3], 0 offset:348
	buffer_load_dword v201, off, s[0:3], 0 offset:360
	;; [unrolled: 1-line block ×5, first 2 shown]
	v_mul_f64 v[155:156], v[137:138], v[155:156]
	s_waitcnt vmcnt(56)
	v_fma_f64 v[151:152], v[0:1], v[145:146], -v[151:152]
	ds_read_b128 v[4:7], v196 offset:1120
	v_fma_f64 v[145:146], v[2:3], v[145:146], v[211:212]
	v_add_f64 v[147:148], v[197:198], v[147:148]
	v_add_f64 v[139:140], v[139:140], v[153:154]
	s_clause 0x2
	buffer_load_dword v202, off, s[0:3], 0 offset:364
	buffer_load_dword v154, off, s[0:3], 0 offset:340
	;; [unrolled: 1-line block ×3, first 2 shown]
	s_waitcnt vmcnt(58) lgkmcnt(0)
	v_mul_f64 v[197:198], v[4:5], v[161:162]
	v_mul_f64 v[161:162], v[6:7], v[161:162]
	s_waitcnt vmcnt(56)
	v_fma_f64 v[155:156], v[135:136], v[163:164], -v[155:156]
	ds_read_b128 v[0:3], v196 offset:1136
	v_add_f64 v[147:148], v[147:148], v[151:152]
	v_fma_f64 v[151:152], v[137:138], v[163:164], v[217:218]
	v_add_f64 v[139:140], v[139:140], v[145:146]
	s_clause 0x4
	buffer_load_dword v146, off, s[0:3], 0 offset:380
	buffer_load_dword v163, off, s[0:3], 0 offset:392
	;; [unrolled: 1-line block ×5, first 2 shown]
	s_waitcnt vmcnt(57) lgkmcnt(0)
	v_mul_f64 v[212:213], v[0:1], v[165:166]
	v_mul_f64 v[165:166], v[2:3], v[165:166]
	s_waitcnt vmcnt(56)
	v_fma_f64 v[161:162], v[4:5], v[149:150], -v[161:162]
	ds_read_b128 v[135:138], v196 offset:1152
	v_fma_f64 v[149:150], v[6:7], v[149:150], v[197:198]
	v_add_f64 v[147:148], v[147:148], v[155:156]
	v_add_f64 v[139:140], v[139:140], v[151:152]
	s_clause 0x2
	buffer_load_dword v164, off, s[0:3], 0 offset:396
	buffer_load_dword v152, off, s[0:3], 0 offset:372
	;; [unrolled: 1-line block ×3, first 2 shown]
	ds_read_b128 v[4:7], v196 offset:1168
	s_waitcnt vmcnt(58) lgkmcnt(1)
	v_mul_f64 v[155:156], v[135:136], v[169:170]
	v_mul_f64 v[169:170], v[137:138], v[169:170]
	s_waitcnt vmcnt(56)
	v_fma_f64 v[165:166], v[0:1], v[171:172], -v[165:166]
	v_add_f64 v[147:148], v[147:148], v[161:162]
	v_fma_f64 v[161:162], v[2:3], v[171:172], v[212:213]
	v_add_f64 v[139:140], v[139:140], v[149:150]
	s_clause 0x4
	buffer_load_dword v150, off, s[0:3], 0 offset:412
	buffer_load_dword v171, off, s[0:3], 0 offset:424
	buffer_load_dword v197, off, s[0:3], 0 offset:416
	buffer_load_dword v149, off, s[0:3], 0 offset:408
	buffer_load_dword v212, off, s[0:3], 0 offset:388
	s_waitcnt vmcnt(57) lgkmcnt(0)
	v_mul_f64 v[218:219], v[4:5], v[173:174]
	v_mul_f64 v[173:174], v[6:7], v[173:174]
	s_waitcnt vmcnt(56)
	v_fma_f64 v[169:170], v[135:136], v[157:158], -v[169:170]
	ds_read_b128 v[0:3], v196 offset:1184
	v_fma_f64 v[155:156], v[137:138], v[157:158], v[155:156]
	s_clause 0x2
	buffer_load_dword v172, off, s[0:3], 0 offset:428
	buffer_load_dword v158, off, s[0:3], 0 offset:404
	;; [unrolled: 1-line block ×3, first 2 shown]
	ds_read_b128 v[135:138], v196 offset:1200
	v_add_f64 v[147:148], v[147:148], v[165:166]
	v_add_f64 v[139:140], v[139:140], v[161:162]
	s_waitcnt vmcnt(58) lgkmcnt(1)
	v_mul_f64 v[165:166], v[2:3], v[177:178]
	s_waitcnt vmcnt(56)
	v_fma_f64 v[173:174], v[4:5], v[179:180], -v[173:174]
	v_mul_f64 v[161:162], v[0:1], v[177:178]
	v_add_f64 v[147:148], v[147:148], v[169:170]
	v_fma_f64 v[169:170], v[6:7], v[179:180], v[218:219]
	v_add_f64 v[139:140], v[139:140], v[155:156]
	s_clause 0x4
	buffer_load_dword v156, off, s[0:3], 0 offset:444
	buffer_load_dword v177, off, s[0:3], 0 offset:456
	buffer_load_dword v179, off, s[0:3], 0 offset:448
	buffer_load_dword v155, off, s[0:3], 0 offset:440
	buffer_load_dword v198, off, s[0:3], 0 offset:420
	s_waitcnt vmcnt(57) lgkmcnt(0)
	v_mul_f64 v[218:219], v[135:136], v[181:182]
	v_mul_f64 v[180:181], v[137:138], v[181:182]
	s_waitcnt vmcnt(56)
	v_fma_f64 v[165:166], v[0:1], v[167:168], -v[165:166]
	ds_read_b128 v[4:7], v196 offset:1216
	v_fma_f64 v[161:162], v[2:3], v[167:168], v[161:162]
	s_clause 0x2
	buffer_load_dword v178, off, s[0:3], 0 offset:460
	buffer_load_dword v168, off, s[0:3], 0 offset:436
	;; [unrolled: 1-line block ×3, first 2 shown]
	ds_read_b128 v[0:3], v196 offset:1232
	v_add_f64 v[147:148], v[147:148], v[173:174]
	v_add_f64 v[139:140], v[139:140], v[169:170]
	s_waitcnt vmcnt(58) lgkmcnt(1)
	v_mul_f64 v[173:174], v[6:7], v[185:186]
	s_waitcnt vmcnt(56)
	v_fma_f64 v[181:182], v[135:136], v[187:188], -v[180:181]
	v_mul_f64 v[169:170], v[4:5], v[185:186]
	v_add_f64 v[147:148], v[147:148], v[165:166]
	v_fma_f64 v[165:166], v[137:138], v[187:188], v[218:219]
	v_add_f64 v[139:140], v[139:140], v[161:162]
	s_clause 0x4
	buffer_load_dword v162, off, s[0:3], 0 offset:476
	buffer_load_dword v185, off, s[0:3], 0 offset:488
	buffer_load_dword v187, off, s[0:3], 0 offset:480
	buffer_load_dword v161, off, s[0:3], 0 offset:472
	buffer_load_dword v180, off, s[0:3], 0 offset:452
	s_waitcnt vmcnt(57) lgkmcnt(0)
	v_mul_f64 v[218:219], v[0:1], v[189:190]
	v_mul_f64 v[188:189], v[2:3], v[189:190]
	s_waitcnt vmcnt(56)
	v_fma_f64 v[173:174], v[4:5], v[175:176], -v[173:174]
	ds_read_b128 v[135:138], v196 offset:1248
	v_fma_f64 v[169:170], v[6:7], v[175:176], v[169:170]
	v_add_f64 v[147:148], v[147:148], v[181:182]
	v_add_f64 v[139:140], v[139:140], v[165:166]
	s_clause 0x2
	buffer_load_dword v186, off, s[0:3], 0 offset:492
	buffer_load_dword v166, off, s[0:3], 0 offset:468
	;; [unrolled: 1-line block ×3, first 2 shown]
	ds_read_b128 v[4:7], v196 offset:1264
	s_waitcnt vmcnt(58) lgkmcnt(1)
	v_mul_f64 v[181:182], v[137:138], v[191:192]
	s_waitcnt vmcnt(56)
	v_fma_f64 v[189:190], v[0:1], v[193:194], -v[188:189]
	v_mul_f64 v[175:176], v[135:136], v[191:192]
	v_add_f64 v[147:148], v[147:148], v[173:174]
	v_fma_f64 v[173:174], v[2:3], v[193:194], v[218:219]
	v_add_f64 v[139:140], v[139:140], v[169:170]
	s_clause 0x4
	buffer_load_dword v170, off, s[0:3], 0 offset:508
	buffer_load_dword v191, off, s[0:3], 0 offset:520
	;; [unrolled: 1-line block ×5, first 2 shown]
	s_waitcnt vmcnt(57) lgkmcnt(0)
	v_mul_f64 v[194:195], v[4:5], v[203:204]
	v_mul_f64 v[203:204], v[6:7], v[203:204]
	s_waitcnt vmcnt(56)
	v_fma_f64 v[181:182], v[135:136], v[183:184], -v[181:182]
	ds_read_b128 v[0:3], v196 offset:1280
	v_fma_f64 v[175:176], v[137:138], v[183:184], v[175:176]
	v_add_f64 v[147:148], v[147:148], v[189:190]
	v_add_f64 v[139:140], v[139:140], v[173:174]
	s_clause 0x2
	buffer_load_dword v192, off, s[0:3], 0 offset:524
	buffer_load_dword v174, off, s[0:3], 0 offset:500
	;; [unrolled: 1-line block ×3, first 2 shown]
	ds_read_b128 v[135:138], v196 offset:1296
	s_waitcnt vmcnt(58) lgkmcnt(1)
	v_mul_f64 v[189:190], v[2:3], v[205:206]
	v_mul_f64 v[183:184], v[0:1], v[205:206]
	s_waitcnt vmcnt(56)
	v_fma_f64 v[203:204], v[4:5], v[143:144], -v[203:204]
	v_fma_f64 v[143:144], v[6:7], v[143:144], v[194:195]
	v_add_f64 v[147:148], v[147:148], v[181:182]
	v_add_f64 v[139:140], v[139:140], v[175:176]
	s_clause 0x4
	buffer_load_dword v176, off, s[0:3], 0 offset:540
	buffer_load_dword v181, off, s[0:3], 0 offset:552
	;; [unrolled: 1-line block ×5, first 2 shown]
	ds_read_b128 v[4:7], v196 offset:1312
	s_waitcnt vmcnt(57) lgkmcnt(1)
	v_mul_f64 v[218:219], v[135:136], v[141:142]
	v_mul_f64 v[141:142], v[137:138], v[141:142]
	s_waitcnt vmcnt(56)
	v_fma_f64 v[189:190], v[0:1], v[207:208], -v[189:190]
	v_fma_f64 v[183:184], v[2:3], v[207:208], v[183:184]
	v_add_f64 v[147:148], v[147:148], v[203:204]
	v_add_f64 v[139:140], v[139:140], v[143:144]
	s_clause 0x2
	buffer_load_dword v182, off, s[0:3], 0 offset:556
	buffer_load_dword v144, off, s[0:3], 0 offset:532
	;; [unrolled: 1-line block ×3, first 2 shown]
	s_waitcnt vmcnt(58) lgkmcnt(0)
	v_mul_f64 v[207:208], v[6:7], v[209:210]
	ds_read_b128 v[0:3], v196 offset:1328
	v_mul_f64 v[203:204], v[4:5], v[209:210]
	s_waitcnt vmcnt(56)
	v_fma_f64 v[141:142], v[135:136], v[199:200], -v[141:142]
	v_add_f64 v[147:148], v[147:148], v[189:190]
	v_fma_f64 v[189:190], v[137:138], v[199:200], v[218:219]
	v_add_f64 v[139:140], v[139:140], v[183:184]
	s_clause 0x4
	buffer_load_dword v184, off, s[0:3], 0 offset:572
	buffer_load_dword v199, off, s[0:3], 0 offset:584
	;; [unrolled: 1-line block ×5, first 2 shown]
	ds_read_b128 v[135:138], v196 offset:1344
	s_waitcnt vmcnt(57) lgkmcnt(1)
	v_mul_f64 v[218:219], v[0:1], v[159:160]
	v_mul_f64 v[159:160], v[2:3], v[159:160]
	s_waitcnt vmcnt(56)
	v_fma_f64 v[207:208], v[4:5], v[214:215], -v[207:208]
	v_add_f64 v[141:142], v[147:148], v[141:142]
	v_fma_f64 v[147:148], v[6:7], v[214:215], v[203:204]
	v_add_f64 v[139:140], v[139:140], v[189:190]
	s_clause 0x2
	buffer_load_dword v200, off, s[0:3], 0 offset:588
	buffer_load_dword v190, off, s[0:3], 0 offset:564
	buffer_load_dword v189, off, s[0:3], 0 offset:560
	ds_read_b128 v[4:7], v196 offset:1360
	s_waitcnt vmcnt(58) lgkmcnt(1)
	v_mul_f64 v[203:204], v[135:136], v[201:202]
	v_mul_f64 v[201:202], v[137:138], v[201:202]
	s_waitcnt vmcnt(56)
	v_fma_f64 v[159:160], v[0:1], v[153:154], -v[159:160]
	v_fma_f64 v[153:154], v[2:3], v[153:154], v[218:219]
	v_add_f64 v[141:142], v[141:142], v[207:208]
	v_add_f64 v[139:140], v[139:140], v[147:148]
	s_clause 0x4
	buffer_load_dword v148, off, s[0:3], 0 offset:604
	buffer_load_dword v207, off, s[0:3], 0 offset:616
	;; [unrolled: 1-line block ×5, first 2 shown]
	ds_read_b128 v[0:3], v196 offset:1376
	s_waitcnt vmcnt(57) lgkmcnt(1)
	v_mul_f64 v[214:215], v[4:5], v[145:146]
	v_mul_f64 v[145:146], v[6:7], v[145:146]
	s_waitcnt vmcnt(56)
	v_fma_f64 v[201:202], v[135:136], v[216:217], -v[201:202]
	v_add_f64 v[141:142], v[141:142], v[159:160]
	v_fma_f64 v[159:160], v[137:138], v[216:217], v[203:204]
	v_add_f64 v[139:140], v[139:140], v[153:154]
	s_clause 0x2
	buffer_load_dword v208, off, s[0:3], 0 offset:620
	buffer_load_dword v154, off, s[0:3], 0 offset:596
	;; [unrolled: 1-line block ×3, first 2 shown]
	ds_read_b128 v[135:138], v196 offset:1392
	s_waitcnt vmcnt(58) lgkmcnt(1)
	v_mul_f64 v[203:204], v[0:1], v[163:164]
	v_mul_f64 v[163:164], v[2:3], v[163:164]
	s_waitcnt vmcnt(56)
	v_fma_f64 v[145:146], v[4:5], v[151:152], -v[145:146]
	v_fma_f64 v[151:152], v[6:7], v[151:152], v[214:215]
	v_add_f64 v[141:142], v[141:142], v[201:202]
	v_add_f64 v[139:140], v[139:140], v[159:160]
	s_clause 0x4
	buffer_load_dword v160, off, s[0:3], 0 offset:636
	buffer_load_dword v201, off, s[0:3], 0 offset:648
	;; [unrolled: 1-line block ×5, first 2 shown]
	ds_read_b128 v[4:7], v196 offset:1408
	s_waitcnt vmcnt(57) lgkmcnt(1)
	v_mul_f64 v[216:217], v[135:136], v[149:150]
	v_mul_f64 v[149:150], v[137:138], v[149:150]
	s_waitcnt vmcnt(56)
	v_fma_f64 v[163:164], v[0:1], v[211:212], -v[163:164]
	v_add_f64 v[141:142], v[141:142], v[145:146]
	v_fma_f64 v[145:146], v[2:3], v[211:212], v[203:204]
	v_add_f64 v[139:140], v[139:140], v[151:152]
	s_clause 0x2
	buffer_load_dword v202, off, s[0:3], 0 offset:652
	buffer_load_dword v152, off, s[0:3], 0 offset:628
	;; [unrolled: 1-line block ×3, first 2 shown]
	s_waitcnt vmcnt(58) lgkmcnt(0)
	v_mul_f64 v[203:204], v[4:5], v[171:172]
	v_mul_f64 v[171:172], v[6:7], v[171:172]
	ds_read_b128 v[0:3], v196 offset:1424
	s_waitcnt vmcnt(56)
	v_fma_f64 v[149:150], v[135:136], v[157:158], -v[149:150]
	v_fma_f64 v[157:158], v[137:138], v[157:158], v[216:217]
	v_add_f64 v[141:142], v[141:142], v[163:164]
	v_add_f64 v[139:140], v[139:140], v[145:146]
	s_clause 0x4
	buffer_load_dword v146, off, s[0:3], 0 offset:668
	buffer_load_dword v163, off, s[0:3], 0 offset:680
	;; [unrolled: 1-line block ×5, first 2 shown]
	ds_read_b128 v[135:138], v196 offset:1440
	s_waitcnt vmcnt(57) lgkmcnt(1)
	v_mul_f64 v[217:218], v[0:1], v[155:156]
	v_mul_f64 v[155:156], v[2:3], v[155:156]
	s_waitcnt vmcnt(56)
	v_fma_f64 v[171:172], v[4:5], v[197:198], -v[171:172]
	v_add_f64 v[141:142], v[141:142], v[149:150]
	v_fma_f64 v[149:150], v[6:7], v[197:198], v[203:204]
	v_add_f64 v[139:140], v[139:140], v[157:158]
	s_clause 0x2
	buffer_load_dword v164, off, s[0:3], 0 offset:684
	buffer_load_dword v158, off, s[0:3], 0 offset:660
	;; [unrolled: 1-line block ×3, first 2 shown]
	s_waitcnt vmcnt(58) lgkmcnt(0)
	v_mul_f64 v[197:198], v[135:136], v[177:178]
	v_mul_f64 v[177:178], v[137:138], v[177:178]
	ds_read_b128 v[4:7], v196 offset:1456
	s_waitcnt vmcnt(56)
	v_fma_f64 v[155:156], v[0:1], v[167:168], -v[155:156]
	v_fma_f64 v[167:168], v[2:3], v[167:168], v[217:218]
	v_add_f64 v[141:142], v[141:142], v[171:172]
	v_add_f64 v[139:140], v[139:140], v[149:150]
	s_clause 0x4
	buffer_load_dword v150, off, s[0:3], 0 offset:700
	buffer_load_dword v171, off, s[0:3], 0 offset:712
	buffer_load_dword v203, off, s[0:3], 0 offset:704
	buffer_load_dword v149, off, s[0:3], 0 offset:696
	buffer_load_dword v212, off, s[0:3], 0 offset:676
	ds_read_b128 v[0:3], v196 offset:1472
	s_waitcnt vmcnt(57) lgkmcnt(1)
	v_mul_f64 v[217:218], v[4:5], v[161:162]
	v_mul_f64 v[161:162], v[6:7], v[161:162]
	s_waitcnt vmcnt(56)
	v_fma_f64 v[177:178], v[135:136], v[179:180], -v[177:178]
	v_add_f64 v[141:142], v[141:142], v[155:156]
	v_fma_f64 v[155:156], v[137:138], v[179:180], v[197:198]
	v_add_f64 v[139:140], v[139:140], v[167:168]
	s_clause 0x2
	buffer_load_dword v172, off, s[0:3], 0 offset:716
	buffer_load_dword v168, off, s[0:3], 0 offset:692
	buffer_load_dword v167, off, s[0:3], 0 offset:688
	ds_read_b128 v[135:138], v196 offset:1488
	s_waitcnt vmcnt(58) lgkmcnt(1)
	v_mul_f64 v[179:180], v[0:1], v[185:186]
	v_mul_f64 v[185:186], v[2:3], v[185:186]
	s_waitcnt vmcnt(56)
	v_fma_f64 v[161:162], v[4:5], v[165:166], -v[161:162]
	v_fma_f64 v[165:166], v[6:7], v[165:166], v[217:218]
	v_add_f64 v[141:142], v[141:142], v[177:178]
	v_add_f64 v[139:140], v[139:140], v[155:156]
	s_clause 0x4
	buffer_load_dword v156, off, s[0:3], 0 offset:732
	buffer_load_dword v177, off, s[0:3], 0 offset:744
	buffer_load_dword v197, off, s[0:3], 0 offset:736
	buffer_load_dword v155, off, s[0:3], 0 offset:728
	buffer_load_dword v204, off, s[0:3], 0 offset:708
	ds_read_b128 v[4:7], v196 offset:1504
	s_waitcnt vmcnt(57) lgkmcnt(1)
	v_mul_f64 v[217:218], v[135:136], v[169:170]
	v_mul_f64 v[169:170], v[137:138], v[169:170]
	s_waitcnt vmcnt(56)
	v_fma_f64 v[185:186], v[0:1], v[187:188], -v[185:186]
	v_add_f64 v[141:142], v[141:142], v[161:162]
	v_fma_f64 v[161:162], v[2:3], v[187:188], v[179:180]
	v_add_f64 v[139:140], v[139:140], v[165:166]
	s_clause 0x2
	buffer_load_dword v178, off, s[0:3], 0 offset:748
	buffer_load_dword v166, off, s[0:3], 0 offset:724
	buffer_load_dword v165, off, s[0:3], 0 offset:720
	ds_read_b128 v[0:3], v196 offset:1520
	s_waitcnt vmcnt(58) lgkmcnt(1)
	v_mul_f64 v[187:188], v[6:7], v[191:192]
	v_mul_f64 v[179:180], v[4:5], v[191:192]
	;; [unrolled: 28-line block ×4, first 2 shown]
	s_waitcnt vmcnt(56)
	v_fma_f64 v[183:184], v[4:5], v[189:190], -v[183:184]
	v_add_f64 v[141:142], v[141:142], v[181:182]
	v_fma_f64 v[181:182], v[6:7], v[189:190], v[194:195]
	v_add_f64 v[139:140], v[139:140], v[175:176]
	s_clause 0x4
	buffer_load_dword v176, off, s[0:3], 0 offset:828
	buffer_load_dword v189, off, s[0:3], 0 offset:840
	;; [unrolled: 1-line block ×5, first 2 shown]
	ds_read_b128 v[4:7], v196 offset:1600
	s_waitcnt vmcnt(57) lgkmcnt(1)
	v_mul_f64 v[217:218], v[135:136], v[147:148]
	v_mul_f64 v[147:148], v[137:138], v[147:148]
	s_waitcnt vmcnt(56)
	v_fma_f64 v[199:200], v[0:1], v[209:210], -v[199:200]
	v_fma_f64 v[179:180], v[2:3], v[209:210], v[179:180]
	v_add_f64 v[141:142], v[141:142], v[183:184]
	v_add_f64 v[139:140], v[139:140], v[181:182]
	s_clause 0x2
	buffer_load_dword v190, off, s[0:3], 0 offset:844
	buffer_load_dword v182, off, s[0:3], 0 offset:820
	buffer_load_dword v181, off, s[0:3], 0 offset:816
	ds_read_b128 v[0:3], v196 offset:1616
	s_waitcnt vmcnt(58) lgkmcnt(1)
	v_mul_f64 v[183:184], v[4:5], v[207:208]
	v_mul_f64 v[207:208], v[6:7], v[207:208]
	s_waitcnt vmcnt(56)
	v_fma_f64 v[147:148], v[135:136], v[153:154], -v[147:148]
	v_fma_f64 v[153:154], v[137:138], v[153:154], v[217:218]
	v_add_f64 v[141:142], v[141:142], v[199:200]
	v_add_f64 v[139:140], v[139:140], v[179:180]
	s_clause 0x4
	buffer_load_dword v180, off, s[0:3], 0 offset:860
	buffer_load_dword v199, off, s[0:3], 0 offset:872
	buffer_load_dword v209, off, s[0:3], 0 offset:864
	buffer_load_dword v179, off, s[0:3], 0 offset:856
	buffer_load_dword v206, off, s[0:3], 0 offset:836
	ds_read_b128 v[135:138], v196 offset:1632
	s_waitcnt vmcnt(57) lgkmcnt(1)
	v_mul_f64 v[217:218], v[0:1], v[159:160]
	v_mul_f64 v[159:160], v[2:3], v[159:160]
	s_waitcnt vmcnt(56)
	v_fma_f64 v[207:208], v[4:5], v[213:214], -v[207:208]
	v_add_f64 v[141:142], v[141:142], v[147:148]
	v_fma_f64 v[147:148], v[6:7], v[213:214], v[183:184]
	v_add_f64 v[139:140], v[139:140], v[153:154]
	s_clause 0x2
	buffer_load_dword v200, off, s[0:3], 0 offset:876
	buffer_load_dword v154, off, s[0:3], 0 offset:852
	buffer_load_dword v153, off, s[0:3], 0 offset:848
	ds_read_b128 v[4:7], v196 offset:1648
	s_waitcnt vmcnt(58) lgkmcnt(1)
	v_mul_f64 v[183:184], v[135:136], v[201:202]
	v_mul_f64 v[201:202], v[137:138], v[201:202]
	s_waitcnt vmcnt(56)
	v_fma_f64 v[159:160], v[0:1], v[151:152], -v[159:160]
	v_fma_f64 v[151:152], v[2:3], v[151:152], v[217:218]
	v_add_f64 v[141:142], v[141:142], v[207:208]
	v_add_f64 v[139:140], v[139:140], v[147:148]
	s_clause 0x4
	buffer_load_dword v148, off, s[0:3], 0 offset:892
	buffer_load_dword v207, off, s[0:3], 0 offset:904
	buffer_load_dword v213, off, s[0:3], 0 offset:896
	buffer_load_dword v147, off, s[0:3], 0 offset:888
	buffer_load_dword v210, off, s[0:3], 0 offset:868
	ds_read_b128 v[0:3], v196 offset:1664
	s_waitcnt vmcnt(57) lgkmcnt(1)
	v_mul_f64 v[217:218], v[4:5], v[145:146]
	v_mul_f64 v[145:146], v[6:7], v[145:146]
	s_waitcnt vmcnt(56)
	v_fma_f64 v[201:202], v[135:136], v[215:216], -v[201:202]
	v_add_f64 v[141:142], v[141:142], v[159:160]
	v_fma_f64 v[159:160], v[137:138], v[215:216], v[183:184]
	;; [unrolled: 28-line block ×3, first 2 shown]
	v_add_f64 v[139:140], v[139:140], v[157:158]
	s_clause 0x2
	buffer_load_dword v202, off, s[0:3], 0 offset:940
	buffer_load_dword v158, off, s[0:3], 0 offset:916
	;; [unrolled: 1-line block ×3, first 2 shown]
	ds_read_b128 v[0:3], v196 offset:1712
	s_waitcnt vmcnt(58) lgkmcnt(1)
	v_mul_f64 v[183:184], v[4:5], v[171:172]
	v_mul_f64 v[171:172], v[6:7], v[171:172]
	s_waitcnt vmcnt(56)
	v_fma_f64 v[149:150], v[135:136], v[167:168], -v[149:150]
	v_add_f64 v[141:142], v[141:142], v[163:164]
	v_fma_f64 v[163:164], v[137:138], v[167:168], v[216:217]
	v_add_f64 v[139:140], v[139:140], v[145:146]
	s_clause 0x4
	buffer_load_dword v146, off, s[0:3], 0 offset:956
	buffer_load_dword v167, off, s[0:3], 0 offset:968
	;; [unrolled: 1-line block ×5, first 2 shown]
	ds_read_b128 v[135:138], v196 offset:1728
	s_waitcnt vmcnt(57) lgkmcnt(1)
	v_mul_f64 v[217:218], v[0:1], v[155:156]
	v_mul_f64 v[155:156], v[2:3], v[155:156]
	s_waitcnt vmcnt(56)
	v_fma_f64 v[171:172], v[4:5], v[203:204], -v[171:172]
	v_add_f64 v[141:142], v[141:142], v[149:150]
	v_fma_f64 v[149:150], v[6:7], v[203:204], v[183:184]
	v_add_f64 v[139:140], v[139:140], v[163:164]
	s_clause 0x2
	buffer_load_dword v168, off, s[0:3], 0 offset:972
	buffer_load_dword v164, off, s[0:3], 0 offset:948
	;; [unrolled: 1-line block ×3, first 2 shown]
	ds_read_b128 v[4:7], v196 offset:1744
	s_waitcnt vmcnt(58) lgkmcnt(1)
	v_mul_f64 v[183:184], v[135:136], v[177:178]
	v_mul_f64 v[177:178], v[137:138], v[177:178]
	s_waitcnt vmcnt(56)
	v_fma_f64 v[155:156], v[0:1], v[165:166], -v[155:156]
	v_fma_f64 v[165:166], v[2:3], v[165:166], v[217:218]
	v_add_f64 v[141:142], v[141:142], v[171:172]
	v_add_f64 v[139:140], v[139:140], v[149:150]
	s_clause 0x4
	buffer_load_dword v150, off, s[0:3], 0 offset:988
	buffer_load_dword v171, off, s[0:3], 0 offset:1000
	;; [unrolled: 1-line block ×5, first 2 shown]
	ds_read_b128 v[0:3], v196 offset:1760
	s_waitcnt vmcnt(57) lgkmcnt(1)
	v_mul_f64 v[217:218], v[4:5], v[161:162]
	v_mul_f64 v[161:162], v[6:7], v[161:162]
	s_waitcnt vmcnt(56)
	v_fma_f64 v[177:178], v[135:136], v[197:198], -v[177:178]
	v_add_f64 v[141:142], v[141:142], v[155:156]
	v_fma_f64 v[155:156], v[137:138], v[197:198], v[183:184]
	v_add_f64 v[139:140], v[139:140], v[165:166]
	s_clause 0x2
	buffer_load_dword v172, off, s[0:3], 0 offset:1004
	buffer_load_dword v166, off, s[0:3], 0 offset:980
	;; [unrolled: 1-line block ×3, first 2 shown]
	ds_read_b128 v[135:138], v196 offset:1776
	s_waitcnt vmcnt(58) lgkmcnt(1)
	v_mul_f64 v[183:184], v[0:1], v[185:186]
	v_mul_f64 v[185:186], v[2:3], v[185:186]
	s_waitcnt vmcnt(56)
	v_fma_f64 v[161:162], v[4:5], v[173:174], -v[161:162]
	v_fma_f64 v[173:174], v[6:7], v[173:174], v[217:218]
	v_add_f64 v[141:142], v[141:142], v[177:178]
	v_add_f64 v[139:140], v[139:140], v[155:156]
	s_clause 0x2
	buffer_load_dword v156, off, s[0:3], 0 offset:1020
	buffer_load_dword v155, off, s[0:3], 0 offset:1016
	;; [unrolled: 1-line block ×3, first 2 shown]
	ds_read_b128 v[4:7], v196 offset:1792
	s_waitcnt vmcnt(55) lgkmcnt(1)
	v_mul_f64 v[177:178], v[135:136], v[169:170]
	v_mul_f64 v[169:170], v[137:138], v[169:170]
	s_waitcnt vmcnt(54)
	v_fma_f64 v[185:186], v[0:1], v[191:192], -v[185:186]
	v_add_f64 v[141:142], v[141:142], v[161:162]
	v_fma_f64 v[161:162], v[2:3], v[191:192], v[183:184]
	v_add_f64 v[139:140], v[139:140], v[173:174]
	s_clause 0x1
	buffer_load_dword v174, off, s[0:3], 0 offset:1012
	buffer_load_dword v173, off, s[0:3], 0 offset:1008
	ds_read_b128 v[0:3], v196 offset:1808
	s_waitcnt vmcnt(55) lgkmcnt(1)
	v_mul_f64 v[183:184], v[4:5], v[187:188]
	v_mul_f64 v[187:188], v[6:7], v[187:188]
	s_waitcnt vmcnt(53)
	v_fma_f64 v[169:170], v[135:136], v[143:144], -v[169:170]
	v_fma_f64 v[143:144], v[137:138], v[143:144], v[177:178]
	ds_read_b128 v[135:138], v196 offset:1824
	v_add_f64 v[141:142], v[141:142], v[185:186]
	v_add_f64 v[139:140], v[139:140], v[161:162]
	s_waitcnt vmcnt(49) lgkmcnt(1)
	v_mul_f64 v[161:162], v[0:1], v[175:176]
	v_mul_f64 v[175:176], v[2:3], v[175:176]
	s_waitcnt vmcnt(48)
	v_fma_f64 v[177:178], v[4:5], v[193:194], -v[187:188]
	v_add_f64 v[141:142], v[141:142], v[169:170]
	v_fma_f64 v[169:170], v[6:7], v[193:194], v[183:184]
	v_add_f64 v[139:140], v[139:140], v[143:144]
	s_clause 0x3
	buffer_load_dword v143, off, s[0:3], 0 offset:16
	buffer_load_dword v144, off, s[0:3], 0 offset:20
	;; [unrolled: 1-line block ×4, first 2 shown]
	ds_read_b128 v[4:7], v196 offset:1840
	s_waitcnt vmcnt(51) lgkmcnt(1)
	v_mul_f64 v[187:188], v[137:138], v[189:190]
	v_mul_f64 v[185:186], v[135:136], v[189:190]
	s_waitcnt vmcnt(49)
	v_fma_f64 v[175:176], v[0:1], v[181:182], -v[175:176]
	v_fma_f64 v[161:162], v[2:3], v[181:182], v[161:162]
	ds_read_b128 v[0:3], v196 offset:1856
	v_add_f64 v[141:142], v[141:142], v[177:178]
	v_add_f64 v[139:140], v[139:140], v[169:170]
	s_waitcnt vmcnt(45) lgkmcnt(1)
	v_mul_f64 v[169:170], v[4:5], v[179:180]
	v_mul_f64 v[177:178], v[6:7], v[179:180]
	s_waitcnt vmcnt(44)
	v_fma_f64 v[179:180], v[135:136], v[205:206], -v[187:188]
	v_add_f64 v[141:142], v[141:142], v[175:176]
	v_fma_f64 v[175:176], v[137:138], v[205:206], v[185:186]
	v_add_f64 v[139:140], v[139:140], v[161:162]
	ds_read_b128 v[135:138], v196 offset:1872
	s_waitcnt vmcnt(43) lgkmcnt(1)
	v_mul_f64 v[181:182], v[2:3], v[199:200]
	v_mul_f64 v[161:162], v[0:1], v[199:200]
	s_waitcnt vmcnt(41)
	v_fma_f64 v[177:178], v[4:5], v[153:154], -v[177:178]
	v_fma_f64 v[153:154], v[6:7], v[153:154], v[169:170]
	ds_read_b128 v[4:7], v196 offset:1888
	v_add_f64 v[141:142], v[141:142], v[179:180]
	v_add_f64 v[139:140], v[139:140], v[175:176]
	s_waitcnt vmcnt(37) lgkmcnt(1)
	v_mul_f64 v[169:170], v[135:136], v[147:148]
	v_mul_f64 v[147:148], v[137:138], v[147:148]
	s_waitcnt vmcnt(36)
	v_fma_f64 v[175:176], v[0:1], v[209:210], -v[181:182]
	v_fma_f64 v[161:162], v[2:3], v[209:210], v[161:162]
	ds_read_b128 v[0:3], v196 offset:1904
	v_add_f64 v[141:142], v[141:142], v[177:178]
	v_add_f64 v[139:140], v[139:140], v[153:154]
	;; [unrolled: 9-line block ×3, first 2 shown]
	s_waitcnt vmcnt(29) lgkmcnt(1)
	v_mul_f64 v[161:162], v[0:1], v[159:160]
	v_mul_f64 v[159:160], v[2:3], v[159:160]
	s_waitcnt vmcnt(28)
	v_fma_f64 v[169:170], v[4:5], v[213:214], -v[177:178]
	v_add_f64 v[141:142], v[141:142], v[147:148]
	v_fma_f64 v[147:148], v[6:7], v[213:214], v[153:154]
	v_add_f64 v[139:140], v[139:140], v[151:152]
	ds_read_b128 v[4:7], v196 offset:1936
	s_waitcnt vmcnt(27) lgkmcnt(1)
	v_mul_f64 v[153:154], v[137:138], v[201:202]
	v_mul_f64 v[151:152], v[135:136], v[201:202]
	s_waitcnt vmcnt(25)
	v_fma_f64 v[159:160], v[0:1], v[157:158], -v[159:160]
	v_fma_f64 v[157:158], v[2:3], v[157:158], v[161:162]
	ds_read_b128 v[0:3], v196 offset:1952
	v_add_f64 v[141:142], v[141:142], v[169:170]
	v_add_f64 v[139:140], v[139:140], v[147:148]
	s_waitcnt vmcnt(21) lgkmcnt(1)
	v_mul_f64 v[147:148], v[4:5], v[145:146]
	v_mul_f64 v[145:146], v[6:7], v[145:146]
	s_waitcnt vmcnt(20)
	v_fma_f64 v[153:154], v[135:136], v[215:216], -v[153:154]
	v_fma_f64 v[151:152], v[137:138], v[215:216], v[151:152]
	ds_read_b128 v[135:138], v196 offset:1968
	v_add_f64 v[141:142], v[141:142], v[159:160]
	v_add_f64 v[139:140], v[139:140], v[157:158]
	;; [unrolled: 9-line block ×3, first 2 shown]
	s_waitcnt vmcnt(13) lgkmcnt(1)
	v_mul_f64 v[151:152], v[135:136], v[149:150]
	v_mul_f64 v[149:150], v[137:138], v[149:150]
	s_waitcnt vmcnt(12)
	v_fma_f64 v[153:154], v[0:1], v[211:212], -v[159:160]
	v_add_f64 v[141:142], v[141:142], v[145:146]
	v_fma_f64 v[145:146], v[2:3], v[211:212], v[157:158]
	v_add_f64 v[139:140], v[139:140], v[147:148]
	ds_read_b128 v[0:3], v196 offset:2000
	s_waitcnt vmcnt(11) lgkmcnt(1)
	v_mul_f64 v[157:158], v[6:7], v[171:172]
	v_mul_f64 v[147:148], v[4:5], v[171:172]
	s_waitcnt vmcnt(9)
	v_fma_f64 v[135:136], v[135:136], v[165:166], -v[149:150]
	v_fma_f64 v[137:138], v[137:138], v[165:166], v[151:152]
	v_add_f64 v[141:142], v[141:142], v[153:154]
	v_add_f64 v[139:140], v[139:140], v[145:146]
	s_waitcnt vmcnt(7) lgkmcnt(0)
	v_mul_f64 v[149:150], v[2:3], v[155:156]
	s_waitcnt vmcnt(6)
	v_fma_f64 v[4:5], v[4:5], v[203:204], -v[157:158]
	v_mul_f64 v[145:146], v[0:1], v[155:156]
	v_fma_f64 v[6:7], v[6:7], v[203:204], v[147:148]
	v_add_f64 v[135:136], v[141:142], v[135:136]
	v_add_f64 v[137:138], v[139:140], v[137:138]
	s_waitcnt vmcnt(4)
	v_fma_f64 v[0:1], v[0:1], v[173:174], -v[149:150]
	v_fma_f64 v[2:3], v[2:3], v[173:174], v[145:146]
	v_add_f64 v[4:5], v[135:136], v[4:5]
	v_add_f64 v[6:7], v[137:138], v[6:7]
	;; [unrolled: 1-line block ×4, first 2 shown]
	s_waitcnt vmcnt(2)
	v_add_f64 v[0:1], v[143:144], -v[0:1]
	s_waitcnt vmcnt(0)
	v_add_f64 v[2:3], v[183:184], -v[2:3]
	buffer_store_dword v1, off, s[0:3], 0 offset:20
	buffer_store_dword v0, off, s[0:3], 0 offset:16
	;; [unrolled: 1-line block ×4, first 2 shown]
	s_cbranch_vccz .LBB126_528
; %bb.404:
	v_mov_b32_e32 v0, 0
	global_load_dword v1, v0, s[12:13] offset:244
	s_waitcnt vmcnt(0)
	v_add_nc_u32_e32 v1, -1, v1
	v_cmp_ne_u32_e32 vcc_lo, 61, v1
	s_cbranch_vccz .LBB126_406
; %bb.405:
	v_lshlrev_b32_e32 v1, 4, v1
	v_mov_b32_e32 v2, s15
	v_add_nc_u32_e32 v1, 16, v1
	s_clause 0x7
	buffer_load_dword v3, v1, s[0:3], 0 offen
	buffer_load_dword v4, v1, s[0:3], 0 offen offset:4
	buffer_load_dword v5, v1, s[0:3], 0 offen offset:8
	;; [unrolled: 1-line block ×6, first 2 shown]
	buffer_load_dword v136, v2, s[0:3], 0 offen
	s_waitcnt vmcnt(7)
	buffer_store_dword v3, v2, s[0:3], 0 offen
	s_waitcnt vmcnt(6)
	buffer_store_dword v4, v2, s[0:3], 0 offen offset:4
	s_waitcnt vmcnt(5)
	buffer_store_dword v5, v2, s[0:3], 0 offen offset:8
	;; [unrolled: 2-line block ×6, first 2 shown]
	s_waitcnt vmcnt(0)
	buffer_store_dword v136, v1, s[0:3], 0 offen
.LBB126_406:
	global_load_dword v0, v0, s[12:13] offset:240
	s_waitcnt vmcnt(0)
	v_add_nc_u32_e32 v0, -1, v0
	v_cmp_eq_u32_e32 vcc_lo, 60, v0
	s_cbranch_vccnz .LBB126_408
; %bb.407:
	v_lshlrev_b32_e32 v0, 4, v0
	v_mov_b32_e32 v1, s16
	v_add_nc_u32_e32 v0, 16, v0
	s_clause 0x7
	buffer_load_dword v2, v0, s[0:3], 0 offen
	buffer_load_dword v3, v0, s[0:3], 0 offen offset:4
	buffer_load_dword v4, v0, s[0:3], 0 offen offset:8
	;; [unrolled: 1-line block ×6, first 2 shown]
	buffer_load_dword v135, v1, s[0:3], 0 offen
	s_waitcnt vmcnt(7)
	buffer_store_dword v2, v1, s[0:3], 0 offen
	s_waitcnt vmcnt(6)
	buffer_store_dword v3, v1, s[0:3], 0 offen offset:4
	s_waitcnt vmcnt(5)
	buffer_store_dword v4, v1, s[0:3], 0 offen offset:8
	;; [unrolled: 2-line block ×6, first 2 shown]
	s_waitcnt vmcnt(0)
	buffer_store_dword v135, v0, s[0:3], 0 offen
.LBB126_408:
	v_mov_b32_e32 v0, 0
	global_load_dword v1, v0, s[12:13] offset:236
	s_waitcnt vmcnt(0)
	v_add_nc_u32_e32 v1, -1, v1
	v_cmp_eq_u32_e32 vcc_lo, 59, v1
	s_cbranch_vccnz .LBB126_410
; %bb.409:
	v_lshlrev_b32_e32 v1, 4, v1
	v_mov_b32_e32 v2, s17
	v_add_nc_u32_e32 v1, 16, v1
	s_clause 0x7
	buffer_load_dword v3, v1, s[0:3], 0 offen
	buffer_load_dword v4, v1, s[0:3], 0 offen offset:4
	buffer_load_dword v5, v1, s[0:3], 0 offen offset:8
	buffer_load_dword v6, v1, s[0:3], 0 offen offset:12
	buffer_load_dword v7, v2, s[0:3], 0 offen offset:12
	buffer_load_dword v8, v2, s[0:3], 0 offen offset:8
	buffer_load_dword v135, v2, s[0:3], 0 offen offset:4
	buffer_load_dword v136, v2, s[0:3], 0 offen
	s_waitcnt vmcnt(7)
	buffer_store_dword v3, v2, s[0:3], 0 offen
	s_waitcnt vmcnt(6)
	buffer_store_dword v4, v2, s[0:3], 0 offen offset:4
	s_waitcnt vmcnt(5)
	buffer_store_dword v5, v2, s[0:3], 0 offen offset:8
	;; [unrolled: 2-line block ×6, first 2 shown]
	s_waitcnt vmcnt(0)
	buffer_store_dword v136, v1, s[0:3], 0 offen
.LBB126_410:
	global_load_dword v0, v0, s[12:13] offset:232
	s_waitcnt vmcnt(0)
	v_add_nc_u32_e32 v0, -1, v0
	v_cmp_eq_u32_e32 vcc_lo, 58, v0
	s_cbranch_vccnz .LBB126_412
; %bb.411:
	v_lshlrev_b32_e32 v0, 4, v0
	v_mov_b32_e32 v1, s18
	v_add_nc_u32_e32 v0, 16, v0
	s_clause 0x7
	buffer_load_dword v2, v0, s[0:3], 0 offen
	buffer_load_dword v3, v0, s[0:3], 0 offen offset:4
	buffer_load_dword v4, v0, s[0:3], 0 offen offset:8
	;; [unrolled: 1-line block ×6, first 2 shown]
	buffer_load_dword v135, v1, s[0:3], 0 offen
	s_waitcnt vmcnt(7)
	buffer_store_dword v2, v1, s[0:3], 0 offen
	s_waitcnt vmcnt(6)
	buffer_store_dword v3, v1, s[0:3], 0 offen offset:4
	s_waitcnt vmcnt(5)
	buffer_store_dword v4, v1, s[0:3], 0 offen offset:8
	;; [unrolled: 2-line block ×6, first 2 shown]
	s_waitcnt vmcnt(0)
	buffer_store_dword v135, v0, s[0:3], 0 offen
.LBB126_412:
	v_mov_b32_e32 v0, 0
	global_load_dword v1, v0, s[12:13] offset:228
	s_waitcnt vmcnt(0)
	v_add_nc_u32_e32 v1, -1, v1
	v_cmp_eq_u32_e32 vcc_lo, 57, v1
	s_cbranch_vccnz .LBB126_414
; %bb.413:
	v_lshlrev_b32_e32 v1, 4, v1
	v_mov_b32_e32 v2, s19
	v_add_nc_u32_e32 v1, 16, v1
	s_clause 0x7
	buffer_load_dword v3, v1, s[0:3], 0 offen
	buffer_load_dword v4, v1, s[0:3], 0 offen offset:4
	buffer_load_dword v5, v1, s[0:3], 0 offen offset:8
	;; [unrolled: 1-line block ×6, first 2 shown]
	buffer_load_dword v136, v2, s[0:3], 0 offen
	s_waitcnt vmcnt(7)
	buffer_store_dword v3, v2, s[0:3], 0 offen
	s_waitcnt vmcnt(6)
	buffer_store_dword v4, v2, s[0:3], 0 offen offset:4
	s_waitcnt vmcnt(5)
	buffer_store_dword v5, v2, s[0:3], 0 offen offset:8
	;; [unrolled: 2-line block ×6, first 2 shown]
	s_waitcnt vmcnt(0)
	buffer_store_dword v136, v1, s[0:3], 0 offen
.LBB126_414:
	global_load_dword v0, v0, s[12:13] offset:224
	s_waitcnt vmcnt(0)
	v_add_nc_u32_e32 v0, -1, v0
	v_cmp_eq_u32_e32 vcc_lo, 56, v0
	s_cbranch_vccnz .LBB126_416
; %bb.415:
	v_lshlrev_b32_e32 v0, 4, v0
	v_mov_b32_e32 v1, s20
	v_add_nc_u32_e32 v0, 16, v0
	s_clause 0x7
	buffer_load_dword v2, v0, s[0:3], 0 offen
	buffer_load_dword v3, v0, s[0:3], 0 offen offset:4
	buffer_load_dword v4, v0, s[0:3], 0 offen offset:8
	;; [unrolled: 1-line block ×6, first 2 shown]
	buffer_load_dword v135, v1, s[0:3], 0 offen
	s_waitcnt vmcnt(7)
	buffer_store_dword v2, v1, s[0:3], 0 offen
	s_waitcnt vmcnt(6)
	buffer_store_dword v3, v1, s[0:3], 0 offen offset:4
	s_waitcnt vmcnt(5)
	buffer_store_dword v4, v1, s[0:3], 0 offen offset:8
	;; [unrolled: 2-line block ×6, first 2 shown]
	s_waitcnt vmcnt(0)
	buffer_store_dword v135, v0, s[0:3], 0 offen
.LBB126_416:
	v_mov_b32_e32 v0, 0
	global_load_dword v1, v0, s[12:13] offset:220
	s_waitcnt vmcnt(0)
	v_add_nc_u32_e32 v1, -1, v1
	v_cmp_eq_u32_e32 vcc_lo, 55, v1
	s_cbranch_vccnz .LBB126_418
; %bb.417:
	v_lshlrev_b32_e32 v1, 4, v1
	v_mov_b32_e32 v2, s21
	v_add_nc_u32_e32 v1, 16, v1
	s_clause 0x7
	buffer_load_dword v3, v1, s[0:3], 0 offen
	buffer_load_dword v4, v1, s[0:3], 0 offen offset:4
	buffer_load_dword v5, v1, s[0:3], 0 offen offset:8
	;; [unrolled: 1-line block ×6, first 2 shown]
	buffer_load_dword v136, v2, s[0:3], 0 offen
	s_waitcnt vmcnt(7)
	buffer_store_dword v3, v2, s[0:3], 0 offen
	s_waitcnt vmcnt(6)
	buffer_store_dword v4, v2, s[0:3], 0 offen offset:4
	s_waitcnt vmcnt(5)
	buffer_store_dword v5, v2, s[0:3], 0 offen offset:8
	;; [unrolled: 2-line block ×6, first 2 shown]
	s_waitcnt vmcnt(0)
	buffer_store_dword v136, v1, s[0:3], 0 offen
.LBB126_418:
	global_load_dword v0, v0, s[12:13] offset:216
	s_waitcnt vmcnt(0)
	v_add_nc_u32_e32 v0, -1, v0
	v_cmp_eq_u32_e32 vcc_lo, 54, v0
	s_cbranch_vccnz .LBB126_420
; %bb.419:
	v_lshlrev_b32_e32 v0, 4, v0
	v_mov_b32_e32 v1, s22
	v_add_nc_u32_e32 v0, 16, v0
	s_clause 0x7
	buffer_load_dword v2, v0, s[0:3], 0 offen
	buffer_load_dword v3, v0, s[0:3], 0 offen offset:4
	buffer_load_dword v4, v0, s[0:3], 0 offen offset:8
	;; [unrolled: 1-line block ×6, first 2 shown]
	buffer_load_dword v135, v1, s[0:3], 0 offen
	s_waitcnt vmcnt(7)
	buffer_store_dword v2, v1, s[0:3], 0 offen
	s_waitcnt vmcnt(6)
	buffer_store_dword v3, v1, s[0:3], 0 offen offset:4
	s_waitcnt vmcnt(5)
	buffer_store_dword v4, v1, s[0:3], 0 offen offset:8
	;; [unrolled: 2-line block ×6, first 2 shown]
	s_waitcnt vmcnt(0)
	buffer_store_dword v135, v0, s[0:3], 0 offen
.LBB126_420:
	v_mov_b32_e32 v0, 0
	global_load_dword v1, v0, s[12:13] offset:212
	s_waitcnt vmcnt(0)
	v_add_nc_u32_e32 v1, -1, v1
	v_cmp_eq_u32_e32 vcc_lo, 53, v1
	s_cbranch_vccnz .LBB126_422
; %bb.421:
	v_lshlrev_b32_e32 v1, 4, v1
	v_mov_b32_e32 v2, s23
	v_add_nc_u32_e32 v1, 16, v1
	s_clause 0x7
	buffer_load_dword v3, v1, s[0:3], 0 offen
	buffer_load_dword v4, v1, s[0:3], 0 offen offset:4
	buffer_load_dword v5, v1, s[0:3], 0 offen offset:8
	;; [unrolled: 1-line block ×6, first 2 shown]
	buffer_load_dword v136, v2, s[0:3], 0 offen
	s_waitcnt vmcnt(7)
	buffer_store_dword v3, v2, s[0:3], 0 offen
	s_waitcnt vmcnt(6)
	buffer_store_dword v4, v2, s[0:3], 0 offen offset:4
	s_waitcnt vmcnt(5)
	buffer_store_dword v5, v2, s[0:3], 0 offen offset:8
	;; [unrolled: 2-line block ×6, first 2 shown]
	s_waitcnt vmcnt(0)
	buffer_store_dword v136, v1, s[0:3], 0 offen
.LBB126_422:
	global_load_dword v0, v0, s[12:13] offset:208
	s_waitcnt vmcnt(0)
	v_add_nc_u32_e32 v0, -1, v0
	v_cmp_eq_u32_e32 vcc_lo, 52, v0
	s_cbranch_vccnz .LBB126_424
; %bb.423:
	v_lshlrev_b32_e32 v0, 4, v0
	v_mov_b32_e32 v1, s24
	v_add_nc_u32_e32 v0, 16, v0
	s_clause 0x7
	buffer_load_dword v2, v0, s[0:3], 0 offen
	buffer_load_dword v3, v0, s[0:3], 0 offen offset:4
	buffer_load_dword v4, v0, s[0:3], 0 offen offset:8
	;; [unrolled: 1-line block ×6, first 2 shown]
	buffer_load_dword v135, v1, s[0:3], 0 offen
	s_waitcnt vmcnt(7)
	buffer_store_dword v2, v1, s[0:3], 0 offen
	s_waitcnt vmcnt(6)
	buffer_store_dword v3, v1, s[0:3], 0 offen offset:4
	s_waitcnt vmcnt(5)
	buffer_store_dword v4, v1, s[0:3], 0 offen offset:8
	;; [unrolled: 2-line block ×6, first 2 shown]
	s_waitcnt vmcnt(0)
	buffer_store_dword v135, v0, s[0:3], 0 offen
.LBB126_424:
	v_mov_b32_e32 v0, 0
	global_load_dword v1, v0, s[12:13] offset:204
	s_waitcnt vmcnt(0)
	v_add_nc_u32_e32 v1, -1, v1
	v_cmp_eq_u32_e32 vcc_lo, 51, v1
	s_cbranch_vccnz .LBB126_426
; %bb.425:
	v_lshlrev_b32_e32 v1, 4, v1
	v_mov_b32_e32 v2, s25
	v_add_nc_u32_e32 v1, 16, v1
	s_clause 0x7
	buffer_load_dword v3, v1, s[0:3], 0 offen
	buffer_load_dword v4, v1, s[0:3], 0 offen offset:4
	buffer_load_dword v5, v1, s[0:3], 0 offen offset:8
	buffer_load_dword v6, v1, s[0:3], 0 offen offset:12
	buffer_load_dword v7, v2, s[0:3], 0 offen offset:12
	buffer_load_dword v8, v2, s[0:3], 0 offen offset:8
	buffer_load_dword v135, v2, s[0:3], 0 offen offset:4
	buffer_load_dword v136, v2, s[0:3], 0 offen
	s_waitcnt vmcnt(7)
	buffer_store_dword v3, v2, s[0:3], 0 offen
	s_waitcnt vmcnt(6)
	buffer_store_dword v4, v2, s[0:3], 0 offen offset:4
	s_waitcnt vmcnt(5)
	buffer_store_dword v5, v2, s[0:3], 0 offen offset:8
	;; [unrolled: 2-line block ×6, first 2 shown]
	s_waitcnt vmcnt(0)
	buffer_store_dword v136, v1, s[0:3], 0 offen
.LBB126_426:
	global_load_dword v0, v0, s[12:13] offset:200
	s_waitcnt vmcnt(0)
	v_add_nc_u32_e32 v0, -1, v0
	v_cmp_eq_u32_e32 vcc_lo, 50, v0
	s_cbranch_vccnz .LBB126_428
; %bb.427:
	v_lshlrev_b32_e32 v0, 4, v0
	v_mov_b32_e32 v1, s26
	v_add_nc_u32_e32 v0, 16, v0
	s_clause 0x7
	buffer_load_dword v2, v0, s[0:3], 0 offen
	buffer_load_dword v3, v0, s[0:3], 0 offen offset:4
	buffer_load_dword v4, v0, s[0:3], 0 offen offset:8
	;; [unrolled: 1-line block ×6, first 2 shown]
	buffer_load_dword v135, v1, s[0:3], 0 offen
	s_waitcnt vmcnt(7)
	buffer_store_dword v2, v1, s[0:3], 0 offen
	s_waitcnt vmcnt(6)
	buffer_store_dword v3, v1, s[0:3], 0 offen offset:4
	s_waitcnt vmcnt(5)
	buffer_store_dword v4, v1, s[0:3], 0 offen offset:8
	;; [unrolled: 2-line block ×6, first 2 shown]
	s_waitcnt vmcnt(0)
	buffer_store_dword v135, v0, s[0:3], 0 offen
.LBB126_428:
	v_mov_b32_e32 v0, 0
	global_load_dword v1, v0, s[12:13] offset:196
	s_waitcnt vmcnt(0)
	v_add_nc_u32_e32 v1, -1, v1
	v_cmp_eq_u32_e32 vcc_lo, 49, v1
	s_cbranch_vccnz .LBB126_430
; %bb.429:
	v_lshlrev_b32_e32 v1, 4, v1
	v_mov_b32_e32 v2, s27
	v_add_nc_u32_e32 v1, 16, v1
	s_clause 0x7
	buffer_load_dword v3, v1, s[0:3], 0 offen
	buffer_load_dword v4, v1, s[0:3], 0 offen offset:4
	buffer_load_dword v5, v1, s[0:3], 0 offen offset:8
	;; [unrolled: 1-line block ×6, first 2 shown]
	buffer_load_dword v136, v2, s[0:3], 0 offen
	s_waitcnt vmcnt(7)
	buffer_store_dword v3, v2, s[0:3], 0 offen
	s_waitcnt vmcnt(6)
	buffer_store_dword v4, v2, s[0:3], 0 offen offset:4
	s_waitcnt vmcnt(5)
	buffer_store_dword v5, v2, s[0:3], 0 offen offset:8
	;; [unrolled: 2-line block ×6, first 2 shown]
	s_waitcnt vmcnt(0)
	buffer_store_dword v136, v1, s[0:3], 0 offen
.LBB126_430:
	global_load_dword v0, v0, s[12:13] offset:192
	s_waitcnt vmcnt(0)
	v_add_nc_u32_e32 v0, -1, v0
	v_cmp_eq_u32_e32 vcc_lo, 48, v0
	s_cbranch_vccnz .LBB126_432
; %bb.431:
	v_lshlrev_b32_e32 v0, 4, v0
	v_mov_b32_e32 v1, s28
	v_add_nc_u32_e32 v0, 16, v0
	s_clause 0x7
	buffer_load_dword v2, v0, s[0:3], 0 offen
	buffer_load_dword v3, v0, s[0:3], 0 offen offset:4
	buffer_load_dword v4, v0, s[0:3], 0 offen offset:8
	;; [unrolled: 1-line block ×6, first 2 shown]
	buffer_load_dword v135, v1, s[0:3], 0 offen
	s_waitcnt vmcnt(7)
	buffer_store_dword v2, v1, s[0:3], 0 offen
	s_waitcnt vmcnt(6)
	buffer_store_dword v3, v1, s[0:3], 0 offen offset:4
	s_waitcnt vmcnt(5)
	buffer_store_dword v4, v1, s[0:3], 0 offen offset:8
	;; [unrolled: 2-line block ×6, first 2 shown]
	s_waitcnt vmcnt(0)
	buffer_store_dword v135, v0, s[0:3], 0 offen
.LBB126_432:
	v_mov_b32_e32 v0, 0
	global_load_dword v1, v0, s[12:13] offset:188
	s_waitcnt vmcnt(0)
	v_add_nc_u32_e32 v1, -1, v1
	v_cmp_eq_u32_e32 vcc_lo, 47, v1
	s_cbranch_vccnz .LBB126_434
; %bb.433:
	v_lshlrev_b32_e32 v1, 4, v1
	v_mov_b32_e32 v2, s29
	v_add_nc_u32_e32 v1, 16, v1
	s_clause 0x7
	buffer_load_dword v3, v1, s[0:3], 0 offen
	buffer_load_dword v4, v1, s[0:3], 0 offen offset:4
	buffer_load_dword v5, v1, s[0:3], 0 offen offset:8
	;; [unrolled: 1-line block ×6, first 2 shown]
	buffer_load_dword v136, v2, s[0:3], 0 offen
	s_waitcnt vmcnt(7)
	buffer_store_dword v3, v2, s[0:3], 0 offen
	s_waitcnt vmcnt(6)
	buffer_store_dword v4, v2, s[0:3], 0 offen offset:4
	s_waitcnt vmcnt(5)
	buffer_store_dword v5, v2, s[0:3], 0 offen offset:8
	;; [unrolled: 2-line block ×6, first 2 shown]
	s_waitcnt vmcnt(0)
	buffer_store_dword v136, v1, s[0:3], 0 offen
.LBB126_434:
	global_load_dword v0, v0, s[12:13] offset:184
	s_waitcnt vmcnt(0)
	v_add_nc_u32_e32 v0, -1, v0
	v_cmp_eq_u32_e32 vcc_lo, 46, v0
	s_cbranch_vccnz .LBB126_436
; %bb.435:
	v_lshlrev_b32_e32 v0, 4, v0
	v_mov_b32_e32 v1, s30
	v_add_nc_u32_e32 v0, 16, v0
	s_clause 0x7
	buffer_load_dword v2, v0, s[0:3], 0 offen
	buffer_load_dword v3, v0, s[0:3], 0 offen offset:4
	buffer_load_dword v4, v0, s[0:3], 0 offen offset:8
	;; [unrolled: 1-line block ×6, first 2 shown]
	buffer_load_dword v135, v1, s[0:3], 0 offen
	s_waitcnt vmcnt(7)
	buffer_store_dword v2, v1, s[0:3], 0 offen
	s_waitcnt vmcnt(6)
	buffer_store_dword v3, v1, s[0:3], 0 offen offset:4
	s_waitcnt vmcnt(5)
	buffer_store_dword v4, v1, s[0:3], 0 offen offset:8
	s_waitcnt vmcnt(4)
	buffer_store_dword v5, v1, s[0:3], 0 offen offset:12
	s_waitcnt vmcnt(3)
	buffer_store_dword v6, v0, s[0:3], 0 offen offset:12
	s_waitcnt vmcnt(2)
	buffer_store_dword v7, v0, s[0:3], 0 offen offset:8
	s_waitcnt vmcnt(1)
	buffer_store_dword v8, v0, s[0:3], 0 offen offset:4
	s_waitcnt vmcnt(0)
	buffer_store_dword v135, v0, s[0:3], 0 offen
.LBB126_436:
	v_mov_b32_e32 v0, 0
	global_load_dword v1, v0, s[12:13] offset:180
	s_waitcnt vmcnt(0)
	v_add_nc_u32_e32 v1, -1, v1
	v_cmp_eq_u32_e32 vcc_lo, 45, v1
	s_cbranch_vccnz .LBB126_438
; %bb.437:
	v_lshlrev_b32_e32 v1, 4, v1
	v_mov_b32_e32 v2, s31
	v_add_nc_u32_e32 v1, 16, v1
	s_clause 0x7
	buffer_load_dword v3, v1, s[0:3], 0 offen
	buffer_load_dword v4, v1, s[0:3], 0 offen offset:4
	buffer_load_dword v5, v1, s[0:3], 0 offen offset:8
	buffer_load_dword v6, v1, s[0:3], 0 offen offset:12
	buffer_load_dword v7, v2, s[0:3], 0 offen offset:12
	buffer_load_dword v8, v2, s[0:3], 0 offen offset:8
	buffer_load_dword v135, v2, s[0:3], 0 offen offset:4
	buffer_load_dword v136, v2, s[0:3], 0 offen
	s_waitcnt vmcnt(7)
	buffer_store_dword v3, v2, s[0:3], 0 offen
	s_waitcnt vmcnt(6)
	buffer_store_dword v4, v2, s[0:3], 0 offen offset:4
	s_waitcnt vmcnt(5)
	buffer_store_dword v5, v2, s[0:3], 0 offen offset:8
	;; [unrolled: 2-line block ×6, first 2 shown]
	s_waitcnt vmcnt(0)
	buffer_store_dword v136, v1, s[0:3], 0 offen
.LBB126_438:
	global_load_dword v0, v0, s[12:13] offset:176
	s_waitcnt vmcnt(0)
	v_add_nc_u32_e32 v0, -1, v0
	v_cmp_eq_u32_e32 vcc_lo, 44, v0
	s_cbranch_vccnz .LBB126_440
; %bb.439:
	v_lshlrev_b32_e32 v0, 4, v0
	v_mov_b32_e32 v1, s33
	v_add_nc_u32_e32 v0, 16, v0
	s_clause 0x7
	buffer_load_dword v2, v0, s[0:3], 0 offen
	buffer_load_dword v3, v0, s[0:3], 0 offen offset:4
	buffer_load_dword v4, v0, s[0:3], 0 offen offset:8
	buffer_load_dword v5, v0, s[0:3], 0 offen offset:12
	buffer_load_dword v6, v1, s[0:3], 0 offen offset:12
	buffer_load_dword v7, v1, s[0:3], 0 offen offset:8
	buffer_load_dword v8, v1, s[0:3], 0 offen offset:4
	buffer_load_dword v135, v1, s[0:3], 0 offen
	s_waitcnt vmcnt(7)
	buffer_store_dword v2, v1, s[0:3], 0 offen
	s_waitcnt vmcnt(6)
	buffer_store_dword v3, v1, s[0:3], 0 offen offset:4
	s_waitcnt vmcnt(5)
	buffer_store_dword v4, v1, s[0:3], 0 offen offset:8
	;; [unrolled: 2-line block ×6, first 2 shown]
	s_waitcnt vmcnt(0)
	buffer_store_dword v135, v0, s[0:3], 0 offen
.LBB126_440:
	v_mov_b32_e32 v0, 0
	global_load_dword v1, v0, s[12:13] offset:172
	s_waitcnt vmcnt(0)
	v_add_nc_u32_e32 v1, -1, v1
	v_cmp_eq_u32_e32 vcc_lo, 43, v1
	s_cbranch_vccnz .LBB126_442
; %bb.441:
	v_lshlrev_b32_e32 v1, 4, v1
	v_mov_b32_e32 v2, s34
	v_add_nc_u32_e32 v1, 16, v1
	s_clause 0x7
	buffer_load_dword v3, v1, s[0:3], 0 offen
	buffer_load_dword v4, v1, s[0:3], 0 offen offset:4
	buffer_load_dword v5, v1, s[0:3], 0 offen offset:8
	;; [unrolled: 1-line block ×6, first 2 shown]
	buffer_load_dword v136, v2, s[0:3], 0 offen
	s_waitcnt vmcnt(7)
	buffer_store_dword v3, v2, s[0:3], 0 offen
	s_waitcnt vmcnt(6)
	buffer_store_dword v4, v2, s[0:3], 0 offen offset:4
	s_waitcnt vmcnt(5)
	buffer_store_dword v5, v2, s[0:3], 0 offen offset:8
	;; [unrolled: 2-line block ×6, first 2 shown]
	s_waitcnt vmcnt(0)
	buffer_store_dword v136, v1, s[0:3], 0 offen
.LBB126_442:
	global_load_dword v0, v0, s[12:13] offset:168
	s_waitcnt vmcnt(0)
	v_add_nc_u32_e32 v0, -1, v0
	v_cmp_eq_u32_e32 vcc_lo, 42, v0
	s_cbranch_vccnz .LBB126_444
; %bb.443:
	v_lshlrev_b32_e32 v0, 4, v0
	v_mov_b32_e32 v1, s35
	v_add_nc_u32_e32 v0, 16, v0
	s_clause 0x7
	buffer_load_dword v2, v0, s[0:3], 0 offen
	buffer_load_dword v3, v0, s[0:3], 0 offen offset:4
	buffer_load_dword v4, v0, s[0:3], 0 offen offset:8
	;; [unrolled: 1-line block ×6, first 2 shown]
	buffer_load_dword v135, v1, s[0:3], 0 offen
	s_waitcnt vmcnt(7)
	buffer_store_dword v2, v1, s[0:3], 0 offen
	s_waitcnt vmcnt(6)
	buffer_store_dword v3, v1, s[0:3], 0 offen offset:4
	s_waitcnt vmcnt(5)
	buffer_store_dword v4, v1, s[0:3], 0 offen offset:8
	s_waitcnt vmcnt(4)
	buffer_store_dword v5, v1, s[0:3], 0 offen offset:12
	s_waitcnt vmcnt(3)
	buffer_store_dword v6, v0, s[0:3], 0 offen offset:12
	s_waitcnt vmcnt(2)
	buffer_store_dword v7, v0, s[0:3], 0 offen offset:8
	s_waitcnt vmcnt(1)
	buffer_store_dword v8, v0, s[0:3], 0 offen offset:4
	s_waitcnt vmcnt(0)
	buffer_store_dword v135, v0, s[0:3], 0 offen
.LBB126_444:
	v_mov_b32_e32 v0, 0
	global_load_dword v1, v0, s[12:13] offset:164
	s_waitcnt vmcnt(0)
	v_add_nc_u32_e32 v1, -1, v1
	v_cmp_eq_u32_e32 vcc_lo, 41, v1
	s_cbranch_vccnz .LBB126_446
; %bb.445:
	v_lshlrev_b32_e32 v1, 4, v1
	v_mov_b32_e32 v2, s36
	v_add_nc_u32_e32 v1, 16, v1
	s_clause 0x7
	buffer_load_dword v3, v1, s[0:3], 0 offen
	buffer_load_dword v4, v1, s[0:3], 0 offen offset:4
	buffer_load_dword v5, v1, s[0:3], 0 offen offset:8
	;; [unrolled: 1-line block ×6, first 2 shown]
	buffer_load_dword v136, v2, s[0:3], 0 offen
	s_waitcnt vmcnt(7)
	buffer_store_dword v3, v2, s[0:3], 0 offen
	s_waitcnt vmcnt(6)
	buffer_store_dword v4, v2, s[0:3], 0 offen offset:4
	s_waitcnt vmcnt(5)
	buffer_store_dword v5, v2, s[0:3], 0 offen offset:8
	;; [unrolled: 2-line block ×6, first 2 shown]
	s_waitcnt vmcnt(0)
	buffer_store_dword v136, v1, s[0:3], 0 offen
.LBB126_446:
	global_load_dword v0, v0, s[12:13] offset:160
	s_waitcnt vmcnt(0)
	v_add_nc_u32_e32 v0, -1, v0
	v_cmp_eq_u32_e32 vcc_lo, 40, v0
	s_cbranch_vccnz .LBB126_448
; %bb.447:
	v_lshlrev_b32_e32 v0, 4, v0
	v_mov_b32_e32 v1, s37
	v_add_nc_u32_e32 v0, 16, v0
	s_clause 0x7
	buffer_load_dword v2, v0, s[0:3], 0 offen
	buffer_load_dword v3, v0, s[0:3], 0 offen offset:4
	buffer_load_dword v4, v0, s[0:3], 0 offen offset:8
	;; [unrolled: 1-line block ×6, first 2 shown]
	buffer_load_dword v135, v1, s[0:3], 0 offen
	s_waitcnt vmcnt(7)
	buffer_store_dword v2, v1, s[0:3], 0 offen
	s_waitcnt vmcnt(6)
	buffer_store_dword v3, v1, s[0:3], 0 offen offset:4
	s_waitcnt vmcnt(5)
	buffer_store_dword v4, v1, s[0:3], 0 offen offset:8
	;; [unrolled: 2-line block ×6, first 2 shown]
	s_waitcnt vmcnt(0)
	buffer_store_dword v135, v0, s[0:3], 0 offen
.LBB126_448:
	v_mov_b32_e32 v0, 0
	global_load_dword v1, v0, s[12:13] offset:156
	s_waitcnt vmcnt(0)
	v_add_nc_u32_e32 v1, -1, v1
	v_cmp_eq_u32_e32 vcc_lo, 39, v1
	s_cbranch_vccnz .LBB126_450
; %bb.449:
	v_lshlrev_b32_e32 v1, 4, v1
	v_mov_b32_e32 v2, s38
	v_add_nc_u32_e32 v1, 16, v1
	s_clause 0x7
	buffer_load_dword v3, v1, s[0:3], 0 offen
	buffer_load_dword v4, v1, s[0:3], 0 offen offset:4
	buffer_load_dword v5, v1, s[0:3], 0 offen offset:8
	;; [unrolled: 1-line block ×6, first 2 shown]
	buffer_load_dword v136, v2, s[0:3], 0 offen
	s_waitcnt vmcnt(7)
	buffer_store_dword v3, v2, s[0:3], 0 offen
	s_waitcnt vmcnt(6)
	buffer_store_dword v4, v2, s[0:3], 0 offen offset:4
	s_waitcnt vmcnt(5)
	buffer_store_dword v5, v2, s[0:3], 0 offen offset:8
	;; [unrolled: 2-line block ×6, first 2 shown]
	s_waitcnt vmcnt(0)
	buffer_store_dword v136, v1, s[0:3], 0 offen
.LBB126_450:
	global_load_dword v0, v0, s[12:13] offset:152
	s_waitcnt vmcnt(0)
	v_add_nc_u32_e32 v0, -1, v0
	v_cmp_eq_u32_e32 vcc_lo, 38, v0
	s_cbranch_vccnz .LBB126_452
; %bb.451:
	v_lshlrev_b32_e32 v0, 4, v0
	v_mov_b32_e32 v1, s39
	v_add_nc_u32_e32 v0, 16, v0
	s_clause 0x7
	buffer_load_dword v2, v0, s[0:3], 0 offen
	buffer_load_dword v3, v0, s[0:3], 0 offen offset:4
	buffer_load_dword v4, v0, s[0:3], 0 offen offset:8
	;; [unrolled: 1-line block ×6, first 2 shown]
	buffer_load_dword v135, v1, s[0:3], 0 offen
	s_waitcnt vmcnt(7)
	buffer_store_dword v2, v1, s[0:3], 0 offen
	s_waitcnt vmcnt(6)
	buffer_store_dword v3, v1, s[0:3], 0 offen offset:4
	s_waitcnt vmcnt(5)
	buffer_store_dword v4, v1, s[0:3], 0 offen offset:8
	s_waitcnt vmcnt(4)
	buffer_store_dword v5, v1, s[0:3], 0 offen offset:12
	s_waitcnt vmcnt(3)
	buffer_store_dword v6, v0, s[0:3], 0 offen offset:12
	s_waitcnt vmcnt(2)
	buffer_store_dword v7, v0, s[0:3], 0 offen offset:8
	s_waitcnt vmcnt(1)
	buffer_store_dword v8, v0, s[0:3], 0 offen offset:4
	s_waitcnt vmcnt(0)
	buffer_store_dword v135, v0, s[0:3], 0 offen
.LBB126_452:
	v_mov_b32_e32 v0, 0
	global_load_dword v1, v0, s[12:13] offset:148
	s_waitcnt vmcnt(0)
	v_add_nc_u32_e32 v1, -1, v1
	v_cmp_eq_u32_e32 vcc_lo, 37, v1
	s_cbranch_vccnz .LBB126_454
; %bb.453:
	v_lshlrev_b32_e32 v1, 4, v1
	v_mov_b32_e32 v2, s40
	v_add_nc_u32_e32 v1, 16, v1
	s_clause 0x7
	buffer_load_dword v3, v1, s[0:3], 0 offen
	buffer_load_dword v4, v1, s[0:3], 0 offen offset:4
	buffer_load_dword v5, v1, s[0:3], 0 offen offset:8
	;; [unrolled: 1-line block ×6, first 2 shown]
	buffer_load_dword v136, v2, s[0:3], 0 offen
	s_waitcnt vmcnt(7)
	buffer_store_dword v3, v2, s[0:3], 0 offen
	s_waitcnt vmcnt(6)
	buffer_store_dword v4, v2, s[0:3], 0 offen offset:4
	s_waitcnt vmcnt(5)
	buffer_store_dword v5, v2, s[0:3], 0 offen offset:8
	s_waitcnt vmcnt(4)
	buffer_store_dword v6, v2, s[0:3], 0 offen offset:12
	s_waitcnt vmcnt(3)
	buffer_store_dword v7, v1, s[0:3], 0 offen offset:12
	s_waitcnt vmcnt(2)
	buffer_store_dword v8, v1, s[0:3], 0 offen offset:8
	s_waitcnt vmcnt(1)
	buffer_store_dword v135, v1, s[0:3], 0 offen offset:4
	s_waitcnt vmcnt(0)
	buffer_store_dword v136, v1, s[0:3], 0 offen
.LBB126_454:
	global_load_dword v0, v0, s[12:13] offset:144
	s_waitcnt vmcnt(0)
	v_add_nc_u32_e32 v0, -1, v0
	v_cmp_eq_u32_e32 vcc_lo, 36, v0
	s_cbranch_vccnz .LBB126_456
; %bb.455:
	v_lshlrev_b32_e32 v0, 4, v0
	v_mov_b32_e32 v1, s41
	v_add_nc_u32_e32 v0, 16, v0
	s_clause 0x7
	buffer_load_dword v2, v0, s[0:3], 0 offen
	buffer_load_dword v3, v0, s[0:3], 0 offen offset:4
	buffer_load_dword v4, v0, s[0:3], 0 offen offset:8
	;; [unrolled: 1-line block ×6, first 2 shown]
	buffer_load_dword v135, v1, s[0:3], 0 offen
	s_waitcnt vmcnt(7)
	buffer_store_dword v2, v1, s[0:3], 0 offen
	s_waitcnt vmcnt(6)
	buffer_store_dword v3, v1, s[0:3], 0 offen offset:4
	s_waitcnt vmcnt(5)
	buffer_store_dword v4, v1, s[0:3], 0 offen offset:8
	;; [unrolled: 2-line block ×6, first 2 shown]
	s_waitcnt vmcnt(0)
	buffer_store_dword v135, v0, s[0:3], 0 offen
.LBB126_456:
	v_mov_b32_e32 v0, 0
	global_load_dword v1, v0, s[12:13] offset:140
	s_waitcnt vmcnt(0)
	v_add_nc_u32_e32 v1, -1, v1
	v_cmp_eq_u32_e32 vcc_lo, 35, v1
	s_cbranch_vccnz .LBB126_458
; %bb.457:
	v_lshlrev_b32_e32 v1, 4, v1
	v_mov_b32_e32 v2, s42
	v_add_nc_u32_e32 v1, 16, v1
	s_clause 0x7
	buffer_load_dword v3, v1, s[0:3], 0 offen
	buffer_load_dword v4, v1, s[0:3], 0 offen offset:4
	buffer_load_dword v5, v1, s[0:3], 0 offen offset:8
	;; [unrolled: 1-line block ×6, first 2 shown]
	buffer_load_dword v136, v2, s[0:3], 0 offen
	s_waitcnt vmcnt(7)
	buffer_store_dword v3, v2, s[0:3], 0 offen
	s_waitcnt vmcnt(6)
	buffer_store_dword v4, v2, s[0:3], 0 offen offset:4
	s_waitcnt vmcnt(5)
	buffer_store_dword v5, v2, s[0:3], 0 offen offset:8
	;; [unrolled: 2-line block ×6, first 2 shown]
	s_waitcnt vmcnt(0)
	buffer_store_dword v136, v1, s[0:3], 0 offen
.LBB126_458:
	global_load_dword v0, v0, s[12:13] offset:136
	s_waitcnt vmcnt(0)
	v_add_nc_u32_e32 v0, -1, v0
	v_cmp_eq_u32_e32 vcc_lo, 34, v0
	s_cbranch_vccnz .LBB126_460
; %bb.459:
	v_lshlrev_b32_e32 v0, 4, v0
	v_mov_b32_e32 v1, s43
	v_add_nc_u32_e32 v0, 16, v0
	s_clause 0x7
	buffer_load_dword v2, v0, s[0:3], 0 offen
	buffer_load_dword v3, v0, s[0:3], 0 offen offset:4
	buffer_load_dword v4, v0, s[0:3], 0 offen offset:8
	;; [unrolled: 1-line block ×6, first 2 shown]
	buffer_load_dword v135, v1, s[0:3], 0 offen
	s_waitcnt vmcnt(7)
	buffer_store_dword v2, v1, s[0:3], 0 offen
	s_waitcnt vmcnt(6)
	buffer_store_dword v3, v1, s[0:3], 0 offen offset:4
	s_waitcnt vmcnt(5)
	buffer_store_dword v4, v1, s[0:3], 0 offen offset:8
	;; [unrolled: 2-line block ×6, first 2 shown]
	s_waitcnt vmcnt(0)
	buffer_store_dword v135, v0, s[0:3], 0 offen
.LBB126_460:
	v_mov_b32_e32 v0, 0
	global_load_dword v1, v0, s[12:13] offset:132
	s_waitcnt vmcnt(0)
	v_add_nc_u32_e32 v1, -1, v1
	v_cmp_eq_u32_e32 vcc_lo, 33, v1
	s_cbranch_vccnz .LBB126_462
; %bb.461:
	v_lshlrev_b32_e32 v1, 4, v1
	v_mov_b32_e32 v2, s44
	v_add_nc_u32_e32 v1, 16, v1
	s_clause 0x7
	buffer_load_dword v3, v1, s[0:3], 0 offen
	buffer_load_dword v4, v1, s[0:3], 0 offen offset:4
	buffer_load_dword v5, v1, s[0:3], 0 offen offset:8
	;; [unrolled: 1-line block ×6, first 2 shown]
	buffer_load_dword v136, v2, s[0:3], 0 offen
	s_waitcnt vmcnt(7)
	buffer_store_dword v3, v2, s[0:3], 0 offen
	s_waitcnt vmcnt(6)
	buffer_store_dword v4, v2, s[0:3], 0 offen offset:4
	s_waitcnt vmcnt(5)
	buffer_store_dword v5, v2, s[0:3], 0 offen offset:8
	;; [unrolled: 2-line block ×6, first 2 shown]
	s_waitcnt vmcnt(0)
	buffer_store_dword v136, v1, s[0:3], 0 offen
.LBB126_462:
	global_load_dword v0, v0, s[12:13] offset:128
	s_waitcnt vmcnt(0)
	v_add_nc_u32_e32 v0, -1, v0
	v_cmp_eq_u32_e32 vcc_lo, 32, v0
	s_cbranch_vccnz .LBB126_464
; %bb.463:
	v_lshlrev_b32_e32 v0, 4, v0
	v_mov_b32_e32 v1, s45
	v_add_nc_u32_e32 v0, 16, v0
	s_clause 0x7
	buffer_load_dword v2, v0, s[0:3], 0 offen
	buffer_load_dword v3, v0, s[0:3], 0 offen offset:4
	buffer_load_dword v4, v0, s[0:3], 0 offen offset:8
	;; [unrolled: 1-line block ×6, first 2 shown]
	buffer_load_dword v135, v1, s[0:3], 0 offen
	s_waitcnt vmcnt(7)
	buffer_store_dword v2, v1, s[0:3], 0 offen
	s_waitcnt vmcnt(6)
	buffer_store_dword v3, v1, s[0:3], 0 offen offset:4
	s_waitcnt vmcnt(5)
	buffer_store_dword v4, v1, s[0:3], 0 offen offset:8
	;; [unrolled: 2-line block ×6, first 2 shown]
	s_waitcnt vmcnt(0)
	buffer_store_dword v135, v0, s[0:3], 0 offen
.LBB126_464:
	v_mov_b32_e32 v0, 0
	global_load_dword v1, v0, s[12:13] offset:124
	s_waitcnt vmcnt(0)
	v_add_nc_u32_e32 v1, -1, v1
	v_cmp_eq_u32_e32 vcc_lo, 31, v1
	s_cbranch_vccnz .LBB126_466
; %bb.465:
	v_lshlrev_b32_e32 v1, 4, v1
	v_mov_b32_e32 v2, s46
	v_add_nc_u32_e32 v1, 16, v1
	s_clause 0x7
	buffer_load_dword v3, v1, s[0:3], 0 offen
	buffer_load_dword v4, v1, s[0:3], 0 offen offset:4
	buffer_load_dword v5, v1, s[0:3], 0 offen offset:8
	;; [unrolled: 1-line block ×6, first 2 shown]
	buffer_load_dword v136, v2, s[0:3], 0 offen
	s_waitcnt vmcnt(7)
	buffer_store_dword v3, v2, s[0:3], 0 offen
	s_waitcnt vmcnt(6)
	buffer_store_dword v4, v2, s[0:3], 0 offen offset:4
	s_waitcnt vmcnt(5)
	buffer_store_dword v5, v2, s[0:3], 0 offen offset:8
	;; [unrolled: 2-line block ×6, first 2 shown]
	s_waitcnt vmcnt(0)
	buffer_store_dword v136, v1, s[0:3], 0 offen
.LBB126_466:
	global_load_dword v0, v0, s[12:13] offset:120
	s_waitcnt vmcnt(0)
	v_add_nc_u32_e32 v0, -1, v0
	v_cmp_eq_u32_e32 vcc_lo, 30, v0
	s_cbranch_vccnz .LBB126_468
; %bb.467:
	v_lshlrev_b32_e32 v0, 4, v0
	v_mov_b32_e32 v1, s47
	v_add_nc_u32_e32 v0, 16, v0
	s_clause 0x7
	buffer_load_dword v2, v0, s[0:3], 0 offen
	buffer_load_dword v3, v0, s[0:3], 0 offen offset:4
	buffer_load_dword v4, v0, s[0:3], 0 offen offset:8
	;; [unrolled: 1-line block ×6, first 2 shown]
	buffer_load_dword v135, v1, s[0:3], 0 offen
	s_waitcnt vmcnt(7)
	buffer_store_dword v2, v1, s[0:3], 0 offen
	s_waitcnt vmcnt(6)
	buffer_store_dword v3, v1, s[0:3], 0 offen offset:4
	s_waitcnt vmcnt(5)
	buffer_store_dword v4, v1, s[0:3], 0 offen offset:8
	;; [unrolled: 2-line block ×6, first 2 shown]
	s_waitcnt vmcnt(0)
	buffer_store_dword v135, v0, s[0:3], 0 offen
.LBB126_468:
	v_mov_b32_e32 v0, 0
	global_load_dword v1, v0, s[12:13] offset:116
	s_waitcnt vmcnt(0)
	v_add_nc_u32_e32 v1, -1, v1
	v_cmp_eq_u32_e32 vcc_lo, 29, v1
	s_cbranch_vccnz .LBB126_470
; %bb.469:
	v_lshlrev_b32_e32 v1, 4, v1
	v_mov_b32_e32 v2, s48
	v_add_nc_u32_e32 v1, 16, v1
	s_clause 0x7
	buffer_load_dword v3, v1, s[0:3], 0 offen
	buffer_load_dword v4, v1, s[0:3], 0 offen offset:4
	buffer_load_dword v5, v1, s[0:3], 0 offen offset:8
	;; [unrolled: 1-line block ×6, first 2 shown]
	buffer_load_dword v136, v2, s[0:3], 0 offen
	s_waitcnt vmcnt(7)
	buffer_store_dword v3, v2, s[0:3], 0 offen
	s_waitcnt vmcnt(6)
	buffer_store_dword v4, v2, s[0:3], 0 offen offset:4
	s_waitcnt vmcnt(5)
	buffer_store_dword v5, v2, s[0:3], 0 offen offset:8
	;; [unrolled: 2-line block ×6, first 2 shown]
	s_waitcnt vmcnt(0)
	buffer_store_dword v136, v1, s[0:3], 0 offen
.LBB126_470:
	global_load_dword v0, v0, s[12:13] offset:112
	s_waitcnt vmcnt(0)
	v_add_nc_u32_e32 v0, -1, v0
	v_cmp_eq_u32_e32 vcc_lo, 28, v0
	s_cbranch_vccnz .LBB126_472
; %bb.471:
	v_lshlrev_b32_e32 v0, 4, v0
	v_mov_b32_e32 v1, s49
	v_add_nc_u32_e32 v0, 16, v0
	s_clause 0x7
	buffer_load_dword v2, v0, s[0:3], 0 offen
	buffer_load_dword v3, v0, s[0:3], 0 offen offset:4
	buffer_load_dword v4, v0, s[0:3], 0 offen offset:8
	;; [unrolled: 1-line block ×6, first 2 shown]
	buffer_load_dword v135, v1, s[0:3], 0 offen
	s_waitcnt vmcnt(7)
	buffer_store_dword v2, v1, s[0:3], 0 offen
	s_waitcnt vmcnt(6)
	buffer_store_dword v3, v1, s[0:3], 0 offen offset:4
	s_waitcnt vmcnt(5)
	buffer_store_dword v4, v1, s[0:3], 0 offen offset:8
	;; [unrolled: 2-line block ×6, first 2 shown]
	s_waitcnt vmcnt(0)
	buffer_store_dword v135, v0, s[0:3], 0 offen
.LBB126_472:
	v_mov_b32_e32 v0, 0
	global_load_dword v1, v0, s[12:13] offset:108
	s_waitcnt vmcnt(0)
	v_add_nc_u32_e32 v1, -1, v1
	v_cmp_eq_u32_e32 vcc_lo, 27, v1
	s_cbranch_vccnz .LBB126_474
; %bb.473:
	v_lshlrev_b32_e32 v1, 4, v1
	v_mov_b32_e32 v2, s50
	v_add_nc_u32_e32 v1, 16, v1
	s_clause 0x7
	buffer_load_dword v3, v1, s[0:3], 0 offen
	buffer_load_dword v4, v1, s[0:3], 0 offen offset:4
	buffer_load_dword v5, v1, s[0:3], 0 offen offset:8
	;; [unrolled: 1-line block ×6, first 2 shown]
	buffer_load_dword v136, v2, s[0:3], 0 offen
	s_waitcnt vmcnt(7)
	buffer_store_dword v3, v2, s[0:3], 0 offen
	s_waitcnt vmcnt(6)
	buffer_store_dword v4, v2, s[0:3], 0 offen offset:4
	s_waitcnt vmcnt(5)
	buffer_store_dword v5, v2, s[0:3], 0 offen offset:8
	;; [unrolled: 2-line block ×6, first 2 shown]
	s_waitcnt vmcnt(0)
	buffer_store_dword v136, v1, s[0:3], 0 offen
.LBB126_474:
	global_load_dword v0, v0, s[12:13] offset:104
	s_waitcnt vmcnt(0)
	v_add_nc_u32_e32 v0, -1, v0
	v_cmp_eq_u32_e32 vcc_lo, 26, v0
	s_cbranch_vccnz .LBB126_476
; %bb.475:
	v_lshlrev_b32_e32 v0, 4, v0
	v_mov_b32_e32 v1, s51
	v_add_nc_u32_e32 v0, 16, v0
	s_clause 0x7
	buffer_load_dword v2, v0, s[0:3], 0 offen
	buffer_load_dword v3, v0, s[0:3], 0 offen offset:4
	buffer_load_dword v4, v0, s[0:3], 0 offen offset:8
	;; [unrolled: 1-line block ×6, first 2 shown]
	buffer_load_dword v135, v1, s[0:3], 0 offen
	s_waitcnt vmcnt(7)
	buffer_store_dword v2, v1, s[0:3], 0 offen
	s_waitcnt vmcnt(6)
	buffer_store_dword v3, v1, s[0:3], 0 offen offset:4
	s_waitcnt vmcnt(5)
	buffer_store_dword v4, v1, s[0:3], 0 offen offset:8
	;; [unrolled: 2-line block ×6, first 2 shown]
	s_waitcnt vmcnt(0)
	buffer_store_dword v135, v0, s[0:3], 0 offen
.LBB126_476:
	v_mov_b32_e32 v0, 0
	global_load_dword v1, v0, s[12:13] offset:100
	s_waitcnt vmcnt(0)
	v_add_nc_u32_e32 v1, -1, v1
	v_cmp_eq_u32_e32 vcc_lo, 25, v1
	s_cbranch_vccnz .LBB126_478
; %bb.477:
	v_lshlrev_b32_e32 v1, 4, v1
	v_mov_b32_e32 v2, s52
	v_add_nc_u32_e32 v1, 16, v1
	s_clause 0x7
	buffer_load_dword v3, v1, s[0:3], 0 offen
	buffer_load_dword v4, v1, s[0:3], 0 offen offset:4
	buffer_load_dword v5, v1, s[0:3], 0 offen offset:8
	;; [unrolled: 1-line block ×6, first 2 shown]
	buffer_load_dword v136, v2, s[0:3], 0 offen
	s_waitcnt vmcnt(7)
	buffer_store_dword v3, v2, s[0:3], 0 offen
	s_waitcnt vmcnt(6)
	buffer_store_dword v4, v2, s[0:3], 0 offen offset:4
	s_waitcnt vmcnt(5)
	buffer_store_dword v5, v2, s[0:3], 0 offen offset:8
	;; [unrolled: 2-line block ×6, first 2 shown]
	s_waitcnt vmcnt(0)
	buffer_store_dword v136, v1, s[0:3], 0 offen
.LBB126_478:
	global_load_dword v0, v0, s[12:13] offset:96
	s_waitcnt vmcnt(0)
	v_add_nc_u32_e32 v0, -1, v0
	v_cmp_eq_u32_e32 vcc_lo, 24, v0
	s_cbranch_vccnz .LBB126_480
; %bb.479:
	v_lshlrev_b32_e32 v0, 4, v0
	v_mov_b32_e32 v1, s53
	v_add_nc_u32_e32 v0, 16, v0
	s_clause 0x7
	buffer_load_dword v2, v0, s[0:3], 0 offen
	buffer_load_dword v3, v0, s[0:3], 0 offen offset:4
	buffer_load_dword v4, v0, s[0:3], 0 offen offset:8
	;; [unrolled: 1-line block ×6, first 2 shown]
	buffer_load_dword v135, v1, s[0:3], 0 offen
	s_waitcnt vmcnt(7)
	buffer_store_dword v2, v1, s[0:3], 0 offen
	s_waitcnt vmcnt(6)
	buffer_store_dword v3, v1, s[0:3], 0 offen offset:4
	s_waitcnt vmcnt(5)
	buffer_store_dword v4, v1, s[0:3], 0 offen offset:8
	;; [unrolled: 2-line block ×6, first 2 shown]
	s_waitcnt vmcnt(0)
	buffer_store_dword v135, v0, s[0:3], 0 offen
.LBB126_480:
	v_mov_b32_e32 v0, 0
	global_load_dword v1, v0, s[12:13] offset:92
	s_waitcnt vmcnt(0)
	v_add_nc_u32_e32 v1, -1, v1
	v_cmp_eq_u32_e32 vcc_lo, 23, v1
	s_cbranch_vccnz .LBB126_482
; %bb.481:
	v_lshlrev_b32_e32 v1, 4, v1
	v_mov_b32_e32 v2, s54
	v_add_nc_u32_e32 v1, 16, v1
	s_clause 0x7
	buffer_load_dword v3, v1, s[0:3], 0 offen
	buffer_load_dword v4, v1, s[0:3], 0 offen offset:4
	buffer_load_dword v5, v1, s[0:3], 0 offen offset:8
	;; [unrolled: 1-line block ×6, first 2 shown]
	buffer_load_dword v136, v2, s[0:3], 0 offen
	s_waitcnt vmcnt(7)
	buffer_store_dword v3, v2, s[0:3], 0 offen
	s_waitcnt vmcnt(6)
	buffer_store_dword v4, v2, s[0:3], 0 offen offset:4
	s_waitcnt vmcnt(5)
	buffer_store_dword v5, v2, s[0:3], 0 offen offset:8
	;; [unrolled: 2-line block ×6, first 2 shown]
	s_waitcnt vmcnt(0)
	buffer_store_dword v136, v1, s[0:3], 0 offen
.LBB126_482:
	global_load_dword v0, v0, s[12:13] offset:88
	s_waitcnt vmcnt(0)
	v_add_nc_u32_e32 v0, -1, v0
	v_cmp_eq_u32_e32 vcc_lo, 22, v0
	s_cbranch_vccnz .LBB126_484
; %bb.483:
	v_lshlrev_b32_e32 v0, 4, v0
	v_mov_b32_e32 v1, s55
	v_add_nc_u32_e32 v0, 16, v0
	s_clause 0x7
	buffer_load_dword v2, v0, s[0:3], 0 offen
	buffer_load_dword v3, v0, s[0:3], 0 offen offset:4
	buffer_load_dword v4, v0, s[0:3], 0 offen offset:8
	;; [unrolled: 1-line block ×6, first 2 shown]
	buffer_load_dword v135, v1, s[0:3], 0 offen
	s_waitcnt vmcnt(7)
	buffer_store_dword v2, v1, s[0:3], 0 offen
	s_waitcnt vmcnt(6)
	buffer_store_dword v3, v1, s[0:3], 0 offen offset:4
	s_waitcnt vmcnt(5)
	buffer_store_dword v4, v1, s[0:3], 0 offen offset:8
	;; [unrolled: 2-line block ×6, first 2 shown]
	s_waitcnt vmcnt(0)
	buffer_store_dword v135, v0, s[0:3], 0 offen
.LBB126_484:
	v_mov_b32_e32 v0, 0
	global_load_dword v1, v0, s[12:13] offset:84
	s_waitcnt vmcnt(0)
	v_add_nc_u32_e32 v1, -1, v1
	v_cmp_eq_u32_e32 vcc_lo, 21, v1
	s_cbranch_vccnz .LBB126_486
; %bb.485:
	v_lshlrev_b32_e32 v1, 4, v1
	v_mov_b32_e32 v2, s56
	v_add_nc_u32_e32 v1, 16, v1
	s_clause 0x7
	buffer_load_dword v3, v1, s[0:3], 0 offen
	buffer_load_dword v4, v1, s[0:3], 0 offen offset:4
	buffer_load_dword v5, v1, s[0:3], 0 offen offset:8
	;; [unrolled: 1-line block ×6, first 2 shown]
	buffer_load_dword v136, v2, s[0:3], 0 offen
	s_waitcnt vmcnt(7)
	buffer_store_dword v3, v2, s[0:3], 0 offen
	s_waitcnt vmcnt(6)
	buffer_store_dword v4, v2, s[0:3], 0 offen offset:4
	s_waitcnt vmcnt(5)
	buffer_store_dword v5, v2, s[0:3], 0 offen offset:8
	;; [unrolled: 2-line block ×6, first 2 shown]
	s_waitcnt vmcnt(0)
	buffer_store_dword v136, v1, s[0:3], 0 offen
.LBB126_486:
	global_load_dword v0, v0, s[12:13] offset:80
	s_waitcnt vmcnt(0)
	v_add_nc_u32_e32 v0, -1, v0
	v_cmp_eq_u32_e32 vcc_lo, 20, v0
	s_cbranch_vccnz .LBB126_488
; %bb.487:
	v_lshlrev_b32_e32 v0, 4, v0
	v_mov_b32_e32 v1, s57
	v_add_nc_u32_e32 v0, 16, v0
	s_clause 0x7
	buffer_load_dword v2, v0, s[0:3], 0 offen
	buffer_load_dword v3, v0, s[0:3], 0 offen offset:4
	buffer_load_dword v4, v0, s[0:3], 0 offen offset:8
	;; [unrolled: 1-line block ×6, first 2 shown]
	buffer_load_dword v135, v1, s[0:3], 0 offen
	s_waitcnt vmcnt(7)
	buffer_store_dword v2, v1, s[0:3], 0 offen
	s_waitcnt vmcnt(6)
	buffer_store_dword v3, v1, s[0:3], 0 offen offset:4
	s_waitcnt vmcnt(5)
	buffer_store_dword v4, v1, s[0:3], 0 offen offset:8
	;; [unrolled: 2-line block ×6, first 2 shown]
	s_waitcnt vmcnt(0)
	buffer_store_dword v135, v0, s[0:3], 0 offen
.LBB126_488:
	v_mov_b32_e32 v0, 0
	global_load_dword v1, v0, s[12:13] offset:76
	s_waitcnt vmcnt(0)
	v_add_nc_u32_e32 v1, -1, v1
	v_cmp_eq_u32_e32 vcc_lo, 19, v1
	s_cbranch_vccnz .LBB126_490
; %bb.489:
	v_lshlrev_b32_e32 v1, 4, v1
	v_mov_b32_e32 v2, s58
	v_add_nc_u32_e32 v1, 16, v1
	s_clause 0x7
	buffer_load_dword v3, v1, s[0:3], 0 offen
	buffer_load_dword v4, v1, s[0:3], 0 offen offset:4
	buffer_load_dword v5, v1, s[0:3], 0 offen offset:8
	;; [unrolled: 1-line block ×6, first 2 shown]
	buffer_load_dword v136, v2, s[0:3], 0 offen
	s_waitcnt vmcnt(7)
	buffer_store_dword v3, v2, s[0:3], 0 offen
	s_waitcnt vmcnt(6)
	buffer_store_dword v4, v2, s[0:3], 0 offen offset:4
	s_waitcnt vmcnt(5)
	buffer_store_dword v5, v2, s[0:3], 0 offen offset:8
	;; [unrolled: 2-line block ×6, first 2 shown]
	s_waitcnt vmcnt(0)
	buffer_store_dword v136, v1, s[0:3], 0 offen
.LBB126_490:
	global_load_dword v0, v0, s[12:13] offset:72
	s_waitcnt vmcnt(0)
	v_add_nc_u32_e32 v0, -1, v0
	v_cmp_eq_u32_e32 vcc_lo, 18, v0
	s_cbranch_vccnz .LBB126_492
; %bb.491:
	v_lshlrev_b32_e32 v0, 4, v0
	v_mov_b32_e32 v1, s59
	v_add_nc_u32_e32 v0, 16, v0
	s_clause 0x7
	buffer_load_dword v2, v0, s[0:3], 0 offen
	buffer_load_dword v3, v0, s[0:3], 0 offen offset:4
	buffer_load_dword v4, v0, s[0:3], 0 offen offset:8
	buffer_load_dword v5, v0, s[0:3], 0 offen offset:12
	buffer_load_dword v6, v1, s[0:3], 0 offen offset:12
	buffer_load_dword v7, v1, s[0:3], 0 offen offset:8
	buffer_load_dword v8, v1, s[0:3], 0 offen offset:4
	buffer_load_dword v135, v1, s[0:3], 0 offen
	s_waitcnt vmcnt(7)
	buffer_store_dword v2, v1, s[0:3], 0 offen
	s_waitcnt vmcnt(6)
	buffer_store_dword v3, v1, s[0:3], 0 offen offset:4
	s_waitcnt vmcnt(5)
	buffer_store_dword v4, v1, s[0:3], 0 offen offset:8
	s_waitcnt vmcnt(4)
	buffer_store_dword v5, v1, s[0:3], 0 offen offset:12
	s_waitcnt vmcnt(3)
	buffer_store_dword v6, v0, s[0:3], 0 offen offset:12
	s_waitcnt vmcnt(2)
	buffer_store_dword v7, v0, s[0:3], 0 offen offset:8
	s_waitcnt vmcnt(1)
	buffer_store_dword v8, v0, s[0:3], 0 offen offset:4
	s_waitcnt vmcnt(0)
	buffer_store_dword v135, v0, s[0:3], 0 offen
.LBB126_492:
	v_mov_b32_e32 v0, 0
	global_load_dword v1, v0, s[12:13] offset:68
	s_waitcnt vmcnt(0)
	v_add_nc_u32_e32 v1, -1, v1
	v_cmp_eq_u32_e32 vcc_lo, 17, v1
	s_cbranch_vccnz .LBB126_494
; %bb.493:
	v_lshlrev_b32_e32 v1, 4, v1
	v_mov_b32_e32 v2, s60
	v_add_nc_u32_e32 v1, 16, v1
	s_clause 0x7
	buffer_load_dword v3, v1, s[0:3], 0 offen
	buffer_load_dword v4, v1, s[0:3], 0 offen offset:4
	buffer_load_dword v5, v1, s[0:3], 0 offen offset:8
	;; [unrolled: 1-line block ×6, first 2 shown]
	buffer_load_dword v136, v2, s[0:3], 0 offen
	s_waitcnt vmcnt(7)
	buffer_store_dword v3, v2, s[0:3], 0 offen
	s_waitcnt vmcnt(6)
	buffer_store_dword v4, v2, s[0:3], 0 offen offset:4
	s_waitcnt vmcnt(5)
	buffer_store_dword v5, v2, s[0:3], 0 offen offset:8
	;; [unrolled: 2-line block ×6, first 2 shown]
	s_waitcnt vmcnt(0)
	buffer_store_dword v136, v1, s[0:3], 0 offen
.LBB126_494:
	global_load_dword v0, v0, s[12:13] offset:64
	s_waitcnt vmcnt(0)
	v_add_nc_u32_e32 v0, -1, v0
	v_cmp_eq_u32_e32 vcc_lo, 16, v0
	s_cbranch_vccnz .LBB126_496
; %bb.495:
	v_lshlrev_b32_e32 v0, 4, v0
	v_mov_b32_e32 v1, s61
	v_add_nc_u32_e32 v0, 16, v0
	s_clause 0x7
	buffer_load_dword v2, v0, s[0:3], 0 offen
	buffer_load_dword v3, v0, s[0:3], 0 offen offset:4
	buffer_load_dword v4, v0, s[0:3], 0 offen offset:8
	buffer_load_dword v5, v0, s[0:3], 0 offen offset:12
	buffer_load_dword v6, v1, s[0:3], 0 offen offset:12
	buffer_load_dword v7, v1, s[0:3], 0 offen offset:8
	buffer_load_dword v8, v1, s[0:3], 0 offen offset:4
	buffer_load_dword v135, v1, s[0:3], 0 offen
	s_waitcnt vmcnt(7)
	buffer_store_dword v2, v1, s[0:3], 0 offen
	s_waitcnt vmcnt(6)
	buffer_store_dword v3, v1, s[0:3], 0 offen offset:4
	s_waitcnt vmcnt(5)
	buffer_store_dword v4, v1, s[0:3], 0 offen offset:8
	;; [unrolled: 2-line block ×6, first 2 shown]
	s_waitcnt vmcnt(0)
	buffer_store_dword v135, v0, s[0:3], 0 offen
.LBB126_496:
	v_mov_b32_e32 v0, 0
	global_load_dword v1, v0, s[12:13] offset:60
	s_waitcnt vmcnt(0)
	v_add_nc_u32_e32 v1, -1, v1
	v_cmp_eq_u32_e32 vcc_lo, 15, v1
	s_cbranch_vccnz .LBB126_498
; %bb.497:
	v_lshlrev_b32_e32 v1, 4, v1
	v_mov_b32_e32 v2, s62
	v_add_nc_u32_e32 v1, 16, v1
	s_clause 0x7
	buffer_load_dword v3, v1, s[0:3], 0 offen
	buffer_load_dword v4, v1, s[0:3], 0 offen offset:4
	buffer_load_dword v5, v1, s[0:3], 0 offen offset:8
	;; [unrolled: 1-line block ×6, first 2 shown]
	buffer_load_dword v136, v2, s[0:3], 0 offen
	s_waitcnt vmcnt(7)
	buffer_store_dword v3, v2, s[0:3], 0 offen
	s_waitcnt vmcnt(6)
	buffer_store_dword v4, v2, s[0:3], 0 offen offset:4
	s_waitcnt vmcnt(5)
	buffer_store_dword v5, v2, s[0:3], 0 offen offset:8
	;; [unrolled: 2-line block ×6, first 2 shown]
	s_waitcnt vmcnt(0)
	buffer_store_dword v136, v1, s[0:3], 0 offen
.LBB126_498:
	global_load_dword v0, v0, s[12:13] offset:56
	s_waitcnt vmcnt(0)
	v_add_nc_u32_e32 v0, -1, v0
	v_cmp_eq_u32_e32 vcc_lo, 14, v0
	s_cbranch_vccnz .LBB126_500
; %bb.499:
	v_lshlrev_b32_e32 v0, 4, v0
	v_mov_b32_e32 v1, s63
	v_add_nc_u32_e32 v0, 16, v0
	s_clause 0x7
	buffer_load_dword v2, v0, s[0:3], 0 offen
	buffer_load_dword v3, v0, s[0:3], 0 offen offset:4
	buffer_load_dword v4, v0, s[0:3], 0 offen offset:8
	;; [unrolled: 1-line block ×6, first 2 shown]
	buffer_load_dword v135, v1, s[0:3], 0 offen
	s_waitcnt vmcnt(7)
	buffer_store_dword v2, v1, s[0:3], 0 offen
	s_waitcnt vmcnt(6)
	buffer_store_dword v3, v1, s[0:3], 0 offen offset:4
	s_waitcnt vmcnt(5)
	buffer_store_dword v4, v1, s[0:3], 0 offen offset:8
	;; [unrolled: 2-line block ×6, first 2 shown]
	s_waitcnt vmcnt(0)
	buffer_store_dword v135, v0, s[0:3], 0 offen
.LBB126_500:
	v_mov_b32_e32 v0, 0
	global_load_dword v1, v0, s[12:13] offset:52
	s_waitcnt vmcnt(0)
	v_add_nc_u32_e32 v1, -1, v1
	v_cmp_eq_u32_e32 vcc_lo, 13, v1
	s_cbranch_vccnz .LBB126_502
; %bb.501:
	v_lshlrev_b32_e32 v1, 4, v1
	v_mov_b32_e32 v2, s64
	v_add_nc_u32_e32 v1, 16, v1
	s_clause 0x7
	buffer_load_dword v3, v1, s[0:3], 0 offen
	buffer_load_dword v4, v1, s[0:3], 0 offen offset:4
	buffer_load_dword v5, v1, s[0:3], 0 offen offset:8
	;; [unrolled: 1-line block ×6, first 2 shown]
	buffer_load_dword v136, v2, s[0:3], 0 offen
	s_waitcnt vmcnt(7)
	buffer_store_dword v3, v2, s[0:3], 0 offen
	s_waitcnt vmcnt(6)
	buffer_store_dword v4, v2, s[0:3], 0 offen offset:4
	s_waitcnt vmcnt(5)
	buffer_store_dword v5, v2, s[0:3], 0 offen offset:8
	;; [unrolled: 2-line block ×6, first 2 shown]
	s_waitcnt vmcnt(0)
	buffer_store_dword v136, v1, s[0:3], 0 offen
.LBB126_502:
	global_load_dword v0, v0, s[12:13] offset:48
	s_waitcnt vmcnt(0)
	v_add_nc_u32_e32 v0, -1, v0
	v_cmp_eq_u32_e32 vcc_lo, 12, v0
	s_cbranch_vccnz .LBB126_504
; %bb.503:
	v_lshlrev_b32_e32 v0, 4, v0
	v_mov_b32_e32 v1, s65
	v_add_nc_u32_e32 v0, 16, v0
	s_clause 0x7
	buffer_load_dword v2, v0, s[0:3], 0 offen
	buffer_load_dword v3, v0, s[0:3], 0 offen offset:4
	buffer_load_dword v4, v0, s[0:3], 0 offen offset:8
	;; [unrolled: 1-line block ×6, first 2 shown]
	buffer_load_dword v135, v1, s[0:3], 0 offen
	s_waitcnt vmcnt(7)
	buffer_store_dword v2, v1, s[0:3], 0 offen
	s_waitcnt vmcnt(6)
	buffer_store_dword v3, v1, s[0:3], 0 offen offset:4
	s_waitcnt vmcnt(5)
	buffer_store_dword v4, v1, s[0:3], 0 offen offset:8
	;; [unrolled: 2-line block ×6, first 2 shown]
	s_waitcnt vmcnt(0)
	buffer_store_dword v135, v0, s[0:3], 0 offen
.LBB126_504:
	v_mov_b32_e32 v0, 0
	global_load_dword v1, v0, s[12:13] offset:44
	s_waitcnt vmcnt(0)
	v_add_nc_u32_e32 v1, -1, v1
	v_cmp_eq_u32_e32 vcc_lo, 11, v1
	s_cbranch_vccnz .LBB126_506
; %bb.505:
	v_lshlrev_b32_e32 v1, 4, v1
	v_mov_b32_e32 v2, s66
	v_add_nc_u32_e32 v1, 16, v1
	s_clause 0x7
	buffer_load_dword v3, v1, s[0:3], 0 offen
	buffer_load_dword v4, v1, s[0:3], 0 offen offset:4
	buffer_load_dword v5, v1, s[0:3], 0 offen offset:8
	;; [unrolled: 1-line block ×6, first 2 shown]
	buffer_load_dword v136, v2, s[0:3], 0 offen
	s_waitcnt vmcnt(7)
	buffer_store_dword v3, v2, s[0:3], 0 offen
	s_waitcnt vmcnt(6)
	buffer_store_dword v4, v2, s[0:3], 0 offen offset:4
	s_waitcnt vmcnt(5)
	buffer_store_dword v5, v2, s[0:3], 0 offen offset:8
	;; [unrolled: 2-line block ×6, first 2 shown]
	s_waitcnt vmcnt(0)
	buffer_store_dword v136, v1, s[0:3], 0 offen
.LBB126_506:
	global_load_dword v0, v0, s[12:13] offset:40
	s_waitcnt vmcnt(0)
	v_add_nc_u32_e32 v0, -1, v0
	v_cmp_eq_u32_e32 vcc_lo, 10, v0
	s_cbranch_vccnz .LBB126_508
; %bb.507:
	v_lshlrev_b32_e32 v0, 4, v0
	v_mov_b32_e32 v1, s67
	v_add_nc_u32_e32 v0, 16, v0
	s_clause 0x7
	buffer_load_dword v2, v0, s[0:3], 0 offen
	buffer_load_dword v3, v0, s[0:3], 0 offen offset:4
	buffer_load_dword v4, v0, s[0:3], 0 offen offset:8
	buffer_load_dword v5, v0, s[0:3], 0 offen offset:12
	buffer_load_dword v6, v1, s[0:3], 0 offen offset:12
	buffer_load_dword v7, v1, s[0:3], 0 offen offset:8
	buffer_load_dword v8, v1, s[0:3], 0 offen offset:4
	buffer_load_dword v135, v1, s[0:3], 0 offen
	s_waitcnt vmcnt(7)
	buffer_store_dword v2, v1, s[0:3], 0 offen
	s_waitcnt vmcnt(6)
	buffer_store_dword v3, v1, s[0:3], 0 offen offset:4
	s_waitcnt vmcnt(5)
	buffer_store_dword v4, v1, s[0:3], 0 offen offset:8
	;; [unrolled: 2-line block ×6, first 2 shown]
	s_waitcnt vmcnt(0)
	buffer_store_dword v135, v0, s[0:3], 0 offen
.LBB126_508:
	v_mov_b32_e32 v0, 0
	global_load_dword v1, v0, s[12:13] offset:36
	s_waitcnt vmcnt(0)
	v_add_nc_u32_e32 v1, -1, v1
	v_cmp_eq_u32_e32 vcc_lo, 9, v1
	s_cbranch_vccnz .LBB126_510
; %bb.509:
	v_lshlrev_b32_e32 v1, 4, v1
	v_mov_b32_e32 v2, s68
	v_add_nc_u32_e32 v1, 16, v1
	s_clause 0x7
	buffer_load_dword v3, v1, s[0:3], 0 offen
	buffer_load_dword v4, v1, s[0:3], 0 offen offset:4
	buffer_load_dword v5, v1, s[0:3], 0 offen offset:8
	;; [unrolled: 1-line block ×6, first 2 shown]
	buffer_load_dword v136, v2, s[0:3], 0 offen
	s_waitcnt vmcnt(7)
	buffer_store_dword v3, v2, s[0:3], 0 offen
	s_waitcnt vmcnt(6)
	buffer_store_dword v4, v2, s[0:3], 0 offen offset:4
	s_waitcnt vmcnt(5)
	buffer_store_dword v5, v2, s[0:3], 0 offen offset:8
	;; [unrolled: 2-line block ×6, first 2 shown]
	s_waitcnt vmcnt(0)
	buffer_store_dword v136, v1, s[0:3], 0 offen
.LBB126_510:
	global_load_dword v0, v0, s[12:13] offset:32
	s_waitcnt vmcnt(0)
	v_add_nc_u32_e32 v0, -1, v0
	v_cmp_eq_u32_e32 vcc_lo, 8, v0
	s_cbranch_vccnz .LBB126_512
; %bb.511:
	v_lshlrev_b32_e32 v0, 4, v0
	v_mov_b32_e32 v1, s69
	v_add_nc_u32_e32 v0, 16, v0
	s_clause 0x7
	buffer_load_dword v2, v0, s[0:3], 0 offen
	buffer_load_dword v3, v0, s[0:3], 0 offen offset:4
	buffer_load_dword v4, v0, s[0:3], 0 offen offset:8
	;; [unrolled: 1-line block ×6, first 2 shown]
	buffer_load_dword v135, v1, s[0:3], 0 offen
	s_waitcnt vmcnt(7)
	buffer_store_dword v2, v1, s[0:3], 0 offen
	s_waitcnt vmcnt(6)
	buffer_store_dword v3, v1, s[0:3], 0 offen offset:4
	s_waitcnt vmcnt(5)
	buffer_store_dword v4, v1, s[0:3], 0 offen offset:8
	;; [unrolled: 2-line block ×6, first 2 shown]
	s_waitcnt vmcnt(0)
	buffer_store_dword v135, v0, s[0:3], 0 offen
.LBB126_512:
	v_mov_b32_e32 v0, 0
	global_load_dword v1, v0, s[12:13] offset:28
	s_waitcnt vmcnt(0)
	v_add_nc_u32_e32 v1, -1, v1
	v_cmp_eq_u32_e32 vcc_lo, 7, v1
	s_cbranch_vccnz .LBB126_514
; %bb.513:
	v_lshlrev_b32_e32 v1, 4, v1
	v_mov_b32_e32 v2, s70
	v_add_nc_u32_e32 v1, 16, v1
	s_clause 0x7
	buffer_load_dword v3, v1, s[0:3], 0 offen
	buffer_load_dword v4, v1, s[0:3], 0 offen offset:4
	buffer_load_dword v5, v1, s[0:3], 0 offen offset:8
	;; [unrolled: 1-line block ×6, first 2 shown]
	buffer_load_dword v136, v2, s[0:3], 0 offen
	s_waitcnt vmcnt(7)
	buffer_store_dword v3, v2, s[0:3], 0 offen
	s_waitcnt vmcnt(6)
	buffer_store_dword v4, v2, s[0:3], 0 offen offset:4
	s_waitcnt vmcnt(5)
	buffer_store_dword v5, v2, s[0:3], 0 offen offset:8
	;; [unrolled: 2-line block ×6, first 2 shown]
	s_waitcnt vmcnt(0)
	buffer_store_dword v136, v1, s[0:3], 0 offen
.LBB126_514:
	global_load_dword v0, v0, s[12:13] offset:24
	s_waitcnt vmcnt(0)
	v_add_nc_u32_e32 v0, -1, v0
	v_cmp_eq_u32_e32 vcc_lo, 6, v0
	s_cbranch_vccnz .LBB126_516
; %bb.515:
	v_lshlrev_b32_e32 v0, 4, v0
	v_mov_b32_e32 v1, s71
	v_add_nc_u32_e32 v0, 16, v0
	s_clause 0x7
	buffer_load_dword v2, v0, s[0:3], 0 offen
	buffer_load_dword v3, v0, s[0:3], 0 offen offset:4
	buffer_load_dword v4, v0, s[0:3], 0 offen offset:8
	;; [unrolled: 1-line block ×6, first 2 shown]
	buffer_load_dword v135, v1, s[0:3], 0 offen
	s_waitcnt vmcnt(7)
	buffer_store_dword v2, v1, s[0:3], 0 offen
	s_waitcnt vmcnt(6)
	buffer_store_dword v3, v1, s[0:3], 0 offen offset:4
	s_waitcnt vmcnt(5)
	buffer_store_dword v4, v1, s[0:3], 0 offen offset:8
	;; [unrolled: 2-line block ×6, first 2 shown]
	s_waitcnt vmcnt(0)
	buffer_store_dword v135, v0, s[0:3], 0 offen
.LBB126_516:
	v_mov_b32_e32 v0, 0
	global_load_dword v1, v0, s[12:13] offset:20
	s_waitcnt vmcnt(0)
	v_add_nc_u32_e32 v1, -1, v1
	v_cmp_eq_u32_e32 vcc_lo, 5, v1
	s_cbranch_vccnz .LBB126_518
; %bb.517:
	v_lshlrev_b32_e32 v1, 4, v1
	v_mov_b32_e32 v2, s72
	v_add_nc_u32_e32 v1, 16, v1
	s_clause 0x7
	buffer_load_dword v3, v1, s[0:3], 0 offen
	buffer_load_dword v4, v1, s[0:3], 0 offen offset:4
	buffer_load_dword v5, v1, s[0:3], 0 offen offset:8
	;; [unrolled: 1-line block ×6, first 2 shown]
	buffer_load_dword v136, v2, s[0:3], 0 offen
	s_waitcnt vmcnt(7)
	buffer_store_dword v3, v2, s[0:3], 0 offen
	s_waitcnt vmcnt(6)
	buffer_store_dword v4, v2, s[0:3], 0 offen offset:4
	s_waitcnt vmcnt(5)
	buffer_store_dword v5, v2, s[0:3], 0 offen offset:8
	;; [unrolled: 2-line block ×6, first 2 shown]
	s_waitcnt vmcnt(0)
	buffer_store_dword v136, v1, s[0:3], 0 offen
.LBB126_518:
	global_load_dword v0, v0, s[12:13] offset:16
	s_waitcnt vmcnt(0)
	v_add_nc_u32_e32 v0, -1, v0
	v_cmp_eq_u32_e32 vcc_lo, 4, v0
	s_cbranch_vccnz .LBB126_520
; %bb.519:
	v_lshlrev_b32_e32 v0, 4, v0
	v_mov_b32_e32 v1, s73
	v_add_nc_u32_e32 v0, 16, v0
	s_clause 0x7
	buffer_load_dword v2, v0, s[0:3], 0 offen
	buffer_load_dword v3, v0, s[0:3], 0 offen offset:4
	buffer_load_dword v4, v0, s[0:3], 0 offen offset:8
	;; [unrolled: 1-line block ×6, first 2 shown]
	buffer_load_dword v135, v1, s[0:3], 0 offen
	s_waitcnt vmcnt(7)
	buffer_store_dword v2, v1, s[0:3], 0 offen
	s_waitcnt vmcnt(6)
	buffer_store_dword v3, v1, s[0:3], 0 offen offset:4
	s_waitcnt vmcnt(5)
	buffer_store_dword v4, v1, s[0:3], 0 offen offset:8
	;; [unrolled: 2-line block ×6, first 2 shown]
	s_waitcnt vmcnt(0)
	buffer_store_dword v135, v0, s[0:3], 0 offen
.LBB126_520:
	v_mov_b32_e32 v0, 0
	global_load_dword v1, v0, s[12:13] offset:12
	s_waitcnt vmcnt(0)
	v_add_nc_u32_e32 v1, -1, v1
	v_cmp_eq_u32_e32 vcc_lo, 3, v1
	s_cbranch_vccnz .LBB126_522
; %bb.521:
	v_lshlrev_b32_e32 v1, 4, v1
	v_mov_b32_e32 v2, s74
	v_add_nc_u32_e32 v1, 16, v1
	s_clause 0x7
	buffer_load_dword v3, v1, s[0:3], 0 offen
	buffer_load_dword v4, v1, s[0:3], 0 offen offset:4
	buffer_load_dword v5, v1, s[0:3], 0 offen offset:8
	;; [unrolled: 1-line block ×6, first 2 shown]
	buffer_load_dword v136, v2, s[0:3], 0 offen
	s_waitcnt vmcnt(7)
	buffer_store_dword v3, v2, s[0:3], 0 offen
	s_waitcnt vmcnt(6)
	buffer_store_dword v4, v2, s[0:3], 0 offen offset:4
	s_waitcnt vmcnt(5)
	buffer_store_dword v5, v2, s[0:3], 0 offen offset:8
	;; [unrolled: 2-line block ×6, first 2 shown]
	s_waitcnt vmcnt(0)
	buffer_store_dword v136, v1, s[0:3], 0 offen
.LBB126_522:
	global_load_dword v0, v0, s[12:13] offset:8
	s_waitcnt vmcnt(0)
	v_add_nc_u32_e32 v0, -1, v0
	v_cmp_eq_u32_e32 vcc_lo, 2, v0
	s_cbranch_vccnz .LBB126_524
; %bb.523:
	v_lshlrev_b32_e32 v0, 4, v0
	v_mov_b32_e32 v1, s75
	v_add_nc_u32_e32 v0, 16, v0
	s_clause 0x7
	buffer_load_dword v2, v0, s[0:3], 0 offen
	buffer_load_dword v3, v0, s[0:3], 0 offen offset:4
	buffer_load_dword v4, v0, s[0:3], 0 offen offset:8
	;; [unrolled: 1-line block ×6, first 2 shown]
	buffer_load_dword v135, v1, s[0:3], 0 offen
	s_waitcnt vmcnt(7)
	buffer_store_dword v2, v1, s[0:3], 0 offen
	s_waitcnt vmcnt(6)
	buffer_store_dword v3, v1, s[0:3], 0 offen offset:4
	s_waitcnt vmcnt(5)
	buffer_store_dword v4, v1, s[0:3], 0 offen offset:8
	;; [unrolled: 2-line block ×6, first 2 shown]
	s_waitcnt vmcnt(0)
	buffer_store_dword v135, v0, s[0:3], 0 offen
.LBB126_524:
	v_mov_b32_e32 v0, 0
	global_load_dword v1, v0, s[12:13] offset:4
	s_waitcnt vmcnt(0)
	v_add_nc_u32_e32 v1, -1, v1
	v_cmp_eq_u32_e32 vcc_lo, 1, v1
	s_cbranch_vccnz .LBB126_526
; %bb.525:
	v_lshlrev_b32_e32 v1, 4, v1
	v_mov_b32_e32 v2, s76
	v_add_nc_u32_e32 v1, 16, v1
	s_clause 0x7
	buffer_load_dword v3, v1, s[0:3], 0 offen
	buffer_load_dword v4, v1, s[0:3], 0 offen offset:4
	buffer_load_dword v5, v1, s[0:3], 0 offen offset:8
	;; [unrolled: 1-line block ×6, first 2 shown]
	buffer_load_dword v136, v2, s[0:3], 0 offen
	s_waitcnt vmcnt(7)
	buffer_store_dword v3, v2, s[0:3], 0 offen
	s_waitcnt vmcnt(6)
	buffer_store_dword v4, v2, s[0:3], 0 offen offset:4
	s_waitcnt vmcnt(5)
	buffer_store_dword v5, v2, s[0:3], 0 offen offset:8
	;; [unrolled: 2-line block ×6, first 2 shown]
	s_waitcnt vmcnt(0)
	buffer_store_dword v136, v1, s[0:3], 0 offen
.LBB126_526:
	global_load_dword v0, v0, s[12:13]
	s_waitcnt vmcnt(0)
	v_add_nc_u32_e32 v0, -1, v0
	v_cmp_eq_u32_e32 vcc_lo, 0, v0
	s_cbranch_vccnz .LBB126_528
; %bb.527:
	v_lshlrev_b32_e32 v0, 4, v0
	v_add_nc_u32_e32 v0, 16, v0
	s_clause 0x7
	buffer_load_dword v1, v0, s[0:3], 0 offen
	buffer_load_dword v2, v0, s[0:3], 0 offen offset:4
	buffer_load_dword v3, v0, s[0:3], 0 offen offset:8
	;; [unrolled: 1-line block ×3, first 2 shown]
	buffer_load_dword v5, off, s[0:3], 0 offset:28
	buffer_load_dword v6, off, s[0:3], 0 offset:24
	buffer_load_dword v7, off, s[0:3], 0 offset:20
	buffer_load_dword v8, off, s[0:3], 0 offset:16
	s_waitcnt vmcnt(7)
	buffer_store_dword v1, off, s[0:3], 0 offset:16
	s_waitcnt vmcnt(6)
	buffer_store_dword v2, off, s[0:3], 0 offset:20
	;; [unrolled: 2-line block ×4, first 2 shown]
	s_waitcnt vmcnt(3)
	buffer_store_dword v5, v0, s[0:3], 0 offen offset:12
	s_waitcnt vmcnt(2)
	buffer_store_dword v6, v0, s[0:3], 0 offen offset:8
	;; [unrolled: 2-line block ×3, first 2 shown]
	s_waitcnt vmcnt(0)
	buffer_store_dword v8, v0, s[0:3], 0 offen
.LBB126_528:
	s_clause 0x3
	buffer_load_dword v0, off, s[0:3], 0 offset:16
	buffer_load_dword v1, off, s[0:3], 0 offset:20
	;; [unrolled: 1-line block ×4, first 2 shown]
	v_mov_b32_e32 v4, s76
	s_waitcnt vmcnt(0)
	flat_store_dwordx4 v[9:10], v[0:3]
	s_clause 0x3
	buffer_load_dword v0, v4, s[0:3], 0 offen
	buffer_load_dword v1, v4, s[0:3], 0 offen offset:4
	buffer_load_dword v2, v4, s[0:3], 0 offen offset:8
	buffer_load_dword v3, v4, s[0:3], 0 offen offset:12
	v_mov_b32_e32 v4, s75
	s_waitcnt vmcnt(0)
	flat_store_dwordx4 v[63:64], v[0:3]
	s_clause 0x3
	buffer_load_dword v0, v4, s[0:3], 0 offen
	buffer_load_dword v1, v4, s[0:3], 0 offen offset:4
	buffer_load_dword v2, v4, s[0:3], 0 offen offset:8
	buffer_load_dword v3, v4, s[0:3], 0 offen offset:12
	;; [unrolled: 8-line block ×62, first 2 shown]
	s_waitcnt vmcnt(0)
	flat_store_dwordx4 v[133:134], v[0:3]
	s_endpgm
	.section	.rodata,"a",@progbits
	.p2align	6, 0x0
	.amdhsa_kernel _ZN9rocsolver6v33100L18getri_kernel_smallILi63E19rocblas_complex_numIdEPKPS3_EEvT1_iilPiilS8_bb
		.amdhsa_group_segment_fixed_size 2024
		.amdhsa_private_segment_fixed_size 1040
		.amdhsa_kernarg_size 60
		.amdhsa_user_sgpr_count 6
		.amdhsa_user_sgpr_private_segment_buffer 1
		.amdhsa_user_sgpr_dispatch_ptr 0
		.amdhsa_user_sgpr_queue_ptr 0
		.amdhsa_user_sgpr_kernarg_segment_ptr 1
		.amdhsa_user_sgpr_dispatch_id 0
		.amdhsa_user_sgpr_flat_scratch_init 0
		.amdhsa_user_sgpr_private_segment_size 0
		.amdhsa_wavefront_size32 1
		.amdhsa_uses_dynamic_stack 0
		.amdhsa_system_sgpr_private_segment_wavefront_offset 1
		.amdhsa_system_sgpr_workgroup_id_x 1
		.amdhsa_system_sgpr_workgroup_id_y 0
		.amdhsa_system_sgpr_workgroup_id_z 0
		.amdhsa_system_sgpr_workgroup_info 0
		.amdhsa_system_vgpr_workitem_id 0
		.amdhsa_next_free_vgpr 222
		.amdhsa_next_free_sgpr 105
		.amdhsa_reserve_vcc 1
		.amdhsa_reserve_flat_scratch 0
		.amdhsa_float_round_mode_32 0
		.amdhsa_float_round_mode_16_64 0
		.amdhsa_float_denorm_mode_32 3
		.amdhsa_float_denorm_mode_16_64 3
		.amdhsa_dx10_clamp 1
		.amdhsa_ieee_mode 1
		.amdhsa_fp16_overflow 0
		.amdhsa_workgroup_processor_mode 1
		.amdhsa_memory_ordered 1
		.amdhsa_forward_progress 1
		.amdhsa_shared_vgpr_count 0
		.amdhsa_exception_fp_ieee_invalid_op 0
		.amdhsa_exception_fp_denorm_src 0
		.amdhsa_exception_fp_ieee_div_zero 0
		.amdhsa_exception_fp_ieee_overflow 0
		.amdhsa_exception_fp_ieee_underflow 0
		.amdhsa_exception_fp_ieee_inexact 0
		.amdhsa_exception_int_div_zero 0
	.end_amdhsa_kernel
	.section	.text._ZN9rocsolver6v33100L18getri_kernel_smallILi63E19rocblas_complex_numIdEPKPS3_EEvT1_iilPiilS8_bb,"axG",@progbits,_ZN9rocsolver6v33100L18getri_kernel_smallILi63E19rocblas_complex_numIdEPKPS3_EEvT1_iilPiilS8_bb,comdat
.Lfunc_end126:
	.size	_ZN9rocsolver6v33100L18getri_kernel_smallILi63E19rocblas_complex_numIdEPKPS3_EEvT1_iilPiilS8_bb, .Lfunc_end126-_ZN9rocsolver6v33100L18getri_kernel_smallILi63E19rocblas_complex_numIdEPKPS3_EEvT1_iilPiilS8_bb
                                        ; -- End function
	.set _ZN9rocsolver6v33100L18getri_kernel_smallILi63E19rocblas_complex_numIdEPKPS3_EEvT1_iilPiilS8_bb.num_vgpr, 222
	.set _ZN9rocsolver6v33100L18getri_kernel_smallILi63E19rocblas_complex_numIdEPKPS3_EEvT1_iilPiilS8_bb.num_agpr, 0
	.set _ZN9rocsolver6v33100L18getri_kernel_smallILi63E19rocblas_complex_numIdEPKPS3_EEvT1_iilPiilS8_bb.numbered_sgpr, 105
	.set _ZN9rocsolver6v33100L18getri_kernel_smallILi63E19rocblas_complex_numIdEPKPS3_EEvT1_iilPiilS8_bb.num_named_barrier, 0
	.set _ZN9rocsolver6v33100L18getri_kernel_smallILi63E19rocblas_complex_numIdEPKPS3_EEvT1_iilPiilS8_bb.private_seg_size, 1040
	.set _ZN9rocsolver6v33100L18getri_kernel_smallILi63E19rocblas_complex_numIdEPKPS3_EEvT1_iilPiilS8_bb.uses_vcc, 1
	.set _ZN9rocsolver6v33100L18getri_kernel_smallILi63E19rocblas_complex_numIdEPKPS3_EEvT1_iilPiilS8_bb.uses_flat_scratch, 0
	.set _ZN9rocsolver6v33100L18getri_kernel_smallILi63E19rocblas_complex_numIdEPKPS3_EEvT1_iilPiilS8_bb.has_dyn_sized_stack, 0
	.set _ZN9rocsolver6v33100L18getri_kernel_smallILi63E19rocblas_complex_numIdEPKPS3_EEvT1_iilPiilS8_bb.has_recursion, 0
	.set _ZN9rocsolver6v33100L18getri_kernel_smallILi63E19rocblas_complex_numIdEPKPS3_EEvT1_iilPiilS8_bb.has_indirect_call, 0
	.section	.AMDGPU.csdata,"",@progbits
; Kernel info:
; codeLenInByte = 252328
; TotalNumSgprs: 107
; NumVgprs: 222
; ScratchSize: 1040
; MemoryBound: 0
; FloatMode: 240
; IeeeMode: 1
; LDSByteSize: 2024 bytes/workgroup (compile time only)
; SGPRBlocks: 0
; VGPRBlocks: 27
; NumSGPRsForWavesPerEU: 107
; NumVGPRsForWavesPerEU: 222
; Occupancy: 4
; WaveLimiterHint : 1
; COMPUTE_PGM_RSRC2:SCRATCH_EN: 1
; COMPUTE_PGM_RSRC2:USER_SGPR: 6
; COMPUTE_PGM_RSRC2:TRAP_HANDLER: 0
; COMPUTE_PGM_RSRC2:TGID_X_EN: 1
; COMPUTE_PGM_RSRC2:TGID_Y_EN: 0
; COMPUTE_PGM_RSRC2:TGID_Z_EN: 0
; COMPUTE_PGM_RSRC2:TIDIG_COMP_CNT: 0
	.section	.text._ZN9rocsolver6v33100L18getri_kernel_smallILi64E19rocblas_complex_numIdEPKPS3_EEvT1_iilPiilS8_bb,"axG",@progbits,_ZN9rocsolver6v33100L18getri_kernel_smallILi64E19rocblas_complex_numIdEPKPS3_EEvT1_iilPiilS8_bb,comdat
	.globl	_ZN9rocsolver6v33100L18getri_kernel_smallILi64E19rocblas_complex_numIdEPKPS3_EEvT1_iilPiilS8_bb ; -- Begin function _ZN9rocsolver6v33100L18getri_kernel_smallILi64E19rocblas_complex_numIdEPKPS3_EEvT1_iilPiilS8_bb
	.p2align	8
	.type	_ZN9rocsolver6v33100L18getri_kernel_smallILi64E19rocblas_complex_numIdEPKPS3_EEvT1_iilPiilS8_bb,@function
_ZN9rocsolver6v33100L18getri_kernel_smallILi64E19rocblas_complex_numIdEPKPS3_EEvT1_iilPiilS8_bb: ; @_ZN9rocsolver6v33100L18getri_kernel_smallILi64E19rocblas_complex_numIdEPKPS3_EEvT1_iilPiilS8_bb
; %bb.0:
	s_add_u32 s0, s0, s7
	s_addc_u32 s1, s1, 0
	s_mov_b32 s7, exec_lo
	v_cmpx_gt_u32_e32 64, v0
	s_cbranch_execz .LBB127_282
; %bb.1:
	s_clause 0x2
	s_load_dword s16, s[4:5], 0x38
	s_load_dwordx2 s[12:13], s[4:5], 0x0
	; meta instruction
	s_load_dwordx4 s[8:11], s[4:5], 0x28
	s_waitcnt lgkmcnt(0)
	s_bitcmp1_b32 s16, 8
	s_cselect_b32 s7, -1, 0
	v_writelane_b32 v223, s7, 0
	s_ashr_i32 s7, s6, 31
	s_lshl_b64 s[14:15], s[6:7], 3
	s_add_u32 s12, s12, s14
	s_addc_u32 s13, s13, s15
	s_load_dwordx2 s[14:15], s[12:13], 0x0
	s_bfe_u32 s12, s16, 0x10008
	s_cmp_eq_u32 s12, 0
                                        ; implicit-def: $sgpr12_sgpr13
	s_cbranch_scc1 .LBB127_3
; %bb.2:
	s_clause 0x1
	s_load_dword s12, s[4:5], 0x20
	s_load_dwordx2 s[16:17], s[4:5], 0x18
	s_mul_i32 s13, s8, s7
	s_mul_hi_u32 s18, s8, s6
	s_mul_i32 s9, s9, s6
	s_add_i32 s13, s18, s13
	s_mul_i32 s8, s8, s6
	s_add_i32 s9, s13, s9
	s_lshl_b64 s[8:9], s[8:9], 2
	s_waitcnt lgkmcnt(0)
	s_ashr_i32 s13, s12, 31
	s_add_u32 s16, s16, s8
	s_addc_u32 s17, s17, s9
	s_lshl_b64 s[8:9], s[12:13], 2
	s_add_u32 s12, s16, s8
	s_addc_u32 s13, s17, s9
.LBB127_3:
	s_clause 0x1
	s_load_dwordx2 s[8:9], s[4:5], 0x8
	s_load_dword s79, s[4:5], 0x38
	v_lshlrev_b32_e32 v139, 4, v0
	s_movk_i32 s16, 0xa0
	s_movk_i32 s17, 0xb0
	;; [unrolled: 1-line block ×17, first 2 shown]
	s_waitcnt lgkmcnt(0)
	s_ashr_i32 s5, s8, 31
	s_mov_b32 s4, s8
	v_add3_u32 v5, s9, s9, v0
	s_lshl_b64 s[4:5], s[4:5], 4
	s_movk_i32 s34, 0x1b0
	s_add_u32 s8, s14, s4
	s_addc_u32 s14, s15, s5
	v_add_co_u32 v9, s4, s8, v139
	v_add_co_ci_u32_e64 v10, null, s14, 0, s4
	s_mov_b32 s4, s9
	s_ashr_i32 s5, s9, 31
	v_ashrrev_i32_e32 v6, 31, v5
	flat_load_dwordx4 v[1:4], v[9:10]
	s_lshl_b64 s[4:5], s[4:5], 4
	s_movk_i32 s15, 0x90
	v_add_co_u32 v63, vcc_lo, v9, s4
	v_add_co_ci_u32_e64 v64, null, s5, v10, vcc_lo
	v_lshlrev_b64 v[6:7], 4, v[5:6]
	v_add_nc_u32_e32 v5, s9, v5
	s_movk_i32 s4, 0x50
	s_movk_i32 s35, 0x1c0
	s_movk_i32 s36, 0x1d0
	s_movk_i32 s37, 0x1e0
	v_add_co_u32 v61, vcc_lo, s8, v6
	v_add_co_ci_u32_e64 v62, null, s14, v7, vcc_lo
	v_ashrrev_i32_e32 v6, 31, v5
	s_movk_i32 s38, 0x1f0
	s_movk_i32 s39, 0x200
	s_movk_i32 s40, 0x210
	s_movk_i32 s41, 0x220
	v_lshlrev_b64 v[6:7], 4, v[5:6]
	v_add_nc_u32_e32 v5, s9, v5
	s_movk_i32 s42, 0x230
	s_movk_i32 s80, 0x240
	s_movk_i32 s81, 0x250
	s_movk_i32 s82, 0x260
	v_add_co_u32 v57, vcc_lo, s8, v6
	v_add_co_ci_u32_e64 v58, null, s14, v7, vcc_lo
	v_ashrrev_i32_e32 v6, 31, v5
	s_movk_i32 s83, 0x270
	s_movk_i32 s84, 0x280
	s_movk_i32 s85, 0x290
	s_movk_i32 s86, 0x2a0
	;; [unrolled: 13-line block ×4, first 2 shown]
	v_lshlrev_b64 v[6:7], 4, v[5:6]
	v_add_nc_u32_e32 v5, s9, v5
	s_movk_i32 vcc_hi, 0x3c0
	s_movk_i32 s78, 0x3d0
	s_movk_i32 s43, 0x3e0
	s_movk_i32 s44, 0x3f0
	v_add_co_u32 v51, vcc_lo, s8, v6
	v_add_co_ci_u32_e64 v52, null, s14, v7, vcc_lo
	v_ashrrev_i32_e32 v6, 31, v5
	s_add_i32 s73, s4, 16
	s_add_i32 s69, s15, 16
	s_add_i32 s68, s16, 16
	s_add_i32 s67, s17, 16
	v_lshlrev_b64 v[6:7], 4, v[5:6]
	v_add_nc_u32_e32 v5, s9, v5
	s_add_i32 s66, s18, 16
	s_add_i32 s65, s19, 16
	s_add_i32 s64, s20, 16
	s_add_i32 s63, s21, 16
	v_add_co_u32 v49, vcc_lo, s8, v6
	v_add_co_ci_u32_e64 v50, null, s14, v7, vcc_lo
	v_ashrrev_i32_e32 v6, 31, v5
	s_add_i32 s62, s22, 16
	s_add_i32 s61, s23, 16
	s_add_i32 s60, s24, 16
	s_add_i32 s59, s25, 16
	v_lshlrev_b64 v[6:7], 4, v[5:6]
	v_add_nc_u32_e32 v5, s9, v5
	s_add_i32 s58, s26, 16
	s_add_i32 s57, s27, 16
	s_add_i32 s56, s28, 16
	s_add_i32 s55, s29, 16
	;; [unrolled: 13-line block ×6, first 2 shown]
	v_add_co_u32 v37, vcc_lo, s8, v6
	v_add_co_ci_u32_e64 v38, null, s14, v7, vcc_lo
	v_ashrrev_i32_e32 v6, 31, v5
	s_add_i32 s19, s104, 16
	s_add_i32 s17, vcc_hi, 16
	s_add_i32 s16, s78, 16
	s_add_i32 s78, s43, 16
	v_lshlrev_b64 v[6:7], 4, v[5:6]
	v_add_nc_u32_e32 v5, s9, v5
	s_add_i32 s43, s44, 16
	s_mov_b32 s5, -1
	s_mov_b32 s77, 32
	s_mov_b32 s76, 48
	v_add_co_u32 v35, vcc_lo, s8, v6
	v_add_co_ci_u32_e64 v36, null, s14, v7, vcc_lo
	v_ashrrev_i32_e32 v6, 31, v5
	s_mov_b32 s75, 64
	s_movk_i32 s74, 0x50
	s_waitcnt vmcnt(0) lgkmcnt(0)
	buffer_store_dword v4, off, s[0:3], 0 offset:28
	buffer_store_dword v3, off, s[0:3], 0 offset:24
	buffer_store_dword v2, off, s[0:3], 0 offset:20
	buffer_store_dword v1, off, s[0:3], 0 offset:16
	flat_load_dwordx4 v[1:4], v[63:64]
	v_lshlrev_b64 v[6:7], 4, v[5:6]
	v_add_nc_u32_e32 v5, s9, v5
	s_waitcnt vmcnt(0) lgkmcnt(0)
	buffer_store_dword v4, off, s[0:3], 0 offset:44
	buffer_store_dword v3, off, s[0:3], 0 offset:40
	buffer_store_dword v2, off, s[0:3], 0 offset:36
	buffer_store_dword v1, off, s[0:3], 0 offset:32
	flat_load_dwordx4 v[1:4], v[61:62]
	v_add_co_u32 v33, vcc_lo, s8, v6
	v_add_co_ci_u32_e64 v34, null, s14, v7, vcc_lo
	v_ashrrev_i32_e32 v6, 31, v5
	s_waitcnt vmcnt(0) lgkmcnt(0)
	buffer_store_dword v4, off, s[0:3], 0 offset:60
	buffer_store_dword v3, off, s[0:3], 0 offset:56
	buffer_store_dword v2, off, s[0:3], 0 offset:52
	buffer_store_dword v1, off, s[0:3], 0 offset:48
	flat_load_dwordx4 v[1:4], v[57:58]
	v_lshlrev_b64 v[6:7], 4, v[5:6]
	v_add_nc_u32_e32 v5, s9, v5
	s_waitcnt vmcnt(0) lgkmcnt(0)
	buffer_store_dword v4, off, s[0:3], 0 offset:76
	buffer_store_dword v3, off, s[0:3], 0 offset:72
	buffer_store_dword v2, off, s[0:3], 0 offset:68
	buffer_store_dword v1, off, s[0:3], 0 offset:64
	flat_load_dwordx4 v[1:4], v[55:56]
	v_add_co_u32 v31, vcc_lo, s8, v6
	v_add_co_ci_u32_e64 v32, null, s14, v7, vcc_lo
	v_ashrrev_i32_e32 v6, 31, v5
	;; [unrolled: 17-line block ×12, first 2 shown]
	s_waitcnt vmcnt(0) lgkmcnt(0)
	buffer_store_dword v4, off, s[0:3], 0 offset:412
	buffer_store_dword v3, off, s[0:3], 0 offset:408
	;; [unrolled: 1-line block ×4, first 2 shown]
	flat_load_dwordx4 v[1:4], v[11:12]
	v_lshlrev_b64 v[6:7], 4, v[5:6]
	v_add_nc_u32_e32 v5, s9, v5
	s_waitcnt vmcnt(0) lgkmcnt(0)
	buffer_store_dword v4, off, s[0:3], 0 offset:428
	buffer_store_dword v3, off, s[0:3], 0 offset:424
	;; [unrolled: 1-line block ×4, first 2 shown]
	v_add_co_u32 v39, vcc_lo, s8, v6
	v_add_co_ci_u32_e64 v40, null, s14, v7, vcc_lo
	v_ashrrev_i32_e32 v6, 31, v5
	flat_load_dwordx4 v[1:4], v[39:40]
	s_waitcnt vmcnt(0) lgkmcnt(0)
	buffer_store_dword v4, off, s[0:3], 0 offset:444
	buffer_store_dword v3, off, s[0:3], 0 offset:440
	buffer_store_dword v2, off, s[0:3], 0 offset:436
	buffer_store_dword v1, off, s[0:3], 0 offset:432
	v_lshlrev_b64 v[6:7], 4, v[5:6]
	v_add_nc_u32_e32 v5, s9, v5
	v_add_co_u32 v59, vcc_lo, s8, v6
	v_add_co_ci_u32_e64 v60, null, s14, v7, vcc_lo
	v_ashrrev_i32_e32 v6, 31, v5
	flat_load_dwordx4 v[1:4], v[59:60]
	s_waitcnt vmcnt(0) lgkmcnt(0)
	buffer_store_dword v4, off, s[0:3], 0 offset:460
	buffer_store_dword v3, off, s[0:3], 0 offset:456
	buffer_store_dword v2, off, s[0:3], 0 offset:452
	buffer_store_dword v1, off, s[0:3], 0 offset:448
	v_lshlrev_b64 v[6:7], 4, v[5:6]
	v_add_nc_u32_e32 v5, s9, v5
	;; [unrolled: 11-line block ×36, first 2 shown]
	s_movk_i32 s9, 0x70
	s_add_i32 s71, s9, 16
	v_add_co_u32 v133, vcc_lo, s8, v6
	v_add_co_ci_u32_e64 v134, null, s14, v7, vcc_lo
	v_ashrrev_i32_e32 v6, 31, v5
	flat_load_dwordx4 v[1:4], v[133:134]
	s_waitcnt vmcnt(0) lgkmcnt(0)
	buffer_store_dword v4, off, s[0:3], 0 offset:1020
	buffer_store_dword v3, off, s[0:3], 0 offset:1016
	;; [unrolled: 1-line block ×4, first 2 shown]
	v_lshlrev_b64 v[5:6], 4, v[5:6]
	v_add_co_u32 v135, vcc_lo, s8, v5
	v_add_co_ci_u32_e64 v136, null, s14, v6, vcc_lo
	s_movk_i32 s8, 0x60
	s_movk_i32 s14, 0x80
	s_movk_i32 vcc_lo, 0x3b0
	flat_load_dwordx4 v[1:4], v[135:136]
	s_add_i32 s72, s8, 16
	s_add_i32 s70, s14, 16
	;; [unrolled: 1-line block ×4, first 2 shown]
	s_add_i32 s18, vcc_lo, 16
	s_bitcmp0_b32 s79, 0
	s_waitcnt vmcnt(0) lgkmcnt(0)
	buffer_store_dword v4, off, s[0:3], 0 offset:1036
	buffer_store_dword v3, off, s[0:3], 0 offset:1032
	;; [unrolled: 1-line block ×4, first 2 shown]
	s_cbranch_scc1 .LBB127_280
; %bb.4:
	v_cmp_eq_u32_e64 s4, 0, v0
	s_and_saveexec_b32 s5, s4
; %bb.5:
	v_mov_b32_e32 v1, 0
	ds_write_b32 v1, v1 offset:2048
; %bb.6:
	s_or_b32 exec_lo, exec_lo, s5
	v_lshl_add_u32 v140, v0, 4, 16
	s_waitcnt lgkmcnt(0)
	s_waitcnt_vscnt null, 0x0
	s_barrier
	buffer_gl0_inv
	s_clause 0x3
	buffer_load_dword v1, v140, s[0:3], 0 offen
	buffer_load_dword v2, v140, s[0:3], 0 offen offset:4
	buffer_load_dword v3, v140, s[0:3], 0 offen offset:8
	;; [unrolled: 1-line block ×3, first 2 shown]
	s_waitcnt vmcnt(2)
	v_cmp_eq_f64_e32 vcc_lo, 0, v[1:2]
	s_waitcnt vmcnt(0)
	v_cmp_eq_f64_e64 s5, 0, v[3:4]
	s_and_b32 s5, vcc_lo, s5
	s_and_saveexec_b32 s8, s5
	s_cbranch_execz .LBB127_10
; %bb.7:
	v_mov_b32_e32 v1, 0
	s_mov_b32 s9, 0
	ds_read_b32 v2, v1 offset:2048
	s_waitcnt lgkmcnt(0)
	v_readfirstlane_b32 s5, v2
	v_add_nc_u32_e32 v2, 1, v0
	s_cmp_eq_u32 s5, 0
	v_cmp_gt_i32_e32 vcc_lo, s5, v2
	s_cselect_b32 s44, -1, 0
	s_or_b32 s44, s44, vcc_lo
	s_and_b32 exec_lo, exec_lo, s44
	s_cbranch_execz .LBB127_10
; %bb.8:
	v_mov_b32_e32 v3, s5
.LBB127_9:                              ; =>This Inner Loop Header: Depth=1
	ds_cmpst_rtn_b32 v3, v1, v3, v2 offset:2048
	s_waitcnt lgkmcnt(0)
	v_cmp_ne_u32_e32 vcc_lo, 0, v3
	v_cmp_le_i32_e64 s5, v3, v2
	s_and_b32 s5, vcc_lo, s5
	s_and_b32 s5, exec_lo, s5
	s_or_b32 s9, s5, s9
	s_andn2_b32 exec_lo, exec_lo, s9
	s_cbranch_execnz .LBB127_9
.LBB127_10:
	s_or_b32 exec_lo, exec_lo, s8
	v_mov_b32_e32 v1, 0
	s_barrier
	buffer_gl0_inv
	ds_read_b32 v2, v1 offset:2048
	s_and_saveexec_b32 s5, s4
	s_cbranch_execz .LBB127_12
; %bb.11:
	s_lshl_b64 s[8:9], s[6:7], 2
	s_add_u32 s8, s10, s8
	s_addc_u32 s9, s11, s9
	s_waitcnt lgkmcnt(0)
	global_store_dword v1, v2, s[8:9]
.LBB127_12:
	s_or_b32 exec_lo, exec_lo, s5
	s_waitcnt lgkmcnt(0)
	v_cmp_ne_u32_e32 vcc_lo, 0, v2
	s_mov_b32 s5, 0
	s_cbranch_vccnz .LBB127_280
; %bb.13:
	s_clause 0x3
	buffer_load_dword v7, v140, s[0:3], 0 offen
	buffer_load_dword v8, v140, s[0:3], 0 offen offset:4
	buffer_load_dword v137, v140, s[0:3], 0 offen offset:8
	;; [unrolled: 1-line block ×3, first 2 shown]
                                        ; implicit-def: $vgpr5_vgpr6
                                        ; implicit-def: $vgpr3_vgpr4
	s_waitcnt vmcnt(0)
	v_cmp_ngt_f64_e64 s5, |v[7:8]|, |v[137:138]|
	s_and_saveexec_b32 s8, s5
	s_xor_b32 s5, exec_lo, s8
	s_cbranch_execz .LBB127_15
; %bb.14:
	v_div_scale_f64 v[1:2], null, v[137:138], v[137:138], v[7:8]
	v_div_scale_f64 v[141:142], vcc_lo, v[7:8], v[137:138], v[7:8]
	v_rcp_f64_e32 v[3:4], v[1:2]
	v_fma_f64 v[5:6], -v[1:2], v[3:4], 1.0
	v_fma_f64 v[3:4], v[3:4], v[5:6], v[3:4]
	v_fma_f64 v[5:6], -v[1:2], v[3:4], 1.0
	v_fma_f64 v[3:4], v[3:4], v[5:6], v[3:4]
	v_mul_f64 v[5:6], v[141:142], v[3:4]
	v_fma_f64 v[1:2], -v[1:2], v[5:6], v[141:142]
	v_div_fmas_f64 v[1:2], v[1:2], v[3:4], v[5:6]
	v_div_fixup_f64 v[1:2], v[1:2], v[137:138], v[7:8]
	v_fma_f64 v[3:4], v[7:8], v[1:2], v[137:138]
	v_div_scale_f64 v[5:6], null, v[3:4], v[3:4], 1.0
	v_div_scale_f64 v[141:142], vcc_lo, 1.0, v[3:4], 1.0
	v_rcp_f64_e32 v[7:8], v[5:6]
	v_fma_f64 v[137:138], -v[5:6], v[7:8], 1.0
	v_fma_f64 v[7:8], v[7:8], v[137:138], v[7:8]
	v_fma_f64 v[137:138], -v[5:6], v[7:8], 1.0
	v_fma_f64 v[7:8], v[7:8], v[137:138], v[7:8]
	v_mul_f64 v[137:138], v[141:142], v[7:8]
	v_fma_f64 v[5:6], -v[5:6], v[137:138], v[141:142]
	v_div_fmas_f64 v[5:6], v[5:6], v[7:8], v[137:138]
                                        ; implicit-def: $vgpr7_vgpr8
                                        ; implicit-def: $vgpr137_vgpr138
	v_div_fixup_f64 v[3:4], v[5:6], v[3:4], 1.0
	v_mul_f64 v[5:6], v[1:2], v[3:4]
	v_xor_b32_e32 v4, 0x80000000, v4
	v_xor_b32_e32 v2, 0x80000000, v6
	v_mov_b32_e32 v1, v5
.LBB127_15:
	s_andn2_saveexec_b32 s5, s5
	s_cbranch_execz .LBB127_17
; %bb.16:
	v_div_scale_f64 v[1:2], null, v[7:8], v[7:8], v[137:138]
	v_div_scale_f64 v[141:142], vcc_lo, v[137:138], v[7:8], v[137:138]
	v_rcp_f64_e32 v[3:4], v[1:2]
	v_fma_f64 v[5:6], -v[1:2], v[3:4], 1.0
	v_fma_f64 v[3:4], v[3:4], v[5:6], v[3:4]
	v_fma_f64 v[5:6], -v[1:2], v[3:4], 1.0
	v_fma_f64 v[3:4], v[3:4], v[5:6], v[3:4]
	v_mul_f64 v[5:6], v[141:142], v[3:4]
	v_fma_f64 v[1:2], -v[1:2], v[5:6], v[141:142]
	v_div_fmas_f64 v[1:2], v[1:2], v[3:4], v[5:6]
	v_div_fixup_f64 v[1:2], v[1:2], v[7:8], v[137:138]
	v_fma_f64 v[3:4], v[137:138], v[1:2], v[7:8]
	v_div_scale_f64 v[5:6], null, v[3:4], v[3:4], 1.0
	v_rcp_f64_e32 v[7:8], v[5:6]
	v_fma_f64 v[137:138], -v[5:6], v[7:8], 1.0
	v_fma_f64 v[7:8], v[7:8], v[137:138], v[7:8]
	v_fma_f64 v[137:138], -v[5:6], v[7:8], 1.0
	v_fma_f64 v[7:8], v[7:8], v[137:138], v[7:8]
	v_div_scale_f64 v[137:138], vcc_lo, 1.0, v[3:4], 1.0
	v_mul_f64 v[141:142], v[137:138], v[7:8]
	v_fma_f64 v[5:6], -v[5:6], v[141:142], v[137:138]
	v_div_fmas_f64 v[5:6], v[5:6], v[7:8], v[141:142]
	v_div_fixup_f64 v[5:6], v[5:6], v[3:4], 1.0
	v_mul_f64 v[3:4], v[1:2], -v[5:6]
	v_xor_b32_e32 v2, 0x80000000, v6
	v_mov_b32_e32 v1, v5
.LBB127_17:
	s_or_b32 exec_lo, exec_lo, s5
	v_mov_b32_e32 v7, s77
	buffer_store_dword v6, v140, s[0:3], 0 offen offset:4
	buffer_store_dword v5, v140, s[0:3], 0 offen
	buffer_store_dword v4, v140, s[0:3], 0 offen offset:12
	buffer_store_dword v3, v140, s[0:3], 0 offen offset:8
	v_xor_b32_e32 v4, 0x80000000, v4
	v_or_b32_e32 v5, 0x400, v139
	s_clause 0x3
	buffer_load_dword v144, v7, s[0:3], 0 offen offset:12
	buffer_load_dword v143, v7, s[0:3], 0 offen offset:8
	buffer_load_dword v142, v7, s[0:3], 0 offen offset:4
	buffer_load_dword v141, v7, s[0:3], 0 offen
	ds_write_b128 v139, v[1:4]
	s_waitcnt vmcnt(0)
	ds_write_b128 v139, v[141:144] offset:1024
	s_waitcnt lgkmcnt(0)
	s_waitcnt_vscnt null, 0x0
	s_barrier
	buffer_gl0_inv
	s_and_saveexec_b32 s5, s4
	s_cbranch_execz .LBB127_19
; %bb.18:
	s_clause 0x3
	buffer_load_dword v6, v140, s[0:3], 0 offen offset:8
	buffer_load_dword v7, v140, s[0:3], 0 offen offset:12
	buffer_load_dword v137, v140, s[0:3], 0 offen
	buffer_load_dword v138, v140, s[0:3], 0 offen offset:4
	ds_read_b128 v[1:4], v5
	v_mov_b32_e32 v8, 0
	ds_read_b128 v[141:144], v8 offset:16
	s_waitcnt vmcnt(2) lgkmcnt(1)
	v_mul_f64 v[145:146], v[1:2], v[6:7]
	v_mul_f64 v[6:7], v[3:4], v[6:7]
	s_waitcnt vmcnt(0)
	v_fma_f64 v[3:4], v[3:4], v[137:138], v[145:146]
	v_fma_f64 v[1:2], v[1:2], v[137:138], -v[6:7]
	v_add_f64 v[3:4], v[3:4], 0
	v_add_f64 v[1:2], v[1:2], 0
	s_waitcnt lgkmcnt(0)
	v_mul_f64 v[6:7], v[3:4], v[143:144]
	v_mul_f64 v[137:138], v[1:2], v[143:144]
	v_fma_f64 v[1:2], v[1:2], v[141:142], -v[6:7]
	v_fma_f64 v[3:4], v[3:4], v[141:142], v[137:138]
	buffer_store_dword v1, off, s[0:3], 0 offset:32
	buffer_store_dword v2, off, s[0:3], 0 offset:36
	;; [unrolled: 1-line block ×4, first 2 shown]
.LBB127_19:
	s_or_b32 exec_lo, exec_lo, s5
	v_mov_b32_e32 v4, s76
	s_waitcnt_vscnt null, 0x0
	s_barrier
	buffer_gl0_inv
	v_cmp_gt_u32_e32 vcc_lo, 2, v0
	s_clause 0x3
	buffer_load_dword v1, v4, s[0:3], 0 offen
	buffer_load_dword v2, v4, s[0:3], 0 offen offset:4
	buffer_load_dword v3, v4, s[0:3], 0 offen offset:8
	;; [unrolled: 1-line block ×3, first 2 shown]
	s_waitcnt vmcnt(0)
	ds_write_b128 v5, v[1:4]
	s_waitcnt lgkmcnt(0)
	s_barrier
	buffer_gl0_inv
	s_and_saveexec_b32 s5, vcc_lo
	s_cbranch_execz .LBB127_23
; %bb.20:
	s_clause 0x3
	buffer_load_dword v6, v140, s[0:3], 0 offen offset:8
	buffer_load_dword v7, v140, s[0:3], 0 offen offset:12
	buffer_load_dword v137, v140, s[0:3], 0 offen
	buffer_load_dword v138, v140, s[0:3], 0 offen offset:4
	ds_read_b128 v[1:4], v5
	s_waitcnt vmcnt(2) lgkmcnt(0)
	v_mul_f64 v[141:142], v[3:4], v[6:7]
	v_mul_f64 v[6:7], v[1:2], v[6:7]
	s_waitcnt vmcnt(0)
	v_fma_f64 v[1:2], v[1:2], v[137:138], -v[141:142]
	v_fma_f64 v[3:4], v[3:4], v[137:138], v[6:7]
	v_add_f64 v[1:2], v[1:2], 0
	v_add_f64 v[3:4], v[3:4], 0
	s_and_saveexec_b32 s8, s4
	s_cbranch_execz .LBB127_22
; %bb.21:
	s_clause 0x3
	buffer_load_dword v6, off, s[0:3], 0 offset:40
	buffer_load_dword v7, off, s[0:3], 0 offset:44
	;; [unrolled: 1-line block ×4, first 2 shown]
	v_mov_b32_e32 v8, 0
	ds_read_b128 v[141:144], v8 offset:1040
	s_waitcnt vmcnt(2) lgkmcnt(0)
	v_mul_f64 v[145:146], v[141:142], v[6:7]
	v_mul_f64 v[6:7], v[143:144], v[6:7]
	s_waitcnt vmcnt(0)
	v_fma_f64 v[143:144], v[143:144], v[137:138], v[145:146]
	v_fma_f64 v[6:7], v[141:142], v[137:138], -v[6:7]
	v_add_f64 v[3:4], v[3:4], v[143:144]
	v_add_f64 v[1:2], v[1:2], v[6:7]
.LBB127_22:
	s_or_b32 exec_lo, exec_lo, s8
	v_mov_b32_e32 v6, 0
	ds_read_b128 v[141:144], v6 offset:32
	s_waitcnt lgkmcnt(0)
	v_mul_f64 v[6:7], v[3:4], v[143:144]
	v_mul_f64 v[137:138], v[1:2], v[143:144]
	v_fma_f64 v[1:2], v[1:2], v[141:142], -v[6:7]
	v_fma_f64 v[3:4], v[3:4], v[141:142], v[137:138]
	buffer_store_dword v2, off, s[0:3], 0 offset:52
	buffer_store_dword v1, off, s[0:3], 0 offset:48
	;; [unrolled: 1-line block ×4, first 2 shown]
.LBB127_23:
	s_or_b32 exec_lo, exec_lo, s5
	v_mov_b32_e32 v4, s75
	s_waitcnt_vscnt null, 0x0
	s_barrier
	buffer_gl0_inv
	v_add_nc_u32_e32 v6, -1, v0
	s_clause 0x3
	buffer_load_dword v1, v4, s[0:3], 0 offen
	buffer_load_dword v2, v4, s[0:3], 0 offen offset:4
	buffer_load_dword v3, v4, s[0:3], 0 offen offset:8
	;; [unrolled: 1-line block ×3, first 2 shown]
	s_mov_b32 s8, exec_lo
	s_waitcnt vmcnt(0)
	ds_write_b128 v5, v[1:4]
	s_waitcnt lgkmcnt(0)
	s_barrier
	buffer_gl0_inv
	v_cmpx_gt_u32_e32 3, v0
	s_cbranch_execz .LBB127_27
; %bb.24:
	v_mov_b32_e32 v1, 0
	v_mov_b32_e32 v3, 0
	v_add_nc_u32_e32 v7, -1, v0
	v_or_b32_e32 v8, 0x400, v139
	v_mov_b32_e32 v2, 0
	v_mov_b32_e32 v4, 0
	v_add_nc_u32_e32 v137, 16, v139
	s_mov_b32 s9, 0
	.p2align	6
.LBB127_25:                             ; =>This Inner Loop Header: Depth=1
	s_clause 0x3
	buffer_load_dword v145, v137, s[0:3], 0 offen offset:8
	buffer_load_dword v146, v137, s[0:3], 0 offen offset:12
	buffer_load_dword v147, v137, s[0:3], 0 offen
	buffer_load_dword v148, v137, s[0:3], 0 offen offset:4
	ds_read_b128 v[141:144], v8
	v_add_nc_u32_e32 v7, 1, v7
	v_add_nc_u32_e32 v8, 16, v8
	;; [unrolled: 1-line block ×3, first 2 shown]
	v_cmp_lt_u32_e64 s5, 1, v7
	s_or_b32 s9, s5, s9
	s_waitcnt vmcnt(2) lgkmcnt(0)
	v_mul_f64 v[149:150], v[143:144], v[145:146]
	v_mul_f64 v[145:146], v[141:142], v[145:146]
	s_waitcnt vmcnt(0)
	v_fma_f64 v[141:142], v[141:142], v[147:148], -v[149:150]
	v_fma_f64 v[143:144], v[143:144], v[147:148], v[145:146]
	v_add_f64 v[3:4], v[3:4], v[141:142]
	v_add_f64 v[1:2], v[1:2], v[143:144]
	s_andn2_b32 exec_lo, exec_lo, s9
	s_cbranch_execnz .LBB127_25
; %bb.26:
	s_or_b32 exec_lo, exec_lo, s9
	v_mov_b32_e32 v7, 0
	ds_read_b128 v[141:144], v7 offset:48
	s_waitcnt lgkmcnt(0)
	v_mul_f64 v[7:8], v[1:2], v[143:144]
	v_mul_f64 v[137:138], v[3:4], v[143:144]
	v_fma_f64 v[3:4], v[3:4], v[141:142], -v[7:8]
	v_fma_f64 v[1:2], v[1:2], v[141:142], v[137:138]
	buffer_store_dword v4, off, s[0:3], 0 offset:68
	buffer_store_dword v3, off, s[0:3], 0 offset:64
	;; [unrolled: 1-line block ×4, first 2 shown]
.LBB127_27:
	s_or_b32 exec_lo, exec_lo, s8
	v_mov_b32_e32 v4, s74
	s_waitcnt_vscnt null, 0x0
	s_barrier
	buffer_gl0_inv
	v_cmp_gt_u32_e64 s5, 4, v0
	s_clause 0x3
	buffer_load_dword v1, v4, s[0:3], 0 offen
	buffer_load_dword v2, v4, s[0:3], 0 offen offset:4
	buffer_load_dword v3, v4, s[0:3], 0 offen offset:8
	;; [unrolled: 1-line block ×3, first 2 shown]
	s_waitcnt vmcnt(0)
	ds_write_b128 v5, v[1:4]
	s_waitcnt lgkmcnt(0)
	s_barrier
	buffer_gl0_inv
	s_and_saveexec_b32 s9, s5
	s_cbranch_execz .LBB127_31
; %bb.28:
	v_mov_b32_e32 v1, 0
	v_mov_b32_e32 v3, 0
	v_add_nc_u32_e32 v7, -1, v0
	v_or_b32_e32 v8, 0x400, v139
	v_mov_b32_e32 v2, 0
	v_mov_b32_e32 v4, 0
	v_add_nc_u32_e32 v137, 16, v139
	s_mov_b32 s79, 0
	.p2align	6
.LBB127_29:                             ; =>This Inner Loop Header: Depth=1
	s_clause 0x3
	buffer_load_dword v145, v137, s[0:3], 0 offen offset:8
	buffer_load_dword v146, v137, s[0:3], 0 offen offset:12
	buffer_load_dword v147, v137, s[0:3], 0 offen
	buffer_load_dword v148, v137, s[0:3], 0 offen offset:4
	ds_read_b128 v[141:144], v8
	v_add_nc_u32_e32 v7, 1, v7
	v_add_nc_u32_e32 v8, 16, v8
	;; [unrolled: 1-line block ×3, first 2 shown]
	v_cmp_lt_u32_e64 s8, 2, v7
	s_or_b32 s79, s8, s79
	s_waitcnt vmcnt(2) lgkmcnt(0)
	v_mul_f64 v[149:150], v[143:144], v[145:146]
	v_mul_f64 v[145:146], v[141:142], v[145:146]
	s_waitcnt vmcnt(0)
	v_fma_f64 v[141:142], v[141:142], v[147:148], -v[149:150]
	v_fma_f64 v[143:144], v[143:144], v[147:148], v[145:146]
	v_add_f64 v[3:4], v[3:4], v[141:142]
	v_add_f64 v[1:2], v[1:2], v[143:144]
	s_andn2_b32 exec_lo, exec_lo, s79
	s_cbranch_execnz .LBB127_29
; %bb.30:
	s_or_b32 exec_lo, exec_lo, s79
	v_mov_b32_e32 v7, 0
	ds_read_b128 v[141:144], v7 offset:64
	s_waitcnt lgkmcnt(0)
	v_mul_f64 v[7:8], v[1:2], v[143:144]
	v_mul_f64 v[137:138], v[3:4], v[143:144]
	v_fma_f64 v[3:4], v[3:4], v[141:142], -v[7:8]
	v_fma_f64 v[1:2], v[1:2], v[141:142], v[137:138]
	buffer_store_dword v4, off, s[0:3], 0 offset:84
	buffer_store_dword v3, off, s[0:3], 0 offset:80
	;; [unrolled: 1-line block ×4, first 2 shown]
.LBB127_31:
	s_or_b32 exec_lo, exec_lo, s9
	v_mov_b32_e32 v4, s73
	s_waitcnt_vscnt null, 0x0
	s_barrier
	buffer_gl0_inv
	s_mov_b32 s9, exec_lo
	s_clause 0x3
	buffer_load_dword v1, v4, s[0:3], 0 offen
	buffer_load_dword v2, v4, s[0:3], 0 offen offset:4
	buffer_load_dword v3, v4, s[0:3], 0 offen offset:8
	;; [unrolled: 1-line block ×3, first 2 shown]
	s_waitcnt vmcnt(0)
	ds_write_b128 v5, v[1:4]
	s_waitcnt lgkmcnt(0)
	s_barrier
	buffer_gl0_inv
	v_cmpx_gt_u32_e32 5, v0
	s_cbranch_execz .LBB127_35
; %bb.32:
	v_mov_b32_e32 v1, 0
	v_mov_b32_e32 v3, 0
	v_add_nc_u32_e32 v7, -1, v0
	v_or_b32_e32 v8, 0x400, v139
	v_mov_b32_e32 v2, 0
	v_mov_b32_e32 v4, 0
	v_add_nc_u32_e32 v137, 16, v139
	s_mov_b32 s79, 0
	.p2align	6
.LBB127_33:                             ; =>This Inner Loop Header: Depth=1
	s_clause 0x3
	buffer_load_dword v145, v137, s[0:3], 0 offen offset:8
	buffer_load_dword v146, v137, s[0:3], 0 offen offset:12
	buffer_load_dword v147, v137, s[0:3], 0 offen
	buffer_load_dword v148, v137, s[0:3], 0 offen offset:4
	ds_read_b128 v[141:144], v8
	v_add_nc_u32_e32 v7, 1, v7
	v_add_nc_u32_e32 v8, 16, v8
	;; [unrolled: 1-line block ×3, first 2 shown]
	v_cmp_lt_u32_e64 s8, 3, v7
	s_or_b32 s79, s8, s79
	s_waitcnt vmcnt(2) lgkmcnt(0)
	v_mul_f64 v[149:150], v[143:144], v[145:146]
	v_mul_f64 v[145:146], v[141:142], v[145:146]
	s_waitcnt vmcnt(0)
	v_fma_f64 v[141:142], v[141:142], v[147:148], -v[149:150]
	v_fma_f64 v[143:144], v[143:144], v[147:148], v[145:146]
	v_add_f64 v[3:4], v[3:4], v[141:142]
	v_add_f64 v[1:2], v[1:2], v[143:144]
	s_andn2_b32 exec_lo, exec_lo, s79
	s_cbranch_execnz .LBB127_33
; %bb.34:
	s_or_b32 exec_lo, exec_lo, s79
	v_mov_b32_e32 v7, 0
	ds_read_b128 v[141:144], v7 offset:80
	s_waitcnt lgkmcnt(0)
	v_mul_f64 v[7:8], v[1:2], v[143:144]
	v_mul_f64 v[137:138], v[3:4], v[143:144]
	v_fma_f64 v[3:4], v[3:4], v[141:142], -v[7:8]
	v_fma_f64 v[1:2], v[1:2], v[141:142], v[137:138]
	buffer_store_dword v4, off, s[0:3], 0 offset:100
	buffer_store_dword v3, off, s[0:3], 0 offset:96
	;; [unrolled: 1-line block ×4, first 2 shown]
.LBB127_35:
	s_or_b32 exec_lo, exec_lo, s9
	v_mov_b32_e32 v4, s72
	s_waitcnt_vscnt null, 0x0
	s_barrier
	buffer_gl0_inv
	v_cmp_gt_u32_e64 s8, 6, v0
	s_clause 0x3
	buffer_load_dword v1, v4, s[0:3], 0 offen
	buffer_load_dword v2, v4, s[0:3], 0 offen offset:4
	buffer_load_dword v3, v4, s[0:3], 0 offen offset:8
	;; [unrolled: 1-line block ×3, first 2 shown]
	s_waitcnt vmcnt(0)
	ds_write_b128 v5, v[1:4]
	s_waitcnt lgkmcnt(0)
	s_barrier
	buffer_gl0_inv
	s_and_saveexec_b32 s79, s8
	s_cbranch_execz .LBB127_39
; %bb.36:
	v_mov_b32_e32 v1, 0
	v_mov_b32_e32 v3, 0
	v_add_nc_u32_e32 v7, -1, v0
	v_or_b32_e32 v8, 0x400, v139
	v_mov_b32_e32 v2, 0
	v_mov_b32_e32 v4, 0
	v_add_nc_u32_e32 v137, 16, v139
	s_mov_b32 s80, 0
	.p2align	6
.LBB127_37:                             ; =>This Inner Loop Header: Depth=1
	s_clause 0x3
	buffer_load_dword v145, v137, s[0:3], 0 offen offset:8
	buffer_load_dword v146, v137, s[0:3], 0 offen offset:12
	buffer_load_dword v147, v137, s[0:3], 0 offen
	buffer_load_dword v148, v137, s[0:3], 0 offen offset:4
	ds_read_b128 v[141:144], v8
	v_add_nc_u32_e32 v7, 1, v7
	v_add_nc_u32_e32 v8, 16, v8
	;; [unrolled: 1-line block ×3, first 2 shown]
	v_cmp_lt_u32_e64 s9, 4, v7
	s_or_b32 s80, s9, s80
	s_waitcnt vmcnt(2) lgkmcnt(0)
	v_mul_f64 v[149:150], v[143:144], v[145:146]
	v_mul_f64 v[145:146], v[141:142], v[145:146]
	s_waitcnt vmcnt(0)
	v_fma_f64 v[141:142], v[141:142], v[147:148], -v[149:150]
	v_fma_f64 v[143:144], v[143:144], v[147:148], v[145:146]
	v_add_f64 v[3:4], v[3:4], v[141:142]
	v_add_f64 v[1:2], v[1:2], v[143:144]
	s_andn2_b32 exec_lo, exec_lo, s80
	s_cbranch_execnz .LBB127_37
; %bb.38:
	s_or_b32 exec_lo, exec_lo, s80
	v_mov_b32_e32 v7, 0
	ds_read_b128 v[141:144], v7 offset:96
	s_waitcnt lgkmcnt(0)
	v_mul_f64 v[7:8], v[1:2], v[143:144]
	v_mul_f64 v[137:138], v[3:4], v[143:144]
	v_fma_f64 v[3:4], v[3:4], v[141:142], -v[7:8]
	v_fma_f64 v[1:2], v[1:2], v[141:142], v[137:138]
	buffer_store_dword v4, off, s[0:3], 0 offset:116
	buffer_store_dword v3, off, s[0:3], 0 offset:112
	buffer_store_dword v2, off, s[0:3], 0 offset:124
	buffer_store_dword v1, off, s[0:3], 0 offset:120
.LBB127_39:
	s_or_b32 exec_lo, exec_lo, s79
	v_mov_b32_e32 v4, s71
	s_waitcnt_vscnt null, 0x0
	s_barrier
	buffer_gl0_inv
	s_mov_b32 s79, exec_lo
	s_clause 0x3
	buffer_load_dword v1, v4, s[0:3], 0 offen
	buffer_load_dword v2, v4, s[0:3], 0 offen offset:4
	buffer_load_dword v3, v4, s[0:3], 0 offen offset:8
	;; [unrolled: 1-line block ×3, first 2 shown]
	s_waitcnt vmcnt(0)
	ds_write_b128 v5, v[1:4]
	s_waitcnt lgkmcnt(0)
	s_barrier
	buffer_gl0_inv
	v_cmpx_gt_u32_e32 7, v0
	s_cbranch_execz .LBB127_43
; %bb.40:
	v_mov_b32_e32 v1, 0
	v_mov_b32_e32 v3, 0
	v_add_nc_u32_e32 v7, -1, v0
	v_or_b32_e32 v8, 0x400, v139
	v_mov_b32_e32 v2, 0
	v_mov_b32_e32 v4, 0
	v_add_nc_u32_e32 v137, 16, v139
	s_mov_b32 s80, 0
	.p2align	6
.LBB127_41:                             ; =>This Inner Loop Header: Depth=1
	s_clause 0x3
	buffer_load_dword v145, v137, s[0:3], 0 offen offset:8
	buffer_load_dword v146, v137, s[0:3], 0 offen offset:12
	buffer_load_dword v147, v137, s[0:3], 0 offen
	buffer_load_dword v148, v137, s[0:3], 0 offen offset:4
	ds_read_b128 v[141:144], v8
	v_add_nc_u32_e32 v7, 1, v7
	v_add_nc_u32_e32 v8, 16, v8
	;; [unrolled: 1-line block ×3, first 2 shown]
	v_cmp_lt_u32_e64 s9, 5, v7
	s_or_b32 s80, s9, s80
	s_waitcnt vmcnt(2) lgkmcnt(0)
	v_mul_f64 v[149:150], v[143:144], v[145:146]
	v_mul_f64 v[145:146], v[141:142], v[145:146]
	s_waitcnt vmcnt(0)
	v_fma_f64 v[141:142], v[141:142], v[147:148], -v[149:150]
	v_fma_f64 v[143:144], v[143:144], v[147:148], v[145:146]
	v_add_f64 v[3:4], v[3:4], v[141:142]
	v_add_f64 v[1:2], v[1:2], v[143:144]
	s_andn2_b32 exec_lo, exec_lo, s80
	s_cbranch_execnz .LBB127_41
; %bb.42:
	s_or_b32 exec_lo, exec_lo, s80
	v_mov_b32_e32 v7, 0
	ds_read_b128 v[141:144], v7 offset:112
	s_waitcnt lgkmcnt(0)
	v_mul_f64 v[7:8], v[1:2], v[143:144]
	v_mul_f64 v[137:138], v[3:4], v[143:144]
	v_fma_f64 v[3:4], v[3:4], v[141:142], -v[7:8]
	v_fma_f64 v[1:2], v[1:2], v[141:142], v[137:138]
	buffer_store_dword v4, off, s[0:3], 0 offset:132
	buffer_store_dword v3, off, s[0:3], 0 offset:128
	;; [unrolled: 1-line block ×4, first 2 shown]
.LBB127_43:
	s_or_b32 exec_lo, exec_lo, s79
	v_mov_b32_e32 v4, s70
	s_waitcnt_vscnt null, 0x0
	s_barrier
	buffer_gl0_inv
	s_mov_b32 s79, exec_lo
	s_clause 0x3
	buffer_load_dword v1, v4, s[0:3], 0 offen
	buffer_load_dword v2, v4, s[0:3], 0 offen offset:4
	buffer_load_dword v3, v4, s[0:3], 0 offen offset:8
	;; [unrolled: 1-line block ×3, first 2 shown]
	s_waitcnt vmcnt(0)
	ds_write_b128 v5, v[1:4]
	s_waitcnt lgkmcnt(0)
	s_barrier
	buffer_gl0_inv
	v_cmpx_gt_u32_e32 8, v0
	s_cbranch_execz .LBB127_59
; %bb.44:
	s_clause 0x3
	buffer_load_dword v7, v140, s[0:3], 0 offen offset:8
	buffer_load_dword v8, v140, s[0:3], 0 offen offset:12
	buffer_load_dword v137, v140, s[0:3], 0 offen
	buffer_load_dword v138, v140, s[0:3], 0 offen offset:4
	ds_read_b128 v[1:4], v5
	s_mov_b32 s80, exec_lo
	s_waitcnt vmcnt(2) lgkmcnt(0)
	v_mul_f64 v[141:142], v[3:4], v[7:8]
	v_mul_f64 v[7:8], v[1:2], v[7:8]
	s_waitcnt vmcnt(0)
	v_fma_f64 v[1:2], v[1:2], v[137:138], -v[141:142]
	v_fma_f64 v[7:8], v[3:4], v[137:138], v[7:8]
	v_add_f64 v[3:4], v[1:2], 0
	v_add_f64 v[1:2], v[7:8], 0
	v_cmpx_ne_u32_e32 7, v0
	s_cbranch_execz .LBB127_58
; %bb.45:
	s_clause 0x3
	buffer_load_dword v7, v140, s[0:3], 0 offen offset:24
	buffer_load_dword v8, v140, s[0:3], 0 offen offset:28
	;; [unrolled: 1-line block ×4, first 2 shown]
	ds_read_b128 v[141:144], v5 offset:16
	s_waitcnt vmcnt(2) lgkmcnt(0)
	v_mul_f64 v[145:146], v[143:144], v[7:8]
	v_mul_f64 v[7:8], v[141:142], v[7:8]
	s_waitcnt vmcnt(0)
	v_fma_f64 v[141:142], v[141:142], v[137:138], -v[145:146]
	v_fma_f64 v[7:8], v[143:144], v[137:138], v[7:8]
	v_add_f64 v[3:4], v[3:4], v[141:142]
	v_add_f64 v[1:2], v[1:2], v[7:8]
	s_and_saveexec_b32 s9, s8
	s_cbranch_execz .LBB127_57
; %bb.46:
	s_clause 0x3
	buffer_load_dword v7, v140, s[0:3], 0 offen offset:40
	buffer_load_dword v8, v140, s[0:3], 0 offen offset:44
	;; [unrolled: 1-line block ×4, first 2 shown]
	ds_read_b128 v[141:144], v5 offset:32
	s_mov_b32 s81, exec_lo
	s_waitcnt vmcnt(2) lgkmcnt(0)
	v_mul_f64 v[145:146], v[143:144], v[7:8]
	v_mul_f64 v[7:8], v[141:142], v[7:8]
	s_waitcnt vmcnt(0)
	v_fma_f64 v[141:142], v[141:142], v[137:138], -v[145:146]
	v_fma_f64 v[7:8], v[143:144], v[137:138], v[7:8]
	v_add_f64 v[3:4], v[3:4], v[141:142]
	v_add_f64 v[1:2], v[1:2], v[7:8]
	v_cmpx_ne_u32_e32 5, v0
	s_cbranch_execz .LBB127_56
; %bb.47:
	s_clause 0x3
	buffer_load_dword v7, v140, s[0:3], 0 offen offset:56
	buffer_load_dword v8, v140, s[0:3], 0 offen offset:60
	;; [unrolled: 1-line block ×4, first 2 shown]
	ds_read_b128 v[141:144], v5 offset:48
	s_waitcnt vmcnt(2) lgkmcnt(0)
	v_mul_f64 v[145:146], v[143:144], v[7:8]
	v_mul_f64 v[7:8], v[141:142], v[7:8]
	s_waitcnt vmcnt(0)
	v_fma_f64 v[141:142], v[141:142], v[137:138], -v[145:146]
	v_fma_f64 v[7:8], v[143:144], v[137:138], v[7:8]
	v_add_f64 v[3:4], v[3:4], v[141:142]
	v_add_f64 v[1:2], v[1:2], v[7:8]
	s_and_saveexec_b32 s8, s5
	s_cbranch_execz .LBB127_55
; %bb.48:
	s_clause 0x3
	buffer_load_dword v7, v140, s[0:3], 0 offen offset:72
	buffer_load_dword v8, v140, s[0:3], 0 offen offset:76
	;; [unrolled: 1-line block ×4, first 2 shown]
	ds_read_b128 v[141:144], v5 offset:64
	s_mov_b32 s82, exec_lo
	s_waitcnt vmcnt(2) lgkmcnt(0)
	v_mul_f64 v[145:146], v[143:144], v[7:8]
	v_mul_f64 v[7:8], v[141:142], v[7:8]
	s_waitcnt vmcnt(0)
	v_fma_f64 v[141:142], v[141:142], v[137:138], -v[145:146]
	v_fma_f64 v[7:8], v[143:144], v[137:138], v[7:8]
	v_add_f64 v[3:4], v[3:4], v[141:142]
	v_add_f64 v[1:2], v[1:2], v[7:8]
	v_cmpx_ne_u32_e32 3, v0
	s_cbranch_execz .LBB127_54
; %bb.49:
	s_clause 0x3
	buffer_load_dword v7, v140, s[0:3], 0 offen offset:88
	buffer_load_dword v8, v140, s[0:3], 0 offen offset:92
	;; [unrolled: 1-line block ×4, first 2 shown]
	ds_read_b128 v[141:144], v5 offset:80
	s_waitcnt vmcnt(2) lgkmcnt(0)
	v_mul_f64 v[145:146], v[143:144], v[7:8]
	v_mul_f64 v[7:8], v[141:142], v[7:8]
	s_waitcnt vmcnt(0)
	v_fma_f64 v[141:142], v[141:142], v[137:138], -v[145:146]
	v_fma_f64 v[7:8], v[143:144], v[137:138], v[7:8]
	v_add_f64 v[3:4], v[3:4], v[141:142]
	v_add_f64 v[1:2], v[1:2], v[7:8]
	s_and_saveexec_b32 s5, vcc_lo
	s_cbranch_execz .LBB127_53
; %bb.50:
	s_clause 0x3
	buffer_load_dword v7, v140, s[0:3], 0 offen offset:104
	buffer_load_dword v8, v140, s[0:3], 0 offen offset:108
	;; [unrolled: 1-line block ×4, first 2 shown]
	ds_read_b128 v[141:144], v5 offset:96
	s_waitcnt vmcnt(2) lgkmcnt(0)
	v_mul_f64 v[145:146], v[143:144], v[7:8]
	v_mul_f64 v[7:8], v[141:142], v[7:8]
	s_waitcnt vmcnt(0)
	v_fma_f64 v[141:142], v[141:142], v[137:138], -v[145:146]
	v_fma_f64 v[7:8], v[143:144], v[137:138], v[7:8]
	v_add_f64 v[3:4], v[3:4], v[141:142]
	v_add_f64 v[1:2], v[1:2], v[7:8]
	s_and_saveexec_b32 s83, s4
	s_cbranch_execz .LBB127_52
; %bb.51:
	s_clause 0x3
	buffer_load_dword v7, v140, s[0:3], 0 offen offset:120
	buffer_load_dword v8, v140, s[0:3], 0 offen offset:124
	buffer_load_dword v137, v140, s[0:3], 0 offen offset:112
	buffer_load_dword v138, v140, s[0:3], 0 offen offset:116
	ds_read_b128 v[140:143], v5 offset:112
	s_waitcnt vmcnt(2) lgkmcnt(0)
	v_mul_f64 v[144:145], v[142:143], v[7:8]
	v_mul_f64 v[7:8], v[140:141], v[7:8]
	s_waitcnt vmcnt(0)
	v_fma_f64 v[140:141], v[140:141], v[137:138], -v[144:145]
	v_fma_f64 v[7:8], v[142:143], v[137:138], v[7:8]
	v_add_f64 v[3:4], v[3:4], v[140:141]
	v_add_f64 v[1:2], v[1:2], v[7:8]
.LBB127_52:
	s_or_b32 exec_lo, exec_lo, s83
.LBB127_53:
	s_or_b32 exec_lo, exec_lo, s5
.LBB127_54:
	s_or_b32 exec_lo, exec_lo, s82
.LBB127_55:
	s_or_b32 exec_lo, exec_lo, s8
.LBB127_56:
	s_or_b32 exec_lo, exec_lo, s81
.LBB127_57:
	s_or_b32 exec_lo, exec_lo, s9
.LBB127_58:
	s_or_b32 exec_lo, exec_lo, s80
	v_mov_b32_e32 v7, 0
	ds_read_b128 v[140:143], v7 offset:128
	s_waitcnt lgkmcnt(0)
	v_mul_f64 v[7:8], v[1:2], v[142:143]
	v_mul_f64 v[137:138], v[3:4], v[142:143]
	v_fma_f64 v[3:4], v[3:4], v[140:141], -v[7:8]
	v_fma_f64 v[1:2], v[1:2], v[140:141], v[137:138]
	buffer_store_dword v4, off, s[0:3], 0 offset:148
	buffer_store_dword v3, off, s[0:3], 0 offset:144
	buffer_store_dword v2, off, s[0:3], 0 offset:156
	buffer_store_dword v1, off, s[0:3], 0 offset:152
.LBB127_59:
	s_or_b32 exec_lo, exec_lo, s79
	v_mov_b32_e32 v4, s69
	s_waitcnt_vscnt null, 0x0
	s_barrier
	buffer_gl0_inv
	s_mov_b32 s4, exec_lo
	s_clause 0x3
	buffer_load_dword v1, v4, s[0:3], 0 offen
	buffer_load_dword v2, v4, s[0:3], 0 offen offset:4
	buffer_load_dword v3, v4, s[0:3], 0 offen offset:8
	;; [unrolled: 1-line block ×3, first 2 shown]
	s_waitcnt vmcnt(0)
	ds_write_b128 v5, v[1:4]
	s_waitcnt lgkmcnt(0)
	s_barrier
	buffer_gl0_inv
	v_cmpx_gt_u32_e32 9, v0
	s_cbranch_execz .LBB127_63
; %bb.60:
	v_mov_b32_e32 v1, 0
	v_mov_b32_e32 v3, 0
	v_add_nc_u32_e32 v7, -1, v0
	v_or_b32_e32 v8, 0x400, v139
	v_mov_b32_e32 v2, 0
	v_mov_b32_e32 v4, 0
	v_add_nc_u32_e32 v137, 16, v139
	s_mov_b32 s5, 0
	.p2align	6
.LBB127_61:                             ; =>This Inner Loop Header: Depth=1
	s_clause 0x3
	buffer_load_dword v144, v137, s[0:3], 0 offen offset:8
	buffer_load_dword v145, v137, s[0:3], 0 offen offset:12
	buffer_load_dword v146, v137, s[0:3], 0 offen
	buffer_load_dword v147, v137, s[0:3], 0 offen offset:4
	ds_read_b128 v[140:143], v8
	v_add_nc_u32_e32 v7, 1, v7
	v_add_nc_u32_e32 v8, 16, v8
	;; [unrolled: 1-line block ×3, first 2 shown]
	v_cmp_lt_u32_e32 vcc_lo, 7, v7
	s_or_b32 s5, vcc_lo, s5
	s_waitcnt vmcnt(2) lgkmcnt(0)
	v_mul_f64 v[148:149], v[142:143], v[144:145]
	v_mul_f64 v[144:145], v[140:141], v[144:145]
	s_waitcnt vmcnt(0)
	v_fma_f64 v[140:141], v[140:141], v[146:147], -v[148:149]
	v_fma_f64 v[142:143], v[142:143], v[146:147], v[144:145]
	v_add_f64 v[3:4], v[3:4], v[140:141]
	v_add_f64 v[1:2], v[1:2], v[142:143]
	s_andn2_b32 exec_lo, exec_lo, s5
	s_cbranch_execnz .LBB127_61
; %bb.62:
	s_or_b32 exec_lo, exec_lo, s5
	v_mov_b32_e32 v7, 0
	ds_read_b128 v[140:143], v7 offset:144
	s_waitcnt lgkmcnt(0)
	v_mul_f64 v[7:8], v[1:2], v[142:143]
	v_mul_f64 v[137:138], v[3:4], v[142:143]
	v_fma_f64 v[3:4], v[3:4], v[140:141], -v[7:8]
	v_fma_f64 v[1:2], v[1:2], v[140:141], v[137:138]
	buffer_store_dword v4, off, s[0:3], 0 offset:164
	buffer_store_dword v3, off, s[0:3], 0 offset:160
	;; [unrolled: 1-line block ×4, first 2 shown]
.LBB127_63:
	s_or_b32 exec_lo, exec_lo, s4
	v_mov_b32_e32 v4, s68
	s_waitcnt_vscnt null, 0x0
	s_barrier
	buffer_gl0_inv
	s_mov_b32 s4, exec_lo
	s_clause 0x3
	buffer_load_dword v1, v4, s[0:3], 0 offen
	buffer_load_dword v2, v4, s[0:3], 0 offen offset:4
	buffer_load_dword v3, v4, s[0:3], 0 offen offset:8
	;; [unrolled: 1-line block ×3, first 2 shown]
	s_waitcnt vmcnt(0)
	ds_write_b128 v5, v[1:4]
	s_waitcnt lgkmcnt(0)
	s_barrier
	buffer_gl0_inv
	v_cmpx_gt_u32_e32 10, v0
	s_cbranch_execz .LBB127_67
; %bb.64:
	v_mov_b32_e32 v1, 0
	v_mov_b32_e32 v3, 0
	v_add_nc_u32_e32 v7, -1, v0
	v_or_b32_e32 v8, 0x400, v139
	v_mov_b32_e32 v2, 0
	v_mov_b32_e32 v4, 0
	v_add_nc_u32_e32 v137, 16, v139
	s_mov_b32 s5, 0
	.p2align	6
.LBB127_65:                             ; =>This Inner Loop Header: Depth=1
	s_clause 0x3
	buffer_load_dword v144, v137, s[0:3], 0 offen offset:8
	buffer_load_dword v145, v137, s[0:3], 0 offen offset:12
	buffer_load_dword v146, v137, s[0:3], 0 offen
	buffer_load_dword v147, v137, s[0:3], 0 offen offset:4
	ds_read_b128 v[140:143], v8
	v_add_nc_u32_e32 v7, 1, v7
	v_add_nc_u32_e32 v8, 16, v8
	;; [unrolled: 1-line block ×3, first 2 shown]
	v_cmp_lt_u32_e32 vcc_lo, 8, v7
	s_or_b32 s5, vcc_lo, s5
	s_waitcnt vmcnt(2) lgkmcnt(0)
	v_mul_f64 v[148:149], v[142:143], v[144:145]
	v_mul_f64 v[144:145], v[140:141], v[144:145]
	s_waitcnt vmcnt(0)
	v_fma_f64 v[140:141], v[140:141], v[146:147], -v[148:149]
	v_fma_f64 v[142:143], v[142:143], v[146:147], v[144:145]
	v_add_f64 v[3:4], v[3:4], v[140:141]
	v_add_f64 v[1:2], v[1:2], v[142:143]
	s_andn2_b32 exec_lo, exec_lo, s5
	s_cbranch_execnz .LBB127_65
; %bb.66:
	s_or_b32 exec_lo, exec_lo, s5
	v_mov_b32_e32 v7, 0
	ds_read_b128 v[140:143], v7 offset:160
	s_waitcnt lgkmcnt(0)
	v_mul_f64 v[7:8], v[1:2], v[142:143]
	v_mul_f64 v[137:138], v[3:4], v[142:143]
	v_fma_f64 v[3:4], v[3:4], v[140:141], -v[7:8]
	v_fma_f64 v[1:2], v[1:2], v[140:141], v[137:138]
	buffer_store_dword v4, off, s[0:3], 0 offset:180
	buffer_store_dword v3, off, s[0:3], 0 offset:176
	;; [unrolled: 1-line block ×4, first 2 shown]
.LBB127_67:
	s_or_b32 exec_lo, exec_lo, s4
	v_mov_b32_e32 v4, s67
	s_waitcnt_vscnt null, 0x0
	s_barrier
	buffer_gl0_inv
	s_mov_b32 s4, exec_lo
	s_clause 0x3
	buffer_load_dword v1, v4, s[0:3], 0 offen
	buffer_load_dword v2, v4, s[0:3], 0 offen offset:4
	buffer_load_dword v3, v4, s[0:3], 0 offen offset:8
	;; [unrolled: 1-line block ×3, first 2 shown]
	s_waitcnt vmcnt(0)
	ds_write_b128 v5, v[1:4]
	s_waitcnt lgkmcnt(0)
	s_barrier
	buffer_gl0_inv
	v_cmpx_gt_u32_e32 11, v0
	s_cbranch_execz .LBB127_71
; %bb.68:
	v_mov_b32_e32 v1, 0
	v_mov_b32_e32 v3, 0
	v_add_nc_u32_e32 v7, -1, v0
	v_or_b32_e32 v8, 0x400, v139
	v_mov_b32_e32 v2, 0
	v_mov_b32_e32 v4, 0
	v_add_nc_u32_e32 v137, 16, v139
	s_mov_b32 s5, 0
	.p2align	6
.LBB127_69:                             ; =>This Inner Loop Header: Depth=1
	s_clause 0x3
	buffer_load_dword v144, v137, s[0:3], 0 offen offset:8
	buffer_load_dword v145, v137, s[0:3], 0 offen offset:12
	buffer_load_dword v146, v137, s[0:3], 0 offen
	buffer_load_dword v147, v137, s[0:3], 0 offen offset:4
	ds_read_b128 v[140:143], v8
	v_add_nc_u32_e32 v7, 1, v7
	v_add_nc_u32_e32 v8, 16, v8
	;; [unrolled: 1-line block ×3, first 2 shown]
	v_cmp_lt_u32_e32 vcc_lo, 9, v7
	s_or_b32 s5, vcc_lo, s5
	s_waitcnt vmcnt(2) lgkmcnt(0)
	v_mul_f64 v[148:149], v[142:143], v[144:145]
	v_mul_f64 v[144:145], v[140:141], v[144:145]
	s_waitcnt vmcnt(0)
	v_fma_f64 v[140:141], v[140:141], v[146:147], -v[148:149]
	v_fma_f64 v[142:143], v[142:143], v[146:147], v[144:145]
	v_add_f64 v[3:4], v[3:4], v[140:141]
	v_add_f64 v[1:2], v[1:2], v[142:143]
	s_andn2_b32 exec_lo, exec_lo, s5
	s_cbranch_execnz .LBB127_69
; %bb.70:
	s_or_b32 exec_lo, exec_lo, s5
	v_mov_b32_e32 v7, 0
	ds_read_b128 v[140:143], v7 offset:176
	s_waitcnt lgkmcnt(0)
	v_mul_f64 v[7:8], v[1:2], v[142:143]
	v_mul_f64 v[137:138], v[3:4], v[142:143]
	v_fma_f64 v[3:4], v[3:4], v[140:141], -v[7:8]
	v_fma_f64 v[1:2], v[1:2], v[140:141], v[137:138]
	buffer_store_dword v4, off, s[0:3], 0 offset:196
	buffer_store_dword v3, off, s[0:3], 0 offset:192
	;; [unrolled: 1-line block ×4, first 2 shown]
.LBB127_71:
	s_or_b32 exec_lo, exec_lo, s4
	v_mov_b32_e32 v4, s66
	s_waitcnt_vscnt null, 0x0
	s_barrier
	buffer_gl0_inv
	s_mov_b32 s4, exec_lo
	s_clause 0x3
	buffer_load_dword v1, v4, s[0:3], 0 offen
	buffer_load_dword v2, v4, s[0:3], 0 offen offset:4
	buffer_load_dword v3, v4, s[0:3], 0 offen offset:8
	;; [unrolled: 1-line block ×3, first 2 shown]
	s_waitcnt vmcnt(0)
	ds_write_b128 v5, v[1:4]
	s_waitcnt lgkmcnt(0)
	s_barrier
	buffer_gl0_inv
	v_cmpx_gt_u32_e32 12, v0
	s_cbranch_execz .LBB127_75
; %bb.72:
	v_mov_b32_e32 v1, 0
	v_mov_b32_e32 v3, 0
	v_add_nc_u32_e32 v7, -1, v0
	v_or_b32_e32 v8, 0x400, v139
	v_mov_b32_e32 v2, 0
	v_mov_b32_e32 v4, 0
	v_add_nc_u32_e32 v137, 16, v139
	s_mov_b32 s5, 0
	.p2align	6
.LBB127_73:                             ; =>This Inner Loop Header: Depth=1
	s_clause 0x3
	buffer_load_dword v144, v137, s[0:3], 0 offen offset:8
	buffer_load_dword v145, v137, s[0:3], 0 offen offset:12
	buffer_load_dword v146, v137, s[0:3], 0 offen
	buffer_load_dword v147, v137, s[0:3], 0 offen offset:4
	ds_read_b128 v[140:143], v8
	v_add_nc_u32_e32 v7, 1, v7
	v_add_nc_u32_e32 v8, 16, v8
	;; [unrolled: 1-line block ×3, first 2 shown]
	v_cmp_lt_u32_e32 vcc_lo, 10, v7
	s_or_b32 s5, vcc_lo, s5
	s_waitcnt vmcnt(2) lgkmcnt(0)
	v_mul_f64 v[148:149], v[142:143], v[144:145]
	v_mul_f64 v[144:145], v[140:141], v[144:145]
	s_waitcnt vmcnt(0)
	v_fma_f64 v[140:141], v[140:141], v[146:147], -v[148:149]
	v_fma_f64 v[142:143], v[142:143], v[146:147], v[144:145]
	v_add_f64 v[3:4], v[3:4], v[140:141]
	v_add_f64 v[1:2], v[1:2], v[142:143]
	s_andn2_b32 exec_lo, exec_lo, s5
	s_cbranch_execnz .LBB127_73
; %bb.74:
	s_or_b32 exec_lo, exec_lo, s5
	v_mov_b32_e32 v7, 0
	ds_read_b128 v[140:143], v7 offset:192
	s_waitcnt lgkmcnt(0)
	v_mul_f64 v[7:8], v[1:2], v[142:143]
	v_mul_f64 v[137:138], v[3:4], v[142:143]
	v_fma_f64 v[3:4], v[3:4], v[140:141], -v[7:8]
	v_fma_f64 v[1:2], v[1:2], v[140:141], v[137:138]
	buffer_store_dword v4, off, s[0:3], 0 offset:212
	buffer_store_dword v3, off, s[0:3], 0 offset:208
	;; [unrolled: 1-line block ×4, first 2 shown]
.LBB127_75:
	s_or_b32 exec_lo, exec_lo, s4
	v_mov_b32_e32 v4, s65
	s_waitcnt_vscnt null, 0x0
	s_barrier
	buffer_gl0_inv
	s_mov_b32 s4, exec_lo
	s_clause 0x3
	buffer_load_dword v1, v4, s[0:3], 0 offen
	buffer_load_dword v2, v4, s[0:3], 0 offen offset:4
	buffer_load_dword v3, v4, s[0:3], 0 offen offset:8
	;; [unrolled: 1-line block ×3, first 2 shown]
	s_waitcnt vmcnt(0)
	ds_write_b128 v5, v[1:4]
	s_waitcnt lgkmcnt(0)
	s_barrier
	buffer_gl0_inv
	v_cmpx_gt_u32_e32 13, v0
	s_cbranch_execz .LBB127_79
; %bb.76:
	v_mov_b32_e32 v1, 0
	v_mov_b32_e32 v3, 0
	v_add_nc_u32_e32 v7, -1, v0
	v_or_b32_e32 v8, 0x400, v139
	v_mov_b32_e32 v2, 0
	v_mov_b32_e32 v4, 0
	v_add_nc_u32_e32 v137, 16, v139
	s_mov_b32 s5, 0
	.p2align	6
.LBB127_77:                             ; =>This Inner Loop Header: Depth=1
	s_clause 0x3
	buffer_load_dword v144, v137, s[0:3], 0 offen offset:8
	buffer_load_dword v145, v137, s[0:3], 0 offen offset:12
	buffer_load_dword v146, v137, s[0:3], 0 offen
	buffer_load_dword v147, v137, s[0:3], 0 offen offset:4
	ds_read_b128 v[140:143], v8
	v_add_nc_u32_e32 v7, 1, v7
	v_add_nc_u32_e32 v8, 16, v8
	;; [unrolled: 1-line block ×3, first 2 shown]
	v_cmp_lt_u32_e32 vcc_lo, 11, v7
	s_or_b32 s5, vcc_lo, s5
	s_waitcnt vmcnt(2) lgkmcnt(0)
	v_mul_f64 v[148:149], v[142:143], v[144:145]
	v_mul_f64 v[144:145], v[140:141], v[144:145]
	s_waitcnt vmcnt(0)
	v_fma_f64 v[140:141], v[140:141], v[146:147], -v[148:149]
	v_fma_f64 v[142:143], v[142:143], v[146:147], v[144:145]
	v_add_f64 v[3:4], v[3:4], v[140:141]
	v_add_f64 v[1:2], v[1:2], v[142:143]
	s_andn2_b32 exec_lo, exec_lo, s5
	s_cbranch_execnz .LBB127_77
; %bb.78:
	s_or_b32 exec_lo, exec_lo, s5
	v_mov_b32_e32 v7, 0
	ds_read_b128 v[140:143], v7 offset:208
	s_waitcnt lgkmcnt(0)
	v_mul_f64 v[7:8], v[1:2], v[142:143]
	v_mul_f64 v[137:138], v[3:4], v[142:143]
	v_fma_f64 v[3:4], v[3:4], v[140:141], -v[7:8]
	v_fma_f64 v[1:2], v[1:2], v[140:141], v[137:138]
	buffer_store_dword v4, off, s[0:3], 0 offset:228
	buffer_store_dword v3, off, s[0:3], 0 offset:224
	buffer_store_dword v2, off, s[0:3], 0 offset:236
	buffer_store_dword v1, off, s[0:3], 0 offset:232
.LBB127_79:
	s_or_b32 exec_lo, exec_lo, s4
	v_mov_b32_e32 v4, s64
	s_waitcnt_vscnt null, 0x0
	s_barrier
	buffer_gl0_inv
	s_mov_b32 s4, exec_lo
	s_clause 0x3
	buffer_load_dword v1, v4, s[0:3], 0 offen
	buffer_load_dword v2, v4, s[0:3], 0 offen offset:4
	buffer_load_dword v3, v4, s[0:3], 0 offen offset:8
	;; [unrolled: 1-line block ×3, first 2 shown]
	s_waitcnt vmcnt(0)
	ds_write_b128 v5, v[1:4]
	s_waitcnt lgkmcnt(0)
	s_barrier
	buffer_gl0_inv
	v_cmpx_gt_u32_e32 14, v0
	s_cbranch_execz .LBB127_83
; %bb.80:
	v_mov_b32_e32 v1, 0
	v_mov_b32_e32 v3, 0
	v_add_nc_u32_e32 v7, -1, v0
	v_or_b32_e32 v8, 0x400, v139
	v_mov_b32_e32 v2, 0
	v_mov_b32_e32 v4, 0
	v_add_nc_u32_e32 v137, 16, v139
	s_mov_b32 s5, 0
	.p2align	6
.LBB127_81:                             ; =>This Inner Loop Header: Depth=1
	s_clause 0x3
	buffer_load_dword v144, v137, s[0:3], 0 offen offset:8
	buffer_load_dword v145, v137, s[0:3], 0 offen offset:12
	buffer_load_dword v146, v137, s[0:3], 0 offen
	buffer_load_dword v147, v137, s[0:3], 0 offen offset:4
	ds_read_b128 v[140:143], v8
	v_add_nc_u32_e32 v7, 1, v7
	v_add_nc_u32_e32 v8, 16, v8
	;; [unrolled: 1-line block ×3, first 2 shown]
	v_cmp_lt_u32_e32 vcc_lo, 12, v7
	s_or_b32 s5, vcc_lo, s5
	s_waitcnt vmcnt(2) lgkmcnt(0)
	v_mul_f64 v[148:149], v[142:143], v[144:145]
	v_mul_f64 v[144:145], v[140:141], v[144:145]
	s_waitcnt vmcnt(0)
	v_fma_f64 v[140:141], v[140:141], v[146:147], -v[148:149]
	v_fma_f64 v[142:143], v[142:143], v[146:147], v[144:145]
	v_add_f64 v[3:4], v[3:4], v[140:141]
	v_add_f64 v[1:2], v[1:2], v[142:143]
	s_andn2_b32 exec_lo, exec_lo, s5
	s_cbranch_execnz .LBB127_81
; %bb.82:
	s_or_b32 exec_lo, exec_lo, s5
	v_mov_b32_e32 v7, 0
	ds_read_b128 v[140:143], v7 offset:224
	s_waitcnt lgkmcnt(0)
	v_mul_f64 v[7:8], v[1:2], v[142:143]
	v_mul_f64 v[137:138], v[3:4], v[142:143]
	v_fma_f64 v[3:4], v[3:4], v[140:141], -v[7:8]
	v_fma_f64 v[1:2], v[1:2], v[140:141], v[137:138]
	buffer_store_dword v4, off, s[0:3], 0 offset:244
	buffer_store_dword v3, off, s[0:3], 0 offset:240
	;; [unrolled: 1-line block ×4, first 2 shown]
.LBB127_83:
	s_or_b32 exec_lo, exec_lo, s4
	v_mov_b32_e32 v4, s63
	s_waitcnt_vscnt null, 0x0
	s_barrier
	buffer_gl0_inv
	s_mov_b32 s4, exec_lo
	s_clause 0x3
	buffer_load_dword v1, v4, s[0:3], 0 offen
	buffer_load_dword v2, v4, s[0:3], 0 offen offset:4
	buffer_load_dword v3, v4, s[0:3], 0 offen offset:8
	;; [unrolled: 1-line block ×3, first 2 shown]
	s_waitcnt vmcnt(0)
	ds_write_b128 v5, v[1:4]
	s_waitcnt lgkmcnt(0)
	s_barrier
	buffer_gl0_inv
	v_cmpx_gt_u32_e32 15, v0
	s_cbranch_execz .LBB127_87
; %bb.84:
	v_mov_b32_e32 v1, 0
	v_mov_b32_e32 v3, 0
	v_add_nc_u32_e32 v7, -1, v0
	v_or_b32_e32 v8, 0x400, v139
	v_mov_b32_e32 v2, 0
	v_mov_b32_e32 v4, 0
	v_add_nc_u32_e32 v137, 16, v139
	s_mov_b32 s5, 0
	.p2align	6
.LBB127_85:                             ; =>This Inner Loop Header: Depth=1
	s_clause 0x3
	buffer_load_dword v144, v137, s[0:3], 0 offen offset:8
	buffer_load_dword v145, v137, s[0:3], 0 offen offset:12
	buffer_load_dword v146, v137, s[0:3], 0 offen
	buffer_load_dword v147, v137, s[0:3], 0 offen offset:4
	ds_read_b128 v[140:143], v8
	v_add_nc_u32_e32 v7, 1, v7
	v_add_nc_u32_e32 v8, 16, v8
	;; [unrolled: 1-line block ×3, first 2 shown]
	v_cmp_lt_u32_e32 vcc_lo, 13, v7
	s_or_b32 s5, vcc_lo, s5
	s_waitcnt vmcnt(2) lgkmcnt(0)
	v_mul_f64 v[148:149], v[142:143], v[144:145]
	v_mul_f64 v[144:145], v[140:141], v[144:145]
	s_waitcnt vmcnt(0)
	v_fma_f64 v[140:141], v[140:141], v[146:147], -v[148:149]
	v_fma_f64 v[142:143], v[142:143], v[146:147], v[144:145]
	v_add_f64 v[3:4], v[3:4], v[140:141]
	v_add_f64 v[1:2], v[1:2], v[142:143]
	s_andn2_b32 exec_lo, exec_lo, s5
	s_cbranch_execnz .LBB127_85
; %bb.86:
	s_or_b32 exec_lo, exec_lo, s5
	v_mov_b32_e32 v7, 0
	ds_read_b128 v[140:143], v7 offset:240
	s_waitcnt lgkmcnt(0)
	v_mul_f64 v[7:8], v[1:2], v[142:143]
	v_mul_f64 v[137:138], v[3:4], v[142:143]
	v_fma_f64 v[3:4], v[3:4], v[140:141], -v[7:8]
	v_fma_f64 v[1:2], v[1:2], v[140:141], v[137:138]
	buffer_store_dword v4, off, s[0:3], 0 offset:260
	buffer_store_dword v3, off, s[0:3], 0 offset:256
	;; [unrolled: 1-line block ×4, first 2 shown]
.LBB127_87:
	s_or_b32 exec_lo, exec_lo, s4
	v_mov_b32_e32 v4, s62
	s_waitcnt_vscnt null, 0x0
	s_barrier
	buffer_gl0_inv
	s_mov_b32 s4, exec_lo
	s_clause 0x3
	buffer_load_dword v1, v4, s[0:3], 0 offen
	buffer_load_dword v2, v4, s[0:3], 0 offen offset:4
	buffer_load_dword v3, v4, s[0:3], 0 offen offset:8
	buffer_load_dword v4, v4, s[0:3], 0 offen offset:12
	s_waitcnt vmcnt(0)
	ds_write_b128 v5, v[1:4]
	s_waitcnt lgkmcnt(0)
	s_barrier
	buffer_gl0_inv
	v_cmpx_gt_u32_e32 16, v0
	s_cbranch_execz .LBB127_91
; %bb.88:
	v_mov_b32_e32 v1, 0
	v_mov_b32_e32 v3, 0
	v_add_nc_u32_e32 v7, -1, v0
	v_or_b32_e32 v8, 0x400, v139
	v_mov_b32_e32 v2, 0
	v_mov_b32_e32 v4, 0
	v_add_nc_u32_e32 v137, 16, v139
	s_mov_b32 s5, 0
	.p2align	6
.LBB127_89:                             ; =>This Inner Loop Header: Depth=1
	s_clause 0x3
	buffer_load_dword v144, v137, s[0:3], 0 offen offset:8
	buffer_load_dword v145, v137, s[0:3], 0 offen offset:12
	buffer_load_dword v146, v137, s[0:3], 0 offen
	buffer_load_dword v147, v137, s[0:3], 0 offen offset:4
	ds_read_b128 v[140:143], v8
	v_add_nc_u32_e32 v7, 1, v7
	v_add_nc_u32_e32 v8, 16, v8
	;; [unrolled: 1-line block ×3, first 2 shown]
	v_cmp_lt_u32_e32 vcc_lo, 14, v7
	s_or_b32 s5, vcc_lo, s5
	s_waitcnt vmcnt(2) lgkmcnt(0)
	v_mul_f64 v[148:149], v[142:143], v[144:145]
	v_mul_f64 v[144:145], v[140:141], v[144:145]
	s_waitcnt vmcnt(0)
	v_fma_f64 v[140:141], v[140:141], v[146:147], -v[148:149]
	v_fma_f64 v[142:143], v[142:143], v[146:147], v[144:145]
	v_add_f64 v[3:4], v[3:4], v[140:141]
	v_add_f64 v[1:2], v[1:2], v[142:143]
	s_andn2_b32 exec_lo, exec_lo, s5
	s_cbranch_execnz .LBB127_89
; %bb.90:
	s_or_b32 exec_lo, exec_lo, s5
	v_mov_b32_e32 v7, 0
	ds_read_b128 v[140:143], v7 offset:256
	s_waitcnt lgkmcnt(0)
	v_mul_f64 v[7:8], v[1:2], v[142:143]
	v_mul_f64 v[137:138], v[3:4], v[142:143]
	v_fma_f64 v[3:4], v[3:4], v[140:141], -v[7:8]
	v_fma_f64 v[1:2], v[1:2], v[140:141], v[137:138]
	buffer_store_dword v4, off, s[0:3], 0 offset:276
	buffer_store_dword v3, off, s[0:3], 0 offset:272
	;; [unrolled: 1-line block ×4, first 2 shown]
.LBB127_91:
	s_or_b32 exec_lo, exec_lo, s4
	v_mov_b32_e32 v4, s61
	s_waitcnt_vscnt null, 0x0
	s_barrier
	buffer_gl0_inv
	s_mov_b32 s4, exec_lo
	s_clause 0x3
	buffer_load_dword v1, v4, s[0:3], 0 offen
	buffer_load_dword v2, v4, s[0:3], 0 offen offset:4
	buffer_load_dword v3, v4, s[0:3], 0 offen offset:8
	;; [unrolled: 1-line block ×3, first 2 shown]
	s_waitcnt vmcnt(0)
	ds_write_b128 v5, v[1:4]
	s_waitcnt lgkmcnt(0)
	s_barrier
	buffer_gl0_inv
	v_cmpx_gt_u32_e32 17, v0
	s_cbranch_execz .LBB127_95
; %bb.92:
	v_mov_b32_e32 v1, 0
	v_mov_b32_e32 v3, 0
	v_add_nc_u32_e32 v7, -1, v0
	v_or_b32_e32 v8, 0x400, v139
	v_mov_b32_e32 v2, 0
	v_mov_b32_e32 v4, 0
	v_add_nc_u32_e32 v137, 16, v139
	s_mov_b32 s5, 0
	.p2align	6
.LBB127_93:                             ; =>This Inner Loop Header: Depth=1
	s_clause 0x3
	buffer_load_dword v144, v137, s[0:3], 0 offen offset:8
	buffer_load_dword v145, v137, s[0:3], 0 offen offset:12
	buffer_load_dword v146, v137, s[0:3], 0 offen
	buffer_load_dword v147, v137, s[0:3], 0 offen offset:4
	ds_read_b128 v[140:143], v8
	v_add_nc_u32_e32 v7, 1, v7
	v_add_nc_u32_e32 v8, 16, v8
	;; [unrolled: 1-line block ×3, first 2 shown]
	v_cmp_lt_u32_e32 vcc_lo, 15, v7
	s_or_b32 s5, vcc_lo, s5
	s_waitcnt vmcnt(2) lgkmcnt(0)
	v_mul_f64 v[148:149], v[142:143], v[144:145]
	v_mul_f64 v[144:145], v[140:141], v[144:145]
	s_waitcnt vmcnt(0)
	v_fma_f64 v[140:141], v[140:141], v[146:147], -v[148:149]
	v_fma_f64 v[142:143], v[142:143], v[146:147], v[144:145]
	v_add_f64 v[3:4], v[3:4], v[140:141]
	v_add_f64 v[1:2], v[1:2], v[142:143]
	s_andn2_b32 exec_lo, exec_lo, s5
	s_cbranch_execnz .LBB127_93
; %bb.94:
	s_or_b32 exec_lo, exec_lo, s5
	v_mov_b32_e32 v7, 0
	ds_read_b128 v[140:143], v7 offset:272
	s_waitcnt lgkmcnt(0)
	v_mul_f64 v[7:8], v[1:2], v[142:143]
	v_mul_f64 v[137:138], v[3:4], v[142:143]
	v_fma_f64 v[3:4], v[3:4], v[140:141], -v[7:8]
	v_fma_f64 v[1:2], v[1:2], v[140:141], v[137:138]
	buffer_store_dword v4, off, s[0:3], 0 offset:292
	buffer_store_dword v3, off, s[0:3], 0 offset:288
	;; [unrolled: 1-line block ×4, first 2 shown]
.LBB127_95:
	s_or_b32 exec_lo, exec_lo, s4
	v_mov_b32_e32 v4, s60
	s_waitcnt_vscnt null, 0x0
	s_barrier
	buffer_gl0_inv
	s_mov_b32 s4, exec_lo
	s_clause 0x3
	buffer_load_dword v1, v4, s[0:3], 0 offen
	buffer_load_dword v2, v4, s[0:3], 0 offen offset:4
	buffer_load_dword v3, v4, s[0:3], 0 offen offset:8
	;; [unrolled: 1-line block ×3, first 2 shown]
	s_waitcnt vmcnt(0)
	ds_write_b128 v5, v[1:4]
	s_waitcnt lgkmcnt(0)
	s_barrier
	buffer_gl0_inv
	v_cmpx_gt_u32_e32 18, v0
	s_cbranch_execz .LBB127_99
; %bb.96:
	v_mov_b32_e32 v1, 0
	v_mov_b32_e32 v3, 0
	v_add_nc_u32_e32 v7, -1, v0
	v_or_b32_e32 v8, 0x400, v139
	v_mov_b32_e32 v2, 0
	v_mov_b32_e32 v4, 0
	v_add_nc_u32_e32 v137, 16, v139
	s_mov_b32 s5, 0
	.p2align	6
.LBB127_97:                             ; =>This Inner Loop Header: Depth=1
	s_clause 0x3
	buffer_load_dword v144, v137, s[0:3], 0 offen offset:8
	buffer_load_dword v145, v137, s[0:3], 0 offen offset:12
	buffer_load_dword v146, v137, s[0:3], 0 offen
	buffer_load_dword v147, v137, s[0:3], 0 offen offset:4
	ds_read_b128 v[140:143], v8
	v_add_nc_u32_e32 v7, 1, v7
	v_add_nc_u32_e32 v8, 16, v8
	;; [unrolled: 1-line block ×3, first 2 shown]
	v_cmp_lt_u32_e32 vcc_lo, 16, v7
	s_or_b32 s5, vcc_lo, s5
	s_waitcnt vmcnt(2) lgkmcnt(0)
	v_mul_f64 v[148:149], v[142:143], v[144:145]
	v_mul_f64 v[144:145], v[140:141], v[144:145]
	s_waitcnt vmcnt(0)
	v_fma_f64 v[140:141], v[140:141], v[146:147], -v[148:149]
	v_fma_f64 v[142:143], v[142:143], v[146:147], v[144:145]
	v_add_f64 v[3:4], v[3:4], v[140:141]
	v_add_f64 v[1:2], v[1:2], v[142:143]
	s_andn2_b32 exec_lo, exec_lo, s5
	s_cbranch_execnz .LBB127_97
; %bb.98:
	s_or_b32 exec_lo, exec_lo, s5
	v_mov_b32_e32 v7, 0
	ds_read_b128 v[140:143], v7 offset:288
	s_waitcnt lgkmcnt(0)
	v_mul_f64 v[7:8], v[1:2], v[142:143]
	v_mul_f64 v[137:138], v[3:4], v[142:143]
	v_fma_f64 v[3:4], v[3:4], v[140:141], -v[7:8]
	v_fma_f64 v[1:2], v[1:2], v[140:141], v[137:138]
	buffer_store_dword v4, off, s[0:3], 0 offset:308
	buffer_store_dword v3, off, s[0:3], 0 offset:304
	;; [unrolled: 1-line block ×4, first 2 shown]
.LBB127_99:
	s_or_b32 exec_lo, exec_lo, s4
	v_mov_b32_e32 v4, s59
	s_waitcnt_vscnt null, 0x0
	s_barrier
	buffer_gl0_inv
	s_mov_b32 s4, exec_lo
	s_clause 0x3
	buffer_load_dword v1, v4, s[0:3], 0 offen
	buffer_load_dword v2, v4, s[0:3], 0 offen offset:4
	buffer_load_dword v3, v4, s[0:3], 0 offen offset:8
	buffer_load_dword v4, v4, s[0:3], 0 offen offset:12
	s_waitcnt vmcnt(0)
	ds_write_b128 v5, v[1:4]
	s_waitcnt lgkmcnt(0)
	s_barrier
	buffer_gl0_inv
	v_cmpx_gt_u32_e32 19, v0
	s_cbranch_execz .LBB127_103
; %bb.100:
	v_mov_b32_e32 v1, 0
	v_mov_b32_e32 v3, 0
	v_add_nc_u32_e32 v7, -1, v0
	v_or_b32_e32 v8, 0x400, v139
	v_mov_b32_e32 v2, 0
	v_mov_b32_e32 v4, 0
	v_add_nc_u32_e32 v137, 16, v139
	s_mov_b32 s5, 0
	.p2align	6
.LBB127_101:                            ; =>This Inner Loop Header: Depth=1
	s_clause 0x3
	buffer_load_dword v144, v137, s[0:3], 0 offen offset:8
	buffer_load_dword v145, v137, s[0:3], 0 offen offset:12
	buffer_load_dword v146, v137, s[0:3], 0 offen
	buffer_load_dword v147, v137, s[0:3], 0 offen offset:4
	ds_read_b128 v[140:143], v8
	v_add_nc_u32_e32 v7, 1, v7
	v_add_nc_u32_e32 v8, 16, v8
	;; [unrolled: 1-line block ×3, first 2 shown]
	v_cmp_lt_u32_e32 vcc_lo, 17, v7
	s_or_b32 s5, vcc_lo, s5
	s_waitcnt vmcnt(2) lgkmcnt(0)
	v_mul_f64 v[148:149], v[142:143], v[144:145]
	v_mul_f64 v[144:145], v[140:141], v[144:145]
	s_waitcnt vmcnt(0)
	v_fma_f64 v[140:141], v[140:141], v[146:147], -v[148:149]
	v_fma_f64 v[142:143], v[142:143], v[146:147], v[144:145]
	v_add_f64 v[3:4], v[3:4], v[140:141]
	v_add_f64 v[1:2], v[1:2], v[142:143]
	s_andn2_b32 exec_lo, exec_lo, s5
	s_cbranch_execnz .LBB127_101
; %bb.102:
	s_or_b32 exec_lo, exec_lo, s5
	v_mov_b32_e32 v7, 0
	ds_read_b128 v[140:143], v7 offset:304
	s_waitcnt lgkmcnt(0)
	v_mul_f64 v[7:8], v[1:2], v[142:143]
	v_mul_f64 v[137:138], v[3:4], v[142:143]
	v_fma_f64 v[3:4], v[3:4], v[140:141], -v[7:8]
	v_fma_f64 v[1:2], v[1:2], v[140:141], v[137:138]
	buffer_store_dword v4, off, s[0:3], 0 offset:324
	buffer_store_dword v3, off, s[0:3], 0 offset:320
	;; [unrolled: 1-line block ×4, first 2 shown]
.LBB127_103:
	s_or_b32 exec_lo, exec_lo, s4
	v_mov_b32_e32 v4, s58
	s_waitcnt_vscnt null, 0x0
	s_barrier
	buffer_gl0_inv
	s_mov_b32 s4, exec_lo
	s_clause 0x3
	buffer_load_dword v1, v4, s[0:3], 0 offen
	buffer_load_dword v2, v4, s[0:3], 0 offen offset:4
	buffer_load_dword v3, v4, s[0:3], 0 offen offset:8
	;; [unrolled: 1-line block ×3, first 2 shown]
	s_waitcnt vmcnt(0)
	ds_write_b128 v5, v[1:4]
	s_waitcnt lgkmcnt(0)
	s_barrier
	buffer_gl0_inv
	v_cmpx_gt_u32_e32 20, v0
	s_cbranch_execz .LBB127_107
; %bb.104:
	v_mov_b32_e32 v1, 0
	v_mov_b32_e32 v3, 0
	v_add_nc_u32_e32 v7, -1, v0
	v_or_b32_e32 v8, 0x400, v139
	v_mov_b32_e32 v2, 0
	v_mov_b32_e32 v4, 0
	v_add_nc_u32_e32 v137, 16, v139
	s_mov_b32 s5, 0
	.p2align	6
.LBB127_105:                            ; =>This Inner Loop Header: Depth=1
	s_clause 0x3
	buffer_load_dword v144, v137, s[0:3], 0 offen offset:8
	buffer_load_dword v145, v137, s[0:3], 0 offen offset:12
	buffer_load_dword v146, v137, s[0:3], 0 offen
	buffer_load_dword v147, v137, s[0:3], 0 offen offset:4
	ds_read_b128 v[140:143], v8
	v_add_nc_u32_e32 v7, 1, v7
	v_add_nc_u32_e32 v8, 16, v8
	;; [unrolled: 1-line block ×3, first 2 shown]
	v_cmp_lt_u32_e32 vcc_lo, 18, v7
	s_or_b32 s5, vcc_lo, s5
	s_waitcnt vmcnt(2) lgkmcnt(0)
	v_mul_f64 v[148:149], v[142:143], v[144:145]
	v_mul_f64 v[144:145], v[140:141], v[144:145]
	s_waitcnt vmcnt(0)
	v_fma_f64 v[140:141], v[140:141], v[146:147], -v[148:149]
	v_fma_f64 v[142:143], v[142:143], v[146:147], v[144:145]
	v_add_f64 v[3:4], v[3:4], v[140:141]
	v_add_f64 v[1:2], v[1:2], v[142:143]
	s_andn2_b32 exec_lo, exec_lo, s5
	s_cbranch_execnz .LBB127_105
; %bb.106:
	s_or_b32 exec_lo, exec_lo, s5
	v_mov_b32_e32 v7, 0
	ds_read_b128 v[140:143], v7 offset:320
	s_waitcnt lgkmcnt(0)
	v_mul_f64 v[7:8], v[1:2], v[142:143]
	v_mul_f64 v[137:138], v[3:4], v[142:143]
	v_fma_f64 v[3:4], v[3:4], v[140:141], -v[7:8]
	v_fma_f64 v[1:2], v[1:2], v[140:141], v[137:138]
	buffer_store_dword v4, off, s[0:3], 0 offset:340
	buffer_store_dword v3, off, s[0:3], 0 offset:336
	;; [unrolled: 1-line block ×4, first 2 shown]
.LBB127_107:
	s_or_b32 exec_lo, exec_lo, s4
	v_mov_b32_e32 v4, s57
	s_waitcnt_vscnt null, 0x0
	s_barrier
	buffer_gl0_inv
	s_mov_b32 s4, exec_lo
	s_clause 0x3
	buffer_load_dword v1, v4, s[0:3], 0 offen
	buffer_load_dword v2, v4, s[0:3], 0 offen offset:4
	buffer_load_dword v3, v4, s[0:3], 0 offen offset:8
	;; [unrolled: 1-line block ×3, first 2 shown]
	s_waitcnt vmcnt(0)
	ds_write_b128 v5, v[1:4]
	s_waitcnt lgkmcnt(0)
	s_barrier
	buffer_gl0_inv
	v_cmpx_gt_u32_e32 21, v0
	s_cbranch_execz .LBB127_111
; %bb.108:
	v_mov_b32_e32 v1, 0
	v_mov_b32_e32 v3, 0
	v_add_nc_u32_e32 v7, -1, v0
	v_or_b32_e32 v8, 0x400, v139
	v_mov_b32_e32 v2, 0
	v_mov_b32_e32 v4, 0
	v_add_nc_u32_e32 v137, 16, v139
	s_mov_b32 s5, 0
	.p2align	6
.LBB127_109:                            ; =>This Inner Loop Header: Depth=1
	s_clause 0x3
	buffer_load_dword v144, v137, s[0:3], 0 offen offset:8
	buffer_load_dword v145, v137, s[0:3], 0 offen offset:12
	buffer_load_dword v146, v137, s[0:3], 0 offen
	buffer_load_dword v147, v137, s[0:3], 0 offen offset:4
	ds_read_b128 v[140:143], v8
	v_add_nc_u32_e32 v7, 1, v7
	v_add_nc_u32_e32 v8, 16, v8
	v_add_nc_u32_e32 v137, 16, v137
	v_cmp_lt_u32_e32 vcc_lo, 19, v7
	s_or_b32 s5, vcc_lo, s5
	s_waitcnt vmcnt(2) lgkmcnt(0)
	v_mul_f64 v[148:149], v[142:143], v[144:145]
	v_mul_f64 v[144:145], v[140:141], v[144:145]
	s_waitcnt vmcnt(0)
	v_fma_f64 v[140:141], v[140:141], v[146:147], -v[148:149]
	v_fma_f64 v[142:143], v[142:143], v[146:147], v[144:145]
	v_add_f64 v[3:4], v[3:4], v[140:141]
	v_add_f64 v[1:2], v[1:2], v[142:143]
	s_andn2_b32 exec_lo, exec_lo, s5
	s_cbranch_execnz .LBB127_109
; %bb.110:
	s_or_b32 exec_lo, exec_lo, s5
	v_mov_b32_e32 v7, 0
	ds_read_b128 v[140:143], v7 offset:336
	s_waitcnt lgkmcnt(0)
	v_mul_f64 v[7:8], v[1:2], v[142:143]
	v_mul_f64 v[137:138], v[3:4], v[142:143]
	v_fma_f64 v[3:4], v[3:4], v[140:141], -v[7:8]
	v_fma_f64 v[1:2], v[1:2], v[140:141], v[137:138]
	buffer_store_dword v4, off, s[0:3], 0 offset:356
	buffer_store_dword v3, off, s[0:3], 0 offset:352
	buffer_store_dword v2, off, s[0:3], 0 offset:364
	buffer_store_dword v1, off, s[0:3], 0 offset:360
.LBB127_111:
	s_or_b32 exec_lo, exec_lo, s4
	v_mov_b32_e32 v4, s56
	s_waitcnt_vscnt null, 0x0
	s_barrier
	buffer_gl0_inv
	s_mov_b32 s4, exec_lo
	s_clause 0x3
	buffer_load_dword v1, v4, s[0:3], 0 offen
	buffer_load_dword v2, v4, s[0:3], 0 offen offset:4
	buffer_load_dword v3, v4, s[0:3], 0 offen offset:8
	;; [unrolled: 1-line block ×3, first 2 shown]
	s_waitcnt vmcnt(0)
	ds_write_b128 v5, v[1:4]
	s_waitcnt lgkmcnt(0)
	s_barrier
	buffer_gl0_inv
	v_cmpx_gt_u32_e32 22, v0
	s_cbranch_execz .LBB127_115
; %bb.112:
	v_mov_b32_e32 v1, 0
	v_mov_b32_e32 v3, 0
	v_add_nc_u32_e32 v7, -1, v0
	v_or_b32_e32 v8, 0x400, v139
	v_mov_b32_e32 v2, 0
	v_mov_b32_e32 v4, 0
	v_add_nc_u32_e32 v137, 16, v139
	s_mov_b32 s5, 0
	.p2align	6
.LBB127_113:                            ; =>This Inner Loop Header: Depth=1
	s_clause 0x3
	buffer_load_dword v144, v137, s[0:3], 0 offen offset:8
	buffer_load_dword v145, v137, s[0:3], 0 offen offset:12
	buffer_load_dword v146, v137, s[0:3], 0 offen
	buffer_load_dword v147, v137, s[0:3], 0 offen offset:4
	ds_read_b128 v[140:143], v8
	v_add_nc_u32_e32 v7, 1, v7
	v_add_nc_u32_e32 v8, 16, v8
	;; [unrolled: 1-line block ×3, first 2 shown]
	v_cmp_lt_u32_e32 vcc_lo, 20, v7
	s_or_b32 s5, vcc_lo, s5
	s_waitcnt vmcnt(2) lgkmcnt(0)
	v_mul_f64 v[148:149], v[142:143], v[144:145]
	v_mul_f64 v[144:145], v[140:141], v[144:145]
	s_waitcnt vmcnt(0)
	v_fma_f64 v[140:141], v[140:141], v[146:147], -v[148:149]
	v_fma_f64 v[142:143], v[142:143], v[146:147], v[144:145]
	v_add_f64 v[3:4], v[3:4], v[140:141]
	v_add_f64 v[1:2], v[1:2], v[142:143]
	s_andn2_b32 exec_lo, exec_lo, s5
	s_cbranch_execnz .LBB127_113
; %bb.114:
	s_or_b32 exec_lo, exec_lo, s5
	v_mov_b32_e32 v7, 0
	ds_read_b128 v[140:143], v7 offset:352
	s_waitcnt lgkmcnt(0)
	v_mul_f64 v[7:8], v[1:2], v[142:143]
	v_mul_f64 v[137:138], v[3:4], v[142:143]
	v_fma_f64 v[3:4], v[3:4], v[140:141], -v[7:8]
	v_fma_f64 v[1:2], v[1:2], v[140:141], v[137:138]
	buffer_store_dword v4, off, s[0:3], 0 offset:372
	buffer_store_dword v3, off, s[0:3], 0 offset:368
	;; [unrolled: 1-line block ×4, first 2 shown]
.LBB127_115:
	s_or_b32 exec_lo, exec_lo, s4
	v_mov_b32_e32 v4, s55
	s_waitcnt_vscnt null, 0x0
	s_barrier
	buffer_gl0_inv
	s_mov_b32 s4, exec_lo
	s_clause 0x3
	buffer_load_dword v1, v4, s[0:3], 0 offen
	buffer_load_dword v2, v4, s[0:3], 0 offen offset:4
	buffer_load_dword v3, v4, s[0:3], 0 offen offset:8
	;; [unrolled: 1-line block ×3, first 2 shown]
	s_waitcnt vmcnt(0)
	ds_write_b128 v5, v[1:4]
	s_waitcnt lgkmcnt(0)
	s_barrier
	buffer_gl0_inv
	v_cmpx_gt_u32_e32 23, v0
	s_cbranch_execz .LBB127_119
; %bb.116:
	v_mov_b32_e32 v1, 0
	v_mov_b32_e32 v3, 0
	v_add_nc_u32_e32 v7, -1, v0
	v_or_b32_e32 v8, 0x400, v139
	v_mov_b32_e32 v2, 0
	v_mov_b32_e32 v4, 0
	v_add_nc_u32_e32 v137, 16, v139
	s_mov_b32 s5, 0
	.p2align	6
.LBB127_117:                            ; =>This Inner Loop Header: Depth=1
	s_clause 0x3
	buffer_load_dword v144, v137, s[0:3], 0 offen offset:8
	buffer_load_dword v145, v137, s[0:3], 0 offen offset:12
	buffer_load_dword v146, v137, s[0:3], 0 offen
	buffer_load_dword v147, v137, s[0:3], 0 offen offset:4
	ds_read_b128 v[140:143], v8
	v_add_nc_u32_e32 v7, 1, v7
	v_add_nc_u32_e32 v8, 16, v8
	;; [unrolled: 1-line block ×3, first 2 shown]
	v_cmp_lt_u32_e32 vcc_lo, 21, v7
	s_or_b32 s5, vcc_lo, s5
	s_waitcnt vmcnt(2) lgkmcnt(0)
	v_mul_f64 v[148:149], v[142:143], v[144:145]
	v_mul_f64 v[144:145], v[140:141], v[144:145]
	s_waitcnt vmcnt(0)
	v_fma_f64 v[140:141], v[140:141], v[146:147], -v[148:149]
	v_fma_f64 v[142:143], v[142:143], v[146:147], v[144:145]
	v_add_f64 v[3:4], v[3:4], v[140:141]
	v_add_f64 v[1:2], v[1:2], v[142:143]
	s_andn2_b32 exec_lo, exec_lo, s5
	s_cbranch_execnz .LBB127_117
; %bb.118:
	s_or_b32 exec_lo, exec_lo, s5
	v_mov_b32_e32 v7, 0
	ds_read_b128 v[140:143], v7 offset:368
	s_waitcnt lgkmcnt(0)
	v_mul_f64 v[7:8], v[1:2], v[142:143]
	v_mul_f64 v[137:138], v[3:4], v[142:143]
	v_fma_f64 v[3:4], v[3:4], v[140:141], -v[7:8]
	v_fma_f64 v[1:2], v[1:2], v[140:141], v[137:138]
	buffer_store_dword v4, off, s[0:3], 0 offset:388
	buffer_store_dword v3, off, s[0:3], 0 offset:384
	;; [unrolled: 1-line block ×4, first 2 shown]
.LBB127_119:
	s_or_b32 exec_lo, exec_lo, s4
	v_mov_b32_e32 v4, s54
	s_waitcnt_vscnt null, 0x0
	s_barrier
	buffer_gl0_inv
	s_mov_b32 s4, exec_lo
	s_clause 0x3
	buffer_load_dword v1, v4, s[0:3], 0 offen
	buffer_load_dword v2, v4, s[0:3], 0 offen offset:4
	buffer_load_dword v3, v4, s[0:3], 0 offen offset:8
	;; [unrolled: 1-line block ×3, first 2 shown]
	s_waitcnt vmcnt(0)
	ds_write_b128 v5, v[1:4]
	s_waitcnt lgkmcnt(0)
	s_barrier
	buffer_gl0_inv
	v_cmpx_gt_u32_e32 24, v0
	s_cbranch_execz .LBB127_123
; %bb.120:
	v_mov_b32_e32 v1, 0
	v_mov_b32_e32 v3, 0
	v_add_nc_u32_e32 v7, -1, v0
	v_or_b32_e32 v8, 0x400, v139
	v_mov_b32_e32 v2, 0
	v_mov_b32_e32 v4, 0
	v_add_nc_u32_e32 v137, 16, v139
	s_mov_b32 s5, 0
	.p2align	6
.LBB127_121:                            ; =>This Inner Loop Header: Depth=1
	s_clause 0x3
	buffer_load_dword v144, v137, s[0:3], 0 offen offset:8
	buffer_load_dword v145, v137, s[0:3], 0 offen offset:12
	buffer_load_dword v146, v137, s[0:3], 0 offen
	buffer_load_dword v147, v137, s[0:3], 0 offen offset:4
	ds_read_b128 v[140:143], v8
	v_add_nc_u32_e32 v7, 1, v7
	v_add_nc_u32_e32 v8, 16, v8
	;; [unrolled: 1-line block ×3, first 2 shown]
	v_cmp_lt_u32_e32 vcc_lo, 22, v7
	s_or_b32 s5, vcc_lo, s5
	s_waitcnt vmcnt(2) lgkmcnt(0)
	v_mul_f64 v[148:149], v[142:143], v[144:145]
	v_mul_f64 v[144:145], v[140:141], v[144:145]
	s_waitcnt vmcnt(0)
	v_fma_f64 v[140:141], v[140:141], v[146:147], -v[148:149]
	v_fma_f64 v[142:143], v[142:143], v[146:147], v[144:145]
	v_add_f64 v[3:4], v[3:4], v[140:141]
	v_add_f64 v[1:2], v[1:2], v[142:143]
	s_andn2_b32 exec_lo, exec_lo, s5
	s_cbranch_execnz .LBB127_121
; %bb.122:
	s_or_b32 exec_lo, exec_lo, s5
	v_mov_b32_e32 v7, 0
	ds_read_b128 v[140:143], v7 offset:384
	s_waitcnt lgkmcnt(0)
	v_mul_f64 v[7:8], v[1:2], v[142:143]
	v_mul_f64 v[137:138], v[3:4], v[142:143]
	v_fma_f64 v[3:4], v[3:4], v[140:141], -v[7:8]
	v_fma_f64 v[1:2], v[1:2], v[140:141], v[137:138]
	buffer_store_dword v4, off, s[0:3], 0 offset:404
	buffer_store_dword v3, off, s[0:3], 0 offset:400
	;; [unrolled: 1-line block ×4, first 2 shown]
.LBB127_123:
	s_or_b32 exec_lo, exec_lo, s4
	v_mov_b32_e32 v4, s53
	s_waitcnt_vscnt null, 0x0
	s_barrier
	buffer_gl0_inv
	s_mov_b32 s4, exec_lo
	s_clause 0x3
	buffer_load_dword v1, v4, s[0:3], 0 offen
	buffer_load_dword v2, v4, s[0:3], 0 offen offset:4
	buffer_load_dword v3, v4, s[0:3], 0 offen offset:8
	;; [unrolled: 1-line block ×3, first 2 shown]
	s_waitcnt vmcnt(0)
	ds_write_b128 v5, v[1:4]
	s_waitcnt lgkmcnt(0)
	s_barrier
	buffer_gl0_inv
	v_cmpx_gt_u32_e32 25, v0
	s_cbranch_execz .LBB127_127
; %bb.124:
	v_mov_b32_e32 v1, 0
	v_mov_b32_e32 v3, 0
	v_add_nc_u32_e32 v7, -1, v0
	v_or_b32_e32 v8, 0x400, v139
	v_mov_b32_e32 v2, 0
	v_mov_b32_e32 v4, 0
	v_add_nc_u32_e32 v137, 16, v139
	s_mov_b32 s5, 0
	.p2align	6
.LBB127_125:                            ; =>This Inner Loop Header: Depth=1
	s_clause 0x3
	buffer_load_dword v144, v137, s[0:3], 0 offen offset:8
	buffer_load_dword v145, v137, s[0:3], 0 offen offset:12
	buffer_load_dword v146, v137, s[0:3], 0 offen
	buffer_load_dword v147, v137, s[0:3], 0 offen offset:4
	ds_read_b128 v[140:143], v8
	v_add_nc_u32_e32 v7, 1, v7
	v_add_nc_u32_e32 v8, 16, v8
	v_add_nc_u32_e32 v137, 16, v137
	v_cmp_lt_u32_e32 vcc_lo, 23, v7
	s_or_b32 s5, vcc_lo, s5
	s_waitcnt vmcnt(2) lgkmcnt(0)
	v_mul_f64 v[148:149], v[142:143], v[144:145]
	v_mul_f64 v[144:145], v[140:141], v[144:145]
	s_waitcnt vmcnt(0)
	v_fma_f64 v[140:141], v[140:141], v[146:147], -v[148:149]
	v_fma_f64 v[142:143], v[142:143], v[146:147], v[144:145]
	v_add_f64 v[3:4], v[3:4], v[140:141]
	v_add_f64 v[1:2], v[1:2], v[142:143]
	s_andn2_b32 exec_lo, exec_lo, s5
	s_cbranch_execnz .LBB127_125
; %bb.126:
	s_or_b32 exec_lo, exec_lo, s5
	v_mov_b32_e32 v7, 0
	ds_read_b128 v[140:143], v7 offset:400
	s_waitcnt lgkmcnt(0)
	v_mul_f64 v[7:8], v[1:2], v[142:143]
	v_mul_f64 v[137:138], v[3:4], v[142:143]
	v_fma_f64 v[3:4], v[3:4], v[140:141], -v[7:8]
	v_fma_f64 v[1:2], v[1:2], v[140:141], v[137:138]
	buffer_store_dword v4, off, s[0:3], 0 offset:420
	buffer_store_dword v3, off, s[0:3], 0 offset:416
	;; [unrolled: 1-line block ×4, first 2 shown]
.LBB127_127:
	s_or_b32 exec_lo, exec_lo, s4
	v_mov_b32_e32 v4, s52
	s_waitcnt_vscnt null, 0x0
	s_barrier
	buffer_gl0_inv
	s_mov_b32 s4, exec_lo
	s_clause 0x3
	buffer_load_dword v1, v4, s[0:3], 0 offen
	buffer_load_dword v2, v4, s[0:3], 0 offen offset:4
	buffer_load_dword v3, v4, s[0:3], 0 offen offset:8
	;; [unrolled: 1-line block ×3, first 2 shown]
	s_waitcnt vmcnt(0)
	ds_write_b128 v5, v[1:4]
	s_waitcnt lgkmcnt(0)
	s_barrier
	buffer_gl0_inv
	v_cmpx_gt_u32_e32 26, v0
	s_cbranch_execz .LBB127_131
; %bb.128:
	v_mov_b32_e32 v1, 0
	v_mov_b32_e32 v3, 0
	v_add_nc_u32_e32 v7, -1, v0
	v_or_b32_e32 v8, 0x400, v139
	v_mov_b32_e32 v2, 0
	v_mov_b32_e32 v4, 0
	v_add_nc_u32_e32 v137, 16, v139
	s_mov_b32 s5, 0
	.p2align	6
.LBB127_129:                            ; =>This Inner Loop Header: Depth=1
	s_clause 0x3
	buffer_load_dword v144, v137, s[0:3], 0 offen offset:8
	buffer_load_dword v145, v137, s[0:3], 0 offen offset:12
	buffer_load_dword v146, v137, s[0:3], 0 offen
	buffer_load_dword v147, v137, s[0:3], 0 offen offset:4
	ds_read_b128 v[140:143], v8
	v_add_nc_u32_e32 v7, 1, v7
	v_add_nc_u32_e32 v8, 16, v8
	;; [unrolled: 1-line block ×3, first 2 shown]
	v_cmp_lt_u32_e32 vcc_lo, 24, v7
	s_or_b32 s5, vcc_lo, s5
	s_waitcnt vmcnt(2) lgkmcnt(0)
	v_mul_f64 v[148:149], v[142:143], v[144:145]
	v_mul_f64 v[144:145], v[140:141], v[144:145]
	s_waitcnt vmcnt(0)
	v_fma_f64 v[140:141], v[140:141], v[146:147], -v[148:149]
	v_fma_f64 v[142:143], v[142:143], v[146:147], v[144:145]
	v_add_f64 v[3:4], v[3:4], v[140:141]
	v_add_f64 v[1:2], v[1:2], v[142:143]
	s_andn2_b32 exec_lo, exec_lo, s5
	s_cbranch_execnz .LBB127_129
; %bb.130:
	s_or_b32 exec_lo, exec_lo, s5
	v_mov_b32_e32 v7, 0
	ds_read_b128 v[140:143], v7 offset:416
	s_waitcnt lgkmcnt(0)
	v_mul_f64 v[7:8], v[1:2], v[142:143]
	v_mul_f64 v[137:138], v[3:4], v[142:143]
	v_fma_f64 v[3:4], v[3:4], v[140:141], -v[7:8]
	v_fma_f64 v[1:2], v[1:2], v[140:141], v[137:138]
	buffer_store_dword v4, off, s[0:3], 0 offset:436
	buffer_store_dword v3, off, s[0:3], 0 offset:432
	buffer_store_dword v2, off, s[0:3], 0 offset:444
	buffer_store_dword v1, off, s[0:3], 0 offset:440
.LBB127_131:
	s_or_b32 exec_lo, exec_lo, s4
	v_mov_b32_e32 v4, s51
	s_waitcnt_vscnt null, 0x0
	s_barrier
	buffer_gl0_inv
	s_mov_b32 s4, exec_lo
	s_clause 0x3
	buffer_load_dword v1, v4, s[0:3], 0 offen
	buffer_load_dword v2, v4, s[0:3], 0 offen offset:4
	buffer_load_dword v3, v4, s[0:3], 0 offen offset:8
	;; [unrolled: 1-line block ×3, first 2 shown]
	s_waitcnt vmcnt(0)
	ds_write_b128 v5, v[1:4]
	s_waitcnt lgkmcnt(0)
	s_barrier
	buffer_gl0_inv
	v_cmpx_gt_u32_e32 27, v0
	s_cbranch_execz .LBB127_135
; %bb.132:
	v_mov_b32_e32 v1, 0
	v_mov_b32_e32 v3, 0
	v_add_nc_u32_e32 v7, -1, v0
	v_or_b32_e32 v8, 0x400, v139
	v_mov_b32_e32 v2, 0
	v_mov_b32_e32 v4, 0
	v_add_nc_u32_e32 v137, 16, v139
	s_mov_b32 s5, 0
	.p2align	6
.LBB127_133:                            ; =>This Inner Loop Header: Depth=1
	s_clause 0x3
	buffer_load_dword v144, v137, s[0:3], 0 offen offset:8
	buffer_load_dword v145, v137, s[0:3], 0 offen offset:12
	buffer_load_dword v146, v137, s[0:3], 0 offen
	buffer_load_dword v147, v137, s[0:3], 0 offen offset:4
	ds_read_b128 v[140:143], v8
	v_add_nc_u32_e32 v7, 1, v7
	v_add_nc_u32_e32 v8, 16, v8
	;; [unrolled: 1-line block ×3, first 2 shown]
	v_cmp_lt_u32_e32 vcc_lo, 25, v7
	s_or_b32 s5, vcc_lo, s5
	s_waitcnt vmcnt(2) lgkmcnt(0)
	v_mul_f64 v[148:149], v[142:143], v[144:145]
	v_mul_f64 v[144:145], v[140:141], v[144:145]
	s_waitcnt vmcnt(0)
	v_fma_f64 v[140:141], v[140:141], v[146:147], -v[148:149]
	v_fma_f64 v[142:143], v[142:143], v[146:147], v[144:145]
	v_add_f64 v[3:4], v[3:4], v[140:141]
	v_add_f64 v[1:2], v[1:2], v[142:143]
	s_andn2_b32 exec_lo, exec_lo, s5
	s_cbranch_execnz .LBB127_133
; %bb.134:
	s_or_b32 exec_lo, exec_lo, s5
	v_mov_b32_e32 v7, 0
	ds_read_b128 v[140:143], v7 offset:432
	s_waitcnt lgkmcnt(0)
	v_mul_f64 v[7:8], v[1:2], v[142:143]
	v_mul_f64 v[137:138], v[3:4], v[142:143]
	v_fma_f64 v[3:4], v[3:4], v[140:141], -v[7:8]
	v_fma_f64 v[1:2], v[1:2], v[140:141], v[137:138]
	buffer_store_dword v4, off, s[0:3], 0 offset:452
	buffer_store_dword v3, off, s[0:3], 0 offset:448
	buffer_store_dword v2, off, s[0:3], 0 offset:460
	buffer_store_dword v1, off, s[0:3], 0 offset:456
.LBB127_135:
	s_or_b32 exec_lo, exec_lo, s4
	v_mov_b32_e32 v4, s50
	s_waitcnt_vscnt null, 0x0
	s_barrier
	buffer_gl0_inv
	s_mov_b32 s4, exec_lo
	s_clause 0x3
	buffer_load_dword v1, v4, s[0:3], 0 offen
	buffer_load_dword v2, v4, s[0:3], 0 offen offset:4
	buffer_load_dword v3, v4, s[0:3], 0 offen offset:8
	;; [unrolled: 1-line block ×3, first 2 shown]
	s_waitcnt vmcnt(0)
	ds_write_b128 v5, v[1:4]
	s_waitcnt lgkmcnt(0)
	s_barrier
	buffer_gl0_inv
	v_cmpx_gt_u32_e32 28, v0
	s_cbranch_execz .LBB127_139
; %bb.136:
	v_mov_b32_e32 v1, 0
	v_mov_b32_e32 v3, 0
	v_add_nc_u32_e32 v7, -1, v0
	v_or_b32_e32 v8, 0x400, v139
	v_mov_b32_e32 v2, 0
	v_mov_b32_e32 v4, 0
	v_add_nc_u32_e32 v137, 16, v139
	s_mov_b32 s5, 0
	.p2align	6
.LBB127_137:                            ; =>This Inner Loop Header: Depth=1
	s_clause 0x3
	buffer_load_dword v144, v137, s[0:3], 0 offen offset:8
	buffer_load_dword v145, v137, s[0:3], 0 offen offset:12
	buffer_load_dword v146, v137, s[0:3], 0 offen
	buffer_load_dword v147, v137, s[0:3], 0 offen offset:4
	ds_read_b128 v[140:143], v8
	v_add_nc_u32_e32 v7, 1, v7
	v_add_nc_u32_e32 v8, 16, v8
	v_add_nc_u32_e32 v137, 16, v137
	v_cmp_lt_u32_e32 vcc_lo, 26, v7
	s_or_b32 s5, vcc_lo, s5
	s_waitcnt vmcnt(2) lgkmcnt(0)
	v_mul_f64 v[148:149], v[142:143], v[144:145]
	v_mul_f64 v[144:145], v[140:141], v[144:145]
	s_waitcnt vmcnt(0)
	v_fma_f64 v[140:141], v[140:141], v[146:147], -v[148:149]
	v_fma_f64 v[142:143], v[142:143], v[146:147], v[144:145]
	v_add_f64 v[3:4], v[3:4], v[140:141]
	v_add_f64 v[1:2], v[1:2], v[142:143]
	s_andn2_b32 exec_lo, exec_lo, s5
	s_cbranch_execnz .LBB127_137
; %bb.138:
	s_or_b32 exec_lo, exec_lo, s5
	v_mov_b32_e32 v7, 0
	ds_read_b128 v[140:143], v7 offset:448
	s_waitcnt lgkmcnt(0)
	v_mul_f64 v[7:8], v[1:2], v[142:143]
	v_mul_f64 v[137:138], v[3:4], v[142:143]
	v_fma_f64 v[3:4], v[3:4], v[140:141], -v[7:8]
	v_fma_f64 v[1:2], v[1:2], v[140:141], v[137:138]
	buffer_store_dword v4, off, s[0:3], 0 offset:468
	buffer_store_dword v3, off, s[0:3], 0 offset:464
	;; [unrolled: 1-line block ×4, first 2 shown]
.LBB127_139:
	s_or_b32 exec_lo, exec_lo, s4
	v_mov_b32_e32 v4, s49
	s_waitcnt_vscnt null, 0x0
	s_barrier
	buffer_gl0_inv
	s_mov_b32 s4, exec_lo
	s_clause 0x3
	buffer_load_dword v1, v4, s[0:3], 0 offen
	buffer_load_dword v2, v4, s[0:3], 0 offen offset:4
	buffer_load_dword v3, v4, s[0:3], 0 offen offset:8
	;; [unrolled: 1-line block ×3, first 2 shown]
	s_waitcnt vmcnt(0)
	ds_write_b128 v5, v[1:4]
	s_waitcnt lgkmcnt(0)
	s_barrier
	buffer_gl0_inv
	v_cmpx_gt_u32_e32 29, v0
	s_cbranch_execz .LBB127_143
; %bb.140:
	v_mov_b32_e32 v1, 0
	v_mov_b32_e32 v3, 0
	v_add_nc_u32_e32 v7, -1, v0
	v_or_b32_e32 v8, 0x400, v139
	v_mov_b32_e32 v2, 0
	v_mov_b32_e32 v4, 0
	v_add_nc_u32_e32 v137, 16, v139
	s_mov_b32 s5, 0
	.p2align	6
.LBB127_141:                            ; =>This Inner Loop Header: Depth=1
	s_clause 0x3
	buffer_load_dword v144, v137, s[0:3], 0 offen offset:8
	buffer_load_dword v145, v137, s[0:3], 0 offen offset:12
	buffer_load_dword v146, v137, s[0:3], 0 offen
	buffer_load_dword v147, v137, s[0:3], 0 offen offset:4
	ds_read_b128 v[140:143], v8
	v_add_nc_u32_e32 v7, 1, v7
	v_add_nc_u32_e32 v8, 16, v8
	v_add_nc_u32_e32 v137, 16, v137
	v_cmp_lt_u32_e32 vcc_lo, 27, v7
	s_or_b32 s5, vcc_lo, s5
	s_waitcnt vmcnt(2) lgkmcnt(0)
	v_mul_f64 v[148:149], v[142:143], v[144:145]
	v_mul_f64 v[144:145], v[140:141], v[144:145]
	s_waitcnt vmcnt(0)
	v_fma_f64 v[140:141], v[140:141], v[146:147], -v[148:149]
	v_fma_f64 v[142:143], v[142:143], v[146:147], v[144:145]
	v_add_f64 v[3:4], v[3:4], v[140:141]
	v_add_f64 v[1:2], v[1:2], v[142:143]
	s_andn2_b32 exec_lo, exec_lo, s5
	s_cbranch_execnz .LBB127_141
; %bb.142:
	s_or_b32 exec_lo, exec_lo, s5
	v_mov_b32_e32 v7, 0
	ds_read_b128 v[140:143], v7 offset:464
	s_waitcnt lgkmcnt(0)
	v_mul_f64 v[7:8], v[1:2], v[142:143]
	v_mul_f64 v[137:138], v[3:4], v[142:143]
	v_fma_f64 v[3:4], v[3:4], v[140:141], -v[7:8]
	v_fma_f64 v[1:2], v[1:2], v[140:141], v[137:138]
	buffer_store_dword v4, off, s[0:3], 0 offset:484
	buffer_store_dword v3, off, s[0:3], 0 offset:480
	;; [unrolled: 1-line block ×4, first 2 shown]
.LBB127_143:
	s_or_b32 exec_lo, exec_lo, s4
	v_mov_b32_e32 v4, s48
	s_waitcnt_vscnt null, 0x0
	s_barrier
	buffer_gl0_inv
	s_mov_b32 s4, exec_lo
	s_clause 0x3
	buffer_load_dword v1, v4, s[0:3], 0 offen
	buffer_load_dword v2, v4, s[0:3], 0 offen offset:4
	buffer_load_dword v3, v4, s[0:3], 0 offen offset:8
	;; [unrolled: 1-line block ×3, first 2 shown]
	s_waitcnt vmcnt(0)
	ds_write_b128 v5, v[1:4]
	s_waitcnt lgkmcnt(0)
	s_barrier
	buffer_gl0_inv
	v_cmpx_gt_u32_e32 30, v0
	s_cbranch_execz .LBB127_147
; %bb.144:
	v_mov_b32_e32 v1, 0
	v_mov_b32_e32 v3, 0
	v_add_nc_u32_e32 v7, -1, v0
	v_or_b32_e32 v8, 0x400, v139
	v_mov_b32_e32 v2, 0
	v_mov_b32_e32 v4, 0
	v_add_nc_u32_e32 v137, 16, v139
	s_mov_b32 s5, 0
	.p2align	6
.LBB127_145:                            ; =>This Inner Loop Header: Depth=1
	s_clause 0x3
	buffer_load_dword v144, v137, s[0:3], 0 offen offset:8
	buffer_load_dword v145, v137, s[0:3], 0 offen offset:12
	buffer_load_dword v146, v137, s[0:3], 0 offen
	buffer_load_dword v147, v137, s[0:3], 0 offen offset:4
	ds_read_b128 v[140:143], v8
	v_add_nc_u32_e32 v7, 1, v7
	v_add_nc_u32_e32 v8, 16, v8
	;; [unrolled: 1-line block ×3, first 2 shown]
	v_cmp_lt_u32_e32 vcc_lo, 28, v7
	s_or_b32 s5, vcc_lo, s5
	s_waitcnt vmcnt(2) lgkmcnt(0)
	v_mul_f64 v[148:149], v[142:143], v[144:145]
	v_mul_f64 v[144:145], v[140:141], v[144:145]
	s_waitcnt vmcnt(0)
	v_fma_f64 v[140:141], v[140:141], v[146:147], -v[148:149]
	v_fma_f64 v[142:143], v[142:143], v[146:147], v[144:145]
	v_add_f64 v[3:4], v[3:4], v[140:141]
	v_add_f64 v[1:2], v[1:2], v[142:143]
	s_andn2_b32 exec_lo, exec_lo, s5
	s_cbranch_execnz .LBB127_145
; %bb.146:
	s_or_b32 exec_lo, exec_lo, s5
	v_mov_b32_e32 v7, 0
	ds_read_b128 v[140:143], v7 offset:480
	s_waitcnt lgkmcnt(0)
	v_mul_f64 v[7:8], v[1:2], v[142:143]
	v_mul_f64 v[137:138], v[3:4], v[142:143]
	v_fma_f64 v[3:4], v[3:4], v[140:141], -v[7:8]
	v_fma_f64 v[1:2], v[1:2], v[140:141], v[137:138]
	buffer_store_dword v4, off, s[0:3], 0 offset:500
	buffer_store_dword v3, off, s[0:3], 0 offset:496
	;; [unrolled: 1-line block ×4, first 2 shown]
.LBB127_147:
	s_or_b32 exec_lo, exec_lo, s4
	v_mov_b32_e32 v4, s47
	s_waitcnt_vscnt null, 0x0
	s_barrier
	buffer_gl0_inv
	s_mov_b32 s4, exec_lo
	s_clause 0x3
	buffer_load_dword v1, v4, s[0:3], 0 offen
	buffer_load_dword v2, v4, s[0:3], 0 offen offset:4
	buffer_load_dword v3, v4, s[0:3], 0 offen offset:8
	;; [unrolled: 1-line block ×3, first 2 shown]
	s_waitcnt vmcnt(0)
	ds_write_b128 v5, v[1:4]
	s_waitcnt lgkmcnt(0)
	s_barrier
	buffer_gl0_inv
	v_cmpx_gt_u32_e32 31, v0
	s_cbranch_execz .LBB127_151
; %bb.148:
	v_mov_b32_e32 v1, 0
	v_mov_b32_e32 v3, 0
	v_add_nc_u32_e32 v7, -1, v0
	v_or_b32_e32 v8, 0x400, v139
	v_mov_b32_e32 v2, 0
	v_mov_b32_e32 v4, 0
	v_add_nc_u32_e32 v137, 16, v139
	s_mov_b32 s5, 0
	.p2align	6
.LBB127_149:                            ; =>This Inner Loop Header: Depth=1
	s_clause 0x3
	buffer_load_dword v144, v137, s[0:3], 0 offen offset:8
	buffer_load_dword v145, v137, s[0:3], 0 offen offset:12
	buffer_load_dword v146, v137, s[0:3], 0 offen
	buffer_load_dword v147, v137, s[0:3], 0 offen offset:4
	ds_read_b128 v[140:143], v8
	v_add_nc_u32_e32 v7, 1, v7
	v_add_nc_u32_e32 v8, 16, v8
	;; [unrolled: 1-line block ×3, first 2 shown]
	v_cmp_lt_u32_e32 vcc_lo, 29, v7
	s_or_b32 s5, vcc_lo, s5
	s_waitcnt vmcnt(2) lgkmcnt(0)
	v_mul_f64 v[148:149], v[142:143], v[144:145]
	v_mul_f64 v[144:145], v[140:141], v[144:145]
	s_waitcnt vmcnt(0)
	v_fma_f64 v[140:141], v[140:141], v[146:147], -v[148:149]
	v_fma_f64 v[142:143], v[142:143], v[146:147], v[144:145]
	v_add_f64 v[3:4], v[3:4], v[140:141]
	v_add_f64 v[1:2], v[1:2], v[142:143]
	s_andn2_b32 exec_lo, exec_lo, s5
	s_cbranch_execnz .LBB127_149
; %bb.150:
	s_or_b32 exec_lo, exec_lo, s5
	v_mov_b32_e32 v7, 0
	ds_read_b128 v[140:143], v7 offset:496
	s_waitcnt lgkmcnt(0)
	v_mul_f64 v[7:8], v[1:2], v[142:143]
	v_mul_f64 v[137:138], v[3:4], v[142:143]
	v_fma_f64 v[3:4], v[3:4], v[140:141], -v[7:8]
	v_fma_f64 v[1:2], v[1:2], v[140:141], v[137:138]
	buffer_store_dword v4, off, s[0:3], 0 offset:516
	buffer_store_dword v3, off, s[0:3], 0 offset:512
	;; [unrolled: 1-line block ×4, first 2 shown]
.LBB127_151:
	s_or_b32 exec_lo, exec_lo, s4
	v_mov_b32_e32 v4, s46
	s_waitcnt_vscnt null, 0x0
	s_barrier
	buffer_gl0_inv
	s_mov_b32 s4, exec_lo
	s_clause 0x3
	buffer_load_dword v1, v4, s[0:3], 0 offen
	buffer_load_dword v2, v4, s[0:3], 0 offen offset:4
	buffer_load_dword v3, v4, s[0:3], 0 offen offset:8
	;; [unrolled: 1-line block ×3, first 2 shown]
	s_waitcnt vmcnt(0)
	ds_write_b128 v5, v[1:4]
	s_waitcnt lgkmcnt(0)
	s_barrier
	buffer_gl0_inv
	v_cmpx_gt_u32_e32 32, v0
	s_cbranch_execz .LBB127_155
; %bb.152:
	v_mov_b32_e32 v1, 0
	v_mov_b32_e32 v3, 0
	v_add_nc_u32_e32 v7, -1, v0
	v_or_b32_e32 v8, 0x400, v139
	v_mov_b32_e32 v2, 0
	v_mov_b32_e32 v4, 0
	v_add_nc_u32_e32 v137, 16, v139
	s_mov_b32 s5, 0
	.p2align	6
.LBB127_153:                            ; =>This Inner Loop Header: Depth=1
	s_clause 0x3
	buffer_load_dword v144, v137, s[0:3], 0 offen offset:8
	buffer_load_dword v145, v137, s[0:3], 0 offen offset:12
	buffer_load_dword v146, v137, s[0:3], 0 offen
	buffer_load_dword v147, v137, s[0:3], 0 offen offset:4
	ds_read_b128 v[140:143], v8
	v_add_nc_u32_e32 v7, 1, v7
	v_add_nc_u32_e32 v8, 16, v8
	;; [unrolled: 1-line block ×3, first 2 shown]
	v_cmp_lt_u32_e32 vcc_lo, 30, v7
	s_or_b32 s5, vcc_lo, s5
	s_waitcnt vmcnt(2) lgkmcnt(0)
	v_mul_f64 v[148:149], v[142:143], v[144:145]
	v_mul_f64 v[144:145], v[140:141], v[144:145]
	s_waitcnt vmcnt(0)
	v_fma_f64 v[140:141], v[140:141], v[146:147], -v[148:149]
	v_fma_f64 v[142:143], v[142:143], v[146:147], v[144:145]
	v_add_f64 v[3:4], v[3:4], v[140:141]
	v_add_f64 v[1:2], v[1:2], v[142:143]
	s_andn2_b32 exec_lo, exec_lo, s5
	s_cbranch_execnz .LBB127_153
; %bb.154:
	s_or_b32 exec_lo, exec_lo, s5
	v_mov_b32_e32 v7, 0
	ds_read_b128 v[140:143], v7 offset:512
	s_waitcnt lgkmcnt(0)
	v_mul_f64 v[7:8], v[1:2], v[142:143]
	v_mul_f64 v[137:138], v[3:4], v[142:143]
	v_fma_f64 v[3:4], v[3:4], v[140:141], -v[7:8]
	v_fma_f64 v[1:2], v[1:2], v[140:141], v[137:138]
	buffer_store_dword v4, off, s[0:3], 0 offset:532
	buffer_store_dword v3, off, s[0:3], 0 offset:528
	;; [unrolled: 1-line block ×4, first 2 shown]
.LBB127_155:
	s_or_b32 exec_lo, exec_lo, s4
	v_mov_b32_e32 v4, s45
	s_waitcnt_vscnt null, 0x0
	s_barrier
	buffer_gl0_inv
	s_mov_b32 s4, exec_lo
	s_clause 0x3
	buffer_load_dword v1, v4, s[0:3], 0 offen
	buffer_load_dword v2, v4, s[0:3], 0 offen offset:4
	buffer_load_dword v3, v4, s[0:3], 0 offen offset:8
	;; [unrolled: 1-line block ×3, first 2 shown]
	s_waitcnt vmcnt(0)
	ds_write_b128 v5, v[1:4]
	s_waitcnt lgkmcnt(0)
	s_barrier
	buffer_gl0_inv
	v_cmpx_gt_u32_e32 33, v0
	s_cbranch_execz .LBB127_159
; %bb.156:
	v_mov_b32_e32 v1, 0
	v_mov_b32_e32 v3, 0
	v_add_nc_u32_e32 v7, -1, v0
	v_or_b32_e32 v8, 0x400, v139
	v_mov_b32_e32 v2, 0
	v_mov_b32_e32 v4, 0
	v_add_nc_u32_e32 v137, 16, v139
	s_mov_b32 s5, 0
	.p2align	6
.LBB127_157:                            ; =>This Inner Loop Header: Depth=1
	s_clause 0x3
	buffer_load_dword v144, v137, s[0:3], 0 offen offset:8
	buffer_load_dword v145, v137, s[0:3], 0 offen offset:12
	buffer_load_dword v146, v137, s[0:3], 0 offen
	buffer_load_dword v147, v137, s[0:3], 0 offen offset:4
	ds_read_b128 v[140:143], v8
	v_add_nc_u32_e32 v7, 1, v7
	v_add_nc_u32_e32 v8, 16, v8
	;; [unrolled: 1-line block ×3, first 2 shown]
	v_cmp_lt_u32_e32 vcc_lo, 31, v7
	s_or_b32 s5, vcc_lo, s5
	s_waitcnt vmcnt(2) lgkmcnt(0)
	v_mul_f64 v[148:149], v[142:143], v[144:145]
	v_mul_f64 v[144:145], v[140:141], v[144:145]
	s_waitcnt vmcnt(0)
	v_fma_f64 v[140:141], v[140:141], v[146:147], -v[148:149]
	v_fma_f64 v[142:143], v[142:143], v[146:147], v[144:145]
	v_add_f64 v[3:4], v[3:4], v[140:141]
	v_add_f64 v[1:2], v[1:2], v[142:143]
	s_andn2_b32 exec_lo, exec_lo, s5
	s_cbranch_execnz .LBB127_157
; %bb.158:
	s_or_b32 exec_lo, exec_lo, s5
	v_mov_b32_e32 v7, 0
	ds_read_b128 v[140:143], v7 offset:528
	s_waitcnt lgkmcnt(0)
	v_mul_f64 v[7:8], v[1:2], v[142:143]
	v_mul_f64 v[137:138], v[3:4], v[142:143]
	v_fma_f64 v[3:4], v[3:4], v[140:141], -v[7:8]
	v_fma_f64 v[1:2], v[1:2], v[140:141], v[137:138]
	buffer_store_dword v4, off, s[0:3], 0 offset:548
	buffer_store_dword v3, off, s[0:3], 0 offset:544
	;; [unrolled: 1-line block ×4, first 2 shown]
.LBB127_159:
	s_or_b32 exec_lo, exec_lo, s4
	v_mov_b32_e32 v4, s15
	s_waitcnt_vscnt null, 0x0
	s_barrier
	buffer_gl0_inv
	s_mov_b32 s4, exec_lo
	s_clause 0x3
	buffer_load_dword v1, v4, s[0:3], 0 offen
	buffer_load_dword v2, v4, s[0:3], 0 offen offset:4
	buffer_load_dword v3, v4, s[0:3], 0 offen offset:8
	;; [unrolled: 1-line block ×3, first 2 shown]
	s_waitcnt vmcnt(0)
	ds_write_b128 v5, v[1:4]
	s_waitcnt lgkmcnt(0)
	s_barrier
	buffer_gl0_inv
	v_cmpx_gt_u32_e32 34, v0
	s_cbranch_execz .LBB127_163
; %bb.160:
	v_mov_b32_e32 v1, 0
	v_mov_b32_e32 v3, 0
	v_add_nc_u32_e32 v7, -1, v0
	v_or_b32_e32 v8, 0x400, v139
	v_mov_b32_e32 v2, 0
	v_mov_b32_e32 v4, 0
	v_add_nc_u32_e32 v137, 16, v139
	s_mov_b32 s5, 0
	.p2align	6
.LBB127_161:                            ; =>This Inner Loop Header: Depth=1
	s_clause 0x3
	buffer_load_dword v144, v137, s[0:3], 0 offen offset:8
	buffer_load_dword v145, v137, s[0:3], 0 offen offset:12
	buffer_load_dword v146, v137, s[0:3], 0 offen
	buffer_load_dword v147, v137, s[0:3], 0 offen offset:4
	ds_read_b128 v[140:143], v8
	v_add_nc_u32_e32 v7, 1, v7
	v_add_nc_u32_e32 v8, 16, v8
	;; [unrolled: 1-line block ×3, first 2 shown]
	v_cmp_lt_u32_e32 vcc_lo, 32, v7
	s_or_b32 s5, vcc_lo, s5
	s_waitcnt vmcnt(2) lgkmcnt(0)
	v_mul_f64 v[148:149], v[142:143], v[144:145]
	v_mul_f64 v[144:145], v[140:141], v[144:145]
	s_waitcnt vmcnt(0)
	v_fma_f64 v[140:141], v[140:141], v[146:147], -v[148:149]
	v_fma_f64 v[142:143], v[142:143], v[146:147], v[144:145]
	v_add_f64 v[3:4], v[3:4], v[140:141]
	v_add_f64 v[1:2], v[1:2], v[142:143]
	s_andn2_b32 exec_lo, exec_lo, s5
	s_cbranch_execnz .LBB127_161
; %bb.162:
	s_or_b32 exec_lo, exec_lo, s5
	v_mov_b32_e32 v7, 0
	ds_read_b128 v[140:143], v7 offset:544
	s_waitcnt lgkmcnt(0)
	v_mul_f64 v[7:8], v[1:2], v[142:143]
	v_mul_f64 v[137:138], v[3:4], v[142:143]
	v_fma_f64 v[3:4], v[3:4], v[140:141], -v[7:8]
	v_fma_f64 v[1:2], v[1:2], v[140:141], v[137:138]
	buffer_store_dword v4, off, s[0:3], 0 offset:564
	buffer_store_dword v3, off, s[0:3], 0 offset:560
	;; [unrolled: 1-line block ×4, first 2 shown]
.LBB127_163:
	s_or_b32 exec_lo, exec_lo, s4
	v_mov_b32_e32 v4, s14
	s_waitcnt_vscnt null, 0x0
	s_barrier
	buffer_gl0_inv
	s_mov_b32 s4, exec_lo
	s_clause 0x3
	buffer_load_dword v1, v4, s[0:3], 0 offen
	buffer_load_dword v2, v4, s[0:3], 0 offen offset:4
	buffer_load_dword v3, v4, s[0:3], 0 offen offset:8
	;; [unrolled: 1-line block ×3, first 2 shown]
	s_waitcnt vmcnt(0)
	ds_write_b128 v5, v[1:4]
	s_waitcnt lgkmcnt(0)
	s_barrier
	buffer_gl0_inv
	v_cmpx_gt_u32_e32 35, v0
	s_cbranch_execz .LBB127_167
; %bb.164:
	v_mov_b32_e32 v1, 0
	v_mov_b32_e32 v3, 0
	v_add_nc_u32_e32 v7, -1, v0
	v_or_b32_e32 v8, 0x400, v139
	v_mov_b32_e32 v2, 0
	v_mov_b32_e32 v4, 0
	v_add_nc_u32_e32 v137, 16, v139
	s_mov_b32 s5, 0
	.p2align	6
.LBB127_165:                            ; =>This Inner Loop Header: Depth=1
	s_clause 0x3
	buffer_load_dword v144, v137, s[0:3], 0 offen offset:8
	buffer_load_dword v145, v137, s[0:3], 0 offen offset:12
	buffer_load_dword v146, v137, s[0:3], 0 offen
	buffer_load_dword v147, v137, s[0:3], 0 offen offset:4
	ds_read_b128 v[140:143], v8
	v_add_nc_u32_e32 v7, 1, v7
	v_add_nc_u32_e32 v8, 16, v8
	;; [unrolled: 1-line block ×3, first 2 shown]
	v_cmp_lt_u32_e32 vcc_lo, 33, v7
	s_or_b32 s5, vcc_lo, s5
	s_waitcnt vmcnt(2) lgkmcnt(0)
	v_mul_f64 v[148:149], v[142:143], v[144:145]
	v_mul_f64 v[144:145], v[140:141], v[144:145]
	s_waitcnt vmcnt(0)
	v_fma_f64 v[140:141], v[140:141], v[146:147], -v[148:149]
	v_fma_f64 v[142:143], v[142:143], v[146:147], v[144:145]
	v_add_f64 v[3:4], v[3:4], v[140:141]
	v_add_f64 v[1:2], v[1:2], v[142:143]
	s_andn2_b32 exec_lo, exec_lo, s5
	s_cbranch_execnz .LBB127_165
; %bb.166:
	s_or_b32 exec_lo, exec_lo, s5
	v_mov_b32_e32 v7, 0
	ds_read_b128 v[140:143], v7 offset:560
	s_waitcnt lgkmcnt(0)
	v_mul_f64 v[7:8], v[1:2], v[142:143]
	v_mul_f64 v[137:138], v[3:4], v[142:143]
	v_fma_f64 v[3:4], v[3:4], v[140:141], -v[7:8]
	v_fma_f64 v[1:2], v[1:2], v[140:141], v[137:138]
	buffer_store_dword v4, off, s[0:3], 0 offset:580
	buffer_store_dword v3, off, s[0:3], 0 offset:576
	;; [unrolled: 1-line block ×4, first 2 shown]
.LBB127_167:
	s_or_b32 exec_lo, exec_lo, s4
	v_mov_b32_e32 v4, s42
	s_waitcnt_vscnt null, 0x0
	s_barrier
	buffer_gl0_inv
	s_mov_b32 s4, exec_lo
	s_clause 0x3
	buffer_load_dword v1, v4, s[0:3], 0 offen
	buffer_load_dword v2, v4, s[0:3], 0 offen offset:4
	buffer_load_dword v3, v4, s[0:3], 0 offen offset:8
	;; [unrolled: 1-line block ×3, first 2 shown]
	s_waitcnt vmcnt(0)
	ds_write_b128 v5, v[1:4]
	s_waitcnt lgkmcnt(0)
	s_barrier
	buffer_gl0_inv
	v_cmpx_gt_u32_e32 36, v0
	s_cbranch_execz .LBB127_171
; %bb.168:
	v_mov_b32_e32 v1, 0
	v_mov_b32_e32 v3, 0
	v_add_nc_u32_e32 v7, -1, v0
	v_or_b32_e32 v8, 0x400, v139
	v_mov_b32_e32 v2, 0
	v_mov_b32_e32 v4, 0
	v_add_nc_u32_e32 v137, 16, v139
	s_mov_b32 s5, 0
	.p2align	6
.LBB127_169:                            ; =>This Inner Loop Header: Depth=1
	s_clause 0x3
	buffer_load_dword v144, v137, s[0:3], 0 offen offset:8
	buffer_load_dword v145, v137, s[0:3], 0 offen offset:12
	buffer_load_dword v146, v137, s[0:3], 0 offen
	buffer_load_dword v147, v137, s[0:3], 0 offen offset:4
	ds_read_b128 v[140:143], v8
	v_add_nc_u32_e32 v7, 1, v7
	v_add_nc_u32_e32 v8, 16, v8
	;; [unrolled: 1-line block ×3, first 2 shown]
	v_cmp_lt_u32_e32 vcc_lo, 34, v7
	s_or_b32 s5, vcc_lo, s5
	s_waitcnt vmcnt(2) lgkmcnt(0)
	v_mul_f64 v[148:149], v[142:143], v[144:145]
	v_mul_f64 v[144:145], v[140:141], v[144:145]
	s_waitcnt vmcnt(0)
	v_fma_f64 v[140:141], v[140:141], v[146:147], -v[148:149]
	v_fma_f64 v[142:143], v[142:143], v[146:147], v[144:145]
	v_add_f64 v[3:4], v[3:4], v[140:141]
	v_add_f64 v[1:2], v[1:2], v[142:143]
	s_andn2_b32 exec_lo, exec_lo, s5
	s_cbranch_execnz .LBB127_169
; %bb.170:
	s_or_b32 exec_lo, exec_lo, s5
	v_mov_b32_e32 v7, 0
	ds_read_b128 v[140:143], v7 offset:576
	s_waitcnt lgkmcnt(0)
	v_mul_f64 v[7:8], v[1:2], v[142:143]
	v_mul_f64 v[137:138], v[3:4], v[142:143]
	v_fma_f64 v[3:4], v[3:4], v[140:141], -v[7:8]
	v_fma_f64 v[1:2], v[1:2], v[140:141], v[137:138]
	buffer_store_dword v4, off, s[0:3], 0 offset:596
	buffer_store_dword v3, off, s[0:3], 0 offset:592
	;; [unrolled: 1-line block ×4, first 2 shown]
.LBB127_171:
	s_or_b32 exec_lo, exec_lo, s4
	v_mov_b32_e32 v4, s41
	s_waitcnt_vscnt null, 0x0
	s_barrier
	buffer_gl0_inv
	s_mov_b32 s4, exec_lo
	s_clause 0x3
	buffer_load_dword v1, v4, s[0:3], 0 offen
	buffer_load_dword v2, v4, s[0:3], 0 offen offset:4
	buffer_load_dword v3, v4, s[0:3], 0 offen offset:8
	;; [unrolled: 1-line block ×3, first 2 shown]
	s_waitcnt vmcnt(0)
	ds_write_b128 v5, v[1:4]
	s_waitcnt lgkmcnt(0)
	s_barrier
	buffer_gl0_inv
	v_cmpx_gt_u32_e32 37, v0
	s_cbranch_execz .LBB127_175
; %bb.172:
	v_mov_b32_e32 v1, 0
	v_mov_b32_e32 v3, 0
	v_add_nc_u32_e32 v7, -1, v0
	v_or_b32_e32 v8, 0x400, v139
	v_mov_b32_e32 v2, 0
	v_mov_b32_e32 v4, 0
	v_add_nc_u32_e32 v137, 16, v139
	s_mov_b32 s5, 0
	.p2align	6
.LBB127_173:                            ; =>This Inner Loop Header: Depth=1
	s_clause 0x3
	buffer_load_dword v144, v137, s[0:3], 0 offen offset:8
	buffer_load_dword v145, v137, s[0:3], 0 offen offset:12
	buffer_load_dword v146, v137, s[0:3], 0 offen
	buffer_load_dword v147, v137, s[0:3], 0 offen offset:4
	ds_read_b128 v[140:143], v8
	v_add_nc_u32_e32 v7, 1, v7
	v_add_nc_u32_e32 v8, 16, v8
	;; [unrolled: 1-line block ×3, first 2 shown]
	v_cmp_lt_u32_e32 vcc_lo, 35, v7
	s_or_b32 s5, vcc_lo, s5
	s_waitcnt vmcnt(2) lgkmcnt(0)
	v_mul_f64 v[148:149], v[142:143], v[144:145]
	v_mul_f64 v[144:145], v[140:141], v[144:145]
	s_waitcnt vmcnt(0)
	v_fma_f64 v[140:141], v[140:141], v[146:147], -v[148:149]
	v_fma_f64 v[142:143], v[142:143], v[146:147], v[144:145]
	v_add_f64 v[3:4], v[3:4], v[140:141]
	v_add_f64 v[1:2], v[1:2], v[142:143]
	s_andn2_b32 exec_lo, exec_lo, s5
	s_cbranch_execnz .LBB127_173
; %bb.174:
	s_or_b32 exec_lo, exec_lo, s5
	v_mov_b32_e32 v7, 0
	ds_read_b128 v[140:143], v7 offset:592
	s_waitcnt lgkmcnt(0)
	v_mul_f64 v[7:8], v[1:2], v[142:143]
	v_mul_f64 v[137:138], v[3:4], v[142:143]
	v_fma_f64 v[3:4], v[3:4], v[140:141], -v[7:8]
	v_fma_f64 v[1:2], v[1:2], v[140:141], v[137:138]
	buffer_store_dword v4, off, s[0:3], 0 offset:612
	buffer_store_dword v3, off, s[0:3], 0 offset:608
	;; [unrolled: 1-line block ×4, first 2 shown]
.LBB127_175:
	s_or_b32 exec_lo, exec_lo, s4
	v_mov_b32_e32 v4, s40
	s_waitcnt_vscnt null, 0x0
	s_barrier
	buffer_gl0_inv
	s_mov_b32 s4, exec_lo
	s_clause 0x3
	buffer_load_dword v1, v4, s[0:3], 0 offen
	buffer_load_dword v2, v4, s[0:3], 0 offen offset:4
	buffer_load_dword v3, v4, s[0:3], 0 offen offset:8
	;; [unrolled: 1-line block ×3, first 2 shown]
	s_waitcnt vmcnt(0)
	ds_write_b128 v5, v[1:4]
	s_waitcnt lgkmcnt(0)
	s_barrier
	buffer_gl0_inv
	v_cmpx_gt_u32_e32 38, v0
	s_cbranch_execz .LBB127_179
; %bb.176:
	v_mov_b32_e32 v1, 0
	v_mov_b32_e32 v3, 0
	v_add_nc_u32_e32 v7, -1, v0
	v_or_b32_e32 v8, 0x400, v139
	v_mov_b32_e32 v2, 0
	v_mov_b32_e32 v4, 0
	v_add_nc_u32_e32 v137, 16, v139
	s_mov_b32 s5, 0
	.p2align	6
.LBB127_177:                            ; =>This Inner Loop Header: Depth=1
	s_clause 0x3
	buffer_load_dword v144, v137, s[0:3], 0 offen offset:8
	buffer_load_dword v145, v137, s[0:3], 0 offen offset:12
	buffer_load_dword v146, v137, s[0:3], 0 offen
	buffer_load_dword v147, v137, s[0:3], 0 offen offset:4
	ds_read_b128 v[140:143], v8
	v_add_nc_u32_e32 v7, 1, v7
	v_add_nc_u32_e32 v8, 16, v8
	;; [unrolled: 1-line block ×3, first 2 shown]
	v_cmp_lt_u32_e32 vcc_lo, 36, v7
	s_or_b32 s5, vcc_lo, s5
	s_waitcnt vmcnt(2) lgkmcnt(0)
	v_mul_f64 v[148:149], v[142:143], v[144:145]
	v_mul_f64 v[144:145], v[140:141], v[144:145]
	s_waitcnt vmcnt(0)
	v_fma_f64 v[140:141], v[140:141], v[146:147], -v[148:149]
	v_fma_f64 v[142:143], v[142:143], v[146:147], v[144:145]
	v_add_f64 v[3:4], v[3:4], v[140:141]
	v_add_f64 v[1:2], v[1:2], v[142:143]
	s_andn2_b32 exec_lo, exec_lo, s5
	s_cbranch_execnz .LBB127_177
; %bb.178:
	s_or_b32 exec_lo, exec_lo, s5
	v_mov_b32_e32 v7, 0
	ds_read_b128 v[140:143], v7 offset:608
	s_waitcnt lgkmcnt(0)
	v_mul_f64 v[7:8], v[1:2], v[142:143]
	v_mul_f64 v[137:138], v[3:4], v[142:143]
	v_fma_f64 v[3:4], v[3:4], v[140:141], -v[7:8]
	v_fma_f64 v[1:2], v[1:2], v[140:141], v[137:138]
	buffer_store_dword v4, off, s[0:3], 0 offset:628
	buffer_store_dword v3, off, s[0:3], 0 offset:624
	;; [unrolled: 1-line block ×4, first 2 shown]
.LBB127_179:
	s_or_b32 exec_lo, exec_lo, s4
	v_mov_b32_e32 v4, s39
	s_waitcnt_vscnt null, 0x0
	s_barrier
	buffer_gl0_inv
	s_mov_b32 s4, exec_lo
	s_clause 0x3
	buffer_load_dword v1, v4, s[0:3], 0 offen
	buffer_load_dword v2, v4, s[0:3], 0 offen offset:4
	buffer_load_dword v3, v4, s[0:3], 0 offen offset:8
	;; [unrolled: 1-line block ×3, first 2 shown]
	s_waitcnt vmcnt(0)
	ds_write_b128 v5, v[1:4]
	s_waitcnt lgkmcnt(0)
	s_barrier
	buffer_gl0_inv
	v_cmpx_gt_u32_e32 39, v0
	s_cbranch_execz .LBB127_183
; %bb.180:
	v_mov_b32_e32 v1, 0
	v_mov_b32_e32 v3, 0
	v_add_nc_u32_e32 v7, -1, v0
	v_or_b32_e32 v8, 0x400, v139
	v_mov_b32_e32 v2, 0
	v_mov_b32_e32 v4, 0
	v_add_nc_u32_e32 v137, 16, v139
	s_mov_b32 s5, 0
	.p2align	6
.LBB127_181:                            ; =>This Inner Loop Header: Depth=1
	s_clause 0x3
	buffer_load_dword v144, v137, s[0:3], 0 offen offset:8
	buffer_load_dword v145, v137, s[0:3], 0 offen offset:12
	buffer_load_dword v146, v137, s[0:3], 0 offen
	buffer_load_dword v147, v137, s[0:3], 0 offen offset:4
	ds_read_b128 v[140:143], v8
	v_add_nc_u32_e32 v7, 1, v7
	v_add_nc_u32_e32 v8, 16, v8
	;; [unrolled: 1-line block ×3, first 2 shown]
	v_cmp_lt_u32_e32 vcc_lo, 37, v7
	s_or_b32 s5, vcc_lo, s5
	s_waitcnt vmcnt(2) lgkmcnt(0)
	v_mul_f64 v[148:149], v[142:143], v[144:145]
	v_mul_f64 v[144:145], v[140:141], v[144:145]
	s_waitcnt vmcnt(0)
	v_fma_f64 v[140:141], v[140:141], v[146:147], -v[148:149]
	v_fma_f64 v[142:143], v[142:143], v[146:147], v[144:145]
	v_add_f64 v[3:4], v[3:4], v[140:141]
	v_add_f64 v[1:2], v[1:2], v[142:143]
	s_andn2_b32 exec_lo, exec_lo, s5
	s_cbranch_execnz .LBB127_181
; %bb.182:
	s_or_b32 exec_lo, exec_lo, s5
	v_mov_b32_e32 v7, 0
	ds_read_b128 v[140:143], v7 offset:624
	s_waitcnt lgkmcnt(0)
	v_mul_f64 v[7:8], v[1:2], v[142:143]
	v_mul_f64 v[137:138], v[3:4], v[142:143]
	v_fma_f64 v[3:4], v[3:4], v[140:141], -v[7:8]
	v_fma_f64 v[1:2], v[1:2], v[140:141], v[137:138]
	buffer_store_dword v4, off, s[0:3], 0 offset:644
	buffer_store_dword v3, off, s[0:3], 0 offset:640
	;; [unrolled: 1-line block ×4, first 2 shown]
.LBB127_183:
	s_or_b32 exec_lo, exec_lo, s4
	v_mov_b32_e32 v4, s38
	s_waitcnt_vscnt null, 0x0
	s_barrier
	buffer_gl0_inv
	s_mov_b32 s4, exec_lo
	s_clause 0x3
	buffer_load_dword v1, v4, s[0:3], 0 offen
	buffer_load_dword v2, v4, s[0:3], 0 offen offset:4
	buffer_load_dword v3, v4, s[0:3], 0 offen offset:8
	;; [unrolled: 1-line block ×3, first 2 shown]
	s_waitcnt vmcnt(0)
	ds_write_b128 v5, v[1:4]
	s_waitcnt lgkmcnt(0)
	s_barrier
	buffer_gl0_inv
	v_cmpx_gt_u32_e32 40, v0
	s_cbranch_execz .LBB127_187
; %bb.184:
	v_mov_b32_e32 v1, 0
	v_mov_b32_e32 v3, 0
	v_add_nc_u32_e32 v7, -1, v0
	v_or_b32_e32 v8, 0x400, v139
	v_mov_b32_e32 v2, 0
	v_mov_b32_e32 v4, 0
	v_add_nc_u32_e32 v137, 16, v139
	s_mov_b32 s5, 0
	.p2align	6
.LBB127_185:                            ; =>This Inner Loop Header: Depth=1
	s_clause 0x3
	buffer_load_dword v144, v137, s[0:3], 0 offen offset:8
	buffer_load_dword v145, v137, s[0:3], 0 offen offset:12
	buffer_load_dword v146, v137, s[0:3], 0 offen
	buffer_load_dword v147, v137, s[0:3], 0 offen offset:4
	ds_read_b128 v[140:143], v8
	v_add_nc_u32_e32 v7, 1, v7
	v_add_nc_u32_e32 v8, 16, v8
	;; [unrolled: 1-line block ×3, first 2 shown]
	v_cmp_lt_u32_e32 vcc_lo, 38, v7
	s_or_b32 s5, vcc_lo, s5
	s_waitcnt vmcnt(2) lgkmcnt(0)
	v_mul_f64 v[148:149], v[142:143], v[144:145]
	v_mul_f64 v[144:145], v[140:141], v[144:145]
	s_waitcnt vmcnt(0)
	v_fma_f64 v[140:141], v[140:141], v[146:147], -v[148:149]
	v_fma_f64 v[142:143], v[142:143], v[146:147], v[144:145]
	v_add_f64 v[3:4], v[3:4], v[140:141]
	v_add_f64 v[1:2], v[1:2], v[142:143]
	s_andn2_b32 exec_lo, exec_lo, s5
	s_cbranch_execnz .LBB127_185
; %bb.186:
	s_or_b32 exec_lo, exec_lo, s5
	v_mov_b32_e32 v7, 0
	ds_read_b128 v[140:143], v7 offset:640
	s_waitcnt lgkmcnt(0)
	v_mul_f64 v[7:8], v[1:2], v[142:143]
	v_mul_f64 v[137:138], v[3:4], v[142:143]
	v_fma_f64 v[3:4], v[3:4], v[140:141], -v[7:8]
	v_fma_f64 v[1:2], v[1:2], v[140:141], v[137:138]
	buffer_store_dword v4, off, s[0:3], 0 offset:660
	buffer_store_dword v3, off, s[0:3], 0 offset:656
	;; [unrolled: 1-line block ×4, first 2 shown]
.LBB127_187:
	s_or_b32 exec_lo, exec_lo, s4
	v_mov_b32_e32 v4, s37
	s_waitcnt_vscnt null, 0x0
	s_barrier
	buffer_gl0_inv
	s_mov_b32 s4, exec_lo
	s_clause 0x3
	buffer_load_dword v1, v4, s[0:3], 0 offen
	buffer_load_dword v2, v4, s[0:3], 0 offen offset:4
	buffer_load_dword v3, v4, s[0:3], 0 offen offset:8
	;; [unrolled: 1-line block ×3, first 2 shown]
	s_waitcnt vmcnt(0)
	ds_write_b128 v5, v[1:4]
	s_waitcnt lgkmcnt(0)
	s_barrier
	buffer_gl0_inv
	v_cmpx_gt_u32_e32 41, v0
	s_cbranch_execz .LBB127_191
; %bb.188:
	v_mov_b32_e32 v1, 0
	v_mov_b32_e32 v3, 0
	v_add_nc_u32_e32 v7, -1, v0
	v_or_b32_e32 v8, 0x400, v139
	v_mov_b32_e32 v2, 0
	v_mov_b32_e32 v4, 0
	v_add_nc_u32_e32 v137, 16, v139
	s_mov_b32 s5, 0
	.p2align	6
.LBB127_189:                            ; =>This Inner Loop Header: Depth=1
	s_clause 0x3
	buffer_load_dword v144, v137, s[0:3], 0 offen offset:8
	buffer_load_dword v145, v137, s[0:3], 0 offen offset:12
	buffer_load_dword v146, v137, s[0:3], 0 offen
	buffer_load_dword v147, v137, s[0:3], 0 offen offset:4
	ds_read_b128 v[140:143], v8
	v_add_nc_u32_e32 v7, 1, v7
	v_add_nc_u32_e32 v8, 16, v8
	;; [unrolled: 1-line block ×3, first 2 shown]
	v_cmp_lt_u32_e32 vcc_lo, 39, v7
	s_or_b32 s5, vcc_lo, s5
	s_waitcnt vmcnt(2) lgkmcnt(0)
	v_mul_f64 v[148:149], v[142:143], v[144:145]
	v_mul_f64 v[144:145], v[140:141], v[144:145]
	s_waitcnt vmcnt(0)
	v_fma_f64 v[140:141], v[140:141], v[146:147], -v[148:149]
	v_fma_f64 v[142:143], v[142:143], v[146:147], v[144:145]
	v_add_f64 v[3:4], v[3:4], v[140:141]
	v_add_f64 v[1:2], v[1:2], v[142:143]
	s_andn2_b32 exec_lo, exec_lo, s5
	s_cbranch_execnz .LBB127_189
; %bb.190:
	s_or_b32 exec_lo, exec_lo, s5
	v_mov_b32_e32 v7, 0
	ds_read_b128 v[140:143], v7 offset:656
	s_waitcnt lgkmcnt(0)
	v_mul_f64 v[7:8], v[1:2], v[142:143]
	v_mul_f64 v[137:138], v[3:4], v[142:143]
	v_fma_f64 v[3:4], v[3:4], v[140:141], -v[7:8]
	v_fma_f64 v[1:2], v[1:2], v[140:141], v[137:138]
	buffer_store_dword v4, off, s[0:3], 0 offset:676
	buffer_store_dword v3, off, s[0:3], 0 offset:672
	;; [unrolled: 1-line block ×4, first 2 shown]
.LBB127_191:
	s_or_b32 exec_lo, exec_lo, s4
	v_mov_b32_e32 v4, s36
	s_waitcnt_vscnt null, 0x0
	s_barrier
	buffer_gl0_inv
	s_mov_b32 s4, exec_lo
	s_clause 0x3
	buffer_load_dword v1, v4, s[0:3], 0 offen
	buffer_load_dword v2, v4, s[0:3], 0 offen offset:4
	buffer_load_dword v3, v4, s[0:3], 0 offen offset:8
	;; [unrolled: 1-line block ×3, first 2 shown]
	s_waitcnt vmcnt(0)
	ds_write_b128 v5, v[1:4]
	s_waitcnt lgkmcnt(0)
	s_barrier
	buffer_gl0_inv
	v_cmpx_gt_u32_e32 42, v0
	s_cbranch_execz .LBB127_195
; %bb.192:
	v_mov_b32_e32 v1, 0
	v_mov_b32_e32 v3, 0
	v_add_nc_u32_e32 v7, -1, v0
	v_or_b32_e32 v8, 0x400, v139
	v_mov_b32_e32 v2, 0
	v_mov_b32_e32 v4, 0
	v_add_nc_u32_e32 v137, 16, v139
	s_mov_b32 s5, 0
	.p2align	6
.LBB127_193:                            ; =>This Inner Loop Header: Depth=1
	s_clause 0x3
	buffer_load_dword v144, v137, s[0:3], 0 offen offset:8
	buffer_load_dword v145, v137, s[0:3], 0 offen offset:12
	buffer_load_dword v146, v137, s[0:3], 0 offen
	buffer_load_dword v147, v137, s[0:3], 0 offen offset:4
	ds_read_b128 v[140:143], v8
	v_add_nc_u32_e32 v7, 1, v7
	v_add_nc_u32_e32 v8, 16, v8
	;; [unrolled: 1-line block ×3, first 2 shown]
	v_cmp_lt_u32_e32 vcc_lo, 40, v7
	s_or_b32 s5, vcc_lo, s5
	s_waitcnt vmcnt(2) lgkmcnt(0)
	v_mul_f64 v[148:149], v[142:143], v[144:145]
	v_mul_f64 v[144:145], v[140:141], v[144:145]
	s_waitcnt vmcnt(0)
	v_fma_f64 v[140:141], v[140:141], v[146:147], -v[148:149]
	v_fma_f64 v[142:143], v[142:143], v[146:147], v[144:145]
	v_add_f64 v[3:4], v[3:4], v[140:141]
	v_add_f64 v[1:2], v[1:2], v[142:143]
	s_andn2_b32 exec_lo, exec_lo, s5
	s_cbranch_execnz .LBB127_193
; %bb.194:
	s_or_b32 exec_lo, exec_lo, s5
	v_mov_b32_e32 v7, 0
	ds_read_b128 v[140:143], v7 offset:672
	s_waitcnt lgkmcnt(0)
	v_mul_f64 v[7:8], v[1:2], v[142:143]
	v_mul_f64 v[137:138], v[3:4], v[142:143]
	v_fma_f64 v[3:4], v[3:4], v[140:141], -v[7:8]
	v_fma_f64 v[1:2], v[1:2], v[140:141], v[137:138]
	buffer_store_dword v4, off, s[0:3], 0 offset:692
	buffer_store_dword v3, off, s[0:3], 0 offset:688
	;; [unrolled: 1-line block ×4, first 2 shown]
.LBB127_195:
	s_or_b32 exec_lo, exec_lo, s4
	v_mov_b32_e32 v4, s35
	s_waitcnt_vscnt null, 0x0
	s_barrier
	buffer_gl0_inv
	s_mov_b32 s4, exec_lo
	s_clause 0x3
	buffer_load_dword v1, v4, s[0:3], 0 offen
	buffer_load_dword v2, v4, s[0:3], 0 offen offset:4
	buffer_load_dword v3, v4, s[0:3], 0 offen offset:8
	;; [unrolled: 1-line block ×3, first 2 shown]
	s_waitcnt vmcnt(0)
	ds_write_b128 v5, v[1:4]
	s_waitcnt lgkmcnt(0)
	s_barrier
	buffer_gl0_inv
	v_cmpx_gt_u32_e32 43, v0
	s_cbranch_execz .LBB127_199
; %bb.196:
	v_mov_b32_e32 v1, 0
	v_mov_b32_e32 v3, 0
	v_add_nc_u32_e32 v7, -1, v0
	v_or_b32_e32 v8, 0x400, v139
	v_mov_b32_e32 v2, 0
	v_mov_b32_e32 v4, 0
	v_add_nc_u32_e32 v137, 16, v139
	s_mov_b32 s5, 0
	.p2align	6
.LBB127_197:                            ; =>This Inner Loop Header: Depth=1
	s_clause 0x3
	buffer_load_dword v144, v137, s[0:3], 0 offen offset:8
	buffer_load_dword v145, v137, s[0:3], 0 offen offset:12
	buffer_load_dword v146, v137, s[0:3], 0 offen
	buffer_load_dword v147, v137, s[0:3], 0 offen offset:4
	ds_read_b128 v[140:143], v8
	v_add_nc_u32_e32 v7, 1, v7
	v_add_nc_u32_e32 v8, 16, v8
	;; [unrolled: 1-line block ×3, first 2 shown]
	v_cmp_lt_u32_e32 vcc_lo, 41, v7
	s_or_b32 s5, vcc_lo, s5
	s_waitcnt vmcnt(2) lgkmcnt(0)
	v_mul_f64 v[148:149], v[142:143], v[144:145]
	v_mul_f64 v[144:145], v[140:141], v[144:145]
	s_waitcnt vmcnt(0)
	v_fma_f64 v[140:141], v[140:141], v[146:147], -v[148:149]
	v_fma_f64 v[142:143], v[142:143], v[146:147], v[144:145]
	v_add_f64 v[3:4], v[3:4], v[140:141]
	v_add_f64 v[1:2], v[1:2], v[142:143]
	s_andn2_b32 exec_lo, exec_lo, s5
	s_cbranch_execnz .LBB127_197
; %bb.198:
	s_or_b32 exec_lo, exec_lo, s5
	v_mov_b32_e32 v7, 0
	ds_read_b128 v[140:143], v7 offset:688
	s_waitcnt lgkmcnt(0)
	v_mul_f64 v[7:8], v[1:2], v[142:143]
	v_mul_f64 v[137:138], v[3:4], v[142:143]
	v_fma_f64 v[3:4], v[3:4], v[140:141], -v[7:8]
	v_fma_f64 v[1:2], v[1:2], v[140:141], v[137:138]
	buffer_store_dword v4, off, s[0:3], 0 offset:708
	buffer_store_dword v3, off, s[0:3], 0 offset:704
	;; [unrolled: 1-line block ×4, first 2 shown]
.LBB127_199:
	s_or_b32 exec_lo, exec_lo, s4
	v_mov_b32_e32 v4, s34
	s_waitcnt_vscnt null, 0x0
	s_barrier
	buffer_gl0_inv
	s_mov_b32 s4, exec_lo
	s_clause 0x3
	buffer_load_dword v1, v4, s[0:3], 0 offen
	buffer_load_dword v2, v4, s[0:3], 0 offen offset:4
	buffer_load_dword v3, v4, s[0:3], 0 offen offset:8
	;; [unrolled: 1-line block ×3, first 2 shown]
	s_waitcnt vmcnt(0)
	ds_write_b128 v5, v[1:4]
	s_waitcnt lgkmcnt(0)
	s_barrier
	buffer_gl0_inv
	v_cmpx_gt_u32_e32 44, v0
	s_cbranch_execz .LBB127_203
; %bb.200:
	v_mov_b32_e32 v1, 0
	v_mov_b32_e32 v3, 0
	v_add_nc_u32_e32 v7, -1, v0
	v_or_b32_e32 v8, 0x400, v139
	v_mov_b32_e32 v2, 0
	v_mov_b32_e32 v4, 0
	v_add_nc_u32_e32 v137, 16, v139
	s_mov_b32 s5, 0
	.p2align	6
.LBB127_201:                            ; =>This Inner Loop Header: Depth=1
	s_clause 0x3
	buffer_load_dword v144, v137, s[0:3], 0 offen offset:8
	buffer_load_dword v145, v137, s[0:3], 0 offen offset:12
	buffer_load_dword v146, v137, s[0:3], 0 offen
	buffer_load_dword v147, v137, s[0:3], 0 offen offset:4
	ds_read_b128 v[140:143], v8
	v_add_nc_u32_e32 v7, 1, v7
	v_add_nc_u32_e32 v8, 16, v8
	;; [unrolled: 1-line block ×3, first 2 shown]
	v_cmp_lt_u32_e32 vcc_lo, 42, v7
	s_or_b32 s5, vcc_lo, s5
	s_waitcnt vmcnt(2) lgkmcnt(0)
	v_mul_f64 v[148:149], v[142:143], v[144:145]
	v_mul_f64 v[144:145], v[140:141], v[144:145]
	s_waitcnt vmcnt(0)
	v_fma_f64 v[140:141], v[140:141], v[146:147], -v[148:149]
	v_fma_f64 v[142:143], v[142:143], v[146:147], v[144:145]
	v_add_f64 v[3:4], v[3:4], v[140:141]
	v_add_f64 v[1:2], v[1:2], v[142:143]
	s_andn2_b32 exec_lo, exec_lo, s5
	s_cbranch_execnz .LBB127_201
; %bb.202:
	s_or_b32 exec_lo, exec_lo, s5
	v_mov_b32_e32 v7, 0
	ds_read_b128 v[140:143], v7 offset:704
	s_waitcnt lgkmcnt(0)
	v_mul_f64 v[7:8], v[1:2], v[142:143]
	v_mul_f64 v[137:138], v[3:4], v[142:143]
	v_fma_f64 v[3:4], v[3:4], v[140:141], -v[7:8]
	v_fma_f64 v[1:2], v[1:2], v[140:141], v[137:138]
	buffer_store_dword v4, off, s[0:3], 0 offset:724
	buffer_store_dword v3, off, s[0:3], 0 offset:720
	;; [unrolled: 1-line block ×4, first 2 shown]
.LBB127_203:
	s_or_b32 exec_lo, exec_lo, s4
	v_mov_b32_e32 v4, s33
	s_waitcnt_vscnt null, 0x0
	s_barrier
	buffer_gl0_inv
	s_mov_b32 s4, exec_lo
	s_clause 0x3
	buffer_load_dword v1, v4, s[0:3], 0 offen
	buffer_load_dword v2, v4, s[0:3], 0 offen offset:4
	buffer_load_dword v3, v4, s[0:3], 0 offen offset:8
	;; [unrolled: 1-line block ×3, first 2 shown]
	s_waitcnt vmcnt(0)
	ds_write_b128 v5, v[1:4]
	s_waitcnt lgkmcnt(0)
	s_barrier
	buffer_gl0_inv
	v_cmpx_gt_u32_e32 45, v0
	s_cbranch_execz .LBB127_207
; %bb.204:
	v_mov_b32_e32 v1, 0
	v_mov_b32_e32 v3, 0
	v_add_nc_u32_e32 v7, -1, v0
	v_or_b32_e32 v8, 0x400, v139
	v_mov_b32_e32 v2, 0
	v_mov_b32_e32 v4, 0
	v_add_nc_u32_e32 v137, 16, v139
	s_mov_b32 s5, 0
	.p2align	6
.LBB127_205:                            ; =>This Inner Loop Header: Depth=1
	s_clause 0x3
	buffer_load_dword v144, v137, s[0:3], 0 offen offset:8
	buffer_load_dword v145, v137, s[0:3], 0 offen offset:12
	buffer_load_dword v146, v137, s[0:3], 0 offen
	buffer_load_dword v147, v137, s[0:3], 0 offen offset:4
	ds_read_b128 v[140:143], v8
	v_add_nc_u32_e32 v7, 1, v7
	v_add_nc_u32_e32 v8, 16, v8
	;; [unrolled: 1-line block ×3, first 2 shown]
	v_cmp_lt_u32_e32 vcc_lo, 43, v7
	s_or_b32 s5, vcc_lo, s5
	s_waitcnt vmcnt(2) lgkmcnt(0)
	v_mul_f64 v[148:149], v[142:143], v[144:145]
	v_mul_f64 v[144:145], v[140:141], v[144:145]
	s_waitcnt vmcnt(0)
	v_fma_f64 v[140:141], v[140:141], v[146:147], -v[148:149]
	v_fma_f64 v[142:143], v[142:143], v[146:147], v[144:145]
	v_add_f64 v[3:4], v[3:4], v[140:141]
	v_add_f64 v[1:2], v[1:2], v[142:143]
	s_andn2_b32 exec_lo, exec_lo, s5
	s_cbranch_execnz .LBB127_205
; %bb.206:
	s_or_b32 exec_lo, exec_lo, s5
	v_mov_b32_e32 v7, 0
	ds_read_b128 v[140:143], v7 offset:720
	s_waitcnt lgkmcnt(0)
	v_mul_f64 v[7:8], v[1:2], v[142:143]
	v_mul_f64 v[137:138], v[3:4], v[142:143]
	v_fma_f64 v[3:4], v[3:4], v[140:141], -v[7:8]
	v_fma_f64 v[1:2], v[1:2], v[140:141], v[137:138]
	buffer_store_dword v4, off, s[0:3], 0 offset:740
	buffer_store_dword v3, off, s[0:3], 0 offset:736
	;; [unrolled: 1-line block ×4, first 2 shown]
.LBB127_207:
	s_or_b32 exec_lo, exec_lo, s4
	v_mov_b32_e32 v4, s31
	s_waitcnt_vscnt null, 0x0
	s_barrier
	buffer_gl0_inv
	s_mov_b32 s4, exec_lo
	s_clause 0x3
	buffer_load_dword v1, v4, s[0:3], 0 offen
	buffer_load_dword v2, v4, s[0:3], 0 offen offset:4
	buffer_load_dword v3, v4, s[0:3], 0 offen offset:8
	;; [unrolled: 1-line block ×3, first 2 shown]
	s_waitcnt vmcnt(0)
	ds_write_b128 v5, v[1:4]
	s_waitcnt lgkmcnt(0)
	s_barrier
	buffer_gl0_inv
	v_cmpx_gt_u32_e32 46, v0
	s_cbranch_execz .LBB127_211
; %bb.208:
	v_mov_b32_e32 v1, 0
	v_mov_b32_e32 v3, 0
	v_add_nc_u32_e32 v7, -1, v0
	v_or_b32_e32 v8, 0x400, v139
	v_mov_b32_e32 v2, 0
	v_mov_b32_e32 v4, 0
	v_add_nc_u32_e32 v137, 16, v139
	s_mov_b32 s5, 0
	.p2align	6
.LBB127_209:                            ; =>This Inner Loop Header: Depth=1
	s_clause 0x3
	buffer_load_dword v144, v137, s[0:3], 0 offen offset:8
	buffer_load_dword v145, v137, s[0:3], 0 offen offset:12
	buffer_load_dword v146, v137, s[0:3], 0 offen
	buffer_load_dword v147, v137, s[0:3], 0 offen offset:4
	ds_read_b128 v[140:143], v8
	v_add_nc_u32_e32 v7, 1, v7
	v_add_nc_u32_e32 v8, 16, v8
	;; [unrolled: 1-line block ×3, first 2 shown]
	v_cmp_lt_u32_e32 vcc_lo, 44, v7
	s_or_b32 s5, vcc_lo, s5
	s_waitcnt vmcnt(2) lgkmcnt(0)
	v_mul_f64 v[148:149], v[142:143], v[144:145]
	v_mul_f64 v[144:145], v[140:141], v[144:145]
	s_waitcnt vmcnt(0)
	v_fma_f64 v[140:141], v[140:141], v[146:147], -v[148:149]
	v_fma_f64 v[142:143], v[142:143], v[146:147], v[144:145]
	v_add_f64 v[3:4], v[3:4], v[140:141]
	v_add_f64 v[1:2], v[1:2], v[142:143]
	s_andn2_b32 exec_lo, exec_lo, s5
	s_cbranch_execnz .LBB127_209
; %bb.210:
	s_or_b32 exec_lo, exec_lo, s5
	v_mov_b32_e32 v7, 0
	ds_read_b128 v[140:143], v7 offset:736
	s_waitcnt lgkmcnt(0)
	v_mul_f64 v[7:8], v[1:2], v[142:143]
	v_mul_f64 v[137:138], v[3:4], v[142:143]
	v_fma_f64 v[3:4], v[3:4], v[140:141], -v[7:8]
	v_fma_f64 v[1:2], v[1:2], v[140:141], v[137:138]
	buffer_store_dword v4, off, s[0:3], 0 offset:756
	buffer_store_dword v3, off, s[0:3], 0 offset:752
	;; [unrolled: 1-line block ×4, first 2 shown]
.LBB127_211:
	s_or_b32 exec_lo, exec_lo, s4
	v_mov_b32_e32 v4, s30
	s_waitcnt_vscnt null, 0x0
	s_barrier
	buffer_gl0_inv
	s_mov_b32 s4, exec_lo
	s_clause 0x3
	buffer_load_dword v1, v4, s[0:3], 0 offen
	buffer_load_dword v2, v4, s[0:3], 0 offen offset:4
	buffer_load_dword v3, v4, s[0:3], 0 offen offset:8
	;; [unrolled: 1-line block ×3, first 2 shown]
	s_waitcnt vmcnt(0)
	ds_write_b128 v5, v[1:4]
	s_waitcnt lgkmcnt(0)
	s_barrier
	buffer_gl0_inv
	v_cmpx_gt_u32_e32 47, v0
	s_cbranch_execz .LBB127_215
; %bb.212:
	v_mov_b32_e32 v1, 0
	v_mov_b32_e32 v3, 0
	v_add_nc_u32_e32 v7, -1, v0
	v_or_b32_e32 v8, 0x400, v139
	v_mov_b32_e32 v2, 0
	v_mov_b32_e32 v4, 0
	v_add_nc_u32_e32 v137, 16, v139
	s_mov_b32 s5, 0
	.p2align	6
.LBB127_213:                            ; =>This Inner Loop Header: Depth=1
	s_clause 0x3
	buffer_load_dword v144, v137, s[0:3], 0 offen offset:8
	buffer_load_dword v145, v137, s[0:3], 0 offen offset:12
	buffer_load_dword v146, v137, s[0:3], 0 offen
	buffer_load_dword v147, v137, s[0:3], 0 offen offset:4
	ds_read_b128 v[140:143], v8
	v_add_nc_u32_e32 v7, 1, v7
	v_add_nc_u32_e32 v8, 16, v8
	;; [unrolled: 1-line block ×3, first 2 shown]
	v_cmp_lt_u32_e32 vcc_lo, 45, v7
	s_or_b32 s5, vcc_lo, s5
	s_waitcnt vmcnt(2) lgkmcnt(0)
	v_mul_f64 v[148:149], v[142:143], v[144:145]
	v_mul_f64 v[144:145], v[140:141], v[144:145]
	s_waitcnt vmcnt(0)
	v_fma_f64 v[140:141], v[140:141], v[146:147], -v[148:149]
	v_fma_f64 v[142:143], v[142:143], v[146:147], v[144:145]
	v_add_f64 v[3:4], v[3:4], v[140:141]
	v_add_f64 v[1:2], v[1:2], v[142:143]
	s_andn2_b32 exec_lo, exec_lo, s5
	s_cbranch_execnz .LBB127_213
; %bb.214:
	s_or_b32 exec_lo, exec_lo, s5
	v_mov_b32_e32 v7, 0
	ds_read_b128 v[140:143], v7 offset:752
	s_waitcnt lgkmcnt(0)
	v_mul_f64 v[7:8], v[1:2], v[142:143]
	v_mul_f64 v[137:138], v[3:4], v[142:143]
	v_fma_f64 v[3:4], v[3:4], v[140:141], -v[7:8]
	v_fma_f64 v[1:2], v[1:2], v[140:141], v[137:138]
	buffer_store_dword v4, off, s[0:3], 0 offset:772
	buffer_store_dword v3, off, s[0:3], 0 offset:768
	;; [unrolled: 1-line block ×4, first 2 shown]
.LBB127_215:
	s_or_b32 exec_lo, exec_lo, s4
	v_mov_b32_e32 v4, s29
	s_waitcnt_vscnt null, 0x0
	s_barrier
	buffer_gl0_inv
	s_mov_b32 s4, exec_lo
	s_clause 0x3
	buffer_load_dword v1, v4, s[0:3], 0 offen
	buffer_load_dword v2, v4, s[0:3], 0 offen offset:4
	buffer_load_dword v3, v4, s[0:3], 0 offen offset:8
	;; [unrolled: 1-line block ×3, first 2 shown]
	s_waitcnt vmcnt(0)
	ds_write_b128 v5, v[1:4]
	s_waitcnt lgkmcnt(0)
	s_barrier
	buffer_gl0_inv
	v_cmpx_gt_u32_e32 48, v0
	s_cbranch_execz .LBB127_219
; %bb.216:
	v_mov_b32_e32 v1, 0
	v_mov_b32_e32 v3, 0
	v_add_nc_u32_e32 v7, -1, v0
	v_or_b32_e32 v8, 0x400, v139
	v_mov_b32_e32 v2, 0
	v_mov_b32_e32 v4, 0
	v_add_nc_u32_e32 v137, 16, v139
	s_mov_b32 s5, 0
	.p2align	6
.LBB127_217:                            ; =>This Inner Loop Header: Depth=1
	s_clause 0x3
	buffer_load_dword v144, v137, s[0:3], 0 offen offset:8
	buffer_load_dword v145, v137, s[0:3], 0 offen offset:12
	buffer_load_dword v146, v137, s[0:3], 0 offen
	buffer_load_dword v147, v137, s[0:3], 0 offen offset:4
	ds_read_b128 v[140:143], v8
	v_add_nc_u32_e32 v7, 1, v7
	v_add_nc_u32_e32 v8, 16, v8
	;; [unrolled: 1-line block ×3, first 2 shown]
	v_cmp_lt_u32_e32 vcc_lo, 46, v7
	s_or_b32 s5, vcc_lo, s5
	s_waitcnt vmcnt(2) lgkmcnt(0)
	v_mul_f64 v[148:149], v[142:143], v[144:145]
	v_mul_f64 v[144:145], v[140:141], v[144:145]
	s_waitcnt vmcnt(0)
	v_fma_f64 v[140:141], v[140:141], v[146:147], -v[148:149]
	v_fma_f64 v[142:143], v[142:143], v[146:147], v[144:145]
	v_add_f64 v[3:4], v[3:4], v[140:141]
	v_add_f64 v[1:2], v[1:2], v[142:143]
	s_andn2_b32 exec_lo, exec_lo, s5
	s_cbranch_execnz .LBB127_217
; %bb.218:
	s_or_b32 exec_lo, exec_lo, s5
	v_mov_b32_e32 v7, 0
	ds_read_b128 v[140:143], v7 offset:768
	s_waitcnt lgkmcnt(0)
	v_mul_f64 v[7:8], v[1:2], v[142:143]
	v_mul_f64 v[137:138], v[3:4], v[142:143]
	v_fma_f64 v[3:4], v[3:4], v[140:141], -v[7:8]
	v_fma_f64 v[1:2], v[1:2], v[140:141], v[137:138]
	buffer_store_dword v4, off, s[0:3], 0 offset:788
	buffer_store_dword v3, off, s[0:3], 0 offset:784
	buffer_store_dword v2, off, s[0:3], 0 offset:796
	buffer_store_dword v1, off, s[0:3], 0 offset:792
.LBB127_219:
	s_or_b32 exec_lo, exec_lo, s4
	v_mov_b32_e32 v4, s28
	s_waitcnt_vscnt null, 0x0
	s_barrier
	buffer_gl0_inv
	s_mov_b32 s4, exec_lo
	s_clause 0x3
	buffer_load_dword v1, v4, s[0:3], 0 offen
	buffer_load_dword v2, v4, s[0:3], 0 offen offset:4
	buffer_load_dword v3, v4, s[0:3], 0 offen offset:8
	;; [unrolled: 1-line block ×3, first 2 shown]
	s_waitcnt vmcnt(0)
	ds_write_b128 v5, v[1:4]
	s_waitcnt lgkmcnt(0)
	s_barrier
	buffer_gl0_inv
	v_cmpx_gt_u32_e32 49, v0
	s_cbranch_execz .LBB127_223
; %bb.220:
	v_mov_b32_e32 v1, 0
	v_mov_b32_e32 v3, 0
	v_add_nc_u32_e32 v7, -1, v0
	v_or_b32_e32 v8, 0x400, v139
	v_mov_b32_e32 v2, 0
	v_mov_b32_e32 v4, 0
	v_add_nc_u32_e32 v137, 16, v139
	s_mov_b32 s5, 0
	.p2align	6
.LBB127_221:                            ; =>This Inner Loop Header: Depth=1
	s_clause 0x3
	buffer_load_dword v144, v137, s[0:3], 0 offen offset:8
	buffer_load_dword v145, v137, s[0:3], 0 offen offset:12
	buffer_load_dword v146, v137, s[0:3], 0 offen
	buffer_load_dword v147, v137, s[0:3], 0 offen offset:4
	ds_read_b128 v[140:143], v8
	v_add_nc_u32_e32 v7, 1, v7
	v_add_nc_u32_e32 v8, 16, v8
	v_add_nc_u32_e32 v137, 16, v137
	v_cmp_lt_u32_e32 vcc_lo, 47, v7
	s_or_b32 s5, vcc_lo, s5
	s_waitcnt vmcnt(2) lgkmcnt(0)
	v_mul_f64 v[148:149], v[142:143], v[144:145]
	v_mul_f64 v[144:145], v[140:141], v[144:145]
	s_waitcnt vmcnt(0)
	v_fma_f64 v[140:141], v[140:141], v[146:147], -v[148:149]
	v_fma_f64 v[142:143], v[142:143], v[146:147], v[144:145]
	v_add_f64 v[3:4], v[3:4], v[140:141]
	v_add_f64 v[1:2], v[1:2], v[142:143]
	s_andn2_b32 exec_lo, exec_lo, s5
	s_cbranch_execnz .LBB127_221
; %bb.222:
	s_or_b32 exec_lo, exec_lo, s5
	v_mov_b32_e32 v7, 0
	ds_read_b128 v[140:143], v7 offset:784
	s_waitcnt lgkmcnt(0)
	v_mul_f64 v[7:8], v[1:2], v[142:143]
	v_mul_f64 v[137:138], v[3:4], v[142:143]
	v_fma_f64 v[3:4], v[3:4], v[140:141], -v[7:8]
	v_fma_f64 v[1:2], v[1:2], v[140:141], v[137:138]
	buffer_store_dword v4, off, s[0:3], 0 offset:804
	buffer_store_dword v3, off, s[0:3], 0 offset:800
	;; [unrolled: 1-line block ×4, first 2 shown]
.LBB127_223:
	s_or_b32 exec_lo, exec_lo, s4
	v_mov_b32_e32 v4, s27
	s_waitcnt_vscnt null, 0x0
	s_barrier
	buffer_gl0_inv
	s_mov_b32 s4, exec_lo
	s_clause 0x3
	buffer_load_dword v1, v4, s[0:3], 0 offen
	buffer_load_dword v2, v4, s[0:3], 0 offen offset:4
	buffer_load_dword v3, v4, s[0:3], 0 offen offset:8
	;; [unrolled: 1-line block ×3, first 2 shown]
	s_waitcnt vmcnt(0)
	ds_write_b128 v5, v[1:4]
	s_waitcnt lgkmcnt(0)
	s_barrier
	buffer_gl0_inv
	v_cmpx_gt_u32_e32 50, v0
	s_cbranch_execz .LBB127_227
; %bb.224:
	v_mov_b32_e32 v1, 0
	v_mov_b32_e32 v3, 0
	v_add_nc_u32_e32 v7, -1, v0
	v_or_b32_e32 v8, 0x400, v139
	v_mov_b32_e32 v2, 0
	v_mov_b32_e32 v4, 0
	v_add_nc_u32_e32 v137, 16, v139
	s_mov_b32 s5, 0
	.p2align	6
.LBB127_225:                            ; =>This Inner Loop Header: Depth=1
	s_clause 0x3
	buffer_load_dword v144, v137, s[0:3], 0 offen offset:8
	buffer_load_dword v145, v137, s[0:3], 0 offen offset:12
	buffer_load_dword v146, v137, s[0:3], 0 offen
	buffer_load_dword v147, v137, s[0:3], 0 offen offset:4
	ds_read_b128 v[140:143], v8
	v_add_nc_u32_e32 v7, 1, v7
	v_add_nc_u32_e32 v8, 16, v8
	v_add_nc_u32_e32 v137, 16, v137
	v_cmp_lt_u32_e32 vcc_lo, 48, v7
	s_or_b32 s5, vcc_lo, s5
	s_waitcnt vmcnt(2) lgkmcnt(0)
	v_mul_f64 v[148:149], v[142:143], v[144:145]
	v_mul_f64 v[144:145], v[140:141], v[144:145]
	s_waitcnt vmcnt(0)
	v_fma_f64 v[140:141], v[140:141], v[146:147], -v[148:149]
	v_fma_f64 v[142:143], v[142:143], v[146:147], v[144:145]
	v_add_f64 v[3:4], v[3:4], v[140:141]
	v_add_f64 v[1:2], v[1:2], v[142:143]
	s_andn2_b32 exec_lo, exec_lo, s5
	s_cbranch_execnz .LBB127_225
; %bb.226:
	s_or_b32 exec_lo, exec_lo, s5
	v_mov_b32_e32 v7, 0
	ds_read_b128 v[140:143], v7 offset:800
	s_waitcnt lgkmcnt(0)
	v_mul_f64 v[7:8], v[1:2], v[142:143]
	v_mul_f64 v[137:138], v[3:4], v[142:143]
	v_fma_f64 v[3:4], v[3:4], v[140:141], -v[7:8]
	v_fma_f64 v[1:2], v[1:2], v[140:141], v[137:138]
	buffer_store_dword v4, off, s[0:3], 0 offset:820
	buffer_store_dword v3, off, s[0:3], 0 offset:816
	;; [unrolled: 1-line block ×4, first 2 shown]
.LBB127_227:
	s_or_b32 exec_lo, exec_lo, s4
	v_mov_b32_e32 v4, s26
	s_waitcnt_vscnt null, 0x0
	s_barrier
	buffer_gl0_inv
	s_mov_b32 s4, exec_lo
	s_clause 0x3
	buffer_load_dword v1, v4, s[0:3], 0 offen
	buffer_load_dword v2, v4, s[0:3], 0 offen offset:4
	buffer_load_dword v3, v4, s[0:3], 0 offen offset:8
	;; [unrolled: 1-line block ×3, first 2 shown]
	s_waitcnt vmcnt(0)
	ds_write_b128 v5, v[1:4]
	s_waitcnt lgkmcnt(0)
	s_barrier
	buffer_gl0_inv
	v_cmpx_gt_u32_e32 51, v0
	s_cbranch_execz .LBB127_231
; %bb.228:
	v_mov_b32_e32 v1, 0
	v_mov_b32_e32 v3, 0
	v_add_nc_u32_e32 v7, -1, v0
	v_or_b32_e32 v8, 0x400, v139
	v_mov_b32_e32 v2, 0
	v_mov_b32_e32 v4, 0
	v_add_nc_u32_e32 v137, 16, v139
	s_mov_b32 s5, 0
	.p2align	6
.LBB127_229:                            ; =>This Inner Loop Header: Depth=1
	s_clause 0x3
	buffer_load_dword v144, v137, s[0:3], 0 offen offset:8
	buffer_load_dword v145, v137, s[0:3], 0 offen offset:12
	buffer_load_dword v146, v137, s[0:3], 0 offen
	buffer_load_dword v147, v137, s[0:3], 0 offen offset:4
	ds_read_b128 v[140:143], v8
	v_add_nc_u32_e32 v7, 1, v7
	v_add_nc_u32_e32 v8, 16, v8
	;; [unrolled: 1-line block ×3, first 2 shown]
	v_cmp_lt_u32_e32 vcc_lo, 49, v7
	s_or_b32 s5, vcc_lo, s5
	s_waitcnt vmcnt(2) lgkmcnt(0)
	v_mul_f64 v[148:149], v[142:143], v[144:145]
	v_mul_f64 v[144:145], v[140:141], v[144:145]
	s_waitcnt vmcnt(0)
	v_fma_f64 v[140:141], v[140:141], v[146:147], -v[148:149]
	v_fma_f64 v[142:143], v[142:143], v[146:147], v[144:145]
	v_add_f64 v[3:4], v[3:4], v[140:141]
	v_add_f64 v[1:2], v[1:2], v[142:143]
	s_andn2_b32 exec_lo, exec_lo, s5
	s_cbranch_execnz .LBB127_229
; %bb.230:
	s_or_b32 exec_lo, exec_lo, s5
	v_mov_b32_e32 v7, 0
	ds_read_b128 v[140:143], v7 offset:816
	s_waitcnt lgkmcnt(0)
	v_mul_f64 v[7:8], v[1:2], v[142:143]
	v_mul_f64 v[137:138], v[3:4], v[142:143]
	v_fma_f64 v[3:4], v[3:4], v[140:141], -v[7:8]
	v_fma_f64 v[1:2], v[1:2], v[140:141], v[137:138]
	buffer_store_dword v4, off, s[0:3], 0 offset:836
	buffer_store_dword v3, off, s[0:3], 0 offset:832
	;; [unrolled: 1-line block ×4, first 2 shown]
.LBB127_231:
	s_or_b32 exec_lo, exec_lo, s4
	v_mov_b32_e32 v4, s25
	s_waitcnt_vscnt null, 0x0
	s_barrier
	buffer_gl0_inv
	s_mov_b32 s4, exec_lo
	s_clause 0x3
	buffer_load_dword v1, v4, s[0:3], 0 offen
	buffer_load_dword v2, v4, s[0:3], 0 offen offset:4
	buffer_load_dword v3, v4, s[0:3], 0 offen offset:8
	;; [unrolled: 1-line block ×3, first 2 shown]
	s_waitcnt vmcnt(0)
	ds_write_b128 v5, v[1:4]
	s_waitcnt lgkmcnt(0)
	s_barrier
	buffer_gl0_inv
	v_cmpx_gt_u32_e32 52, v0
	s_cbranch_execz .LBB127_235
; %bb.232:
	v_mov_b32_e32 v1, 0
	v_mov_b32_e32 v3, 0
	v_add_nc_u32_e32 v7, -1, v0
	v_or_b32_e32 v8, 0x400, v139
	v_mov_b32_e32 v2, 0
	v_mov_b32_e32 v4, 0
	v_add_nc_u32_e32 v137, 16, v139
	s_mov_b32 s5, 0
	.p2align	6
.LBB127_233:                            ; =>This Inner Loop Header: Depth=1
	s_clause 0x3
	buffer_load_dword v144, v137, s[0:3], 0 offen offset:8
	buffer_load_dword v145, v137, s[0:3], 0 offen offset:12
	buffer_load_dword v146, v137, s[0:3], 0 offen
	buffer_load_dword v147, v137, s[0:3], 0 offen offset:4
	ds_read_b128 v[140:143], v8
	v_add_nc_u32_e32 v7, 1, v7
	v_add_nc_u32_e32 v8, 16, v8
	;; [unrolled: 1-line block ×3, first 2 shown]
	v_cmp_lt_u32_e32 vcc_lo, 50, v7
	s_or_b32 s5, vcc_lo, s5
	s_waitcnt vmcnt(2) lgkmcnt(0)
	v_mul_f64 v[148:149], v[142:143], v[144:145]
	v_mul_f64 v[144:145], v[140:141], v[144:145]
	s_waitcnt vmcnt(0)
	v_fma_f64 v[140:141], v[140:141], v[146:147], -v[148:149]
	v_fma_f64 v[142:143], v[142:143], v[146:147], v[144:145]
	v_add_f64 v[3:4], v[3:4], v[140:141]
	v_add_f64 v[1:2], v[1:2], v[142:143]
	s_andn2_b32 exec_lo, exec_lo, s5
	s_cbranch_execnz .LBB127_233
; %bb.234:
	s_or_b32 exec_lo, exec_lo, s5
	v_mov_b32_e32 v7, 0
	ds_read_b128 v[140:143], v7 offset:832
	s_waitcnt lgkmcnt(0)
	v_mul_f64 v[7:8], v[1:2], v[142:143]
	v_mul_f64 v[137:138], v[3:4], v[142:143]
	v_fma_f64 v[3:4], v[3:4], v[140:141], -v[7:8]
	v_fma_f64 v[1:2], v[1:2], v[140:141], v[137:138]
	buffer_store_dword v4, off, s[0:3], 0 offset:852
	buffer_store_dword v3, off, s[0:3], 0 offset:848
	;; [unrolled: 1-line block ×4, first 2 shown]
.LBB127_235:
	s_or_b32 exec_lo, exec_lo, s4
	v_mov_b32_e32 v4, s24
	s_waitcnt_vscnt null, 0x0
	s_barrier
	buffer_gl0_inv
	s_mov_b32 s4, exec_lo
	s_clause 0x3
	buffer_load_dword v1, v4, s[0:3], 0 offen
	buffer_load_dword v2, v4, s[0:3], 0 offen offset:4
	buffer_load_dword v3, v4, s[0:3], 0 offen offset:8
	;; [unrolled: 1-line block ×3, first 2 shown]
	s_waitcnt vmcnt(0)
	ds_write_b128 v5, v[1:4]
	s_waitcnt lgkmcnt(0)
	s_barrier
	buffer_gl0_inv
	v_cmpx_gt_u32_e32 53, v0
	s_cbranch_execz .LBB127_239
; %bb.236:
	v_mov_b32_e32 v1, 0
	v_mov_b32_e32 v3, 0
	v_add_nc_u32_e32 v7, -1, v0
	v_or_b32_e32 v8, 0x400, v139
	v_mov_b32_e32 v2, 0
	v_mov_b32_e32 v4, 0
	v_add_nc_u32_e32 v137, 16, v139
	s_mov_b32 s5, 0
	.p2align	6
.LBB127_237:                            ; =>This Inner Loop Header: Depth=1
	s_clause 0x3
	buffer_load_dword v144, v137, s[0:3], 0 offen offset:8
	buffer_load_dword v145, v137, s[0:3], 0 offen offset:12
	buffer_load_dword v146, v137, s[0:3], 0 offen
	buffer_load_dword v147, v137, s[0:3], 0 offen offset:4
	ds_read_b128 v[140:143], v8
	v_add_nc_u32_e32 v7, 1, v7
	v_add_nc_u32_e32 v8, 16, v8
	;; [unrolled: 1-line block ×3, first 2 shown]
	v_cmp_lt_u32_e32 vcc_lo, 51, v7
	s_or_b32 s5, vcc_lo, s5
	s_waitcnt vmcnt(2) lgkmcnt(0)
	v_mul_f64 v[148:149], v[142:143], v[144:145]
	v_mul_f64 v[144:145], v[140:141], v[144:145]
	s_waitcnt vmcnt(0)
	v_fma_f64 v[140:141], v[140:141], v[146:147], -v[148:149]
	v_fma_f64 v[142:143], v[142:143], v[146:147], v[144:145]
	v_add_f64 v[3:4], v[3:4], v[140:141]
	v_add_f64 v[1:2], v[1:2], v[142:143]
	s_andn2_b32 exec_lo, exec_lo, s5
	s_cbranch_execnz .LBB127_237
; %bb.238:
	s_or_b32 exec_lo, exec_lo, s5
	v_mov_b32_e32 v7, 0
	ds_read_b128 v[140:143], v7 offset:848
	s_waitcnt lgkmcnt(0)
	v_mul_f64 v[7:8], v[1:2], v[142:143]
	v_mul_f64 v[137:138], v[3:4], v[142:143]
	v_fma_f64 v[3:4], v[3:4], v[140:141], -v[7:8]
	v_fma_f64 v[1:2], v[1:2], v[140:141], v[137:138]
	buffer_store_dword v4, off, s[0:3], 0 offset:868
	buffer_store_dword v3, off, s[0:3], 0 offset:864
	;; [unrolled: 1-line block ×4, first 2 shown]
.LBB127_239:
	s_or_b32 exec_lo, exec_lo, s4
	v_mov_b32_e32 v4, s23
	s_waitcnt_vscnt null, 0x0
	s_barrier
	buffer_gl0_inv
	s_mov_b32 s4, exec_lo
	s_clause 0x3
	buffer_load_dword v1, v4, s[0:3], 0 offen
	buffer_load_dword v2, v4, s[0:3], 0 offen offset:4
	buffer_load_dword v3, v4, s[0:3], 0 offen offset:8
	;; [unrolled: 1-line block ×3, first 2 shown]
	s_waitcnt vmcnt(0)
	ds_write_b128 v5, v[1:4]
	s_waitcnt lgkmcnt(0)
	s_barrier
	buffer_gl0_inv
	v_cmpx_gt_u32_e32 54, v0
	s_cbranch_execz .LBB127_243
; %bb.240:
	v_mov_b32_e32 v1, 0
	v_mov_b32_e32 v3, 0
	v_add_nc_u32_e32 v7, -1, v0
	v_or_b32_e32 v8, 0x400, v139
	v_mov_b32_e32 v2, 0
	v_mov_b32_e32 v4, 0
	v_add_nc_u32_e32 v137, 16, v139
	s_mov_b32 s5, 0
	.p2align	6
.LBB127_241:                            ; =>This Inner Loop Header: Depth=1
	s_clause 0x3
	buffer_load_dword v144, v137, s[0:3], 0 offen offset:8
	buffer_load_dword v145, v137, s[0:3], 0 offen offset:12
	buffer_load_dword v146, v137, s[0:3], 0 offen
	buffer_load_dword v147, v137, s[0:3], 0 offen offset:4
	ds_read_b128 v[140:143], v8
	v_add_nc_u32_e32 v7, 1, v7
	v_add_nc_u32_e32 v8, 16, v8
	;; [unrolled: 1-line block ×3, first 2 shown]
	v_cmp_lt_u32_e32 vcc_lo, 52, v7
	s_or_b32 s5, vcc_lo, s5
	s_waitcnt vmcnt(2) lgkmcnt(0)
	v_mul_f64 v[148:149], v[142:143], v[144:145]
	v_mul_f64 v[144:145], v[140:141], v[144:145]
	s_waitcnt vmcnt(0)
	v_fma_f64 v[140:141], v[140:141], v[146:147], -v[148:149]
	v_fma_f64 v[142:143], v[142:143], v[146:147], v[144:145]
	v_add_f64 v[3:4], v[3:4], v[140:141]
	v_add_f64 v[1:2], v[1:2], v[142:143]
	s_andn2_b32 exec_lo, exec_lo, s5
	s_cbranch_execnz .LBB127_241
; %bb.242:
	s_or_b32 exec_lo, exec_lo, s5
	v_mov_b32_e32 v7, 0
	ds_read_b128 v[140:143], v7 offset:864
	s_waitcnt lgkmcnt(0)
	v_mul_f64 v[7:8], v[1:2], v[142:143]
	v_mul_f64 v[137:138], v[3:4], v[142:143]
	v_fma_f64 v[3:4], v[3:4], v[140:141], -v[7:8]
	v_fma_f64 v[1:2], v[1:2], v[140:141], v[137:138]
	buffer_store_dword v4, off, s[0:3], 0 offset:884
	buffer_store_dword v3, off, s[0:3], 0 offset:880
	;; [unrolled: 1-line block ×4, first 2 shown]
.LBB127_243:
	s_or_b32 exec_lo, exec_lo, s4
	v_mov_b32_e32 v4, s22
	s_waitcnt_vscnt null, 0x0
	s_barrier
	buffer_gl0_inv
	s_mov_b32 s4, exec_lo
	s_clause 0x3
	buffer_load_dword v1, v4, s[0:3], 0 offen
	buffer_load_dword v2, v4, s[0:3], 0 offen offset:4
	buffer_load_dword v3, v4, s[0:3], 0 offen offset:8
	;; [unrolled: 1-line block ×3, first 2 shown]
	s_waitcnt vmcnt(0)
	ds_write_b128 v5, v[1:4]
	s_waitcnt lgkmcnt(0)
	s_barrier
	buffer_gl0_inv
	v_cmpx_gt_u32_e32 55, v0
	s_cbranch_execz .LBB127_247
; %bb.244:
	v_mov_b32_e32 v1, 0
	v_mov_b32_e32 v3, 0
	v_add_nc_u32_e32 v7, -1, v0
	v_or_b32_e32 v8, 0x400, v139
	v_mov_b32_e32 v2, 0
	v_mov_b32_e32 v4, 0
	v_add_nc_u32_e32 v137, 16, v139
	s_mov_b32 s5, 0
	.p2align	6
.LBB127_245:                            ; =>This Inner Loop Header: Depth=1
	s_clause 0x3
	buffer_load_dword v144, v137, s[0:3], 0 offen offset:8
	buffer_load_dword v145, v137, s[0:3], 0 offen offset:12
	buffer_load_dword v146, v137, s[0:3], 0 offen
	buffer_load_dword v147, v137, s[0:3], 0 offen offset:4
	ds_read_b128 v[140:143], v8
	v_add_nc_u32_e32 v7, 1, v7
	v_add_nc_u32_e32 v8, 16, v8
	;; [unrolled: 1-line block ×3, first 2 shown]
	v_cmp_lt_u32_e32 vcc_lo, 53, v7
	s_or_b32 s5, vcc_lo, s5
	s_waitcnt vmcnt(2) lgkmcnt(0)
	v_mul_f64 v[148:149], v[142:143], v[144:145]
	v_mul_f64 v[144:145], v[140:141], v[144:145]
	s_waitcnt vmcnt(0)
	v_fma_f64 v[140:141], v[140:141], v[146:147], -v[148:149]
	v_fma_f64 v[142:143], v[142:143], v[146:147], v[144:145]
	v_add_f64 v[3:4], v[3:4], v[140:141]
	v_add_f64 v[1:2], v[1:2], v[142:143]
	s_andn2_b32 exec_lo, exec_lo, s5
	s_cbranch_execnz .LBB127_245
; %bb.246:
	s_or_b32 exec_lo, exec_lo, s5
	v_mov_b32_e32 v7, 0
	ds_read_b128 v[140:143], v7 offset:880
	s_waitcnt lgkmcnt(0)
	v_mul_f64 v[7:8], v[1:2], v[142:143]
	v_mul_f64 v[137:138], v[3:4], v[142:143]
	v_fma_f64 v[3:4], v[3:4], v[140:141], -v[7:8]
	v_fma_f64 v[1:2], v[1:2], v[140:141], v[137:138]
	buffer_store_dword v4, off, s[0:3], 0 offset:900
	buffer_store_dword v3, off, s[0:3], 0 offset:896
	;; [unrolled: 1-line block ×4, first 2 shown]
.LBB127_247:
	s_or_b32 exec_lo, exec_lo, s4
	v_mov_b32_e32 v4, s21
	s_waitcnt_vscnt null, 0x0
	s_barrier
	buffer_gl0_inv
	s_mov_b32 s4, exec_lo
	s_clause 0x3
	buffer_load_dword v1, v4, s[0:3], 0 offen
	buffer_load_dword v2, v4, s[0:3], 0 offen offset:4
	buffer_load_dword v3, v4, s[0:3], 0 offen offset:8
	;; [unrolled: 1-line block ×3, first 2 shown]
	s_waitcnt vmcnt(0)
	ds_write_b128 v5, v[1:4]
	s_waitcnt lgkmcnt(0)
	s_barrier
	buffer_gl0_inv
	v_cmpx_gt_u32_e32 56, v0
	s_cbranch_execz .LBB127_251
; %bb.248:
	v_mov_b32_e32 v1, 0
	v_mov_b32_e32 v3, 0
	v_add_nc_u32_e32 v7, -1, v0
	v_or_b32_e32 v8, 0x400, v139
	v_mov_b32_e32 v2, 0
	v_mov_b32_e32 v4, 0
	v_add_nc_u32_e32 v137, 16, v139
	s_mov_b32 s5, 0
	.p2align	6
.LBB127_249:                            ; =>This Inner Loop Header: Depth=1
	s_clause 0x3
	buffer_load_dword v144, v137, s[0:3], 0 offen offset:8
	buffer_load_dword v145, v137, s[0:3], 0 offen offset:12
	buffer_load_dword v146, v137, s[0:3], 0 offen
	buffer_load_dword v147, v137, s[0:3], 0 offen offset:4
	ds_read_b128 v[140:143], v8
	v_add_nc_u32_e32 v7, 1, v7
	v_add_nc_u32_e32 v8, 16, v8
	;; [unrolled: 1-line block ×3, first 2 shown]
	v_cmp_lt_u32_e32 vcc_lo, 54, v7
	s_or_b32 s5, vcc_lo, s5
	s_waitcnt vmcnt(2) lgkmcnt(0)
	v_mul_f64 v[148:149], v[142:143], v[144:145]
	v_mul_f64 v[144:145], v[140:141], v[144:145]
	s_waitcnt vmcnt(0)
	v_fma_f64 v[140:141], v[140:141], v[146:147], -v[148:149]
	v_fma_f64 v[142:143], v[142:143], v[146:147], v[144:145]
	v_add_f64 v[3:4], v[3:4], v[140:141]
	v_add_f64 v[1:2], v[1:2], v[142:143]
	s_andn2_b32 exec_lo, exec_lo, s5
	s_cbranch_execnz .LBB127_249
; %bb.250:
	s_or_b32 exec_lo, exec_lo, s5
	v_mov_b32_e32 v7, 0
	ds_read_b128 v[140:143], v7 offset:896
	s_waitcnt lgkmcnt(0)
	v_mul_f64 v[7:8], v[1:2], v[142:143]
	v_mul_f64 v[137:138], v[3:4], v[142:143]
	v_fma_f64 v[3:4], v[3:4], v[140:141], -v[7:8]
	v_fma_f64 v[1:2], v[1:2], v[140:141], v[137:138]
	buffer_store_dword v4, off, s[0:3], 0 offset:916
	buffer_store_dword v3, off, s[0:3], 0 offset:912
	;; [unrolled: 1-line block ×4, first 2 shown]
.LBB127_251:
	s_or_b32 exec_lo, exec_lo, s4
	v_mov_b32_e32 v4, s20
	s_waitcnt_vscnt null, 0x0
	s_barrier
	buffer_gl0_inv
	s_mov_b32 s4, exec_lo
	s_clause 0x3
	buffer_load_dword v1, v4, s[0:3], 0 offen
	buffer_load_dword v2, v4, s[0:3], 0 offen offset:4
	buffer_load_dword v3, v4, s[0:3], 0 offen offset:8
	;; [unrolled: 1-line block ×3, first 2 shown]
	s_waitcnt vmcnt(0)
	ds_write_b128 v5, v[1:4]
	s_waitcnt lgkmcnt(0)
	s_barrier
	buffer_gl0_inv
	v_cmpx_gt_u32_e32 57, v0
	s_cbranch_execz .LBB127_255
; %bb.252:
	v_mov_b32_e32 v1, 0
	v_mov_b32_e32 v3, 0
	v_add_nc_u32_e32 v7, -1, v0
	v_or_b32_e32 v8, 0x400, v139
	v_mov_b32_e32 v2, 0
	v_mov_b32_e32 v4, 0
	v_add_nc_u32_e32 v137, 16, v139
	s_mov_b32 s5, 0
	.p2align	6
.LBB127_253:                            ; =>This Inner Loop Header: Depth=1
	s_clause 0x3
	buffer_load_dword v144, v137, s[0:3], 0 offen offset:8
	buffer_load_dword v145, v137, s[0:3], 0 offen offset:12
	buffer_load_dword v146, v137, s[0:3], 0 offen
	buffer_load_dword v147, v137, s[0:3], 0 offen offset:4
	ds_read_b128 v[140:143], v8
	v_add_nc_u32_e32 v7, 1, v7
	v_add_nc_u32_e32 v8, 16, v8
	;; [unrolled: 1-line block ×3, first 2 shown]
	v_cmp_lt_u32_e32 vcc_lo, 55, v7
	s_or_b32 s5, vcc_lo, s5
	s_waitcnt vmcnt(2) lgkmcnt(0)
	v_mul_f64 v[148:149], v[142:143], v[144:145]
	v_mul_f64 v[144:145], v[140:141], v[144:145]
	s_waitcnt vmcnt(0)
	v_fma_f64 v[140:141], v[140:141], v[146:147], -v[148:149]
	v_fma_f64 v[142:143], v[142:143], v[146:147], v[144:145]
	v_add_f64 v[3:4], v[3:4], v[140:141]
	v_add_f64 v[1:2], v[1:2], v[142:143]
	s_andn2_b32 exec_lo, exec_lo, s5
	s_cbranch_execnz .LBB127_253
; %bb.254:
	s_or_b32 exec_lo, exec_lo, s5
	v_mov_b32_e32 v7, 0
	ds_read_b128 v[140:143], v7 offset:912
	s_waitcnt lgkmcnt(0)
	v_mul_f64 v[7:8], v[1:2], v[142:143]
	v_mul_f64 v[137:138], v[3:4], v[142:143]
	v_fma_f64 v[3:4], v[3:4], v[140:141], -v[7:8]
	v_fma_f64 v[1:2], v[1:2], v[140:141], v[137:138]
	buffer_store_dword v4, off, s[0:3], 0 offset:932
	buffer_store_dword v3, off, s[0:3], 0 offset:928
	;; [unrolled: 1-line block ×4, first 2 shown]
.LBB127_255:
	s_or_b32 exec_lo, exec_lo, s4
	v_mov_b32_e32 v4, s19
	s_waitcnt_vscnt null, 0x0
	s_barrier
	buffer_gl0_inv
	s_mov_b32 s4, exec_lo
	s_clause 0x3
	buffer_load_dword v1, v4, s[0:3], 0 offen
	buffer_load_dword v2, v4, s[0:3], 0 offen offset:4
	buffer_load_dword v3, v4, s[0:3], 0 offen offset:8
	buffer_load_dword v4, v4, s[0:3], 0 offen offset:12
	s_waitcnt vmcnt(0)
	ds_write_b128 v5, v[1:4]
	s_waitcnt lgkmcnt(0)
	s_barrier
	buffer_gl0_inv
	v_cmpx_gt_u32_e32 58, v0
	s_cbranch_execz .LBB127_259
; %bb.256:
	v_mov_b32_e32 v1, 0
	v_mov_b32_e32 v3, 0
	v_add_nc_u32_e32 v7, -1, v0
	v_or_b32_e32 v8, 0x400, v139
	v_mov_b32_e32 v2, 0
	v_mov_b32_e32 v4, 0
	v_add_nc_u32_e32 v137, 16, v139
	s_mov_b32 s5, 0
	.p2align	6
.LBB127_257:                            ; =>This Inner Loop Header: Depth=1
	s_clause 0x3
	buffer_load_dword v144, v137, s[0:3], 0 offen offset:8
	buffer_load_dword v145, v137, s[0:3], 0 offen offset:12
	buffer_load_dword v146, v137, s[0:3], 0 offen
	buffer_load_dword v147, v137, s[0:3], 0 offen offset:4
	ds_read_b128 v[140:143], v8
	v_add_nc_u32_e32 v7, 1, v7
	v_add_nc_u32_e32 v8, 16, v8
	v_add_nc_u32_e32 v137, 16, v137
	v_cmp_lt_u32_e32 vcc_lo, 56, v7
	s_or_b32 s5, vcc_lo, s5
	s_waitcnt vmcnt(2) lgkmcnt(0)
	v_mul_f64 v[148:149], v[142:143], v[144:145]
	v_mul_f64 v[144:145], v[140:141], v[144:145]
	s_waitcnt vmcnt(0)
	v_fma_f64 v[140:141], v[140:141], v[146:147], -v[148:149]
	v_fma_f64 v[142:143], v[142:143], v[146:147], v[144:145]
	v_add_f64 v[3:4], v[3:4], v[140:141]
	v_add_f64 v[1:2], v[1:2], v[142:143]
	s_andn2_b32 exec_lo, exec_lo, s5
	s_cbranch_execnz .LBB127_257
; %bb.258:
	s_or_b32 exec_lo, exec_lo, s5
	v_mov_b32_e32 v7, 0
	ds_read_b128 v[140:143], v7 offset:928
	s_waitcnt lgkmcnt(0)
	v_mul_f64 v[7:8], v[1:2], v[142:143]
	v_mul_f64 v[137:138], v[3:4], v[142:143]
	v_fma_f64 v[3:4], v[3:4], v[140:141], -v[7:8]
	v_fma_f64 v[1:2], v[1:2], v[140:141], v[137:138]
	buffer_store_dword v4, off, s[0:3], 0 offset:948
	buffer_store_dword v3, off, s[0:3], 0 offset:944
	;; [unrolled: 1-line block ×4, first 2 shown]
.LBB127_259:
	s_or_b32 exec_lo, exec_lo, s4
	v_mov_b32_e32 v4, s18
	s_waitcnt_vscnt null, 0x0
	s_barrier
	buffer_gl0_inv
	s_mov_b32 s4, exec_lo
	s_clause 0x3
	buffer_load_dword v1, v4, s[0:3], 0 offen
	buffer_load_dword v2, v4, s[0:3], 0 offen offset:4
	buffer_load_dword v3, v4, s[0:3], 0 offen offset:8
	;; [unrolled: 1-line block ×3, first 2 shown]
	s_waitcnt vmcnt(0)
	ds_write_b128 v5, v[1:4]
	s_waitcnt lgkmcnt(0)
	s_barrier
	buffer_gl0_inv
	v_cmpx_gt_u32_e32 59, v0
	s_cbranch_execz .LBB127_263
; %bb.260:
	v_mov_b32_e32 v1, 0
	v_mov_b32_e32 v3, 0
	v_add_nc_u32_e32 v7, -1, v0
	v_or_b32_e32 v8, 0x400, v139
	v_mov_b32_e32 v2, 0
	v_mov_b32_e32 v4, 0
	v_add_nc_u32_e32 v137, 16, v139
	s_mov_b32 s5, 0
	.p2align	6
.LBB127_261:                            ; =>This Inner Loop Header: Depth=1
	s_clause 0x3
	buffer_load_dword v144, v137, s[0:3], 0 offen offset:8
	buffer_load_dword v145, v137, s[0:3], 0 offen offset:12
	buffer_load_dword v146, v137, s[0:3], 0 offen
	buffer_load_dword v147, v137, s[0:3], 0 offen offset:4
	ds_read_b128 v[140:143], v8
	v_add_nc_u32_e32 v7, 1, v7
	v_add_nc_u32_e32 v8, 16, v8
	;; [unrolled: 1-line block ×3, first 2 shown]
	v_cmp_lt_u32_e32 vcc_lo, 57, v7
	s_or_b32 s5, vcc_lo, s5
	s_waitcnt vmcnt(2) lgkmcnt(0)
	v_mul_f64 v[148:149], v[142:143], v[144:145]
	v_mul_f64 v[144:145], v[140:141], v[144:145]
	s_waitcnt vmcnt(0)
	v_fma_f64 v[140:141], v[140:141], v[146:147], -v[148:149]
	v_fma_f64 v[142:143], v[142:143], v[146:147], v[144:145]
	v_add_f64 v[3:4], v[3:4], v[140:141]
	v_add_f64 v[1:2], v[1:2], v[142:143]
	s_andn2_b32 exec_lo, exec_lo, s5
	s_cbranch_execnz .LBB127_261
; %bb.262:
	s_or_b32 exec_lo, exec_lo, s5
	v_mov_b32_e32 v7, 0
	ds_read_b128 v[140:143], v7 offset:944
	s_waitcnt lgkmcnt(0)
	v_mul_f64 v[7:8], v[1:2], v[142:143]
	v_mul_f64 v[137:138], v[3:4], v[142:143]
	v_fma_f64 v[3:4], v[3:4], v[140:141], -v[7:8]
	v_fma_f64 v[1:2], v[1:2], v[140:141], v[137:138]
	buffer_store_dword v4, off, s[0:3], 0 offset:964
	buffer_store_dword v3, off, s[0:3], 0 offset:960
	buffer_store_dword v2, off, s[0:3], 0 offset:972
	buffer_store_dword v1, off, s[0:3], 0 offset:968
.LBB127_263:
	s_or_b32 exec_lo, exec_lo, s4
	v_mov_b32_e32 v4, s17
	s_waitcnt_vscnt null, 0x0
	s_barrier
	buffer_gl0_inv
	s_mov_b32 s4, exec_lo
	s_clause 0x3
	buffer_load_dword v1, v4, s[0:3], 0 offen
	buffer_load_dword v2, v4, s[0:3], 0 offen offset:4
	buffer_load_dword v3, v4, s[0:3], 0 offen offset:8
	;; [unrolled: 1-line block ×3, first 2 shown]
	s_waitcnt vmcnt(0)
	ds_write_b128 v5, v[1:4]
	s_waitcnt lgkmcnt(0)
	s_barrier
	buffer_gl0_inv
	v_cmpx_gt_u32_e32 60, v0
	s_cbranch_execz .LBB127_267
; %bb.264:
	v_mov_b32_e32 v1, 0
	v_mov_b32_e32 v3, 0
	v_add_nc_u32_e32 v7, -1, v0
	v_or_b32_e32 v8, 0x400, v139
	v_mov_b32_e32 v2, 0
	v_mov_b32_e32 v4, 0
	v_add_nc_u32_e32 v137, 16, v139
	s_mov_b32 s5, 0
	.p2align	6
.LBB127_265:                            ; =>This Inner Loop Header: Depth=1
	s_clause 0x3
	buffer_load_dword v144, v137, s[0:3], 0 offen offset:8
	buffer_load_dword v145, v137, s[0:3], 0 offen offset:12
	buffer_load_dword v146, v137, s[0:3], 0 offen
	buffer_load_dword v147, v137, s[0:3], 0 offen offset:4
	ds_read_b128 v[140:143], v8
	v_add_nc_u32_e32 v7, 1, v7
	v_add_nc_u32_e32 v8, 16, v8
	;; [unrolled: 1-line block ×3, first 2 shown]
	v_cmp_lt_u32_e32 vcc_lo, 58, v7
	s_or_b32 s5, vcc_lo, s5
	s_waitcnt vmcnt(2) lgkmcnt(0)
	v_mul_f64 v[148:149], v[142:143], v[144:145]
	v_mul_f64 v[144:145], v[140:141], v[144:145]
	s_waitcnt vmcnt(0)
	v_fma_f64 v[140:141], v[140:141], v[146:147], -v[148:149]
	v_fma_f64 v[142:143], v[142:143], v[146:147], v[144:145]
	v_add_f64 v[3:4], v[3:4], v[140:141]
	v_add_f64 v[1:2], v[1:2], v[142:143]
	s_andn2_b32 exec_lo, exec_lo, s5
	s_cbranch_execnz .LBB127_265
; %bb.266:
	s_or_b32 exec_lo, exec_lo, s5
	v_mov_b32_e32 v7, 0
	ds_read_b128 v[140:143], v7 offset:960
	s_waitcnt lgkmcnt(0)
	v_mul_f64 v[7:8], v[1:2], v[142:143]
	v_mul_f64 v[137:138], v[3:4], v[142:143]
	v_fma_f64 v[3:4], v[3:4], v[140:141], -v[7:8]
	v_fma_f64 v[1:2], v[1:2], v[140:141], v[137:138]
	buffer_store_dword v4, off, s[0:3], 0 offset:980
	buffer_store_dword v3, off, s[0:3], 0 offset:976
	;; [unrolled: 1-line block ×4, first 2 shown]
.LBB127_267:
	s_or_b32 exec_lo, exec_lo, s4
	v_mov_b32_e32 v4, s16
	s_waitcnt_vscnt null, 0x0
	s_barrier
	buffer_gl0_inv
	s_mov_b32 s4, exec_lo
	s_clause 0x3
	buffer_load_dword v1, v4, s[0:3], 0 offen
	buffer_load_dword v2, v4, s[0:3], 0 offen offset:4
	buffer_load_dword v3, v4, s[0:3], 0 offen offset:8
	;; [unrolled: 1-line block ×3, first 2 shown]
	s_waitcnt vmcnt(0)
	ds_write_b128 v5, v[1:4]
	s_waitcnt lgkmcnt(0)
	s_barrier
	buffer_gl0_inv
	v_cmpx_gt_u32_e32 61, v0
	s_cbranch_execz .LBB127_271
; %bb.268:
	v_mov_b32_e32 v1, 0
	v_mov_b32_e32 v3, 0
	v_add_nc_u32_e32 v7, -1, v0
	v_or_b32_e32 v8, 0x400, v139
	v_mov_b32_e32 v2, 0
	v_mov_b32_e32 v4, 0
	v_add_nc_u32_e32 v137, 16, v139
	s_mov_b32 s5, 0
	.p2align	6
.LBB127_269:                            ; =>This Inner Loop Header: Depth=1
	s_clause 0x3
	buffer_load_dword v144, v137, s[0:3], 0 offen offset:8
	buffer_load_dword v145, v137, s[0:3], 0 offen offset:12
	buffer_load_dword v146, v137, s[0:3], 0 offen
	buffer_load_dword v147, v137, s[0:3], 0 offen offset:4
	ds_read_b128 v[140:143], v8
	v_add_nc_u32_e32 v7, 1, v7
	v_add_nc_u32_e32 v8, 16, v8
	;; [unrolled: 1-line block ×3, first 2 shown]
	v_cmp_lt_u32_e32 vcc_lo, 59, v7
	s_or_b32 s5, vcc_lo, s5
	s_waitcnt vmcnt(2) lgkmcnt(0)
	v_mul_f64 v[148:149], v[142:143], v[144:145]
	v_mul_f64 v[144:145], v[140:141], v[144:145]
	s_waitcnt vmcnt(0)
	v_fma_f64 v[140:141], v[140:141], v[146:147], -v[148:149]
	v_fma_f64 v[142:143], v[142:143], v[146:147], v[144:145]
	v_add_f64 v[3:4], v[3:4], v[140:141]
	v_add_f64 v[1:2], v[1:2], v[142:143]
	s_andn2_b32 exec_lo, exec_lo, s5
	s_cbranch_execnz .LBB127_269
; %bb.270:
	s_or_b32 exec_lo, exec_lo, s5
	v_mov_b32_e32 v7, 0
	ds_read_b128 v[140:143], v7 offset:976
	s_waitcnt lgkmcnt(0)
	v_mul_f64 v[7:8], v[1:2], v[142:143]
	v_mul_f64 v[137:138], v[3:4], v[142:143]
	v_fma_f64 v[3:4], v[3:4], v[140:141], -v[7:8]
	v_fma_f64 v[1:2], v[1:2], v[140:141], v[137:138]
	buffer_store_dword v4, off, s[0:3], 0 offset:996
	buffer_store_dword v3, off, s[0:3], 0 offset:992
	;; [unrolled: 1-line block ×4, first 2 shown]
.LBB127_271:
	s_or_b32 exec_lo, exec_lo, s4
	v_mov_b32_e32 v4, s78
	s_waitcnt_vscnt null, 0x0
	s_barrier
	buffer_gl0_inv
	s_mov_b32 s4, exec_lo
	s_clause 0x3
	buffer_load_dword v1, v4, s[0:3], 0 offen
	buffer_load_dword v2, v4, s[0:3], 0 offen offset:4
	buffer_load_dword v3, v4, s[0:3], 0 offen offset:8
	;; [unrolled: 1-line block ×3, first 2 shown]
	s_waitcnt vmcnt(0)
	ds_write_b128 v5, v[1:4]
	s_waitcnt lgkmcnt(0)
	s_barrier
	buffer_gl0_inv
	v_cmpx_gt_u32_e32 62, v0
	s_cbranch_execz .LBB127_275
; %bb.272:
	v_mov_b32_e32 v1, 0
	v_mov_b32_e32 v3, 0
	v_add_nc_u32_e32 v7, -1, v0
	v_or_b32_e32 v8, 0x400, v139
	v_mov_b32_e32 v2, 0
	v_mov_b32_e32 v4, 0
	v_add_nc_u32_e32 v137, 16, v139
	s_mov_b32 s5, 0
	.p2align	6
.LBB127_273:                            ; =>This Inner Loop Header: Depth=1
	s_clause 0x3
	buffer_load_dword v144, v137, s[0:3], 0 offen offset:8
	buffer_load_dword v145, v137, s[0:3], 0 offen offset:12
	buffer_load_dword v146, v137, s[0:3], 0 offen
	buffer_load_dword v147, v137, s[0:3], 0 offen offset:4
	ds_read_b128 v[140:143], v8
	v_add_nc_u32_e32 v7, 1, v7
	v_add_nc_u32_e32 v8, 16, v8
	;; [unrolled: 1-line block ×3, first 2 shown]
	v_cmp_lt_u32_e32 vcc_lo, 60, v7
	s_or_b32 s5, vcc_lo, s5
	s_waitcnt vmcnt(2) lgkmcnt(0)
	v_mul_f64 v[148:149], v[142:143], v[144:145]
	v_mul_f64 v[144:145], v[140:141], v[144:145]
	s_waitcnt vmcnt(0)
	v_fma_f64 v[140:141], v[140:141], v[146:147], -v[148:149]
	v_fma_f64 v[142:143], v[142:143], v[146:147], v[144:145]
	v_add_f64 v[3:4], v[3:4], v[140:141]
	v_add_f64 v[1:2], v[1:2], v[142:143]
	s_andn2_b32 exec_lo, exec_lo, s5
	s_cbranch_execnz .LBB127_273
; %bb.274:
	s_or_b32 exec_lo, exec_lo, s5
	v_mov_b32_e32 v7, 0
	ds_read_b128 v[140:143], v7 offset:992
	s_waitcnt lgkmcnt(0)
	v_mul_f64 v[7:8], v[1:2], v[142:143]
	v_mul_f64 v[137:138], v[3:4], v[142:143]
	v_fma_f64 v[3:4], v[3:4], v[140:141], -v[7:8]
	v_fma_f64 v[1:2], v[1:2], v[140:141], v[137:138]
	buffer_store_dword v4, off, s[0:3], 0 offset:1012
	buffer_store_dword v3, off, s[0:3], 0 offset:1008
	;; [unrolled: 1-line block ×4, first 2 shown]
.LBB127_275:
	s_or_b32 exec_lo, exec_lo, s4
	v_mov_b32_e32 v4, s43
	s_waitcnt_vscnt null, 0x0
	s_barrier
	buffer_gl0_inv
	s_mov_b32 s4, exec_lo
	s_clause 0x3
	buffer_load_dword v1, v4, s[0:3], 0 offen
	buffer_load_dword v2, v4, s[0:3], 0 offen offset:4
	buffer_load_dword v3, v4, s[0:3], 0 offen offset:8
	buffer_load_dword v4, v4, s[0:3], 0 offen offset:12
	s_waitcnt vmcnt(0)
	ds_write_b128 v5, v[1:4]
	s_waitcnt lgkmcnt(0)
	s_barrier
	buffer_gl0_inv
	v_cmpx_ne_u32_e32 63, v0
	s_cbranch_execz .LBB127_279
; %bb.276:
	v_mov_b32_e32 v1, 0
	v_mov_b32_e32 v3, 0
	;; [unrolled: 1-line block ×4, first 2 shown]
	v_add_nc_u32_e32 v7, 16, v139
	s_mov_b32 s5, 0
	.p2align	6
.LBB127_277:                            ; =>This Inner Loop Header: Depth=1
	s_clause 0x3
	buffer_load_dword v141, v7, s[0:3], 0 offen offset:8
	buffer_load_dword v142, v7, s[0:3], 0 offen offset:12
	buffer_load_dword v143, v7, s[0:3], 0 offen
	buffer_load_dword v144, v7, s[0:3], 0 offen offset:4
	ds_read_b128 v[137:140], v5
	v_add_nc_u32_e32 v6, 1, v6
	v_add_nc_u32_e32 v5, 16, v5
	;; [unrolled: 1-line block ×3, first 2 shown]
	v_cmp_lt_u32_e32 vcc_lo, 61, v6
	s_or_b32 s5, vcc_lo, s5
	s_waitcnt vmcnt(2) lgkmcnt(0)
	v_mul_f64 v[145:146], v[139:140], v[141:142]
	v_mul_f64 v[141:142], v[137:138], v[141:142]
	s_waitcnt vmcnt(0)
	v_fma_f64 v[137:138], v[137:138], v[143:144], -v[145:146]
	v_fma_f64 v[139:140], v[139:140], v[143:144], v[141:142]
	v_add_f64 v[3:4], v[3:4], v[137:138]
	v_add_f64 v[1:2], v[1:2], v[139:140]
	s_andn2_b32 exec_lo, exec_lo, s5
	s_cbranch_execnz .LBB127_277
; %bb.278:
	s_or_b32 exec_lo, exec_lo, s5
	v_mov_b32_e32 v5, 0
	ds_read_b128 v[5:8], v5 offset:1008
	s_waitcnt lgkmcnt(0)
	v_mul_f64 v[137:138], v[1:2], v[7:8]
	v_mul_f64 v[7:8], v[3:4], v[7:8]
	v_fma_f64 v[3:4], v[3:4], v[5:6], -v[137:138]
	v_fma_f64 v[1:2], v[1:2], v[5:6], v[7:8]
	buffer_store_dword v4, off, s[0:3], 0 offset:1028
	buffer_store_dword v3, off, s[0:3], 0 offset:1024
	;; [unrolled: 1-line block ×4, first 2 shown]
.LBB127_279:
	s_or_b32 exec_lo, exec_lo, s4
	s_mov_b32 s5, -1
	s_waitcnt_vscnt null, 0x0
	s_barrier
	buffer_gl0_inv
.LBB127_280:
	s_and_b32 vcc_lo, exec_lo, s5
	s_cbranch_vccz .LBB127_282
; %bb.281:
	s_lshl_b64 s[4:5], s[6:7], 2
	v_mov_b32_e32 v1, 0
	s_add_u32 s4, s10, s4
	s_addc_u32 s5, s11, s5
	global_load_dword v1, v1, s[4:5]
	s_waitcnt vmcnt(0)
	v_cmp_ne_u32_e32 vcc_lo, 0, v1
	s_cbranch_vccz .LBB127_283
.LBB127_282:
	s_endpgm
.LBB127_283:
	v_lshl_or_b32 v197, v0, 4, 0x400
	s_mov_b32 s4, exec_lo
	v_cmpx_eq_u32_e32 63, v0
	s_cbranch_execz .LBB127_285
; %bb.284:
	v_mov_b32_e32 v4, s78
	v_mov_b32_e32 v5, 0
	s_clause 0x3
	buffer_load_dword v1, v4, s[0:3], 0 offen
	buffer_load_dword v2, v4, s[0:3], 0 offen offset:4
	buffer_load_dword v3, v4, s[0:3], 0 offen offset:8
	;; [unrolled: 1-line block ×3, first 2 shown]
	buffer_store_dword v5, off, s[0:3], 0 offset:1008
	buffer_store_dword v5, off, s[0:3], 0 offset:1012
	;; [unrolled: 1-line block ×4, first 2 shown]
	s_waitcnt vmcnt(0)
	ds_write_b128 v197, v[1:4]
.LBB127_285:
	s_or_b32 exec_lo, exec_lo, s4
	s_waitcnt lgkmcnt(0)
	s_waitcnt_vscnt null, 0x0
	s_barrier
	buffer_gl0_inv
	s_clause 0x7
	buffer_load_dword v6, off, s[0:3], 0 offset:1032
	buffer_load_dword v7, off, s[0:3], 0 offset:1036
	;; [unrolled: 1-line block ×8, first 2 shown]
	v_mov_b32_e32 v1, 0
	s_mov_b32 s4, exec_lo
	ds_read_b128 v[2:5], v1 offset:2032
	s_waitcnt vmcnt(6) lgkmcnt(0)
	v_mul_f64 v[143:144], v[4:5], v[6:7]
	v_mul_f64 v[6:7], v[2:3], v[6:7]
	s_waitcnt vmcnt(4)
	v_fma_f64 v[2:3], v[2:3], v[137:138], -v[143:144]
	v_fma_f64 v[4:5], v[4:5], v[137:138], v[6:7]
	v_add_f64 v[2:3], v[2:3], 0
	v_add_f64 v[4:5], v[4:5], 0
	s_waitcnt vmcnt(2)
	v_add_f64 v[2:3], v[139:140], -v[2:3]
	s_waitcnt vmcnt(0)
	v_add_f64 v[4:5], v[141:142], -v[4:5]
	buffer_store_dword v2, off, s[0:3], 0 offset:1008
	buffer_store_dword v3, off, s[0:3], 0 offset:1012
	;; [unrolled: 1-line block ×4, first 2 shown]
	v_cmpx_lt_u32_e32 61, v0
	s_cbranch_execz .LBB127_287
; %bb.286:
	v_mov_b32_e32 v5, s16
	s_clause 0x3
	buffer_load_dword v2, v5, s[0:3], 0 offen
	buffer_load_dword v3, v5, s[0:3], 0 offen offset:4
	buffer_load_dword v4, v5, s[0:3], 0 offen offset:8
	;; [unrolled: 1-line block ×3, first 2 shown]
	buffer_store_dword v1, off, s[0:3], 0 offset:992
	buffer_store_dword v1, off, s[0:3], 0 offset:996
	;; [unrolled: 1-line block ×4, first 2 shown]
	s_waitcnt vmcnt(0)
	ds_write_b128 v197, v[2:5]
.LBB127_287:
	s_or_b32 exec_lo, exec_lo, s4
	s_waitcnt lgkmcnt(0)
	s_waitcnt_vscnt null, 0x0
	s_barrier
	buffer_gl0_inv
	s_clause 0xb
	buffer_load_dword v6, off, s[0:3], 0 offset:1016
	buffer_load_dword v7, off, s[0:3], 0 offset:1020
	;; [unrolled: 1-line block ×12, first 2 shown]
	ds_read_b128 v[2:5], v1 offset:2016
	ds_read_b128 v[137:140], v1 offset:2032
	s_mov_b32 s4, exec_lo
	s_waitcnt vmcnt(10) lgkmcnt(1)
	v_mul_f64 v[151:152], v[4:5], v[6:7]
	v_mul_f64 v[6:7], v[2:3], v[6:7]
	s_waitcnt vmcnt(8) lgkmcnt(0)
	v_mul_f64 v[153:154], v[139:140], v[141:142]
	v_mul_f64 v[141:142], v[137:138], v[141:142]
	s_waitcnt vmcnt(6)
	v_fma_f64 v[1:2], v[2:3], v[143:144], -v[151:152]
	v_fma_f64 v[3:4], v[4:5], v[143:144], v[6:7]
	s_waitcnt vmcnt(4)
	v_fma_f64 v[5:6], v[137:138], v[145:146], -v[153:154]
	v_fma_f64 v[7:8], v[139:140], v[145:146], v[141:142]
	v_add_f64 v[1:2], v[1:2], 0
	v_add_f64 v[3:4], v[3:4], 0
	;; [unrolled: 1-line block ×4, first 2 shown]
	s_waitcnt vmcnt(2)
	v_add_f64 v[1:2], v[147:148], -v[1:2]
	s_waitcnt vmcnt(0)
	v_add_f64 v[3:4], v[149:150], -v[3:4]
	buffer_store_dword v1, off, s[0:3], 0 offset:992
	buffer_store_dword v2, off, s[0:3], 0 offset:996
	;; [unrolled: 1-line block ×4, first 2 shown]
	v_cmpx_lt_u32_e32 60, v0
	s_cbranch_execz .LBB127_289
; %bb.288:
	v_mov_b32_e32 v4, s17
	v_mov_b32_e32 v5, 0
	s_clause 0x3
	buffer_load_dword v1, v4, s[0:3], 0 offen
	buffer_load_dword v2, v4, s[0:3], 0 offen offset:4
	buffer_load_dword v3, v4, s[0:3], 0 offen offset:8
	;; [unrolled: 1-line block ×3, first 2 shown]
	buffer_store_dword v5, off, s[0:3], 0 offset:976
	buffer_store_dword v5, off, s[0:3], 0 offset:980
	;; [unrolled: 1-line block ×4, first 2 shown]
	s_waitcnt vmcnt(0)
	ds_write_b128 v197, v[1:4]
.LBB127_289:
	s_or_b32 exec_lo, exec_lo, s4
	s_waitcnt lgkmcnt(0)
	s_waitcnt_vscnt null, 0x0
	s_barrier
	buffer_gl0_inv
	s_clause 0xf
	buffer_load_dword v6, off, s[0:3], 0 offset:1000
	buffer_load_dword v7, off, s[0:3], 0 offset:1004
	buffer_load_dword v145, off, s[0:3], 0 offset:1016
	buffer_load_dword v146, off, s[0:3], 0 offset:1020
	buffer_load_dword v147, off, s[0:3], 0 offset:992
	buffer_load_dword v148, off, s[0:3], 0 offset:996
	buffer_load_dword v149, off, s[0:3], 0 offset:1032
	buffer_load_dword v150, off, s[0:3], 0 offset:1036
	buffer_load_dword v151, off, s[0:3], 0 offset:1008
	buffer_load_dword v152, off, s[0:3], 0 offset:1012
	buffer_load_dword v153, off, s[0:3], 0 offset:1024
	buffer_load_dword v154, off, s[0:3], 0 offset:1028
	buffer_load_dword v155, off, s[0:3], 0 offset:976
	buffer_load_dword v156, off, s[0:3], 0 offset:980
	buffer_load_dword v157, off, s[0:3], 0 offset:984
	buffer_load_dword v158, off, s[0:3], 0 offset:988
	v_mov_b32_e32 v1, 0
	ds_read_b128 v[2:5], v1 offset:2000
	ds_read_b128 v[137:140], v1 offset:2016
	;; [unrolled: 1-line block ×3, first 2 shown]
	s_mov_b32 s4, exec_lo
	s_waitcnt vmcnt(14) lgkmcnt(2)
	v_mul_f64 v[159:160], v[4:5], v[6:7]
	v_mul_f64 v[6:7], v[2:3], v[6:7]
	s_waitcnt vmcnt(12) lgkmcnt(1)
	v_mul_f64 v[161:162], v[139:140], v[145:146]
	v_mul_f64 v[145:146], v[137:138], v[145:146]
	s_waitcnt vmcnt(10)
	v_fma_f64 v[2:3], v[2:3], v[147:148], -v[159:160]
	v_fma_f64 v[4:5], v[4:5], v[147:148], v[6:7]
	s_waitcnt vmcnt(8) lgkmcnt(0)
	v_mul_f64 v[147:148], v[143:144], v[149:150]
	s_waitcnt vmcnt(6)
	v_fma_f64 v[137:138], v[137:138], v[151:152], -v[161:162]
	v_mul_f64 v[6:7], v[141:142], v[149:150]
	v_fma_f64 v[139:140], v[139:140], v[151:152], v[145:146]
	v_add_f64 v[2:3], v[2:3], 0
	v_add_f64 v[4:5], v[4:5], 0
	s_waitcnt vmcnt(4)
	v_fma_f64 v[141:142], v[141:142], v[153:154], -v[147:148]
	v_fma_f64 v[6:7], v[143:144], v[153:154], v[6:7]
	v_add_f64 v[2:3], v[2:3], v[137:138]
	v_add_f64 v[4:5], v[4:5], v[139:140]
	;; [unrolled: 1-line block ×4, first 2 shown]
	s_waitcnt vmcnt(2)
	v_add_f64 v[2:3], v[155:156], -v[2:3]
	s_waitcnt vmcnt(0)
	v_add_f64 v[4:5], v[157:158], -v[4:5]
	buffer_store_dword v2, off, s[0:3], 0 offset:976
	buffer_store_dword v3, off, s[0:3], 0 offset:980
	;; [unrolled: 1-line block ×4, first 2 shown]
	v_cmpx_lt_u32_e32 59, v0
	s_cbranch_execz .LBB127_291
; %bb.290:
	v_mov_b32_e32 v5, s18
	s_clause 0x3
	buffer_load_dword v2, v5, s[0:3], 0 offen
	buffer_load_dword v3, v5, s[0:3], 0 offen offset:4
	buffer_load_dword v4, v5, s[0:3], 0 offen offset:8
	;; [unrolled: 1-line block ×3, first 2 shown]
	buffer_store_dword v1, off, s[0:3], 0 offset:960
	buffer_store_dword v1, off, s[0:3], 0 offset:964
	;; [unrolled: 1-line block ×4, first 2 shown]
	s_waitcnt vmcnt(0)
	ds_write_b128 v197, v[2:5]
.LBB127_291:
	s_or_b32 exec_lo, exec_lo, s4
	s_waitcnt lgkmcnt(0)
	s_waitcnt_vscnt null, 0x0
	s_barrier
	buffer_gl0_inv
	s_clause 0x13
	buffer_load_dword v6, off, s[0:3], 0 offset:984
	buffer_load_dword v7, off, s[0:3], 0 offset:988
	;; [unrolled: 1-line block ×20, first 2 shown]
	ds_read_b128 v[2:5], v1 offset:1984
	ds_read_b128 v[137:140], v1 offset:2000
	;; [unrolled: 1-line block ×3, first 2 shown]
	s_mov_b32 s4, exec_lo
	s_waitcnt vmcnt(18) lgkmcnt(2)
	v_mul_f64 v[163:164], v[4:5], v[6:7]
	v_mul_f64 v[6:7], v[2:3], v[6:7]
	s_waitcnt vmcnt(16) lgkmcnt(1)
	v_mul_f64 v[165:166], v[139:140], v[145:146]
	v_mul_f64 v[145:146], v[137:138], v[145:146]
	s_waitcnt vmcnt(14)
	v_fma_f64 v[163:164], v[2:3], v[147:148], -v[163:164]
	v_fma_f64 v[5:6], v[4:5], v[147:148], v[6:7]
	s_waitcnt vmcnt(12) lgkmcnt(0)
	v_mul_f64 v[7:8], v[141:142], v[149:150]
	v_mul_f64 v[147:148], v[143:144], v[149:150]
	s_waitcnt vmcnt(10)
	v_fma_f64 v[137:138], v[137:138], v[151:152], -v[165:166]
	ds_read_b128 v[1:4], v1 offset:2032
	v_fma_f64 v[139:140], v[139:140], v[151:152], v[145:146]
	v_add_f64 v[149:150], v[163:164], 0
	v_add_f64 v[5:6], v[5:6], 0
	s_waitcnt vmcnt(6)
	v_fma_f64 v[7:8], v[143:144], v[155:156], v[7:8]
	s_waitcnt lgkmcnt(0)
	v_mul_f64 v[151:152], v[3:4], v[153:154]
	v_fma_f64 v[141:142], v[141:142], v[155:156], -v[147:148]
	v_mul_f64 v[145:146], v[1:2], v[153:154]
	v_add_f64 v[137:138], v[149:150], v[137:138]
	v_add_f64 v[5:6], v[5:6], v[139:140]
	s_waitcnt vmcnt(4)
	v_fma_f64 v[1:2], v[1:2], v[157:158], -v[151:152]
	v_fma_f64 v[3:4], v[3:4], v[157:158], v[145:146]
	v_add_f64 v[137:138], v[137:138], v[141:142]
	v_add_f64 v[5:6], v[5:6], v[7:8]
	v_add_f64 v[1:2], v[137:138], v[1:2]
	v_add_f64 v[3:4], v[5:6], v[3:4]
	s_waitcnt vmcnt(2)
	v_add_f64 v[1:2], v[159:160], -v[1:2]
	s_waitcnt vmcnt(0)
	v_add_f64 v[3:4], v[161:162], -v[3:4]
	buffer_store_dword v1, off, s[0:3], 0 offset:960
	buffer_store_dword v2, off, s[0:3], 0 offset:964
	;; [unrolled: 1-line block ×4, first 2 shown]
	v_cmpx_lt_u32_e32 58, v0
	s_cbranch_execz .LBB127_293
; %bb.292:
	v_mov_b32_e32 v4, s19
	v_mov_b32_e32 v5, 0
	s_clause 0x3
	buffer_load_dword v1, v4, s[0:3], 0 offen
	buffer_load_dword v2, v4, s[0:3], 0 offen offset:4
	buffer_load_dword v3, v4, s[0:3], 0 offen offset:8
	;; [unrolled: 1-line block ×3, first 2 shown]
	buffer_store_dword v5, off, s[0:3], 0 offset:944
	buffer_store_dword v5, off, s[0:3], 0 offset:948
	;; [unrolled: 1-line block ×4, first 2 shown]
	s_waitcnt vmcnt(0)
	ds_write_b128 v197, v[1:4]
.LBB127_293:
	s_or_b32 exec_lo, exec_lo, s4
	s_waitcnt lgkmcnt(0)
	s_waitcnt_vscnt null, 0x0
	s_barrier
	buffer_gl0_inv
	s_clause 0x17
	buffer_load_dword v6, off, s[0:3], 0 offset:968
	buffer_load_dword v7, off, s[0:3], 0 offset:972
	;; [unrolled: 1-line block ×24, first 2 shown]
	v_mov_b32_e32 v1, 0
	ds_read_b128 v[2:5], v1 offset:1968
	ds_read_b128 v[137:140], v1 offset:1984
	;; [unrolled: 1-line block ×3, first 2 shown]
	s_mov_b32 s4, exec_lo
	s_waitcnt vmcnt(22) lgkmcnt(2)
	v_mul_f64 v[167:168], v[4:5], v[6:7]
	v_mul_f64 v[6:7], v[2:3], v[6:7]
	s_waitcnt vmcnt(20) lgkmcnt(1)
	v_mul_f64 v[169:170], v[139:140], v[145:146]
	v_mul_f64 v[145:146], v[137:138], v[145:146]
	s_waitcnt vmcnt(18)
	v_fma_f64 v[167:168], v[2:3], v[147:148], -v[167:168]
	v_fma_f64 v[6:7], v[4:5], v[147:148], v[6:7]
	ds_read_b128 v[2:5], v1 offset:2016
	s_waitcnt vmcnt(16) lgkmcnt(1)
	v_mul_f64 v[147:148], v[141:142], v[149:150]
	v_mul_f64 v[149:150], v[143:144], v[149:150]
	s_waitcnt vmcnt(14)
	v_fma_f64 v[169:170], v[137:138], v[151:152], -v[169:170]
	v_fma_f64 v[145:146], v[139:140], v[151:152], v[145:146]
	ds_read_b128 v[137:140], v1 offset:2032
	s_waitcnt vmcnt(10) lgkmcnt(1)
	v_mul_f64 v[151:152], v[2:3], v[153:154]
	v_add_f64 v[167:168], v[167:168], 0
	v_add_f64 v[6:7], v[6:7], 0
	v_mul_f64 v[153:154], v[4:5], v[153:154]
	s_waitcnt vmcnt(8)
	v_fma_f64 v[141:142], v[141:142], v[159:160], -v[149:150]
	v_fma_f64 v[143:144], v[143:144], v[159:160], v[147:148]
	s_waitcnt vmcnt(7) lgkmcnt(0)
	v_mul_f64 v[147:148], v[139:140], v[155:156]
	s_waitcnt vmcnt(5)
	v_fma_f64 v[4:5], v[4:5], v[161:162], v[151:152]
	v_add_f64 v[149:150], v[167:168], v[169:170]
	v_add_f64 v[6:7], v[6:7], v[145:146]
	v_fma_f64 v[2:3], v[2:3], v[161:162], -v[153:154]
	v_mul_f64 v[145:146], v[137:138], v[155:156]
	s_waitcnt vmcnt(4)
	v_fma_f64 v[137:138], v[137:138], v[157:158], -v[147:148]
	v_add_f64 v[141:142], v[149:150], v[141:142]
	v_add_f64 v[6:7], v[6:7], v[143:144]
	v_fma_f64 v[139:140], v[139:140], v[157:158], v[145:146]
	v_add_f64 v[2:3], v[141:142], v[2:3]
	v_add_f64 v[4:5], v[6:7], v[4:5]
	;; [unrolled: 1-line block ×4, first 2 shown]
	s_waitcnt vmcnt(2)
	v_add_f64 v[2:3], v[163:164], -v[2:3]
	s_waitcnt vmcnt(0)
	v_add_f64 v[4:5], v[165:166], -v[4:5]
	buffer_store_dword v3, off, s[0:3], 0 offset:948
	buffer_store_dword v2, off, s[0:3], 0 offset:944
	;; [unrolled: 1-line block ×4, first 2 shown]
	v_cmpx_lt_u32_e32 57, v0
	s_cbranch_execz .LBB127_295
; %bb.294:
	v_mov_b32_e32 v5, s20
	s_clause 0x3
	buffer_load_dword v2, v5, s[0:3], 0 offen
	buffer_load_dword v3, v5, s[0:3], 0 offen offset:4
	buffer_load_dword v4, v5, s[0:3], 0 offen offset:8
	;; [unrolled: 1-line block ×3, first 2 shown]
	buffer_store_dword v1, off, s[0:3], 0 offset:928
	buffer_store_dword v1, off, s[0:3], 0 offset:932
	buffer_store_dword v1, off, s[0:3], 0 offset:936
	buffer_store_dword v1, off, s[0:3], 0 offset:940
	s_waitcnt vmcnt(0)
	ds_write_b128 v197, v[2:5]
.LBB127_295:
	s_or_b32 exec_lo, exec_lo, s4
	s_waitcnt lgkmcnt(0)
	s_waitcnt_vscnt null, 0x0
	s_barrier
	buffer_gl0_inv
	s_clause 0x1b
	buffer_load_dword v6, off, s[0:3], 0 offset:952
	buffer_load_dword v7, off, s[0:3], 0 offset:956
	;; [unrolled: 1-line block ×28, first 2 shown]
	ds_read_b128 v[2:5], v1 offset:1952
	ds_read_b128 v[137:140], v1 offset:1968
	;; [unrolled: 1-line block ×3, first 2 shown]
	s_mov_b32 s4, exec_lo
	s_waitcnt vmcnt(26) lgkmcnt(2)
	v_mul_f64 v[171:172], v[4:5], v[6:7]
	v_mul_f64 v[6:7], v[2:3], v[6:7]
	s_waitcnt vmcnt(24) lgkmcnt(1)
	v_mul_f64 v[173:174], v[139:140], v[145:146]
	v_mul_f64 v[145:146], v[137:138], v[145:146]
	s_waitcnt vmcnt(22)
	v_fma_f64 v[171:172], v[2:3], v[147:148], -v[171:172]
	v_fma_f64 v[6:7], v[4:5], v[147:148], v[6:7]
	ds_read_b128 v[2:5], v1 offset:2000
	s_waitcnt vmcnt(20) lgkmcnt(1)
	v_mul_f64 v[147:148], v[141:142], v[149:150]
	v_mul_f64 v[149:150], v[143:144], v[149:150]
	s_waitcnt vmcnt(18)
	v_fma_f64 v[173:174], v[137:138], v[151:152], -v[173:174]
	v_fma_f64 v[145:146], v[139:140], v[151:152], v[145:146]
	ds_read_b128 v[137:140], v1 offset:2016
	s_waitcnt vmcnt(14) lgkmcnt(1)
	v_mul_f64 v[151:152], v[2:3], v[153:154]
	v_add_f64 v[171:172], v[171:172], 0
	v_add_f64 v[6:7], v[6:7], 0
	v_mul_f64 v[153:154], v[4:5], v[153:154]
	s_waitcnt vmcnt(12)
	v_fma_f64 v[149:150], v[141:142], v[159:160], -v[149:150]
	v_fma_f64 v[147:148], v[143:144], v[159:160], v[147:148]
	ds_read_b128 v[141:144], v1 offset:2032
	v_add_f64 v[171:172], v[171:172], v[173:174]
	v_add_f64 v[6:7], v[6:7], v[145:146]
	s_waitcnt vmcnt(11) lgkmcnt(1)
	v_mul_f64 v[145:146], v[137:138], v[155:156]
	v_mul_f64 v[155:156], v[139:140], v[155:156]
	s_waitcnt vmcnt(9)
	v_fma_f64 v[1:2], v[2:3], v[161:162], -v[153:154]
	v_fma_f64 v[3:4], v[4:5], v[161:162], v[151:152]
	v_add_f64 v[149:150], v[171:172], v[149:150]
	v_add_f64 v[5:6], v[6:7], v[147:148]
	s_waitcnt vmcnt(7) lgkmcnt(0)
	v_mul_f64 v[147:148], v[143:144], v[163:164]
	s_waitcnt vmcnt(6)
	v_fma_f64 v[137:138], v[137:138], v[157:158], -v[155:156]
	v_mul_f64 v[7:8], v[141:142], v[163:164]
	v_fma_f64 v[139:140], v[139:140], v[157:158], v[145:146]
	v_add_f64 v[1:2], v[149:150], v[1:2]
	v_add_f64 v[3:4], v[5:6], v[3:4]
	s_waitcnt vmcnt(4)
	v_fma_f64 v[5:6], v[141:142], v[165:166], -v[147:148]
	v_fma_f64 v[7:8], v[143:144], v[165:166], v[7:8]
	v_add_f64 v[1:2], v[1:2], v[137:138]
	v_add_f64 v[3:4], v[3:4], v[139:140]
	v_add_f64 v[1:2], v[1:2], v[5:6]
	v_add_f64 v[3:4], v[3:4], v[7:8]
	s_waitcnt vmcnt(2)
	v_add_f64 v[1:2], v[167:168], -v[1:2]
	s_waitcnt vmcnt(0)
	v_add_f64 v[3:4], v[169:170], -v[3:4]
	buffer_store_dword v2, off, s[0:3], 0 offset:932
	buffer_store_dword v1, off, s[0:3], 0 offset:928
	buffer_store_dword v4, off, s[0:3], 0 offset:940
	buffer_store_dword v3, off, s[0:3], 0 offset:936
	v_cmpx_lt_u32_e32 56, v0
	s_cbranch_execz .LBB127_297
; %bb.296:
	v_mov_b32_e32 v4, s21
	v_mov_b32_e32 v5, 0
	s_clause 0x3
	buffer_load_dword v1, v4, s[0:3], 0 offen
	buffer_load_dword v2, v4, s[0:3], 0 offen offset:4
	buffer_load_dword v3, v4, s[0:3], 0 offen offset:8
	buffer_load_dword v4, v4, s[0:3], 0 offen offset:12
	buffer_store_dword v5, off, s[0:3], 0 offset:912
	buffer_store_dword v5, off, s[0:3], 0 offset:916
	;; [unrolled: 1-line block ×4, first 2 shown]
	s_waitcnt vmcnt(0)
	ds_write_b128 v197, v[1:4]
.LBB127_297:
	s_or_b32 exec_lo, exec_lo, s4
	s_waitcnt lgkmcnt(0)
	s_waitcnt_vscnt null, 0x0
	s_barrier
	buffer_gl0_inv
	s_clause 0x1f
	buffer_load_dword v6, off, s[0:3], 0 offset:936
	buffer_load_dword v7, off, s[0:3], 0 offset:940
	;; [unrolled: 1-line block ×32, first 2 shown]
	v_mov_b32_e32 v1, 0
	ds_read_b128 v[2:5], v1 offset:1936
	ds_read_b128 v[137:140], v1 offset:1952
	;; [unrolled: 1-line block ×3, first 2 shown]
	s_mov_b32 s4, exec_lo
	s_waitcnt vmcnt(30) lgkmcnt(2)
	v_mul_f64 v[175:176], v[4:5], v[6:7]
	v_mul_f64 v[6:7], v[2:3], v[6:7]
	s_waitcnt vmcnt(28) lgkmcnt(1)
	v_mul_f64 v[177:178], v[139:140], v[145:146]
	v_mul_f64 v[145:146], v[137:138], v[145:146]
	s_waitcnt vmcnt(26)
	v_fma_f64 v[175:176], v[2:3], v[147:148], -v[175:176]
	v_fma_f64 v[6:7], v[4:5], v[147:148], v[6:7]
	ds_read_b128 v[2:5], v1 offset:1984
	s_waitcnt vmcnt(24) lgkmcnt(1)
	v_mul_f64 v[147:148], v[141:142], v[149:150]
	v_mul_f64 v[149:150], v[143:144], v[149:150]
	s_waitcnt vmcnt(22)
	v_fma_f64 v[177:178], v[137:138], v[151:152], -v[177:178]
	v_fma_f64 v[145:146], v[139:140], v[151:152], v[145:146]
	ds_read_b128 v[137:140], v1 offset:2000
	s_waitcnt vmcnt(18) lgkmcnt(1)
	v_mul_f64 v[151:152], v[2:3], v[153:154]
	v_add_f64 v[175:176], v[175:176], 0
	v_add_f64 v[6:7], v[6:7], 0
	v_mul_f64 v[153:154], v[4:5], v[153:154]
	s_waitcnt vmcnt(16)
	v_fma_f64 v[149:150], v[141:142], v[159:160], -v[149:150]
	v_fma_f64 v[147:148], v[143:144], v[159:160], v[147:148]
	ds_read_b128 v[141:144], v1 offset:2016
	s_waitcnt vmcnt(13)
	v_fma_f64 v[151:152], v[4:5], v[161:162], v[151:152]
	v_add_f64 v[175:176], v[175:176], v[177:178]
	v_add_f64 v[6:7], v[6:7], v[145:146]
	s_waitcnt lgkmcnt(1)
	v_mul_f64 v[145:146], v[137:138], v[155:156]
	v_mul_f64 v[155:156], v[139:140], v[155:156]
	v_fma_f64 v[153:154], v[2:3], v[161:162], -v[153:154]
	s_waitcnt vmcnt(9) lgkmcnt(0)
	v_mul_f64 v[159:160], v[143:144], v[163:164]
	ds_read_b128 v[2:5], v1 offset:2032
	v_add_f64 v[149:150], v[175:176], v[149:150]
	v_add_f64 v[6:7], v[6:7], v[147:148]
	v_mul_f64 v[147:148], v[141:142], v[163:164]
	s_waitcnt vmcnt(8)
	v_fma_f64 v[137:138], v[137:138], v[157:158], -v[155:156]
	v_fma_f64 v[139:140], v[139:140], v[157:158], v[145:146]
	s_waitcnt vmcnt(5)
	v_fma_f64 v[141:142], v[141:142], v[169:170], -v[159:160]
	s_waitcnt lgkmcnt(0)
	v_mul_f64 v[145:146], v[2:3], v[165:166]
	v_add_f64 v[149:150], v[149:150], v[153:154]
	v_add_f64 v[6:7], v[6:7], v[151:152]
	v_mul_f64 v[151:152], v[4:5], v[165:166]
	v_fma_f64 v[143:144], v[143:144], v[169:170], v[147:148]
	s_waitcnt vmcnt(4)
	v_fma_f64 v[4:5], v[4:5], v[167:168], v[145:146]
	v_add_f64 v[137:138], v[149:150], v[137:138]
	v_add_f64 v[6:7], v[6:7], v[139:140]
	v_fma_f64 v[2:3], v[2:3], v[167:168], -v[151:152]
	v_add_f64 v[137:138], v[137:138], v[141:142]
	v_add_f64 v[6:7], v[6:7], v[143:144]
	;; [unrolled: 1-line block ×4, first 2 shown]
	s_waitcnt vmcnt(2)
	v_add_f64 v[2:3], v[171:172], -v[2:3]
	s_waitcnt vmcnt(0)
	v_add_f64 v[4:5], v[173:174], -v[4:5]
	buffer_store_dword v3, off, s[0:3], 0 offset:916
	buffer_store_dword v2, off, s[0:3], 0 offset:912
	;; [unrolled: 1-line block ×4, first 2 shown]
	v_cmpx_lt_u32_e32 55, v0
	s_cbranch_execz .LBB127_299
; %bb.298:
	v_mov_b32_e32 v5, s22
	s_clause 0x3
	buffer_load_dword v2, v5, s[0:3], 0 offen
	buffer_load_dword v3, v5, s[0:3], 0 offen offset:4
	buffer_load_dword v4, v5, s[0:3], 0 offen offset:8
	;; [unrolled: 1-line block ×3, first 2 shown]
	buffer_store_dword v1, off, s[0:3], 0 offset:896
	buffer_store_dword v1, off, s[0:3], 0 offset:900
	buffer_store_dword v1, off, s[0:3], 0 offset:904
	buffer_store_dword v1, off, s[0:3], 0 offset:908
	s_waitcnt vmcnt(0)
	ds_write_b128 v197, v[2:5]
.LBB127_299:
	s_or_b32 exec_lo, exec_lo, s4
	s_waitcnt lgkmcnt(0)
	s_waitcnt_vscnt null, 0x0
	s_barrier
	buffer_gl0_inv
	s_clause 0x23
	buffer_load_dword v6, off, s[0:3], 0 offset:920
	buffer_load_dword v7, off, s[0:3], 0 offset:924
	;; [unrolled: 1-line block ×36, first 2 shown]
	ds_read_b128 v[2:5], v1 offset:1920
	ds_read_b128 v[137:140], v1 offset:1936
	;; [unrolled: 1-line block ×3, first 2 shown]
	s_mov_b32 s4, exec_lo
	s_waitcnt vmcnt(34) lgkmcnt(2)
	v_mul_f64 v[179:180], v[4:5], v[6:7]
	v_mul_f64 v[6:7], v[2:3], v[6:7]
	s_waitcnt vmcnt(32) lgkmcnt(1)
	v_mul_f64 v[181:182], v[139:140], v[145:146]
	v_mul_f64 v[145:146], v[137:138], v[145:146]
	s_waitcnt vmcnt(30)
	v_fma_f64 v[179:180], v[2:3], v[147:148], -v[179:180]
	v_fma_f64 v[6:7], v[4:5], v[147:148], v[6:7]
	ds_read_b128 v[2:5], v1 offset:1968
	s_waitcnt vmcnt(28) lgkmcnt(1)
	v_mul_f64 v[147:148], v[141:142], v[149:150]
	v_mul_f64 v[149:150], v[143:144], v[149:150]
	s_waitcnt vmcnt(26)
	v_fma_f64 v[181:182], v[137:138], v[151:152], -v[181:182]
	v_fma_f64 v[145:146], v[139:140], v[151:152], v[145:146]
	ds_read_b128 v[137:140], v1 offset:1984
	s_waitcnt vmcnt(22) lgkmcnt(1)
	v_mul_f64 v[151:152], v[2:3], v[153:154]
	v_add_f64 v[179:180], v[179:180], 0
	v_add_f64 v[6:7], v[6:7], 0
	v_mul_f64 v[153:154], v[4:5], v[153:154]
	s_waitcnt vmcnt(20)
	v_fma_f64 v[149:150], v[141:142], v[159:160], -v[149:150]
	v_fma_f64 v[147:148], v[143:144], v[159:160], v[147:148]
	ds_read_b128 v[141:144], v1 offset:2000
	s_waitcnt vmcnt(17)
	v_fma_f64 v[151:152], v[4:5], v[161:162], v[151:152]
	v_add_f64 v[179:180], v[179:180], v[181:182]
	v_add_f64 v[6:7], v[6:7], v[145:146]
	s_waitcnt lgkmcnt(1)
	v_mul_f64 v[145:146], v[137:138], v[155:156]
	v_mul_f64 v[155:156], v[139:140], v[155:156]
	v_fma_f64 v[153:154], v[2:3], v[161:162], -v[153:154]
	s_waitcnt vmcnt(13) lgkmcnt(0)
	v_mul_f64 v[159:160], v[143:144], v[163:164]
	ds_read_b128 v[2:5], v1 offset:2016
	v_add_f64 v[149:150], v[179:180], v[149:150]
	v_add_f64 v[6:7], v[6:7], v[147:148]
	v_mul_f64 v[147:148], v[141:142], v[163:164]
	s_waitcnt vmcnt(12)
	v_fma_f64 v[155:156], v[137:138], v[157:158], -v[155:156]
	v_fma_f64 v[145:146], v[139:140], v[157:158], v[145:146]
	ds_read_b128 v[137:140], v1 offset:2032
	s_waitcnt vmcnt(9)
	v_fma_f64 v[141:142], v[141:142], v[169:170], -v[159:160]
	v_add_f64 v[149:150], v[149:150], v[153:154]
	v_add_f64 v[6:7], v[6:7], v[151:152]
	s_waitcnt lgkmcnt(1)
	v_mul_f64 v[153:154], v[4:5], v[165:166]
	v_mul_f64 v[151:152], v[2:3], v[165:166]
	v_fma_f64 v[143:144], v[143:144], v[169:170], v[147:148]
	s_waitcnt vmcnt(7) lgkmcnt(0)
	v_mul_f64 v[147:148], v[139:140], v[171:172]
	v_add_f64 v[149:150], v[149:150], v[155:156]
	v_add_f64 v[6:7], v[6:7], v[145:146]
	s_waitcnt vmcnt(6)
	v_fma_f64 v[1:2], v[2:3], v[167:168], -v[153:154]
	v_mul_f64 v[145:146], v[137:138], v[171:172]
	v_fma_f64 v[3:4], v[4:5], v[167:168], v[151:152]
	v_add_f64 v[141:142], v[149:150], v[141:142]
	v_add_f64 v[5:6], v[6:7], v[143:144]
	s_waitcnt vmcnt(4)
	v_fma_f64 v[7:8], v[137:138], v[173:174], -v[147:148]
	v_fma_f64 v[137:138], v[139:140], v[173:174], v[145:146]
	v_add_f64 v[1:2], v[141:142], v[1:2]
	v_add_f64 v[3:4], v[5:6], v[3:4]
	;; [unrolled: 1-line block ×4, first 2 shown]
	s_waitcnt vmcnt(2)
	v_add_f64 v[1:2], v[175:176], -v[1:2]
	s_waitcnt vmcnt(0)
	v_add_f64 v[3:4], v[177:178], -v[3:4]
	buffer_store_dword v2, off, s[0:3], 0 offset:900
	buffer_store_dword v1, off, s[0:3], 0 offset:896
	;; [unrolled: 1-line block ×4, first 2 shown]
	v_cmpx_lt_u32_e32 54, v0
	s_cbranch_execz .LBB127_301
; %bb.300:
	v_mov_b32_e32 v4, s23
	v_mov_b32_e32 v5, 0
	s_clause 0x3
	buffer_load_dword v1, v4, s[0:3], 0 offen
	buffer_load_dword v2, v4, s[0:3], 0 offen offset:4
	buffer_load_dword v3, v4, s[0:3], 0 offen offset:8
	;; [unrolled: 1-line block ×3, first 2 shown]
	buffer_store_dword v5, off, s[0:3], 0 offset:880
	buffer_store_dword v5, off, s[0:3], 0 offset:884
	;; [unrolled: 1-line block ×4, first 2 shown]
	s_waitcnt vmcnt(0)
	ds_write_b128 v197, v[1:4]
.LBB127_301:
	s_or_b32 exec_lo, exec_lo, s4
	s_waitcnt lgkmcnt(0)
	s_waitcnt_vscnt null, 0x0
	s_barrier
	buffer_gl0_inv
	s_clause 0x27
	buffer_load_dword v6, off, s[0:3], 0 offset:904
	buffer_load_dword v7, off, s[0:3], 0 offset:908
	;; [unrolled: 1-line block ×40, first 2 shown]
	v_mov_b32_e32 v1, 0
	ds_read_b128 v[2:5], v1 offset:1904
	ds_read_b128 v[137:140], v1 offset:1920
	;; [unrolled: 1-line block ×3, first 2 shown]
	s_mov_b32 s4, exec_lo
	s_waitcnt vmcnt(38) lgkmcnt(2)
	v_mul_f64 v[183:184], v[4:5], v[6:7]
	v_mul_f64 v[6:7], v[2:3], v[6:7]
	s_waitcnt vmcnt(36) lgkmcnt(1)
	v_mul_f64 v[185:186], v[139:140], v[145:146]
	v_mul_f64 v[145:146], v[137:138], v[145:146]
	s_waitcnt vmcnt(34)
	v_fma_f64 v[183:184], v[2:3], v[147:148], -v[183:184]
	v_fma_f64 v[6:7], v[4:5], v[147:148], v[6:7]
	ds_read_b128 v[2:5], v1 offset:1952
	s_waitcnt vmcnt(32) lgkmcnt(1)
	v_mul_f64 v[147:148], v[141:142], v[149:150]
	v_mul_f64 v[149:150], v[143:144], v[149:150]
	s_waitcnt vmcnt(30)
	v_fma_f64 v[185:186], v[137:138], v[151:152], -v[185:186]
	v_fma_f64 v[145:146], v[139:140], v[151:152], v[145:146]
	ds_read_b128 v[137:140], v1 offset:1968
	s_waitcnt vmcnt(26) lgkmcnt(1)
	v_mul_f64 v[151:152], v[2:3], v[153:154]
	v_add_f64 v[183:184], v[183:184], 0
	v_add_f64 v[6:7], v[6:7], 0
	v_mul_f64 v[153:154], v[4:5], v[153:154]
	s_waitcnt vmcnt(24)
	v_fma_f64 v[149:150], v[141:142], v[159:160], -v[149:150]
	v_fma_f64 v[147:148], v[143:144], v[159:160], v[147:148]
	ds_read_b128 v[141:144], v1 offset:1984
	s_waitcnt vmcnt(21)
	v_fma_f64 v[151:152], v[4:5], v[161:162], v[151:152]
	v_add_f64 v[183:184], v[183:184], v[185:186]
	v_add_f64 v[6:7], v[6:7], v[145:146]
	s_waitcnt lgkmcnt(1)
	v_mul_f64 v[145:146], v[137:138], v[155:156]
	v_mul_f64 v[155:156], v[139:140], v[155:156]
	v_fma_f64 v[153:154], v[2:3], v[161:162], -v[153:154]
	s_waitcnt vmcnt(17) lgkmcnt(0)
	v_mul_f64 v[159:160], v[143:144], v[163:164]
	ds_read_b128 v[2:5], v1 offset:2000
	v_add_f64 v[149:150], v[183:184], v[149:150]
	v_add_f64 v[6:7], v[6:7], v[147:148]
	v_mul_f64 v[147:148], v[141:142], v[163:164]
	s_waitcnt vmcnt(16)
	v_fma_f64 v[155:156], v[137:138], v[157:158], -v[155:156]
	v_fma_f64 v[145:146], v[139:140], v[157:158], v[145:146]
	ds_read_b128 v[137:140], v1 offset:2016
	s_waitcnt vmcnt(13)
	v_fma_f64 v[157:158], v[141:142], v[169:170], -v[159:160]
	v_add_f64 v[149:150], v[149:150], v[153:154]
	v_add_f64 v[6:7], v[6:7], v[151:152]
	s_waitcnt lgkmcnt(1)
	v_mul_f64 v[153:154], v[4:5], v[165:166]
	v_mul_f64 v[151:152], v[2:3], v[165:166]
	v_fma_f64 v[147:148], v[143:144], v[169:170], v[147:148]
	ds_read_b128 v[141:144], v1 offset:2032
	v_add_f64 v[149:150], v[149:150], v[155:156]
	v_add_f64 v[6:7], v[6:7], v[145:146]
	s_waitcnt vmcnt(9) lgkmcnt(1)
	v_mul_f64 v[155:156], v[139:140], v[171:172]
	s_waitcnt vmcnt(8)
	v_fma_f64 v[2:3], v[2:3], v[167:168], -v[153:154]
	v_mul_f64 v[145:146], v[137:138], v[171:172]
	v_fma_f64 v[4:5], v[4:5], v[167:168], v[151:152]
	s_waitcnt vmcnt(7) lgkmcnt(0)
	v_mul_f64 v[151:152], v[143:144], v[173:174]
	v_add_f64 v[149:150], v[149:150], v[157:158]
	v_add_f64 v[6:7], v[6:7], v[147:148]
	s_waitcnt vmcnt(5)
	v_fma_f64 v[137:138], v[137:138], v[177:178], -v[155:156]
	v_mul_f64 v[147:148], v[141:142], v[173:174]
	v_fma_f64 v[139:140], v[139:140], v[177:178], v[145:146]
	v_add_f64 v[2:3], v[149:150], v[2:3]
	v_add_f64 v[4:5], v[6:7], v[4:5]
	s_waitcnt vmcnt(4)
	v_fma_f64 v[6:7], v[141:142], v[175:176], -v[151:152]
	v_add_f64 v[2:3], v[2:3], v[137:138]
	v_fma_f64 v[137:138], v[143:144], v[175:176], v[147:148]
	v_add_f64 v[4:5], v[4:5], v[139:140]
	v_add_f64 v[2:3], v[2:3], v[6:7]
	;; [unrolled: 1-line block ×3, first 2 shown]
	s_waitcnt vmcnt(2)
	v_add_f64 v[2:3], v[179:180], -v[2:3]
	s_waitcnt vmcnt(0)
	v_add_f64 v[4:5], v[181:182], -v[4:5]
	buffer_store_dword v3, off, s[0:3], 0 offset:884
	buffer_store_dword v2, off, s[0:3], 0 offset:880
	;; [unrolled: 1-line block ×4, first 2 shown]
	v_cmpx_lt_u32_e32 53, v0
	s_cbranch_execz .LBB127_303
; %bb.302:
	v_mov_b32_e32 v5, s24
	s_clause 0x3
	buffer_load_dword v2, v5, s[0:3], 0 offen
	buffer_load_dword v3, v5, s[0:3], 0 offen offset:4
	buffer_load_dword v4, v5, s[0:3], 0 offen offset:8
	;; [unrolled: 1-line block ×3, first 2 shown]
	buffer_store_dword v1, off, s[0:3], 0 offset:864
	buffer_store_dword v1, off, s[0:3], 0 offset:868
	;; [unrolled: 1-line block ×4, first 2 shown]
	s_waitcnt vmcnt(0)
	ds_write_b128 v197, v[2:5]
.LBB127_303:
	s_or_b32 exec_lo, exec_lo, s4
	s_waitcnt lgkmcnt(0)
	s_waitcnt_vscnt null, 0x0
	s_barrier
	buffer_gl0_inv
	s_clause 0x2b
	buffer_load_dword v6, off, s[0:3], 0 offset:888
	buffer_load_dword v7, off, s[0:3], 0 offset:892
	;; [unrolled: 1-line block ×44, first 2 shown]
	ds_read_b128 v[2:5], v1 offset:1888
	ds_read_b128 v[137:140], v1 offset:1904
	;; [unrolled: 1-line block ×3, first 2 shown]
	s_mov_b32 s4, exec_lo
	s_waitcnt vmcnt(42) lgkmcnt(2)
	v_mul_f64 v[187:188], v[4:5], v[6:7]
	v_mul_f64 v[6:7], v[2:3], v[6:7]
	s_waitcnt vmcnt(40) lgkmcnt(1)
	v_mul_f64 v[189:190], v[139:140], v[145:146]
	v_mul_f64 v[145:146], v[137:138], v[145:146]
	s_waitcnt vmcnt(38)
	v_fma_f64 v[187:188], v[2:3], v[147:148], -v[187:188]
	v_fma_f64 v[6:7], v[4:5], v[147:148], v[6:7]
	ds_read_b128 v[2:5], v1 offset:1936
	s_waitcnt vmcnt(36) lgkmcnt(1)
	v_mul_f64 v[147:148], v[141:142], v[149:150]
	v_mul_f64 v[149:150], v[143:144], v[149:150]
	s_waitcnt vmcnt(34)
	v_fma_f64 v[189:190], v[137:138], v[151:152], -v[189:190]
	v_fma_f64 v[145:146], v[139:140], v[151:152], v[145:146]
	ds_read_b128 v[137:140], v1 offset:1952
	s_waitcnt vmcnt(32) lgkmcnt(1)
	v_mul_f64 v[151:152], v[2:3], v[153:154]
	v_add_f64 v[187:188], v[187:188], 0
	v_add_f64 v[6:7], v[6:7], 0
	v_mul_f64 v[153:154], v[4:5], v[153:154]
	s_waitcnt vmcnt(30)
	v_fma_f64 v[149:150], v[141:142], v[155:156], -v[149:150]
	v_fma_f64 v[147:148], v[143:144], v[155:156], v[147:148]
	ds_read_b128 v[141:144], v1 offset:1968
	s_waitcnt vmcnt(28) lgkmcnt(1)
	v_mul_f64 v[155:156], v[139:140], v[157:158]
	s_waitcnt vmcnt(26)
	v_fma_f64 v[151:152], v[4:5], v[159:160], v[151:152]
	v_add_f64 v[187:188], v[187:188], v[189:190]
	v_add_f64 v[6:7], v[6:7], v[145:146]
	v_fma_f64 v[153:154], v[2:3], v[159:160], -v[153:154]
	v_mul_f64 v[145:146], v[137:138], v[157:158]
	s_waitcnt vmcnt(24) lgkmcnt(0)
	v_mul_f64 v[157:158], v[143:144], v[161:162]
	ds_read_b128 v[2:5], v1 offset:1984
	s_waitcnt vmcnt(22)
	v_fma_f64 v[155:156], v[137:138], v[163:164], -v[155:156]
	v_add_f64 v[149:150], v[187:188], v[149:150]
	v_add_f64 v[6:7], v[6:7], v[147:148]
	v_mul_f64 v[147:148], v[141:142], v[161:162]
	v_fma_f64 v[145:146], v[139:140], v[163:164], v[145:146]
	ds_read_b128 v[137:140], v1 offset:2000
	s_waitcnt vmcnt(18)
	v_fma_f64 v[157:158], v[141:142], v[167:168], -v[157:158]
	v_add_f64 v[149:150], v[149:150], v[153:154]
	v_add_f64 v[6:7], v[6:7], v[151:152]
	s_waitcnt lgkmcnt(1)
	v_mul_f64 v[153:154], v[4:5], v[165:166]
	v_mul_f64 v[151:152], v[2:3], v[165:166]
	v_fma_f64 v[147:148], v[143:144], v[167:168], v[147:148]
	ds_read_b128 v[141:144], v1 offset:2016
	v_add_f64 v[149:150], v[149:150], v[155:156]
	v_add_f64 v[6:7], v[6:7], v[145:146]
	s_waitcnt vmcnt(16) lgkmcnt(1)
	v_mul_f64 v[155:156], v[139:140], v[169:170]
	s_waitcnt vmcnt(14)
	v_fma_f64 v[153:154], v[2:3], v[171:172], -v[153:154]
	v_mul_f64 v[145:146], v[137:138], v[169:170]
	v_fma_f64 v[151:152], v[4:5], v[171:172], v[151:152]
	ds_read_b128 v[1:4], v1 offset:2032
	v_add_f64 v[149:150], v[149:150], v[157:158]
	v_add_f64 v[5:6], v[6:7], v[147:148]
	s_waitcnt vmcnt(12) lgkmcnt(1)
	v_mul_f64 v[147:148], v[143:144], v[173:174]
	s_waitcnt vmcnt(10)
	v_fma_f64 v[137:138], v[137:138], v[175:176], -v[155:156]
	v_mul_f64 v[7:8], v[141:142], v[173:174]
	v_fma_f64 v[139:140], v[139:140], v[175:176], v[145:146]
	s_waitcnt vmcnt(8) lgkmcnt(0)
	v_mul_f64 v[145:146], v[1:2], v[177:178]
	v_add_f64 v[149:150], v[149:150], v[153:154]
	v_add_f64 v[5:6], v[5:6], v[151:152]
	v_mul_f64 v[151:152], v[3:4], v[177:178]
	s_waitcnt vmcnt(6)
	v_fma_f64 v[141:142], v[141:142], v[179:180], -v[147:148]
	v_fma_f64 v[7:8], v[143:144], v[179:180], v[7:8]
	s_waitcnt vmcnt(4)
	v_fma_f64 v[3:4], v[3:4], v[181:182], v[145:146]
	v_add_f64 v[137:138], v[149:150], v[137:138]
	v_add_f64 v[5:6], v[5:6], v[139:140]
	v_fma_f64 v[1:2], v[1:2], v[181:182], -v[151:152]
	v_add_f64 v[137:138], v[137:138], v[141:142]
	v_add_f64 v[5:6], v[5:6], v[7:8]
	v_add_f64 v[1:2], v[137:138], v[1:2]
	v_add_f64 v[3:4], v[5:6], v[3:4]
	s_waitcnt vmcnt(2)
	v_add_f64 v[1:2], v[183:184], -v[1:2]
	s_waitcnt vmcnt(0)
	v_add_f64 v[3:4], v[185:186], -v[3:4]
	buffer_store_dword v2, off, s[0:3], 0 offset:868
	buffer_store_dword v1, off, s[0:3], 0 offset:864
	;; [unrolled: 1-line block ×4, first 2 shown]
	v_cmpx_lt_u32_e32 52, v0
	s_cbranch_execz .LBB127_305
; %bb.304:
	v_mov_b32_e32 v4, s25
	v_mov_b32_e32 v5, 0
	s_clause 0x3
	buffer_load_dword v1, v4, s[0:3], 0 offen
	buffer_load_dword v2, v4, s[0:3], 0 offen offset:4
	buffer_load_dword v3, v4, s[0:3], 0 offen offset:8
	;; [unrolled: 1-line block ×3, first 2 shown]
	buffer_store_dword v5, off, s[0:3], 0 offset:848
	buffer_store_dword v5, off, s[0:3], 0 offset:852
	;; [unrolled: 1-line block ×4, first 2 shown]
	s_waitcnt vmcnt(0)
	ds_write_b128 v197, v[1:4]
.LBB127_305:
	s_or_b32 exec_lo, exec_lo, s4
	s_waitcnt lgkmcnt(0)
	s_waitcnt_vscnt null, 0x0
	s_barrier
	buffer_gl0_inv
	s_clause 0x2f
	buffer_load_dword v6, off, s[0:3], 0 offset:872
	buffer_load_dword v7, off, s[0:3], 0 offset:876
	;; [unrolled: 1-line block ×48, first 2 shown]
	v_mov_b32_e32 v1, 0
	ds_read_b128 v[2:5], v1 offset:1872
	ds_read_b128 v[137:140], v1 offset:1888
	;; [unrolled: 1-line block ×3, first 2 shown]
	s_mov_b32 s4, exec_lo
	s_waitcnt vmcnt(46) lgkmcnt(2)
	v_mul_f64 v[191:192], v[4:5], v[6:7]
	v_mul_f64 v[6:7], v[2:3], v[6:7]
	s_waitcnt vmcnt(44) lgkmcnt(1)
	v_mul_f64 v[193:194], v[139:140], v[145:146]
	v_mul_f64 v[145:146], v[137:138], v[145:146]
	s_waitcnt vmcnt(42)
	v_fma_f64 v[191:192], v[2:3], v[147:148], -v[191:192]
	v_fma_f64 v[6:7], v[4:5], v[147:148], v[6:7]
	ds_read_b128 v[2:5], v1 offset:1920
	s_waitcnt vmcnt(40) lgkmcnt(1)
	v_mul_f64 v[147:148], v[141:142], v[149:150]
	v_mul_f64 v[149:150], v[143:144], v[149:150]
	s_waitcnt vmcnt(38)
	v_fma_f64 v[193:194], v[137:138], v[151:152], -v[193:194]
	v_fma_f64 v[145:146], v[139:140], v[151:152], v[145:146]
	ds_read_b128 v[137:140], v1 offset:1936
	s_waitcnt vmcnt(34) lgkmcnt(1)
	v_mul_f64 v[151:152], v[2:3], v[153:154]
	v_add_f64 v[191:192], v[191:192], 0
	v_add_f64 v[6:7], v[6:7], 0
	v_mul_f64 v[153:154], v[4:5], v[153:154]
	s_waitcnt vmcnt(32)
	v_fma_f64 v[149:150], v[141:142], v[159:160], -v[149:150]
	v_fma_f64 v[147:148], v[143:144], v[159:160], v[147:148]
	ds_read_b128 v[141:144], v1 offset:1952
	s_waitcnt vmcnt(29)
	v_fma_f64 v[151:152], v[4:5], v[161:162], v[151:152]
	v_add_f64 v[191:192], v[191:192], v[193:194]
	v_add_f64 v[6:7], v[6:7], v[145:146]
	s_waitcnt lgkmcnt(1)
	v_mul_f64 v[145:146], v[137:138], v[155:156]
	v_mul_f64 v[155:156], v[139:140], v[155:156]
	v_fma_f64 v[153:154], v[2:3], v[161:162], -v[153:154]
	s_waitcnt vmcnt(25) lgkmcnt(0)
	v_mul_f64 v[159:160], v[143:144], v[163:164]
	ds_read_b128 v[2:5], v1 offset:1968
	v_add_f64 v[149:150], v[191:192], v[149:150]
	v_add_f64 v[6:7], v[6:7], v[147:148]
	v_mul_f64 v[147:148], v[141:142], v[163:164]
	s_waitcnt vmcnt(24)
	v_fma_f64 v[155:156], v[137:138], v[157:158], -v[155:156]
	v_fma_f64 v[145:146], v[139:140], v[157:158], v[145:146]
	ds_read_b128 v[137:140], v1 offset:1984
	s_waitcnt vmcnt(21)
	v_fma_f64 v[157:158], v[141:142], v[169:170], -v[159:160]
	v_add_f64 v[149:150], v[149:150], v[153:154]
	v_add_f64 v[6:7], v[6:7], v[151:152]
	s_waitcnt lgkmcnt(1)
	v_mul_f64 v[153:154], v[4:5], v[165:166]
	v_mul_f64 v[151:152], v[2:3], v[165:166]
	v_fma_f64 v[147:148], v[143:144], v[169:170], v[147:148]
	ds_read_b128 v[141:144], v1 offset:2000
	v_add_f64 v[149:150], v[149:150], v[155:156]
	v_add_f64 v[6:7], v[6:7], v[145:146]
	s_waitcnt vmcnt(17) lgkmcnt(1)
	v_mul_f64 v[155:156], v[139:140], v[171:172]
	s_waitcnt vmcnt(16)
	v_fma_f64 v[153:154], v[2:3], v[167:168], -v[153:154]
	v_mul_f64 v[145:146], v[137:138], v[171:172]
	v_fma_f64 v[151:152], v[4:5], v[167:168], v[151:152]
	ds_read_b128 v[2:5], v1 offset:2016
	v_add_f64 v[149:150], v[149:150], v[157:158]
	v_add_f64 v[6:7], v[6:7], v[147:148]
	s_waitcnt vmcnt(15) lgkmcnt(1)
	v_mul_f64 v[157:158], v[143:144], v[173:174]
	s_waitcnt vmcnt(13)
	v_fma_f64 v[155:156], v[137:138], v[177:178], -v[155:156]
	;; [unrolled: 9-line block ×3, first 2 shown]
	v_mul_f64 v[151:152], v[2:3], v[179:180]
	v_fma_f64 v[143:144], v[143:144], v[175:176], v[147:148]
	s_waitcnt vmcnt(7) lgkmcnt(0)
	v_mul_f64 v[147:148], v[139:140], v[181:182]
	v_add_f64 v[149:150], v[149:150], v[155:156]
	v_add_f64 v[6:7], v[6:7], v[145:146]
	s_waitcnt vmcnt(5)
	v_fma_f64 v[2:3], v[2:3], v[185:186], -v[153:154]
	v_mul_f64 v[145:146], v[137:138], v[181:182]
	v_fma_f64 v[4:5], v[4:5], v[185:186], v[151:152]
	s_waitcnt vmcnt(4)
	v_fma_f64 v[137:138], v[137:138], v[183:184], -v[147:148]
	v_add_f64 v[141:142], v[149:150], v[141:142]
	v_add_f64 v[6:7], v[6:7], v[143:144]
	v_fma_f64 v[139:140], v[139:140], v[183:184], v[145:146]
	v_add_f64 v[2:3], v[141:142], v[2:3]
	v_add_f64 v[4:5], v[6:7], v[4:5]
	;; [unrolled: 1-line block ×4, first 2 shown]
	s_waitcnt vmcnt(2)
	v_add_f64 v[2:3], v[187:188], -v[2:3]
	s_waitcnt vmcnt(0)
	v_add_f64 v[4:5], v[189:190], -v[4:5]
	buffer_store_dword v3, off, s[0:3], 0 offset:852
	buffer_store_dword v2, off, s[0:3], 0 offset:848
	;; [unrolled: 1-line block ×4, first 2 shown]
	v_cmpx_lt_u32_e32 51, v0
	s_cbranch_execz .LBB127_307
; %bb.306:
	v_mov_b32_e32 v5, s26
	s_clause 0x3
	buffer_load_dword v2, v5, s[0:3], 0 offen
	buffer_load_dword v3, v5, s[0:3], 0 offen offset:4
	buffer_load_dword v4, v5, s[0:3], 0 offen offset:8
	;; [unrolled: 1-line block ×3, first 2 shown]
	buffer_store_dword v1, off, s[0:3], 0 offset:832
	buffer_store_dword v1, off, s[0:3], 0 offset:836
	;; [unrolled: 1-line block ×4, first 2 shown]
	s_waitcnt vmcnt(0)
	ds_write_b128 v197, v[2:5]
.LBB127_307:
	s_or_b32 exec_lo, exec_lo, s4
	s_waitcnt lgkmcnt(0)
	s_waitcnt_vscnt null, 0x0
	s_barrier
	buffer_gl0_inv
	s_clause 0x2f
	buffer_load_dword v6, off, s[0:3], 0 offset:856
	buffer_load_dword v7, off, s[0:3], 0 offset:860
	;; [unrolled: 1-line block ×48, first 2 shown]
	ds_read_b128 v[2:5], v1 offset:1856
	s_clause 0x3
	buffer_load_dword v191, off, s[0:3], 0 offset:832
	buffer_load_dword v192, off, s[0:3], 0 offset:836
	;; [unrolled: 1-line block ×4, first 2 shown]
	ds_read_b128 v[137:140], v1 offset:1872
	ds_read_b128 v[141:144], v1 offset:1888
	s_mov_b32 s4, exec_lo
	s_waitcnt vmcnt(50) lgkmcnt(2)
	v_mul_f64 v[195:196], v[4:5], v[6:7]
	v_mul_f64 v[6:7], v[2:3], v[6:7]
	s_waitcnt vmcnt(48) lgkmcnt(1)
	v_mul_f64 v[198:199], v[139:140], v[145:146]
	v_mul_f64 v[145:146], v[137:138], v[145:146]
	s_waitcnt vmcnt(46)
	v_fma_f64 v[195:196], v[2:3], v[147:148], -v[195:196]
	v_fma_f64 v[6:7], v[4:5], v[147:148], v[6:7]
	s_waitcnt vmcnt(44) lgkmcnt(0)
	v_mul_f64 v[147:148], v[141:142], v[149:150]
	v_mul_f64 v[149:150], v[143:144], v[149:150]
	s_waitcnt vmcnt(42)
	v_fma_f64 v[198:199], v[137:138], v[151:152], -v[198:199]
	ds_read_b128 v[2:5], v1 offset:1904
	v_fma_f64 v[145:146], v[139:140], v[151:152], v[145:146]
	ds_read_b128 v[137:140], v1 offset:1920
	v_add_f64 v[195:196], v[195:196], 0
	v_add_f64 v[6:7], v[6:7], 0
	s_waitcnt vmcnt(36)
	v_fma_f64 v[147:148], v[143:144], v[159:160], v[147:148]
	s_waitcnt lgkmcnt(1)
	v_mul_f64 v[151:152], v[2:3], v[153:154]
	v_mul_f64 v[153:154], v[4:5], v[153:154]
	v_fma_f64 v[149:150], v[141:142], v[159:160], -v[149:150]
	ds_read_b128 v[141:144], v1 offset:1936
	v_add_f64 v[195:196], v[195:196], v[198:199]
	v_add_f64 v[6:7], v[6:7], v[145:146]
	s_waitcnt vmcnt(35) lgkmcnt(1)
	v_mul_f64 v[145:146], v[137:138], v[155:156]
	v_mul_f64 v[155:156], v[139:140], v[155:156]
	s_waitcnt vmcnt(33)
	v_fma_f64 v[153:154], v[2:3], v[161:162], -v[153:154]
	v_fma_f64 v[151:152], v[4:5], v[161:162], v[151:152]
	ds_read_b128 v[2:5], v1 offset:1952
	s_waitcnt vmcnt(29) lgkmcnt(1)
	v_mul_f64 v[159:160], v[143:144], v[163:164]
	v_add_f64 v[149:150], v[195:196], v[149:150]
	v_add_f64 v[6:7], v[6:7], v[147:148]
	v_mul_f64 v[147:148], v[141:142], v[163:164]
	s_waitcnt vmcnt(28)
	v_fma_f64 v[155:156], v[137:138], v[157:158], -v[155:156]
	v_fma_f64 v[145:146], v[139:140], v[157:158], v[145:146]
	ds_read_b128 v[137:140], v1 offset:1968
	s_waitcnt vmcnt(25)
	v_fma_f64 v[157:158], v[141:142], v[169:170], -v[159:160]
	v_add_f64 v[149:150], v[149:150], v[153:154]
	v_add_f64 v[6:7], v[6:7], v[151:152]
	s_waitcnt lgkmcnt(1)
	v_mul_f64 v[153:154], v[4:5], v[165:166]
	v_mul_f64 v[151:152], v[2:3], v[165:166]
	v_fma_f64 v[147:148], v[143:144], v[169:170], v[147:148]
	ds_read_b128 v[141:144], v1 offset:1984
	v_add_f64 v[149:150], v[149:150], v[155:156]
	v_add_f64 v[6:7], v[6:7], v[145:146]
	s_waitcnt vmcnt(21) lgkmcnt(1)
	v_mul_f64 v[155:156], v[139:140], v[171:172]
	s_waitcnt vmcnt(20)
	v_fma_f64 v[153:154], v[2:3], v[167:168], -v[153:154]
	v_mul_f64 v[145:146], v[137:138], v[171:172]
	v_fma_f64 v[151:152], v[4:5], v[167:168], v[151:152]
	ds_read_b128 v[2:5], v1 offset:2000
	v_add_f64 v[149:150], v[149:150], v[157:158]
	v_add_f64 v[6:7], v[6:7], v[147:148]
	s_waitcnt vmcnt(19) lgkmcnt(1)
	v_mul_f64 v[157:158], v[143:144], v[173:174]
	s_waitcnt vmcnt(17)
	v_fma_f64 v[155:156], v[137:138], v[177:178], -v[155:156]
	;; [unrolled: 9-line block ×4, first 2 shown]
	v_mul_f64 v[145:146], v[137:138], v[181:182]
	v_fma_f64 v[3:4], v[4:5], v[185:186], v[151:152]
	v_add_f64 v[149:150], v[149:150], v[157:158]
	v_add_f64 v[5:6], v[6:7], v[147:148]
	s_waitcnt vmcnt(7) lgkmcnt(0)
	v_mul_f64 v[147:148], v[143:144], v[187:188]
	s_waitcnt vmcnt(6)
	v_fma_f64 v[137:138], v[137:138], v[183:184], -v[155:156]
	v_mul_f64 v[7:8], v[141:142], v[187:188]
	v_fma_f64 v[139:140], v[139:140], v[183:184], v[145:146]
	v_add_f64 v[1:2], v[149:150], v[1:2]
	v_add_f64 v[3:4], v[5:6], v[3:4]
	s_waitcnt vmcnt(4)
	v_fma_f64 v[5:6], v[141:142], v[189:190], -v[147:148]
	v_fma_f64 v[7:8], v[143:144], v[189:190], v[7:8]
	v_add_f64 v[1:2], v[1:2], v[137:138]
	v_add_f64 v[3:4], v[3:4], v[139:140]
	;; [unrolled: 1-line block ×4, first 2 shown]
	s_waitcnt vmcnt(2)
	v_add_f64 v[1:2], v[191:192], -v[1:2]
	s_waitcnt vmcnt(0)
	v_add_f64 v[3:4], v[193:194], -v[3:4]
	buffer_store_dword v2, off, s[0:3], 0 offset:836
	buffer_store_dword v1, off, s[0:3], 0 offset:832
	;; [unrolled: 1-line block ×4, first 2 shown]
	v_cmpx_lt_u32_e32 50, v0
	s_cbranch_execz .LBB127_309
; %bb.308:
	v_mov_b32_e32 v4, s27
	v_mov_b32_e32 v5, 0
	s_clause 0x3
	buffer_load_dword v1, v4, s[0:3], 0 offen
	buffer_load_dword v2, v4, s[0:3], 0 offen offset:4
	buffer_load_dword v3, v4, s[0:3], 0 offen offset:8
	;; [unrolled: 1-line block ×3, first 2 shown]
	buffer_store_dword v5, off, s[0:3], 0 offset:816
	buffer_store_dword v5, off, s[0:3], 0 offset:820
	;; [unrolled: 1-line block ×4, first 2 shown]
	s_waitcnt vmcnt(0)
	ds_write_b128 v197, v[1:4]
.LBB127_309:
	s_or_b32 exec_lo, exec_lo, s4
	s_waitcnt lgkmcnt(0)
	s_waitcnt_vscnt null, 0x0
	s_barrier
	buffer_gl0_inv
	s_clause 0x33
	buffer_load_dword v6, off, s[0:3], 0 offset:840
	buffer_load_dword v7, off, s[0:3], 0 offset:844
	;; [unrolled: 1-line block ×52, first 2 shown]
	v_mov_b32_e32 v1, 0
	ds_read_b128 v[2:5], v1 offset:1840
	ds_read_b128 v[137:140], v1 offset:1856
	s_clause 0x3
	buffer_load_dword v198, off, s[0:3], 0 offset:816
	buffer_load_dword v199, off, s[0:3], 0 offset:820
	;; [unrolled: 1-line block ×4, first 2 shown]
	ds_read_b128 v[141:144], v1 offset:1872
	s_mov_b32 s4, exec_lo
	s_waitcnt vmcnt(54) lgkmcnt(2)
	v_mul_f64 v[195:196], v[4:5], v[6:7]
	v_mul_f64 v[6:7], v[2:3], v[6:7]
	s_waitcnt vmcnt(52) lgkmcnt(1)
	v_mul_f64 v[202:203], v[139:140], v[145:146]
	v_mul_f64 v[145:146], v[137:138], v[145:146]
	s_waitcnt vmcnt(50)
	v_fma_f64 v[195:196], v[2:3], v[147:148], -v[195:196]
	v_fma_f64 v[6:7], v[4:5], v[147:148], v[6:7]
	ds_read_b128 v[2:5], v1 offset:1888
	s_waitcnt vmcnt(48) lgkmcnt(1)
	v_mul_f64 v[147:148], v[141:142], v[149:150]
	v_mul_f64 v[149:150], v[143:144], v[149:150]
	s_waitcnt vmcnt(46)
	v_fma_f64 v[202:203], v[137:138], v[151:152], -v[202:203]
	v_fma_f64 v[145:146], v[139:140], v[151:152], v[145:146]
	ds_read_b128 v[137:140], v1 offset:1904
	s_waitcnt vmcnt(42) lgkmcnt(1)
	v_mul_f64 v[151:152], v[2:3], v[153:154]
	v_add_f64 v[195:196], v[195:196], 0
	v_add_f64 v[6:7], v[6:7], 0
	v_mul_f64 v[153:154], v[4:5], v[153:154]
	s_waitcnt vmcnt(40)
	v_fma_f64 v[149:150], v[141:142], v[159:160], -v[149:150]
	v_fma_f64 v[147:148], v[143:144], v[159:160], v[147:148]
	ds_read_b128 v[141:144], v1 offset:1920
	s_waitcnt vmcnt(37)
	v_fma_f64 v[151:152], v[4:5], v[161:162], v[151:152]
	v_add_f64 v[195:196], v[195:196], v[202:203]
	v_add_f64 v[6:7], v[6:7], v[145:146]
	s_waitcnt lgkmcnt(1)
	v_mul_f64 v[145:146], v[137:138], v[155:156]
	v_mul_f64 v[155:156], v[139:140], v[155:156]
	v_fma_f64 v[153:154], v[2:3], v[161:162], -v[153:154]
	s_waitcnt vmcnt(33) lgkmcnt(0)
	v_mul_f64 v[159:160], v[143:144], v[163:164]
	ds_read_b128 v[2:5], v1 offset:1936
	v_add_f64 v[149:150], v[195:196], v[149:150]
	v_add_f64 v[6:7], v[6:7], v[147:148]
	v_mul_f64 v[147:148], v[141:142], v[163:164]
	s_waitcnt vmcnt(32)
	v_fma_f64 v[155:156], v[137:138], v[157:158], -v[155:156]
	v_fma_f64 v[145:146], v[139:140], v[157:158], v[145:146]
	ds_read_b128 v[137:140], v1 offset:1952
	s_waitcnt vmcnt(29)
	v_fma_f64 v[157:158], v[141:142], v[169:170], -v[159:160]
	v_add_f64 v[149:150], v[149:150], v[153:154]
	v_add_f64 v[6:7], v[6:7], v[151:152]
	s_waitcnt lgkmcnt(1)
	v_mul_f64 v[153:154], v[4:5], v[165:166]
	v_mul_f64 v[151:152], v[2:3], v[165:166]
	v_fma_f64 v[147:148], v[143:144], v[169:170], v[147:148]
	ds_read_b128 v[141:144], v1 offset:1968
	v_add_f64 v[149:150], v[149:150], v[155:156]
	v_add_f64 v[6:7], v[6:7], v[145:146]
	s_waitcnt vmcnt(25) lgkmcnt(1)
	v_mul_f64 v[155:156], v[139:140], v[171:172]
	s_waitcnt vmcnt(24)
	v_fma_f64 v[153:154], v[2:3], v[167:168], -v[153:154]
	v_mul_f64 v[145:146], v[137:138], v[171:172]
	v_fma_f64 v[151:152], v[4:5], v[167:168], v[151:152]
	ds_read_b128 v[2:5], v1 offset:1984
	v_add_f64 v[149:150], v[149:150], v[157:158]
	v_add_f64 v[6:7], v[6:7], v[147:148]
	s_waitcnt vmcnt(23) lgkmcnt(1)
	v_mul_f64 v[157:158], v[143:144], v[173:174]
	s_waitcnt vmcnt(21)
	v_fma_f64 v[155:156], v[137:138], v[177:178], -v[155:156]
	v_mul_f64 v[147:148], v[141:142], v[173:174]
	v_fma_f64 v[145:146], v[139:140], v[177:178], v[145:146]
	ds_read_b128 v[137:140], v1 offset:2000
	v_add_f64 v[149:150], v[149:150], v[153:154]
	v_add_f64 v[6:7], v[6:7], v[151:152]
	s_waitcnt vmcnt(17) lgkmcnt(1)
	v_mul_f64 v[153:154], v[4:5], v[179:180]
	s_waitcnt vmcnt(16)
	v_fma_f64 v[157:158], v[141:142], v[175:176], -v[157:158]
	v_mul_f64 v[151:152], v[2:3], v[179:180]
	v_fma_f64 v[147:148], v[143:144], v[175:176], v[147:148]
	ds_read_b128 v[141:144], v1 offset:2016
	v_add_f64 v[149:150], v[149:150], v[155:156]
	v_add_f64 v[6:7], v[6:7], v[145:146]
	s_waitcnt vmcnt(15) lgkmcnt(1)
	v_mul_f64 v[155:156], v[139:140], v[181:182]
	s_waitcnt vmcnt(13)
	v_fma_f64 v[153:154], v[2:3], v[185:186], -v[153:154]
	v_mul_f64 v[145:146], v[137:138], v[181:182]
	v_fma_f64 v[151:152], v[4:5], v[185:186], v[151:152]
	ds_read_b128 v[2:5], v1 offset:2032
	v_add_f64 v[149:150], v[149:150], v[157:158]
	v_add_f64 v[6:7], v[6:7], v[147:148]
	s_waitcnt vmcnt(9) lgkmcnt(1)
	v_mul_f64 v[157:158], v[143:144], v[187:188]
	s_waitcnt vmcnt(8)
	v_fma_f64 v[137:138], v[137:138], v[183:184], -v[155:156]
	v_mul_f64 v[147:148], v[141:142], v[187:188]
	v_fma_f64 v[139:140], v[139:140], v[183:184], v[145:146]
	s_waitcnt vmcnt(7) lgkmcnt(0)
	v_mul_f64 v[145:146], v[2:3], v[189:190]
	v_add_f64 v[149:150], v[149:150], v[153:154]
	v_add_f64 v[6:7], v[6:7], v[151:152]
	v_mul_f64 v[151:152], v[4:5], v[189:190]
	s_waitcnt vmcnt(5)
	v_fma_f64 v[141:142], v[141:142], v[193:194], -v[157:158]
	v_fma_f64 v[143:144], v[143:144], v[193:194], v[147:148]
	s_waitcnt vmcnt(4)
	v_fma_f64 v[4:5], v[4:5], v[191:192], v[145:146]
	v_add_f64 v[137:138], v[149:150], v[137:138]
	v_add_f64 v[6:7], v[6:7], v[139:140]
	v_fma_f64 v[2:3], v[2:3], v[191:192], -v[151:152]
	v_add_f64 v[137:138], v[137:138], v[141:142]
	v_add_f64 v[6:7], v[6:7], v[143:144]
	;; [unrolled: 1-line block ×4, first 2 shown]
	s_waitcnt vmcnt(2)
	v_add_f64 v[2:3], v[198:199], -v[2:3]
	s_waitcnt vmcnt(0)
	v_add_f64 v[4:5], v[200:201], -v[4:5]
	buffer_store_dword v3, off, s[0:3], 0 offset:820
	buffer_store_dword v2, off, s[0:3], 0 offset:816
	;; [unrolled: 1-line block ×4, first 2 shown]
	v_cmpx_lt_u32_e32 49, v0
	s_cbranch_execz .LBB127_311
; %bb.310:
	v_mov_b32_e32 v5, s28
	s_clause 0x3
	buffer_load_dword v2, v5, s[0:3], 0 offen
	buffer_load_dword v3, v5, s[0:3], 0 offen offset:4
	buffer_load_dword v4, v5, s[0:3], 0 offen offset:8
	;; [unrolled: 1-line block ×3, first 2 shown]
	buffer_store_dword v1, off, s[0:3], 0 offset:800
	buffer_store_dword v1, off, s[0:3], 0 offset:804
	;; [unrolled: 1-line block ×4, first 2 shown]
	s_waitcnt vmcnt(0)
	ds_write_b128 v197, v[2:5]
.LBB127_311:
	s_or_b32 exec_lo, exec_lo, s4
	s_waitcnt lgkmcnt(0)
	s_waitcnt_vscnt null, 0x0
	s_barrier
	buffer_gl0_inv
	s_clause 0x35
	buffer_load_dword v6, off, s[0:3], 0 offset:824
	buffer_load_dword v7, off, s[0:3], 0 offset:828
	buffer_load_dword v145, off, s[0:3], 0 offset:840
	buffer_load_dword v146, off, s[0:3], 0 offset:844
	buffer_load_dword v147, off, s[0:3], 0 offset:816
	buffer_load_dword v148, off, s[0:3], 0 offset:820
	buffer_load_dword v149, off, s[0:3], 0 offset:856
	buffer_load_dword v150, off, s[0:3], 0 offset:860
	buffer_load_dword v151, off, s[0:3], 0 offset:832
	buffer_load_dword v152, off, s[0:3], 0 offset:836
	buffer_load_dword v154, off, s[0:3], 0 offset:876
	buffer_load_dword v155, off, s[0:3], 0 offset:888
	buffer_load_dword v157, off, s[0:3], 0 offset:880
	buffer_load_dword v153, off, s[0:3], 0 offset:872
	buffer_load_dword v159, off, s[0:3], 0 offset:848
	buffer_load_dword v160, off, s[0:3], 0 offset:852
	buffer_load_dword v156, off, s[0:3], 0 offset:892
	buffer_load_dword v162, off, s[0:3], 0 offset:868
	buffer_load_dword v161, off, s[0:3], 0 offset:864
	buffer_load_dword v164, off, s[0:3], 0 offset:908
	buffer_load_dword v165, off, s[0:3], 0 offset:920
	buffer_load_dword v167, off, s[0:3], 0 offset:912
	buffer_load_dword v163, off, s[0:3], 0 offset:904
	buffer_load_dword v158, off, s[0:3], 0 offset:884
	buffer_load_dword v166, off, s[0:3], 0 offset:924
	buffer_load_dword v170, off, s[0:3], 0 offset:900
	buffer_load_dword v169, off, s[0:3], 0 offset:896
	buffer_load_dword v172, off, s[0:3], 0 offset:940
	buffer_load_dword v173, off, s[0:3], 0 offset:952
	buffer_load_dword v175, off, s[0:3], 0 offset:944
	buffer_load_dword v171, off, s[0:3], 0 offset:936
	buffer_load_dword v168, off, s[0:3], 0 offset:916
	buffer_load_dword v174, off, s[0:3], 0 offset:956
	buffer_load_dword v178, off, s[0:3], 0 offset:932
	buffer_load_dword v177, off, s[0:3], 0 offset:928
	buffer_load_dword v180, off, s[0:3], 0 offset:972
	buffer_load_dword v181, off, s[0:3], 0 offset:984
	buffer_load_dword v183, off, s[0:3], 0 offset:976
	buffer_load_dword v179, off, s[0:3], 0 offset:968
	buffer_load_dword v176, off, s[0:3], 0 offset:948
	buffer_load_dword v182, off, s[0:3], 0 offset:988
	buffer_load_dword v186, off, s[0:3], 0 offset:964
	buffer_load_dword v185, off, s[0:3], 0 offset:960
	buffer_load_dword v188, off, s[0:3], 0 offset:1004
	buffer_load_dword v189, off, s[0:3], 0 offset:1016
	buffer_load_dword v191, off, s[0:3], 0 offset:1008
	buffer_load_dword v187, off, s[0:3], 0 offset:1000
	buffer_load_dword v184, off, s[0:3], 0 offset:980
	buffer_load_dword v190, off, s[0:3], 0 offset:1020
	buffer_load_dword v194, off, s[0:3], 0 offset:996
	buffer_load_dword v193, off, s[0:3], 0 offset:992
	buffer_load_dword v196, off, s[0:3], 0 offset:1036
	buffer_load_dword v195, off, s[0:3], 0 offset:1032
	buffer_load_dword v192, off, s[0:3], 0 offset:1012
	ds_read_b128 v[2:5], v1 offset:1824
	s_clause 0x1
	buffer_load_dword v199, off, s[0:3], 0 offset:1028
	buffer_load_dword v198, off, s[0:3], 0 offset:1024
	ds_read_b128 v[137:140], v1 offset:1840
	ds_read_b128 v[141:144], v1 offset:1856
	s_mov_b32 s4, exec_lo
	s_waitcnt vmcnt(54) lgkmcnt(2)
	v_mul_f64 v[200:201], v[4:5], v[6:7]
	v_mul_f64 v[6:7], v[2:3], v[6:7]
	s_waitcnt vmcnt(52) lgkmcnt(1)
	v_mul_f64 v[202:203], v[139:140], v[145:146]
	v_mul_f64 v[145:146], v[137:138], v[145:146]
	;; [unrolled: 3-line block ×3, first 2 shown]
	v_fma_f64 v[200:201], v[2:3], v[147:148], -v[200:201]
	v_fma_f64 v[6:7], v[4:5], v[147:148], v[6:7]
	s_clause 0x3
	buffer_load_dword v147, off, s[0:3], 0 offset:800
	buffer_load_dword v148, off, s[0:3], 0 offset:804
	;; [unrolled: 1-line block ×4, first 2 shown]
	s_waitcnt vmcnt(50)
	v_fma_f64 v[202:203], v[137:138], v[151:152], -v[202:203]
	ds_read_b128 v[2:5], v1 offset:1872
	v_fma_f64 v[145:146], v[139:140], v[151:152], v[145:146]
	ds_read_b128 v[137:140], v1 offset:1888
	s_waitcnt vmcnt(44)
	v_fma_f64 v[149:150], v[141:142], v[159:160], -v[149:150]
	v_fma_f64 v[159:160], v[143:144], v[159:160], v[206:207]
	ds_read_b128 v[141:144], v1 offset:1904
	v_add_f64 v[200:201], v[200:201], 0
	v_add_f64 v[6:7], v[6:7], 0
	s_waitcnt lgkmcnt(2)
	v_mul_f64 v[151:152], v[2:3], v[153:154]
	v_mul_f64 v[153:154], v[4:5], v[153:154]
	v_add_f64 v[200:201], v[200:201], v[202:203]
	v_add_f64 v[6:7], v[6:7], v[145:146]
	s_waitcnt vmcnt(43) lgkmcnt(1)
	v_mul_f64 v[145:146], v[137:138], v[155:156]
	v_mul_f64 v[155:156], v[139:140], v[155:156]
	s_waitcnt vmcnt(41)
	v_fma_f64 v[153:154], v[2:3], v[161:162], -v[153:154]
	v_fma_f64 v[151:152], v[4:5], v[161:162], v[151:152]
	ds_read_b128 v[2:5], v1 offset:1920
	s_waitcnt vmcnt(37) lgkmcnt(1)
	v_mul_f64 v[161:162], v[143:144], v[163:164]
	v_add_f64 v[149:150], v[200:201], v[149:150]
	v_add_f64 v[6:7], v[6:7], v[159:160]
	v_mul_f64 v[159:160], v[141:142], v[163:164]
	s_waitcnt vmcnt(36)
	v_fma_f64 v[155:156], v[137:138], v[157:158], -v[155:156]
	v_fma_f64 v[145:146], v[139:140], v[157:158], v[145:146]
	ds_read_b128 v[137:140], v1 offset:1936
	s_waitcnt vmcnt(33)
	v_fma_f64 v[157:158], v[141:142], v[169:170], -v[161:162]
	v_add_f64 v[149:150], v[149:150], v[153:154]
	v_add_f64 v[6:7], v[6:7], v[151:152]
	s_waitcnt lgkmcnt(1)
	v_mul_f64 v[153:154], v[4:5], v[165:166]
	v_mul_f64 v[151:152], v[2:3], v[165:166]
	v_add_f64 v[149:150], v[149:150], v[155:156]
	v_fma_f64 v[155:156], v[143:144], v[169:170], v[159:160]
	v_add_f64 v[6:7], v[6:7], v[145:146]
	ds_read_b128 v[141:144], v1 offset:1952
	s_waitcnt vmcnt(29) lgkmcnt(1)
	v_mul_f64 v[159:160], v[139:140], v[171:172]
	s_waitcnt vmcnt(28)
	v_fma_f64 v[153:154], v[2:3], v[167:168], -v[153:154]
	v_mul_f64 v[145:146], v[137:138], v[171:172]
	v_fma_f64 v[151:152], v[4:5], v[167:168], v[151:152]
	ds_read_b128 v[2:5], v1 offset:1968
	v_add_f64 v[149:150], v[149:150], v[157:158]
	s_waitcnt vmcnt(27) lgkmcnt(1)
	v_mul_f64 v[157:158], v[143:144], v[173:174]
	v_add_f64 v[6:7], v[6:7], v[155:156]
	v_mul_f64 v[155:156], v[141:142], v[173:174]
	s_waitcnt vmcnt(25)
	v_fma_f64 v[159:160], v[137:138], v[177:178], -v[159:160]
	v_fma_f64 v[145:146], v[139:140], v[177:178], v[145:146]
	ds_read_b128 v[137:140], v1 offset:1984
	v_add_f64 v[149:150], v[149:150], v[153:154]
	s_waitcnt vmcnt(21) lgkmcnt(1)
	v_mul_f64 v[153:154], v[4:5], v[179:180]
	v_add_f64 v[6:7], v[6:7], v[151:152]
	s_waitcnt vmcnt(20)
	v_fma_f64 v[157:158], v[141:142], v[175:176], -v[157:158]
	v_mul_f64 v[151:152], v[2:3], v[179:180]
	v_fma_f64 v[155:156], v[143:144], v[175:176], v[155:156]
	ds_read_b128 v[141:144], v1 offset:2000
	v_add_f64 v[149:150], v[149:150], v[159:160]
	s_waitcnt vmcnt(19) lgkmcnt(1)
	v_mul_f64 v[159:160], v[139:140], v[181:182]
	v_add_f64 v[6:7], v[6:7], v[145:146]
	s_waitcnt vmcnt(17)
	v_fma_f64 v[153:154], v[2:3], v[185:186], -v[153:154]
	v_mul_f64 v[145:146], v[137:138], v[181:182]
	v_fma_f64 v[151:152], v[4:5], v[185:186], v[151:152]
	ds_read_b128 v[2:5], v1 offset:2016
	v_add_f64 v[149:150], v[149:150], v[157:158]
	s_waitcnt vmcnt(13) lgkmcnt(1)
	v_mul_f64 v[157:158], v[143:144], v[187:188]
	v_add_f64 v[6:7], v[6:7], v[155:156]
	s_waitcnt vmcnt(12)
	v_fma_f64 v[159:160], v[137:138], v[183:184], -v[159:160]
	v_mul_f64 v[155:156], v[141:142], v[187:188]
	v_fma_f64 v[145:146], v[139:140], v[183:184], v[145:146]
	ds_read_b128 v[137:140], v1 offset:2032
	v_add_f64 v[149:150], v[149:150], v[153:154]
	s_waitcnt vmcnt(11) lgkmcnt(1)
	v_mul_f64 v[153:154], v[4:5], v[189:190]
	v_add_f64 v[6:7], v[6:7], v[151:152]
	s_waitcnt vmcnt(9)
	v_fma_f64 v[141:142], v[141:142], v[193:194], -v[157:158]
	v_mul_f64 v[151:152], v[2:3], v[189:190]
	v_fma_f64 v[143:144], v[143:144], v[193:194], v[155:156]
	s_waitcnt vmcnt(7) lgkmcnt(0)
	v_mul_f64 v[155:156], v[139:140], v[195:196]
	v_add_f64 v[149:150], v[149:150], v[159:160]
	s_waitcnt vmcnt(6)
	v_fma_f64 v[1:2], v[2:3], v[191:192], -v[153:154]
	v_add_f64 v[6:7], v[6:7], v[145:146]
	v_mul_f64 v[145:146], v[137:138], v[195:196]
	v_fma_f64 v[3:4], v[4:5], v[191:192], v[151:152]
	v_add_f64 v[141:142], v[149:150], v[141:142]
	v_add_f64 v[5:6], v[6:7], v[143:144]
	s_waitcnt vmcnt(4)
	v_fma_f64 v[7:8], v[137:138], v[198:199], -v[155:156]
	v_fma_f64 v[137:138], v[139:140], v[198:199], v[145:146]
	v_add_f64 v[1:2], v[141:142], v[1:2]
	v_add_f64 v[3:4], v[5:6], v[3:4]
	;; [unrolled: 1-line block ×4, first 2 shown]
	s_waitcnt vmcnt(2)
	v_add_f64 v[1:2], v[147:148], -v[1:2]
	s_waitcnt vmcnt(0)
	v_add_f64 v[3:4], v[204:205], -v[3:4]
	buffer_store_dword v2, off, s[0:3], 0 offset:804
	buffer_store_dword v1, off, s[0:3], 0 offset:800
	;; [unrolled: 1-line block ×4, first 2 shown]
	v_cmpx_lt_u32_e32 48, v0
	s_cbranch_execz .LBB127_313
; %bb.312:
	v_mov_b32_e32 v4, s29
	v_mov_b32_e32 v5, 0
	s_clause 0x3
	buffer_load_dword v1, v4, s[0:3], 0 offen
	buffer_load_dword v2, v4, s[0:3], 0 offen offset:4
	buffer_load_dword v3, v4, s[0:3], 0 offen offset:8
	;; [unrolled: 1-line block ×3, first 2 shown]
	buffer_store_dword v5, off, s[0:3], 0 offset:784
	buffer_store_dword v5, off, s[0:3], 0 offset:788
	;; [unrolled: 1-line block ×4, first 2 shown]
	s_waitcnt vmcnt(0)
	ds_write_b128 v197, v[1:4]
.LBB127_313:
	s_or_b32 exec_lo, exec_lo, s4
	s_waitcnt lgkmcnt(0)
	s_waitcnt_vscnt null, 0x0
	s_barrier
	buffer_gl0_inv
	s_clause 0x37
	buffer_load_dword v6, off, s[0:3], 0 offset:808
	buffer_load_dword v7, off, s[0:3], 0 offset:812
	;; [unrolled: 1-line block ×56, first 2 shown]
	v_mov_b32_e32 v1, 0
	s_mov_b32 s4, exec_lo
	ds_read_b128 v[2:5], v1 offset:1808
	s_clause 0x2
	buffer_load_dword v199, off, s[0:3], 0 offset:1036
	buffer_load_dword v203, off, s[0:3], 0 offset:1012
	;; [unrolled: 1-line block ×3, first 2 shown]
	ds_read_b128 v[137:140], v1 offset:1824
	ds_read_b128 v[141:144], v1 offset:1840
	buffer_load_dword v201, off, s[0:3], 0 offset:1028
	s_waitcnt vmcnt(58) lgkmcnt(2)
	v_mul_f64 v[204:205], v[4:5], v[6:7]
	v_mul_f64 v[6:7], v[2:3], v[6:7]
	s_waitcnt vmcnt(56) lgkmcnt(1)
	v_mul_f64 v[206:207], v[139:140], v[145:146]
	v_mul_f64 v[145:146], v[137:138], v[145:146]
	s_waitcnt vmcnt(54)
	v_fma_f64 v[204:205], v[2:3], v[147:148], -v[204:205]
	v_fma_f64 v[6:7], v[4:5], v[147:148], v[6:7]
	s_waitcnt vmcnt(52) lgkmcnt(0)
	v_mul_f64 v[147:148], v[141:142], v[149:150]
	v_mul_f64 v[149:150], v[143:144], v[149:150]
	s_waitcnt vmcnt(50)
	v_fma_f64 v[206:207], v[137:138], v[151:152], -v[206:207]
	ds_read_b128 v[2:5], v1 offset:1856
	v_fma_f64 v[145:146], v[139:140], v[151:152], v[145:146]
	s_clause 0x3
	buffer_load_dword v151, off, s[0:3], 0 offset:784
	buffer_load_dword v152, off, s[0:3], 0 offset:788
	;; [unrolled: 1-line block ×4, first 2 shown]
	ds_read_b128 v[137:140], v1 offset:1872
	v_add_f64 v[204:205], v[204:205], 0
	v_add_f64 v[6:7], v[6:7], 0
	s_waitcnt vmcnt(48)
	v_fma_f64 v[147:148], v[143:144], v[159:160], v[147:148]
	s_waitcnt lgkmcnt(1)
	v_mul_f64 v[210:211], v[2:3], v[153:154]
	v_mul_f64 v[153:154], v[4:5], v[153:154]
	v_fma_f64 v[149:150], v[141:142], v[159:160], -v[149:150]
	ds_read_b128 v[141:144], v1 offset:1888
	v_add_f64 v[204:205], v[204:205], v[206:207]
	v_add_f64 v[6:7], v[6:7], v[145:146]
	s_waitcnt vmcnt(47) lgkmcnt(1)
	v_mul_f64 v[145:146], v[137:138], v[155:156]
	v_mul_f64 v[155:156], v[139:140], v[155:156]
	s_waitcnt vmcnt(45)
	v_fma_f64 v[153:154], v[2:3], v[161:162], -v[153:154]
	v_fma_f64 v[159:160], v[4:5], v[161:162], v[210:211]
	s_waitcnt vmcnt(41) lgkmcnt(0)
	v_mul_f64 v[161:162], v[143:144], v[163:164]
	ds_read_b128 v[2:5], v1 offset:1904
	v_add_f64 v[149:150], v[204:205], v[149:150]
	v_add_f64 v[6:7], v[6:7], v[147:148]
	v_mul_f64 v[147:148], v[141:142], v[163:164]
	s_waitcnt vmcnt(40)
	v_fma_f64 v[155:156], v[137:138], v[157:158], -v[155:156]
	v_fma_f64 v[145:146], v[139:140], v[157:158], v[145:146]
	ds_read_b128 v[137:140], v1 offset:1920
	s_waitcnt vmcnt(39) lgkmcnt(1)
	v_mul_f64 v[157:158], v[4:5], v[165:166]
	v_add_f64 v[149:150], v[149:150], v[153:154]
	v_add_f64 v[6:7], v[6:7], v[159:160]
	s_waitcnt vmcnt(37)
	v_fma_f64 v[159:160], v[141:142], v[169:170], -v[161:162]
	v_mul_f64 v[153:154], v[2:3], v[165:166]
	v_fma_f64 v[147:148], v[143:144], v[169:170], v[147:148]
	ds_read_b128 v[141:144], v1 offset:1936
	s_waitcnt vmcnt(32)
	v_fma_f64 v[157:158], v[2:3], v[167:168], -v[157:158]
	v_add_f64 v[149:150], v[149:150], v[155:156]
	v_add_f64 v[6:7], v[6:7], v[145:146]
	s_waitcnt lgkmcnt(1)
	v_mul_f64 v[155:156], v[139:140], v[171:172]
	v_mul_f64 v[145:146], v[137:138], v[171:172]
	v_fma_f64 v[153:154], v[4:5], v[167:168], v[153:154]
	ds_read_b128 v[2:5], v1 offset:1952
	v_add_f64 v[149:150], v[149:150], v[159:160]
	v_add_f64 v[6:7], v[6:7], v[147:148]
	s_waitcnt vmcnt(31) lgkmcnt(1)
	v_mul_f64 v[159:160], v[143:144], v[173:174]
	s_waitcnt vmcnt(29)
	v_fma_f64 v[155:156], v[137:138], v[177:178], -v[155:156]
	v_mul_f64 v[147:148], v[141:142], v[173:174]
	v_fma_f64 v[145:146], v[139:140], v[177:178], v[145:146]
	ds_read_b128 v[137:140], v1 offset:1968
	v_add_f64 v[149:150], v[149:150], v[157:158]
	v_add_f64 v[6:7], v[6:7], v[153:154]
	s_waitcnt vmcnt(25) lgkmcnt(1)
	v_mul_f64 v[157:158], v[4:5], v[179:180]
	s_waitcnt vmcnt(24)
	v_fma_f64 v[159:160], v[141:142], v[175:176], -v[159:160]
	;; [unrolled: 9-line block ×6, first 2 shown]
	v_mul_f64 v[145:146], v[137:138], v[195:196]
	v_fma_f64 v[4:5], v[4:5], v[191:192], v[153:154]
	s_waitcnt vmcnt(7) lgkmcnt(0)
	v_mul_f64 v[153:154], v[143:144], v[198:199]
	v_add_f64 v[149:150], v[149:150], v[159:160]
	v_add_f64 v[6:7], v[6:7], v[147:148]
	s_waitcnt vmcnt(5)
	v_fma_f64 v[137:138], v[137:138], v[202:203], -v[155:156]
	v_mul_f64 v[147:148], v[141:142], v[198:199]
	v_fma_f64 v[139:140], v[139:140], v[202:203], v[145:146]
	v_add_f64 v[2:3], v[149:150], v[2:3]
	v_add_f64 v[4:5], v[6:7], v[4:5]
	s_waitcnt vmcnt(4)
	v_fma_f64 v[6:7], v[141:142], v[200:201], -v[153:154]
	v_add_f64 v[2:3], v[2:3], v[137:138]
	v_fma_f64 v[137:138], v[143:144], v[200:201], v[147:148]
	v_add_f64 v[4:5], v[4:5], v[139:140]
	v_add_f64 v[2:3], v[2:3], v[6:7]
	;; [unrolled: 1-line block ×3, first 2 shown]
	s_waitcnt vmcnt(2)
	v_add_f64 v[2:3], v[151:152], -v[2:3]
	s_waitcnt vmcnt(0)
	v_add_f64 v[4:5], v[208:209], -v[4:5]
	buffer_store_dword v3, off, s[0:3], 0 offset:788
	buffer_store_dword v2, off, s[0:3], 0 offset:784
	;; [unrolled: 1-line block ×4, first 2 shown]
	v_cmpx_lt_u32_e32 47, v0
	s_cbranch_execz .LBB127_315
; %bb.314:
	v_mov_b32_e32 v5, s30
	s_clause 0x3
	buffer_load_dword v2, v5, s[0:3], 0 offen
	buffer_load_dword v3, v5, s[0:3], 0 offen offset:4
	buffer_load_dword v4, v5, s[0:3], 0 offen offset:8
	;; [unrolled: 1-line block ×3, first 2 shown]
	buffer_store_dword v1, off, s[0:3], 0 offset:768
	buffer_store_dword v1, off, s[0:3], 0 offset:772
	;; [unrolled: 1-line block ×4, first 2 shown]
	s_waitcnt vmcnt(0)
	ds_write_b128 v197, v[2:5]
.LBB127_315:
	s_or_b32 exec_lo, exec_lo, s4
	s_waitcnt lgkmcnt(0)
	s_waitcnt_vscnt null, 0x0
	s_barrier
	buffer_gl0_inv
	s_clause 0x37
	buffer_load_dword v6, off, s[0:3], 0 offset:792
	buffer_load_dword v7, off, s[0:3], 0 offset:796
	;; [unrolled: 1-line block ×56, first 2 shown]
	ds_read_b128 v[2:5], v1 offset:1792
	s_clause 0x2
	buffer_load_dword v199, off, s[0:3], 0 offset:1020
	buffer_load_dword v203, off, s[0:3], 0 offset:996
	buffer_load_dword v202, off, s[0:3], 0 offset:992
	ds_read_b128 v[137:140], v1 offset:1808
	s_clause 0x2
	buffer_load_dword v207, off, s[0:3], 0 offset:1036
	buffer_load_dword v206, off, s[0:3], 0 offset:1032
	;; [unrolled: 1-line block ×3, first 2 shown]
	ds_read_b128 v[141:144], v1 offset:1824
	s_mov_b32 s4, exec_lo
	s_waitcnt vmcnt(60) lgkmcnt(2)
	v_mul_f64 v[204:205], v[4:5], v[6:7]
	v_mul_f64 v[6:7], v[2:3], v[6:7]
	s_waitcnt vmcnt(58) lgkmcnt(1)
	v_mul_f64 v[208:209], v[139:140], v[145:146]
	v_mul_f64 v[145:146], v[137:138], v[145:146]
	;; [unrolled: 3-line block ×3, first 2 shown]
	v_fma_f64 v[204:205], v[2:3], v[147:148], -v[204:205]
	v_fma_f64 v[6:7], v[4:5], v[147:148], v[6:7]
	s_clause 0x1
	buffer_load_dword v148, off, s[0:3], 0 offset:1028
	buffer_load_dword v147, off, s[0:3], 0 offset:1024
	s_waitcnt vmcnt(54)
	v_fma_f64 v[208:209], v[137:138], v[151:152], -v[208:209]
	ds_read_b128 v[2:5], v1 offset:1840
	v_fma_f64 v[145:146], v[139:140], v[151:152], v[145:146]
	ds_read_b128 v[137:140], v1 offset:1856
	s_waitcnt vmcnt(48)
	v_fma_f64 v[149:150], v[141:142], v[159:160], -v[149:150]
	v_fma_f64 v[159:160], v[143:144], v[159:160], v[210:211]
	v_add_f64 v[204:205], v[204:205], 0
	v_add_f64 v[6:7], v[6:7], 0
	s_waitcnt lgkmcnt(1)
	v_mul_f64 v[151:152], v[2:3], v[153:154]
	v_mul_f64 v[153:154], v[4:5], v[153:154]
	s_waitcnt vmcnt(47) lgkmcnt(0)
	v_mul_f64 v[210:211], v[137:138], v[155:156]
	v_mul_f64 v[155:156], v[139:140], v[155:156]
	v_add_f64 v[204:205], v[204:205], v[208:209]
	v_add_f64 v[6:7], v[6:7], v[145:146]
	s_clause 0x3
	buffer_load_dword v145, off, s[0:3], 0 offset:768
	buffer_load_dword v146, off, s[0:3], 0 offset:772
	;; [unrolled: 1-line block ×4, first 2 shown]
	s_waitcnt vmcnt(49)
	v_fma_f64 v[153:154], v[2:3], v[161:162], -v[153:154]
	ds_read_b128 v[141:144], v1 offset:1872
	v_fma_f64 v[151:152], v[4:5], v[161:162], v[151:152]
	ds_read_b128 v[2:5], v1 offset:1888
	s_waitcnt vmcnt(44)
	v_fma_f64 v[155:156], v[137:138], v[157:158], -v[155:156]
	v_add_f64 v[149:150], v[204:205], v[149:150]
	v_add_f64 v[6:7], v[6:7], v[159:160]
	s_waitcnt lgkmcnt(1)
	v_mul_f64 v[161:162], v[143:144], v[163:164]
	v_mul_f64 v[159:160], v[141:142], v[163:164]
	v_add_f64 v[149:150], v[149:150], v[153:154]
	v_fma_f64 v[153:154], v[139:140], v[157:158], v[210:211]
	v_add_f64 v[6:7], v[6:7], v[151:152]
	s_waitcnt vmcnt(43) lgkmcnt(0)
	v_mul_f64 v[157:158], v[4:5], v[165:166]
	s_waitcnt vmcnt(41)
	v_fma_f64 v[161:162], v[141:142], v[169:170], -v[161:162]
	ds_read_b128 v[137:140], v1 offset:1904
	v_mul_f64 v[151:152], v[2:3], v[165:166]
	v_add_f64 v[149:150], v[149:150], v[155:156]
	v_fma_f64 v[155:156], v[143:144], v[169:170], v[159:160]
	v_add_f64 v[6:7], v[6:7], v[153:154]
	ds_read_b128 v[141:144], v1 offset:1920
	s_waitcnt vmcnt(37) lgkmcnt(1)
	v_mul_f64 v[159:160], v[139:140], v[171:172]
	s_waitcnt vmcnt(36)
	v_fma_f64 v[157:158], v[2:3], v[167:168], -v[157:158]
	v_mul_f64 v[153:154], v[137:138], v[171:172]
	v_fma_f64 v[151:152], v[4:5], v[167:168], v[151:152]
	ds_read_b128 v[2:5], v1 offset:1936
	v_add_f64 v[149:150], v[149:150], v[161:162]
	s_waitcnt vmcnt(35) lgkmcnt(1)
	v_mul_f64 v[161:162], v[143:144], v[173:174]
	v_add_f64 v[6:7], v[6:7], v[155:156]
	v_mul_f64 v[155:156], v[141:142], v[173:174]
	s_waitcnt vmcnt(33)
	v_fma_f64 v[159:160], v[137:138], v[177:178], -v[159:160]
	v_fma_f64 v[153:154], v[139:140], v[177:178], v[153:154]
	ds_read_b128 v[137:140], v1 offset:1952
	v_add_f64 v[149:150], v[149:150], v[157:158]
	s_waitcnt vmcnt(29) lgkmcnt(1)
	v_mul_f64 v[157:158], v[4:5], v[179:180]
	v_add_f64 v[6:7], v[6:7], v[151:152]
	s_waitcnt vmcnt(28)
	v_fma_f64 v[161:162], v[141:142], v[175:176], -v[161:162]
	v_mul_f64 v[151:152], v[2:3], v[179:180]
	v_fma_f64 v[155:156], v[143:144], v[175:176], v[155:156]
	ds_read_b128 v[141:144], v1 offset:1968
	v_add_f64 v[149:150], v[149:150], v[159:160]
	s_waitcnt vmcnt(27) lgkmcnt(1)
	v_mul_f64 v[159:160], v[139:140], v[181:182]
	v_add_f64 v[6:7], v[6:7], v[153:154]
	s_waitcnt vmcnt(25)
	v_fma_f64 v[157:158], v[2:3], v[185:186], -v[157:158]
	v_mul_f64 v[153:154], v[137:138], v[181:182]
	;; [unrolled: 9-line block ×5, first 2 shown]
	v_fma_f64 v[151:152], v[4:5], v[191:192], v[151:152]
	ds_read_b128 v[1:4], v1 offset:2032
	v_add_f64 v[149:150], v[149:150], v[161:162]
	s_waitcnt vmcnt(9)
	v_fma_f64 v[137:138], v[137:138], v[202:203], -v[159:160]
	v_add_f64 v[5:6], v[6:7], v[155:156]
	s_waitcnt lgkmcnt(1)
	v_mul_f64 v[155:156], v[143:144], v[198:199]
	v_mul_f64 v[7:8], v[141:142], v[198:199]
	v_fma_f64 v[139:140], v[139:140], v[202:203], v[153:154]
	s_waitcnt vmcnt(7) lgkmcnt(0)
	v_mul_f64 v[153:154], v[3:4], v[206:207]
	v_add_f64 v[149:150], v[149:150], v[157:158]
	v_add_f64 v[5:6], v[5:6], v[151:152]
	s_waitcnt vmcnt(6)
	v_fma_f64 v[141:142], v[141:142], v[200:201], -v[155:156]
	v_mul_f64 v[151:152], v[1:2], v[206:207]
	v_fma_f64 v[7:8], v[143:144], v[200:201], v[7:8]
	v_add_f64 v[137:138], v[149:150], v[137:138]
	v_add_f64 v[5:6], v[5:6], v[139:140]
	s_waitcnt vmcnt(4)
	v_fma_f64 v[1:2], v[1:2], v[147:148], -v[153:154]
	v_fma_f64 v[3:4], v[3:4], v[147:148], v[151:152]
	v_add_f64 v[137:138], v[137:138], v[141:142]
	v_add_f64 v[5:6], v[5:6], v[7:8]
	v_add_f64 v[1:2], v[137:138], v[1:2]
	v_add_f64 v[3:4], v[5:6], v[3:4]
	s_waitcnt vmcnt(2)
	v_add_f64 v[1:2], v[145:146], -v[1:2]
	s_waitcnt vmcnt(0)
	v_add_f64 v[3:4], v[208:209], -v[3:4]
	buffer_store_dword v2, off, s[0:3], 0 offset:772
	buffer_store_dword v1, off, s[0:3], 0 offset:768
	buffer_store_dword v4, off, s[0:3], 0 offset:780
	buffer_store_dword v3, off, s[0:3], 0 offset:776
	v_cmpx_lt_u32_e32 46, v0
	s_cbranch_execz .LBB127_317
; %bb.316:
	v_mov_b32_e32 v4, s31
	v_mov_b32_e32 v5, 0
	s_clause 0x3
	buffer_load_dword v1, v4, s[0:3], 0 offen
	buffer_load_dword v2, v4, s[0:3], 0 offen offset:4
	buffer_load_dword v3, v4, s[0:3], 0 offen offset:8
	;; [unrolled: 1-line block ×3, first 2 shown]
	buffer_store_dword v5, off, s[0:3], 0 offset:752
	buffer_store_dword v5, off, s[0:3], 0 offset:756
	;; [unrolled: 1-line block ×4, first 2 shown]
	s_waitcnt vmcnt(0)
	ds_write_b128 v197, v[1:4]
.LBB127_317:
	s_or_b32 exec_lo, exec_lo, s4
	s_waitcnt lgkmcnt(0)
	s_waitcnt_vscnt null, 0x0
	s_barrier
	buffer_gl0_inv
	s_clause 0x37
	buffer_load_dword v6, off, s[0:3], 0 offset:776
	buffer_load_dword v7, off, s[0:3], 0 offset:780
	;; [unrolled: 1-line block ×56, first 2 shown]
	v_mov_b32_e32 v1, 0
	s_mov_b32 s4, exec_lo
	ds_read_b128 v[2:5], v1 offset:1776
	s_clause 0x2
	buffer_load_dword v199, off, s[0:3], 0 offset:1004
	buffer_load_dword v203, off, s[0:3], 0 offset:980
	;; [unrolled: 1-line block ×3, first 2 shown]
	ds_read_b128 v[137:140], v1 offset:1792
	s_clause 0x4
	buffer_load_dword v207, off, s[0:3], 0 offset:1020
	buffer_load_dword v208, off, s[0:3], 0 offset:1032
	;; [unrolled: 1-line block ×5, first 2 shown]
	ds_read_b128 v[141:144], v1 offset:1808
	s_waitcnt vmcnt(62) lgkmcnt(2)
	v_mul_f64 v[204:205], v[4:5], v[6:7]
	v_mul_f64 v[6:7], v[2:3], v[6:7]
	s_waitcnt vmcnt(60) lgkmcnt(1)
	v_mul_f64 v[211:212], v[139:140], v[145:146]
	v_mul_f64 v[145:146], v[137:138], v[145:146]
	;; [unrolled: 3-line block ×3, first 2 shown]
	v_fma_f64 v[204:205], v[2:3], v[147:148], -v[204:205]
	v_fma_f64 v[6:7], v[4:5], v[147:148], v[6:7]
	s_clause 0x2
	buffer_load_dword v209, off, s[0:3], 0 offset:1036
	buffer_load_dword v148, off, s[0:3], 0 offset:1012
	;; [unrolled: 1-line block ×3, first 2 shown]
	s_waitcnt vmcnt(57)
	v_fma_f64 v[215:216], v[137:138], v[151:152], -v[211:212]
	ds_read_b128 v[2:5], v1 offset:1824
	v_fma_f64 v[145:146], v[139:140], v[151:152], v[145:146]
	buffer_load_dword v211, off, s[0:3], 0 offset:1028
	ds_read_b128 v[137:140], v1 offset:1840
	s_waitcnt vmcnt(52)
	v_fma_f64 v[149:150], v[141:142], v[159:160], -v[149:150]
	v_fma_f64 v[159:160], v[143:144], v[159:160], v[213:214]
	ds_read_b128 v[141:144], v1 offset:1856
	v_add_f64 v[204:205], v[204:205], 0
	v_add_f64 v[6:7], v[6:7], 0
	s_waitcnt lgkmcnt(2)
	v_mul_f64 v[151:152], v[2:3], v[153:154]
	v_mul_f64 v[153:154], v[4:5], v[153:154]
	v_add_f64 v[204:205], v[204:205], v[215:216]
	v_add_f64 v[6:7], v[6:7], v[145:146]
	s_waitcnt vmcnt(51) lgkmcnt(1)
	v_mul_f64 v[145:146], v[137:138], v[155:156]
	v_mul_f64 v[155:156], v[139:140], v[155:156]
	s_waitcnt vmcnt(49)
	v_fma_f64 v[153:154], v[2:3], v[161:162], -v[153:154]
	v_fma_f64 v[151:152], v[4:5], v[161:162], v[151:152]
	v_add_f64 v[149:150], v[204:205], v[149:150]
	v_add_f64 v[6:7], v[6:7], v[159:160]
	s_clause 0x3
	buffer_load_dword v159, off, s[0:3], 0 offset:752
	buffer_load_dword v160, off, s[0:3], 0 offset:756
	;; [unrolled: 1-line block ×4, first 2 shown]
	s_waitcnt vmcnt(49) lgkmcnt(0)
	v_mul_f64 v[204:205], v[141:142], v[163:164]
	v_mul_f64 v[163:164], v[143:144], v[163:164]
	s_waitcnt vmcnt(48)
	v_fma_f64 v[155:156], v[137:138], v[157:158], -v[155:156]
	ds_read_b128 v[2:5], v1 offset:1872
	v_fma_f64 v[145:146], v[139:140], v[157:158], v[145:146]
	ds_read_b128 v[137:140], v1 offset:1888
	v_add_f64 v[149:150], v[149:150], v[153:154]
	v_add_f64 v[6:7], v[6:7], v[151:152]
	s_waitcnt vmcnt(47) lgkmcnt(1)
	v_mul_f64 v[153:154], v[4:5], v[165:166]
	s_waitcnt vmcnt(45)
	v_fma_f64 v[157:158], v[141:142], v[169:170], -v[163:164]
	v_mul_f64 v[151:152], v[2:3], v[165:166]
	s_waitcnt vmcnt(41) lgkmcnt(0)
	v_mul_f64 v[163:164], v[139:140], v[171:172]
	v_add_f64 v[149:150], v[149:150], v[155:156]
	v_fma_f64 v[155:156], v[143:144], v[169:170], v[204:205]
	v_add_f64 v[6:7], v[6:7], v[145:146]
	ds_read_b128 v[141:144], v1 offset:1904
	s_waitcnt vmcnt(40)
	v_fma_f64 v[153:154], v[2:3], v[167:168], -v[153:154]
	v_mul_f64 v[145:146], v[137:138], v[171:172]
	v_fma_f64 v[151:152], v[4:5], v[167:168], v[151:152]
	ds_read_b128 v[2:5], v1 offset:1920
	s_waitcnt vmcnt(37)
	v_fma_f64 v[163:164], v[137:138], v[177:178], -v[163:164]
	v_add_f64 v[149:150], v[149:150], v[157:158]
	s_waitcnt lgkmcnt(1)
	v_mul_f64 v[157:158], v[143:144], v[173:174]
	v_add_f64 v[6:7], v[6:7], v[155:156]
	v_mul_f64 v[155:156], v[141:142], v[173:174]
	v_fma_f64 v[145:146], v[139:140], v[177:178], v[145:146]
	ds_read_b128 v[137:140], v1 offset:1936
	v_add_f64 v[149:150], v[149:150], v[153:154]
	s_waitcnt vmcnt(33) lgkmcnt(1)
	v_mul_f64 v[153:154], v[4:5], v[179:180]
	v_add_f64 v[6:7], v[6:7], v[151:152]
	s_waitcnt vmcnt(32)
	v_fma_f64 v[157:158], v[141:142], v[175:176], -v[157:158]
	v_mul_f64 v[151:152], v[2:3], v[179:180]
	v_fma_f64 v[155:156], v[143:144], v[175:176], v[155:156]
	ds_read_b128 v[141:144], v1 offset:1952
	v_add_f64 v[149:150], v[149:150], v[163:164]
	s_waitcnt vmcnt(31) lgkmcnt(1)
	v_mul_f64 v[163:164], v[139:140], v[181:182]
	v_add_f64 v[6:7], v[6:7], v[145:146]
	s_waitcnt vmcnt(29)
	v_fma_f64 v[153:154], v[2:3], v[185:186], -v[153:154]
	;; [unrolled: 9-line block ×7, first 2 shown]
	v_mul_f64 v[151:152], v[2:3], v[206:207]
	v_fma_f64 v[143:144], v[143:144], v[200:201], v[155:156]
	v_add_f64 v[149:150], v[149:150], v[163:164]
	v_add_f64 v[6:7], v[6:7], v[145:146]
	s_waitcnt vmcnt(7) lgkmcnt(0)
	v_mul_f64 v[155:156], v[139:140], v[208:209]
	v_mul_f64 v[145:146], v[137:138], v[208:209]
	s_waitcnt vmcnt(5)
	v_fma_f64 v[2:3], v[2:3], v[147:148], -v[153:154]
	v_fma_f64 v[4:5], v[4:5], v[147:148], v[151:152]
	v_add_f64 v[141:142], v[149:150], v[141:142]
	v_add_f64 v[6:7], v[6:7], v[143:144]
	s_waitcnt vmcnt(4)
	v_fma_f64 v[137:138], v[137:138], v[210:211], -v[155:156]
	v_fma_f64 v[139:140], v[139:140], v[210:211], v[145:146]
	v_add_f64 v[2:3], v[141:142], v[2:3]
	v_add_f64 v[4:5], v[6:7], v[4:5]
	;; [unrolled: 1-line block ×4, first 2 shown]
	s_waitcnt vmcnt(2)
	v_add_f64 v[2:3], v[159:160], -v[2:3]
	s_waitcnt vmcnt(0)
	v_add_f64 v[4:5], v[161:162], -v[4:5]
	buffer_store_dword v3, off, s[0:3], 0 offset:756
	buffer_store_dword v2, off, s[0:3], 0 offset:752
	;; [unrolled: 1-line block ×4, first 2 shown]
	v_cmpx_lt_u32_e32 45, v0
	s_cbranch_execz .LBB127_319
; %bb.318:
	v_mov_b32_e32 v5, s33
	s_clause 0x3
	buffer_load_dword v2, v5, s[0:3], 0 offen
	buffer_load_dword v3, v5, s[0:3], 0 offen offset:4
	buffer_load_dword v4, v5, s[0:3], 0 offen offset:8
	;; [unrolled: 1-line block ×3, first 2 shown]
	buffer_store_dword v1, off, s[0:3], 0 offset:736
	buffer_store_dword v1, off, s[0:3], 0 offset:740
	;; [unrolled: 1-line block ×4, first 2 shown]
	s_waitcnt vmcnt(0)
	ds_write_b128 v197, v[2:5]
.LBB127_319:
	s_or_b32 exec_lo, exec_lo, s4
	s_waitcnt lgkmcnt(0)
	s_waitcnt_vscnt null, 0x0
	s_barrier
	buffer_gl0_inv
	s_clause 0x37
	buffer_load_dword v6, off, s[0:3], 0 offset:760
	buffer_load_dword v7, off, s[0:3], 0 offset:764
	buffer_load_dword v145, off, s[0:3], 0 offset:776
	buffer_load_dword v146, off, s[0:3], 0 offset:780
	buffer_load_dword v147, off, s[0:3], 0 offset:752
	buffer_load_dword v148, off, s[0:3], 0 offset:756
	buffer_load_dword v149, off, s[0:3], 0 offset:792
	buffer_load_dword v150, off, s[0:3], 0 offset:796
	buffer_load_dword v151, off, s[0:3], 0 offset:768
	buffer_load_dword v152, off, s[0:3], 0 offset:772
	buffer_load_dword v154, off, s[0:3], 0 offset:812
	buffer_load_dword v155, off, s[0:3], 0 offset:824
	buffer_load_dword v157, off, s[0:3], 0 offset:816
	buffer_load_dword v153, off, s[0:3], 0 offset:808
	buffer_load_dword v159, off, s[0:3], 0 offset:784
	buffer_load_dword v160, off, s[0:3], 0 offset:788
	buffer_load_dword v156, off, s[0:3], 0 offset:828
	buffer_load_dword v162, off, s[0:3], 0 offset:804
	buffer_load_dword v161, off, s[0:3], 0 offset:800
	buffer_load_dword v164, off, s[0:3], 0 offset:844
	buffer_load_dword v165, off, s[0:3], 0 offset:856
	buffer_load_dword v167, off, s[0:3], 0 offset:848
	buffer_load_dword v163, off, s[0:3], 0 offset:840
	buffer_load_dword v158, off, s[0:3], 0 offset:820
	buffer_load_dword v166, off, s[0:3], 0 offset:860
	buffer_load_dword v170, off, s[0:3], 0 offset:836
	buffer_load_dword v169, off, s[0:3], 0 offset:832
	buffer_load_dword v172, off, s[0:3], 0 offset:876
	buffer_load_dword v173, off, s[0:3], 0 offset:888
	buffer_load_dword v175, off, s[0:3], 0 offset:880
	buffer_load_dword v171, off, s[0:3], 0 offset:872
	buffer_load_dword v168, off, s[0:3], 0 offset:852
	buffer_load_dword v174, off, s[0:3], 0 offset:892
	buffer_load_dword v178, off, s[0:3], 0 offset:868
	buffer_load_dword v177, off, s[0:3], 0 offset:864
	buffer_load_dword v180, off, s[0:3], 0 offset:908
	buffer_load_dword v181, off, s[0:3], 0 offset:920
	buffer_load_dword v183, off, s[0:3], 0 offset:912
	buffer_load_dword v179, off, s[0:3], 0 offset:904
	buffer_load_dword v176, off, s[0:3], 0 offset:884
	buffer_load_dword v182, off, s[0:3], 0 offset:924
	buffer_load_dword v186, off, s[0:3], 0 offset:900
	buffer_load_dword v185, off, s[0:3], 0 offset:896
	buffer_load_dword v188, off, s[0:3], 0 offset:940
	buffer_load_dword v189, off, s[0:3], 0 offset:952
	buffer_load_dword v191, off, s[0:3], 0 offset:944
	buffer_load_dword v187, off, s[0:3], 0 offset:936
	buffer_load_dword v184, off, s[0:3], 0 offset:916
	buffer_load_dword v190, off, s[0:3], 0 offset:956
	buffer_load_dword v194, off, s[0:3], 0 offset:932
	buffer_load_dword v193, off, s[0:3], 0 offset:928
	buffer_load_dword v196, off, s[0:3], 0 offset:972
	buffer_load_dword v198, off, s[0:3], 0 offset:984
	buffer_load_dword v200, off, s[0:3], 0 offset:976
	buffer_load_dword v195, off, s[0:3], 0 offset:968
	buffer_load_dword v192, off, s[0:3], 0 offset:948
	ds_read_b128 v[2:5], v1 offset:1760
	s_clause 0x2
	buffer_load_dword v199, off, s[0:3], 0 offset:988
	buffer_load_dword v203, off, s[0:3], 0 offset:964
	;; [unrolled: 1-line block ×3, first 2 shown]
	ds_read_b128 v[137:140], v1 offset:1776
	s_clause 0x4
	buffer_load_dword v207, off, s[0:3], 0 offset:1004
	buffer_load_dword v208, off, s[0:3], 0 offset:1016
	;; [unrolled: 1-line block ×5, first 2 shown]
	ds_read_b128 v[141:144], v1 offset:1792
	s_mov_b32 s4, exec_lo
	s_waitcnt vmcnt(62) lgkmcnt(2)
	v_mul_f64 v[204:205], v[4:5], v[6:7]
	v_mul_f64 v[6:7], v[2:3], v[6:7]
	s_waitcnt vmcnt(60) lgkmcnt(1)
	v_mul_f64 v[211:212], v[139:140], v[145:146]
	v_mul_f64 v[145:146], v[137:138], v[145:146]
	;; [unrolled: 3-line block ×3, first 2 shown]
	v_fma_f64 v[204:205], v[2:3], v[147:148], -v[204:205]
	v_fma_f64 v[6:7], v[4:5], v[147:148], v[6:7]
	s_clause 0x2
	buffer_load_dword v209, off, s[0:3], 0 offset:1020
	buffer_load_dword v148, off, s[0:3], 0 offset:996
	buffer_load_dword v147, off, s[0:3], 0 offset:992
	s_waitcnt vmcnt(57)
	v_fma_f64 v[215:216], v[137:138], v[151:152], -v[211:212]
	ds_read_b128 v[2:5], v1 offset:1808
	v_fma_f64 v[145:146], v[139:140], v[151:152], v[145:146]
	s_clause 0x2
	buffer_load_dword v152, off, s[0:3], 0 offset:1036
	buffer_load_dword v151, off, s[0:3], 0 offset:1032
	;; [unrolled: 1-line block ×3, first 2 shown]
	s_waitcnt vmcnt(54)
	v_fma_f64 v[149:150], v[141:142], v[159:160], -v[149:150]
	ds_read_b128 v[137:140], v1 offset:1824
	v_fma_f64 v[159:160], v[143:144], v[159:160], v[213:214]
	v_add_f64 v[204:205], v[204:205], 0
	v_add_f64 v[6:7], v[6:7], 0
	s_waitcnt lgkmcnt(1)
	v_mul_f64 v[217:218], v[2:3], v[153:154]
	v_mul_f64 v[153:154], v[4:5], v[153:154]
	s_waitcnt vmcnt(53) lgkmcnt(0)
	v_mul_f64 v[212:213], v[137:138], v[155:156]
	v_mul_f64 v[155:156], v[139:140], v[155:156]
	v_add_f64 v[204:205], v[204:205], v[215:216]
	v_add_f64 v[6:7], v[6:7], v[145:146]
	s_clause 0x1
	buffer_load_dword v146, off, s[0:3], 0 offset:1028
	buffer_load_dword v145, off, s[0:3], 0 offset:1024
	s_waitcnt vmcnt(53)
	v_fma_f64 v[153:154], v[2:3], v[161:162], -v[153:154]
	ds_read_b128 v[141:144], v1 offset:1840
	v_fma_f64 v[161:162], v[4:5], v[161:162], v[217:218]
	ds_read_b128 v[2:5], v1 offset:1856
	s_waitcnt vmcnt(48)
	v_fma_f64 v[155:156], v[137:138], v[157:158], -v[155:156]
	v_add_f64 v[149:150], v[204:205], v[149:150]
	v_add_f64 v[6:7], v[6:7], v[159:160]
	s_waitcnt lgkmcnt(1)
	v_mul_f64 v[159:160], v[141:142], v[163:164]
	v_mul_f64 v[163:164], v[143:144], v[163:164]
	s_waitcnt vmcnt(47) lgkmcnt(0)
	v_mul_f64 v[204:205], v[2:3], v[165:166]
	v_mul_f64 v[165:166], v[4:5], v[165:166]
	v_add_f64 v[149:150], v[149:150], v[153:154]
	v_fma_f64 v[153:154], v[139:140], v[157:158], v[212:213]
	v_add_f64 v[6:7], v[6:7], v[161:162]
	s_clause 0x3
	buffer_load_dword v157, off, s[0:3], 0 offset:736
	buffer_load_dword v158, off, s[0:3], 0 offset:740
	buffer_load_dword v161, off, s[0:3], 0 offset:744
	buffer_load_dword v162, off, s[0:3], 0 offset:748
	s_waitcnt vmcnt(49)
	v_fma_f64 v[163:164], v[141:142], v[169:170], -v[163:164]
	ds_read_b128 v[137:140], v1 offset:1872
	s_waitcnt vmcnt(44)
	v_fma_f64 v[165:166], v[2:3], v[167:168], -v[165:166]
	v_add_f64 v[149:150], v[149:150], v[155:156]
	v_fma_f64 v[155:156], v[143:144], v[169:170], v[159:160]
	v_add_f64 v[6:7], v[6:7], v[153:154]
	ds_read_b128 v[141:144], v1 offset:1888
	s_waitcnt lgkmcnt(1)
	v_mul_f64 v[159:160], v[139:140], v[171:172]
	v_mul_f64 v[153:154], v[137:138], v[171:172]
	v_add_f64 v[149:150], v[149:150], v[163:164]
	v_fma_f64 v[163:164], v[4:5], v[167:168], v[204:205]
	v_add_f64 v[6:7], v[6:7], v[155:156]
	s_waitcnt vmcnt(43) lgkmcnt(0)
	v_mul_f64 v[167:168], v[143:144], v[173:174]
	s_waitcnt vmcnt(41)
	v_fma_f64 v[159:160], v[137:138], v[177:178], -v[159:160]
	ds_read_b128 v[2:5], v1 offset:1904
	v_mul_f64 v[155:156], v[141:142], v[173:174]
	v_fma_f64 v[153:154], v[139:140], v[177:178], v[153:154]
	ds_read_b128 v[137:140], v1 offset:1920
	v_add_f64 v[149:150], v[149:150], v[165:166]
	v_add_f64 v[6:7], v[6:7], v[163:164]
	s_waitcnt vmcnt(37) lgkmcnt(1)
	v_mul_f64 v[165:166], v[4:5], v[179:180]
	s_waitcnt vmcnt(36)
	v_fma_f64 v[167:168], v[141:142], v[175:176], -v[167:168]
	v_mul_f64 v[163:164], v[2:3], v[179:180]
	v_fma_f64 v[155:156], v[143:144], v[175:176], v[155:156]
	ds_read_b128 v[141:144], v1 offset:1936
	v_add_f64 v[149:150], v[149:150], v[159:160]
	s_waitcnt vmcnt(35) lgkmcnt(1)
	v_mul_f64 v[159:160], v[139:140], v[181:182]
	v_add_f64 v[6:7], v[6:7], v[153:154]
	s_waitcnt vmcnt(33)
	v_fma_f64 v[165:166], v[2:3], v[185:186], -v[165:166]
	v_mul_f64 v[153:154], v[137:138], v[181:182]
	v_fma_f64 v[163:164], v[4:5], v[185:186], v[163:164]
	ds_read_b128 v[2:5], v1 offset:1952
	v_add_f64 v[149:150], v[149:150], v[167:168]
	s_waitcnt vmcnt(29) lgkmcnt(1)
	v_mul_f64 v[167:168], v[143:144], v[187:188]
	v_add_f64 v[6:7], v[6:7], v[155:156]
	s_waitcnt vmcnt(28)
	v_fma_f64 v[159:160], v[137:138], v[183:184], -v[159:160]
	v_mul_f64 v[155:156], v[141:142], v[187:188]
	v_fma_f64 v[153:154], v[139:140], v[183:184], v[153:154]
	ds_read_b128 v[137:140], v1 offset:1968
	v_add_f64 v[149:150], v[149:150], v[165:166]
	s_waitcnt vmcnt(27) lgkmcnt(1)
	v_mul_f64 v[165:166], v[4:5], v[189:190]
	v_add_f64 v[6:7], v[6:7], v[163:164]
	s_waitcnt vmcnt(25)
	v_fma_f64 v[167:168], v[141:142], v[193:194], -v[167:168]
	v_mul_f64 v[163:164], v[2:3], v[189:190]
	v_fma_f64 v[155:156], v[143:144], v[193:194], v[155:156]
	ds_read_b128 v[141:144], v1 offset:1984
	v_add_f64 v[149:150], v[149:150], v[159:160]
	s_waitcnt vmcnt(21) lgkmcnt(1)
	v_mul_f64 v[159:160], v[139:140], v[195:196]
	v_add_f64 v[6:7], v[6:7], v[153:154]
	s_waitcnt vmcnt(20)
	v_fma_f64 v[165:166], v[2:3], v[191:192], -v[165:166]
	v_mul_f64 v[153:154], v[137:138], v[195:196]
	v_fma_f64 v[163:164], v[4:5], v[191:192], v[163:164]
	ds_read_b128 v[2:5], v1 offset:2000
	v_add_f64 v[149:150], v[149:150], v[167:168]
	s_waitcnt vmcnt(19) lgkmcnt(1)
	v_mul_f64 v[167:168], v[143:144], v[198:199]
	v_add_f64 v[6:7], v[6:7], v[155:156]
	s_waitcnt vmcnt(17)
	v_fma_f64 v[159:160], v[137:138], v[202:203], -v[159:160]
	v_mul_f64 v[155:156], v[141:142], v[198:199]
	v_fma_f64 v[153:154], v[139:140], v[202:203], v[153:154]
	ds_read_b128 v[137:140], v1 offset:2016
	v_add_f64 v[149:150], v[149:150], v[165:166]
	s_waitcnt vmcnt(13) lgkmcnt(1)
	v_mul_f64 v[165:166], v[4:5], v[206:207]
	v_add_f64 v[6:7], v[6:7], v[163:164]
	s_waitcnt vmcnt(12)
	v_fma_f64 v[167:168], v[141:142], v[200:201], -v[167:168]
	v_mul_f64 v[163:164], v[2:3], v[206:207]
	v_fma_f64 v[155:156], v[143:144], v[200:201], v[155:156]
	ds_read_b128 v[141:144], v1 offset:2032
	v_add_f64 v[149:150], v[149:150], v[159:160]
	v_add_f64 v[6:7], v[6:7], v[153:154]
	s_waitcnt vmcnt(11) lgkmcnt(1)
	v_mul_f64 v[159:160], v[139:140], v[208:209]
	v_mul_f64 v[153:154], v[137:138], v[208:209]
	s_waitcnt vmcnt(9)
	v_fma_f64 v[1:2], v[2:3], v[147:148], -v[165:166]
	v_fma_f64 v[3:4], v[4:5], v[147:148], v[163:164]
	s_waitcnt vmcnt(7) lgkmcnt(0)
	v_mul_f64 v[147:148], v[143:144], v[151:152]
	v_add_f64 v[149:150], v[149:150], v[167:168]
	v_add_f64 v[5:6], v[6:7], v[155:156]
	v_mul_f64 v[7:8], v[141:142], v[151:152]
	s_waitcnt vmcnt(6)
	v_fma_f64 v[137:138], v[137:138], v[210:211], -v[159:160]
	v_fma_f64 v[139:140], v[139:140], v[210:211], v[153:154]
	v_add_f64 v[1:2], v[149:150], v[1:2]
	v_add_f64 v[3:4], v[5:6], v[3:4]
	s_waitcnt vmcnt(4)
	v_fma_f64 v[5:6], v[141:142], v[145:146], -v[147:148]
	v_fma_f64 v[7:8], v[143:144], v[145:146], v[7:8]
	v_add_f64 v[1:2], v[1:2], v[137:138]
	v_add_f64 v[3:4], v[3:4], v[139:140]
	;; [unrolled: 1-line block ×4, first 2 shown]
	s_waitcnt vmcnt(2)
	v_add_f64 v[1:2], v[157:158], -v[1:2]
	s_waitcnt vmcnt(0)
	v_add_f64 v[3:4], v[161:162], -v[3:4]
	buffer_store_dword v2, off, s[0:3], 0 offset:740
	buffer_store_dword v1, off, s[0:3], 0 offset:736
	;; [unrolled: 1-line block ×4, first 2 shown]
	v_cmpx_lt_u32_e32 44, v0
	s_cbranch_execz .LBB127_321
; %bb.320:
	v_mov_b32_e32 v4, s34
	v_mov_b32_e32 v5, 0
	s_clause 0x3
	buffer_load_dword v1, v4, s[0:3], 0 offen
	buffer_load_dword v2, v4, s[0:3], 0 offen offset:4
	buffer_load_dword v3, v4, s[0:3], 0 offen offset:8
	;; [unrolled: 1-line block ×3, first 2 shown]
	buffer_store_dword v5, off, s[0:3], 0 offset:720
	buffer_store_dword v5, off, s[0:3], 0 offset:724
	buffer_store_dword v5, off, s[0:3], 0 offset:728
	buffer_store_dword v5, off, s[0:3], 0 offset:732
	s_waitcnt vmcnt(0)
	ds_write_b128 v197, v[1:4]
.LBB127_321:
	s_or_b32 exec_lo, exec_lo, s4
	s_waitcnt lgkmcnt(0)
	s_waitcnt_vscnt null, 0x0
	s_barrier
	buffer_gl0_inv
	s_clause 0x37
	buffer_load_dword v6, off, s[0:3], 0 offset:744
	buffer_load_dword v7, off, s[0:3], 0 offset:748
	;; [unrolled: 1-line block ×56, first 2 shown]
	v_mov_b32_e32 v1, 0
	s_mov_b32 s4, exec_lo
	ds_read_b128 v[2:5], v1 offset:1744
	s_clause 0x2
	buffer_load_dword v199, off, s[0:3], 0 offset:972
	buffer_load_dword v203, off, s[0:3], 0 offset:948
	;; [unrolled: 1-line block ×3, first 2 shown]
	ds_read_b128 v[137:140], v1 offset:1760
	s_clause 0x4
	buffer_load_dword v207, off, s[0:3], 0 offset:988
	buffer_load_dword v208, off, s[0:3], 0 offset:1000
	;; [unrolled: 1-line block ×5, first 2 shown]
	ds_read_b128 v[141:144], v1 offset:1776
	s_waitcnt vmcnt(62) lgkmcnt(2)
	v_mul_f64 v[204:205], v[4:5], v[6:7]
	v_mul_f64 v[6:7], v[2:3], v[6:7]
	s_waitcnt vmcnt(60) lgkmcnt(1)
	v_mul_f64 v[211:212], v[139:140], v[145:146]
	v_mul_f64 v[145:146], v[137:138], v[145:146]
	;; [unrolled: 3-line block ×3, first 2 shown]
	v_fma_f64 v[204:205], v[2:3], v[147:148], -v[204:205]
	v_fma_f64 v[6:7], v[4:5], v[147:148], v[6:7]
	s_clause 0x2
	buffer_load_dword v209, off, s[0:3], 0 offset:1004
	buffer_load_dword v148, off, s[0:3], 0 offset:980
	;; [unrolled: 1-line block ×3, first 2 shown]
	s_waitcnt vmcnt(57)
	v_fma_f64 v[215:216], v[137:138], v[151:152], -v[211:212]
	ds_read_b128 v[2:5], v1 offset:1792
	v_fma_f64 v[145:146], v[139:140], v[151:152], v[145:146]
	s_clause 0x4
	buffer_load_dword v152, off, s[0:3], 0 offset:1020
	buffer_load_dword v212, off, s[0:3], 0 offset:1032
	;; [unrolled: 1-line block ×5, first 2 shown]
	s_waitcnt vmcnt(56)
	v_fma_f64 v[149:150], v[141:142], v[159:160], -v[149:150]
	ds_read_b128 v[137:140], v1 offset:1808
	v_fma_f64 v[159:160], v[143:144], v[159:160], v[213:214]
	v_add_f64 v[204:205], v[204:205], 0
	v_add_f64 v[6:7], v[6:7], 0
	s_waitcnt lgkmcnt(1)
	v_mul_f64 v[218:219], v[2:3], v[153:154]
	v_mul_f64 v[153:154], v[4:5], v[153:154]
	v_add_f64 v[204:205], v[204:205], v[215:216]
	v_add_f64 v[6:7], v[6:7], v[145:146]
	s_clause 0x2
	buffer_load_dword v213, off, s[0:3], 0 offset:1036
	buffer_load_dword v146, off, s[0:3], 0 offset:1012
	buffer_load_dword v145, off, s[0:3], 0 offset:1008
	s_waitcnt vmcnt(58) lgkmcnt(0)
	v_mul_f64 v[214:215], v[137:138], v[155:156]
	v_mul_f64 v[155:156], v[139:140], v[155:156]
	s_waitcnt vmcnt(56)
	v_fma_f64 v[153:154], v[2:3], v[161:162], -v[153:154]
	ds_read_b128 v[141:144], v1 offset:1824
	v_fma_f64 v[161:162], v[4:5], v[161:162], v[218:219]
	buffer_load_dword v218, off, s[0:3], 0 offset:1028
	ds_read_b128 v[2:5], v1 offset:1840
	v_add_f64 v[149:150], v[204:205], v[149:150]
	v_add_f64 v[6:7], v[6:7], v[159:160]
	s_waitcnt vmcnt(53) lgkmcnt(1)
	v_mul_f64 v[159:160], v[141:142], v[163:164]
	v_mul_f64 v[163:164], v[143:144], v[163:164]
	s_waitcnt vmcnt(52)
	v_fma_f64 v[155:156], v[137:138], v[157:158], -v[155:156]
	v_add_f64 v[149:150], v[149:150], v[153:154]
	v_fma_f64 v[153:154], v[139:140], v[157:158], v[214:215]
	v_add_f64 v[6:7], v[6:7], v[161:162]
	s_waitcnt vmcnt(51) lgkmcnt(0)
	v_mul_f64 v[161:162], v[4:5], v[165:166]
	ds_read_b128 v[137:140], v1 offset:1856
	s_waitcnt vmcnt(49)
	v_fma_f64 v[163:164], v[141:142], v[169:170], -v[163:164]
	v_mul_f64 v[157:158], v[2:3], v[165:166]
	v_add_f64 v[149:150], v[149:150], v[155:156]
	v_fma_f64 v[155:156], v[143:144], v[169:170], v[159:160]
	v_add_f64 v[6:7], v[6:7], v[153:154]
	s_clause 0x3
	buffer_load_dword v153, off, s[0:3], 0 offset:720
	buffer_load_dword v154, off, s[0:3], 0 offset:724
	;; [unrolled: 1-line block ×4, first 2 shown]
	s_waitcnt vmcnt(49) lgkmcnt(0)
	v_mul_f64 v[169:170], v[139:140], v[171:172]
	s_waitcnt vmcnt(48)
	v_fma_f64 v[161:162], v[2:3], v[167:168], -v[161:162]
	ds_read_b128 v[141:144], v1 offset:1872
	v_mul_f64 v[165:166], v[137:138], v[171:172]
	v_fma_f64 v[157:158], v[4:5], v[167:168], v[157:158]
	ds_read_b128 v[2:5], v1 offset:1888
	v_add_f64 v[149:150], v[149:150], v[163:164]
	v_add_f64 v[6:7], v[6:7], v[155:156]
	s_waitcnt vmcnt(47) lgkmcnt(1)
	v_mul_f64 v[163:164], v[143:144], v[173:174]
	s_waitcnt vmcnt(45)
	v_fma_f64 v[167:168], v[137:138], v[177:178], -v[169:170]
	v_mul_f64 v[155:156], v[141:142], v[173:174]
	v_add_f64 v[149:150], v[149:150], v[161:162]
	v_fma_f64 v[161:162], v[139:140], v[177:178], v[165:166]
	v_add_f64 v[6:7], v[6:7], v[157:158]
	s_waitcnt vmcnt(41) lgkmcnt(0)
	v_mul_f64 v[165:166], v[4:5], v[179:180]
	s_waitcnt vmcnt(40)
	v_fma_f64 v[163:164], v[141:142], v[175:176], -v[163:164]
	ds_read_b128 v[137:140], v1 offset:1904
	v_mul_f64 v[157:158], v[2:3], v[179:180]
	v_fma_f64 v[155:156], v[143:144], v[175:176], v[155:156]
	ds_read_b128 v[141:144], v1 offset:1920
	v_add_f64 v[149:150], v[149:150], v[167:168]
	v_add_f64 v[6:7], v[6:7], v[161:162]
	s_waitcnt vmcnt(39) lgkmcnt(1)
	v_mul_f64 v[167:168], v[139:140], v[181:182]
	s_waitcnt vmcnt(37)
	v_fma_f64 v[165:166], v[2:3], v[185:186], -v[165:166]
	v_mul_f64 v[161:162], v[137:138], v[181:182]
	v_fma_f64 v[157:158], v[4:5], v[185:186], v[157:158]
	ds_read_b128 v[2:5], v1 offset:1936
	v_add_f64 v[149:150], v[149:150], v[163:164]
	s_waitcnt vmcnt(33) lgkmcnt(1)
	v_mul_f64 v[163:164], v[143:144], v[187:188]
	v_add_f64 v[6:7], v[6:7], v[155:156]
	s_waitcnt vmcnt(32)
	v_fma_f64 v[167:168], v[137:138], v[183:184], -v[167:168]
	v_mul_f64 v[155:156], v[141:142], v[187:188]
	v_fma_f64 v[161:162], v[139:140], v[183:184], v[161:162]
	ds_read_b128 v[137:140], v1 offset:1952
	v_add_f64 v[149:150], v[149:150], v[165:166]
	s_waitcnt vmcnt(31) lgkmcnt(1)
	v_mul_f64 v[165:166], v[4:5], v[189:190]
	v_add_f64 v[6:7], v[6:7], v[157:158]
	;; [unrolled: 9-line block ×5, first 2 shown]
	s_waitcnt vmcnt(16)
	v_fma_f64 v[163:164], v[141:142], v[200:201], -v[163:164]
	v_mul_f64 v[157:158], v[2:3], v[206:207]
	v_fma_f64 v[155:156], v[143:144], v[200:201], v[155:156]
	ds_read_b128 v[141:144], v1 offset:2016
	v_add_f64 v[149:150], v[149:150], v[167:168]
	v_add_f64 v[6:7], v[6:7], v[161:162]
	s_waitcnt vmcnt(15) lgkmcnt(1)
	v_mul_f64 v[167:168], v[139:140], v[208:209]
	v_mul_f64 v[161:162], v[137:138], v[208:209]
	s_waitcnt vmcnt(13)
	v_fma_f64 v[165:166], v[2:3], v[147:148], -v[165:166]
	v_fma_f64 v[147:148], v[4:5], v[147:148], v[157:158]
	ds_read_b128 v[2:5], v1 offset:2032
	v_add_f64 v[149:150], v[149:150], v[163:164]
	v_add_f64 v[6:7], v[6:7], v[155:156]
	s_waitcnt vmcnt(9) lgkmcnt(1)
	v_mul_f64 v[155:156], v[141:142], v[151:152]
	v_mul_f64 v[151:152], v[143:144], v[151:152]
	s_waitcnt vmcnt(8)
	v_fma_f64 v[137:138], v[137:138], v[210:211], -v[167:168]
	v_fma_f64 v[139:140], v[139:140], v[210:211], v[161:162]
	v_add_f64 v[149:150], v[149:150], v[165:166]
	v_add_f64 v[6:7], v[6:7], v[147:148]
	s_waitcnt vmcnt(7) lgkmcnt(0)
	v_mul_f64 v[157:158], v[4:5], v[212:213]
	v_mul_f64 v[147:148], v[2:3], v[212:213]
	s_waitcnt vmcnt(5)
	v_fma_f64 v[141:142], v[141:142], v[145:146], -v[151:152]
	v_fma_f64 v[143:144], v[143:144], v[145:146], v[155:156]
	v_add_f64 v[137:138], v[149:150], v[137:138]
	v_add_f64 v[6:7], v[6:7], v[139:140]
	s_waitcnt vmcnt(4)
	v_fma_f64 v[2:3], v[2:3], v[217:218], -v[157:158]
	v_fma_f64 v[4:5], v[4:5], v[217:218], v[147:148]
	v_add_f64 v[137:138], v[137:138], v[141:142]
	v_add_f64 v[6:7], v[6:7], v[143:144]
	;; [unrolled: 1-line block ×4, first 2 shown]
	s_waitcnt vmcnt(2)
	v_add_f64 v[2:3], v[153:154], -v[2:3]
	s_waitcnt vmcnt(0)
	v_add_f64 v[4:5], v[159:160], -v[4:5]
	buffer_store_dword v3, off, s[0:3], 0 offset:724
	buffer_store_dword v2, off, s[0:3], 0 offset:720
	;; [unrolled: 1-line block ×4, first 2 shown]
	v_cmpx_lt_u32_e32 43, v0
	s_cbranch_execz .LBB127_323
; %bb.322:
	v_mov_b32_e32 v5, s35
	s_clause 0x3
	buffer_load_dword v2, v5, s[0:3], 0 offen
	buffer_load_dword v3, v5, s[0:3], 0 offen offset:4
	buffer_load_dword v4, v5, s[0:3], 0 offen offset:8
	;; [unrolled: 1-line block ×3, first 2 shown]
	buffer_store_dword v1, off, s[0:3], 0 offset:704
	buffer_store_dword v1, off, s[0:3], 0 offset:708
	;; [unrolled: 1-line block ×4, first 2 shown]
	s_waitcnt vmcnt(0)
	ds_write_b128 v197, v[2:5]
.LBB127_323:
	s_or_b32 exec_lo, exec_lo, s4
	s_waitcnt lgkmcnt(0)
	s_waitcnt_vscnt null, 0x0
	s_barrier
	buffer_gl0_inv
	s_clause 0x37
	buffer_load_dword v6, off, s[0:3], 0 offset:728
	buffer_load_dword v7, off, s[0:3], 0 offset:732
	;; [unrolled: 1-line block ×56, first 2 shown]
	ds_read_b128 v[2:5], v1 offset:1728
	s_clause 0x2
	buffer_load_dword v199, off, s[0:3], 0 offset:956
	buffer_load_dword v203, off, s[0:3], 0 offset:932
	buffer_load_dword v202, off, s[0:3], 0 offset:928
	ds_read_b128 v[137:140], v1 offset:1744
	s_clause 0x4
	buffer_load_dword v207, off, s[0:3], 0 offset:972
	buffer_load_dword v208, off, s[0:3], 0 offset:984
	;; [unrolled: 1-line block ×5, first 2 shown]
	ds_read_b128 v[141:144], v1 offset:1760
	s_mov_b32 s4, exec_lo
	s_waitcnt vmcnt(62) lgkmcnt(2)
	v_mul_f64 v[204:205], v[4:5], v[6:7]
	v_mul_f64 v[6:7], v[2:3], v[6:7]
	s_waitcnt vmcnt(60) lgkmcnt(1)
	v_mul_f64 v[211:212], v[139:140], v[145:146]
	v_mul_f64 v[145:146], v[137:138], v[145:146]
	;; [unrolled: 3-line block ×3, first 2 shown]
	v_fma_f64 v[204:205], v[2:3], v[147:148], -v[204:205]
	v_fma_f64 v[6:7], v[4:5], v[147:148], v[6:7]
	s_clause 0x2
	buffer_load_dword v209, off, s[0:3], 0 offset:988
	buffer_load_dword v148, off, s[0:3], 0 offset:964
	;; [unrolled: 1-line block ×3, first 2 shown]
	s_waitcnt vmcnt(57)
	v_fma_f64 v[215:216], v[137:138], v[151:152], -v[211:212]
	ds_read_b128 v[2:5], v1 offset:1776
	v_fma_f64 v[145:146], v[139:140], v[151:152], v[145:146]
	s_clause 0x4
	buffer_load_dword v152, off, s[0:3], 0 offset:1004
	buffer_load_dword v212, off, s[0:3], 0 offset:1016
	;; [unrolled: 1-line block ×5, first 2 shown]
	s_waitcnt vmcnt(56)
	v_fma_f64 v[149:150], v[141:142], v[159:160], -v[149:150]
	ds_read_b128 v[137:140], v1 offset:1792
	v_fma_f64 v[159:160], v[143:144], v[159:160], v[213:214]
	v_add_f64 v[204:205], v[204:205], 0
	v_add_f64 v[6:7], v[6:7], 0
	s_waitcnt lgkmcnt(1)
	v_mul_f64 v[218:219], v[2:3], v[153:154]
	v_mul_f64 v[153:154], v[4:5], v[153:154]
	v_add_f64 v[204:205], v[204:205], v[215:216]
	v_add_f64 v[6:7], v[6:7], v[145:146]
	s_clause 0x2
	buffer_load_dword v213, off, s[0:3], 0 offset:1020
	buffer_load_dword v146, off, s[0:3], 0 offset:996
	;; [unrolled: 1-line block ×3, first 2 shown]
	s_waitcnt vmcnt(58) lgkmcnt(0)
	v_mul_f64 v[214:215], v[137:138], v[155:156]
	v_mul_f64 v[155:156], v[139:140], v[155:156]
	s_waitcnt vmcnt(56)
	v_fma_f64 v[153:154], v[2:3], v[161:162], -v[153:154]
	ds_read_b128 v[141:144], v1 offset:1808
	v_fma_f64 v[161:162], v[4:5], v[161:162], v[218:219]
	v_add_f64 v[149:150], v[204:205], v[149:150]
	v_add_f64 v[6:7], v[6:7], v[159:160]
	s_clause 0x2
	buffer_load_dword v160, off, s[0:3], 0 offset:1036
	buffer_load_dword v159, off, s[0:3], 0 offset:1032
	;; [unrolled: 1-line block ×3, first 2 shown]
	ds_read_b128 v[2:5], v1 offset:1824
	s_waitcnt vmcnt(55) lgkmcnt(1)
	v_mul_f64 v[204:205], v[141:142], v[163:164]
	v_mul_f64 v[163:164], v[143:144], v[163:164]
	s_waitcnt vmcnt(54)
	v_fma_f64 v[155:156], v[137:138], v[157:158], -v[155:156]
	v_add_f64 v[149:150], v[149:150], v[153:154]
	v_fma_f64 v[153:154], v[139:140], v[157:158], v[214:215]
	v_add_f64 v[6:7], v[6:7], v[161:162]
	s_clause 0x1
	buffer_load_dword v158, off, s[0:3], 0 offset:1028
	buffer_load_dword v157, off, s[0:3], 0 offset:1024
	s_waitcnt vmcnt(55) lgkmcnt(0)
	v_mul_f64 v[161:162], v[2:3], v[165:166]
	v_mul_f64 v[165:166], v[4:5], v[165:166]
	s_waitcnt vmcnt(53)
	v_fma_f64 v[163:164], v[141:142], v[169:170], -v[163:164]
	ds_read_b128 v[137:140], v1 offset:1840
	v_add_f64 v[149:150], v[149:150], v[155:156]
	v_fma_f64 v[155:156], v[143:144], v[169:170], v[204:205]
	v_add_f64 v[6:7], v[6:7], v[153:154]
	ds_read_b128 v[141:144], v1 offset:1856
	s_waitcnt vmcnt(48)
	v_fma_f64 v[161:162], v[4:5], v[167:168], v[161:162]
	s_waitcnt lgkmcnt(1)
	v_mul_f64 v[169:170], v[139:140], v[171:172]
	v_fma_f64 v[165:166], v[2:3], v[167:168], -v[165:166]
	v_mul_f64 v[153:154], v[137:138], v[171:172]
	v_add_f64 v[149:150], v[149:150], v[163:164]
	s_waitcnt vmcnt(47) lgkmcnt(0)
	v_mul_f64 v[171:172], v[143:144], v[173:174]
	v_add_f64 v[6:7], v[6:7], v[155:156]
	s_clause 0x3
	buffer_load_dword v155, off, s[0:3], 0 offset:704
	buffer_load_dword v156, off, s[0:3], 0 offset:708
	;; [unrolled: 1-line block ×4, first 2 shown]
	ds_read_b128 v[2:5], v1 offset:1872
	s_waitcnt vmcnt(49)
	v_fma_f64 v[169:170], v[137:138], v[177:178], -v[169:170]
	v_mul_f64 v[167:168], v[141:142], v[173:174]
	v_fma_f64 v[153:154], v[139:140], v[177:178], v[153:154]
	ds_read_b128 v[137:140], v1 offset:1888
	v_add_f64 v[149:150], v[149:150], v[165:166]
	s_waitcnt vmcnt(44)
	v_fma_f64 v[171:172], v[141:142], v[175:176], -v[171:172]
	v_add_f64 v[6:7], v[6:7], v[161:162]
	s_waitcnt lgkmcnt(1)
	v_mul_f64 v[165:166], v[4:5], v[179:180]
	v_mul_f64 v[161:162], v[2:3], v[179:180]
	v_fma_f64 v[167:168], v[143:144], v[175:176], v[167:168]
	ds_read_b128 v[141:144], v1 offset:1904
	v_add_f64 v[149:150], v[149:150], v[169:170]
	s_waitcnt vmcnt(43) lgkmcnt(1)
	v_mul_f64 v[169:170], v[139:140], v[181:182]
	v_add_f64 v[6:7], v[6:7], v[153:154]
	s_waitcnt vmcnt(41)
	v_fma_f64 v[165:166], v[2:3], v[185:186], -v[165:166]
	v_mul_f64 v[153:154], v[137:138], v[181:182]
	v_fma_f64 v[161:162], v[4:5], v[185:186], v[161:162]
	ds_read_b128 v[2:5], v1 offset:1920
	v_add_f64 v[149:150], v[149:150], v[171:172]
	s_waitcnt vmcnt(37) lgkmcnt(1)
	v_mul_f64 v[171:172], v[143:144], v[187:188]
	v_add_f64 v[6:7], v[6:7], v[167:168]
	s_waitcnt vmcnt(36)
	v_fma_f64 v[169:170], v[137:138], v[183:184], -v[169:170]
	;; [unrolled: 9-line block ×6, first 2 shown]
	v_mul_f64 v[161:162], v[2:3], v[206:207]
	v_fma_f64 v[167:168], v[143:144], v[200:201], v[167:168]
	ds_read_b128 v[141:144], v1 offset:2000
	v_add_f64 v[149:150], v[149:150], v[169:170]
	v_add_f64 v[6:7], v[6:7], v[153:154]
	s_waitcnt vmcnt(19) lgkmcnt(1)
	v_mul_f64 v[169:170], v[139:140], v[208:209]
	v_mul_f64 v[153:154], v[137:138], v[208:209]
	s_waitcnt vmcnt(17)
	v_fma_f64 v[165:166], v[2:3], v[147:148], -v[165:166]
	v_fma_f64 v[147:148], v[4:5], v[147:148], v[161:162]
	ds_read_b128 v[2:5], v1 offset:2016
	s_waitcnt vmcnt(13) lgkmcnt(1)
	v_mul_f64 v[161:162], v[141:142], v[151:152]
	v_mul_f64 v[151:152], v[143:144], v[151:152]
	v_add_f64 v[149:150], v[149:150], v[171:172]
	v_add_f64 v[6:7], v[6:7], v[167:168]
	s_waitcnt vmcnt(12)
	v_fma_f64 v[167:168], v[137:138], v[210:211], -v[169:170]
	v_fma_f64 v[153:154], v[139:140], v[210:211], v[153:154]
	ds_read_b128 v[137:140], v1 offset:2032
	v_add_f64 v[149:150], v[149:150], v[165:166]
	v_add_f64 v[6:7], v[6:7], v[147:148]
	s_waitcnt vmcnt(11) lgkmcnt(1)
	v_mul_f64 v[165:166], v[4:5], v[212:213]
	v_mul_f64 v[147:148], v[2:3], v[212:213]
	s_waitcnt vmcnt(9)
	v_fma_f64 v[141:142], v[141:142], v[145:146], -v[151:152]
	v_fma_f64 v[143:144], v[143:144], v[145:146], v[161:162]
	v_add_f64 v[149:150], v[149:150], v[167:168]
	v_add_f64 v[6:7], v[6:7], v[153:154]
	s_waitcnt vmcnt(7) lgkmcnt(0)
	v_mul_f64 v[151:152], v[139:140], v[159:160]
	s_waitcnt vmcnt(6)
	v_fma_f64 v[1:2], v[2:3], v[217:218], -v[165:166]
	v_mul_f64 v[145:146], v[137:138], v[159:160]
	v_fma_f64 v[3:4], v[4:5], v[217:218], v[147:148]
	v_add_f64 v[141:142], v[149:150], v[141:142]
	v_add_f64 v[5:6], v[6:7], v[143:144]
	s_waitcnt vmcnt(4)
	v_fma_f64 v[7:8], v[137:138], v[157:158], -v[151:152]
	v_fma_f64 v[137:138], v[139:140], v[157:158], v[145:146]
	v_add_f64 v[1:2], v[141:142], v[1:2]
	v_add_f64 v[3:4], v[5:6], v[3:4]
	;; [unrolled: 1-line block ×4, first 2 shown]
	s_waitcnt vmcnt(2)
	v_add_f64 v[1:2], v[155:156], -v[1:2]
	s_waitcnt vmcnt(0)
	v_add_f64 v[3:4], v[163:164], -v[3:4]
	buffer_store_dword v2, off, s[0:3], 0 offset:708
	buffer_store_dword v1, off, s[0:3], 0 offset:704
	buffer_store_dword v4, off, s[0:3], 0 offset:716
	buffer_store_dword v3, off, s[0:3], 0 offset:712
	v_cmpx_lt_u32_e32 42, v0
	s_cbranch_execz .LBB127_325
; %bb.324:
	v_mov_b32_e32 v4, s36
	v_mov_b32_e32 v5, 0
	s_clause 0x3
	buffer_load_dword v1, v4, s[0:3], 0 offen
	buffer_load_dword v2, v4, s[0:3], 0 offen offset:4
	buffer_load_dword v3, v4, s[0:3], 0 offen offset:8
	buffer_load_dword v4, v4, s[0:3], 0 offen offset:12
	buffer_store_dword v5, off, s[0:3], 0 offset:688
	buffer_store_dword v5, off, s[0:3], 0 offset:692
	;; [unrolled: 1-line block ×4, first 2 shown]
	s_waitcnt vmcnt(0)
	ds_write_b128 v197, v[1:4]
.LBB127_325:
	s_or_b32 exec_lo, exec_lo, s4
	s_waitcnt lgkmcnt(0)
	s_waitcnt_vscnt null, 0x0
	s_barrier
	buffer_gl0_inv
	s_clause 0x37
	buffer_load_dword v6, off, s[0:3], 0 offset:712
	buffer_load_dword v7, off, s[0:3], 0 offset:716
	;; [unrolled: 1-line block ×56, first 2 shown]
	v_mov_b32_e32 v1, 0
	s_mov_b32 s4, exec_lo
	ds_read_b128 v[2:5], v1 offset:1712
	s_clause 0x2
	buffer_load_dword v199, off, s[0:3], 0 offset:940
	buffer_load_dword v203, off, s[0:3], 0 offset:916
	;; [unrolled: 1-line block ×3, first 2 shown]
	ds_read_b128 v[137:140], v1 offset:1728
	s_clause 0x4
	buffer_load_dword v207, off, s[0:3], 0 offset:956
	buffer_load_dword v208, off, s[0:3], 0 offset:968
	buffer_load_dword v210, off, s[0:3], 0 offset:960
	buffer_load_dword v206, off, s[0:3], 0 offset:952
	buffer_load_dword v201, off, s[0:3], 0 offset:932
	ds_read_b128 v[141:144], v1 offset:1744
	s_waitcnt vmcnt(62) lgkmcnt(2)
	v_mul_f64 v[204:205], v[4:5], v[6:7]
	v_mul_f64 v[6:7], v[2:3], v[6:7]
	s_waitcnt vmcnt(60) lgkmcnt(1)
	v_mul_f64 v[211:212], v[139:140], v[145:146]
	v_mul_f64 v[145:146], v[137:138], v[145:146]
	;; [unrolled: 3-line block ×3, first 2 shown]
	v_fma_f64 v[204:205], v[2:3], v[147:148], -v[204:205]
	v_fma_f64 v[6:7], v[4:5], v[147:148], v[6:7]
	s_clause 0x2
	buffer_load_dword v209, off, s[0:3], 0 offset:972
	buffer_load_dword v148, off, s[0:3], 0 offset:948
	;; [unrolled: 1-line block ×3, first 2 shown]
	s_waitcnt vmcnt(57)
	v_fma_f64 v[215:216], v[137:138], v[151:152], -v[211:212]
	ds_read_b128 v[2:5], v1 offset:1760
	v_fma_f64 v[145:146], v[139:140], v[151:152], v[145:146]
	s_clause 0x4
	buffer_load_dword v152, off, s[0:3], 0 offset:988
	buffer_load_dword v212, off, s[0:3], 0 offset:1000
	;; [unrolled: 1-line block ×5, first 2 shown]
	s_waitcnt vmcnt(56)
	v_fma_f64 v[149:150], v[141:142], v[159:160], -v[149:150]
	ds_read_b128 v[137:140], v1 offset:1776
	v_fma_f64 v[159:160], v[143:144], v[159:160], v[213:214]
	v_add_f64 v[204:205], v[204:205], 0
	v_add_f64 v[6:7], v[6:7], 0
	s_waitcnt lgkmcnt(1)
	v_mul_f64 v[218:219], v[2:3], v[153:154]
	v_mul_f64 v[153:154], v[4:5], v[153:154]
	v_add_f64 v[204:205], v[204:205], v[215:216]
	v_add_f64 v[6:7], v[6:7], v[145:146]
	s_clause 0x2
	buffer_load_dword v213, off, s[0:3], 0 offset:1004
	buffer_load_dword v146, off, s[0:3], 0 offset:980
	;; [unrolled: 1-line block ×3, first 2 shown]
	s_waitcnt vmcnt(58) lgkmcnt(0)
	v_mul_f64 v[214:215], v[137:138], v[155:156]
	v_mul_f64 v[155:156], v[139:140], v[155:156]
	s_waitcnt vmcnt(56)
	v_fma_f64 v[153:154], v[2:3], v[161:162], -v[153:154]
	ds_read_b128 v[141:144], v1 offset:1792
	v_fma_f64 v[161:162], v[4:5], v[161:162], v[218:219]
	v_add_f64 v[149:150], v[204:205], v[149:150]
	v_add_f64 v[6:7], v[6:7], v[159:160]
	s_clause 0x4
	buffer_load_dword v160, off, s[0:3], 0 offset:1020
	buffer_load_dword v204, off, s[0:3], 0 offset:1032
	;; [unrolled: 1-line block ×5, first 2 shown]
	ds_read_b128 v[2:5], v1 offset:1808
	s_waitcnt vmcnt(57) lgkmcnt(1)
	v_mul_f64 v[220:221], v[141:142], v[163:164]
	v_mul_f64 v[163:164], v[143:144], v[163:164]
	s_waitcnt vmcnt(56)
	v_fma_f64 v[155:156], v[137:138], v[157:158], -v[155:156]
	v_add_f64 v[149:150], v[149:150], v[153:154]
	v_fma_f64 v[153:154], v[139:140], v[157:158], v[214:215]
	v_add_f64 v[6:7], v[6:7], v[161:162]
	s_clause 0x2
	buffer_load_dword v205, off, s[0:3], 0 offset:1036
	buffer_load_dword v158, off, s[0:3], 0 offset:1012
	buffer_load_dword v157, off, s[0:3], 0 offset:1008
	s_waitcnt vmcnt(58) lgkmcnt(0)
	v_mul_f64 v[161:162], v[2:3], v[165:166]
	v_mul_f64 v[165:166], v[4:5], v[165:166]
	s_waitcnt vmcnt(56)
	v_fma_f64 v[163:164], v[141:142], v[169:170], -v[163:164]
	ds_read_b128 v[137:140], v1 offset:1824
	v_add_f64 v[149:150], v[149:150], v[155:156]
	v_fma_f64 v[155:156], v[143:144], v[169:170], v[220:221]
	v_add_f64 v[6:7], v[6:7], v[153:154]
	buffer_load_dword v220, off, s[0:3], 0 offset:1028
	ds_read_b128 v[141:144], v1 offset:1840
	s_waitcnt vmcnt(53) lgkmcnt(1)
	v_mul_f64 v[169:170], v[139:140], v[171:172]
	s_waitcnt vmcnt(52)
	v_fma_f64 v[165:166], v[2:3], v[167:168], -v[165:166]
	v_mul_f64 v[153:154], v[137:138], v[171:172]
	v_fma_f64 v[161:162], v[4:5], v[167:168], v[161:162]
	ds_read_b128 v[2:5], v1 offset:1856
	v_add_f64 v[149:150], v[149:150], v[163:164]
	v_add_f64 v[6:7], v[6:7], v[155:156]
	s_waitcnt vmcnt(51) lgkmcnt(1)
	v_mul_f64 v[163:164], v[143:144], v[173:174]
	v_mul_f64 v[155:156], v[141:142], v[173:174]
	s_waitcnt vmcnt(49)
	v_fma_f64 v[167:168], v[137:138], v[177:178], -v[169:170]
	v_fma_f64 v[153:154], v[139:140], v[177:178], v[153:154]
	s_waitcnt vmcnt(45) lgkmcnt(0)
	v_mul_f64 v[171:172], v[4:5], v[179:180]
	v_mul_f64 v[169:170], v[2:3], v[179:180]
	v_add_f64 v[149:150], v[149:150], v[165:166]
	v_add_f64 v[6:7], v[6:7], v[161:162]
	s_clause 0x3
	buffer_load_dword v161, off, s[0:3], 0 offset:688
	buffer_load_dword v162, off, s[0:3], 0 offset:692
	;; [unrolled: 1-line block ×4, first 2 shown]
	s_waitcnt vmcnt(48)
	v_fma_f64 v[163:164], v[141:142], v[175:176], -v[163:164]
	ds_read_b128 v[137:140], v1 offset:1872
	v_fma_f64 v[155:156], v[143:144], v[175:176], v[155:156]
	ds_read_b128 v[141:144], v1 offset:1888
	s_waitcnt vmcnt(45)
	v_fma_f64 v[171:172], v[2:3], v[185:186], -v[171:172]
	v_add_f64 v[149:150], v[149:150], v[167:168]
	v_add_f64 v[6:7], v[6:7], v[153:154]
	s_waitcnt lgkmcnt(1)
	v_mul_f64 v[167:168], v[139:140], v[181:182]
	v_mul_f64 v[153:154], v[137:138], v[181:182]
	v_add_f64 v[149:150], v[149:150], v[163:164]
	v_fma_f64 v[163:164], v[4:5], v[185:186], v[169:170]
	v_add_f64 v[6:7], v[6:7], v[155:156]
	s_waitcnt vmcnt(41) lgkmcnt(0)
	v_mul_f64 v[169:170], v[143:144], v[187:188]
	s_waitcnt vmcnt(40)
	v_fma_f64 v[167:168], v[137:138], v[183:184], -v[167:168]
	ds_read_b128 v[2:5], v1 offset:1904
	v_mul_f64 v[155:156], v[141:142], v[187:188]
	v_fma_f64 v[153:154], v[139:140], v[183:184], v[153:154]
	ds_read_b128 v[137:140], v1 offset:1920
	v_add_f64 v[149:150], v[149:150], v[171:172]
	v_add_f64 v[6:7], v[6:7], v[163:164]
	s_waitcnt vmcnt(39) lgkmcnt(1)
	v_mul_f64 v[171:172], v[4:5], v[189:190]
	s_waitcnt vmcnt(37)
	v_fma_f64 v[169:170], v[141:142], v[193:194], -v[169:170]
	v_mul_f64 v[163:164], v[2:3], v[189:190]
	v_fma_f64 v[155:156], v[143:144], v[193:194], v[155:156]
	ds_read_b128 v[141:144], v1 offset:1936
	v_add_f64 v[149:150], v[149:150], v[167:168]
	s_waitcnt vmcnt(33) lgkmcnt(1)
	v_mul_f64 v[167:168], v[139:140], v[195:196]
	v_add_f64 v[6:7], v[6:7], v[153:154]
	s_waitcnt vmcnt(32)
	v_fma_f64 v[171:172], v[2:3], v[191:192], -v[171:172]
	v_mul_f64 v[153:154], v[137:138], v[195:196]
	v_fma_f64 v[163:164], v[4:5], v[191:192], v[163:164]
	ds_read_b128 v[2:5], v1 offset:1952
	v_add_f64 v[149:150], v[149:150], v[169:170]
	s_waitcnt vmcnt(31) lgkmcnt(1)
	v_mul_f64 v[169:170], v[143:144], v[198:199]
	v_add_f64 v[6:7], v[6:7], v[155:156]
	;; [unrolled: 9-line block ×3, first 2 shown]
	s_waitcnt vmcnt(24)
	v_fma_f64 v[169:170], v[141:142], v[200:201], -v[169:170]
	v_mul_f64 v[163:164], v[2:3], v[206:207]
	v_fma_f64 v[155:156], v[143:144], v[200:201], v[155:156]
	ds_read_b128 v[141:144], v1 offset:1984
	v_add_f64 v[149:150], v[149:150], v[167:168]
	v_add_f64 v[6:7], v[6:7], v[153:154]
	s_waitcnt vmcnt(23) lgkmcnt(1)
	v_mul_f64 v[167:168], v[139:140], v[208:209]
	v_mul_f64 v[153:154], v[137:138], v[208:209]
	s_waitcnt vmcnt(21)
	v_fma_f64 v[171:172], v[2:3], v[147:148], -v[171:172]
	v_fma_f64 v[147:148], v[4:5], v[147:148], v[163:164]
	ds_read_b128 v[2:5], v1 offset:2000
	v_add_f64 v[149:150], v[149:150], v[169:170]
	v_add_f64 v[6:7], v[6:7], v[155:156]
	s_waitcnt vmcnt(17) lgkmcnt(1)
	v_mul_f64 v[155:156], v[141:142], v[151:152]
	v_mul_f64 v[151:152], v[143:144], v[151:152]
	s_waitcnt vmcnt(16)
	v_fma_f64 v[163:164], v[137:138], v[210:211], -v[167:168]
	v_fma_f64 v[153:154], v[139:140], v[210:211], v[153:154]
	ds_read_b128 v[137:140], v1 offset:2016
	v_add_f64 v[149:150], v[149:150], v[171:172]
	v_add_f64 v[6:7], v[6:7], v[147:148]
	s_waitcnt vmcnt(15) lgkmcnt(1)
	v_mul_f64 v[167:168], v[4:5], v[212:213]
	v_mul_f64 v[147:148], v[2:3], v[212:213]
	s_waitcnt vmcnt(13)
	v_fma_f64 v[151:152], v[141:142], v[145:146], -v[151:152]
	v_fma_f64 v[145:146], v[143:144], v[145:146], v[155:156]
	ds_read_b128 v[141:144], v1 offset:2032
	v_add_f64 v[149:150], v[149:150], v[163:164]
	v_add_f64 v[6:7], v[6:7], v[153:154]
	s_waitcnt vmcnt(9) lgkmcnt(1)
	v_mul_f64 v[155:156], v[139:140], v[159:160]
	s_waitcnt vmcnt(8)
	v_fma_f64 v[2:3], v[2:3], v[217:218], -v[167:168]
	v_mul_f64 v[153:154], v[137:138], v[159:160]
	v_fma_f64 v[4:5], v[4:5], v[217:218], v[147:148]
	v_add_f64 v[149:150], v[149:150], v[151:152]
	v_add_f64 v[6:7], v[6:7], v[145:146]
	s_waitcnt vmcnt(7) lgkmcnt(0)
	v_mul_f64 v[147:148], v[143:144], v[204:205]
	v_mul_f64 v[145:146], v[141:142], v[204:205]
	s_waitcnt vmcnt(5)
	v_fma_f64 v[137:138], v[137:138], v[157:158], -v[155:156]
	v_fma_f64 v[139:140], v[139:140], v[157:158], v[153:154]
	v_add_f64 v[2:3], v[149:150], v[2:3]
	v_add_f64 v[4:5], v[6:7], v[4:5]
	s_waitcnt vmcnt(4)
	v_fma_f64 v[6:7], v[141:142], v[219:220], -v[147:148]
	v_add_f64 v[2:3], v[2:3], v[137:138]
	v_fma_f64 v[137:138], v[143:144], v[219:220], v[145:146]
	v_add_f64 v[4:5], v[4:5], v[139:140]
	v_add_f64 v[2:3], v[2:3], v[6:7]
	;; [unrolled: 1-line block ×3, first 2 shown]
	s_waitcnt vmcnt(2)
	v_add_f64 v[2:3], v[161:162], -v[2:3]
	s_waitcnt vmcnt(0)
	v_add_f64 v[4:5], v[165:166], -v[4:5]
	buffer_store_dword v3, off, s[0:3], 0 offset:692
	buffer_store_dword v2, off, s[0:3], 0 offset:688
	;; [unrolled: 1-line block ×4, first 2 shown]
	v_cmpx_lt_u32_e32 41, v0
	s_cbranch_execz .LBB127_327
; %bb.326:
	v_mov_b32_e32 v5, s37
	s_clause 0x3
	buffer_load_dword v2, v5, s[0:3], 0 offen
	buffer_load_dword v3, v5, s[0:3], 0 offen offset:4
	buffer_load_dword v4, v5, s[0:3], 0 offen offset:8
	;; [unrolled: 1-line block ×3, first 2 shown]
	buffer_store_dword v1, off, s[0:3], 0 offset:672
	buffer_store_dword v1, off, s[0:3], 0 offset:676
	;; [unrolled: 1-line block ×4, first 2 shown]
	s_waitcnt vmcnt(0)
	ds_write_b128 v197, v[2:5]
.LBB127_327:
	s_or_b32 exec_lo, exec_lo, s4
	s_waitcnt lgkmcnt(0)
	s_waitcnt_vscnt null, 0x0
	s_barrier
	buffer_gl0_inv
	s_clause 0x37
	buffer_load_dword v6, off, s[0:3], 0 offset:696
	buffer_load_dword v7, off, s[0:3], 0 offset:700
	;; [unrolled: 1-line block ×56, first 2 shown]
	ds_read_b128 v[2:5], v1 offset:1696
	s_clause 0x2
	buffer_load_dword v199, off, s[0:3], 0 offset:924
	buffer_load_dword v203, off, s[0:3], 0 offset:900
	;; [unrolled: 1-line block ×3, first 2 shown]
	ds_read_b128 v[137:140], v1 offset:1712
	s_clause 0x4
	buffer_load_dword v207, off, s[0:3], 0 offset:940
	buffer_load_dword v208, off, s[0:3], 0 offset:952
	;; [unrolled: 1-line block ×5, first 2 shown]
	ds_read_b128 v[141:144], v1 offset:1728
	s_mov_b32 s4, exec_lo
	s_waitcnt vmcnt(62) lgkmcnt(2)
	v_mul_f64 v[204:205], v[4:5], v[6:7]
	v_mul_f64 v[6:7], v[2:3], v[6:7]
	s_waitcnt vmcnt(60) lgkmcnt(1)
	v_mul_f64 v[211:212], v[139:140], v[145:146]
	v_mul_f64 v[145:146], v[137:138], v[145:146]
	;; [unrolled: 3-line block ×3, first 2 shown]
	v_fma_f64 v[204:205], v[2:3], v[147:148], -v[204:205]
	v_fma_f64 v[6:7], v[4:5], v[147:148], v[6:7]
	s_clause 0x2
	buffer_load_dword v209, off, s[0:3], 0 offset:956
	buffer_load_dword v148, off, s[0:3], 0 offset:932
	buffer_load_dword v147, off, s[0:3], 0 offset:928
	s_waitcnt vmcnt(57)
	v_fma_f64 v[215:216], v[137:138], v[151:152], -v[211:212]
	ds_read_b128 v[2:5], v1 offset:1744
	v_fma_f64 v[145:146], v[139:140], v[151:152], v[145:146]
	s_clause 0x4
	buffer_load_dword v152, off, s[0:3], 0 offset:972
	buffer_load_dword v212, off, s[0:3], 0 offset:984
	;; [unrolled: 1-line block ×5, first 2 shown]
	s_waitcnt vmcnt(56)
	v_fma_f64 v[149:150], v[141:142], v[159:160], -v[149:150]
	ds_read_b128 v[137:140], v1 offset:1760
	v_fma_f64 v[159:160], v[143:144], v[159:160], v[213:214]
	v_add_f64 v[204:205], v[204:205], 0
	v_add_f64 v[6:7], v[6:7], 0
	s_waitcnt lgkmcnt(1)
	v_mul_f64 v[218:219], v[2:3], v[153:154]
	v_mul_f64 v[153:154], v[4:5], v[153:154]
	v_add_f64 v[204:205], v[204:205], v[215:216]
	v_add_f64 v[6:7], v[6:7], v[145:146]
	s_clause 0x2
	buffer_load_dword v213, off, s[0:3], 0 offset:988
	buffer_load_dword v146, off, s[0:3], 0 offset:964
	;; [unrolled: 1-line block ×3, first 2 shown]
	s_waitcnt vmcnt(58) lgkmcnt(0)
	v_mul_f64 v[214:215], v[137:138], v[155:156]
	v_mul_f64 v[155:156], v[139:140], v[155:156]
	s_waitcnt vmcnt(56)
	v_fma_f64 v[153:154], v[2:3], v[161:162], -v[153:154]
	ds_read_b128 v[141:144], v1 offset:1776
	v_fma_f64 v[161:162], v[4:5], v[161:162], v[218:219]
	v_add_f64 v[149:150], v[204:205], v[149:150]
	v_add_f64 v[6:7], v[6:7], v[159:160]
	s_clause 0x4
	buffer_load_dword v160, off, s[0:3], 0 offset:1004
	buffer_load_dword v204, off, s[0:3], 0 offset:1016
	;; [unrolled: 1-line block ×5, first 2 shown]
	ds_read_b128 v[2:5], v1 offset:1792
	s_waitcnt vmcnt(57) lgkmcnt(1)
	v_mul_f64 v[220:221], v[141:142], v[163:164]
	v_mul_f64 v[163:164], v[143:144], v[163:164]
	s_waitcnt vmcnt(56)
	v_fma_f64 v[155:156], v[137:138], v[157:158], -v[155:156]
	v_add_f64 v[149:150], v[149:150], v[153:154]
	v_fma_f64 v[153:154], v[139:140], v[157:158], v[214:215]
	v_add_f64 v[6:7], v[6:7], v[161:162]
	s_clause 0x2
	buffer_load_dword v205, off, s[0:3], 0 offset:1020
	buffer_load_dword v158, off, s[0:3], 0 offset:996
	;; [unrolled: 1-line block ×3, first 2 shown]
	s_waitcnt vmcnt(58) lgkmcnt(0)
	v_mul_f64 v[161:162], v[2:3], v[165:166]
	v_mul_f64 v[165:166], v[4:5], v[165:166]
	s_waitcnt vmcnt(56)
	v_fma_f64 v[163:164], v[141:142], v[169:170], -v[163:164]
	ds_read_b128 v[137:140], v1 offset:1808
	v_add_f64 v[149:150], v[149:150], v[155:156]
	v_fma_f64 v[155:156], v[143:144], v[169:170], v[220:221]
	v_add_f64 v[6:7], v[6:7], v[153:154]
	s_clause 0x2
	buffer_load_dword v154, off, s[0:3], 0 offset:1036
	buffer_load_dword v153, off, s[0:3], 0 offset:1032
	;; [unrolled: 1-line block ×3, first 2 shown]
	ds_read_b128 v[141:144], v1 offset:1824
	s_waitcnt vmcnt(55) lgkmcnt(1)
	v_mul_f64 v[169:170], v[137:138], v[171:172]
	v_mul_f64 v[171:172], v[139:140], v[171:172]
	s_waitcnt vmcnt(54)
	v_fma_f64 v[165:166], v[2:3], v[167:168], -v[165:166]
	v_fma_f64 v[161:162], v[4:5], v[167:168], v[161:162]
	v_add_f64 v[149:150], v[149:150], v[163:164]
	v_add_f64 v[6:7], v[6:7], v[155:156]
	s_clause 0x1
	buffer_load_dword v156, off, s[0:3], 0 offset:1028
	buffer_load_dword v155, off, s[0:3], 0 offset:1024
	s_waitcnt vmcnt(55) lgkmcnt(0)
	v_mul_f64 v[167:168], v[143:144], v[173:174]
	ds_read_b128 v[2:5], v1 offset:1840
	s_waitcnt vmcnt(53)
	v_fma_f64 v[171:172], v[137:138], v[177:178], -v[171:172]
	v_mul_f64 v[163:164], v[141:142], v[173:174]
	v_add_f64 v[149:150], v[149:150], v[165:166]
	v_fma_f64 v[165:166], v[139:140], v[177:178], v[169:170]
	v_add_f64 v[6:7], v[6:7], v[161:162]
	ds_read_b128 v[137:140], v1 offset:1856
	s_waitcnt vmcnt(49) lgkmcnt(1)
	v_mul_f64 v[169:170], v[4:5], v[179:180]
	s_waitcnt vmcnt(48)
	v_fma_f64 v[167:168], v[141:142], v[175:176], -v[167:168]
	v_mul_f64 v[161:162], v[2:3], v[179:180]
	v_fma_f64 v[163:164], v[143:144], v[175:176], v[163:164]
	v_add_f64 v[149:150], v[149:150], v[171:172]
	s_waitcnt vmcnt(47) lgkmcnt(0)
	v_mul_f64 v[175:176], v[139:140], v[181:182]
	v_add_f64 v[6:7], v[6:7], v[165:166]
	s_clause 0x3
	buffer_load_dword v165, off, s[0:3], 0 offset:672
	buffer_load_dword v166, off, s[0:3], 0 offset:676
	;; [unrolled: 1-line block ×4, first 2 shown]
	s_waitcnt vmcnt(49)
	v_fma_f64 v[169:170], v[2:3], v[185:186], -v[169:170]
	ds_read_b128 v[141:144], v1 offset:1872
	v_mul_f64 v[173:174], v[137:138], v[181:182]
	v_fma_f64 v[161:162], v[4:5], v[185:186], v[161:162]
	ds_read_b128 v[2:5], v1 offset:1888
	v_add_f64 v[149:150], v[149:150], v[167:168]
	s_waitcnt vmcnt(44)
	v_fma_f64 v[175:176], v[137:138], v[183:184], -v[175:176]
	v_add_f64 v[6:7], v[6:7], v[163:164]
	s_waitcnt lgkmcnt(1)
	v_mul_f64 v[167:168], v[143:144], v[187:188]
	v_mul_f64 v[163:164], v[141:142], v[187:188]
	v_add_f64 v[149:150], v[149:150], v[169:170]
	v_fma_f64 v[169:170], v[139:140], v[183:184], v[173:174]
	v_add_f64 v[6:7], v[6:7], v[161:162]
	s_waitcnt vmcnt(43) lgkmcnt(0)
	v_mul_f64 v[173:174], v[4:5], v[189:190]
	s_waitcnt vmcnt(41)
	v_fma_f64 v[167:168], v[141:142], v[193:194], -v[167:168]
	ds_read_b128 v[137:140], v1 offset:1904
	v_mul_f64 v[161:162], v[2:3], v[189:190]
	v_fma_f64 v[163:164], v[143:144], v[193:194], v[163:164]
	ds_read_b128 v[141:144], v1 offset:1920
	v_add_f64 v[149:150], v[149:150], v[175:176]
	v_add_f64 v[6:7], v[6:7], v[169:170]
	s_waitcnt vmcnt(37) lgkmcnt(1)
	v_mul_f64 v[175:176], v[139:140], v[195:196]
	s_waitcnt vmcnt(36)
	v_fma_f64 v[173:174], v[2:3], v[191:192], -v[173:174]
	v_mul_f64 v[169:170], v[137:138], v[195:196]
	v_fma_f64 v[161:162], v[4:5], v[191:192], v[161:162]
	ds_read_b128 v[2:5], v1 offset:1936
	v_add_f64 v[149:150], v[149:150], v[167:168]
	s_waitcnt vmcnt(35) lgkmcnt(1)
	v_mul_f64 v[167:168], v[143:144], v[198:199]
	v_add_f64 v[6:7], v[6:7], v[163:164]
	s_waitcnt vmcnt(33)
	v_fma_f64 v[175:176], v[137:138], v[202:203], -v[175:176]
	v_mul_f64 v[163:164], v[141:142], v[198:199]
	v_fma_f64 v[169:170], v[139:140], v[202:203], v[169:170]
	ds_read_b128 v[137:140], v1 offset:1952
	v_add_f64 v[149:150], v[149:150], v[173:174]
	s_waitcnt vmcnt(29) lgkmcnt(1)
	v_mul_f64 v[173:174], v[4:5], v[206:207]
	v_add_f64 v[6:7], v[6:7], v[161:162]
	s_waitcnt vmcnt(28)
	v_fma_f64 v[167:168], v[141:142], v[200:201], -v[167:168]
	v_mul_f64 v[161:162], v[2:3], v[206:207]
	v_fma_f64 v[163:164], v[143:144], v[200:201], v[163:164]
	ds_read_b128 v[141:144], v1 offset:1968
	v_add_f64 v[149:150], v[149:150], v[175:176]
	v_add_f64 v[6:7], v[6:7], v[169:170]
	s_waitcnt vmcnt(27) lgkmcnt(1)
	v_mul_f64 v[175:176], v[139:140], v[208:209]
	v_mul_f64 v[169:170], v[137:138], v[208:209]
	s_waitcnt vmcnt(25)
	v_fma_f64 v[173:174], v[2:3], v[147:148], -v[173:174]
	v_fma_f64 v[147:148], v[4:5], v[147:148], v[161:162]
	ds_read_b128 v[2:5], v1 offset:1984
	s_waitcnt vmcnt(21) lgkmcnt(1)
	v_mul_f64 v[161:162], v[141:142], v[151:152]
	v_mul_f64 v[151:152], v[143:144], v[151:152]
	v_add_f64 v[149:150], v[149:150], v[167:168]
	v_add_f64 v[6:7], v[6:7], v[163:164]
	s_waitcnt vmcnt(20)
	v_fma_f64 v[163:164], v[137:138], v[210:211], -v[175:176]
	v_fma_f64 v[167:168], v[139:140], v[210:211], v[169:170]
	ds_read_b128 v[137:140], v1 offset:2000
	v_add_f64 v[149:150], v[149:150], v[173:174]
	v_add_f64 v[6:7], v[6:7], v[147:148]
	s_waitcnt vmcnt(19) lgkmcnt(1)
	v_mul_f64 v[169:170], v[4:5], v[212:213]
	v_mul_f64 v[147:148], v[2:3], v[212:213]
	s_waitcnt vmcnt(17)
	v_fma_f64 v[151:152], v[141:142], v[145:146], -v[151:152]
	v_fma_f64 v[145:146], v[143:144], v[145:146], v[161:162]
	ds_read_b128 v[141:144], v1 offset:2016
	v_add_f64 v[149:150], v[149:150], v[163:164]
	v_add_f64 v[6:7], v[6:7], v[167:168]
	s_waitcnt vmcnt(13) lgkmcnt(1)
	v_mul_f64 v[161:162], v[137:138], v[159:160]
	v_mul_f64 v[159:160], v[139:140], v[159:160]
	;; [unrolled: 9-line block ×3, first 2 shown]
	s_waitcnt vmcnt(9)
	v_fma_f64 v[137:138], v[137:138], v[157:158], -v[159:160]
	v_fma_f64 v[139:140], v[139:140], v[157:158], v[161:162]
	v_add_f64 v[149:150], v[149:150], v[163:164]
	v_add_f64 v[5:6], v[5:6], v[147:148]
	s_waitcnt vmcnt(7) lgkmcnt(0)
	v_mul_f64 v[151:152], v[3:4], v[153:154]
	s_waitcnt vmcnt(6)
	v_fma_f64 v[141:142], v[141:142], v[219:220], -v[145:146]
	v_mul_f64 v[147:148], v[1:2], v[153:154]
	v_fma_f64 v[7:8], v[143:144], v[219:220], v[7:8]
	v_add_f64 v[137:138], v[149:150], v[137:138]
	v_add_f64 v[5:6], v[5:6], v[139:140]
	s_waitcnt vmcnt(4)
	v_fma_f64 v[1:2], v[1:2], v[155:156], -v[151:152]
	v_fma_f64 v[3:4], v[3:4], v[155:156], v[147:148]
	v_add_f64 v[137:138], v[137:138], v[141:142]
	v_add_f64 v[5:6], v[5:6], v[7:8]
	;; [unrolled: 1-line block ×4, first 2 shown]
	s_waitcnt vmcnt(2)
	v_add_f64 v[1:2], v[165:166], -v[1:2]
	s_waitcnt vmcnt(0)
	v_add_f64 v[3:4], v[171:172], -v[3:4]
	buffer_store_dword v2, off, s[0:3], 0 offset:676
	buffer_store_dword v1, off, s[0:3], 0 offset:672
	;; [unrolled: 1-line block ×4, first 2 shown]
	v_cmpx_lt_u32_e32 40, v0
	s_cbranch_execz .LBB127_329
; %bb.328:
	v_mov_b32_e32 v4, s38
	v_mov_b32_e32 v5, 0
	s_clause 0x3
	buffer_load_dword v1, v4, s[0:3], 0 offen
	buffer_load_dword v2, v4, s[0:3], 0 offen offset:4
	buffer_load_dword v3, v4, s[0:3], 0 offen offset:8
	;; [unrolled: 1-line block ×3, first 2 shown]
	buffer_store_dword v5, off, s[0:3], 0 offset:656
	buffer_store_dword v5, off, s[0:3], 0 offset:660
	;; [unrolled: 1-line block ×4, first 2 shown]
	s_waitcnt vmcnt(0)
	ds_write_b128 v197, v[1:4]
.LBB127_329:
	s_or_b32 exec_lo, exec_lo, s4
	s_waitcnt lgkmcnt(0)
	s_waitcnt_vscnt null, 0x0
	s_barrier
	buffer_gl0_inv
	s_clause 0x37
	buffer_load_dword v6, off, s[0:3], 0 offset:680
	buffer_load_dword v7, off, s[0:3], 0 offset:684
	;; [unrolled: 1-line block ×56, first 2 shown]
	v_mov_b32_e32 v1, 0
	s_mov_b32 s4, exec_lo
	ds_read_b128 v[2:5], v1 offset:1680
	s_clause 0x2
	buffer_load_dword v199, off, s[0:3], 0 offset:908
	buffer_load_dword v203, off, s[0:3], 0 offset:884
	;; [unrolled: 1-line block ×3, first 2 shown]
	ds_read_b128 v[137:140], v1 offset:1696
	s_clause 0x4
	buffer_load_dword v207, off, s[0:3], 0 offset:924
	buffer_load_dword v208, off, s[0:3], 0 offset:936
	;; [unrolled: 1-line block ×5, first 2 shown]
	ds_read_b128 v[141:144], v1 offset:1712
	s_waitcnt vmcnt(62) lgkmcnt(2)
	v_mul_f64 v[204:205], v[4:5], v[6:7]
	v_mul_f64 v[6:7], v[2:3], v[6:7]
	s_waitcnt vmcnt(60) lgkmcnt(1)
	v_mul_f64 v[211:212], v[139:140], v[145:146]
	v_mul_f64 v[145:146], v[137:138], v[145:146]
	;; [unrolled: 3-line block ×3, first 2 shown]
	v_fma_f64 v[204:205], v[2:3], v[147:148], -v[204:205]
	v_fma_f64 v[6:7], v[4:5], v[147:148], v[6:7]
	s_clause 0x2
	buffer_load_dword v209, off, s[0:3], 0 offset:940
	buffer_load_dword v148, off, s[0:3], 0 offset:916
	;; [unrolled: 1-line block ×3, first 2 shown]
	s_waitcnt vmcnt(57)
	v_fma_f64 v[215:216], v[137:138], v[151:152], -v[211:212]
	ds_read_b128 v[2:5], v1 offset:1728
	v_fma_f64 v[145:146], v[139:140], v[151:152], v[145:146]
	s_clause 0x4
	buffer_load_dword v152, off, s[0:3], 0 offset:956
	buffer_load_dword v212, off, s[0:3], 0 offset:968
	buffer_load_dword v217, off, s[0:3], 0 offset:960
	buffer_load_dword v151, off, s[0:3], 0 offset:952
	buffer_load_dword v211, off, s[0:3], 0 offset:932
	s_waitcnt vmcnt(56)
	v_fma_f64 v[149:150], v[141:142], v[159:160], -v[149:150]
	ds_read_b128 v[137:140], v1 offset:1744
	v_fma_f64 v[159:160], v[143:144], v[159:160], v[213:214]
	v_add_f64 v[204:205], v[204:205], 0
	v_add_f64 v[6:7], v[6:7], 0
	s_waitcnt lgkmcnt(1)
	v_mul_f64 v[218:219], v[2:3], v[153:154]
	v_mul_f64 v[153:154], v[4:5], v[153:154]
	v_add_f64 v[204:205], v[204:205], v[215:216]
	v_add_f64 v[6:7], v[6:7], v[145:146]
	s_clause 0x2
	buffer_load_dword v213, off, s[0:3], 0 offset:972
	buffer_load_dword v146, off, s[0:3], 0 offset:948
	;; [unrolled: 1-line block ×3, first 2 shown]
	s_waitcnt vmcnt(58) lgkmcnt(0)
	v_mul_f64 v[214:215], v[137:138], v[155:156]
	v_mul_f64 v[155:156], v[139:140], v[155:156]
	s_waitcnt vmcnt(56)
	v_fma_f64 v[153:154], v[2:3], v[161:162], -v[153:154]
	ds_read_b128 v[141:144], v1 offset:1760
	v_fma_f64 v[161:162], v[4:5], v[161:162], v[218:219]
	v_add_f64 v[149:150], v[204:205], v[149:150]
	v_add_f64 v[6:7], v[6:7], v[159:160]
	s_clause 0x4
	buffer_load_dword v160, off, s[0:3], 0 offset:988
	buffer_load_dword v204, off, s[0:3], 0 offset:1000
	;; [unrolled: 1-line block ×5, first 2 shown]
	ds_read_b128 v[2:5], v1 offset:1776
	s_waitcnt vmcnt(57) lgkmcnt(1)
	v_mul_f64 v[220:221], v[141:142], v[163:164]
	v_mul_f64 v[163:164], v[143:144], v[163:164]
	s_waitcnt vmcnt(56)
	v_fma_f64 v[155:156], v[137:138], v[157:158], -v[155:156]
	v_add_f64 v[149:150], v[149:150], v[153:154]
	v_fma_f64 v[153:154], v[139:140], v[157:158], v[214:215]
	v_add_f64 v[6:7], v[6:7], v[161:162]
	s_clause 0x2
	buffer_load_dword v205, off, s[0:3], 0 offset:1004
	buffer_load_dword v158, off, s[0:3], 0 offset:980
	;; [unrolled: 1-line block ×3, first 2 shown]
	s_waitcnt vmcnt(58) lgkmcnt(0)
	v_mul_f64 v[161:162], v[2:3], v[165:166]
	v_mul_f64 v[165:166], v[4:5], v[165:166]
	s_waitcnt vmcnt(56)
	v_fma_f64 v[163:164], v[141:142], v[169:170], -v[163:164]
	ds_read_b128 v[137:140], v1 offset:1792
	v_add_f64 v[149:150], v[149:150], v[155:156]
	v_fma_f64 v[155:156], v[143:144], v[169:170], v[220:221]
	v_add_f64 v[6:7], v[6:7], v[153:154]
	s_clause 0x4
	buffer_load_dword v154, off, s[0:3], 0 offset:1020
	buffer_load_dword v169, off, s[0:3], 0 offset:1032
	;; [unrolled: 1-line block ×5, first 2 shown]
	ds_read_b128 v[141:144], v1 offset:1808
	s_waitcnt vmcnt(57) lgkmcnt(1)
	v_mul_f64 v[215:216], v[137:138], v[171:172]
	v_mul_f64 v[171:172], v[139:140], v[171:172]
	s_waitcnt vmcnt(56)
	v_fma_f64 v[165:166], v[2:3], v[167:168], -v[165:166]
	v_fma_f64 v[161:162], v[4:5], v[167:168], v[161:162]
	v_add_f64 v[149:150], v[149:150], v[163:164]
	v_add_f64 v[6:7], v[6:7], v[155:156]
	s_clause 0x2
	buffer_load_dword v170, off, s[0:3], 0 offset:1036
	buffer_load_dword v156, off, s[0:3], 0 offset:1012
	buffer_load_dword v155, off, s[0:3], 0 offset:1008
	s_waitcnt vmcnt(58) lgkmcnt(0)
	v_mul_f64 v[167:168], v[143:144], v[173:174]
	ds_read_b128 v[2:5], v1 offset:1824
	s_waitcnt vmcnt(56)
	v_fma_f64 v[171:172], v[137:138], v[177:178], -v[171:172]
	v_mul_f64 v[163:164], v[141:142], v[173:174]
	v_add_f64 v[149:150], v[149:150], v[165:166]
	v_fma_f64 v[165:166], v[139:140], v[177:178], v[215:216]
	v_add_f64 v[6:7], v[6:7], v[161:162]
	buffer_load_dword v215, off, s[0:3], 0 offset:1028
	ds_read_b128 v[137:140], v1 offset:1840
	s_waitcnt vmcnt(53) lgkmcnt(1)
	v_mul_f64 v[173:174], v[4:5], v[179:180]
	s_waitcnt vmcnt(52)
	v_fma_f64 v[167:168], v[141:142], v[175:176], -v[167:168]
	v_mul_f64 v[161:162], v[2:3], v[179:180]
	v_fma_f64 v[163:164], v[143:144], v[175:176], v[163:164]
	ds_read_b128 v[141:144], v1 offset:1856
	v_add_f64 v[149:150], v[149:150], v[171:172]
	v_add_f64 v[6:7], v[6:7], v[165:166]
	s_waitcnt vmcnt(51) lgkmcnt(1)
	v_mul_f64 v[171:172], v[139:140], v[181:182]
	v_mul_f64 v[165:166], v[137:138], v[181:182]
	s_waitcnt vmcnt(49)
	v_fma_f64 v[173:174], v[2:3], v[185:186], -v[173:174]
	v_fma_f64 v[161:162], v[4:5], v[185:186], v[161:162]
	s_waitcnt vmcnt(45) lgkmcnt(0)
	v_mul_f64 v[177:178], v[143:144], v[187:188]
	v_mul_f64 v[175:176], v[141:142], v[187:188]
	v_add_f64 v[149:150], v[149:150], v[167:168]
	v_add_f64 v[6:7], v[6:7], v[163:164]
	s_clause 0x3
	buffer_load_dword v163, off, s[0:3], 0 offset:656
	buffer_load_dword v164, off, s[0:3], 0 offset:660
	buffer_load_dword v167, off, s[0:3], 0 offset:664
	buffer_load_dword v168, off, s[0:3], 0 offset:668
	s_waitcnt vmcnt(48)
	v_fma_f64 v[171:172], v[137:138], v[183:184], -v[171:172]
	ds_read_b128 v[2:5], v1 offset:1872
	v_fma_f64 v[165:166], v[139:140], v[183:184], v[165:166]
	ds_read_b128 v[137:140], v1 offset:1888
	s_waitcnt vmcnt(45)
	v_fma_f64 v[177:178], v[141:142], v[193:194], -v[177:178]
	v_add_f64 v[149:150], v[149:150], v[173:174]
	v_add_f64 v[6:7], v[6:7], v[161:162]
	s_waitcnt lgkmcnt(1)
	v_mul_f64 v[173:174], v[4:5], v[189:190]
	v_mul_f64 v[161:162], v[2:3], v[189:190]
	v_add_f64 v[149:150], v[149:150], v[171:172]
	v_fma_f64 v[171:172], v[143:144], v[193:194], v[175:176]
	v_add_f64 v[6:7], v[6:7], v[165:166]
	s_waitcnt vmcnt(41) lgkmcnt(0)
	v_mul_f64 v[175:176], v[139:140], v[195:196]
	s_waitcnt vmcnt(40)
	v_fma_f64 v[173:174], v[2:3], v[191:192], -v[173:174]
	ds_read_b128 v[141:144], v1 offset:1904
	v_mul_f64 v[165:166], v[137:138], v[195:196]
	v_fma_f64 v[161:162], v[4:5], v[191:192], v[161:162]
	ds_read_b128 v[2:5], v1 offset:1920
	v_add_f64 v[149:150], v[149:150], v[177:178]
	v_add_f64 v[6:7], v[6:7], v[171:172]
	s_waitcnt vmcnt(39) lgkmcnt(1)
	v_mul_f64 v[177:178], v[143:144], v[198:199]
	s_waitcnt vmcnt(37)
	v_fma_f64 v[175:176], v[137:138], v[202:203], -v[175:176]
	v_mul_f64 v[171:172], v[141:142], v[198:199]
	v_fma_f64 v[165:166], v[139:140], v[202:203], v[165:166]
	ds_read_b128 v[137:140], v1 offset:1936
	v_add_f64 v[149:150], v[149:150], v[173:174]
	s_waitcnt vmcnt(33) lgkmcnt(1)
	v_mul_f64 v[173:174], v[4:5], v[206:207]
	v_add_f64 v[6:7], v[6:7], v[161:162]
	s_waitcnt vmcnt(32)
	v_fma_f64 v[177:178], v[141:142], v[200:201], -v[177:178]
	v_mul_f64 v[161:162], v[2:3], v[206:207]
	v_fma_f64 v[171:172], v[143:144], v[200:201], v[171:172]
	ds_read_b128 v[141:144], v1 offset:1952
	v_add_f64 v[149:150], v[149:150], v[175:176]
	v_add_f64 v[6:7], v[6:7], v[165:166]
	s_waitcnt vmcnt(31) lgkmcnt(1)
	v_mul_f64 v[175:176], v[139:140], v[208:209]
	v_mul_f64 v[165:166], v[137:138], v[208:209]
	s_waitcnt vmcnt(29)
	v_fma_f64 v[173:174], v[2:3], v[147:148], -v[173:174]
	v_fma_f64 v[147:148], v[4:5], v[147:148], v[161:162]
	ds_read_b128 v[2:5], v1 offset:1968
	s_waitcnt vmcnt(25) lgkmcnt(1)
	v_mul_f64 v[161:162], v[141:142], v[151:152]
	v_mul_f64 v[151:152], v[143:144], v[151:152]
	v_add_f64 v[149:150], v[149:150], v[177:178]
	v_add_f64 v[6:7], v[6:7], v[171:172]
	s_waitcnt vmcnt(24)
	v_fma_f64 v[171:172], v[137:138], v[210:211], -v[175:176]
	v_fma_f64 v[165:166], v[139:140], v[210:211], v[165:166]
	ds_read_b128 v[137:140], v1 offset:1984
	v_add_f64 v[149:150], v[149:150], v[173:174]
	v_add_f64 v[6:7], v[6:7], v[147:148]
	s_waitcnt vmcnt(23) lgkmcnt(1)
	v_mul_f64 v[173:174], v[4:5], v[212:213]
	v_mul_f64 v[147:148], v[2:3], v[212:213]
	s_waitcnt vmcnt(21)
	v_fma_f64 v[151:152], v[141:142], v[145:146], -v[151:152]
	v_fma_f64 v[145:146], v[143:144], v[145:146], v[161:162]
	ds_read_b128 v[141:144], v1 offset:2000
	v_add_f64 v[149:150], v[149:150], v[171:172]
	v_add_f64 v[6:7], v[6:7], v[165:166]
	s_waitcnt vmcnt(17) lgkmcnt(1)
	v_mul_f64 v[161:162], v[137:138], v[159:160]
	v_mul_f64 v[159:160], v[139:140], v[159:160]
	;; [unrolled: 9-line block ×4, first 2 shown]
	s_waitcnt vmcnt(8)
	v_fma_f64 v[141:142], v[141:142], v[219:220], -v[151:152]
	v_fma_f64 v[143:144], v[143:144], v[219:220], v[145:146]
	v_add_f64 v[149:150], v[149:150], v[159:160]
	v_add_f64 v[6:7], v[6:7], v[157:158]
	s_waitcnt vmcnt(7) lgkmcnt(0)
	v_mul_f64 v[151:152], v[139:140], v[169:170]
	v_mul_f64 v[145:146], v[137:138], v[169:170]
	s_waitcnt vmcnt(5)
	v_fma_f64 v[2:3], v[2:3], v[155:156], -v[153:154]
	v_fma_f64 v[4:5], v[4:5], v[155:156], v[147:148]
	v_add_f64 v[141:142], v[149:150], v[141:142]
	v_add_f64 v[6:7], v[6:7], v[143:144]
	s_waitcnt vmcnt(4)
	v_fma_f64 v[137:138], v[137:138], v[214:215], -v[151:152]
	v_fma_f64 v[139:140], v[139:140], v[214:215], v[145:146]
	v_add_f64 v[2:3], v[141:142], v[2:3]
	v_add_f64 v[4:5], v[6:7], v[4:5]
	;; [unrolled: 1-line block ×4, first 2 shown]
	s_waitcnt vmcnt(2)
	v_add_f64 v[2:3], v[163:164], -v[2:3]
	s_waitcnt vmcnt(0)
	v_add_f64 v[4:5], v[167:168], -v[4:5]
	buffer_store_dword v3, off, s[0:3], 0 offset:660
	buffer_store_dword v2, off, s[0:3], 0 offset:656
	;; [unrolled: 1-line block ×4, first 2 shown]
	v_cmpx_lt_u32_e32 39, v0
	s_cbranch_execz .LBB127_331
; %bb.330:
	v_mov_b32_e32 v5, s39
	s_clause 0x3
	buffer_load_dword v2, v5, s[0:3], 0 offen
	buffer_load_dword v3, v5, s[0:3], 0 offen offset:4
	buffer_load_dword v4, v5, s[0:3], 0 offen offset:8
	;; [unrolled: 1-line block ×3, first 2 shown]
	buffer_store_dword v1, off, s[0:3], 0 offset:640
	buffer_store_dword v1, off, s[0:3], 0 offset:644
	;; [unrolled: 1-line block ×4, first 2 shown]
	s_waitcnt vmcnt(0)
	ds_write_b128 v197, v[2:5]
.LBB127_331:
	s_or_b32 exec_lo, exec_lo, s4
	s_waitcnt lgkmcnt(0)
	s_waitcnt_vscnt null, 0x0
	s_barrier
	buffer_gl0_inv
	s_clause 0x37
	buffer_load_dword v6, off, s[0:3], 0 offset:664
	buffer_load_dword v7, off, s[0:3], 0 offset:668
	;; [unrolled: 1-line block ×56, first 2 shown]
	ds_read_b128 v[2:5], v1 offset:1664
	s_clause 0x2
	buffer_load_dword v199, off, s[0:3], 0 offset:892
	buffer_load_dword v203, off, s[0:3], 0 offset:868
	buffer_load_dword v202, off, s[0:3], 0 offset:864
	ds_read_b128 v[137:140], v1 offset:1680
	s_clause 0x4
	buffer_load_dword v207, off, s[0:3], 0 offset:908
	buffer_load_dword v208, off, s[0:3], 0 offset:920
	;; [unrolled: 1-line block ×5, first 2 shown]
	ds_read_b128 v[141:144], v1 offset:1696
	s_mov_b32 s4, exec_lo
	s_waitcnt vmcnt(62) lgkmcnt(2)
	v_mul_f64 v[204:205], v[4:5], v[6:7]
	v_mul_f64 v[6:7], v[2:3], v[6:7]
	s_waitcnt vmcnt(60) lgkmcnt(1)
	v_mul_f64 v[211:212], v[139:140], v[145:146]
	v_mul_f64 v[145:146], v[137:138], v[145:146]
	;; [unrolled: 3-line block ×3, first 2 shown]
	v_fma_f64 v[204:205], v[2:3], v[147:148], -v[204:205]
	v_fma_f64 v[6:7], v[4:5], v[147:148], v[6:7]
	s_clause 0x2
	buffer_load_dword v209, off, s[0:3], 0 offset:924
	buffer_load_dword v148, off, s[0:3], 0 offset:900
	;; [unrolled: 1-line block ×3, first 2 shown]
	s_waitcnt vmcnt(57)
	v_fma_f64 v[215:216], v[137:138], v[151:152], -v[211:212]
	ds_read_b128 v[2:5], v1 offset:1712
	v_fma_f64 v[145:146], v[139:140], v[151:152], v[145:146]
	s_clause 0x4
	buffer_load_dword v152, off, s[0:3], 0 offset:940
	buffer_load_dword v212, off, s[0:3], 0 offset:952
	;; [unrolled: 1-line block ×5, first 2 shown]
	s_waitcnt vmcnt(56)
	v_fma_f64 v[149:150], v[141:142], v[159:160], -v[149:150]
	ds_read_b128 v[137:140], v1 offset:1728
	v_fma_f64 v[159:160], v[143:144], v[159:160], v[213:214]
	v_add_f64 v[204:205], v[204:205], 0
	v_add_f64 v[6:7], v[6:7], 0
	s_waitcnt lgkmcnt(1)
	v_mul_f64 v[218:219], v[2:3], v[153:154]
	v_mul_f64 v[153:154], v[4:5], v[153:154]
	v_add_f64 v[204:205], v[204:205], v[215:216]
	v_add_f64 v[6:7], v[6:7], v[145:146]
	s_clause 0x2
	buffer_load_dword v213, off, s[0:3], 0 offset:956
	buffer_load_dword v146, off, s[0:3], 0 offset:932
	;; [unrolled: 1-line block ×3, first 2 shown]
	s_waitcnt vmcnt(58) lgkmcnt(0)
	v_mul_f64 v[214:215], v[137:138], v[155:156]
	v_mul_f64 v[155:156], v[139:140], v[155:156]
	s_waitcnt vmcnt(56)
	v_fma_f64 v[153:154], v[2:3], v[161:162], -v[153:154]
	ds_read_b128 v[141:144], v1 offset:1744
	v_fma_f64 v[161:162], v[4:5], v[161:162], v[218:219]
	v_add_f64 v[149:150], v[204:205], v[149:150]
	v_add_f64 v[6:7], v[6:7], v[159:160]
	s_clause 0x4
	buffer_load_dword v160, off, s[0:3], 0 offset:972
	buffer_load_dword v204, off, s[0:3], 0 offset:984
	;; [unrolled: 1-line block ×5, first 2 shown]
	ds_read_b128 v[2:5], v1 offset:1760
	s_waitcnt vmcnt(57) lgkmcnt(1)
	v_mul_f64 v[220:221], v[141:142], v[163:164]
	v_mul_f64 v[163:164], v[143:144], v[163:164]
	s_waitcnt vmcnt(56)
	v_fma_f64 v[155:156], v[137:138], v[157:158], -v[155:156]
	v_add_f64 v[149:150], v[149:150], v[153:154]
	v_fma_f64 v[153:154], v[139:140], v[157:158], v[214:215]
	v_add_f64 v[6:7], v[6:7], v[161:162]
	s_clause 0x2
	buffer_load_dword v205, off, s[0:3], 0 offset:988
	buffer_load_dword v158, off, s[0:3], 0 offset:964
	;; [unrolled: 1-line block ×3, first 2 shown]
	s_waitcnt vmcnt(58) lgkmcnt(0)
	v_mul_f64 v[161:162], v[2:3], v[165:166]
	v_mul_f64 v[165:166], v[4:5], v[165:166]
	s_waitcnt vmcnt(56)
	v_fma_f64 v[163:164], v[141:142], v[169:170], -v[163:164]
	ds_read_b128 v[137:140], v1 offset:1776
	v_add_f64 v[149:150], v[149:150], v[155:156]
	v_fma_f64 v[155:156], v[143:144], v[169:170], v[220:221]
	v_add_f64 v[6:7], v[6:7], v[153:154]
	s_clause 0x4
	buffer_load_dword v154, off, s[0:3], 0 offset:1004
	buffer_load_dword v169, off, s[0:3], 0 offset:1016
	;; [unrolled: 1-line block ×5, first 2 shown]
	ds_read_b128 v[141:144], v1 offset:1792
	s_waitcnt vmcnt(57) lgkmcnt(1)
	v_mul_f64 v[215:216], v[137:138], v[171:172]
	v_mul_f64 v[171:172], v[139:140], v[171:172]
	s_waitcnt vmcnt(56)
	v_fma_f64 v[165:166], v[2:3], v[167:168], -v[165:166]
	v_fma_f64 v[161:162], v[4:5], v[167:168], v[161:162]
	v_add_f64 v[149:150], v[149:150], v[163:164]
	v_add_f64 v[6:7], v[6:7], v[155:156]
	s_clause 0x2
	buffer_load_dword v170, off, s[0:3], 0 offset:1020
	buffer_load_dword v156, off, s[0:3], 0 offset:996
	;; [unrolled: 1-line block ×3, first 2 shown]
	s_waitcnt vmcnt(58) lgkmcnt(0)
	v_mul_f64 v[167:168], v[143:144], v[173:174]
	ds_read_b128 v[2:5], v1 offset:1808
	s_waitcnt vmcnt(56)
	v_fma_f64 v[171:172], v[137:138], v[177:178], -v[171:172]
	v_mul_f64 v[163:164], v[141:142], v[173:174]
	v_add_f64 v[149:150], v[149:150], v[165:166]
	v_fma_f64 v[165:166], v[139:140], v[177:178], v[215:216]
	v_add_f64 v[6:7], v[6:7], v[161:162]
	s_clause 0x2
	buffer_load_dword v162, off, s[0:3], 0 offset:1036
	buffer_load_dword v161, off, s[0:3], 0 offset:1032
	;; [unrolled: 1-line block ×3, first 2 shown]
	s_waitcnt vmcnt(55) lgkmcnt(0)
	v_mul_f64 v[177:178], v[4:5], v[179:180]
	s_waitcnt vmcnt(54)
	v_fma_f64 v[167:168], v[141:142], v[175:176], -v[167:168]
	ds_read_b128 v[137:140], v1 offset:1824
	v_mul_f64 v[173:174], v[2:3], v[179:180]
	v_fma_f64 v[163:164], v[143:144], v[175:176], v[163:164]
	v_add_f64 v[149:150], v[149:150], v[171:172]
	v_add_f64 v[6:7], v[6:7], v[165:166]
	s_clause 0x1
	buffer_load_dword v166, off, s[0:3], 0 offset:1028
	buffer_load_dword v165, off, s[0:3], 0 offset:1024
	s_waitcnt vmcnt(55) lgkmcnt(0)
	v_mul_f64 v[175:176], v[139:140], v[181:182]
	s_waitcnt vmcnt(53)
	v_fma_f64 v[177:178], v[2:3], v[185:186], -v[177:178]
	ds_read_b128 v[141:144], v1 offset:1840
	v_mul_f64 v[171:172], v[137:138], v[181:182]
	v_add_f64 v[149:150], v[149:150], v[167:168]
	v_fma_f64 v[167:168], v[4:5], v[185:186], v[173:174]
	v_add_f64 v[6:7], v[6:7], v[163:164]
	ds_read_b128 v[2:5], v1 offset:1856
	s_waitcnt vmcnt(49) lgkmcnt(1)
	v_mul_f64 v[173:174], v[143:144], v[187:188]
	s_waitcnt vmcnt(48)
	v_fma_f64 v[175:176], v[137:138], v[183:184], -v[175:176]
	v_mul_f64 v[163:164], v[141:142], v[187:188]
	v_fma_f64 v[171:172], v[139:140], v[183:184], v[171:172]
	v_add_f64 v[149:150], v[149:150], v[177:178]
	s_waitcnt vmcnt(47) lgkmcnt(0)
	v_mul_f64 v[181:182], v[4:5], v[189:190]
	v_add_f64 v[6:7], v[6:7], v[167:168]
	s_clause 0x3
	buffer_load_dword v167, off, s[0:3], 0 offset:640
	buffer_load_dword v168, off, s[0:3], 0 offset:644
	;; [unrolled: 1-line block ×4, first 2 shown]
	s_waitcnt vmcnt(49)
	v_fma_f64 v[173:174], v[141:142], v[193:194], -v[173:174]
	ds_read_b128 v[137:140], v1 offset:1872
	v_mul_f64 v[179:180], v[2:3], v[189:190]
	v_fma_f64 v[163:164], v[143:144], v[193:194], v[163:164]
	ds_read_b128 v[141:144], v1 offset:1888
	v_add_f64 v[149:150], v[149:150], v[175:176]
	s_waitcnt vmcnt(44)
	v_fma_f64 v[181:182], v[2:3], v[191:192], -v[181:182]
	v_add_f64 v[6:7], v[6:7], v[171:172]
	s_waitcnt lgkmcnt(1)
	v_mul_f64 v[175:176], v[139:140], v[195:196]
	v_mul_f64 v[171:172], v[137:138], v[195:196]
	v_add_f64 v[149:150], v[149:150], v[173:174]
	v_fma_f64 v[173:174], v[4:5], v[191:192], v[179:180]
	v_add_f64 v[6:7], v[6:7], v[163:164]
	s_waitcnt vmcnt(43) lgkmcnt(0)
	v_mul_f64 v[179:180], v[143:144], v[198:199]
	s_waitcnt vmcnt(41)
	v_fma_f64 v[175:176], v[137:138], v[202:203], -v[175:176]
	ds_read_b128 v[2:5], v1 offset:1904
	v_mul_f64 v[163:164], v[141:142], v[198:199]
	v_fma_f64 v[171:172], v[139:140], v[202:203], v[171:172]
	ds_read_b128 v[137:140], v1 offset:1920
	v_add_f64 v[149:150], v[149:150], v[181:182]
	v_add_f64 v[6:7], v[6:7], v[173:174]
	s_waitcnt vmcnt(37) lgkmcnt(1)
	v_mul_f64 v[181:182], v[4:5], v[206:207]
	s_waitcnt vmcnt(36)
	v_fma_f64 v[179:180], v[141:142], v[200:201], -v[179:180]
	v_mul_f64 v[173:174], v[2:3], v[206:207]
	v_fma_f64 v[163:164], v[143:144], v[200:201], v[163:164]
	ds_read_b128 v[141:144], v1 offset:1936
	v_add_f64 v[149:150], v[149:150], v[175:176]
	v_add_f64 v[6:7], v[6:7], v[171:172]
	s_waitcnt vmcnt(35) lgkmcnt(1)
	v_mul_f64 v[175:176], v[139:140], v[208:209]
	v_mul_f64 v[171:172], v[137:138], v[208:209]
	s_waitcnt vmcnt(33)
	v_fma_f64 v[181:182], v[2:3], v[147:148], -v[181:182]
	v_fma_f64 v[147:148], v[4:5], v[147:148], v[173:174]
	ds_read_b128 v[2:5], v1 offset:1952
	v_add_f64 v[149:150], v[149:150], v[179:180]
	v_add_f64 v[6:7], v[6:7], v[163:164]
	s_waitcnt vmcnt(29) lgkmcnt(1)
	v_mul_f64 v[163:164], v[141:142], v[151:152]
	v_mul_f64 v[151:152], v[143:144], v[151:152]
	s_waitcnt vmcnt(28)
	v_fma_f64 v[173:174], v[137:138], v[210:211], -v[175:176]
	v_fma_f64 v[171:172], v[139:140], v[210:211], v[171:172]
	ds_read_b128 v[137:140], v1 offset:1968
	v_add_f64 v[149:150], v[149:150], v[181:182]
	v_add_f64 v[6:7], v[6:7], v[147:148]
	s_waitcnt vmcnt(27) lgkmcnt(1)
	v_mul_f64 v[175:176], v[4:5], v[212:213]
	v_mul_f64 v[147:148], v[2:3], v[212:213]
	s_waitcnt vmcnt(25)
	v_fma_f64 v[151:152], v[141:142], v[145:146], -v[151:152]
	v_fma_f64 v[145:146], v[143:144], v[145:146], v[163:164]
	ds_read_b128 v[141:144], v1 offset:1984
	v_add_f64 v[149:150], v[149:150], v[173:174]
	v_add_f64 v[6:7], v[6:7], v[171:172]
	s_waitcnt vmcnt(21) lgkmcnt(1)
	v_mul_f64 v[163:164], v[137:138], v[159:160]
	v_mul_f64 v[159:160], v[139:140], v[159:160]
	s_waitcnt vmcnt(20)
	v_fma_f64 v[171:172], v[2:3], v[217:218], -v[175:176]
	v_fma_f64 v[147:148], v[4:5], v[217:218], v[147:148]
	ds_read_b128 v[2:5], v1 offset:2000
	v_add_f64 v[149:150], v[149:150], v[151:152]
	v_add_f64 v[6:7], v[6:7], v[145:146]
	s_waitcnt vmcnt(19) lgkmcnt(1)
	v_mul_f64 v[151:152], v[143:144], v[204:205]
	v_mul_f64 v[145:146], v[141:142], v[204:205]
	s_waitcnt vmcnt(17)
	v_fma_f64 v[159:160], v[137:138], v[157:158], -v[159:160]
	v_fma_f64 v[157:158], v[139:140], v[157:158], v[163:164]
	ds_read_b128 v[137:140], v1 offset:2016
	v_add_f64 v[149:150], v[149:150], v[171:172]
	v_add_f64 v[6:7], v[6:7], v[147:148]
	s_waitcnt vmcnt(13) lgkmcnt(1)
	v_mul_f64 v[147:148], v[2:3], v[153:154]
	v_mul_f64 v[153:154], v[4:5], v[153:154]
	s_waitcnt vmcnt(12)
	v_fma_f64 v[151:152], v[141:142], v[219:220], -v[151:152]
	v_fma_f64 v[145:146], v[143:144], v[219:220], v[145:146]
	ds_read_b128 v[141:144], v1 offset:2032
	v_add_f64 v[149:150], v[149:150], v[159:160]
	v_add_f64 v[6:7], v[6:7], v[157:158]
	s_waitcnt vmcnt(11) lgkmcnt(1)
	v_mul_f64 v[159:160], v[139:140], v[169:170]
	v_mul_f64 v[157:158], v[137:138], v[169:170]
	s_waitcnt vmcnt(9)
	v_fma_f64 v[1:2], v[2:3], v[155:156], -v[153:154]
	v_fma_f64 v[3:4], v[4:5], v[155:156], v[147:148]
	v_add_f64 v[149:150], v[149:150], v[151:152]
	v_add_f64 v[5:6], v[6:7], v[145:146]
	s_waitcnt vmcnt(7) lgkmcnt(0)
	v_mul_f64 v[145:146], v[143:144], v[161:162]
	s_waitcnt vmcnt(6)
	v_fma_f64 v[137:138], v[137:138], v[214:215], -v[159:160]
	v_mul_f64 v[7:8], v[141:142], v[161:162]
	v_fma_f64 v[139:140], v[139:140], v[214:215], v[157:158]
	v_add_f64 v[1:2], v[149:150], v[1:2]
	v_add_f64 v[3:4], v[5:6], v[3:4]
	s_waitcnt vmcnt(4)
	v_fma_f64 v[5:6], v[141:142], v[165:166], -v[145:146]
	v_fma_f64 v[7:8], v[143:144], v[165:166], v[7:8]
	v_add_f64 v[1:2], v[1:2], v[137:138]
	v_add_f64 v[3:4], v[3:4], v[139:140]
	;; [unrolled: 1-line block ×4, first 2 shown]
	s_waitcnt vmcnt(2)
	v_add_f64 v[1:2], v[167:168], -v[1:2]
	s_waitcnt vmcnt(0)
	v_add_f64 v[3:4], v[177:178], -v[3:4]
	buffer_store_dword v2, off, s[0:3], 0 offset:644
	buffer_store_dword v1, off, s[0:3], 0 offset:640
	;; [unrolled: 1-line block ×4, first 2 shown]
	v_cmpx_lt_u32_e32 38, v0
	s_cbranch_execz .LBB127_333
; %bb.332:
	v_mov_b32_e32 v4, s40
	v_mov_b32_e32 v5, 0
	s_clause 0x3
	buffer_load_dword v1, v4, s[0:3], 0 offen
	buffer_load_dword v2, v4, s[0:3], 0 offen offset:4
	buffer_load_dword v3, v4, s[0:3], 0 offen offset:8
	;; [unrolled: 1-line block ×3, first 2 shown]
	buffer_store_dword v5, off, s[0:3], 0 offset:624
	buffer_store_dword v5, off, s[0:3], 0 offset:628
	;; [unrolled: 1-line block ×4, first 2 shown]
	s_waitcnt vmcnt(0)
	ds_write_b128 v197, v[1:4]
.LBB127_333:
	s_or_b32 exec_lo, exec_lo, s4
	s_waitcnt lgkmcnt(0)
	s_waitcnt_vscnt null, 0x0
	s_barrier
	buffer_gl0_inv
	s_clause 0x37
	buffer_load_dword v6, off, s[0:3], 0 offset:648
	buffer_load_dword v7, off, s[0:3], 0 offset:652
	;; [unrolled: 1-line block ×56, first 2 shown]
	v_mov_b32_e32 v1, 0
	s_mov_b32 s4, exec_lo
	ds_read_b128 v[2:5], v1 offset:1648
	s_clause 0x2
	buffer_load_dword v199, off, s[0:3], 0 offset:876
	buffer_load_dword v203, off, s[0:3], 0 offset:852
	;; [unrolled: 1-line block ×3, first 2 shown]
	ds_read_b128 v[137:140], v1 offset:1664
	s_clause 0x4
	buffer_load_dword v207, off, s[0:3], 0 offset:892
	buffer_load_dword v208, off, s[0:3], 0 offset:904
	;; [unrolled: 1-line block ×5, first 2 shown]
	ds_read_b128 v[141:144], v1 offset:1680
	s_waitcnt vmcnt(62) lgkmcnt(2)
	v_mul_f64 v[204:205], v[4:5], v[6:7]
	v_mul_f64 v[6:7], v[2:3], v[6:7]
	s_waitcnt vmcnt(60) lgkmcnt(1)
	v_mul_f64 v[211:212], v[139:140], v[145:146]
	v_mul_f64 v[145:146], v[137:138], v[145:146]
	s_waitcnt vmcnt(56) lgkmcnt(0)
	v_mul_f64 v[213:214], v[141:142], v[149:150]
	v_mul_f64 v[149:150], v[143:144], v[149:150]
	v_fma_f64 v[204:205], v[2:3], v[147:148], -v[204:205]
	v_fma_f64 v[6:7], v[4:5], v[147:148], v[6:7]
	s_clause 0x2
	buffer_load_dword v209, off, s[0:3], 0 offset:908
	buffer_load_dword v148, off, s[0:3], 0 offset:884
	buffer_load_dword v147, off, s[0:3], 0 offset:880
	s_waitcnt vmcnt(57)
	v_fma_f64 v[215:216], v[137:138], v[151:152], -v[211:212]
	ds_read_b128 v[2:5], v1 offset:1696
	v_fma_f64 v[145:146], v[139:140], v[151:152], v[145:146]
	s_clause 0x4
	buffer_load_dword v152, off, s[0:3], 0 offset:924
	buffer_load_dword v212, off, s[0:3], 0 offset:936
	;; [unrolled: 1-line block ×5, first 2 shown]
	s_waitcnt vmcnt(56)
	v_fma_f64 v[149:150], v[141:142], v[159:160], -v[149:150]
	ds_read_b128 v[137:140], v1 offset:1712
	v_fma_f64 v[159:160], v[143:144], v[159:160], v[213:214]
	v_add_f64 v[204:205], v[204:205], 0
	v_add_f64 v[6:7], v[6:7], 0
	s_waitcnt lgkmcnt(1)
	v_mul_f64 v[218:219], v[2:3], v[153:154]
	v_mul_f64 v[153:154], v[4:5], v[153:154]
	v_add_f64 v[204:205], v[204:205], v[215:216]
	v_add_f64 v[6:7], v[6:7], v[145:146]
	s_clause 0x2
	buffer_load_dword v213, off, s[0:3], 0 offset:940
	buffer_load_dword v146, off, s[0:3], 0 offset:916
	;; [unrolled: 1-line block ×3, first 2 shown]
	s_waitcnt vmcnt(58) lgkmcnt(0)
	v_mul_f64 v[214:215], v[137:138], v[155:156]
	v_mul_f64 v[155:156], v[139:140], v[155:156]
	s_waitcnt vmcnt(56)
	v_fma_f64 v[153:154], v[2:3], v[161:162], -v[153:154]
	ds_read_b128 v[141:144], v1 offset:1728
	v_fma_f64 v[161:162], v[4:5], v[161:162], v[218:219]
	v_add_f64 v[149:150], v[204:205], v[149:150]
	v_add_f64 v[6:7], v[6:7], v[159:160]
	s_clause 0x4
	buffer_load_dword v160, off, s[0:3], 0 offset:956
	buffer_load_dword v204, off, s[0:3], 0 offset:968
	;; [unrolled: 1-line block ×5, first 2 shown]
	ds_read_b128 v[2:5], v1 offset:1744
	s_waitcnt vmcnt(57) lgkmcnt(1)
	v_mul_f64 v[220:221], v[141:142], v[163:164]
	v_mul_f64 v[163:164], v[143:144], v[163:164]
	s_waitcnt vmcnt(56)
	v_fma_f64 v[155:156], v[137:138], v[157:158], -v[155:156]
	v_add_f64 v[149:150], v[149:150], v[153:154]
	v_fma_f64 v[153:154], v[139:140], v[157:158], v[214:215]
	v_add_f64 v[6:7], v[6:7], v[161:162]
	s_clause 0x2
	buffer_load_dword v205, off, s[0:3], 0 offset:972
	buffer_load_dword v158, off, s[0:3], 0 offset:948
	;; [unrolled: 1-line block ×3, first 2 shown]
	s_waitcnt vmcnt(58) lgkmcnt(0)
	v_mul_f64 v[161:162], v[2:3], v[165:166]
	v_mul_f64 v[165:166], v[4:5], v[165:166]
	s_waitcnt vmcnt(56)
	v_fma_f64 v[163:164], v[141:142], v[169:170], -v[163:164]
	ds_read_b128 v[137:140], v1 offset:1760
	v_add_f64 v[149:150], v[149:150], v[155:156]
	v_fma_f64 v[155:156], v[143:144], v[169:170], v[220:221]
	v_add_f64 v[6:7], v[6:7], v[153:154]
	s_clause 0x4
	buffer_load_dword v154, off, s[0:3], 0 offset:988
	buffer_load_dword v169, off, s[0:3], 0 offset:1000
	;; [unrolled: 1-line block ×5, first 2 shown]
	ds_read_b128 v[141:144], v1 offset:1776
	s_waitcnt vmcnt(57) lgkmcnt(1)
	v_mul_f64 v[215:216], v[137:138], v[171:172]
	v_mul_f64 v[171:172], v[139:140], v[171:172]
	s_waitcnt vmcnt(56)
	v_fma_f64 v[165:166], v[2:3], v[167:168], -v[165:166]
	v_fma_f64 v[161:162], v[4:5], v[167:168], v[161:162]
	v_add_f64 v[149:150], v[149:150], v[163:164]
	v_add_f64 v[6:7], v[6:7], v[155:156]
	s_clause 0x2
	buffer_load_dword v170, off, s[0:3], 0 offset:1004
	buffer_load_dword v156, off, s[0:3], 0 offset:980
	;; [unrolled: 1-line block ×3, first 2 shown]
	s_waitcnt vmcnt(58) lgkmcnt(0)
	v_mul_f64 v[167:168], v[143:144], v[173:174]
	ds_read_b128 v[2:5], v1 offset:1792
	s_waitcnt vmcnt(56)
	v_fma_f64 v[171:172], v[137:138], v[177:178], -v[171:172]
	v_mul_f64 v[163:164], v[141:142], v[173:174]
	v_add_f64 v[149:150], v[149:150], v[165:166]
	v_fma_f64 v[165:166], v[139:140], v[177:178], v[215:216]
	v_add_f64 v[6:7], v[6:7], v[161:162]
	s_clause 0x4
	buffer_load_dword v162, off, s[0:3], 0 offset:1020
	buffer_load_dword v173, off, s[0:3], 0 offset:1032
	;; [unrolled: 1-line block ×5, first 2 shown]
	s_waitcnt vmcnt(57) lgkmcnt(0)
	v_mul_f64 v[221:222], v[2:3], v[179:180]
	v_mul_f64 v[178:179], v[4:5], v[179:180]
	s_waitcnt vmcnt(56)
	v_fma_f64 v[167:168], v[141:142], v[175:176], -v[167:168]
	ds_read_b128 v[137:140], v1 offset:1808
	v_fma_f64 v[163:164], v[143:144], v[175:176], v[163:164]
	v_add_f64 v[149:150], v[149:150], v[171:172]
	v_add_f64 v[6:7], v[6:7], v[165:166]
	s_clause 0x2
	buffer_load_dword v174, off, s[0:3], 0 offset:1036
	buffer_load_dword v166, off, s[0:3], 0 offset:1012
	;; [unrolled: 1-line block ×3, first 2 shown]
	ds_read_b128 v[141:144], v1 offset:1824
	s_waitcnt vmcnt(58) lgkmcnt(1)
	v_mul_f64 v[175:176], v[139:140], v[181:182]
	s_waitcnt vmcnt(56)
	v_fma_f64 v[179:180], v[2:3], v[185:186], -v[178:179]
	v_mul_f64 v[171:172], v[137:138], v[181:182]
	buffer_load_dword v178, off, s[0:3], 0 offset:1028
	v_add_f64 v[149:150], v[149:150], v[167:168]
	v_fma_f64 v[167:168], v[4:5], v[185:186], v[221:222]
	v_add_f64 v[6:7], v[6:7], v[163:164]
	ds_read_b128 v[2:5], v1 offset:1840
	s_waitcnt vmcnt(53) lgkmcnt(1)
	v_mul_f64 v[181:182], v[143:144], v[187:188]
	s_waitcnt vmcnt(52)
	v_fma_f64 v[175:176], v[137:138], v[183:184], -v[175:176]
	v_mul_f64 v[163:164], v[141:142], v[187:188]
	v_fma_f64 v[171:172], v[139:140], v[183:184], v[171:172]
	ds_read_b128 v[137:140], v1 offset:1856
	v_add_f64 v[149:150], v[149:150], v[179:180]
	s_waitcnt vmcnt(51) lgkmcnt(1)
	v_mul_f64 v[179:180], v[4:5], v[189:190]
	v_add_f64 v[6:7], v[6:7], v[167:168]
	v_mul_f64 v[167:168], v[2:3], v[189:190]
	s_waitcnt vmcnt(49)
	v_fma_f64 v[181:182], v[141:142], v[193:194], -v[181:182]
	v_fma_f64 v[163:164], v[143:144], v[193:194], v[163:164]
	s_waitcnt vmcnt(45) lgkmcnt(0)
	v_mul_f64 v[185:186], v[139:140], v[195:196]
	v_mul_f64 v[183:184], v[137:138], v[195:196]
	v_add_f64 v[149:150], v[149:150], v[175:176]
	s_waitcnt vmcnt(44)
	v_fma_f64 v[179:180], v[2:3], v[191:192], -v[179:180]
	v_add_f64 v[6:7], v[6:7], v[171:172]
	s_clause 0x3
	buffer_load_dword v171, off, s[0:3], 0 offset:624
	buffer_load_dword v172, off, s[0:3], 0 offset:628
	;; [unrolled: 1-line block ×4, first 2 shown]
	ds_read_b128 v[141:144], v1 offset:1872
	v_fma_f64 v[167:168], v[4:5], v[191:192], v[167:168]
	ds_read_b128 v[2:5], v1 offset:1888
	s_waitcnt vmcnt(45)
	v_fma_f64 v[185:186], v[137:138], v[202:203], -v[185:186]
	v_add_f64 v[149:150], v[149:150], v[181:182]
	v_add_f64 v[6:7], v[6:7], v[163:164]
	s_waitcnt lgkmcnt(1)
	v_mul_f64 v[181:182], v[143:144], v[198:199]
	v_mul_f64 v[163:164], v[141:142], v[198:199]
	v_add_f64 v[149:150], v[149:150], v[179:180]
	v_fma_f64 v[179:180], v[139:140], v[202:203], v[183:184]
	v_add_f64 v[6:7], v[6:7], v[167:168]
	s_waitcnt vmcnt(41) lgkmcnt(0)
	v_mul_f64 v[183:184], v[4:5], v[206:207]
	s_waitcnt vmcnt(40)
	v_fma_f64 v[181:182], v[141:142], v[200:201], -v[181:182]
	ds_read_b128 v[137:140], v1 offset:1904
	v_mul_f64 v[167:168], v[2:3], v[206:207]
	v_fma_f64 v[163:164], v[143:144], v[200:201], v[163:164]
	ds_read_b128 v[141:144], v1 offset:1920
	v_add_f64 v[149:150], v[149:150], v[185:186]
	v_add_f64 v[6:7], v[6:7], v[179:180]
	s_waitcnt vmcnt(39) lgkmcnt(1)
	v_mul_f64 v[185:186], v[139:140], v[208:209]
	v_mul_f64 v[179:180], v[137:138], v[208:209]
	s_waitcnt vmcnt(37)
	v_fma_f64 v[183:184], v[2:3], v[147:148], -v[183:184]
	v_fma_f64 v[147:148], v[4:5], v[147:148], v[167:168]
	ds_read_b128 v[2:5], v1 offset:1936
	v_add_f64 v[149:150], v[149:150], v[181:182]
	v_add_f64 v[6:7], v[6:7], v[163:164]
	s_waitcnt vmcnt(33) lgkmcnt(1)
	v_mul_f64 v[163:164], v[141:142], v[151:152]
	v_mul_f64 v[151:152], v[143:144], v[151:152]
	s_waitcnt vmcnt(32)
	v_fma_f64 v[167:168], v[137:138], v[210:211], -v[185:186]
	;; [unrolled: 9-line block ×7, first 2 shown]
	v_fma_f64 v[147:148], v[4:5], v[155:156], v[147:148]
	ds_read_b128 v[2:5], v1 offset:2032
	v_add_f64 v[149:150], v[149:150], v[151:152]
	v_add_f64 v[6:7], v[6:7], v[145:146]
	s_waitcnt vmcnt(9) lgkmcnt(1)
	v_mul_f64 v[151:152], v[143:144], v[161:162]
	s_waitcnt vmcnt(8)
	v_fma_f64 v[137:138], v[137:138], v[214:215], -v[159:160]
	v_mul_f64 v[145:146], v[141:142], v[161:162]
	v_fma_f64 v[139:140], v[139:140], v[214:215], v[157:158]
	v_add_f64 v[149:150], v[149:150], v[153:154]
	v_add_f64 v[6:7], v[6:7], v[147:148]
	s_waitcnt vmcnt(7) lgkmcnt(0)
	v_mul_f64 v[153:154], v[4:5], v[173:174]
	v_mul_f64 v[147:148], v[2:3], v[173:174]
	s_waitcnt vmcnt(5)
	v_fma_f64 v[141:142], v[141:142], v[165:166], -v[151:152]
	v_fma_f64 v[143:144], v[143:144], v[165:166], v[145:146]
	v_add_f64 v[137:138], v[149:150], v[137:138]
	v_add_f64 v[6:7], v[6:7], v[139:140]
	s_waitcnt vmcnt(4)
	v_fma_f64 v[2:3], v[2:3], v[177:178], -v[153:154]
	v_fma_f64 v[4:5], v[4:5], v[177:178], v[147:148]
	v_add_f64 v[137:138], v[137:138], v[141:142]
	v_add_f64 v[6:7], v[6:7], v[143:144]
	;; [unrolled: 1-line block ×4, first 2 shown]
	s_waitcnt vmcnt(2)
	v_add_f64 v[2:3], v[171:172], -v[2:3]
	s_waitcnt vmcnt(0)
	v_add_f64 v[4:5], v[175:176], -v[4:5]
	buffer_store_dword v3, off, s[0:3], 0 offset:628
	buffer_store_dword v2, off, s[0:3], 0 offset:624
	;; [unrolled: 1-line block ×4, first 2 shown]
	v_cmpx_lt_u32_e32 37, v0
	s_cbranch_execz .LBB127_335
; %bb.334:
	v_mov_b32_e32 v5, s41
	s_clause 0x3
	buffer_load_dword v2, v5, s[0:3], 0 offen
	buffer_load_dword v3, v5, s[0:3], 0 offen offset:4
	buffer_load_dword v4, v5, s[0:3], 0 offen offset:8
	;; [unrolled: 1-line block ×3, first 2 shown]
	buffer_store_dword v1, off, s[0:3], 0 offset:608
	buffer_store_dword v1, off, s[0:3], 0 offset:612
	;; [unrolled: 1-line block ×4, first 2 shown]
	s_waitcnt vmcnt(0)
	ds_write_b128 v197, v[2:5]
.LBB127_335:
	s_or_b32 exec_lo, exec_lo, s4
	s_waitcnt lgkmcnt(0)
	s_waitcnt_vscnt null, 0x0
	s_barrier
	buffer_gl0_inv
	s_clause 0x37
	buffer_load_dword v6, off, s[0:3], 0 offset:632
	buffer_load_dword v7, off, s[0:3], 0 offset:636
	;; [unrolled: 1-line block ×56, first 2 shown]
	ds_read_b128 v[2:5], v1 offset:1632
	s_clause 0x2
	buffer_load_dword v199, off, s[0:3], 0 offset:860
	buffer_load_dword v203, off, s[0:3], 0 offset:836
	;; [unrolled: 1-line block ×3, first 2 shown]
	ds_read_b128 v[137:140], v1 offset:1648
	s_clause 0x4
	buffer_load_dword v207, off, s[0:3], 0 offset:876
	buffer_load_dword v208, off, s[0:3], 0 offset:888
	;; [unrolled: 1-line block ×5, first 2 shown]
	ds_read_b128 v[141:144], v1 offset:1664
	s_mov_b32 s4, exec_lo
	s_waitcnt vmcnt(62) lgkmcnt(2)
	v_mul_f64 v[204:205], v[4:5], v[6:7]
	v_mul_f64 v[6:7], v[2:3], v[6:7]
	s_waitcnt vmcnt(60) lgkmcnt(1)
	v_mul_f64 v[211:212], v[139:140], v[145:146]
	v_mul_f64 v[145:146], v[137:138], v[145:146]
	;; [unrolled: 3-line block ×3, first 2 shown]
	v_fma_f64 v[204:205], v[2:3], v[147:148], -v[204:205]
	v_fma_f64 v[6:7], v[4:5], v[147:148], v[6:7]
	s_clause 0x2
	buffer_load_dword v209, off, s[0:3], 0 offset:892
	buffer_load_dword v148, off, s[0:3], 0 offset:868
	;; [unrolled: 1-line block ×3, first 2 shown]
	s_waitcnt vmcnt(57)
	v_fma_f64 v[215:216], v[137:138], v[151:152], -v[211:212]
	ds_read_b128 v[2:5], v1 offset:1680
	v_fma_f64 v[145:146], v[139:140], v[151:152], v[145:146]
	s_clause 0x4
	buffer_load_dword v152, off, s[0:3], 0 offset:908
	buffer_load_dword v212, off, s[0:3], 0 offset:920
	;; [unrolled: 1-line block ×5, first 2 shown]
	s_waitcnt vmcnt(56)
	v_fma_f64 v[149:150], v[141:142], v[159:160], -v[149:150]
	ds_read_b128 v[137:140], v1 offset:1696
	v_fma_f64 v[159:160], v[143:144], v[159:160], v[213:214]
	v_add_f64 v[204:205], v[204:205], 0
	v_add_f64 v[6:7], v[6:7], 0
	s_waitcnt lgkmcnt(1)
	v_mul_f64 v[218:219], v[2:3], v[153:154]
	v_mul_f64 v[153:154], v[4:5], v[153:154]
	v_add_f64 v[204:205], v[204:205], v[215:216]
	v_add_f64 v[6:7], v[6:7], v[145:146]
	s_clause 0x2
	buffer_load_dword v213, off, s[0:3], 0 offset:924
	buffer_load_dword v146, off, s[0:3], 0 offset:900
	;; [unrolled: 1-line block ×3, first 2 shown]
	s_waitcnt vmcnt(58) lgkmcnt(0)
	v_mul_f64 v[214:215], v[137:138], v[155:156]
	v_mul_f64 v[155:156], v[139:140], v[155:156]
	s_waitcnt vmcnt(56)
	v_fma_f64 v[153:154], v[2:3], v[161:162], -v[153:154]
	ds_read_b128 v[141:144], v1 offset:1712
	v_fma_f64 v[161:162], v[4:5], v[161:162], v[218:219]
	v_add_f64 v[149:150], v[204:205], v[149:150]
	v_add_f64 v[6:7], v[6:7], v[159:160]
	s_clause 0x4
	buffer_load_dword v160, off, s[0:3], 0 offset:940
	buffer_load_dword v204, off, s[0:3], 0 offset:952
	;; [unrolled: 1-line block ×5, first 2 shown]
	ds_read_b128 v[2:5], v1 offset:1728
	s_waitcnt vmcnt(57) lgkmcnt(1)
	v_mul_f64 v[220:221], v[141:142], v[163:164]
	v_mul_f64 v[163:164], v[143:144], v[163:164]
	s_waitcnt vmcnt(56)
	v_fma_f64 v[155:156], v[137:138], v[157:158], -v[155:156]
	v_add_f64 v[149:150], v[149:150], v[153:154]
	v_fma_f64 v[153:154], v[139:140], v[157:158], v[214:215]
	v_add_f64 v[6:7], v[6:7], v[161:162]
	s_clause 0x2
	buffer_load_dword v205, off, s[0:3], 0 offset:956
	buffer_load_dword v158, off, s[0:3], 0 offset:932
	;; [unrolled: 1-line block ×3, first 2 shown]
	s_waitcnt vmcnt(58) lgkmcnt(0)
	v_mul_f64 v[161:162], v[2:3], v[165:166]
	v_mul_f64 v[165:166], v[4:5], v[165:166]
	s_waitcnt vmcnt(56)
	v_fma_f64 v[163:164], v[141:142], v[169:170], -v[163:164]
	ds_read_b128 v[137:140], v1 offset:1744
	v_add_f64 v[149:150], v[149:150], v[155:156]
	v_fma_f64 v[155:156], v[143:144], v[169:170], v[220:221]
	v_add_f64 v[6:7], v[6:7], v[153:154]
	s_clause 0x4
	buffer_load_dword v154, off, s[0:3], 0 offset:972
	buffer_load_dword v169, off, s[0:3], 0 offset:984
	;; [unrolled: 1-line block ×5, first 2 shown]
	ds_read_b128 v[141:144], v1 offset:1760
	s_waitcnt vmcnt(57) lgkmcnt(1)
	v_mul_f64 v[215:216], v[137:138], v[171:172]
	v_mul_f64 v[171:172], v[139:140], v[171:172]
	s_waitcnt vmcnt(56)
	v_fma_f64 v[165:166], v[2:3], v[167:168], -v[165:166]
	v_fma_f64 v[161:162], v[4:5], v[167:168], v[161:162]
	v_add_f64 v[149:150], v[149:150], v[163:164]
	v_add_f64 v[6:7], v[6:7], v[155:156]
	s_clause 0x2
	buffer_load_dword v170, off, s[0:3], 0 offset:988
	buffer_load_dword v156, off, s[0:3], 0 offset:964
	;; [unrolled: 1-line block ×3, first 2 shown]
	s_waitcnt vmcnt(58) lgkmcnt(0)
	v_mul_f64 v[167:168], v[143:144], v[173:174]
	ds_read_b128 v[2:5], v1 offset:1776
	s_waitcnt vmcnt(56)
	v_fma_f64 v[171:172], v[137:138], v[177:178], -v[171:172]
	v_mul_f64 v[163:164], v[141:142], v[173:174]
	v_add_f64 v[149:150], v[149:150], v[165:166]
	v_fma_f64 v[165:166], v[139:140], v[177:178], v[215:216]
	v_add_f64 v[6:7], v[6:7], v[161:162]
	s_clause 0x4
	buffer_load_dword v162, off, s[0:3], 0 offset:1004
	buffer_load_dword v173, off, s[0:3], 0 offset:1016
	;; [unrolled: 1-line block ×5, first 2 shown]
	s_waitcnt vmcnt(57) lgkmcnt(0)
	v_mul_f64 v[221:222], v[2:3], v[179:180]
	v_mul_f64 v[178:179], v[4:5], v[179:180]
	s_waitcnt vmcnt(56)
	v_fma_f64 v[167:168], v[141:142], v[175:176], -v[167:168]
	ds_read_b128 v[137:140], v1 offset:1792
	v_fma_f64 v[163:164], v[143:144], v[175:176], v[163:164]
	v_add_f64 v[149:150], v[149:150], v[171:172]
	v_add_f64 v[6:7], v[6:7], v[165:166]
	s_clause 0x2
	buffer_load_dword v174, off, s[0:3], 0 offset:1020
	buffer_load_dword v166, off, s[0:3], 0 offset:996
	;; [unrolled: 1-line block ×3, first 2 shown]
	ds_read_b128 v[141:144], v1 offset:1808
	s_waitcnt vmcnt(58) lgkmcnt(1)
	v_mul_f64 v[175:176], v[139:140], v[181:182]
	s_waitcnt vmcnt(56)
	v_fma_f64 v[179:180], v[2:3], v[185:186], -v[178:179]
	v_mul_f64 v[171:172], v[137:138], v[181:182]
	v_add_f64 v[149:150], v[149:150], v[167:168]
	v_fma_f64 v[167:168], v[4:5], v[185:186], v[221:222]
	v_add_f64 v[6:7], v[6:7], v[163:164]
	s_clause 0x2
	buffer_load_dword v164, off, s[0:3], 0 offset:1036
	buffer_load_dword v163, off, s[0:3], 0 offset:1032
	;; [unrolled: 1-line block ×3, first 2 shown]
	s_waitcnt vmcnt(55) lgkmcnt(0)
	v_mul_f64 v[185:186], v[143:144], v[187:188]
	s_waitcnt vmcnt(54)
	v_fma_f64 v[175:176], v[137:138], v[183:184], -v[175:176]
	ds_read_b128 v[2:5], v1 offset:1824
	v_mul_f64 v[181:182], v[141:142], v[187:188]
	v_fma_f64 v[171:172], v[139:140], v[183:184], v[171:172]
	v_add_f64 v[149:150], v[149:150], v[179:180]
	v_add_f64 v[6:7], v[6:7], v[167:168]
	s_clause 0x1
	buffer_load_dword v168, off, s[0:3], 0 offset:1028
	buffer_load_dword v167, off, s[0:3], 0 offset:1024
	s_waitcnt vmcnt(55) lgkmcnt(0)
	v_mul_f64 v[183:184], v[4:5], v[189:190]
	s_waitcnt vmcnt(53)
	v_fma_f64 v[185:186], v[141:142], v[193:194], -v[185:186]
	ds_read_b128 v[137:140], v1 offset:1840
	v_mul_f64 v[179:180], v[2:3], v[189:190]
	v_add_f64 v[149:150], v[149:150], v[175:176]
	v_fma_f64 v[175:176], v[143:144], v[193:194], v[181:182]
	v_add_f64 v[6:7], v[6:7], v[171:172]
	ds_read_b128 v[141:144], v1 offset:1856
	s_waitcnt vmcnt(49) lgkmcnt(1)
	v_mul_f64 v[181:182], v[139:140], v[195:196]
	s_waitcnt vmcnt(48)
	v_fma_f64 v[183:184], v[2:3], v[191:192], -v[183:184]
	v_mul_f64 v[171:172], v[137:138], v[195:196]
	v_fma_f64 v[179:180], v[4:5], v[191:192], v[179:180]
	v_add_f64 v[149:150], v[149:150], v[185:186]
	s_waitcnt vmcnt(47) lgkmcnt(0)
	v_mul_f64 v[189:190], v[143:144], v[198:199]
	v_add_f64 v[6:7], v[6:7], v[175:176]
	s_clause 0x3
	buffer_load_dword v175, off, s[0:3], 0 offset:608
	buffer_load_dword v176, off, s[0:3], 0 offset:612
	;; [unrolled: 1-line block ×4, first 2 shown]
	s_waitcnt vmcnt(49)
	v_fma_f64 v[181:182], v[137:138], v[202:203], -v[181:182]
	ds_read_b128 v[2:5], v1 offset:1872
	v_mul_f64 v[187:188], v[141:142], v[198:199]
	v_fma_f64 v[171:172], v[139:140], v[202:203], v[171:172]
	ds_read_b128 v[137:140], v1 offset:1888
	v_add_f64 v[149:150], v[149:150], v[183:184]
	s_waitcnt vmcnt(44)
	v_fma_f64 v[189:190], v[141:142], v[200:201], -v[189:190]
	v_add_f64 v[6:7], v[6:7], v[179:180]
	s_waitcnt lgkmcnt(1)
	v_mul_f64 v[183:184], v[4:5], v[206:207]
	v_mul_f64 v[179:180], v[2:3], v[206:207]
	v_add_f64 v[149:150], v[149:150], v[181:182]
	v_fma_f64 v[181:182], v[143:144], v[200:201], v[187:188]
	v_add_f64 v[6:7], v[6:7], v[171:172]
	ds_read_b128 v[141:144], v1 offset:1904
	s_waitcnt vmcnt(43) lgkmcnt(1)
	v_mul_f64 v[187:188], v[139:140], v[208:209]
	v_mul_f64 v[171:172], v[137:138], v[208:209]
	s_waitcnt vmcnt(41)
	v_fma_f64 v[183:184], v[2:3], v[147:148], -v[183:184]
	v_fma_f64 v[147:148], v[4:5], v[147:148], v[179:180]
	ds_read_b128 v[2:5], v1 offset:1920
	v_add_f64 v[149:150], v[149:150], v[189:190]
	s_waitcnt vmcnt(37) lgkmcnt(1)
	v_mul_f64 v[179:180], v[141:142], v[151:152]
	v_add_f64 v[6:7], v[6:7], v[181:182]
	v_mul_f64 v[151:152], v[143:144], v[151:152]
	s_waitcnt vmcnt(36)
	v_fma_f64 v[181:182], v[137:138], v[210:211], -v[187:188]
	v_fma_f64 v[171:172], v[139:140], v[210:211], v[171:172]
	ds_read_b128 v[137:140], v1 offset:1936
	v_add_f64 v[149:150], v[149:150], v[183:184]
	v_add_f64 v[6:7], v[6:7], v[147:148]
	s_waitcnt vmcnt(35) lgkmcnt(1)
	v_mul_f64 v[183:184], v[4:5], v[212:213]
	v_mul_f64 v[147:148], v[2:3], v[212:213]
	s_waitcnt vmcnt(33)
	v_fma_f64 v[151:152], v[141:142], v[145:146], -v[151:152]
	v_fma_f64 v[145:146], v[143:144], v[145:146], v[179:180]
	ds_read_b128 v[141:144], v1 offset:1952
	v_add_f64 v[149:150], v[149:150], v[181:182]
	v_add_f64 v[6:7], v[6:7], v[171:172]
	s_waitcnt vmcnt(29) lgkmcnt(1)
	v_mul_f64 v[171:172], v[137:138], v[159:160]
	v_mul_f64 v[159:160], v[139:140], v[159:160]
	s_waitcnt vmcnt(28)
	v_fma_f64 v[179:180], v[2:3], v[217:218], -v[183:184]
	v_fma_f64 v[147:148], v[4:5], v[217:218], v[147:148]
	ds_read_b128 v[2:5], v1 offset:1968
	v_add_f64 v[149:150], v[149:150], v[151:152]
	v_add_f64 v[6:7], v[6:7], v[145:146]
	s_waitcnt vmcnt(27) lgkmcnt(1)
	v_mul_f64 v[151:152], v[143:144], v[204:205]
	v_mul_f64 v[145:146], v[141:142], v[204:205]
	s_waitcnt vmcnt(25)
	v_fma_f64 v[159:160], v[137:138], v[157:158], -v[159:160]
	v_fma_f64 v[157:158], v[139:140], v[157:158], v[171:172]
	ds_read_b128 v[137:140], v1 offset:1984
	v_add_f64 v[149:150], v[149:150], v[179:180]
	v_add_f64 v[6:7], v[6:7], v[147:148]
	s_waitcnt vmcnt(21) lgkmcnt(1)
	v_mul_f64 v[147:148], v[2:3], v[153:154]
	v_mul_f64 v[153:154], v[4:5], v[153:154]
	s_waitcnt vmcnt(20)
	v_fma_f64 v[151:152], v[141:142], v[219:220], -v[151:152]
	v_fma_f64 v[145:146], v[143:144], v[219:220], v[145:146]
	ds_read_b128 v[141:144], v1 offset:2000
	v_add_f64 v[149:150], v[149:150], v[159:160]
	v_add_f64 v[6:7], v[6:7], v[157:158]
	s_waitcnt vmcnt(19) lgkmcnt(1)
	v_mul_f64 v[159:160], v[139:140], v[169:170]
	v_mul_f64 v[157:158], v[137:138], v[169:170]
	s_waitcnt vmcnt(17)
	v_fma_f64 v[153:154], v[2:3], v[155:156], -v[153:154]
	v_fma_f64 v[147:148], v[4:5], v[155:156], v[147:148]
	ds_read_b128 v[2:5], v1 offset:2016
	v_add_f64 v[149:150], v[149:150], v[151:152]
	v_add_f64 v[6:7], v[6:7], v[145:146]
	s_waitcnt vmcnt(13) lgkmcnt(1)
	v_mul_f64 v[151:152], v[143:144], v[161:162]
	s_waitcnt vmcnt(12)
	v_fma_f64 v[155:156], v[137:138], v[214:215], -v[159:160]
	v_mul_f64 v[145:146], v[141:142], v[161:162]
	v_add_f64 v[149:150], v[149:150], v[153:154]
	v_fma_f64 v[153:154], v[139:140], v[214:215], v[157:158]
	v_add_f64 v[6:7], v[6:7], v[147:148]
	ds_read_b128 v[137:140], v1 offset:2032
	s_waitcnt vmcnt(11) lgkmcnt(1)
	v_mul_f64 v[157:158], v[4:5], v[173:174]
	v_mul_f64 v[147:148], v[2:3], v[173:174]
	s_waitcnt vmcnt(9)
	v_fma_f64 v[141:142], v[141:142], v[165:166], -v[151:152]
	v_fma_f64 v[143:144], v[143:144], v[165:166], v[145:146]
	v_add_f64 v[149:150], v[149:150], v[155:156]
	v_add_f64 v[6:7], v[6:7], v[153:154]
	s_waitcnt vmcnt(7) lgkmcnt(0)
	v_mul_f64 v[151:152], v[139:140], v[163:164]
	s_waitcnt vmcnt(6)
	v_fma_f64 v[1:2], v[2:3], v[177:178], -v[157:158]
	v_mul_f64 v[145:146], v[137:138], v[163:164]
	v_fma_f64 v[3:4], v[4:5], v[177:178], v[147:148]
	v_add_f64 v[141:142], v[149:150], v[141:142]
	v_add_f64 v[5:6], v[6:7], v[143:144]
	s_waitcnt vmcnt(4)
	v_fma_f64 v[7:8], v[137:138], v[167:168], -v[151:152]
	v_fma_f64 v[137:138], v[139:140], v[167:168], v[145:146]
	v_add_f64 v[1:2], v[141:142], v[1:2]
	v_add_f64 v[3:4], v[5:6], v[3:4]
	;; [unrolled: 1-line block ×4, first 2 shown]
	s_waitcnt vmcnt(2)
	v_add_f64 v[1:2], v[175:176], -v[1:2]
	s_waitcnt vmcnt(0)
	v_add_f64 v[3:4], v[185:186], -v[3:4]
	buffer_store_dword v2, off, s[0:3], 0 offset:612
	buffer_store_dword v1, off, s[0:3], 0 offset:608
	;; [unrolled: 1-line block ×4, first 2 shown]
	v_cmpx_lt_u32_e32 36, v0
	s_cbranch_execz .LBB127_337
; %bb.336:
	v_mov_b32_e32 v4, s42
	v_mov_b32_e32 v5, 0
	s_clause 0x3
	buffer_load_dword v1, v4, s[0:3], 0 offen
	buffer_load_dword v2, v4, s[0:3], 0 offen offset:4
	buffer_load_dword v3, v4, s[0:3], 0 offen offset:8
	;; [unrolled: 1-line block ×3, first 2 shown]
	buffer_store_dword v5, off, s[0:3], 0 offset:592
	buffer_store_dword v5, off, s[0:3], 0 offset:596
	buffer_store_dword v5, off, s[0:3], 0 offset:600
	buffer_store_dword v5, off, s[0:3], 0 offset:604
	s_waitcnt vmcnt(0)
	ds_write_b128 v197, v[1:4]
.LBB127_337:
	s_or_b32 exec_lo, exec_lo, s4
	s_waitcnt lgkmcnt(0)
	s_waitcnt_vscnt null, 0x0
	s_barrier
	buffer_gl0_inv
	s_clause 0x37
	buffer_load_dword v6, off, s[0:3], 0 offset:616
	buffer_load_dword v7, off, s[0:3], 0 offset:620
	;; [unrolled: 1-line block ×56, first 2 shown]
	v_mov_b32_e32 v1, 0
	s_mov_b32 s4, exec_lo
	ds_read_b128 v[2:5], v1 offset:1616
	s_clause 0x2
	buffer_load_dword v199, off, s[0:3], 0 offset:844
	buffer_load_dword v203, off, s[0:3], 0 offset:820
	;; [unrolled: 1-line block ×3, first 2 shown]
	ds_read_b128 v[137:140], v1 offset:1632
	s_clause 0x4
	buffer_load_dword v207, off, s[0:3], 0 offset:860
	buffer_load_dword v208, off, s[0:3], 0 offset:872
	;; [unrolled: 1-line block ×5, first 2 shown]
	ds_read_b128 v[141:144], v1 offset:1648
	s_waitcnt vmcnt(62) lgkmcnt(2)
	v_mul_f64 v[204:205], v[4:5], v[6:7]
	v_mul_f64 v[6:7], v[2:3], v[6:7]
	s_waitcnt vmcnt(60) lgkmcnt(1)
	v_mul_f64 v[211:212], v[139:140], v[145:146]
	v_mul_f64 v[145:146], v[137:138], v[145:146]
	;; [unrolled: 3-line block ×3, first 2 shown]
	v_fma_f64 v[204:205], v[2:3], v[147:148], -v[204:205]
	v_fma_f64 v[6:7], v[4:5], v[147:148], v[6:7]
	s_clause 0x2
	buffer_load_dword v209, off, s[0:3], 0 offset:876
	buffer_load_dword v148, off, s[0:3], 0 offset:852
	;; [unrolled: 1-line block ×3, first 2 shown]
	s_waitcnt vmcnt(57)
	v_fma_f64 v[215:216], v[137:138], v[151:152], -v[211:212]
	ds_read_b128 v[2:5], v1 offset:1664
	v_fma_f64 v[145:146], v[139:140], v[151:152], v[145:146]
	s_clause 0x4
	buffer_load_dword v152, off, s[0:3], 0 offset:892
	buffer_load_dword v212, off, s[0:3], 0 offset:904
	;; [unrolled: 1-line block ×5, first 2 shown]
	s_waitcnt vmcnt(56)
	v_fma_f64 v[149:150], v[141:142], v[159:160], -v[149:150]
	ds_read_b128 v[137:140], v1 offset:1680
	v_fma_f64 v[159:160], v[143:144], v[159:160], v[213:214]
	v_add_f64 v[204:205], v[204:205], 0
	v_add_f64 v[6:7], v[6:7], 0
	s_waitcnt lgkmcnt(1)
	v_mul_f64 v[218:219], v[2:3], v[153:154]
	v_mul_f64 v[153:154], v[4:5], v[153:154]
	v_add_f64 v[204:205], v[204:205], v[215:216]
	v_add_f64 v[6:7], v[6:7], v[145:146]
	s_clause 0x2
	buffer_load_dword v213, off, s[0:3], 0 offset:908
	buffer_load_dword v146, off, s[0:3], 0 offset:884
	;; [unrolled: 1-line block ×3, first 2 shown]
	s_waitcnt vmcnt(58) lgkmcnt(0)
	v_mul_f64 v[214:215], v[137:138], v[155:156]
	v_mul_f64 v[155:156], v[139:140], v[155:156]
	s_waitcnt vmcnt(56)
	v_fma_f64 v[153:154], v[2:3], v[161:162], -v[153:154]
	ds_read_b128 v[141:144], v1 offset:1696
	v_fma_f64 v[161:162], v[4:5], v[161:162], v[218:219]
	v_add_f64 v[149:150], v[204:205], v[149:150]
	v_add_f64 v[6:7], v[6:7], v[159:160]
	s_clause 0x4
	buffer_load_dword v160, off, s[0:3], 0 offset:924
	buffer_load_dword v204, off, s[0:3], 0 offset:936
	;; [unrolled: 1-line block ×5, first 2 shown]
	ds_read_b128 v[2:5], v1 offset:1712
	s_waitcnt vmcnt(57) lgkmcnt(1)
	v_mul_f64 v[220:221], v[141:142], v[163:164]
	v_mul_f64 v[163:164], v[143:144], v[163:164]
	s_waitcnt vmcnt(56)
	v_fma_f64 v[155:156], v[137:138], v[157:158], -v[155:156]
	v_add_f64 v[149:150], v[149:150], v[153:154]
	v_fma_f64 v[153:154], v[139:140], v[157:158], v[214:215]
	v_add_f64 v[6:7], v[6:7], v[161:162]
	s_clause 0x2
	buffer_load_dword v205, off, s[0:3], 0 offset:940
	buffer_load_dword v158, off, s[0:3], 0 offset:916
	;; [unrolled: 1-line block ×3, first 2 shown]
	s_waitcnt vmcnt(58) lgkmcnt(0)
	v_mul_f64 v[161:162], v[2:3], v[165:166]
	v_mul_f64 v[165:166], v[4:5], v[165:166]
	s_waitcnt vmcnt(56)
	v_fma_f64 v[163:164], v[141:142], v[169:170], -v[163:164]
	ds_read_b128 v[137:140], v1 offset:1728
	v_add_f64 v[149:150], v[149:150], v[155:156]
	v_fma_f64 v[155:156], v[143:144], v[169:170], v[220:221]
	v_add_f64 v[6:7], v[6:7], v[153:154]
	s_clause 0x4
	buffer_load_dword v154, off, s[0:3], 0 offset:956
	buffer_load_dword v169, off, s[0:3], 0 offset:968
	buffer_load_dword v214, off, s[0:3], 0 offset:960
	buffer_load_dword v153, off, s[0:3], 0 offset:952
	buffer_load_dword v220, off, s[0:3], 0 offset:932
	ds_read_b128 v[141:144], v1 offset:1744
	s_waitcnt vmcnt(57) lgkmcnt(1)
	v_mul_f64 v[215:216], v[137:138], v[171:172]
	v_mul_f64 v[171:172], v[139:140], v[171:172]
	s_waitcnt vmcnt(56)
	v_fma_f64 v[165:166], v[2:3], v[167:168], -v[165:166]
	v_fma_f64 v[161:162], v[4:5], v[167:168], v[161:162]
	v_add_f64 v[149:150], v[149:150], v[163:164]
	v_add_f64 v[6:7], v[6:7], v[155:156]
	s_clause 0x2
	buffer_load_dword v170, off, s[0:3], 0 offset:972
	buffer_load_dword v156, off, s[0:3], 0 offset:948
	;; [unrolled: 1-line block ×3, first 2 shown]
	s_waitcnt vmcnt(58) lgkmcnt(0)
	v_mul_f64 v[167:168], v[143:144], v[173:174]
	ds_read_b128 v[2:5], v1 offset:1760
	s_waitcnt vmcnt(56)
	v_fma_f64 v[171:172], v[137:138], v[177:178], -v[171:172]
	v_mul_f64 v[163:164], v[141:142], v[173:174]
	v_add_f64 v[149:150], v[149:150], v[165:166]
	v_fma_f64 v[165:166], v[139:140], v[177:178], v[215:216]
	v_add_f64 v[6:7], v[6:7], v[161:162]
	s_clause 0x4
	buffer_load_dword v162, off, s[0:3], 0 offset:988
	buffer_load_dword v173, off, s[0:3], 0 offset:1000
	;; [unrolled: 1-line block ×5, first 2 shown]
	s_waitcnt vmcnt(57) lgkmcnt(0)
	v_mul_f64 v[221:222], v[2:3], v[179:180]
	v_mul_f64 v[178:179], v[4:5], v[179:180]
	s_waitcnt vmcnt(56)
	v_fma_f64 v[167:168], v[141:142], v[175:176], -v[167:168]
	ds_read_b128 v[137:140], v1 offset:1776
	v_fma_f64 v[163:164], v[143:144], v[175:176], v[163:164]
	v_add_f64 v[149:150], v[149:150], v[171:172]
	v_add_f64 v[6:7], v[6:7], v[165:166]
	s_clause 0x2
	buffer_load_dword v174, off, s[0:3], 0 offset:1004
	buffer_load_dword v166, off, s[0:3], 0 offset:980
	;; [unrolled: 1-line block ×3, first 2 shown]
	ds_read_b128 v[141:144], v1 offset:1792
	s_waitcnt vmcnt(58) lgkmcnt(1)
	v_mul_f64 v[175:176], v[139:140], v[181:182]
	s_waitcnt vmcnt(56)
	v_fma_f64 v[179:180], v[2:3], v[185:186], -v[178:179]
	v_mul_f64 v[171:172], v[137:138], v[181:182]
	v_add_f64 v[149:150], v[149:150], v[167:168]
	v_fma_f64 v[167:168], v[4:5], v[185:186], v[221:222]
	v_add_f64 v[6:7], v[6:7], v[163:164]
	s_clause 0x4
	buffer_load_dword v164, off, s[0:3], 0 offset:1020
	buffer_load_dword v181, off, s[0:3], 0 offset:1032
	;; [unrolled: 1-line block ×5, first 2 shown]
	s_waitcnt vmcnt(57) lgkmcnt(0)
	v_mul_f64 v[221:222], v[141:142], v[187:188]
	v_mul_f64 v[186:187], v[143:144], v[187:188]
	s_waitcnt vmcnt(56)
	v_fma_f64 v[175:176], v[137:138], v[183:184], -v[175:176]
	ds_read_b128 v[2:5], v1 offset:1808
	v_fma_f64 v[171:172], v[139:140], v[183:184], v[171:172]
	v_add_f64 v[149:150], v[149:150], v[179:180]
	v_add_f64 v[6:7], v[6:7], v[167:168]
	s_clause 0x2
	buffer_load_dword v182, off, s[0:3], 0 offset:1036
	buffer_load_dword v168, off, s[0:3], 0 offset:1012
	;; [unrolled: 1-line block ×3, first 2 shown]
	ds_read_b128 v[137:140], v1 offset:1824
	s_waitcnt vmcnt(58) lgkmcnt(1)
	v_mul_f64 v[183:184], v[4:5], v[189:190]
	s_waitcnt vmcnt(56)
	v_fma_f64 v[187:188], v[141:142], v[193:194], -v[186:187]
	v_mul_f64 v[179:180], v[2:3], v[189:190]
	buffer_load_dword v186, off, s[0:3], 0 offset:1028
	v_add_f64 v[149:150], v[149:150], v[175:176]
	v_fma_f64 v[175:176], v[143:144], v[193:194], v[221:222]
	v_add_f64 v[6:7], v[6:7], v[171:172]
	ds_read_b128 v[141:144], v1 offset:1840
	s_waitcnt vmcnt(53) lgkmcnt(1)
	v_mul_f64 v[189:190], v[139:140], v[195:196]
	s_waitcnt vmcnt(52)
	v_fma_f64 v[183:184], v[2:3], v[191:192], -v[183:184]
	v_mul_f64 v[171:172], v[137:138], v[195:196]
	v_fma_f64 v[179:180], v[4:5], v[191:192], v[179:180]
	ds_read_b128 v[2:5], v1 offset:1856
	v_add_f64 v[149:150], v[149:150], v[187:188]
	s_waitcnt vmcnt(51) lgkmcnt(1)
	v_mul_f64 v[187:188], v[143:144], v[198:199]
	v_add_f64 v[6:7], v[6:7], v[175:176]
	v_mul_f64 v[175:176], v[141:142], v[198:199]
	s_waitcnt vmcnt(49)
	v_fma_f64 v[189:190], v[137:138], v[202:203], -v[189:190]
	v_fma_f64 v[171:172], v[139:140], v[202:203], v[171:172]
	s_waitcnt vmcnt(45) lgkmcnt(0)
	v_mul_f64 v[193:194], v[4:5], v[206:207]
	v_mul_f64 v[191:192], v[2:3], v[206:207]
	v_add_f64 v[149:150], v[149:150], v[183:184]
	s_waitcnt vmcnt(44)
	v_fma_f64 v[187:188], v[141:142], v[200:201], -v[187:188]
	v_add_f64 v[6:7], v[6:7], v[179:180]
	s_clause 0x3
	buffer_load_dword v179, off, s[0:3], 0 offset:592
	buffer_load_dword v180, off, s[0:3], 0 offset:596
	;; [unrolled: 1-line block ×4, first 2 shown]
	ds_read_b128 v[137:140], v1 offset:1872
	v_fma_f64 v[175:176], v[143:144], v[200:201], v[175:176]
	ds_read_b128 v[141:144], v1 offset:1888
	v_add_f64 v[149:150], v[149:150], v[189:190]
	v_add_f64 v[6:7], v[6:7], v[171:172]
	s_waitcnt vmcnt(47) lgkmcnt(1)
	v_mul_f64 v[189:190], v[139:140], v[208:209]
	v_mul_f64 v[171:172], v[137:138], v[208:209]
	s_waitcnt vmcnt(45)
	v_fma_f64 v[193:194], v[2:3], v[147:148], -v[193:194]
	v_fma_f64 v[147:148], v[4:5], v[147:148], v[191:192]
	ds_read_b128 v[2:5], v1 offset:1904
	v_add_f64 v[149:150], v[149:150], v[187:188]
	v_add_f64 v[6:7], v[6:7], v[175:176]
	s_waitcnt vmcnt(41) lgkmcnt(1)
	v_mul_f64 v[175:176], v[141:142], v[151:152]
	v_mul_f64 v[151:152], v[143:144], v[151:152]
	s_waitcnt vmcnt(40)
	v_fma_f64 v[187:188], v[137:138], v[210:211], -v[189:190]
	;; [unrolled: 9-line block ×7, first 2 shown]
	v_fma_f64 v[147:148], v[4:5], v[155:156], v[147:148]
	ds_read_b128 v[2:5], v1 offset:2000
	v_add_f64 v[149:150], v[149:150], v[151:152]
	v_add_f64 v[6:7], v[6:7], v[145:146]
	s_waitcnt vmcnt(17) lgkmcnt(1)
	v_mul_f64 v[151:152], v[143:144], v[161:162]
	s_waitcnt vmcnt(16)
	v_fma_f64 v[155:156], v[137:138], v[214:215], -v[159:160]
	v_mul_f64 v[145:146], v[141:142], v[161:162]
	v_add_f64 v[149:150], v[149:150], v[153:154]
	v_fma_f64 v[153:154], v[139:140], v[214:215], v[157:158]
	v_add_f64 v[6:7], v[6:7], v[147:148]
	ds_read_b128 v[137:140], v1 offset:2016
	s_waitcnt vmcnt(15) lgkmcnt(1)
	v_mul_f64 v[157:158], v[4:5], v[173:174]
	v_mul_f64 v[147:148], v[2:3], v[173:174]
	s_waitcnt vmcnt(13)
	v_fma_f64 v[151:152], v[141:142], v[165:166], -v[151:152]
	v_fma_f64 v[145:146], v[143:144], v[165:166], v[145:146]
	ds_read_b128 v[141:144], v1 offset:2032
	v_add_f64 v[149:150], v[149:150], v[155:156]
	v_add_f64 v[6:7], v[6:7], v[153:154]
	s_waitcnt vmcnt(9) lgkmcnt(1)
	v_mul_f64 v[155:156], v[139:140], v[163:164]
	s_waitcnt vmcnt(8)
	v_fma_f64 v[2:3], v[2:3], v[177:178], -v[157:158]
	v_mul_f64 v[153:154], v[137:138], v[163:164]
	v_fma_f64 v[4:5], v[4:5], v[177:178], v[147:148]
	v_add_f64 v[149:150], v[149:150], v[151:152]
	v_add_f64 v[6:7], v[6:7], v[145:146]
	s_waitcnt vmcnt(7) lgkmcnt(0)
	v_mul_f64 v[147:148], v[143:144], v[181:182]
	v_mul_f64 v[145:146], v[141:142], v[181:182]
	s_waitcnt vmcnt(5)
	v_fma_f64 v[137:138], v[137:138], v[167:168], -v[155:156]
	v_fma_f64 v[139:140], v[139:140], v[167:168], v[153:154]
	v_add_f64 v[2:3], v[149:150], v[2:3]
	v_add_f64 v[4:5], v[6:7], v[4:5]
	s_waitcnt vmcnt(4)
	v_fma_f64 v[6:7], v[141:142], v[185:186], -v[147:148]
	v_add_f64 v[2:3], v[2:3], v[137:138]
	v_fma_f64 v[137:138], v[143:144], v[185:186], v[145:146]
	v_add_f64 v[4:5], v[4:5], v[139:140]
	v_add_f64 v[2:3], v[2:3], v[6:7]
	;; [unrolled: 1-line block ×3, first 2 shown]
	s_waitcnt vmcnt(2)
	v_add_f64 v[2:3], v[179:180], -v[2:3]
	s_waitcnt vmcnt(0)
	v_add_f64 v[4:5], v[183:184], -v[4:5]
	buffer_store_dword v3, off, s[0:3], 0 offset:596
	buffer_store_dword v2, off, s[0:3], 0 offset:592
	;; [unrolled: 1-line block ×4, first 2 shown]
	v_cmpx_lt_u32_e32 35, v0
	s_cbranch_execz .LBB127_339
; %bb.338:
	v_mov_b32_e32 v5, s14
	s_clause 0x3
	buffer_load_dword v2, v5, s[0:3], 0 offen
	buffer_load_dword v3, v5, s[0:3], 0 offen offset:4
	buffer_load_dword v4, v5, s[0:3], 0 offen offset:8
	;; [unrolled: 1-line block ×3, first 2 shown]
	buffer_store_dword v1, off, s[0:3], 0 offset:576
	buffer_store_dword v1, off, s[0:3], 0 offset:580
	;; [unrolled: 1-line block ×4, first 2 shown]
	s_waitcnt vmcnt(0)
	ds_write_b128 v197, v[2:5]
.LBB127_339:
	s_or_b32 exec_lo, exec_lo, s4
	s_waitcnt lgkmcnt(0)
	s_waitcnt_vscnt null, 0x0
	s_barrier
	buffer_gl0_inv
	s_clause 0x37
	buffer_load_dword v6, off, s[0:3], 0 offset:600
	buffer_load_dword v7, off, s[0:3], 0 offset:604
	;; [unrolled: 1-line block ×56, first 2 shown]
	ds_read_b128 v[2:5], v1 offset:1600
	s_clause 0x2
	buffer_load_dword v199, off, s[0:3], 0 offset:828
	buffer_load_dword v203, off, s[0:3], 0 offset:804
	;; [unrolled: 1-line block ×3, first 2 shown]
	ds_read_b128 v[137:140], v1 offset:1616
	s_clause 0x4
	buffer_load_dword v207, off, s[0:3], 0 offset:844
	buffer_load_dword v208, off, s[0:3], 0 offset:856
	;; [unrolled: 1-line block ×5, first 2 shown]
	ds_read_b128 v[141:144], v1 offset:1632
	s_mov_b32 s4, exec_lo
	s_waitcnt vmcnt(62) lgkmcnt(2)
	v_mul_f64 v[204:205], v[4:5], v[6:7]
	v_mul_f64 v[6:7], v[2:3], v[6:7]
	s_waitcnt vmcnt(60) lgkmcnt(1)
	v_mul_f64 v[211:212], v[139:140], v[145:146]
	v_mul_f64 v[145:146], v[137:138], v[145:146]
	;; [unrolled: 3-line block ×3, first 2 shown]
	v_fma_f64 v[204:205], v[2:3], v[147:148], -v[204:205]
	v_fma_f64 v[6:7], v[4:5], v[147:148], v[6:7]
	s_clause 0x2
	buffer_load_dword v209, off, s[0:3], 0 offset:860
	buffer_load_dword v148, off, s[0:3], 0 offset:836
	buffer_load_dword v147, off, s[0:3], 0 offset:832
	s_waitcnt vmcnt(57)
	v_fma_f64 v[215:216], v[137:138], v[151:152], -v[211:212]
	ds_read_b128 v[2:5], v1 offset:1648
	v_fma_f64 v[145:146], v[139:140], v[151:152], v[145:146]
	s_clause 0x4
	buffer_load_dword v152, off, s[0:3], 0 offset:876
	buffer_load_dword v212, off, s[0:3], 0 offset:888
	;; [unrolled: 1-line block ×5, first 2 shown]
	s_waitcnt vmcnt(56)
	v_fma_f64 v[149:150], v[141:142], v[159:160], -v[149:150]
	ds_read_b128 v[137:140], v1 offset:1664
	v_fma_f64 v[159:160], v[143:144], v[159:160], v[213:214]
	v_add_f64 v[204:205], v[204:205], 0
	v_add_f64 v[6:7], v[6:7], 0
	s_waitcnt lgkmcnt(1)
	v_mul_f64 v[218:219], v[2:3], v[153:154]
	v_mul_f64 v[153:154], v[4:5], v[153:154]
	v_add_f64 v[204:205], v[204:205], v[215:216]
	v_add_f64 v[6:7], v[6:7], v[145:146]
	s_clause 0x2
	buffer_load_dword v213, off, s[0:3], 0 offset:892
	buffer_load_dword v146, off, s[0:3], 0 offset:868
	;; [unrolled: 1-line block ×3, first 2 shown]
	s_waitcnt vmcnt(58) lgkmcnt(0)
	v_mul_f64 v[214:215], v[137:138], v[155:156]
	v_mul_f64 v[155:156], v[139:140], v[155:156]
	s_waitcnt vmcnt(56)
	v_fma_f64 v[153:154], v[2:3], v[161:162], -v[153:154]
	ds_read_b128 v[141:144], v1 offset:1680
	v_fma_f64 v[161:162], v[4:5], v[161:162], v[218:219]
	v_add_f64 v[149:150], v[204:205], v[149:150]
	v_add_f64 v[6:7], v[6:7], v[159:160]
	s_clause 0x4
	buffer_load_dword v160, off, s[0:3], 0 offset:908
	buffer_load_dword v204, off, s[0:3], 0 offset:920
	;; [unrolled: 1-line block ×5, first 2 shown]
	ds_read_b128 v[2:5], v1 offset:1696
	s_waitcnt vmcnt(57) lgkmcnt(1)
	v_mul_f64 v[220:221], v[141:142], v[163:164]
	v_mul_f64 v[163:164], v[143:144], v[163:164]
	s_waitcnt vmcnt(56)
	v_fma_f64 v[155:156], v[137:138], v[157:158], -v[155:156]
	v_add_f64 v[149:150], v[149:150], v[153:154]
	v_fma_f64 v[153:154], v[139:140], v[157:158], v[214:215]
	v_add_f64 v[6:7], v[6:7], v[161:162]
	s_clause 0x2
	buffer_load_dword v205, off, s[0:3], 0 offset:924
	buffer_load_dword v158, off, s[0:3], 0 offset:900
	buffer_load_dword v157, off, s[0:3], 0 offset:896
	s_waitcnt vmcnt(58) lgkmcnt(0)
	v_mul_f64 v[161:162], v[2:3], v[165:166]
	v_mul_f64 v[165:166], v[4:5], v[165:166]
	s_waitcnt vmcnt(56)
	v_fma_f64 v[163:164], v[141:142], v[169:170], -v[163:164]
	ds_read_b128 v[137:140], v1 offset:1712
	v_add_f64 v[149:150], v[149:150], v[155:156]
	v_fma_f64 v[155:156], v[143:144], v[169:170], v[220:221]
	v_add_f64 v[6:7], v[6:7], v[153:154]
	s_clause 0x4
	buffer_load_dword v154, off, s[0:3], 0 offset:940
	buffer_load_dword v169, off, s[0:3], 0 offset:952
	;; [unrolled: 1-line block ×5, first 2 shown]
	ds_read_b128 v[141:144], v1 offset:1728
	s_waitcnt vmcnt(57) lgkmcnt(1)
	v_mul_f64 v[215:216], v[137:138], v[171:172]
	v_mul_f64 v[171:172], v[139:140], v[171:172]
	s_waitcnt vmcnt(56)
	v_fma_f64 v[165:166], v[2:3], v[167:168], -v[165:166]
	v_fma_f64 v[161:162], v[4:5], v[167:168], v[161:162]
	v_add_f64 v[149:150], v[149:150], v[163:164]
	v_add_f64 v[6:7], v[6:7], v[155:156]
	s_clause 0x2
	buffer_load_dword v170, off, s[0:3], 0 offset:956
	buffer_load_dword v156, off, s[0:3], 0 offset:932
	;; [unrolled: 1-line block ×3, first 2 shown]
	s_waitcnt vmcnt(58) lgkmcnt(0)
	v_mul_f64 v[167:168], v[143:144], v[173:174]
	ds_read_b128 v[2:5], v1 offset:1744
	s_waitcnt vmcnt(56)
	v_fma_f64 v[171:172], v[137:138], v[177:178], -v[171:172]
	v_mul_f64 v[163:164], v[141:142], v[173:174]
	v_add_f64 v[149:150], v[149:150], v[165:166]
	v_fma_f64 v[165:166], v[139:140], v[177:178], v[215:216]
	v_add_f64 v[6:7], v[6:7], v[161:162]
	s_clause 0x4
	buffer_load_dword v162, off, s[0:3], 0 offset:972
	buffer_load_dword v173, off, s[0:3], 0 offset:984
	;; [unrolled: 1-line block ×5, first 2 shown]
	s_waitcnt vmcnt(57) lgkmcnt(0)
	v_mul_f64 v[221:222], v[2:3], v[179:180]
	v_mul_f64 v[178:179], v[4:5], v[179:180]
	s_waitcnt vmcnt(56)
	v_fma_f64 v[167:168], v[141:142], v[175:176], -v[167:168]
	ds_read_b128 v[137:140], v1 offset:1760
	v_fma_f64 v[163:164], v[143:144], v[175:176], v[163:164]
	v_add_f64 v[149:150], v[149:150], v[171:172]
	v_add_f64 v[6:7], v[6:7], v[165:166]
	s_clause 0x2
	buffer_load_dword v174, off, s[0:3], 0 offset:988
	buffer_load_dword v166, off, s[0:3], 0 offset:964
	buffer_load_dword v165, off, s[0:3], 0 offset:960
	ds_read_b128 v[141:144], v1 offset:1776
	s_waitcnt vmcnt(58) lgkmcnt(1)
	v_mul_f64 v[175:176], v[139:140], v[181:182]
	s_waitcnt vmcnt(56)
	v_fma_f64 v[179:180], v[2:3], v[185:186], -v[178:179]
	v_mul_f64 v[171:172], v[137:138], v[181:182]
	v_add_f64 v[149:150], v[149:150], v[167:168]
	v_fma_f64 v[167:168], v[4:5], v[185:186], v[221:222]
	v_add_f64 v[6:7], v[6:7], v[163:164]
	s_clause 0x4
	buffer_load_dword v164, off, s[0:3], 0 offset:1004
	buffer_load_dword v181, off, s[0:3], 0 offset:1016
	;; [unrolled: 1-line block ×5, first 2 shown]
	s_waitcnt vmcnt(57) lgkmcnt(0)
	v_mul_f64 v[221:222], v[141:142], v[187:188]
	v_mul_f64 v[186:187], v[143:144], v[187:188]
	s_waitcnt vmcnt(56)
	v_fma_f64 v[175:176], v[137:138], v[183:184], -v[175:176]
	ds_read_b128 v[2:5], v1 offset:1792
	v_fma_f64 v[171:172], v[139:140], v[183:184], v[171:172]
	v_add_f64 v[149:150], v[149:150], v[179:180]
	v_add_f64 v[6:7], v[6:7], v[167:168]
	s_clause 0x2
	buffer_load_dword v182, off, s[0:3], 0 offset:1020
	buffer_load_dword v168, off, s[0:3], 0 offset:996
	;; [unrolled: 1-line block ×3, first 2 shown]
	ds_read_b128 v[137:140], v1 offset:1808
	s_waitcnt vmcnt(58) lgkmcnt(1)
	v_mul_f64 v[183:184], v[4:5], v[189:190]
	s_waitcnt vmcnt(56)
	v_fma_f64 v[187:188], v[141:142], v[193:194], -v[186:187]
	v_mul_f64 v[179:180], v[2:3], v[189:190]
	v_add_f64 v[149:150], v[149:150], v[175:176]
	v_fma_f64 v[175:176], v[143:144], v[193:194], v[221:222]
	v_add_f64 v[6:7], v[6:7], v[171:172]
	s_clause 0x2
	buffer_load_dword v172, off, s[0:3], 0 offset:1036
	buffer_load_dword v171, off, s[0:3], 0 offset:1032
	;; [unrolled: 1-line block ×3, first 2 shown]
	s_waitcnt vmcnt(55) lgkmcnt(0)
	v_mul_f64 v[193:194], v[139:140], v[195:196]
	s_waitcnt vmcnt(54)
	v_fma_f64 v[183:184], v[2:3], v[191:192], -v[183:184]
	ds_read_b128 v[141:144], v1 offset:1824
	v_mul_f64 v[189:190], v[137:138], v[195:196]
	v_fma_f64 v[179:180], v[4:5], v[191:192], v[179:180]
	v_add_f64 v[149:150], v[149:150], v[187:188]
	v_add_f64 v[6:7], v[6:7], v[175:176]
	s_clause 0x1
	buffer_load_dword v176, off, s[0:3], 0 offset:1028
	buffer_load_dword v175, off, s[0:3], 0 offset:1024
	s_waitcnt vmcnt(55) lgkmcnt(0)
	v_mul_f64 v[191:192], v[143:144], v[198:199]
	s_waitcnt vmcnt(53)
	v_fma_f64 v[193:194], v[137:138], v[202:203], -v[193:194]
	ds_read_b128 v[2:5], v1 offset:1840
	v_mul_f64 v[187:188], v[141:142], v[198:199]
	v_add_f64 v[149:150], v[149:150], v[183:184]
	v_fma_f64 v[183:184], v[139:140], v[202:203], v[189:190]
	v_add_f64 v[6:7], v[6:7], v[179:180]
	ds_read_b128 v[137:140], v1 offset:1856
	s_waitcnt vmcnt(49) lgkmcnt(1)
	v_mul_f64 v[189:190], v[4:5], v[206:207]
	s_waitcnt vmcnt(48)
	v_fma_f64 v[191:192], v[141:142], v[200:201], -v[191:192]
	v_mul_f64 v[179:180], v[2:3], v[206:207]
	v_fma_f64 v[187:188], v[143:144], v[200:201], v[187:188]
	v_add_f64 v[149:150], v[149:150], v[193:194]
	v_add_f64 v[6:7], v[6:7], v[183:184]
	s_clause 0x3
	buffer_load_dword v183, off, s[0:3], 0 offset:576
	buffer_load_dword v184, off, s[0:3], 0 offset:580
	;; [unrolled: 1-line block ×4, first 2 shown]
	ds_read_b128 v[141:144], v1 offset:1872
	s_waitcnt vmcnt(51) lgkmcnt(1)
	v_mul_f64 v[198:199], v[139:140], v[208:209]
	v_mul_f64 v[195:196], v[137:138], v[208:209]
	s_waitcnt vmcnt(49)
	v_fma_f64 v[189:190], v[2:3], v[147:148], -v[189:190]
	v_fma_f64 v[147:148], v[4:5], v[147:148], v[179:180]
	ds_read_b128 v[2:5], v1 offset:1888
	v_add_f64 v[149:150], v[149:150], v[191:192]
	v_add_f64 v[6:7], v[6:7], v[187:188]
	s_waitcnt vmcnt(45) lgkmcnt(1)
	v_mul_f64 v[179:180], v[141:142], v[151:152]
	v_mul_f64 v[151:152], v[143:144], v[151:152]
	s_waitcnt vmcnt(44)
	v_fma_f64 v[187:188], v[137:138], v[210:211], -v[198:199]
	v_add_f64 v[149:150], v[149:150], v[189:190]
	v_fma_f64 v[189:190], v[139:140], v[210:211], v[195:196]
	v_add_f64 v[6:7], v[6:7], v[147:148]
	ds_read_b128 v[137:140], v1 offset:1904
	s_waitcnt vmcnt(43) lgkmcnt(1)
	v_mul_f64 v[191:192], v[4:5], v[212:213]
	v_mul_f64 v[147:148], v[2:3], v[212:213]
	s_waitcnt vmcnt(41)
	v_fma_f64 v[151:152], v[141:142], v[145:146], -v[151:152]
	v_fma_f64 v[145:146], v[143:144], v[145:146], v[179:180]
	ds_read_b128 v[141:144], v1 offset:1920
	v_add_f64 v[149:150], v[149:150], v[187:188]
	v_add_f64 v[6:7], v[6:7], v[189:190]
	s_waitcnt vmcnt(37) lgkmcnt(1)
	v_mul_f64 v[179:180], v[137:138], v[159:160]
	v_mul_f64 v[159:160], v[139:140], v[159:160]
	s_waitcnt vmcnt(36)
	v_fma_f64 v[187:188], v[2:3], v[217:218], -v[191:192]
	v_fma_f64 v[147:148], v[4:5], v[217:218], v[147:148]
	ds_read_b128 v[2:5], v1 offset:1936
	v_add_f64 v[149:150], v[149:150], v[151:152]
	v_add_f64 v[6:7], v[6:7], v[145:146]
	;; [unrolled: 9-line block ×5, first 2 shown]
	s_waitcnt vmcnt(21) lgkmcnt(1)
	v_mul_f64 v[151:152], v[143:144], v[161:162]
	s_waitcnt vmcnt(20)
	v_fma_f64 v[155:156], v[137:138], v[214:215], -v[159:160]
	v_mul_f64 v[145:146], v[141:142], v[161:162]
	v_add_f64 v[149:150], v[149:150], v[153:154]
	v_fma_f64 v[153:154], v[139:140], v[214:215], v[157:158]
	v_add_f64 v[6:7], v[6:7], v[147:148]
	ds_read_b128 v[137:140], v1 offset:2000
	s_waitcnt vmcnt(19) lgkmcnt(1)
	v_mul_f64 v[157:158], v[4:5], v[173:174]
	v_mul_f64 v[147:148], v[2:3], v[173:174]
	s_waitcnt vmcnt(17)
	v_fma_f64 v[151:152], v[141:142], v[165:166], -v[151:152]
	v_fma_f64 v[145:146], v[143:144], v[165:166], v[145:146]
	ds_read_b128 v[141:144], v1 offset:2016
	v_add_f64 v[149:150], v[149:150], v[155:156]
	v_add_f64 v[6:7], v[6:7], v[153:154]
	s_waitcnt vmcnt(13) lgkmcnt(1)
	v_mul_f64 v[155:156], v[139:140], v[163:164]
	s_waitcnt vmcnt(12)
	v_fma_f64 v[157:158], v[2:3], v[177:178], -v[157:158]
	v_mul_f64 v[153:154], v[137:138], v[163:164]
	v_fma_f64 v[147:148], v[4:5], v[177:178], v[147:148]
	ds_read_b128 v[1:4], v1 offset:2032
	v_add_f64 v[149:150], v[149:150], v[151:152]
	v_add_f64 v[5:6], v[6:7], v[145:146]
	s_waitcnt vmcnt(11) lgkmcnt(1)
	v_mul_f64 v[145:146], v[143:144], v[181:182]
	v_mul_f64 v[7:8], v[141:142], v[181:182]
	s_waitcnt vmcnt(9)
	v_fma_f64 v[137:138], v[137:138], v[167:168], -v[155:156]
	v_fma_f64 v[139:140], v[139:140], v[167:168], v[153:154]
	v_add_f64 v[149:150], v[149:150], v[157:158]
	v_add_f64 v[5:6], v[5:6], v[147:148]
	s_waitcnt vmcnt(7) lgkmcnt(0)
	v_mul_f64 v[151:152], v[3:4], v[171:172]
	s_waitcnt vmcnt(6)
	v_fma_f64 v[141:142], v[141:142], v[185:186], -v[145:146]
	v_mul_f64 v[147:148], v[1:2], v[171:172]
	v_fma_f64 v[7:8], v[143:144], v[185:186], v[7:8]
	v_add_f64 v[137:138], v[149:150], v[137:138]
	v_add_f64 v[5:6], v[5:6], v[139:140]
	s_waitcnt vmcnt(4)
	v_fma_f64 v[1:2], v[1:2], v[175:176], -v[151:152]
	v_fma_f64 v[3:4], v[3:4], v[175:176], v[147:148]
	v_add_f64 v[137:138], v[137:138], v[141:142]
	v_add_f64 v[5:6], v[5:6], v[7:8]
	;; [unrolled: 1-line block ×4, first 2 shown]
	s_waitcnt vmcnt(2)
	v_add_f64 v[1:2], v[183:184], -v[1:2]
	s_waitcnt vmcnt(0)
	v_add_f64 v[3:4], v[193:194], -v[3:4]
	buffer_store_dword v2, off, s[0:3], 0 offset:580
	buffer_store_dword v1, off, s[0:3], 0 offset:576
	;; [unrolled: 1-line block ×4, first 2 shown]
	v_cmpx_lt_u32_e32 34, v0
	s_cbranch_execz .LBB127_341
; %bb.340:
	v_mov_b32_e32 v4, s15
	v_mov_b32_e32 v5, 0
	s_clause 0x3
	buffer_load_dword v1, v4, s[0:3], 0 offen
	buffer_load_dword v2, v4, s[0:3], 0 offen offset:4
	buffer_load_dword v3, v4, s[0:3], 0 offen offset:8
	;; [unrolled: 1-line block ×3, first 2 shown]
	buffer_store_dword v5, off, s[0:3], 0 offset:560
	buffer_store_dword v5, off, s[0:3], 0 offset:564
	;; [unrolled: 1-line block ×4, first 2 shown]
	s_waitcnt vmcnt(0)
	ds_write_b128 v197, v[1:4]
.LBB127_341:
	s_or_b32 exec_lo, exec_lo, s4
	s_waitcnt lgkmcnt(0)
	s_waitcnt_vscnt null, 0x0
	s_barrier
	buffer_gl0_inv
	s_clause 0x37
	buffer_load_dword v7, off, s[0:3], 0 offset:584
	buffer_load_dword v8, off, s[0:3], 0 offset:588
	buffer_load_dword v5, off, s[0:3], 0 offset:600
	buffer_load_dword v6, off, s[0:3], 0 offset:604
	buffer_load_dword v137, off, s[0:3], 0 offset:576
	buffer_load_dword v138, off, s[0:3], 0 offset:580
	buffer_load_dword v3, off, s[0:3], 0 offset:616
	buffer_load_dword v4, off, s[0:3], 0 offset:620
	buffer_load_dword v1, off, s[0:3], 0 offset:592
	buffer_load_dword v2, off, s[0:3], 0 offset:596
	buffer_load_dword v153, off, s[0:3], 0 offset:636
	buffer_load_dword v154, off, s[0:3], 0 offset:648
	buffer_load_dword v156, off, s[0:3], 0 offset:640
	buffer_load_dword v152, off, s[0:3], 0 offset:632
	buffer_load_dword v158, off, s[0:3], 0 offset:608
	buffer_load_dword v159, off, s[0:3], 0 offset:612
	buffer_load_dword v155, off, s[0:3], 0 offset:652
	buffer_load_dword v161, off, s[0:3], 0 offset:628
	buffer_load_dword v160, off, s[0:3], 0 offset:624
	buffer_load_dword v163, off, s[0:3], 0 offset:668
	buffer_load_dword v164, off, s[0:3], 0 offset:680
	buffer_load_dword v166, off, s[0:3], 0 offset:672
	buffer_load_dword v162, off, s[0:3], 0 offset:664
	buffer_load_dword v157, off, s[0:3], 0 offset:644
	buffer_load_dword v165, off, s[0:3], 0 offset:684
	buffer_load_dword v169, off, s[0:3], 0 offset:660
	buffer_load_dword v168, off, s[0:3], 0 offset:656
	buffer_load_dword v171, off, s[0:3], 0 offset:700
	buffer_load_dword v172, off, s[0:3], 0 offset:712
	buffer_load_dword v174, off, s[0:3], 0 offset:704
	buffer_load_dword v170, off, s[0:3], 0 offset:696
	buffer_load_dword v167, off, s[0:3], 0 offset:676
	buffer_load_dword v173, off, s[0:3], 0 offset:716
	buffer_load_dword v177, off, s[0:3], 0 offset:692
	buffer_load_dword v176, off, s[0:3], 0 offset:688
	buffer_load_dword v179, off, s[0:3], 0 offset:732
	buffer_load_dword v180, off, s[0:3], 0 offset:744
	buffer_load_dword v182, off, s[0:3], 0 offset:736
	buffer_load_dword v178, off, s[0:3], 0 offset:728
	buffer_load_dword v175, off, s[0:3], 0 offset:708
	buffer_load_dword v181, off, s[0:3], 0 offset:748
	buffer_load_dword v185, off, s[0:3], 0 offset:724
	buffer_load_dword v184, off, s[0:3], 0 offset:720
	buffer_load_dword v187, off, s[0:3], 0 offset:764
	buffer_load_dword v188, off, s[0:3], 0 offset:776
	buffer_load_dword v190, off, s[0:3], 0 offset:768
	buffer_load_dword v186, off, s[0:3], 0 offset:760
	buffer_load_dword v183, off, s[0:3], 0 offset:740
	buffer_load_dword v189, off, s[0:3], 0 offset:780
	buffer_load_dword v193, off, s[0:3], 0 offset:756
	buffer_load_dword v192, off, s[0:3], 0 offset:752
	buffer_load_dword v195, off, s[0:3], 0 offset:796
	buffer_load_dword v198, off, s[0:3], 0 offset:808
	buffer_load_dword v200, off, s[0:3], 0 offset:800
	buffer_load_dword v194, off, s[0:3], 0 offset:792
	buffer_load_dword v191, off, s[0:3], 0 offset:772
	v_mov_b32_e32 v139, 0
	s_mov_b32 s4, exec_lo
	ds_read_b128 v[140:143], v139 offset:1584
	s_clause 0x2
	buffer_load_dword v199, off, s[0:3], 0 offset:812
	buffer_load_dword v203, off, s[0:3], 0 offset:788
	;; [unrolled: 1-line block ×3, first 2 shown]
	ds_read_b128 v[144:147], v139 offset:1600
	s_clause 0x4
	buffer_load_dword v207, off, s[0:3], 0 offset:828
	buffer_load_dword v208, off, s[0:3], 0 offset:840
	;; [unrolled: 1-line block ×5, first 2 shown]
	ds_read_b128 v[148:151], v139 offset:1616
	s_clause 0x2
	buffer_load_dword v209, off, s[0:3], 0 offset:844
	buffer_load_dword v214, off, s[0:3], 0 offset:820
	;; [unrolled: 1-line block ×3, first 2 shown]
	s_waitcnt vmcnt(62) lgkmcnt(2)
	v_mul_f64 v[204:205], v[142:143], v[7:8]
	v_mul_f64 v[7:8], v[140:141], v[7:8]
	s_waitcnt lgkmcnt(1)
	v_mul_f64 v[211:212], v[146:147], v[5:6]
	s_waitcnt vmcnt(59) lgkmcnt(0)
	v_mul_f64 v[215:216], v[150:151], v[3:4]
	v_fma_f64 v[140:141], v[140:141], v[137:138], -v[204:205]
	v_mul_f64 v[204:205], v[144:145], v[5:6]
	v_fma_f64 v[137:138], v[142:143], v[137:138], v[7:8]
	s_waitcnt vmcnt(57)
	v_fma_f64 v[144:145], v[144:145], v[1:2], -v[211:212]
	ds_read_b128 v[5:8], v139 offset:1632
	v_mul_f64 v[142:143], v[148:149], v[3:4]
	s_waitcnt vmcnt(51)
	v_fma_f64 v[148:149], v[148:149], v[158:159], -v[215:216]
	v_add_f64 v[140:141], v[140:141], 0
	v_fma_f64 v[146:147], v[146:147], v[1:2], v[204:205]
	v_add_f64 v[137:138], v[137:138], 0
	s_clause 0x4
	buffer_load_dword v205, off, s[0:3], 0 offset:860
	buffer_load_dword v217, off, s[0:3], 0 offset:872
	;; [unrolled: 1-line block ×5, first 2 shown]
	s_waitcnt lgkmcnt(0)
	v_mul_f64 v[220:221], v[5:6], v[152:153]
	v_mul_f64 v[152:153], v[7:8], v[152:153]
	ds_read_b128 v[1:4], v139 offset:1648
	v_fma_f64 v[150:151], v[150:151], v[158:159], v[142:143]
	v_add_f64 v[144:145], v[140:141], v[144:145]
	v_add_f64 v[137:138], v[137:138], v[146:147]
	s_clause 0x2
	buffer_load_dword v218, off, s[0:3], 0 offset:876
	buffer_load_dword v147, off, s[0:3], 0 offset:852
	;; [unrolled: 1-line block ×3, first 2 shown]
	s_waitcnt vmcnt(58) lgkmcnt(0)
	v_mul_f64 v[158:159], v[1:2], v[154:155]
	v_mul_f64 v[154:155], v[3:4], v[154:155]
	s_waitcnt vmcnt(56)
	v_fma_f64 v[152:153], v[5:6], v[160:161], -v[152:153]
	ds_read_b128 v[140:143], v139 offset:1664
	v_add_f64 v[144:145], v[144:145], v[148:149]
	v_fma_f64 v[148:149], v[7:8], v[160:161], v[220:221]
	v_add_f64 v[137:138], v[137:138], v[150:151]
	s_clause 0x4
	buffer_load_dword v151, off, s[0:3], 0 offset:892
	buffer_load_dword v160, off, s[0:3], 0 offset:904
	;; [unrolled: 1-line block ×5, first 2 shown]
	ds_read_b128 v[5:8], v139 offset:1680
	s_waitcnt vmcnt(57) lgkmcnt(1)
	v_mul_f64 v[221:222], v[140:141], v[162:163]
	v_mul_f64 v[162:163], v[142:143], v[162:163]
	s_waitcnt vmcnt(56)
	v_fma_f64 v[154:155], v[1:2], v[156:157], -v[154:155]
	v_add_f64 v[144:145], v[144:145], v[152:153]
	v_fma_f64 v[152:153], v[3:4], v[156:157], v[158:159]
	v_add_f64 v[137:138], v[137:138], v[148:149]
	s_clause 0x2
	buffer_load_dword v161, off, s[0:3], 0 offset:908
	buffer_load_dword v149, off, s[0:3], 0 offset:884
	;; [unrolled: 1-line block ×3, first 2 shown]
	s_waitcnt vmcnt(58) lgkmcnt(0)
	v_mul_f64 v[158:159], v[7:8], v[164:165]
	ds_read_b128 v[1:4], v139 offset:1696
	s_waitcnt vmcnt(56)
	v_fma_f64 v[162:163], v[140:141], v[168:169], -v[162:163]
	v_mul_f64 v[156:157], v[5:6], v[164:165]
	v_add_f64 v[144:145], v[144:145], v[154:155]
	v_fma_f64 v[154:155], v[142:143], v[168:169], v[221:222]
	v_add_f64 v[137:138], v[137:138], v[152:153]
	s_clause 0x4
	buffer_load_dword v153, off, s[0:3], 0 offset:924
	buffer_load_dword v164, off, s[0:3], 0 offset:936
	buffer_load_dword v168, off, s[0:3], 0 offset:928
	buffer_load_dword v152, off, s[0:3], 0 offset:920
	buffer_load_dword v216, off, s[0:3], 0 offset:900
	s_waitcnt vmcnt(57) lgkmcnt(0)
	v_mul_f64 v[221:222], v[1:2], v[170:171]
	v_mul_f64 v[169:170], v[3:4], v[170:171]
	s_waitcnt vmcnt(56)
	v_fma_f64 v[158:159], v[5:6], v[166:167], -v[158:159]
	ds_read_b128 v[140:143], v139 offset:1712
	v_fma_f64 v[156:157], v[7:8], v[166:167], v[156:157]
	v_add_f64 v[144:145], v[144:145], v[162:163]
	v_add_f64 v[137:138], v[137:138], v[154:155]
	s_clause 0x2
	buffer_load_dword v165, off, s[0:3], 0 offset:940
	buffer_load_dword v155, off, s[0:3], 0 offset:916
	buffer_load_dword v154, off, s[0:3], 0 offset:912
	ds_read_b128 v[5:8], v139 offset:1728
	s_waitcnt vmcnt(58) lgkmcnt(1)
	v_mul_f64 v[166:167], v[142:143], v[172:173]
	s_waitcnt vmcnt(56)
	v_fma_f64 v[170:171], v[1:2], v[176:177], -v[169:170]
	v_mul_f64 v[162:163], v[140:141], v[172:173]
	v_add_f64 v[144:145], v[144:145], v[158:159]
	v_fma_f64 v[158:159], v[3:4], v[176:177], v[221:222]
	v_add_f64 v[137:138], v[137:138], v[156:157]
	s_clause 0x4
	buffer_load_dword v157, off, s[0:3], 0 offset:956
	buffer_load_dword v172, off, s[0:3], 0 offset:968
	buffer_load_dword v176, off, s[0:3], 0 offset:960
	buffer_load_dword v156, off, s[0:3], 0 offset:952
	buffer_load_dword v169, off, s[0:3], 0 offset:932
	s_waitcnt vmcnt(57) lgkmcnt(0)
	v_mul_f64 v[221:222], v[5:6], v[178:179]
	v_mul_f64 v[177:178], v[7:8], v[178:179]
	s_waitcnt vmcnt(56)
	v_fma_f64 v[166:167], v[140:141], v[174:175], -v[166:167]
	ds_read_b128 v[1:4], v139 offset:1744
	v_fma_f64 v[162:163], v[142:143], v[174:175], v[162:163]
	v_add_f64 v[144:145], v[144:145], v[170:171]
	v_add_f64 v[137:138], v[137:138], v[158:159]
	s_clause 0x2
	buffer_load_dword v173, off, s[0:3], 0 offset:972
	buffer_load_dword v159, off, s[0:3], 0 offset:948
	buffer_load_dword v158, off, s[0:3], 0 offset:944
	ds_read_b128 v[140:143], v139 offset:1760
	s_waitcnt vmcnt(58) lgkmcnt(1)
	v_mul_f64 v[174:175], v[3:4], v[180:181]
	;; [unrolled: 28-line block ×4, first 2 shown]
	s_waitcnt vmcnt(56)
	v_fma_f64 v[194:195], v[1:2], v[202:203], -v[193:194]
	v_mul_f64 v[186:187], v[140:141], v[198:199]
	buffer_load_dword v193, off, s[0:3], 0 offset:1028
	v_add_f64 v[144:145], v[144:145], v[182:183]
	v_fma_f64 v[182:183], v[3:4], v[202:203], v[221:222]
	v_add_f64 v[137:138], v[137:138], v[178:179]
	ds_read_b128 v[1:4], v139 offset:1840
	s_waitcnt vmcnt(53) lgkmcnt(1)
	v_mul_f64 v[198:199], v[7:8], v[206:207]
	s_waitcnt vmcnt(52)
	v_fma_f64 v[190:191], v[140:141], v[200:201], -v[190:191]
	v_mul_f64 v[178:179], v[5:6], v[206:207]
	v_fma_f64 v[186:187], v[142:143], v[200:201], v[186:187]
	ds_read_b128 v[140:143], v139 offset:1856
	v_add_f64 v[144:145], v[144:145], v[194:195]
	s_waitcnt vmcnt(51) lgkmcnt(1)
	v_mul_f64 v[194:195], v[3:4], v[208:209]
	v_add_f64 v[137:138], v[137:138], v[182:183]
	v_mul_f64 v[182:183], v[1:2], v[208:209]
	s_waitcnt vmcnt(49)
	v_fma_f64 v[198:199], v[5:6], v[213:214], -v[198:199]
	v_fma_f64 v[178:179], v[7:8], v[213:214], v[178:179]
	v_add_f64 v[144:145], v[144:145], v[190:191]
	v_add_f64 v[137:138], v[137:138], v[186:187]
	s_clause 0x3
	buffer_load_dword v186, off, s[0:3], 0 offset:560
	buffer_load_dword v187, off, s[0:3], 0 offset:564
	;; [unrolled: 1-line block ×4, first 2 shown]
	ds_read_b128 v[5:8], v139 offset:1872
	s_waitcnt vmcnt(49) lgkmcnt(1)
	v_mul_f64 v[202:203], v[142:143], v[204:205]
	s_waitcnt vmcnt(48)
	v_fma_f64 v[194:195], v[1:2], v[210:211], -v[194:195]
	v_mul_f64 v[200:201], v[140:141], v[204:205]
	v_fma_f64 v[182:183], v[3:4], v[210:211], v[182:183]
	ds_read_b128 v[1:4], v139 offset:1888
	v_add_f64 v[144:145], v[144:145], v[198:199]
	v_add_f64 v[137:138], v[137:138], v[178:179]
	s_waitcnt vmcnt(47) lgkmcnt(1)
	v_mul_f64 v[198:199], v[7:8], v[217:218]
	v_mul_f64 v[178:179], v[5:6], v[217:218]
	s_waitcnt vmcnt(45)
	v_fma_f64 v[202:203], v[140:141], v[146:147], -v[202:203]
	v_fma_f64 v[146:147], v[142:143], v[146:147], v[200:201]
	ds_read_b128 v[140:143], v139 offset:1904
	v_add_f64 v[144:145], v[144:145], v[194:195]
	v_add_f64 v[137:138], v[137:138], v[182:183]
	s_waitcnt vmcnt(41) lgkmcnt(1)
	v_mul_f64 v[182:183], v[1:2], v[150:151]
	v_mul_f64 v[150:151], v[3:4], v[150:151]
	s_waitcnt vmcnt(40)
	v_fma_f64 v[194:195], v[5:6], v[219:220], -v[198:199]
	;; [unrolled: 9-line block ×7, first 2 shown]
	v_fma_f64 v[146:147], v[142:143], v[158:159], v[146:147]
	ds_read_b128 v[140:143], v139 offset:2000
	v_add_f64 v[144:145], v[144:145], v[150:151]
	v_add_f64 v[137:138], v[137:138], v[148:149]
	s_waitcnt vmcnt(17) lgkmcnt(1)
	v_mul_f64 v[150:151], v[3:4], v[162:163]
	s_waitcnt vmcnt(16)
	v_fma_f64 v[154:155], v[5:6], v[176:177], -v[154:155]
	v_mul_f64 v[148:149], v[1:2], v[162:163]
	v_fma_f64 v[152:153], v[7:8], v[176:177], v[152:153]
	ds_read_b128 v[5:8], v139 offset:2016
	v_add_f64 v[144:145], v[144:145], v[156:157]
	v_add_f64 v[137:138], v[137:138], v[146:147]
	s_waitcnt vmcnt(15) lgkmcnt(1)
	v_mul_f64 v[156:157], v[142:143], v[180:181]
	v_mul_f64 v[146:147], v[140:141], v[180:181]
	s_waitcnt vmcnt(13)
	v_fma_f64 v[150:151], v[1:2], v[166:167], -v[150:151]
	v_fma_f64 v[148:149], v[3:4], v[166:167], v[148:149]
	ds_read_b128 v[1:4], v139 offset:2032
	v_add_f64 v[144:145], v[144:145], v[154:155]
	v_add_f64 v[137:138], v[137:138], v[152:153]
	s_waitcnt vmcnt(9) lgkmcnt(1)
	v_mul_f64 v[154:155], v[7:8], v[170:171]
	s_waitcnt vmcnt(8)
	v_fma_f64 v[140:141], v[140:141], v[184:185], -v[156:157]
	v_mul_f64 v[152:153], v[5:6], v[170:171]
	v_fma_f64 v[142:143], v[142:143], v[184:185], v[146:147]
	v_add_f64 v[144:145], v[144:145], v[150:151]
	v_add_f64 v[137:138], v[137:138], v[148:149]
	s_waitcnt vmcnt(7) lgkmcnt(0)
	v_mul_f64 v[148:149], v[3:4], v[188:189]
	v_mul_f64 v[146:147], v[1:2], v[188:189]
	s_waitcnt vmcnt(5)
	v_fma_f64 v[5:6], v[5:6], v[174:175], -v[154:155]
	v_fma_f64 v[7:8], v[7:8], v[174:175], v[152:153]
	v_add_f64 v[140:141], v[144:145], v[140:141]
	v_add_f64 v[137:138], v[137:138], v[142:143]
	s_waitcnt vmcnt(4)
	v_fma_f64 v[1:2], v[1:2], v[192:193], -v[148:149]
	v_fma_f64 v[3:4], v[3:4], v[192:193], v[146:147]
	v_add_f64 v[5:6], v[140:141], v[5:6]
	v_add_f64 v[7:8], v[137:138], v[7:8]
	;; [unrolled: 1-line block ×4, first 2 shown]
	s_waitcnt vmcnt(2)
	v_add_f64 v[1:2], v[186:187], -v[1:2]
	s_waitcnt vmcnt(0)
	v_add_f64 v[3:4], v[190:191], -v[3:4]
	buffer_store_dword v2, off, s[0:3], 0 offset:564
	buffer_store_dword v1, off, s[0:3], 0 offset:560
	;; [unrolled: 1-line block ×4, first 2 shown]
	v_cmpx_lt_u32_e32 33, v0
	s_cbranch_execz .LBB127_343
; %bb.342:
	v_mov_b32_e32 v4, s45
	s_clause 0x3
	buffer_load_dword v1, v4, s[0:3], 0 offen
	buffer_load_dword v2, v4, s[0:3], 0 offen offset:4
	buffer_load_dword v3, v4, s[0:3], 0 offen offset:8
	;; [unrolled: 1-line block ×3, first 2 shown]
	buffer_store_dword v139, off, s[0:3], 0 offset:544
	buffer_store_dword v139, off, s[0:3], 0 offset:548
	;; [unrolled: 1-line block ×4, first 2 shown]
	s_waitcnt vmcnt(0)
	ds_write_b128 v197, v[1:4]
.LBB127_343:
	s_or_b32 exec_lo, exec_lo, s4
	s_waitcnt lgkmcnt(0)
	s_waitcnt_vscnt null, 0x0
	s_barrier
	buffer_gl0_inv
	s_clause 0x37
	buffer_load_dword v137, off, s[0:3], 0 offset:568
	buffer_load_dword v138, off, s[0:3], 0 offset:572
	;; [unrolled: 1-line block ×56, first 2 shown]
	ds_read_b128 v[140:143], v139 offset:1568
	s_clause 0x2
	buffer_load_dword v199, off, s[0:3], 0 offset:796
	buffer_load_dword v203, off, s[0:3], 0 offset:772
	;; [unrolled: 1-line block ×3, first 2 shown]
	ds_read_b128 v[144:147], v139 offset:1584
	s_clause 0x4
	buffer_load_dword v207, off, s[0:3], 0 offset:812
	buffer_load_dword v208, off, s[0:3], 0 offset:824
	;; [unrolled: 1-line block ×5, first 2 shown]
	ds_read_b128 v[148:151], v139 offset:1600
	s_clause 0x2
	buffer_load_dword v209, off, s[0:3], 0 offset:828
	buffer_load_dword v214, off, s[0:3], 0 offset:804
	;; [unrolled: 1-line block ×3, first 2 shown]
	s_mov_b32 s4, exec_lo
	s_waitcnt vmcnt(62) lgkmcnt(2)
	v_mul_f64 v[204:205], v[142:143], v[137:138]
	v_mul_f64 v[137:138], v[140:141], v[137:138]
	s_waitcnt lgkmcnt(1)
	v_mul_f64 v[211:212], v[146:147], v[5:6]
	s_waitcnt vmcnt(59) lgkmcnt(0)
	v_mul_f64 v[215:216], v[150:151], v[3:4]
	v_fma_f64 v[140:141], v[140:141], v[7:8], -v[204:205]
	v_mul_f64 v[204:205], v[144:145], v[5:6]
	v_fma_f64 v[137:138], v[142:143], v[7:8], v[137:138]
	s_waitcnt vmcnt(57)
	v_fma_f64 v[144:145], v[144:145], v[1:2], -v[211:212]
	ds_read_b128 v[5:8], v139 offset:1616
	v_mul_f64 v[142:143], v[148:149], v[3:4]
	s_waitcnt vmcnt(51)
	v_fma_f64 v[148:149], v[148:149], v[158:159], -v[215:216]
	v_add_f64 v[140:141], v[140:141], 0
	v_fma_f64 v[146:147], v[146:147], v[1:2], v[204:205]
	v_add_f64 v[137:138], v[137:138], 0
	s_clause 0x4
	buffer_load_dword v205, off, s[0:3], 0 offset:844
	buffer_load_dword v217, off, s[0:3], 0 offset:856
	;; [unrolled: 1-line block ×5, first 2 shown]
	s_waitcnt lgkmcnt(0)
	v_mul_f64 v[220:221], v[5:6], v[152:153]
	v_mul_f64 v[152:153], v[7:8], v[152:153]
	ds_read_b128 v[1:4], v139 offset:1632
	v_fma_f64 v[150:151], v[150:151], v[158:159], v[142:143]
	v_add_f64 v[144:145], v[140:141], v[144:145]
	v_add_f64 v[137:138], v[137:138], v[146:147]
	s_clause 0x2
	buffer_load_dword v218, off, s[0:3], 0 offset:860
	buffer_load_dword v147, off, s[0:3], 0 offset:836
	;; [unrolled: 1-line block ×3, first 2 shown]
	s_waitcnt vmcnt(58) lgkmcnt(0)
	v_mul_f64 v[158:159], v[1:2], v[154:155]
	v_mul_f64 v[154:155], v[3:4], v[154:155]
	s_waitcnt vmcnt(56)
	v_fma_f64 v[152:153], v[5:6], v[160:161], -v[152:153]
	ds_read_b128 v[140:143], v139 offset:1648
	v_add_f64 v[144:145], v[144:145], v[148:149]
	v_fma_f64 v[148:149], v[7:8], v[160:161], v[220:221]
	v_add_f64 v[137:138], v[137:138], v[150:151]
	s_clause 0x4
	buffer_load_dword v151, off, s[0:3], 0 offset:876
	buffer_load_dword v160, off, s[0:3], 0 offset:888
	;; [unrolled: 1-line block ×5, first 2 shown]
	ds_read_b128 v[5:8], v139 offset:1664
	s_waitcnt vmcnt(57) lgkmcnt(1)
	v_mul_f64 v[221:222], v[140:141], v[162:163]
	v_mul_f64 v[162:163], v[142:143], v[162:163]
	s_waitcnt vmcnt(56)
	v_fma_f64 v[154:155], v[1:2], v[156:157], -v[154:155]
	v_add_f64 v[144:145], v[144:145], v[152:153]
	v_fma_f64 v[152:153], v[3:4], v[156:157], v[158:159]
	v_add_f64 v[137:138], v[137:138], v[148:149]
	s_clause 0x2
	buffer_load_dword v161, off, s[0:3], 0 offset:892
	buffer_load_dword v149, off, s[0:3], 0 offset:868
	;; [unrolled: 1-line block ×3, first 2 shown]
	s_waitcnt vmcnt(58) lgkmcnt(0)
	v_mul_f64 v[158:159], v[7:8], v[164:165]
	ds_read_b128 v[1:4], v139 offset:1680
	s_waitcnt vmcnt(56)
	v_fma_f64 v[162:163], v[140:141], v[168:169], -v[162:163]
	v_mul_f64 v[156:157], v[5:6], v[164:165]
	v_add_f64 v[144:145], v[144:145], v[154:155]
	v_fma_f64 v[154:155], v[142:143], v[168:169], v[221:222]
	v_add_f64 v[137:138], v[137:138], v[152:153]
	s_clause 0x4
	buffer_load_dword v153, off, s[0:3], 0 offset:908
	buffer_load_dword v164, off, s[0:3], 0 offset:920
	buffer_load_dword v168, off, s[0:3], 0 offset:912
	buffer_load_dword v152, off, s[0:3], 0 offset:904
	buffer_load_dword v216, off, s[0:3], 0 offset:884
	s_waitcnt vmcnt(57) lgkmcnt(0)
	v_mul_f64 v[221:222], v[1:2], v[170:171]
	v_mul_f64 v[169:170], v[3:4], v[170:171]
	s_waitcnt vmcnt(56)
	v_fma_f64 v[158:159], v[5:6], v[166:167], -v[158:159]
	ds_read_b128 v[140:143], v139 offset:1696
	v_fma_f64 v[156:157], v[7:8], v[166:167], v[156:157]
	v_add_f64 v[144:145], v[144:145], v[162:163]
	v_add_f64 v[137:138], v[137:138], v[154:155]
	s_clause 0x2
	buffer_load_dword v165, off, s[0:3], 0 offset:924
	buffer_load_dword v155, off, s[0:3], 0 offset:900
	buffer_load_dword v154, off, s[0:3], 0 offset:896
	ds_read_b128 v[5:8], v139 offset:1712
	s_waitcnt vmcnt(58) lgkmcnt(1)
	v_mul_f64 v[166:167], v[142:143], v[172:173]
	s_waitcnt vmcnt(56)
	v_fma_f64 v[170:171], v[1:2], v[176:177], -v[169:170]
	v_mul_f64 v[162:163], v[140:141], v[172:173]
	v_add_f64 v[144:145], v[144:145], v[158:159]
	v_fma_f64 v[158:159], v[3:4], v[176:177], v[221:222]
	v_add_f64 v[137:138], v[137:138], v[156:157]
	s_clause 0x4
	buffer_load_dword v157, off, s[0:3], 0 offset:940
	buffer_load_dword v172, off, s[0:3], 0 offset:952
	buffer_load_dword v176, off, s[0:3], 0 offset:944
	buffer_load_dword v156, off, s[0:3], 0 offset:936
	buffer_load_dword v169, off, s[0:3], 0 offset:916
	s_waitcnt vmcnt(57) lgkmcnt(0)
	v_mul_f64 v[221:222], v[5:6], v[178:179]
	v_mul_f64 v[177:178], v[7:8], v[178:179]
	s_waitcnt vmcnt(56)
	v_fma_f64 v[166:167], v[140:141], v[174:175], -v[166:167]
	ds_read_b128 v[1:4], v139 offset:1728
	v_fma_f64 v[162:163], v[142:143], v[174:175], v[162:163]
	v_add_f64 v[144:145], v[144:145], v[170:171]
	v_add_f64 v[137:138], v[137:138], v[158:159]
	s_clause 0x2
	buffer_load_dword v173, off, s[0:3], 0 offset:956
	buffer_load_dword v159, off, s[0:3], 0 offset:932
	buffer_load_dword v158, off, s[0:3], 0 offset:928
	ds_read_b128 v[140:143], v139 offset:1744
	s_waitcnt vmcnt(58) lgkmcnt(1)
	v_mul_f64 v[174:175], v[3:4], v[180:181]
	s_waitcnt vmcnt(56)
	v_fma_f64 v[178:179], v[5:6], v[184:185], -v[177:178]
	v_mul_f64 v[170:171], v[1:2], v[180:181]
	v_add_f64 v[144:145], v[144:145], v[166:167]
	v_fma_f64 v[166:167], v[7:8], v[184:185], v[221:222]
	v_add_f64 v[137:138], v[137:138], v[162:163]
	s_clause 0x4
	buffer_load_dword v163, off, s[0:3], 0 offset:972
	buffer_load_dword v180, off, s[0:3], 0 offset:984
	buffer_load_dword v184, off, s[0:3], 0 offset:976
	buffer_load_dword v162, off, s[0:3], 0 offset:968
	buffer_load_dword v177, off, s[0:3], 0 offset:948
	s_waitcnt vmcnt(57) lgkmcnt(0)
	v_mul_f64 v[221:222], v[140:141], v[186:187]
	v_mul_f64 v[185:186], v[142:143], v[186:187]
	s_waitcnt vmcnt(56)
	v_fma_f64 v[174:175], v[1:2], v[182:183], -v[174:175]
	ds_read_b128 v[5:8], v139 offset:1760
	v_fma_f64 v[170:171], v[3:4], v[182:183], v[170:171]
	v_add_f64 v[144:145], v[144:145], v[178:179]
	v_add_f64 v[137:138], v[137:138], v[166:167]
	s_clause 0x2
	buffer_load_dword v181, off, s[0:3], 0 offset:988
	buffer_load_dword v167, off, s[0:3], 0 offset:964
	buffer_load_dword v166, off, s[0:3], 0 offset:960
	ds_read_b128 v[1:4], v139 offset:1776
	s_waitcnt vmcnt(58) lgkmcnt(1)
	v_mul_f64 v[182:183], v[7:8], v[188:189]
	s_waitcnt vmcnt(56)
	v_fma_f64 v[186:187], v[140:141], v[192:193], -v[185:186]
	v_mul_f64 v[178:179], v[5:6], v[188:189]
	v_add_f64 v[144:145], v[144:145], v[174:175]
	v_fma_f64 v[174:175], v[142:143], v[192:193], v[221:222]
	v_add_f64 v[137:138], v[137:138], v[170:171]
	s_clause 0x4
	buffer_load_dword v171, off, s[0:3], 0 offset:1004
	buffer_load_dword v188, off, s[0:3], 0 offset:1016
	buffer_load_dword v192, off, s[0:3], 0 offset:1008
	buffer_load_dword v170, off, s[0:3], 0 offset:1000
	buffer_load_dword v185, off, s[0:3], 0 offset:980
	s_waitcnt vmcnt(57) lgkmcnt(0)
	v_mul_f64 v[221:222], v[1:2], v[194:195]
	v_mul_f64 v[193:194], v[3:4], v[194:195]
	s_waitcnt vmcnt(56)
	v_fma_f64 v[182:183], v[5:6], v[190:191], -v[182:183]
	ds_read_b128 v[140:143], v139 offset:1792
	v_fma_f64 v[178:179], v[7:8], v[190:191], v[178:179]
	v_add_f64 v[144:145], v[144:145], v[186:187]
	v_add_f64 v[137:138], v[137:138], v[174:175]
	s_clause 0x2
	buffer_load_dword v189, off, s[0:3], 0 offset:1020
	buffer_load_dword v175, off, s[0:3], 0 offset:996
	buffer_load_dword v174, off, s[0:3], 0 offset:992
	ds_read_b128 v[5:8], v139 offset:1808
	s_waitcnt vmcnt(58) lgkmcnt(1)
	v_mul_f64 v[190:191], v[142:143], v[198:199]
	s_waitcnt vmcnt(56)
	v_fma_f64 v[194:195], v[1:2], v[202:203], -v[193:194]
	v_mul_f64 v[186:187], v[140:141], v[198:199]
	v_add_f64 v[144:145], v[144:145], v[182:183]
	v_fma_f64 v[182:183], v[3:4], v[202:203], v[221:222]
	v_add_f64 v[137:138], v[137:138], v[178:179]
	s_clause 0x2
	buffer_load_dword v179, off, s[0:3], 0 offset:1036
	buffer_load_dword v178, off, s[0:3], 0 offset:1032
	;; [unrolled: 1-line block ×3, first 2 shown]
	s_waitcnt vmcnt(55) lgkmcnt(0)
	v_mul_f64 v[202:203], v[7:8], v[206:207]
	s_waitcnt vmcnt(54)
	v_fma_f64 v[190:191], v[140:141], v[200:201], -v[190:191]
	ds_read_b128 v[1:4], v139 offset:1824
	v_mul_f64 v[198:199], v[5:6], v[206:207]
	v_fma_f64 v[186:187], v[142:143], v[200:201], v[186:187]
	v_add_f64 v[144:145], v[144:145], v[194:195]
	v_add_f64 v[137:138], v[137:138], v[182:183]
	s_clause 0x1
	buffer_load_dword v183, off, s[0:3], 0 offset:1028
	buffer_load_dword v182, off, s[0:3], 0 offset:1024
	s_waitcnt vmcnt(55) lgkmcnt(0)
	v_mul_f64 v[200:201], v[3:4], v[208:209]
	s_waitcnt vmcnt(53)
	v_fma_f64 v[202:203], v[5:6], v[213:214], -v[202:203]
	ds_read_b128 v[140:143], v139 offset:1840
	v_mul_f64 v[194:195], v[1:2], v[208:209]
	v_add_f64 v[144:145], v[144:145], v[190:191]
	v_fma_f64 v[190:191], v[7:8], v[213:214], v[198:199]
	v_add_f64 v[137:138], v[137:138], v[186:187]
	ds_read_b128 v[5:8], v139 offset:1856
	s_waitcnt vmcnt(49) lgkmcnt(1)
	v_mul_f64 v[198:199], v[142:143], v[204:205]
	s_waitcnt vmcnt(48)
	v_fma_f64 v[200:201], v[1:2], v[210:211], -v[200:201]
	v_mul_f64 v[186:187], v[140:141], v[204:205]
	v_fma_f64 v[194:195], v[3:4], v[210:211], v[194:195]
	v_add_f64 v[144:145], v[144:145], v[202:203]
	v_add_f64 v[137:138], v[137:138], v[190:191]
	s_clause 0x3
	buffer_load_dword v190, off, s[0:3], 0 offset:544
	buffer_load_dword v191, off, s[0:3], 0 offset:548
	;; [unrolled: 1-line block ×4, first 2 shown]
	ds_read_b128 v[1:4], v139 offset:1872
	s_waitcnt vmcnt(51) lgkmcnt(1)
	v_mul_f64 v[206:207], v[7:8], v[217:218]
	v_mul_f64 v[204:205], v[5:6], v[217:218]
	s_waitcnt vmcnt(49)
	v_fma_f64 v[198:199], v[140:141], v[146:147], -v[198:199]
	v_fma_f64 v[146:147], v[142:143], v[146:147], v[186:187]
	ds_read_b128 v[140:143], v139 offset:1888
	v_add_f64 v[144:145], v[144:145], v[200:201]
	v_add_f64 v[137:138], v[137:138], v[194:195]
	s_waitcnt vmcnt(45) lgkmcnt(1)
	v_mul_f64 v[186:187], v[1:2], v[150:151]
	v_mul_f64 v[150:151], v[3:4], v[150:151]
	s_waitcnt vmcnt(44)
	v_fma_f64 v[194:195], v[5:6], v[219:220], -v[206:207]
	v_add_f64 v[144:145], v[144:145], v[198:199]
	v_fma_f64 v[198:199], v[7:8], v[219:220], v[204:205]
	v_add_f64 v[137:138], v[137:138], v[146:147]
	ds_read_b128 v[5:8], v139 offset:1904
	s_waitcnt vmcnt(43) lgkmcnt(1)
	v_mul_f64 v[146:147], v[140:141], v[160:161]
	v_mul_f64 v[160:161], v[142:143], v[160:161]
	s_waitcnt vmcnt(41)
	v_fma_f64 v[150:151], v[1:2], v[148:149], -v[150:151]
	v_fma_f64 v[148:149], v[3:4], v[148:149], v[186:187]
	ds_read_b128 v[1:4], v139 offset:1920
	v_add_f64 v[144:145], v[144:145], v[194:195]
	v_add_f64 v[137:138], v[137:138], v[198:199]
	s_waitcnt vmcnt(37) lgkmcnt(1)
	v_mul_f64 v[186:187], v[5:6], v[152:153]
	v_mul_f64 v[152:153], v[7:8], v[152:153]
	s_waitcnt vmcnt(36)
	v_fma_f64 v[160:161], v[140:141], v[215:216], -v[160:161]
	v_fma_f64 v[146:147], v[142:143], v[215:216], v[146:147]
	ds_read_b128 v[140:143], v139 offset:1936
	v_add_f64 v[144:145], v[144:145], v[150:151]
	v_add_f64 v[137:138], v[137:138], v[148:149]
	;; [unrolled: 9-line block ×5, first 2 shown]
	s_waitcnt vmcnt(21) lgkmcnt(1)
	v_mul_f64 v[150:151], v[3:4], v[162:163]
	s_waitcnt vmcnt(20)
	v_fma_f64 v[154:155], v[5:6], v[176:177], -v[154:155]
	v_mul_f64 v[148:149], v[1:2], v[162:163]
	v_fma_f64 v[152:153], v[7:8], v[176:177], v[152:153]
	ds_read_b128 v[5:8], v139 offset:2000
	v_add_f64 v[144:145], v[144:145], v[156:157]
	v_add_f64 v[137:138], v[137:138], v[146:147]
	s_waitcnt vmcnt(19) lgkmcnt(1)
	v_mul_f64 v[156:157], v[142:143], v[180:181]
	v_mul_f64 v[146:147], v[140:141], v[180:181]
	s_waitcnt vmcnt(17)
	v_fma_f64 v[150:151], v[1:2], v[166:167], -v[150:151]
	v_fma_f64 v[148:149], v[3:4], v[166:167], v[148:149]
	ds_read_b128 v[1:4], v139 offset:2016
	v_add_f64 v[144:145], v[144:145], v[154:155]
	v_add_f64 v[137:138], v[137:138], v[152:153]
	s_waitcnt vmcnt(13) lgkmcnt(1)
	v_mul_f64 v[154:155], v[7:8], v[170:171]
	s_waitcnt vmcnt(12)
	v_fma_f64 v[156:157], v[140:141], v[184:185], -v[156:157]
	v_mul_f64 v[152:153], v[5:6], v[170:171]
	v_fma_f64 v[141:142], v[142:143], v[184:185], v[146:147]
	v_add_f64 v[144:145], v[144:145], v[150:151]
	v_add_f64 v[146:147], v[137:138], v[148:149]
	ds_read_b128 v[137:140], v139 offset:2032
	s_waitcnt vmcnt(11) lgkmcnt(1)
	v_mul_f64 v[150:151], v[3:4], v[188:189]
	v_mul_f64 v[148:149], v[1:2], v[188:189]
	s_waitcnt vmcnt(9)
	v_fma_f64 v[5:6], v[5:6], v[174:175], -v[154:155]
	v_fma_f64 v[7:8], v[7:8], v[174:175], v[152:153]
	v_add_f64 v[143:144], v[144:145], v[156:157]
	v_add_f64 v[141:142], v[146:147], v[141:142]
	s_waitcnt vmcnt(7) lgkmcnt(0)
	v_mul_f64 v[152:153], v[139:140], v[178:179]
	s_waitcnt vmcnt(6)
	v_fma_f64 v[1:2], v[1:2], v[192:193], -v[150:151]
	v_mul_f64 v[145:146], v[137:138], v[178:179]
	v_fma_f64 v[3:4], v[3:4], v[192:193], v[148:149]
	v_add_f64 v[5:6], v[143:144], v[5:6]
	v_add_f64 v[7:8], v[141:142], v[7:8]
	s_waitcnt vmcnt(4)
	v_fma_f64 v[137:138], v[137:138], v[182:183], -v[152:153]
	v_add_f64 v[1:2], v[5:6], v[1:2]
	v_fma_f64 v[5:6], v[139:140], v[182:183], v[145:146]
	v_add_f64 v[3:4], v[7:8], v[3:4]
	v_add_f64 v[1:2], v[1:2], v[137:138]
	;; [unrolled: 1-line block ×3, first 2 shown]
	s_waitcnt vmcnt(2)
	v_add_f64 v[1:2], v[190:191], -v[1:2]
	s_waitcnt vmcnt(0)
	v_add_f64 v[3:4], v[202:203], -v[3:4]
	buffer_store_dword v2, off, s[0:3], 0 offset:548
	buffer_store_dword v1, off, s[0:3], 0 offset:544
	;; [unrolled: 1-line block ×4, first 2 shown]
	v_cmpx_lt_u32_e32 32, v0
	s_cbranch_execz .LBB127_345
; %bb.344:
	v_mov_b32_e32 v4, s46
	v_mov_b32_e32 v5, 0
	s_clause 0x3
	buffer_load_dword v1, v4, s[0:3], 0 offen
	buffer_load_dword v2, v4, s[0:3], 0 offen offset:4
	buffer_load_dword v3, v4, s[0:3], 0 offen offset:8
	;; [unrolled: 1-line block ×3, first 2 shown]
	buffer_store_dword v5, off, s[0:3], 0 offset:528
	buffer_store_dword v5, off, s[0:3], 0 offset:532
	;; [unrolled: 1-line block ×4, first 2 shown]
	s_waitcnt vmcnt(0)
	ds_write_b128 v197, v[1:4]
.LBB127_345:
	s_or_b32 exec_lo, exec_lo, s4
	s_waitcnt lgkmcnt(0)
	s_waitcnt_vscnt null, 0x0
	s_barrier
	buffer_gl0_inv
	s_clause 0x37
	buffer_load_dword v137, off, s[0:3], 0 offset:552
	buffer_load_dword v138, off, s[0:3], 0 offset:556
	;; [unrolled: 1-line block ×56, first 2 shown]
	v_mov_b32_e32 v159, 0
	s_mov_b32 s4, exec_lo
	ds_read_b128 v[147:150], v159 offset:1552
	s_clause 0x2
	buffer_load_dword v199, off, s[0:3], 0 offset:780
	buffer_load_dword v203, off, s[0:3], 0 offset:756
	;; [unrolled: 1-line block ×3, first 2 shown]
	ds_read_b128 v[151:154], v159 offset:1568
	s_clause 0x4
	buffer_load_dword v207, off, s[0:3], 0 offset:796
	buffer_load_dword v208, off, s[0:3], 0 offset:808
	;; [unrolled: 1-line block ×5, first 2 shown]
	ds_read_b128 v[155:158], v159 offset:1584
	s_clause 0x2
	buffer_load_dword v209, off, s[0:3], 0 offset:812
	buffer_load_dword v214, off, s[0:3], 0 offset:788
	;; [unrolled: 1-line block ×3, first 2 shown]
	s_waitcnt vmcnt(62) lgkmcnt(2)
	v_mul_f64 v[204:205], v[149:150], v[137:138]
	v_mul_f64 v[137:138], v[147:148], v[137:138]
	s_waitcnt lgkmcnt(1)
	v_mul_f64 v[211:212], v[153:154], v[5:6]
	s_waitcnt vmcnt(59) lgkmcnt(0)
	v_mul_f64 v[215:216], v[157:158], v[3:4]
	v_fma_f64 v[147:148], v[147:148], v[7:8], -v[204:205]
	v_mul_f64 v[204:205], v[151:152], v[5:6]
	v_fma_f64 v[137:138], v[149:150], v[7:8], v[137:138]
	s_waitcnt vmcnt(57)
	v_fma_f64 v[151:152], v[151:152], v[1:2], -v[211:212]
	ds_read_b128 v[5:8], v159 offset:1600
	v_mul_f64 v[149:150], v[155:156], v[3:4]
	s_waitcnt vmcnt(51)
	v_fma_f64 v[155:156], v[155:156], v[160:161], -v[215:216]
	v_add_f64 v[147:148], v[147:148], 0
	v_fma_f64 v[153:154], v[153:154], v[1:2], v[204:205]
	v_add_f64 v[137:138], v[137:138], 0
	s_clause 0x4
	buffer_load_dword v205, off, s[0:3], 0 offset:828
	buffer_load_dword v217, off, s[0:3], 0 offset:840
	;; [unrolled: 1-line block ×5, first 2 shown]
	s_waitcnt lgkmcnt(0)
	v_mul_f64 v[220:221], v[5:6], v[141:142]
	v_mul_f64 v[141:142], v[7:8], v[141:142]
	ds_read_b128 v[1:4], v159 offset:1616
	v_fma_f64 v[157:158], v[157:158], v[160:161], v[149:150]
	v_add_f64 v[151:152], v[147:148], v[151:152]
	v_add_f64 v[137:138], v[137:138], v[153:154]
	s_clause 0x2
	buffer_load_dword v218, off, s[0:3], 0 offset:844
	buffer_load_dword v154, off, s[0:3], 0 offset:820
	;; [unrolled: 1-line block ×3, first 2 shown]
	s_waitcnt vmcnt(58) lgkmcnt(0)
	v_mul_f64 v[160:161], v[1:2], v[145:146]
	v_mul_f64 v[145:146], v[3:4], v[145:146]
	s_waitcnt vmcnt(56)
	v_fma_f64 v[141:142], v[5:6], v[162:163], -v[141:142]
	ds_read_b128 v[147:150], v159 offset:1632
	v_add_f64 v[151:152], v[151:152], v[155:156]
	v_fma_f64 v[155:156], v[7:8], v[162:163], v[220:221]
	v_add_f64 v[137:138], v[137:138], v[157:158]
	s_clause 0x4
	buffer_load_dword v158, off, s[0:3], 0 offset:860
	buffer_load_dword v162, off, s[0:3], 0 offset:872
	;; [unrolled: 1-line block ×5, first 2 shown]
	ds_read_b128 v[5:8], v159 offset:1648
	s_waitcnt vmcnt(57) lgkmcnt(1)
	v_mul_f64 v[221:222], v[147:148], v[164:165]
	v_mul_f64 v[164:165], v[149:150], v[164:165]
	s_waitcnt vmcnt(56)
	v_fma_f64 v[145:146], v[1:2], v[139:140], -v[145:146]
	v_fma_f64 v[139:140], v[3:4], v[139:140], v[160:161]
	v_add_f64 v[141:142], v[151:152], v[141:142]
	s_clause 0x2
	buffer_load_dword v163, off, s[0:3], 0 offset:876
	buffer_load_dword v152, off, s[0:3], 0 offset:852
	;; [unrolled: 1-line block ×3, first 2 shown]
	v_add_f64 v[137:138], v[137:138], v[155:156]
	s_waitcnt vmcnt(58) lgkmcnt(0)
	v_mul_f64 v[160:161], v[7:8], v[166:167]
	ds_read_b128 v[1:4], v159 offset:1664
	v_mul_f64 v[155:156], v[5:6], v[166:167]
	s_waitcnt vmcnt(56)
	v_fma_f64 v[147:148], v[147:148], v[168:169], -v[164:165]
	v_add_f64 v[141:142], v[141:142], v[145:146]
	v_fma_f64 v[145:146], v[149:150], v[168:169], v[221:222]
	v_add_f64 v[149:150], v[137:138], v[139:140]
	s_clause 0x4
	buffer_load_dword v165, off, s[0:3], 0 offset:892
	buffer_load_dword v166, off, s[0:3], 0 offset:904
	;; [unrolled: 1-line block ×5, first 2 shown]
	s_waitcnt vmcnt(57) lgkmcnt(0)
	v_mul_f64 v[221:222], v[1:2], v[170:171]
	v_mul_f64 v[169:170], v[3:4], v[170:171]
	s_waitcnt vmcnt(56)
	v_fma_f64 v[160:161], v[5:6], v[143:144], -v[160:161]
	ds_read_b128 v[137:140], v159 offset:1680
	v_fma_f64 v[143:144], v[7:8], v[143:144], v[155:156]
	v_add_f64 v[141:142], v[141:142], v[147:148]
	s_clause 0x2
	buffer_load_dword v167, off, s[0:3], 0 offset:908
	buffer_load_dword v148, off, s[0:3], 0 offset:884
	;; [unrolled: 1-line block ×3, first 2 shown]
	v_add_f64 v[145:146], v[149:150], v[145:146]
	ds_read_b128 v[5:8], v159 offset:1696
	s_waitcnt vmcnt(58) lgkmcnt(1)
	v_mul_f64 v[155:156], v[139:140], v[172:173]
	s_waitcnt vmcnt(56)
	v_fma_f64 v[170:171], v[1:2], v[176:177], -v[169:170]
	v_mul_f64 v[149:150], v[137:138], v[172:173]
	v_add_f64 v[141:142], v[141:142], v[160:161]
	v_fma_f64 v[160:161], v[3:4], v[176:177], v[221:222]
	v_add_f64 v[143:144], v[145:146], v[143:144]
	s_clause 0x4
	buffer_load_dword v146, off, s[0:3], 0 offset:924
	buffer_load_dword v172, off, s[0:3], 0 offset:936
	buffer_load_dword v176, off, s[0:3], 0 offset:928
	buffer_load_dword v145, off, s[0:3], 0 offset:920
	buffer_load_dword v169, off, s[0:3], 0 offset:900
	s_waitcnt vmcnt(57) lgkmcnt(0)
	v_mul_f64 v[221:222], v[5:6], v[178:179]
	v_mul_f64 v[177:178], v[7:8], v[178:179]
	s_waitcnt vmcnt(56)
	v_fma_f64 v[155:156], v[137:138], v[174:175], -v[155:156]
	ds_read_b128 v[1:4], v159 offset:1712
	v_fma_f64 v[149:150], v[139:140], v[174:175], v[149:150]
	v_add_f64 v[141:142], v[141:142], v[170:171]
	v_add_f64 v[143:144], v[143:144], v[160:161]
	s_clause 0x2
	buffer_load_dword v173, off, s[0:3], 0 offset:940
	buffer_load_dword v161, off, s[0:3], 0 offset:916
	buffer_load_dword v160, off, s[0:3], 0 offset:912
	ds_read_b128 v[137:140], v159 offset:1728
	s_waitcnt vmcnt(58) lgkmcnt(1)
	v_mul_f64 v[174:175], v[3:4], v[180:181]
	s_waitcnt vmcnt(56)
	v_fma_f64 v[178:179], v[5:6], v[184:185], -v[177:178]
	v_mul_f64 v[170:171], v[1:2], v[180:181]
	v_add_f64 v[141:142], v[141:142], v[155:156]
	v_fma_f64 v[155:156], v[7:8], v[184:185], v[221:222]
	v_add_f64 v[143:144], v[143:144], v[149:150]
	s_clause 0x4
	buffer_load_dword v150, off, s[0:3], 0 offset:956
	buffer_load_dword v180, off, s[0:3], 0 offset:968
	buffer_load_dword v184, off, s[0:3], 0 offset:960
	buffer_load_dword v149, off, s[0:3], 0 offset:952
	buffer_load_dword v177, off, s[0:3], 0 offset:932
	s_waitcnt vmcnt(57) lgkmcnt(0)
	v_mul_f64 v[221:222], v[137:138], v[186:187]
	v_mul_f64 v[185:186], v[139:140], v[186:187]
	s_waitcnt vmcnt(56)
	v_fma_f64 v[174:175], v[1:2], v[182:183], -v[174:175]
	ds_read_b128 v[5:8], v159 offset:1744
	v_fma_f64 v[170:171], v[3:4], v[182:183], v[170:171]
	v_add_f64 v[141:142], v[141:142], v[178:179]
	v_add_f64 v[143:144], v[143:144], v[155:156]
	s_clause 0x2
	buffer_load_dword v181, off, s[0:3], 0 offset:972
	buffer_load_dword v156, off, s[0:3], 0 offset:948
	buffer_load_dword v155, off, s[0:3], 0 offset:944
	;; [unrolled: 28-line block ×4, first 2 shown]
	ds_read_b128 v[137:140], v159 offset:1824
	s_waitcnt vmcnt(58) lgkmcnt(1)
	v_mul_f64 v[200:201], v[3:4], v[208:209]
	s_waitcnt vmcnt(56)
	v_fma_f64 v[206:207], v[5:6], v[213:214], -v[206:207]
	v_mul_f64 v[194:195], v[1:2], v[208:209]
	buffer_load_dword v203, off, s[0:3], 0 offset:1028
	v_add_f64 v[141:142], v[141:142], v[190:191]
	v_fma_f64 v[190:191], v[7:8], v[213:214], v[221:222]
	v_add_f64 v[143:144], v[143:144], v[186:187]
	ds_read_b128 v[5:8], v159 offset:1840
	s_waitcnt vmcnt(53) lgkmcnt(1)
	v_mul_f64 v[186:187], v[137:138], v[204:205]
	v_mul_f64 v[204:205], v[139:140], v[204:205]
	s_waitcnt vmcnt(52)
	v_fma_f64 v[200:201], v[1:2], v[210:211], -v[200:201]
	v_fma_f64 v[194:195], v[3:4], v[210:211], v[194:195]
	ds_read_b128 v[1:4], v159 offset:1856
	v_add_f64 v[141:142], v[141:142], v[206:207]
	v_add_f64 v[143:144], v[143:144], v[190:191]
	s_waitcnt vmcnt(51) lgkmcnt(1)
	v_mul_f64 v[206:207], v[7:8], v[217:218]
	v_mul_f64 v[190:191], v[5:6], v[217:218]
	s_waitcnt vmcnt(49)
	v_fma_f64 v[204:205], v[137:138], v[153:154], -v[204:205]
	v_fma_f64 v[153:154], v[139:140], v[153:154], v[186:187]
	v_add_f64 v[141:142], v[141:142], v[200:201]
	v_add_f64 v[143:144], v[143:144], v[194:195]
	s_clause 0x3
	buffer_load_dword v186, off, s[0:3], 0 offset:528
	buffer_load_dword v187, off, s[0:3], 0 offset:532
	;; [unrolled: 1-line block ×4, first 2 shown]
	ds_read_b128 v[137:140], v159 offset:1872
	s_waitcnt vmcnt(49) lgkmcnt(1)
	v_mul_f64 v[200:201], v[1:2], v[157:158]
	v_mul_f64 v[157:158], v[3:4], v[157:158]
	s_waitcnt vmcnt(48)
	v_fma_f64 v[206:207], v[5:6], v[219:220], -v[206:207]
	v_fma_f64 v[190:191], v[7:8], v[219:220], v[190:191]
	ds_read_b128 v[5:8], v159 offset:1888
	v_add_f64 v[141:142], v[141:142], v[204:205]
	v_add_f64 v[143:144], v[143:144], v[153:154]
	s_waitcnt vmcnt(47) lgkmcnt(1)
	v_mul_f64 v[153:154], v[137:138], v[162:163]
	v_mul_f64 v[162:163], v[139:140], v[162:163]
	s_waitcnt vmcnt(45)
	v_fma_f64 v[157:158], v[1:2], v[151:152], -v[157:158]
	v_fma_f64 v[151:152], v[3:4], v[151:152], v[200:201]
	ds_read_b128 v[1:4], v159 offset:1904
	v_add_f64 v[141:142], v[141:142], v[206:207]
	v_add_f64 v[143:144], v[143:144], v[190:191]
	;; [unrolled: 9-line block ×6, first 2 shown]
	s_waitcnt vmcnt(25) lgkmcnt(1)
	v_mul_f64 v[151:152], v[1:2], v[149:150]
	v_mul_f64 v[149:150], v[3:4], v[149:150]
	s_waitcnt vmcnt(24)
	v_fma_f64 v[157:158], v[5:6], v[176:177], -v[162:163]
	v_add_f64 v[141:142], v[141:142], v[145:146]
	v_fma_f64 v[145:146], v[7:8], v[176:177], v[147:148]
	v_add_f64 v[143:144], v[143:144], v[153:154]
	ds_read_b128 v[5:8], v159 offset:1984
	s_waitcnt vmcnt(23) lgkmcnt(1)
	v_mul_f64 v[153:154], v[139:140], v[180:181]
	v_mul_f64 v[147:148], v[137:138], v[180:181]
	s_waitcnt vmcnt(21)
	v_fma_f64 v[149:150], v[1:2], v[155:156], -v[149:150]
	v_fma_f64 v[151:152], v[3:4], v[155:156], v[151:152]
	ds_read_b128 v[1:4], v159 offset:2000
	v_add_f64 v[141:142], v[141:142], v[157:158]
	v_add_f64 v[143:144], v[143:144], v[145:146]
	s_waitcnt vmcnt(17) lgkmcnt(1)
	v_mul_f64 v[155:156], v[7:8], v[170:171]
	s_waitcnt vmcnt(16)
	v_fma_f64 v[153:154], v[137:138], v[184:185], -v[153:154]
	v_mul_f64 v[145:146], v[5:6], v[170:171]
	v_fma_f64 v[147:148], v[139:140], v[184:185], v[147:148]
	ds_read_b128 v[137:140], v159 offset:2016
	v_add_f64 v[141:142], v[141:142], v[149:150]
	v_add_f64 v[143:144], v[143:144], v[151:152]
	s_waitcnt vmcnt(15) lgkmcnt(1)
	v_mul_f64 v[151:152], v[3:4], v[188:189]
	v_mul_f64 v[149:150], v[1:2], v[188:189]
	s_waitcnt vmcnt(13)
	v_fma_f64 v[155:156], v[5:6], v[174:175], -v[155:156]
	v_fma_f64 v[145:146], v[7:8], v[174:175], v[145:146]
	ds_read_b128 v[5:8], v159 offset:2032
	v_add_f64 v[141:142], v[141:142], v[153:154]
	v_add_f64 v[143:144], v[143:144], v[147:148]
	s_waitcnt vmcnt(9) lgkmcnt(1)
	v_mul_f64 v[153:154], v[139:140], v[178:179]
	s_waitcnt vmcnt(8)
	v_fma_f64 v[1:2], v[1:2], v[192:193], -v[151:152]
	v_mul_f64 v[147:148], v[137:138], v[178:179]
	v_fma_f64 v[3:4], v[3:4], v[192:193], v[149:150]
	v_add_f64 v[141:142], v[141:142], v[155:156]
	v_add_f64 v[143:144], v[143:144], v[145:146]
	s_waitcnt vmcnt(7) lgkmcnt(0)
	v_mul_f64 v[149:150], v[7:8], v[198:199]
	v_mul_f64 v[145:146], v[5:6], v[198:199]
	s_waitcnt vmcnt(5)
	v_fma_f64 v[137:138], v[137:138], v[182:183], -v[153:154]
	v_fma_f64 v[139:140], v[139:140], v[182:183], v[147:148]
	v_add_f64 v[1:2], v[141:142], v[1:2]
	v_add_f64 v[3:4], v[143:144], v[3:4]
	s_waitcnt vmcnt(4)
	v_fma_f64 v[5:6], v[5:6], v[202:203], -v[149:150]
	v_fma_f64 v[7:8], v[7:8], v[202:203], v[145:146]
	v_add_f64 v[1:2], v[1:2], v[137:138]
	v_add_f64 v[3:4], v[3:4], v[139:140]
	;; [unrolled: 1-line block ×4, first 2 shown]
	s_waitcnt vmcnt(2)
	v_add_f64 v[1:2], v[186:187], -v[1:2]
	s_waitcnt vmcnt(0)
	v_add_f64 v[3:4], v[194:195], -v[3:4]
	buffer_store_dword v2, off, s[0:3], 0 offset:532
	buffer_store_dword v1, off, s[0:3], 0 offset:528
	;; [unrolled: 1-line block ×4, first 2 shown]
	v_cmpx_lt_u32_e32 31, v0
	s_cbranch_execz .LBB127_347
; %bb.346:
	v_mov_b32_e32 v4, s47
	s_clause 0x3
	buffer_load_dword v1, v4, s[0:3], 0 offen
	buffer_load_dword v2, v4, s[0:3], 0 offen offset:4
	buffer_load_dword v3, v4, s[0:3], 0 offen offset:8
	buffer_load_dword v4, v4, s[0:3], 0 offen offset:12
	buffer_store_dword v159, off, s[0:3], 0 offset:512
	buffer_store_dword v159, off, s[0:3], 0 offset:516
	;; [unrolled: 1-line block ×4, first 2 shown]
	s_waitcnt vmcnt(0)
	ds_write_b128 v197, v[1:4]
.LBB127_347:
	s_or_b32 exec_lo, exec_lo, s4
	s_waitcnt lgkmcnt(0)
	s_waitcnt_vscnt null, 0x0
	s_barrier
	buffer_gl0_inv
	s_clause 0x37
	buffer_load_dword v137, off, s[0:3], 0 offset:536
	buffer_load_dword v138, off, s[0:3], 0 offset:540
	buffer_load_dword v5, off, s[0:3], 0 offset:552
	buffer_load_dword v6, off, s[0:3], 0 offset:556
	buffer_load_dword v7, off, s[0:3], 0 offset:528
	buffer_load_dword v8, off, s[0:3], 0 offset:532
	buffer_load_dword v3, off, s[0:3], 0 offset:568
	buffer_load_dword v4, off, s[0:3], 0 offset:572
	buffer_load_dword v1, off, s[0:3], 0 offset:544
	buffer_load_dword v2, off, s[0:3], 0 offset:548
	buffer_load_dword v142, off, s[0:3], 0 offset:588
	buffer_load_dword v145, off, s[0:3], 0 offset:600
	buffer_load_dword v139, off, s[0:3], 0 offset:592
	buffer_load_dword v141, off, s[0:3], 0 offset:584
	buffer_load_dword v153, off, s[0:3], 0 offset:560
	buffer_load_dword v154, off, s[0:3], 0 offset:564
	buffer_load_dword v146, off, s[0:3], 0 offset:604
	buffer_load_dword v148, off, s[0:3], 0 offset:580
	buffer_load_dword v147, off, s[0:3], 0 offset:576
	buffer_load_dword v150, off, s[0:3], 0 offset:620
	buffer_load_dword v155, off, s[0:3], 0 offset:632
	buffer_load_dword v143, off, s[0:3], 0 offset:624
	buffer_load_dword v149, off, s[0:3], 0 offset:616
	buffer_load_dword v140, off, s[0:3], 0 offset:596
	buffer_load_dword v156, off, s[0:3], 0 offset:636
	buffer_load_dword v158, off, s[0:3], 0 offset:612
	buffer_load_dword v157, off, s[0:3], 0 offset:608
	buffer_load_dword v173, off, s[0:3], 0 offset:652
	buffer_load_dword v174, off, s[0:3], 0 offset:664
	buffer_load_dword v151, off, s[0:3], 0 offset:656
	buffer_load_dword v172, off, s[0:3], 0 offset:648
	buffer_load_dword v144, off, s[0:3], 0 offset:628
	buffer_load_dword v175, off, s[0:3], 0 offset:668
	buffer_load_dword v177, off, s[0:3], 0 offset:644
	buffer_load_dword v176, off, s[0:3], 0 offset:640
	buffer_load_dword v179, off, s[0:3], 0 offset:684
	buffer_load_dword v180, off, s[0:3], 0 offset:696
	buffer_load_dword v182, off, s[0:3], 0 offset:688
	buffer_load_dword v178, off, s[0:3], 0 offset:680
	buffer_load_dword v152, off, s[0:3], 0 offset:660
	buffer_load_dword v181, off, s[0:3], 0 offset:700
	buffer_load_dword v185, off, s[0:3], 0 offset:676
	buffer_load_dword v184, off, s[0:3], 0 offset:672
	buffer_load_dword v187, off, s[0:3], 0 offset:716
	buffer_load_dword v188, off, s[0:3], 0 offset:728
	buffer_load_dword v190, off, s[0:3], 0 offset:720
	buffer_load_dword v186, off, s[0:3], 0 offset:712
	buffer_load_dword v183, off, s[0:3], 0 offset:692
	buffer_load_dword v189, off, s[0:3], 0 offset:732
	buffer_load_dword v193, off, s[0:3], 0 offset:708
	buffer_load_dword v192, off, s[0:3], 0 offset:704
	buffer_load_dword v195, off, s[0:3], 0 offset:748
	buffer_load_dword v198, off, s[0:3], 0 offset:760
	buffer_load_dword v200, off, s[0:3], 0 offset:752
	buffer_load_dword v194, off, s[0:3], 0 offset:744
	buffer_load_dword v191, off, s[0:3], 0 offset:724
	ds_read_b128 v[160:163], v159 offset:1536
	s_clause 0x2
	buffer_load_dword v199, off, s[0:3], 0 offset:764
	buffer_load_dword v203, off, s[0:3], 0 offset:740
	;; [unrolled: 1-line block ×3, first 2 shown]
	ds_read_b128 v[164:167], v159 offset:1552
	s_clause 0x4
	buffer_load_dword v207, off, s[0:3], 0 offset:780
	buffer_load_dword v208, off, s[0:3], 0 offset:792
	;; [unrolled: 1-line block ×5, first 2 shown]
	ds_read_b128 v[168:171], v159 offset:1568
	s_clause 0x2
	buffer_load_dword v209, off, s[0:3], 0 offset:796
	buffer_load_dword v214, off, s[0:3], 0 offset:772
	;; [unrolled: 1-line block ×3, first 2 shown]
	s_mov_b32 s4, exec_lo
	s_waitcnt vmcnt(62) lgkmcnt(2)
	v_mul_f64 v[204:205], v[162:163], v[137:138]
	v_mul_f64 v[137:138], v[160:161], v[137:138]
	s_waitcnt lgkmcnt(1)
	v_mul_f64 v[211:212], v[166:167], v[5:6]
	s_waitcnt vmcnt(59) lgkmcnt(0)
	v_mul_f64 v[215:216], v[170:171], v[3:4]
	v_fma_f64 v[160:161], v[160:161], v[7:8], -v[204:205]
	v_mul_f64 v[204:205], v[164:165], v[5:6]
	v_fma_f64 v[137:138], v[162:163], v[7:8], v[137:138]
	s_waitcnt vmcnt(57)
	v_fma_f64 v[164:165], v[164:165], v[1:2], -v[211:212]
	ds_read_b128 v[5:8], v159 offset:1584
	v_mul_f64 v[162:163], v[168:169], v[3:4]
	s_waitcnt vmcnt(51)
	v_fma_f64 v[168:169], v[168:169], v[153:154], -v[215:216]
	v_add_f64 v[160:161], v[160:161], 0
	v_fma_f64 v[166:167], v[166:167], v[1:2], v[204:205]
	v_add_f64 v[137:138], v[137:138], 0
	s_clause 0x4
	buffer_load_dword v205, off, s[0:3], 0 offset:812
	buffer_load_dword v217, off, s[0:3], 0 offset:824
	;; [unrolled: 1-line block ×5, first 2 shown]
	s_waitcnt lgkmcnt(0)
	v_mul_f64 v[220:221], v[5:6], v[141:142]
	v_mul_f64 v[141:142], v[7:8], v[141:142]
	ds_read_b128 v[1:4], v159 offset:1600
	v_fma_f64 v[153:154], v[170:171], v[153:154], v[162:163]
	v_add_f64 v[164:165], v[160:161], v[164:165]
	v_add_f64 v[137:138], v[137:138], v[166:167]
	s_clause 0x2
	buffer_load_dword v218, off, s[0:3], 0 offset:828
	buffer_load_dword v167, off, s[0:3], 0 offset:804
	;; [unrolled: 1-line block ×3, first 2 shown]
	s_waitcnt vmcnt(58) lgkmcnt(0)
	v_mul_f64 v[170:171], v[1:2], v[145:146]
	v_mul_f64 v[145:146], v[3:4], v[145:146]
	s_waitcnt vmcnt(56)
	v_fma_f64 v[141:142], v[5:6], v[147:148], -v[141:142]
	ds_read_b128 v[160:163], v159 offset:1616
	v_fma_f64 v[147:148], v[7:8], v[147:148], v[220:221]
	v_add_f64 v[164:165], v[164:165], v[168:169]
	v_add_f64 v[137:138], v[137:138], v[153:154]
	s_clause 0x4
	buffer_load_dword v154, off, s[0:3], 0 offset:844
	buffer_load_dword v168, off, s[0:3], 0 offset:856
	;; [unrolled: 1-line block ×5, first 2 shown]
	ds_read_b128 v[5:8], v159 offset:1632
	s_waitcnt vmcnt(57) lgkmcnt(1)
	v_mul_f64 v[221:222], v[160:161], v[149:150]
	v_mul_f64 v[149:150], v[162:163], v[149:150]
	s_waitcnt vmcnt(56)
	v_fma_f64 v[145:146], v[1:2], v[139:140], -v[145:146]
	v_fma_f64 v[139:140], v[3:4], v[139:140], v[170:171]
	v_add_f64 v[141:142], v[164:165], v[141:142]
	v_add_f64 v[137:138], v[137:138], v[147:148]
	s_clause 0x2
	buffer_load_dword v169, off, s[0:3], 0 offset:860
	buffer_load_dword v148, off, s[0:3], 0 offset:836
	;; [unrolled: 1-line block ×3, first 2 shown]
	s_waitcnt vmcnt(58) lgkmcnt(0)
	v_mul_f64 v[164:165], v[5:6], v[155:156]
	v_mul_f64 v[155:156], v[7:8], v[155:156]
	s_waitcnt vmcnt(56)
	v_fma_f64 v[149:150], v[160:161], v[157:158], -v[149:150]
	ds_read_b128 v[1:4], v159 offset:1648
	v_add_f64 v[141:142], v[141:142], v[145:146]
	v_fma_f64 v[145:146], v[162:163], v[157:158], v[221:222]
	v_add_f64 v[157:158], v[137:138], v[139:140]
	s_clause 0x4
	buffer_load_dword v161, off, s[0:3], 0 offset:876
	buffer_load_dword v162, off, s[0:3], 0 offset:888
	;; [unrolled: 1-line block ×5, first 2 shown]
	ds_read_b128 v[137:140], v159 offset:1664
	s_waitcnt vmcnt(57) lgkmcnt(1)
	v_mul_f64 v[221:222], v[1:2], v[172:173]
	v_mul_f64 v[171:172], v[3:4], v[172:173]
	s_waitcnt vmcnt(56)
	v_fma_f64 v[155:156], v[5:6], v[143:144], -v[155:156]
	v_fma_f64 v[143:144], v[7:8], v[143:144], v[164:165]
	v_add_f64 v[141:142], v[141:142], v[149:150]
	s_clause 0x2
	buffer_load_dword v163, off, s[0:3], 0 offset:892
	buffer_load_dword v150, off, s[0:3], 0 offset:868
	;; [unrolled: 1-line block ×3, first 2 shown]
	v_add_f64 v[145:146], v[157:158], v[145:146]
	s_waitcnt vmcnt(58) lgkmcnt(0)
	v_mul_f64 v[164:165], v[139:140], v[174:175]
	ds_read_b128 v[5:8], v159 offset:1680
	v_mul_f64 v[157:158], v[137:138], v[174:175]
	s_waitcnt vmcnt(56)
	v_fma_f64 v[172:173], v[1:2], v[176:177], -v[171:172]
	v_add_f64 v[141:142], v[141:142], v[155:156]
	v_fma_f64 v[155:156], v[3:4], v[176:177], v[221:222]
	v_add_f64 v[143:144], v[145:146], v[143:144]
	s_clause 0x4
	buffer_load_dword v146, off, s[0:3], 0 offset:908
	buffer_load_dword v174, off, s[0:3], 0 offset:920
	buffer_load_dword v176, off, s[0:3], 0 offset:912
	buffer_load_dword v145, off, s[0:3], 0 offset:904
	buffer_load_dword v171, off, s[0:3], 0 offset:884
	s_waitcnt vmcnt(57) lgkmcnt(0)
	v_mul_f64 v[221:222], v[5:6], v[178:179]
	v_mul_f64 v[177:178], v[7:8], v[178:179]
	s_waitcnt vmcnt(56)
	v_fma_f64 v[164:165], v[137:138], v[151:152], -v[164:165]
	ds_read_b128 v[1:4], v159 offset:1696
	v_fma_f64 v[151:152], v[139:140], v[151:152], v[157:158]
	v_add_f64 v[141:142], v[141:142], v[172:173]
	v_add_f64 v[143:144], v[143:144], v[155:156]
	s_clause 0x2
	buffer_load_dword v175, off, s[0:3], 0 offset:924
	buffer_load_dword v156, off, s[0:3], 0 offset:900
	buffer_load_dword v155, off, s[0:3], 0 offset:896
	ds_read_b128 v[137:140], v159 offset:1712
	s_waitcnt vmcnt(58) lgkmcnt(1)
	v_mul_f64 v[172:173], v[3:4], v[180:181]
	s_waitcnt vmcnt(56)
	v_fma_f64 v[178:179], v[5:6], v[184:185], -v[177:178]
	v_mul_f64 v[157:158], v[1:2], v[180:181]
	v_add_f64 v[141:142], v[141:142], v[164:165]
	v_fma_f64 v[164:165], v[7:8], v[184:185], v[221:222]
	v_add_f64 v[143:144], v[143:144], v[151:152]
	s_clause 0x4
	buffer_load_dword v152, off, s[0:3], 0 offset:940
	buffer_load_dword v180, off, s[0:3], 0 offset:952
	buffer_load_dword v184, off, s[0:3], 0 offset:944
	buffer_load_dword v151, off, s[0:3], 0 offset:936
	buffer_load_dword v177, off, s[0:3], 0 offset:916
	s_waitcnt vmcnt(57) lgkmcnt(0)
	v_mul_f64 v[221:222], v[137:138], v[186:187]
	v_mul_f64 v[185:186], v[139:140], v[186:187]
	s_waitcnt vmcnt(56)
	v_fma_f64 v[172:173], v[1:2], v[182:183], -v[172:173]
	ds_read_b128 v[5:8], v159 offset:1728
	v_fma_f64 v[157:158], v[3:4], v[182:183], v[157:158]
	v_add_f64 v[141:142], v[141:142], v[178:179]
	v_add_f64 v[143:144], v[143:144], v[164:165]
	s_clause 0x2
	buffer_load_dword v181, off, s[0:3], 0 offset:956
	buffer_load_dword v165, off, s[0:3], 0 offset:932
	buffer_load_dword v164, off, s[0:3], 0 offset:928
	ds_read_b128 v[1:4], v159 offset:1744
	s_waitcnt vmcnt(58) lgkmcnt(1)
	v_mul_f64 v[182:183], v[7:8], v[188:189]
	s_waitcnt vmcnt(56)
	v_fma_f64 v[186:187], v[137:138], v[192:193], -v[185:186]
	v_mul_f64 v[178:179], v[5:6], v[188:189]
	;; [unrolled: 28-line block ×4, first 2 shown]
	v_add_f64 v[141:142], v[141:142], v[190:191]
	v_fma_f64 v[190:191], v[7:8], v[213:214], v[221:222]
	v_add_f64 v[143:144], v[143:144], v[186:187]
	s_clause 0x2
	buffer_load_dword v187, off, s[0:3], 0 offset:1036
	buffer_load_dword v186, off, s[0:3], 0 offset:1032
	;; [unrolled: 1-line block ×3, first 2 shown]
	ds_read_b128 v[5:8], v159 offset:1824
	s_waitcnt vmcnt(55) lgkmcnt(1)
	v_mul_f64 v[208:209], v[137:138], v[204:205]
	v_mul_f64 v[204:205], v[139:140], v[204:205]
	s_waitcnt vmcnt(54)
	v_fma_f64 v[200:201], v[1:2], v[210:211], -v[200:201]
	v_fma_f64 v[194:195], v[3:4], v[210:211], v[194:195]
	v_add_f64 v[141:142], v[141:142], v[206:207]
	v_add_f64 v[143:144], v[143:144], v[190:191]
	s_clause 0x1
	buffer_load_dword v191, off, s[0:3], 0 offset:1028
	buffer_load_dword v190, off, s[0:3], 0 offset:1024
	ds_read_b128 v[1:4], v159 offset:1840
	s_waitcnt vmcnt(55) lgkmcnt(1)
	v_mul_f64 v[210:211], v[7:8], v[217:218]
	v_mul_f64 v[206:207], v[5:6], v[217:218]
	s_waitcnt vmcnt(53)
	v_fma_f64 v[204:205], v[137:138], v[166:167], -v[204:205]
	v_fma_f64 v[166:167], v[139:140], v[166:167], v[208:209]
	ds_read_b128 v[137:140], v159 offset:1856
	v_add_f64 v[141:142], v[141:142], v[200:201]
	v_add_f64 v[143:144], v[143:144], v[194:195]
	s_waitcnt vmcnt(49) lgkmcnt(1)
	v_mul_f64 v[194:195], v[1:2], v[153:154]
	v_mul_f64 v[153:154], v[3:4], v[153:154]
	s_waitcnt vmcnt(48)
	v_fma_f64 v[200:201], v[5:6], v[219:220], -v[210:211]
	v_add_f64 v[141:142], v[141:142], v[204:205]
	v_fma_f64 v[204:205], v[7:8], v[219:220], v[206:207]
	v_add_f64 v[143:144], v[143:144], v[166:167]
	s_clause 0x3
	buffer_load_dword v166, off, s[0:3], 0 offset:512
	buffer_load_dword v167, off, s[0:3], 0 offset:516
	;; [unrolled: 1-line block ×4, first 2 shown]
	ds_read_b128 v[5:8], v159 offset:1872
	s_waitcnt vmcnt(51) lgkmcnt(1)
	v_mul_f64 v[208:209], v[137:138], v[168:169]
	v_mul_f64 v[168:169], v[139:140], v[168:169]
	s_waitcnt vmcnt(49)
	v_fma_f64 v[153:154], v[1:2], v[147:148], -v[153:154]
	v_fma_f64 v[147:148], v[3:4], v[147:148], v[194:195]
	ds_read_b128 v[1:4], v159 offset:1888
	v_add_f64 v[141:142], v[141:142], v[200:201]
	v_add_f64 v[143:144], v[143:144], v[204:205]
	s_waitcnt vmcnt(45) lgkmcnt(1)
	v_mul_f64 v[194:195], v[5:6], v[160:161]
	v_mul_f64 v[160:161], v[7:8], v[160:161]
	s_waitcnt vmcnt(44)
	v_fma_f64 v[168:169], v[137:138], v[215:216], -v[168:169]
	v_add_f64 v[141:142], v[141:142], v[153:154]
	v_fma_f64 v[153:154], v[139:140], v[215:216], v[208:209]
	v_add_f64 v[143:144], v[143:144], v[147:148]
	ds_read_b128 v[137:140], v159 offset:1904
	s_waitcnt vmcnt(43) lgkmcnt(1)
	v_mul_f64 v[147:148], v[1:2], v[162:163]
	v_mul_f64 v[162:163], v[3:4], v[162:163]
	s_waitcnt vmcnt(41)
	v_fma_f64 v[160:161], v[5:6], v[149:150], -v[160:161]
	v_fma_f64 v[149:150], v[7:8], v[149:150], v[194:195]
	ds_read_b128 v[5:8], v159 offset:1920
	v_add_f64 v[141:142], v[141:142], v[168:169]
	v_add_f64 v[143:144], v[143:144], v[153:154]
	s_waitcnt vmcnt(37) lgkmcnt(1)
	v_mul_f64 v[153:154], v[137:138], v[145:146]
	v_mul_f64 v[145:146], v[139:140], v[145:146]
	s_waitcnt vmcnt(36)
	v_fma_f64 v[162:163], v[1:2], v[170:171], -v[162:163]
	v_fma_f64 v[147:148], v[3:4], v[170:171], v[147:148]
	ds_read_b128 v[1:4], v159 offset:1936
	v_add_f64 v[141:142], v[141:142], v[160:161]
	v_add_f64 v[143:144], v[143:144], v[149:150]
	s_waitcnt vmcnt(35) lgkmcnt(1)
	v_mul_f64 v[160:161], v[7:8], v[174:175]
	v_mul_f64 v[149:150], v[5:6], v[174:175]
	s_waitcnt vmcnt(33)
	v_fma_f64 v[145:146], v[137:138], v[155:156], -v[145:146]
	v_fma_f64 v[153:154], v[139:140], v[155:156], v[153:154]
	ds_read_b128 v[137:140], v159 offset:1952
	v_add_f64 v[141:142], v[141:142], v[162:163]
	v_add_f64 v[143:144], v[143:144], v[147:148]
	s_waitcnt vmcnt(29) lgkmcnt(1)
	v_mul_f64 v[147:148], v[1:2], v[151:152]
	v_mul_f64 v[151:152], v[3:4], v[151:152]
	s_waitcnt vmcnt(28)
	v_fma_f64 v[155:156], v[5:6], v[176:177], -v[160:161]
	v_add_f64 v[141:142], v[141:142], v[145:146]
	v_fma_f64 v[145:146], v[7:8], v[176:177], v[149:150]
	v_add_f64 v[143:144], v[143:144], v[153:154]
	ds_read_b128 v[5:8], v159 offset:1968
	s_waitcnt vmcnt(27) lgkmcnt(1)
	v_mul_f64 v[153:154], v[139:140], v[180:181]
	v_mul_f64 v[149:150], v[137:138], v[180:181]
	s_waitcnt vmcnt(25)
	v_fma_f64 v[151:152], v[1:2], v[164:165], -v[151:152]
	v_fma_f64 v[147:148], v[3:4], v[164:165], v[147:148]
	ds_read_b128 v[1:4], v159 offset:1984
	v_add_f64 v[141:142], v[141:142], v[155:156]
	v_add_f64 v[143:144], v[143:144], v[145:146]
	s_waitcnt vmcnt(21) lgkmcnt(1)
	v_mul_f64 v[155:156], v[7:8], v[157:158]
	s_waitcnt vmcnt(20)
	v_fma_f64 v[153:154], v[137:138], v[184:185], -v[153:154]
	v_mul_f64 v[145:146], v[5:6], v[157:158]
	v_fma_f64 v[149:150], v[139:140], v[184:185], v[149:150]
	ds_read_b128 v[137:140], v159 offset:2000
	v_add_f64 v[141:142], v[141:142], v[151:152]
	v_add_f64 v[143:144], v[143:144], v[147:148]
	s_waitcnt vmcnt(19) lgkmcnt(1)
	v_mul_f64 v[151:152], v[3:4], v[188:189]
	v_mul_f64 v[147:148], v[1:2], v[188:189]
	s_waitcnt vmcnt(17)
	v_fma_f64 v[155:156], v[5:6], v[172:173], -v[155:156]
	v_fma_f64 v[145:146], v[7:8], v[172:173], v[145:146]
	ds_read_b128 v[5:8], v159 offset:2016
	v_add_f64 v[141:142], v[141:142], v[153:154]
	v_add_f64 v[143:144], v[143:144], v[149:150]
	s_waitcnt vmcnt(13) lgkmcnt(1)
	v_mul_f64 v[153:154], v[139:140], v[178:179]
	s_waitcnt vmcnt(12)
	v_fma_f64 v[151:152], v[1:2], v[192:193], -v[151:152]
	v_mul_f64 v[149:150], v[137:138], v[178:179]
	v_fma_f64 v[147:148], v[3:4], v[192:193], v[147:148]
	ds_read_b128 v[1:4], v159 offset:2032
	v_add_f64 v[141:142], v[141:142], v[155:156]
	v_add_f64 v[143:144], v[143:144], v[145:146]
	s_waitcnt vmcnt(11) lgkmcnt(1)
	v_mul_f64 v[155:156], v[7:8], v[198:199]
	v_mul_f64 v[145:146], v[5:6], v[198:199]
	s_waitcnt vmcnt(9)
	v_fma_f64 v[137:138], v[137:138], v[182:183], -v[153:154]
	v_fma_f64 v[139:140], v[139:140], v[182:183], v[149:150]
	v_add_f64 v[141:142], v[141:142], v[151:152]
	v_add_f64 v[143:144], v[143:144], v[147:148]
	s_waitcnt vmcnt(7) lgkmcnt(0)
	v_mul_f64 v[149:150], v[3:4], v[186:187]
	s_waitcnt vmcnt(6)
	v_fma_f64 v[5:6], v[5:6], v[202:203], -v[155:156]
	v_mul_f64 v[147:148], v[1:2], v[186:187]
	v_fma_f64 v[7:8], v[7:8], v[202:203], v[145:146]
	v_add_f64 v[137:138], v[141:142], v[137:138]
	v_add_f64 v[139:140], v[143:144], v[139:140]
	s_waitcnt vmcnt(4)
	v_fma_f64 v[1:2], v[1:2], v[190:191], -v[149:150]
	v_fma_f64 v[3:4], v[3:4], v[190:191], v[147:148]
	v_add_f64 v[5:6], v[137:138], v[5:6]
	v_add_f64 v[7:8], v[139:140], v[7:8]
	;; [unrolled: 1-line block ×4, first 2 shown]
	s_waitcnt vmcnt(2)
	v_add_f64 v[1:2], v[166:167], -v[1:2]
	s_waitcnt vmcnt(0)
	v_add_f64 v[3:4], v[206:207], -v[3:4]
	buffer_store_dword v2, off, s[0:3], 0 offset:516
	buffer_store_dword v1, off, s[0:3], 0 offset:512
	;; [unrolled: 1-line block ×4, first 2 shown]
	v_cmpx_lt_u32_e32 30, v0
	s_cbranch_execz .LBB127_349
; %bb.348:
	v_mov_b32_e32 v4, s48
	v_mov_b32_e32 v5, 0
	s_clause 0x3
	buffer_load_dword v1, v4, s[0:3], 0 offen
	buffer_load_dword v2, v4, s[0:3], 0 offen offset:4
	buffer_load_dword v3, v4, s[0:3], 0 offen offset:8
	buffer_load_dword v4, v4, s[0:3], 0 offen offset:12
	buffer_store_dword v5, off, s[0:3], 0 offset:496
	buffer_store_dword v5, off, s[0:3], 0 offset:500
	;; [unrolled: 1-line block ×4, first 2 shown]
	s_waitcnt vmcnt(0)
	ds_write_b128 v197, v[1:4]
.LBB127_349:
	s_or_b32 exec_lo, exec_lo, s4
	s_waitcnt lgkmcnt(0)
	s_waitcnt_vscnt null, 0x0
	s_barrier
	buffer_gl0_inv
	s_clause 0x37
	buffer_load_dword v137, off, s[0:3], 0 offset:520
	buffer_load_dword v138, off, s[0:3], 0 offset:524
	;; [unrolled: 1-line block ×56, first 2 shown]
	v_mov_b32_e32 v179, 0
	s_mov_b32 s4, exec_lo
	ds_read_b128 v[169:172], v179 offset:1520
	s_clause 0x2
	buffer_load_dword v199, off, s[0:3], 0 offset:748
	buffer_load_dword v203, off, s[0:3], 0 offset:724
	;; [unrolled: 1-line block ×3, first 2 shown]
	ds_read_b128 v[173:176], v179 offset:1536
	s_clause 0x4
	buffer_load_dword v207, off, s[0:3], 0 offset:764
	buffer_load_dword v208, off, s[0:3], 0 offset:776
	;; [unrolled: 1-line block ×5, first 2 shown]
	ds_read_b128 v[180:183], v179 offset:1552
	s_clause 0x2
	buffer_load_dword v209, off, s[0:3], 0 offset:780
	buffer_load_dword v214, off, s[0:3], 0 offset:756
	;; [unrolled: 1-line block ×3, first 2 shown]
	s_waitcnt vmcnt(62) lgkmcnt(2)
	v_mul_f64 v[204:205], v[171:172], v[137:138]
	v_mul_f64 v[137:138], v[169:170], v[137:138]
	s_waitcnt lgkmcnt(1)
	v_mul_f64 v[211:212], v[175:176], v[5:6]
	s_waitcnt vmcnt(59) lgkmcnt(0)
	v_mul_f64 v[215:216], v[182:183], v[3:4]
	v_fma_f64 v[169:170], v[169:170], v[7:8], -v[204:205]
	v_mul_f64 v[204:205], v[173:174], v[5:6]
	v_fma_f64 v[137:138], v[171:172], v[7:8], v[137:138]
	s_waitcnt vmcnt(57)
	v_fma_f64 v[173:174], v[173:174], v[1:2], -v[211:212]
	ds_read_b128 v[5:8], v179 offset:1568
	v_mul_f64 v[171:172], v[180:181], v[3:4]
	s_waitcnt vmcnt(51)
	v_fma_f64 v[180:181], v[180:181], v[153:154], -v[215:216]
	v_add_f64 v[169:170], v[169:170], 0
	v_fma_f64 v[175:176], v[175:176], v[1:2], v[204:205]
	v_add_f64 v[137:138], v[137:138], 0
	s_clause 0x4
	buffer_load_dword v205, off, s[0:3], 0 offset:796
	buffer_load_dword v217, off, s[0:3], 0 offset:808
	;; [unrolled: 1-line block ×5, first 2 shown]
	s_waitcnt lgkmcnt(0)
	v_mul_f64 v[220:221], v[5:6], v[141:142]
	v_mul_f64 v[141:142], v[7:8], v[141:142]
	ds_read_b128 v[1:4], v179 offset:1584
	v_fma_f64 v[153:154], v[182:183], v[153:154], v[171:172]
	v_add_f64 v[173:174], v[169:170], v[173:174]
	v_add_f64 v[137:138], v[137:138], v[175:176]
	s_clause 0x2
	buffer_load_dword v218, off, s[0:3], 0 offset:812
	buffer_load_dword v176, off, s[0:3], 0 offset:788
	;; [unrolled: 1-line block ×3, first 2 shown]
	s_waitcnt vmcnt(58) lgkmcnt(0)
	v_mul_f64 v[182:183], v[1:2], v[145:146]
	v_mul_f64 v[145:146], v[3:4], v[145:146]
	s_waitcnt vmcnt(56)
	v_fma_f64 v[141:142], v[5:6], v[147:148], -v[141:142]
	ds_read_b128 v[169:172], v179 offset:1600
	v_fma_f64 v[147:148], v[7:8], v[147:148], v[220:221]
	v_add_f64 v[173:174], v[173:174], v[180:181]
	v_add_f64 v[137:138], v[137:138], v[153:154]
	s_clause 0x4
	buffer_load_dword v154, off, s[0:3], 0 offset:828
	buffer_load_dword v180, off, s[0:3], 0 offset:840
	;; [unrolled: 1-line block ×5, first 2 shown]
	ds_read_b128 v[5:8], v179 offset:1616
	s_waitcnt vmcnt(57) lgkmcnt(1)
	v_mul_f64 v[221:222], v[169:170], v[149:150]
	v_mul_f64 v[149:150], v[171:172], v[149:150]
	s_waitcnt vmcnt(56)
	v_fma_f64 v[145:146], v[1:2], v[139:140], -v[145:146]
	v_fma_f64 v[139:140], v[3:4], v[139:140], v[182:183]
	v_add_f64 v[141:142], v[173:174], v[141:142]
	v_add_f64 v[137:138], v[137:138], v[147:148]
	s_clause 0x2
	buffer_load_dword v181, off, s[0:3], 0 offset:844
	buffer_load_dword v148, off, s[0:3], 0 offset:820
	;; [unrolled: 1-line block ×3, first 2 shown]
	s_waitcnt vmcnt(58) lgkmcnt(0)
	v_mul_f64 v[173:174], v[5:6], v[155:156]
	v_mul_f64 v[155:156], v[7:8], v[155:156]
	s_waitcnt vmcnt(56)
	v_fma_f64 v[149:150], v[169:170], v[157:158], -v[149:150]
	ds_read_b128 v[1:4], v179 offset:1632
	v_add_f64 v[141:142], v[141:142], v[145:146]
	v_fma_f64 v[145:146], v[171:172], v[157:158], v[221:222]
	v_add_f64 v[157:158], v[137:138], v[139:140]
	s_clause 0x4
	buffer_load_dword v170, off, s[0:3], 0 offset:860
	buffer_load_dword v171, off, s[0:3], 0 offset:872
	;; [unrolled: 1-line block ×5, first 2 shown]
	ds_read_b128 v[137:140], v179 offset:1648
	s_waitcnt vmcnt(57) lgkmcnt(1)
	v_mul_f64 v[221:222], v[1:2], v[159:160]
	v_mul_f64 v[159:160], v[3:4], v[159:160]
	s_waitcnt vmcnt(56)
	v_fma_f64 v[155:156], v[5:6], v[143:144], -v[155:156]
	v_fma_f64 v[143:144], v[7:8], v[143:144], v[173:174]
	v_add_f64 v[141:142], v[141:142], v[149:150]
	s_clause 0x2
	buffer_load_dword v172, off, s[0:3], 0 offset:876
	buffer_load_dword v150, off, s[0:3], 0 offset:852
	;; [unrolled: 1-line block ×3, first 2 shown]
	v_add_f64 v[145:146], v[157:158], v[145:146]
	s_waitcnt vmcnt(58) lgkmcnt(0)
	v_mul_f64 v[157:158], v[137:138], v[163:164]
	v_mul_f64 v[163:164], v[139:140], v[163:164]
	ds_read_b128 v[5:8], v179 offset:1664
	s_waitcnt vmcnt(56)
	v_fma_f64 v[159:160], v[1:2], v[165:166], -v[159:160]
	v_add_f64 v[141:142], v[141:142], v[155:156]
	v_fma_f64 v[155:156], v[3:4], v[165:166], v[221:222]
	v_add_f64 v[143:144], v[145:146], v[143:144]
	s_clause 0x4
	buffer_load_dword v146, off, s[0:3], 0 offset:892
	buffer_load_dword v165, off, s[0:3], 0 offset:904
	;; [unrolled: 1-line block ×5, first 2 shown]
	s_waitcnt vmcnt(57) lgkmcnt(0)
	v_mul_f64 v[221:222], v[5:6], v[167:168]
	v_mul_f64 v[167:168], v[7:8], v[167:168]
	s_waitcnt vmcnt(56)
	v_fma_f64 v[163:164], v[137:138], v[151:152], -v[163:164]
	ds_read_b128 v[1:4], v179 offset:1680
	v_fma_f64 v[151:152], v[139:140], v[151:152], v[157:158]
	v_add_f64 v[141:142], v[141:142], v[159:160]
	v_add_f64 v[143:144], v[143:144], v[155:156]
	s_clause 0x2
	buffer_load_dword v166, off, s[0:3], 0 offset:908
	buffer_load_dword v156, off, s[0:3], 0 offset:884
	;; [unrolled: 1-line block ×3, first 2 shown]
	ds_read_b128 v[137:140], v179 offset:1696
	s_waitcnt vmcnt(58) lgkmcnt(1)
	v_mul_f64 v[159:160], v[3:4], v[177:178]
	s_waitcnt vmcnt(56)
	v_fma_f64 v[167:168], v[5:6], v[184:185], -v[167:168]
	v_mul_f64 v[157:158], v[1:2], v[177:178]
	v_add_f64 v[141:142], v[141:142], v[163:164]
	v_fma_f64 v[163:164], v[7:8], v[184:185], v[221:222]
	v_add_f64 v[143:144], v[143:144], v[151:152]
	s_clause 0x4
	buffer_load_dword v152, off, s[0:3], 0 offset:924
	buffer_load_dword v177, off, s[0:3], 0 offset:936
	;; [unrolled: 1-line block ×5, first 2 shown]
	s_waitcnt vmcnt(57) lgkmcnt(0)
	v_mul_f64 v[221:222], v[137:138], v[186:187]
	v_mul_f64 v[185:186], v[139:140], v[186:187]
	s_waitcnt vmcnt(56)
	v_fma_f64 v[159:160], v[1:2], v[161:162], -v[159:160]
	ds_read_b128 v[5:8], v179 offset:1712
	v_fma_f64 v[157:158], v[3:4], v[161:162], v[157:158]
	s_clause 0x2
	buffer_load_dword v178, off, s[0:3], 0 offset:940
	buffer_load_dword v162, off, s[0:3], 0 offset:916
	buffer_load_dword v161, off, s[0:3], 0 offset:912
	ds_read_b128 v[1:4], v179 offset:1728
	v_add_f64 v[141:142], v[141:142], v[167:168]
	v_add_f64 v[143:144], v[143:144], v[163:164]
	s_waitcnt vmcnt(58) lgkmcnt(1)
	v_mul_f64 v[167:168], v[7:8], v[188:189]
	s_waitcnt vmcnt(56)
	v_fma_f64 v[186:187], v[137:138], v[192:193], -v[185:186]
	v_mul_f64 v[163:164], v[5:6], v[188:189]
	v_add_f64 v[141:142], v[141:142], v[159:160]
	v_fma_f64 v[159:160], v[139:140], v[192:193], v[221:222]
	v_add_f64 v[143:144], v[143:144], v[157:158]
	s_clause 0x4
	buffer_load_dword v158, off, s[0:3], 0 offset:956
	buffer_load_dword v188, off, s[0:3], 0 offset:968
	;; [unrolled: 1-line block ×5, first 2 shown]
	s_waitcnt vmcnt(57) lgkmcnt(0)
	v_mul_f64 v[221:222], v[1:2], v[194:195]
	v_mul_f64 v[193:194], v[3:4], v[194:195]
	s_waitcnt vmcnt(56)
	v_fma_f64 v[167:168], v[5:6], v[190:191], -v[167:168]
	ds_read_b128 v[137:140], v179 offset:1744
	v_fma_f64 v[163:164], v[7:8], v[190:191], v[163:164]
	v_add_f64 v[141:142], v[141:142], v[186:187]
	v_add_f64 v[143:144], v[143:144], v[159:160]
	s_clause 0x2
	buffer_load_dword v189, off, s[0:3], 0 offset:972
	buffer_load_dword v160, off, s[0:3], 0 offset:948
	buffer_load_dword v159, off, s[0:3], 0 offset:944
	ds_read_b128 v[5:8], v179 offset:1760
	s_waitcnt vmcnt(58) lgkmcnt(1)
	v_mul_f64 v[190:191], v[139:140], v[198:199]
	s_waitcnt vmcnt(56)
	v_fma_f64 v[194:195], v[1:2], v[202:203], -v[193:194]
	v_mul_f64 v[186:187], v[137:138], v[198:199]
	v_add_f64 v[141:142], v[141:142], v[167:168]
	v_fma_f64 v[167:168], v[3:4], v[202:203], v[221:222]
	v_add_f64 v[143:144], v[143:144], v[163:164]
	s_clause 0x4
	buffer_load_dword v164, off, s[0:3], 0 offset:988
	buffer_load_dword v198, off, s[0:3], 0 offset:1000
	;; [unrolled: 1-line block ×5, first 2 shown]
	s_waitcnt vmcnt(57) lgkmcnt(0)
	v_mul_f64 v[221:222], v[5:6], v[206:207]
	v_mul_f64 v[206:207], v[7:8], v[206:207]
	s_waitcnt vmcnt(56)
	v_fma_f64 v[190:191], v[137:138], v[200:201], -v[190:191]
	ds_read_b128 v[1:4], v179 offset:1776
	v_fma_f64 v[186:187], v[139:140], v[200:201], v[186:187]
	v_add_f64 v[141:142], v[141:142], v[194:195]
	v_add_f64 v[143:144], v[143:144], v[167:168]
	s_clause 0x2
	buffer_load_dword v199, off, s[0:3], 0 offset:1004
	buffer_load_dword v168, off, s[0:3], 0 offset:980
	;; [unrolled: 1-line block ×3, first 2 shown]
	ds_read_b128 v[137:140], v179 offset:1792
	s_waitcnt vmcnt(58) lgkmcnt(1)
	v_mul_f64 v[200:201], v[3:4], v[208:209]
	s_waitcnt vmcnt(56)
	v_fma_f64 v[206:207], v[5:6], v[213:214], -v[206:207]
	v_mul_f64 v[194:195], v[1:2], v[208:209]
	v_add_f64 v[141:142], v[141:142], v[190:191]
	v_fma_f64 v[190:191], v[7:8], v[213:214], v[221:222]
	v_add_f64 v[143:144], v[143:144], v[186:187]
	s_clause 0x4
	buffer_load_dword v187, off, s[0:3], 0 offset:1020
	buffer_load_dword v208, off, s[0:3], 0 offset:1032
	;; [unrolled: 1-line block ×5, first 2 shown]
	ds_read_b128 v[5:8], v179 offset:1808
	s_waitcnt vmcnt(57) lgkmcnt(1)
	v_mul_f64 v[213:214], v[137:138], v[204:205]
	v_mul_f64 v[204:205], v[139:140], v[204:205]
	s_waitcnt vmcnt(56)
	v_fma_f64 v[200:201], v[1:2], v[210:211], -v[200:201]
	v_fma_f64 v[194:195], v[3:4], v[210:211], v[194:195]
	v_add_f64 v[141:142], v[141:142], v[206:207]
	v_add_f64 v[143:144], v[143:144], v[190:191]
	s_clause 0x2
	buffer_load_dword v209, off, s[0:3], 0 offset:1036
	buffer_load_dword v191, off, s[0:3], 0 offset:1012
	;; [unrolled: 1-line block ×3, first 2 shown]
	ds_read_b128 v[1:4], v179 offset:1824
	s_waitcnt vmcnt(58) lgkmcnt(1)
	v_mul_f64 v[210:211], v[7:8], v[217:218]
	v_mul_f64 v[206:207], v[5:6], v[217:218]
	s_waitcnt vmcnt(56)
	v_fma_f64 v[204:205], v[137:138], v[175:176], -v[204:205]
	v_fma_f64 v[175:176], v[139:140], v[175:176], v[213:214]
	buffer_load_dword v213, off, s[0:3], 0 offset:1028
	ds_read_b128 v[137:140], v179 offset:1840
	v_add_f64 v[141:142], v[141:142], v[200:201]
	v_add_f64 v[143:144], v[143:144], v[194:195]
	s_waitcnt vmcnt(53) lgkmcnt(1)
	v_mul_f64 v[194:195], v[1:2], v[153:154]
	v_mul_f64 v[153:154], v[3:4], v[153:154]
	s_waitcnt vmcnt(52)
	v_fma_f64 v[200:201], v[5:6], v[219:220], -v[210:211]
	v_add_f64 v[141:142], v[141:142], v[204:205]
	v_fma_f64 v[204:205], v[7:8], v[219:220], v[206:207]
	v_add_f64 v[143:144], v[143:144], v[175:176]
	ds_read_b128 v[5:8], v179 offset:1856
	s_waitcnt vmcnt(51) lgkmcnt(1)
	v_mul_f64 v[175:176], v[137:138], v[180:181]
	v_mul_f64 v[180:181], v[139:140], v[180:181]
	s_waitcnt vmcnt(49)
	v_fma_f64 v[153:154], v[1:2], v[147:148], -v[153:154]
	v_fma_f64 v[147:148], v[3:4], v[147:148], v[194:195]
	v_add_f64 v[141:142], v[141:142], v[200:201]
	s_clause 0x3
	buffer_load_dword v194, off, s[0:3], 0 offset:496
	buffer_load_dword v195, off, s[0:3], 0 offset:500
	buffer_load_dword v200, off, s[0:3], 0 offset:504
	buffer_load_dword v201, off, s[0:3], 0 offset:508
	v_add_f64 v[143:144], v[143:144], v[204:205]
	ds_read_b128 v[1:4], v179 offset:1872
	s_waitcnt vmcnt(49) lgkmcnt(1)
	v_mul_f64 v[204:205], v[5:6], v[169:170]
	v_mul_f64 v[169:170], v[7:8], v[169:170]
	s_waitcnt vmcnt(48)
	v_fma_f64 v[180:181], v[137:138], v[215:216], -v[180:181]
	v_add_f64 v[141:142], v[141:142], v[153:154]
	v_fma_f64 v[153:154], v[139:140], v[215:216], v[175:176]
	v_add_f64 v[143:144], v[143:144], v[147:148]
	ds_read_b128 v[137:140], v179 offset:1888
	s_waitcnt vmcnt(47) lgkmcnt(1)
	v_mul_f64 v[147:148], v[1:2], v[171:172]
	v_mul_f64 v[171:172], v[3:4], v[171:172]
	s_waitcnt vmcnt(45)
	v_fma_f64 v[169:170], v[5:6], v[149:150], -v[169:170]
	v_fma_f64 v[149:150], v[7:8], v[149:150], v[204:205]
	ds_read_b128 v[5:8], v179 offset:1904
	v_add_f64 v[141:142], v[141:142], v[180:181]
	v_add_f64 v[143:144], v[143:144], v[153:154]
	s_waitcnt vmcnt(41) lgkmcnt(1)
	v_mul_f64 v[153:154], v[137:138], v[145:146]
	v_mul_f64 v[145:146], v[139:140], v[145:146]
	s_waitcnt vmcnt(40)
	v_fma_f64 v[171:172], v[1:2], v[182:183], -v[171:172]
	v_fma_f64 v[147:148], v[3:4], v[182:183], v[147:148]
	ds_read_b128 v[1:4], v179 offset:1920
	v_add_f64 v[141:142], v[141:142], v[169:170]
	v_add_f64 v[143:144], v[143:144], v[149:150]
	;; [unrolled: 9-line block ×3, first 2 shown]
	s_waitcnt vmcnt(33) lgkmcnt(1)
	v_mul_f64 v[147:148], v[1:2], v[151:152]
	v_mul_f64 v[151:152], v[3:4], v[151:152]
	s_waitcnt vmcnt(32)
	v_fma_f64 v[155:156], v[5:6], v[173:174], -v[165:166]
	v_add_f64 v[141:142], v[141:142], v[145:146]
	v_fma_f64 v[145:146], v[7:8], v[173:174], v[149:150]
	v_add_f64 v[143:144], v[143:144], v[153:154]
	ds_read_b128 v[5:8], v179 offset:1952
	s_waitcnt vmcnt(31) lgkmcnt(1)
	v_mul_f64 v[153:154], v[139:140], v[177:178]
	v_mul_f64 v[149:150], v[137:138], v[177:178]
	s_waitcnt vmcnt(29)
	v_fma_f64 v[147:148], v[3:4], v[161:162], v[147:148]
	v_fma_f64 v[151:152], v[1:2], v[161:162], -v[151:152]
	ds_read_b128 v[1:4], v179 offset:1968
	v_add_f64 v[141:142], v[141:142], v[155:156]
	v_add_f64 v[143:144], v[143:144], v[145:146]
	s_waitcnt vmcnt(25) lgkmcnt(1)
	v_mul_f64 v[155:156], v[7:8], v[157:158]
	s_waitcnt vmcnt(24)
	v_fma_f64 v[153:154], v[137:138], v[184:185], -v[153:154]
	v_mul_f64 v[145:146], v[5:6], v[157:158]
	v_fma_f64 v[149:150], v[139:140], v[184:185], v[149:150]
	ds_read_b128 v[137:140], v179 offset:1984
	v_add_f64 v[141:142], v[141:142], v[151:152]
	v_add_f64 v[143:144], v[143:144], v[147:148]
	s_waitcnt vmcnt(23) lgkmcnt(1)
	v_mul_f64 v[151:152], v[3:4], v[188:189]
	v_mul_f64 v[147:148], v[1:2], v[188:189]
	s_waitcnt vmcnt(21)
	v_fma_f64 v[155:156], v[5:6], v[159:160], -v[155:156]
	v_fma_f64 v[145:146], v[7:8], v[159:160], v[145:146]
	ds_read_b128 v[5:8], v179 offset:2000
	v_add_f64 v[141:142], v[141:142], v[153:154]
	v_add_f64 v[143:144], v[143:144], v[149:150]
	s_waitcnt vmcnt(17) lgkmcnt(1)
	v_mul_f64 v[153:154], v[139:140], v[163:164]
	s_waitcnt vmcnt(16)
	v_fma_f64 v[151:152], v[1:2], v[192:193], -v[151:152]
	v_mul_f64 v[149:150], v[137:138], v[163:164]
	v_fma_f64 v[147:148], v[3:4], v[192:193], v[147:148]
	ds_read_b128 v[1:4], v179 offset:2016
	v_add_f64 v[141:142], v[141:142], v[155:156]
	v_add_f64 v[143:144], v[143:144], v[145:146]
	s_waitcnt vmcnt(15) lgkmcnt(1)
	v_mul_f64 v[155:156], v[7:8], v[198:199]
	v_mul_f64 v[145:146], v[5:6], v[198:199]
	s_waitcnt vmcnt(13)
	v_fma_f64 v[153:154], v[137:138], v[167:168], -v[153:154]
	v_fma_f64 v[149:150], v[139:140], v[167:168], v[149:150]
	ds_read_b128 v[137:140], v179 offset:2032
	v_add_f64 v[141:142], v[141:142], v[151:152]
	v_add_f64 v[143:144], v[143:144], v[147:148]
	s_waitcnt vmcnt(9) lgkmcnt(1)
	v_mul_f64 v[151:152], v[3:4], v[186:187]
	s_waitcnt vmcnt(8)
	v_fma_f64 v[5:6], v[5:6], v[202:203], -v[155:156]
	v_mul_f64 v[147:148], v[1:2], v[186:187]
	v_fma_f64 v[7:8], v[7:8], v[202:203], v[145:146]
	v_add_f64 v[141:142], v[141:142], v[153:154]
	v_add_f64 v[143:144], v[143:144], v[149:150]
	s_waitcnt vmcnt(7) lgkmcnt(0)
	v_mul_f64 v[149:150], v[139:140], v[208:209]
	v_mul_f64 v[145:146], v[137:138], v[208:209]
	s_waitcnt vmcnt(5)
	v_fma_f64 v[1:2], v[1:2], v[190:191], -v[151:152]
	v_fma_f64 v[3:4], v[3:4], v[190:191], v[147:148]
	v_add_f64 v[5:6], v[141:142], v[5:6]
	v_add_f64 v[7:8], v[143:144], v[7:8]
	s_waitcnt vmcnt(4)
	v_fma_f64 v[137:138], v[137:138], v[212:213], -v[149:150]
	v_add_f64 v[1:2], v[5:6], v[1:2]
	v_fma_f64 v[5:6], v[139:140], v[212:213], v[145:146]
	v_add_f64 v[3:4], v[7:8], v[3:4]
	v_add_f64 v[1:2], v[1:2], v[137:138]
	;; [unrolled: 1-line block ×3, first 2 shown]
	s_waitcnt vmcnt(2)
	v_add_f64 v[1:2], v[194:195], -v[1:2]
	s_waitcnt vmcnt(0)
	v_add_f64 v[3:4], v[200:201], -v[3:4]
	buffer_store_dword v2, off, s[0:3], 0 offset:500
	buffer_store_dword v1, off, s[0:3], 0 offset:496
	;; [unrolled: 1-line block ×4, first 2 shown]
	v_cmpx_lt_u32_e32 29, v0
	s_cbranch_execz .LBB127_351
; %bb.350:
	v_mov_b32_e32 v4, s49
	s_clause 0x3
	buffer_load_dword v1, v4, s[0:3], 0 offen
	buffer_load_dword v2, v4, s[0:3], 0 offen offset:4
	buffer_load_dword v3, v4, s[0:3], 0 offen offset:8
	;; [unrolled: 1-line block ×3, first 2 shown]
	buffer_store_dword v179, off, s[0:3], 0 offset:480
	buffer_store_dword v179, off, s[0:3], 0 offset:484
	;; [unrolled: 1-line block ×4, first 2 shown]
	s_waitcnt vmcnt(0)
	ds_write_b128 v197, v[1:4]
.LBB127_351:
	s_or_b32 exec_lo, exec_lo, s4
	s_waitcnt lgkmcnt(0)
	s_waitcnt_vscnt null, 0x0
	s_barrier
	buffer_gl0_inv
	s_clause 0x37
	buffer_load_dword v137, off, s[0:3], 0 offset:504
	buffer_load_dword v138, off, s[0:3], 0 offset:508
	;; [unrolled: 1-line block ×56, first 2 shown]
	ds_read_b128 v[180:183], v179 offset:1504
	s_clause 0x2
	buffer_load_dword v201, off, s[0:3], 0 offset:732
	buffer_load_dword v203, off, s[0:3], 0 offset:708
	buffer_load_dword v202, off, s[0:3], 0 offset:704
	ds_read_b128 v[184:187], v179 offset:1520
	s_clause 0x4
	buffer_load_dword v207, off, s[0:3], 0 offset:748
	buffer_load_dword v208, off, s[0:3], 0 offset:760
	;; [unrolled: 1-line block ×5, first 2 shown]
	ds_read_b128 v[188:191], v179 offset:1536
	s_clause 0x2
	buffer_load_dword v209, off, s[0:3], 0 offset:764
	buffer_load_dword v214, off, s[0:3], 0 offset:740
	;; [unrolled: 1-line block ×3, first 2 shown]
	s_mov_b32 s4, exec_lo
	s_waitcnt vmcnt(62) lgkmcnt(2)
	v_mul_f64 v[204:205], v[182:183], v[137:138]
	v_mul_f64 v[137:138], v[180:181], v[137:138]
	s_waitcnt lgkmcnt(1)
	v_mul_f64 v[211:212], v[186:187], v[5:6]
	s_waitcnt vmcnt(59) lgkmcnt(0)
	v_mul_f64 v[215:216], v[190:191], v[3:4]
	v_fma_f64 v[180:181], v[180:181], v[7:8], -v[204:205]
	v_mul_f64 v[204:205], v[184:185], v[5:6]
	v_fma_f64 v[137:138], v[182:183], v[7:8], v[137:138]
	s_waitcnt vmcnt(57)
	v_fma_f64 v[184:185], v[184:185], v[1:2], -v[211:212]
	ds_read_b128 v[5:8], v179 offset:1552
	v_mul_f64 v[182:183], v[188:189], v[3:4]
	s_waitcnt vmcnt(51)
	v_fma_f64 v[188:189], v[188:189], v[153:154], -v[215:216]
	v_add_f64 v[180:181], v[180:181], 0
	v_fma_f64 v[186:187], v[186:187], v[1:2], v[204:205]
	v_add_f64 v[137:138], v[137:138], 0
	s_clause 0x4
	buffer_load_dword v205, off, s[0:3], 0 offset:780
	buffer_load_dword v217, off, s[0:3], 0 offset:792
	;; [unrolled: 1-line block ×5, first 2 shown]
	s_waitcnt lgkmcnt(0)
	v_mul_f64 v[220:221], v[5:6], v[141:142]
	v_mul_f64 v[141:142], v[7:8], v[141:142]
	ds_read_b128 v[1:4], v179 offset:1568
	v_fma_f64 v[153:154], v[190:191], v[153:154], v[182:183]
	v_add_f64 v[184:185], v[180:181], v[184:185]
	v_add_f64 v[137:138], v[137:138], v[186:187]
	s_clause 0x2
	buffer_load_dword v218, off, s[0:3], 0 offset:796
	buffer_load_dword v187, off, s[0:3], 0 offset:772
	;; [unrolled: 1-line block ×3, first 2 shown]
	s_waitcnt vmcnt(58) lgkmcnt(0)
	v_mul_f64 v[190:191], v[1:2], v[145:146]
	v_mul_f64 v[145:146], v[3:4], v[145:146]
	s_waitcnt vmcnt(56)
	v_fma_f64 v[141:142], v[5:6], v[147:148], -v[141:142]
	ds_read_b128 v[180:183], v179 offset:1584
	v_fma_f64 v[147:148], v[7:8], v[147:148], v[220:221]
	v_add_f64 v[184:185], v[184:185], v[188:189]
	v_add_f64 v[137:138], v[137:138], v[153:154]
	s_clause 0x4
	buffer_load_dword v154, off, s[0:3], 0 offset:812
	buffer_load_dword v188, off, s[0:3], 0 offset:824
	;; [unrolled: 1-line block ×5, first 2 shown]
	ds_read_b128 v[5:8], v179 offset:1600
	s_waitcnt vmcnt(57) lgkmcnt(1)
	v_mul_f64 v[221:222], v[180:181], v[149:150]
	v_mul_f64 v[149:150], v[182:183], v[149:150]
	s_waitcnt vmcnt(56)
	v_fma_f64 v[145:146], v[1:2], v[139:140], -v[145:146]
	v_fma_f64 v[139:140], v[3:4], v[139:140], v[190:191]
	v_add_f64 v[141:142], v[184:185], v[141:142]
	v_add_f64 v[137:138], v[137:138], v[147:148]
	s_clause 0x2
	buffer_load_dword v189, off, s[0:3], 0 offset:828
	buffer_load_dword v148, off, s[0:3], 0 offset:804
	;; [unrolled: 1-line block ×3, first 2 shown]
	s_waitcnt vmcnt(58) lgkmcnt(0)
	v_mul_f64 v[184:185], v[5:6], v[155:156]
	v_mul_f64 v[155:156], v[7:8], v[155:156]
	s_waitcnt vmcnt(56)
	v_fma_f64 v[149:150], v[180:181], v[157:158], -v[149:150]
	ds_read_b128 v[1:4], v179 offset:1616
	v_add_f64 v[141:142], v[141:142], v[145:146]
	v_fma_f64 v[145:146], v[182:183], v[157:158], v[221:222]
	v_add_f64 v[157:158], v[137:138], v[139:140]
	s_clause 0x4
	buffer_load_dword v181, off, s[0:3], 0 offset:844
	buffer_load_dword v182, off, s[0:3], 0 offset:856
	;; [unrolled: 1-line block ×5, first 2 shown]
	ds_read_b128 v[137:140], v179 offset:1632
	s_waitcnt vmcnt(57) lgkmcnt(1)
	v_mul_f64 v[221:222], v[1:2], v[159:160]
	v_mul_f64 v[159:160], v[3:4], v[159:160]
	s_waitcnt vmcnt(56)
	v_fma_f64 v[155:156], v[5:6], v[143:144], -v[155:156]
	v_fma_f64 v[143:144], v[7:8], v[143:144], v[184:185]
	v_add_f64 v[141:142], v[141:142], v[149:150]
	s_clause 0x2
	buffer_load_dword v183, off, s[0:3], 0 offset:860
	buffer_load_dword v150, off, s[0:3], 0 offset:836
	;; [unrolled: 1-line block ×3, first 2 shown]
	v_add_f64 v[145:146], v[157:158], v[145:146]
	s_waitcnt vmcnt(58) lgkmcnt(0)
	v_mul_f64 v[157:158], v[137:138], v[163:164]
	v_mul_f64 v[163:164], v[139:140], v[163:164]
	ds_read_b128 v[5:8], v179 offset:1648
	s_waitcnt vmcnt(56)
	v_fma_f64 v[159:160], v[1:2], v[165:166], -v[159:160]
	v_add_f64 v[141:142], v[141:142], v[155:156]
	v_fma_f64 v[155:156], v[3:4], v[165:166], v[221:222]
	v_add_f64 v[143:144], v[145:146], v[143:144]
	s_clause 0x4
	buffer_load_dword v146, off, s[0:3], 0 offset:876
	buffer_load_dword v165, off, s[0:3], 0 offset:888
	;; [unrolled: 1-line block ×5, first 2 shown]
	s_waitcnt vmcnt(57) lgkmcnt(0)
	v_mul_f64 v[221:222], v[5:6], v[167:168]
	v_mul_f64 v[167:168], v[7:8], v[167:168]
	s_waitcnt vmcnt(56)
	v_fma_f64 v[163:164], v[137:138], v[151:152], -v[163:164]
	ds_read_b128 v[1:4], v179 offset:1664
	v_fma_f64 v[151:152], v[139:140], v[151:152], v[157:158]
	v_add_f64 v[141:142], v[141:142], v[159:160]
	v_add_f64 v[143:144], v[143:144], v[155:156]
	s_clause 0x2
	buffer_load_dword v166, off, s[0:3], 0 offset:892
	buffer_load_dword v156, off, s[0:3], 0 offset:868
	;; [unrolled: 1-line block ×3, first 2 shown]
	ds_read_b128 v[137:140], v179 offset:1680
	s_waitcnt vmcnt(58) lgkmcnt(1)
	v_mul_f64 v[159:160], v[3:4], v[171:172]
	s_waitcnt vmcnt(56)
	v_fma_f64 v[167:168], v[5:6], v[173:174], -v[167:168]
	v_mul_f64 v[157:158], v[1:2], v[171:172]
	v_add_f64 v[141:142], v[141:142], v[163:164]
	v_fma_f64 v[163:164], v[7:8], v[173:174], v[221:222]
	v_add_f64 v[143:144], v[143:144], v[151:152]
	s_clause 0x4
	buffer_load_dword v152, off, s[0:3], 0 offset:908
	buffer_load_dword v171, off, s[0:3], 0 offset:920
	;; [unrolled: 1-line block ×5, first 2 shown]
	s_waitcnt vmcnt(57) lgkmcnt(0)
	v_mul_f64 v[221:222], v[137:138], v[175:176]
	v_mul_f64 v[174:175], v[139:140], v[175:176]
	s_waitcnt vmcnt(56)
	v_fma_f64 v[159:160], v[1:2], v[161:162], -v[159:160]
	ds_read_b128 v[5:8], v179 offset:1696
	v_fma_f64 v[157:158], v[3:4], v[161:162], v[157:158]
	s_clause 0x2
	buffer_load_dword v172, off, s[0:3], 0 offset:924
	buffer_load_dword v162, off, s[0:3], 0 offset:900
	;; [unrolled: 1-line block ×3, first 2 shown]
	ds_read_b128 v[1:4], v179 offset:1712
	v_add_f64 v[141:142], v[141:142], v[167:168]
	v_add_f64 v[143:144], v[143:144], v[163:164]
	s_waitcnt vmcnt(58) lgkmcnt(1)
	v_mul_f64 v[167:168], v[7:8], v[192:193]
	s_waitcnt vmcnt(56)
	v_fma_f64 v[175:176], v[137:138], v[194:195], -v[174:175]
	v_mul_f64 v[163:164], v[5:6], v[192:193]
	v_add_f64 v[141:142], v[141:142], v[159:160]
	v_fma_f64 v[159:160], v[139:140], v[194:195], v[221:222]
	v_add_f64 v[143:144], v[143:144], v[157:158]
	s_clause 0x4
	buffer_load_dword v158, off, s[0:3], 0 offset:940
	buffer_load_dword v192, off, s[0:3], 0 offset:952
	;; [unrolled: 1-line block ×5, first 2 shown]
	s_waitcnt vmcnt(57) lgkmcnt(0)
	v_mul_f64 v[195:196], v[1:2], v[198:199]
	v_mul_f64 v[198:199], v[3:4], v[198:199]
	s_waitcnt vmcnt(56)
	v_fma_f64 v[167:168], v[5:6], v[169:170], -v[167:168]
	ds_read_b128 v[137:140], v179 offset:1728
	v_fma_f64 v[163:164], v[7:8], v[169:170], v[163:164]
	v_add_f64 v[141:142], v[141:142], v[175:176]
	v_add_f64 v[143:144], v[143:144], v[159:160]
	s_clause 0x2
	buffer_load_dword v193, off, s[0:3], 0 offset:956
	buffer_load_dword v160, off, s[0:3], 0 offset:932
	buffer_load_dword v159, off, s[0:3], 0 offset:928
	ds_read_b128 v[5:8], v179 offset:1744
	s_waitcnt vmcnt(58) lgkmcnt(1)
	v_mul_f64 v[175:176], v[139:140], v[200:201]
	s_waitcnt vmcnt(56)
	v_fma_f64 v[198:199], v[1:2], v[202:203], -v[198:199]
	v_mul_f64 v[169:170], v[137:138], v[200:201]
	v_add_f64 v[141:142], v[141:142], v[167:168]
	v_fma_f64 v[167:168], v[3:4], v[202:203], v[195:196]
	v_add_f64 v[143:144], v[143:144], v[163:164]
	s_clause 0x4
	buffer_load_dword v164, off, s[0:3], 0 offset:972
	buffer_load_dword v200, off, s[0:3], 0 offset:984
	;; [unrolled: 1-line block ×5, first 2 shown]
	s_waitcnt vmcnt(57) lgkmcnt(0)
	v_mul_f64 v[221:222], v[5:6], v[206:207]
	v_mul_f64 v[206:207], v[7:8], v[206:207]
	s_waitcnt vmcnt(56)
	v_fma_f64 v[175:176], v[137:138], v[177:178], -v[175:176]
	ds_read_b128 v[1:4], v179 offset:1760
	v_fma_f64 v[169:170], v[139:140], v[177:178], v[169:170]
	v_add_f64 v[141:142], v[141:142], v[198:199]
	v_add_f64 v[143:144], v[143:144], v[167:168]
	s_clause 0x2
	buffer_load_dword v201, off, s[0:3], 0 offset:988
	buffer_load_dword v168, off, s[0:3], 0 offset:964
	;; [unrolled: 1-line block ×3, first 2 shown]
	ds_read_b128 v[137:140], v179 offset:1776
	s_waitcnt vmcnt(58) lgkmcnt(1)
	v_mul_f64 v[198:199], v[3:4], v[208:209]
	s_waitcnt vmcnt(56)
	v_fma_f64 v[206:207], v[5:6], v[213:214], -v[206:207]
	v_mul_f64 v[177:178], v[1:2], v[208:209]
	v_add_f64 v[141:142], v[141:142], v[175:176]
	v_fma_f64 v[175:176], v[7:8], v[213:214], v[221:222]
	v_add_f64 v[143:144], v[143:144], v[169:170]
	s_clause 0x4
	buffer_load_dword v170, off, s[0:3], 0 offset:1004
	buffer_load_dword v208, off, s[0:3], 0 offset:1016
	buffer_load_dword v212, off, s[0:3], 0 offset:1008
	buffer_load_dword v169, off, s[0:3], 0 offset:1000
	buffer_load_dword v203, off, s[0:3], 0 offset:980
	ds_read_b128 v[5:8], v179 offset:1792
	s_waitcnt vmcnt(57) lgkmcnt(1)
	v_mul_f64 v[213:214], v[137:138], v[204:205]
	v_mul_f64 v[204:205], v[139:140], v[204:205]
	s_waitcnt vmcnt(56)
	v_fma_f64 v[198:199], v[1:2], v[210:211], -v[198:199]
	v_fma_f64 v[177:178], v[3:4], v[210:211], v[177:178]
	v_add_f64 v[141:142], v[141:142], v[206:207]
	v_add_f64 v[143:144], v[143:144], v[175:176]
	s_clause 0x2
	buffer_load_dword v209, off, s[0:3], 0 offset:1020
	buffer_load_dword v176, off, s[0:3], 0 offset:996
	;; [unrolled: 1-line block ×3, first 2 shown]
	ds_read_b128 v[1:4], v179 offset:1808
	s_waitcnt vmcnt(58) lgkmcnt(1)
	v_mul_f64 v[210:211], v[7:8], v[217:218]
	v_mul_f64 v[206:207], v[5:6], v[217:218]
	s_waitcnt vmcnt(56)
	v_fma_f64 v[204:205], v[137:138], v[186:187], -v[204:205]
	v_fma_f64 v[186:187], v[139:140], v[186:187], v[213:214]
	v_add_f64 v[141:142], v[141:142], v[198:199]
	v_add_f64 v[143:144], v[143:144], v[177:178]
	s_clause 0x2
	buffer_load_dword v178, off, s[0:3], 0 offset:1036
	buffer_load_dword v177, off, s[0:3], 0 offset:1032
	buffer_load_dword v213, off, s[0:3], 0 offset:1012
	ds_read_b128 v[137:140], v179 offset:1824
	s_waitcnt vmcnt(55) lgkmcnt(1)
	v_mul_f64 v[198:199], v[1:2], v[153:154]
	v_mul_f64 v[153:154], v[3:4], v[153:154]
	s_waitcnt vmcnt(54)
	v_fma_f64 v[210:211], v[5:6], v[219:220], -v[210:211]
	v_add_f64 v[141:142], v[141:142], v[204:205]
	v_fma_f64 v[204:205], v[7:8], v[219:220], v[206:207]
	v_add_f64 v[143:144], v[143:144], v[186:187]
	s_clause 0x1
	buffer_load_dword v187, off, s[0:3], 0 offset:1028
	buffer_load_dword v186, off, s[0:3], 0 offset:1024
	ds_read_b128 v[5:8], v179 offset:1840
	s_waitcnt vmcnt(55) lgkmcnt(1)
	v_mul_f64 v[206:207], v[137:138], v[188:189]
	v_mul_f64 v[188:189], v[139:140], v[188:189]
	s_waitcnt vmcnt(53)
	v_fma_f64 v[153:154], v[1:2], v[147:148], -v[153:154]
	v_fma_f64 v[147:148], v[3:4], v[147:148], v[198:199]
	ds_read_b128 v[1:4], v179 offset:1856
	v_add_f64 v[141:142], v[141:142], v[210:211]
	v_add_f64 v[143:144], v[143:144], v[204:205]
	s_waitcnt vmcnt(49) lgkmcnt(1)
	v_mul_f64 v[198:199], v[5:6], v[180:181]
	v_mul_f64 v[180:181], v[7:8], v[180:181]
	s_waitcnt vmcnt(48)
	v_fma_f64 v[188:189], v[137:138], v[215:216], -v[188:189]
	v_add_f64 v[141:142], v[141:142], v[153:154]
	v_fma_f64 v[153:154], v[139:140], v[215:216], v[206:207]
	v_add_f64 v[143:144], v[143:144], v[147:148]
	s_clause 0x3
	buffer_load_dword v147, off, s[0:3], 0 offset:480
	buffer_load_dword v148, off, s[0:3], 0 offset:484
	;; [unrolled: 1-line block ×4, first 2 shown]
	ds_read_b128 v[137:140], v179 offset:1872
	s_waitcnt vmcnt(51) lgkmcnt(1)
	v_mul_f64 v[206:207], v[1:2], v[182:183]
	v_mul_f64 v[182:183], v[3:4], v[182:183]
	s_waitcnt vmcnt(49)
	v_fma_f64 v[180:181], v[5:6], v[149:150], -v[180:181]
	v_fma_f64 v[149:150], v[7:8], v[149:150], v[198:199]
	ds_read_b128 v[5:8], v179 offset:1888
	v_add_f64 v[141:142], v[141:142], v[188:189]
	v_add_f64 v[143:144], v[143:144], v[153:154]
	s_waitcnt vmcnt(45) lgkmcnt(1)
	v_mul_f64 v[153:154], v[137:138], v[145:146]
	v_mul_f64 v[145:146], v[139:140], v[145:146]
	s_waitcnt vmcnt(44)
	v_fma_f64 v[182:183], v[1:2], v[190:191], -v[182:183]
	v_add_f64 v[141:142], v[141:142], v[180:181]
	v_fma_f64 v[180:181], v[3:4], v[190:191], v[206:207]
	v_add_f64 v[143:144], v[143:144], v[149:150]
	ds_read_b128 v[1:4], v179 offset:1904
	s_waitcnt vmcnt(43) lgkmcnt(1)
	v_mul_f64 v[149:150], v[5:6], v[165:166]
	v_mul_f64 v[165:166], v[7:8], v[165:166]
	s_waitcnt vmcnt(41)
	v_fma_f64 v[145:146], v[137:138], v[155:156], -v[145:146]
	v_fma_f64 v[153:154], v[139:140], v[155:156], v[153:154]
	ds_read_b128 v[137:140], v179 offset:1920
	v_add_f64 v[141:142], v[141:142], v[182:183]
	v_add_f64 v[143:144], v[143:144], v[180:181]
	s_waitcnt vmcnt(37) lgkmcnt(1)
	v_mul_f64 v[155:156], v[1:2], v[151:152]
	v_mul_f64 v[151:152], v[3:4], v[151:152]
	s_waitcnt vmcnt(36)
	v_fma_f64 v[165:166], v[5:6], v[184:185], -v[165:166]
	v_add_f64 v[141:142], v[141:142], v[145:146]
	v_fma_f64 v[145:146], v[7:8], v[184:185], v[149:150]
	v_add_f64 v[143:144], v[143:144], v[153:154]
	s_waitcnt vmcnt(35) lgkmcnt(0)
	v_mul_f64 v[153:154], v[139:140], v[171:172]
	ds_read_b128 v[5:8], v179 offset:1936
	v_mul_f64 v[149:150], v[137:138], v[171:172]
	s_waitcnt vmcnt(33)
	v_fma_f64 v[155:156], v[3:4], v[161:162], v[155:156]
	v_fma_f64 v[151:152], v[1:2], v[161:162], -v[151:152]
	ds_read_b128 v[1:4], v179 offset:1952
	v_add_f64 v[141:142], v[141:142], v[165:166]
	v_add_f64 v[143:144], v[143:144], v[145:146]
	s_waitcnt vmcnt(29) lgkmcnt(1)
	v_mul_f64 v[145:146], v[5:6], v[157:158]
	v_mul_f64 v[157:158], v[7:8], v[157:158]
	s_waitcnt vmcnt(28)
	v_fma_f64 v[153:154], v[137:138], v[173:174], -v[153:154]
	v_fma_f64 v[149:150], v[139:140], v[173:174], v[149:150]
	ds_read_b128 v[137:140], v179 offset:1968
	v_add_f64 v[141:142], v[141:142], v[151:152]
	v_add_f64 v[143:144], v[143:144], v[155:156]
	s_waitcnt vmcnt(27) lgkmcnt(1)
	v_mul_f64 v[155:156], v[3:4], v[192:193]
	v_mul_f64 v[151:152], v[1:2], v[192:193]
	s_waitcnt vmcnt(25)
	v_fma_f64 v[157:158], v[5:6], v[159:160], -v[157:158]
	v_fma_f64 v[145:146], v[7:8], v[159:160], v[145:146]
	ds_read_b128 v[5:8], v179 offset:1984
	v_add_f64 v[141:142], v[141:142], v[153:154]
	v_add_f64 v[143:144], v[143:144], v[149:150]
	s_waitcnt vmcnt(21) lgkmcnt(1)
	v_mul_f64 v[153:154], v[139:140], v[163:164]
	s_waitcnt vmcnt(20)
	v_fma_f64 v[155:156], v[1:2], v[194:195], -v[155:156]
	v_mul_f64 v[149:150], v[137:138], v[163:164]
	v_fma_f64 v[151:152], v[3:4], v[194:195], v[151:152]
	ds_read_b128 v[1:4], v179 offset:2000
	v_add_f64 v[141:142], v[141:142], v[157:158]
	v_add_f64 v[143:144], v[143:144], v[145:146]
	s_waitcnt vmcnt(19) lgkmcnt(1)
	v_mul_f64 v[157:158], v[7:8], v[200:201]
	v_mul_f64 v[145:146], v[5:6], v[200:201]
	s_waitcnt vmcnt(17)
	v_fma_f64 v[153:154], v[137:138], v[167:168], -v[153:154]
	v_fma_f64 v[149:150], v[139:140], v[167:168], v[149:150]
	ds_read_b128 v[137:140], v179 offset:2016
	v_add_f64 v[141:142], v[141:142], v[155:156]
	v_add_f64 v[143:144], v[143:144], v[151:152]
	s_waitcnt vmcnt(13) lgkmcnt(1)
	v_mul_f64 v[155:156], v[3:4], v[169:170]
	s_waitcnt vmcnt(12)
	v_fma_f64 v[157:158], v[5:6], v[202:203], -v[157:158]
	v_mul_f64 v[151:152], v[1:2], v[169:170]
	v_fma_f64 v[145:146], v[7:8], v[202:203], v[145:146]
	ds_read_b128 v[5:8], v179 offset:2032
	v_add_f64 v[141:142], v[141:142], v[153:154]
	v_add_f64 v[143:144], v[143:144], v[149:150]
	s_waitcnt vmcnt(11) lgkmcnt(1)
	v_mul_f64 v[153:154], v[139:140], v[208:209]
	v_mul_f64 v[149:150], v[137:138], v[208:209]
	s_waitcnt vmcnt(9)
	v_fma_f64 v[1:2], v[1:2], v[175:176], -v[155:156]
	v_fma_f64 v[3:4], v[3:4], v[175:176], v[151:152]
	v_add_f64 v[141:142], v[141:142], v[157:158]
	v_add_f64 v[143:144], v[143:144], v[145:146]
	s_waitcnt vmcnt(7) lgkmcnt(0)
	v_mul_f64 v[151:152], v[7:8], v[177:178]
	s_waitcnt vmcnt(6)
	v_fma_f64 v[137:138], v[137:138], v[212:213], -v[153:154]
	v_mul_f64 v[145:146], v[5:6], v[177:178]
	v_fma_f64 v[139:140], v[139:140], v[212:213], v[149:150]
	v_add_f64 v[1:2], v[141:142], v[1:2]
	v_add_f64 v[3:4], v[143:144], v[3:4]
	s_waitcnt vmcnt(4)
	v_fma_f64 v[5:6], v[5:6], v[186:187], -v[151:152]
	v_fma_f64 v[7:8], v[7:8], v[186:187], v[145:146]
	v_add_f64 v[1:2], v[1:2], v[137:138]
	v_add_f64 v[3:4], v[3:4], v[139:140]
	;; [unrolled: 1-line block ×4, first 2 shown]
	s_waitcnt vmcnt(2)
	v_add_f64 v[1:2], v[147:148], -v[1:2]
	s_waitcnt vmcnt(0)
	v_add_f64 v[3:4], v[204:205], -v[3:4]
	buffer_store_dword v2, off, s[0:3], 0 offset:484
	buffer_store_dword v1, off, s[0:3], 0 offset:480
	;; [unrolled: 1-line block ×4, first 2 shown]
	v_cmpx_lt_u32_e32 28, v0
	s_cbranch_execz .LBB127_353
; %bb.352:
	v_mov_b32_e32 v4, s50
	v_mov_b32_e32 v5, 0
	s_clause 0x3
	buffer_load_dword v1, v4, s[0:3], 0 offen
	buffer_load_dword v2, v4, s[0:3], 0 offen offset:4
	buffer_load_dword v3, v4, s[0:3], 0 offen offset:8
	;; [unrolled: 1-line block ×3, first 2 shown]
	buffer_store_dword v5, off, s[0:3], 0 offset:464
	buffer_store_dword v5, off, s[0:3], 0 offset:468
	;; [unrolled: 1-line block ×4, first 2 shown]
	s_waitcnt vmcnt(0)
	ds_write_b128 v197, v[1:4]
.LBB127_353:
	s_or_b32 exec_lo, exec_lo, s4
	s_waitcnt lgkmcnt(0)
	s_waitcnt_vscnt null, 0x0
	s_barrier
	buffer_gl0_inv
	s_clause 0x37
	buffer_load_dword v137, off, s[0:3], 0 offset:488
	buffer_load_dword v138, off, s[0:3], 0 offset:492
	;; [unrolled: 1-line block ×56, first 2 shown]
	v_mov_b32_e32 v189, 0
	s_mov_b32 s4, exec_lo
	ds_read_b128 v[190:193], v189 offset:1488
	s_clause 0x2
	buffer_load_dword v186, off, s[0:3], 0 offset:716
	buffer_load_dword v188, off, s[0:3], 0 offset:692
	;; [unrolled: 1-line block ×3, first 2 shown]
	ds_read_b128 v[198:201], v189 offset:1504
	s_clause 0x4
	buffer_load_dword v207, off, s[0:3], 0 offset:732
	buffer_load_dword v208, off, s[0:3], 0 offset:744
	buffer_load_dword v210, off, s[0:3], 0 offset:736
	buffer_load_dword v206, off, s[0:3], 0 offset:728
	buffer_load_dword v178, off, s[0:3], 0 offset:708
	ds_read_b128 v[202:205], v189 offset:1520
	s_clause 0x2
	buffer_load_dword v209, off, s[0:3], 0 offset:748
	buffer_load_dword v214, off, s[0:3], 0 offset:724
	;; [unrolled: 1-line block ×3, first 2 shown]
	s_waitcnt vmcnt(62) lgkmcnt(2)
	v_mul_f64 v[194:195], v[192:193], v[137:138]
	v_mul_f64 v[137:138], v[190:191], v[137:138]
	s_waitcnt lgkmcnt(1)
	v_mul_f64 v[211:212], v[200:201], v[5:6]
	s_waitcnt vmcnt(59) lgkmcnt(0)
	v_mul_f64 v[215:216], v[204:205], v[3:4]
	v_fma_f64 v[190:191], v[190:191], v[7:8], -v[194:195]
	v_mul_f64 v[194:195], v[198:199], v[5:6]
	v_fma_f64 v[137:138], v[192:193], v[7:8], v[137:138]
	s_waitcnt vmcnt(57)
	v_fma_f64 v[198:199], v[198:199], v[1:2], -v[211:212]
	ds_read_b128 v[5:8], v189 offset:1536
	v_mul_f64 v[192:193], v[202:203], v[3:4]
	s_waitcnt vmcnt(51)
	v_fma_f64 v[202:203], v[202:203], v[153:154], -v[215:216]
	v_add_f64 v[190:191], v[190:191], 0
	v_fma_f64 v[194:195], v[200:201], v[1:2], v[194:195]
	v_add_f64 v[137:138], v[137:138], 0
	s_clause 0x4
	buffer_load_dword v201, off, s[0:3], 0 offset:764
	buffer_load_dword v217, off, s[0:3], 0 offset:776
	;; [unrolled: 1-line block ×5, first 2 shown]
	s_waitcnt lgkmcnt(0)
	v_mul_f64 v[220:221], v[5:6], v[141:142]
	v_mul_f64 v[141:142], v[7:8], v[141:142]
	ds_read_b128 v[1:4], v189 offset:1552
	v_fma_f64 v[153:154], v[204:205], v[153:154], v[192:193]
	v_add_f64 v[198:199], v[190:191], v[198:199]
	v_add_f64 v[137:138], v[137:138], v[194:195]
	s_clause 0x2
	buffer_load_dword v218, off, s[0:3], 0 offset:780
	buffer_load_dword v195, off, s[0:3], 0 offset:756
	;; [unrolled: 1-line block ×3, first 2 shown]
	s_waitcnt vmcnt(58) lgkmcnt(0)
	v_mul_f64 v[204:205], v[1:2], v[145:146]
	v_mul_f64 v[145:146], v[3:4], v[145:146]
	s_waitcnt vmcnt(56)
	v_fma_f64 v[141:142], v[5:6], v[147:148], -v[141:142]
	ds_read_b128 v[190:193], v189 offset:1568
	v_fma_f64 v[147:148], v[7:8], v[147:148], v[220:221]
	v_add_f64 v[198:199], v[198:199], v[202:203]
	v_add_f64 v[137:138], v[137:138], v[153:154]
	s_clause 0x4
	buffer_load_dword v154, off, s[0:3], 0 offset:796
	buffer_load_dword v202, off, s[0:3], 0 offset:808
	;; [unrolled: 1-line block ×5, first 2 shown]
	ds_read_b128 v[5:8], v189 offset:1584
	s_waitcnt vmcnt(57) lgkmcnt(1)
	v_mul_f64 v[221:222], v[190:191], v[149:150]
	v_mul_f64 v[149:150], v[192:193], v[149:150]
	s_waitcnt vmcnt(56)
	v_fma_f64 v[145:146], v[1:2], v[139:140], -v[145:146]
	v_fma_f64 v[139:140], v[3:4], v[139:140], v[204:205]
	v_add_f64 v[141:142], v[198:199], v[141:142]
	v_add_f64 v[137:138], v[137:138], v[147:148]
	s_clause 0x2
	buffer_load_dword v203, off, s[0:3], 0 offset:812
	buffer_load_dword v148, off, s[0:3], 0 offset:788
	;; [unrolled: 1-line block ×3, first 2 shown]
	s_waitcnt vmcnt(58) lgkmcnt(0)
	v_mul_f64 v[198:199], v[5:6], v[155:156]
	v_mul_f64 v[155:156], v[7:8], v[155:156]
	s_waitcnt vmcnt(56)
	v_fma_f64 v[149:150], v[190:191], v[157:158], -v[149:150]
	ds_read_b128 v[1:4], v189 offset:1600
	v_add_f64 v[141:142], v[141:142], v[145:146]
	v_fma_f64 v[145:146], v[192:193], v[157:158], v[221:222]
	v_add_f64 v[157:158], v[137:138], v[139:140]
	s_clause 0x4
	buffer_load_dword v191, off, s[0:3], 0 offset:828
	buffer_load_dword v192, off, s[0:3], 0 offset:840
	;; [unrolled: 1-line block ×5, first 2 shown]
	ds_read_b128 v[137:140], v189 offset:1616
	s_waitcnt vmcnt(57) lgkmcnt(1)
	v_mul_f64 v[221:222], v[1:2], v[159:160]
	v_mul_f64 v[159:160], v[3:4], v[159:160]
	s_waitcnt vmcnt(56)
	v_fma_f64 v[155:156], v[5:6], v[143:144], -v[155:156]
	v_fma_f64 v[143:144], v[7:8], v[143:144], v[198:199]
	v_add_f64 v[141:142], v[141:142], v[149:150]
	s_clause 0x2
	buffer_load_dword v193, off, s[0:3], 0 offset:844
	buffer_load_dword v150, off, s[0:3], 0 offset:820
	;; [unrolled: 1-line block ×3, first 2 shown]
	v_add_f64 v[145:146], v[157:158], v[145:146]
	s_waitcnt vmcnt(58) lgkmcnt(0)
	v_mul_f64 v[157:158], v[137:138], v[163:164]
	v_mul_f64 v[163:164], v[139:140], v[163:164]
	ds_read_b128 v[5:8], v189 offset:1632
	s_waitcnt vmcnt(56)
	v_fma_f64 v[159:160], v[1:2], v[165:166], -v[159:160]
	v_add_f64 v[141:142], v[141:142], v[155:156]
	v_fma_f64 v[155:156], v[3:4], v[165:166], v[221:222]
	v_add_f64 v[143:144], v[145:146], v[143:144]
	s_clause 0x4
	buffer_load_dword v146, off, s[0:3], 0 offset:860
	buffer_load_dword v165, off, s[0:3], 0 offset:872
	;; [unrolled: 1-line block ×5, first 2 shown]
	s_waitcnt vmcnt(57) lgkmcnt(0)
	v_mul_f64 v[221:222], v[5:6], v[167:168]
	v_mul_f64 v[167:168], v[7:8], v[167:168]
	s_waitcnt vmcnt(56)
	v_fma_f64 v[163:164], v[137:138], v[151:152], -v[163:164]
	ds_read_b128 v[1:4], v189 offset:1648
	v_fma_f64 v[151:152], v[139:140], v[151:152], v[157:158]
	v_add_f64 v[141:142], v[141:142], v[159:160]
	v_add_f64 v[143:144], v[143:144], v[155:156]
	s_clause 0x2
	buffer_load_dword v166, off, s[0:3], 0 offset:876
	buffer_load_dword v156, off, s[0:3], 0 offset:852
	;; [unrolled: 1-line block ×3, first 2 shown]
	ds_read_b128 v[137:140], v189 offset:1664
	s_waitcnt vmcnt(58) lgkmcnt(1)
	v_mul_f64 v[159:160], v[3:4], v[171:172]
	s_waitcnt vmcnt(56)
	v_fma_f64 v[167:168], v[5:6], v[173:174], -v[167:168]
	v_mul_f64 v[157:158], v[1:2], v[171:172]
	v_add_f64 v[141:142], v[141:142], v[163:164]
	v_fma_f64 v[163:164], v[7:8], v[173:174], v[221:222]
	v_add_f64 v[143:144], v[143:144], v[151:152]
	s_clause 0x4
	buffer_load_dword v152, off, s[0:3], 0 offset:892
	buffer_load_dword v171, off, s[0:3], 0 offset:904
	;; [unrolled: 1-line block ×5, first 2 shown]
	s_waitcnt vmcnt(57) lgkmcnt(0)
	v_mul_f64 v[221:222], v[137:138], v[175:176]
	v_mul_f64 v[174:175], v[139:140], v[175:176]
	s_waitcnt vmcnt(56)
	v_fma_f64 v[159:160], v[1:2], v[161:162], -v[159:160]
	ds_read_b128 v[5:8], v189 offset:1680
	v_fma_f64 v[157:158], v[3:4], v[161:162], v[157:158]
	s_clause 0x2
	buffer_load_dword v172, off, s[0:3], 0 offset:908
	buffer_load_dword v162, off, s[0:3], 0 offset:884
	;; [unrolled: 1-line block ×3, first 2 shown]
	ds_read_b128 v[1:4], v189 offset:1696
	v_add_f64 v[141:142], v[141:142], v[167:168]
	v_add_f64 v[143:144], v[143:144], v[163:164]
	s_waitcnt vmcnt(58) lgkmcnt(1)
	v_mul_f64 v[167:168], v[7:8], v[179:180]
	s_waitcnt vmcnt(56)
	v_fma_f64 v[175:176], v[137:138], v[181:182], -v[174:175]
	v_mul_f64 v[163:164], v[5:6], v[179:180]
	v_add_f64 v[141:142], v[141:142], v[159:160]
	v_fma_f64 v[159:160], v[139:140], v[181:182], v[221:222]
	v_add_f64 v[143:144], v[143:144], v[157:158]
	s_clause 0x4
	buffer_load_dword v158, off, s[0:3], 0 offset:924
	buffer_load_dword v179, off, s[0:3], 0 offset:936
	;; [unrolled: 1-line block ×5, first 2 shown]
	s_waitcnt vmcnt(57) lgkmcnt(0)
	v_mul_f64 v[221:222], v[1:2], v[183:184]
	v_mul_f64 v[182:183], v[3:4], v[183:184]
	s_waitcnt vmcnt(56)
	v_fma_f64 v[167:168], v[5:6], v[169:170], -v[167:168]
	ds_read_b128 v[137:140], v189 offset:1712
	v_fma_f64 v[163:164], v[7:8], v[169:170], v[163:164]
	v_add_f64 v[141:142], v[141:142], v[175:176]
	v_add_f64 v[143:144], v[143:144], v[159:160]
	s_clause 0x2
	buffer_load_dword v180, off, s[0:3], 0 offset:940
	buffer_load_dword v160, off, s[0:3], 0 offset:916
	buffer_load_dword v159, off, s[0:3], 0 offset:912
	ds_read_b128 v[5:8], v189 offset:1728
	s_waitcnt vmcnt(58) lgkmcnt(1)
	v_mul_f64 v[175:176], v[139:140], v[185:186]
	s_waitcnt vmcnt(56)
	v_fma_f64 v[183:184], v[1:2], v[187:188], -v[182:183]
	v_mul_f64 v[169:170], v[137:138], v[185:186]
	v_add_f64 v[141:142], v[141:142], v[167:168]
	v_fma_f64 v[167:168], v[3:4], v[187:188], v[221:222]
	v_add_f64 v[143:144], v[143:144], v[163:164]
	s_clause 0x4
	buffer_load_dword v164, off, s[0:3], 0 offset:956
	buffer_load_dword v185, off, s[0:3], 0 offset:968
	buffer_load_dword v187, off, s[0:3], 0 offset:960
	buffer_load_dword v163, off, s[0:3], 0 offset:952
	buffer_load_dword v182, off, s[0:3], 0 offset:932
	s_waitcnt vmcnt(57) lgkmcnt(0)
	v_mul_f64 v[221:222], v[5:6], v[206:207]
	v_mul_f64 v[206:207], v[7:8], v[206:207]
	s_waitcnt vmcnt(56)
	v_fma_f64 v[175:176], v[137:138], v[177:178], -v[175:176]
	ds_read_b128 v[1:4], v189 offset:1744
	v_fma_f64 v[169:170], v[139:140], v[177:178], v[169:170]
	v_add_f64 v[141:142], v[141:142], v[183:184]
	v_add_f64 v[143:144], v[143:144], v[167:168]
	s_clause 0x2
	buffer_load_dword v186, off, s[0:3], 0 offset:972
	buffer_load_dword v168, off, s[0:3], 0 offset:948
	buffer_load_dword v167, off, s[0:3], 0 offset:944
	ds_read_b128 v[137:140], v189 offset:1760
	s_waitcnt vmcnt(58) lgkmcnt(1)
	v_mul_f64 v[183:184], v[3:4], v[208:209]
	s_waitcnt vmcnt(56)
	v_fma_f64 v[206:207], v[5:6], v[213:214], -v[206:207]
	v_mul_f64 v[177:178], v[1:2], v[208:209]
	v_add_f64 v[141:142], v[141:142], v[175:176]
	v_fma_f64 v[175:176], v[7:8], v[213:214], v[221:222]
	v_add_f64 v[143:144], v[143:144], v[169:170]
	s_clause 0x4
	buffer_load_dword v170, off, s[0:3], 0 offset:988
	buffer_load_dword v208, off, s[0:3], 0 offset:1000
	;; [unrolled: 1-line block ×5, first 2 shown]
	ds_read_b128 v[5:8], v189 offset:1776
	s_waitcnt vmcnt(57) lgkmcnt(1)
	v_mul_f64 v[213:214], v[137:138], v[200:201]
	v_mul_f64 v[200:201], v[139:140], v[200:201]
	s_waitcnt vmcnt(56)
	v_fma_f64 v[183:184], v[1:2], v[210:211], -v[183:184]
	v_fma_f64 v[177:178], v[3:4], v[210:211], v[177:178]
	v_add_f64 v[141:142], v[141:142], v[206:207]
	v_add_f64 v[143:144], v[143:144], v[175:176]
	s_clause 0x2
	buffer_load_dword v209, off, s[0:3], 0 offset:1004
	buffer_load_dword v176, off, s[0:3], 0 offset:980
	buffer_load_dword v175, off, s[0:3], 0 offset:976
	ds_read_b128 v[1:4], v189 offset:1792
	s_waitcnt vmcnt(58) lgkmcnt(1)
	v_mul_f64 v[210:211], v[7:8], v[217:218]
	v_mul_f64 v[206:207], v[5:6], v[217:218]
	s_waitcnt vmcnt(56)
	v_fma_f64 v[200:201], v[137:138], v[194:195], -v[200:201]
	v_add_f64 v[141:142], v[141:142], v[183:184]
	v_fma_f64 v[183:184], v[139:140], v[194:195], v[213:214]
	v_add_f64 v[143:144], v[143:144], v[177:178]
	s_clause 0x4
	buffer_load_dword v178, off, s[0:3], 0 offset:1020
	buffer_load_dword v194, off, s[0:3], 0 offset:1032
	;; [unrolled: 1-line block ×5, first 2 shown]
	ds_read_b128 v[137:140], v189 offset:1808
	s_waitcnt vmcnt(57) lgkmcnt(1)
	v_mul_f64 v[221:222], v[1:2], v[153:154]
	v_mul_f64 v[153:154], v[3:4], v[153:154]
	s_waitcnt vmcnt(56)
	v_fma_f64 v[210:211], v[5:6], v[219:220], -v[210:211]
	v_add_f64 v[141:142], v[141:142], v[200:201]
	v_fma_f64 v[200:201], v[7:8], v[219:220], v[206:207]
	v_add_f64 v[143:144], v[143:144], v[183:184]
	s_clause 0x2
	buffer_load_dword v195, off, s[0:3], 0 offset:1036
	buffer_load_dword v184, off, s[0:3], 0 offset:1012
	;; [unrolled: 1-line block ×3, first 2 shown]
	ds_read_b128 v[5:8], v189 offset:1824
	buffer_load_dword v218, off, s[0:3], 0 offset:1028
	s_waitcnt vmcnt(59) lgkmcnt(1)
	v_mul_f64 v[206:207], v[137:138], v[202:203]
	v_mul_f64 v[202:203], v[139:140], v[202:203]
	s_waitcnt vmcnt(57)
	v_fma_f64 v[153:154], v[1:2], v[147:148], -v[153:154]
	v_fma_f64 v[147:148], v[3:4], v[147:148], v[221:222]
	ds_read_b128 v[1:4], v189 offset:1840
	v_add_f64 v[141:142], v[141:142], v[210:211]
	v_add_f64 v[143:144], v[143:144], v[200:201]
	s_waitcnt vmcnt(53) lgkmcnt(1)
	v_mul_f64 v[200:201], v[5:6], v[190:191]
	v_mul_f64 v[190:191], v[7:8], v[190:191]
	s_waitcnt vmcnt(52)
	v_fma_f64 v[202:203], v[137:138], v[215:216], -v[202:203]
	v_add_f64 v[141:142], v[141:142], v[153:154]
	v_fma_f64 v[153:154], v[139:140], v[215:216], v[206:207]
	v_add_f64 v[143:144], v[143:144], v[147:148]
	ds_read_b128 v[137:140], v189 offset:1856
	s_waitcnt vmcnt(51) lgkmcnt(1)
	v_mul_f64 v[147:148], v[1:2], v[192:193]
	v_mul_f64 v[192:193], v[3:4], v[192:193]
	s_waitcnt vmcnt(49)
	v_fma_f64 v[190:191], v[5:6], v[149:150], -v[190:191]
	v_fma_f64 v[149:150], v[7:8], v[149:150], v[200:201]
	v_add_f64 v[141:142], v[141:142], v[202:203]
	v_add_f64 v[143:144], v[143:144], v[153:154]
	s_clause 0x3
	buffer_load_dword v153, off, s[0:3], 0 offset:464
	buffer_load_dword v154, off, s[0:3], 0 offset:468
	;; [unrolled: 1-line block ×4, first 2 shown]
	ds_read_b128 v[5:8], v189 offset:1872
	s_waitcnt vmcnt(49) lgkmcnt(1)
	v_mul_f64 v[202:203], v[137:138], v[145:146]
	v_mul_f64 v[145:146], v[139:140], v[145:146]
	s_waitcnt vmcnt(48)
	v_fma_f64 v[192:193], v[1:2], v[204:205], -v[192:193]
	v_fma_f64 v[147:148], v[3:4], v[204:205], v[147:148]
	ds_read_b128 v[1:4], v189 offset:1888
	v_add_f64 v[141:142], v[141:142], v[190:191]
	v_add_f64 v[143:144], v[143:144], v[149:150]
	s_waitcnt vmcnt(47) lgkmcnt(1)
	v_mul_f64 v[149:150], v[5:6], v[165:166]
	v_mul_f64 v[165:166], v[7:8], v[165:166]
	s_waitcnt vmcnt(45)
	v_fma_f64 v[145:146], v[137:138], v[155:156], -v[145:146]
	v_fma_f64 v[155:156], v[139:140], v[155:156], v[202:203]
	ds_read_b128 v[137:140], v189 offset:1904
	v_add_f64 v[141:142], v[141:142], v[192:193]
	v_add_f64 v[143:144], v[143:144], v[147:148]
	s_waitcnt vmcnt(41) lgkmcnt(1)
	v_mul_f64 v[147:148], v[1:2], v[151:152]
	v_mul_f64 v[151:152], v[3:4], v[151:152]
	s_waitcnt vmcnt(40)
	v_fma_f64 v[165:166], v[5:6], v[198:199], -v[165:166]
	v_add_f64 v[141:142], v[141:142], v[145:146]
	v_fma_f64 v[145:146], v[7:8], v[198:199], v[149:150]
	v_add_f64 v[143:144], v[143:144], v[155:156]
	ds_read_b128 v[5:8], v189 offset:1920
	s_waitcnt vmcnt(39) lgkmcnt(1)
	v_mul_f64 v[155:156], v[139:140], v[171:172]
	v_mul_f64 v[149:150], v[137:138], v[171:172]
	s_waitcnt vmcnt(37)
	v_fma_f64 v[147:148], v[3:4], v[161:162], v[147:148]
	v_fma_f64 v[151:152], v[1:2], v[161:162], -v[151:152]
	ds_read_b128 v[1:4], v189 offset:1936
	v_add_f64 v[141:142], v[141:142], v[165:166]
	v_add_f64 v[143:144], v[143:144], v[145:146]
	s_waitcnt vmcnt(33) lgkmcnt(1)
	v_mul_f64 v[145:146], v[5:6], v[157:158]
	v_mul_f64 v[157:158], v[7:8], v[157:158]
	s_waitcnt vmcnt(32)
	v_fma_f64 v[155:156], v[137:138], v[173:174], -v[155:156]
	v_fma_f64 v[149:150], v[139:140], v[173:174], v[149:150]
	ds_read_b128 v[137:140], v189 offset:1952
	v_add_f64 v[141:142], v[141:142], v[151:152]
	v_add_f64 v[143:144], v[143:144], v[147:148]
	s_waitcnt vmcnt(31) lgkmcnt(1)
	v_mul_f64 v[151:152], v[3:4], v[179:180]
	v_mul_f64 v[147:148], v[1:2], v[179:180]
	s_waitcnt vmcnt(29)
	v_fma_f64 v[157:158], v[5:6], v[159:160], -v[157:158]
	v_fma_f64 v[145:146], v[7:8], v[159:160], v[145:146]
	ds_read_b128 v[5:8], v189 offset:1968
	v_add_f64 v[141:142], v[141:142], v[155:156]
	v_add_f64 v[143:144], v[143:144], v[149:150]
	s_waitcnt vmcnt(25) lgkmcnt(1)
	v_mul_f64 v[155:156], v[139:140], v[163:164]
	s_waitcnt vmcnt(24)
	v_fma_f64 v[151:152], v[1:2], v[181:182], -v[151:152]
	v_mul_f64 v[149:150], v[137:138], v[163:164]
	v_fma_f64 v[147:148], v[3:4], v[181:182], v[147:148]
	ds_read_b128 v[1:4], v189 offset:1984
	v_add_f64 v[141:142], v[141:142], v[157:158]
	v_add_f64 v[143:144], v[143:144], v[145:146]
	s_waitcnt vmcnt(23) lgkmcnt(1)
	v_mul_f64 v[157:158], v[7:8], v[185:186]
	v_mul_f64 v[145:146], v[5:6], v[185:186]
	s_waitcnt vmcnt(21)
	v_fma_f64 v[155:156], v[137:138], v[167:168], -v[155:156]
	v_fma_f64 v[149:150], v[139:140], v[167:168], v[149:150]
	ds_read_b128 v[137:140], v189 offset:2000
	v_add_f64 v[141:142], v[141:142], v[151:152]
	v_add_f64 v[143:144], v[143:144], v[147:148]
	s_waitcnt vmcnt(17) lgkmcnt(1)
	v_mul_f64 v[151:152], v[3:4], v[169:170]
	s_waitcnt vmcnt(16)
	v_fma_f64 v[157:158], v[5:6], v[187:188], -v[157:158]
	v_mul_f64 v[147:148], v[1:2], v[169:170]
	;; [unrolled: 18-line block ×3, first 2 shown]
	v_fma_f64 v[139:140], v[139:140], v[212:213], v[149:150]
	v_add_f64 v[141:142], v[141:142], v[151:152]
	v_add_f64 v[143:144], v[143:144], v[147:148]
	s_waitcnt vmcnt(7) lgkmcnt(0)
	v_mul_f64 v[149:150], v[3:4], v[194:195]
	v_mul_f64 v[147:148], v[1:2], v[194:195]
	s_waitcnt vmcnt(5)
	v_fma_f64 v[5:6], v[5:6], v[183:184], -v[157:158]
	v_fma_f64 v[7:8], v[7:8], v[183:184], v[145:146]
	v_add_f64 v[137:138], v[141:142], v[137:138]
	v_add_f64 v[139:140], v[143:144], v[139:140]
	s_waitcnt vmcnt(4)
	v_fma_f64 v[1:2], v[1:2], v[217:218], -v[149:150]
	v_fma_f64 v[3:4], v[3:4], v[217:218], v[147:148]
	v_add_f64 v[5:6], v[137:138], v[5:6]
	v_add_f64 v[7:8], v[139:140], v[7:8]
	;; [unrolled: 1-line block ×4, first 2 shown]
	s_waitcnt vmcnt(2)
	v_add_f64 v[1:2], v[153:154], -v[1:2]
	s_waitcnt vmcnt(0)
	v_add_f64 v[3:4], v[200:201], -v[3:4]
	buffer_store_dword v2, off, s[0:3], 0 offset:468
	buffer_store_dword v1, off, s[0:3], 0 offset:464
	;; [unrolled: 1-line block ×4, first 2 shown]
	v_cmpx_lt_u32_e32 27, v0
	s_cbranch_execz .LBB127_355
; %bb.354:
	v_mov_b32_e32 v4, s51
	s_clause 0x3
	buffer_load_dword v1, v4, s[0:3], 0 offen
	buffer_load_dword v2, v4, s[0:3], 0 offen offset:4
	buffer_load_dword v3, v4, s[0:3], 0 offen offset:8
	;; [unrolled: 1-line block ×3, first 2 shown]
	buffer_store_dword v189, off, s[0:3], 0 offset:448
	buffer_store_dword v189, off, s[0:3], 0 offset:452
	buffer_store_dword v189, off, s[0:3], 0 offset:456
	buffer_store_dword v189, off, s[0:3], 0 offset:460
	s_waitcnt vmcnt(0)
	ds_write_b128 v197, v[1:4]
.LBB127_355:
	s_or_b32 exec_lo, exec_lo, s4
	s_waitcnt lgkmcnt(0)
	s_waitcnt_vscnt null, 0x0
	s_barrier
	buffer_gl0_inv
	s_clause 0x37
	buffer_load_dword v137, off, s[0:3], 0 offset:472
	buffer_load_dword v138, off, s[0:3], 0 offset:476
	;; [unrolled: 1-line block ×56, first 2 shown]
	ds_read_b128 v[190:193], v189 offset:1472
	s_clause 0x2
	buffer_load_dword v186, off, s[0:3], 0 offset:700
	buffer_load_dword v188, off, s[0:3], 0 offset:676
	;; [unrolled: 1-line block ×3, first 2 shown]
	ds_read_b128 v[198:201], v189 offset:1488
	s_clause 0x4
	buffer_load_dword v207, off, s[0:3], 0 offset:716
	buffer_load_dword v208, off, s[0:3], 0 offset:728
	buffer_load_dword v210, off, s[0:3], 0 offset:720
	buffer_load_dword v206, off, s[0:3], 0 offset:712
	buffer_load_dword v178, off, s[0:3], 0 offset:692
	ds_read_b128 v[202:205], v189 offset:1504
	s_clause 0x2
	buffer_load_dword v209, off, s[0:3], 0 offset:732
	buffer_load_dword v214, off, s[0:3], 0 offset:708
	;; [unrolled: 1-line block ×3, first 2 shown]
	s_mov_b32 s4, exec_lo
	s_waitcnt vmcnt(62) lgkmcnt(2)
	v_mul_f64 v[194:195], v[192:193], v[137:138]
	v_mul_f64 v[137:138], v[190:191], v[137:138]
	s_waitcnt lgkmcnt(1)
	v_mul_f64 v[211:212], v[200:201], v[5:6]
	s_waitcnt vmcnt(59) lgkmcnt(0)
	v_mul_f64 v[215:216], v[204:205], v[3:4]
	v_fma_f64 v[190:191], v[190:191], v[7:8], -v[194:195]
	v_mul_f64 v[194:195], v[198:199], v[5:6]
	v_fma_f64 v[137:138], v[192:193], v[7:8], v[137:138]
	s_waitcnt vmcnt(57)
	v_fma_f64 v[198:199], v[198:199], v[1:2], -v[211:212]
	ds_read_b128 v[5:8], v189 offset:1520
	v_mul_f64 v[192:193], v[202:203], v[3:4]
	s_waitcnt vmcnt(51)
	v_fma_f64 v[202:203], v[202:203], v[153:154], -v[215:216]
	v_add_f64 v[190:191], v[190:191], 0
	v_fma_f64 v[194:195], v[200:201], v[1:2], v[194:195]
	v_add_f64 v[137:138], v[137:138], 0
	s_clause 0x4
	buffer_load_dword v201, off, s[0:3], 0 offset:748
	buffer_load_dword v217, off, s[0:3], 0 offset:760
	;; [unrolled: 1-line block ×5, first 2 shown]
	s_waitcnt lgkmcnt(0)
	v_mul_f64 v[220:221], v[5:6], v[141:142]
	v_mul_f64 v[141:142], v[7:8], v[141:142]
	ds_read_b128 v[1:4], v189 offset:1536
	v_fma_f64 v[153:154], v[204:205], v[153:154], v[192:193]
	v_add_f64 v[198:199], v[190:191], v[198:199]
	v_add_f64 v[137:138], v[137:138], v[194:195]
	s_clause 0x2
	buffer_load_dword v218, off, s[0:3], 0 offset:764
	buffer_load_dword v195, off, s[0:3], 0 offset:740
	;; [unrolled: 1-line block ×3, first 2 shown]
	s_waitcnt vmcnt(58) lgkmcnt(0)
	v_mul_f64 v[204:205], v[1:2], v[145:146]
	v_mul_f64 v[145:146], v[3:4], v[145:146]
	s_waitcnt vmcnt(56)
	v_fma_f64 v[141:142], v[5:6], v[147:148], -v[141:142]
	ds_read_b128 v[190:193], v189 offset:1552
	v_fma_f64 v[147:148], v[7:8], v[147:148], v[220:221]
	v_add_f64 v[198:199], v[198:199], v[202:203]
	v_add_f64 v[137:138], v[137:138], v[153:154]
	s_clause 0x4
	buffer_load_dword v154, off, s[0:3], 0 offset:780
	buffer_load_dword v202, off, s[0:3], 0 offset:792
	buffer_load_dword v215, off, s[0:3], 0 offset:784
	buffer_load_dword v153, off, s[0:3], 0 offset:776
	buffer_load_dword v220, off, s[0:3], 0 offset:756
	ds_read_b128 v[5:8], v189 offset:1568
	s_waitcnt vmcnt(57) lgkmcnt(1)
	v_mul_f64 v[221:222], v[190:191], v[149:150]
	v_mul_f64 v[149:150], v[192:193], v[149:150]
	s_waitcnt vmcnt(56)
	v_fma_f64 v[145:146], v[1:2], v[139:140], -v[145:146]
	v_fma_f64 v[139:140], v[3:4], v[139:140], v[204:205]
	v_add_f64 v[141:142], v[198:199], v[141:142]
	v_add_f64 v[137:138], v[137:138], v[147:148]
	s_clause 0x2
	buffer_load_dword v203, off, s[0:3], 0 offset:796
	buffer_load_dword v148, off, s[0:3], 0 offset:772
	;; [unrolled: 1-line block ×3, first 2 shown]
	s_waitcnt vmcnt(58) lgkmcnt(0)
	v_mul_f64 v[198:199], v[5:6], v[155:156]
	v_mul_f64 v[155:156], v[7:8], v[155:156]
	s_waitcnt vmcnt(56)
	v_fma_f64 v[149:150], v[190:191], v[157:158], -v[149:150]
	ds_read_b128 v[1:4], v189 offset:1584
	v_add_f64 v[141:142], v[141:142], v[145:146]
	v_fma_f64 v[145:146], v[192:193], v[157:158], v[221:222]
	v_add_f64 v[157:158], v[137:138], v[139:140]
	s_clause 0x4
	buffer_load_dword v191, off, s[0:3], 0 offset:812
	buffer_load_dword v192, off, s[0:3], 0 offset:824
	;; [unrolled: 1-line block ×5, first 2 shown]
	ds_read_b128 v[137:140], v189 offset:1600
	s_waitcnt vmcnt(57) lgkmcnt(1)
	v_mul_f64 v[221:222], v[1:2], v[159:160]
	v_mul_f64 v[159:160], v[3:4], v[159:160]
	s_waitcnt vmcnt(56)
	v_fma_f64 v[155:156], v[5:6], v[143:144], -v[155:156]
	v_fma_f64 v[143:144], v[7:8], v[143:144], v[198:199]
	v_add_f64 v[141:142], v[141:142], v[149:150]
	s_clause 0x2
	buffer_load_dword v193, off, s[0:3], 0 offset:828
	buffer_load_dword v150, off, s[0:3], 0 offset:804
	;; [unrolled: 1-line block ×3, first 2 shown]
	v_add_f64 v[145:146], v[157:158], v[145:146]
	s_waitcnt vmcnt(58) lgkmcnt(0)
	v_mul_f64 v[157:158], v[137:138], v[163:164]
	v_mul_f64 v[163:164], v[139:140], v[163:164]
	ds_read_b128 v[5:8], v189 offset:1616
	s_waitcnt vmcnt(56)
	v_fma_f64 v[159:160], v[1:2], v[165:166], -v[159:160]
	v_add_f64 v[141:142], v[141:142], v[155:156]
	v_fma_f64 v[155:156], v[3:4], v[165:166], v[221:222]
	v_add_f64 v[143:144], v[145:146], v[143:144]
	s_clause 0x4
	buffer_load_dword v146, off, s[0:3], 0 offset:844
	buffer_load_dword v165, off, s[0:3], 0 offset:856
	;; [unrolled: 1-line block ×5, first 2 shown]
	s_waitcnt vmcnt(57) lgkmcnt(0)
	v_mul_f64 v[221:222], v[5:6], v[167:168]
	v_mul_f64 v[167:168], v[7:8], v[167:168]
	s_waitcnt vmcnt(56)
	v_fma_f64 v[163:164], v[137:138], v[151:152], -v[163:164]
	ds_read_b128 v[1:4], v189 offset:1632
	v_fma_f64 v[151:152], v[139:140], v[151:152], v[157:158]
	v_add_f64 v[141:142], v[141:142], v[159:160]
	v_add_f64 v[143:144], v[143:144], v[155:156]
	s_clause 0x2
	buffer_load_dword v166, off, s[0:3], 0 offset:860
	buffer_load_dword v156, off, s[0:3], 0 offset:836
	;; [unrolled: 1-line block ×3, first 2 shown]
	ds_read_b128 v[137:140], v189 offset:1648
	s_waitcnt vmcnt(58) lgkmcnt(1)
	v_mul_f64 v[159:160], v[3:4], v[171:172]
	s_waitcnt vmcnt(56)
	v_fma_f64 v[167:168], v[5:6], v[173:174], -v[167:168]
	v_mul_f64 v[157:158], v[1:2], v[171:172]
	v_add_f64 v[141:142], v[141:142], v[163:164]
	v_fma_f64 v[163:164], v[7:8], v[173:174], v[221:222]
	v_add_f64 v[143:144], v[143:144], v[151:152]
	s_clause 0x4
	buffer_load_dword v152, off, s[0:3], 0 offset:876
	buffer_load_dword v171, off, s[0:3], 0 offset:888
	;; [unrolled: 1-line block ×5, first 2 shown]
	s_waitcnt vmcnt(57) lgkmcnt(0)
	v_mul_f64 v[221:222], v[137:138], v[175:176]
	v_mul_f64 v[174:175], v[139:140], v[175:176]
	s_waitcnt vmcnt(56)
	v_fma_f64 v[159:160], v[1:2], v[161:162], -v[159:160]
	ds_read_b128 v[5:8], v189 offset:1664
	v_fma_f64 v[157:158], v[3:4], v[161:162], v[157:158]
	s_clause 0x2
	buffer_load_dword v172, off, s[0:3], 0 offset:892
	buffer_load_dword v162, off, s[0:3], 0 offset:868
	;; [unrolled: 1-line block ×3, first 2 shown]
	ds_read_b128 v[1:4], v189 offset:1680
	v_add_f64 v[141:142], v[141:142], v[167:168]
	v_add_f64 v[143:144], v[143:144], v[163:164]
	s_waitcnt vmcnt(58) lgkmcnt(1)
	v_mul_f64 v[167:168], v[7:8], v[179:180]
	s_waitcnt vmcnt(56)
	v_fma_f64 v[175:176], v[137:138], v[181:182], -v[174:175]
	v_mul_f64 v[163:164], v[5:6], v[179:180]
	v_add_f64 v[141:142], v[141:142], v[159:160]
	v_fma_f64 v[159:160], v[139:140], v[181:182], v[221:222]
	v_add_f64 v[143:144], v[143:144], v[157:158]
	s_clause 0x4
	buffer_load_dword v158, off, s[0:3], 0 offset:908
	buffer_load_dword v179, off, s[0:3], 0 offset:920
	buffer_load_dword v181, off, s[0:3], 0 offset:912
	buffer_load_dword v157, off, s[0:3], 0 offset:904
	buffer_load_dword v174, off, s[0:3], 0 offset:884
	s_waitcnt vmcnt(57) lgkmcnt(0)
	v_mul_f64 v[221:222], v[1:2], v[183:184]
	v_mul_f64 v[182:183], v[3:4], v[183:184]
	s_waitcnt vmcnt(56)
	v_fma_f64 v[167:168], v[5:6], v[169:170], -v[167:168]
	ds_read_b128 v[137:140], v189 offset:1696
	v_fma_f64 v[163:164], v[7:8], v[169:170], v[163:164]
	v_add_f64 v[141:142], v[141:142], v[175:176]
	v_add_f64 v[143:144], v[143:144], v[159:160]
	s_clause 0x2
	buffer_load_dword v180, off, s[0:3], 0 offset:924
	buffer_load_dword v160, off, s[0:3], 0 offset:900
	;; [unrolled: 1-line block ×3, first 2 shown]
	ds_read_b128 v[5:8], v189 offset:1712
	s_waitcnt vmcnt(58) lgkmcnt(1)
	v_mul_f64 v[175:176], v[139:140], v[185:186]
	s_waitcnt vmcnt(56)
	v_fma_f64 v[183:184], v[1:2], v[187:188], -v[182:183]
	v_mul_f64 v[169:170], v[137:138], v[185:186]
	v_add_f64 v[141:142], v[141:142], v[167:168]
	v_fma_f64 v[167:168], v[3:4], v[187:188], v[221:222]
	v_add_f64 v[143:144], v[143:144], v[163:164]
	s_clause 0x4
	buffer_load_dword v164, off, s[0:3], 0 offset:940
	buffer_load_dword v185, off, s[0:3], 0 offset:952
	;; [unrolled: 1-line block ×5, first 2 shown]
	s_waitcnt vmcnt(57) lgkmcnt(0)
	v_mul_f64 v[221:222], v[5:6], v[206:207]
	v_mul_f64 v[206:207], v[7:8], v[206:207]
	s_waitcnt vmcnt(56)
	v_fma_f64 v[175:176], v[137:138], v[177:178], -v[175:176]
	ds_read_b128 v[1:4], v189 offset:1728
	v_fma_f64 v[169:170], v[139:140], v[177:178], v[169:170]
	v_add_f64 v[141:142], v[141:142], v[183:184]
	v_add_f64 v[143:144], v[143:144], v[167:168]
	s_clause 0x2
	buffer_load_dword v186, off, s[0:3], 0 offset:956
	buffer_load_dword v168, off, s[0:3], 0 offset:932
	;; [unrolled: 1-line block ×3, first 2 shown]
	ds_read_b128 v[137:140], v189 offset:1744
	s_waitcnt vmcnt(58) lgkmcnt(1)
	v_mul_f64 v[183:184], v[3:4], v[208:209]
	s_waitcnt vmcnt(56)
	v_fma_f64 v[206:207], v[5:6], v[213:214], -v[206:207]
	v_mul_f64 v[177:178], v[1:2], v[208:209]
	v_add_f64 v[141:142], v[141:142], v[175:176]
	v_fma_f64 v[175:176], v[7:8], v[213:214], v[221:222]
	v_add_f64 v[143:144], v[143:144], v[169:170]
	s_clause 0x4
	buffer_load_dword v170, off, s[0:3], 0 offset:972
	buffer_load_dword v208, off, s[0:3], 0 offset:984
	;; [unrolled: 1-line block ×5, first 2 shown]
	ds_read_b128 v[5:8], v189 offset:1760
	s_waitcnt vmcnt(57) lgkmcnt(1)
	v_mul_f64 v[213:214], v[137:138], v[200:201]
	v_mul_f64 v[200:201], v[139:140], v[200:201]
	s_waitcnt vmcnt(56)
	v_fma_f64 v[183:184], v[1:2], v[210:211], -v[183:184]
	v_fma_f64 v[177:178], v[3:4], v[210:211], v[177:178]
	v_add_f64 v[141:142], v[141:142], v[206:207]
	v_add_f64 v[143:144], v[143:144], v[175:176]
	s_clause 0x2
	buffer_load_dword v209, off, s[0:3], 0 offset:988
	buffer_load_dword v176, off, s[0:3], 0 offset:964
	;; [unrolled: 1-line block ×3, first 2 shown]
	ds_read_b128 v[1:4], v189 offset:1776
	s_waitcnt vmcnt(58) lgkmcnt(1)
	v_mul_f64 v[210:211], v[7:8], v[217:218]
	v_mul_f64 v[206:207], v[5:6], v[217:218]
	s_waitcnt vmcnt(56)
	v_fma_f64 v[200:201], v[137:138], v[194:195], -v[200:201]
	v_add_f64 v[141:142], v[141:142], v[183:184]
	v_fma_f64 v[183:184], v[139:140], v[194:195], v[213:214]
	v_add_f64 v[143:144], v[143:144], v[177:178]
	s_clause 0x4
	buffer_load_dword v178, off, s[0:3], 0 offset:1004
	buffer_load_dword v194, off, s[0:3], 0 offset:1016
	;; [unrolled: 1-line block ×5, first 2 shown]
	ds_read_b128 v[137:140], v189 offset:1792
	s_waitcnt vmcnt(57) lgkmcnt(1)
	v_mul_f64 v[221:222], v[1:2], v[153:154]
	v_mul_f64 v[153:154], v[3:4], v[153:154]
	s_waitcnt vmcnt(56)
	v_fma_f64 v[210:211], v[5:6], v[219:220], -v[210:211]
	v_add_f64 v[141:142], v[141:142], v[200:201]
	v_fma_f64 v[200:201], v[7:8], v[219:220], v[206:207]
	v_add_f64 v[143:144], v[143:144], v[183:184]
	s_clause 0x2
	buffer_load_dword v195, off, s[0:3], 0 offset:1020
	buffer_load_dword v184, off, s[0:3], 0 offset:996
	;; [unrolled: 1-line block ×3, first 2 shown]
	ds_read_b128 v[5:8], v189 offset:1808
	s_waitcnt vmcnt(58) lgkmcnt(1)
	v_mul_f64 v[206:207], v[137:138], v[202:203]
	v_mul_f64 v[202:203], v[139:140], v[202:203]
	s_waitcnt vmcnt(56)
	v_fma_f64 v[153:154], v[1:2], v[147:148], -v[153:154]
	v_fma_f64 v[147:148], v[3:4], v[147:148], v[221:222]
	v_add_f64 v[141:142], v[141:142], v[210:211]
	v_add_f64 v[143:144], v[143:144], v[200:201]
	s_clause 0x2
	buffer_load_dword v201, off, s[0:3], 0 offset:1036
	buffer_load_dword v200, off, s[0:3], 0 offset:1032
	;; [unrolled: 1-line block ×3, first 2 shown]
	ds_read_b128 v[1:4], v189 offset:1824
	s_waitcnt vmcnt(55) lgkmcnt(1)
	v_mul_f64 v[210:211], v[5:6], v[190:191]
	v_mul_f64 v[190:191], v[7:8], v[190:191]
	s_waitcnt vmcnt(54)
	v_fma_f64 v[202:203], v[137:138], v[215:216], -v[202:203]
	v_add_f64 v[141:142], v[141:142], v[153:154]
	v_fma_f64 v[153:154], v[139:140], v[215:216], v[206:207]
	v_add_f64 v[143:144], v[143:144], v[147:148]
	s_clause 0x1
	buffer_load_dword v148, off, s[0:3], 0 offset:1028
	buffer_load_dword v147, off, s[0:3], 0 offset:1024
	ds_read_b128 v[137:140], v189 offset:1840
	s_waitcnt vmcnt(55) lgkmcnt(1)
	v_mul_f64 v[206:207], v[1:2], v[192:193]
	v_mul_f64 v[192:193], v[3:4], v[192:193]
	s_waitcnt vmcnt(53)
	v_fma_f64 v[190:191], v[5:6], v[149:150], -v[190:191]
	v_fma_f64 v[149:150], v[7:8], v[149:150], v[210:211]
	ds_read_b128 v[5:8], v189 offset:1856
	v_add_f64 v[141:142], v[141:142], v[202:203]
	v_add_f64 v[143:144], v[143:144], v[153:154]
	s_waitcnt vmcnt(49) lgkmcnt(1)
	v_mul_f64 v[153:154], v[137:138], v[145:146]
	v_mul_f64 v[145:146], v[139:140], v[145:146]
	s_waitcnt vmcnt(48)
	v_fma_f64 v[192:193], v[1:2], v[204:205], -v[192:193]
	v_add_f64 v[141:142], v[141:142], v[190:191]
	v_fma_f64 v[190:191], v[3:4], v[204:205], v[206:207]
	v_add_f64 v[143:144], v[143:144], v[149:150]
	s_clause 0x3
	buffer_load_dword v149, off, s[0:3], 0 offset:448
	buffer_load_dword v150, off, s[0:3], 0 offset:452
	;; [unrolled: 1-line block ×4, first 2 shown]
	ds_read_b128 v[1:4], v189 offset:1872
	s_waitcnt vmcnt(51) lgkmcnt(1)
	v_mul_f64 v[204:205], v[5:6], v[165:166]
	v_mul_f64 v[165:166], v[7:8], v[165:166]
	s_waitcnt vmcnt(49)
	v_fma_f64 v[145:146], v[137:138], v[155:156], -v[145:146]
	v_fma_f64 v[153:154], v[139:140], v[155:156], v[153:154]
	ds_read_b128 v[137:140], v189 offset:1888
	v_add_f64 v[141:142], v[141:142], v[192:193]
	v_add_f64 v[143:144], v[143:144], v[190:191]
	s_waitcnt vmcnt(45) lgkmcnt(1)
	v_mul_f64 v[155:156], v[1:2], v[151:152]
	v_mul_f64 v[151:152], v[3:4], v[151:152]
	s_waitcnt vmcnt(44)
	v_fma_f64 v[165:166], v[5:6], v[198:199], -v[165:166]
	v_add_f64 v[141:142], v[141:142], v[145:146]
	v_fma_f64 v[145:146], v[7:8], v[198:199], v[204:205]
	v_add_f64 v[143:144], v[143:144], v[153:154]
	s_waitcnt vmcnt(43) lgkmcnt(0)
	v_mul_f64 v[153:154], v[137:138], v[171:172]
	v_mul_f64 v[171:172], v[139:140], v[171:172]
	ds_read_b128 v[5:8], v189 offset:1904
	s_waitcnt vmcnt(41)
	v_fma_f64 v[155:156], v[3:4], v[161:162], v[155:156]
	v_fma_f64 v[151:152], v[1:2], v[161:162], -v[151:152]
	ds_read_b128 v[1:4], v189 offset:1920
	v_add_f64 v[141:142], v[141:142], v[165:166]
	v_add_f64 v[143:144], v[143:144], v[145:146]
	s_waitcnt vmcnt(37) lgkmcnt(1)
	v_mul_f64 v[145:146], v[5:6], v[157:158]
	v_mul_f64 v[157:158], v[7:8], v[157:158]
	s_waitcnt vmcnt(36)
	v_fma_f64 v[161:162], v[137:138], v[173:174], -v[171:172]
	v_add_f64 v[141:142], v[141:142], v[151:152]
	v_fma_f64 v[151:152], v[139:140], v[173:174], v[153:154]
	v_add_f64 v[143:144], v[143:144], v[155:156]
	ds_read_b128 v[137:140], v189 offset:1936
	s_waitcnt vmcnt(35) lgkmcnt(1)
	v_mul_f64 v[155:156], v[3:4], v[179:180]
	v_mul_f64 v[153:154], v[1:2], v[179:180]
	s_waitcnt vmcnt(33)
	v_fma_f64 v[157:158], v[5:6], v[159:160], -v[157:158]
	v_fma_f64 v[145:146], v[7:8], v[159:160], v[145:146]
	ds_read_b128 v[5:8], v189 offset:1952
	v_add_f64 v[141:142], v[141:142], v[161:162]
	v_add_f64 v[143:144], v[143:144], v[151:152]
	s_waitcnt vmcnt(29) lgkmcnt(1)
	v_mul_f64 v[159:160], v[139:140], v[163:164]
	s_waitcnt vmcnt(28)
	v_fma_f64 v[155:156], v[1:2], v[181:182], -v[155:156]
	v_mul_f64 v[151:152], v[137:138], v[163:164]
	v_fma_f64 v[153:154], v[3:4], v[181:182], v[153:154]
	ds_read_b128 v[1:4], v189 offset:1968
	v_add_f64 v[141:142], v[141:142], v[157:158]
	v_add_f64 v[143:144], v[143:144], v[145:146]
	s_waitcnt vmcnt(27) lgkmcnt(1)
	v_mul_f64 v[157:158], v[7:8], v[185:186]
	v_mul_f64 v[145:146], v[5:6], v[185:186]
	s_waitcnt vmcnt(25)
	v_fma_f64 v[159:160], v[137:138], v[167:168], -v[159:160]
	v_fma_f64 v[151:152], v[139:140], v[167:168], v[151:152]
	ds_read_b128 v[137:140], v189 offset:1984
	v_add_f64 v[141:142], v[141:142], v[155:156]
	v_add_f64 v[143:144], v[143:144], v[153:154]
	s_waitcnt vmcnt(21) lgkmcnt(1)
	v_mul_f64 v[155:156], v[3:4], v[169:170]
	s_waitcnt vmcnt(20)
	v_fma_f64 v[157:158], v[5:6], v[187:188], -v[157:158]
	v_mul_f64 v[153:154], v[1:2], v[169:170]
	v_fma_f64 v[145:146], v[7:8], v[187:188], v[145:146]
	ds_read_b128 v[5:8], v189 offset:2000
	v_add_f64 v[141:142], v[141:142], v[159:160]
	v_add_f64 v[143:144], v[143:144], v[151:152]
	;; [unrolled: 18-line block ×3, first 2 shown]
	s_waitcnt vmcnt(11) lgkmcnt(1)
	v_mul_f64 v[155:156], v[3:4], v[194:195]
	v_mul_f64 v[153:154], v[1:2], v[194:195]
	s_waitcnt vmcnt(9)
	v_fma_f64 v[5:6], v[5:6], v[183:184], -v[157:158]
	v_fma_f64 v[7:8], v[7:8], v[183:184], v[145:146]
	v_add_f64 v[141:142], v[141:142], v[159:160]
	v_add_f64 v[143:144], v[143:144], v[151:152]
	s_waitcnt vmcnt(7) lgkmcnt(0)
	v_mul_f64 v[151:152], v[139:140], v[200:201]
	s_waitcnt vmcnt(6)
	v_fma_f64 v[1:2], v[1:2], v[217:218], -v[155:156]
	v_mul_f64 v[145:146], v[137:138], v[200:201]
	v_fma_f64 v[3:4], v[3:4], v[217:218], v[153:154]
	v_add_f64 v[5:6], v[141:142], v[5:6]
	v_add_f64 v[7:8], v[143:144], v[7:8]
	s_waitcnt vmcnt(4)
	v_fma_f64 v[137:138], v[137:138], v[147:148], -v[151:152]
	v_add_f64 v[1:2], v[5:6], v[1:2]
	v_fma_f64 v[5:6], v[139:140], v[147:148], v[145:146]
	v_add_f64 v[3:4], v[7:8], v[3:4]
	v_add_f64 v[1:2], v[1:2], v[137:138]
	;; [unrolled: 1-line block ×3, first 2 shown]
	s_waitcnt vmcnt(2)
	v_add_f64 v[1:2], v[149:150], -v[1:2]
	s_waitcnt vmcnt(0)
	v_add_f64 v[3:4], v[202:203], -v[3:4]
	buffer_store_dword v2, off, s[0:3], 0 offset:452
	buffer_store_dword v1, off, s[0:3], 0 offset:448
	;; [unrolled: 1-line block ×4, first 2 shown]
	v_cmpx_lt_u32_e32 26, v0
	s_cbranch_execz .LBB127_357
; %bb.356:
	v_mov_b32_e32 v4, s52
	v_mov_b32_e32 v5, 0
	s_clause 0x3
	buffer_load_dword v1, v4, s[0:3], 0 offen
	buffer_load_dword v2, v4, s[0:3], 0 offen offset:4
	buffer_load_dword v3, v4, s[0:3], 0 offen offset:8
	;; [unrolled: 1-line block ×3, first 2 shown]
	buffer_store_dword v5, off, s[0:3], 0 offset:432
	buffer_store_dword v5, off, s[0:3], 0 offset:436
	;; [unrolled: 1-line block ×4, first 2 shown]
	s_waitcnt vmcnt(0)
	ds_write_b128 v197, v[1:4]
.LBB127_357:
	s_or_b32 exec_lo, exec_lo, s4
	s_waitcnt lgkmcnt(0)
	s_waitcnt_vscnt null, 0x0
	s_barrier
	buffer_gl0_inv
	s_clause 0x37
	buffer_load_dword v137, off, s[0:3], 0 offset:456
	buffer_load_dword v138, off, s[0:3], 0 offset:460
	;; [unrolled: 1-line block ×56, first 2 shown]
	v_mov_b32_e32 v189, 0
	s_mov_b32 s4, exec_lo
	ds_read_b128 v[190:193], v189 offset:1456
	s_clause 0x2
	buffer_load_dword v186, off, s[0:3], 0 offset:684
	buffer_load_dword v188, off, s[0:3], 0 offset:660
	;; [unrolled: 1-line block ×3, first 2 shown]
	ds_read_b128 v[198:201], v189 offset:1472
	s_clause 0x4
	buffer_load_dword v207, off, s[0:3], 0 offset:700
	buffer_load_dword v208, off, s[0:3], 0 offset:712
	;; [unrolled: 1-line block ×5, first 2 shown]
	ds_read_b128 v[202:205], v189 offset:1488
	s_clause 0x2
	buffer_load_dword v209, off, s[0:3], 0 offset:716
	buffer_load_dword v214, off, s[0:3], 0 offset:692
	;; [unrolled: 1-line block ×3, first 2 shown]
	s_waitcnt vmcnt(62) lgkmcnt(2)
	v_mul_f64 v[194:195], v[192:193], v[137:138]
	v_mul_f64 v[137:138], v[190:191], v[137:138]
	s_waitcnt lgkmcnt(1)
	v_mul_f64 v[211:212], v[200:201], v[5:6]
	s_waitcnt vmcnt(59) lgkmcnt(0)
	v_mul_f64 v[215:216], v[204:205], v[3:4]
	v_fma_f64 v[190:191], v[190:191], v[7:8], -v[194:195]
	v_mul_f64 v[194:195], v[198:199], v[5:6]
	v_fma_f64 v[137:138], v[192:193], v[7:8], v[137:138]
	s_waitcnt vmcnt(57)
	v_fma_f64 v[198:199], v[198:199], v[1:2], -v[211:212]
	ds_read_b128 v[5:8], v189 offset:1504
	v_mul_f64 v[192:193], v[202:203], v[3:4]
	s_waitcnt vmcnt(51)
	v_fma_f64 v[202:203], v[202:203], v[153:154], -v[215:216]
	v_add_f64 v[190:191], v[190:191], 0
	v_fma_f64 v[194:195], v[200:201], v[1:2], v[194:195]
	v_add_f64 v[137:138], v[137:138], 0
	s_clause 0x4
	buffer_load_dword v201, off, s[0:3], 0 offset:732
	buffer_load_dword v217, off, s[0:3], 0 offset:744
	;; [unrolled: 1-line block ×5, first 2 shown]
	s_waitcnt lgkmcnt(0)
	v_mul_f64 v[220:221], v[5:6], v[141:142]
	v_mul_f64 v[141:142], v[7:8], v[141:142]
	ds_read_b128 v[1:4], v189 offset:1520
	v_fma_f64 v[153:154], v[204:205], v[153:154], v[192:193]
	v_add_f64 v[198:199], v[190:191], v[198:199]
	v_add_f64 v[137:138], v[137:138], v[194:195]
	s_clause 0x2
	buffer_load_dword v218, off, s[0:3], 0 offset:748
	buffer_load_dword v195, off, s[0:3], 0 offset:724
	;; [unrolled: 1-line block ×3, first 2 shown]
	s_waitcnt vmcnt(58) lgkmcnt(0)
	v_mul_f64 v[204:205], v[1:2], v[145:146]
	v_mul_f64 v[145:146], v[3:4], v[145:146]
	s_waitcnt vmcnt(56)
	v_fma_f64 v[141:142], v[5:6], v[147:148], -v[141:142]
	ds_read_b128 v[190:193], v189 offset:1536
	v_fma_f64 v[147:148], v[7:8], v[147:148], v[220:221]
	v_add_f64 v[198:199], v[198:199], v[202:203]
	v_add_f64 v[137:138], v[137:138], v[153:154]
	s_clause 0x4
	buffer_load_dword v154, off, s[0:3], 0 offset:764
	buffer_load_dword v202, off, s[0:3], 0 offset:776
	;; [unrolled: 1-line block ×5, first 2 shown]
	ds_read_b128 v[5:8], v189 offset:1552
	s_waitcnt vmcnt(57) lgkmcnt(1)
	v_mul_f64 v[221:222], v[190:191], v[149:150]
	v_mul_f64 v[149:150], v[192:193], v[149:150]
	s_waitcnt vmcnt(56)
	v_fma_f64 v[145:146], v[1:2], v[139:140], -v[145:146]
	v_fma_f64 v[139:140], v[3:4], v[139:140], v[204:205]
	v_add_f64 v[141:142], v[198:199], v[141:142]
	v_add_f64 v[137:138], v[137:138], v[147:148]
	s_clause 0x2
	buffer_load_dword v203, off, s[0:3], 0 offset:780
	buffer_load_dword v148, off, s[0:3], 0 offset:756
	buffer_load_dword v147, off, s[0:3], 0 offset:752
	s_waitcnt vmcnt(58) lgkmcnt(0)
	v_mul_f64 v[198:199], v[5:6], v[155:156]
	v_mul_f64 v[155:156], v[7:8], v[155:156]
	s_waitcnt vmcnt(56)
	v_fma_f64 v[149:150], v[190:191], v[157:158], -v[149:150]
	ds_read_b128 v[1:4], v189 offset:1568
	v_add_f64 v[141:142], v[141:142], v[145:146]
	v_fma_f64 v[145:146], v[192:193], v[157:158], v[221:222]
	v_add_f64 v[157:158], v[137:138], v[139:140]
	s_clause 0x4
	buffer_load_dword v191, off, s[0:3], 0 offset:796
	buffer_load_dword v192, off, s[0:3], 0 offset:808
	;; [unrolled: 1-line block ×5, first 2 shown]
	ds_read_b128 v[137:140], v189 offset:1584
	s_waitcnt vmcnt(57) lgkmcnt(1)
	v_mul_f64 v[221:222], v[1:2], v[159:160]
	v_mul_f64 v[159:160], v[3:4], v[159:160]
	s_waitcnt vmcnt(56)
	v_fma_f64 v[155:156], v[5:6], v[143:144], -v[155:156]
	v_fma_f64 v[143:144], v[7:8], v[143:144], v[198:199]
	v_add_f64 v[141:142], v[141:142], v[149:150]
	s_clause 0x2
	buffer_load_dword v193, off, s[0:3], 0 offset:812
	buffer_load_dword v150, off, s[0:3], 0 offset:788
	;; [unrolled: 1-line block ×3, first 2 shown]
	v_add_f64 v[145:146], v[157:158], v[145:146]
	s_waitcnt vmcnt(58) lgkmcnt(0)
	v_mul_f64 v[157:158], v[137:138], v[163:164]
	v_mul_f64 v[163:164], v[139:140], v[163:164]
	ds_read_b128 v[5:8], v189 offset:1600
	s_waitcnt vmcnt(56)
	v_fma_f64 v[159:160], v[1:2], v[165:166], -v[159:160]
	v_add_f64 v[141:142], v[141:142], v[155:156]
	v_fma_f64 v[155:156], v[3:4], v[165:166], v[221:222]
	v_add_f64 v[143:144], v[145:146], v[143:144]
	s_clause 0x4
	buffer_load_dword v146, off, s[0:3], 0 offset:828
	buffer_load_dword v165, off, s[0:3], 0 offset:840
	buffer_load_dword v198, off, s[0:3], 0 offset:832
	buffer_load_dword v145, off, s[0:3], 0 offset:824
	buffer_load_dword v205, off, s[0:3], 0 offset:804
	s_waitcnt vmcnt(57) lgkmcnt(0)
	v_mul_f64 v[221:222], v[5:6], v[167:168]
	v_mul_f64 v[167:168], v[7:8], v[167:168]
	s_waitcnt vmcnt(56)
	v_fma_f64 v[163:164], v[137:138], v[151:152], -v[163:164]
	ds_read_b128 v[1:4], v189 offset:1616
	v_fma_f64 v[151:152], v[139:140], v[151:152], v[157:158]
	v_add_f64 v[141:142], v[141:142], v[159:160]
	v_add_f64 v[143:144], v[143:144], v[155:156]
	s_clause 0x2
	buffer_load_dword v166, off, s[0:3], 0 offset:844
	buffer_load_dword v156, off, s[0:3], 0 offset:820
	;; [unrolled: 1-line block ×3, first 2 shown]
	ds_read_b128 v[137:140], v189 offset:1632
	s_waitcnt vmcnt(58) lgkmcnt(1)
	v_mul_f64 v[159:160], v[3:4], v[171:172]
	s_waitcnt vmcnt(56)
	v_fma_f64 v[167:168], v[5:6], v[173:174], -v[167:168]
	v_mul_f64 v[157:158], v[1:2], v[171:172]
	v_add_f64 v[141:142], v[141:142], v[163:164]
	v_fma_f64 v[163:164], v[7:8], v[173:174], v[221:222]
	v_add_f64 v[143:144], v[143:144], v[151:152]
	s_clause 0x4
	buffer_load_dword v152, off, s[0:3], 0 offset:860
	buffer_load_dword v171, off, s[0:3], 0 offset:872
	;; [unrolled: 1-line block ×5, first 2 shown]
	s_waitcnt vmcnt(57) lgkmcnt(0)
	v_mul_f64 v[221:222], v[137:138], v[175:176]
	v_mul_f64 v[174:175], v[139:140], v[175:176]
	s_waitcnt vmcnt(56)
	v_fma_f64 v[159:160], v[1:2], v[161:162], -v[159:160]
	ds_read_b128 v[5:8], v189 offset:1648
	v_fma_f64 v[157:158], v[3:4], v[161:162], v[157:158]
	s_clause 0x2
	buffer_load_dword v172, off, s[0:3], 0 offset:876
	buffer_load_dword v162, off, s[0:3], 0 offset:852
	;; [unrolled: 1-line block ×3, first 2 shown]
	ds_read_b128 v[1:4], v189 offset:1664
	v_add_f64 v[141:142], v[141:142], v[167:168]
	v_add_f64 v[143:144], v[143:144], v[163:164]
	s_waitcnt vmcnt(58) lgkmcnt(1)
	v_mul_f64 v[167:168], v[7:8], v[179:180]
	s_waitcnt vmcnt(56)
	v_fma_f64 v[175:176], v[137:138], v[181:182], -v[174:175]
	v_mul_f64 v[163:164], v[5:6], v[179:180]
	v_add_f64 v[141:142], v[141:142], v[159:160]
	v_fma_f64 v[159:160], v[139:140], v[181:182], v[221:222]
	v_add_f64 v[143:144], v[143:144], v[157:158]
	s_clause 0x4
	buffer_load_dword v158, off, s[0:3], 0 offset:892
	buffer_load_dword v179, off, s[0:3], 0 offset:904
	;; [unrolled: 1-line block ×5, first 2 shown]
	s_waitcnt vmcnt(57) lgkmcnt(0)
	v_mul_f64 v[221:222], v[1:2], v[183:184]
	v_mul_f64 v[182:183], v[3:4], v[183:184]
	s_waitcnt vmcnt(56)
	v_fma_f64 v[167:168], v[5:6], v[169:170], -v[167:168]
	ds_read_b128 v[137:140], v189 offset:1680
	v_fma_f64 v[163:164], v[7:8], v[169:170], v[163:164]
	v_add_f64 v[141:142], v[141:142], v[175:176]
	v_add_f64 v[143:144], v[143:144], v[159:160]
	s_clause 0x2
	buffer_load_dword v180, off, s[0:3], 0 offset:908
	buffer_load_dword v160, off, s[0:3], 0 offset:884
	;; [unrolled: 1-line block ×3, first 2 shown]
	ds_read_b128 v[5:8], v189 offset:1696
	s_waitcnt vmcnt(58) lgkmcnt(1)
	v_mul_f64 v[175:176], v[139:140], v[185:186]
	s_waitcnt vmcnt(56)
	v_fma_f64 v[183:184], v[1:2], v[187:188], -v[182:183]
	v_mul_f64 v[169:170], v[137:138], v[185:186]
	v_add_f64 v[141:142], v[141:142], v[167:168]
	v_fma_f64 v[167:168], v[3:4], v[187:188], v[221:222]
	v_add_f64 v[143:144], v[143:144], v[163:164]
	s_clause 0x4
	buffer_load_dword v164, off, s[0:3], 0 offset:924
	buffer_load_dword v185, off, s[0:3], 0 offset:936
	;; [unrolled: 1-line block ×5, first 2 shown]
	s_waitcnt vmcnt(57) lgkmcnt(0)
	v_mul_f64 v[221:222], v[5:6], v[206:207]
	v_mul_f64 v[206:207], v[7:8], v[206:207]
	s_waitcnt vmcnt(56)
	v_fma_f64 v[175:176], v[137:138], v[177:178], -v[175:176]
	ds_read_b128 v[1:4], v189 offset:1712
	v_fma_f64 v[169:170], v[139:140], v[177:178], v[169:170]
	v_add_f64 v[141:142], v[141:142], v[183:184]
	v_add_f64 v[143:144], v[143:144], v[167:168]
	s_clause 0x2
	buffer_load_dword v186, off, s[0:3], 0 offset:940
	buffer_load_dword v168, off, s[0:3], 0 offset:916
	buffer_load_dword v167, off, s[0:3], 0 offset:912
	ds_read_b128 v[137:140], v189 offset:1728
	s_waitcnt vmcnt(58) lgkmcnt(1)
	v_mul_f64 v[183:184], v[3:4], v[208:209]
	s_waitcnt vmcnt(56)
	v_fma_f64 v[206:207], v[5:6], v[213:214], -v[206:207]
	v_mul_f64 v[177:178], v[1:2], v[208:209]
	v_add_f64 v[141:142], v[141:142], v[175:176]
	v_fma_f64 v[175:176], v[7:8], v[213:214], v[221:222]
	v_add_f64 v[143:144], v[143:144], v[169:170]
	s_clause 0x4
	buffer_load_dword v170, off, s[0:3], 0 offset:956
	buffer_load_dword v208, off, s[0:3], 0 offset:968
	;; [unrolled: 1-line block ×5, first 2 shown]
	ds_read_b128 v[5:8], v189 offset:1744
	s_waitcnt vmcnt(57) lgkmcnt(1)
	v_mul_f64 v[213:214], v[137:138], v[200:201]
	v_mul_f64 v[200:201], v[139:140], v[200:201]
	s_waitcnt vmcnt(56)
	v_fma_f64 v[183:184], v[1:2], v[210:211], -v[183:184]
	v_fma_f64 v[177:178], v[3:4], v[210:211], v[177:178]
	v_add_f64 v[141:142], v[141:142], v[206:207]
	v_add_f64 v[143:144], v[143:144], v[175:176]
	s_clause 0x2
	buffer_load_dword v209, off, s[0:3], 0 offset:972
	buffer_load_dword v176, off, s[0:3], 0 offset:948
	;; [unrolled: 1-line block ×3, first 2 shown]
	ds_read_b128 v[1:4], v189 offset:1760
	s_waitcnt vmcnt(58) lgkmcnt(1)
	v_mul_f64 v[210:211], v[7:8], v[217:218]
	v_mul_f64 v[206:207], v[5:6], v[217:218]
	s_waitcnt vmcnt(56)
	v_fma_f64 v[200:201], v[137:138], v[194:195], -v[200:201]
	v_add_f64 v[141:142], v[141:142], v[183:184]
	v_fma_f64 v[183:184], v[139:140], v[194:195], v[213:214]
	v_add_f64 v[143:144], v[143:144], v[177:178]
	s_clause 0x4
	buffer_load_dword v178, off, s[0:3], 0 offset:988
	buffer_load_dword v194, off, s[0:3], 0 offset:1000
	;; [unrolled: 1-line block ×5, first 2 shown]
	ds_read_b128 v[137:140], v189 offset:1776
	s_waitcnt vmcnt(57) lgkmcnt(1)
	v_mul_f64 v[221:222], v[1:2], v[153:154]
	v_mul_f64 v[153:154], v[3:4], v[153:154]
	s_waitcnt vmcnt(56)
	v_fma_f64 v[210:211], v[5:6], v[219:220], -v[210:211]
	v_add_f64 v[141:142], v[141:142], v[200:201]
	v_fma_f64 v[200:201], v[7:8], v[219:220], v[206:207]
	v_add_f64 v[143:144], v[143:144], v[183:184]
	s_clause 0x2
	buffer_load_dword v195, off, s[0:3], 0 offset:1004
	buffer_load_dword v184, off, s[0:3], 0 offset:980
	;; [unrolled: 1-line block ×3, first 2 shown]
	ds_read_b128 v[5:8], v189 offset:1792
	s_waitcnt vmcnt(58) lgkmcnt(1)
	v_mul_f64 v[206:207], v[137:138], v[202:203]
	v_mul_f64 v[202:203], v[139:140], v[202:203]
	s_waitcnt vmcnt(56)
	v_fma_f64 v[153:154], v[1:2], v[147:148], -v[153:154]
	v_fma_f64 v[147:148], v[3:4], v[147:148], v[221:222]
	v_add_f64 v[141:142], v[141:142], v[210:211]
	v_add_f64 v[143:144], v[143:144], v[200:201]
	s_clause 0x4
	buffer_load_dword v201, off, s[0:3], 0 offset:1020
	buffer_load_dword v210, off, s[0:3], 0 offset:1032
	;; [unrolled: 1-line block ×5, first 2 shown]
	ds_read_b128 v[1:4], v189 offset:1808
	s_waitcnt vmcnt(57) lgkmcnt(1)
	v_mul_f64 v[219:220], v[5:6], v[190:191]
	v_mul_f64 v[190:191], v[7:8], v[190:191]
	s_waitcnt vmcnt(56)
	v_fma_f64 v[202:203], v[137:138], v[215:216], -v[202:203]
	v_add_f64 v[141:142], v[141:142], v[153:154]
	v_fma_f64 v[153:154], v[139:140], v[215:216], v[206:207]
	v_add_f64 v[143:144], v[143:144], v[147:148]
	s_clause 0x2
	buffer_load_dword v211, off, s[0:3], 0 offset:1036
	buffer_load_dword v148, off, s[0:3], 0 offset:1012
	;; [unrolled: 1-line block ×3, first 2 shown]
	ds_read_b128 v[137:140], v189 offset:1824
	buffer_load_dword v215, off, s[0:3], 0 offset:1028
	s_waitcnt vmcnt(59) lgkmcnt(1)
	v_mul_f64 v[206:207], v[1:2], v[192:193]
	v_mul_f64 v[192:193], v[3:4], v[192:193]
	s_waitcnt vmcnt(57)
	v_fma_f64 v[190:191], v[5:6], v[149:150], -v[190:191]
	v_fma_f64 v[149:150], v[7:8], v[149:150], v[219:220]
	ds_read_b128 v[5:8], v189 offset:1840
	v_add_f64 v[141:142], v[141:142], v[202:203]
	v_add_f64 v[143:144], v[143:144], v[153:154]
	s_waitcnt vmcnt(53) lgkmcnt(1)
	v_mul_f64 v[153:154], v[137:138], v[145:146]
	v_mul_f64 v[145:146], v[139:140], v[145:146]
	s_waitcnt vmcnt(52)
	v_fma_f64 v[192:193], v[1:2], v[204:205], -v[192:193]
	v_add_f64 v[141:142], v[141:142], v[190:191]
	v_fma_f64 v[190:191], v[3:4], v[204:205], v[206:207]
	v_add_f64 v[143:144], v[143:144], v[149:150]
	ds_read_b128 v[1:4], v189 offset:1856
	s_waitcnt vmcnt(51) lgkmcnt(1)
	v_mul_f64 v[149:150], v[5:6], v[165:166]
	v_mul_f64 v[165:166], v[7:8], v[165:166]
	s_waitcnt vmcnt(49)
	v_fma_f64 v[145:146], v[137:138], v[155:156], -v[145:146]
	v_fma_f64 v[153:154], v[139:140], v[155:156], v[153:154]
	v_add_f64 v[141:142], v[141:142], v[192:193]
	v_add_f64 v[143:144], v[143:144], v[190:191]
	s_clause 0x3
	buffer_load_dword v155, off, s[0:3], 0 offset:432
	buffer_load_dword v156, off, s[0:3], 0 offset:436
	;; [unrolled: 1-line block ×4, first 2 shown]
	ds_read_b128 v[137:140], v189 offset:1872
	s_waitcnt vmcnt(49) lgkmcnt(1)
	v_mul_f64 v[192:193], v[1:2], v[151:152]
	v_mul_f64 v[151:152], v[3:4], v[151:152]
	s_waitcnt vmcnt(48)
	v_fma_f64 v[165:166], v[5:6], v[198:199], -v[165:166]
	v_add_f64 v[141:142], v[141:142], v[145:146]
	v_fma_f64 v[145:146], v[7:8], v[198:199], v[149:150]
	v_add_f64 v[143:144], v[143:144], v[153:154]
	ds_read_b128 v[5:8], v189 offset:1888
	s_waitcnt vmcnt(47) lgkmcnt(1)
	v_mul_f64 v[153:154], v[139:140], v[171:172]
	v_mul_f64 v[149:150], v[137:138], v[171:172]
	s_waitcnt vmcnt(45)
	v_fma_f64 v[151:152], v[1:2], v[161:162], -v[151:152]
	v_fma_f64 v[161:162], v[3:4], v[161:162], v[192:193]
	ds_read_b128 v[1:4], v189 offset:1904
	v_add_f64 v[141:142], v[141:142], v[165:166]
	v_add_f64 v[143:144], v[143:144], v[145:146]
	s_waitcnt vmcnt(41) lgkmcnt(1)
	v_mul_f64 v[145:146], v[5:6], v[157:158]
	v_mul_f64 v[157:158], v[7:8], v[157:158]
	s_waitcnt vmcnt(40)
	v_fma_f64 v[153:154], v[137:138], v[173:174], -v[153:154]
	v_fma_f64 v[149:150], v[139:140], v[173:174], v[149:150]
	ds_read_b128 v[137:140], v189 offset:1920
	v_add_f64 v[141:142], v[141:142], v[151:152]
	v_add_f64 v[143:144], v[143:144], v[161:162]
	;; [unrolled: 9-line block ×3, first 2 shown]
	s_waitcnt vmcnt(33) lgkmcnt(1)
	v_mul_f64 v[153:154], v[139:140], v[163:164]
	s_waitcnt vmcnt(32)
	v_fma_f64 v[159:160], v[1:2], v[181:182], -v[161:162]
	v_mul_f64 v[149:150], v[137:138], v[163:164]
	v_fma_f64 v[151:152], v[3:4], v[181:182], v[151:152]
	ds_read_b128 v[1:4], v189 offset:1952
	v_add_f64 v[141:142], v[141:142], v[157:158]
	v_add_f64 v[143:144], v[143:144], v[145:146]
	s_waitcnt vmcnt(31) lgkmcnt(1)
	v_mul_f64 v[157:158], v[7:8], v[185:186]
	v_mul_f64 v[145:146], v[5:6], v[185:186]
	s_waitcnt vmcnt(29)
	v_fma_f64 v[153:154], v[137:138], v[167:168], -v[153:154]
	v_fma_f64 v[149:150], v[139:140], v[167:168], v[149:150]
	ds_read_b128 v[137:140], v189 offset:1968
	v_add_f64 v[141:142], v[141:142], v[159:160]
	v_add_f64 v[143:144], v[143:144], v[151:152]
	s_waitcnt vmcnt(25) lgkmcnt(1)
	v_mul_f64 v[159:160], v[3:4], v[169:170]
	s_waitcnt vmcnt(24)
	v_fma_f64 v[157:158], v[5:6], v[187:188], -v[157:158]
	v_mul_f64 v[151:152], v[1:2], v[169:170]
	v_fma_f64 v[145:146], v[7:8], v[187:188], v[145:146]
	ds_read_b128 v[5:8], v189 offset:1984
	v_add_f64 v[141:142], v[141:142], v[153:154]
	v_add_f64 v[143:144], v[143:144], v[149:150]
	s_waitcnt vmcnt(23) lgkmcnt(1)
	v_mul_f64 v[153:154], v[139:140], v[208:209]
	v_mul_f64 v[149:150], v[137:138], v[208:209]
	s_waitcnt vmcnt(21)
	v_fma_f64 v[159:160], v[1:2], v[175:176], -v[159:160]
	v_fma_f64 v[151:152], v[3:4], v[175:176], v[151:152]
	ds_read_b128 v[1:4], v189 offset:2000
	v_add_f64 v[141:142], v[141:142], v[157:158]
	v_add_f64 v[143:144], v[143:144], v[145:146]
	;; [unrolled: 18-line block ×3, first 2 shown]
	s_waitcnt vmcnt(9) lgkmcnt(1)
	v_mul_f64 v[153:154], v[139:140], v[200:201]
	s_waitcnt vmcnt(8)
	v_fma_f64 v[1:2], v[1:2], v[217:218], -v[159:160]
	v_mul_f64 v[149:150], v[137:138], v[200:201]
	v_fma_f64 v[3:4], v[3:4], v[217:218], v[151:152]
	v_add_f64 v[141:142], v[141:142], v[157:158]
	v_add_f64 v[143:144], v[143:144], v[145:146]
	s_waitcnt vmcnt(7) lgkmcnt(0)
	v_mul_f64 v[151:152], v[7:8], v[210:211]
	v_mul_f64 v[145:146], v[5:6], v[210:211]
	s_waitcnt vmcnt(5)
	v_fma_f64 v[137:138], v[137:138], v[147:148], -v[153:154]
	v_fma_f64 v[139:140], v[139:140], v[147:148], v[149:150]
	v_add_f64 v[1:2], v[141:142], v[1:2]
	v_add_f64 v[3:4], v[143:144], v[3:4]
	s_waitcnt vmcnt(4)
	v_fma_f64 v[5:6], v[5:6], v[214:215], -v[151:152]
	v_fma_f64 v[7:8], v[7:8], v[214:215], v[145:146]
	v_add_f64 v[1:2], v[1:2], v[137:138]
	v_add_f64 v[3:4], v[3:4], v[139:140]
	v_add_f64 v[1:2], v[1:2], v[5:6]
	v_add_f64 v[3:4], v[3:4], v[7:8]
	s_waitcnt vmcnt(2)
	v_add_f64 v[1:2], v[155:156], -v[1:2]
	s_waitcnt vmcnt(0)
	v_add_f64 v[3:4], v[190:191], -v[3:4]
	buffer_store_dword v2, off, s[0:3], 0 offset:436
	buffer_store_dword v1, off, s[0:3], 0 offset:432
	;; [unrolled: 1-line block ×4, first 2 shown]
	v_cmpx_lt_u32_e32 25, v0
	s_cbranch_execz .LBB127_359
; %bb.358:
	v_mov_b32_e32 v4, s53
	s_clause 0x3
	buffer_load_dword v1, v4, s[0:3], 0 offen
	buffer_load_dword v2, v4, s[0:3], 0 offen offset:4
	buffer_load_dword v3, v4, s[0:3], 0 offen offset:8
	;; [unrolled: 1-line block ×3, first 2 shown]
	buffer_store_dword v189, off, s[0:3], 0 offset:416
	buffer_store_dword v189, off, s[0:3], 0 offset:420
	;; [unrolled: 1-line block ×4, first 2 shown]
	s_waitcnt vmcnt(0)
	ds_write_b128 v197, v[1:4]
.LBB127_359:
	s_or_b32 exec_lo, exec_lo, s4
	s_waitcnt lgkmcnt(0)
	s_waitcnt_vscnt null, 0x0
	s_barrier
	buffer_gl0_inv
	s_clause 0x37
	buffer_load_dword v137, off, s[0:3], 0 offset:440
	buffer_load_dword v138, off, s[0:3], 0 offset:444
	;; [unrolled: 1-line block ×56, first 2 shown]
	ds_read_b128 v[190:193], v189 offset:1440
	s_clause 0x2
	buffer_load_dword v186, off, s[0:3], 0 offset:668
	buffer_load_dword v188, off, s[0:3], 0 offset:644
	;; [unrolled: 1-line block ×3, first 2 shown]
	ds_read_b128 v[198:201], v189 offset:1456
	s_clause 0x4
	buffer_load_dword v207, off, s[0:3], 0 offset:684
	buffer_load_dword v208, off, s[0:3], 0 offset:696
	;; [unrolled: 1-line block ×5, first 2 shown]
	ds_read_b128 v[202:205], v189 offset:1472
	s_clause 0x2
	buffer_load_dword v209, off, s[0:3], 0 offset:700
	buffer_load_dword v214, off, s[0:3], 0 offset:676
	buffer_load_dword v213, off, s[0:3], 0 offset:672
	s_mov_b32 s4, exec_lo
	s_waitcnt vmcnt(62) lgkmcnt(2)
	v_mul_f64 v[194:195], v[192:193], v[137:138]
	v_mul_f64 v[137:138], v[190:191], v[137:138]
	s_waitcnt lgkmcnt(1)
	v_mul_f64 v[211:212], v[200:201], v[5:6]
	s_waitcnt vmcnt(59) lgkmcnt(0)
	v_mul_f64 v[215:216], v[204:205], v[3:4]
	v_fma_f64 v[190:191], v[190:191], v[7:8], -v[194:195]
	v_mul_f64 v[194:195], v[198:199], v[5:6]
	v_fma_f64 v[137:138], v[192:193], v[7:8], v[137:138]
	s_waitcnt vmcnt(57)
	v_fma_f64 v[198:199], v[198:199], v[1:2], -v[211:212]
	ds_read_b128 v[5:8], v189 offset:1488
	v_mul_f64 v[192:193], v[202:203], v[3:4]
	s_waitcnt vmcnt(51)
	v_fma_f64 v[202:203], v[202:203], v[153:154], -v[215:216]
	v_add_f64 v[190:191], v[190:191], 0
	v_fma_f64 v[194:195], v[200:201], v[1:2], v[194:195]
	v_add_f64 v[137:138], v[137:138], 0
	s_clause 0x4
	buffer_load_dword v201, off, s[0:3], 0 offset:716
	buffer_load_dword v217, off, s[0:3], 0 offset:728
	;; [unrolled: 1-line block ×5, first 2 shown]
	s_waitcnt lgkmcnt(0)
	v_mul_f64 v[220:221], v[5:6], v[141:142]
	v_mul_f64 v[141:142], v[7:8], v[141:142]
	ds_read_b128 v[1:4], v189 offset:1504
	v_fma_f64 v[153:154], v[204:205], v[153:154], v[192:193]
	v_add_f64 v[198:199], v[190:191], v[198:199]
	v_add_f64 v[137:138], v[137:138], v[194:195]
	s_clause 0x2
	buffer_load_dword v218, off, s[0:3], 0 offset:732
	buffer_load_dword v195, off, s[0:3], 0 offset:708
	;; [unrolled: 1-line block ×3, first 2 shown]
	s_waitcnt vmcnt(58) lgkmcnt(0)
	v_mul_f64 v[204:205], v[1:2], v[145:146]
	v_mul_f64 v[145:146], v[3:4], v[145:146]
	s_waitcnt vmcnt(56)
	v_fma_f64 v[141:142], v[5:6], v[147:148], -v[141:142]
	ds_read_b128 v[190:193], v189 offset:1520
	v_fma_f64 v[147:148], v[7:8], v[147:148], v[220:221]
	v_add_f64 v[198:199], v[198:199], v[202:203]
	v_add_f64 v[137:138], v[137:138], v[153:154]
	s_clause 0x4
	buffer_load_dword v154, off, s[0:3], 0 offset:748
	buffer_load_dword v202, off, s[0:3], 0 offset:760
	;; [unrolled: 1-line block ×5, first 2 shown]
	ds_read_b128 v[5:8], v189 offset:1536
	s_waitcnt vmcnt(57) lgkmcnt(1)
	v_mul_f64 v[221:222], v[190:191], v[149:150]
	v_mul_f64 v[149:150], v[192:193], v[149:150]
	s_waitcnt vmcnt(56)
	v_fma_f64 v[145:146], v[1:2], v[139:140], -v[145:146]
	v_fma_f64 v[139:140], v[3:4], v[139:140], v[204:205]
	v_add_f64 v[141:142], v[198:199], v[141:142]
	v_add_f64 v[137:138], v[137:138], v[147:148]
	s_clause 0x2
	buffer_load_dword v203, off, s[0:3], 0 offset:764
	buffer_load_dword v148, off, s[0:3], 0 offset:740
	;; [unrolled: 1-line block ×3, first 2 shown]
	s_waitcnt vmcnt(58) lgkmcnt(0)
	v_mul_f64 v[198:199], v[5:6], v[155:156]
	v_mul_f64 v[155:156], v[7:8], v[155:156]
	s_waitcnt vmcnt(56)
	v_fma_f64 v[149:150], v[190:191], v[157:158], -v[149:150]
	ds_read_b128 v[1:4], v189 offset:1552
	v_add_f64 v[141:142], v[141:142], v[145:146]
	v_fma_f64 v[145:146], v[192:193], v[157:158], v[221:222]
	v_add_f64 v[157:158], v[137:138], v[139:140]
	s_clause 0x4
	buffer_load_dword v191, off, s[0:3], 0 offset:780
	buffer_load_dword v192, off, s[0:3], 0 offset:792
	;; [unrolled: 1-line block ×5, first 2 shown]
	ds_read_b128 v[137:140], v189 offset:1568
	s_waitcnt vmcnt(57) lgkmcnt(1)
	v_mul_f64 v[221:222], v[1:2], v[159:160]
	v_mul_f64 v[159:160], v[3:4], v[159:160]
	s_waitcnt vmcnt(56)
	v_fma_f64 v[155:156], v[5:6], v[143:144], -v[155:156]
	v_fma_f64 v[143:144], v[7:8], v[143:144], v[198:199]
	v_add_f64 v[141:142], v[141:142], v[149:150]
	s_clause 0x2
	buffer_load_dword v193, off, s[0:3], 0 offset:796
	buffer_load_dword v150, off, s[0:3], 0 offset:772
	;; [unrolled: 1-line block ×3, first 2 shown]
	v_add_f64 v[145:146], v[157:158], v[145:146]
	s_waitcnt vmcnt(58) lgkmcnt(0)
	v_mul_f64 v[157:158], v[137:138], v[163:164]
	v_mul_f64 v[163:164], v[139:140], v[163:164]
	ds_read_b128 v[5:8], v189 offset:1584
	s_waitcnt vmcnt(56)
	v_fma_f64 v[159:160], v[1:2], v[165:166], -v[159:160]
	v_add_f64 v[141:142], v[141:142], v[155:156]
	v_fma_f64 v[155:156], v[3:4], v[165:166], v[221:222]
	v_add_f64 v[143:144], v[145:146], v[143:144]
	s_clause 0x4
	buffer_load_dword v146, off, s[0:3], 0 offset:812
	buffer_load_dword v165, off, s[0:3], 0 offset:824
	;; [unrolled: 1-line block ×5, first 2 shown]
	s_waitcnt vmcnt(57) lgkmcnt(0)
	v_mul_f64 v[221:222], v[5:6], v[167:168]
	v_mul_f64 v[167:168], v[7:8], v[167:168]
	s_waitcnt vmcnt(56)
	v_fma_f64 v[163:164], v[137:138], v[151:152], -v[163:164]
	ds_read_b128 v[1:4], v189 offset:1600
	v_fma_f64 v[151:152], v[139:140], v[151:152], v[157:158]
	v_add_f64 v[141:142], v[141:142], v[159:160]
	v_add_f64 v[143:144], v[143:144], v[155:156]
	s_clause 0x2
	buffer_load_dword v166, off, s[0:3], 0 offset:828
	buffer_load_dword v156, off, s[0:3], 0 offset:804
	;; [unrolled: 1-line block ×3, first 2 shown]
	ds_read_b128 v[137:140], v189 offset:1616
	s_waitcnt vmcnt(58) lgkmcnt(1)
	v_mul_f64 v[159:160], v[3:4], v[171:172]
	s_waitcnt vmcnt(56)
	v_fma_f64 v[167:168], v[5:6], v[173:174], -v[167:168]
	v_mul_f64 v[157:158], v[1:2], v[171:172]
	v_add_f64 v[141:142], v[141:142], v[163:164]
	v_fma_f64 v[163:164], v[7:8], v[173:174], v[221:222]
	v_add_f64 v[143:144], v[143:144], v[151:152]
	s_clause 0x4
	buffer_load_dword v152, off, s[0:3], 0 offset:844
	buffer_load_dword v171, off, s[0:3], 0 offset:856
	;; [unrolled: 1-line block ×5, first 2 shown]
	s_waitcnt vmcnt(57) lgkmcnt(0)
	v_mul_f64 v[221:222], v[137:138], v[175:176]
	v_mul_f64 v[174:175], v[139:140], v[175:176]
	s_waitcnt vmcnt(56)
	v_fma_f64 v[159:160], v[1:2], v[161:162], -v[159:160]
	ds_read_b128 v[5:8], v189 offset:1632
	v_fma_f64 v[157:158], v[3:4], v[161:162], v[157:158]
	s_clause 0x2
	buffer_load_dword v172, off, s[0:3], 0 offset:860
	buffer_load_dword v162, off, s[0:3], 0 offset:836
	;; [unrolled: 1-line block ×3, first 2 shown]
	ds_read_b128 v[1:4], v189 offset:1648
	v_add_f64 v[141:142], v[141:142], v[167:168]
	v_add_f64 v[143:144], v[143:144], v[163:164]
	s_waitcnt vmcnt(58) lgkmcnt(1)
	v_mul_f64 v[167:168], v[7:8], v[179:180]
	s_waitcnt vmcnt(56)
	v_fma_f64 v[175:176], v[137:138], v[181:182], -v[174:175]
	v_mul_f64 v[163:164], v[5:6], v[179:180]
	v_add_f64 v[141:142], v[141:142], v[159:160]
	v_fma_f64 v[159:160], v[139:140], v[181:182], v[221:222]
	v_add_f64 v[143:144], v[143:144], v[157:158]
	s_clause 0x4
	buffer_load_dword v158, off, s[0:3], 0 offset:876
	buffer_load_dword v179, off, s[0:3], 0 offset:888
	;; [unrolled: 1-line block ×5, first 2 shown]
	s_waitcnt vmcnt(57) lgkmcnt(0)
	v_mul_f64 v[221:222], v[1:2], v[183:184]
	v_mul_f64 v[182:183], v[3:4], v[183:184]
	s_waitcnt vmcnt(56)
	v_fma_f64 v[167:168], v[5:6], v[169:170], -v[167:168]
	ds_read_b128 v[137:140], v189 offset:1664
	v_fma_f64 v[163:164], v[7:8], v[169:170], v[163:164]
	v_add_f64 v[141:142], v[141:142], v[175:176]
	v_add_f64 v[143:144], v[143:144], v[159:160]
	s_clause 0x2
	buffer_load_dword v180, off, s[0:3], 0 offset:892
	buffer_load_dword v160, off, s[0:3], 0 offset:868
	;; [unrolled: 1-line block ×3, first 2 shown]
	ds_read_b128 v[5:8], v189 offset:1680
	s_waitcnt vmcnt(58) lgkmcnt(1)
	v_mul_f64 v[175:176], v[139:140], v[185:186]
	s_waitcnt vmcnt(56)
	v_fma_f64 v[183:184], v[1:2], v[187:188], -v[182:183]
	v_mul_f64 v[169:170], v[137:138], v[185:186]
	v_add_f64 v[141:142], v[141:142], v[167:168]
	v_fma_f64 v[167:168], v[3:4], v[187:188], v[221:222]
	v_add_f64 v[143:144], v[143:144], v[163:164]
	s_clause 0x4
	buffer_load_dword v164, off, s[0:3], 0 offset:908
	buffer_load_dword v185, off, s[0:3], 0 offset:920
	;; [unrolled: 1-line block ×5, first 2 shown]
	s_waitcnt vmcnt(57) lgkmcnt(0)
	v_mul_f64 v[221:222], v[5:6], v[206:207]
	v_mul_f64 v[206:207], v[7:8], v[206:207]
	s_waitcnt vmcnt(56)
	v_fma_f64 v[175:176], v[137:138], v[177:178], -v[175:176]
	ds_read_b128 v[1:4], v189 offset:1696
	v_fma_f64 v[169:170], v[139:140], v[177:178], v[169:170]
	v_add_f64 v[141:142], v[141:142], v[183:184]
	v_add_f64 v[143:144], v[143:144], v[167:168]
	s_clause 0x2
	buffer_load_dword v186, off, s[0:3], 0 offset:924
	buffer_load_dword v168, off, s[0:3], 0 offset:900
	;; [unrolled: 1-line block ×3, first 2 shown]
	ds_read_b128 v[137:140], v189 offset:1712
	s_waitcnt vmcnt(58) lgkmcnt(1)
	v_mul_f64 v[183:184], v[3:4], v[208:209]
	s_waitcnt vmcnt(56)
	v_fma_f64 v[206:207], v[5:6], v[213:214], -v[206:207]
	v_mul_f64 v[177:178], v[1:2], v[208:209]
	v_add_f64 v[141:142], v[141:142], v[175:176]
	v_fma_f64 v[175:176], v[7:8], v[213:214], v[221:222]
	v_add_f64 v[143:144], v[143:144], v[169:170]
	s_clause 0x4
	buffer_load_dword v170, off, s[0:3], 0 offset:940
	buffer_load_dword v208, off, s[0:3], 0 offset:952
	;; [unrolled: 1-line block ×5, first 2 shown]
	ds_read_b128 v[5:8], v189 offset:1728
	s_waitcnt vmcnt(57) lgkmcnt(1)
	v_mul_f64 v[213:214], v[137:138], v[200:201]
	v_mul_f64 v[200:201], v[139:140], v[200:201]
	s_waitcnt vmcnt(56)
	v_fma_f64 v[183:184], v[1:2], v[210:211], -v[183:184]
	v_fma_f64 v[177:178], v[3:4], v[210:211], v[177:178]
	v_add_f64 v[141:142], v[141:142], v[206:207]
	v_add_f64 v[143:144], v[143:144], v[175:176]
	s_clause 0x2
	buffer_load_dword v209, off, s[0:3], 0 offset:956
	buffer_load_dword v176, off, s[0:3], 0 offset:932
	;; [unrolled: 1-line block ×3, first 2 shown]
	ds_read_b128 v[1:4], v189 offset:1744
	s_waitcnt vmcnt(58) lgkmcnt(1)
	v_mul_f64 v[210:211], v[7:8], v[217:218]
	v_mul_f64 v[206:207], v[5:6], v[217:218]
	s_waitcnt vmcnt(56)
	v_fma_f64 v[200:201], v[137:138], v[194:195], -v[200:201]
	v_add_f64 v[141:142], v[141:142], v[183:184]
	v_fma_f64 v[183:184], v[139:140], v[194:195], v[213:214]
	v_add_f64 v[143:144], v[143:144], v[177:178]
	s_clause 0x4
	buffer_load_dword v178, off, s[0:3], 0 offset:972
	buffer_load_dword v194, off, s[0:3], 0 offset:984
	;; [unrolled: 1-line block ×5, first 2 shown]
	ds_read_b128 v[137:140], v189 offset:1760
	s_waitcnt vmcnt(57) lgkmcnt(1)
	v_mul_f64 v[221:222], v[1:2], v[153:154]
	v_mul_f64 v[153:154], v[3:4], v[153:154]
	s_waitcnt vmcnt(56)
	v_fma_f64 v[210:211], v[5:6], v[219:220], -v[210:211]
	v_add_f64 v[141:142], v[141:142], v[200:201]
	v_fma_f64 v[200:201], v[7:8], v[219:220], v[206:207]
	v_add_f64 v[143:144], v[143:144], v[183:184]
	s_clause 0x2
	buffer_load_dword v195, off, s[0:3], 0 offset:988
	buffer_load_dword v184, off, s[0:3], 0 offset:964
	;; [unrolled: 1-line block ×3, first 2 shown]
	ds_read_b128 v[5:8], v189 offset:1776
	s_waitcnt vmcnt(58) lgkmcnt(1)
	v_mul_f64 v[206:207], v[137:138], v[202:203]
	v_mul_f64 v[202:203], v[139:140], v[202:203]
	s_waitcnt vmcnt(56)
	v_fma_f64 v[153:154], v[1:2], v[147:148], -v[153:154]
	v_fma_f64 v[147:148], v[3:4], v[147:148], v[221:222]
	v_add_f64 v[141:142], v[141:142], v[210:211]
	v_add_f64 v[143:144], v[143:144], v[200:201]
	s_clause 0x4
	buffer_load_dword v201, off, s[0:3], 0 offset:1004
	buffer_load_dword v210, off, s[0:3], 0 offset:1016
	buffer_load_dword v214, off, s[0:3], 0 offset:1008
	buffer_load_dword v200, off, s[0:3], 0 offset:1000
	buffer_load_dword v218, off, s[0:3], 0 offset:980
	ds_read_b128 v[1:4], v189 offset:1792
	s_waitcnt vmcnt(57) lgkmcnt(1)
	v_mul_f64 v[219:220], v[5:6], v[190:191]
	v_mul_f64 v[190:191], v[7:8], v[190:191]
	s_waitcnt vmcnt(56)
	v_fma_f64 v[202:203], v[137:138], v[215:216], -v[202:203]
	v_add_f64 v[141:142], v[141:142], v[153:154]
	v_fma_f64 v[153:154], v[139:140], v[215:216], v[206:207]
	v_add_f64 v[143:144], v[143:144], v[147:148]
	s_clause 0x2
	buffer_load_dword v211, off, s[0:3], 0 offset:1020
	buffer_load_dword v148, off, s[0:3], 0 offset:996
	;; [unrolled: 1-line block ×3, first 2 shown]
	ds_read_b128 v[137:140], v189 offset:1808
	s_waitcnt vmcnt(58) lgkmcnt(1)
	v_mul_f64 v[206:207], v[1:2], v[192:193]
	v_mul_f64 v[192:193], v[3:4], v[192:193]
	s_waitcnt vmcnt(56)
	v_fma_f64 v[190:191], v[5:6], v[149:150], -v[190:191]
	v_fma_f64 v[149:150], v[7:8], v[149:150], v[219:220]
	v_add_f64 v[141:142], v[141:142], v[202:203]
	v_add_f64 v[143:144], v[143:144], v[153:154]
	s_clause 0x2
	buffer_load_dword v154, off, s[0:3], 0 offset:1036
	buffer_load_dword v153, off, s[0:3], 0 offset:1032
	;; [unrolled: 1-line block ×3, first 2 shown]
	ds_read_b128 v[5:8], v189 offset:1824
	s_waitcnt vmcnt(55) lgkmcnt(1)
	v_mul_f64 v[202:203], v[137:138], v[145:146]
	v_mul_f64 v[145:146], v[139:140], v[145:146]
	s_waitcnt vmcnt(54)
	v_fma_f64 v[192:193], v[1:2], v[204:205], -v[192:193]
	v_add_f64 v[141:142], v[141:142], v[190:191]
	v_fma_f64 v[190:191], v[3:4], v[204:205], v[206:207]
	v_add_f64 v[143:144], v[143:144], v[149:150]
	s_clause 0x1
	buffer_load_dword v150, off, s[0:3], 0 offset:1028
	buffer_load_dword v149, off, s[0:3], 0 offset:1024
	ds_read_b128 v[1:4], v189 offset:1840
	s_waitcnt vmcnt(55) lgkmcnt(1)
	v_mul_f64 v[204:205], v[5:6], v[165:166]
	v_mul_f64 v[165:166], v[7:8], v[165:166]
	s_waitcnt vmcnt(53)
	v_fma_f64 v[145:146], v[137:138], v[155:156], -v[145:146]
	v_fma_f64 v[155:156], v[139:140], v[155:156], v[202:203]
	ds_read_b128 v[137:140], v189 offset:1856
	v_add_f64 v[141:142], v[141:142], v[192:193]
	v_add_f64 v[143:144], v[143:144], v[190:191]
	s_waitcnt vmcnt(49) lgkmcnt(1)
	v_mul_f64 v[190:191], v[1:2], v[151:152]
	v_mul_f64 v[151:152], v[3:4], v[151:152]
	s_waitcnt vmcnt(48)
	v_fma_f64 v[165:166], v[5:6], v[198:199], -v[165:166]
	v_add_f64 v[141:142], v[141:142], v[145:146]
	v_fma_f64 v[145:146], v[7:8], v[198:199], v[204:205]
	v_add_f64 v[143:144], v[143:144], v[155:156]
	s_clause 0x3
	buffer_load_dword v155, off, s[0:3], 0 offset:416
	buffer_load_dword v156, off, s[0:3], 0 offset:420
	;; [unrolled: 1-line block ×4, first 2 shown]
	s_waitcnt vmcnt(51) lgkmcnt(0)
	v_mul_f64 v[198:199], v[137:138], v[171:172]
	v_mul_f64 v[171:172], v[139:140], v[171:172]
	ds_read_b128 v[5:8], v189 offset:1872
	s_waitcnt vmcnt(49)
	v_fma_f64 v[151:152], v[1:2], v[161:162], -v[151:152]
	v_fma_f64 v[161:162], v[3:4], v[161:162], v[190:191]
	ds_read_b128 v[1:4], v189 offset:1888
	v_add_f64 v[141:142], v[141:142], v[165:166]
	v_add_f64 v[143:144], v[143:144], v[145:146]
	s_waitcnt vmcnt(45) lgkmcnt(1)
	v_mul_f64 v[145:146], v[5:6], v[157:158]
	v_mul_f64 v[157:158], v[7:8], v[157:158]
	s_waitcnt vmcnt(44)
	v_fma_f64 v[165:166], v[137:138], v[173:174], -v[171:172]
	v_add_f64 v[141:142], v[141:142], v[151:152]
	v_fma_f64 v[151:152], v[139:140], v[173:174], v[198:199]
	v_add_f64 v[143:144], v[143:144], v[161:162]
	ds_read_b128 v[137:140], v189 offset:1904
	s_waitcnt vmcnt(43) lgkmcnt(1)
	v_mul_f64 v[171:172], v[3:4], v[179:180]
	v_mul_f64 v[161:162], v[1:2], v[179:180]
	s_waitcnt vmcnt(41)
	v_fma_f64 v[157:158], v[5:6], v[159:160], -v[157:158]
	v_fma_f64 v[145:146], v[7:8], v[159:160], v[145:146]
	ds_read_b128 v[5:8], v189 offset:1920
	v_add_f64 v[141:142], v[141:142], v[165:166]
	v_add_f64 v[143:144], v[143:144], v[151:152]
	s_waitcnt vmcnt(37) lgkmcnt(1)
	v_mul_f64 v[151:152], v[137:138], v[163:164]
	v_mul_f64 v[159:160], v[139:140], v[163:164]
	s_waitcnt vmcnt(36)
	v_fma_f64 v[163:164], v[1:2], v[181:182], -v[171:172]
	v_add_f64 v[141:142], v[141:142], v[157:158]
	v_fma_f64 v[157:158], v[3:4], v[181:182], v[161:162]
	v_add_f64 v[143:144], v[143:144], v[145:146]
	ds_read_b128 v[1:4], v189 offset:1936
	s_waitcnt vmcnt(35) lgkmcnt(1)
	v_mul_f64 v[161:162], v[7:8], v[185:186]
	v_mul_f64 v[145:146], v[5:6], v[185:186]
	s_waitcnt vmcnt(33)
	v_fma_f64 v[159:160], v[137:138], v[167:168], -v[159:160]
	v_fma_f64 v[151:152], v[139:140], v[167:168], v[151:152]
	ds_read_b128 v[137:140], v189 offset:1952
	v_add_f64 v[141:142], v[141:142], v[163:164]
	v_add_f64 v[143:144], v[143:144], v[157:158]
	s_waitcnt vmcnt(29) lgkmcnt(1)
	v_mul_f64 v[163:164], v[3:4], v[169:170]
	s_waitcnt vmcnt(28)
	v_fma_f64 v[161:162], v[5:6], v[187:188], -v[161:162]
	v_mul_f64 v[157:158], v[1:2], v[169:170]
	v_fma_f64 v[145:146], v[7:8], v[187:188], v[145:146]
	ds_read_b128 v[5:8], v189 offset:1968
	v_add_f64 v[141:142], v[141:142], v[159:160]
	v_add_f64 v[143:144], v[143:144], v[151:152]
	s_waitcnt vmcnt(27) lgkmcnt(1)
	v_mul_f64 v[159:160], v[139:140], v[208:209]
	v_mul_f64 v[151:152], v[137:138], v[208:209]
	s_waitcnt vmcnt(25)
	v_fma_f64 v[163:164], v[1:2], v[175:176], -v[163:164]
	v_fma_f64 v[157:158], v[3:4], v[175:176], v[157:158]
	ds_read_b128 v[1:4], v189 offset:1984
	v_add_f64 v[141:142], v[141:142], v[161:162]
	v_add_f64 v[143:144], v[143:144], v[145:146]
	s_waitcnt vmcnt(21) lgkmcnt(1)
	v_mul_f64 v[161:162], v[7:8], v[177:178]
	s_waitcnt vmcnt(20)
	v_fma_f64 v[159:160], v[137:138], v[212:213], -v[159:160]
	v_mul_f64 v[145:146], v[5:6], v[177:178]
	v_fma_f64 v[151:152], v[139:140], v[212:213], v[151:152]
	ds_read_b128 v[137:140], v189 offset:2000
	v_add_f64 v[141:142], v[141:142], v[163:164]
	v_add_f64 v[143:144], v[143:144], v[157:158]
	;; [unrolled: 18-line block ×3, first 2 shown]
	s_waitcnt vmcnt(11) lgkmcnt(1)
	v_mul_f64 v[161:162], v[7:8], v[210:211]
	v_mul_f64 v[145:146], v[5:6], v[210:211]
	s_waitcnt vmcnt(9)
	v_fma_f64 v[137:138], v[137:138], v[147:148], -v[159:160]
	v_fma_f64 v[139:140], v[139:140], v[147:148], v[151:152]
	v_add_f64 v[141:142], v[141:142], v[163:164]
	v_add_f64 v[143:144], v[143:144], v[157:158]
	s_waitcnt vmcnt(7) lgkmcnt(0)
	v_mul_f64 v[151:152], v[3:4], v[153:154]
	s_waitcnt vmcnt(6)
	v_fma_f64 v[5:6], v[5:6], v[214:215], -v[161:162]
	v_mul_f64 v[147:148], v[1:2], v[153:154]
	v_fma_f64 v[7:8], v[7:8], v[214:215], v[145:146]
	v_add_f64 v[137:138], v[141:142], v[137:138]
	v_add_f64 v[139:140], v[143:144], v[139:140]
	s_waitcnt vmcnt(4)
	v_fma_f64 v[1:2], v[1:2], v[149:150], -v[151:152]
	v_fma_f64 v[3:4], v[3:4], v[149:150], v[147:148]
	v_add_f64 v[5:6], v[137:138], v[5:6]
	v_add_f64 v[7:8], v[139:140], v[7:8]
	;; [unrolled: 1-line block ×4, first 2 shown]
	s_waitcnt vmcnt(2)
	v_add_f64 v[1:2], v[155:156], -v[1:2]
	s_waitcnt vmcnt(0)
	v_add_f64 v[3:4], v[192:193], -v[3:4]
	buffer_store_dword v2, off, s[0:3], 0 offset:420
	buffer_store_dword v1, off, s[0:3], 0 offset:416
	;; [unrolled: 1-line block ×4, first 2 shown]
	v_cmpx_lt_u32_e32 24, v0
	s_cbranch_execz .LBB127_361
; %bb.360:
	v_mov_b32_e32 v4, s54
	v_mov_b32_e32 v5, 0
	s_clause 0x3
	buffer_load_dword v1, v4, s[0:3], 0 offen
	buffer_load_dword v2, v4, s[0:3], 0 offen offset:4
	buffer_load_dword v3, v4, s[0:3], 0 offen offset:8
	;; [unrolled: 1-line block ×3, first 2 shown]
	buffer_store_dword v5, off, s[0:3], 0 offset:400
	buffer_store_dword v5, off, s[0:3], 0 offset:404
	;; [unrolled: 1-line block ×4, first 2 shown]
	s_waitcnt vmcnt(0)
	ds_write_b128 v197, v[1:4]
.LBB127_361:
	s_or_b32 exec_lo, exec_lo, s4
	s_waitcnt lgkmcnt(0)
	s_waitcnt_vscnt null, 0x0
	s_barrier
	buffer_gl0_inv
	s_clause 0x37
	buffer_load_dword v137, off, s[0:3], 0 offset:424
	buffer_load_dword v138, off, s[0:3], 0 offset:428
	;; [unrolled: 1-line block ×56, first 2 shown]
	v_mov_b32_e32 v189, 0
	s_mov_b32 s4, exec_lo
	ds_read_b128 v[190:193], v189 offset:1424
	s_clause 0x2
	buffer_load_dword v186, off, s[0:3], 0 offset:652
	buffer_load_dword v188, off, s[0:3], 0 offset:628
	;; [unrolled: 1-line block ×3, first 2 shown]
	ds_read_b128 v[198:201], v189 offset:1440
	s_clause 0x4
	buffer_load_dword v207, off, s[0:3], 0 offset:668
	buffer_load_dword v208, off, s[0:3], 0 offset:680
	;; [unrolled: 1-line block ×5, first 2 shown]
	ds_read_b128 v[202:205], v189 offset:1456
	s_clause 0x2
	buffer_load_dword v209, off, s[0:3], 0 offset:684
	buffer_load_dword v214, off, s[0:3], 0 offset:660
	;; [unrolled: 1-line block ×3, first 2 shown]
	s_waitcnt vmcnt(62) lgkmcnt(2)
	v_mul_f64 v[194:195], v[192:193], v[137:138]
	v_mul_f64 v[137:138], v[190:191], v[137:138]
	s_waitcnt lgkmcnt(1)
	v_mul_f64 v[211:212], v[200:201], v[5:6]
	s_waitcnt vmcnt(59) lgkmcnt(0)
	v_mul_f64 v[215:216], v[204:205], v[3:4]
	v_fma_f64 v[190:191], v[190:191], v[7:8], -v[194:195]
	v_mul_f64 v[194:195], v[198:199], v[5:6]
	v_fma_f64 v[137:138], v[192:193], v[7:8], v[137:138]
	s_waitcnt vmcnt(57)
	v_fma_f64 v[198:199], v[198:199], v[1:2], -v[211:212]
	ds_read_b128 v[5:8], v189 offset:1472
	v_mul_f64 v[192:193], v[202:203], v[3:4]
	s_waitcnt vmcnt(51)
	v_fma_f64 v[202:203], v[202:203], v[153:154], -v[215:216]
	v_add_f64 v[190:191], v[190:191], 0
	v_fma_f64 v[194:195], v[200:201], v[1:2], v[194:195]
	v_add_f64 v[137:138], v[137:138], 0
	s_clause 0x4
	buffer_load_dword v201, off, s[0:3], 0 offset:700
	buffer_load_dword v217, off, s[0:3], 0 offset:712
	;; [unrolled: 1-line block ×5, first 2 shown]
	s_waitcnt lgkmcnt(0)
	v_mul_f64 v[220:221], v[5:6], v[141:142]
	v_mul_f64 v[141:142], v[7:8], v[141:142]
	ds_read_b128 v[1:4], v189 offset:1488
	v_fma_f64 v[153:154], v[204:205], v[153:154], v[192:193]
	v_add_f64 v[198:199], v[190:191], v[198:199]
	v_add_f64 v[137:138], v[137:138], v[194:195]
	s_clause 0x2
	buffer_load_dword v218, off, s[0:3], 0 offset:716
	buffer_load_dword v195, off, s[0:3], 0 offset:692
	;; [unrolled: 1-line block ×3, first 2 shown]
	s_waitcnt vmcnt(58) lgkmcnt(0)
	v_mul_f64 v[204:205], v[1:2], v[145:146]
	v_mul_f64 v[145:146], v[3:4], v[145:146]
	s_waitcnt vmcnt(56)
	v_fma_f64 v[141:142], v[5:6], v[147:148], -v[141:142]
	ds_read_b128 v[190:193], v189 offset:1504
	v_fma_f64 v[147:148], v[7:8], v[147:148], v[220:221]
	v_add_f64 v[198:199], v[198:199], v[202:203]
	v_add_f64 v[137:138], v[137:138], v[153:154]
	s_clause 0x4
	buffer_load_dword v154, off, s[0:3], 0 offset:732
	buffer_load_dword v202, off, s[0:3], 0 offset:744
	;; [unrolled: 1-line block ×5, first 2 shown]
	ds_read_b128 v[5:8], v189 offset:1520
	s_waitcnt vmcnt(57) lgkmcnt(1)
	v_mul_f64 v[221:222], v[190:191], v[149:150]
	v_mul_f64 v[149:150], v[192:193], v[149:150]
	s_waitcnt vmcnt(56)
	v_fma_f64 v[145:146], v[1:2], v[139:140], -v[145:146]
	v_fma_f64 v[139:140], v[3:4], v[139:140], v[204:205]
	v_add_f64 v[141:142], v[198:199], v[141:142]
	v_add_f64 v[137:138], v[137:138], v[147:148]
	s_clause 0x2
	buffer_load_dword v203, off, s[0:3], 0 offset:748
	buffer_load_dword v148, off, s[0:3], 0 offset:724
	;; [unrolled: 1-line block ×3, first 2 shown]
	s_waitcnt vmcnt(58) lgkmcnt(0)
	v_mul_f64 v[198:199], v[5:6], v[155:156]
	v_mul_f64 v[155:156], v[7:8], v[155:156]
	s_waitcnt vmcnt(56)
	v_fma_f64 v[149:150], v[190:191], v[157:158], -v[149:150]
	ds_read_b128 v[1:4], v189 offset:1536
	v_add_f64 v[141:142], v[141:142], v[145:146]
	v_fma_f64 v[145:146], v[192:193], v[157:158], v[221:222]
	v_add_f64 v[157:158], v[137:138], v[139:140]
	s_clause 0x4
	buffer_load_dword v191, off, s[0:3], 0 offset:764
	buffer_load_dword v192, off, s[0:3], 0 offset:776
	;; [unrolled: 1-line block ×5, first 2 shown]
	ds_read_b128 v[137:140], v189 offset:1552
	s_waitcnt vmcnt(57) lgkmcnt(1)
	v_mul_f64 v[221:222], v[1:2], v[159:160]
	v_mul_f64 v[159:160], v[3:4], v[159:160]
	s_waitcnt vmcnt(56)
	v_fma_f64 v[155:156], v[5:6], v[143:144], -v[155:156]
	v_fma_f64 v[143:144], v[7:8], v[143:144], v[198:199]
	v_add_f64 v[141:142], v[141:142], v[149:150]
	s_clause 0x2
	buffer_load_dword v193, off, s[0:3], 0 offset:780
	buffer_load_dword v150, off, s[0:3], 0 offset:756
	;; [unrolled: 1-line block ×3, first 2 shown]
	v_add_f64 v[145:146], v[157:158], v[145:146]
	s_waitcnt vmcnt(58) lgkmcnt(0)
	v_mul_f64 v[157:158], v[137:138], v[163:164]
	v_mul_f64 v[163:164], v[139:140], v[163:164]
	ds_read_b128 v[5:8], v189 offset:1568
	s_waitcnt vmcnt(56)
	v_fma_f64 v[159:160], v[1:2], v[165:166], -v[159:160]
	v_add_f64 v[141:142], v[141:142], v[155:156]
	v_fma_f64 v[155:156], v[3:4], v[165:166], v[221:222]
	v_add_f64 v[143:144], v[145:146], v[143:144]
	s_clause 0x4
	buffer_load_dword v146, off, s[0:3], 0 offset:796
	buffer_load_dword v165, off, s[0:3], 0 offset:808
	;; [unrolled: 1-line block ×5, first 2 shown]
	s_waitcnt vmcnt(57) lgkmcnt(0)
	v_mul_f64 v[221:222], v[5:6], v[167:168]
	v_mul_f64 v[167:168], v[7:8], v[167:168]
	s_waitcnt vmcnt(56)
	v_fma_f64 v[163:164], v[137:138], v[151:152], -v[163:164]
	ds_read_b128 v[1:4], v189 offset:1584
	v_fma_f64 v[151:152], v[139:140], v[151:152], v[157:158]
	v_add_f64 v[141:142], v[141:142], v[159:160]
	v_add_f64 v[143:144], v[143:144], v[155:156]
	s_clause 0x2
	buffer_load_dword v166, off, s[0:3], 0 offset:812
	buffer_load_dword v156, off, s[0:3], 0 offset:788
	;; [unrolled: 1-line block ×3, first 2 shown]
	ds_read_b128 v[137:140], v189 offset:1600
	s_waitcnt vmcnt(58) lgkmcnt(1)
	v_mul_f64 v[159:160], v[3:4], v[171:172]
	s_waitcnt vmcnt(56)
	v_fma_f64 v[167:168], v[5:6], v[173:174], -v[167:168]
	v_mul_f64 v[157:158], v[1:2], v[171:172]
	v_add_f64 v[141:142], v[141:142], v[163:164]
	v_fma_f64 v[163:164], v[7:8], v[173:174], v[221:222]
	v_add_f64 v[143:144], v[143:144], v[151:152]
	s_clause 0x4
	buffer_load_dword v152, off, s[0:3], 0 offset:828
	buffer_load_dword v171, off, s[0:3], 0 offset:840
	;; [unrolled: 1-line block ×5, first 2 shown]
	s_waitcnt vmcnt(57) lgkmcnt(0)
	v_mul_f64 v[221:222], v[137:138], v[175:176]
	v_mul_f64 v[174:175], v[139:140], v[175:176]
	s_waitcnt vmcnt(56)
	v_fma_f64 v[159:160], v[1:2], v[161:162], -v[159:160]
	ds_read_b128 v[5:8], v189 offset:1616
	v_fma_f64 v[157:158], v[3:4], v[161:162], v[157:158]
	s_clause 0x2
	buffer_load_dword v172, off, s[0:3], 0 offset:844
	buffer_load_dword v162, off, s[0:3], 0 offset:820
	;; [unrolled: 1-line block ×3, first 2 shown]
	ds_read_b128 v[1:4], v189 offset:1632
	v_add_f64 v[141:142], v[141:142], v[167:168]
	v_add_f64 v[143:144], v[143:144], v[163:164]
	s_waitcnt vmcnt(58) lgkmcnt(1)
	v_mul_f64 v[167:168], v[7:8], v[179:180]
	s_waitcnt vmcnt(56)
	v_fma_f64 v[175:176], v[137:138], v[181:182], -v[174:175]
	v_mul_f64 v[163:164], v[5:6], v[179:180]
	v_add_f64 v[141:142], v[141:142], v[159:160]
	v_fma_f64 v[159:160], v[139:140], v[181:182], v[221:222]
	v_add_f64 v[143:144], v[143:144], v[157:158]
	s_clause 0x4
	buffer_load_dword v158, off, s[0:3], 0 offset:860
	buffer_load_dword v179, off, s[0:3], 0 offset:872
	;; [unrolled: 1-line block ×5, first 2 shown]
	s_waitcnt vmcnt(57) lgkmcnt(0)
	v_mul_f64 v[221:222], v[1:2], v[183:184]
	v_mul_f64 v[182:183], v[3:4], v[183:184]
	s_waitcnt vmcnt(56)
	v_fma_f64 v[167:168], v[5:6], v[169:170], -v[167:168]
	ds_read_b128 v[137:140], v189 offset:1648
	v_fma_f64 v[163:164], v[7:8], v[169:170], v[163:164]
	v_add_f64 v[141:142], v[141:142], v[175:176]
	v_add_f64 v[143:144], v[143:144], v[159:160]
	s_clause 0x2
	buffer_load_dword v180, off, s[0:3], 0 offset:876
	buffer_load_dword v160, off, s[0:3], 0 offset:852
	;; [unrolled: 1-line block ×3, first 2 shown]
	ds_read_b128 v[5:8], v189 offset:1664
	s_waitcnt vmcnt(58) lgkmcnt(1)
	v_mul_f64 v[175:176], v[139:140], v[185:186]
	s_waitcnt vmcnt(56)
	v_fma_f64 v[183:184], v[1:2], v[187:188], -v[182:183]
	v_mul_f64 v[169:170], v[137:138], v[185:186]
	v_add_f64 v[141:142], v[141:142], v[167:168]
	v_fma_f64 v[167:168], v[3:4], v[187:188], v[221:222]
	v_add_f64 v[143:144], v[143:144], v[163:164]
	s_clause 0x4
	buffer_load_dword v164, off, s[0:3], 0 offset:892
	buffer_load_dword v185, off, s[0:3], 0 offset:904
	;; [unrolled: 1-line block ×5, first 2 shown]
	s_waitcnt vmcnt(57) lgkmcnt(0)
	v_mul_f64 v[221:222], v[5:6], v[206:207]
	v_mul_f64 v[206:207], v[7:8], v[206:207]
	s_waitcnt vmcnt(56)
	v_fma_f64 v[175:176], v[137:138], v[177:178], -v[175:176]
	ds_read_b128 v[1:4], v189 offset:1680
	v_fma_f64 v[169:170], v[139:140], v[177:178], v[169:170]
	v_add_f64 v[141:142], v[141:142], v[183:184]
	v_add_f64 v[143:144], v[143:144], v[167:168]
	s_clause 0x2
	buffer_load_dword v186, off, s[0:3], 0 offset:908
	buffer_load_dword v168, off, s[0:3], 0 offset:884
	;; [unrolled: 1-line block ×3, first 2 shown]
	ds_read_b128 v[137:140], v189 offset:1696
	s_waitcnt vmcnt(58) lgkmcnt(1)
	v_mul_f64 v[183:184], v[3:4], v[208:209]
	s_waitcnt vmcnt(56)
	v_fma_f64 v[206:207], v[5:6], v[213:214], -v[206:207]
	v_mul_f64 v[177:178], v[1:2], v[208:209]
	v_add_f64 v[141:142], v[141:142], v[175:176]
	v_fma_f64 v[175:176], v[7:8], v[213:214], v[221:222]
	v_add_f64 v[143:144], v[143:144], v[169:170]
	s_clause 0x4
	buffer_load_dword v170, off, s[0:3], 0 offset:924
	buffer_load_dword v208, off, s[0:3], 0 offset:936
	;; [unrolled: 1-line block ×5, first 2 shown]
	ds_read_b128 v[5:8], v189 offset:1712
	s_waitcnt vmcnt(57) lgkmcnt(1)
	v_mul_f64 v[213:214], v[137:138], v[200:201]
	v_mul_f64 v[200:201], v[139:140], v[200:201]
	s_waitcnt vmcnt(56)
	v_fma_f64 v[183:184], v[1:2], v[210:211], -v[183:184]
	v_fma_f64 v[177:178], v[3:4], v[210:211], v[177:178]
	v_add_f64 v[141:142], v[141:142], v[206:207]
	v_add_f64 v[143:144], v[143:144], v[175:176]
	s_clause 0x2
	buffer_load_dword v209, off, s[0:3], 0 offset:940
	buffer_load_dword v176, off, s[0:3], 0 offset:916
	buffer_load_dword v175, off, s[0:3], 0 offset:912
	ds_read_b128 v[1:4], v189 offset:1728
	s_waitcnt vmcnt(58) lgkmcnt(1)
	v_mul_f64 v[210:211], v[7:8], v[217:218]
	v_mul_f64 v[206:207], v[5:6], v[217:218]
	s_waitcnt vmcnt(56)
	v_fma_f64 v[200:201], v[137:138], v[194:195], -v[200:201]
	v_add_f64 v[141:142], v[141:142], v[183:184]
	v_fma_f64 v[183:184], v[139:140], v[194:195], v[213:214]
	v_add_f64 v[143:144], v[143:144], v[177:178]
	s_clause 0x4
	buffer_load_dword v178, off, s[0:3], 0 offset:956
	buffer_load_dword v194, off, s[0:3], 0 offset:968
	;; [unrolled: 1-line block ×5, first 2 shown]
	ds_read_b128 v[137:140], v189 offset:1744
	s_waitcnt vmcnt(57) lgkmcnt(1)
	v_mul_f64 v[221:222], v[1:2], v[153:154]
	v_mul_f64 v[153:154], v[3:4], v[153:154]
	s_waitcnt vmcnt(56)
	v_fma_f64 v[210:211], v[5:6], v[219:220], -v[210:211]
	v_add_f64 v[141:142], v[141:142], v[200:201]
	v_fma_f64 v[200:201], v[7:8], v[219:220], v[206:207]
	v_add_f64 v[143:144], v[143:144], v[183:184]
	s_clause 0x2
	buffer_load_dword v195, off, s[0:3], 0 offset:972
	buffer_load_dword v184, off, s[0:3], 0 offset:948
	buffer_load_dword v183, off, s[0:3], 0 offset:944
	ds_read_b128 v[5:8], v189 offset:1760
	s_waitcnt vmcnt(58) lgkmcnt(1)
	v_mul_f64 v[206:207], v[137:138], v[202:203]
	v_mul_f64 v[202:203], v[139:140], v[202:203]
	s_waitcnt vmcnt(56)
	v_fma_f64 v[153:154], v[1:2], v[147:148], -v[153:154]
	v_fma_f64 v[147:148], v[3:4], v[147:148], v[221:222]
	v_add_f64 v[141:142], v[141:142], v[210:211]
	v_add_f64 v[143:144], v[143:144], v[200:201]
	s_clause 0x4
	buffer_load_dword v201, off, s[0:3], 0 offset:988
	buffer_load_dword v210, off, s[0:3], 0 offset:1000
	;; [unrolled: 1-line block ×5, first 2 shown]
	ds_read_b128 v[1:4], v189 offset:1776
	s_waitcnt vmcnt(57) lgkmcnt(1)
	v_mul_f64 v[219:220], v[5:6], v[190:191]
	v_mul_f64 v[190:191], v[7:8], v[190:191]
	s_waitcnt vmcnt(56)
	v_fma_f64 v[202:203], v[137:138], v[215:216], -v[202:203]
	v_add_f64 v[141:142], v[141:142], v[153:154]
	v_fma_f64 v[153:154], v[139:140], v[215:216], v[206:207]
	v_add_f64 v[143:144], v[143:144], v[147:148]
	s_clause 0x2
	buffer_load_dword v211, off, s[0:3], 0 offset:1004
	buffer_load_dword v148, off, s[0:3], 0 offset:980
	;; [unrolled: 1-line block ×3, first 2 shown]
	ds_read_b128 v[137:140], v189 offset:1792
	s_waitcnt vmcnt(58) lgkmcnt(1)
	v_mul_f64 v[206:207], v[1:2], v[192:193]
	v_mul_f64 v[192:193], v[3:4], v[192:193]
	s_waitcnt vmcnt(56)
	v_fma_f64 v[190:191], v[5:6], v[149:150], -v[190:191]
	v_fma_f64 v[149:150], v[7:8], v[149:150], v[219:220]
	v_add_f64 v[141:142], v[141:142], v[202:203]
	v_add_f64 v[143:144], v[143:144], v[153:154]
	s_clause 0x4
	buffer_load_dword v154, off, s[0:3], 0 offset:1020
	buffer_load_dword v202, off, s[0:3], 0 offset:1032
	;; [unrolled: 1-line block ×5, first 2 shown]
	ds_read_b128 v[5:8], v189 offset:1808
	s_waitcnt vmcnt(57) lgkmcnt(1)
	v_mul_f64 v[220:221], v[137:138], v[145:146]
	v_mul_f64 v[145:146], v[139:140], v[145:146]
	s_waitcnt vmcnt(56)
	v_fma_f64 v[192:193], v[1:2], v[204:205], -v[192:193]
	v_add_f64 v[141:142], v[141:142], v[190:191]
	v_fma_f64 v[190:191], v[3:4], v[204:205], v[206:207]
	v_add_f64 v[143:144], v[143:144], v[149:150]
	s_clause 0x2
	buffer_load_dword v203, off, s[0:3], 0 offset:1036
	buffer_load_dword v150, off, s[0:3], 0 offset:1012
	;; [unrolled: 1-line block ×3, first 2 shown]
	ds_read_b128 v[1:4], v189 offset:1824
	s_waitcnt vmcnt(58) lgkmcnt(1)
	v_mul_f64 v[204:205], v[5:6], v[165:166]
	v_mul_f64 v[165:166], v[7:8], v[165:166]
	s_waitcnt vmcnt(56)
	v_fma_f64 v[145:146], v[137:138], v[155:156], -v[145:146]
	v_fma_f64 v[155:156], v[139:140], v[155:156], v[220:221]
	buffer_load_dword v220, off, s[0:3], 0 offset:1028
	ds_read_b128 v[137:140], v189 offset:1840
	v_add_f64 v[141:142], v[141:142], v[192:193]
	v_add_f64 v[143:144], v[143:144], v[190:191]
	s_waitcnt vmcnt(53) lgkmcnt(1)
	v_mul_f64 v[190:191], v[1:2], v[151:152]
	v_mul_f64 v[151:152], v[3:4], v[151:152]
	s_waitcnt vmcnt(52)
	v_fma_f64 v[165:166], v[5:6], v[198:199], -v[165:166]
	v_add_f64 v[141:142], v[141:142], v[145:146]
	v_fma_f64 v[145:146], v[7:8], v[198:199], v[204:205]
	v_add_f64 v[143:144], v[143:144], v[155:156]
	s_waitcnt vmcnt(51) lgkmcnt(0)
	v_mul_f64 v[155:156], v[137:138], v[171:172]
	v_mul_f64 v[171:172], v[139:140], v[171:172]
	ds_read_b128 v[5:8], v189 offset:1856
	s_waitcnt vmcnt(49)
	v_fma_f64 v[151:152], v[1:2], v[161:162], -v[151:152]
	v_fma_f64 v[161:162], v[3:4], v[161:162], v[190:191]
	v_add_f64 v[141:142], v[141:142], v[165:166]
	v_add_f64 v[143:144], v[143:144], v[145:146]
	s_clause 0x3
	buffer_load_dword v145, off, s[0:3], 0 offset:400
	buffer_load_dword v146, off, s[0:3], 0 offset:404
	;; [unrolled: 1-line block ×4, first 2 shown]
	ds_read_b128 v[1:4], v189 offset:1872
	s_waitcnt vmcnt(49) lgkmcnt(1)
	v_mul_f64 v[190:191], v[5:6], v[157:158]
	v_mul_f64 v[157:158], v[7:8], v[157:158]
	s_waitcnt vmcnt(48)
	v_fma_f64 v[171:172], v[137:138], v[173:174], -v[171:172]
	v_add_f64 v[141:142], v[141:142], v[151:152]
	v_fma_f64 v[151:152], v[139:140], v[173:174], v[155:156]
	v_add_f64 v[143:144], v[143:144], v[161:162]
	ds_read_b128 v[137:140], v189 offset:1888
	s_waitcnt vmcnt(47) lgkmcnt(1)
	v_mul_f64 v[161:162], v[3:4], v[179:180]
	v_mul_f64 v[155:156], v[1:2], v[179:180]
	s_waitcnt vmcnt(45)
	v_fma_f64 v[157:158], v[5:6], v[159:160], -v[157:158]
	v_fma_f64 v[159:160], v[7:8], v[159:160], v[190:191]
	ds_read_b128 v[5:8], v189 offset:1904
	v_add_f64 v[141:142], v[141:142], v[171:172]
	v_add_f64 v[143:144], v[143:144], v[151:152]
	s_waitcnt vmcnt(41) lgkmcnt(1)
	v_mul_f64 v[151:152], v[137:138], v[163:164]
	v_mul_f64 v[163:164], v[139:140], v[163:164]
	s_waitcnt vmcnt(40)
	v_fma_f64 v[161:162], v[1:2], v[181:182], -v[161:162]
	v_fma_f64 v[155:156], v[3:4], v[181:182], v[155:156]
	ds_read_b128 v[1:4], v189 offset:1920
	v_add_f64 v[141:142], v[141:142], v[157:158]
	v_add_f64 v[143:144], v[143:144], v[159:160]
	;; [unrolled: 9-line block ×3, first 2 shown]
	s_waitcnt vmcnt(33) lgkmcnt(1)
	v_mul_f64 v[161:162], v[3:4], v[169:170]
	s_waitcnt vmcnt(32)
	v_fma_f64 v[159:160], v[5:6], v[187:188], -v[159:160]
	v_mul_f64 v[155:156], v[1:2], v[169:170]
	v_fma_f64 v[157:158], v[7:8], v[187:188], v[157:158]
	ds_read_b128 v[5:8], v189 offset:1952
	v_add_f64 v[141:142], v[141:142], v[163:164]
	v_add_f64 v[143:144], v[143:144], v[151:152]
	s_waitcnt vmcnt(31) lgkmcnt(1)
	v_mul_f64 v[163:164], v[139:140], v[208:209]
	v_mul_f64 v[151:152], v[137:138], v[208:209]
	s_waitcnt vmcnt(29)
	v_fma_f64 v[161:162], v[1:2], v[175:176], -v[161:162]
	v_fma_f64 v[155:156], v[3:4], v[175:176], v[155:156]
	ds_read_b128 v[1:4], v189 offset:1968
	v_add_f64 v[141:142], v[141:142], v[159:160]
	v_add_f64 v[143:144], v[143:144], v[157:158]
	s_waitcnt vmcnt(25) lgkmcnt(1)
	v_mul_f64 v[159:160], v[7:8], v[177:178]
	s_waitcnt vmcnt(24)
	v_fma_f64 v[163:164], v[137:138], v[212:213], -v[163:164]
	v_mul_f64 v[157:158], v[5:6], v[177:178]
	v_fma_f64 v[151:152], v[139:140], v[212:213], v[151:152]
	ds_read_b128 v[137:140], v189 offset:1984
	v_add_f64 v[141:142], v[141:142], v[161:162]
	v_add_f64 v[143:144], v[143:144], v[155:156]
	s_waitcnt vmcnt(23) lgkmcnt(1)
	v_mul_f64 v[161:162], v[3:4], v[194:195]
	v_mul_f64 v[155:156], v[1:2], v[194:195]
	s_waitcnt vmcnt(21)
	v_fma_f64 v[159:160], v[5:6], v[183:184], -v[159:160]
	v_fma_f64 v[157:158], v[7:8], v[183:184], v[157:158]
	ds_read_b128 v[5:8], v189 offset:2000
	v_add_f64 v[141:142], v[141:142], v[163:164]
	v_add_f64 v[143:144], v[143:144], v[151:152]
	;; [unrolled: 18-line block ×3, first 2 shown]
	s_waitcnt vmcnt(9) lgkmcnt(1)
	v_mul_f64 v[151:152], v[1:2], v[153:154]
	v_mul_f64 v[153:154], v[3:4], v[153:154]
	s_waitcnt vmcnt(8)
	v_fma_f64 v[5:6], v[5:6], v[214:215], -v[159:160]
	v_fma_f64 v[7:8], v[7:8], v[214:215], v[157:158]
	v_add_f64 v[141:142], v[141:142], v[163:164]
	v_add_f64 v[143:144], v[143:144], v[147:148]
	s_waitcnt vmcnt(7) lgkmcnt(0)
	v_mul_f64 v[155:156], v[139:140], v[202:203]
	v_mul_f64 v[147:148], v[137:138], v[202:203]
	s_waitcnt vmcnt(5)
	v_fma_f64 v[1:2], v[1:2], v[149:150], -v[153:154]
	v_fma_f64 v[3:4], v[3:4], v[149:150], v[151:152]
	v_add_f64 v[5:6], v[141:142], v[5:6]
	v_add_f64 v[7:8], v[143:144], v[7:8]
	s_waitcnt vmcnt(4)
	v_fma_f64 v[137:138], v[137:138], v[219:220], -v[155:156]
	v_add_f64 v[1:2], v[5:6], v[1:2]
	v_fma_f64 v[5:6], v[139:140], v[219:220], v[147:148]
	v_add_f64 v[3:4], v[7:8], v[3:4]
	v_add_f64 v[1:2], v[1:2], v[137:138]
	v_add_f64 v[3:4], v[3:4], v[5:6]
	s_waitcnt vmcnt(2)
	v_add_f64 v[1:2], v[145:146], -v[1:2]
	s_waitcnt vmcnt(0)
	v_add_f64 v[3:4], v[165:166], -v[3:4]
	buffer_store_dword v2, off, s[0:3], 0 offset:404
	buffer_store_dword v1, off, s[0:3], 0 offset:400
	;; [unrolled: 1-line block ×4, first 2 shown]
	v_cmpx_lt_u32_e32 23, v0
	s_cbranch_execz .LBB127_363
; %bb.362:
	v_mov_b32_e32 v4, s55
	s_clause 0x3
	buffer_load_dword v1, v4, s[0:3], 0 offen
	buffer_load_dword v2, v4, s[0:3], 0 offen offset:4
	buffer_load_dword v3, v4, s[0:3], 0 offen offset:8
	buffer_load_dword v4, v4, s[0:3], 0 offen offset:12
	buffer_store_dword v189, off, s[0:3], 0 offset:384
	buffer_store_dword v189, off, s[0:3], 0 offset:388
	;; [unrolled: 1-line block ×4, first 2 shown]
	s_waitcnt vmcnt(0)
	ds_write_b128 v197, v[1:4]
.LBB127_363:
	s_or_b32 exec_lo, exec_lo, s4
	s_waitcnt lgkmcnt(0)
	s_waitcnt_vscnt null, 0x0
	s_barrier
	buffer_gl0_inv
	s_clause 0x37
	buffer_load_dword v137, off, s[0:3], 0 offset:408
	buffer_load_dword v138, off, s[0:3], 0 offset:412
	;; [unrolled: 1-line block ×56, first 2 shown]
	ds_read_b128 v[190:193], v189 offset:1408
	s_clause 0x2
	buffer_load_dword v186, off, s[0:3], 0 offset:636
	buffer_load_dword v188, off, s[0:3], 0 offset:612
	;; [unrolled: 1-line block ×3, first 2 shown]
	ds_read_b128 v[198:201], v189 offset:1424
	s_clause 0x4
	buffer_load_dword v207, off, s[0:3], 0 offset:652
	buffer_load_dword v208, off, s[0:3], 0 offset:664
	;; [unrolled: 1-line block ×5, first 2 shown]
	ds_read_b128 v[202:205], v189 offset:1440
	s_clause 0x2
	buffer_load_dword v209, off, s[0:3], 0 offset:668
	buffer_load_dword v214, off, s[0:3], 0 offset:644
	buffer_load_dword v213, off, s[0:3], 0 offset:640
	s_mov_b32 s4, exec_lo
	s_waitcnt vmcnt(62) lgkmcnt(2)
	v_mul_f64 v[194:195], v[192:193], v[137:138]
	v_mul_f64 v[137:138], v[190:191], v[137:138]
	s_waitcnt lgkmcnt(1)
	v_mul_f64 v[211:212], v[200:201], v[5:6]
	s_waitcnt vmcnt(59) lgkmcnt(0)
	v_mul_f64 v[215:216], v[204:205], v[3:4]
	v_fma_f64 v[190:191], v[190:191], v[7:8], -v[194:195]
	v_mul_f64 v[194:195], v[198:199], v[5:6]
	v_fma_f64 v[137:138], v[192:193], v[7:8], v[137:138]
	s_waitcnt vmcnt(57)
	v_fma_f64 v[198:199], v[198:199], v[1:2], -v[211:212]
	ds_read_b128 v[5:8], v189 offset:1456
	v_mul_f64 v[192:193], v[202:203], v[3:4]
	s_waitcnt vmcnt(51)
	v_fma_f64 v[202:203], v[202:203], v[153:154], -v[215:216]
	v_add_f64 v[190:191], v[190:191], 0
	v_fma_f64 v[194:195], v[200:201], v[1:2], v[194:195]
	v_add_f64 v[137:138], v[137:138], 0
	s_clause 0x4
	buffer_load_dword v201, off, s[0:3], 0 offset:684
	buffer_load_dword v217, off, s[0:3], 0 offset:696
	;; [unrolled: 1-line block ×5, first 2 shown]
	s_waitcnt lgkmcnt(0)
	v_mul_f64 v[220:221], v[5:6], v[141:142]
	v_mul_f64 v[141:142], v[7:8], v[141:142]
	ds_read_b128 v[1:4], v189 offset:1472
	v_fma_f64 v[153:154], v[204:205], v[153:154], v[192:193]
	v_add_f64 v[198:199], v[190:191], v[198:199]
	v_add_f64 v[137:138], v[137:138], v[194:195]
	s_clause 0x2
	buffer_load_dword v218, off, s[0:3], 0 offset:700
	buffer_load_dword v195, off, s[0:3], 0 offset:676
	;; [unrolled: 1-line block ×3, first 2 shown]
	s_waitcnt vmcnt(58) lgkmcnt(0)
	v_mul_f64 v[204:205], v[1:2], v[145:146]
	v_mul_f64 v[145:146], v[3:4], v[145:146]
	s_waitcnt vmcnt(56)
	v_fma_f64 v[141:142], v[5:6], v[147:148], -v[141:142]
	ds_read_b128 v[190:193], v189 offset:1488
	v_fma_f64 v[147:148], v[7:8], v[147:148], v[220:221]
	v_add_f64 v[198:199], v[198:199], v[202:203]
	v_add_f64 v[137:138], v[137:138], v[153:154]
	s_clause 0x4
	buffer_load_dword v154, off, s[0:3], 0 offset:716
	buffer_load_dword v202, off, s[0:3], 0 offset:728
	;; [unrolled: 1-line block ×5, first 2 shown]
	ds_read_b128 v[5:8], v189 offset:1504
	s_waitcnt vmcnt(57) lgkmcnt(1)
	v_mul_f64 v[221:222], v[190:191], v[149:150]
	v_mul_f64 v[149:150], v[192:193], v[149:150]
	s_waitcnt vmcnt(56)
	v_fma_f64 v[145:146], v[1:2], v[139:140], -v[145:146]
	v_fma_f64 v[139:140], v[3:4], v[139:140], v[204:205]
	v_add_f64 v[141:142], v[198:199], v[141:142]
	v_add_f64 v[137:138], v[137:138], v[147:148]
	s_clause 0x2
	buffer_load_dword v203, off, s[0:3], 0 offset:732
	buffer_load_dword v148, off, s[0:3], 0 offset:708
	;; [unrolled: 1-line block ×3, first 2 shown]
	s_waitcnt vmcnt(58) lgkmcnt(0)
	v_mul_f64 v[198:199], v[5:6], v[155:156]
	v_mul_f64 v[155:156], v[7:8], v[155:156]
	s_waitcnt vmcnt(56)
	v_fma_f64 v[149:150], v[190:191], v[157:158], -v[149:150]
	ds_read_b128 v[1:4], v189 offset:1520
	v_add_f64 v[141:142], v[141:142], v[145:146]
	v_fma_f64 v[145:146], v[192:193], v[157:158], v[221:222]
	v_add_f64 v[157:158], v[137:138], v[139:140]
	s_clause 0x4
	buffer_load_dword v191, off, s[0:3], 0 offset:748
	buffer_load_dword v192, off, s[0:3], 0 offset:760
	;; [unrolled: 1-line block ×5, first 2 shown]
	ds_read_b128 v[137:140], v189 offset:1536
	s_waitcnt vmcnt(57) lgkmcnt(1)
	v_mul_f64 v[221:222], v[1:2], v[159:160]
	v_mul_f64 v[159:160], v[3:4], v[159:160]
	s_waitcnt vmcnt(56)
	v_fma_f64 v[155:156], v[5:6], v[143:144], -v[155:156]
	v_fma_f64 v[143:144], v[7:8], v[143:144], v[198:199]
	v_add_f64 v[141:142], v[141:142], v[149:150]
	s_clause 0x2
	buffer_load_dword v193, off, s[0:3], 0 offset:764
	buffer_load_dword v150, off, s[0:3], 0 offset:740
	;; [unrolled: 1-line block ×3, first 2 shown]
	v_add_f64 v[145:146], v[157:158], v[145:146]
	s_waitcnt vmcnt(58) lgkmcnt(0)
	v_mul_f64 v[157:158], v[137:138], v[163:164]
	v_mul_f64 v[163:164], v[139:140], v[163:164]
	ds_read_b128 v[5:8], v189 offset:1552
	s_waitcnt vmcnt(56)
	v_fma_f64 v[159:160], v[1:2], v[165:166], -v[159:160]
	v_add_f64 v[141:142], v[141:142], v[155:156]
	v_fma_f64 v[155:156], v[3:4], v[165:166], v[221:222]
	v_add_f64 v[143:144], v[145:146], v[143:144]
	s_clause 0x4
	buffer_load_dword v146, off, s[0:3], 0 offset:780
	buffer_load_dword v165, off, s[0:3], 0 offset:792
	;; [unrolled: 1-line block ×5, first 2 shown]
	s_waitcnt vmcnt(57) lgkmcnt(0)
	v_mul_f64 v[221:222], v[5:6], v[167:168]
	v_mul_f64 v[167:168], v[7:8], v[167:168]
	s_waitcnt vmcnt(56)
	v_fma_f64 v[163:164], v[137:138], v[151:152], -v[163:164]
	ds_read_b128 v[1:4], v189 offset:1568
	v_fma_f64 v[151:152], v[139:140], v[151:152], v[157:158]
	v_add_f64 v[141:142], v[141:142], v[159:160]
	v_add_f64 v[143:144], v[143:144], v[155:156]
	s_clause 0x2
	buffer_load_dword v166, off, s[0:3], 0 offset:796
	buffer_load_dword v156, off, s[0:3], 0 offset:772
	;; [unrolled: 1-line block ×3, first 2 shown]
	ds_read_b128 v[137:140], v189 offset:1584
	s_waitcnt vmcnt(58) lgkmcnt(1)
	v_mul_f64 v[159:160], v[3:4], v[171:172]
	s_waitcnt vmcnt(56)
	v_fma_f64 v[167:168], v[5:6], v[173:174], -v[167:168]
	v_mul_f64 v[157:158], v[1:2], v[171:172]
	v_add_f64 v[141:142], v[141:142], v[163:164]
	v_fma_f64 v[163:164], v[7:8], v[173:174], v[221:222]
	v_add_f64 v[143:144], v[143:144], v[151:152]
	s_clause 0x4
	buffer_load_dword v152, off, s[0:3], 0 offset:812
	buffer_load_dword v171, off, s[0:3], 0 offset:824
	;; [unrolled: 1-line block ×5, first 2 shown]
	s_waitcnt vmcnt(57) lgkmcnt(0)
	v_mul_f64 v[221:222], v[137:138], v[175:176]
	v_mul_f64 v[174:175], v[139:140], v[175:176]
	s_waitcnt vmcnt(56)
	v_fma_f64 v[159:160], v[1:2], v[161:162], -v[159:160]
	ds_read_b128 v[5:8], v189 offset:1600
	v_fma_f64 v[157:158], v[3:4], v[161:162], v[157:158]
	s_clause 0x2
	buffer_load_dword v172, off, s[0:3], 0 offset:828
	buffer_load_dword v162, off, s[0:3], 0 offset:804
	;; [unrolled: 1-line block ×3, first 2 shown]
	ds_read_b128 v[1:4], v189 offset:1616
	v_add_f64 v[141:142], v[141:142], v[167:168]
	v_add_f64 v[143:144], v[143:144], v[163:164]
	s_waitcnt vmcnt(58) lgkmcnt(1)
	v_mul_f64 v[167:168], v[7:8], v[179:180]
	s_waitcnt vmcnt(56)
	v_fma_f64 v[175:176], v[137:138], v[181:182], -v[174:175]
	v_mul_f64 v[163:164], v[5:6], v[179:180]
	v_add_f64 v[141:142], v[141:142], v[159:160]
	v_fma_f64 v[159:160], v[139:140], v[181:182], v[221:222]
	v_add_f64 v[143:144], v[143:144], v[157:158]
	s_clause 0x4
	buffer_load_dword v158, off, s[0:3], 0 offset:844
	buffer_load_dword v179, off, s[0:3], 0 offset:856
	;; [unrolled: 1-line block ×5, first 2 shown]
	s_waitcnt vmcnt(57) lgkmcnt(0)
	v_mul_f64 v[221:222], v[1:2], v[183:184]
	v_mul_f64 v[182:183], v[3:4], v[183:184]
	s_waitcnt vmcnt(56)
	v_fma_f64 v[167:168], v[5:6], v[169:170], -v[167:168]
	ds_read_b128 v[137:140], v189 offset:1632
	v_fma_f64 v[163:164], v[7:8], v[169:170], v[163:164]
	v_add_f64 v[141:142], v[141:142], v[175:176]
	v_add_f64 v[143:144], v[143:144], v[159:160]
	s_clause 0x2
	buffer_load_dword v180, off, s[0:3], 0 offset:860
	buffer_load_dword v160, off, s[0:3], 0 offset:836
	;; [unrolled: 1-line block ×3, first 2 shown]
	ds_read_b128 v[5:8], v189 offset:1648
	s_waitcnt vmcnt(58) lgkmcnt(1)
	v_mul_f64 v[175:176], v[139:140], v[185:186]
	s_waitcnt vmcnt(56)
	v_fma_f64 v[183:184], v[1:2], v[187:188], -v[182:183]
	v_mul_f64 v[169:170], v[137:138], v[185:186]
	v_add_f64 v[141:142], v[141:142], v[167:168]
	v_fma_f64 v[167:168], v[3:4], v[187:188], v[221:222]
	v_add_f64 v[143:144], v[143:144], v[163:164]
	s_clause 0x4
	buffer_load_dword v164, off, s[0:3], 0 offset:876
	buffer_load_dword v185, off, s[0:3], 0 offset:888
	;; [unrolled: 1-line block ×5, first 2 shown]
	s_waitcnt vmcnt(57) lgkmcnt(0)
	v_mul_f64 v[221:222], v[5:6], v[206:207]
	v_mul_f64 v[206:207], v[7:8], v[206:207]
	s_waitcnt vmcnt(56)
	v_fma_f64 v[175:176], v[137:138], v[177:178], -v[175:176]
	ds_read_b128 v[1:4], v189 offset:1664
	v_fma_f64 v[169:170], v[139:140], v[177:178], v[169:170]
	v_add_f64 v[141:142], v[141:142], v[183:184]
	v_add_f64 v[143:144], v[143:144], v[167:168]
	s_clause 0x2
	buffer_load_dword v186, off, s[0:3], 0 offset:892
	buffer_load_dword v168, off, s[0:3], 0 offset:868
	buffer_load_dword v167, off, s[0:3], 0 offset:864
	ds_read_b128 v[137:140], v189 offset:1680
	s_waitcnt vmcnt(58) lgkmcnt(1)
	v_mul_f64 v[183:184], v[3:4], v[208:209]
	s_waitcnt vmcnt(56)
	v_fma_f64 v[206:207], v[5:6], v[213:214], -v[206:207]
	v_mul_f64 v[177:178], v[1:2], v[208:209]
	v_add_f64 v[141:142], v[141:142], v[175:176]
	v_fma_f64 v[175:176], v[7:8], v[213:214], v[221:222]
	v_add_f64 v[143:144], v[143:144], v[169:170]
	s_clause 0x4
	buffer_load_dword v170, off, s[0:3], 0 offset:908
	buffer_load_dword v208, off, s[0:3], 0 offset:920
	;; [unrolled: 1-line block ×5, first 2 shown]
	ds_read_b128 v[5:8], v189 offset:1696
	s_waitcnt vmcnt(57) lgkmcnt(1)
	v_mul_f64 v[213:214], v[137:138], v[200:201]
	v_mul_f64 v[200:201], v[139:140], v[200:201]
	s_waitcnt vmcnt(56)
	v_fma_f64 v[183:184], v[1:2], v[210:211], -v[183:184]
	v_fma_f64 v[177:178], v[3:4], v[210:211], v[177:178]
	v_add_f64 v[141:142], v[141:142], v[206:207]
	v_add_f64 v[143:144], v[143:144], v[175:176]
	s_clause 0x2
	buffer_load_dword v209, off, s[0:3], 0 offset:924
	buffer_load_dword v176, off, s[0:3], 0 offset:900
	;; [unrolled: 1-line block ×3, first 2 shown]
	ds_read_b128 v[1:4], v189 offset:1712
	s_waitcnt vmcnt(58) lgkmcnt(1)
	v_mul_f64 v[210:211], v[7:8], v[217:218]
	v_mul_f64 v[206:207], v[5:6], v[217:218]
	s_waitcnt vmcnt(56)
	v_fma_f64 v[200:201], v[137:138], v[194:195], -v[200:201]
	v_add_f64 v[141:142], v[141:142], v[183:184]
	v_fma_f64 v[183:184], v[139:140], v[194:195], v[213:214]
	v_add_f64 v[143:144], v[143:144], v[177:178]
	s_clause 0x4
	buffer_load_dword v178, off, s[0:3], 0 offset:940
	buffer_load_dword v194, off, s[0:3], 0 offset:952
	buffer_load_dword v217, off, s[0:3], 0 offset:944
	buffer_load_dword v177, off, s[0:3], 0 offset:936
	buffer_load_dword v213, off, s[0:3], 0 offset:916
	ds_read_b128 v[137:140], v189 offset:1728
	s_waitcnt vmcnt(57) lgkmcnt(1)
	v_mul_f64 v[221:222], v[1:2], v[153:154]
	v_mul_f64 v[153:154], v[3:4], v[153:154]
	s_waitcnt vmcnt(56)
	v_fma_f64 v[210:211], v[5:6], v[219:220], -v[210:211]
	v_add_f64 v[141:142], v[141:142], v[200:201]
	v_fma_f64 v[200:201], v[7:8], v[219:220], v[206:207]
	v_add_f64 v[143:144], v[143:144], v[183:184]
	s_clause 0x2
	buffer_load_dword v195, off, s[0:3], 0 offset:956
	buffer_load_dword v184, off, s[0:3], 0 offset:932
	buffer_load_dword v183, off, s[0:3], 0 offset:928
	ds_read_b128 v[5:8], v189 offset:1744
	s_waitcnt vmcnt(58) lgkmcnt(1)
	v_mul_f64 v[206:207], v[137:138], v[202:203]
	v_mul_f64 v[202:203], v[139:140], v[202:203]
	s_waitcnt vmcnt(56)
	v_fma_f64 v[153:154], v[1:2], v[147:148], -v[153:154]
	v_fma_f64 v[147:148], v[3:4], v[147:148], v[221:222]
	v_add_f64 v[141:142], v[141:142], v[210:211]
	v_add_f64 v[143:144], v[143:144], v[200:201]
	s_clause 0x4
	buffer_load_dword v201, off, s[0:3], 0 offset:972
	buffer_load_dword v210, off, s[0:3], 0 offset:984
	buffer_load_dword v214, off, s[0:3], 0 offset:976
	buffer_load_dword v200, off, s[0:3], 0 offset:968
	buffer_load_dword v218, off, s[0:3], 0 offset:948
	ds_read_b128 v[1:4], v189 offset:1760
	s_waitcnt vmcnt(57) lgkmcnt(1)
	v_mul_f64 v[219:220], v[5:6], v[190:191]
	v_mul_f64 v[190:191], v[7:8], v[190:191]
	s_waitcnt vmcnt(56)
	v_fma_f64 v[202:203], v[137:138], v[215:216], -v[202:203]
	v_add_f64 v[141:142], v[141:142], v[153:154]
	v_fma_f64 v[153:154], v[139:140], v[215:216], v[206:207]
	v_add_f64 v[143:144], v[143:144], v[147:148]
	s_clause 0x2
	buffer_load_dword v211, off, s[0:3], 0 offset:988
	buffer_load_dword v148, off, s[0:3], 0 offset:964
	buffer_load_dword v147, off, s[0:3], 0 offset:960
	ds_read_b128 v[137:140], v189 offset:1776
	s_waitcnt vmcnt(58) lgkmcnt(1)
	v_mul_f64 v[206:207], v[1:2], v[192:193]
	v_mul_f64 v[192:193], v[3:4], v[192:193]
	s_waitcnt vmcnt(56)
	v_fma_f64 v[190:191], v[5:6], v[149:150], -v[190:191]
	v_fma_f64 v[149:150], v[7:8], v[149:150], v[219:220]
	v_add_f64 v[141:142], v[141:142], v[202:203]
	;; [unrolled: 28-line block ×3, first 2 shown]
	v_add_f64 v[143:144], v[143:144], v[190:191]
	s_clause 0x2
	buffer_load_dword v191, off, s[0:3], 0 offset:1036
	buffer_load_dword v190, off, s[0:3], 0 offset:1032
	;; [unrolled: 1-line block ×3, first 2 shown]
	ds_read_b128 v[137:140], v189 offset:1824
	s_waitcnt vmcnt(55) lgkmcnt(1)
	v_mul_f64 v[192:193], v[1:2], v[151:152]
	v_mul_f64 v[151:152], v[3:4], v[151:152]
	s_waitcnt vmcnt(54)
	v_fma_f64 v[165:166], v[5:6], v[198:199], -v[165:166]
	v_add_f64 v[141:142], v[141:142], v[145:146]
	v_fma_f64 v[145:146], v[7:8], v[198:199], v[204:205]
	v_add_f64 v[143:144], v[143:144], v[155:156]
	s_clause 0x1
	buffer_load_dword v156, off, s[0:3], 0 offset:1028
	buffer_load_dword v155, off, s[0:3], 0 offset:1024
	s_waitcnt vmcnt(55) lgkmcnt(0)
	v_mul_f64 v[198:199], v[137:138], v[171:172]
	v_mul_f64 v[171:172], v[139:140], v[171:172]
	ds_read_b128 v[5:8], v189 offset:1840
	s_waitcnt vmcnt(53)
	v_fma_f64 v[151:152], v[1:2], v[161:162], -v[151:152]
	v_fma_f64 v[161:162], v[3:4], v[161:162], v[192:193]
	ds_read_b128 v[1:4], v189 offset:1856
	v_add_f64 v[141:142], v[141:142], v[165:166]
	v_add_f64 v[143:144], v[143:144], v[145:146]
	s_waitcnt vmcnt(49) lgkmcnt(1)
	v_mul_f64 v[145:146], v[5:6], v[157:158]
	v_mul_f64 v[157:158], v[7:8], v[157:158]
	s_waitcnt vmcnt(48)
	v_fma_f64 v[165:166], v[137:138], v[173:174], -v[171:172]
	v_add_f64 v[141:142], v[141:142], v[151:152]
	v_fma_f64 v[151:152], v[139:140], v[173:174], v[198:199]
	v_add_f64 v[143:144], v[143:144], v[161:162]
	s_clause 0x3
	buffer_load_dword v161, off, s[0:3], 0 offset:384
	buffer_load_dword v162, off, s[0:3], 0 offset:388
	;; [unrolled: 1-line block ×4, first 2 shown]
	ds_read_b128 v[137:140], v189 offset:1872
	s_waitcnt vmcnt(51) lgkmcnt(1)
	v_mul_f64 v[173:174], v[1:2], v[179:180]
	v_mul_f64 v[179:180], v[3:4], v[179:180]
	s_waitcnt vmcnt(49)
	v_fma_f64 v[157:158], v[5:6], v[159:160], -v[157:158]
	v_fma_f64 v[145:146], v[7:8], v[159:160], v[145:146]
	ds_read_b128 v[5:8], v189 offset:1888
	v_add_f64 v[141:142], v[141:142], v[165:166]
	v_add_f64 v[143:144], v[143:144], v[151:152]
	s_waitcnt vmcnt(45) lgkmcnt(1)
	v_mul_f64 v[151:152], v[137:138], v[163:164]
	v_mul_f64 v[159:160], v[139:140], v[163:164]
	s_waitcnt vmcnt(44)
	v_fma_f64 v[163:164], v[1:2], v[181:182], -v[179:180]
	v_add_f64 v[141:142], v[141:142], v[157:158]
	v_fma_f64 v[157:158], v[3:4], v[181:182], v[173:174]
	v_add_f64 v[143:144], v[143:144], v[145:146]
	ds_read_b128 v[1:4], v189 offset:1904
	s_waitcnt vmcnt(43) lgkmcnt(1)
	v_mul_f64 v[165:166], v[7:8], v[185:186]
	v_mul_f64 v[145:146], v[5:6], v[185:186]
	s_waitcnt vmcnt(41)
	v_fma_f64 v[159:160], v[137:138], v[167:168], -v[159:160]
	v_fma_f64 v[151:152], v[139:140], v[167:168], v[151:152]
	ds_read_b128 v[137:140], v189 offset:1920
	v_add_f64 v[141:142], v[141:142], v[163:164]
	v_add_f64 v[143:144], v[143:144], v[157:158]
	s_waitcnt vmcnt(37) lgkmcnt(1)
	v_mul_f64 v[163:164], v[3:4], v[169:170]
	s_waitcnt vmcnt(36)
	v_fma_f64 v[165:166], v[5:6], v[187:188], -v[165:166]
	v_mul_f64 v[157:158], v[1:2], v[169:170]
	v_fma_f64 v[145:146], v[7:8], v[187:188], v[145:146]
	ds_read_b128 v[5:8], v189 offset:1936
	v_add_f64 v[141:142], v[141:142], v[159:160]
	v_add_f64 v[143:144], v[143:144], v[151:152]
	s_waitcnt vmcnt(35) lgkmcnt(1)
	v_mul_f64 v[159:160], v[139:140], v[208:209]
	v_mul_f64 v[151:152], v[137:138], v[208:209]
	s_waitcnt vmcnt(33)
	v_fma_f64 v[163:164], v[1:2], v[175:176], -v[163:164]
	v_fma_f64 v[157:158], v[3:4], v[175:176], v[157:158]
	ds_read_b128 v[1:4], v189 offset:1952
	v_add_f64 v[141:142], v[141:142], v[165:166]
	v_add_f64 v[143:144], v[143:144], v[145:146]
	s_waitcnt vmcnt(29) lgkmcnt(1)
	v_mul_f64 v[165:166], v[7:8], v[177:178]
	s_waitcnt vmcnt(28)
	v_fma_f64 v[159:160], v[137:138], v[212:213], -v[159:160]
	v_mul_f64 v[145:146], v[5:6], v[177:178]
	v_fma_f64 v[151:152], v[139:140], v[212:213], v[151:152]
	ds_read_b128 v[137:140], v189 offset:1968
	v_add_f64 v[141:142], v[141:142], v[163:164]
	v_add_f64 v[143:144], v[143:144], v[157:158]
	;; [unrolled: 18-line block ×3, first 2 shown]
	s_waitcnt vmcnt(19) lgkmcnt(1)
	v_mul_f64 v[165:166], v[7:8], v[210:211]
	v_mul_f64 v[145:146], v[5:6], v[210:211]
	s_waitcnt vmcnt(17)
	v_fma_f64 v[159:160], v[137:138], v[147:148], -v[159:160]
	v_fma_f64 v[147:148], v[139:140], v[147:148], v[151:152]
	ds_read_b128 v[137:140], v189 offset:2016
	v_add_f64 v[141:142], v[141:142], v[163:164]
	v_add_f64 v[143:144], v[143:144], v[157:158]
	s_waitcnt vmcnt(13) lgkmcnt(1)
	v_mul_f64 v[151:152], v[1:2], v[153:154]
	v_mul_f64 v[153:154], v[3:4], v[153:154]
	s_waitcnt vmcnt(12)
	v_fma_f64 v[157:158], v[5:6], v[214:215], -v[165:166]
	v_fma_f64 v[145:146], v[7:8], v[214:215], v[145:146]
	ds_read_b128 v[5:8], v189 offset:2032
	v_add_f64 v[141:142], v[141:142], v[159:160]
	v_add_f64 v[143:144], v[143:144], v[147:148]
	s_waitcnt vmcnt(11) lgkmcnt(1)
	v_mul_f64 v[159:160], v[139:140], v[202:203]
	v_mul_f64 v[147:148], v[137:138], v[202:203]
	s_waitcnt vmcnt(9)
	v_fma_f64 v[1:2], v[1:2], v[149:150], -v[153:154]
	v_fma_f64 v[3:4], v[3:4], v[149:150], v[151:152]
	v_add_f64 v[141:142], v[141:142], v[157:158]
	v_add_f64 v[143:144], v[143:144], v[145:146]
	s_waitcnt vmcnt(7) lgkmcnt(0)
	v_mul_f64 v[149:150], v[7:8], v[190:191]
	s_waitcnt vmcnt(6)
	v_fma_f64 v[137:138], v[137:138], v[219:220], -v[159:160]
	v_mul_f64 v[145:146], v[5:6], v[190:191]
	v_fma_f64 v[139:140], v[139:140], v[219:220], v[147:148]
	v_add_f64 v[1:2], v[141:142], v[1:2]
	v_add_f64 v[3:4], v[143:144], v[3:4]
	s_waitcnt vmcnt(4)
	v_fma_f64 v[5:6], v[5:6], v[155:156], -v[149:150]
	v_fma_f64 v[7:8], v[7:8], v[155:156], v[145:146]
	v_add_f64 v[1:2], v[1:2], v[137:138]
	v_add_f64 v[3:4], v[3:4], v[139:140]
	;; [unrolled: 1-line block ×4, first 2 shown]
	s_waitcnt vmcnt(2)
	v_add_f64 v[1:2], v[161:162], -v[1:2]
	s_waitcnt vmcnt(0)
	v_add_f64 v[3:4], v[171:172], -v[3:4]
	buffer_store_dword v2, off, s[0:3], 0 offset:388
	buffer_store_dword v1, off, s[0:3], 0 offset:384
	;; [unrolled: 1-line block ×4, first 2 shown]
	v_cmpx_lt_u32_e32 22, v0
	s_cbranch_execz .LBB127_365
; %bb.364:
	v_mov_b32_e32 v4, s56
	v_mov_b32_e32 v5, 0
	s_clause 0x3
	buffer_load_dword v1, v4, s[0:3], 0 offen
	buffer_load_dword v2, v4, s[0:3], 0 offen offset:4
	buffer_load_dword v3, v4, s[0:3], 0 offen offset:8
	;; [unrolled: 1-line block ×3, first 2 shown]
	buffer_store_dword v5, off, s[0:3], 0 offset:368
	buffer_store_dword v5, off, s[0:3], 0 offset:372
	;; [unrolled: 1-line block ×4, first 2 shown]
	s_waitcnt vmcnt(0)
	ds_write_b128 v197, v[1:4]
.LBB127_365:
	s_or_b32 exec_lo, exec_lo, s4
	s_waitcnt lgkmcnt(0)
	s_waitcnt_vscnt null, 0x0
	s_barrier
	buffer_gl0_inv
	s_clause 0x37
	buffer_load_dword v137, off, s[0:3], 0 offset:392
	buffer_load_dword v138, off, s[0:3], 0 offset:396
	;; [unrolled: 1-line block ×56, first 2 shown]
	v_mov_b32_e32 v189, 0
	s_mov_b32 s4, exec_lo
	ds_read_b128 v[190:193], v189 offset:1392
	s_clause 0x2
	buffer_load_dword v186, off, s[0:3], 0 offset:620
	buffer_load_dword v188, off, s[0:3], 0 offset:596
	;; [unrolled: 1-line block ×3, first 2 shown]
	ds_read_b128 v[198:201], v189 offset:1408
	s_clause 0x4
	buffer_load_dword v207, off, s[0:3], 0 offset:636
	buffer_load_dword v208, off, s[0:3], 0 offset:648
	;; [unrolled: 1-line block ×5, first 2 shown]
	ds_read_b128 v[202:205], v189 offset:1424
	s_clause 0x2
	buffer_load_dword v209, off, s[0:3], 0 offset:652
	buffer_load_dword v214, off, s[0:3], 0 offset:628
	;; [unrolled: 1-line block ×3, first 2 shown]
	s_waitcnt vmcnt(62) lgkmcnt(2)
	v_mul_f64 v[194:195], v[192:193], v[137:138]
	v_mul_f64 v[137:138], v[190:191], v[137:138]
	s_waitcnt lgkmcnt(1)
	v_mul_f64 v[211:212], v[200:201], v[5:6]
	s_waitcnt vmcnt(59) lgkmcnt(0)
	v_mul_f64 v[215:216], v[204:205], v[3:4]
	v_fma_f64 v[190:191], v[190:191], v[7:8], -v[194:195]
	v_mul_f64 v[194:195], v[198:199], v[5:6]
	v_fma_f64 v[137:138], v[192:193], v[7:8], v[137:138]
	s_waitcnt vmcnt(57)
	v_fma_f64 v[198:199], v[198:199], v[1:2], -v[211:212]
	ds_read_b128 v[5:8], v189 offset:1440
	v_mul_f64 v[192:193], v[202:203], v[3:4]
	s_waitcnt vmcnt(51)
	v_fma_f64 v[202:203], v[202:203], v[153:154], -v[215:216]
	v_add_f64 v[190:191], v[190:191], 0
	v_fma_f64 v[194:195], v[200:201], v[1:2], v[194:195]
	v_add_f64 v[137:138], v[137:138], 0
	s_clause 0x4
	buffer_load_dword v201, off, s[0:3], 0 offset:668
	buffer_load_dword v217, off, s[0:3], 0 offset:680
	;; [unrolled: 1-line block ×5, first 2 shown]
	s_waitcnt lgkmcnt(0)
	v_mul_f64 v[220:221], v[5:6], v[141:142]
	v_mul_f64 v[141:142], v[7:8], v[141:142]
	ds_read_b128 v[1:4], v189 offset:1456
	v_fma_f64 v[153:154], v[204:205], v[153:154], v[192:193]
	v_add_f64 v[198:199], v[190:191], v[198:199]
	v_add_f64 v[137:138], v[137:138], v[194:195]
	s_clause 0x2
	buffer_load_dword v218, off, s[0:3], 0 offset:684
	buffer_load_dword v195, off, s[0:3], 0 offset:660
	;; [unrolled: 1-line block ×3, first 2 shown]
	s_waitcnt vmcnt(58) lgkmcnt(0)
	v_mul_f64 v[204:205], v[1:2], v[145:146]
	v_mul_f64 v[145:146], v[3:4], v[145:146]
	s_waitcnt vmcnt(56)
	v_fma_f64 v[141:142], v[5:6], v[147:148], -v[141:142]
	ds_read_b128 v[190:193], v189 offset:1472
	v_fma_f64 v[147:148], v[7:8], v[147:148], v[220:221]
	v_add_f64 v[198:199], v[198:199], v[202:203]
	v_add_f64 v[137:138], v[137:138], v[153:154]
	s_clause 0x4
	buffer_load_dword v154, off, s[0:3], 0 offset:700
	buffer_load_dword v202, off, s[0:3], 0 offset:712
	;; [unrolled: 1-line block ×5, first 2 shown]
	ds_read_b128 v[5:8], v189 offset:1488
	s_waitcnt vmcnt(57) lgkmcnt(1)
	v_mul_f64 v[221:222], v[190:191], v[149:150]
	v_mul_f64 v[149:150], v[192:193], v[149:150]
	s_waitcnt vmcnt(56)
	v_fma_f64 v[145:146], v[1:2], v[139:140], -v[145:146]
	v_fma_f64 v[139:140], v[3:4], v[139:140], v[204:205]
	v_add_f64 v[141:142], v[198:199], v[141:142]
	v_add_f64 v[137:138], v[137:138], v[147:148]
	s_clause 0x2
	buffer_load_dword v203, off, s[0:3], 0 offset:716
	buffer_load_dword v148, off, s[0:3], 0 offset:692
	;; [unrolled: 1-line block ×3, first 2 shown]
	s_waitcnt vmcnt(58) lgkmcnt(0)
	v_mul_f64 v[198:199], v[5:6], v[155:156]
	v_mul_f64 v[155:156], v[7:8], v[155:156]
	s_waitcnt vmcnt(56)
	v_fma_f64 v[149:150], v[190:191], v[157:158], -v[149:150]
	ds_read_b128 v[1:4], v189 offset:1504
	v_add_f64 v[141:142], v[141:142], v[145:146]
	v_fma_f64 v[145:146], v[192:193], v[157:158], v[221:222]
	v_add_f64 v[157:158], v[137:138], v[139:140]
	s_clause 0x4
	buffer_load_dword v191, off, s[0:3], 0 offset:732
	buffer_load_dword v192, off, s[0:3], 0 offset:744
	;; [unrolled: 1-line block ×5, first 2 shown]
	ds_read_b128 v[137:140], v189 offset:1520
	s_waitcnt vmcnt(57) lgkmcnt(1)
	v_mul_f64 v[221:222], v[1:2], v[159:160]
	v_mul_f64 v[159:160], v[3:4], v[159:160]
	s_waitcnt vmcnt(56)
	v_fma_f64 v[155:156], v[5:6], v[143:144], -v[155:156]
	v_fma_f64 v[143:144], v[7:8], v[143:144], v[198:199]
	v_add_f64 v[141:142], v[141:142], v[149:150]
	s_clause 0x2
	buffer_load_dword v193, off, s[0:3], 0 offset:748
	buffer_load_dword v150, off, s[0:3], 0 offset:724
	buffer_load_dword v149, off, s[0:3], 0 offset:720
	v_add_f64 v[145:146], v[157:158], v[145:146]
	s_waitcnt vmcnt(58) lgkmcnt(0)
	v_mul_f64 v[157:158], v[137:138], v[163:164]
	v_mul_f64 v[163:164], v[139:140], v[163:164]
	ds_read_b128 v[5:8], v189 offset:1536
	s_waitcnt vmcnt(56)
	v_fma_f64 v[159:160], v[1:2], v[165:166], -v[159:160]
	v_add_f64 v[141:142], v[141:142], v[155:156]
	v_fma_f64 v[155:156], v[3:4], v[165:166], v[221:222]
	v_add_f64 v[143:144], v[145:146], v[143:144]
	s_clause 0x4
	buffer_load_dword v146, off, s[0:3], 0 offset:764
	buffer_load_dword v165, off, s[0:3], 0 offset:776
	;; [unrolled: 1-line block ×5, first 2 shown]
	s_waitcnt vmcnt(57) lgkmcnt(0)
	v_mul_f64 v[221:222], v[5:6], v[167:168]
	v_mul_f64 v[167:168], v[7:8], v[167:168]
	s_waitcnt vmcnt(56)
	v_fma_f64 v[163:164], v[137:138], v[151:152], -v[163:164]
	ds_read_b128 v[1:4], v189 offset:1552
	v_fma_f64 v[151:152], v[139:140], v[151:152], v[157:158]
	v_add_f64 v[141:142], v[141:142], v[159:160]
	v_add_f64 v[143:144], v[143:144], v[155:156]
	s_clause 0x2
	buffer_load_dword v166, off, s[0:3], 0 offset:780
	buffer_load_dword v156, off, s[0:3], 0 offset:756
	;; [unrolled: 1-line block ×3, first 2 shown]
	ds_read_b128 v[137:140], v189 offset:1568
	s_waitcnt vmcnt(58) lgkmcnt(1)
	v_mul_f64 v[159:160], v[3:4], v[171:172]
	s_waitcnt vmcnt(56)
	v_fma_f64 v[167:168], v[5:6], v[173:174], -v[167:168]
	v_mul_f64 v[157:158], v[1:2], v[171:172]
	v_add_f64 v[141:142], v[141:142], v[163:164]
	v_fma_f64 v[163:164], v[7:8], v[173:174], v[221:222]
	v_add_f64 v[143:144], v[143:144], v[151:152]
	s_clause 0x4
	buffer_load_dword v152, off, s[0:3], 0 offset:796
	buffer_load_dword v171, off, s[0:3], 0 offset:808
	;; [unrolled: 1-line block ×5, first 2 shown]
	s_waitcnt vmcnt(57) lgkmcnt(0)
	v_mul_f64 v[221:222], v[137:138], v[175:176]
	v_mul_f64 v[174:175], v[139:140], v[175:176]
	s_waitcnt vmcnt(56)
	v_fma_f64 v[159:160], v[1:2], v[161:162], -v[159:160]
	ds_read_b128 v[5:8], v189 offset:1584
	v_fma_f64 v[157:158], v[3:4], v[161:162], v[157:158]
	s_clause 0x2
	buffer_load_dword v172, off, s[0:3], 0 offset:812
	buffer_load_dword v162, off, s[0:3], 0 offset:788
	buffer_load_dword v161, off, s[0:3], 0 offset:784
	ds_read_b128 v[1:4], v189 offset:1600
	v_add_f64 v[141:142], v[141:142], v[167:168]
	v_add_f64 v[143:144], v[143:144], v[163:164]
	s_waitcnt vmcnt(58) lgkmcnt(1)
	v_mul_f64 v[167:168], v[7:8], v[179:180]
	s_waitcnt vmcnt(56)
	v_fma_f64 v[175:176], v[137:138], v[181:182], -v[174:175]
	v_mul_f64 v[163:164], v[5:6], v[179:180]
	v_add_f64 v[141:142], v[141:142], v[159:160]
	v_fma_f64 v[159:160], v[139:140], v[181:182], v[221:222]
	v_add_f64 v[143:144], v[143:144], v[157:158]
	s_clause 0x4
	buffer_load_dword v158, off, s[0:3], 0 offset:828
	buffer_load_dword v179, off, s[0:3], 0 offset:840
	buffer_load_dword v181, off, s[0:3], 0 offset:832
	buffer_load_dword v157, off, s[0:3], 0 offset:824
	buffer_load_dword v174, off, s[0:3], 0 offset:804
	s_waitcnt vmcnt(57) lgkmcnt(0)
	v_mul_f64 v[221:222], v[1:2], v[183:184]
	v_mul_f64 v[182:183], v[3:4], v[183:184]
	s_waitcnt vmcnt(56)
	v_fma_f64 v[167:168], v[5:6], v[169:170], -v[167:168]
	ds_read_b128 v[137:140], v189 offset:1616
	v_fma_f64 v[163:164], v[7:8], v[169:170], v[163:164]
	v_add_f64 v[141:142], v[141:142], v[175:176]
	v_add_f64 v[143:144], v[143:144], v[159:160]
	s_clause 0x2
	buffer_load_dword v180, off, s[0:3], 0 offset:844
	buffer_load_dword v160, off, s[0:3], 0 offset:820
	;; [unrolled: 1-line block ×3, first 2 shown]
	ds_read_b128 v[5:8], v189 offset:1632
	s_waitcnt vmcnt(58) lgkmcnt(1)
	v_mul_f64 v[175:176], v[139:140], v[185:186]
	s_waitcnt vmcnt(56)
	v_fma_f64 v[183:184], v[1:2], v[187:188], -v[182:183]
	v_mul_f64 v[169:170], v[137:138], v[185:186]
	v_add_f64 v[141:142], v[141:142], v[167:168]
	v_fma_f64 v[167:168], v[3:4], v[187:188], v[221:222]
	v_add_f64 v[143:144], v[143:144], v[163:164]
	s_clause 0x4
	buffer_load_dword v164, off, s[0:3], 0 offset:860
	buffer_load_dword v185, off, s[0:3], 0 offset:872
	;; [unrolled: 1-line block ×5, first 2 shown]
	s_waitcnt vmcnt(57) lgkmcnt(0)
	v_mul_f64 v[221:222], v[5:6], v[206:207]
	v_mul_f64 v[206:207], v[7:8], v[206:207]
	s_waitcnt vmcnt(56)
	v_fma_f64 v[175:176], v[137:138], v[177:178], -v[175:176]
	ds_read_b128 v[1:4], v189 offset:1648
	v_fma_f64 v[169:170], v[139:140], v[177:178], v[169:170]
	v_add_f64 v[141:142], v[141:142], v[183:184]
	v_add_f64 v[143:144], v[143:144], v[167:168]
	s_clause 0x2
	buffer_load_dword v186, off, s[0:3], 0 offset:876
	buffer_load_dword v168, off, s[0:3], 0 offset:852
	;; [unrolled: 1-line block ×3, first 2 shown]
	ds_read_b128 v[137:140], v189 offset:1664
	s_waitcnt vmcnt(58) lgkmcnt(1)
	v_mul_f64 v[183:184], v[3:4], v[208:209]
	s_waitcnt vmcnt(56)
	v_fma_f64 v[206:207], v[5:6], v[213:214], -v[206:207]
	v_mul_f64 v[177:178], v[1:2], v[208:209]
	v_add_f64 v[141:142], v[141:142], v[175:176]
	v_fma_f64 v[175:176], v[7:8], v[213:214], v[221:222]
	v_add_f64 v[143:144], v[143:144], v[169:170]
	s_clause 0x4
	buffer_load_dword v170, off, s[0:3], 0 offset:892
	buffer_load_dword v208, off, s[0:3], 0 offset:904
	;; [unrolled: 1-line block ×5, first 2 shown]
	ds_read_b128 v[5:8], v189 offset:1680
	s_waitcnt vmcnt(57) lgkmcnt(1)
	v_mul_f64 v[213:214], v[137:138], v[200:201]
	v_mul_f64 v[200:201], v[139:140], v[200:201]
	s_waitcnt vmcnt(56)
	v_fma_f64 v[183:184], v[1:2], v[210:211], -v[183:184]
	v_fma_f64 v[177:178], v[3:4], v[210:211], v[177:178]
	v_add_f64 v[141:142], v[141:142], v[206:207]
	v_add_f64 v[143:144], v[143:144], v[175:176]
	s_clause 0x2
	buffer_load_dword v209, off, s[0:3], 0 offset:908
	buffer_load_dword v176, off, s[0:3], 0 offset:884
	buffer_load_dword v175, off, s[0:3], 0 offset:880
	ds_read_b128 v[1:4], v189 offset:1696
	s_waitcnt vmcnt(58) lgkmcnt(1)
	v_mul_f64 v[210:211], v[7:8], v[217:218]
	v_mul_f64 v[206:207], v[5:6], v[217:218]
	s_waitcnt vmcnt(56)
	v_fma_f64 v[200:201], v[137:138], v[194:195], -v[200:201]
	v_add_f64 v[141:142], v[141:142], v[183:184]
	v_fma_f64 v[183:184], v[139:140], v[194:195], v[213:214]
	v_add_f64 v[143:144], v[143:144], v[177:178]
	s_clause 0x4
	buffer_load_dword v178, off, s[0:3], 0 offset:924
	buffer_load_dword v194, off, s[0:3], 0 offset:936
	buffer_load_dword v217, off, s[0:3], 0 offset:928
	buffer_load_dword v177, off, s[0:3], 0 offset:920
	buffer_load_dword v213, off, s[0:3], 0 offset:900
	ds_read_b128 v[137:140], v189 offset:1712
	s_waitcnt vmcnt(57) lgkmcnt(1)
	v_mul_f64 v[221:222], v[1:2], v[153:154]
	v_mul_f64 v[153:154], v[3:4], v[153:154]
	s_waitcnt vmcnt(56)
	v_fma_f64 v[210:211], v[5:6], v[219:220], -v[210:211]
	v_add_f64 v[141:142], v[141:142], v[200:201]
	v_fma_f64 v[200:201], v[7:8], v[219:220], v[206:207]
	v_add_f64 v[143:144], v[143:144], v[183:184]
	s_clause 0x2
	buffer_load_dword v195, off, s[0:3], 0 offset:940
	buffer_load_dword v184, off, s[0:3], 0 offset:916
	buffer_load_dword v183, off, s[0:3], 0 offset:912
	ds_read_b128 v[5:8], v189 offset:1728
	s_waitcnt vmcnt(58) lgkmcnt(1)
	v_mul_f64 v[206:207], v[137:138], v[202:203]
	v_mul_f64 v[202:203], v[139:140], v[202:203]
	s_waitcnt vmcnt(56)
	v_fma_f64 v[153:154], v[1:2], v[147:148], -v[153:154]
	v_fma_f64 v[147:148], v[3:4], v[147:148], v[221:222]
	v_add_f64 v[141:142], v[141:142], v[210:211]
	v_add_f64 v[143:144], v[143:144], v[200:201]
	s_clause 0x4
	buffer_load_dword v201, off, s[0:3], 0 offset:956
	buffer_load_dword v210, off, s[0:3], 0 offset:968
	buffer_load_dword v214, off, s[0:3], 0 offset:960
	buffer_load_dword v200, off, s[0:3], 0 offset:952
	buffer_load_dword v218, off, s[0:3], 0 offset:932
	ds_read_b128 v[1:4], v189 offset:1744
	s_waitcnt vmcnt(57) lgkmcnt(1)
	v_mul_f64 v[219:220], v[5:6], v[190:191]
	v_mul_f64 v[190:191], v[7:8], v[190:191]
	s_waitcnt vmcnt(56)
	v_fma_f64 v[202:203], v[137:138], v[215:216], -v[202:203]
	v_add_f64 v[141:142], v[141:142], v[153:154]
	v_fma_f64 v[153:154], v[139:140], v[215:216], v[206:207]
	v_add_f64 v[143:144], v[143:144], v[147:148]
	s_clause 0x2
	buffer_load_dword v211, off, s[0:3], 0 offset:972
	buffer_load_dword v148, off, s[0:3], 0 offset:948
	buffer_load_dword v147, off, s[0:3], 0 offset:944
	ds_read_b128 v[137:140], v189 offset:1760
	s_waitcnt vmcnt(58) lgkmcnt(1)
	v_mul_f64 v[206:207], v[1:2], v[192:193]
	v_mul_f64 v[192:193], v[3:4], v[192:193]
	s_waitcnt vmcnt(56)
	v_fma_f64 v[190:191], v[5:6], v[149:150], -v[190:191]
	v_fma_f64 v[149:150], v[7:8], v[149:150], v[219:220]
	v_add_f64 v[141:142], v[141:142], v[202:203]
	;; [unrolled: 28-line block ×3, first 2 shown]
	v_add_f64 v[143:144], v[143:144], v[190:191]
	s_clause 0x4
	buffer_load_dword v191, off, s[0:3], 0 offset:1020
	buffer_load_dword v192, off, s[0:3], 0 offset:1032
	;; [unrolled: 1-line block ×5, first 2 shown]
	ds_read_b128 v[137:140], v189 offset:1808
	s_waitcnt vmcnt(57) lgkmcnt(1)
	v_mul_f64 v[221:222], v[1:2], v[151:152]
	v_mul_f64 v[151:152], v[3:4], v[151:152]
	s_waitcnt vmcnt(56)
	v_fma_f64 v[165:166], v[5:6], v[198:199], -v[165:166]
	v_add_f64 v[141:142], v[141:142], v[145:146]
	v_fma_f64 v[145:146], v[7:8], v[198:199], v[204:205]
	v_add_f64 v[143:144], v[143:144], v[155:156]
	s_clause 0x2
	buffer_load_dword v193, off, s[0:3], 0 offset:1036
	buffer_load_dword v156, off, s[0:3], 0 offset:1012
	;; [unrolled: 1-line block ×3, first 2 shown]
	s_waitcnt vmcnt(58) lgkmcnt(0)
	v_mul_f64 v[198:199], v[137:138], v[171:172]
	v_mul_f64 v[171:172], v[139:140], v[171:172]
	ds_read_b128 v[5:8], v189 offset:1824
	buffer_load_dword v207, off, s[0:3], 0 offset:1028
	s_waitcnt vmcnt(57)
	v_fma_f64 v[151:152], v[1:2], v[161:162], -v[151:152]
	v_fma_f64 v[161:162], v[3:4], v[161:162], v[221:222]
	ds_read_b128 v[1:4], v189 offset:1840
	v_add_f64 v[141:142], v[141:142], v[165:166]
	v_add_f64 v[143:144], v[143:144], v[145:146]
	s_waitcnt vmcnt(53) lgkmcnt(1)
	v_mul_f64 v[145:146], v[5:6], v[157:158]
	v_mul_f64 v[157:158], v[7:8], v[157:158]
	s_waitcnt vmcnt(52)
	v_fma_f64 v[165:166], v[137:138], v[173:174], -v[171:172]
	v_add_f64 v[141:142], v[141:142], v[151:152]
	v_fma_f64 v[151:152], v[139:140], v[173:174], v[198:199]
	v_add_f64 v[143:144], v[143:144], v[161:162]
	ds_read_b128 v[137:140], v189 offset:1856
	s_waitcnt vmcnt(51) lgkmcnt(1)
	v_mul_f64 v[171:172], v[3:4], v[179:180]
	v_mul_f64 v[161:162], v[1:2], v[179:180]
	s_waitcnt vmcnt(49)
	v_fma_f64 v[157:158], v[5:6], v[159:160], -v[157:158]
	v_fma_f64 v[145:146], v[7:8], v[159:160], v[145:146]
	v_add_f64 v[141:142], v[141:142], v[165:166]
	v_add_f64 v[143:144], v[143:144], v[151:152]
	s_clause 0x3
	buffer_load_dword v151, off, s[0:3], 0 offset:368
	buffer_load_dword v152, off, s[0:3], 0 offset:372
	;; [unrolled: 1-line block ×4, first 2 shown]
	ds_read_b128 v[5:8], v189 offset:1872
	s_waitcnt vmcnt(49) lgkmcnt(1)
	v_mul_f64 v[165:166], v[137:138], v[163:164]
	v_mul_f64 v[163:164], v[139:140], v[163:164]
	s_waitcnt vmcnt(48)
	v_fma_f64 v[171:172], v[1:2], v[181:182], -v[171:172]
	v_add_f64 v[141:142], v[141:142], v[157:158]
	v_fma_f64 v[157:158], v[3:4], v[181:182], v[161:162]
	v_add_f64 v[143:144], v[143:144], v[145:146]
	ds_read_b128 v[1:4], v189 offset:1888
	s_waitcnt vmcnt(47) lgkmcnt(1)
	v_mul_f64 v[161:162], v[7:8], v[185:186]
	v_mul_f64 v[145:146], v[5:6], v[185:186]
	s_waitcnt vmcnt(45)
	v_fma_f64 v[163:164], v[137:138], v[167:168], -v[163:164]
	v_fma_f64 v[165:166], v[139:140], v[167:168], v[165:166]
	ds_read_b128 v[137:140], v189 offset:1904
	v_add_f64 v[141:142], v[141:142], v[171:172]
	v_add_f64 v[143:144], v[143:144], v[157:158]
	s_waitcnt vmcnt(41) lgkmcnt(1)
	v_mul_f64 v[167:168], v[3:4], v[169:170]
	s_waitcnt vmcnt(40)
	v_fma_f64 v[161:162], v[5:6], v[187:188], -v[161:162]
	v_mul_f64 v[157:158], v[1:2], v[169:170]
	v_fma_f64 v[145:146], v[7:8], v[187:188], v[145:146]
	ds_read_b128 v[5:8], v189 offset:1920
	v_add_f64 v[141:142], v[141:142], v[163:164]
	v_add_f64 v[143:144], v[143:144], v[165:166]
	s_waitcnt vmcnt(39) lgkmcnt(1)
	v_mul_f64 v[165:166], v[139:140], v[208:209]
	v_mul_f64 v[163:164], v[137:138], v[208:209]
	s_waitcnt vmcnt(37)
	v_fma_f64 v[167:168], v[1:2], v[175:176], -v[167:168]
	v_fma_f64 v[157:158], v[3:4], v[175:176], v[157:158]
	ds_read_b128 v[1:4], v189 offset:1936
	v_add_f64 v[141:142], v[141:142], v[161:162]
	v_add_f64 v[143:144], v[143:144], v[145:146]
	s_waitcnt vmcnt(33) lgkmcnt(1)
	v_mul_f64 v[161:162], v[7:8], v[177:178]
	s_waitcnt vmcnt(32)
	v_fma_f64 v[165:166], v[137:138], v[212:213], -v[165:166]
	v_mul_f64 v[145:146], v[5:6], v[177:178]
	v_fma_f64 v[163:164], v[139:140], v[212:213], v[163:164]
	ds_read_b128 v[137:140], v189 offset:1952
	v_add_f64 v[141:142], v[141:142], v[167:168]
	v_add_f64 v[143:144], v[143:144], v[157:158]
	;; [unrolled: 18-line block ×3, first 2 shown]
	s_waitcnt vmcnt(23) lgkmcnt(1)
	v_mul_f64 v[161:162], v[7:8], v[210:211]
	v_mul_f64 v[145:146], v[5:6], v[210:211]
	s_waitcnt vmcnt(21)
	v_fma_f64 v[165:166], v[137:138], v[147:148], -v[165:166]
	v_fma_f64 v[147:148], v[139:140], v[147:148], v[163:164]
	ds_read_b128 v[137:140], v189 offset:2000
	v_add_f64 v[141:142], v[141:142], v[167:168]
	v_add_f64 v[143:144], v[143:144], v[157:158]
	s_waitcnt vmcnt(17) lgkmcnt(1)
	v_mul_f64 v[157:158], v[1:2], v[153:154]
	v_mul_f64 v[153:154], v[3:4], v[153:154]
	s_waitcnt vmcnt(16)
	v_fma_f64 v[161:162], v[5:6], v[214:215], -v[161:162]
	v_fma_f64 v[145:146], v[7:8], v[214:215], v[145:146]
	ds_read_b128 v[5:8], v189 offset:2016
	v_add_f64 v[141:142], v[141:142], v[165:166]
	v_add_f64 v[143:144], v[143:144], v[147:148]
	;; [unrolled: 9-line block ×3, first 2 shown]
	s_waitcnt vmcnt(9) lgkmcnt(1)
	v_mul_f64 v[157:158], v[7:8], v[190:191]
	s_waitcnt vmcnt(8)
	v_fma_f64 v[137:138], v[137:138], v[219:220], -v[163:164]
	v_mul_f64 v[145:146], v[5:6], v[190:191]
	v_fma_f64 v[139:140], v[139:140], v[219:220], v[147:148]
	v_add_f64 v[141:142], v[141:142], v[153:154]
	v_add_f64 v[143:144], v[143:144], v[149:150]
	s_waitcnt vmcnt(7) lgkmcnt(0)
	v_mul_f64 v[149:150], v[3:4], v[192:193]
	v_mul_f64 v[147:148], v[1:2], v[192:193]
	s_waitcnt vmcnt(5)
	v_fma_f64 v[5:6], v[5:6], v[155:156], -v[157:158]
	v_fma_f64 v[7:8], v[7:8], v[155:156], v[145:146]
	v_add_f64 v[137:138], v[141:142], v[137:138]
	v_add_f64 v[139:140], v[143:144], v[139:140]
	s_waitcnt vmcnt(4)
	v_fma_f64 v[1:2], v[1:2], v[206:207], -v[149:150]
	v_fma_f64 v[3:4], v[3:4], v[206:207], v[147:148]
	v_add_f64 v[5:6], v[137:138], v[5:6]
	v_add_f64 v[7:8], v[139:140], v[7:8]
	;; [unrolled: 1-line block ×4, first 2 shown]
	s_waitcnt vmcnt(2)
	v_add_f64 v[1:2], v[151:152], -v[1:2]
	s_waitcnt vmcnt(0)
	v_add_f64 v[3:4], v[159:160], -v[3:4]
	buffer_store_dword v2, off, s[0:3], 0 offset:372
	buffer_store_dword v1, off, s[0:3], 0 offset:368
	;; [unrolled: 1-line block ×4, first 2 shown]
	v_cmpx_lt_u32_e32 21, v0
	s_cbranch_execz .LBB127_367
; %bb.366:
	v_mov_b32_e32 v4, s57
	s_clause 0x3
	buffer_load_dword v1, v4, s[0:3], 0 offen
	buffer_load_dword v2, v4, s[0:3], 0 offen offset:4
	buffer_load_dword v3, v4, s[0:3], 0 offen offset:8
	buffer_load_dword v4, v4, s[0:3], 0 offen offset:12
	buffer_store_dword v189, off, s[0:3], 0 offset:352
	buffer_store_dword v189, off, s[0:3], 0 offset:356
	;; [unrolled: 1-line block ×4, first 2 shown]
	s_waitcnt vmcnt(0)
	ds_write_b128 v197, v[1:4]
.LBB127_367:
	s_or_b32 exec_lo, exec_lo, s4
	s_waitcnt lgkmcnt(0)
	s_waitcnt_vscnt null, 0x0
	s_barrier
	buffer_gl0_inv
	s_clause 0x37
	buffer_load_dword v137, off, s[0:3], 0 offset:376
	buffer_load_dword v138, off, s[0:3], 0 offset:380
	;; [unrolled: 1-line block ×56, first 2 shown]
	ds_read_b128 v[190:193], v189 offset:1376
	s_clause 0x2
	buffer_load_dword v186, off, s[0:3], 0 offset:604
	buffer_load_dword v188, off, s[0:3], 0 offset:580
	;; [unrolled: 1-line block ×3, first 2 shown]
	ds_read_b128 v[198:201], v189 offset:1392
	s_clause 0x4
	buffer_load_dword v207, off, s[0:3], 0 offset:620
	buffer_load_dword v208, off, s[0:3], 0 offset:632
	buffer_load_dword v210, off, s[0:3], 0 offset:624
	buffer_load_dword v206, off, s[0:3], 0 offset:616
	buffer_load_dword v178, off, s[0:3], 0 offset:596
	ds_read_b128 v[202:205], v189 offset:1408
	s_clause 0x2
	buffer_load_dword v209, off, s[0:3], 0 offset:636
	buffer_load_dword v214, off, s[0:3], 0 offset:612
	;; [unrolled: 1-line block ×3, first 2 shown]
	s_mov_b32 s4, exec_lo
	s_waitcnt vmcnt(62) lgkmcnt(2)
	v_mul_f64 v[194:195], v[192:193], v[137:138]
	v_mul_f64 v[137:138], v[190:191], v[137:138]
	s_waitcnt lgkmcnt(1)
	v_mul_f64 v[211:212], v[200:201], v[5:6]
	s_waitcnt vmcnt(59) lgkmcnt(0)
	v_mul_f64 v[215:216], v[204:205], v[3:4]
	v_fma_f64 v[190:191], v[190:191], v[7:8], -v[194:195]
	v_mul_f64 v[194:195], v[198:199], v[5:6]
	v_fma_f64 v[137:138], v[192:193], v[7:8], v[137:138]
	s_waitcnt vmcnt(57)
	v_fma_f64 v[198:199], v[198:199], v[1:2], -v[211:212]
	ds_read_b128 v[5:8], v189 offset:1424
	v_mul_f64 v[192:193], v[202:203], v[3:4]
	s_waitcnt vmcnt(51)
	v_fma_f64 v[202:203], v[202:203], v[153:154], -v[215:216]
	v_add_f64 v[190:191], v[190:191], 0
	v_fma_f64 v[194:195], v[200:201], v[1:2], v[194:195]
	v_add_f64 v[137:138], v[137:138], 0
	s_clause 0x4
	buffer_load_dword v201, off, s[0:3], 0 offset:652
	buffer_load_dword v217, off, s[0:3], 0 offset:664
	buffer_load_dword v219, off, s[0:3], 0 offset:656
	buffer_load_dword v200, off, s[0:3], 0 offset:648
	buffer_load_dword v211, off, s[0:3], 0 offset:628
	s_waitcnt lgkmcnt(0)
	v_mul_f64 v[220:221], v[5:6], v[141:142]
	v_mul_f64 v[141:142], v[7:8], v[141:142]
	ds_read_b128 v[1:4], v189 offset:1440
	v_fma_f64 v[153:154], v[204:205], v[153:154], v[192:193]
	v_add_f64 v[198:199], v[190:191], v[198:199]
	v_add_f64 v[137:138], v[137:138], v[194:195]
	s_clause 0x2
	buffer_load_dword v218, off, s[0:3], 0 offset:668
	buffer_load_dword v195, off, s[0:3], 0 offset:644
	;; [unrolled: 1-line block ×3, first 2 shown]
	s_waitcnt vmcnt(58) lgkmcnt(0)
	v_mul_f64 v[204:205], v[1:2], v[145:146]
	v_mul_f64 v[145:146], v[3:4], v[145:146]
	s_waitcnt vmcnt(56)
	v_fma_f64 v[141:142], v[5:6], v[147:148], -v[141:142]
	ds_read_b128 v[190:193], v189 offset:1456
	v_fma_f64 v[147:148], v[7:8], v[147:148], v[220:221]
	v_add_f64 v[198:199], v[198:199], v[202:203]
	v_add_f64 v[137:138], v[137:138], v[153:154]
	s_clause 0x4
	buffer_load_dword v154, off, s[0:3], 0 offset:684
	buffer_load_dword v202, off, s[0:3], 0 offset:696
	;; [unrolled: 1-line block ×5, first 2 shown]
	ds_read_b128 v[5:8], v189 offset:1472
	s_waitcnt vmcnt(57) lgkmcnt(1)
	v_mul_f64 v[221:222], v[190:191], v[149:150]
	v_mul_f64 v[149:150], v[192:193], v[149:150]
	s_waitcnt vmcnt(56)
	v_fma_f64 v[145:146], v[1:2], v[139:140], -v[145:146]
	v_fma_f64 v[139:140], v[3:4], v[139:140], v[204:205]
	v_add_f64 v[141:142], v[198:199], v[141:142]
	v_add_f64 v[137:138], v[137:138], v[147:148]
	s_clause 0x2
	buffer_load_dword v203, off, s[0:3], 0 offset:700
	buffer_load_dword v148, off, s[0:3], 0 offset:676
	;; [unrolled: 1-line block ×3, first 2 shown]
	s_waitcnt vmcnt(58) lgkmcnt(0)
	v_mul_f64 v[198:199], v[5:6], v[155:156]
	v_mul_f64 v[155:156], v[7:8], v[155:156]
	s_waitcnt vmcnt(56)
	v_fma_f64 v[149:150], v[190:191], v[157:158], -v[149:150]
	ds_read_b128 v[1:4], v189 offset:1488
	v_add_f64 v[141:142], v[141:142], v[145:146]
	v_fma_f64 v[145:146], v[192:193], v[157:158], v[221:222]
	v_add_f64 v[157:158], v[137:138], v[139:140]
	s_clause 0x4
	buffer_load_dword v191, off, s[0:3], 0 offset:716
	buffer_load_dword v192, off, s[0:3], 0 offset:728
	;; [unrolled: 1-line block ×5, first 2 shown]
	ds_read_b128 v[137:140], v189 offset:1504
	s_waitcnt vmcnt(57) lgkmcnt(1)
	v_mul_f64 v[221:222], v[1:2], v[159:160]
	v_mul_f64 v[159:160], v[3:4], v[159:160]
	s_waitcnt vmcnt(56)
	v_fma_f64 v[155:156], v[5:6], v[143:144], -v[155:156]
	v_fma_f64 v[143:144], v[7:8], v[143:144], v[198:199]
	v_add_f64 v[141:142], v[141:142], v[149:150]
	s_clause 0x2
	buffer_load_dword v193, off, s[0:3], 0 offset:732
	buffer_load_dword v150, off, s[0:3], 0 offset:708
	buffer_load_dword v149, off, s[0:3], 0 offset:704
	v_add_f64 v[145:146], v[157:158], v[145:146]
	s_waitcnt vmcnt(58) lgkmcnt(0)
	v_mul_f64 v[157:158], v[137:138], v[163:164]
	v_mul_f64 v[163:164], v[139:140], v[163:164]
	ds_read_b128 v[5:8], v189 offset:1520
	s_waitcnt vmcnt(56)
	v_fma_f64 v[159:160], v[1:2], v[165:166], -v[159:160]
	v_add_f64 v[141:142], v[141:142], v[155:156]
	v_fma_f64 v[155:156], v[3:4], v[165:166], v[221:222]
	v_add_f64 v[143:144], v[145:146], v[143:144]
	s_clause 0x4
	buffer_load_dword v146, off, s[0:3], 0 offset:748
	buffer_load_dword v165, off, s[0:3], 0 offset:760
	;; [unrolled: 1-line block ×5, first 2 shown]
	s_waitcnt vmcnt(57) lgkmcnt(0)
	v_mul_f64 v[221:222], v[5:6], v[167:168]
	v_mul_f64 v[167:168], v[7:8], v[167:168]
	s_waitcnt vmcnt(56)
	v_fma_f64 v[163:164], v[137:138], v[151:152], -v[163:164]
	ds_read_b128 v[1:4], v189 offset:1536
	v_fma_f64 v[151:152], v[139:140], v[151:152], v[157:158]
	v_add_f64 v[141:142], v[141:142], v[159:160]
	v_add_f64 v[143:144], v[143:144], v[155:156]
	s_clause 0x2
	buffer_load_dword v166, off, s[0:3], 0 offset:764
	buffer_load_dword v156, off, s[0:3], 0 offset:740
	;; [unrolled: 1-line block ×3, first 2 shown]
	ds_read_b128 v[137:140], v189 offset:1552
	s_waitcnt vmcnt(58) lgkmcnt(1)
	v_mul_f64 v[159:160], v[3:4], v[171:172]
	s_waitcnt vmcnt(56)
	v_fma_f64 v[167:168], v[5:6], v[173:174], -v[167:168]
	v_mul_f64 v[157:158], v[1:2], v[171:172]
	v_add_f64 v[141:142], v[141:142], v[163:164]
	v_fma_f64 v[163:164], v[7:8], v[173:174], v[221:222]
	v_add_f64 v[143:144], v[143:144], v[151:152]
	s_clause 0x4
	buffer_load_dword v152, off, s[0:3], 0 offset:780
	buffer_load_dword v171, off, s[0:3], 0 offset:792
	;; [unrolled: 1-line block ×5, first 2 shown]
	s_waitcnt vmcnt(57) lgkmcnt(0)
	v_mul_f64 v[221:222], v[137:138], v[175:176]
	v_mul_f64 v[174:175], v[139:140], v[175:176]
	s_waitcnt vmcnt(56)
	v_fma_f64 v[159:160], v[1:2], v[161:162], -v[159:160]
	ds_read_b128 v[5:8], v189 offset:1568
	v_fma_f64 v[157:158], v[3:4], v[161:162], v[157:158]
	s_clause 0x2
	buffer_load_dword v172, off, s[0:3], 0 offset:796
	buffer_load_dword v162, off, s[0:3], 0 offset:772
	;; [unrolled: 1-line block ×3, first 2 shown]
	ds_read_b128 v[1:4], v189 offset:1584
	v_add_f64 v[141:142], v[141:142], v[167:168]
	v_add_f64 v[143:144], v[143:144], v[163:164]
	s_waitcnt vmcnt(58) lgkmcnt(1)
	v_mul_f64 v[167:168], v[7:8], v[179:180]
	s_waitcnt vmcnt(56)
	v_fma_f64 v[175:176], v[137:138], v[181:182], -v[174:175]
	v_mul_f64 v[163:164], v[5:6], v[179:180]
	v_add_f64 v[141:142], v[141:142], v[159:160]
	v_fma_f64 v[159:160], v[139:140], v[181:182], v[221:222]
	v_add_f64 v[143:144], v[143:144], v[157:158]
	s_clause 0x4
	buffer_load_dword v158, off, s[0:3], 0 offset:812
	buffer_load_dword v179, off, s[0:3], 0 offset:824
	;; [unrolled: 1-line block ×5, first 2 shown]
	s_waitcnt vmcnt(57) lgkmcnt(0)
	v_mul_f64 v[221:222], v[1:2], v[183:184]
	v_mul_f64 v[182:183], v[3:4], v[183:184]
	s_waitcnt vmcnt(56)
	v_fma_f64 v[167:168], v[5:6], v[169:170], -v[167:168]
	ds_read_b128 v[137:140], v189 offset:1600
	v_fma_f64 v[163:164], v[7:8], v[169:170], v[163:164]
	v_add_f64 v[141:142], v[141:142], v[175:176]
	v_add_f64 v[143:144], v[143:144], v[159:160]
	s_clause 0x2
	buffer_load_dword v180, off, s[0:3], 0 offset:828
	buffer_load_dword v160, off, s[0:3], 0 offset:804
	;; [unrolled: 1-line block ×3, first 2 shown]
	ds_read_b128 v[5:8], v189 offset:1616
	s_waitcnt vmcnt(58) lgkmcnt(1)
	v_mul_f64 v[175:176], v[139:140], v[185:186]
	s_waitcnt vmcnt(56)
	v_fma_f64 v[183:184], v[1:2], v[187:188], -v[182:183]
	v_mul_f64 v[169:170], v[137:138], v[185:186]
	v_add_f64 v[141:142], v[141:142], v[167:168]
	v_fma_f64 v[167:168], v[3:4], v[187:188], v[221:222]
	v_add_f64 v[143:144], v[143:144], v[163:164]
	s_clause 0x4
	buffer_load_dword v164, off, s[0:3], 0 offset:844
	buffer_load_dword v185, off, s[0:3], 0 offset:856
	;; [unrolled: 1-line block ×5, first 2 shown]
	s_waitcnt vmcnt(57) lgkmcnt(0)
	v_mul_f64 v[221:222], v[5:6], v[206:207]
	v_mul_f64 v[206:207], v[7:8], v[206:207]
	s_waitcnt vmcnt(56)
	v_fma_f64 v[175:176], v[137:138], v[177:178], -v[175:176]
	ds_read_b128 v[1:4], v189 offset:1632
	v_fma_f64 v[169:170], v[139:140], v[177:178], v[169:170]
	v_add_f64 v[141:142], v[141:142], v[183:184]
	v_add_f64 v[143:144], v[143:144], v[167:168]
	s_clause 0x2
	buffer_load_dword v186, off, s[0:3], 0 offset:860
	buffer_load_dword v168, off, s[0:3], 0 offset:836
	;; [unrolled: 1-line block ×3, first 2 shown]
	ds_read_b128 v[137:140], v189 offset:1648
	s_waitcnt vmcnt(58) lgkmcnt(1)
	v_mul_f64 v[183:184], v[3:4], v[208:209]
	s_waitcnt vmcnt(56)
	v_fma_f64 v[206:207], v[5:6], v[213:214], -v[206:207]
	v_mul_f64 v[177:178], v[1:2], v[208:209]
	v_add_f64 v[141:142], v[141:142], v[175:176]
	v_fma_f64 v[175:176], v[7:8], v[213:214], v[221:222]
	v_add_f64 v[143:144], v[143:144], v[169:170]
	s_clause 0x4
	buffer_load_dword v170, off, s[0:3], 0 offset:876
	buffer_load_dword v208, off, s[0:3], 0 offset:888
	;; [unrolled: 1-line block ×5, first 2 shown]
	ds_read_b128 v[5:8], v189 offset:1664
	s_waitcnt vmcnt(57) lgkmcnt(1)
	v_mul_f64 v[213:214], v[137:138], v[200:201]
	v_mul_f64 v[200:201], v[139:140], v[200:201]
	s_waitcnt vmcnt(56)
	v_fma_f64 v[183:184], v[1:2], v[210:211], -v[183:184]
	v_fma_f64 v[177:178], v[3:4], v[210:211], v[177:178]
	v_add_f64 v[141:142], v[141:142], v[206:207]
	v_add_f64 v[143:144], v[143:144], v[175:176]
	s_clause 0x2
	buffer_load_dword v209, off, s[0:3], 0 offset:892
	buffer_load_dword v176, off, s[0:3], 0 offset:868
	;; [unrolled: 1-line block ×3, first 2 shown]
	ds_read_b128 v[1:4], v189 offset:1680
	s_waitcnt vmcnt(58) lgkmcnt(1)
	v_mul_f64 v[210:211], v[7:8], v[217:218]
	v_mul_f64 v[206:207], v[5:6], v[217:218]
	s_waitcnt vmcnt(56)
	v_fma_f64 v[200:201], v[137:138], v[194:195], -v[200:201]
	v_add_f64 v[141:142], v[141:142], v[183:184]
	v_fma_f64 v[183:184], v[139:140], v[194:195], v[213:214]
	v_add_f64 v[143:144], v[143:144], v[177:178]
	s_clause 0x4
	buffer_load_dword v178, off, s[0:3], 0 offset:908
	buffer_load_dword v194, off, s[0:3], 0 offset:920
	buffer_load_dword v217, off, s[0:3], 0 offset:912
	buffer_load_dword v177, off, s[0:3], 0 offset:904
	buffer_load_dword v213, off, s[0:3], 0 offset:884
	ds_read_b128 v[137:140], v189 offset:1696
	s_waitcnt vmcnt(57) lgkmcnt(1)
	v_mul_f64 v[221:222], v[1:2], v[153:154]
	v_mul_f64 v[153:154], v[3:4], v[153:154]
	s_waitcnt vmcnt(56)
	v_fma_f64 v[210:211], v[5:6], v[219:220], -v[210:211]
	v_add_f64 v[141:142], v[141:142], v[200:201]
	v_fma_f64 v[200:201], v[7:8], v[219:220], v[206:207]
	v_add_f64 v[143:144], v[143:144], v[183:184]
	s_clause 0x2
	buffer_load_dword v195, off, s[0:3], 0 offset:924
	buffer_load_dword v184, off, s[0:3], 0 offset:900
	buffer_load_dword v183, off, s[0:3], 0 offset:896
	ds_read_b128 v[5:8], v189 offset:1712
	s_waitcnt vmcnt(58) lgkmcnt(1)
	v_mul_f64 v[206:207], v[137:138], v[202:203]
	v_mul_f64 v[202:203], v[139:140], v[202:203]
	s_waitcnt vmcnt(56)
	v_fma_f64 v[153:154], v[1:2], v[147:148], -v[153:154]
	v_fma_f64 v[147:148], v[3:4], v[147:148], v[221:222]
	v_add_f64 v[141:142], v[141:142], v[210:211]
	v_add_f64 v[143:144], v[143:144], v[200:201]
	s_clause 0x4
	buffer_load_dword v201, off, s[0:3], 0 offset:940
	buffer_load_dword v210, off, s[0:3], 0 offset:952
	buffer_load_dword v214, off, s[0:3], 0 offset:944
	buffer_load_dword v200, off, s[0:3], 0 offset:936
	buffer_load_dword v218, off, s[0:3], 0 offset:916
	ds_read_b128 v[1:4], v189 offset:1728
	s_waitcnt vmcnt(57) lgkmcnt(1)
	v_mul_f64 v[219:220], v[5:6], v[190:191]
	v_mul_f64 v[190:191], v[7:8], v[190:191]
	s_waitcnt vmcnt(56)
	v_fma_f64 v[202:203], v[137:138], v[215:216], -v[202:203]
	v_add_f64 v[141:142], v[141:142], v[153:154]
	v_fma_f64 v[153:154], v[139:140], v[215:216], v[206:207]
	v_add_f64 v[143:144], v[143:144], v[147:148]
	s_clause 0x2
	buffer_load_dword v211, off, s[0:3], 0 offset:956
	buffer_load_dword v148, off, s[0:3], 0 offset:932
	buffer_load_dword v147, off, s[0:3], 0 offset:928
	ds_read_b128 v[137:140], v189 offset:1744
	s_waitcnt vmcnt(58) lgkmcnt(1)
	v_mul_f64 v[206:207], v[1:2], v[192:193]
	v_mul_f64 v[192:193], v[3:4], v[192:193]
	s_waitcnt vmcnt(56)
	v_fma_f64 v[190:191], v[5:6], v[149:150], -v[190:191]
	v_fma_f64 v[149:150], v[7:8], v[149:150], v[219:220]
	v_add_f64 v[141:142], v[141:142], v[202:203]
	;; [unrolled: 28-line block ×3, first 2 shown]
	v_add_f64 v[143:144], v[143:144], v[190:191]
	s_clause 0x4
	buffer_load_dword v191, off, s[0:3], 0 offset:1004
	buffer_load_dword v192, off, s[0:3], 0 offset:1016
	;; [unrolled: 1-line block ×5, first 2 shown]
	ds_read_b128 v[137:140], v189 offset:1792
	s_waitcnt vmcnt(57) lgkmcnt(1)
	v_mul_f64 v[221:222], v[1:2], v[151:152]
	v_mul_f64 v[151:152], v[3:4], v[151:152]
	s_waitcnt vmcnt(56)
	v_fma_f64 v[165:166], v[5:6], v[198:199], -v[165:166]
	v_add_f64 v[141:142], v[141:142], v[145:146]
	v_fma_f64 v[145:146], v[7:8], v[198:199], v[204:205]
	v_add_f64 v[143:144], v[143:144], v[155:156]
	s_clause 0x2
	buffer_load_dword v193, off, s[0:3], 0 offset:1020
	buffer_load_dword v156, off, s[0:3], 0 offset:996
	buffer_load_dword v155, off, s[0:3], 0 offset:992
	s_waitcnt vmcnt(58) lgkmcnt(0)
	v_mul_f64 v[198:199], v[137:138], v[171:172]
	v_mul_f64 v[171:172], v[139:140], v[171:172]
	ds_read_b128 v[5:8], v189 offset:1808
	s_waitcnt vmcnt(56)
	v_fma_f64 v[151:152], v[1:2], v[161:162], -v[151:152]
	v_fma_f64 v[161:162], v[3:4], v[161:162], v[221:222]
	v_add_f64 v[141:142], v[141:142], v[165:166]
	v_add_f64 v[143:144], v[143:144], v[145:146]
	s_clause 0x2
	buffer_load_dword v146, off, s[0:3], 0 offset:1036
	buffer_load_dword v145, off, s[0:3], 0 offset:1032
	;; [unrolled: 1-line block ×3, first 2 shown]
	ds_read_b128 v[1:4], v189 offset:1824
	s_waitcnt vmcnt(55) lgkmcnt(1)
	v_mul_f64 v[165:166], v[5:6], v[157:158]
	v_mul_f64 v[157:158], v[7:8], v[157:158]
	s_waitcnt vmcnt(54)
	v_fma_f64 v[171:172], v[137:138], v[173:174], -v[171:172]
	v_add_f64 v[141:142], v[141:142], v[151:152]
	v_fma_f64 v[151:152], v[139:140], v[173:174], v[198:199]
	v_add_f64 v[143:144], v[143:144], v[161:162]
	s_clause 0x1
	buffer_load_dword v162, off, s[0:3], 0 offset:1028
	buffer_load_dword v161, off, s[0:3], 0 offset:1024
	ds_read_b128 v[137:140], v189 offset:1840
	s_waitcnt vmcnt(55) lgkmcnt(1)
	v_mul_f64 v[173:174], v[1:2], v[179:180]
	v_mul_f64 v[179:180], v[3:4], v[179:180]
	s_waitcnt vmcnt(53)
	v_fma_f64 v[157:158], v[5:6], v[159:160], -v[157:158]
	v_fma_f64 v[159:160], v[7:8], v[159:160], v[165:166]
	ds_read_b128 v[5:8], v189 offset:1856
	v_add_f64 v[141:142], v[141:142], v[171:172]
	v_add_f64 v[143:144], v[143:144], v[151:152]
	s_waitcnt vmcnt(49) lgkmcnt(1)
	v_mul_f64 v[151:152], v[137:138], v[163:164]
	v_mul_f64 v[163:164], v[139:140], v[163:164]
	s_waitcnt vmcnt(48)
	v_fma_f64 v[165:166], v[1:2], v[181:182], -v[179:180]
	v_add_f64 v[141:142], v[141:142], v[157:158]
	v_fma_f64 v[157:158], v[3:4], v[181:182], v[173:174]
	v_add_f64 v[143:144], v[143:144], v[159:160]
	s_clause 0x3
	buffer_load_dword v159, off, s[0:3], 0 offset:352
	buffer_load_dword v160, off, s[0:3], 0 offset:356
	buffer_load_dword v171, off, s[0:3], 0 offset:360
	buffer_load_dword v172, off, s[0:3], 0 offset:364
	ds_read_b128 v[1:4], v189 offset:1872
	s_waitcnt vmcnt(51) lgkmcnt(1)
	v_mul_f64 v[179:180], v[7:8], v[185:186]
	v_mul_f64 v[173:174], v[5:6], v[185:186]
	s_waitcnt vmcnt(49)
	v_fma_f64 v[163:164], v[137:138], v[167:168], -v[163:164]
	v_fma_f64 v[151:152], v[139:140], v[167:168], v[151:152]
	ds_read_b128 v[137:140], v189 offset:1888
	v_add_f64 v[141:142], v[141:142], v[165:166]
	v_add_f64 v[143:144], v[143:144], v[157:158]
	s_waitcnt vmcnt(45) lgkmcnt(1)
	v_mul_f64 v[165:166], v[3:4], v[169:170]
	s_waitcnt vmcnt(44)
	v_fma_f64 v[167:168], v[5:6], v[187:188], -v[179:180]
	v_mul_f64 v[157:158], v[1:2], v[169:170]
	v_add_f64 v[141:142], v[141:142], v[163:164]
	v_fma_f64 v[163:164], v[7:8], v[187:188], v[173:174]
	v_add_f64 v[143:144], v[143:144], v[151:152]
	ds_read_b128 v[5:8], v189 offset:1904
	s_waitcnt vmcnt(43) lgkmcnt(1)
	v_mul_f64 v[169:170], v[139:140], v[208:209]
	v_mul_f64 v[151:152], v[137:138], v[208:209]
	s_waitcnt vmcnt(41)
	v_fma_f64 v[165:166], v[1:2], v[175:176], -v[165:166]
	v_fma_f64 v[157:158], v[3:4], v[175:176], v[157:158]
	ds_read_b128 v[1:4], v189 offset:1920
	v_add_f64 v[141:142], v[141:142], v[167:168]
	v_add_f64 v[143:144], v[143:144], v[163:164]
	s_waitcnt vmcnt(37) lgkmcnt(1)
	v_mul_f64 v[167:168], v[7:8], v[177:178]
	s_waitcnt vmcnt(36)
	v_fma_f64 v[169:170], v[137:138], v[212:213], -v[169:170]
	v_mul_f64 v[163:164], v[5:6], v[177:178]
	v_fma_f64 v[151:152], v[139:140], v[212:213], v[151:152]
	ds_read_b128 v[137:140], v189 offset:1936
	v_add_f64 v[141:142], v[141:142], v[165:166]
	v_add_f64 v[143:144], v[143:144], v[157:158]
	s_waitcnt vmcnt(35) lgkmcnt(1)
	v_mul_f64 v[165:166], v[3:4], v[194:195]
	v_mul_f64 v[157:158], v[1:2], v[194:195]
	s_waitcnt vmcnt(33)
	v_fma_f64 v[167:168], v[5:6], v[183:184], -v[167:168]
	v_fma_f64 v[163:164], v[7:8], v[183:184], v[163:164]
	ds_read_b128 v[5:8], v189 offset:1952
	v_add_f64 v[141:142], v[141:142], v[169:170]
	v_add_f64 v[143:144], v[143:144], v[151:152]
	s_waitcnt vmcnt(29) lgkmcnt(1)
	v_mul_f64 v[169:170], v[139:140], v[200:201]
	s_waitcnt vmcnt(28)
	v_fma_f64 v[165:166], v[1:2], v[217:218], -v[165:166]
	v_mul_f64 v[151:152], v[137:138], v[200:201]
	v_fma_f64 v[157:158], v[3:4], v[217:218], v[157:158]
	ds_read_b128 v[1:4], v189 offset:1968
	v_add_f64 v[141:142], v[141:142], v[167:168]
	v_add_f64 v[143:144], v[143:144], v[163:164]
	s_waitcnt vmcnt(27) lgkmcnt(1)
	v_mul_f64 v[167:168], v[7:8], v[210:211]
	v_mul_f64 v[163:164], v[5:6], v[210:211]
	s_waitcnt vmcnt(25)
	v_fma_f64 v[169:170], v[137:138], v[147:148], -v[169:170]
	v_fma_f64 v[147:148], v[139:140], v[147:148], v[151:152]
	ds_read_b128 v[137:140], v189 offset:1984
	v_add_f64 v[141:142], v[141:142], v[165:166]
	v_add_f64 v[143:144], v[143:144], v[157:158]
	s_waitcnt vmcnt(21) lgkmcnt(1)
	v_mul_f64 v[151:152], v[1:2], v[153:154]
	v_mul_f64 v[153:154], v[3:4], v[153:154]
	s_waitcnt vmcnt(20)
	v_fma_f64 v[157:158], v[5:6], v[214:215], -v[167:168]
	;; [unrolled: 9-line block ×3, first 2 shown]
	v_fma_f64 v[149:150], v[3:4], v[149:150], v[151:152]
	ds_read_b128 v[1:4], v189 offset:2016
	v_add_f64 v[141:142], v[141:142], v[157:158]
	v_add_f64 v[143:144], v[143:144], v[163:164]
	s_waitcnt vmcnt(13) lgkmcnt(1)
	v_mul_f64 v[157:158], v[7:8], v[190:191]
	s_waitcnt vmcnt(12)
	v_fma_f64 v[163:164], v[137:138], v[219:220], -v[165:166]
	v_mul_f64 v[151:152], v[5:6], v[190:191]
	v_fma_f64 v[147:148], v[139:140], v[219:220], v[147:148]
	ds_read_b128 v[137:140], v189 offset:2032
	v_add_f64 v[141:142], v[141:142], v[153:154]
	v_add_f64 v[143:144], v[143:144], v[149:150]
	s_waitcnt vmcnt(11) lgkmcnt(1)
	v_mul_f64 v[153:154], v[3:4], v[192:193]
	v_mul_f64 v[149:150], v[1:2], v[192:193]
	s_waitcnt vmcnt(9)
	v_fma_f64 v[5:6], v[5:6], v[155:156], -v[157:158]
	v_fma_f64 v[7:8], v[7:8], v[155:156], v[151:152]
	v_add_f64 v[141:142], v[141:142], v[163:164]
	v_add_f64 v[143:144], v[143:144], v[147:148]
	s_waitcnt vmcnt(7) lgkmcnt(0)
	v_mul_f64 v[147:148], v[137:138], v[145:146]
	v_mul_f64 v[145:146], v[139:140], v[145:146]
	s_waitcnt vmcnt(6)
	v_fma_f64 v[1:2], v[1:2], v[206:207], -v[153:154]
	v_fma_f64 v[3:4], v[3:4], v[206:207], v[149:150]
	v_add_f64 v[5:6], v[141:142], v[5:6]
	v_add_f64 v[7:8], v[143:144], v[7:8]
	s_waitcnt vmcnt(4)
	v_fma_f64 v[137:138], v[137:138], v[161:162], -v[145:146]
	v_add_f64 v[1:2], v[5:6], v[1:2]
	v_fma_f64 v[5:6], v[139:140], v[161:162], v[147:148]
	v_add_f64 v[3:4], v[7:8], v[3:4]
	v_add_f64 v[1:2], v[1:2], v[137:138]
	;; [unrolled: 1-line block ×3, first 2 shown]
	s_waitcnt vmcnt(2)
	v_add_f64 v[1:2], v[159:160], -v[1:2]
	s_waitcnt vmcnt(0)
	v_add_f64 v[3:4], v[171:172], -v[3:4]
	buffer_store_dword v2, off, s[0:3], 0 offset:356
	buffer_store_dword v1, off, s[0:3], 0 offset:352
	buffer_store_dword v4, off, s[0:3], 0 offset:364
	buffer_store_dword v3, off, s[0:3], 0 offset:360
	v_cmpx_lt_u32_e32 20, v0
	s_cbranch_execz .LBB127_369
; %bb.368:
	v_mov_b32_e32 v4, s58
	v_mov_b32_e32 v5, 0
	s_clause 0x3
	buffer_load_dword v1, v4, s[0:3], 0 offen
	buffer_load_dword v2, v4, s[0:3], 0 offen offset:4
	buffer_load_dword v3, v4, s[0:3], 0 offen offset:8
	;; [unrolled: 1-line block ×3, first 2 shown]
	buffer_store_dword v5, off, s[0:3], 0 offset:336
	buffer_store_dword v5, off, s[0:3], 0 offset:340
	;; [unrolled: 1-line block ×4, first 2 shown]
	s_waitcnt vmcnt(0)
	ds_write_b128 v197, v[1:4]
.LBB127_369:
	s_or_b32 exec_lo, exec_lo, s4
	s_waitcnt lgkmcnt(0)
	s_waitcnt_vscnt null, 0x0
	s_barrier
	buffer_gl0_inv
	s_clause 0x37
	buffer_load_dword v137, off, s[0:3], 0 offset:360
	buffer_load_dword v138, off, s[0:3], 0 offset:364
	;; [unrolled: 1-line block ×56, first 2 shown]
	v_mov_b32_e32 v189, 0
	s_mov_b32 s4, exec_lo
	ds_read_b128 v[190:193], v189 offset:1360
	s_clause 0x2
	buffer_load_dword v186, off, s[0:3], 0 offset:588
	buffer_load_dword v188, off, s[0:3], 0 offset:564
	;; [unrolled: 1-line block ×3, first 2 shown]
	ds_read_b128 v[198:201], v189 offset:1376
	s_clause 0x4
	buffer_load_dword v207, off, s[0:3], 0 offset:604
	buffer_load_dword v208, off, s[0:3], 0 offset:616
	;; [unrolled: 1-line block ×5, first 2 shown]
	ds_read_b128 v[202:205], v189 offset:1392
	s_clause 0x2
	buffer_load_dword v209, off, s[0:3], 0 offset:620
	buffer_load_dword v214, off, s[0:3], 0 offset:596
	;; [unrolled: 1-line block ×3, first 2 shown]
	s_waitcnt vmcnt(62) lgkmcnt(2)
	v_mul_f64 v[194:195], v[192:193], v[137:138]
	v_mul_f64 v[137:138], v[190:191], v[137:138]
	s_waitcnt lgkmcnt(1)
	v_mul_f64 v[211:212], v[200:201], v[5:6]
	s_waitcnt vmcnt(59) lgkmcnt(0)
	v_mul_f64 v[215:216], v[204:205], v[3:4]
	v_fma_f64 v[190:191], v[190:191], v[7:8], -v[194:195]
	v_mul_f64 v[194:195], v[198:199], v[5:6]
	v_fma_f64 v[137:138], v[192:193], v[7:8], v[137:138]
	s_waitcnt vmcnt(57)
	v_fma_f64 v[198:199], v[198:199], v[1:2], -v[211:212]
	ds_read_b128 v[5:8], v189 offset:1408
	v_mul_f64 v[192:193], v[202:203], v[3:4]
	s_waitcnt vmcnt(51)
	v_fma_f64 v[202:203], v[202:203], v[153:154], -v[215:216]
	v_add_f64 v[190:191], v[190:191], 0
	v_fma_f64 v[194:195], v[200:201], v[1:2], v[194:195]
	v_add_f64 v[137:138], v[137:138], 0
	s_clause 0x4
	buffer_load_dword v201, off, s[0:3], 0 offset:636
	buffer_load_dword v217, off, s[0:3], 0 offset:648
	;; [unrolled: 1-line block ×5, first 2 shown]
	s_waitcnt lgkmcnt(0)
	v_mul_f64 v[220:221], v[5:6], v[141:142]
	v_mul_f64 v[141:142], v[7:8], v[141:142]
	ds_read_b128 v[1:4], v189 offset:1424
	v_fma_f64 v[153:154], v[204:205], v[153:154], v[192:193]
	v_add_f64 v[198:199], v[190:191], v[198:199]
	v_add_f64 v[137:138], v[137:138], v[194:195]
	s_clause 0x2
	buffer_load_dword v218, off, s[0:3], 0 offset:652
	buffer_load_dword v195, off, s[0:3], 0 offset:628
	;; [unrolled: 1-line block ×3, first 2 shown]
	s_waitcnt vmcnt(58) lgkmcnt(0)
	v_mul_f64 v[204:205], v[1:2], v[145:146]
	v_mul_f64 v[145:146], v[3:4], v[145:146]
	s_waitcnt vmcnt(56)
	v_fma_f64 v[141:142], v[5:6], v[147:148], -v[141:142]
	ds_read_b128 v[190:193], v189 offset:1440
	v_fma_f64 v[147:148], v[7:8], v[147:148], v[220:221]
	v_add_f64 v[198:199], v[198:199], v[202:203]
	v_add_f64 v[137:138], v[137:138], v[153:154]
	s_clause 0x4
	buffer_load_dword v154, off, s[0:3], 0 offset:668
	buffer_load_dword v202, off, s[0:3], 0 offset:680
	;; [unrolled: 1-line block ×5, first 2 shown]
	ds_read_b128 v[5:8], v189 offset:1456
	s_waitcnt vmcnt(57) lgkmcnt(1)
	v_mul_f64 v[221:222], v[190:191], v[149:150]
	v_mul_f64 v[149:150], v[192:193], v[149:150]
	s_waitcnt vmcnt(56)
	v_fma_f64 v[145:146], v[1:2], v[139:140], -v[145:146]
	v_fma_f64 v[139:140], v[3:4], v[139:140], v[204:205]
	v_add_f64 v[141:142], v[198:199], v[141:142]
	v_add_f64 v[137:138], v[137:138], v[147:148]
	s_clause 0x2
	buffer_load_dword v203, off, s[0:3], 0 offset:684
	buffer_load_dword v148, off, s[0:3], 0 offset:660
	;; [unrolled: 1-line block ×3, first 2 shown]
	s_waitcnt vmcnt(58) lgkmcnt(0)
	v_mul_f64 v[198:199], v[5:6], v[155:156]
	v_mul_f64 v[155:156], v[7:8], v[155:156]
	s_waitcnt vmcnt(56)
	v_fma_f64 v[149:150], v[190:191], v[157:158], -v[149:150]
	ds_read_b128 v[1:4], v189 offset:1472
	v_add_f64 v[141:142], v[141:142], v[145:146]
	v_fma_f64 v[145:146], v[192:193], v[157:158], v[221:222]
	v_add_f64 v[157:158], v[137:138], v[139:140]
	s_clause 0x4
	buffer_load_dword v191, off, s[0:3], 0 offset:700
	buffer_load_dword v192, off, s[0:3], 0 offset:712
	;; [unrolled: 1-line block ×5, first 2 shown]
	ds_read_b128 v[137:140], v189 offset:1488
	s_waitcnt vmcnt(57) lgkmcnt(1)
	v_mul_f64 v[221:222], v[1:2], v[159:160]
	v_mul_f64 v[159:160], v[3:4], v[159:160]
	s_waitcnt vmcnt(56)
	v_fma_f64 v[155:156], v[5:6], v[143:144], -v[155:156]
	v_fma_f64 v[143:144], v[7:8], v[143:144], v[198:199]
	v_add_f64 v[141:142], v[141:142], v[149:150]
	s_clause 0x2
	buffer_load_dword v193, off, s[0:3], 0 offset:716
	buffer_load_dword v150, off, s[0:3], 0 offset:692
	;; [unrolled: 1-line block ×3, first 2 shown]
	v_add_f64 v[145:146], v[157:158], v[145:146]
	s_waitcnt vmcnt(58) lgkmcnt(0)
	v_mul_f64 v[157:158], v[137:138], v[163:164]
	v_mul_f64 v[163:164], v[139:140], v[163:164]
	ds_read_b128 v[5:8], v189 offset:1504
	s_waitcnt vmcnt(56)
	v_fma_f64 v[159:160], v[1:2], v[165:166], -v[159:160]
	v_add_f64 v[141:142], v[141:142], v[155:156]
	v_fma_f64 v[155:156], v[3:4], v[165:166], v[221:222]
	v_add_f64 v[143:144], v[145:146], v[143:144]
	s_clause 0x4
	buffer_load_dword v146, off, s[0:3], 0 offset:732
	buffer_load_dword v165, off, s[0:3], 0 offset:744
	;; [unrolled: 1-line block ×5, first 2 shown]
	s_waitcnt vmcnt(57) lgkmcnt(0)
	v_mul_f64 v[221:222], v[5:6], v[167:168]
	v_mul_f64 v[167:168], v[7:8], v[167:168]
	s_waitcnt vmcnt(56)
	v_fma_f64 v[163:164], v[137:138], v[151:152], -v[163:164]
	ds_read_b128 v[1:4], v189 offset:1520
	v_fma_f64 v[151:152], v[139:140], v[151:152], v[157:158]
	v_add_f64 v[141:142], v[141:142], v[159:160]
	v_add_f64 v[143:144], v[143:144], v[155:156]
	s_clause 0x2
	buffer_load_dword v166, off, s[0:3], 0 offset:748
	buffer_load_dword v156, off, s[0:3], 0 offset:724
	;; [unrolled: 1-line block ×3, first 2 shown]
	ds_read_b128 v[137:140], v189 offset:1536
	s_waitcnt vmcnt(58) lgkmcnt(1)
	v_mul_f64 v[159:160], v[3:4], v[171:172]
	s_waitcnt vmcnt(56)
	v_fma_f64 v[167:168], v[5:6], v[173:174], -v[167:168]
	v_mul_f64 v[157:158], v[1:2], v[171:172]
	v_add_f64 v[141:142], v[141:142], v[163:164]
	v_fma_f64 v[163:164], v[7:8], v[173:174], v[221:222]
	v_add_f64 v[143:144], v[143:144], v[151:152]
	s_clause 0x4
	buffer_load_dword v152, off, s[0:3], 0 offset:764
	buffer_load_dword v171, off, s[0:3], 0 offset:776
	buffer_load_dword v173, off, s[0:3], 0 offset:768
	buffer_load_dword v151, off, s[0:3], 0 offset:760
	buffer_load_dword v199, off, s[0:3], 0 offset:740
	s_waitcnt vmcnt(57) lgkmcnt(0)
	v_mul_f64 v[221:222], v[137:138], v[175:176]
	v_mul_f64 v[174:175], v[139:140], v[175:176]
	s_waitcnt vmcnt(56)
	v_fma_f64 v[159:160], v[1:2], v[161:162], -v[159:160]
	ds_read_b128 v[5:8], v189 offset:1552
	v_fma_f64 v[157:158], v[3:4], v[161:162], v[157:158]
	s_clause 0x2
	buffer_load_dword v172, off, s[0:3], 0 offset:780
	buffer_load_dword v162, off, s[0:3], 0 offset:756
	;; [unrolled: 1-line block ×3, first 2 shown]
	ds_read_b128 v[1:4], v189 offset:1568
	v_add_f64 v[141:142], v[141:142], v[167:168]
	v_add_f64 v[143:144], v[143:144], v[163:164]
	s_waitcnt vmcnt(58) lgkmcnt(1)
	v_mul_f64 v[167:168], v[7:8], v[179:180]
	s_waitcnt vmcnt(56)
	v_fma_f64 v[175:176], v[137:138], v[181:182], -v[174:175]
	v_mul_f64 v[163:164], v[5:6], v[179:180]
	v_add_f64 v[141:142], v[141:142], v[159:160]
	v_fma_f64 v[159:160], v[139:140], v[181:182], v[221:222]
	v_add_f64 v[143:144], v[143:144], v[157:158]
	s_clause 0x4
	buffer_load_dword v158, off, s[0:3], 0 offset:796
	buffer_load_dword v179, off, s[0:3], 0 offset:808
	;; [unrolled: 1-line block ×5, first 2 shown]
	s_waitcnt vmcnt(57) lgkmcnt(0)
	v_mul_f64 v[221:222], v[1:2], v[183:184]
	v_mul_f64 v[182:183], v[3:4], v[183:184]
	s_waitcnt vmcnt(56)
	v_fma_f64 v[167:168], v[5:6], v[169:170], -v[167:168]
	ds_read_b128 v[137:140], v189 offset:1584
	v_fma_f64 v[163:164], v[7:8], v[169:170], v[163:164]
	v_add_f64 v[141:142], v[141:142], v[175:176]
	v_add_f64 v[143:144], v[143:144], v[159:160]
	s_clause 0x2
	buffer_load_dword v180, off, s[0:3], 0 offset:812
	buffer_load_dword v160, off, s[0:3], 0 offset:788
	;; [unrolled: 1-line block ×3, first 2 shown]
	ds_read_b128 v[5:8], v189 offset:1600
	s_waitcnt vmcnt(58) lgkmcnt(1)
	v_mul_f64 v[175:176], v[139:140], v[185:186]
	s_waitcnt vmcnt(56)
	v_fma_f64 v[183:184], v[1:2], v[187:188], -v[182:183]
	v_mul_f64 v[169:170], v[137:138], v[185:186]
	v_add_f64 v[141:142], v[141:142], v[167:168]
	v_fma_f64 v[167:168], v[3:4], v[187:188], v[221:222]
	v_add_f64 v[143:144], v[143:144], v[163:164]
	s_clause 0x4
	buffer_load_dword v164, off, s[0:3], 0 offset:828
	buffer_load_dword v185, off, s[0:3], 0 offset:840
	;; [unrolled: 1-line block ×5, first 2 shown]
	s_waitcnt vmcnt(57) lgkmcnt(0)
	v_mul_f64 v[221:222], v[5:6], v[206:207]
	v_mul_f64 v[206:207], v[7:8], v[206:207]
	s_waitcnt vmcnt(56)
	v_fma_f64 v[175:176], v[137:138], v[177:178], -v[175:176]
	ds_read_b128 v[1:4], v189 offset:1616
	v_fma_f64 v[169:170], v[139:140], v[177:178], v[169:170]
	v_add_f64 v[141:142], v[141:142], v[183:184]
	v_add_f64 v[143:144], v[143:144], v[167:168]
	s_clause 0x2
	buffer_load_dword v186, off, s[0:3], 0 offset:844
	buffer_load_dword v168, off, s[0:3], 0 offset:820
	;; [unrolled: 1-line block ×3, first 2 shown]
	ds_read_b128 v[137:140], v189 offset:1632
	s_waitcnt vmcnt(58) lgkmcnt(1)
	v_mul_f64 v[183:184], v[3:4], v[208:209]
	s_waitcnt vmcnt(56)
	v_fma_f64 v[206:207], v[5:6], v[213:214], -v[206:207]
	v_mul_f64 v[177:178], v[1:2], v[208:209]
	v_add_f64 v[141:142], v[141:142], v[175:176]
	v_fma_f64 v[175:176], v[7:8], v[213:214], v[221:222]
	v_add_f64 v[143:144], v[143:144], v[169:170]
	s_clause 0x4
	buffer_load_dword v170, off, s[0:3], 0 offset:860
	buffer_load_dword v208, off, s[0:3], 0 offset:872
	;; [unrolled: 1-line block ×5, first 2 shown]
	ds_read_b128 v[5:8], v189 offset:1648
	s_waitcnt vmcnt(57) lgkmcnt(1)
	v_mul_f64 v[213:214], v[137:138], v[200:201]
	v_mul_f64 v[200:201], v[139:140], v[200:201]
	s_waitcnt vmcnt(56)
	v_fma_f64 v[183:184], v[1:2], v[210:211], -v[183:184]
	v_fma_f64 v[177:178], v[3:4], v[210:211], v[177:178]
	v_add_f64 v[141:142], v[141:142], v[206:207]
	v_add_f64 v[143:144], v[143:144], v[175:176]
	s_clause 0x2
	buffer_load_dword v209, off, s[0:3], 0 offset:876
	buffer_load_dword v176, off, s[0:3], 0 offset:852
	;; [unrolled: 1-line block ×3, first 2 shown]
	ds_read_b128 v[1:4], v189 offset:1664
	s_waitcnt vmcnt(58) lgkmcnt(1)
	v_mul_f64 v[210:211], v[7:8], v[217:218]
	v_mul_f64 v[206:207], v[5:6], v[217:218]
	s_waitcnt vmcnt(56)
	v_fma_f64 v[200:201], v[137:138], v[194:195], -v[200:201]
	v_add_f64 v[141:142], v[141:142], v[183:184]
	v_fma_f64 v[183:184], v[139:140], v[194:195], v[213:214]
	v_add_f64 v[143:144], v[143:144], v[177:178]
	s_clause 0x4
	buffer_load_dword v178, off, s[0:3], 0 offset:892
	buffer_load_dword v194, off, s[0:3], 0 offset:904
	buffer_load_dword v217, off, s[0:3], 0 offset:896
	buffer_load_dword v177, off, s[0:3], 0 offset:888
	buffer_load_dword v213, off, s[0:3], 0 offset:868
	ds_read_b128 v[137:140], v189 offset:1680
	s_waitcnt vmcnt(57) lgkmcnt(1)
	v_mul_f64 v[221:222], v[1:2], v[153:154]
	v_mul_f64 v[153:154], v[3:4], v[153:154]
	s_waitcnt vmcnt(56)
	v_fma_f64 v[210:211], v[5:6], v[219:220], -v[210:211]
	v_add_f64 v[141:142], v[141:142], v[200:201]
	v_fma_f64 v[200:201], v[7:8], v[219:220], v[206:207]
	v_add_f64 v[143:144], v[143:144], v[183:184]
	s_clause 0x2
	buffer_load_dword v195, off, s[0:3], 0 offset:908
	buffer_load_dword v184, off, s[0:3], 0 offset:884
	buffer_load_dword v183, off, s[0:3], 0 offset:880
	ds_read_b128 v[5:8], v189 offset:1696
	s_waitcnt vmcnt(58) lgkmcnt(1)
	v_mul_f64 v[206:207], v[137:138], v[202:203]
	v_mul_f64 v[202:203], v[139:140], v[202:203]
	s_waitcnt vmcnt(56)
	v_fma_f64 v[153:154], v[1:2], v[147:148], -v[153:154]
	v_fma_f64 v[147:148], v[3:4], v[147:148], v[221:222]
	v_add_f64 v[141:142], v[141:142], v[210:211]
	v_add_f64 v[143:144], v[143:144], v[200:201]
	s_clause 0x4
	buffer_load_dword v201, off, s[0:3], 0 offset:924
	buffer_load_dword v210, off, s[0:3], 0 offset:936
	buffer_load_dword v214, off, s[0:3], 0 offset:928
	buffer_load_dword v200, off, s[0:3], 0 offset:920
	buffer_load_dword v218, off, s[0:3], 0 offset:900
	ds_read_b128 v[1:4], v189 offset:1712
	s_waitcnt vmcnt(57) lgkmcnt(1)
	v_mul_f64 v[219:220], v[5:6], v[190:191]
	v_mul_f64 v[190:191], v[7:8], v[190:191]
	s_waitcnt vmcnt(56)
	v_fma_f64 v[202:203], v[137:138], v[215:216], -v[202:203]
	v_add_f64 v[141:142], v[141:142], v[153:154]
	v_fma_f64 v[153:154], v[139:140], v[215:216], v[206:207]
	v_add_f64 v[143:144], v[143:144], v[147:148]
	s_clause 0x2
	buffer_load_dword v211, off, s[0:3], 0 offset:940
	buffer_load_dword v148, off, s[0:3], 0 offset:916
	buffer_load_dword v147, off, s[0:3], 0 offset:912
	ds_read_b128 v[137:140], v189 offset:1728
	s_waitcnt vmcnt(58) lgkmcnt(1)
	v_mul_f64 v[206:207], v[1:2], v[192:193]
	v_mul_f64 v[192:193], v[3:4], v[192:193]
	s_waitcnt vmcnt(56)
	v_fma_f64 v[190:191], v[5:6], v[149:150], -v[190:191]
	v_fma_f64 v[149:150], v[7:8], v[149:150], v[219:220]
	v_add_f64 v[141:142], v[141:142], v[202:203]
	;; [unrolled: 28-line block ×3, first 2 shown]
	v_add_f64 v[143:144], v[143:144], v[190:191]
	s_clause 0x4
	buffer_load_dword v191, off, s[0:3], 0 offset:988
	buffer_load_dword v192, off, s[0:3], 0 offset:1000
	;; [unrolled: 1-line block ×5, first 2 shown]
	ds_read_b128 v[137:140], v189 offset:1776
	s_waitcnt vmcnt(57) lgkmcnt(1)
	v_mul_f64 v[221:222], v[1:2], v[151:152]
	v_mul_f64 v[151:152], v[3:4], v[151:152]
	s_waitcnt vmcnt(56)
	v_fma_f64 v[165:166], v[5:6], v[198:199], -v[165:166]
	v_add_f64 v[141:142], v[141:142], v[145:146]
	v_fma_f64 v[145:146], v[7:8], v[198:199], v[204:205]
	v_add_f64 v[143:144], v[143:144], v[155:156]
	s_clause 0x2
	buffer_load_dword v193, off, s[0:3], 0 offset:1004
	buffer_load_dword v156, off, s[0:3], 0 offset:980
	;; [unrolled: 1-line block ×3, first 2 shown]
	s_waitcnt vmcnt(58) lgkmcnt(0)
	v_mul_f64 v[198:199], v[137:138], v[171:172]
	v_mul_f64 v[171:172], v[139:140], v[171:172]
	ds_read_b128 v[5:8], v189 offset:1792
	s_waitcnt vmcnt(56)
	v_fma_f64 v[151:152], v[1:2], v[161:162], -v[151:152]
	v_fma_f64 v[161:162], v[3:4], v[161:162], v[221:222]
	v_add_f64 v[141:142], v[141:142], v[165:166]
	v_add_f64 v[143:144], v[143:144], v[145:146]
	s_clause 0x4
	buffer_load_dword v146, off, s[0:3], 0 offset:1020
	buffer_load_dword v165, off, s[0:3], 0 offset:1032
	;; [unrolled: 1-line block ×5, first 2 shown]
	ds_read_b128 v[1:4], v189 offset:1808
	s_waitcnt vmcnt(57) lgkmcnt(1)
	v_mul_f64 v[221:222], v[5:6], v[157:158]
	v_mul_f64 v[157:158], v[7:8], v[157:158]
	s_waitcnt vmcnt(56)
	v_fma_f64 v[171:172], v[137:138], v[173:174], -v[171:172]
	v_add_f64 v[141:142], v[141:142], v[151:152]
	v_fma_f64 v[151:152], v[139:140], v[173:174], v[198:199]
	v_add_f64 v[143:144], v[143:144], v[161:162]
	s_clause 0x2
	buffer_load_dword v166, off, s[0:3], 0 offset:1036
	buffer_load_dword v162, off, s[0:3], 0 offset:1012
	;; [unrolled: 1-line block ×3, first 2 shown]
	ds_read_b128 v[137:140], v189 offset:1824
	buffer_load_dword v205, off, s[0:3], 0 offset:1028
	s_waitcnt vmcnt(59) lgkmcnt(1)
	v_mul_f64 v[173:174], v[1:2], v[179:180]
	v_mul_f64 v[179:180], v[3:4], v[179:180]
	s_waitcnt vmcnt(57)
	v_fma_f64 v[157:158], v[5:6], v[159:160], -v[157:158]
	v_fma_f64 v[159:160], v[7:8], v[159:160], v[221:222]
	ds_read_b128 v[5:8], v189 offset:1840
	v_add_f64 v[141:142], v[141:142], v[171:172]
	v_add_f64 v[143:144], v[143:144], v[151:152]
	s_waitcnt vmcnt(53) lgkmcnt(1)
	v_mul_f64 v[151:152], v[137:138], v[163:164]
	v_mul_f64 v[163:164], v[139:140], v[163:164]
	s_waitcnt vmcnt(52)
	v_fma_f64 v[171:172], v[1:2], v[181:182], -v[179:180]
	v_add_f64 v[141:142], v[141:142], v[157:158]
	v_fma_f64 v[157:158], v[3:4], v[181:182], v[173:174]
	v_add_f64 v[143:144], v[143:144], v[159:160]
	ds_read_b128 v[1:4], v189 offset:1856
	s_waitcnt vmcnt(51) lgkmcnt(1)
	v_mul_f64 v[173:174], v[7:8], v[185:186]
	v_mul_f64 v[159:160], v[5:6], v[185:186]
	s_waitcnt vmcnt(49)
	v_fma_f64 v[163:164], v[137:138], v[167:168], -v[163:164]
	v_fma_f64 v[151:152], v[139:140], v[167:168], v[151:152]
	v_add_f64 v[141:142], v[141:142], v[171:172]
	v_add_f64 v[143:144], v[143:144], v[157:158]
	s_clause 0x3
	buffer_load_dword v157, off, s[0:3], 0 offset:336
	buffer_load_dword v158, off, s[0:3], 0 offset:340
	;; [unrolled: 1-line block ×4, first 2 shown]
	ds_read_b128 v[137:140], v189 offset:1872
	s_waitcnt vmcnt(49) lgkmcnt(1)
	v_mul_f64 v[171:172], v[1:2], v[169:170]
	v_mul_f64 v[169:170], v[3:4], v[169:170]
	s_waitcnt vmcnt(48)
	v_fma_f64 v[173:174], v[5:6], v[187:188], -v[173:174]
	v_fma_f64 v[159:160], v[7:8], v[187:188], v[159:160]
	ds_read_b128 v[5:8], v189 offset:1888
	v_add_f64 v[141:142], v[141:142], v[163:164]
	v_add_f64 v[143:144], v[143:144], v[151:152]
	s_waitcnt vmcnt(47) lgkmcnt(1)
	v_mul_f64 v[163:164], v[139:140], v[208:209]
	v_mul_f64 v[151:152], v[137:138], v[208:209]
	s_waitcnt vmcnt(45)
	v_fma_f64 v[169:170], v[1:2], v[175:176], -v[169:170]
	v_fma_f64 v[171:172], v[3:4], v[175:176], v[171:172]
	ds_read_b128 v[1:4], v189 offset:1904
	v_add_f64 v[141:142], v[141:142], v[173:174]
	v_add_f64 v[143:144], v[143:144], v[159:160]
	s_waitcnt vmcnt(41) lgkmcnt(1)
	v_mul_f64 v[173:174], v[7:8], v[177:178]
	s_waitcnt vmcnt(40)
	v_fma_f64 v[163:164], v[137:138], v[212:213], -v[163:164]
	v_mul_f64 v[159:160], v[5:6], v[177:178]
	v_fma_f64 v[151:152], v[139:140], v[212:213], v[151:152]
	ds_read_b128 v[137:140], v189 offset:1920
	v_add_f64 v[141:142], v[141:142], v[169:170]
	v_add_f64 v[143:144], v[143:144], v[171:172]
	s_waitcnt vmcnt(39) lgkmcnt(1)
	v_mul_f64 v[171:172], v[3:4], v[194:195]
	v_mul_f64 v[169:170], v[1:2], v[194:195]
	s_waitcnt vmcnt(37)
	v_fma_f64 v[173:174], v[5:6], v[183:184], -v[173:174]
	v_fma_f64 v[159:160], v[7:8], v[183:184], v[159:160]
	ds_read_b128 v[5:8], v189 offset:1936
	v_add_f64 v[141:142], v[141:142], v[163:164]
	v_add_f64 v[143:144], v[143:144], v[151:152]
	s_waitcnt vmcnt(33) lgkmcnt(1)
	v_mul_f64 v[163:164], v[139:140], v[200:201]
	s_waitcnt vmcnt(32)
	v_fma_f64 v[171:172], v[1:2], v[217:218], -v[171:172]
	v_mul_f64 v[151:152], v[137:138], v[200:201]
	v_fma_f64 v[169:170], v[3:4], v[217:218], v[169:170]
	ds_read_b128 v[1:4], v189 offset:1952
	v_add_f64 v[141:142], v[141:142], v[173:174]
	v_add_f64 v[143:144], v[143:144], v[159:160]
	s_waitcnt vmcnt(31) lgkmcnt(1)
	v_mul_f64 v[173:174], v[7:8], v[210:211]
	v_mul_f64 v[159:160], v[5:6], v[210:211]
	s_waitcnt vmcnt(29)
	v_fma_f64 v[163:164], v[137:138], v[147:148], -v[163:164]
	v_fma_f64 v[147:148], v[139:140], v[147:148], v[151:152]
	ds_read_b128 v[137:140], v189 offset:1968
	v_add_f64 v[141:142], v[141:142], v[171:172]
	v_add_f64 v[143:144], v[143:144], v[169:170]
	s_waitcnt vmcnt(25) lgkmcnt(1)
	v_mul_f64 v[151:152], v[1:2], v[153:154]
	v_mul_f64 v[153:154], v[3:4], v[153:154]
	s_waitcnt vmcnt(24)
	v_fma_f64 v[169:170], v[5:6], v[214:215], -v[173:174]
	;; [unrolled: 9-line block ×3, first 2 shown]
	v_fma_f64 v[149:150], v[3:4], v[149:150], v[151:152]
	ds_read_b128 v[1:4], v189 offset:2000
	v_add_f64 v[141:142], v[141:142], v[169:170]
	v_add_f64 v[143:144], v[143:144], v[159:160]
	s_waitcnt vmcnt(17) lgkmcnt(1)
	v_mul_f64 v[159:160], v[7:8], v[190:191]
	s_waitcnt vmcnt(16)
	v_fma_f64 v[163:164], v[137:138], v[219:220], -v[163:164]
	v_mul_f64 v[151:152], v[5:6], v[190:191]
	v_fma_f64 v[147:148], v[139:140], v[219:220], v[147:148]
	ds_read_b128 v[137:140], v189 offset:2016
	v_add_f64 v[141:142], v[141:142], v[153:154]
	v_add_f64 v[143:144], v[143:144], v[149:150]
	s_waitcnt vmcnt(15) lgkmcnt(1)
	v_mul_f64 v[153:154], v[3:4], v[192:193]
	v_mul_f64 v[149:150], v[1:2], v[192:193]
	s_waitcnt vmcnt(13)
	v_fma_f64 v[159:160], v[5:6], v[155:156], -v[159:160]
	v_fma_f64 v[151:152], v[7:8], v[155:156], v[151:152]
	ds_read_b128 v[5:8], v189 offset:2032
	v_add_f64 v[141:142], v[141:142], v[163:164]
	v_add_f64 v[143:144], v[143:144], v[147:148]
	s_waitcnt vmcnt(9) lgkmcnt(1)
	v_mul_f64 v[147:148], v[137:138], v[145:146]
	v_mul_f64 v[145:146], v[139:140], v[145:146]
	s_waitcnt vmcnt(8)
	v_fma_f64 v[1:2], v[1:2], v[206:207], -v[153:154]
	v_fma_f64 v[3:4], v[3:4], v[206:207], v[149:150]
	v_add_f64 v[141:142], v[141:142], v[159:160]
	v_add_f64 v[143:144], v[143:144], v[151:152]
	s_waitcnt vmcnt(7) lgkmcnt(0)
	v_mul_f64 v[151:152], v[7:8], v[165:166]
	v_mul_f64 v[149:150], v[5:6], v[165:166]
	s_waitcnt vmcnt(5)
	v_fma_f64 v[137:138], v[137:138], v[161:162], -v[145:146]
	v_fma_f64 v[139:140], v[139:140], v[161:162], v[147:148]
	v_add_f64 v[1:2], v[141:142], v[1:2]
	v_add_f64 v[3:4], v[143:144], v[3:4]
	s_waitcnt vmcnt(4)
	v_fma_f64 v[5:6], v[5:6], v[204:205], -v[151:152]
	v_fma_f64 v[7:8], v[7:8], v[204:205], v[149:150]
	v_add_f64 v[1:2], v[1:2], v[137:138]
	v_add_f64 v[3:4], v[3:4], v[139:140]
	;; [unrolled: 1-line block ×4, first 2 shown]
	s_waitcnt vmcnt(2)
	v_add_f64 v[1:2], v[157:158], -v[1:2]
	s_waitcnt vmcnt(0)
	v_add_f64 v[3:4], v[167:168], -v[3:4]
	buffer_store_dword v2, off, s[0:3], 0 offset:340
	buffer_store_dword v1, off, s[0:3], 0 offset:336
	buffer_store_dword v4, off, s[0:3], 0 offset:348
	buffer_store_dword v3, off, s[0:3], 0 offset:344
	v_cmpx_lt_u32_e32 19, v0
	s_cbranch_execz .LBB127_371
; %bb.370:
	v_mov_b32_e32 v4, s59
	s_clause 0x3
	buffer_load_dword v1, v4, s[0:3], 0 offen
	buffer_load_dword v2, v4, s[0:3], 0 offen offset:4
	buffer_load_dword v3, v4, s[0:3], 0 offen offset:8
	;; [unrolled: 1-line block ×3, first 2 shown]
	buffer_store_dword v189, off, s[0:3], 0 offset:320
	buffer_store_dword v189, off, s[0:3], 0 offset:324
	;; [unrolled: 1-line block ×4, first 2 shown]
	s_waitcnt vmcnt(0)
	ds_write_b128 v197, v[1:4]
.LBB127_371:
	s_or_b32 exec_lo, exec_lo, s4
	s_waitcnt lgkmcnt(0)
	s_waitcnt_vscnt null, 0x0
	s_barrier
	buffer_gl0_inv
	s_clause 0x37
	buffer_load_dword v137, off, s[0:3], 0 offset:344
	buffer_load_dword v138, off, s[0:3], 0 offset:348
	;; [unrolled: 1-line block ×56, first 2 shown]
	ds_read_b128 v[190:193], v189 offset:1344
	s_clause 0x2
	buffer_load_dword v186, off, s[0:3], 0 offset:572
	buffer_load_dword v188, off, s[0:3], 0 offset:548
	;; [unrolled: 1-line block ×3, first 2 shown]
	ds_read_b128 v[198:201], v189 offset:1360
	s_clause 0x4
	buffer_load_dword v207, off, s[0:3], 0 offset:588
	buffer_load_dword v208, off, s[0:3], 0 offset:600
	;; [unrolled: 1-line block ×5, first 2 shown]
	ds_read_b128 v[202:205], v189 offset:1376
	s_clause 0x2
	buffer_load_dword v209, off, s[0:3], 0 offset:604
	buffer_load_dword v214, off, s[0:3], 0 offset:580
	;; [unrolled: 1-line block ×3, first 2 shown]
	s_mov_b32 s4, exec_lo
	s_waitcnt vmcnt(62) lgkmcnt(2)
	v_mul_f64 v[194:195], v[192:193], v[137:138]
	v_mul_f64 v[137:138], v[190:191], v[137:138]
	s_waitcnt lgkmcnt(1)
	v_mul_f64 v[211:212], v[200:201], v[5:6]
	s_waitcnt vmcnt(59) lgkmcnt(0)
	v_mul_f64 v[215:216], v[204:205], v[3:4]
	v_fma_f64 v[190:191], v[190:191], v[7:8], -v[194:195]
	v_mul_f64 v[194:195], v[198:199], v[5:6]
	v_fma_f64 v[137:138], v[192:193], v[7:8], v[137:138]
	s_waitcnt vmcnt(57)
	v_fma_f64 v[198:199], v[198:199], v[1:2], -v[211:212]
	ds_read_b128 v[5:8], v189 offset:1392
	v_mul_f64 v[192:193], v[202:203], v[3:4]
	s_waitcnt vmcnt(51)
	v_fma_f64 v[202:203], v[202:203], v[153:154], -v[215:216]
	v_add_f64 v[190:191], v[190:191], 0
	v_fma_f64 v[194:195], v[200:201], v[1:2], v[194:195]
	v_add_f64 v[137:138], v[137:138], 0
	s_clause 0x4
	buffer_load_dword v201, off, s[0:3], 0 offset:620
	buffer_load_dword v217, off, s[0:3], 0 offset:632
	;; [unrolled: 1-line block ×5, first 2 shown]
	s_waitcnt lgkmcnt(0)
	v_mul_f64 v[220:221], v[5:6], v[141:142]
	v_mul_f64 v[141:142], v[7:8], v[141:142]
	ds_read_b128 v[1:4], v189 offset:1408
	v_fma_f64 v[153:154], v[204:205], v[153:154], v[192:193]
	v_add_f64 v[198:199], v[190:191], v[198:199]
	v_add_f64 v[137:138], v[137:138], v[194:195]
	s_clause 0x2
	buffer_load_dword v218, off, s[0:3], 0 offset:636
	buffer_load_dword v195, off, s[0:3], 0 offset:612
	;; [unrolled: 1-line block ×3, first 2 shown]
	s_waitcnt vmcnt(58) lgkmcnt(0)
	v_mul_f64 v[204:205], v[1:2], v[145:146]
	v_mul_f64 v[145:146], v[3:4], v[145:146]
	s_waitcnt vmcnt(56)
	v_fma_f64 v[141:142], v[5:6], v[147:148], -v[141:142]
	ds_read_b128 v[190:193], v189 offset:1424
	v_fma_f64 v[147:148], v[7:8], v[147:148], v[220:221]
	v_add_f64 v[198:199], v[198:199], v[202:203]
	v_add_f64 v[137:138], v[137:138], v[153:154]
	s_clause 0x4
	buffer_load_dword v154, off, s[0:3], 0 offset:652
	buffer_load_dword v202, off, s[0:3], 0 offset:664
	;; [unrolled: 1-line block ×5, first 2 shown]
	ds_read_b128 v[5:8], v189 offset:1440
	s_waitcnt vmcnt(57) lgkmcnt(1)
	v_mul_f64 v[221:222], v[190:191], v[149:150]
	v_mul_f64 v[149:150], v[192:193], v[149:150]
	s_waitcnt vmcnt(56)
	v_fma_f64 v[145:146], v[1:2], v[139:140], -v[145:146]
	v_fma_f64 v[139:140], v[3:4], v[139:140], v[204:205]
	v_add_f64 v[141:142], v[198:199], v[141:142]
	v_add_f64 v[137:138], v[137:138], v[147:148]
	s_clause 0x2
	buffer_load_dword v203, off, s[0:3], 0 offset:668
	buffer_load_dword v148, off, s[0:3], 0 offset:644
	;; [unrolled: 1-line block ×3, first 2 shown]
	s_waitcnt vmcnt(58) lgkmcnt(0)
	v_mul_f64 v[198:199], v[5:6], v[155:156]
	v_mul_f64 v[155:156], v[7:8], v[155:156]
	s_waitcnt vmcnt(56)
	v_fma_f64 v[149:150], v[190:191], v[157:158], -v[149:150]
	ds_read_b128 v[1:4], v189 offset:1456
	v_add_f64 v[141:142], v[141:142], v[145:146]
	v_fma_f64 v[145:146], v[192:193], v[157:158], v[221:222]
	v_add_f64 v[157:158], v[137:138], v[139:140]
	s_clause 0x4
	buffer_load_dword v191, off, s[0:3], 0 offset:684
	buffer_load_dword v192, off, s[0:3], 0 offset:696
	;; [unrolled: 1-line block ×5, first 2 shown]
	ds_read_b128 v[137:140], v189 offset:1472
	s_waitcnt vmcnt(57) lgkmcnt(1)
	v_mul_f64 v[221:222], v[1:2], v[159:160]
	v_mul_f64 v[159:160], v[3:4], v[159:160]
	s_waitcnt vmcnt(56)
	v_fma_f64 v[155:156], v[5:6], v[143:144], -v[155:156]
	v_fma_f64 v[143:144], v[7:8], v[143:144], v[198:199]
	v_add_f64 v[141:142], v[141:142], v[149:150]
	s_clause 0x2
	buffer_load_dword v193, off, s[0:3], 0 offset:700
	buffer_load_dword v150, off, s[0:3], 0 offset:676
	;; [unrolled: 1-line block ×3, first 2 shown]
	v_add_f64 v[145:146], v[157:158], v[145:146]
	s_waitcnt vmcnt(58) lgkmcnt(0)
	v_mul_f64 v[157:158], v[137:138], v[163:164]
	v_mul_f64 v[163:164], v[139:140], v[163:164]
	ds_read_b128 v[5:8], v189 offset:1488
	s_waitcnt vmcnt(56)
	v_fma_f64 v[159:160], v[1:2], v[165:166], -v[159:160]
	v_add_f64 v[141:142], v[141:142], v[155:156]
	v_fma_f64 v[155:156], v[3:4], v[165:166], v[221:222]
	v_add_f64 v[143:144], v[145:146], v[143:144]
	s_clause 0x4
	buffer_load_dword v146, off, s[0:3], 0 offset:716
	buffer_load_dword v165, off, s[0:3], 0 offset:728
	;; [unrolled: 1-line block ×5, first 2 shown]
	s_waitcnt vmcnt(57) lgkmcnt(0)
	v_mul_f64 v[221:222], v[5:6], v[167:168]
	v_mul_f64 v[167:168], v[7:8], v[167:168]
	s_waitcnt vmcnt(56)
	v_fma_f64 v[163:164], v[137:138], v[151:152], -v[163:164]
	ds_read_b128 v[1:4], v189 offset:1504
	v_fma_f64 v[151:152], v[139:140], v[151:152], v[157:158]
	v_add_f64 v[141:142], v[141:142], v[159:160]
	v_add_f64 v[143:144], v[143:144], v[155:156]
	s_clause 0x2
	buffer_load_dword v166, off, s[0:3], 0 offset:732
	buffer_load_dword v156, off, s[0:3], 0 offset:708
	;; [unrolled: 1-line block ×3, first 2 shown]
	ds_read_b128 v[137:140], v189 offset:1520
	s_waitcnt vmcnt(58) lgkmcnt(1)
	v_mul_f64 v[159:160], v[3:4], v[171:172]
	s_waitcnt vmcnt(56)
	v_fma_f64 v[167:168], v[5:6], v[173:174], -v[167:168]
	v_mul_f64 v[157:158], v[1:2], v[171:172]
	v_add_f64 v[141:142], v[141:142], v[163:164]
	v_fma_f64 v[163:164], v[7:8], v[173:174], v[221:222]
	v_add_f64 v[143:144], v[143:144], v[151:152]
	s_clause 0x4
	buffer_load_dword v152, off, s[0:3], 0 offset:748
	buffer_load_dword v171, off, s[0:3], 0 offset:760
	buffer_load_dword v173, off, s[0:3], 0 offset:752
	buffer_load_dword v151, off, s[0:3], 0 offset:744
	buffer_load_dword v199, off, s[0:3], 0 offset:724
	s_waitcnt vmcnt(57) lgkmcnt(0)
	v_mul_f64 v[221:222], v[137:138], v[175:176]
	v_mul_f64 v[174:175], v[139:140], v[175:176]
	s_waitcnt vmcnt(56)
	v_fma_f64 v[159:160], v[1:2], v[161:162], -v[159:160]
	ds_read_b128 v[5:8], v189 offset:1536
	v_fma_f64 v[157:158], v[3:4], v[161:162], v[157:158]
	s_clause 0x2
	buffer_load_dword v172, off, s[0:3], 0 offset:764
	buffer_load_dword v162, off, s[0:3], 0 offset:740
	;; [unrolled: 1-line block ×3, first 2 shown]
	ds_read_b128 v[1:4], v189 offset:1552
	v_add_f64 v[141:142], v[141:142], v[167:168]
	v_add_f64 v[143:144], v[143:144], v[163:164]
	s_waitcnt vmcnt(58) lgkmcnt(1)
	v_mul_f64 v[167:168], v[7:8], v[179:180]
	s_waitcnt vmcnt(56)
	v_fma_f64 v[175:176], v[137:138], v[181:182], -v[174:175]
	v_mul_f64 v[163:164], v[5:6], v[179:180]
	v_add_f64 v[141:142], v[141:142], v[159:160]
	v_fma_f64 v[159:160], v[139:140], v[181:182], v[221:222]
	v_add_f64 v[143:144], v[143:144], v[157:158]
	s_clause 0x4
	buffer_load_dword v158, off, s[0:3], 0 offset:780
	buffer_load_dword v179, off, s[0:3], 0 offset:792
	;; [unrolled: 1-line block ×5, first 2 shown]
	s_waitcnt vmcnt(57) lgkmcnt(0)
	v_mul_f64 v[221:222], v[1:2], v[183:184]
	v_mul_f64 v[182:183], v[3:4], v[183:184]
	s_waitcnt vmcnt(56)
	v_fma_f64 v[167:168], v[5:6], v[169:170], -v[167:168]
	ds_read_b128 v[137:140], v189 offset:1568
	v_fma_f64 v[163:164], v[7:8], v[169:170], v[163:164]
	v_add_f64 v[141:142], v[141:142], v[175:176]
	v_add_f64 v[143:144], v[143:144], v[159:160]
	s_clause 0x2
	buffer_load_dword v180, off, s[0:3], 0 offset:796
	buffer_load_dword v160, off, s[0:3], 0 offset:772
	;; [unrolled: 1-line block ×3, first 2 shown]
	ds_read_b128 v[5:8], v189 offset:1584
	s_waitcnt vmcnt(58) lgkmcnt(1)
	v_mul_f64 v[175:176], v[139:140], v[185:186]
	s_waitcnt vmcnt(56)
	v_fma_f64 v[183:184], v[1:2], v[187:188], -v[182:183]
	v_mul_f64 v[169:170], v[137:138], v[185:186]
	v_add_f64 v[141:142], v[141:142], v[167:168]
	v_fma_f64 v[167:168], v[3:4], v[187:188], v[221:222]
	v_add_f64 v[143:144], v[143:144], v[163:164]
	s_clause 0x4
	buffer_load_dword v164, off, s[0:3], 0 offset:812
	buffer_load_dword v185, off, s[0:3], 0 offset:824
	;; [unrolled: 1-line block ×5, first 2 shown]
	s_waitcnt vmcnt(57) lgkmcnt(0)
	v_mul_f64 v[221:222], v[5:6], v[206:207]
	v_mul_f64 v[206:207], v[7:8], v[206:207]
	s_waitcnt vmcnt(56)
	v_fma_f64 v[175:176], v[137:138], v[177:178], -v[175:176]
	ds_read_b128 v[1:4], v189 offset:1600
	v_fma_f64 v[169:170], v[139:140], v[177:178], v[169:170]
	v_add_f64 v[141:142], v[141:142], v[183:184]
	v_add_f64 v[143:144], v[143:144], v[167:168]
	s_clause 0x2
	buffer_load_dword v186, off, s[0:3], 0 offset:828
	buffer_load_dword v168, off, s[0:3], 0 offset:804
	;; [unrolled: 1-line block ×3, first 2 shown]
	ds_read_b128 v[137:140], v189 offset:1616
	s_waitcnt vmcnt(58) lgkmcnt(1)
	v_mul_f64 v[183:184], v[3:4], v[208:209]
	s_waitcnt vmcnt(56)
	v_fma_f64 v[206:207], v[5:6], v[213:214], -v[206:207]
	v_mul_f64 v[177:178], v[1:2], v[208:209]
	v_add_f64 v[141:142], v[141:142], v[175:176]
	v_fma_f64 v[175:176], v[7:8], v[213:214], v[221:222]
	v_add_f64 v[143:144], v[143:144], v[169:170]
	s_clause 0x4
	buffer_load_dword v170, off, s[0:3], 0 offset:844
	buffer_load_dword v208, off, s[0:3], 0 offset:856
	;; [unrolled: 1-line block ×5, first 2 shown]
	ds_read_b128 v[5:8], v189 offset:1632
	s_waitcnt vmcnt(57) lgkmcnt(1)
	v_mul_f64 v[213:214], v[137:138], v[200:201]
	v_mul_f64 v[200:201], v[139:140], v[200:201]
	s_waitcnt vmcnt(56)
	v_fma_f64 v[183:184], v[1:2], v[210:211], -v[183:184]
	v_fma_f64 v[177:178], v[3:4], v[210:211], v[177:178]
	v_add_f64 v[141:142], v[141:142], v[206:207]
	v_add_f64 v[143:144], v[143:144], v[175:176]
	s_clause 0x2
	buffer_load_dword v209, off, s[0:3], 0 offset:860
	buffer_load_dword v176, off, s[0:3], 0 offset:836
	buffer_load_dword v175, off, s[0:3], 0 offset:832
	ds_read_b128 v[1:4], v189 offset:1648
	s_waitcnt vmcnt(58) lgkmcnt(1)
	v_mul_f64 v[210:211], v[7:8], v[217:218]
	v_mul_f64 v[206:207], v[5:6], v[217:218]
	s_waitcnt vmcnt(56)
	v_fma_f64 v[200:201], v[137:138], v[194:195], -v[200:201]
	v_add_f64 v[141:142], v[141:142], v[183:184]
	v_fma_f64 v[183:184], v[139:140], v[194:195], v[213:214]
	v_add_f64 v[143:144], v[143:144], v[177:178]
	s_clause 0x4
	buffer_load_dword v178, off, s[0:3], 0 offset:876
	buffer_load_dword v194, off, s[0:3], 0 offset:888
	buffer_load_dword v217, off, s[0:3], 0 offset:880
	buffer_load_dword v177, off, s[0:3], 0 offset:872
	buffer_load_dword v213, off, s[0:3], 0 offset:852
	ds_read_b128 v[137:140], v189 offset:1664
	s_waitcnt vmcnt(57) lgkmcnt(1)
	v_mul_f64 v[221:222], v[1:2], v[153:154]
	v_mul_f64 v[153:154], v[3:4], v[153:154]
	s_waitcnt vmcnt(56)
	v_fma_f64 v[210:211], v[5:6], v[219:220], -v[210:211]
	v_add_f64 v[141:142], v[141:142], v[200:201]
	v_fma_f64 v[200:201], v[7:8], v[219:220], v[206:207]
	v_add_f64 v[143:144], v[143:144], v[183:184]
	s_clause 0x2
	buffer_load_dword v195, off, s[0:3], 0 offset:892
	buffer_load_dword v184, off, s[0:3], 0 offset:868
	buffer_load_dword v183, off, s[0:3], 0 offset:864
	ds_read_b128 v[5:8], v189 offset:1680
	s_waitcnt vmcnt(58) lgkmcnt(1)
	v_mul_f64 v[206:207], v[137:138], v[202:203]
	v_mul_f64 v[202:203], v[139:140], v[202:203]
	s_waitcnt vmcnt(56)
	v_fma_f64 v[153:154], v[1:2], v[147:148], -v[153:154]
	v_fma_f64 v[147:148], v[3:4], v[147:148], v[221:222]
	v_add_f64 v[141:142], v[141:142], v[210:211]
	v_add_f64 v[143:144], v[143:144], v[200:201]
	s_clause 0x4
	buffer_load_dword v201, off, s[0:3], 0 offset:908
	buffer_load_dword v210, off, s[0:3], 0 offset:920
	buffer_load_dword v214, off, s[0:3], 0 offset:912
	buffer_load_dword v200, off, s[0:3], 0 offset:904
	buffer_load_dword v218, off, s[0:3], 0 offset:884
	ds_read_b128 v[1:4], v189 offset:1696
	s_waitcnt vmcnt(57) lgkmcnt(1)
	v_mul_f64 v[219:220], v[5:6], v[190:191]
	v_mul_f64 v[190:191], v[7:8], v[190:191]
	s_waitcnt vmcnt(56)
	v_fma_f64 v[202:203], v[137:138], v[215:216], -v[202:203]
	v_add_f64 v[141:142], v[141:142], v[153:154]
	v_fma_f64 v[153:154], v[139:140], v[215:216], v[206:207]
	v_add_f64 v[143:144], v[143:144], v[147:148]
	s_clause 0x2
	buffer_load_dword v211, off, s[0:3], 0 offset:924
	buffer_load_dword v148, off, s[0:3], 0 offset:900
	buffer_load_dword v147, off, s[0:3], 0 offset:896
	ds_read_b128 v[137:140], v189 offset:1712
	s_waitcnt vmcnt(58) lgkmcnt(1)
	v_mul_f64 v[206:207], v[1:2], v[192:193]
	v_mul_f64 v[192:193], v[3:4], v[192:193]
	s_waitcnt vmcnt(56)
	v_fma_f64 v[190:191], v[5:6], v[149:150], -v[190:191]
	v_fma_f64 v[149:150], v[7:8], v[149:150], v[219:220]
	v_add_f64 v[141:142], v[141:142], v[202:203]
	;; [unrolled: 28-line block ×3, first 2 shown]
	v_add_f64 v[143:144], v[143:144], v[190:191]
	s_clause 0x4
	buffer_load_dword v191, off, s[0:3], 0 offset:972
	buffer_load_dword v192, off, s[0:3], 0 offset:984
	;; [unrolled: 1-line block ×5, first 2 shown]
	ds_read_b128 v[137:140], v189 offset:1760
	s_waitcnt vmcnt(57) lgkmcnt(1)
	v_mul_f64 v[221:222], v[1:2], v[151:152]
	v_mul_f64 v[151:152], v[3:4], v[151:152]
	s_waitcnt vmcnt(56)
	v_fma_f64 v[165:166], v[5:6], v[198:199], -v[165:166]
	v_add_f64 v[141:142], v[141:142], v[145:146]
	v_fma_f64 v[145:146], v[7:8], v[198:199], v[204:205]
	v_add_f64 v[143:144], v[143:144], v[155:156]
	s_clause 0x2
	buffer_load_dword v193, off, s[0:3], 0 offset:988
	buffer_load_dword v156, off, s[0:3], 0 offset:964
	;; [unrolled: 1-line block ×3, first 2 shown]
	s_waitcnt vmcnt(58) lgkmcnt(0)
	v_mul_f64 v[198:199], v[137:138], v[171:172]
	v_mul_f64 v[171:172], v[139:140], v[171:172]
	ds_read_b128 v[5:8], v189 offset:1776
	s_waitcnt vmcnt(56)
	v_fma_f64 v[151:152], v[1:2], v[161:162], -v[151:152]
	v_fma_f64 v[161:162], v[3:4], v[161:162], v[221:222]
	v_add_f64 v[141:142], v[141:142], v[165:166]
	v_add_f64 v[143:144], v[143:144], v[145:146]
	s_clause 0x4
	buffer_load_dword v146, off, s[0:3], 0 offset:1004
	buffer_load_dword v165, off, s[0:3], 0 offset:1016
	buffer_load_dword v204, off, s[0:3], 0 offset:1008
	buffer_load_dword v145, off, s[0:3], 0 offset:1000
	buffer_load_dword v207, off, s[0:3], 0 offset:980
	ds_read_b128 v[1:4], v189 offset:1792
	s_waitcnt vmcnt(57) lgkmcnt(1)
	v_mul_f64 v[221:222], v[5:6], v[157:158]
	v_mul_f64 v[157:158], v[7:8], v[157:158]
	s_waitcnt vmcnt(56)
	v_fma_f64 v[171:172], v[137:138], v[173:174], -v[171:172]
	v_add_f64 v[141:142], v[141:142], v[151:152]
	v_fma_f64 v[151:152], v[139:140], v[173:174], v[198:199]
	v_add_f64 v[143:144], v[143:144], v[161:162]
	s_clause 0x2
	buffer_load_dword v166, off, s[0:3], 0 offset:1020
	buffer_load_dword v162, off, s[0:3], 0 offset:996
	buffer_load_dword v161, off, s[0:3], 0 offset:992
	ds_read_b128 v[137:140], v189 offset:1808
	s_waitcnt vmcnt(58) lgkmcnt(1)
	v_mul_f64 v[173:174], v[1:2], v[179:180]
	v_mul_f64 v[179:180], v[3:4], v[179:180]
	s_waitcnt vmcnt(56)
	v_fma_f64 v[157:158], v[5:6], v[159:160], -v[157:158]
	v_fma_f64 v[159:160], v[7:8], v[159:160], v[221:222]
	v_add_f64 v[141:142], v[141:142], v[171:172]
	v_add_f64 v[143:144], v[143:144], v[151:152]
	s_clause 0x2
	buffer_load_dword v152, off, s[0:3], 0 offset:1036
	buffer_load_dword v151, off, s[0:3], 0 offset:1032
	;; [unrolled: 1-line block ×3, first 2 shown]
	ds_read_b128 v[5:8], v189 offset:1824
	s_waitcnt vmcnt(55) lgkmcnt(1)
	v_mul_f64 v[171:172], v[137:138], v[163:164]
	v_mul_f64 v[163:164], v[139:140], v[163:164]
	s_waitcnt vmcnt(54)
	v_fma_f64 v[179:180], v[1:2], v[181:182], -v[179:180]
	v_add_f64 v[141:142], v[141:142], v[157:158]
	v_fma_f64 v[157:158], v[3:4], v[181:182], v[173:174]
	v_add_f64 v[143:144], v[143:144], v[159:160]
	s_clause 0x1
	buffer_load_dword v160, off, s[0:3], 0 offset:1028
	buffer_load_dword v159, off, s[0:3], 0 offset:1024
	ds_read_b128 v[1:4], v189 offset:1840
	s_waitcnt vmcnt(55) lgkmcnt(1)
	v_mul_f64 v[181:182], v[7:8], v[185:186]
	v_mul_f64 v[173:174], v[5:6], v[185:186]
	s_waitcnt vmcnt(53)
	v_fma_f64 v[163:164], v[137:138], v[167:168], -v[163:164]
	v_fma_f64 v[167:168], v[139:140], v[167:168], v[171:172]
	ds_read_b128 v[137:140], v189 offset:1856
	v_add_f64 v[141:142], v[141:142], v[179:180]
	v_add_f64 v[143:144], v[143:144], v[157:158]
	s_waitcnt vmcnt(49) lgkmcnt(1)
	v_mul_f64 v[157:158], v[1:2], v[169:170]
	v_mul_f64 v[169:170], v[3:4], v[169:170]
	s_waitcnt vmcnt(48)
	v_fma_f64 v[171:172], v[5:6], v[187:188], -v[181:182]
	v_add_f64 v[141:142], v[141:142], v[163:164]
	v_fma_f64 v[163:164], v[7:8], v[187:188], v[173:174]
	v_add_f64 v[143:144], v[143:144], v[167:168]
	s_clause 0x3
	buffer_load_dword v167, off, s[0:3], 0 offset:320
	buffer_load_dword v168, off, s[0:3], 0 offset:324
	;; [unrolled: 1-line block ×4, first 2 shown]
	ds_read_b128 v[5:8], v189 offset:1872
	s_waitcnt vmcnt(51) lgkmcnt(1)
	v_mul_f64 v[181:182], v[139:140], v[208:209]
	v_mul_f64 v[179:180], v[137:138], v[208:209]
	s_waitcnt vmcnt(49)
	v_fma_f64 v[169:170], v[1:2], v[175:176], -v[169:170]
	v_fma_f64 v[157:158], v[3:4], v[175:176], v[157:158]
	ds_read_b128 v[1:4], v189 offset:1888
	v_add_f64 v[141:142], v[141:142], v[171:172]
	v_add_f64 v[143:144], v[143:144], v[163:164]
	s_waitcnt vmcnt(45) lgkmcnt(1)
	v_mul_f64 v[171:172], v[7:8], v[177:178]
	s_waitcnt vmcnt(44)
	v_fma_f64 v[175:176], v[137:138], v[212:213], -v[181:182]
	v_mul_f64 v[163:164], v[5:6], v[177:178]
	v_add_f64 v[141:142], v[141:142], v[169:170]
	v_fma_f64 v[169:170], v[139:140], v[212:213], v[179:180]
	v_add_f64 v[143:144], v[143:144], v[157:158]
	ds_read_b128 v[137:140], v189 offset:1904
	s_waitcnt vmcnt(43) lgkmcnt(1)
	v_mul_f64 v[177:178], v[3:4], v[194:195]
	v_mul_f64 v[157:158], v[1:2], v[194:195]
	s_waitcnt vmcnt(41)
	v_fma_f64 v[171:172], v[5:6], v[183:184], -v[171:172]
	v_fma_f64 v[163:164], v[7:8], v[183:184], v[163:164]
	ds_read_b128 v[5:8], v189 offset:1920
	v_add_f64 v[141:142], v[141:142], v[175:176]
	v_add_f64 v[143:144], v[143:144], v[169:170]
	s_waitcnt vmcnt(37) lgkmcnt(1)
	v_mul_f64 v[175:176], v[139:140], v[200:201]
	s_waitcnt vmcnt(36)
	v_fma_f64 v[177:178], v[1:2], v[217:218], -v[177:178]
	v_mul_f64 v[169:170], v[137:138], v[200:201]
	v_fma_f64 v[157:158], v[3:4], v[217:218], v[157:158]
	ds_read_b128 v[1:4], v189 offset:1936
	v_add_f64 v[141:142], v[141:142], v[171:172]
	v_add_f64 v[143:144], v[143:144], v[163:164]
	s_waitcnt vmcnt(35) lgkmcnt(1)
	v_mul_f64 v[171:172], v[7:8], v[210:211]
	v_mul_f64 v[163:164], v[5:6], v[210:211]
	s_waitcnt vmcnt(33)
	v_fma_f64 v[175:176], v[137:138], v[147:148], -v[175:176]
	v_fma_f64 v[147:148], v[139:140], v[147:148], v[169:170]
	ds_read_b128 v[137:140], v189 offset:1952
	v_add_f64 v[141:142], v[141:142], v[177:178]
	v_add_f64 v[143:144], v[143:144], v[157:158]
	s_waitcnt vmcnt(29) lgkmcnt(1)
	v_mul_f64 v[157:158], v[1:2], v[153:154]
	v_mul_f64 v[153:154], v[3:4], v[153:154]
	s_waitcnt vmcnt(28)
	v_fma_f64 v[169:170], v[5:6], v[214:215], -v[171:172]
	;; [unrolled: 9-line block ×3, first 2 shown]
	v_fma_f64 v[149:150], v[3:4], v[149:150], v[157:158]
	ds_read_b128 v[1:4], v189 offset:1984
	v_add_f64 v[141:142], v[141:142], v[169:170]
	v_add_f64 v[143:144], v[143:144], v[163:164]
	s_waitcnt vmcnt(21) lgkmcnt(1)
	v_mul_f64 v[163:164], v[7:8], v[190:191]
	s_waitcnt vmcnt(20)
	v_fma_f64 v[169:170], v[137:138], v[219:220], -v[171:172]
	v_mul_f64 v[157:158], v[5:6], v[190:191]
	v_fma_f64 v[147:148], v[139:140], v[219:220], v[147:148]
	ds_read_b128 v[137:140], v189 offset:2000
	v_add_f64 v[141:142], v[141:142], v[153:154]
	v_add_f64 v[143:144], v[143:144], v[149:150]
	s_waitcnt vmcnt(19) lgkmcnt(1)
	v_mul_f64 v[153:154], v[3:4], v[192:193]
	v_mul_f64 v[149:150], v[1:2], v[192:193]
	s_waitcnt vmcnt(17)
	v_fma_f64 v[163:164], v[5:6], v[155:156], -v[163:164]
	v_fma_f64 v[155:156], v[7:8], v[155:156], v[157:158]
	ds_read_b128 v[5:8], v189 offset:2016
	v_add_f64 v[141:142], v[141:142], v[169:170]
	v_add_f64 v[143:144], v[143:144], v[147:148]
	s_waitcnt vmcnt(13) lgkmcnt(1)
	v_mul_f64 v[147:148], v[137:138], v[145:146]
	v_mul_f64 v[145:146], v[139:140], v[145:146]
	s_waitcnt vmcnt(12)
	v_fma_f64 v[153:154], v[1:2], v[206:207], -v[153:154]
	;; [unrolled: 9-line block ×3, first 2 shown]
	v_fma_f64 v[139:140], v[139:140], v[161:162], v[147:148]
	v_add_f64 v[141:142], v[141:142], v[153:154]
	v_add_f64 v[143:144], v[143:144], v[149:150]
	s_waitcnt vmcnt(7) lgkmcnt(0)
	v_mul_f64 v[147:148], v[3:4], v[151:152]
	s_waitcnt vmcnt(6)
	v_fma_f64 v[5:6], v[5:6], v[204:205], -v[157:158]
	v_mul_f64 v[145:146], v[1:2], v[151:152]
	v_fma_f64 v[7:8], v[7:8], v[204:205], v[155:156]
	v_add_f64 v[137:138], v[141:142], v[137:138]
	v_add_f64 v[139:140], v[143:144], v[139:140]
	s_waitcnt vmcnt(4)
	v_fma_f64 v[1:2], v[1:2], v[159:160], -v[147:148]
	v_fma_f64 v[3:4], v[3:4], v[159:160], v[145:146]
	v_add_f64 v[5:6], v[137:138], v[5:6]
	v_add_f64 v[7:8], v[139:140], v[7:8]
	;; [unrolled: 1-line block ×4, first 2 shown]
	s_waitcnt vmcnt(2)
	v_add_f64 v[1:2], v[167:168], -v[1:2]
	s_waitcnt vmcnt(0)
	v_add_f64 v[3:4], v[173:174], -v[3:4]
	buffer_store_dword v2, off, s[0:3], 0 offset:324
	buffer_store_dword v1, off, s[0:3], 0 offset:320
	;; [unrolled: 1-line block ×4, first 2 shown]
	v_cmpx_lt_u32_e32 18, v0
	s_cbranch_execz .LBB127_373
; %bb.372:
	v_mov_b32_e32 v4, s60
	v_mov_b32_e32 v5, 0
	s_clause 0x3
	buffer_load_dword v1, v4, s[0:3], 0 offen
	buffer_load_dword v2, v4, s[0:3], 0 offen offset:4
	buffer_load_dword v3, v4, s[0:3], 0 offen offset:8
	;; [unrolled: 1-line block ×3, first 2 shown]
	buffer_store_dword v5, off, s[0:3], 0 offset:304
	buffer_store_dword v5, off, s[0:3], 0 offset:308
	;; [unrolled: 1-line block ×4, first 2 shown]
	s_waitcnt vmcnt(0)
	ds_write_b128 v197, v[1:4]
.LBB127_373:
	s_or_b32 exec_lo, exec_lo, s4
	s_waitcnt lgkmcnt(0)
	s_waitcnt_vscnt null, 0x0
	s_barrier
	buffer_gl0_inv
	s_clause 0x37
	buffer_load_dword v141, off, s[0:3], 0 offset:328
	buffer_load_dword v142, off, s[0:3], 0 offset:332
	;; [unrolled: 1-line block ×56, first 2 shown]
	v_mov_b32_e32 v198, 0
	s_mov_b32 s4, exec_lo
	ds_read_b128 v[193:196], v198 offset:1328
	s_clause 0x2
	buffer_load_dword v190, off, s[0:3], 0 offset:556
	buffer_load_dword v192, off, s[0:3], 0 offset:532
	buffer_load_dword v191, off, s[0:3], 0 offset:528
	ds_read_b128 v[1:4], v198 offset:1344
	s_clause 0x4
	buffer_load_dword v206, off, s[0:3], 0 offset:572
	buffer_load_dword v207, off, s[0:3], 0 offset:584
	buffer_load_dword v209, off, s[0:3], 0 offset:576
	buffer_load_dword v205, off, s[0:3], 0 offset:568
	buffer_load_dword v182, off, s[0:3], 0 offset:548
	ds_read_b128 v[199:202], v198 offset:1360
	s_waitcnt vmcnt(62) lgkmcnt(2)
	v_mul_f64 v[203:204], v[195:196], v[141:142]
	v_mul_f64 v[141:142], v[193:194], v[141:142]
	s_waitcnt vmcnt(60) lgkmcnt(1)
	v_mul_f64 v[210:211], v[3:4], v[137:138]
	s_waitcnt vmcnt(56) lgkmcnt(0)
	v_mul_f64 v[212:213], v[199:200], v[7:8]
	v_mul_f64 v[7:8], v[201:202], v[7:8]
	v_fma_f64 v[193:194], v[193:194], v[139:140], -v[203:204]
	v_mul_f64 v[203:204], v[1:2], v[137:138]
	v_fma_f64 v[141:142], v[195:196], v[139:140], v[141:142]
	s_clause 0x2
	buffer_load_dword v208, off, s[0:3], 0 offset:588
	buffer_load_dword v196, off, s[0:3], 0 offset:564
	;; [unrolled: 1-line block ×3, first 2 shown]
	s_waitcnt vmcnt(57)
	v_fma_f64 v[214:215], v[1:2], v[5:6], -v[210:211]
	ds_read_b128 v[137:140], v198 offset:1376
	s_waitcnt vmcnt(51)
	v_fma_f64 v[199:200], v[199:200], v[157:158], -v[7:8]
	v_fma_f64 v[157:158], v[201:202], v[157:158], v[212:213]
	v_add_f64 v[193:194], v[193:194], 0
	v_fma_f64 v[5:6], v[3:4], v[5:6], v[203:204]
	v_add_f64 v[141:142], v[141:142], 0
	s_clause 0x4
	buffer_load_dword v204, off, s[0:3], 0 offset:604
	buffer_load_dword v211, off, s[0:3], 0 offset:616
	;; [unrolled: 1-line block ×5, first 2 shown]
	s_waitcnt lgkmcnt(0)
	v_mul_f64 v[217:218], v[137:138], v[145:146]
	v_mul_f64 v[145:146], v[139:140], v[145:146]
	ds_read_b128 v[1:4], v198 offset:1392
	s_clause 0x2
	buffer_load_dword v212, off, s[0:3], 0 offset:620
	buffer_load_dword v202, off, s[0:3], 0 offset:596
	;; [unrolled: 1-line block ×3, first 2 shown]
	v_add_f64 v[193:194], v[193:194], v[214:215]
	v_add_f64 v[141:142], v[141:142], v[5:6]
	ds_read_b128 v[5:8], v198 offset:1408
	s_waitcnt vmcnt(58) lgkmcnt(1)
	v_mul_f64 v[213:214], v[1:2], v[149:150]
	v_mul_f64 v[149:150], v[3:4], v[149:150]
	s_waitcnt vmcnt(56)
	v_fma_f64 v[145:146], v[137:138], v[151:152], -v[145:146]
	v_fma_f64 v[151:152], v[139:140], v[151:152], v[217:218]
	v_add_f64 v[193:194], v[193:194], v[199:200]
	s_waitcnt vmcnt(52) lgkmcnt(0)
	v_mul_f64 v[219:220], v[5:6], v[153:154]
	v_add_f64 v[141:142], v[141:142], v[157:158]
	s_clause 0x4
	buffer_load_dword v158, off, s[0:3], 0 offset:636
	buffer_load_dword v199, off, s[0:3], 0 offset:648
	;; [unrolled: 1-line block ×5, first 2 shown]
	v_mul_f64 v[153:154], v[7:8], v[153:154]
	s_waitcnt vmcnt(56)
	v_fma_f64 v[149:150], v[1:2], v[143:144], -v[149:150]
	ds_read_b128 v[137:140], v198 offset:1424
	v_fma_f64 v[143:144], v[3:4], v[143:144], v[213:214]
	v_add_f64 v[145:146], v[193:194], v[145:146]
	v_add_f64 v[141:142], v[141:142], v[151:152]
	s_clause 0x2
	buffer_load_dword v200, off, s[0:3], 0 offset:652
	buffer_load_dword v152, off, s[0:3], 0 offset:628
	;; [unrolled: 1-line block ×3, first 2 shown]
	s_waitcnt vmcnt(58) lgkmcnt(0)
	v_mul_f64 v[193:194], v[137:138], v[159:160]
	v_mul_f64 v[159:160], v[139:140], v[159:160]
	s_waitcnt vmcnt(56)
	v_fma_f64 v[153:154], v[5:6], v[161:162], -v[153:154]
	ds_read_b128 v[1:4], v198 offset:1440
	v_add_f64 v[145:146], v[145:146], v[149:150]
	v_fma_f64 v[149:150], v[7:8], v[161:162], v[219:220]
	v_add_f64 v[141:142], v[141:142], v[143:144]
	s_clause 0x4
	buffer_load_dword v144, off, s[0:3], 0 offset:668
	buffer_load_dword v161, off, s[0:3], 0 offset:680
	;; [unrolled: 1-line block ×5, first 2 shown]
	ds_read_b128 v[5:8], v198 offset:1456
	s_waitcnt vmcnt(57) lgkmcnt(1)
	v_mul_f64 v[214:215], v[1:2], v[163:164]
	v_mul_f64 v[163:164], v[3:4], v[163:164]
	s_waitcnt vmcnt(56)
	v_fma_f64 v[159:160], v[137:138], v[147:148], -v[159:160]
	v_fma_f64 v[147:148], v[139:140], v[147:148], v[193:194]
	v_add_f64 v[145:146], v[145:146], v[153:154]
	v_add_f64 v[141:142], v[141:142], v[149:150]
	s_clause 0x2
	buffer_load_dword v162, off, s[0:3], 0 offset:684
	buffer_load_dword v150, off, s[0:3], 0 offset:660
	;; [unrolled: 1-line block ×3, first 2 shown]
	s_waitcnt vmcnt(58) lgkmcnt(0)
	v_mul_f64 v[153:154], v[5:6], v[167:168]
	v_mul_f64 v[167:168], v[7:8], v[167:168]
	s_waitcnt vmcnt(56)
	v_fma_f64 v[163:164], v[1:2], v[169:170], -v[163:164]
	ds_read_b128 v[137:140], v198 offset:1472
	v_add_f64 v[145:146], v[145:146], v[159:160]
	v_fma_f64 v[159:160], v[3:4], v[169:170], v[214:215]
	v_add_f64 v[141:142], v[141:142], v[147:148]
	s_clause 0x4
	buffer_load_dword v148, off, s[0:3], 0 offset:700
	buffer_load_dword v169, off, s[0:3], 0 offset:712
	buffer_load_dword v193, off, s[0:3], 0 offset:704
	buffer_load_dword v147, off, s[0:3], 0 offset:696
	buffer_load_dword v214, off, s[0:3], 0 offset:676
	ds_read_b128 v[1:4], v198 offset:1488
	s_waitcnt vmcnt(57) lgkmcnt(1)
	v_mul_f64 v[220:221], v[137:138], v[171:172]
	v_mul_f64 v[171:172], v[139:140], v[171:172]
	s_waitcnt vmcnt(56)
	v_fma_f64 v[167:168], v[5:6], v[155:156], -v[167:168]
	v_fma_f64 v[153:154], v[7:8], v[155:156], v[153:154]
	s_clause 0x2
	buffer_load_dword v170, off, s[0:3], 0 offset:716
	buffer_load_dword v156, off, s[0:3], 0 offset:692
	;; [unrolled: 1-line block ×3, first 2 shown]
	ds_read_b128 v[5:8], v198 offset:1504
	v_add_f64 v[145:146], v[145:146], v[163:164]
	v_add_f64 v[141:142], v[141:142], v[159:160]
	s_waitcnt vmcnt(58) lgkmcnt(1)
	v_mul_f64 v[163:164], v[3:4], v[175:176]
	v_mul_f64 v[159:160], v[1:2], v[175:176]
	s_waitcnt vmcnt(56)
	v_fma_f64 v[171:172], v[137:138], v[177:178], -v[171:172]
	v_add_f64 v[145:146], v[145:146], v[167:168]
	v_fma_f64 v[167:168], v[139:140], v[177:178], v[220:221]
	v_add_f64 v[141:142], v[141:142], v[153:154]
	s_clause 0x4
	buffer_load_dword v154, off, s[0:3], 0 offset:732
	buffer_load_dword v175, off, s[0:3], 0 offset:744
	;; [unrolled: 1-line block ×5, first 2 shown]
	s_waitcnt vmcnt(57) lgkmcnt(0)
	v_mul_f64 v[220:221], v[5:6], v[179:180]
	v_mul_f64 v[178:179], v[7:8], v[179:180]
	s_waitcnt vmcnt(56)
	v_fma_f64 v[163:164], v[1:2], v[165:166], -v[163:164]
	ds_read_b128 v[137:140], v198 offset:1520
	v_fma_f64 v[159:160], v[3:4], v[165:166], v[159:160]
	s_clause 0x2
	buffer_load_dword v176, off, s[0:3], 0 offset:748
	buffer_load_dword v166, off, s[0:3], 0 offset:724
	;; [unrolled: 1-line block ×3, first 2 shown]
	ds_read_b128 v[1:4], v198 offset:1536
	v_add_f64 v[145:146], v[145:146], v[171:172]
	v_add_f64 v[141:142], v[141:142], v[167:168]
	s_waitcnt vmcnt(58) lgkmcnt(1)
	v_mul_f64 v[171:172], v[139:140], v[183:184]
	s_waitcnt vmcnt(56)
	v_fma_f64 v[179:180], v[5:6], v[185:186], -v[178:179]
	v_mul_f64 v[167:168], v[137:138], v[183:184]
	v_add_f64 v[145:146], v[145:146], v[163:164]
	v_fma_f64 v[163:164], v[7:8], v[185:186], v[220:221]
	v_add_f64 v[141:142], v[141:142], v[159:160]
	s_clause 0x4
	buffer_load_dword v160, off, s[0:3], 0 offset:764
	buffer_load_dword v183, off, s[0:3], 0 offset:776
	;; [unrolled: 1-line block ×5, first 2 shown]
	s_waitcnt vmcnt(57) lgkmcnt(0)
	v_mul_f64 v[220:221], v[1:2], v[187:188]
	v_mul_f64 v[186:187], v[3:4], v[187:188]
	s_waitcnt vmcnt(56)
	v_fma_f64 v[171:172], v[137:138], v[173:174], -v[171:172]
	ds_read_b128 v[5:8], v198 offset:1552
	v_fma_f64 v[167:168], v[139:140], v[173:174], v[167:168]
	v_add_f64 v[145:146], v[145:146], v[179:180]
	v_add_f64 v[141:142], v[141:142], v[163:164]
	s_clause 0x2
	buffer_load_dword v184, off, s[0:3], 0 offset:780
	buffer_load_dword v164, off, s[0:3], 0 offset:756
	;; [unrolled: 1-line block ×3, first 2 shown]
	ds_read_b128 v[137:140], v198 offset:1568
	s_waitcnt vmcnt(58) lgkmcnt(1)
	v_mul_f64 v[179:180], v[7:8], v[189:190]
	s_waitcnt vmcnt(56)
	v_fma_f64 v[187:188], v[1:2], v[191:192], -v[186:187]
	v_mul_f64 v[173:174], v[5:6], v[189:190]
	v_add_f64 v[145:146], v[145:146], v[171:172]
	v_fma_f64 v[171:172], v[3:4], v[191:192], v[220:221]
	v_add_f64 v[141:142], v[141:142], v[167:168]
	s_clause 0x4
	buffer_load_dword v168, off, s[0:3], 0 offset:796
	buffer_load_dword v189, off, s[0:3], 0 offset:808
	;; [unrolled: 1-line block ×5, first 2 shown]
	s_waitcnt vmcnt(57) lgkmcnt(0)
	v_mul_f64 v[220:221], v[137:138], v[205:206]
	v_mul_f64 v[205:206], v[139:140], v[205:206]
	s_waitcnt vmcnt(56)
	v_fma_f64 v[179:180], v[5:6], v[181:182], -v[179:180]
	ds_read_b128 v[1:4], v198 offset:1584
	v_fma_f64 v[173:174], v[7:8], v[181:182], v[173:174]
	v_add_f64 v[145:146], v[145:146], v[187:188]
	v_add_f64 v[141:142], v[141:142], v[171:172]
	s_clause 0x2
	buffer_load_dword v190, off, s[0:3], 0 offset:812
	buffer_load_dword v172, off, s[0:3], 0 offset:788
	;; [unrolled: 1-line block ×3, first 2 shown]
	ds_read_b128 v[5:8], v198 offset:1600
	s_waitcnt vmcnt(58) lgkmcnt(1)
	v_mul_f64 v[187:188], v[3:4], v[207:208]
	v_mul_f64 v[181:182], v[1:2], v[207:208]
	s_waitcnt vmcnt(56)
	v_fma_f64 v[205:206], v[137:138], v[195:196], -v[205:206]
	v_add_f64 v[145:146], v[145:146], v[179:180]
	v_fma_f64 v[179:180], v[139:140], v[195:196], v[220:221]
	v_add_f64 v[141:142], v[141:142], v[173:174]
	s_clause 0x4
	buffer_load_dword v174, off, s[0:3], 0 offset:828
	buffer_load_dword v195, off, s[0:3], 0 offset:840
	;; [unrolled: 1-line block ×5, first 2 shown]
	ds_read_b128 v[137:140], v198 offset:1616
	s_waitcnt vmcnt(57) lgkmcnt(1)
	v_mul_f64 v[220:221], v[5:6], v[203:204]
	v_mul_f64 v[203:204], v[7:8], v[203:204]
	s_waitcnt vmcnt(56)
	v_fma_f64 v[187:188], v[1:2], v[209:210], -v[187:188]
	v_fma_f64 v[181:182], v[3:4], v[209:210], v[181:182]
	v_add_f64 v[145:146], v[145:146], v[205:206]
	v_add_f64 v[141:142], v[141:142], v[179:180]
	s_clause 0x2
	buffer_load_dword v196, off, s[0:3], 0 offset:844
	buffer_load_dword v180, off, s[0:3], 0 offset:820
	;; [unrolled: 1-line block ×3, first 2 shown]
	s_waitcnt vmcnt(58) lgkmcnt(0)
	v_mul_f64 v[209:210], v[139:140], v[211:212]
	ds_read_b128 v[1:4], v198 offset:1632
	v_mul_f64 v[205:206], v[137:138], v[211:212]
	s_waitcnt vmcnt(56)
	v_fma_f64 v[203:204], v[5:6], v[201:202], -v[203:204]
	v_add_f64 v[145:146], v[145:146], v[187:188]
	v_fma_f64 v[187:188], v[7:8], v[201:202], v[220:221]
	v_add_f64 v[141:142], v[141:142], v[181:182]
	s_clause 0x4
	buffer_load_dword v182, off, s[0:3], 0 offset:860
	buffer_load_dword v201, off, s[0:3], 0 offset:872
	;; [unrolled: 1-line block ×5, first 2 shown]
	ds_read_b128 v[5:8], v198 offset:1648
	s_waitcnt vmcnt(57) lgkmcnt(1)
	v_mul_f64 v[220:221], v[1:2], v[157:158]
	v_mul_f64 v[157:158], v[3:4], v[157:158]
	s_waitcnt vmcnt(56)
	v_fma_f64 v[209:210], v[137:138], v[216:217], -v[209:210]
	v_add_f64 v[145:146], v[145:146], v[203:204]
	v_fma_f64 v[203:204], v[139:140], v[216:217], v[205:206]
	v_add_f64 v[141:142], v[141:142], v[187:188]
	s_clause 0x2
	buffer_load_dword v202, off, s[0:3], 0 offset:876
	buffer_load_dword v188, off, s[0:3], 0 offset:852
	;; [unrolled: 1-line block ×3, first 2 shown]
	ds_read_b128 v[137:140], v198 offset:1664
	s_waitcnt vmcnt(58) lgkmcnt(1)
	v_mul_f64 v[205:206], v[5:6], v[199:200]
	v_mul_f64 v[199:200], v[7:8], v[199:200]
	s_waitcnt vmcnt(56)
	v_fma_f64 v[157:158], v[1:2], v[151:152], -v[157:158]
	v_fma_f64 v[151:152], v[3:4], v[151:152], v[220:221]
	v_add_f64 v[145:146], v[145:146], v[209:210]
	v_add_f64 v[141:142], v[141:142], v[203:204]
	s_clause 0x4
	buffer_load_dword v204, off, s[0:3], 0 offset:892
	buffer_load_dword v209, off, s[0:3], 0 offset:904
	;; [unrolled: 1-line block ×5, first 2 shown]
	ds_read_b128 v[1:4], v198 offset:1680
	s_waitcnt vmcnt(57) lgkmcnt(1)
	v_mul_f64 v[216:217], v[137:138], v[143:144]
	v_mul_f64 v[143:144], v[139:140], v[143:144]
	s_waitcnt vmcnt(56)
	v_fma_f64 v[199:200], v[5:6], v[218:219], -v[199:200]
	v_add_f64 v[145:146], v[145:146], v[157:158]
	v_fma_f64 v[157:158], v[7:8], v[218:219], v[205:206]
	v_add_f64 v[141:142], v[141:142], v[151:152]
	s_clause 0x2
	buffer_load_dword v210, off, s[0:3], 0 offset:908
	buffer_load_dword v152, off, s[0:3], 0 offset:884
	;; [unrolled: 1-line block ×3, first 2 shown]
	ds_read_b128 v[5:8], v198 offset:1696
	s_waitcnt vmcnt(58) lgkmcnt(1)
	v_mul_f64 v[205:206], v[1:2], v[161:162]
	v_mul_f64 v[161:162], v[3:4], v[161:162]
	s_waitcnt vmcnt(56)
	v_fma_f64 v[143:144], v[137:138], v[149:150], -v[143:144]
	v_fma_f64 v[149:150], v[139:140], v[149:150], v[216:217]
	v_add_f64 v[145:146], v[145:146], v[199:200]
	v_add_f64 v[141:142], v[141:142], v[157:158]
	s_clause 0x4
	buffer_load_dword v158, off, s[0:3], 0 offset:924
	buffer_load_dword v199, off, s[0:3], 0 offset:936
	;; [unrolled: 1-line block ×5, first 2 shown]
	ds_read_b128 v[137:140], v198 offset:1712
	s_waitcnt vmcnt(57) lgkmcnt(1)
	v_mul_f64 v[218:219], v[5:6], v[147:148]
	v_mul_f64 v[147:148], v[7:8], v[147:148]
	s_waitcnt vmcnt(56)
	v_fma_f64 v[161:162], v[1:2], v[213:214], -v[161:162]
	v_add_f64 v[143:144], v[145:146], v[143:144]
	v_fma_f64 v[145:146], v[3:4], v[213:214], v[205:206]
	v_add_f64 v[141:142], v[141:142], v[149:150]
	s_clause 0x2
	buffer_load_dword v200, off, s[0:3], 0 offset:940
	buffer_load_dword v150, off, s[0:3], 0 offset:916
	;; [unrolled: 1-line block ×3, first 2 shown]
	s_waitcnt vmcnt(58) lgkmcnt(0)
	v_mul_f64 v[205:206], v[137:138], v[169:170]
	v_mul_f64 v[169:170], v[139:140], v[169:170]
	ds_read_b128 v[1:4], v198 offset:1728
	s_waitcnt vmcnt(56)
	v_fma_f64 v[147:148], v[5:6], v[155:156], -v[147:148]
	v_fma_f64 v[155:156], v[7:8], v[155:156], v[218:219]
	v_add_f64 v[143:144], v[143:144], v[161:162]
	v_add_f64 v[141:142], v[141:142], v[145:146]
	s_clause 0x4
	buffer_load_dword v146, off, s[0:3], 0 offset:956
	buffer_load_dword v161, off, s[0:3], 0 offset:968
	;; [unrolled: 1-line block ×5, first 2 shown]
	ds_read_b128 v[5:8], v198 offset:1744
	s_waitcnt vmcnt(57) lgkmcnt(1)
	v_mul_f64 v[219:220], v[1:2], v[153:154]
	v_mul_f64 v[153:154], v[3:4], v[153:154]
	s_waitcnt vmcnt(56)
	v_fma_f64 v[169:170], v[137:138], v[193:194], -v[169:170]
	v_add_f64 v[143:144], v[143:144], v[147:148]
	v_fma_f64 v[147:148], v[139:140], v[193:194], v[205:206]
	v_add_f64 v[141:142], v[141:142], v[155:156]
	s_clause 0x2
	buffer_load_dword v162, off, s[0:3], 0 offset:972
	buffer_load_dword v156, off, s[0:3], 0 offset:948
	;; [unrolled: 1-line block ×3, first 2 shown]
	s_waitcnt vmcnt(58) lgkmcnt(0)
	v_mul_f64 v[193:194], v[5:6], v[175:176]
	v_mul_f64 v[175:176], v[7:8], v[175:176]
	ds_read_b128 v[137:140], v198 offset:1760
	s_waitcnt vmcnt(56)
	v_fma_f64 v[153:154], v[1:2], v[165:166], -v[153:154]
	v_fma_f64 v[165:166], v[3:4], v[165:166], v[219:220]
	v_add_f64 v[143:144], v[143:144], v[169:170]
	v_add_f64 v[141:142], v[141:142], v[147:148]
	s_clause 0x4
	buffer_load_dword v148, off, s[0:3], 0 offset:988
	buffer_load_dword v169, off, s[0:3], 0 offset:1000
	;; [unrolled: 1-line block ×5, first 2 shown]
	ds_read_b128 v[1:4], v198 offset:1776
	s_waitcnt vmcnt(57) lgkmcnt(1)
	v_mul_f64 v[219:220], v[137:138], v[159:160]
	v_mul_f64 v[159:160], v[139:140], v[159:160]
	s_waitcnt vmcnt(56)
	v_fma_f64 v[175:176], v[5:6], v[177:178], -v[175:176]
	v_add_f64 v[143:144], v[143:144], v[153:154]
	v_fma_f64 v[153:154], v[7:8], v[177:178], v[193:194]
	v_add_f64 v[141:142], v[141:142], v[165:166]
	s_clause 0x2
	buffer_load_dword v170, off, s[0:3], 0 offset:1004
	buffer_load_dword v166, off, s[0:3], 0 offset:980
	;; [unrolled: 1-line block ×3, first 2 shown]
	ds_read_b128 v[5:8], v198 offset:1792
	s_waitcnt vmcnt(58) lgkmcnt(1)
	v_mul_f64 v[177:178], v[1:2], v[183:184]
	v_mul_f64 v[183:184], v[3:4], v[183:184]
	s_waitcnt vmcnt(56)
	v_fma_f64 v[159:160], v[137:138], v[163:164], -v[159:160]
	v_fma_f64 v[163:164], v[139:140], v[163:164], v[219:220]
	v_add_f64 v[143:144], v[143:144], v[175:176]
	v_add_f64 v[141:142], v[141:142], v[153:154]
	s_clause 0x4
	buffer_load_dword v154, off, s[0:3], 0 offset:1020
	buffer_load_dword v175, off, s[0:3], 0 offset:1032
	;; [unrolled: 1-line block ×5, first 2 shown]
	ds_read_b128 v[137:140], v198 offset:1808
	s_waitcnt vmcnt(57) lgkmcnt(1)
	v_mul_f64 v[219:220], v[5:6], v[167:168]
	v_mul_f64 v[167:168], v[7:8], v[167:168]
	s_waitcnt vmcnt(56)
	v_fma_f64 v[183:184], v[1:2], v[185:186], -v[183:184]
	v_add_f64 v[143:144], v[143:144], v[159:160]
	v_fma_f64 v[159:160], v[3:4], v[185:186], v[177:178]
	v_add_f64 v[141:142], v[141:142], v[163:164]
	s_clause 0x2
	buffer_load_dword v176, off, s[0:3], 0 offset:1036
	buffer_load_dword v164, off, s[0:3], 0 offset:1012
	;; [unrolled: 1-line block ×3, first 2 shown]
	ds_read_b128 v[1:4], v198 offset:1824
	buffer_load_dword v194, off, s[0:3], 0 offset:1028
	s_waitcnt vmcnt(59) lgkmcnt(1)
	v_mul_f64 v[185:186], v[139:140], v[189:190]
	v_mul_f64 v[177:178], v[137:138], v[189:190]
	s_waitcnt vmcnt(57)
	v_fma_f64 v[167:168], v[5:6], v[171:172], -v[167:168]
	v_fma_f64 v[171:172], v[7:8], v[171:172], v[219:220]
	ds_read_b128 v[5:8], v198 offset:1840
	v_add_f64 v[143:144], v[143:144], v[183:184]
	v_add_f64 v[141:142], v[141:142], v[159:160]
	s_waitcnt vmcnt(53) lgkmcnt(1)
	v_mul_f64 v[159:160], v[1:2], v[173:174]
	v_mul_f64 v[173:174], v[3:4], v[173:174]
	s_waitcnt vmcnt(52)
	v_fma_f64 v[183:184], v[137:138], v[191:192], -v[185:186]
	v_add_f64 v[143:144], v[143:144], v[167:168]
	v_fma_f64 v[167:168], v[139:140], v[191:192], v[177:178]
	v_add_f64 v[141:142], v[141:142], v[171:172]
	ds_read_b128 v[137:140], v198 offset:1856
	s_waitcnt vmcnt(51) lgkmcnt(1)
	v_mul_f64 v[177:178], v[7:8], v[195:196]
	v_mul_f64 v[171:172], v[5:6], v[195:196]
	s_waitcnt vmcnt(49)
	v_fma_f64 v[173:174], v[1:2], v[179:180], -v[173:174]
	v_fma_f64 v[159:160], v[3:4], v[179:180], v[159:160]
	v_add_f64 v[143:144], v[143:144], v[183:184]
	v_add_f64 v[141:142], v[141:142], v[167:168]
	s_clause 0x3
	buffer_load_dword v167, off, s[0:3], 0 offset:304
	buffer_load_dword v168, off, s[0:3], 0 offset:308
	buffer_load_dword v179, off, s[0:3], 0 offset:312
	buffer_load_dword v180, off, s[0:3], 0 offset:316
	ds_read_b128 v[1:4], v198 offset:1872
	s_waitcnt vmcnt(49) lgkmcnt(1)
	v_mul_f64 v[183:184], v[137:138], v[181:182]
	v_mul_f64 v[181:182], v[139:140], v[181:182]
	s_waitcnt vmcnt(48)
	v_fma_f64 v[177:178], v[5:6], v[207:208], -v[177:178]
	v_fma_f64 v[171:172], v[7:8], v[207:208], v[171:172]
	ds_read_b128 v[5:8], v198 offset:1888
	v_add_f64 v[143:144], v[143:144], v[173:174]
	v_add_f64 v[141:142], v[141:142], v[159:160]
	s_waitcnt vmcnt(47) lgkmcnt(1)
	v_mul_f64 v[173:174], v[3:4], v[201:202]
	v_mul_f64 v[159:160], v[1:2], v[201:202]
	s_waitcnt vmcnt(45)
	v_fma_f64 v[181:182], v[137:138], v[187:188], -v[181:182]
	v_add_f64 v[143:144], v[143:144], v[177:178]
	v_fma_f64 v[177:178], v[139:140], v[187:188], v[183:184]
	v_add_f64 v[141:142], v[141:142], v[171:172]
	ds_read_b128 v[137:140], v198 offset:1904
	s_waitcnt vmcnt(41) lgkmcnt(1)
	v_mul_f64 v[183:184], v[7:8], v[203:204]
	s_waitcnt vmcnt(40)
	v_fma_f64 v[173:174], v[1:2], v[211:212], -v[173:174]
	v_mul_f64 v[171:172], v[5:6], v[203:204]
	v_fma_f64 v[159:160], v[3:4], v[211:212], v[159:160]
	ds_read_b128 v[1:4], v198 offset:1920
	v_add_f64 v[143:144], v[143:144], v[181:182]
	v_add_f64 v[141:142], v[141:142], v[177:178]
	s_waitcnt vmcnt(39) lgkmcnt(1)
	v_mul_f64 v[181:182], v[139:140], v[209:210]
	v_mul_f64 v[177:178], v[137:138], v[209:210]
	s_waitcnt vmcnt(37)
	v_fma_f64 v[183:184], v[5:6], v[151:152], -v[183:184]
	v_fma_f64 v[151:152], v[7:8], v[151:152], v[171:172]
	ds_read_b128 v[5:8], v198 offset:1936
	v_add_f64 v[143:144], v[143:144], v[173:174]
	v_add_f64 v[141:142], v[141:142], v[159:160]
	s_waitcnt vmcnt(33) lgkmcnt(1)
	v_mul_f64 v[159:160], v[1:2], v[157:158]
	v_mul_f64 v[157:158], v[3:4], v[157:158]
	s_waitcnt vmcnt(32)
	v_fma_f64 v[171:172], v[137:138], v[215:216], -v[181:182]
	v_fma_f64 v[173:174], v[139:140], v[215:216], v[177:178]
	ds_read_b128 v[137:140], v198 offset:1952
	v_add_f64 v[143:144], v[143:144], v[183:184]
	v_add_f64 v[141:142], v[141:142], v[151:152]
	s_waitcnt vmcnt(31) lgkmcnt(1)
	v_mul_f64 v[177:178], v[7:8], v[199:200]
	v_mul_f64 v[151:152], v[5:6], v[199:200]
	s_waitcnt vmcnt(29)
	v_fma_f64 v[157:158], v[1:2], v[149:150], -v[157:158]
	v_fma_f64 v[149:150], v[3:4], v[149:150], v[159:160]
	ds_read_b128 v[1:4], v198 offset:1968
	v_add_f64 v[143:144], v[143:144], v[171:172]
	v_add_f64 v[141:142], v[141:142], v[173:174]
	s_waitcnt vmcnt(25) lgkmcnt(1)
	v_mul_f64 v[159:160], v[137:138], v[145:146]
	v_mul_f64 v[145:146], v[139:140], v[145:146]
	s_waitcnt vmcnt(24)
	v_fma_f64 v[171:172], v[5:6], v[217:218], -v[177:178]
	v_fma_f64 v[151:152], v[7:8], v[217:218], v[151:152]
	ds_read_b128 v[5:8], v198 offset:1984
	v_add_f64 v[143:144], v[143:144], v[157:158]
	v_add_f64 v[141:142], v[141:142], v[149:150]
	s_waitcnt vmcnt(23) lgkmcnt(1)
	v_mul_f64 v[157:158], v[3:4], v[161:162]
	v_mul_f64 v[149:150], v[1:2], v[161:162]
	s_waitcnt vmcnt(21)
	v_fma_f64 v[145:146], v[137:138], v[155:156], -v[145:146]
	v_fma_f64 v[155:156], v[139:140], v[155:156], v[159:160]
	ds_read_b128 v[137:140], v198 offset:2000
	v_add_f64 v[143:144], v[143:144], v[171:172]
	v_add_f64 v[141:142], v[141:142], v[151:152]
	s_waitcnt vmcnt(17) lgkmcnt(1)
	v_mul_f64 v[151:152], v[5:6], v[147:148]
	v_mul_f64 v[147:148], v[7:8], v[147:148]
	s_waitcnt vmcnt(16)
	v_fma_f64 v[157:158], v[1:2], v[213:214], -v[157:158]
	v_add_f64 v[143:144], v[143:144], v[145:146]
	v_fma_f64 v[145:146], v[3:4], v[213:214], v[149:150]
	v_add_f64 v[141:142], v[141:142], v[155:156]
	ds_read_b128 v[1:4], v198 offset:2016
	s_waitcnt vmcnt(15) lgkmcnt(1)
	v_mul_f64 v[155:156], v[139:140], v[169:170]
	v_mul_f64 v[149:150], v[137:138], v[169:170]
	s_waitcnt vmcnt(13)
	v_fma_f64 v[147:148], v[5:6], v[165:166], -v[147:148]
	v_fma_f64 v[151:152], v[7:8], v[165:166], v[151:152]
	ds_read_b128 v[5:8], v198 offset:2032
	v_add_f64 v[143:144], v[143:144], v[157:158]
	v_add_f64 v[141:142], v[141:142], v[145:146]
	s_waitcnt vmcnt(9) lgkmcnt(1)
	v_mul_f64 v[145:146], v[1:2], v[153:154]
	v_mul_f64 v[153:154], v[3:4], v[153:154]
	s_waitcnt vmcnt(8)
	v_fma_f64 v[137:138], v[137:138], v[205:206], -v[155:156]
	v_fma_f64 v[139:140], v[139:140], v[205:206], v[149:150]
	v_add_f64 v[143:144], v[143:144], v[147:148]
	v_add_f64 v[141:142], v[141:142], v[151:152]
	s_waitcnt vmcnt(7) lgkmcnt(0)
	v_mul_f64 v[149:150], v[7:8], v[175:176]
	v_mul_f64 v[147:148], v[5:6], v[175:176]
	s_waitcnt vmcnt(5)
	v_fma_f64 v[1:2], v[1:2], v[163:164], -v[153:154]
	v_fma_f64 v[3:4], v[3:4], v[163:164], v[145:146]
	v_add_f64 v[137:138], v[143:144], v[137:138]
	v_add_f64 v[139:140], v[141:142], v[139:140]
	s_waitcnt vmcnt(4)
	v_fma_f64 v[5:6], v[5:6], v[193:194], -v[149:150]
	v_fma_f64 v[7:8], v[7:8], v[193:194], v[147:148]
	v_add_f64 v[1:2], v[137:138], v[1:2]
	v_add_f64 v[3:4], v[139:140], v[3:4]
	;; [unrolled: 1-line block ×4, first 2 shown]
	s_waitcnt vmcnt(2)
	v_add_f64 v[1:2], v[167:168], -v[1:2]
	s_waitcnt vmcnt(0)
	v_add_f64 v[3:4], v[179:180], -v[3:4]
	buffer_store_dword v2, off, s[0:3], 0 offset:308
	buffer_store_dword v1, off, s[0:3], 0 offset:304
	;; [unrolled: 1-line block ×4, first 2 shown]
	v_cmpx_lt_u32_e32 17, v0
	s_cbranch_execz .LBB127_375
; %bb.374:
	v_mov_b32_e32 v4, s61
	s_clause 0x3
	buffer_load_dword v1, v4, s[0:3], 0 offen
	buffer_load_dword v2, v4, s[0:3], 0 offen offset:4
	buffer_load_dword v3, v4, s[0:3], 0 offen offset:8
	buffer_load_dword v4, v4, s[0:3], 0 offen offset:12
	buffer_store_dword v198, off, s[0:3], 0 offset:288
	buffer_store_dword v198, off, s[0:3], 0 offset:292
	;; [unrolled: 1-line block ×4, first 2 shown]
	s_waitcnt vmcnt(0)
	ds_write_b128 v197, v[1:4]
.LBB127_375:
	s_or_b32 exec_lo, exec_lo, s4
	s_waitcnt lgkmcnt(0)
	s_waitcnt_vscnt null, 0x0
	s_barrier
	buffer_gl0_inv
	s_clause 0x37
	buffer_load_dword v145, off, s[0:3], 0 offset:312
	buffer_load_dword v146, off, s[0:3], 0 offset:316
	;; [unrolled: 1-line block ×56, first 2 shown]
	ds_read_b128 v[5:8], v198 offset:1312
	s_clause 0x2
	buffer_load_dword v194, off, s[0:3], 0 offset:540
	buffer_load_dword v196, off, s[0:3], 0 offset:516
	;; [unrolled: 1-line block ×3, first 2 shown]
	ds_read_b128 v[1:4], v198 offset:1328
	s_clause 0x4
	buffer_load_dword v206, off, s[0:3], 0 offset:556
	buffer_load_dword v207, off, s[0:3], 0 offset:568
	;; [unrolled: 1-line block ×5, first 2 shown]
	ds_read_b128 v[199:202], v198 offset:1344
	s_mov_b32 s4, exec_lo
	s_waitcnt vmcnt(62) lgkmcnt(2)
	v_mul_f64 v[203:204], v[7:8], v[145:146]
	v_mul_f64 v[145:146], v[5:6], v[145:146]
	s_waitcnt vmcnt(60) lgkmcnt(1)
	v_mul_f64 v[210:211], v[3:4], v[141:142]
	v_mul_f64 v[141:142], v[1:2], v[141:142]
	s_waitcnt vmcnt(56) lgkmcnt(0)
	v_mul_f64 v[212:213], v[199:200], v[139:140]
	v_mul_f64 v[139:140], v[201:202], v[139:140]
	v_fma_f64 v[203:204], v[5:6], v[143:144], -v[203:204]
	v_fma_f64 v[143:144], v[7:8], v[143:144], v[145:146]
	s_clause 0x2
	buffer_load_dword v208, off, s[0:3], 0 offset:572
	buffer_load_dword v146, off, s[0:3], 0 offset:548
	;; [unrolled: 1-line block ×3, first 2 shown]
	s_waitcnt vmcnt(57)
	v_fma_f64 v[214:215], v[1:2], v[137:138], -v[210:211]
	ds_read_b128 v[5:8], v198 offset:1360
	v_fma_f64 v[137:138], v[3:4], v[137:138], v[141:142]
	s_waitcnt vmcnt(51)
	v_fma_f64 v[199:200], v[199:200], v[161:162], -v[139:140]
	v_fma_f64 v[161:162], v[201:202], v[161:162], v[212:213]
	v_add_f64 v[203:204], v[203:204], 0
	v_add_f64 v[141:142], v[143:144], 0
	s_clause 0x4
	buffer_load_dword v144, off, s[0:3], 0 offset:588
	buffer_load_dword v211, off, s[0:3], 0 offset:600
	;; [unrolled: 1-line block ×5, first 2 shown]
	s_waitcnt lgkmcnt(0)
	v_mul_f64 v[217:218], v[5:6], v[149:150]
	v_mul_f64 v[149:150], v[7:8], v[149:150]
	ds_read_b128 v[1:4], v198 offset:1376
	s_clause 0x2
	buffer_load_dword v212, off, s[0:3], 0 offset:604
	buffer_load_dword v202, off, s[0:3], 0 offset:580
	;; [unrolled: 1-line block ×3, first 2 shown]
	v_add_f64 v[203:204], v[203:204], v[214:215]
	v_add_f64 v[141:142], v[141:142], v[137:138]
	ds_read_b128 v[137:140], v198 offset:1392
	s_waitcnt vmcnt(58) lgkmcnt(1)
	v_mul_f64 v[213:214], v[1:2], v[153:154]
	v_mul_f64 v[153:154], v[3:4], v[153:154]
	s_waitcnt vmcnt(56)
	v_fma_f64 v[149:150], v[5:6], v[155:156], -v[149:150]
	v_fma_f64 v[155:156], v[7:8], v[155:156], v[217:218]
	s_waitcnt vmcnt(52) lgkmcnt(0)
	v_mul_f64 v[219:220], v[137:138], v[157:158]
	v_add_f64 v[199:200], v[203:204], v[199:200]
	v_add_f64 v[141:142], v[141:142], v[161:162]
	s_clause 0x4
	buffer_load_dword v162, off, s[0:3], 0 offset:620
	buffer_load_dword v203, off, s[0:3], 0 offset:632
	;; [unrolled: 1-line block ×5, first 2 shown]
	v_mul_f64 v[157:158], v[139:140], v[157:158]
	s_waitcnt vmcnt(56)
	v_fma_f64 v[153:154], v[1:2], v[147:148], -v[153:154]
	ds_read_b128 v[5:8], v198 offset:1408
	v_fma_f64 v[147:148], v[3:4], v[147:148], v[213:214]
	v_add_f64 v[149:150], v[199:200], v[149:150]
	v_add_f64 v[141:142], v[141:142], v[155:156]
	s_clause 0x2
	buffer_load_dword v204, off, s[0:3], 0 offset:636
	buffer_load_dword v156, off, s[0:3], 0 offset:612
	;; [unrolled: 1-line block ×3, first 2 shown]
	s_waitcnt vmcnt(58) lgkmcnt(0)
	v_mul_f64 v[199:200], v[5:6], v[163:164]
	v_mul_f64 v[163:164], v[7:8], v[163:164]
	s_waitcnt vmcnt(56)
	v_fma_f64 v[157:158], v[137:138], v[165:166], -v[157:158]
	ds_read_b128 v[1:4], v198 offset:1424
	v_add_f64 v[149:150], v[149:150], v[153:154]
	v_fma_f64 v[153:154], v[139:140], v[165:166], v[219:220]
	v_add_f64 v[141:142], v[141:142], v[147:148]
	s_clause 0x4
	buffer_load_dword v148, off, s[0:3], 0 offset:652
	buffer_load_dword v165, off, s[0:3], 0 offset:664
	;; [unrolled: 1-line block ×5, first 2 shown]
	s_waitcnt vmcnt(57) lgkmcnt(0)
	v_mul_f64 v[214:215], v[1:2], v[167:168]
	v_mul_f64 v[167:168], v[3:4], v[167:168]
	s_waitcnt vmcnt(56)
	v_fma_f64 v[163:164], v[5:6], v[151:152], -v[163:164]
	ds_read_b128 v[137:140], v198 offset:1440
	v_fma_f64 v[151:152], v[7:8], v[151:152], v[199:200]
	v_add_f64 v[149:150], v[149:150], v[157:158]
	v_add_f64 v[141:142], v[141:142], v[153:154]
	s_clause 0x2
	buffer_load_dword v166, off, s[0:3], 0 offset:668
	buffer_load_dword v154, off, s[0:3], 0 offset:644
	;; [unrolled: 1-line block ×3, first 2 shown]
	ds_read_b128 v[5:8], v198 offset:1456
	s_waitcnt vmcnt(58) lgkmcnt(1)
	v_mul_f64 v[157:158], v[137:138], v[171:172]
	v_mul_f64 v[171:172], v[139:140], v[171:172]
	s_waitcnt vmcnt(56)
	v_fma_f64 v[167:168], v[1:2], v[173:174], -v[167:168]
	v_add_f64 v[149:150], v[149:150], v[163:164]
	v_fma_f64 v[163:164], v[3:4], v[173:174], v[214:215]
	v_add_f64 v[141:142], v[141:142], v[151:152]
	s_clause 0x4
	buffer_load_dword v152, off, s[0:3], 0 offset:684
	buffer_load_dword v173, off, s[0:3], 0 offset:696
	;; [unrolled: 1-line block ×5, first 2 shown]
	s_waitcnt vmcnt(57) lgkmcnt(0)
	v_mul_f64 v[220:221], v[5:6], v[175:176]
	v_mul_f64 v[175:176], v[7:8], v[175:176]
	s_waitcnt vmcnt(56)
	v_fma_f64 v[171:172], v[137:138], v[159:160], -v[171:172]
	ds_read_b128 v[1:4], v198 offset:1472
	v_fma_f64 v[157:158], v[139:140], v[159:160], v[157:158]
	s_clause 0x2
	buffer_load_dword v174, off, s[0:3], 0 offset:700
	buffer_load_dword v160, off, s[0:3], 0 offset:676
	buffer_load_dword v159, off, s[0:3], 0 offset:672
	ds_read_b128 v[137:140], v198 offset:1488
	v_add_f64 v[149:150], v[149:150], v[167:168]
	v_add_f64 v[141:142], v[141:142], v[163:164]
	s_waitcnt vmcnt(58) lgkmcnt(1)
	v_mul_f64 v[167:168], v[3:4], v[179:180]
	s_waitcnt vmcnt(56)
	v_fma_f64 v[175:176], v[5:6], v[181:182], -v[175:176]
	v_mul_f64 v[163:164], v[1:2], v[179:180]
	v_add_f64 v[149:150], v[149:150], v[171:172]
	v_fma_f64 v[171:172], v[7:8], v[181:182], v[220:221]
	v_add_f64 v[141:142], v[141:142], v[157:158]
	s_clause 0x4
	buffer_load_dword v158, off, s[0:3], 0 offset:716
	buffer_load_dword v179, off, s[0:3], 0 offset:728
	;; [unrolled: 1-line block ×5, first 2 shown]
	s_waitcnt vmcnt(57) lgkmcnt(0)
	v_mul_f64 v[220:221], v[137:138], v[183:184]
	v_mul_f64 v[182:183], v[139:140], v[183:184]
	s_waitcnt vmcnt(56)
	v_fma_f64 v[167:168], v[1:2], v[169:170], -v[167:168]
	ds_read_b128 v[5:8], v198 offset:1504
	v_fma_f64 v[163:164], v[3:4], v[169:170], v[163:164]
	s_clause 0x2
	buffer_load_dword v180, off, s[0:3], 0 offset:732
	buffer_load_dword v170, off, s[0:3], 0 offset:708
	;; [unrolled: 1-line block ×3, first 2 shown]
	ds_read_b128 v[1:4], v198 offset:1520
	v_add_f64 v[149:150], v[149:150], v[175:176]
	v_add_f64 v[141:142], v[141:142], v[171:172]
	s_waitcnt vmcnt(58) lgkmcnt(1)
	v_mul_f64 v[175:176], v[7:8], v[187:188]
	s_waitcnt vmcnt(56)
	v_fma_f64 v[183:184], v[137:138], v[189:190], -v[182:183]
	v_mul_f64 v[171:172], v[5:6], v[187:188]
	v_add_f64 v[149:150], v[149:150], v[167:168]
	v_fma_f64 v[167:168], v[139:140], v[189:190], v[220:221]
	v_add_f64 v[141:142], v[141:142], v[163:164]
	s_clause 0x4
	buffer_load_dword v164, off, s[0:3], 0 offset:748
	buffer_load_dword v187, off, s[0:3], 0 offset:760
	;; [unrolled: 1-line block ×5, first 2 shown]
	s_waitcnt vmcnt(57) lgkmcnt(0)
	v_mul_f64 v[220:221], v[1:2], v[191:192]
	v_mul_f64 v[190:191], v[3:4], v[191:192]
	s_waitcnt vmcnt(56)
	v_fma_f64 v[175:176], v[5:6], v[177:178], -v[175:176]
	ds_read_b128 v[137:140], v198 offset:1536
	v_fma_f64 v[171:172], v[7:8], v[177:178], v[171:172]
	v_add_f64 v[149:150], v[149:150], v[183:184]
	v_add_f64 v[141:142], v[141:142], v[167:168]
	s_clause 0x2
	buffer_load_dword v188, off, s[0:3], 0 offset:764
	buffer_load_dword v168, off, s[0:3], 0 offset:740
	;; [unrolled: 1-line block ×3, first 2 shown]
	ds_read_b128 v[5:8], v198 offset:1552
	s_waitcnt vmcnt(58) lgkmcnt(1)
	v_mul_f64 v[183:184], v[139:140], v[193:194]
	s_waitcnt vmcnt(56)
	v_fma_f64 v[191:192], v[1:2], v[195:196], -v[190:191]
	v_mul_f64 v[177:178], v[137:138], v[193:194]
	v_add_f64 v[149:150], v[149:150], v[175:176]
	v_fma_f64 v[175:176], v[3:4], v[195:196], v[220:221]
	v_add_f64 v[141:142], v[141:142], v[171:172]
	s_clause 0x4
	buffer_load_dword v172, off, s[0:3], 0 offset:780
	buffer_load_dword v193, off, s[0:3], 0 offset:792
	;; [unrolled: 1-line block ×5, first 2 shown]
	s_waitcnt vmcnt(57) lgkmcnt(0)
	v_mul_f64 v[220:221], v[5:6], v[205:206]
	v_mul_f64 v[205:206], v[7:8], v[205:206]
	s_waitcnt vmcnt(56)
	v_fma_f64 v[183:184], v[137:138], v[185:186], -v[183:184]
	ds_read_b128 v[1:4], v198 offset:1568
	v_fma_f64 v[177:178], v[139:140], v[185:186], v[177:178]
	v_add_f64 v[149:150], v[149:150], v[191:192]
	v_add_f64 v[141:142], v[141:142], v[175:176]
	s_clause 0x2
	buffer_load_dword v194, off, s[0:3], 0 offset:796
	buffer_load_dword v176, off, s[0:3], 0 offset:772
	;; [unrolled: 1-line block ×3, first 2 shown]
	ds_read_b128 v[137:140], v198 offset:1584
	s_waitcnt vmcnt(58) lgkmcnt(1)
	v_mul_f64 v[191:192], v[3:4], v[207:208]
	v_mul_f64 v[185:186], v[1:2], v[207:208]
	s_waitcnt vmcnt(56)
	v_fma_f64 v[205:206], v[5:6], v[145:146], -v[205:206]
	v_fma_f64 v[145:146], v[7:8], v[145:146], v[220:221]
	v_add_f64 v[149:150], v[149:150], v[183:184]
	v_add_f64 v[141:142], v[141:142], v[177:178]
	s_clause 0x4
	buffer_load_dword v178, off, s[0:3], 0 offset:812
	buffer_load_dword v183, off, s[0:3], 0 offset:824
	;; [unrolled: 1-line block ×5, first 2 shown]
	ds_read_b128 v[5:8], v198 offset:1600
	s_waitcnt vmcnt(57) lgkmcnt(1)
	v_mul_f64 v[220:221], v[137:138], v[143:144]
	v_mul_f64 v[143:144], v[139:140], v[143:144]
	s_waitcnt vmcnt(56)
	v_fma_f64 v[191:192], v[1:2], v[209:210], -v[191:192]
	v_fma_f64 v[185:186], v[3:4], v[209:210], v[185:186]
	v_add_f64 v[149:150], v[149:150], v[205:206]
	v_add_f64 v[141:142], v[141:142], v[145:146]
	s_clause 0x2
	buffer_load_dword v184, off, s[0:3], 0 offset:828
	buffer_load_dword v146, off, s[0:3], 0 offset:804
	;; [unrolled: 1-line block ×3, first 2 shown]
	s_waitcnt vmcnt(58) lgkmcnt(0)
	v_mul_f64 v[209:210], v[7:8], v[211:212]
	ds_read_b128 v[1:4], v198 offset:1616
	v_mul_f64 v[205:206], v[5:6], v[211:212]
	s_waitcnt vmcnt(56)
	v_fma_f64 v[143:144], v[137:138], v[201:202], -v[143:144]
	v_add_f64 v[149:150], v[149:150], v[191:192]
	v_fma_f64 v[191:192], v[139:140], v[201:202], v[220:221]
	v_add_f64 v[141:142], v[141:142], v[185:186]
	s_clause 0x4
	buffer_load_dword v186, off, s[0:3], 0 offset:844
	buffer_load_dword v201, off, s[0:3], 0 offset:856
	;; [unrolled: 1-line block ×5, first 2 shown]
	ds_read_b128 v[137:140], v198 offset:1632
	s_waitcnt vmcnt(57) lgkmcnt(1)
	v_mul_f64 v[220:221], v[1:2], v[161:162]
	v_mul_f64 v[161:162], v[3:4], v[161:162]
	s_waitcnt vmcnt(56)
	v_fma_f64 v[209:210], v[5:6], v[216:217], -v[209:210]
	v_add_f64 v[143:144], v[149:150], v[143:144]
	v_fma_f64 v[149:150], v[7:8], v[216:217], v[205:206]
	v_add_f64 v[141:142], v[141:142], v[191:192]
	s_clause 0x2
	buffer_load_dword v202, off, s[0:3], 0 offset:860
	buffer_load_dword v192, off, s[0:3], 0 offset:836
	;; [unrolled: 1-line block ×3, first 2 shown]
	ds_read_b128 v[5:8], v198 offset:1648
	s_waitcnt vmcnt(58) lgkmcnt(1)
	v_mul_f64 v[205:206], v[137:138], v[203:204]
	v_mul_f64 v[203:204], v[139:140], v[203:204]
	s_waitcnt vmcnt(56)
	v_fma_f64 v[161:162], v[1:2], v[155:156], -v[161:162]
	v_fma_f64 v[155:156], v[3:4], v[155:156], v[220:221]
	v_add_f64 v[143:144], v[143:144], v[209:210]
	v_add_f64 v[141:142], v[141:142], v[149:150]
	s_clause 0x4
	buffer_load_dword v150, off, s[0:3], 0 offset:876
	buffer_load_dword v209, off, s[0:3], 0 offset:888
	;; [unrolled: 1-line block ×5, first 2 shown]
	ds_read_b128 v[1:4], v198 offset:1664
	s_waitcnt vmcnt(57) lgkmcnt(1)
	v_mul_f64 v[216:217], v[5:6], v[147:148]
	v_mul_f64 v[147:148], v[7:8], v[147:148]
	s_waitcnt vmcnt(56)
	v_fma_f64 v[203:204], v[137:138], v[218:219], -v[203:204]
	v_add_f64 v[143:144], v[143:144], v[161:162]
	v_fma_f64 v[161:162], v[139:140], v[218:219], v[205:206]
	v_add_f64 v[141:142], v[141:142], v[155:156]
	s_clause 0x2
	buffer_load_dword v210, off, s[0:3], 0 offset:892
	buffer_load_dword v156, off, s[0:3], 0 offset:868
	;; [unrolled: 1-line block ×3, first 2 shown]
	ds_read_b128 v[137:140], v198 offset:1680
	s_waitcnt vmcnt(58) lgkmcnt(1)
	v_mul_f64 v[205:206], v[1:2], v[165:166]
	v_mul_f64 v[165:166], v[3:4], v[165:166]
	s_waitcnt vmcnt(56)
	v_fma_f64 v[147:148], v[5:6], v[153:154], -v[147:148]
	v_fma_f64 v[153:154], v[7:8], v[153:154], v[216:217]
	v_add_f64 v[143:144], v[143:144], v[203:204]
	v_add_f64 v[141:142], v[141:142], v[161:162]
	s_clause 0x4
	buffer_load_dword v162, off, s[0:3], 0 offset:908
	buffer_load_dword v203, off, s[0:3], 0 offset:920
	;; [unrolled: 1-line block ×5, first 2 shown]
	ds_read_b128 v[5:8], v198 offset:1696
	s_waitcnt vmcnt(57) lgkmcnt(1)
	v_mul_f64 v[218:219], v[137:138], v[151:152]
	v_mul_f64 v[151:152], v[139:140], v[151:152]
	s_waitcnt vmcnt(56)
	v_fma_f64 v[165:166], v[1:2], v[213:214], -v[165:166]
	v_add_f64 v[143:144], v[143:144], v[147:148]
	v_fma_f64 v[147:148], v[3:4], v[213:214], v[205:206]
	v_add_f64 v[141:142], v[141:142], v[153:154]
	s_clause 0x2
	buffer_load_dword v204, off, s[0:3], 0 offset:924
	buffer_load_dword v154, off, s[0:3], 0 offset:900
	;; [unrolled: 1-line block ×3, first 2 shown]
	s_waitcnt vmcnt(58) lgkmcnt(0)
	v_mul_f64 v[205:206], v[5:6], v[173:174]
	v_mul_f64 v[173:174], v[7:8], v[173:174]
	ds_read_b128 v[1:4], v198 offset:1712
	s_waitcnt vmcnt(56)
	v_fma_f64 v[151:152], v[137:138], v[159:160], -v[151:152]
	v_fma_f64 v[159:160], v[139:140], v[159:160], v[218:219]
	v_add_f64 v[143:144], v[143:144], v[165:166]
	v_add_f64 v[141:142], v[141:142], v[147:148]
	s_clause 0x4
	buffer_load_dword v148, off, s[0:3], 0 offset:940
	buffer_load_dword v165, off, s[0:3], 0 offset:952
	;; [unrolled: 1-line block ×5, first 2 shown]
	ds_read_b128 v[137:140], v198 offset:1728
	s_waitcnt vmcnt(57) lgkmcnt(1)
	v_mul_f64 v[219:220], v[1:2], v[157:158]
	v_mul_f64 v[157:158], v[3:4], v[157:158]
	s_waitcnt vmcnt(56)
	v_fma_f64 v[173:174], v[5:6], v[199:200], -v[173:174]
	v_add_f64 v[143:144], v[143:144], v[151:152]
	v_fma_f64 v[151:152], v[7:8], v[199:200], v[205:206]
	v_add_f64 v[141:142], v[141:142], v[159:160]
	s_clause 0x2
	buffer_load_dword v166, off, s[0:3], 0 offset:956
	buffer_load_dword v160, off, s[0:3], 0 offset:932
	;; [unrolled: 1-line block ×3, first 2 shown]
	s_waitcnt vmcnt(58) lgkmcnt(0)
	v_mul_f64 v[199:200], v[137:138], v[179:180]
	v_mul_f64 v[179:180], v[139:140], v[179:180]
	ds_read_b128 v[5:8], v198 offset:1744
	s_waitcnt vmcnt(56)
	v_fma_f64 v[157:158], v[1:2], v[169:170], -v[157:158]
	v_fma_f64 v[169:170], v[3:4], v[169:170], v[219:220]
	v_add_f64 v[143:144], v[143:144], v[173:174]
	v_add_f64 v[141:142], v[141:142], v[151:152]
	s_clause 0x4
	buffer_load_dword v152, off, s[0:3], 0 offset:972
	buffer_load_dword v173, off, s[0:3], 0 offset:984
	buffer_load_dword v205, off, s[0:3], 0 offset:976
	buffer_load_dword v151, off, s[0:3], 0 offset:968
	buffer_load_dword v214, off, s[0:3], 0 offset:948
	ds_read_b128 v[1:4], v198 offset:1760
	s_waitcnt vmcnt(57) lgkmcnt(1)
	v_mul_f64 v[219:220], v[5:6], v[163:164]
	v_mul_f64 v[163:164], v[7:8], v[163:164]
	s_waitcnt vmcnt(56)
	v_fma_f64 v[179:180], v[137:138], v[181:182], -v[179:180]
	v_add_f64 v[143:144], v[143:144], v[157:158]
	v_fma_f64 v[157:158], v[139:140], v[181:182], v[199:200]
	v_add_f64 v[141:142], v[141:142], v[169:170]
	s_clause 0x2
	buffer_load_dword v174, off, s[0:3], 0 offset:988
	buffer_load_dword v170, off, s[0:3], 0 offset:964
	;; [unrolled: 1-line block ×3, first 2 shown]
	ds_read_b128 v[137:140], v198 offset:1776
	s_waitcnt vmcnt(58) lgkmcnt(1)
	v_mul_f64 v[181:182], v[1:2], v[187:188]
	v_mul_f64 v[187:188], v[3:4], v[187:188]
	s_waitcnt vmcnt(56)
	v_fma_f64 v[163:164], v[5:6], v[167:168], -v[163:164]
	v_fma_f64 v[167:168], v[7:8], v[167:168], v[219:220]
	v_add_f64 v[143:144], v[143:144], v[179:180]
	v_add_f64 v[141:142], v[141:142], v[157:158]
	s_clause 0x4
	buffer_load_dword v158, off, s[0:3], 0 offset:1004
	buffer_load_dword v179, off, s[0:3], 0 offset:1016
	;; [unrolled: 1-line block ×5, first 2 shown]
	ds_read_b128 v[5:8], v198 offset:1792
	s_waitcnt vmcnt(57) lgkmcnt(1)
	v_mul_f64 v[219:220], v[137:138], v[171:172]
	v_mul_f64 v[171:172], v[139:140], v[171:172]
	s_waitcnt vmcnt(56)
	v_fma_f64 v[187:188], v[1:2], v[189:190], -v[187:188]
	v_add_f64 v[143:144], v[143:144], v[163:164]
	v_fma_f64 v[163:164], v[3:4], v[189:190], v[181:182]
	v_add_f64 v[141:142], v[141:142], v[167:168]
	s_clause 0x2
	buffer_load_dword v180, off, s[0:3], 0 offset:1020
	buffer_load_dword v168, off, s[0:3], 0 offset:996
	;; [unrolled: 1-line block ×3, first 2 shown]
	ds_read_b128 v[1:4], v198 offset:1808
	s_waitcnt vmcnt(58) lgkmcnt(1)
	v_mul_f64 v[189:190], v[7:8], v[193:194]
	v_mul_f64 v[181:182], v[5:6], v[193:194]
	s_waitcnt vmcnt(56)
	v_fma_f64 v[171:172], v[137:138], v[175:176], -v[171:172]
	v_fma_f64 v[175:176], v[139:140], v[175:176], v[219:220]
	v_add_f64 v[143:144], v[143:144], v[187:188]
	v_add_f64 v[141:142], v[141:142], v[163:164]
	s_clause 0x2
	buffer_load_dword v164, off, s[0:3], 0 offset:1036
	buffer_load_dword v163, off, s[0:3], 0 offset:1032
	;; [unrolled: 1-line block ×3, first 2 shown]
	ds_read_b128 v[137:140], v198 offset:1824
	s_waitcnt vmcnt(55) lgkmcnt(1)
	v_mul_f64 v[187:188], v[1:2], v[177:178]
	v_mul_f64 v[177:178], v[3:4], v[177:178]
	s_waitcnt vmcnt(54)
	v_fma_f64 v[189:190], v[5:6], v[195:196], -v[189:190]
	v_add_f64 v[143:144], v[143:144], v[171:172]
	v_fma_f64 v[171:172], v[7:8], v[195:196], v[181:182]
	v_add_f64 v[141:142], v[141:142], v[175:176]
	s_clause 0x1
	buffer_load_dword v176, off, s[0:3], 0 offset:1028
	buffer_load_dword v175, off, s[0:3], 0 offset:1024
	ds_read_b128 v[5:8], v198 offset:1840
	s_waitcnt vmcnt(55) lgkmcnt(1)
	v_mul_f64 v[181:182], v[137:138], v[183:184]
	v_mul_f64 v[183:184], v[139:140], v[183:184]
	s_waitcnt vmcnt(53)
	v_fma_f64 v[177:178], v[1:2], v[145:146], -v[177:178]
	v_fma_f64 v[145:146], v[3:4], v[145:146], v[187:188]
	ds_read_b128 v[1:4], v198 offset:1856
	v_add_f64 v[143:144], v[143:144], v[189:190]
	v_add_f64 v[141:142], v[141:142], v[171:172]
	s_waitcnt vmcnt(49) lgkmcnt(1)
	v_mul_f64 v[171:172], v[5:6], v[185:186]
	v_mul_f64 v[185:186], v[7:8], v[185:186]
	s_waitcnt vmcnt(48)
	v_fma_f64 v[183:184], v[137:138], v[207:208], -v[183:184]
	v_add_f64 v[143:144], v[143:144], v[177:178]
	v_fma_f64 v[177:178], v[139:140], v[207:208], v[181:182]
	v_add_f64 v[141:142], v[141:142], v[145:146]
	s_clause 0x3
	buffer_load_dword v145, off, s[0:3], 0 offset:288
	buffer_load_dword v146, off, s[0:3], 0 offset:292
	;; [unrolled: 1-line block ×4, first 2 shown]
	ds_read_b128 v[137:140], v198 offset:1872
	s_waitcnt vmcnt(51) lgkmcnt(1)
	v_mul_f64 v[189:190], v[3:4], v[201:202]
	v_mul_f64 v[187:188], v[1:2], v[201:202]
	s_waitcnt vmcnt(49)
	v_fma_f64 v[185:186], v[5:6], v[191:192], -v[185:186]
	v_fma_f64 v[171:172], v[7:8], v[191:192], v[171:172]
	ds_read_b128 v[5:8], v198 offset:1888
	v_add_f64 v[143:144], v[143:144], v[183:184]
	v_add_f64 v[141:142], v[141:142], v[177:178]
	s_waitcnt vmcnt(45) lgkmcnt(1)
	v_mul_f64 v[177:178], v[137:138], v[149:150]
	v_mul_f64 v[149:150], v[139:140], v[149:150]
	s_waitcnt vmcnt(44)
	v_fma_f64 v[183:184], v[1:2], v[211:212], -v[189:190]
	v_add_f64 v[143:144], v[143:144], v[185:186]
	v_fma_f64 v[185:186], v[3:4], v[211:212], v[187:188]
	v_add_f64 v[141:142], v[141:142], v[171:172]
	ds_read_b128 v[1:4], v198 offset:1904
	s_waitcnt vmcnt(43) lgkmcnt(1)
	v_mul_f64 v[187:188], v[7:8], v[209:210]
	v_mul_f64 v[171:172], v[5:6], v[209:210]
	s_waitcnt vmcnt(41)
	v_fma_f64 v[149:150], v[137:138], v[155:156], -v[149:150]
	v_fma_f64 v[155:156], v[139:140], v[155:156], v[177:178]
	ds_read_b128 v[137:140], v198 offset:1920
	v_add_f64 v[143:144], v[143:144], v[183:184]
	v_add_f64 v[141:142], v[141:142], v[185:186]
	s_waitcnt vmcnt(37) lgkmcnt(1)
	v_mul_f64 v[177:178], v[1:2], v[161:162]
	v_mul_f64 v[161:162], v[3:4], v[161:162]
	s_waitcnt vmcnt(36)
	v_fma_f64 v[183:184], v[5:6], v[215:216], -v[187:188]
	v_add_f64 v[143:144], v[143:144], v[149:150]
	v_fma_f64 v[149:150], v[7:8], v[215:216], v[171:172]
	v_add_f64 v[141:142], v[141:142], v[155:156]
	ds_read_b128 v[5:8], v198 offset:1936
	s_waitcnt vmcnt(35) lgkmcnt(1)
	v_mul_f64 v[171:172], v[139:140], v[203:204]
	v_mul_f64 v[155:156], v[137:138], v[203:204]
	s_waitcnt vmcnt(33)
	v_fma_f64 v[161:162], v[1:2], v[153:154], -v[161:162]
	v_fma_f64 v[153:154], v[3:4], v[153:154], v[177:178]
	ds_read_b128 v[1:4], v198 offset:1952
	v_add_f64 v[143:144], v[143:144], v[183:184]
	v_add_f64 v[141:142], v[141:142], v[149:150]
	s_waitcnt vmcnt(29) lgkmcnt(1)
	v_mul_f64 v[149:150], v[5:6], v[147:148]
	v_mul_f64 v[147:148], v[7:8], v[147:148]
	s_waitcnt vmcnt(28)
	v_fma_f64 v[171:172], v[137:138], v[217:218], -v[171:172]
	v_fma_f64 v[155:156], v[139:140], v[217:218], v[155:156]
	ds_read_b128 v[137:140], v198 offset:1968
	v_add_f64 v[143:144], v[143:144], v[161:162]
	v_add_f64 v[141:142], v[141:142], v[153:154]
	s_waitcnt vmcnt(27) lgkmcnt(1)
	v_mul_f64 v[161:162], v[3:4], v[165:166]
	v_mul_f64 v[153:154], v[1:2], v[165:166]
	s_waitcnt vmcnt(25)
	v_fma_f64 v[147:148], v[5:6], v[159:160], -v[147:148]
	v_fma_f64 v[149:150], v[7:8], v[159:160], v[149:150]
	ds_read_b128 v[5:8], v198 offset:1984
	v_add_f64 v[143:144], v[143:144], v[171:172]
	v_add_f64 v[141:142], v[141:142], v[155:156]
	s_waitcnt vmcnt(21) lgkmcnt(1)
	v_mul_f64 v[155:156], v[137:138], v[151:152]
	v_mul_f64 v[151:152], v[139:140], v[151:152]
	s_waitcnt vmcnt(20)
	v_fma_f64 v[159:160], v[1:2], v[213:214], -v[161:162]
	v_add_f64 v[143:144], v[143:144], v[147:148]
	v_fma_f64 v[147:148], v[3:4], v[213:214], v[153:154]
	v_add_f64 v[141:142], v[141:142], v[149:150]
	ds_read_b128 v[1:4], v198 offset:2000
	s_waitcnt vmcnt(19) lgkmcnt(1)
	v_mul_f64 v[153:154], v[7:8], v[173:174]
	v_mul_f64 v[149:150], v[5:6], v[173:174]
	s_waitcnt vmcnt(17)
	v_fma_f64 v[151:152], v[137:138], v[169:170], -v[151:152]
	v_fma_f64 v[155:156], v[139:140], v[169:170], v[155:156]
	ds_read_b128 v[137:140], v198 offset:2016
	v_add_f64 v[143:144], v[143:144], v[159:160]
	v_add_f64 v[141:142], v[141:142], v[147:148]
	s_waitcnt vmcnt(13) lgkmcnt(1)
	v_mul_f64 v[147:148], v[1:2], v[157:158]
	v_mul_f64 v[157:158], v[3:4], v[157:158]
	s_waitcnt vmcnt(12)
	v_fma_f64 v[153:154], v[5:6], v[205:206], -v[153:154]
	v_fma_f64 v[149:150], v[7:8], v[205:206], v[149:150]
	ds_read_b128 v[5:8], v198 offset:2032
	v_add_f64 v[143:144], v[143:144], v[151:152]
	v_add_f64 v[141:142], v[141:142], v[155:156]
	s_waitcnt vmcnt(11) lgkmcnt(1)
	v_mul_f64 v[155:156], v[139:140], v[179:180]
	v_mul_f64 v[151:152], v[137:138], v[179:180]
	s_waitcnt vmcnt(9)
	v_fma_f64 v[1:2], v[1:2], v[167:168], -v[157:158]
	v_fma_f64 v[3:4], v[3:4], v[167:168], v[147:148]
	v_add_f64 v[143:144], v[143:144], v[153:154]
	v_add_f64 v[141:142], v[141:142], v[149:150]
	s_waitcnt vmcnt(7) lgkmcnt(0)
	v_mul_f64 v[149:150], v[7:8], v[163:164]
	s_waitcnt vmcnt(6)
	v_fma_f64 v[137:138], v[137:138], v[199:200], -v[155:156]
	v_mul_f64 v[147:148], v[5:6], v[163:164]
	v_fma_f64 v[139:140], v[139:140], v[199:200], v[151:152]
	v_add_f64 v[1:2], v[143:144], v[1:2]
	v_add_f64 v[3:4], v[141:142], v[3:4]
	s_waitcnt vmcnt(4)
	v_fma_f64 v[5:6], v[5:6], v[175:176], -v[149:150]
	v_fma_f64 v[7:8], v[7:8], v[175:176], v[147:148]
	v_add_f64 v[1:2], v[1:2], v[137:138]
	v_add_f64 v[3:4], v[3:4], v[139:140]
	;; [unrolled: 1-line block ×4, first 2 shown]
	s_waitcnt vmcnt(2)
	v_add_f64 v[1:2], v[145:146], -v[1:2]
	s_waitcnt vmcnt(0)
	v_add_f64 v[3:4], v[181:182], -v[3:4]
	buffer_store_dword v2, off, s[0:3], 0 offset:292
	buffer_store_dword v1, off, s[0:3], 0 offset:288
	;; [unrolled: 1-line block ×4, first 2 shown]
	v_cmpx_lt_u32_e32 16, v0
	s_cbranch_execz .LBB127_377
; %bb.376:
	v_mov_b32_e32 v4, s62
	v_mov_b32_e32 v5, 0
	s_clause 0x3
	buffer_load_dword v1, v4, s[0:3], 0 offen
	buffer_load_dword v2, v4, s[0:3], 0 offen offset:4
	buffer_load_dword v3, v4, s[0:3], 0 offen offset:8
	;; [unrolled: 1-line block ×3, first 2 shown]
	buffer_store_dword v5, off, s[0:3], 0 offset:272
	buffer_store_dword v5, off, s[0:3], 0 offset:276
	;; [unrolled: 1-line block ×4, first 2 shown]
	s_waitcnt vmcnt(0)
	ds_write_b128 v197, v[1:4]
.LBB127_377:
	s_or_b32 exec_lo, exec_lo, s4
	s_waitcnt lgkmcnt(0)
	s_waitcnt_vscnt null, 0x0
	s_barrier
	buffer_gl0_inv
	s_clause 0x37
	buffer_load_dword v145, off, s[0:3], 0 offset:296
	buffer_load_dword v146, off, s[0:3], 0 offset:300
	;; [unrolled: 1-line block ×56, first 2 shown]
	v_mov_b32_e32 v198, 0
	s_mov_b32 s4, exec_lo
	ds_read_b128 v[5:8], v198 offset:1296
	s_clause 0x2
	buffer_load_dword v194, off, s[0:3], 0 offset:524
	buffer_load_dword v196, off, s[0:3], 0 offset:500
	;; [unrolled: 1-line block ×3, first 2 shown]
	ds_read_b128 v[1:4], v198 offset:1312
	s_clause 0x4
	buffer_load_dword v206, off, s[0:3], 0 offset:540
	buffer_load_dword v207, off, s[0:3], 0 offset:552
	;; [unrolled: 1-line block ×5, first 2 shown]
	ds_read_b128 v[199:202], v198 offset:1328
	s_waitcnt vmcnt(62) lgkmcnt(2)
	v_mul_f64 v[203:204], v[7:8], v[145:146]
	v_mul_f64 v[145:146], v[5:6], v[145:146]
	s_waitcnt vmcnt(60) lgkmcnt(1)
	v_mul_f64 v[210:211], v[3:4], v[141:142]
	v_mul_f64 v[141:142], v[1:2], v[141:142]
	;; [unrolled: 3-line block ×3, first 2 shown]
	v_fma_f64 v[203:204], v[5:6], v[143:144], -v[203:204]
	v_fma_f64 v[143:144], v[7:8], v[143:144], v[145:146]
	s_clause 0x2
	buffer_load_dword v208, off, s[0:3], 0 offset:556
	buffer_load_dword v146, off, s[0:3], 0 offset:532
	;; [unrolled: 1-line block ×3, first 2 shown]
	s_waitcnt vmcnt(57)
	v_fma_f64 v[214:215], v[1:2], v[137:138], -v[210:211]
	ds_read_b128 v[5:8], v198 offset:1344
	v_fma_f64 v[137:138], v[3:4], v[137:138], v[141:142]
	s_waitcnt vmcnt(51)
	v_fma_f64 v[199:200], v[199:200], v[161:162], -v[139:140]
	v_fma_f64 v[161:162], v[201:202], v[161:162], v[212:213]
	v_add_f64 v[203:204], v[203:204], 0
	v_add_f64 v[141:142], v[143:144], 0
	s_clause 0x4
	buffer_load_dword v144, off, s[0:3], 0 offset:572
	buffer_load_dword v211, off, s[0:3], 0 offset:584
	;; [unrolled: 1-line block ×5, first 2 shown]
	s_waitcnt lgkmcnt(0)
	v_mul_f64 v[217:218], v[5:6], v[149:150]
	v_mul_f64 v[149:150], v[7:8], v[149:150]
	ds_read_b128 v[1:4], v198 offset:1360
	s_clause 0x2
	buffer_load_dword v212, off, s[0:3], 0 offset:588
	buffer_load_dword v202, off, s[0:3], 0 offset:564
	;; [unrolled: 1-line block ×3, first 2 shown]
	v_add_f64 v[203:204], v[203:204], v[214:215]
	v_add_f64 v[141:142], v[141:142], v[137:138]
	ds_read_b128 v[137:140], v198 offset:1376
	s_waitcnt vmcnt(58) lgkmcnt(1)
	v_mul_f64 v[213:214], v[1:2], v[153:154]
	v_mul_f64 v[153:154], v[3:4], v[153:154]
	s_waitcnt vmcnt(56)
	v_fma_f64 v[149:150], v[5:6], v[155:156], -v[149:150]
	v_fma_f64 v[155:156], v[7:8], v[155:156], v[217:218]
	s_waitcnt vmcnt(52) lgkmcnt(0)
	v_mul_f64 v[219:220], v[137:138], v[157:158]
	v_add_f64 v[199:200], v[203:204], v[199:200]
	v_add_f64 v[141:142], v[141:142], v[161:162]
	s_clause 0x4
	buffer_load_dword v162, off, s[0:3], 0 offset:604
	buffer_load_dword v203, off, s[0:3], 0 offset:616
	;; [unrolled: 1-line block ×5, first 2 shown]
	v_mul_f64 v[157:158], v[139:140], v[157:158]
	s_waitcnt vmcnt(56)
	v_fma_f64 v[153:154], v[1:2], v[147:148], -v[153:154]
	ds_read_b128 v[5:8], v198 offset:1392
	v_fma_f64 v[147:148], v[3:4], v[147:148], v[213:214]
	v_add_f64 v[149:150], v[199:200], v[149:150]
	v_add_f64 v[141:142], v[141:142], v[155:156]
	s_clause 0x2
	buffer_load_dword v204, off, s[0:3], 0 offset:620
	buffer_load_dword v156, off, s[0:3], 0 offset:596
	buffer_load_dword v155, off, s[0:3], 0 offset:592
	s_waitcnt vmcnt(58) lgkmcnt(0)
	v_mul_f64 v[199:200], v[5:6], v[163:164]
	v_mul_f64 v[163:164], v[7:8], v[163:164]
	s_waitcnt vmcnt(56)
	v_fma_f64 v[157:158], v[137:138], v[165:166], -v[157:158]
	ds_read_b128 v[1:4], v198 offset:1408
	v_add_f64 v[149:150], v[149:150], v[153:154]
	v_fma_f64 v[153:154], v[139:140], v[165:166], v[219:220]
	v_add_f64 v[141:142], v[141:142], v[147:148]
	s_clause 0x4
	buffer_load_dword v148, off, s[0:3], 0 offset:636
	buffer_load_dword v165, off, s[0:3], 0 offset:648
	buffer_load_dword v213, off, s[0:3], 0 offset:640
	buffer_load_dword v147, off, s[0:3], 0 offset:632
	buffer_load_dword v219, off, s[0:3], 0 offset:612
	s_waitcnt vmcnt(57) lgkmcnt(0)
	v_mul_f64 v[214:215], v[1:2], v[167:168]
	v_mul_f64 v[167:168], v[3:4], v[167:168]
	s_waitcnt vmcnt(56)
	v_fma_f64 v[163:164], v[5:6], v[151:152], -v[163:164]
	ds_read_b128 v[137:140], v198 offset:1424
	v_fma_f64 v[151:152], v[7:8], v[151:152], v[199:200]
	v_add_f64 v[149:150], v[149:150], v[157:158]
	v_add_f64 v[141:142], v[141:142], v[153:154]
	s_clause 0x2
	buffer_load_dword v166, off, s[0:3], 0 offset:652
	buffer_load_dword v154, off, s[0:3], 0 offset:628
	;; [unrolled: 1-line block ×3, first 2 shown]
	ds_read_b128 v[5:8], v198 offset:1440
	s_waitcnt vmcnt(58) lgkmcnt(1)
	v_mul_f64 v[157:158], v[137:138], v[171:172]
	v_mul_f64 v[171:172], v[139:140], v[171:172]
	s_waitcnt vmcnt(56)
	v_fma_f64 v[167:168], v[1:2], v[173:174], -v[167:168]
	v_add_f64 v[149:150], v[149:150], v[163:164]
	v_fma_f64 v[163:164], v[3:4], v[173:174], v[214:215]
	v_add_f64 v[141:142], v[141:142], v[151:152]
	s_clause 0x4
	buffer_load_dword v152, off, s[0:3], 0 offset:668
	buffer_load_dword v173, off, s[0:3], 0 offset:680
	;; [unrolled: 1-line block ×5, first 2 shown]
	s_waitcnt vmcnt(57) lgkmcnt(0)
	v_mul_f64 v[220:221], v[5:6], v[175:176]
	v_mul_f64 v[175:176], v[7:8], v[175:176]
	s_waitcnt vmcnt(56)
	v_fma_f64 v[171:172], v[137:138], v[159:160], -v[171:172]
	ds_read_b128 v[1:4], v198 offset:1456
	v_fma_f64 v[157:158], v[139:140], v[159:160], v[157:158]
	s_clause 0x2
	buffer_load_dword v174, off, s[0:3], 0 offset:684
	buffer_load_dword v160, off, s[0:3], 0 offset:660
	;; [unrolled: 1-line block ×3, first 2 shown]
	ds_read_b128 v[137:140], v198 offset:1472
	v_add_f64 v[149:150], v[149:150], v[167:168]
	v_add_f64 v[141:142], v[141:142], v[163:164]
	s_waitcnt vmcnt(58) lgkmcnt(1)
	v_mul_f64 v[167:168], v[3:4], v[179:180]
	s_waitcnt vmcnt(56)
	v_fma_f64 v[175:176], v[5:6], v[181:182], -v[175:176]
	v_mul_f64 v[163:164], v[1:2], v[179:180]
	v_add_f64 v[149:150], v[149:150], v[171:172]
	v_fma_f64 v[171:172], v[7:8], v[181:182], v[220:221]
	v_add_f64 v[141:142], v[141:142], v[157:158]
	s_clause 0x4
	buffer_load_dword v158, off, s[0:3], 0 offset:700
	buffer_load_dword v179, off, s[0:3], 0 offset:712
	;; [unrolled: 1-line block ×5, first 2 shown]
	s_waitcnt vmcnt(57) lgkmcnt(0)
	v_mul_f64 v[220:221], v[137:138], v[183:184]
	v_mul_f64 v[182:183], v[139:140], v[183:184]
	s_waitcnt vmcnt(56)
	v_fma_f64 v[167:168], v[1:2], v[169:170], -v[167:168]
	ds_read_b128 v[5:8], v198 offset:1488
	v_fma_f64 v[163:164], v[3:4], v[169:170], v[163:164]
	s_clause 0x2
	buffer_load_dword v180, off, s[0:3], 0 offset:716
	buffer_load_dword v170, off, s[0:3], 0 offset:692
	;; [unrolled: 1-line block ×3, first 2 shown]
	ds_read_b128 v[1:4], v198 offset:1504
	v_add_f64 v[149:150], v[149:150], v[175:176]
	v_add_f64 v[141:142], v[141:142], v[171:172]
	s_waitcnt vmcnt(58) lgkmcnt(1)
	v_mul_f64 v[175:176], v[7:8], v[187:188]
	s_waitcnt vmcnt(56)
	v_fma_f64 v[183:184], v[137:138], v[189:190], -v[182:183]
	v_mul_f64 v[171:172], v[5:6], v[187:188]
	v_add_f64 v[149:150], v[149:150], v[167:168]
	v_fma_f64 v[167:168], v[139:140], v[189:190], v[220:221]
	v_add_f64 v[141:142], v[141:142], v[163:164]
	s_clause 0x4
	buffer_load_dword v164, off, s[0:3], 0 offset:732
	buffer_load_dword v187, off, s[0:3], 0 offset:744
	;; [unrolled: 1-line block ×5, first 2 shown]
	s_waitcnt vmcnt(57) lgkmcnt(0)
	v_mul_f64 v[220:221], v[1:2], v[191:192]
	v_mul_f64 v[190:191], v[3:4], v[191:192]
	s_waitcnt vmcnt(56)
	v_fma_f64 v[175:176], v[5:6], v[177:178], -v[175:176]
	ds_read_b128 v[137:140], v198 offset:1520
	v_fma_f64 v[171:172], v[7:8], v[177:178], v[171:172]
	v_add_f64 v[149:150], v[149:150], v[183:184]
	v_add_f64 v[141:142], v[141:142], v[167:168]
	s_clause 0x2
	buffer_load_dword v188, off, s[0:3], 0 offset:748
	buffer_load_dword v168, off, s[0:3], 0 offset:724
	;; [unrolled: 1-line block ×3, first 2 shown]
	ds_read_b128 v[5:8], v198 offset:1536
	s_waitcnt vmcnt(58) lgkmcnt(1)
	v_mul_f64 v[183:184], v[139:140], v[193:194]
	s_waitcnt vmcnt(56)
	v_fma_f64 v[191:192], v[1:2], v[195:196], -v[190:191]
	v_mul_f64 v[177:178], v[137:138], v[193:194]
	v_add_f64 v[149:150], v[149:150], v[175:176]
	v_fma_f64 v[175:176], v[3:4], v[195:196], v[220:221]
	v_add_f64 v[141:142], v[141:142], v[171:172]
	s_clause 0x4
	buffer_load_dword v172, off, s[0:3], 0 offset:764
	buffer_load_dword v193, off, s[0:3], 0 offset:776
	;; [unrolled: 1-line block ×5, first 2 shown]
	s_waitcnt vmcnt(57) lgkmcnt(0)
	v_mul_f64 v[220:221], v[5:6], v[205:206]
	v_mul_f64 v[205:206], v[7:8], v[205:206]
	s_waitcnt vmcnt(56)
	v_fma_f64 v[183:184], v[137:138], v[185:186], -v[183:184]
	ds_read_b128 v[1:4], v198 offset:1552
	v_fma_f64 v[177:178], v[139:140], v[185:186], v[177:178]
	v_add_f64 v[149:150], v[149:150], v[191:192]
	v_add_f64 v[141:142], v[141:142], v[175:176]
	s_clause 0x2
	buffer_load_dword v194, off, s[0:3], 0 offset:780
	buffer_load_dword v176, off, s[0:3], 0 offset:756
	buffer_load_dword v175, off, s[0:3], 0 offset:752
	ds_read_b128 v[137:140], v198 offset:1568
	s_waitcnt vmcnt(58) lgkmcnt(1)
	v_mul_f64 v[191:192], v[3:4], v[207:208]
	v_mul_f64 v[185:186], v[1:2], v[207:208]
	s_waitcnt vmcnt(56)
	v_fma_f64 v[205:206], v[5:6], v[145:146], -v[205:206]
	v_fma_f64 v[145:146], v[7:8], v[145:146], v[220:221]
	v_add_f64 v[149:150], v[149:150], v[183:184]
	v_add_f64 v[141:142], v[141:142], v[177:178]
	s_clause 0x4
	buffer_load_dword v178, off, s[0:3], 0 offset:796
	buffer_load_dword v183, off, s[0:3], 0 offset:808
	;; [unrolled: 1-line block ×5, first 2 shown]
	ds_read_b128 v[5:8], v198 offset:1584
	s_waitcnt vmcnt(57) lgkmcnt(1)
	v_mul_f64 v[220:221], v[137:138], v[143:144]
	v_mul_f64 v[143:144], v[139:140], v[143:144]
	s_waitcnt vmcnt(56)
	v_fma_f64 v[191:192], v[1:2], v[209:210], -v[191:192]
	v_fma_f64 v[185:186], v[3:4], v[209:210], v[185:186]
	v_add_f64 v[149:150], v[149:150], v[205:206]
	v_add_f64 v[141:142], v[141:142], v[145:146]
	s_clause 0x2
	buffer_load_dword v184, off, s[0:3], 0 offset:812
	buffer_load_dword v146, off, s[0:3], 0 offset:788
	;; [unrolled: 1-line block ×3, first 2 shown]
	s_waitcnt vmcnt(58) lgkmcnt(0)
	v_mul_f64 v[209:210], v[7:8], v[211:212]
	ds_read_b128 v[1:4], v198 offset:1600
	v_mul_f64 v[205:206], v[5:6], v[211:212]
	s_waitcnt vmcnt(56)
	v_fma_f64 v[143:144], v[137:138], v[201:202], -v[143:144]
	v_add_f64 v[149:150], v[149:150], v[191:192]
	v_fma_f64 v[191:192], v[139:140], v[201:202], v[220:221]
	v_add_f64 v[141:142], v[141:142], v[185:186]
	s_clause 0x4
	buffer_load_dword v186, off, s[0:3], 0 offset:828
	buffer_load_dword v201, off, s[0:3], 0 offset:840
	;; [unrolled: 1-line block ×5, first 2 shown]
	ds_read_b128 v[137:140], v198 offset:1616
	s_waitcnt vmcnt(57) lgkmcnt(1)
	v_mul_f64 v[220:221], v[1:2], v[161:162]
	v_mul_f64 v[161:162], v[3:4], v[161:162]
	s_waitcnt vmcnt(56)
	v_fma_f64 v[209:210], v[5:6], v[216:217], -v[209:210]
	v_add_f64 v[143:144], v[149:150], v[143:144]
	v_fma_f64 v[149:150], v[7:8], v[216:217], v[205:206]
	v_add_f64 v[141:142], v[141:142], v[191:192]
	s_clause 0x2
	buffer_load_dword v202, off, s[0:3], 0 offset:844
	buffer_load_dword v192, off, s[0:3], 0 offset:820
	buffer_load_dword v191, off, s[0:3], 0 offset:816
	ds_read_b128 v[5:8], v198 offset:1632
	s_waitcnt vmcnt(58) lgkmcnt(1)
	v_mul_f64 v[205:206], v[137:138], v[203:204]
	v_mul_f64 v[203:204], v[139:140], v[203:204]
	s_waitcnt vmcnt(56)
	v_fma_f64 v[161:162], v[1:2], v[155:156], -v[161:162]
	v_fma_f64 v[155:156], v[3:4], v[155:156], v[220:221]
	v_add_f64 v[143:144], v[143:144], v[209:210]
	v_add_f64 v[141:142], v[141:142], v[149:150]
	s_clause 0x4
	buffer_load_dword v150, off, s[0:3], 0 offset:860
	buffer_load_dword v209, off, s[0:3], 0 offset:872
	;; [unrolled: 1-line block ×5, first 2 shown]
	ds_read_b128 v[1:4], v198 offset:1648
	s_waitcnt vmcnt(57) lgkmcnt(1)
	v_mul_f64 v[216:217], v[5:6], v[147:148]
	v_mul_f64 v[147:148], v[7:8], v[147:148]
	s_waitcnt vmcnt(56)
	v_fma_f64 v[203:204], v[137:138], v[218:219], -v[203:204]
	v_add_f64 v[143:144], v[143:144], v[161:162]
	v_fma_f64 v[161:162], v[139:140], v[218:219], v[205:206]
	v_add_f64 v[141:142], v[141:142], v[155:156]
	s_clause 0x2
	buffer_load_dword v210, off, s[0:3], 0 offset:876
	buffer_load_dword v156, off, s[0:3], 0 offset:852
	;; [unrolled: 1-line block ×3, first 2 shown]
	ds_read_b128 v[137:140], v198 offset:1664
	s_waitcnt vmcnt(58) lgkmcnt(1)
	v_mul_f64 v[205:206], v[1:2], v[165:166]
	v_mul_f64 v[165:166], v[3:4], v[165:166]
	s_waitcnt vmcnt(56)
	v_fma_f64 v[147:148], v[5:6], v[153:154], -v[147:148]
	v_fma_f64 v[153:154], v[7:8], v[153:154], v[216:217]
	v_add_f64 v[143:144], v[143:144], v[203:204]
	v_add_f64 v[141:142], v[141:142], v[161:162]
	s_clause 0x4
	buffer_load_dword v162, off, s[0:3], 0 offset:892
	buffer_load_dword v203, off, s[0:3], 0 offset:904
	;; [unrolled: 1-line block ×5, first 2 shown]
	ds_read_b128 v[5:8], v198 offset:1680
	s_waitcnt vmcnt(57) lgkmcnt(1)
	v_mul_f64 v[218:219], v[137:138], v[151:152]
	v_mul_f64 v[151:152], v[139:140], v[151:152]
	s_waitcnt vmcnt(56)
	v_fma_f64 v[165:166], v[1:2], v[213:214], -v[165:166]
	v_add_f64 v[143:144], v[143:144], v[147:148]
	v_fma_f64 v[147:148], v[3:4], v[213:214], v[205:206]
	v_add_f64 v[141:142], v[141:142], v[153:154]
	s_clause 0x2
	buffer_load_dword v204, off, s[0:3], 0 offset:908
	buffer_load_dword v154, off, s[0:3], 0 offset:884
	;; [unrolled: 1-line block ×3, first 2 shown]
	s_waitcnt vmcnt(58) lgkmcnt(0)
	v_mul_f64 v[205:206], v[5:6], v[173:174]
	v_mul_f64 v[173:174], v[7:8], v[173:174]
	ds_read_b128 v[1:4], v198 offset:1696
	s_waitcnt vmcnt(56)
	v_fma_f64 v[151:152], v[137:138], v[159:160], -v[151:152]
	v_fma_f64 v[159:160], v[139:140], v[159:160], v[218:219]
	v_add_f64 v[143:144], v[143:144], v[165:166]
	v_add_f64 v[141:142], v[141:142], v[147:148]
	s_clause 0x4
	buffer_load_dword v148, off, s[0:3], 0 offset:924
	buffer_load_dword v165, off, s[0:3], 0 offset:936
	;; [unrolled: 1-line block ×5, first 2 shown]
	ds_read_b128 v[137:140], v198 offset:1712
	s_waitcnt vmcnt(57) lgkmcnt(1)
	v_mul_f64 v[219:220], v[1:2], v[157:158]
	v_mul_f64 v[157:158], v[3:4], v[157:158]
	s_waitcnt vmcnt(56)
	v_fma_f64 v[173:174], v[5:6], v[199:200], -v[173:174]
	v_add_f64 v[143:144], v[143:144], v[151:152]
	v_fma_f64 v[151:152], v[7:8], v[199:200], v[205:206]
	v_add_f64 v[141:142], v[141:142], v[159:160]
	s_clause 0x2
	buffer_load_dword v166, off, s[0:3], 0 offset:940
	buffer_load_dword v160, off, s[0:3], 0 offset:916
	;; [unrolled: 1-line block ×3, first 2 shown]
	s_waitcnt vmcnt(58) lgkmcnt(0)
	v_mul_f64 v[199:200], v[137:138], v[179:180]
	v_mul_f64 v[179:180], v[139:140], v[179:180]
	ds_read_b128 v[5:8], v198 offset:1728
	s_waitcnt vmcnt(56)
	v_fma_f64 v[157:158], v[1:2], v[169:170], -v[157:158]
	v_fma_f64 v[169:170], v[3:4], v[169:170], v[219:220]
	v_add_f64 v[143:144], v[143:144], v[173:174]
	v_add_f64 v[141:142], v[141:142], v[151:152]
	s_clause 0x4
	buffer_load_dword v152, off, s[0:3], 0 offset:956
	buffer_load_dword v173, off, s[0:3], 0 offset:968
	;; [unrolled: 1-line block ×5, first 2 shown]
	ds_read_b128 v[1:4], v198 offset:1744
	s_waitcnt vmcnt(57) lgkmcnt(1)
	v_mul_f64 v[219:220], v[5:6], v[163:164]
	v_mul_f64 v[163:164], v[7:8], v[163:164]
	s_waitcnt vmcnt(56)
	v_fma_f64 v[179:180], v[137:138], v[181:182], -v[179:180]
	v_add_f64 v[143:144], v[143:144], v[157:158]
	v_fma_f64 v[157:158], v[139:140], v[181:182], v[199:200]
	v_add_f64 v[141:142], v[141:142], v[169:170]
	s_clause 0x2
	buffer_load_dword v174, off, s[0:3], 0 offset:972
	buffer_load_dword v170, off, s[0:3], 0 offset:948
	;; [unrolled: 1-line block ×3, first 2 shown]
	ds_read_b128 v[137:140], v198 offset:1760
	s_waitcnt vmcnt(58) lgkmcnt(1)
	v_mul_f64 v[181:182], v[1:2], v[187:188]
	v_mul_f64 v[187:188], v[3:4], v[187:188]
	s_waitcnt vmcnt(56)
	v_fma_f64 v[163:164], v[5:6], v[167:168], -v[163:164]
	v_fma_f64 v[167:168], v[7:8], v[167:168], v[219:220]
	v_add_f64 v[143:144], v[143:144], v[179:180]
	v_add_f64 v[141:142], v[141:142], v[157:158]
	s_clause 0x4
	buffer_load_dword v158, off, s[0:3], 0 offset:988
	buffer_load_dword v179, off, s[0:3], 0 offset:1000
	;; [unrolled: 1-line block ×5, first 2 shown]
	ds_read_b128 v[5:8], v198 offset:1776
	s_waitcnt vmcnt(57) lgkmcnt(1)
	v_mul_f64 v[219:220], v[137:138], v[171:172]
	v_mul_f64 v[171:172], v[139:140], v[171:172]
	s_waitcnt vmcnt(56)
	v_fma_f64 v[187:188], v[1:2], v[189:190], -v[187:188]
	v_add_f64 v[143:144], v[143:144], v[163:164]
	v_fma_f64 v[163:164], v[3:4], v[189:190], v[181:182]
	v_add_f64 v[141:142], v[141:142], v[167:168]
	s_clause 0x2
	buffer_load_dword v180, off, s[0:3], 0 offset:1004
	buffer_load_dword v168, off, s[0:3], 0 offset:980
	;; [unrolled: 1-line block ×3, first 2 shown]
	ds_read_b128 v[1:4], v198 offset:1792
	s_waitcnt vmcnt(58) lgkmcnt(1)
	v_mul_f64 v[189:190], v[7:8], v[193:194]
	v_mul_f64 v[181:182], v[5:6], v[193:194]
	s_waitcnt vmcnt(56)
	v_fma_f64 v[171:172], v[137:138], v[175:176], -v[171:172]
	v_fma_f64 v[175:176], v[139:140], v[175:176], v[219:220]
	v_add_f64 v[143:144], v[143:144], v[187:188]
	v_add_f64 v[141:142], v[141:142], v[163:164]
	s_clause 0x4
	buffer_load_dword v164, off, s[0:3], 0 offset:1020
	buffer_load_dword v187, off, s[0:3], 0 offset:1032
	;; [unrolled: 1-line block ×5, first 2 shown]
	ds_read_b128 v[137:140], v198 offset:1808
	s_waitcnt vmcnt(57) lgkmcnt(1)
	v_mul_f64 v[219:220], v[1:2], v[177:178]
	v_mul_f64 v[177:178], v[3:4], v[177:178]
	s_waitcnt vmcnt(56)
	v_fma_f64 v[189:190], v[5:6], v[195:196], -v[189:190]
	v_add_f64 v[143:144], v[143:144], v[171:172]
	v_fma_f64 v[171:172], v[7:8], v[195:196], v[181:182]
	v_add_f64 v[141:142], v[141:142], v[175:176]
	s_clause 0x2
	buffer_load_dword v188, off, s[0:3], 0 offset:1036
	buffer_load_dword v176, off, s[0:3], 0 offset:1012
	;; [unrolled: 1-line block ×3, first 2 shown]
	ds_read_b128 v[5:8], v198 offset:1824
	buffer_load_dword v194, off, s[0:3], 0 offset:1028
	s_waitcnt vmcnt(59) lgkmcnt(1)
	v_mul_f64 v[181:182], v[137:138], v[183:184]
	v_mul_f64 v[183:184], v[139:140], v[183:184]
	s_waitcnt vmcnt(57)
	v_fma_f64 v[177:178], v[1:2], v[145:146], -v[177:178]
	v_fma_f64 v[145:146], v[3:4], v[145:146], v[219:220]
	ds_read_b128 v[1:4], v198 offset:1840
	v_add_f64 v[143:144], v[143:144], v[189:190]
	v_add_f64 v[141:142], v[141:142], v[171:172]
	s_waitcnt vmcnt(53) lgkmcnt(1)
	v_mul_f64 v[171:172], v[5:6], v[185:186]
	v_mul_f64 v[185:186], v[7:8], v[185:186]
	s_waitcnt vmcnt(52)
	v_fma_f64 v[183:184], v[137:138], v[207:208], -v[183:184]
	v_add_f64 v[143:144], v[143:144], v[177:178]
	v_fma_f64 v[177:178], v[139:140], v[207:208], v[181:182]
	v_add_f64 v[141:142], v[141:142], v[145:146]
	ds_read_b128 v[137:140], v198 offset:1856
	s_waitcnt vmcnt(51) lgkmcnt(1)
	v_mul_f64 v[181:182], v[3:4], v[201:202]
	v_mul_f64 v[145:146], v[1:2], v[201:202]
	s_waitcnt vmcnt(49)
	v_fma_f64 v[185:186], v[5:6], v[191:192], -v[185:186]
	v_fma_f64 v[171:172], v[7:8], v[191:192], v[171:172]
	v_add_f64 v[143:144], v[143:144], v[183:184]
	v_add_f64 v[141:142], v[141:142], v[177:178]
	s_clause 0x3
	buffer_load_dword v177, off, s[0:3], 0 offset:272
	buffer_load_dword v178, off, s[0:3], 0 offset:276
	buffer_load_dword v183, off, s[0:3], 0 offset:280
	buffer_load_dword v184, off, s[0:3], 0 offset:284
	ds_read_b128 v[5:8], v198 offset:1872
	s_waitcnt vmcnt(49) lgkmcnt(1)
	v_mul_f64 v[189:190], v[137:138], v[149:150]
	v_mul_f64 v[149:150], v[139:140], v[149:150]
	s_waitcnt vmcnt(48)
	v_fma_f64 v[181:182], v[1:2], v[211:212], -v[181:182]
	v_fma_f64 v[145:146], v[3:4], v[211:212], v[145:146]
	ds_read_b128 v[1:4], v198 offset:1888
	v_add_f64 v[143:144], v[143:144], v[185:186]
	v_add_f64 v[141:142], v[141:142], v[171:172]
	s_waitcnt vmcnt(47) lgkmcnt(1)
	v_mul_f64 v[185:186], v[7:8], v[209:210]
	v_mul_f64 v[171:172], v[5:6], v[209:210]
	s_waitcnt vmcnt(45)
	v_fma_f64 v[149:150], v[137:138], v[155:156], -v[149:150]
	v_fma_f64 v[155:156], v[139:140], v[155:156], v[189:190]
	ds_read_b128 v[137:140], v198 offset:1904
	v_add_f64 v[143:144], v[143:144], v[181:182]
	v_add_f64 v[141:142], v[141:142], v[145:146]
	s_waitcnt vmcnt(41) lgkmcnt(1)
	v_mul_f64 v[145:146], v[1:2], v[161:162]
	v_mul_f64 v[161:162], v[3:4], v[161:162]
	s_waitcnt vmcnt(40)
	v_fma_f64 v[181:182], v[5:6], v[215:216], -v[185:186]
	v_add_f64 v[143:144], v[143:144], v[149:150]
	v_fma_f64 v[149:150], v[7:8], v[215:216], v[171:172]
	v_add_f64 v[141:142], v[141:142], v[155:156]
	ds_read_b128 v[5:8], v198 offset:1920
	s_waitcnt vmcnt(39) lgkmcnt(1)
	v_mul_f64 v[171:172], v[139:140], v[203:204]
	v_mul_f64 v[155:156], v[137:138], v[203:204]
	s_waitcnt vmcnt(37)
	v_fma_f64 v[161:162], v[1:2], v[153:154], -v[161:162]
	v_fma_f64 v[145:146], v[3:4], v[153:154], v[145:146]
	ds_read_b128 v[1:4], v198 offset:1936
	v_add_f64 v[143:144], v[143:144], v[181:182]
	v_add_f64 v[141:142], v[141:142], v[149:150]
	s_waitcnt vmcnt(33) lgkmcnt(1)
	v_mul_f64 v[149:150], v[5:6], v[147:148]
	v_mul_f64 v[147:148], v[7:8], v[147:148]
	s_waitcnt vmcnt(32)
	v_fma_f64 v[153:154], v[137:138], v[217:218], -v[171:172]
	v_fma_f64 v[155:156], v[139:140], v[217:218], v[155:156]
	ds_read_b128 v[137:140], v198 offset:1952
	v_add_f64 v[143:144], v[143:144], v[161:162]
	v_add_f64 v[141:142], v[141:142], v[145:146]
	;; [unrolled: 9-line block ×5, first 2 shown]
	s_waitcnt vmcnt(17) lgkmcnt(1)
	v_mul_f64 v[155:156], v[3:4], v[157:158]
	s_waitcnt vmcnt(16)
	v_fma_f64 v[149:150], v[5:6], v[205:206], -v[149:150]
	v_mul_f64 v[145:146], v[1:2], v[157:158]
	v_fma_f64 v[147:148], v[7:8], v[205:206], v[147:148]
	ds_read_b128 v[5:8], v198 offset:2016
	v_add_f64 v[143:144], v[143:144], v[151:152]
	v_add_f64 v[141:142], v[141:142], v[153:154]
	s_waitcnt vmcnt(15) lgkmcnt(1)
	v_mul_f64 v[153:154], v[139:140], v[179:180]
	v_mul_f64 v[151:152], v[137:138], v[179:180]
	s_waitcnt vmcnt(13)
	v_fma_f64 v[155:156], v[1:2], v[167:168], -v[155:156]
	v_fma_f64 v[145:146], v[3:4], v[167:168], v[145:146]
	ds_read_b128 v[1:4], v198 offset:2032
	v_add_f64 v[143:144], v[143:144], v[149:150]
	v_add_f64 v[141:142], v[141:142], v[147:148]
	s_waitcnt vmcnt(9) lgkmcnt(1)
	v_mul_f64 v[149:150], v[7:8], v[163:164]
	s_waitcnt vmcnt(8)
	v_fma_f64 v[137:138], v[137:138], v[199:200], -v[153:154]
	v_mul_f64 v[147:148], v[5:6], v[163:164]
	v_fma_f64 v[139:140], v[139:140], v[199:200], v[151:152]
	v_add_f64 v[143:144], v[143:144], v[155:156]
	v_add_f64 v[141:142], v[141:142], v[145:146]
	s_waitcnt vmcnt(7) lgkmcnt(0)
	v_mul_f64 v[151:152], v[3:4], v[187:188]
	v_mul_f64 v[145:146], v[1:2], v[187:188]
	s_waitcnt vmcnt(5)
	v_fma_f64 v[5:6], v[5:6], v[175:176], -v[149:150]
	v_fma_f64 v[7:8], v[7:8], v[175:176], v[147:148]
	v_add_f64 v[137:138], v[143:144], v[137:138]
	v_add_f64 v[139:140], v[141:142], v[139:140]
	s_waitcnt vmcnt(4)
	v_fma_f64 v[1:2], v[1:2], v[193:194], -v[151:152]
	v_fma_f64 v[3:4], v[3:4], v[193:194], v[145:146]
	v_add_f64 v[5:6], v[137:138], v[5:6]
	v_add_f64 v[7:8], v[139:140], v[7:8]
	;; [unrolled: 1-line block ×4, first 2 shown]
	s_waitcnt vmcnt(2)
	v_add_f64 v[1:2], v[177:178], -v[1:2]
	s_waitcnt vmcnt(0)
	v_add_f64 v[3:4], v[183:184], -v[3:4]
	buffer_store_dword v2, off, s[0:3], 0 offset:276
	buffer_store_dword v1, off, s[0:3], 0 offset:272
	;; [unrolled: 1-line block ×4, first 2 shown]
	v_cmpx_lt_u32_e32 15, v0
	s_cbranch_execz .LBB127_379
; %bb.378:
	v_mov_b32_e32 v4, s63
	s_clause 0x3
	buffer_load_dword v1, v4, s[0:3], 0 offen
	buffer_load_dword v2, v4, s[0:3], 0 offen offset:4
	buffer_load_dword v3, v4, s[0:3], 0 offen offset:8
	;; [unrolled: 1-line block ×3, first 2 shown]
	buffer_store_dword v198, off, s[0:3], 0 offset:256
	buffer_store_dword v198, off, s[0:3], 0 offset:260
	;; [unrolled: 1-line block ×4, first 2 shown]
	s_waitcnt vmcnt(0)
	ds_write_b128 v197, v[1:4]
.LBB127_379:
	s_or_b32 exec_lo, exec_lo, s4
	s_waitcnt lgkmcnt(0)
	s_waitcnt_vscnt null, 0x0
	s_barrier
	buffer_gl0_inv
	s_clause 0x37
	buffer_load_dword v145, off, s[0:3], 0 offset:280
	buffer_load_dword v146, off, s[0:3], 0 offset:284
	buffer_load_dword v141, off, s[0:3], 0 offset:296
	buffer_load_dword v142, off, s[0:3], 0 offset:300
	buffer_load_dword v143, off, s[0:3], 0 offset:272
	buffer_load_dword v144, off, s[0:3], 0 offset:276
	buffer_load_dword v139, off, s[0:3], 0 offset:312
	buffer_load_dword v140, off, s[0:3], 0 offset:316
	buffer_load_dword v137, off, s[0:3], 0 offset:288
	buffer_load_dword v138, off, s[0:3], 0 offset:292
	buffer_load_dword v150, off, s[0:3], 0 offset:332
	buffer_load_dword v153, off, s[0:3], 0 offset:344
	buffer_load_dword v147, off, s[0:3], 0 offset:336
	buffer_load_dword v149, off, s[0:3], 0 offset:328
	buffer_load_dword v161, off, s[0:3], 0 offset:304
	buffer_load_dword v162, off, s[0:3], 0 offset:308
	buffer_load_dword v154, off, s[0:3], 0 offset:348
	buffer_load_dword v156, off, s[0:3], 0 offset:324
	buffer_load_dword v155, off, s[0:3], 0 offset:320
	buffer_load_dword v158, off, s[0:3], 0 offset:364
	buffer_load_dword v163, off, s[0:3], 0 offset:376
	buffer_load_dword v151, off, s[0:3], 0 offset:368
	buffer_load_dword v157, off, s[0:3], 0 offset:360
	buffer_load_dword v148, off, s[0:3], 0 offset:340
	buffer_load_dword v164, off, s[0:3], 0 offset:380
	buffer_load_dword v166, off, s[0:3], 0 offset:356
	buffer_load_dword v165, off, s[0:3], 0 offset:352
	buffer_load_dword v168, off, s[0:3], 0 offset:396
	buffer_load_dword v171, off, s[0:3], 0 offset:408
	buffer_load_dword v159, off, s[0:3], 0 offset:400
	buffer_load_dword v167, off, s[0:3], 0 offset:392
	buffer_load_dword v152, off, s[0:3], 0 offset:372
	buffer_load_dword v172, off, s[0:3], 0 offset:412
	buffer_load_dword v174, off, s[0:3], 0 offset:388
	buffer_load_dword v173, off, s[0:3], 0 offset:384
	buffer_load_dword v176, off, s[0:3], 0 offset:428
	buffer_load_dword v179, off, s[0:3], 0 offset:440
	buffer_load_dword v169, off, s[0:3], 0 offset:432
	buffer_load_dword v175, off, s[0:3], 0 offset:424
	buffer_load_dword v160, off, s[0:3], 0 offset:404
	buffer_load_dword v180, off, s[0:3], 0 offset:444
	buffer_load_dword v182, off, s[0:3], 0 offset:420
	buffer_load_dword v181, off, s[0:3], 0 offset:416
	buffer_load_dword v184, off, s[0:3], 0 offset:460
	buffer_load_dword v187, off, s[0:3], 0 offset:472
	buffer_load_dword v177, off, s[0:3], 0 offset:464
	buffer_load_dword v183, off, s[0:3], 0 offset:456
	buffer_load_dword v170, off, s[0:3], 0 offset:436
	buffer_load_dword v188, off, s[0:3], 0 offset:476
	buffer_load_dword v190, off, s[0:3], 0 offset:452
	buffer_load_dword v189, off, s[0:3], 0 offset:448
	buffer_load_dword v192, off, s[0:3], 0 offset:492
	buffer_load_dword v193, off, s[0:3], 0 offset:504
	buffer_load_dword v185, off, s[0:3], 0 offset:496
	buffer_load_dword v191, off, s[0:3], 0 offset:488
	buffer_load_dword v178, off, s[0:3], 0 offset:468
	ds_read_b128 v[5:8], v198 offset:1280
	s_clause 0x2
	buffer_load_dword v194, off, s[0:3], 0 offset:508
	buffer_load_dword v196, off, s[0:3], 0 offset:484
	;; [unrolled: 1-line block ×3, first 2 shown]
	ds_read_b128 v[1:4], v198 offset:1296
	s_clause 0x4
	buffer_load_dword v206, off, s[0:3], 0 offset:524
	buffer_load_dword v207, off, s[0:3], 0 offset:536
	;; [unrolled: 1-line block ×5, first 2 shown]
	ds_read_b128 v[199:202], v198 offset:1312
	s_mov_b32 s4, exec_lo
	s_waitcnt vmcnt(62) lgkmcnt(2)
	v_mul_f64 v[203:204], v[7:8], v[145:146]
	v_mul_f64 v[145:146], v[5:6], v[145:146]
	s_waitcnt vmcnt(60) lgkmcnt(1)
	v_mul_f64 v[210:211], v[3:4], v[141:142]
	v_mul_f64 v[141:142], v[1:2], v[141:142]
	;; [unrolled: 3-line block ×3, first 2 shown]
	v_fma_f64 v[203:204], v[5:6], v[143:144], -v[203:204]
	v_fma_f64 v[143:144], v[7:8], v[143:144], v[145:146]
	s_clause 0x2
	buffer_load_dword v208, off, s[0:3], 0 offset:540
	buffer_load_dword v146, off, s[0:3], 0 offset:516
	buffer_load_dword v145, off, s[0:3], 0 offset:512
	s_waitcnt vmcnt(57)
	v_fma_f64 v[214:215], v[1:2], v[137:138], -v[210:211]
	ds_read_b128 v[5:8], v198 offset:1328
	v_fma_f64 v[137:138], v[3:4], v[137:138], v[141:142]
	s_waitcnt vmcnt(51)
	v_fma_f64 v[199:200], v[199:200], v[161:162], -v[139:140]
	v_fma_f64 v[161:162], v[201:202], v[161:162], v[212:213]
	v_add_f64 v[203:204], v[203:204], 0
	v_add_f64 v[141:142], v[143:144], 0
	s_clause 0x4
	buffer_load_dword v144, off, s[0:3], 0 offset:556
	buffer_load_dword v211, off, s[0:3], 0 offset:568
	;; [unrolled: 1-line block ×5, first 2 shown]
	s_waitcnt lgkmcnt(0)
	v_mul_f64 v[217:218], v[5:6], v[149:150]
	v_mul_f64 v[149:150], v[7:8], v[149:150]
	ds_read_b128 v[1:4], v198 offset:1344
	s_clause 0x2
	buffer_load_dword v212, off, s[0:3], 0 offset:572
	buffer_load_dword v202, off, s[0:3], 0 offset:548
	;; [unrolled: 1-line block ×3, first 2 shown]
	v_add_f64 v[203:204], v[203:204], v[214:215]
	v_add_f64 v[141:142], v[141:142], v[137:138]
	ds_read_b128 v[137:140], v198 offset:1360
	s_waitcnt vmcnt(58) lgkmcnt(1)
	v_mul_f64 v[213:214], v[1:2], v[153:154]
	v_mul_f64 v[153:154], v[3:4], v[153:154]
	s_waitcnt vmcnt(56)
	v_fma_f64 v[149:150], v[5:6], v[155:156], -v[149:150]
	v_fma_f64 v[155:156], v[7:8], v[155:156], v[217:218]
	s_waitcnt vmcnt(52) lgkmcnt(0)
	v_mul_f64 v[219:220], v[137:138], v[157:158]
	v_add_f64 v[199:200], v[203:204], v[199:200]
	v_add_f64 v[141:142], v[141:142], v[161:162]
	s_clause 0x4
	buffer_load_dword v162, off, s[0:3], 0 offset:588
	buffer_load_dword v203, off, s[0:3], 0 offset:600
	;; [unrolled: 1-line block ×5, first 2 shown]
	v_mul_f64 v[157:158], v[139:140], v[157:158]
	s_waitcnt vmcnt(56)
	v_fma_f64 v[153:154], v[1:2], v[147:148], -v[153:154]
	ds_read_b128 v[5:8], v198 offset:1376
	v_fma_f64 v[147:148], v[3:4], v[147:148], v[213:214]
	v_add_f64 v[149:150], v[199:200], v[149:150]
	v_add_f64 v[141:142], v[141:142], v[155:156]
	s_clause 0x2
	buffer_load_dword v204, off, s[0:3], 0 offset:604
	buffer_load_dword v156, off, s[0:3], 0 offset:580
	;; [unrolled: 1-line block ×3, first 2 shown]
	s_waitcnt vmcnt(58) lgkmcnt(0)
	v_mul_f64 v[199:200], v[5:6], v[163:164]
	v_mul_f64 v[163:164], v[7:8], v[163:164]
	s_waitcnt vmcnt(56)
	v_fma_f64 v[157:158], v[137:138], v[165:166], -v[157:158]
	ds_read_b128 v[1:4], v198 offset:1392
	v_add_f64 v[149:150], v[149:150], v[153:154]
	v_fma_f64 v[153:154], v[139:140], v[165:166], v[219:220]
	v_add_f64 v[141:142], v[141:142], v[147:148]
	s_clause 0x4
	buffer_load_dword v148, off, s[0:3], 0 offset:620
	buffer_load_dword v165, off, s[0:3], 0 offset:632
	;; [unrolled: 1-line block ×5, first 2 shown]
	s_waitcnt vmcnt(57) lgkmcnt(0)
	v_mul_f64 v[214:215], v[1:2], v[167:168]
	v_mul_f64 v[167:168], v[3:4], v[167:168]
	s_waitcnt vmcnt(56)
	v_fma_f64 v[163:164], v[5:6], v[151:152], -v[163:164]
	ds_read_b128 v[137:140], v198 offset:1408
	v_fma_f64 v[151:152], v[7:8], v[151:152], v[199:200]
	v_add_f64 v[149:150], v[149:150], v[157:158]
	v_add_f64 v[141:142], v[141:142], v[153:154]
	s_clause 0x2
	buffer_load_dword v166, off, s[0:3], 0 offset:636
	buffer_load_dword v154, off, s[0:3], 0 offset:612
	;; [unrolled: 1-line block ×3, first 2 shown]
	ds_read_b128 v[5:8], v198 offset:1424
	s_waitcnt vmcnt(58) lgkmcnt(1)
	v_mul_f64 v[157:158], v[137:138], v[171:172]
	v_mul_f64 v[171:172], v[139:140], v[171:172]
	s_waitcnt vmcnt(56)
	v_fma_f64 v[167:168], v[1:2], v[173:174], -v[167:168]
	v_add_f64 v[149:150], v[149:150], v[163:164]
	v_fma_f64 v[163:164], v[3:4], v[173:174], v[214:215]
	v_add_f64 v[141:142], v[141:142], v[151:152]
	s_clause 0x4
	buffer_load_dword v152, off, s[0:3], 0 offset:652
	buffer_load_dword v173, off, s[0:3], 0 offset:664
	;; [unrolled: 1-line block ×5, first 2 shown]
	s_waitcnt vmcnt(57) lgkmcnt(0)
	v_mul_f64 v[220:221], v[5:6], v[175:176]
	v_mul_f64 v[175:176], v[7:8], v[175:176]
	s_waitcnt vmcnt(56)
	v_fma_f64 v[171:172], v[137:138], v[159:160], -v[171:172]
	ds_read_b128 v[1:4], v198 offset:1440
	v_fma_f64 v[157:158], v[139:140], v[159:160], v[157:158]
	s_clause 0x2
	buffer_load_dword v174, off, s[0:3], 0 offset:668
	buffer_load_dword v160, off, s[0:3], 0 offset:644
	;; [unrolled: 1-line block ×3, first 2 shown]
	ds_read_b128 v[137:140], v198 offset:1456
	v_add_f64 v[149:150], v[149:150], v[167:168]
	v_add_f64 v[141:142], v[141:142], v[163:164]
	s_waitcnt vmcnt(58) lgkmcnt(1)
	v_mul_f64 v[167:168], v[3:4], v[179:180]
	s_waitcnt vmcnt(56)
	v_fma_f64 v[175:176], v[5:6], v[181:182], -v[175:176]
	v_mul_f64 v[163:164], v[1:2], v[179:180]
	v_add_f64 v[149:150], v[149:150], v[171:172]
	v_fma_f64 v[171:172], v[7:8], v[181:182], v[220:221]
	v_add_f64 v[141:142], v[141:142], v[157:158]
	s_clause 0x4
	buffer_load_dword v158, off, s[0:3], 0 offset:684
	buffer_load_dword v179, off, s[0:3], 0 offset:696
	;; [unrolled: 1-line block ×5, first 2 shown]
	s_waitcnt vmcnt(57) lgkmcnt(0)
	v_mul_f64 v[220:221], v[137:138], v[183:184]
	v_mul_f64 v[182:183], v[139:140], v[183:184]
	s_waitcnt vmcnt(56)
	v_fma_f64 v[167:168], v[1:2], v[169:170], -v[167:168]
	ds_read_b128 v[5:8], v198 offset:1472
	v_fma_f64 v[163:164], v[3:4], v[169:170], v[163:164]
	s_clause 0x2
	buffer_load_dword v180, off, s[0:3], 0 offset:700
	buffer_load_dword v170, off, s[0:3], 0 offset:676
	;; [unrolled: 1-line block ×3, first 2 shown]
	ds_read_b128 v[1:4], v198 offset:1488
	v_add_f64 v[149:150], v[149:150], v[175:176]
	v_add_f64 v[141:142], v[141:142], v[171:172]
	s_waitcnt vmcnt(58) lgkmcnt(1)
	v_mul_f64 v[175:176], v[7:8], v[187:188]
	s_waitcnt vmcnt(56)
	v_fma_f64 v[183:184], v[137:138], v[189:190], -v[182:183]
	v_mul_f64 v[171:172], v[5:6], v[187:188]
	v_add_f64 v[149:150], v[149:150], v[167:168]
	v_fma_f64 v[167:168], v[139:140], v[189:190], v[220:221]
	v_add_f64 v[141:142], v[141:142], v[163:164]
	s_clause 0x4
	buffer_load_dword v164, off, s[0:3], 0 offset:716
	buffer_load_dword v187, off, s[0:3], 0 offset:728
	;; [unrolled: 1-line block ×5, first 2 shown]
	s_waitcnt vmcnt(57) lgkmcnt(0)
	v_mul_f64 v[220:221], v[1:2], v[191:192]
	v_mul_f64 v[190:191], v[3:4], v[191:192]
	s_waitcnt vmcnt(56)
	v_fma_f64 v[175:176], v[5:6], v[177:178], -v[175:176]
	ds_read_b128 v[137:140], v198 offset:1504
	v_fma_f64 v[171:172], v[7:8], v[177:178], v[171:172]
	v_add_f64 v[149:150], v[149:150], v[183:184]
	v_add_f64 v[141:142], v[141:142], v[167:168]
	s_clause 0x2
	buffer_load_dword v188, off, s[0:3], 0 offset:732
	buffer_load_dword v168, off, s[0:3], 0 offset:708
	buffer_load_dword v167, off, s[0:3], 0 offset:704
	ds_read_b128 v[5:8], v198 offset:1520
	s_waitcnt vmcnt(58) lgkmcnt(1)
	v_mul_f64 v[183:184], v[139:140], v[193:194]
	s_waitcnt vmcnt(56)
	v_fma_f64 v[191:192], v[1:2], v[195:196], -v[190:191]
	v_mul_f64 v[177:178], v[137:138], v[193:194]
	v_add_f64 v[149:150], v[149:150], v[175:176]
	v_fma_f64 v[175:176], v[3:4], v[195:196], v[220:221]
	v_add_f64 v[141:142], v[141:142], v[171:172]
	s_clause 0x4
	buffer_load_dword v172, off, s[0:3], 0 offset:748
	buffer_load_dword v193, off, s[0:3], 0 offset:760
	;; [unrolled: 1-line block ×5, first 2 shown]
	s_waitcnt vmcnt(57) lgkmcnt(0)
	v_mul_f64 v[220:221], v[5:6], v[205:206]
	v_mul_f64 v[205:206], v[7:8], v[205:206]
	s_waitcnt vmcnt(56)
	v_fma_f64 v[183:184], v[137:138], v[185:186], -v[183:184]
	ds_read_b128 v[1:4], v198 offset:1536
	v_fma_f64 v[177:178], v[139:140], v[185:186], v[177:178]
	v_add_f64 v[149:150], v[149:150], v[191:192]
	v_add_f64 v[141:142], v[141:142], v[175:176]
	s_clause 0x2
	buffer_load_dword v194, off, s[0:3], 0 offset:764
	buffer_load_dword v176, off, s[0:3], 0 offset:740
	buffer_load_dword v175, off, s[0:3], 0 offset:736
	ds_read_b128 v[137:140], v198 offset:1552
	s_waitcnt vmcnt(58) lgkmcnt(1)
	v_mul_f64 v[191:192], v[3:4], v[207:208]
	v_mul_f64 v[185:186], v[1:2], v[207:208]
	s_waitcnt vmcnt(56)
	v_fma_f64 v[205:206], v[5:6], v[145:146], -v[205:206]
	v_fma_f64 v[145:146], v[7:8], v[145:146], v[220:221]
	v_add_f64 v[149:150], v[149:150], v[183:184]
	v_add_f64 v[141:142], v[141:142], v[177:178]
	s_clause 0x4
	buffer_load_dword v178, off, s[0:3], 0 offset:780
	buffer_load_dword v183, off, s[0:3], 0 offset:792
	;; [unrolled: 1-line block ×5, first 2 shown]
	ds_read_b128 v[5:8], v198 offset:1568
	s_waitcnt vmcnt(57) lgkmcnt(1)
	v_mul_f64 v[220:221], v[137:138], v[143:144]
	v_mul_f64 v[143:144], v[139:140], v[143:144]
	s_waitcnt vmcnt(56)
	v_fma_f64 v[191:192], v[1:2], v[209:210], -v[191:192]
	v_fma_f64 v[185:186], v[3:4], v[209:210], v[185:186]
	v_add_f64 v[149:150], v[149:150], v[205:206]
	v_add_f64 v[141:142], v[141:142], v[145:146]
	s_clause 0x2
	buffer_load_dword v184, off, s[0:3], 0 offset:796
	buffer_load_dword v146, off, s[0:3], 0 offset:772
	;; [unrolled: 1-line block ×3, first 2 shown]
	s_waitcnt vmcnt(58) lgkmcnt(0)
	v_mul_f64 v[209:210], v[7:8], v[211:212]
	ds_read_b128 v[1:4], v198 offset:1584
	v_mul_f64 v[205:206], v[5:6], v[211:212]
	s_waitcnt vmcnt(56)
	v_fma_f64 v[143:144], v[137:138], v[201:202], -v[143:144]
	v_add_f64 v[149:150], v[149:150], v[191:192]
	v_fma_f64 v[191:192], v[139:140], v[201:202], v[220:221]
	v_add_f64 v[141:142], v[141:142], v[185:186]
	s_clause 0x4
	buffer_load_dword v186, off, s[0:3], 0 offset:812
	buffer_load_dword v201, off, s[0:3], 0 offset:824
	;; [unrolled: 1-line block ×5, first 2 shown]
	ds_read_b128 v[137:140], v198 offset:1600
	s_waitcnt vmcnt(57) lgkmcnt(1)
	v_mul_f64 v[220:221], v[1:2], v[161:162]
	v_mul_f64 v[161:162], v[3:4], v[161:162]
	s_waitcnt vmcnt(56)
	v_fma_f64 v[209:210], v[5:6], v[216:217], -v[209:210]
	v_add_f64 v[143:144], v[149:150], v[143:144]
	v_fma_f64 v[149:150], v[7:8], v[216:217], v[205:206]
	v_add_f64 v[141:142], v[141:142], v[191:192]
	s_clause 0x2
	buffer_load_dword v202, off, s[0:3], 0 offset:828
	buffer_load_dword v192, off, s[0:3], 0 offset:804
	;; [unrolled: 1-line block ×3, first 2 shown]
	ds_read_b128 v[5:8], v198 offset:1616
	s_waitcnt vmcnt(58) lgkmcnt(1)
	v_mul_f64 v[205:206], v[137:138], v[203:204]
	v_mul_f64 v[203:204], v[139:140], v[203:204]
	s_waitcnt vmcnt(56)
	v_fma_f64 v[161:162], v[1:2], v[155:156], -v[161:162]
	v_fma_f64 v[155:156], v[3:4], v[155:156], v[220:221]
	v_add_f64 v[143:144], v[143:144], v[209:210]
	v_add_f64 v[141:142], v[141:142], v[149:150]
	s_clause 0x4
	buffer_load_dword v150, off, s[0:3], 0 offset:844
	buffer_load_dword v209, off, s[0:3], 0 offset:856
	;; [unrolled: 1-line block ×5, first 2 shown]
	ds_read_b128 v[1:4], v198 offset:1632
	s_waitcnt vmcnt(57) lgkmcnt(1)
	v_mul_f64 v[216:217], v[5:6], v[147:148]
	v_mul_f64 v[147:148], v[7:8], v[147:148]
	s_waitcnt vmcnt(56)
	v_fma_f64 v[203:204], v[137:138], v[218:219], -v[203:204]
	v_add_f64 v[143:144], v[143:144], v[161:162]
	v_fma_f64 v[161:162], v[139:140], v[218:219], v[205:206]
	v_add_f64 v[141:142], v[141:142], v[155:156]
	s_clause 0x2
	buffer_load_dword v210, off, s[0:3], 0 offset:860
	buffer_load_dword v156, off, s[0:3], 0 offset:836
	;; [unrolled: 1-line block ×3, first 2 shown]
	ds_read_b128 v[137:140], v198 offset:1648
	s_waitcnt vmcnt(58) lgkmcnt(1)
	v_mul_f64 v[205:206], v[1:2], v[165:166]
	v_mul_f64 v[165:166], v[3:4], v[165:166]
	s_waitcnt vmcnt(56)
	v_fma_f64 v[147:148], v[5:6], v[153:154], -v[147:148]
	v_fma_f64 v[153:154], v[7:8], v[153:154], v[216:217]
	v_add_f64 v[143:144], v[143:144], v[203:204]
	v_add_f64 v[141:142], v[141:142], v[161:162]
	s_clause 0x4
	buffer_load_dword v162, off, s[0:3], 0 offset:876
	buffer_load_dword v203, off, s[0:3], 0 offset:888
	;; [unrolled: 1-line block ×5, first 2 shown]
	ds_read_b128 v[5:8], v198 offset:1664
	s_waitcnt vmcnt(57) lgkmcnt(1)
	v_mul_f64 v[218:219], v[137:138], v[151:152]
	v_mul_f64 v[151:152], v[139:140], v[151:152]
	s_waitcnt vmcnt(56)
	v_fma_f64 v[165:166], v[1:2], v[213:214], -v[165:166]
	v_add_f64 v[143:144], v[143:144], v[147:148]
	v_fma_f64 v[147:148], v[3:4], v[213:214], v[205:206]
	v_add_f64 v[141:142], v[141:142], v[153:154]
	s_clause 0x2
	buffer_load_dword v204, off, s[0:3], 0 offset:892
	buffer_load_dword v154, off, s[0:3], 0 offset:868
	;; [unrolled: 1-line block ×3, first 2 shown]
	s_waitcnt vmcnt(58) lgkmcnt(0)
	v_mul_f64 v[205:206], v[5:6], v[173:174]
	v_mul_f64 v[173:174], v[7:8], v[173:174]
	ds_read_b128 v[1:4], v198 offset:1680
	s_waitcnt vmcnt(56)
	v_fma_f64 v[151:152], v[137:138], v[159:160], -v[151:152]
	v_fma_f64 v[159:160], v[139:140], v[159:160], v[218:219]
	v_add_f64 v[143:144], v[143:144], v[165:166]
	v_add_f64 v[141:142], v[141:142], v[147:148]
	s_clause 0x4
	buffer_load_dword v148, off, s[0:3], 0 offset:908
	buffer_load_dword v165, off, s[0:3], 0 offset:920
	;; [unrolled: 1-line block ×5, first 2 shown]
	ds_read_b128 v[137:140], v198 offset:1696
	s_waitcnt vmcnt(57) lgkmcnt(1)
	v_mul_f64 v[219:220], v[1:2], v[157:158]
	v_mul_f64 v[157:158], v[3:4], v[157:158]
	s_waitcnt vmcnt(56)
	v_fma_f64 v[173:174], v[5:6], v[199:200], -v[173:174]
	v_add_f64 v[143:144], v[143:144], v[151:152]
	v_fma_f64 v[151:152], v[7:8], v[199:200], v[205:206]
	v_add_f64 v[141:142], v[141:142], v[159:160]
	s_clause 0x2
	buffer_load_dword v166, off, s[0:3], 0 offset:924
	buffer_load_dword v160, off, s[0:3], 0 offset:900
	;; [unrolled: 1-line block ×3, first 2 shown]
	s_waitcnt vmcnt(58) lgkmcnt(0)
	v_mul_f64 v[199:200], v[137:138], v[179:180]
	v_mul_f64 v[179:180], v[139:140], v[179:180]
	ds_read_b128 v[5:8], v198 offset:1712
	s_waitcnt vmcnt(56)
	v_fma_f64 v[157:158], v[1:2], v[169:170], -v[157:158]
	v_fma_f64 v[169:170], v[3:4], v[169:170], v[219:220]
	v_add_f64 v[143:144], v[143:144], v[173:174]
	v_add_f64 v[141:142], v[141:142], v[151:152]
	s_clause 0x4
	buffer_load_dword v152, off, s[0:3], 0 offset:940
	buffer_load_dword v173, off, s[0:3], 0 offset:952
	buffer_load_dword v205, off, s[0:3], 0 offset:944
	buffer_load_dword v151, off, s[0:3], 0 offset:936
	buffer_load_dword v214, off, s[0:3], 0 offset:916
	ds_read_b128 v[1:4], v198 offset:1728
	s_waitcnt vmcnt(57) lgkmcnt(1)
	v_mul_f64 v[219:220], v[5:6], v[163:164]
	v_mul_f64 v[163:164], v[7:8], v[163:164]
	s_waitcnt vmcnt(56)
	v_fma_f64 v[179:180], v[137:138], v[181:182], -v[179:180]
	v_add_f64 v[143:144], v[143:144], v[157:158]
	v_fma_f64 v[157:158], v[139:140], v[181:182], v[199:200]
	v_add_f64 v[141:142], v[141:142], v[169:170]
	s_clause 0x2
	buffer_load_dword v174, off, s[0:3], 0 offset:956
	buffer_load_dword v170, off, s[0:3], 0 offset:932
	buffer_load_dword v169, off, s[0:3], 0 offset:928
	ds_read_b128 v[137:140], v198 offset:1744
	s_waitcnt vmcnt(58) lgkmcnt(1)
	v_mul_f64 v[181:182], v[1:2], v[187:188]
	v_mul_f64 v[187:188], v[3:4], v[187:188]
	s_waitcnt vmcnt(56)
	v_fma_f64 v[163:164], v[5:6], v[167:168], -v[163:164]
	v_fma_f64 v[167:168], v[7:8], v[167:168], v[219:220]
	v_add_f64 v[143:144], v[143:144], v[179:180]
	v_add_f64 v[141:142], v[141:142], v[157:158]
	s_clause 0x4
	buffer_load_dword v158, off, s[0:3], 0 offset:972
	buffer_load_dword v179, off, s[0:3], 0 offset:984
	buffer_load_dword v199, off, s[0:3], 0 offset:976
	buffer_load_dword v157, off, s[0:3], 0 offset:968
	buffer_load_dword v206, off, s[0:3], 0 offset:948
	ds_read_b128 v[5:8], v198 offset:1760
	s_waitcnt vmcnt(57) lgkmcnt(1)
	v_mul_f64 v[219:220], v[137:138], v[171:172]
	v_mul_f64 v[171:172], v[139:140], v[171:172]
	s_waitcnt vmcnt(56)
	v_fma_f64 v[187:188], v[1:2], v[189:190], -v[187:188]
	v_add_f64 v[143:144], v[143:144], v[163:164]
	v_fma_f64 v[163:164], v[3:4], v[189:190], v[181:182]
	v_add_f64 v[141:142], v[141:142], v[167:168]
	s_clause 0x2
	buffer_load_dword v180, off, s[0:3], 0 offset:988
	buffer_load_dword v168, off, s[0:3], 0 offset:964
	buffer_load_dword v167, off, s[0:3], 0 offset:960
	ds_read_b128 v[1:4], v198 offset:1776
	s_waitcnt vmcnt(58) lgkmcnt(1)
	v_mul_f64 v[189:190], v[7:8], v[193:194]
	v_mul_f64 v[181:182], v[5:6], v[193:194]
	;; [unrolled: 28-line block ×3, first 2 shown]
	s_waitcnt vmcnt(56)
	v_fma_f64 v[177:178], v[1:2], v[145:146], -v[177:178]
	v_fma_f64 v[145:146], v[3:4], v[145:146], v[219:220]
	v_add_f64 v[143:144], v[143:144], v[189:190]
	v_add_f64 v[141:142], v[141:142], v[171:172]
	s_clause 0x2
	buffer_load_dword v172, off, s[0:3], 0 offset:1036
	buffer_load_dword v171, off, s[0:3], 0 offset:1032
	buffer_load_dword v194, off, s[0:3], 0 offset:1012
	ds_read_b128 v[1:4], v198 offset:1824
	s_waitcnt vmcnt(55) lgkmcnt(1)
	v_mul_f64 v[189:190], v[5:6], v[185:186]
	v_mul_f64 v[185:186], v[7:8], v[185:186]
	s_waitcnt vmcnt(54)
	v_fma_f64 v[183:184], v[137:138], v[207:208], -v[183:184]
	v_add_f64 v[143:144], v[143:144], v[177:178]
	v_fma_f64 v[177:178], v[139:140], v[207:208], v[181:182]
	v_add_f64 v[141:142], v[141:142], v[145:146]
	s_clause 0x1
	buffer_load_dword v146, off, s[0:3], 0 offset:1028
	buffer_load_dword v145, off, s[0:3], 0 offset:1024
	ds_read_b128 v[137:140], v198 offset:1840
	s_waitcnt vmcnt(55) lgkmcnt(1)
	v_mul_f64 v[195:196], v[3:4], v[201:202]
	v_mul_f64 v[181:182], v[1:2], v[201:202]
	s_waitcnt vmcnt(53)
	v_fma_f64 v[185:186], v[5:6], v[191:192], -v[185:186]
	v_add_f64 v[143:144], v[143:144], v[183:184]
	v_fma_f64 v[183:184], v[7:8], v[191:192], v[189:190]
	v_add_f64 v[141:142], v[141:142], v[177:178]
	ds_read_b128 v[5:8], v198 offset:1856
	s_waitcnt vmcnt(49) lgkmcnt(1)
	v_mul_f64 v[177:178], v[137:138], v[149:150]
	v_mul_f64 v[149:150], v[139:140], v[149:150]
	s_waitcnt vmcnt(48)
	v_fma_f64 v[189:190], v[1:2], v[211:212], -v[195:196]
	v_fma_f64 v[181:182], v[3:4], v[211:212], v[181:182]
	v_add_f64 v[143:144], v[143:144], v[185:186]
	v_add_f64 v[141:142], v[141:142], v[183:184]
	s_clause 0x3
	buffer_load_dword v183, off, s[0:3], 0 offset:256
	buffer_load_dword v184, off, s[0:3], 0 offset:260
	;; [unrolled: 1-line block ×4, first 2 shown]
	ds_read_b128 v[1:4], v198 offset:1872
	s_waitcnt vmcnt(51) lgkmcnt(1)
	v_mul_f64 v[195:196], v[7:8], v[209:210]
	v_mul_f64 v[191:192], v[5:6], v[209:210]
	s_waitcnt vmcnt(49)
	v_fma_f64 v[149:150], v[137:138], v[155:156], -v[149:150]
	v_fma_f64 v[155:156], v[139:140], v[155:156], v[177:178]
	ds_read_b128 v[137:140], v198 offset:1888
	v_add_f64 v[143:144], v[143:144], v[189:190]
	v_add_f64 v[141:142], v[141:142], v[181:182]
	s_waitcnt vmcnt(45) lgkmcnt(1)
	v_mul_f64 v[177:178], v[1:2], v[161:162]
	v_mul_f64 v[161:162], v[3:4], v[161:162]
	s_waitcnt vmcnt(44)
	v_fma_f64 v[181:182], v[5:6], v[215:216], -v[195:196]
	v_add_f64 v[143:144], v[143:144], v[149:150]
	v_fma_f64 v[149:150], v[7:8], v[215:216], v[191:192]
	v_add_f64 v[141:142], v[141:142], v[155:156]
	ds_read_b128 v[5:8], v198 offset:1904
	s_waitcnt vmcnt(43) lgkmcnt(1)
	v_mul_f64 v[189:190], v[139:140], v[203:204]
	v_mul_f64 v[155:156], v[137:138], v[203:204]
	s_waitcnt vmcnt(41)
	v_fma_f64 v[161:162], v[1:2], v[153:154], -v[161:162]
	v_fma_f64 v[153:154], v[3:4], v[153:154], v[177:178]
	ds_read_b128 v[1:4], v198 offset:1920
	v_add_f64 v[143:144], v[143:144], v[181:182]
	v_add_f64 v[141:142], v[141:142], v[149:150]
	s_waitcnt vmcnt(37) lgkmcnt(1)
	v_mul_f64 v[149:150], v[5:6], v[147:148]
	v_mul_f64 v[147:148], v[7:8], v[147:148]
	s_waitcnt vmcnt(36)
	v_fma_f64 v[177:178], v[137:138], v[217:218], -v[189:190]
	v_fma_f64 v[155:156], v[139:140], v[217:218], v[155:156]
	ds_read_b128 v[137:140], v198 offset:1936
	v_add_f64 v[143:144], v[143:144], v[161:162]
	v_add_f64 v[141:142], v[141:142], v[153:154]
	;; [unrolled: 9-line block ×3, first 2 shown]
	s_waitcnt vmcnt(29) lgkmcnt(1)
	v_mul_f64 v[155:156], v[137:138], v[151:152]
	v_mul_f64 v[151:152], v[139:140], v[151:152]
	s_waitcnt vmcnt(28)
	v_fma_f64 v[159:160], v[1:2], v[213:214], -v[161:162]
	v_add_f64 v[143:144], v[143:144], v[147:148]
	v_fma_f64 v[147:148], v[3:4], v[213:214], v[153:154]
	v_add_f64 v[141:142], v[141:142], v[149:150]
	ds_read_b128 v[1:4], v198 offset:1968
	s_waitcnt vmcnt(27) lgkmcnt(1)
	v_mul_f64 v[153:154], v[7:8], v[173:174]
	v_mul_f64 v[149:150], v[5:6], v[173:174]
	s_waitcnt vmcnt(25)
	v_fma_f64 v[151:152], v[137:138], v[169:170], -v[151:152]
	v_fma_f64 v[155:156], v[139:140], v[169:170], v[155:156]
	ds_read_b128 v[137:140], v198 offset:1984
	v_add_f64 v[143:144], v[143:144], v[159:160]
	v_add_f64 v[141:142], v[141:142], v[147:148]
	s_waitcnt vmcnt(21) lgkmcnt(1)
	v_mul_f64 v[147:148], v[1:2], v[157:158]
	v_mul_f64 v[157:158], v[3:4], v[157:158]
	s_waitcnt vmcnt(20)
	v_fma_f64 v[153:154], v[5:6], v[205:206], -v[153:154]
	v_fma_f64 v[149:150], v[7:8], v[205:206], v[149:150]
	ds_read_b128 v[5:8], v198 offset:2000
	v_add_f64 v[143:144], v[143:144], v[151:152]
	v_add_f64 v[141:142], v[141:142], v[155:156]
	;; [unrolled: 9-line block ×3, first 2 shown]
	s_waitcnt vmcnt(13) lgkmcnt(1)
	v_mul_f64 v[153:154], v[7:8], v[163:164]
	s_waitcnt vmcnt(12)
	v_fma_f64 v[155:156], v[137:138], v[199:200], -v[155:156]
	v_mul_f64 v[149:150], v[5:6], v[163:164]
	v_fma_f64 v[151:152], v[139:140], v[199:200], v[151:152]
	ds_read_b128 v[137:140], v198 offset:2032
	v_add_f64 v[143:144], v[143:144], v[157:158]
	v_add_f64 v[141:142], v[141:142], v[147:148]
	s_waitcnt vmcnt(11) lgkmcnt(1)
	v_mul_f64 v[157:158], v[3:4], v[187:188]
	v_mul_f64 v[147:148], v[1:2], v[187:188]
	s_waitcnt vmcnt(9)
	v_fma_f64 v[5:6], v[5:6], v[175:176], -v[153:154]
	v_fma_f64 v[7:8], v[7:8], v[175:176], v[149:150]
	v_add_f64 v[143:144], v[143:144], v[155:156]
	v_add_f64 v[141:142], v[141:142], v[151:152]
	s_waitcnt vmcnt(7) lgkmcnt(0)
	v_mul_f64 v[151:152], v[139:140], v[171:172]
	s_waitcnt vmcnt(6)
	v_fma_f64 v[1:2], v[1:2], v[193:194], -v[157:158]
	v_mul_f64 v[149:150], v[137:138], v[171:172]
	v_fma_f64 v[3:4], v[3:4], v[193:194], v[147:148]
	v_add_f64 v[5:6], v[143:144], v[5:6]
	v_add_f64 v[7:8], v[141:142], v[7:8]
	s_waitcnt vmcnt(4)
	v_fma_f64 v[137:138], v[137:138], v[145:146], -v[151:152]
	v_add_f64 v[1:2], v[5:6], v[1:2]
	v_fma_f64 v[5:6], v[139:140], v[145:146], v[149:150]
	v_add_f64 v[3:4], v[7:8], v[3:4]
	v_add_f64 v[1:2], v[1:2], v[137:138]
	;; [unrolled: 1-line block ×3, first 2 shown]
	s_waitcnt vmcnt(2)
	v_add_f64 v[1:2], v[183:184], -v[1:2]
	s_waitcnt vmcnt(0)
	v_add_f64 v[3:4], v[185:186], -v[3:4]
	buffer_store_dword v2, off, s[0:3], 0 offset:260
	buffer_store_dword v1, off, s[0:3], 0 offset:256
	;; [unrolled: 1-line block ×4, first 2 shown]
	v_cmpx_lt_u32_e32 14, v0
	s_cbranch_execz .LBB127_381
; %bb.380:
	v_mov_b32_e32 v4, s64
	v_mov_b32_e32 v5, 0
	s_clause 0x3
	buffer_load_dword v1, v4, s[0:3], 0 offen
	buffer_load_dword v2, v4, s[0:3], 0 offen offset:4
	buffer_load_dword v3, v4, s[0:3], 0 offen offset:8
	;; [unrolled: 1-line block ×3, first 2 shown]
	buffer_store_dword v5, off, s[0:3], 0 offset:240
	buffer_store_dword v5, off, s[0:3], 0 offset:244
	;; [unrolled: 1-line block ×4, first 2 shown]
	s_waitcnt vmcnt(0)
	ds_write_b128 v197, v[1:4]
.LBB127_381:
	s_or_b32 exec_lo, exec_lo, s4
	s_waitcnt lgkmcnt(0)
	s_waitcnt_vscnt null, 0x0
	s_barrier
	buffer_gl0_inv
	s_clause 0x37
	buffer_load_dword v145, off, s[0:3], 0 offset:264
	buffer_load_dword v146, off, s[0:3], 0 offset:268
	;; [unrolled: 1-line block ×56, first 2 shown]
	v_mov_b32_e32 v198, 0
	s_mov_b32 s4, exec_lo
	ds_read_b128 v[5:8], v198 offset:1264
	s_clause 0x2
	buffer_load_dword v194, off, s[0:3], 0 offset:492
	buffer_load_dword v196, off, s[0:3], 0 offset:468
	;; [unrolled: 1-line block ×3, first 2 shown]
	ds_read_b128 v[1:4], v198 offset:1280
	s_clause 0x4
	buffer_load_dword v206, off, s[0:3], 0 offset:508
	buffer_load_dword v207, off, s[0:3], 0 offset:520
	;; [unrolled: 1-line block ×5, first 2 shown]
	ds_read_b128 v[199:202], v198 offset:1296
	s_waitcnt vmcnt(62) lgkmcnt(2)
	v_mul_f64 v[203:204], v[7:8], v[145:146]
	v_mul_f64 v[145:146], v[5:6], v[145:146]
	s_waitcnt vmcnt(60) lgkmcnt(1)
	v_mul_f64 v[210:211], v[3:4], v[141:142]
	v_mul_f64 v[141:142], v[1:2], v[141:142]
	;; [unrolled: 3-line block ×3, first 2 shown]
	v_fma_f64 v[203:204], v[5:6], v[143:144], -v[203:204]
	v_fma_f64 v[143:144], v[7:8], v[143:144], v[145:146]
	s_clause 0x2
	buffer_load_dword v208, off, s[0:3], 0 offset:524
	buffer_load_dword v146, off, s[0:3], 0 offset:500
	;; [unrolled: 1-line block ×3, first 2 shown]
	s_waitcnt vmcnt(57)
	v_fma_f64 v[214:215], v[1:2], v[137:138], -v[210:211]
	ds_read_b128 v[5:8], v198 offset:1312
	v_fma_f64 v[137:138], v[3:4], v[137:138], v[141:142]
	s_waitcnt vmcnt(51)
	v_fma_f64 v[199:200], v[199:200], v[161:162], -v[139:140]
	v_fma_f64 v[161:162], v[201:202], v[161:162], v[212:213]
	v_add_f64 v[203:204], v[203:204], 0
	v_add_f64 v[141:142], v[143:144], 0
	s_clause 0x4
	buffer_load_dword v144, off, s[0:3], 0 offset:540
	buffer_load_dword v211, off, s[0:3], 0 offset:552
	buffer_load_dword v216, off, s[0:3], 0 offset:544
	buffer_load_dword v143, off, s[0:3], 0 offset:536
	buffer_load_dword v210, off, s[0:3], 0 offset:516
	s_waitcnt lgkmcnt(0)
	v_mul_f64 v[217:218], v[5:6], v[149:150]
	v_mul_f64 v[149:150], v[7:8], v[149:150]
	ds_read_b128 v[1:4], v198 offset:1328
	s_clause 0x2
	buffer_load_dword v212, off, s[0:3], 0 offset:556
	buffer_load_dword v202, off, s[0:3], 0 offset:532
	;; [unrolled: 1-line block ×3, first 2 shown]
	v_add_f64 v[203:204], v[203:204], v[214:215]
	v_add_f64 v[141:142], v[141:142], v[137:138]
	ds_read_b128 v[137:140], v198 offset:1344
	s_waitcnt vmcnt(58) lgkmcnt(1)
	v_mul_f64 v[213:214], v[1:2], v[153:154]
	v_mul_f64 v[153:154], v[3:4], v[153:154]
	s_waitcnt vmcnt(56)
	v_fma_f64 v[149:150], v[5:6], v[155:156], -v[149:150]
	v_fma_f64 v[155:156], v[7:8], v[155:156], v[217:218]
	s_waitcnt vmcnt(52) lgkmcnt(0)
	v_mul_f64 v[219:220], v[137:138], v[157:158]
	v_add_f64 v[199:200], v[203:204], v[199:200]
	v_add_f64 v[141:142], v[141:142], v[161:162]
	s_clause 0x4
	buffer_load_dword v162, off, s[0:3], 0 offset:572
	buffer_load_dword v203, off, s[0:3], 0 offset:584
	;; [unrolled: 1-line block ×5, first 2 shown]
	v_mul_f64 v[157:158], v[139:140], v[157:158]
	s_waitcnt vmcnt(56)
	v_fma_f64 v[153:154], v[1:2], v[147:148], -v[153:154]
	ds_read_b128 v[5:8], v198 offset:1360
	v_fma_f64 v[147:148], v[3:4], v[147:148], v[213:214]
	v_add_f64 v[149:150], v[199:200], v[149:150]
	v_add_f64 v[141:142], v[141:142], v[155:156]
	s_clause 0x2
	buffer_load_dword v204, off, s[0:3], 0 offset:588
	buffer_load_dword v156, off, s[0:3], 0 offset:564
	;; [unrolled: 1-line block ×3, first 2 shown]
	s_waitcnt vmcnt(58) lgkmcnt(0)
	v_mul_f64 v[199:200], v[5:6], v[163:164]
	v_mul_f64 v[163:164], v[7:8], v[163:164]
	s_waitcnt vmcnt(56)
	v_fma_f64 v[157:158], v[137:138], v[165:166], -v[157:158]
	ds_read_b128 v[1:4], v198 offset:1376
	v_add_f64 v[149:150], v[149:150], v[153:154]
	v_fma_f64 v[153:154], v[139:140], v[165:166], v[219:220]
	v_add_f64 v[141:142], v[141:142], v[147:148]
	s_clause 0x4
	buffer_load_dword v148, off, s[0:3], 0 offset:604
	buffer_load_dword v165, off, s[0:3], 0 offset:616
	;; [unrolled: 1-line block ×5, first 2 shown]
	s_waitcnt vmcnt(57) lgkmcnt(0)
	v_mul_f64 v[214:215], v[1:2], v[167:168]
	v_mul_f64 v[167:168], v[3:4], v[167:168]
	s_waitcnt vmcnt(56)
	v_fma_f64 v[163:164], v[5:6], v[151:152], -v[163:164]
	ds_read_b128 v[137:140], v198 offset:1392
	v_fma_f64 v[151:152], v[7:8], v[151:152], v[199:200]
	v_add_f64 v[149:150], v[149:150], v[157:158]
	v_add_f64 v[141:142], v[141:142], v[153:154]
	s_clause 0x2
	buffer_load_dword v166, off, s[0:3], 0 offset:620
	buffer_load_dword v154, off, s[0:3], 0 offset:596
	;; [unrolled: 1-line block ×3, first 2 shown]
	ds_read_b128 v[5:8], v198 offset:1408
	s_waitcnt vmcnt(58) lgkmcnt(1)
	v_mul_f64 v[157:158], v[137:138], v[171:172]
	v_mul_f64 v[171:172], v[139:140], v[171:172]
	s_waitcnt vmcnt(56)
	v_fma_f64 v[167:168], v[1:2], v[173:174], -v[167:168]
	v_add_f64 v[149:150], v[149:150], v[163:164]
	v_fma_f64 v[163:164], v[3:4], v[173:174], v[214:215]
	v_add_f64 v[141:142], v[141:142], v[151:152]
	s_clause 0x4
	buffer_load_dword v152, off, s[0:3], 0 offset:636
	buffer_load_dword v173, off, s[0:3], 0 offset:648
	;; [unrolled: 1-line block ×5, first 2 shown]
	s_waitcnt vmcnt(57) lgkmcnt(0)
	v_mul_f64 v[220:221], v[5:6], v[175:176]
	v_mul_f64 v[175:176], v[7:8], v[175:176]
	s_waitcnt vmcnt(56)
	v_fma_f64 v[171:172], v[137:138], v[159:160], -v[171:172]
	ds_read_b128 v[1:4], v198 offset:1424
	v_fma_f64 v[157:158], v[139:140], v[159:160], v[157:158]
	s_clause 0x2
	buffer_load_dword v174, off, s[0:3], 0 offset:652
	buffer_load_dword v160, off, s[0:3], 0 offset:628
	;; [unrolled: 1-line block ×3, first 2 shown]
	ds_read_b128 v[137:140], v198 offset:1440
	v_add_f64 v[149:150], v[149:150], v[167:168]
	v_add_f64 v[141:142], v[141:142], v[163:164]
	s_waitcnt vmcnt(58) lgkmcnt(1)
	v_mul_f64 v[167:168], v[3:4], v[179:180]
	s_waitcnt vmcnt(56)
	v_fma_f64 v[175:176], v[5:6], v[181:182], -v[175:176]
	v_mul_f64 v[163:164], v[1:2], v[179:180]
	v_add_f64 v[149:150], v[149:150], v[171:172]
	v_fma_f64 v[171:172], v[7:8], v[181:182], v[220:221]
	v_add_f64 v[141:142], v[141:142], v[157:158]
	s_clause 0x4
	buffer_load_dword v158, off, s[0:3], 0 offset:668
	buffer_load_dword v179, off, s[0:3], 0 offset:680
	;; [unrolled: 1-line block ×5, first 2 shown]
	s_waitcnt vmcnt(57) lgkmcnt(0)
	v_mul_f64 v[220:221], v[137:138], v[183:184]
	v_mul_f64 v[182:183], v[139:140], v[183:184]
	s_waitcnt vmcnt(56)
	v_fma_f64 v[167:168], v[1:2], v[169:170], -v[167:168]
	ds_read_b128 v[5:8], v198 offset:1456
	v_fma_f64 v[163:164], v[3:4], v[169:170], v[163:164]
	s_clause 0x2
	buffer_load_dword v180, off, s[0:3], 0 offset:684
	buffer_load_dword v170, off, s[0:3], 0 offset:660
	;; [unrolled: 1-line block ×3, first 2 shown]
	ds_read_b128 v[1:4], v198 offset:1472
	v_add_f64 v[149:150], v[149:150], v[175:176]
	v_add_f64 v[141:142], v[141:142], v[171:172]
	s_waitcnt vmcnt(58) lgkmcnt(1)
	v_mul_f64 v[175:176], v[7:8], v[187:188]
	s_waitcnt vmcnt(56)
	v_fma_f64 v[183:184], v[137:138], v[189:190], -v[182:183]
	v_mul_f64 v[171:172], v[5:6], v[187:188]
	v_add_f64 v[149:150], v[149:150], v[167:168]
	v_fma_f64 v[167:168], v[139:140], v[189:190], v[220:221]
	v_add_f64 v[141:142], v[141:142], v[163:164]
	s_clause 0x4
	buffer_load_dword v164, off, s[0:3], 0 offset:700
	buffer_load_dword v187, off, s[0:3], 0 offset:712
	;; [unrolled: 1-line block ×5, first 2 shown]
	s_waitcnt vmcnt(57) lgkmcnt(0)
	v_mul_f64 v[220:221], v[1:2], v[191:192]
	v_mul_f64 v[190:191], v[3:4], v[191:192]
	s_waitcnt vmcnt(56)
	v_fma_f64 v[175:176], v[5:6], v[177:178], -v[175:176]
	ds_read_b128 v[137:140], v198 offset:1488
	v_fma_f64 v[171:172], v[7:8], v[177:178], v[171:172]
	v_add_f64 v[149:150], v[149:150], v[183:184]
	v_add_f64 v[141:142], v[141:142], v[167:168]
	s_clause 0x2
	buffer_load_dword v188, off, s[0:3], 0 offset:716
	buffer_load_dword v168, off, s[0:3], 0 offset:692
	;; [unrolled: 1-line block ×3, first 2 shown]
	ds_read_b128 v[5:8], v198 offset:1504
	s_waitcnt vmcnt(58) lgkmcnt(1)
	v_mul_f64 v[183:184], v[139:140], v[193:194]
	s_waitcnt vmcnt(56)
	v_fma_f64 v[191:192], v[1:2], v[195:196], -v[190:191]
	v_mul_f64 v[177:178], v[137:138], v[193:194]
	v_add_f64 v[149:150], v[149:150], v[175:176]
	v_fma_f64 v[175:176], v[3:4], v[195:196], v[220:221]
	v_add_f64 v[141:142], v[141:142], v[171:172]
	s_clause 0x4
	buffer_load_dword v172, off, s[0:3], 0 offset:732
	buffer_load_dword v193, off, s[0:3], 0 offset:744
	;; [unrolled: 1-line block ×5, first 2 shown]
	s_waitcnt vmcnt(57) lgkmcnt(0)
	v_mul_f64 v[220:221], v[5:6], v[205:206]
	v_mul_f64 v[205:206], v[7:8], v[205:206]
	s_waitcnt vmcnt(56)
	v_fma_f64 v[183:184], v[137:138], v[185:186], -v[183:184]
	ds_read_b128 v[1:4], v198 offset:1520
	v_fma_f64 v[177:178], v[139:140], v[185:186], v[177:178]
	v_add_f64 v[149:150], v[149:150], v[191:192]
	v_add_f64 v[141:142], v[141:142], v[175:176]
	s_clause 0x2
	buffer_load_dword v194, off, s[0:3], 0 offset:748
	buffer_load_dword v176, off, s[0:3], 0 offset:724
	;; [unrolled: 1-line block ×3, first 2 shown]
	ds_read_b128 v[137:140], v198 offset:1536
	s_waitcnt vmcnt(58) lgkmcnt(1)
	v_mul_f64 v[191:192], v[3:4], v[207:208]
	v_mul_f64 v[185:186], v[1:2], v[207:208]
	s_waitcnt vmcnt(56)
	v_fma_f64 v[205:206], v[5:6], v[145:146], -v[205:206]
	v_fma_f64 v[145:146], v[7:8], v[145:146], v[220:221]
	v_add_f64 v[149:150], v[149:150], v[183:184]
	v_add_f64 v[141:142], v[141:142], v[177:178]
	s_clause 0x4
	buffer_load_dword v178, off, s[0:3], 0 offset:764
	buffer_load_dword v183, off, s[0:3], 0 offset:776
	;; [unrolled: 1-line block ×5, first 2 shown]
	ds_read_b128 v[5:8], v198 offset:1552
	s_waitcnt vmcnt(57) lgkmcnt(1)
	v_mul_f64 v[220:221], v[137:138], v[143:144]
	v_mul_f64 v[143:144], v[139:140], v[143:144]
	s_waitcnt vmcnt(56)
	v_fma_f64 v[191:192], v[1:2], v[209:210], -v[191:192]
	v_fma_f64 v[185:186], v[3:4], v[209:210], v[185:186]
	v_add_f64 v[149:150], v[149:150], v[205:206]
	v_add_f64 v[141:142], v[141:142], v[145:146]
	s_clause 0x2
	buffer_load_dword v184, off, s[0:3], 0 offset:780
	buffer_load_dword v146, off, s[0:3], 0 offset:756
	;; [unrolled: 1-line block ×3, first 2 shown]
	s_waitcnt vmcnt(58) lgkmcnt(0)
	v_mul_f64 v[209:210], v[7:8], v[211:212]
	ds_read_b128 v[1:4], v198 offset:1568
	v_mul_f64 v[205:206], v[5:6], v[211:212]
	s_waitcnt vmcnt(56)
	v_fma_f64 v[143:144], v[137:138], v[201:202], -v[143:144]
	v_add_f64 v[149:150], v[149:150], v[191:192]
	v_fma_f64 v[191:192], v[139:140], v[201:202], v[220:221]
	v_add_f64 v[141:142], v[141:142], v[185:186]
	s_clause 0x4
	buffer_load_dword v186, off, s[0:3], 0 offset:796
	buffer_load_dword v201, off, s[0:3], 0 offset:808
	;; [unrolled: 1-line block ×5, first 2 shown]
	ds_read_b128 v[137:140], v198 offset:1584
	s_waitcnt vmcnt(57) lgkmcnt(1)
	v_mul_f64 v[220:221], v[1:2], v[161:162]
	v_mul_f64 v[161:162], v[3:4], v[161:162]
	s_waitcnt vmcnt(56)
	v_fma_f64 v[209:210], v[5:6], v[216:217], -v[209:210]
	v_add_f64 v[143:144], v[149:150], v[143:144]
	v_fma_f64 v[149:150], v[7:8], v[216:217], v[205:206]
	v_add_f64 v[141:142], v[141:142], v[191:192]
	s_clause 0x2
	buffer_load_dword v202, off, s[0:3], 0 offset:812
	buffer_load_dword v192, off, s[0:3], 0 offset:788
	;; [unrolled: 1-line block ×3, first 2 shown]
	ds_read_b128 v[5:8], v198 offset:1600
	s_waitcnt vmcnt(58) lgkmcnt(1)
	v_mul_f64 v[205:206], v[137:138], v[203:204]
	v_mul_f64 v[203:204], v[139:140], v[203:204]
	s_waitcnt vmcnt(56)
	v_fma_f64 v[161:162], v[1:2], v[155:156], -v[161:162]
	v_fma_f64 v[155:156], v[3:4], v[155:156], v[220:221]
	v_add_f64 v[143:144], v[143:144], v[209:210]
	v_add_f64 v[141:142], v[141:142], v[149:150]
	s_clause 0x4
	buffer_load_dword v150, off, s[0:3], 0 offset:828
	buffer_load_dword v209, off, s[0:3], 0 offset:840
	buffer_load_dword v215, off, s[0:3], 0 offset:832
	buffer_load_dword v149, off, s[0:3], 0 offset:824
	buffer_load_dword v212, off, s[0:3], 0 offset:804
	ds_read_b128 v[1:4], v198 offset:1616
	s_waitcnt vmcnt(57) lgkmcnt(1)
	v_mul_f64 v[216:217], v[5:6], v[147:148]
	v_mul_f64 v[147:148], v[7:8], v[147:148]
	s_waitcnt vmcnt(56)
	v_fma_f64 v[203:204], v[137:138], v[218:219], -v[203:204]
	v_add_f64 v[143:144], v[143:144], v[161:162]
	v_fma_f64 v[161:162], v[139:140], v[218:219], v[205:206]
	v_add_f64 v[141:142], v[141:142], v[155:156]
	s_clause 0x2
	buffer_load_dword v210, off, s[0:3], 0 offset:844
	buffer_load_dword v156, off, s[0:3], 0 offset:820
	buffer_load_dword v155, off, s[0:3], 0 offset:816
	ds_read_b128 v[137:140], v198 offset:1632
	s_waitcnt vmcnt(58) lgkmcnt(1)
	v_mul_f64 v[205:206], v[1:2], v[165:166]
	v_mul_f64 v[165:166], v[3:4], v[165:166]
	s_waitcnt vmcnt(56)
	v_fma_f64 v[147:148], v[5:6], v[153:154], -v[147:148]
	v_fma_f64 v[153:154], v[7:8], v[153:154], v[216:217]
	v_add_f64 v[143:144], v[143:144], v[203:204]
	v_add_f64 v[141:142], v[141:142], v[161:162]
	s_clause 0x4
	buffer_load_dword v162, off, s[0:3], 0 offset:860
	buffer_load_dword v203, off, s[0:3], 0 offset:872
	;; [unrolled: 1-line block ×5, first 2 shown]
	ds_read_b128 v[5:8], v198 offset:1648
	s_waitcnt vmcnt(57) lgkmcnt(1)
	v_mul_f64 v[218:219], v[137:138], v[151:152]
	v_mul_f64 v[151:152], v[139:140], v[151:152]
	s_waitcnt vmcnt(56)
	v_fma_f64 v[165:166], v[1:2], v[213:214], -v[165:166]
	v_add_f64 v[143:144], v[143:144], v[147:148]
	v_fma_f64 v[147:148], v[3:4], v[213:214], v[205:206]
	v_add_f64 v[141:142], v[141:142], v[153:154]
	s_clause 0x2
	buffer_load_dword v204, off, s[0:3], 0 offset:876
	buffer_load_dword v154, off, s[0:3], 0 offset:852
	;; [unrolled: 1-line block ×3, first 2 shown]
	s_waitcnt vmcnt(58) lgkmcnt(0)
	v_mul_f64 v[205:206], v[5:6], v[173:174]
	v_mul_f64 v[173:174], v[7:8], v[173:174]
	ds_read_b128 v[1:4], v198 offset:1664
	s_waitcnt vmcnt(56)
	v_fma_f64 v[151:152], v[137:138], v[159:160], -v[151:152]
	v_fma_f64 v[159:160], v[139:140], v[159:160], v[218:219]
	v_add_f64 v[143:144], v[143:144], v[165:166]
	v_add_f64 v[141:142], v[141:142], v[147:148]
	s_clause 0x4
	buffer_load_dword v148, off, s[0:3], 0 offset:892
	buffer_load_dword v165, off, s[0:3], 0 offset:904
	;; [unrolled: 1-line block ×5, first 2 shown]
	ds_read_b128 v[137:140], v198 offset:1680
	s_waitcnt vmcnt(57) lgkmcnt(1)
	v_mul_f64 v[219:220], v[1:2], v[157:158]
	v_mul_f64 v[157:158], v[3:4], v[157:158]
	s_waitcnt vmcnt(56)
	v_fma_f64 v[173:174], v[5:6], v[199:200], -v[173:174]
	v_add_f64 v[143:144], v[143:144], v[151:152]
	v_fma_f64 v[151:152], v[7:8], v[199:200], v[205:206]
	v_add_f64 v[141:142], v[141:142], v[159:160]
	s_clause 0x2
	buffer_load_dword v166, off, s[0:3], 0 offset:908
	buffer_load_dword v160, off, s[0:3], 0 offset:884
	;; [unrolled: 1-line block ×3, first 2 shown]
	s_waitcnt vmcnt(58) lgkmcnt(0)
	v_mul_f64 v[199:200], v[137:138], v[179:180]
	v_mul_f64 v[179:180], v[139:140], v[179:180]
	ds_read_b128 v[5:8], v198 offset:1696
	s_waitcnt vmcnt(56)
	v_fma_f64 v[157:158], v[1:2], v[169:170], -v[157:158]
	v_fma_f64 v[169:170], v[3:4], v[169:170], v[219:220]
	v_add_f64 v[143:144], v[143:144], v[173:174]
	v_add_f64 v[141:142], v[141:142], v[151:152]
	s_clause 0x4
	buffer_load_dword v152, off, s[0:3], 0 offset:924
	buffer_load_dword v173, off, s[0:3], 0 offset:936
	buffer_load_dword v205, off, s[0:3], 0 offset:928
	buffer_load_dword v151, off, s[0:3], 0 offset:920
	buffer_load_dword v214, off, s[0:3], 0 offset:900
	ds_read_b128 v[1:4], v198 offset:1712
	s_waitcnt vmcnt(57) lgkmcnt(1)
	v_mul_f64 v[219:220], v[5:6], v[163:164]
	v_mul_f64 v[163:164], v[7:8], v[163:164]
	s_waitcnt vmcnt(56)
	v_fma_f64 v[179:180], v[137:138], v[181:182], -v[179:180]
	v_add_f64 v[143:144], v[143:144], v[157:158]
	v_fma_f64 v[157:158], v[139:140], v[181:182], v[199:200]
	v_add_f64 v[141:142], v[141:142], v[169:170]
	s_clause 0x2
	buffer_load_dword v174, off, s[0:3], 0 offset:940
	buffer_load_dword v170, off, s[0:3], 0 offset:916
	buffer_load_dword v169, off, s[0:3], 0 offset:912
	ds_read_b128 v[137:140], v198 offset:1728
	s_waitcnt vmcnt(58) lgkmcnt(1)
	v_mul_f64 v[181:182], v[1:2], v[187:188]
	v_mul_f64 v[187:188], v[3:4], v[187:188]
	s_waitcnt vmcnt(56)
	v_fma_f64 v[163:164], v[5:6], v[167:168], -v[163:164]
	v_fma_f64 v[167:168], v[7:8], v[167:168], v[219:220]
	v_add_f64 v[143:144], v[143:144], v[179:180]
	v_add_f64 v[141:142], v[141:142], v[157:158]
	s_clause 0x4
	buffer_load_dword v158, off, s[0:3], 0 offset:956
	buffer_load_dword v179, off, s[0:3], 0 offset:968
	buffer_load_dword v199, off, s[0:3], 0 offset:960
	buffer_load_dword v157, off, s[0:3], 0 offset:952
	buffer_load_dword v206, off, s[0:3], 0 offset:932
	ds_read_b128 v[5:8], v198 offset:1744
	s_waitcnt vmcnt(57) lgkmcnt(1)
	v_mul_f64 v[219:220], v[137:138], v[171:172]
	v_mul_f64 v[171:172], v[139:140], v[171:172]
	s_waitcnt vmcnt(56)
	v_fma_f64 v[187:188], v[1:2], v[189:190], -v[187:188]
	v_add_f64 v[143:144], v[143:144], v[163:164]
	v_fma_f64 v[163:164], v[3:4], v[189:190], v[181:182]
	v_add_f64 v[141:142], v[141:142], v[167:168]
	s_clause 0x2
	buffer_load_dword v180, off, s[0:3], 0 offset:972
	buffer_load_dword v168, off, s[0:3], 0 offset:948
	buffer_load_dword v167, off, s[0:3], 0 offset:944
	ds_read_b128 v[1:4], v198 offset:1760
	s_waitcnt vmcnt(58) lgkmcnt(1)
	v_mul_f64 v[189:190], v[7:8], v[193:194]
	v_mul_f64 v[181:182], v[5:6], v[193:194]
	;; [unrolled: 28-line block ×3, first 2 shown]
	s_waitcnt vmcnt(56)
	v_fma_f64 v[177:178], v[1:2], v[145:146], -v[177:178]
	v_fma_f64 v[145:146], v[3:4], v[145:146], v[219:220]
	v_add_f64 v[143:144], v[143:144], v[189:190]
	v_add_f64 v[141:142], v[141:142], v[171:172]
	s_clause 0x4
	buffer_load_dword v172, off, s[0:3], 0 offset:1020
	buffer_load_dword v189, off, s[0:3], 0 offset:1032
	buffer_load_dword v195, off, s[0:3], 0 offset:1024
	buffer_load_dword v171, off, s[0:3], 0 offset:1016
	buffer_load_dword v194, off, s[0:3], 0 offset:996
	ds_read_b128 v[1:4], v198 offset:1808
	s_waitcnt vmcnt(57) lgkmcnt(1)
	v_mul_f64 v[219:220], v[5:6], v[185:186]
	v_mul_f64 v[185:186], v[7:8], v[185:186]
	s_waitcnt vmcnt(56)
	v_fma_f64 v[183:184], v[137:138], v[207:208], -v[183:184]
	v_add_f64 v[143:144], v[143:144], v[177:178]
	v_fma_f64 v[177:178], v[139:140], v[207:208], v[181:182]
	v_add_f64 v[141:142], v[141:142], v[145:146]
	s_clause 0x2
	buffer_load_dword v190, off, s[0:3], 0 offset:1036
	buffer_load_dword v146, off, s[0:3], 0 offset:1012
	;; [unrolled: 1-line block ×3, first 2 shown]
	ds_read_b128 v[137:140], v198 offset:1824
	buffer_load_dword v196, off, s[0:3], 0 offset:1028
	s_waitcnt vmcnt(59) lgkmcnt(1)
	v_mul_f64 v[181:182], v[1:2], v[201:202]
	v_mul_f64 v[201:202], v[3:4], v[201:202]
	s_waitcnt vmcnt(57)
	v_fma_f64 v[185:186], v[5:6], v[191:192], -v[185:186]
	v_add_f64 v[143:144], v[143:144], v[183:184]
	v_fma_f64 v[183:184], v[7:8], v[191:192], v[219:220]
	v_add_f64 v[141:142], v[141:142], v[177:178]
	ds_read_b128 v[5:8], v198 offset:1840
	s_waitcnt vmcnt(53) lgkmcnt(1)
	v_mul_f64 v[177:178], v[137:138], v[149:150]
	v_mul_f64 v[149:150], v[139:140], v[149:150]
	s_waitcnt vmcnt(52)
	v_fma_f64 v[191:192], v[1:2], v[211:212], -v[201:202]
	v_fma_f64 v[181:182], v[3:4], v[211:212], v[181:182]
	ds_read_b128 v[1:4], v198 offset:1856
	v_add_f64 v[143:144], v[143:144], v[185:186]
	v_add_f64 v[141:142], v[141:142], v[183:184]
	s_waitcnt vmcnt(51) lgkmcnt(1)
	v_mul_f64 v[185:186], v[7:8], v[209:210]
	v_mul_f64 v[183:184], v[5:6], v[209:210]
	s_waitcnt vmcnt(49)
	v_fma_f64 v[149:150], v[137:138], v[155:156], -v[149:150]
	v_fma_f64 v[155:156], v[139:140], v[155:156], v[177:178]
	v_add_f64 v[143:144], v[143:144], v[191:192]
	v_add_f64 v[141:142], v[141:142], v[181:182]
	s_clause 0x3
	buffer_load_dword v177, off, s[0:3], 0 offset:240
	buffer_load_dword v178, off, s[0:3], 0 offset:244
	;; [unrolled: 1-line block ×4, first 2 shown]
	ds_read_b128 v[137:140], v198 offset:1872
	s_waitcnt vmcnt(49) lgkmcnt(1)
	v_mul_f64 v[191:192], v[1:2], v[161:162]
	v_mul_f64 v[161:162], v[3:4], v[161:162]
	s_waitcnt vmcnt(48)
	v_fma_f64 v[185:186], v[5:6], v[215:216], -v[185:186]
	v_add_f64 v[143:144], v[143:144], v[149:150]
	v_fma_f64 v[149:150], v[7:8], v[215:216], v[183:184]
	v_add_f64 v[141:142], v[141:142], v[155:156]
	ds_read_b128 v[5:8], v198 offset:1888
	s_waitcnt vmcnt(47) lgkmcnt(1)
	v_mul_f64 v[183:184], v[139:140], v[203:204]
	v_mul_f64 v[155:156], v[137:138], v[203:204]
	s_waitcnt vmcnt(45)
	v_fma_f64 v[161:162], v[1:2], v[153:154], -v[161:162]
	v_fma_f64 v[153:154], v[3:4], v[153:154], v[191:192]
	ds_read_b128 v[1:4], v198 offset:1904
	v_add_f64 v[143:144], v[143:144], v[185:186]
	v_add_f64 v[141:142], v[141:142], v[149:150]
	s_waitcnt vmcnt(41) lgkmcnt(1)
	v_mul_f64 v[149:150], v[5:6], v[147:148]
	v_mul_f64 v[147:148], v[7:8], v[147:148]
	s_waitcnt vmcnt(40)
	v_fma_f64 v[183:184], v[137:138], v[217:218], -v[183:184]
	v_fma_f64 v[155:156], v[139:140], v[217:218], v[155:156]
	ds_read_b128 v[137:140], v198 offset:1920
	v_add_f64 v[143:144], v[143:144], v[161:162]
	v_add_f64 v[141:142], v[141:142], v[153:154]
	;; [unrolled: 9-line block ×3, first 2 shown]
	s_waitcnt vmcnt(33) lgkmcnt(1)
	v_mul_f64 v[155:156], v[137:138], v[151:152]
	v_mul_f64 v[151:152], v[139:140], v[151:152]
	s_waitcnt vmcnt(32)
	v_fma_f64 v[159:160], v[1:2], v[213:214], -v[161:162]
	v_add_f64 v[143:144], v[143:144], v[147:148]
	v_fma_f64 v[147:148], v[3:4], v[213:214], v[153:154]
	v_add_f64 v[141:142], v[141:142], v[149:150]
	ds_read_b128 v[1:4], v198 offset:1952
	s_waitcnt vmcnt(31) lgkmcnt(1)
	v_mul_f64 v[153:154], v[7:8], v[173:174]
	v_mul_f64 v[149:150], v[5:6], v[173:174]
	s_waitcnt vmcnt(29)
	v_fma_f64 v[151:152], v[137:138], v[169:170], -v[151:152]
	v_fma_f64 v[155:156], v[139:140], v[169:170], v[155:156]
	ds_read_b128 v[137:140], v198 offset:1968
	v_add_f64 v[143:144], v[143:144], v[159:160]
	v_add_f64 v[141:142], v[141:142], v[147:148]
	s_waitcnt vmcnt(25) lgkmcnt(1)
	v_mul_f64 v[147:148], v[1:2], v[157:158]
	v_mul_f64 v[157:158], v[3:4], v[157:158]
	s_waitcnt vmcnt(24)
	v_fma_f64 v[153:154], v[5:6], v[205:206], -v[153:154]
	v_fma_f64 v[149:150], v[7:8], v[205:206], v[149:150]
	ds_read_b128 v[5:8], v198 offset:1984
	v_add_f64 v[143:144], v[143:144], v[151:152]
	v_add_f64 v[141:142], v[141:142], v[155:156]
	;; [unrolled: 9-line block ×3, first 2 shown]
	s_waitcnt vmcnt(17) lgkmcnt(1)
	v_mul_f64 v[153:154], v[7:8], v[163:164]
	s_waitcnt vmcnt(16)
	v_fma_f64 v[155:156], v[137:138], v[199:200], -v[155:156]
	v_mul_f64 v[149:150], v[5:6], v[163:164]
	v_fma_f64 v[151:152], v[139:140], v[199:200], v[151:152]
	ds_read_b128 v[137:140], v198 offset:2016
	v_add_f64 v[143:144], v[143:144], v[157:158]
	v_add_f64 v[141:142], v[141:142], v[147:148]
	s_waitcnt vmcnt(15) lgkmcnt(1)
	v_mul_f64 v[157:158], v[3:4], v[187:188]
	v_mul_f64 v[147:148], v[1:2], v[187:188]
	s_waitcnt vmcnt(13)
	v_fma_f64 v[153:154], v[5:6], v[175:176], -v[153:154]
	v_fma_f64 v[149:150], v[7:8], v[175:176], v[149:150]
	ds_read_b128 v[5:8], v198 offset:2032
	v_add_f64 v[143:144], v[143:144], v[155:156]
	v_add_f64 v[141:142], v[141:142], v[151:152]
	s_waitcnt vmcnt(9) lgkmcnt(1)
	v_mul_f64 v[155:156], v[139:140], v[171:172]
	s_waitcnt vmcnt(8)
	v_fma_f64 v[1:2], v[1:2], v[193:194], -v[157:158]
	v_mul_f64 v[151:152], v[137:138], v[171:172]
	v_fma_f64 v[3:4], v[3:4], v[193:194], v[147:148]
	v_add_f64 v[143:144], v[143:144], v[153:154]
	v_add_f64 v[141:142], v[141:142], v[149:150]
	s_waitcnt vmcnt(7) lgkmcnt(0)
	v_mul_f64 v[149:150], v[7:8], v[189:190]
	v_mul_f64 v[147:148], v[5:6], v[189:190]
	s_waitcnt vmcnt(5)
	v_fma_f64 v[137:138], v[137:138], v[145:146], -v[155:156]
	v_fma_f64 v[139:140], v[139:140], v[145:146], v[151:152]
	v_add_f64 v[1:2], v[143:144], v[1:2]
	v_add_f64 v[3:4], v[141:142], v[3:4]
	s_waitcnt vmcnt(4)
	v_fma_f64 v[5:6], v[5:6], v[195:196], -v[149:150]
	v_fma_f64 v[7:8], v[7:8], v[195:196], v[147:148]
	v_add_f64 v[1:2], v[1:2], v[137:138]
	v_add_f64 v[3:4], v[3:4], v[139:140]
	;; [unrolled: 1-line block ×4, first 2 shown]
	s_waitcnt vmcnt(2)
	v_add_f64 v[1:2], v[177:178], -v[1:2]
	s_waitcnt vmcnt(0)
	v_add_f64 v[3:4], v[181:182], -v[3:4]
	buffer_store_dword v2, off, s[0:3], 0 offset:244
	buffer_store_dword v1, off, s[0:3], 0 offset:240
	;; [unrolled: 1-line block ×4, first 2 shown]
	v_cmpx_lt_u32_e32 13, v0
	s_cbranch_execz .LBB127_383
; %bb.382:
	v_mov_b32_e32 v4, s65
	s_clause 0x3
	buffer_load_dword v1, v4, s[0:3], 0 offen
	buffer_load_dword v2, v4, s[0:3], 0 offen offset:4
	buffer_load_dword v3, v4, s[0:3], 0 offen offset:8
	;; [unrolled: 1-line block ×3, first 2 shown]
	buffer_store_dword v198, off, s[0:3], 0 offset:224
	buffer_store_dword v198, off, s[0:3], 0 offset:228
	;; [unrolled: 1-line block ×4, first 2 shown]
	s_waitcnt vmcnt(0)
	ds_write_b128 v197, v[1:4]
.LBB127_383:
	s_or_b32 exec_lo, exec_lo, s4
	s_waitcnt lgkmcnt(0)
	s_waitcnt_vscnt null, 0x0
	s_barrier
	buffer_gl0_inv
	s_clause 0x37
	buffer_load_dword v145, off, s[0:3], 0 offset:248
	buffer_load_dword v146, off, s[0:3], 0 offset:252
	buffer_load_dword v141, off, s[0:3], 0 offset:264
	buffer_load_dword v142, off, s[0:3], 0 offset:268
	buffer_load_dword v143, off, s[0:3], 0 offset:240
	buffer_load_dword v144, off, s[0:3], 0 offset:244
	buffer_load_dword v139, off, s[0:3], 0 offset:280
	buffer_load_dword v140, off, s[0:3], 0 offset:284
	buffer_load_dword v137, off, s[0:3], 0 offset:256
	buffer_load_dword v138, off, s[0:3], 0 offset:260
	buffer_load_dword v150, off, s[0:3], 0 offset:300
	buffer_load_dword v153, off, s[0:3], 0 offset:312
	buffer_load_dword v147, off, s[0:3], 0 offset:304
	buffer_load_dword v149, off, s[0:3], 0 offset:296
	buffer_load_dword v161, off, s[0:3], 0 offset:272
	buffer_load_dword v162, off, s[0:3], 0 offset:276
	buffer_load_dword v154, off, s[0:3], 0 offset:316
	buffer_load_dword v156, off, s[0:3], 0 offset:292
	buffer_load_dword v155, off, s[0:3], 0 offset:288
	buffer_load_dword v158, off, s[0:3], 0 offset:332
	buffer_load_dword v163, off, s[0:3], 0 offset:344
	buffer_load_dword v151, off, s[0:3], 0 offset:336
	buffer_load_dword v157, off, s[0:3], 0 offset:328
	buffer_load_dword v148, off, s[0:3], 0 offset:308
	buffer_load_dword v164, off, s[0:3], 0 offset:348
	buffer_load_dword v166, off, s[0:3], 0 offset:324
	buffer_load_dword v165, off, s[0:3], 0 offset:320
	buffer_load_dword v168, off, s[0:3], 0 offset:364
	buffer_load_dword v171, off, s[0:3], 0 offset:376
	buffer_load_dword v159, off, s[0:3], 0 offset:368
	buffer_load_dword v167, off, s[0:3], 0 offset:360
	buffer_load_dword v152, off, s[0:3], 0 offset:340
	buffer_load_dword v172, off, s[0:3], 0 offset:380
	buffer_load_dword v174, off, s[0:3], 0 offset:356
	buffer_load_dword v173, off, s[0:3], 0 offset:352
	buffer_load_dword v176, off, s[0:3], 0 offset:396
	buffer_load_dword v179, off, s[0:3], 0 offset:408
	buffer_load_dword v169, off, s[0:3], 0 offset:400
	buffer_load_dword v175, off, s[0:3], 0 offset:392
	buffer_load_dword v160, off, s[0:3], 0 offset:372
	buffer_load_dword v180, off, s[0:3], 0 offset:412
	buffer_load_dword v182, off, s[0:3], 0 offset:388
	buffer_load_dword v181, off, s[0:3], 0 offset:384
	buffer_load_dword v184, off, s[0:3], 0 offset:428
	buffer_load_dword v187, off, s[0:3], 0 offset:440
	buffer_load_dword v177, off, s[0:3], 0 offset:432
	buffer_load_dword v183, off, s[0:3], 0 offset:424
	buffer_load_dword v170, off, s[0:3], 0 offset:404
	buffer_load_dword v188, off, s[0:3], 0 offset:444
	buffer_load_dword v190, off, s[0:3], 0 offset:420
	buffer_load_dword v189, off, s[0:3], 0 offset:416
	buffer_load_dword v192, off, s[0:3], 0 offset:460
	buffer_load_dword v193, off, s[0:3], 0 offset:472
	buffer_load_dword v185, off, s[0:3], 0 offset:464
	buffer_load_dword v191, off, s[0:3], 0 offset:456
	buffer_load_dword v178, off, s[0:3], 0 offset:436
	ds_read_b128 v[5:8], v198 offset:1248
	s_clause 0x2
	buffer_load_dword v194, off, s[0:3], 0 offset:476
	buffer_load_dword v196, off, s[0:3], 0 offset:452
	;; [unrolled: 1-line block ×3, first 2 shown]
	ds_read_b128 v[1:4], v198 offset:1264
	s_clause 0x4
	buffer_load_dword v206, off, s[0:3], 0 offset:492
	buffer_load_dword v207, off, s[0:3], 0 offset:504
	;; [unrolled: 1-line block ×5, first 2 shown]
	ds_read_b128 v[199:202], v198 offset:1280
	s_mov_b32 s4, exec_lo
	s_waitcnt vmcnt(62) lgkmcnt(2)
	v_mul_f64 v[203:204], v[7:8], v[145:146]
	v_mul_f64 v[145:146], v[5:6], v[145:146]
	s_waitcnt vmcnt(60) lgkmcnt(1)
	v_mul_f64 v[210:211], v[3:4], v[141:142]
	v_mul_f64 v[141:142], v[1:2], v[141:142]
	;; [unrolled: 3-line block ×3, first 2 shown]
	v_fma_f64 v[203:204], v[5:6], v[143:144], -v[203:204]
	v_fma_f64 v[143:144], v[7:8], v[143:144], v[145:146]
	s_clause 0x2
	buffer_load_dword v208, off, s[0:3], 0 offset:508
	buffer_load_dword v146, off, s[0:3], 0 offset:484
	;; [unrolled: 1-line block ×3, first 2 shown]
	s_waitcnt vmcnt(57)
	v_fma_f64 v[214:215], v[1:2], v[137:138], -v[210:211]
	ds_read_b128 v[5:8], v198 offset:1296
	v_fma_f64 v[137:138], v[3:4], v[137:138], v[141:142]
	s_waitcnt vmcnt(51)
	v_fma_f64 v[199:200], v[199:200], v[161:162], -v[139:140]
	v_fma_f64 v[161:162], v[201:202], v[161:162], v[212:213]
	v_add_f64 v[203:204], v[203:204], 0
	v_add_f64 v[141:142], v[143:144], 0
	s_clause 0x4
	buffer_load_dword v144, off, s[0:3], 0 offset:524
	buffer_load_dword v211, off, s[0:3], 0 offset:536
	;; [unrolled: 1-line block ×5, first 2 shown]
	s_waitcnt lgkmcnt(0)
	v_mul_f64 v[217:218], v[5:6], v[149:150]
	v_mul_f64 v[149:150], v[7:8], v[149:150]
	ds_read_b128 v[1:4], v198 offset:1312
	s_clause 0x2
	buffer_load_dword v212, off, s[0:3], 0 offset:540
	buffer_load_dword v202, off, s[0:3], 0 offset:516
	;; [unrolled: 1-line block ×3, first 2 shown]
	v_add_f64 v[203:204], v[203:204], v[214:215]
	v_add_f64 v[141:142], v[141:142], v[137:138]
	ds_read_b128 v[137:140], v198 offset:1328
	s_waitcnt vmcnt(58) lgkmcnt(1)
	v_mul_f64 v[213:214], v[1:2], v[153:154]
	v_mul_f64 v[153:154], v[3:4], v[153:154]
	s_waitcnt vmcnt(56)
	v_fma_f64 v[149:150], v[5:6], v[155:156], -v[149:150]
	v_fma_f64 v[155:156], v[7:8], v[155:156], v[217:218]
	s_waitcnt vmcnt(52) lgkmcnt(0)
	v_mul_f64 v[219:220], v[137:138], v[157:158]
	v_add_f64 v[199:200], v[203:204], v[199:200]
	v_add_f64 v[141:142], v[141:142], v[161:162]
	s_clause 0x4
	buffer_load_dword v162, off, s[0:3], 0 offset:556
	buffer_load_dword v203, off, s[0:3], 0 offset:568
	;; [unrolled: 1-line block ×5, first 2 shown]
	v_mul_f64 v[157:158], v[139:140], v[157:158]
	s_waitcnt vmcnt(56)
	v_fma_f64 v[153:154], v[1:2], v[147:148], -v[153:154]
	ds_read_b128 v[5:8], v198 offset:1344
	v_fma_f64 v[147:148], v[3:4], v[147:148], v[213:214]
	v_add_f64 v[149:150], v[199:200], v[149:150]
	v_add_f64 v[141:142], v[141:142], v[155:156]
	s_clause 0x2
	buffer_load_dword v204, off, s[0:3], 0 offset:572
	buffer_load_dword v156, off, s[0:3], 0 offset:548
	;; [unrolled: 1-line block ×3, first 2 shown]
	s_waitcnt vmcnt(58) lgkmcnt(0)
	v_mul_f64 v[199:200], v[5:6], v[163:164]
	v_mul_f64 v[163:164], v[7:8], v[163:164]
	s_waitcnt vmcnt(56)
	v_fma_f64 v[157:158], v[137:138], v[165:166], -v[157:158]
	ds_read_b128 v[1:4], v198 offset:1360
	v_add_f64 v[149:150], v[149:150], v[153:154]
	v_fma_f64 v[153:154], v[139:140], v[165:166], v[219:220]
	v_add_f64 v[141:142], v[141:142], v[147:148]
	s_clause 0x4
	buffer_load_dword v148, off, s[0:3], 0 offset:588
	buffer_load_dword v165, off, s[0:3], 0 offset:600
	;; [unrolled: 1-line block ×5, first 2 shown]
	s_waitcnt vmcnt(57) lgkmcnt(0)
	v_mul_f64 v[214:215], v[1:2], v[167:168]
	v_mul_f64 v[167:168], v[3:4], v[167:168]
	s_waitcnt vmcnt(56)
	v_fma_f64 v[163:164], v[5:6], v[151:152], -v[163:164]
	ds_read_b128 v[137:140], v198 offset:1376
	v_fma_f64 v[151:152], v[7:8], v[151:152], v[199:200]
	v_add_f64 v[149:150], v[149:150], v[157:158]
	v_add_f64 v[141:142], v[141:142], v[153:154]
	s_clause 0x2
	buffer_load_dword v166, off, s[0:3], 0 offset:604
	buffer_load_dword v154, off, s[0:3], 0 offset:580
	;; [unrolled: 1-line block ×3, first 2 shown]
	ds_read_b128 v[5:8], v198 offset:1392
	s_waitcnt vmcnt(58) lgkmcnt(1)
	v_mul_f64 v[157:158], v[137:138], v[171:172]
	v_mul_f64 v[171:172], v[139:140], v[171:172]
	s_waitcnt vmcnt(56)
	v_fma_f64 v[167:168], v[1:2], v[173:174], -v[167:168]
	v_add_f64 v[149:150], v[149:150], v[163:164]
	v_fma_f64 v[163:164], v[3:4], v[173:174], v[214:215]
	v_add_f64 v[141:142], v[141:142], v[151:152]
	s_clause 0x4
	buffer_load_dword v152, off, s[0:3], 0 offset:620
	buffer_load_dword v173, off, s[0:3], 0 offset:632
	buffer_load_dword v199, off, s[0:3], 0 offset:624
	buffer_load_dword v151, off, s[0:3], 0 offset:616
	buffer_load_dword v214, off, s[0:3], 0 offset:596
	s_waitcnt vmcnt(57) lgkmcnt(0)
	v_mul_f64 v[220:221], v[5:6], v[175:176]
	v_mul_f64 v[175:176], v[7:8], v[175:176]
	s_waitcnt vmcnt(56)
	v_fma_f64 v[171:172], v[137:138], v[159:160], -v[171:172]
	ds_read_b128 v[1:4], v198 offset:1408
	v_fma_f64 v[157:158], v[139:140], v[159:160], v[157:158]
	s_clause 0x2
	buffer_load_dword v174, off, s[0:3], 0 offset:636
	buffer_load_dword v160, off, s[0:3], 0 offset:612
	;; [unrolled: 1-line block ×3, first 2 shown]
	ds_read_b128 v[137:140], v198 offset:1424
	v_add_f64 v[149:150], v[149:150], v[167:168]
	v_add_f64 v[141:142], v[141:142], v[163:164]
	s_waitcnt vmcnt(58) lgkmcnt(1)
	v_mul_f64 v[167:168], v[3:4], v[179:180]
	s_waitcnt vmcnt(56)
	v_fma_f64 v[175:176], v[5:6], v[181:182], -v[175:176]
	v_mul_f64 v[163:164], v[1:2], v[179:180]
	v_add_f64 v[149:150], v[149:150], v[171:172]
	v_fma_f64 v[171:172], v[7:8], v[181:182], v[220:221]
	v_add_f64 v[141:142], v[141:142], v[157:158]
	s_clause 0x4
	buffer_load_dword v158, off, s[0:3], 0 offset:652
	buffer_load_dword v179, off, s[0:3], 0 offset:664
	;; [unrolled: 1-line block ×5, first 2 shown]
	s_waitcnt vmcnt(57) lgkmcnt(0)
	v_mul_f64 v[220:221], v[137:138], v[183:184]
	v_mul_f64 v[182:183], v[139:140], v[183:184]
	s_waitcnt vmcnt(56)
	v_fma_f64 v[167:168], v[1:2], v[169:170], -v[167:168]
	ds_read_b128 v[5:8], v198 offset:1440
	v_fma_f64 v[163:164], v[3:4], v[169:170], v[163:164]
	s_clause 0x2
	buffer_load_dword v180, off, s[0:3], 0 offset:668
	buffer_load_dword v170, off, s[0:3], 0 offset:644
	;; [unrolled: 1-line block ×3, first 2 shown]
	ds_read_b128 v[1:4], v198 offset:1456
	v_add_f64 v[149:150], v[149:150], v[175:176]
	v_add_f64 v[141:142], v[141:142], v[171:172]
	s_waitcnt vmcnt(58) lgkmcnt(1)
	v_mul_f64 v[175:176], v[7:8], v[187:188]
	s_waitcnt vmcnt(56)
	v_fma_f64 v[183:184], v[137:138], v[189:190], -v[182:183]
	v_mul_f64 v[171:172], v[5:6], v[187:188]
	v_add_f64 v[149:150], v[149:150], v[167:168]
	v_fma_f64 v[167:168], v[139:140], v[189:190], v[220:221]
	v_add_f64 v[141:142], v[141:142], v[163:164]
	s_clause 0x4
	buffer_load_dword v164, off, s[0:3], 0 offset:684
	buffer_load_dword v187, off, s[0:3], 0 offset:696
	;; [unrolled: 1-line block ×5, first 2 shown]
	s_waitcnt vmcnt(57) lgkmcnt(0)
	v_mul_f64 v[220:221], v[1:2], v[191:192]
	v_mul_f64 v[190:191], v[3:4], v[191:192]
	s_waitcnt vmcnt(56)
	v_fma_f64 v[175:176], v[5:6], v[177:178], -v[175:176]
	ds_read_b128 v[137:140], v198 offset:1472
	v_fma_f64 v[171:172], v[7:8], v[177:178], v[171:172]
	v_add_f64 v[149:150], v[149:150], v[183:184]
	v_add_f64 v[141:142], v[141:142], v[167:168]
	s_clause 0x2
	buffer_load_dword v188, off, s[0:3], 0 offset:700
	buffer_load_dword v168, off, s[0:3], 0 offset:676
	;; [unrolled: 1-line block ×3, first 2 shown]
	ds_read_b128 v[5:8], v198 offset:1488
	s_waitcnt vmcnt(58) lgkmcnt(1)
	v_mul_f64 v[183:184], v[139:140], v[193:194]
	s_waitcnt vmcnt(56)
	v_fma_f64 v[191:192], v[1:2], v[195:196], -v[190:191]
	v_mul_f64 v[177:178], v[137:138], v[193:194]
	v_add_f64 v[149:150], v[149:150], v[175:176]
	v_fma_f64 v[175:176], v[3:4], v[195:196], v[220:221]
	v_add_f64 v[141:142], v[141:142], v[171:172]
	s_clause 0x4
	buffer_load_dword v172, off, s[0:3], 0 offset:716
	buffer_load_dword v193, off, s[0:3], 0 offset:728
	buffer_load_dword v195, off, s[0:3], 0 offset:720
	buffer_load_dword v171, off, s[0:3], 0 offset:712
	buffer_load_dword v190, off, s[0:3], 0 offset:692
	s_waitcnt vmcnt(57) lgkmcnt(0)
	v_mul_f64 v[220:221], v[5:6], v[205:206]
	v_mul_f64 v[205:206], v[7:8], v[205:206]
	s_waitcnt vmcnt(56)
	v_fma_f64 v[183:184], v[137:138], v[185:186], -v[183:184]
	ds_read_b128 v[1:4], v198 offset:1504
	v_fma_f64 v[177:178], v[139:140], v[185:186], v[177:178]
	v_add_f64 v[149:150], v[149:150], v[191:192]
	v_add_f64 v[141:142], v[141:142], v[175:176]
	s_clause 0x2
	buffer_load_dword v194, off, s[0:3], 0 offset:732
	buffer_load_dword v176, off, s[0:3], 0 offset:708
	;; [unrolled: 1-line block ×3, first 2 shown]
	ds_read_b128 v[137:140], v198 offset:1520
	s_waitcnt vmcnt(58) lgkmcnt(1)
	v_mul_f64 v[191:192], v[3:4], v[207:208]
	v_mul_f64 v[185:186], v[1:2], v[207:208]
	s_waitcnt vmcnt(56)
	v_fma_f64 v[205:206], v[5:6], v[145:146], -v[205:206]
	v_fma_f64 v[145:146], v[7:8], v[145:146], v[220:221]
	v_add_f64 v[149:150], v[149:150], v[183:184]
	v_add_f64 v[141:142], v[141:142], v[177:178]
	s_clause 0x4
	buffer_load_dword v178, off, s[0:3], 0 offset:748
	buffer_load_dword v183, off, s[0:3], 0 offset:760
	;; [unrolled: 1-line block ×5, first 2 shown]
	ds_read_b128 v[5:8], v198 offset:1536
	s_waitcnt vmcnt(57) lgkmcnt(1)
	v_mul_f64 v[220:221], v[137:138], v[143:144]
	v_mul_f64 v[143:144], v[139:140], v[143:144]
	s_waitcnt vmcnt(56)
	v_fma_f64 v[191:192], v[1:2], v[209:210], -v[191:192]
	v_fma_f64 v[185:186], v[3:4], v[209:210], v[185:186]
	v_add_f64 v[149:150], v[149:150], v[205:206]
	v_add_f64 v[141:142], v[141:142], v[145:146]
	s_clause 0x2
	buffer_load_dword v184, off, s[0:3], 0 offset:764
	buffer_load_dword v146, off, s[0:3], 0 offset:740
	;; [unrolled: 1-line block ×3, first 2 shown]
	s_waitcnt vmcnt(58) lgkmcnt(0)
	v_mul_f64 v[209:210], v[7:8], v[211:212]
	ds_read_b128 v[1:4], v198 offset:1552
	v_mul_f64 v[205:206], v[5:6], v[211:212]
	s_waitcnt vmcnt(56)
	v_fma_f64 v[143:144], v[137:138], v[201:202], -v[143:144]
	v_add_f64 v[149:150], v[149:150], v[191:192]
	v_fma_f64 v[191:192], v[139:140], v[201:202], v[220:221]
	v_add_f64 v[141:142], v[141:142], v[185:186]
	s_clause 0x4
	buffer_load_dword v186, off, s[0:3], 0 offset:780
	buffer_load_dword v201, off, s[0:3], 0 offset:792
	;; [unrolled: 1-line block ×5, first 2 shown]
	ds_read_b128 v[137:140], v198 offset:1568
	s_waitcnt vmcnt(57) lgkmcnt(1)
	v_mul_f64 v[220:221], v[1:2], v[161:162]
	v_mul_f64 v[161:162], v[3:4], v[161:162]
	s_waitcnt vmcnt(56)
	v_fma_f64 v[209:210], v[5:6], v[216:217], -v[209:210]
	v_add_f64 v[143:144], v[149:150], v[143:144]
	v_fma_f64 v[149:150], v[7:8], v[216:217], v[205:206]
	v_add_f64 v[141:142], v[141:142], v[191:192]
	s_clause 0x2
	buffer_load_dword v202, off, s[0:3], 0 offset:796
	buffer_load_dword v192, off, s[0:3], 0 offset:772
	;; [unrolled: 1-line block ×3, first 2 shown]
	ds_read_b128 v[5:8], v198 offset:1584
	s_waitcnt vmcnt(58) lgkmcnt(1)
	v_mul_f64 v[205:206], v[137:138], v[203:204]
	v_mul_f64 v[203:204], v[139:140], v[203:204]
	s_waitcnt vmcnt(56)
	v_fma_f64 v[161:162], v[1:2], v[155:156], -v[161:162]
	v_fma_f64 v[155:156], v[3:4], v[155:156], v[220:221]
	v_add_f64 v[143:144], v[143:144], v[209:210]
	v_add_f64 v[141:142], v[141:142], v[149:150]
	s_clause 0x4
	buffer_load_dword v150, off, s[0:3], 0 offset:812
	buffer_load_dword v209, off, s[0:3], 0 offset:824
	;; [unrolled: 1-line block ×5, first 2 shown]
	ds_read_b128 v[1:4], v198 offset:1600
	s_waitcnt vmcnt(57) lgkmcnt(1)
	v_mul_f64 v[216:217], v[5:6], v[147:148]
	v_mul_f64 v[147:148], v[7:8], v[147:148]
	s_waitcnt vmcnt(56)
	v_fma_f64 v[203:204], v[137:138], v[218:219], -v[203:204]
	v_add_f64 v[143:144], v[143:144], v[161:162]
	v_fma_f64 v[161:162], v[139:140], v[218:219], v[205:206]
	v_add_f64 v[141:142], v[141:142], v[155:156]
	s_clause 0x2
	buffer_load_dword v210, off, s[0:3], 0 offset:828
	buffer_load_dword v156, off, s[0:3], 0 offset:804
	;; [unrolled: 1-line block ×3, first 2 shown]
	ds_read_b128 v[137:140], v198 offset:1616
	s_waitcnt vmcnt(58) lgkmcnt(1)
	v_mul_f64 v[205:206], v[1:2], v[165:166]
	v_mul_f64 v[165:166], v[3:4], v[165:166]
	s_waitcnt vmcnt(56)
	v_fma_f64 v[147:148], v[5:6], v[153:154], -v[147:148]
	v_fma_f64 v[153:154], v[7:8], v[153:154], v[216:217]
	v_add_f64 v[143:144], v[143:144], v[203:204]
	v_add_f64 v[141:142], v[141:142], v[161:162]
	s_clause 0x4
	buffer_load_dword v162, off, s[0:3], 0 offset:844
	buffer_load_dword v203, off, s[0:3], 0 offset:856
	;; [unrolled: 1-line block ×5, first 2 shown]
	ds_read_b128 v[5:8], v198 offset:1632
	s_waitcnt vmcnt(57) lgkmcnt(1)
	v_mul_f64 v[218:219], v[137:138], v[151:152]
	v_mul_f64 v[151:152], v[139:140], v[151:152]
	s_waitcnt vmcnt(56)
	v_fma_f64 v[165:166], v[1:2], v[213:214], -v[165:166]
	v_add_f64 v[143:144], v[143:144], v[147:148]
	v_fma_f64 v[147:148], v[3:4], v[213:214], v[205:206]
	v_add_f64 v[141:142], v[141:142], v[153:154]
	s_clause 0x2
	buffer_load_dword v204, off, s[0:3], 0 offset:860
	buffer_load_dword v154, off, s[0:3], 0 offset:836
	;; [unrolled: 1-line block ×3, first 2 shown]
	s_waitcnt vmcnt(58) lgkmcnt(0)
	v_mul_f64 v[205:206], v[5:6], v[173:174]
	v_mul_f64 v[173:174], v[7:8], v[173:174]
	ds_read_b128 v[1:4], v198 offset:1648
	s_waitcnt vmcnt(56)
	v_fma_f64 v[151:152], v[137:138], v[159:160], -v[151:152]
	v_fma_f64 v[159:160], v[139:140], v[159:160], v[218:219]
	v_add_f64 v[143:144], v[143:144], v[165:166]
	v_add_f64 v[141:142], v[141:142], v[147:148]
	s_clause 0x4
	buffer_load_dword v148, off, s[0:3], 0 offset:876
	buffer_load_dword v165, off, s[0:3], 0 offset:888
	;; [unrolled: 1-line block ×5, first 2 shown]
	ds_read_b128 v[137:140], v198 offset:1664
	s_waitcnt vmcnt(57) lgkmcnt(1)
	v_mul_f64 v[219:220], v[1:2], v[157:158]
	v_mul_f64 v[157:158], v[3:4], v[157:158]
	s_waitcnt vmcnt(56)
	v_fma_f64 v[173:174], v[5:6], v[199:200], -v[173:174]
	v_add_f64 v[143:144], v[143:144], v[151:152]
	v_fma_f64 v[151:152], v[7:8], v[199:200], v[205:206]
	v_add_f64 v[141:142], v[141:142], v[159:160]
	s_clause 0x2
	buffer_load_dword v166, off, s[0:3], 0 offset:892
	buffer_load_dword v160, off, s[0:3], 0 offset:868
	;; [unrolled: 1-line block ×3, first 2 shown]
	s_waitcnt vmcnt(58) lgkmcnt(0)
	v_mul_f64 v[199:200], v[137:138], v[179:180]
	v_mul_f64 v[179:180], v[139:140], v[179:180]
	ds_read_b128 v[5:8], v198 offset:1680
	s_waitcnt vmcnt(56)
	v_fma_f64 v[157:158], v[1:2], v[169:170], -v[157:158]
	v_fma_f64 v[169:170], v[3:4], v[169:170], v[219:220]
	v_add_f64 v[143:144], v[143:144], v[173:174]
	v_add_f64 v[141:142], v[141:142], v[151:152]
	s_clause 0x4
	buffer_load_dword v152, off, s[0:3], 0 offset:908
	buffer_load_dword v173, off, s[0:3], 0 offset:920
	buffer_load_dword v205, off, s[0:3], 0 offset:912
	buffer_load_dword v151, off, s[0:3], 0 offset:904
	buffer_load_dword v214, off, s[0:3], 0 offset:884
	ds_read_b128 v[1:4], v198 offset:1696
	s_waitcnt vmcnt(57) lgkmcnt(1)
	v_mul_f64 v[219:220], v[5:6], v[163:164]
	v_mul_f64 v[163:164], v[7:8], v[163:164]
	s_waitcnt vmcnt(56)
	v_fma_f64 v[179:180], v[137:138], v[181:182], -v[179:180]
	v_add_f64 v[143:144], v[143:144], v[157:158]
	v_fma_f64 v[157:158], v[139:140], v[181:182], v[199:200]
	v_add_f64 v[141:142], v[141:142], v[169:170]
	s_clause 0x2
	buffer_load_dword v174, off, s[0:3], 0 offset:924
	buffer_load_dword v170, off, s[0:3], 0 offset:900
	buffer_load_dword v169, off, s[0:3], 0 offset:896
	ds_read_b128 v[137:140], v198 offset:1712
	s_waitcnt vmcnt(58) lgkmcnt(1)
	v_mul_f64 v[181:182], v[1:2], v[187:188]
	v_mul_f64 v[187:188], v[3:4], v[187:188]
	s_waitcnt vmcnt(56)
	v_fma_f64 v[163:164], v[5:6], v[167:168], -v[163:164]
	v_fma_f64 v[167:168], v[7:8], v[167:168], v[219:220]
	v_add_f64 v[143:144], v[143:144], v[179:180]
	v_add_f64 v[141:142], v[141:142], v[157:158]
	s_clause 0x4
	buffer_load_dword v158, off, s[0:3], 0 offset:940
	buffer_load_dword v179, off, s[0:3], 0 offset:952
	buffer_load_dword v199, off, s[0:3], 0 offset:944
	buffer_load_dword v157, off, s[0:3], 0 offset:936
	buffer_load_dword v206, off, s[0:3], 0 offset:916
	ds_read_b128 v[5:8], v198 offset:1728
	s_waitcnt vmcnt(57) lgkmcnt(1)
	v_mul_f64 v[219:220], v[137:138], v[171:172]
	v_mul_f64 v[171:172], v[139:140], v[171:172]
	s_waitcnt vmcnt(56)
	v_fma_f64 v[187:188], v[1:2], v[189:190], -v[187:188]
	v_add_f64 v[143:144], v[143:144], v[163:164]
	v_fma_f64 v[163:164], v[3:4], v[189:190], v[181:182]
	v_add_f64 v[141:142], v[141:142], v[167:168]
	s_clause 0x2
	buffer_load_dword v180, off, s[0:3], 0 offset:956
	buffer_load_dword v168, off, s[0:3], 0 offset:932
	buffer_load_dword v167, off, s[0:3], 0 offset:928
	ds_read_b128 v[1:4], v198 offset:1744
	s_waitcnt vmcnt(58) lgkmcnt(1)
	v_mul_f64 v[189:190], v[7:8], v[193:194]
	v_mul_f64 v[181:182], v[5:6], v[193:194]
	;; [unrolled: 28-line block ×4, first 2 shown]
	s_waitcnt vmcnt(56)
	v_fma_f64 v[185:186], v[5:6], v[191:192], -v[185:186]
	v_add_f64 v[143:144], v[143:144], v[183:184]
	v_fma_f64 v[183:184], v[7:8], v[191:192], v[219:220]
	v_add_f64 v[141:142], v[141:142], v[177:178]
	s_clause 0x2
	buffer_load_dword v178, off, s[0:3], 0 offset:1036
	buffer_load_dword v177, off, s[0:3], 0 offset:1032
	;; [unrolled: 1-line block ×3, first 2 shown]
	ds_read_b128 v[5:8], v198 offset:1824
	s_waitcnt vmcnt(55) lgkmcnt(1)
	v_mul_f64 v[191:192], v[137:138], v[149:150]
	v_mul_f64 v[149:150], v[139:140], v[149:150]
	s_waitcnt vmcnt(54)
	v_fma_f64 v[201:202], v[1:2], v[211:212], -v[201:202]
	v_fma_f64 v[181:182], v[3:4], v[211:212], v[181:182]
	v_add_f64 v[143:144], v[143:144], v[185:186]
	v_add_f64 v[141:142], v[141:142], v[183:184]
	s_clause 0x1
	buffer_load_dword v184, off, s[0:3], 0 offset:1028
	buffer_load_dword v183, off, s[0:3], 0 offset:1024
	ds_read_b128 v[1:4], v198 offset:1840
	s_waitcnt vmcnt(55) lgkmcnt(1)
	v_mul_f64 v[207:208], v[7:8], v[209:210]
	v_mul_f64 v[185:186], v[5:6], v[209:210]
	s_waitcnt vmcnt(53)
	v_fma_f64 v[149:150], v[137:138], v[155:156], -v[149:150]
	v_fma_f64 v[155:156], v[139:140], v[155:156], v[191:192]
	ds_read_b128 v[137:140], v198 offset:1856
	v_add_f64 v[143:144], v[143:144], v[201:202]
	v_add_f64 v[141:142], v[141:142], v[181:182]
	s_waitcnt vmcnt(49) lgkmcnt(1)
	v_mul_f64 v[181:182], v[1:2], v[161:162]
	v_mul_f64 v[161:162], v[3:4], v[161:162]
	s_waitcnt vmcnt(48)
	v_fma_f64 v[191:192], v[5:6], v[215:216], -v[207:208]
	v_add_f64 v[143:144], v[143:144], v[149:150]
	v_fma_f64 v[149:150], v[7:8], v[215:216], v[185:186]
	v_add_f64 v[141:142], v[141:142], v[155:156]
	s_clause 0x3
	buffer_load_dword v155, off, s[0:3], 0 offset:224
	buffer_load_dword v156, off, s[0:3], 0 offset:228
	buffer_load_dword v185, off, s[0:3], 0 offset:232
	buffer_load_dword v186, off, s[0:3], 0 offset:236
	ds_read_b128 v[5:8], v198 offset:1872
	s_waitcnt vmcnt(51) lgkmcnt(1)
	v_mul_f64 v[201:202], v[137:138], v[203:204]
	v_mul_f64 v[203:204], v[139:140], v[203:204]
	s_waitcnt vmcnt(49)
	v_fma_f64 v[161:162], v[1:2], v[153:154], -v[161:162]
	v_fma_f64 v[153:154], v[3:4], v[153:154], v[181:182]
	ds_read_b128 v[1:4], v198 offset:1888
	v_add_f64 v[143:144], v[143:144], v[191:192]
	v_add_f64 v[141:142], v[141:142], v[149:150]
	s_waitcnt vmcnt(45) lgkmcnt(1)
	v_mul_f64 v[149:150], v[5:6], v[147:148]
	v_mul_f64 v[147:148], v[7:8], v[147:148]
	s_waitcnt vmcnt(44)
	v_fma_f64 v[181:182], v[137:138], v[217:218], -v[203:204]
	v_add_f64 v[143:144], v[143:144], v[161:162]
	v_fma_f64 v[161:162], v[139:140], v[217:218], v[201:202]
	v_add_f64 v[141:142], v[141:142], v[153:154]
	ds_read_b128 v[137:140], v198 offset:1904
	s_waitcnt vmcnt(43) lgkmcnt(1)
	v_mul_f64 v[153:154], v[1:2], v[165:166]
	v_mul_f64 v[165:166], v[3:4], v[165:166]
	s_waitcnt vmcnt(41)
	v_fma_f64 v[147:148], v[5:6], v[159:160], -v[147:148]
	v_fma_f64 v[149:150], v[7:8], v[159:160], v[149:150]
	ds_read_b128 v[5:8], v198 offset:1920
	v_add_f64 v[143:144], v[143:144], v[181:182]
	v_add_f64 v[141:142], v[141:142], v[161:162]
	s_waitcnt vmcnt(37) lgkmcnt(1)
	v_mul_f64 v[159:160], v[137:138], v[151:152]
	v_mul_f64 v[151:152], v[139:140], v[151:152]
	s_waitcnt vmcnt(36)
	v_fma_f64 v[161:162], v[1:2], v[213:214], -v[165:166]
	v_add_f64 v[143:144], v[143:144], v[147:148]
	v_fma_f64 v[147:148], v[3:4], v[213:214], v[153:154]
	v_add_f64 v[141:142], v[141:142], v[149:150]
	ds_read_b128 v[1:4], v198 offset:1936
	s_waitcnt vmcnt(35) lgkmcnt(1)
	v_mul_f64 v[153:154], v[7:8], v[173:174]
	v_mul_f64 v[149:150], v[5:6], v[173:174]
	s_waitcnt vmcnt(33)
	v_fma_f64 v[151:152], v[137:138], v[169:170], -v[151:152]
	v_fma_f64 v[159:160], v[139:140], v[169:170], v[159:160]
	ds_read_b128 v[137:140], v198 offset:1952
	v_add_f64 v[143:144], v[143:144], v[161:162]
	v_add_f64 v[141:142], v[141:142], v[147:148]
	s_waitcnt vmcnt(29) lgkmcnt(1)
	v_mul_f64 v[147:148], v[1:2], v[157:158]
	v_mul_f64 v[157:158], v[3:4], v[157:158]
	s_waitcnt vmcnt(28)
	v_fma_f64 v[153:154], v[5:6], v[205:206], -v[153:154]
	v_fma_f64 v[149:150], v[7:8], v[205:206], v[149:150]
	ds_read_b128 v[5:8], v198 offset:1968
	v_add_f64 v[143:144], v[143:144], v[151:152]
	v_add_f64 v[141:142], v[141:142], v[159:160]
	;; [unrolled: 9-line block ×3, first 2 shown]
	s_waitcnt vmcnt(21) lgkmcnt(1)
	v_mul_f64 v[153:154], v[7:8], v[163:164]
	s_waitcnt vmcnt(20)
	v_fma_f64 v[159:160], v[137:138], v[199:200], -v[159:160]
	v_mul_f64 v[149:150], v[5:6], v[163:164]
	v_fma_f64 v[151:152], v[139:140], v[199:200], v[151:152]
	ds_read_b128 v[137:140], v198 offset:2000
	v_add_f64 v[143:144], v[143:144], v[157:158]
	v_add_f64 v[141:142], v[141:142], v[147:148]
	s_waitcnt vmcnt(19) lgkmcnt(1)
	v_mul_f64 v[157:158], v[3:4], v[187:188]
	v_mul_f64 v[147:148], v[1:2], v[187:188]
	s_waitcnt vmcnt(17)
	v_fma_f64 v[153:154], v[5:6], v[175:176], -v[153:154]
	v_fma_f64 v[149:150], v[7:8], v[175:176], v[149:150]
	ds_read_b128 v[5:8], v198 offset:2016
	v_add_f64 v[143:144], v[143:144], v[159:160]
	v_add_f64 v[141:142], v[141:142], v[151:152]
	s_waitcnt vmcnt(13) lgkmcnt(1)
	v_mul_f64 v[159:160], v[139:140], v[171:172]
	s_waitcnt vmcnt(12)
	v_fma_f64 v[157:158], v[1:2], v[193:194], -v[157:158]
	v_mul_f64 v[151:152], v[137:138], v[171:172]
	v_fma_f64 v[147:148], v[3:4], v[193:194], v[147:148]
	ds_read_b128 v[1:4], v198 offset:2032
	v_add_f64 v[143:144], v[143:144], v[153:154]
	v_add_f64 v[141:142], v[141:142], v[149:150]
	s_waitcnt vmcnt(11) lgkmcnt(1)
	v_mul_f64 v[153:154], v[7:8], v[189:190]
	v_mul_f64 v[149:150], v[5:6], v[189:190]
	s_waitcnt vmcnt(9)
	v_fma_f64 v[137:138], v[137:138], v[145:146], -v[159:160]
	v_fma_f64 v[139:140], v[139:140], v[145:146], v[151:152]
	v_add_f64 v[143:144], v[143:144], v[157:158]
	v_add_f64 v[141:142], v[141:142], v[147:148]
	s_waitcnt vmcnt(7) lgkmcnt(0)
	v_mul_f64 v[147:148], v[3:4], v[177:178]
	s_waitcnt vmcnt(6)
	v_fma_f64 v[5:6], v[5:6], v[195:196], -v[153:154]
	v_mul_f64 v[145:146], v[1:2], v[177:178]
	v_fma_f64 v[7:8], v[7:8], v[195:196], v[149:150]
	v_add_f64 v[137:138], v[143:144], v[137:138]
	v_add_f64 v[139:140], v[141:142], v[139:140]
	s_waitcnt vmcnt(4)
	v_fma_f64 v[1:2], v[1:2], v[183:184], -v[147:148]
	v_fma_f64 v[3:4], v[3:4], v[183:184], v[145:146]
	v_add_f64 v[5:6], v[137:138], v[5:6]
	v_add_f64 v[7:8], v[139:140], v[7:8]
	;; [unrolled: 1-line block ×4, first 2 shown]
	s_waitcnt vmcnt(2)
	v_add_f64 v[1:2], v[155:156], -v[1:2]
	s_waitcnt vmcnt(0)
	v_add_f64 v[3:4], v[185:186], -v[3:4]
	buffer_store_dword v2, off, s[0:3], 0 offset:228
	buffer_store_dword v1, off, s[0:3], 0 offset:224
	;; [unrolled: 1-line block ×4, first 2 shown]
	v_cmpx_lt_u32_e32 12, v0
	s_cbranch_execz .LBB127_385
; %bb.384:
	v_mov_b32_e32 v4, s66
	v_mov_b32_e32 v5, 0
	s_clause 0x3
	buffer_load_dword v1, v4, s[0:3], 0 offen
	buffer_load_dword v2, v4, s[0:3], 0 offen offset:4
	buffer_load_dword v3, v4, s[0:3], 0 offen offset:8
	;; [unrolled: 1-line block ×3, first 2 shown]
	buffer_store_dword v5, off, s[0:3], 0 offset:208
	buffer_store_dword v5, off, s[0:3], 0 offset:212
	;; [unrolled: 1-line block ×4, first 2 shown]
	s_waitcnt vmcnt(0)
	ds_write_b128 v197, v[1:4]
.LBB127_385:
	s_or_b32 exec_lo, exec_lo, s4
	s_waitcnt lgkmcnt(0)
	s_waitcnt_vscnt null, 0x0
	s_barrier
	buffer_gl0_inv
	s_clause 0x37
	buffer_load_dword v145, off, s[0:3], 0 offset:232
	buffer_load_dword v146, off, s[0:3], 0 offset:236
	;; [unrolled: 1-line block ×56, first 2 shown]
	v_mov_b32_e32 v198, 0
	s_mov_b32 s4, exec_lo
	ds_read_b128 v[5:8], v198 offset:1232
	s_clause 0x2
	buffer_load_dword v194, off, s[0:3], 0 offset:460
	buffer_load_dword v196, off, s[0:3], 0 offset:436
	;; [unrolled: 1-line block ×3, first 2 shown]
	ds_read_b128 v[1:4], v198 offset:1248
	s_clause 0x4
	buffer_load_dword v206, off, s[0:3], 0 offset:476
	buffer_load_dword v207, off, s[0:3], 0 offset:488
	;; [unrolled: 1-line block ×5, first 2 shown]
	ds_read_b128 v[199:202], v198 offset:1264
	s_waitcnt vmcnt(62) lgkmcnt(2)
	v_mul_f64 v[203:204], v[7:8], v[145:146]
	v_mul_f64 v[145:146], v[5:6], v[145:146]
	s_waitcnt vmcnt(60) lgkmcnt(1)
	v_mul_f64 v[210:211], v[3:4], v[141:142]
	v_mul_f64 v[141:142], v[1:2], v[141:142]
	;; [unrolled: 3-line block ×3, first 2 shown]
	v_fma_f64 v[203:204], v[5:6], v[143:144], -v[203:204]
	v_fma_f64 v[143:144], v[7:8], v[143:144], v[145:146]
	s_clause 0x2
	buffer_load_dword v208, off, s[0:3], 0 offset:492
	buffer_load_dword v146, off, s[0:3], 0 offset:468
	;; [unrolled: 1-line block ×3, first 2 shown]
	s_waitcnt vmcnt(57)
	v_fma_f64 v[214:215], v[1:2], v[137:138], -v[210:211]
	ds_read_b128 v[5:8], v198 offset:1280
	v_fma_f64 v[137:138], v[3:4], v[137:138], v[141:142]
	s_waitcnt vmcnt(51)
	v_fma_f64 v[199:200], v[199:200], v[161:162], -v[139:140]
	v_fma_f64 v[161:162], v[201:202], v[161:162], v[212:213]
	v_add_f64 v[203:204], v[203:204], 0
	v_add_f64 v[141:142], v[143:144], 0
	s_clause 0x4
	buffer_load_dword v144, off, s[0:3], 0 offset:508
	buffer_load_dword v211, off, s[0:3], 0 offset:520
	;; [unrolled: 1-line block ×5, first 2 shown]
	s_waitcnt lgkmcnt(0)
	v_mul_f64 v[217:218], v[5:6], v[149:150]
	v_mul_f64 v[149:150], v[7:8], v[149:150]
	ds_read_b128 v[1:4], v198 offset:1296
	s_clause 0x2
	buffer_load_dword v212, off, s[0:3], 0 offset:524
	buffer_load_dword v202, off, s[0:3], 0 offset:500
	;; [unrolled: 1-line block ×3, first 2 shown]
	v_add_f64 v[203:204], v[203:204], v[214:215]
	v_add_f64 v[141:142], v[141:142], v[137:138]
	ds_read_b128 v[137:140], v198 offset:1312
	s_waitcnt vmcnt(58) lgkmcnt(1)
	v_mul_f64 v[213:214], v[1:2], v[153:154]
	v_mul_f64 v[153:154], v[3:4], v[153:154]
	s_waitcnt vmcnt(56)
	v_fma_f64 v[149:150], v[5:6], v[155:156], -v[149:150]
	v_fma_f64 v[155:156], v[7:8], v[155:156], v[217:218]
	s_waitcnt vmcnt(52) lgkmcnt(0)
	v_mul_f64 v[219:220], v[137:138], v[157:158]
	v_add_f64 v[199:200], v[203:204], v[199:200]
	v_add_f64 v[141:142], v[141:142], v[161:162]
	s_clause 0x4
	buffer_load_dword v162, off, s[0:3], 0 offset:540
	buffer_load_dword v203, off, s[0:3], 0 offset:552
	;; [unrolled: 1-line block ×5, first 2 shown]
	v_mul_f64 v[157:158], v[139:140], v[157:158]
	s_waitcnt vmcnt(56)
	v_fma_f64 v[153:154], v[1:2], v[147:148], -v[153:154]
	ds_read_b128 v[5:8], v198 offset:1328
	v_fma_f64 v[147:148], v[3:4], v[147:148], v[213:214]
	v_add_f64 v[149:150], v[199:200], v[149:150]
	v_add_f64 v[141:142], v[141:142], v[155:156]
	s_clause 0x2
	buffer_load_dword v204, off, s[0:3], 0 offset:556
	buffer_load_dword v156, off, s[0:3], 0 offset:532
	;; [unrolled: 1-line block ×3, first 2 shown]
	s_waitcnt vmcnt(58) lgkmcnt(0)
	v_mul_f64 v[199:200], v[5:6], v[163:164]
	v_mul_f64 v[163:164], v[7:8], v[163:164]
	s_waitcnt vmcnt(56)
	v_fma_f64 v[157:158], v[137:138], v[165:166], -v[157:158]
	ds_read_b128 v[1:4], v198 offset:1344
	v_add_f64 v[149:150], v[149:150], v[153:154]
	v_fma_f64 v[153:154], v[139:140], v[165:166], v[219:220]
	v_add_f64 v[141:142], v[141:142], v[147:148]
	s_clause 0x4
	buffer_load_dword v148, off, s[0:3], 0 offset:572
	buffer_load_dword v165, off, s[0:3], 0 offset:584
	buffer_load_dword v213, off, s[0:3], 0 offset:576
	buffer_load_dword v147, off, s[0:3], 0 offset:568
	buffer_load_dword v219, off, s[0:3], 0 offset:548
	s_waitcnt vmcnt(57) lgkmcnt(0)
	v_mul_f64 v[214:215], v[1:2], v[167:168]
	v_mul_f64 v[167:168], v[3:4], v[167:168]
	s_waitcnt vmcnt(56)
	v_fma_f64 v[163:164], v[5:6], v[151:152], -v[163:164]
	ds_read_b128 v[137:140], v198 offset:1360
	v_fma_f64 v[151:152], v[7:8], v[151:152], v[199:200]
	v_add_f64 v[149:150], v[149:150], v[157:158]
	v_add_f64 v[141:142], v[141:142], v[153:154]
	s_clause 0x2
	buffer_load_dword v166, off, s[0:3], 0 offset:588
	buffer_load_dword v154, off, s[0:3], 0 offset:564
	;; [unrolled: 1-line block ×3, first 2 shown]
	ds_read_b128 v[5:8], v198 offset:1376
	s_waitcnt vmcnt(58) lgkmcnt(1)
	v_mul_f64 v[157:158], v[137:138], v[171:172]
	v_mul_f64 v[171:172], v[139:140], v[171:172]
	s_waitcnt vmcnt(56)
	v_fma_f64 v[167:168], v[1:2], v[173:174], -v[167:168]
	v_add_f64 v[149:150], v[149:150], v[163:164]
	v_fma_f64 v[163:164], v[3:4], v[173:174], v[214:215]
	v_add_f64 v[141:142], v[141:142], v[151:152]
	s_clause 0x4
	buffer_load_dword v152, off, s[0:3], 0 offset:604
	buffer_load_dword v173, off, s[0:3], 0 offset:616
	buffer_load_dword v199, off, s[0:3], 0 offset:608
	buffer_load_dword v151, off, s[0:3], 0 offset:600
	buffer_load_dword v214, off, s[0:3], 0 offset:580
	s_waitcnt vmcnt(57) lgkmcnt(0)
	v_mul_f64 v[220:221], v[5:6], v[175:176]
	v_mul_f64 v[175:176], v[7:8], v[175:176]
	s_waitcnt vmcnt(56)
	v_fma_f64 v[171:172], v[137:138], v[159:160], -v[171:172]
	ds_read_b128 v[1:4], v198 offset:1392
	v_fma_f64 v[157:158], v[139:140], v[159:160], v[157:158]
	s_clause 0x2
	buffer_load_dword v174, off, s[0:3], 0 offset:620
	buffer_load_dword v160, off, s[0:3], 0 offset:596
	;; [unrolled: 1-line block ×3, first 2 shown]
	ds_read_b128 v[137:140], v198 offset:1408
	v_add_f64 v[149:150], v[149:150], v[167:168]
	v_add_f64 v[141:142], v[141:142], v[163:164]
	s_waitcnt vmcnt(58) lgkmcnt(1)
	v_mul_f64 v[167:168], v[3:4], v[179:180]
	s_waitcnt vmcnt(56)
	v_fma_f64 v[175:176], v[5:6], v[181:182], -v[175:176]
	v_mul_f64 v[163:164], v[1:2], v[179:180]
	v_add_f64 v[149:150], v[149:150], v[171:172]
	v_fma_f64 v[171:172], v[7:8], v[181:182], v[220:221]
	v_add_f64 v[141:142], v[141:142], v[157:158]
	s_clause 0x4
	buffer_load_dword v158, off, s[0:3], 0 offset:636
	buffer_load_dword v179, off, s[0:3], 0 offset:648
	;; [unrolled: 1-line block ×5, first 2 shown]
	s_waitcnt vmcnt(57) lgkmcnt(0)
	v_mul_f64 v[220:221], v[137:138], v[183:184]
	v_mul_f64 v[182:183], v[139:140], v[183:184]
	s_waitcnt vmcnt(56)
	v_fma_f64 v[167:168], v[1:2], v[169:170], -v[167:168]
	ds_read_b128 v[5:8], v198 offset:1424
	v_fma_f64 v[163:164], v[3:4], v[169:170], v[163:164]
	s_clause 0x2
	buffer_load_dword v180, off, s[0:3], 0 offset:652
	buffer_load_dword v170, off, s[0:3], 0 offset:628
	;; [unrolled: 1-line block ×3, first 2 shown]
	ds_read_b128 v[1:4], v198 offset:1440
	v_add_f64 v[149:150], v[149:150], v[175:176]
	v_add_f64 v[141:142], v[141:142], v[171:172]
	s_waitcnt vmcnt(58) lgkmcnt(1)
	v_mul_f64 v[175:176], v[7:8], v[187:188]
	s_waitcnt vmcnt(56)
	v_fma_f64 v[183:184], v[137:138], v[189:190], -v[182:183]
	v_mul_f64 v[171:172], v[5:6], v[187:188]
	v_add_f64 v[149:150], v[149:150], v[167:168]
	v_fma_f64 v[167:168], v[139:140], v[189:190], v[220:221]
	v_add_f64 v[141:142], v[141:142], v[163:164]
	s_clause 0x4
	buffer_load_dword v164, off, s[0:3], 0 offset:668
	buffer_load_dword v187, off, s[0:3], 0 offset:680
	;; [unrolled: 1-line block ×5, first 2 shown]
	s_waitcnt vmcnt(57) lgkmcnt(0)
	v_mul_f64 v[220:221], v[1:2], v[191:192]
	v_mul_f64 v[190:191], v[3:4], v[191:192]
	s_waitcnt vmcnt(56)
	v_fma_f64 v[175:176], v[5:6], v[177:178], -v[175:176]
	ds_read_b128 v[137:140], v198 offset:1456
	v_fma_f64 v[171:172], v[7:8], v[177:178], v[171:172]
	v_add_f64 v[149:150], v[149:150], v[183:184]
	v_add_f64 v[141:142], v[141:142], v[167:168]
	s_clause 0x2
	buffer_load_dword v188, off, s[0:3], 0 offset:684
	buffer_load_dword v168, off, s[0:3], 0 offset:660
	;; [unrolled: 1-line block ×3, first 2 shown]
	ds_read_b128 v[5:8], v198 offset:1472
	s_waitcnt vmcnt(58) lgkmcnt(1)
	v_mul_f64 v[183:184], v[139:140], v[193:194]
	s_waitcnt vmcnt(56)
	v_fma_f64 v[191:192], v[1:2], v[195:196], -v[190:191]
	v_mul_f64 v[177:178], v[137:138], v[193:194]
	v_add_f64 v[149:150], v[149:150], v[175:176]
	v_fma_f64 v[175:176], v[3:4], v[195:196], v[220:221]
	v_add_f64 v[141:142], v[141:142], v[171:172]
	s_clause 0x4
	buffer_load_dword v172, off, s[0:3], 0 offset:700
	buffer_load_dword v193, off, s[0:3], 0 offset:712
	;; [unrolled: 1-line block ×5, first 2 shown]
	s_waitcnt vmcnt(57) lgkmcnt(0)
	v_mul_f64 v[220:221], v[5:6], v[205:206]
	v_mul_f64 v[205:206], v[7:8], v[205:206]
	s_waitcnt vmcnt(56)
	v_fma_f64 v[183:184], v[137:138], v[185:186], -v[183:184]
	ds_read_b128 v[1:4], v198 offset:1488
	v_fma_f64 v[177:178], v[139:140], v[185:186], v[177:178]
	v_add_f64 v[149:150], v[149:150], v[191:192]
	v_add_f64 v[141:142], v[141:142], v[175:176]
	s_clause 0x2
	buffer_load_dword v194, off, s[0:3], 0 offset:716
	buffer_load_dword v176, off, s[0:3], 0 offset:692
	;; [unrolled: 1-line block ×3, first 2 shown]
	ds_read_b128 v[137:140], v198 offset:1504
	s_waitcnt vmcnt(58) lgkmcnt(1)
	v_mul_f64 v[191:192], v[3:4], v[207:208]
	v_mul_f64 v[185:186], v[1:2], v[207:208]
	s_waitcnt vmcnt(56)
	v_fma_f64 v[205:206], v[5:6], v[145:146], -v[205:206]
	v_fma_f64 v[145:146], v[7:8], v[145:146], v[220:221]
	v_add_f64 v[149:150], v[149:150], v[183:184]
	v_add_f64 v[141:142], v[141:142], v[177:178]
	s_clause 0x4
	buffer_load_dword v178, off, s[0:3], 0 offset:732
	buffer_load_dword v183, off, s[0:3], 0 offset:744
	buffer_load_dword v207, off, s[0:3], 0 offset:736
	buffer_load_dword v177, off, s[0:3], 0 offset:728
	buffer_load_dword v196, off, s[0:3], 0 offset:708
	ds_read_b128 v[5:8], v198 offset:1520
	s_waitcnt vmcnt(57) lgkmcnt(1)
	v_mul_f64 v[220:221], v[137:138], v[143:144]
	v_mul_f64 v[143:144], v[139:140], v[143:144]
	s_waitcnt vmcnt(56)
	v_fma_f64 v[191:192], v[1:2], v[209:210], -v[191:192]
	v_fma_f64 v[185:186], v[3:4], v[209:210], v[185:186]
	v_add_f64 v[149:150], v[149:150], v[205:206]
	v_add_f64 v[141:142], v[141:142], v[145:146]
	s_clause 0x2
	buffer_load_dword v184, off, s[0:3], 0 offset:748
	buffer_load_dword v146, off, s[0:3], 0 offset:724
	;; [unrolled: 1-line block ×3, first 2 shown]
	s_waitcnt vmcnt(58) lgkmcnt(0)
	v_mul_f64 v[209:210], v[7:8], v[211:212]
	ds_read_b128 v[1:4], v198 offset:1536
	v_mul_f64 v[205:206], v[5:6], v[211:212]
	s_waitcnt vmcnt(56)
	v_fma_f64 v[143:144], v[137:138], v[201:202], -v[143:144]
	v_add_f64 v[149:150], v[149:150], v[191:192]
	v_fma_f64 v[191:192], v[139:140], v[201:202], v[220:221]
	v_add_f64 v[141:142], v[141:142], v[185:186]
	s_clause 0x4
	buffer_load_dword v186, off, s[0:3], 0 offset:764
	buffer_load_dword v201, off, s[0:3], 0 offset:776
	;; [unrolled: 1-line block ×5, first 2 shown]
	ds_read_b128 v[137:140], v198 offset:1552
	s_waitcnt vmcnt(57) lgkmcnt(1)
	v_mul_f64 v[220:221], v[1:2], v[161:162]
	v_mul_f64 v[161:162], v[3:4], v[161:162]
	s_waitcnt vmcnt(56)
	v_fma_f64 v[209:210], v[5:6], v[216:217], -v[209:210]
	v_add_f64 v[143:144], v[149:150], v[143:144]
	v_fma_f64 v[149:150], v[7:8], v[216:217], v[205:206]
	v_add_f64 v[141:142], v[141:142], v[191:192]
	s_clause 0x2
	buffer_load_dword v202, off, s[0:3], 0 offset:780
	buffer_load_dword v192, off, s[0:3], 0 offset:756
	;; [unrolled: 1-line block ×3, first 2 shown]
	ds_read_b128 v[5:8], v198 offset:1568
	s_waitcnt vmcnt(58) lgkmcnt(1)
	v_mul_f64 v[205:206], v[137:138], v[203:204]
	v_mul_f64 v[203:204], v[139:140], v[203:204]
	s_waitcnt vmcnt(56)
	v_fma_f64 v[161:162], v[1:2], v[155:156], -v[161:162]
	v_fma_f64 v[155:156], v[3:4], v[155:156], v[220:221]
	v_add_f64 v[143:144], v[143:144], v[209:210]
	v_add_f64 v[141:142], v[141:142], v[149:150]
	s_clause 0x4
	buffer_load_dword v150, off, s[0:3], 0 offset:796
	buffer_load_dword v209, off, s[0:3], 0 offset:808
	;; [unrolled: 1-line block ×5, first 2 shown]
	ds_read_b128 v[1:4], v198 offset:1584
	s_waitcnt vmcnt(57) lgkmcnt(1)
	v_mul_f64 v[216:217], v[5:6], v[147:148]
	v_mul_f64 v[147:148], v[7:8], v[147:148]
	s_waitcnt vmcnt(56)
	v_fma_f64 v[203:204], v[137:138], v[218:219], -v[203:204]
	v_add_f64 v[143:144], v[143:144], v[161:162]
	v_fma_f64 v[161:162], v[139:140], v[218:219], v[205:206]
	v_add_f64 v[141:142], v[141:142], v[155:156]
	s_clause 0x2
	buffer_load_dword v210, off, s[0:3], 0 offset:812
	buffer_load_dword v156, off, s[0:3], 0 offset:788
	;; [unrolled: 1-line block ×3, first 2 shown]
	ds_read_b128 v[137:140], v198 offset:1600
	s_waitcnt vmcnt(58) lgkmcnt(1)
	v_mul_f64 v[205:206], v[1:2], v[165:166]
	v_mul_f64 v[165:166], v[3:4], v[165:166]
	s_waitcnt vmcnt(56)
	v_fma_f64 v[147:148], v[5:6], v[153:154], -v[147:148]
	v_fma_f64 v[153:154], v[7:8], v[153:154], v[216:217]
	v_add_f64 v[143:144], v[143:144], v[203:204]
	v_add_f64 v[141:142], v[141:142], v[161:162]
	s_clause 0x4
	buffer_load_dword v162, off, s[0:3], 0 offset:828
	buffer_load_dword v203, off, s[0:3], 0 offset:840
	;; [unrolled: 1-line block ×5, first 2 shown]
	ds_read_b128 v[5:8], v198 offset:1616
	s_waitcnt vmcnt(57) lgkmcnt(1)
	v_mul_f64 v[218:219], v[137:138], v[151:152]
	v_mul_f64 v[151:152], v[139:140], v[151:152]
	s_waitcnt vmcnt(56)
	v_fma_f64 v[165:166], v[1:2], v[213:214], -v[165:166]
	v_add_f64 v[143:144], v[143:144], v[147:148]
	v_fma_f64 v[147:148], v[3:4], v[213:214], v[205:206]
	v_add_f64 v[141:142], v[141:142], v[153:154]
	s_clause 0x2
	buffer_load_dword v204, off, s[0:3], 0 offset:844
	buffer_load_dword v154, off, s[0:3], 0 offset:820
	;; [unrolled: 1-line block ×3, first 2 shown]
	s_waitcnt vmcnt(58) lgkmcnt(0)
	v_mul_f64 v[205:206], v[5:6], v[173:174]
	v_mul_f64 v[173:174], v[7:8], v[173:174]
	ds_read_b128 v[1:4], v198 offset:1632
	s_waitcnt vmcnt(56)
	v_fma_f64 v[151:152], v[137:138], v[159:160], -v[151:152]
	v_fma_f64 v[159:160], v[139:140], v[159:160], v[218:219]
	v_add_f64 v[143:144], v[143:144], v[165:166]
	v_add_f64 v[141:142], v[141:142], v[147:148]
	s_clause 0x4
	buffer_load_dword v148, off, s[0:3], 0 offset:860
	buffer_load_dword v165, off, s[0:3], 0 offset:872
	;; [unrolled: 1-line block ×5, first 2 shown]
	ds_read_b128 v[137:140], v198 offset:1648
	s_waitcnt vmcnt(57) lgkmcnt(1)
	v_mul_f64 v[219:220], v[1:2], v[157:158]
	v_mul_f64 v[157:158], v[3:4], v[157:158]
	s_waitcnt vmcnt(56)
	v_fma_f64 v[173:174], v[5:6], v[199:200], -v[173:174]
	v_add_f64 v[143:144], v[143:144], v[151:152]
	v_fma_f64 v[151:152], v[7:8], v[199:200], v[205:206]
	v_add_f64 v[141:142], v[141:142], v[159:160]
	s_clause 0x2
	buffer_load_dword v166, off, s[0:3], 0 offset:876
	buffer_load_dword v160, off, s[0:3], 0 offset:852
	;; [unrolled: 1-line block ×3, first 2 shown]
	s_waitcnt vmcnt(58) lgkmcnt(0)
	v_mul_f64 v[199:200], v[137:138], v[179:180]
	v_mul_f64 v[179:180], v[139:140], v[179:180]
	ds_read_b128 v[5:8], v198 offset:1664
	s_waitcnt vmcnt(56)
	v_fma_f64 v[157:158], v[1:2], v[169:170], -v[157:158]
	v_fma_f64 v[169:170], v[3:4], v[169:170], v[219:220]
	v_add_f64 v[143:144], v[143:144], v[173:174]
	v_add_f64 v[141:142], v[141:142], v[151:152]
	s_clause 0x4
	buffer_load_dword v152, off, s[0:3], 0 offset:892
	buffer_load_dword v173, off, s[0:3], 0 offset:904
	buffer_load_dword v205, off, s[0:3], 0 offset:896
	buffer_load_dword v151, off, s[0:3], 0 offset:888
	buffer_load_dword v214, off, s[0:3], 0 offset:868
	ds_read_b128 v[1:4], v198 offset:1680
	s_waitcnt vmcnt(57) lgkmcnt(1)
	v_mul_f64 v[219:220], v[5:6], v[163:164]
	v_mul_f64 v[163:164], v[7:8], v[163:164]
	s_waitcnt vmcnt(56)
	v_fma_f64 v[179:180], v[137:138], v[181:182], -v[179:180]
	v_add_f64 v[143:144], v[143:144], v[157:158]
	v_fma_f64 v[157:158], v[139:140], v[181:182], v[199:200]
	v_add_f64 v[141:142], v[141:142], v[169:170]
	s_clause 0x2
	buffer_load_dword v174, off, s[0:3], 0 offset:908
	buffer_load_dword v170, off, s[0:3], 0 offset:884
	buffer_load_dword v169, off, s[0:3], 0 offset:880
	ds_read_b128 v[137:140], v198 offset:1696
	s_waitcnt vmcnt(58) lgkmcnt(1)
	v_mul_f64 v[181:182], v[1:2], v[187:188]
	v_mul_f64 v[187:188], v[3:4], v[187:188]
	s_waitcnt vmcnt(56)
	v_fma_f64 v[163:164], v[5:6], v[167:168], -v[163:164]
	v_fma_f64 v[167:168], v[7:8], v[167:168], v[219:220]
	v_add_f64 v[143:144], v[143:144], v[179:180]
	v_add_f64 v[141:142], v[141:142], v[157:158]
	s_clause 0x4
	buffer_load_dword v158, off, s[0:3], 0 offset:924
	buffer_load_dword v179, off, s[0:3], 0 offset:936
	buffer_load_dword v199, off, s[0:3], 0 offset:928
	buffer_load_dword v157, off, s[0:3], 0 offset:920
	buffer_load_dword v206, off, s[0:3], 0 offset:900
	ds_read_b128 v[5:8], v198 offset:1712
	s_waitcnt vmcnt(57) lgkmcnt(1)
	v_mul_f64 v[219:220], v[137:138], v[171:172]
	v_mul_f64 v[171:172], v[139:140], v[171:172]
	s_waitcnt vmcnt(56)
	v_fma_f64 v[187:188], v[1:2], v[189:190], -v[187:188]
	v_add_f64 v[143:144], v[143:144], v[163:164]
	v_fma_f64 v[163:164], v[3:4], v[189:190], v[181:182]
	v_add_f64 v[141:142], v[141:142], v[167:168]
	s_clause 0x2
	buffer_load_dword v180, off, s[0:3], 0 offset:940
	buffer_load_dword v168, off, s[0:3], 0 offset:916
	buffer_load_dword v167, off, s[0:3], 0 offset:912
	ds_read_b128 v[1:4], v198 offset:1728
	s_waitcnt vmcnt(58) lgkmcnt(1)
	v_mul_f64 v[189:190], v[7:8], v[193:194]
	v_mul_f64 v[181:182], v[5:6], v[193:194]
	;; [unrolled: 28-line block ×4, first 2 shown]
	s_waitcnt vmcnt(56)
	v_fma_f64 v[185:186], v[5:6], v[191:192], -v[185:186]
	v_add_f64 v[143:144], v[143:144], v[183:184]
	v_fma_f64 v[183:184], v[7:8], v[191:192], v[219:220]
	v_add_f64 v[141:142], v[141:142], v[177:178]
	s_clause 0x4
	buffer_load_dword v178, off, s[0:3], 0 offset:1020
	buffer_load_dword v191, off, s[0:3], 0 offset:1032
	;; [unrolled: 1-line block ×5, first 2 shown]
	ds_read_b128 v[5:8], v198 offset:1808
	s_waitcnt vmcnt(57) lgkmcnt(1)
	v_mul_f64 v[219:220], v[137:138], v[149:150]
	v_mul_f64 v[149:150], v[139:140], v[149:150]
	s_waitcnt vmcnt(56)
	v_fma_f64 v[201:202], v[1:2], v[211:212], -v[201:202]
	v_fma_f64 v[181:182], v[3:4], v[211:212], v[181:182]
	v_add_f64 v[143:144], v[143:144], v[185:186]
	v_add_f64 v[141:142], v[141:142], v[183:184]
	s_clause 0x2
	buffer_load_dword v192, off, s[0:3], 0 offset:1036
	buffer_load_dword v184, off, s[0:3], 0 offset:1012
	;; [unrolled: 1-line block ×3, first 2 shown]
	ds_read_b128 v[1:4], v198 offset:1824
	buffer_load_dword v208, off, s[0:3], 0 offset:1028
	s_waitcnt vmcnt(59) lgkmcnt(1)
	v_mul_f64 v[185:186], v[5:6], v[209:210]
	v_mul_f64 v[209:210], v[7:8], v[209:210]
	s_waitcnt vmcnt(57)
	v_fma_f64 v[149:150], v[137:138], v[155:156], -v[149:150]
	v_fma_f64 v[155:156], v[139:140], v[155:156], v[219:220]
	ds_read_b128 v[137:140], v198 offset:1840
	v_add_f64 v[143:144], v[143:144], v[201:202]
	v_add_f64 v[141:142], v[141:142], v[181:182]
	s_waitcnt vmcnt(53) lgkmcnt(1)
	v_mul_f64 v[181:182], v[1:2], v[161:162]
	v_mul_f64 v[161:162], v[3:4], v[161:162]
	s_waitcnt vmcnt(52)
	v_fma_f64 v[201:202], v[5:6], v[215:216], -v[209:210]
	v_add_f64 v[143:144], v[143:144], v[149:150]
	v_fma_f64 v[149:150], v[7:8], v[215:216], v[185:186]
	v_add_f64 v[141:142], v[141:142], v[155:156]
	ds_read_b128 v[5:8], v198 offset:1856
	s_waitcnt vmcnt(51) lgkmcnt(1)
	v_mul_f64 v[185:186], v[139:140], v[203:204]
	v_mul_f64 v[155:156], v[137:138], v[203:204]
	s_waitcnt vmcnt(49)
	v_fma_f64 v[161:162], v[1:2], v[153:154], -v[161:162]
	v_fma_f64 v[153:154], v[3:4], v[153:154], v[181:182]
	v_add_f64 v[143:144], v[143:144], v[201:202]
	v_add_f64 v[141:142], v[141:142], v[149:150]
	s_clause 0x3
	buffer_load_dword v149, off, s[0:3], 0 offset:208
	buffer_load_dword v150, off, s[0:3], 0 offset:212
	;; [unrolled: 1-line block ×4, first 2 shown]
	ds_read_b128 v[1:4], v198 offset:1872
	s_waitcnt vmcnt(49) lgkmcnt(1)
	v_mul_f64 v[201:202], v[5:6], v[147:148]
	v_mul_f64 v[147:148], v[7:8], v[147:148]
	s_waitcnt vmcnt(48)
	v_fma_f64 v[185:186], v[137:138], v[217:218], -v[185:186]
	v_fma_f64 v[155:156], v[139:140], v[217:218], v[155:156]
	ds_read_b128 v[137:140], v198 offset:1888
	v_add_f64 v[143:144], v[143:144], v[161:162]
	v_add_f64 v[141:142], v[141:142], v[153:154]
	s_waitcnt vmcnt(47) lgkmcnt(1)
	v_mul_f64 v[161:162], v[3:4], v[165:166]
	v_mul_f64 v[153:154], v[1:2], v[165:166]
	s_waitcnt vmcnt(45)
	v_fma_f64 v[147:148], v[5:6], v[159:160], -v[147:148]
	v_fma_f64 v[159:160], v[7:8], v[159:160], v[201:202]
	ds_read_b128 v[5:8], v198 offset:1904
	v_add_f64 v[143:144], v[143:144], v[185:186]
	v_add_f64 v[141:142], v[141:142], v[155:156]
	s_waitcnt vmcnt(41) lgkmcnt(1)
	v_mul_f64 v[155:156], v[137:138], v[151:152]
	v_mul_f64 v[151:152], v[139:140], v[151:152]
	s_waitcnt vmcnt(40)
	v_fma_f64 v[161:162], v[1:2], v[213:214], -v[161:162]
	v_add_f64 v[143:144], v[143:144], v[147:148]
	v_fma_f64 v[147:148], v[3:4], v[213:214], v[153:154]
	v_add_f64 v[141:142], v[141:142], v[159:160]
	ds_read_b128 v[1:4], v198 offset:1920
	s_waitcnt vmcnt(39) lgkmcnt(1)
	v_mul_f64 v[159:160], v[7:8], v[173:174]
	v_mul_f64 v[153:154], v[5:6], v[173:174]
	s_waitcnt vmcnt(37)
	v_fma_f64 v[151:152], v[137:138], v[169:170], -v[151:152]
	v_fma_f64 v[155:156], v[139:140], v[169:170], v[155:156]
	ds_read_b128 v[137:140], v198 offset:1936
	v_add_f64 v[143:144], v[143:144], v[161:162]
	v_add_f64 v[141:142], v[141:142], v[147:148]
	s_waitcnt vmcnt(33) lgkmcnt(1)
	v_mul_f64 v[147:148], v[1:2], v[157:158]
	v_mul_f64 v[157:158], v[3:4], v[157:158]
	s_waitcnt vmcnt(32)
	v_fma_f64 v[159:160], v[5:6], v[205:206], -v[159:160]
	v_add_f64 v[143:144], v[143:144], v[151:152]
	v_fma_f64 v[151:152], v[7:8], v[205:206], v[153:154]
	v_add_f64 v[141:142], v[141:142], v[155:156]
	ds_read_b128 v[5:8], v198 offset:1952
	s_waitcnt vmcnt(31) lgkmcnt(1)
	v_mul_f64 v[155:156], v[139:140], v[179:180]
	v_mul_f64 v[153:154], v[137:138], v[179:180]
	s_waitcnt vmcnt(29)
	v_fma_f64 v[157:158], v[1:2], v[167:168], -v[157:158]
	v_fma_f64 v[147:148], v[3:4], v[167:168], v[147:148]
	ds_read_b128 v[1:4], v198 offset:1968
	v_add_f64 v[143:144], v[143:144], v[159:160]
	v_add_f64 v[141:142], v[141:142], v[151:152]
	s_waitcnt vmcnt(25) lgkmcnt(1)
	v_mul_f64 v[159:160], v[7:8], v[163:164]
	s_waitcnt vmcnt(24)
	v_fma_f64 v[155:156], v[137:138], v[199:200], -v[155:156]
	v_mul_f64 v[151:152], v[5:6], v[163:164]
	v_fma_f64 v[153:154], v[139:140], v[199:200], v[153:154]
	ds_read_b128 v[137:140], v198 offset:1984
	v_add_f64 v[143:144], v[143:144], v[157:158]
	v_add_f64 v[141:142], v[141:142], v[147:148]
	s_waitcnt vmcnt(23) lgkmcnt(1)
	v_mul_f64 v[157:158], v[3:4], v[187:188]
	v_mul_f64 v[147:148], v[1:2], v[187:188]
	s_waitcnt vmcnt(21)
	v_fma_f64 v[159:160], v[5:6], v[175:176], -v[159:160]
	v_fma_f64 v[151:152], v[7:8], v[175:176], v[151:152]
	ds_read_b128 v[5:8], v198 offset:2000
	v_add_f64 v[143:144], v[143:144], v[155:156]
	v_add_f64 v[141:142], v[141:142], v[153:154]
	s_waitcnt vmcnt(17) lgkmcnt(1)
	v_mul_f64 v[155:156], v[139:140], v[171:172]
	s_waitcnt vmcnt(16)
	v_fma_f64 v[157:158], v[1:2], v[193:194], -v[157:158]
	v_mul_f64 v[153:154], v[137:138], v[171:172]
	v_fma_f64 v[147:148], v[3:4], v[193:194], v[147:148]
	ds_read_b128 v[1:4], v198 offset:2016
	v_add_f64 v[143:144], v[143:144], v[159:160]
	v_add_f64 v[141:142], v[141:142], v[151:152]
	s_waitcnt vmcnt(15) lgkmcnt(1)
	v_mul_f64 v[159:160], v[7:8], v[189:190]
	v_mul_f64 v[151:152], v[5:6], v[189:190]
	s_waitcnt vmcnt(13)
	v_fma_f64 v[155:156], v[137:138], v[145:146], -v[155:156]
	v_fma_f64 v[145:146], v[139:140], v[145:146], v[153:154]
	ds_read_b128 v[137:140], v198 offset:2032
	v_add_f64 v[143:144], v[143:144], v[157:158]
	v_add_f64 v[141:142], v[141:142], v[147:148]
	s_waitcnt vmcnt(9) lgkmcnt(1)
	v_mul_f64 v[153:154], v[3:4], v[177:178]
	s_waitcnt vmcnt(8)
	v_fma_f64 v[5:6], v[5:6], v[195:196], -v[159:160]
	v_mul_f64 v[147:148], v[1:2], v[177:178]
	v_fma_f64 v[7:8], v[7:8], v[195:196], v[151:152]
	v_add_f64 v[143:144], v[143:144], v[155:156]
	v_add_f64 v[141:142], v[141:142], v[145:146]
	s_waitcnt vmcnt(7) lgkmcnt(0)
	v_mul_f64 v[151:152], v[139:140], v[191:192]
	v_mul_f64 v[145:146], v[137:138], v[191:192]
	s_waitcnt vmcnt(5)
	v_fma_f64 v[1:2], v[1:2], v[183:184], -v[153:154]
	v_fma_f64 v[3:4], v[3:4], v[183:184], v[147:148]
	v_add_f64 v[5:6], v[143:144], v[5:6]
	v_add_f64 v[7:8], v[141:142], v[7:8]
	s_waitcnt vmcnt(4)
	v_fma_f64 v[137:138], v[137:138], v[207:208], -v[151:152]
	v_add_f64 v[1:2], v[5:6], v[1:2]
	v_fma_f64 v[5:6], v[139:140], v[207:208], v[145:146]
	v_add_f64 v[3:4], v[7:8], v[3:4]
	v_add_f64 v[1:2], v[1:2], v[137:138]
	;; [unrolled: 1-line block ×3, first 2 shown]
	s_waitcnt vmcnt(2)
	v_add_f64 v[1:2], v[149:150], -v[1:2]
	s_waitcnt vmcnt(0)
	v_add_f64 v[3:4], v[181:182], -v[3:4]
	buffer_store_dword v2, off, s[0:3], 0 offset:212
	buffer_store_dword v1, off, s[0:3], 0 offset:208
	;; [unrolled: 1-line block ×4, first 2 shown]
	v_cmpx_lt_u32_e32 11, v0
	s_cbranch_execz .LBB127_387
; %bb.386:
	v_mov_b32_e32 v4, s67
	s_clause 0x3
	buffer_load_dword v1, v4, s[0:3], 0 offen
	buffer_load_dword v2, v4, s[0:3], 0 offen offset:4
	buffer_load_dword v3, v4, s[0:3], 0 offen offset:8
	;; [unrolled: 1-line block ×3, first 2 shown]
	buffer_store_dword v198, off, s[0:3], 0 offset:192
	buffer_store_dword v198, off, s[0:3], 0 offset:196
	;; [unrolled: 1-line block ×4, first 2 shown]
	s_waitcnt vmcnt(0)
	ds_write_b128 v197, v[1:4]
.LBB127_387:
	s_or_b32 exec_lo, exec_lo, s4
	s_waitcnt lgkmcnt(0)
	s_waitcnt_vscnt null, 0x0
	s_barrier
	buffer_gl0_inv
	s_clause 0x37
	buffer_load_dword v145, off, s[0:3], 0 offset:216
	buffer_load_dword v146, off, s[0:3], 0 offset:220
	;; [unrolled: 1-line block ×56, first 2 shown]
	ds_read_b128 v[5:8], v198 offset:1216
	s_clause 0x2
	buffer_load_dword v194, off, s[0:3], 0 offset:444
	buffer_load_dword v196, off, s[0:3], 0 offset:420
	;; [unrolled: 1-line block ×3, first 2 shown]
	ds_read_b128 v[1:4], v198 offset:1232
	s_clause 0x4
	buffer_load_dword v206, off, s[0:3], 0 offset:460
	buffer_load_dword v207, off, s[0:3], 0 offset:472
	;; [unrolled: 1-line block ×5, first 2 shown]
	ds_read_b128 v[199:202], v198 offset:1248
	s_mov_b32 s4, exec_lo
	s_waitcnt vmcnt(62) lgkmcnt(2)
	v_mul_f64 v[203:204], v[7:8], v[145:146]
	v_mul_f64 v[145:146], v[5:6], v[145:146]
	s_waitcnt vmcnt(60) lgkmcnt(1)
	v_mul_f64 v[210:211], v[3:4], v[141:142]
	v_mul_f64 v[141:142], v[1:2], v[141:142]
	;; [unrolled: 3-line block ×3, first 2 shown]
	v_fma_f64 v[203:204], v[5:6], v[143:144], -v[203:204]
	v_fma_f64 v[143:144], v[7:8], v[143:144], v[145:146]
	s_clause 0x2
	buffer_load_dword v208, off, s[0:3], 0 offset:476
	buffer_load_dword v146, off, s[0:3], 0 offset:452
	;; [unrolled: 1-line block ×3, first 2 shown]
	s_waitcnt vmcnt(57)
	v_fma_f64 v[214:215], v[1:2], v[137:138], -v[210:211]
	ds_read_b128 v[5:8], v198 offset:1264
	v_fma_f64 v[137:138], v[3:4], v[137:138], v[141:142]
	s_waitcnt vmcnt(51)
	v_fma_f64 v[199:200], v[199:200], v[161:162], -v[139:140]
	v_fma_f64 v[161:162], v[201:202], v[161:162], v[212:213]
	v_add_f64 v[203:204], v[203:204], 0
	v_add_f64 v[141:142], v[143:144], 0
	s_clause 0x4
	buffer_load_dword v144, off, s[0:3], 0 offset:492
	buffer_load_dword v211, off, s[0:3], 0 offset:504
	;; [unrolled: 1-line block ×5, first 2 shown]
	s_waitcnt lgkmcnt(0)
	v_mul_f64 v[217:218], v[5:6], v[149:150]
	v_mul_f64 v[149:150], v[7:8], v[149:150]
	ds_read_b128 v[1:4], v198 offset:1280
	s_clause 0x2
	buffer_load_dword v212, off, s[0:3], 0 offset:508
	buffer_load_dword v202, off, s[0:3], 0 offset:484
	;; [unrolled: 1-line block ×3, first 2 shown]
	v_add_f64 v[203:204], v[203:204], v[214:215]
	v_add_f64 v[141:142], v[141:142], v[137:138]
	ds_read_b128 v[137:140], v198 offset:1296
	s_waitcnt vmcnt(58) lgkmcnt(1)
	v_mul_f64 v[213:214], v[1:2], v[153:154]
	v_mul_f64 v[153:154], v[3:4], v[153:154]
	s_waitcnt vmcnt(56)
	v_fma_f64 v[149:150], v[5:6], v[155:156], -v[149:150]
	v_fma_f64 v[155:156], v[7:8], v[155:156], v[217:218]
	s_waitcnt vmcnt(52) lgkmcnt(0)
	v_mul_f64 v[219:220], v[137:138], v[157:158]
	v_add_f64 v[199:200], v[203:204], v[199:200]
	v_add_f64 v[141:142], v[141:142], v[161:162]
	s_clause 0x4
	buffer_load_dword v162, off, s[0:3], 0 offset:524
	buffer_load_dword v203, off, s[0:3], 0 offset:536
	;; [unrolled: 1-line block ×5, first 2 shown]
	v_mul_f64 v[157:158], v[139:140], v[157:158]
	s_waitcnt vmcnt(56)
	v_fma_f64 v[153:154], v[1:2], v[147:148], -v[153:154]
	ds_read_b128 v[5:8], v198 offset:1312
	v_fma_f64 v[147:148], v[3:4], v[147:148], v[213:214]
	v_add_f64 v[149:150], v[199:200], v[149:150]
	v_add_f64 v[141:142], v[141:142], v[155:156]
	s_clause 0x2
	buffer_load_dword v204, off, s[0:3], 0 offset:540
	buffer_load_dword v156, off, s[0:3], 0 offset:516
	;; [unrolled: 1-line block ×3, first 2 shown]
	s_waitcnt vmcnt(58) lgkmcnt(0)
	v_mul_f64 v[199:200], v[5:6], v[163:164]
	v_mul_f64 v[163:164], v[7:8], v[163:164]
	s_waitcnt vmcnt(56)
	v_fma_f64 v[157:158], v[137:138], v[165:166], -v[157:158]
	ds_read_b128 v[1:4], v198 offset:1328
	v_add_f64 v[149:150], v[149:150], v[153:154]
	v_fma_f64 v[153:154], v[139:140], v[165:166], v[219:220]
	v_add_f64 v[141:142], v[141:142], v[147:148]
	s_clause 0x4
	buffer_load_dword v148, off, s[0:3], 0 offset:556
	buffer_load_dword v165, off, s[0:3], 0 offset:568
	;; [unrolled: 1-line block ×5, first 2 shown]
	s_waitcnt vmcnt(57) lgkmcnt(0)
	v_mul_f64 v[214:215], v[1:2], v[167:168]
	v_mul_f64 v[167:168], v[3:4], v[167:168]
	s_waitcnt vmcnt(56)
	v_fma_f64 v[163:164], v[5:6], v[151:152], -v[163:164]
	ds_read_b128 v[137:140], v198 offset:1344
	v_fma_f64 v[151:152], v[7:8], v[151:152], v[199:200]
	v_add_f64 v[149:150], v[149:150], v[157:158]
	v_add_f64 v[141:142], v[141:142], v[153:154]
	s_clause 0x2
	buffer_load_dword v166, off, s[0:3], 0 offset:572
	buffer_load_dword v154, off, s[0:3], 0 offset:548
	;; [unrolled: 1-line block ×3, first 2 shown]
	ds_read_b128 v[5:8], v198 offset:1360
	s_waitcnt vmcnt(58) lgkmcnt(1)
	v_mul_f64 v[157:158], v[137:138], v[171:172]
	v_mul_f64 v[171:172], v[139:140], v[171:172]
	s_waitcnt vmcnt(56)
	v_fma_f64 v[167:168], v[1:2], v[173:174], -v[167:168]
	v_add_f64 v[149:150], v[149:150], v[163:164]
	v_fma_f64 v[163:164], v[3:4], v[173:174], v[214:215]
	v_add_f64 v[141:142], v[141:142], v[151:152]
	s_clause 0x4
	buffer_load_dword v152, off, s[0:3], 0 offset:588
	buffer_load_dword v173, off, s[0:3], 0 offset:600
	buffer_load_dword v199, off, s[0:3], 0 offset:592
	buffer_load_dword v151, off, s[0:3], 0 offset:584
	buffer_load_dword v214, off, s[0:3], 0 offset:564
	s_waitcnt vmcnt(57) lgkmcnt(0)
	v_mul_f64 v[220:221], v[5:6], v[175:176]
	v_mul_f64 v[175:176], v[7:8], v[175:176]
	s_waitcnt vmcnt(56)
	v_fma_f64 v[171:172], v[137:138], v[159:160], -v[171:172]
	ds_read_b128 v[1:4], v198 offset:1376
	v_fma_f64 v[157:158], v[139:140], v[159:160], v[157:158]
	s_clause 0x2
	buffer_load_dword v174, off, s[0:3], 0 offset:604
	buffer_load_dword v160, off, s[0:3], 0 offset:580
	;; [unrolled: 1-line block ×3, first 2 shown]
	ds_read_b128 v[137:140], v198 offset:1392
	v_add_f64 v[149:150], v[149:150], v[167:168]
	v_add_f64 v[141:142], v[141:142], v[163:164]
	s_waitcnt vmcnt(58) lgkmcnt(1)
	v_mul_f64 v[167:168], v[3:4], v[179:180]
	s_waitcnt vmcnt(56)
	v_fma_f64 v[175:176], v[5:6], v[181:182], -v[175:176]
	v_mul_f64 v[163:164], v[1:2], v[179:180]
	v_add_f64 v[149:150], v[149:150], v[171:172]
	v_fma_f64 v[171:172], v[7:8], v[181:182], v[220:221]
	v_add_f64 v[141:142], v[141:142], v[157:158]
	s_clause 0x4
	buffer_load_dword v158, off, s[0:3], 0 offset:620
	buffer_load_dword v179, off, s[0:3], 0 offset:632
	;; [unrolled: 1-line block ×5, first 2 shown]
	s_waitcnt vmcnt(57) lgkmcnt(0)
	v_mul_f64 v[220:221], v[137:138], v[183:184]
	v_mul_f64 v[182:183], v[139:140], v[183:184]
	s_waitcnt vmcnt(56)
	v_fma_f64 v[167:168], v[1:2], v[169:170], -v[167:168]
	ds_read_b128 v[5:8], v198 offset:1408
	v_fma_f64 v[163:164], v[3:4], v[169:170], v[163:164]
	s_clause 0x2
	buffer_load_dword v180, off, s[0:3], 0 offset:636
	buffer_load_dword v170, off, s[0:3], 0 offset:612
	;; [unrolled: 1-line block ×3, first 2 shown]
	ds_read_b128 v[1:4], v198 offset:1424
	v_add_f64 v[149:150], v[149:150], v[175:176]
	v_add_f64 v[141:142], v[141:142], v[171:172]
	s_waitcnt vmcnt(58) lgkmcnt(1)
	v_mul_f64 v[175:176], v[7:8], v[187:188]
	s_waitcnt vmcnt(56)
	v_fma_f64 v[183:184], v[137:138], v[189:190], -v[182:183]
	v_mul_f64 v[171:172], v[5:6], v[187:188]
	v_add_f64 v[149:150], v[149:150], v[167:168]
	v_fma_f64 v[167:168], v[139:140], v[189:190], v[220:221]
	v_add_f64 v[141:142], v[141:142], v[163:164]
	s_clause 0x4
	buffer_load_dword v164, off, s[0:3], 0 offset:652
	buffer_load_dword v187, off, s[0:3], 0 offset:664
	;; [unrolled: 1-line block ×5, first 2 shown]
	s_waitcnt vmcnt(57) lgkmcnt(0)
	v_mul_f64 v[220:221], v[1:2], v[191:192]
	v_mul_f64 v[190:191], v[3:4], v[191:192]
	s_waitcnt vmcnt(56)
	v_fma_f64 v[175:176], v[5:6], v[177:178], -v[175:176]
	ds_read_b128 v[137:140], v198 offset:1440
	v_fma_f64 v[171:172], v[7:8], v[177:178], v[171:172]
	v_add_f64 v[149:150], v[149:150], v[183:184]
	v_add_f64 v[141:142], v[141:142], v[167:168]
	s_clause 0x2
	buffer_load_dword v188, off, s[0:3], 0 offset:668
	buffer_load_dword v168, off, s[0:3], 0 offset:644
	;; [unrolled: 1-line block ×3, first 2 shown]
	ds_read_b128 v[5:8], v198 offset:1456
	s_waitcnt vmcnt(58) lgkmcnt(1)
	v_mul_f64 v[183:184], v[139:140], v[193:194]
	s_waitcnt vmcnt(56)
	v_fma_f64 v[191:192], v[1:2], v[195:196], -v[190:191]
	v_mul_f64 v[177:178], v[137:138], v[193:194]
	v_add_f64 v[149:150], v[149:150], v[175:176]
	v_fma_f64 v[175:176], v[3:4], v[195:196], v[220:221]
	v_add_f64 v[141:142], v[141:142], v[171:172]
	s_clause 0x4
	buffer_load_dword v172, off, s[0:3], 0 offset:684
	buffer_load_dword v193, off, s[0:3], 0 offset:696
	;; [unrolled: 1-line block ×5, first 2 shown]
	s_waitcnt vmcnt(57) lgkmcnt(0)
	v_mul_f64 v[220:221], v[5:6], v[205:206]
	v_mul_f64 v[205:206], v[7:8], v[205:206]
	s_waitcnt vmcnt(56)
	v_fma_f64 v[183:184], v[137:138], v[185:186], -v[183:184]
	ds_read_b128 v[1:4], v198 offset:1472
	v_fma_f64 v[177:178], v[139:140], v[185:186], v[177:178]
	v_add_f64 v[149:150], v[149:150], v[191:192]
	v_add_f64 v[141:142], v[141:142], v[175:176]
	s_clause 0x2
	buffer_load_dword v194, off, s[0:3], 0 offset:700
	buffer_load_dword v176, off, s[0:3], 0 offset:676
	;; [unrolled: 1-line block ×3, first 2 shown]
	ds_read_b128 v[137:140], v198 offset:1488
	s_waitcnt vmcnt(58) lgkmcnt(1)
	v_mul_f64 v[191:192], v[3:4], v[207:208]
	v_mul_f64 v[185:186], v[1:2], v[207:208]
	s_waitcnt vmcnt(56)
	v_fma_f64 v[205:206], v[5:6], v[145:146], -v[205:206]
	v_fma_f64 v[145:146], v[7:8], v[145:146], v[220:221]
	v_add_f64 v[149:150], v[149:150], v[183:184]
	v_add_f64 v[141:142], v[141:142], v[177:178]
	s_clause 0x4
	buffer_load_dword v178, off, s[0:3], 0 offset:716
	buffer_load_dword v183, off, s[0:3], 0 offset:728
	;; [unrolled: 1-line block ×5, first 2 shown]
	ds_read_b128 v[5:8], v198 offset:1504
	s_waitcnt vmcnt(57) lgkmcnt(1)
	v_mul_f64 v[220:221], v[137:138], v[143:144]
	v_mul_f64 v[143:144], v[139:140], v[143:144]
	s_waitcnt vmcnt(56)
	v_fma_f64 v[191:192], v[1:2], v[209:210], -v[191:192]
	v_fma_f64 v[185:186], v[3:4], v[209:210], v[185:186]
	v_add_f64 v[149:150], v[149:150], v[205:206]
	v_add_f64 v[141:142], v[141:142], v[145:146]
	s_clause 0x2
	buffer_load_dword v184, off, s[0:3], 0 offset:732
	buffer_load_dword v146, off, s[0:3], 0 offset:708
	;; [unrolled: 1-line block ×3, first 2 shown]
	s_waitcnt vmcnt(58) lgkmcnt(0)
	v_mul_f64 v[209:210], v[7:8], v[211:212]
	ds_read_b128 v[1:4], v198 offset:1520
	v_mul_f64 v[205:206], v[5:6], v[211:212]
	s_waitcnt vmcnt(56)
	v_fma_f64 v[143:144], v[137:138], v[201:202], -v[143:144]
	v_add_f64 v[149:150], v[149:150], v[191:192]
	v_fma_f64 v[191:192], v[139:140], v[201:202], v[220:221]
	v_add_f64 v[141:142], v[141:142], v[185:186]
	s_clause 0x4
	buffer_load_dword v186, off, s[0:3], 0 offset:748
	buffer_load_dword v201, off, s[0:3], 0 offset:760
	;; [unrolled: 1-line block ×5, first 2 shown]
	ds_read_b128 v[137:140], v198 offset:1536
	s_waitcnt vmcnt(57) lgkmcnt(1)
	v_mul_f64 v[220:221], v[1:2], v[161:162]
	v_mul_f64 v[161:162], v[3:4], v[161:162]
	s_waitcnt vmcnt(56)
	v_fma_f64 v[209:210], v[5:6], v[216:217], -v[209:210]
	v_add_f64 v[143:144], v[149:150], v[143:144]
	v_fma_f64 v[149:150], v[7:8], v[216:217], v[205:206]
	v_add_f64 v[141:142], v[141:142], v[191:192]
	s_clause 0x2
	buffer_load_dword v202, off, s[0:3], 0 offset:764
	buffer_load_dword v192, off, s[0:3], 0 offset:740
	;; [unrolled: 1-line block ×3, first 2 shown]
	ds_read_b128 v[5:8], v198 offset:1552
	s_waitcnt vmcnt(58) lgkmcnt(1)
	v_mul_f64 v[205:206], v[137:138], v[203:204]
	v_mul_f64 v[203:204], v[139:140], v[203:204]
	s_waitcnt vmcnt(56)
	v_fma_f64 v[161:162], v[1:2], v[155:156], -v[161:162]
	v_fma_f64 v[155:156], v[3:4], v[155:156], v[220:221]
	v_add_f64 v[143:144], v[143:144], v[209:210]
	v_add_f64 v[141:142], v[141:142], v[149:150]
	s_clause 0x4
	buffer_load_dword v150, off, s[0:3], 0 offset:780
	buffer_load_dword v209, off, s[0:3], 0 offset:792
	;; [unrolled: 1-line block ×5, first 2 shown]
	ds_read_b128 v[1:4], v198 offset:1568
	s_waitcnt vmcnt(57) lgkmcnt(1)
	v_mul_f64 v[216:217], v[5:6], v[147:148]
	v_mul_f64 v[147:148], v[7:8], v[147:148]
	s_waitcnt vmcnt(56)
	v_fma_f64 v[203:204], v[137:138], v[218:219], -v[203:204]
	v_add_f64 v[143:144], v[143:144], v[161:162]
	v_fma_f64 v[161:162], v[139:140], v[218:219], v[205:206]
	v_add_f64 v[141:142], v[141:142], v[155:156]
	s_clause 0x2
	buffer_load_dword v210, off, s[0:3], 0 offset:796
	buffer_load_dword v156, off, s[0:3], 0 offset:772
	;; [unrolled: 1-line block ×3, first 2 shown]
	ds_read_b128 v[137:140], v198 offset:1584
	s_waitcnt vmcnt(58) lgkmcnt(1)
	v_mul_f64 v[205:206], v[1:2], v[165:166]
	v_mul_f64 v[165:166], v[3:4], v[165:166]
	s_waitcnt vmcnt(56)
	v_fma_f64 v[147:148], v[5:6], v[153:154], -v[147:148]
	v_fma_f64 v[153:154], v[7:8], v[153:154], v[216:217]
	v_add_f64 v[143:144], v[143:144], v[203:204]
	v_add_f64 v[141:142], v[141:142], v[161:162]
	s_clause 0x4
	buffer_load_dword v162, off, s[0:3], 0 offset:812
	buffer_load_dword v203, off, s[0:3], 0 offset:824
	;; [unrolled: 1-line block ×5, first 2 shown]
	ds_read_b128 v[5:8], v198 offset:1600
	s_waitcnt vmcnt(57) lgkmcnt(1)
	v_mul_f64 v[218:219], v[137:138], v[151:152]
	v_mul_f64 v[151:152], v[139:140], v[151:152]
	s_waitcnt vmcnt(56)
	v_fma_f64 v[165:166], v[1:2], v[213:214], -v[165:166]
	v_add_f64 v[143:144], v[143:144], v[147:148]
	v_fma_f64 v[147:148], v[3:4], v[213:214], v[205:206]
	v_add_f64 v[141:142], v[141:142], v[153:154]
	s_clause 0x2
	buffer_load_dword v204, off, s[0:3], 0 offset:828
	buffer_load_dword v154, off, s[0:3], 0 offset:804
	buffer_load_dword v153, off, s[0:3], 0 offset:800
	s_waitcnt vmcnt(58) lgkmcnt(0)
	v_mul_f64 v[205:206], v[5:6], v[173:174]
	v_mul_f64 v[173:174], v[7:8], v[173:174]
	ds_read_b128 v[1:4], v198 offset:1616
	s_waitcnt vmcnt(56)
	v_fma_f64 v[151:152], v[137:138], v[159:160], -v[151:152]
	v_fma_f64 v[159:160], v[139:140], v[159:160], v[218:219]
	v_add_f64 v[143:144], v[143:144], v[165:166]
	v_add_f64 v[141:142], v[141:142], v[147:148]
	s_clause 0x4
	buffer_load_dword v148, off, s[0:3], 0 offset:844
	buffer_load_dword v165, off, s[0:3], 0 offset:856
	;; [unrolled: 1-line block ×5, first 2 shown]
	ds_read_b128 v[137:140], v198 offset:1632
	s_waitcnt vmcnt(57) lgkmcnt(1)
	v_mul_f64 v[219:220], v[1:2], v[157:158]
	v_mul_f64 v[157:158], v[3:4], v[157:158]
	s_waitcnt vmcnt(56)
	v_fma_f64 v[173:174], v[5:6], v[199:200], -v[173:174]
	v_add_f64 v[143:144], v[143:144], v[151:152]
	v_fma_f64 v[151:152], v[7:8], v[199:200], v[205:206]
	v_add_f64 v[141:142], v[141:142], v[159:160]
	s_clause 0x2
	buffer_load_dword v166, off, s[0:3], 0 offset:860
	buffer_load_dword v160, off, s[0:3], 0 offset:836
	;; [unrolled: 1-line block ×3, first 2 shown]
	s_waitcnt vmcnt(58) lgkmcnt(0)
	v_mul_f64 v[199:200], v[137:138], v[179:180]
	v_mul_f64 v[179:180], v[139:140], v[179:180]
	ds_read_b128 v[5:8], v198 offset:1648
	s_waitcnt vmcnt(56)
	v_fma_f64 v[157:158], v[1:2], v[169:170], -v[157:158]
	v_fma_f64 v[169:170], v[3:4], v[169:170], v[219:220]
	v_add_f64 v[143:144], v[143:144], v[173:174]
	v_add_f64 v[141:142], v[141:142], v[151:152]
	s_clause 0x4
	buffer_load_dword v152, off, s[0:3], 0 offset:876
	buffer_load_dword v173, off, s[0:3], 0 offset:888
	buffer_load_dword v205, off, s[0:3], 0 offset:880
	buffer_load_dword v151, off, s[0:3], 0 offset:872
	buffer_load_dword v214, off, s[0:3], 0 offset:852
	ds_read_b128 v[1:4], v198 offset:1664
	s_waitcnt vmcnt(57) lgkmcnt(1)
	v_mul_f64 v[219:220], v[5:6], v[163:164]
	v_mul_f64 v[163:164], v[7:8], v[163:164]
	s_waitcnt vmcnt(56)
	v_fma_f64 v[179:180], v[137:138], v[181:182], -v[179:180]
	v_add_f64 v[143:144], v[143:144], v[157:158]
	v_fma_f64 v[157:158], v[139:140], v[181:182], v[199:200]
	v_add_f64 v[141:142], v[141:142], v[169:170]
	s_clause 0x2
	buffer_load_dword v174, off, s[0:3], 0 offset:892
	buffer_load_dword v170, off, s[0:3], 0 offset:868
	buffer_load_dword v169, off, s[0:3], 0 offset:864
	ds_read_b128 v[137:140], v198 offset:1680
	s_waitcnt vmcnt(58) lgkmcnt(1)
	v_mul_f64 v[181:182], v[1:2], v[187:188]
	v_mul_f64 v[187:188], v[3:4], v[187:188]
	s_waitcnt vmcnt(56)
	v_fma_f64 v[163:164], v[5:6], v[167:168], -v[163:164]
	v_fma_f64 v[167:168], v[7:8], v[167:168], v[219:220]
	v_add_f64 v[143:144], v[143:144], v[179:180]
	v_add_f64 v[141:142], v[141:142], v[157:158]
	s_clause 0x4
	buffer_load_dword v158, off, s[0:3], 0 offset:908
	buffer_load_dword v179, off, s[0:3], 0 offset:920
	buffer_load_dword v199, off, s[0:3], 0 offset:912
	buffer_load_dword v157, off, s[0:3], 0 offset:904
	buffer_load_dword v206, off, s[0:3], 0 offset:884
	ds_read_b128 v[5:8], v198 offset:1696
	s_waitcnt vmcnt(57) lgkmcnt(1)
	v_mul_f64 v[219:220], v[137:138], v[171:172]
	v_mul_f64 v[171:172], v[139:140], v[171:172]
	s_waitcnt vmcnt(56)
	v_fma_f64 v[187:188], v[1:2], v[189:190], -v[187:188]
	v_add_f64 v[143:144], v[143:144], v[163:164]
	v_fma_f64 v[163:164], v[3:4], v[189:190], v[181:182]
	v_add_f64 v[141:142], v[141:142], v[167:168]
	s_clause 0x2
	buffer_load_dword v180, off, s[0:3], 0 offset:924
	buffer_load_dword v168, off, s[0:3], 0 offset:900
	buffer_load_dword v167, off, s[0:3], 0 offset:896
	ds_read_b128 v[1:4], v198 offset:1712
	s_waitcnt vmcnt(58) lgkmcnt(1)
	v_mul_f64 v[189:190], v[7:8], v[193:194]
	v_mul_f64 v[181:182], v[5:6], v[193:194]
	;; [unrolled: 28-line block ×4, first 2 shown]
	s_waitcnt vmcnt(56)
	v_fma_f64 v[185:186], v[5:6], v[191:192], -v[185:186]
	v_add_f64 v[143:144], v[143:144], v[183:184]
	v_fma_f64 v[183:184], v[7:8], v[191:192], v[219:220]
	v_add_f64 v[141:142], v[141:142], v[177:178]
	s_clause 0x4
	buffer_load_dword v178, off, s[0:3], 0 offset:1004
	buffer_load_dword v191, off, s[0:3], 0 offset:1016
	;; [unrolled: 1-line block ×5, first 2 shown]
	ds_read_b128 v[5:8], v198 offset:1792
	s_waitcnt vmcnt(57) lgkmcnt(1)
	v_mul_f64 v[219:220], v[137:138], v[149:150]
	v_mul_f64 v[149:150], v[139:140], v[149:150]
	s_waitcnt vmcnt(56)
	v_fma_f64 v[201:202], v[1:2], v[211:212], -v[201:202]
	v_fma_f64 v[181:182], v[3:4], v[211:212], v[181:182]
	v_add_f64 v[143:144], v[143:144], v[185:186]
	v_add_f64 v[141:142], v[141:142], v[183:184]
	s_clause 0x2
	buffer_load_dword v192, off, s[0:3], 0 offset:1020
	buffer_load_dword v184, off, s[0:3], 0 offset:996
	;; [unrolled: 1-line block ×3, first 2 shown]
	ds_read_b128 v[1:4], v198 offset:1808
	s_waitcnt vmcnt(58) lgkmcnt(1)
	v_mul_f64 v[185:186], v[5:6], v[209:210]
	v_mul_f64 v[209:210], v[7:8], v[209:210]
	s_waitcnt vmcnt(56)
	v_fma_f64 v[149:150], v[137:138], v[155:156], -v[149:150]
	v_fma_f64 v[155:156], v[139:140], v[155:156], v[219:220]
	v_add_f64 v[143:144], v[143:144], v[201:202]
	v_add_f64 v[141:142], v[141:142], v[181:182]
	s_clause 0x2
	buffer_load_dword v182, off, s[0:3], 0 offset:1036
	buffer_load_dword v181, off, s[0:3], 0 offset:1032
	;; [unrolled: 1-line block ×3, first 2 shown]
	ds_read_b128 v[137:140], v198 offset:1824
	s_waitcnt vmcnt(55) lgkmcnt(1)
	v_mul_f64 v[201:202], v[1:2], v[161:162]
	v_mul_f64 v[161:162], v[3:4], v[161:162]
	s_waitcnt vmcnt(54)
	v_fma_f64 v[209:210], v[5:6], v[215:216], -v[209:210]
	v_add_f64 v[143:144], v[143:144], v[149:150]
	v_fma_f64 v[149:150], v[7:8], v[215:216], v[185:186]
	v_add_f64 v[141:142], v[141:142], v[155:156]
	s_clause 0x1
	buffer_load_dword v156, off, s[0:3], 0 offset:1028
	buffer_load_dword v155, off, s[0:3], 0 offset:1024
	ds_read_b128 v[5:8], v198 offset:1840
	s_waitcnt vmcnt(55) lgkmcnt(1)
	v_mul_f64 v[185:186], v[137:138], v[203:204]
	v_mul_f64 v[203:204], v[139:140], v[203:204]
	s_waitcnt vmcnt(53)
	v_fma_f64 v[161:162], v[1:2], v[153:154], -v[161:162]
	v_fma_f64 v[153:154], v[3:4], v[153:154], v[201:202]
	ds_read_b128 v[1:4], v198 offset:1856
	v_add_f64 v[143:144], v[143:144], v[209:210]
	v_add_f64 v[141:142], v[141:142], v[149:150]
	s_waitcnt vmcnt(49) lgkmcnt(1)
	v_mul_f64 v[149:150], v[5:6], v[147:148]
	v_mul_f64 v[147:148], v[7:8], v[147:148]
	s_waitcnt vmcnt(48)
	v_fma_f64 v[201:202], v[137:138], v[217:218], -v[203:204]
	v_add_f64 v[143:144], v[143:144], v[161:162]
	v_fma_f64 v[161:162], v[139:140], v[217:218], v[185:186]
	v_add_f64 v[141:142], v[141:142], v[153:154]
	s_clause 0x3
	buffer_load_dword v153, off, s[0:3], 0 offset:192
	buffer_load_dword v154, off, s[0:3], 0 offset:196
	;; [unrolled: 1-line block ×4, first 2 shown]
	ds_read_b128 v[137:140], v198 offset:1872
	s_waitcnt vmcnt(51) lgkmcnt(1)
	v_mul_f64 v[203:204], v[1:2], v[165:166]
	v_mul_f64 v[165:166], v[3:4], v[165:166]
	s_waitcnt vmcnt(49)
	v_fma_f64 v[147:148], v[5:6], v[159:160], -v[147:148]
	v_fma_f64 v[149:150], v[7:8], v[159:160], v[149:150]
	ds_read_b128 v[5:8], v198 offset:1888
	v_add_f64 v[143:144], v[143:144], v[201:202]
	v_add_f64 v[141:142], v[141:142], v[161:162]
	s_waitcnt vmcnt(45) lgkmcnt(1)
	v_mul_f64 v[159:160], v[137:138], v[151:152]
	v_mul_f64 v[151:152], v[139:140], v[151:152]
	s_waitcnt vmcnt(44)
	v_fma_f64 v[161:162], v[1:2], v[213:214], -v[165:166]
	v_add_f64 v[143:144], v[143:144], v[147:148]
	v_fma_f64 v[147:148], v[3:4], v[213:214], v[203:204]
	v_add_f64 v[141:142], v[141:142], v[149:150]
	ds_read_b128 v[1:4], v198 offset:1904
	s_waitcnt vmcnt(43) lgkmcnt(1)
	v_mul_f64 v[165:166], v[7:8], v[173:174]
	v_mul_f64 v[149:150], v[5:6], v[173:174]
	s_waitcnt vmcnt(41)
	v_fma_f64 v[151:152], v[137:138], v[169:170], -v[151:152]
	v_fma_f64 v[159:160], v[139:140], v[169:170], v[159:160]
	ds_read_b128 v[137:140], v198 offset:1920
	v_add_f64 v[143:144], v[143:144], v[161:162]
	v_add_f64 v[141:142], v[141:142], v[147:148]
	s_waitcnt vmcnt(37) lgkmcnt(1)
	v_mul_f64 v[147:148], v[1:2], v[157:158]
	v_mul_f64 v[157:158], v[3:4], v[157:158]
	s_waitcnt vmcnt(36)
	v_fma_f64 v[161:162], v[5:6], v[205:206], -v[165:166]
	v_fma_f64 v[149:150], v[7:8], v[205:206], v[149:150]
	ds_read_b128 v[5:8], v198 offset:1936
	v_add_f64 v[143:144], v[143:144], v[151:152]
	v_add_f64 v[141:142], v[141:142], v[159:160]
	;; [unrolled: 9-line block ×3, first 2 shown]
	s_waitcnt vmcnt(29) lgkmcnt(1)
	v_mul_f64 v[161:162], v[7:8], v[163:164]
	s_waitcnt vmcnt(28)
	v_fma_f64 v[159:160], v[137:138], v[199:200], -v[159:160]
	v_mul_f64 v[149:150], v[5:6], v[163:164]
	v_fma_f64 v[151:152], v[139:140], v[199:200], v[151:152]
	ds_read_b128 v[137:140], v198 offset:1968
	v_add_f64 v[143:144], v[143:144], v[157:158]
	v_add_f64 v[141:142], v[141:142], v[147:148]
	s_waitcnt vmcnt(27) lgkmcnt(1)
	v_mul_f64 v[157:158], v[3:4], v[187:188]
	v_mul_f64 v[147:148], v[1:2], v[187:188]
	s_waitcnt vmcnt(25)
	v_fma_f64 v[161:162], v[5:6], v[175:176], -v[161:162]
	v_fma_f64 v[149:150], v[7:8], v[175:176], v[149:150]
	ds_read_b128 v[5:8], v198 offset:1984
	v_add_f64 v[143:144], v[143:144], v[159:160]
	v_add_f64 v[141:142], v[141:142], v[151:152]
	s_waitcnt vmcnt(21) lgkmcnt(1)
	v_mul_f64 v[159:160], v[139:140], v[171:172]
	s_waitcnt vmcnt(20)
	v_fma_f64 v[157:158], v[1:2], v[193:194], -v[157:158]
	v_mul_f64 v[151:152], v[137:138], v[171:172]
	v_fma_f64 v[147:148], v[3:4], v[193:194], v[147:148]
	ds_read_b128 v[1:4], v198 offset:2000
	v_add_f64 v[143:144], v[143:144], v[161:162]
	v_add_f64 v[141:142], v[141:142], v[149:150]
	s_waitcnt vmcnt(19) lgkmcnt(1)
	v_mul_f64 v[161:162], v[7:8], v[189:190]
	v_mul_f64 v[149:150], v[5:6], v[189:190]
	s_waitcnt vmcnt(17)
	v_fma_f64 v[159:160], v[137:138], v[145:146], -v[159:160]
	v_fma_f64 v[145:146], v[139:140], v[145:146], v[151:152]
	ds_read_b128 v[137:140], v198 offset:2016
	v_add_f64 v[143:144], v[143:144], v[157:158]
	v_add_f64 v[141:142], v[141:142], v[147:148]
	s_waitcnt vmcnt(13) lgkmcnt(1)
	v_mul_f64 v[151:152], v[3:4], v[177:178]
	s_waitcnt vmcnt(12)
	v_fma_f64 v[157:158], v[5:6], v[195:196], -v[161:162]
	v_mul_f64 v[147:148], v[1:2], v[177:178]
	v_fma_f64 v[149:150], v[7:8], v[195:196], v[149:150]
	ds_read_b128 v[5:8], v198 offset:2032
	v_add_f64 v[143:144], v[143:144], v[159:160]
	v_add_f64 v[141:142], v[141:142], v[145:146]
	s_waitcnt vmcnt(11) lgkmcnt(1)
	v_mul_f64 v[159:160], v[139:140], v[191:192]
	v_mul_f64 v[145:146], v[137:138], v[191:192]
	s_waitcnt vmcnt(9)
	v_fma_f64 v[1:2], v[1:2], v[183:184], -v[151:152]
	v_fma_f64 v[3:4], v[3:4], v[183:184], v[147:148]
	v_add_f64 v[143:144], v[143:144], v[157:158]
	v_add_f64 v[141:142], v[141:142], v[149:150]
	s_waitcnt vmcnt(7) lgkmcnt(0)
	v_mul_f64 v[149:150], v[7:8], v[181:182]
	s_waitcnt vmcnt(6)
	v_fma_f64 v[137:138], v[137:138], v[207:208], -v[159:160]
	v_mul_f64 v[147:148], v[5:6], v[181:182]
	v_fma_f64 v[139:140], v[139:140], v[207:208], v[145:146]
	v_add_f64 v[1:2], v[143:144], v[1:2]
	v_add_f64 v[3:4], v[141:142], v[3:4]
	s_waitcnt vmcnt(4)
	v_fma_f64 v[5:6], v[5:6], v[155:156], -v[149:150]
	v_fma_f64 v[7:8], v[7:8], v[155:156], v[147:148]
	v_add_f64 v[1:2], v[1:2], v[137:138]
	v_add_f64 v[3:4], v[3:4], v[139:140]
	;; [unrolled: 1-line block ×4, first 2 shown]
	s_waitcnt vmcnt(2)
	v_add_f64 v[1:2], v[153:154], -v[1:2]
	s_waitcnt vmcnt(0)
	v_add_f64 v[3:4], v[185:186], -v[3:4]
	buffer_store_dword v2, off, s[0:3], 0 offset:196
	buffer_store_dword v1, off, s[0:3], 0 offset:192
	;; [unrolled: 1-line block ×4, first 2 shown]
	v_cmpx_lt_u32_e32 10, v0
	s_cbranch_execz .LBB127_389
; %bb.388:
	v_mov_b32_e32 v4, s68
	v_mov_b32_e32 v5, 0
	s_clause 0x3
	buffer_load_dword v1, v4, s[0:3], 0 offen
	buffer_load_dword v2, v4, s[0:3], 0 offen offset:4
	buffer_load_dword v3, v4, s[0:3], 0 offen offset:8
	;; [unrolled: 1-line block ×3, first 2 shown]
	buffer_store_dword v5, off, s[0:3], 0 offset:176
	buffer_store_dword v5, off, s[0:3], 0 offset:180
	;; [unrolled: 1-line block ×4, first 2 shown]
	s_waitcnt vmcnt(0)
	ds_write_b128 v197, v[1:4]
.LBB127_389:
	s_or_b32 exec_lo, exec_lo, s4
	s_waitcnt lgkmcnt(0)
	s_waitcnt_vscnt null, 0x0
	s_barrier
	buffer_gl0_inv
	s_clause 0x37
	buffer_load_dword v145, off, s[0:3], 0 offset:200
	buffer_load_dword v146, off, s[0:3], 0 offset:204
	;; [unrolled: 1-line block ×56, first 2 shown]
	v_mov_b32_e32 v198, 0
	s_mov_b32 s4, exec_lo
	ds_read_b128 v[5:8], v198 offset:1200
	s_clause 0x2
	buffer_load_dword v194, off, s[0:3], 0 offset:428
	buffer_load_dword v196, off, s[0:3], 0 offset:404
	;; [unrolled: 1-line block ×3, first 2 shown]
	ds_read_b128 v[1:4], v198 offset:1216
	s_clause 0x4
	buffer_load_dword v206, off, s[0:3], 0 offset:444
	buffer_load_dword v207, off, s[0:3], 0 offset:456
	;; [unrolled: 1-line block ×5, first 2 shown]
	ds_read_b128 v[199:202], v198 offset:1232
	s_waitcnt vmcnt(62) lgkmcnt(2)
	v_mul_f64 v[203:204], v[7:8], v[145:146]
	v_mul_f64 v[145:146], v[5:6], v[145:146]
	s_waitcnt vmcnt(60) lgkmcnt(1)
	v_mul_f64 v[210:211], v[3:4], v[141:142]
	v_mul_f64 v[141:142], v[1:2], v[141:142]
	;; [unrolled: 3-line block ×3, first 2 shown]
	v_fma_f64 v[203:204], v[5:6], v[143:144], -v[203:204]
	v_fma_f64 v[143:144], v[7:8], v[143:144], v[145:146]
	s_clause 0x2
	buffer_load_dword v208, off, s[0:3], 0 offset:460
	buffer_load_dword v146, off, s[0:3], 0 offset:436
	;; [unrolled: 1-line block ×3, first 2 shown]
	s_waitcnt vmcnt(57)
	v_fma_f64 v[214:215], v[1:2], v[137:138], -v[210:211]
	ds_read_b128 v[5:8], v198 offset:1248
	v_fma_f64 v[137:138], v[3:4], v[137:138], v[141:142]
	s_waitcnt vmcnt(51)
	v_fma_f64 v[199:200], v[199:200], v[161:162], -v[139:140]
	v_fma_f64 v[161:162], v[201:202], v[161:162], v[212:213]
	v_add_f64 v[203:204], v[203:204], 0
	v_add_f64 v[141:142], v[143:144], 0
	s_clause 0x4
	buffer_load_dword v144, off, s[0:3], 0 offset:476
	buffer_load_dword v211, off, s[0:3], 0 offset:488
	;; [unrolled: 1-line block ×5, first 2 shown]
	s_waitcnt lgkmcnt(0)
	v_mul_f64 v[217:218], v[5:6], v[149:150]
	v_mul_f64 v[149:150], v[7:8], v[149:150]
	ds_read_b128 v[1:4], v198 offset:1264
	s_clause 0x2
	buffer_load_dword v212, off, s[0:3], 0 offset:492
	buffer_load_dword v202, off, s[0:3], 0 offset:468
	buffer_load_dword v201, off, s[0:3], 0 offset:464
	v_add_f64 v[203:204], v[203:204], v[214:215]
	v_add_f64 v[141:142], v[141:142], v[137:138]
	ds_read_b128 v[137:140], v198 offset:1280
	s_waitcnt vmcnt(58) lgkmcnt(1)
	v_mul_f64 v[213:214], v[1:2], v[153:154]
	v_mul_f64 v[153:154], v[3:4], v[153:154]
	s_waitcnt vmcnt(56)
	v_fma_f64 v[149:150], v[5:6], v[155:156], -v[149:150]
	v_fma_f64 v[155:156], v[7:8], v[155:156], v[217:218]
	s_waitcnt vmcnt(52) lgkmcnt(0)
	v_mul_f64 v[219:220], v[137:138], v[157:158]
	v_add_f64 v[199:200], v[203:204], v[199:200]
	v_add_f64 v[141:142], v[141:142], v[161:162]
	s_clause 0x4
	buffer_load_dword v162, off, s[0:3], 0 offset:508
	buffer_load_dword v203, off, s[0:3], 0 offset:520
	;; [unrolled: 1-line block ×5, first 2 shown]
	v_mul_f64 v[157:158], v[139:140], v[157:158]
	s_waitcnt vmcnt(56)
	v_fma_f64 v[153:154], v[1:2], v[147:148], -v[153:154]
	ds_read_b128 v[5:8], v198 offset:1296
	v_fma_f64 v[147:148], v[3:4], v[147:148], v[213:214]
	v_add_f64 v[149:150], v[199:200], v[149:150]
	v_add_f64 v[141:142], v[141:142], v[155:156]
	s_clause 0x2
	buffer_load_dword v204, off, s[0:3], 0 offset:524
	buffer_load_dword v156, off, s[0:3], 0 offset:500
	buffer_load_dword v155, off, s[0:3], 0 offset:496
	s_waitcnt vmcnt(58) lgkmcnt(0)
	v_mul_f64 v[199:200], v[5:6], v[163:164]
	v_mul_f64 v[163:164], v[7:8], v[163:164]
	s_waitcnt vmcnt(56)
	v_fma_f64 v[157:158], v[137:138], v[165:166], -v[157:158]
	ds_read_b128 v[1:4], v198 offset:1312
	v_add_f64 v[149:150], v[149:150], v[153:154]
	v_fma_f64 v[153:154], v[139:140], v[165:166], v[219:220]
	v_add_f64 v[141:142], v[141:142], v[147:148]
	s_clause 0x4
	buffer_load_dword v148, off, s[0:3], 0 offset:540
	buffer_load_dword v165, off, s[0:3], 0 offset:552
	;; [unrolled: 1-line block ×5, first 2 shown]
	s_waitcnt vmcnt(57) lgkmcnt(0)
	v_mul_f64 v[214:215], v[1:2], v[167:168]
	v_mul_f64 v[167:168], v[3:4], v[167:168]
	s_waitcnt vmcnt(56)
	v_fma_f64 v[163:164], v[5:6], v[151:152], -v[163:164]
	ds_read_b128 v[137:140], v198 offset:1328
	v_fma_f64 v[151:152], v[7:8], v[151:152], v[199:200]
	v_add_f64 v[149:150], v[149:150], v[157:158]
	v_add_f64 v[141:142], v[141:142], v[153:154]
	s_clause 0x2
	buffer_load_dword v166, off, s[0:3], 0 offset:556
	buffer_load_dword v154, off, s[0:3], 0 offset:532
	buffer_load_dword v153, off, s[0:3], 0 offset:528
	ds_read_b128 v[5:8], v198 offset:1344
	s_waitcnt vmcnt(58) lgkmcnt(1)
	v_mul_f64 v[157:158], v[137:138], v[171:172]
	v_mul_f64 v[171:172], v[139:140], v[171:172]
	s_waitcnt vmcnt(56)
	v_fma_f64 v[167:168], v[1:2], v[173:174], -v[167:168]
	v_add_f64 v[149:150], v[149:150], v[163:164]
	v_fma_f64 v[163:164], v[3:4], v[173:174], v[214:215]
	v_add_f64 v[141:142], v[141:142], v[151:152]
	s_clause 0x4
	buffer_load_dword v152, off, s[0:3], 0 offset:572
	buffer_load_dword v173, off, s[0:3], 0 offset:584
	;; [unrolled: 1-line block ×5, first 2 shown]
	s_waitcnt vmcnt(57) lgkmcnt(0)
	v_mul_f64 v[220:221], v[5:6], v[175:176]
	v_mul_f64 v[175:176], v[7:8], v[175:176]
	s_waitcnt vmcnt(56)
	v_fma_f64 v[171:172], v[137:138], v[159:160], -v[171:172]
	ds_read_b128 v[1:4], v198 offset:1360
	v_fma_f64 v[157:158], v[139:140], v[159:160], v[157:158]
	s_clause 0x2
	buffer_load_dword v174, off, s[0:3], 0 offset:588
	buffer_load_dword v160, off, s[0:3], 0 offset:564
	buffer_load_dword v159, off, s[0:3], 0 offset:560
	ds_read_b128 v[137:140], v198 offset:1376
	v_add_f64 v[149:150], v[149:150], v[167:168]
	v_add_f64 v[141:142], v[141:142], v[163:164]
	s_waitcnt vmcnt(58) lgkmcnt(1)
	v_mul_f64 v[167:168], v[3:4], v[179:180]
	s_waitcnt vmcnt(56)
	v_fma_f64 v[175:176], v[5:6], v[181:182], -v[175:176]
	v_mul_f64 v[163:164], v[1:2], v[179:180]
	v_add_f64 v[149:150], v[149:150], v[171:172]
	v_fma_f64 v[171:172], v[7:8], v[181:182], v[220:221]
	v_add_f64 v[141:142], v[141:142], v[157:158]
	s_clause 0x4
	buffer_load_dword v158, off, s[0:3], 0 offset:604
	buffer_load_dword v179, off, s[0:3], 0 offset:616
	;; [unrolled: 1-line block ×5, first 2 shown]
	s_waitcnt vmcnt(57) lgkmcnt(0)
	v_mul_f64 v[220:221], v[137:138], v[183:184]
	v_mul_f64 v[182:183], v[139:140], v[183:184]
	s_waitcnt vmcnt(56)
	v_fma_f64 v[167:168], v[1:2], v[169:170], -v[167:168]
	ds_read_b128 v[5:8], v198 offset:1392
	v_fma_f64 v[163:164], v[3:4], v[169:170], v[163:164]
	s_clause 0x2
	buffer_load_dword v180, off, s[0:3], 0 offset:620
	buffer_load_dword v170, off, s[0:3], 0 offset:596
	;; [unrolled: 1-line block ×3, first 2 shown]
	ds_read_b128 v[1:4], v198 offset:1408
	v_add_f64 v[149:150], v[149:150], v[175:176]
	v_add_f64 v[141:142], v[141:142], v[171:172]
	s_waitcnt vmcnt(58) lgkmcnt(1)
	v_mul_f64 v[175:176], v[7:8], v[187:188]
	s_waitcnt vmcnt(56)
	v_fma_f64 v[183:184], v[137:138], v[189:190], -v[182:183]
	v_mul_f64 v[171:172], v[5:6], v[187:188]
	v_add_f64 v[149:150], v[149:150], v[167:168]
	v_fma_f64 v[167:168], v[139:140], v[189:190], v[220:221]
	v_add_f64 v[141:142], v[141:142], v[163:164]
	s_clause 0x4
	buffer_load_dword v164, off, s[0:3], 0 offset:636
	buffer_load_dword v187, off, s[0:3], 0 offset:648
	;; [unrolled: 1-line block ×5, first 2 shown]
	s_waitcnt vmcnt(57) lgkmcnt(0)
	v_mul_f64 v[220:221], v[1:2], v[191:192]
	v_mul_f64 v[190:191], v[3:4], v[191:192]
	s_waitcnt vmcnt(56)
	v_fma_f64 v[175:176], v[5:6], v[177:178], -v[175:176]
	ds_read_b128 v[137:140], v198 offset:1424
	v_fma_f64 v[171:172], v[7:8], v[177:178], v[171:172]
	v_add_f64 v[149:150], v[149:150], v[183:184]
	v_add_f64 v[141:142], v[141:142], v[167:168]
	s_clause 0x2
	buffer_load_dword v188, off, s[0:3], 0 offset:652
	buffer_load_dword v168, off, s[0:3], 0 offset:628
	;; [unrolled: 1-line block ×3, first 2 shown]
	ds_read_b128 v[5:8], v198 offset:1440
	s_waitcnt vmcnt(58) lgkmcnt(1)
	v_mul_f64 v[183:184], v[139:140], v[193:194]
	s_waitcnt vmcnt(56)
	v_fma_f64 v[191:192], v[1:2], v[195:196], -v[190:191]
	v_mul_f64 v[177:178], v[137:138], v[193:194]
	v_add_f64 v[149:150], v[149:150], v[175:176]
	v_fma_f64 v[175:176], v[3:4], v[195:196], v[220:221]
	v_add_f64 v[141:142], v[141:142], v[171:172]
	s_clause 0x4
	buffer_load_dword v172, off, s[0:3], 0 offset:668
	buffer_load_dword v193, off, s[0:3], 0 offset:680
	;; [unrolled: 1-line block ×5, first 2 shown]
	s_waitcnt vmcnt(57) lgkmcnt(0)
	v_mul_f64 v[220:221], v[5:6], v[205:206]
	v_mul_f64 v[205:206], v[7:8], v[205:206]
	s_waitcnt vmcnt(56)
	v_fma_f64 v[183:184], v[137:138], v[185:186], -v[183:184]
	ds_read_b128 v[1:4], v198 offset:1456
	v_fma_f64 v[177:178], v[139:140], v[185:186], v[177:178]
	v_add_f64 v[149:150], v[149:150], v[191:192]
	v_add_f64 v[141:142], v[141:142], v[175:176]
	s_clause 0x2
	buffer_load_dword v194, off, s[0:3], 0 offset:684
	buffer_load_dword v176, off, s[0:3], 0 offset:660
	;; [unrolled: 1-line block ×3, first 2 shown]
	ds_read_b128 v[137:140], v198 offset:1472
	s_waitcnt vmcnt(58) lgkmcnt(1)
	v_mul_f64 v[191:192], v[3:4], v[207:208]
	v_mul_f64 v[185:186], v[1:2], v[207:208]
	s_waitcnt vmcnt(56)
	v_fma_f64 v[205:206], v[5:6], v[145:146], -v[205:206]
	v_fma_f64 v[145:146], v[7:8], v[145:146], v[220:221]
	v_add_f64 v[149:150], v[149:150], v[183:184]
	v_add_f64 v[141:142], v[141:142], v[177:178]
	s_clause 0x4
	buffer_load_dword v178, off, s[0:3], 0 offset:700
	buffer_load_dword v183, off, s[0:3], 0 offset:712
	;; [unrolled: 1-line block ×5, first 2 shown]
	ds_read_b128 v[5:8], v198 offset:1488
	s_waitcnt vmcnt(57) lgkmcnt(1)
	v_mul_f64 v[220:221], v[137:138], v[143:144]
	v_mul_f64 v[143:144], v[139:140], v[143:144]
	s_waitcnt vmcnt(56)
	v_fma_f64 v[191:192], v[1:2], v[209:210], -v[191:192]
	v_fma_f64 v[185:186], v[3:4], v[209:210], v[185:186]
	v_add_f64 v[149:150], v[149:150], v[205:206]
	v_add_f64 v[141:142], v[141:142], v[145:146]
	s_clause 0x2
	buffer_load_dword v184, off, s[0:3], 0 offset:716
	buffer_load_dword v146, off, s[0:3], 0 offset:692
	buffer_load_dword v145, off, s[0:3], 0 offset:688
	s_waitcnt vmcnt(58) lgkmcnt(0)
	v_mul_f64 v[209:210], v[7:8], v[211:212]
	ds_read_b128 v[1:4], v198 offset:1504
	v_mul_f64 v[205:206], v[5:6], v[211:212]
	s_waitcnt vmcnt(56)
	v_fma_f64 v[143:144], v[137:138], v[201:202], -v[143:144]
	v_add_f64 v[149:150], v[149:150], v[191:192]
	v_fma_f64 v[191:192], v[139:140], v[201:202], v[220:221]
	v_add_f64 v[141:142], v[141:142], v[185:186]
	s_clause 0x4
	buffer_load_dword v186, off, s[0:3], 0 offset:732
	buffer_load_dword v201, off, s[0:3], 0 offset:744
	;; [unrolled: 1-line block ×5, first 2 shown]
	ds_read_b128 v[137:140], v198 offset:1520
	s_waitcnt vmcnt(57) lgkmcnt(1)
	v_mul_f64 v[220:221], v[1:2], v[161:162]
	v_mul_f64 v[161:162], v[3:4], v[161:162]
	s_waitcnt vmcnt(56)
	v_fma_f64 v[209:210], v[5:6], v[216:217], -v[209:210]
	v_add_f64 v[143:144], v[149:150], v[143:144]
	v_fma_f64 v[149:150], v[7:8], v[216:217], v[205:206]
	v_add_f64 v[141:142], v[141:142], v[191:192]
	s_clause 0x2
	buffer_load_dword v202, off, s[0:3], 0 offset:748
	buffer_load_dword v192, off, s[0:3], 0 offset:724
	;; [unrolled: 1-line block ×3, first 2 shown]
	ds_read_b128 v[5:8], v198 offset:1536
	s_waitcnt vmcnt(58) lgkmcnt(1)
	v_mul_f64 v[205:206], v[137:138], v[203:204]
	v_mul_f64 v[203:204], v[139:140], v[203:204]
	s_waitcnt vmcnt(56)
	v_fma_f64 v[161:162], v[1:2], v[155:156], -v[161:162]
	v_fma_f64 v[155:156], v[3:4], v[155:156], v[220:221]
	v_add_f64 v[143:144], v[143:144], v[209:210]
	v_add_f64 v[141:142], v[141:142], v[149:150]
	s_clause 0x4
	buffer_load_dword v150, off, s[0:3], 0 offset:764
	buffer_load_dword v209, off, s[0:3], 0 offset:776
	;; [unrolled: 1-line block ×5, first 2 shown]
	ds_read_b128 v[1:4], v198 offset:1552
	s_waitcnt vmcnt(57) lgkmcnt(1)
	v_mul_f64 v[216:217], v[5:6], v[147:148]
	v_mul_f64 v[147:148], v[7:8], v[147:148]
	s_waitcnt vmcnt(56)
	v_fma_f64 v[203:204], v[137:138], v[218:219], -v[203:204]
	v_add_f64 v[143:144], v[143:144], v[161:162]
	v_fma_f64 v[161:162], v[139:140], v[218:219], v[205:206]
	v_add_f64 v[141:142], v[141:142], v[155:156]
	s_clause 0x2
	buffer_load_dword v210, off, s[0:3], 0 offset:780
	buffer_load_dword v156, off, s[0:3], 0 offset:756
	;; [unrolled: 1-line block ×3, first 2 shown]
	ds_read_b128 v[137:140], v198 offset:1568
	s_waitcnt vmcnt(58) lgkmcnt(1)
	v_mul_f64 v[205:206], v[1:2], v[165:166]
	v_mul_f64 v[165:166], v[3:4], v[165:166]
	s_waitcnt vmcnt(56)
	v_fma_f64 v[147:148], v[5:6], v[153:154], -v[147:148]
	v_fma_f64 v[153:154], v[7:8], v[153:154], v[216:217]
	v_add_f64 v[143:144], v[143:144], v[203:204]
	v_add_f64 v[141:142], v[141:142], v[161:162]
	s_clause 0x4
	buffer_load_dword v162, off, s[0:3], 0 offset:796
	buffer_load_dword v203, off, s[0:3], 0 offset:808
	;; [unrolled: 1-line block ×5, first 2 shown]
	ds_read_b128 v[5:8], v198 offset:1584
	s_waitcnt vmcnt(57) lgkmcnt(1)
	v_mul_f64 v[218:219], v[137:138], v[151:152]
	v_mul_f64 v[151:152], v[139:140], v[151:152]
	s_waitcnt vmcnt(56)
	v_fma_f64 v[165:166], v[1:2], v[213:214], -v[165:166]
	v_add_f64 v[143:144], v[143:144], v[147:148]
	v_fma_f64 v[147:148], v[3:4], v[213:214], v[205:206]
	v_add_f64 v[141:142], v[141:142], v[153:154]
	s_clause 0x2
	buffer_load_dword v204, off, s[0:3], 0 offset:812
	buffer_load_dword v154, off, s[0:3], 0 offset:788
	;; [unrolled: 1-line block ×3, first 2 shown]
	s_waitcnt vmcnt(58) lgkmcnt(0)
	v_mul_f64 v[205:206], v[5:6], v[173:174]
	v_mul_f64 v[173:174], v[7:8], v[173:174]
	ds_read_b128 v[1:4], v198 offset:1600
	s_waitcnt vmcnt(56)
	v_fma_f64 v[151:152], v[137:138], v[159:160], -v[151:152]
	v_fma_f64 v[159:160], v[139:140], v[159:160], v[218:219]
	v_add_f64 v[143:144], v[143:144], v[165:166]
	v_add_f64 v[141:142], v[141:142], v[147:148]
	s_clause 0x4
	buffer_load_dword v148, off, s[0:3], 0 offset:828
	buffer_load_dword v165, off, s[0:3], 0 offset:840
	;; [unrolled: 1-line block ×5, first 2 shown]
	ds_read_b128 v[137:140], v198 offset:1616
	s_waitcnt vmcnt(57) lgkmcnt(1)
	v_mul_f64 v[219:220], v[1:2], v[157:158]
	v_mul_f64 v[157:158], v[3:4], v[157:158]
	s_waitcnt vmcnt(56)
	v_fma_f64 v[173:174], v[5:6], v[199:200], -v[173:174]
	v_add_f64 v[143:144], v[143:144], v[151:152]
	v_fma_f64 v[151:152], v[7:8], v[199:200], v[205:206]
	v_add_f64 v[141:142], v[141:142], v[159:160]
	s_clause 0x2
	buffer_load_dword v166, off, s[0:3], 0 offset:844
	buffer_load_dword v160, off, s[0:3], 0 offset:820
	;; [unrolled: 1-line block ×3, first 2 shown]
	s_waitcnt vmcnt(58) lgkmcnt(0)
	v_mul_f64 v[199:200], v[137:138], v[179:180]
	v_mul_f64 v[179:180], v[139:140], v[179:180]
	ds_read_b128 v[5:8], v198 offset:1632
	s_waitcnt vmcnt(56)
	v_fma_f64 v[157:158], v[1:2], v[169:170], -v[157:158]
	v_fma_f64 v[169:170], v[3:4], v[169:170], v[219:220]
	v_add_f64 v[143:144], v[143:144], v[173:174]
	v_add_f64 v[141:142], v[141:142], v[151:152]
	s_clause 0x4
	buffer_load_dword v152, off, s[0:3], 0 offset:860
	buffer_load_dword v173, off, s[0:3], 0 offset:872
	buffer_load_dword v205, off, s[0:3], 0 offset:864
	buffer_load_dword v151, off, s[0:3], 0 offset:856
	buffer_load_dword v214, off, s[0:3], 0 offset:836
	ds_read_b128 v[1:4], v198 offset:1648
	s_waitcnt vmcnt(57) lgkmcnt(1)
	v_mul_f64 v[219:220], v[5:6], v[163:164]
	v_mul_f64 v[163:164], v[7:8], v[163:164]
	s_waitcnt vmcnt(56)
	v_fma_f64 v[179:180], v[137:138], v[181:182], -v[179:180]
	v_add_f64 v[143:144], v[143:144], v[157:158]
	v_fma_f64 v[157:158], v[139:140], v[181:182], v[199:200]
	v_add_f64 v[141:142], v[141:142], v[169:170]
	s_clause 0x2
	buffer_load_dword v174, off, s[0:3], 0 offset:876
	buffer_load_dword v170, off, s[0:3], 0 offset:852
	buffer_load_dword v169, off, s[0:3], 0 offset:848
	ds_read_b128 v[137:140], v198 offset:1664
	s_waitcnt vmcnt(58) lgkmcnt(1)
	v_mul_f64 v[181:182], v[1:2], v[187:188]
	v_mul_f64 v[187:188], v[3:4], v[187:188]
	s_waitcnt vmcnt(56)
	v_fma_f64 v[163:164], v[5:6], v[167:168], -v[163:164]
	v_fma_f64 v[167:168], v[7:8], v[167:168], v[219:220]
	v_add_f64 v[143:144], v[143:144], v[179:180]
	v_add_f64 v[141:142], v[141:142], v[157:158]
	s_clause 0x4
	buffer_load_dword v158, off, s[0:3], 0 offset:892
	buffer_load_dword v179, off, s[0:3], 0 offset:904
	buffer_load_dword v199, off, s[0:3], 0 offset:896
	buffer_load_dword v157, off, s[0:3], 0 offset:888
	buffer_load_dword v206, off, s[0:3], 0 offset:868
	ds_read_b128 v[5:8], v198 offset:1680
	s_waitcnt vmcnt(57) lgkmcnt(1)
	v_mul_f64 v[219:220], v[137:138], v[171:172]
	v_mul_f64 v[171:172], v[139:140], v[171:172]
	s_waitcnt vmcnt(56)
	v_fma_f64 v[187:188], v[1:2], v[189:190], -v[187:188]
	v_add_f64 v[143:144], v[143:144], v[163:164]
	v_fma_f64 v[163:164], v[3:4], v[189:190], v[181:182]
	v_add_f64 v[141:142], v[141:142], v[167:168]
	s_clause 0x2
	buffer_load_dword v180, off, s[0:3], 0 offset:908
	buffer_load_dword v168, off, s[0:3], 0 offset:884
	buffer_load_dword v167, off, s[0:3], 0 offset:880
	ds_read_b128 v[1:4], v198 offset:1696
	s_waitcnt vmcnt(58) lgkmcnt(1)
	v_mul_f64 v[189:190], v[7:8], v[193:194]
	v_mul_f64 v[181:182], v[5:6], v[193:194]
	;; [unrolled: 28-line block ×4, first 2 shown]
	s_waitcnt vmcnt(56)
	v_fma_f64 v[185:186], v[5:6], v[191:192], -v[185:186]
	v_add_f64 v[143:144], v[143:144], v[183:184]
	v_fma_f64 v[183:184], v[7:8], v[191:192], v[219:220]
	v_add_f64 v[141:142], v[141:142], v[177:178]
	s_clause 0x4
	buffer_load_dword v178, off, s[0:3], 0 offset:988
	buffer_load_dword v191, off, s[0:3], 0 offset:1000
	;; [unrolled: 1-line block ×5, first 2 shown]
	ds_read_b128 v[5:8], v198 offset:1776
	s_waitcnt vmcnt(57) lgkmcnt(1)
	v_mul_f64 v[219:220], v[137:138], v[149:150]
	v_mul_f64 v[149:150], v[139:140], v[149:150]
	s_waitcnt vmcnt(56)
	v_fma_f64 v[201:202], v[1:2], v[211:212], -v[201:202]
	v_fma_f64 v[181:182], v[3:4], v[211:212], v[181:182]
	v_add_f64 v[143:144], v[143:144], v[185:186]
	v_add_f64 v[141:142], v[141:142], v[183:184]
	s_clause 0x2
	buffer_load_dword v192, off, s[0:3], 0 offset:1004
	buffer_load_dword v184, off, s[0:3], 0 offset:980
	;; [unrolled: 1-line block ×3, first 2 shown]
	ds_read_b128 v[1:4], v198 offset:1792
	s_waitcnt vmcnt(58) lgkmcnt(1)
	v_mul_f64 v[185:186], v[5:6], v[209:210]
	v_mul_f64 v[209:210], v[7:8], v[209:210]
	s_waitcnt vmcnt(56)
	v_fma_f64 v[149:150], v[137:138], v[155:156], -v[149:150]
	v_fma_f64 v[155:156], v[139:140], v[155:156], v[219:220]
	v_add_f64 v[143:144], v[143:144], v[201:202]
	v_add_f64 v[141:142], v[141:142], v[181:182]
	s_clause 0x4
	buffer_load_dword v182, off, s[0:3], 0 offset:1020
	buffer_load_dword v201, off, s[0:3], 0 offset:1032
	;; [unrolled: 1-line block ×5, first 2 shown]
	ds_read_b128 v[137:140], v198 offset:1808
	s_waitcnt vmcnt(57) lgkmcnt(1)
	v_mul_f64 v[219:220], v[1:2], v[161:162]
	v_mul_f64 v[161:162], v[3:4], v[161:162]
	s_waitcnt vmcnt(56)
	v_fma_f64 v[209:210], v[5:6], v[215:216], -v[209:210]
	v_add_f64 v[143:144], v[143:144], v[149:150]
	v_fma_f64 v[149:150], v[7:8], v[215:216], v[185:186]
	v_add_f64 v[141:142], v[141:142], v[155:156]
	s_clause 0x2
	buffer_load_dword v202, off, s[0:3], 0 offset:1036
	buffer_load_dword v156, off, s[0:3], 0 offset:1012
	;; [unrolled: 1-line block ×3, first 2 shown]
	ds_read_b128 v[5:8], v198 offset:1824
	buffer_load_dword v212, off, s[0:3], 0 offset:1028
	s_waitcnt vmcnt(59) lgkmcnt(1)
	v_mul_f64 v[185:186], v[137:138], v[203:204]
	v_mul_f64 v[203:204], v[139:140], v[203:204]
	s_waitcnt vmcnt(57)
	v_fma_f64 v[161:162], v[1:2], v[153:154], -v[161:162]
	v_fma_f64 v[153:154], v[3:4], v[153:154], v[219:220]
	ds_read_b128 v[1:4], v198 offset:1840
	v_add_f64 v[143:144], v[143:144], v[209:210]
	v_add_f64 v[141:142], v[141:142], v[149:150]
	s_waitcnt vmcnt(53) lgkmcnt(1)
	v_mul_f64 v[149:150], v[5:6], v[147:148]
	v_mul_f64 v[147:148], v[7:8], v[147:148]
	s_waitcnt vmcnt(52)
	v_fma_f64 v[203:204], v[137:138], v[217:218], -v[203:204]
	v_add_f64 v[143:144], v[143:144], v[161:162]
	v_fma_f64 v[161:162], v[139:140], v[217:218], v[185:186]
	v_add_f64 v[141:142], v[141:142], v[153:154]
	ds_read_b128 v[137:140], v198 offset:1856
	s_waitcnt vmcnt(51) lgkmcnt(1)
	v_mul_f64 v[153:154], v[1:2], v[165:166]
	v_mul_f64 v[165:166], v[3:4], v[165:166]
	s_waitcnt vmcnt(49)
	v_fma_f64 v[147:148], v[5:6], v[159:160], -v[147:148]
	v_fma_f64 v[149:150], v[7:8], v[159:160], v[149:150]
	v_add_f64 v[143:144], v[143:144], v[203:204]
	v_add_f64 v[141:142], v[141:142], v[161:162]
	s_clause 0x3
	buffer_load_dword v159, off, s[0:3], 0 offset:176
	buffer_load_dword v160, off, s[0:3], 0 offset:180
	;; [unrolled: 1-line block ×4, first 2 shown]
	ds_read_b128 v[5:8], v198 offset:1872
	s_waitcnt vmcnt(49) lgkmcnt(1)
	v_mul_f64 v[185:186], v[137:138], v[151:152]
	v_mul_f64 v[151:152], v[139:140], v[151:152]
	s_waitcnt vmcnt(48)
	v_fma_f64 v[165:166], v[1:2], v[213:214], -v[165:166]
	v_add_f64 v[143:144], v[143:144], v[147:148]
	v_fma_f64 v[147:148], v[3:4], v[213:214], v[153:154]
	v_add_f64 v[141:142], v[141:142], v[149:150]
	ds_read_b128 v[1:4], v198 offset:1888
	s_waitcnt vmcnt(47) lgkmcnt(1)
	v_mul_f64 v[153:154], v[7:8], v[173:174]
	v_mul_f64 v[149:150], v[5:6], v[173:174]
	s_waitcnt vmcnt(45)
	v_fma_f64 v[151:152], v[137:138], v[169:170], -v[151:152]
	v_add_f64 v[143:144], v[143:144], v[165:166]
	v_fma_f64 v[165:166], v[139:140], v[169:170], v[185:186]
	v_add_f64 v[141:142], v[141:142], v[147:148]
	ds_read_b128 v[137:140], v198 offset:1904
	s_waitcnt vmcnt(41) lgkmcnt(1)
	v_mul_f64 v[147:148], v[1:2], v[157:158]
	v_mul_f64 v[157:158], v[3:4], v[157:158]
	s_waitcnt vmcnt(40)
	v_fma_f64 v[153:154], v[5:6], v[205:206], -v[153:154]
	v_fma_f64 v[149:150], v[7:8], v[205:206], v[149:150]
	ds_read_b128 v[5:8], v198 offset:1920
	v_add_f64 v[143:144], v[143:144], v[151:152]
	v_add_f64 v[141:142], v[141:142], v[165:166]
	s_waitcnt vmcnt(39) lgkmcnt(1)
	v_mul_f64 v[165:166], v[139:140], v[179:180]
	v_mul_f64 v[151:152], v[137:138], v[179:180]
	s_waitcnt vmcnt(37)
	v_fma_f64 v[157:158], v[1:2], v[167:168], -v[157:158]
	v_fma_f64 v[147:148], v[3:4], v[167:168], v[147:148]
	ds_read_b128 v[1:4], v198 offset:1936
	v_add_f64 v[143:144], v[143:144], v[153:154]
	v_add_f64 v[141:142], v[141:142], v[149:150]
	;; [unrolled: 9-line block ×4, first 2 shown]
	s_waitcnt vmcnt(25) lgkmcnt(1)
	v_mul_f64 v[163:164], v[139:140], v[171:172]
	s_waitcnt vmcnt(24)
	v_fma_f64 v[157:158], v[1:2], v[193:194], -v[157:158]
	v_mul_f64 v[151:152], v[137:138], v[171:172]
	v_fma_f64 v[147:148], v[3:4], v[193:194], v[147:148]
	ds_read_b128 v[1:4], v198 offset:1984
	v_add_f64 v[143:144], v[143:144], v[153:154]
	v_add_f64 v[141:142], v[141:142], v[149:150]
	s_waitcnt vmcnt(23) lgkmcnt(1)
	v_mul_f64 v[153:154], v[7:8], v[189:190]
	v_mul_f64 v[149:150], v[5:6], v[189:190]
	s_waitcnt vmcnt(21)
	v_fma_f64 v[163:164], v[137:138], v[145:146], -v[163:164]
	v_fma_f64 v[145:146], v[139:140], v[145:146], v[151:152]
	ds_read_b128 v[137:140], v198 offset:2000
	v_add_f64 v[143:144], v[143:144], v[157:158]
	v_add_f64 v[141:142], v[141:142], v[147:148]
	s_waitcnt vmcnt(17) lgkmcnt(1)
	v_mul_f64 v[151:152], v[3:4], v[177:178]
	s_waitcnt vmcnt(16)
	v_fma_f64 v[153:154], v[5:6], v[195:196], -v[153:154]
	v_mul_f64 v[147:148], v[1:2], v[177:178]
	v_fma_f64 v[149:150], v[7:8], v[195:196], v[149:150]
	ds_read_b128 v[5:8], v198 offset:2016
	v_add_f64 v[143:144], v[143:144], v[163:164]
	v_add_f64 v[141:142], v[141:142], v[145:146]
	s_waitcnt vmcnt(15) lgkmcnt(1)
	v_mul_f64 v[157:158], v[139:140], v[191:192]
	v_mul_f64 v[145:146], v[137:138], v[191:192]
	s_waitcnt vmcnt(13)
	v_fma_f64 v[151:152], v[1:2], v[183:184], -v[151:152]
	v_fma_f64 v[147:148], v[3:4], v[183:184], v[147:148]
	ds_read_b128 v[1:4], v198 offset:2032
	v_add_f64 v[143:144], v[143:144], v[153:154]
	v_add_f64 v[141:142], v[141:142], v[149:150]
	s_waitcnt vmcnt(9) lgkmcnt(1)
	v_mul_f64 v[153:154], v[7:8], v[181:182]
	s_waitcnt vmcnt(8)
	v_fma_f64 v[137:138], v[137:138], v[207:208], -v[157:158]
	v_mul_f64 v[149:150], v[5:6], v[181:182]
	v_fma_f64 v[139:140], v[139:140], v[207:208], v[145:146]
	v_add_f64 v[143:144], v[143:144], v[151:152]
	v_add_f64 v[141:142], v[141:142], v[147:148]
	s_waitcnt vmcnt(7) lgkmcnt(0)
	v_mul_f64 v[147:148], v[3:4], v[201:202]
	v_mul_f64 v[145:146], v[1:2], v[201:202]
	s_waitcnt vmcnt(5)
	v_fma_f64 v[5:6], v[5:6], v[155:156], -v[153:154]
	v_fma_f64 v[7:8], v[7:8], v[155:156], v[149:150]
	v_add_f64 v[137:138], v[143:144], v[137:138]
	v_add_f64 v[139:140], v[141:142], v[139:140]
	s_waitcnt vmcnt(4)
	v_fma_f64 v[1:2], v[1:2], v[211:212], -v[147:148]
	v_fma_f64 v[3:4], v[3:4], v[211:212], v[145:146]
	v_add_f64 v[5:6], v[137:138], v[5:6]
	v_add_f64 v[7:8], v[139:140], v[7:8]
	;; [unrolled: 1-line block ×4, first 2 shown]
	s_waitcnt vmcnt(2)
	v_add_f64 v[1:2], v[159:160], -v[1:2]
	s_waitcnt vmcnt(0)
	v_add_f64 v[3:4], v[161:162], -v[3:4]
	buffer_store_dword v2, off, s[0:3], 0 offset:180
	buffer_store_dword v1, off, s[0:3], 0 offset:176
	;; [unrolled: 1-line block ×4, first 2 shown]
	v_cmpx_lt_u32_e32 9, v0
	s_cbranch_execz .LBB127_391
; %bb.390:
	v_mov_b32_e32 v4, s69
	s_clause 0x3
	buffer_load_dword v1, v4, s[0:3], 0 offen
	buffer_load_dword v2, v4, s[0:3], 0 offen offset:4
	buffer_load_dword v3, v4, s[0:3], 0 offen offset:8
	;; [unrolled: 1-line block ×3, first 2 shown]
	buffer_store_dword v198, off, s[0:3], 0 offset:160
	buffer_store_dword v198, off, s[0:3], 0 offset:164
	;; [unrolled: 1-line block ×4, first 2 shown]
	s_waitcnt vmcnt(0)
	ds_write_b128 v197, v[1:4]
.LBB127_391:
	s_or_b32 exec_lo, exec_lo, s4
	s_waitcnt lgkmcnt(0)
	s_waitcnt_vscnt null, 0x0
	s_barrier
	buffer_gl0_inv
	s_clause 0x37
	buffer_load_dword v145, off, s[0:3], 0 offset:184
	buffer_load_dword v146, off, s[0:3], 0 offset:188
	;; [unrolled: 1-line block ×56, first 2 shown]
	ds_read_b128 v[5:8], v198 offset:1184
	s_clause 0x2
	buffer_load_dword v194, off, s[0:3], 0 offset:412
	buffer_load_dword v196, off, s[0:3], 0 offset:388
	;; [unrolled: 1-line block ×3, first 2 shown]
	ds_read_b128 v[1:4], v198 offset:1200
	s_clause 0x4
	buffer_load_dword v206, off, s[0:3], 0 offset:428
	buffer_load_dword v207, off, s[0:3], 0 offset:440
	;; [unrolled: 1-line block ×5, first 2 shown]
	ds_read_b128 v[199:202], v198 offset:1216
	s_mov_b32 s4, exec_lo
	s_waitcnt vmcnt(62) lgkmcnt(2)
	v_mul_f64 v[203:204], v[7:8], v[145:146]
	v_mul_f64 v[145:146], v[5:6], v[145:146]
	s_waitcnt vmcnt(60) lgkmcnt(1)
	v_mul_f64 v[210:211], v[3:4], v[141:142]
	v_mul_f64 v[141:142], v[1:2], v[141:142]
	;; [unrolled: 3-line block ×3, first 2 shown]
	v_fma_f64 v[203:204], v[5:6], v[143:144], -v[203:204]
	v_fma_f64 v[143:144], v[7:8], v[143:144], v[145:146]
	s_clause 0x2
	buffer_load_dword v208, off, s[0:3], 0 offset:444
	buffer_load_dword v146, off, s[0:3], 0 offset:420
	;; [unrolled: 1-line block ×3, first 2 shown]
	s_waitcnt vmcnt(57)
	v_fma_f64 v[214:215], v[1:2], v[137:138], -v[210:211]
	ds_read_b128 v[5:8], v198 offset:1232
	v_fma_f64 v[137:138], v[3:4], v[137:138], v[141:142]
	s_waitcnt vmcnt(51)
	v_fma_f64 v[199:200], v[199:200], v[161:162], -v[139:140]
	v_fma_f64 v[161:162], v[201:202], v[161:162], v[212:213]
	v_add_f64 v[203:204], v[203:204], 0
	v_add_f64 v[141:142], v[143:144], 0
	s_clause 0x4
	buffer_load_dword v144, off, s[0:3], 0 offset:460
	buffer_load_dword v211, off, s[0:3], 0 offset:472
	;; [unrolled: 1-line block ×5, first 2 shown]
	s_waitcnt lgkmcnt(0)
	v_mul_f64 v[217:218], v[5:6], v[149:150]
	v_mul_f64 v[149:150], v[7:8], v[149:150]
	ds_read_b128 v[1:4], v198 offset:1248
	s_clause 0x2
	buffer_load_dword v212, off, s[0:3], 0 offset:476
	buffer_load_dword v202, off, s[0:3], 0 offset:452
	;; [unrolled: 1-line block ×3, first 2 shown]
	v_add_f64 v[203:204], v[203:204], v[214:215]
	v_add_f64 v[141:142], v[141:142], v[137:138]
	ds_read_b128 v[137:140], v198 offset:1264
	s_waitcnt vmcnt(58) lgkmcnt(1)
	v_mul_f64 v[213:214], v[1:2], v[153:154]
	v_mul_f64 v[153:154], v[3:4], v[153:154]
	s_waitcnt vmcnt(56)
	v_fma_f64 v[149:150], v[5:6], v[155:156], -v[149:150]
	v_fma_f64 v[155:156], v[7:8], v[155:156], v[217:218]
	s_waitcnt vmcnt(52) lgkmcnt(0)
	v_mul_f64 v[219:220], v[137:138], v[157:158]
	v_add_f64 v[199:200], v[203:204], v[199:200]
	v_add_f64 v[141:142], v[141:142], v[161:162]
	s_clause 0x4
	buffer_load_dword v162, off, s[0:3], 0 offset:492
	buffer_load_dword v203, off, s[0:3], 0 offset:504
	;; [unrolled: 1-line block ×5, first 2 shown]
	v_mul_f64 v[157:158], v[139:140], v[157:158]
	s_waitcnt vmcnt(56)
	v_fma_f64 v[153:154], v[1:2], v[147:148], -v[153:154]
	ds_read_b128 v[5:8], v198 offset:1280
	v_fma_f64 v[147:148], v[3:4], v[147:148], v[213:214]
	v_add_f64 v[149:150], v[199:200], v[149:150]
	v_add_f64 v[141:142], v[141:142], v[155:156]
	s_clause 0x2
	buffer_load_dword v204, off, s[0:3], 0 offset:508
	buffer_load_dword v156, off, s[0:3], 0 offset:484
	;; [unrolled: 1-line block ×3, first 2 shown]
	s_waitcnt vmcnt(58) lgkmcnt(0)
	v_mul_f64 v[199:200], v[5:6], v[163:164]
	v_mul_f64 v[163:164], v[7:8], v[163:164]
	s_waitcnt vmcnt(56)
	v_fma_f64 v[157:158], v[137:138], v[165:166], -v[157:158]
	ds_read_b128 v[1:4], v198 offset:1296
	v_add_f64 v[149:150], v[149:150], v[153:154]
	v_fma_f64 v[153:154], v[139:140], v[165:166], v[219:220]
	v_add_f64 v[141:142], v[141:142], v[147:148]
	s_clause 0x4
	buffer_load_dword v148, off, s[0:3], 0 offset:524
	buffer_load_dword v165, off, s[0:3], 0 offset:536
	;; [unrolled: 1-line block ×5, first 2 shown]
	s_waitcnt vmcnt(57) lgkmcnt(0)
	v_mul_f64 v[214:215], v[1:2], v[167:168]
	v_mul_f64 v[167:168], v[3:4], v[167:168]
	s_waitcnt vmcnt(56)
	v_fma_f64 v[163:164], v[5:6], v[151:152], -v[163:164]
	ds_read_b128 v[137:140], v198 offset:1312
	v_fma_f64 v[151:152], v[7:8], v[151:152], v[199:200]
	v_add_f64 v[149:150], v[149:150], v[157:158]
	v_add_f64 v[141:142], v[141:142], v[153:154]
	s_clause 0x2
	buffer_load_dword v166, off, s[0:3], 0 offset:540
	buffer_load_dword v154, off, s[0:3], 0 offset:516
	;; [unrolled: 1-line block ×3, first 2 shown]
	ds_read_b128 v[5:8], v198 offset:1328
	s_waitcnt vmcnt(58) lgkmcnt(1)
	v_mul_f64 v[157:158], v[137:138], v[171:172]
	v_mul_f64 v[171:172], v[139:140], v[171:172]
	s_waitcnt vmcnt(56)
	v_fma_f64 v[167:168], v[1:2], v[173:174], -v[167:168]
	v_add_f64 v[149:150], v[149:150], v[163:164]
	v_fma_f64 v[163:164], v[3:4], v[173:174], v[214:215]
	v_add_f64 v[141:142], v[141:142], v[151:152]
	s_clause 0x4
	buffer_load_dword v152, off, s[0:3], 0 offset:556
	buffer_load_dword v173, off, s[0:3], 0 offset:568
	;; [unrolled: 1-line block ×5, first 2 shown]
	s_waitcnt vmcnt(57) lgkmcnt(0)
	v_mul_f64 v[220:221], v[5:6], v[175:176]
	v_mul_f64 v[175:176], v[7:8], v[175:176]
	s_waitcnt vmcnt(56)
	v_fma_f64 v[171:172], v[137:138], v[159:160], -v[171:172]
	ds_read_b128 v[1:4], v198 offset:1344
	v_fma_f64 v[157:158], v[139:140], v[159:160], v[157:158]
	s_clause 0x2
	buffer_load_dword v174, off, s[0:3], 0 offset:572
	buffer_load_dword v160, off, s[0:3], 0 offset:548
	;; [unrolled: 1-line block ×3, first 2 shown]
	ds_read_b128 v[137:140], v198 offset:1360
	v_add_f64 v[149:150], v[149:150], v[167:168]
	v_add_f64 v[141:142], v[141:142], v[163:164]
	s_waitcnt vmcnt(58) lgkmcnt(1)
	v_mul_f64 v[167:168], v[3:4], v[179:180]
	s_waitcnt vmcnt(56)
	v_fma_f64 v[175:176], v[5:6], v[181:182], -v[175:176]
	v_mul_f64 v[163:164], v[1:2], v[179:180]
	v_add_f64 v[149:150], v[149:150], v[171:172]
	v_fma_f64 v[171:172], v[7:8], v[181:182], v[220:221]
	v_add_f64 v[141:142], v[141:142], v[157:158]
	s_clause 0x4
	buffer_load_dword v158, off, s[0:3], 0 offset:588
	buffer_load_dword v179, off, s[0:3], 0 offset:600
	;; [unrolled: 1-line block ×5, first 2 shown]
	s_waitcnt vmcnt(57) lgkmcnt(0)
	v_mul_f64 v[220:221], v[137:138], v[183:184]
	v_mul_f64 v[182:183], v[139:140], v[183:184]
	s_waitcnt vmcnt(56)
	v_fma_f64 v[167:168], v[1:2], v[169:170], -v[167:168]
	ds_read_b128 v[5:8], v198 offset:1376
	v_fma_f64 v[163:164], v[3:4], v[169:170], v[163:164]
	s_clause 0x2
	buffer_load_dword v180, off, s[0:3], 0 offset:604
	buffer_load_dword v170, off, s[0:3], 0 offset:580
	;; [unrolled: 1-line block ×3, first 2 shown]
	ds_read_b128 v[1:4], v198 offset:1392
	v_add_f64 v[149:150], v[149:150], v[175:176]
	v_add_f64 v[141:142], v[141:142], v[171:172]
	s_waitcnt vmcnt(58) lgkmcnt(1)
	v_mul_f64 v[175:176], v[7:8], v[187:188]
	s_waitcnt vmcnt(56)
	v_fma_f64 v[183:184], v[137:138], v[189:190], -v[182:183]
	v_mul_f64 v[171:172], v[5:6], v[187:188]
	v_add_f64 v[149:150], v[149:150], v[167:168]
	v_fma_f64 v[167:168], v[139:140], v[189:190], v[220:221]
	v_add_f64 v[141:142], v[141:142], v[163:164]
	s_clause 0x4
	buffer_load_dword v164, off, s[0:3], 0 offset:620
	buffer_load_dword v187, off, s[0:3], 0 offset:632
	buffer_load_dword v189, off, s[0:3], 0 offset:624
	buffer_load_dword v163, off, s[0:3], 0 offset:616
	buffer_load_dword v182, off, s[0:3], 0 offset:596
	s_waitcnt vmcnt(57) lgkmcnt(0)
	v_mul_f64 v[220:221], v[1:2], v[191:192]
	v_mul_f64 v[190:191], v[3:4], v[191:192]
	s_waitcnt vmcnt(56)
	v_fma_f64 v[175:176], v[5:6], v[177:178], -v[175:176]
	ds_read_b128 v[137:140], v198 offset:1408
	v_fma_f64 v[171:172], v[7:8], v[177:178], v[171:172]
	v_add_f64 v[149:150], v[149:150], v[183:184]
	v_add_f64 v[141:142], v[141:142], v[167:168]
	s_clause 0x2
	buffer_load_dword v188, off, s[0:3], 0 offset:636
	buffer_load_dword v168, off, s[0:3], 0 offset:612
	;; [unrolled: 1-line block ×3, first 2 shown]
	ds_read_b128 v[5:8], v198 offset:1424
	s_waitcnt vmcnt(58) lgkmcnt(1)
	v_mul_f64 v[183:184], v[139:140], v[193:194]
	s_waitcnt vmcnt(56)
	v_fma_f64 v[191:192], v[1:2], v[195:196], -v[190:191]
	v_mul_f64 v[177:178], v[137:138], v[193:194]
	v_add_f64 v[149:150], v[149:150], v[175:176]
	v_fma_f64 v[175:176], v[3:4], v[195:196], v[220:221]
	v_add_f64 v[141:142], v[141:142], v[171:172]
	s_clause 0x4
	buffer_load_dword v172, off, s[0:3], 0 offset:652
	buffer_load_dword v193, off, s[0:3], 0 offset:664
	;; [unrolled: 1-line block ×5, first 2 shown]
	s_waitcnt vmcnt(57) lgkmcnt(0)
	v_mul_f64 v[220:221], v[5:6], v[205:206]
	v_mul_f64 v[205:206], v[7:8], v[205:206]
	s_waitcnt vmcnt(56)
	v_fma_f64 v[183:184], v[137:138], v[185:186], -v[183:184]
	ds_read_b128 v[1:4], v198 offset:1440
	v_fma_f64 v[177:178], v[139:140], v[185:186], v[177:178]
	v_add_f64 v[149:150], v[149:150], v[191:192]
	v_add_f64 v[141:142], v[141:142], v[175:176]
	s_clause 0x2
	buffer_load_dword v194, off, s[0:3], 0 offset:668
	buffer_load_dword v176, off, s[0:3], 0 offset:644
	;; [unrolled: 1-line block ×3, first 2 shown]
	ds_read_b128 v[137:140], v198 offset:1456
	s_waitcnt vmcnt(58) lgkmcnt(1)
	v_mul_f64 v[191:192], v[3:4], v[207:208]
	v_mul_f64 v[185:186], v[1:2], v[207:208]
	s_waitcnt vmcnt(56)
	v_fma_f64 v[205:206], v[5:6], v[145:146], -v[205:206]
	v_fma_f64 v[145:146], v[7:8], v[145:146], v[220:221]
	v_add_f64 v[149:150], v[149:150], v[183:184]
	v_add_f64 v[141:142], v[141:142], v[177:178]
	s_clause 0x4
	buffer_load_dword v178, off, s[0:3], 0 offset:684
	buffer_load_dword v183, off, s[0:3], 0 offset:696
	;; [unrolled: 1-line block ×5, first 2 shown]
	ds_read_b128 v[5:8], v198 offset:1472
	s_waitcnt vmcnt(57) lgkmcnt(1)
	v_mul_f64 v[220:221], v[137:138], v[143:144]
	v_mul_f64 v[143:144], v[139:140], v[143:144]
	s_waitcnt vmcnt(56)
	v_fma_f64 v[191:192], v[1:2], v[209:210], -v[191:192]
	v_fma_f64 v[185:186], v[3:4], v[209:210], v[185:186]
	v_add_f64 v[149:150], v[149:150], v[205:206]
	v_add_f64 v[141:142], v[141:142], v[145:146]
	s_clause 0x2
	buffer_load_dword v184, off, s[0:3], 0 offset:700
	buffer_load_dword v146, off, s[0:3], 0 offset:676
	;; [unrolled: 1-line block ×3, first 2 shown]
	s_waitcnt vmcnt(58) lgkmcnt(0)
	v_mul_f64 v[209:210], v[7:8], v[211:212]
	ds_read_b128 v[1:4], v198 offset:1488
	v_mul_f64 v[205:206], v[5:6], v[211:212]
	s_waitcnt vmcnt(56)
	v_fma_f64 v[143:144], v[137:138], v[201:202], -v[143:144]
	v_add_f64 v[149:150], v[149:150], v[191:192]
	v_fma_f64 v[191:192], v[139:140], v[201:202], v[220:221]
	v_add_f64 v[141:142], v[141:142], v[185:186]
	s_clause 0x4
	buffer_load_dword v186, off, s[0:3], 0 offset:716
	buffer_load_dword v201, off, s[0:3], 0 offset:728
	buffer_load_dword v211, off, s[0:3], 0 offset:720
	buffer_load_dword v185, off, s[0:3], 0 offset:712
	buffer_load_dword v208, off, s[0:3], 0 offset:692
	ds_read_b128 v[137:140], v198 offset:1504
	s_waitcnt vmcnt(57) lgkmcnt(1)
	v_mul_f64 v[220:221], v[1:2], v[161:162]
	v_mul_f64 v[161:162], v[3:4], v[161:162]
	s_waitcnt vmcnt(56)
	v_fma_f64 v[209:210], v[5:6], v[216:217], -v[209:210]
	v_add_f64 v[143:144], v[149:150], v[143:144]
	v_fma_f64 v[149:150], v[7:8], v[216:217], v[205:206]
	v_add_f64 v[141:142], v[141:142], v[191:192]
	s_clause 0x2
	buffer_load_dword v202, off, s[0:3], 0 offset:732
	buffer_load_dword v192, off, s[0:3], 0 offset:708
	;; [unrolled: 1-line block ×3, first 2 shown]
	ds_read_b128 v[5:8], v198 offset:1520
	s_waitcnt vmcnt(58) lgkmcnt(1)
	v_mul_f64 v[205:206], v[137:138], v[203:204]
	v_mul_f64 v[203:204], v[139:140], v[203:204]
	s_waitcnt vmcnt(56)
	v_fma_f64 v[161:162], v[1:2], v[155:156], -v[161:162]
	v_fma_f64 v[155:156], v[3:4], v[155:156], v[220:221]
	v_add_f64 v[143:144], v[143:144], v[209:210]
	v_add_f64 v[141:142], v[141:142], v[149:150]
	s_clause 0x4
	buffer_load_dword v150, off, s[0:3], 0 offset:748
	buffer_load_dword v209, off, s[0:3], 0 offset:760
	;; [unrolled: 1-line block ×5, first 2 shown]
	ds_read_b128 v[1:4], v198 offset:1536
	s_waitcnt vmcnt(57) lgkmcnt(1)
	v_mul_f64 v[216:217], v[5:6], v[147:148]
	v_mul_f64 v[147:148], v[7:8], v[147:148]
	s_waitcnt vmcnt(56)
	v_fma_f64 v[203:204], v[137:138], v[218:219], -v[203:204]
	v_add_f64 v[143:144], v[143:144], v[161:162]
	v_fma_f64 v[161:162], v[139:140], v[218:219], v[205:206]
	v_add_f64 v[141:142], v[141:142], v[155:156]
	s_clause 0x2
	buffer_load_dword v210, off, s[0:3], 0 offset:764
	buffer_load_dword v156, off, s[0:3], 0 offset:740
	;; [unrolled: 1-line block ×3, first 2 shown]
	ds_read_b128 v[137:140], v198 offset:1552
	s_waitcnt vmcnt(58) lgkmcnt(1)
	v_mul_f64 v[205:206], v[1:2], v[165:166]
	v_mul_f64 v[165:166], v[3:4], v[165:166]
	s_waitcnt vmcnt(56)
	v_fma_f64 v[147:148], v[5:6], v[153:154], -v[147:148]
	v_fma_f64 v[153:154], v[7:8], v[153:154], v[216:217]
	v_add_f64 v[143:144], v[143:144], v[203:204]
	v_add_f64 v[141:142], v[141:142], v[161:162]
	s_clause 0x4
	buffer_load_dword v162, off, s[0:3], 0 offset:780
	buffer_load_dword v203, off, s[0:3], 0 offset:792
	;; [unrolled: 1-line block ×5, first 2 shown]
	ds_read_b128 v[5:8], v198 offset:1568
	s_waitcnt vmcnt(57) lgkmcnt(1)
	v_mul_f64 v[218:219], v[137:138], v[151:152]
	v_mul_f64 v[151:152], v[139:140], v[151:152]
	s_waitcnt vmcnt(56)
	v_fma_f64 v[165:166], v[1:2], v[213:214], -v[165:166]
	v_add_f64 v[143:144], v[143:144], v[147:148]
	v_fma_f64 v[147:148], v[3:4], v[213:214], v[205:206]
	v_add_f64 v[141:142], v[141:142], v[153:154]
	s_clause 0x2
	buffer_load_dword v204, off, s[0:3], 0 offset:796
	buffer_load_dword v154, off, s[0:3], 0 offset:772
	;; [unrolled: 1-line block ×3, first 2 shown]
	s_waitcnt vmcnt(58) lgkmcnt(0)
	v_mul_f64 v[205:206], v[5:6], v[173:174]
	v_mul_f64 v[173:174], v[7:8], v[173:174]
	ds_read_b128 v[1:4], v198 offset:1584
	s_waitcnt vmcnt(56)
	v_fma_f64 v[151:152], v[137:138], v[159:160], -v[151:152]
	v_fma_f64 v[159:160], v[139:140], v[159:160], v[218:219]
	v_add_f64 v[143:144], v[143:144], v[165:166]
	v_add_f64 v[141:142], v[141:142], v[147:148]
	s_clause 0x4
	buffer_load_dword v148, off, s[0:3], 0 offset:812
	buffer_load_dword v165, off, s[0:3], 0 offset:824
	;; [unrolled: 1-line block ×5, first 2 shown]
	ds_read_b128 v[137:140], v198 offset:1600
	s_waitcnt vmcnt(57) lgkmcnt(1)
	v_mul_f64 v[219:220], v[1:2], v[157:158]
	v_mul_f64 v[157:158], v[3:4], v[157:158]
	s_waitcnt vmcnt(56)
	v_fma_f64 v[173:174], v[5:6], v[199:200], -v[173:174]
	v_add_f64 v[143:144], v[143:144], v[151:152]
	v_fma_f64 v[151:152], v[7:8], v[199:200], v[205:206]
	v_add_f64 v[141:142], v[141:142], v[159:160]
	s_clause 0x2
	buffer_load_dword v166, off, s[0:3], 0 offset:828
	buffer_load_dword v160, off, s[0:3], 0 offset:804
	;; [unrolled: 1-line block ×3, first 2 shown]
	s_waitcnt vmcnt(58) lgkmcnt(0)
	v_mul_f64 v[199:200], v[137:138], v[179:180]
	v_mul_f64 v[179:180], v[139:140], v[179:180]
	ds_read_b128 v[5:8], v198 offset:1616
	s_waitcnt vmcnt(56)
	v_fma_f64 v[157:158], v[1:2], v[169:170], -v[157:158]
	v_fma_f64 v[169:170], v[3:4], v[169:170], v[219:220]
	v_add_f64 v[143:144], v[143:144], v[173:174]
	v_add_f64 v[141:142], v[141:142], v[151:152]
	s_clause 0x4
	buffer_load_dword v152, off, s[0:3], 0 offset:844
	buffer_load_dword v173, off, s[0:3], 0 offset:856
	buffer_load_dword v205, off, s[0:3], 0 offset:848
	buffer_load_dword v151, off, s[0:3], 0 offset:840
	buffer_load_dword v214, off, s[0:3], 0 offset:820
	ds_read_b128 v[1:4], v198 offset:1632
	s_waitcnt vmcnt(57) lgkmcnt(1)
	v_mul_f64 v[219:220], v[5:6], v[163:164]
	v_mul_f64 v[163:164], v[7:8], v[163:164]
	s_waitcnt vmcnt(56)
	v_fma_f64 v[179:180], v[137:138], v[181:182], -v[179:180]
	v_add_f64 v[143:144], v[143:144], v[157:158]
	v_fma_f64 v[157:158], v[139:140], v[181:182], v[199:200]
	v_add_f64 v[141:142], v[141:142], v[169:170]
	s_clause 0x2
	buffer_load_dword v174, off, s[0:3], 0 offset:860
	buffer_load_dword v170, off, s[0:3], 0 offset:836
	buffer_load_dword v169, off, s[0:3], 0 offset:832
	ds_read_b128 v[137:140], v198 offset:1648
	s_waitcnt vmcnt(58) lgkmcnt(1)
	v_mul_f64 v[181:182], v[1:2], v[187:188]
	v_mul_f64 v[187:188], v[3:4], v[187:188]
	s_waitcnt vmcnt(56)
	v_fma_f64 v[163:164], v[5:6], v[167:168], -v[163:164]
	v_fma_f64 v[167:168], v[7:8], v[167:168], v[219:220]
	v_add_f64 v[143:144], v[143:144], v[179:180]
	v_add_f64 v[141:142], v[141:142], v[157:158]
	s_clause 0x4
	buffer_load_dword v158, off, s[0:3], 0 offset:876
	buffer_load_dword v179, off, s[0:3], 0 offset:888
	buffer_load_dword v199, off, s[0:3], 0 offset:880
	buffer_load_dword v157, off, s[0:3], 0 offset:872
	buffer_load_dword v206, off, s[0:3], 0 offset:852
	ds_read_b128 v[5:8], v198 offset:1664
	s_waitcnt vmcnt(57) lgkmcnt(1)
	v_mul_f64 v[219:220], v[137:138], v[171:172]
	v_mul_f64 v[171:172], v[139:140], v[171:172]
	s_waitcnt vmcnt(56)
	v_fma_f64 v[187:188], v[1:2], v[189:190], -v[187:188]
	v_add_f64 v[143:144], v[143:144], v[163:164]
	v_fma_f64 v[163:164], v[3:4], v[189:190], v[181:182]
	v_add_f64 v[141:142], v[141:142], v[167:168]
	s_clause 0x2
	buffer_load_dword v180, off, s[0:3], 0 offset:892
	buffer_load_dword v168, off, s[0:3], 0 offset:868
	buffer_load_dword v167, off, s[0:3], 0 offset:864
	ds_read_b128 v[1:4], v198 offset:1680
	s_waitcnt vmcnt(58) lgkmcnt(1)
	v_mul_f64 v[189:190], v[7:8], v[193:194]
	v_mul_f64 v[181:182], v[5:6], v[193:194]
	;; [unrolled: 28-line block ×4, first 2 shown]
	s_waitcnt vmcnt(56)
	v_fma_f64 v[185:186], v[5:6], v[191:192], -v[185:186]
	v_add_f64 v[143:144], v[143:144], v[183:184]
	v_fma_f64 v[183:184], v[7:8], v[191:192], v[219:220]
	v_add_f64 v[141:142], v[141:142], v[177:178]
	s_clause 0x4
	buffer_load_dword v178, off, s[0:3], 0 offset:972
	buffer_load_dword v191, off, s[0:3], 0 offset:984
	;; [unrolled: 1-line block ×5, first 2 shown]
	ds_read_b128 v[5:8], v198 offset:1760
	s_waitcnt vmcnt(57) lgkmcnt(1)
	v_mul_f64 v[219:220], v[137:138], v[149:150]
	v_mul_f64 v[149:150], v[139:140], v[149:150]
	s_waitcnt vmcnt(56)
	v_fma_f64 v[201:202], v[1:2], v[211:212], -v[201:202]
	v_fma_f64 v[181:182], v[3:4], v[211:212], v[181:182]
	v_add_f64 v[143:144], v[143:144], v[185:186]
	v_add_f64 v[141:142], v[141:142], v[183:184]
	s_clause 0x2
	buffer_load_dword v192, off, s[0:3], 0 offset:988
	buffer_load_dword v184, off, s[0:3], 0 offset:964
	;; [unrolled: 1-line block ×3, first 2 shown]
	ds_read_b128 v[1:4], v198 offset:1776
	s_waitcnt vmcnt(58) lgkmcnt(1)
	v_mul_f64 v[185:186], v[5:6], v[209:210]
	v_mul_f64 v[209:210], v[7:8], v[209:210]
	s_waitcnt vmcnt(56)
	v_fma_f64 v[149:150], v[137:138], v[155:156], -v[149:150]
	v_fma_f64 v[155:156], v[139:140], v[155:156], v[219:220]
	v_add_f64 v[143:144], v[143:144], v[201:202]
	v_add_f64 v[141:142], v[141:142], v[181:182]
	s_clause 0x4
	buffer_load_dword v182, off, s[0:3], 0 offset:1004
	buffer_load_dword v201, off, s[0:3], 0 offset:1016
	;; [unrolled: 1-line block ×5, first 2 shown]
	ds_read_b128 v[137:140], v198 offset:1792
	s_waitcnt vmcnt(57) lgkmcnt(1)
	v_mul_f64 v[219:220], v[1:2], v[161:162]
	v_mul_f64 v[161:162], v[3:4], v[161:162]
	s_waitcnt vmcnt(56)
	v_fma_f64 v[209:210], v[5:6], v[215:216], -v[209:210]
	v_add_f64 v[143:144], v[143:144], v[149:150]
	v_fma_f64 v[149:150], v[7:8], v[215:216], v[185:186]
	v_add_f64 v[141:142], v[141:142], v[155:156]
	s_clause 0x2
	buffer_load_dword v202, off, s[0:3], 0 offset:1020
	buffer_load_dword v156, off, s[0:3], 0 offset:996
	;; [unrolled: 1-line block ×3, first 2 shown]
	ds_read_b128 v[5:8], v198 offset:1808
	s_waitcnt vmcnt(58) lgkmcnt(1)
	v_mul_f64 v[185:186], v[137:138], v[203:204]
	v_mul_f64 v[203:204], v[139:140], v[203:204]
	s_waitcnt vmcnt(56)
	v_fma_f64 v[161:162], v[1:2], v[153:154], -v[161:162]
	v_fma_f64 v[153:154], v[3:4], v[153:154], v[219:220]
	v_add_f64 v[143:144], v[143:144], v[209:210]
	v_add_f64 v[141:142], v[141:142], v[149:150]
	s_clause 0x2
	buffer_load_dword v150, off, s[0:3], 0 offset:1036
	buffer_load_dword v149, off, s[0:3], 0 offset:1032
	;; [unrolled: 1-line block ×3, first 2 shown]
	ds_read_b128 v[1:4], v198 offset:1824
	s_waitcnt vmcnt(55) lgkmcnt(1)
	v_mul_f64 v[209:210], v[5:6], v[147:148]
	v_mul_f64 v[147:148], v[7:8], v[147:148]
	s_waitcnt vmcnt(54)
	v_fma_f64 v[203:204], v[137:138], v[217:218], -v[203:204]
	v_add_f64 v[143:144], v[143:144], v[161:162]
	v_fma_f64 v[161:162], v[139:140], v[217:218], v[185:186]
	v_add_f64 v[141:142], v[141:142], v[153:154]
	s_clause 0x1
	buffer_load_dword v154, off, s[0:3], 0 offset:1028
	buffer_load_dword v153, off, s[0:3], 0 offset:1024
	ds_read_b128 v[137:140], v198 offset:1840
	s_waitcnt vmcnt(55) lgkmcnt(1)
	v_mul_f64 v[185:186], v[1:2], v[165:166]
	v_mul_f64 v[165:166], v[3:4], v[165:166]
	s_waitcnt vmcnt(53)
	v_fma_f64 v[147:148], v[5:6], v[159:160], -v[147:148]
	v_fma_f64 v[159:160], v[7:8], v[159:160], v[209:210]
	ds_read_b128 v[5:8], v198 offset:1856
	v_add_f64 v[143:144], v[143:144], v[203:204]
	v_add_f64 v[141:142], v[141:142], v[161:162]
	s_waitcnt vmcnt(49) lgkmcnt(1)
	v_mul_f64 v[161:162], v[137:138], v[151:152]
	v_mul_f64 v[151:152], v[139:140], v[151:152]
	s_waitcnt vmcnt(48)
	v_fma_f64 v[165:166], v[1:2], v[213:214], -v[165:166]
	v_add_f64 v[143:144], v[143:144], v[147:148]
	v_fma_f64 v[147:148], v[3:4], v[213:214], v[185:186]
	v_add_f64 v[141:142], v[141:142], v[159:160]
	s_clause 0x3
	buffer_load_dword v159, off, s[0:3], 0 offset:160
	buffer_load_dword v160, off, s[0:3], 0 offset:164
	;; [unrolled: 1-line block ×4, first 2 shown]
	ds_read_b128 v[1:4], v198 offset:1872
	s_waitcnt vmcnt(51) lgkmcnt(1)
	v_mul_f64 v[203:204], v[5:6], v[173:174]
	v_mul_f64 v[173:174], v[7:8], v[173:174]
	s_waitcnt vmcnt(49)
	v_fma_f64 v[151:152], v[137:138], v[169:170], -v[151:152]
	v_fma_f64 v[161:162], v[139:140], v[169:170], v[161:162]
	ds_read_b128 v[137:140], v198 offset:1888
	v_add_f64 v[143:144], v[143:144], v[165:166]
	v_add_f64 v[141:142], v[141:142], v[147:148]
	s_waitcnt vmcnt(45) lgkmcnt(1)
	v_mul_f64 v[147:148], v[1:2], v[157:158]
	v_mul_f64 v[157:158], v[3:4], v[157:158]
	s_waitcnt vmcnt(44)
	v_fma_f64 v[165:166], v[5:6], v[205:206], -v[173:174]
	v_add_f64 v[143:144], v[143:144], v[151:152]
	v_fma_f64 v[151:152], v[7:8], v[205:206], v[203:204]
	v_add_f64 v[141:142], v[141:142], v[161:162]
	ds_read_b128 v[5:8], v198 offset:1904
	s_waitcnt vmcnt(43) lgkmcnt(1)
	v_mul_f64 v[169:170], v[139:140], v[179:180]
	v_mul_f64 v[161:162], v[137:138], v[179:180]
	s_waitcnt vmcnt(41)
	v_fma_f64 v[157:158], v[1:2], v[167:168], -v[157:158]
	v_fma_f64 v[147:148], v[3:4], v[167:168], v[147:148]
	ds_read_b128 v[1:4], v198 offset:1920
	v_add_f64 v[143:144], v[143:144], v[165:166]
	v_add_f64 v[141:142], v[141:142], v[151:152]
	s_waitcnt vmcnt(37) lgkmcnt(1)
	v_mul_f64 v[151:152], v[5:6], v[163:164]
	v_mul_f64 v[163:164], v[7:8], v[163:164]
	s_waitcnt vmcnt(36)
	v_fma_f64 v[165:166], v[137:138], v[199:200], -v[169:170]
	v_add_f64 v[143:144], v[143:144], v[157:158]
	v_fma_f64 v[157:158], v[139:140], v[199:200], v[161:162]
	v_add_f64 v[141:142], v[141:142], v[147:148]
	ds_read_b128 v[137:140], v198 offset:1936
	s_waitcnt vmcnt(35) lgkmcnt(1)
	v_mul_f64 v[161:162], v[3:4], v[187:188]
	v_mul_f64 v[147:148], v[1:2], v[187:188]
	s_waitcnt vmcnt(33)
	v_fma_f64 v[163:164], v[5:6], v[175:176], -v[163:164]
	v_fma_f64 v[151:152], v[7:8], v[175:176], v[151:152]
	ds_read_b128 v[5:8], v198 offset:1952
	v_add_f64 v[143:144], v[143:144], v[165:166]
	v_add_f64 v[141:142], v[141:142], v[157:158]
	s_waitcnt vmcnt(29) lgkmcnt(1)
	v_mul_f64 v[165:166], v[139:140], v[171:172]
	s_waitcnt vmcnt(28)
	v_fma_f64 v[161:162], v[1:2], v[193:194], -v[161:162]
	v_mul_f64 v[157:158], v[137:138], v[171:172]
	v_fma_f64 v[147:148], v[3:4], v[193:194], v[147:148]
	ds_read_b128 v[1:4], v198 offset:1968
	v_add_f64 v[143:144], v[143:144], v[163:164]
	v_add_f64 v[141:142], v[141:142], v[151:152]
	s_waitcnt vmcnt(27) lgkmcnt(1)
	v_mul_f64 v[163:164], v[7:8], v[189:190]
	v_mul_f64 v[151:152], v[5:6], v[189:190]
	s_waitcnt vmcnt(25)
	v_fma_f64 v[165:166], v[137:138], v[145:146], -v[165:166]
	v_fma_f64 v[145:146], v[139:140], v[145:146], v[157:158]
	ds_read_b128 v[137:140], v198 offset:1984
	v_add_f64 v[143:144], v[143:144], v[161:162]
	v_add_f64 v[141:142], v[141:142], v[147:148]
	s_waitcnt vmcnt(21) lgkmcnt(1)
	v_mul_f64 v[157:158], v[3:4], v[177:178]
	s_waitcnt vmcnt(20)
	v_fma_f64 v[161:162], v[5:6], v[195:196], -v[163:164]
	v_mul_f64 v[147:148], v[1:2], v[177:178]
	v_fma_f64 v[151:152], v[7:8], v[195:196], v[151:152]
	ds_read_b128 v[5:8], v198 offset:2000
	v_add_f64 v[143:144], v[143:144], v[165:166]
	v_add_f64 v[141:142], v[141:142], v[145:146]
	;; [unrolled: 18-line block ×3, first 2 shown]
	s_waitcnt vmcnt(11) lgkmcnt(1)
	v_mul_f64 v[157:158], v[3:4], v[201:202]
	v_mul_f64 v[147:148], v[1:2], v[201:202]
	s_waitcnt vmcnt(9)
	v_fma_f64 v[5:6], v[5:6], v[155:156], -v[161:162]
	v_fma_f64 v[7:8], v[7:8], v[155:156], v[151:152]
	v_add_f64 v[143:144], v[143:144], v[163:164]
	v_add_f64 v[141:142], v[141:142], v[145:146]
	s_waitcnt vmcnt(7) lgkmcnt(0)
	v_mul_f64 v[145:146], v[137:138], v[149:150]
	v_mul_f64 v[149:150], v[139:140], v[149:150]
	s_waitcnt vmcnt(6)
	v_fma_f64 v[1:2], v[1:2], v[211:212], -v[157:158]
	v_fma_f64 v[3:4], v[3:4], v[211:212], v[147:148]
	v_add_f64 v[5:6], v[143:144], v[5:6]
	v_add_f64 v[7:8], v[141:142], v[7:8]
	s_waitcnt vmcnt(4)
	v_fma_f64 v[137:138], v[137:138], v[153:154], -v[149:150]
	v_add_f64 v[1:2], v[5:6], v[1:2]
	v_fma_f64 v[5:6], v[139:140], v[153:154], v[145:146]
	v_add_f64 v[3:4], v[7:8], v[3:4]
	v_add_f64 v[1:2], v[1:2], v[137:138]
	v_add_f64 v[3:4], v[3:4], v[5:6]
	s_waitcnt vmcnt(2)
	v_add_f64 v[1:2], v[159:160], -v[1:2]
	s_waitcnt vmcnt(0)
	v_add_f64 v[3:4], v[185:186], -v[3:4]
	buffer_store_dword v2, off, s[0:3], 0 offset:164
	buffer_store_dword v1, off, s[0:3], 0 offset:160
	;; [unrolled: 1-line block ×4, first 2 shown]
	v_cmpx_lt_u32_e32 8, v0
	s_cbranch_execz .LBB127_393
; %bb.392:
	v_mov_b32_e32 v4, s70
	v_mov_b32_e32 v5, 0
	s_clause 0x3
	buffer_load_dword v1, v4, s[0:3], 0 offen
	buffer_load_dword v2, v4, s[0:3], 0 offen offset:4
	buffer_load_dword v3, v4, s[0:3], 0 offen offset:8
	;; [unrolled: 1-line block ×3, first 2 shown]
	buffer_store_dword v5, off, s[0:3], 0 offset:144
	buffer_store_dword v5, off, s[0:3], 0 offset:148
	buffer_store_dword v5, off, s[0:3], 0 offset:152
	buffer_store_dword v5, off, s[0:3], 0 offset:156
	s_waitcnt vmcnt(0)
	ds_write_b128 v197, v[1:4]
.LBB127_393:
	s_or_b32 exec_lo, exec_lo, s4
	s_waitcnt lgkmcnt(0)
	s_waitcnt_vscnt null, 0x0
	s_barrier
	buffer_gl0_inv
	s_clause 0x37
	buffer_load_dword v145, off, s[0:3], 0 offset:168
	buffer_load_dword v146, off, s[0:3], 0 offset:172
	;; [unrolled: 1-line block ×56, first 2 shown]
	v_mov_b32_e32 v198, 0
	s_mov_b32 s4, exec_lo
	ds_read_b128 v[5:8], v198 offset:1168
	s_clause 0x2
	buffer_load_dword v194, off, s[0:3], 0 offset:396
	buffer_load_dword v196, off, s[0:3], 0 offset:372
	;; [unrolled: 1-line block ×3, first 2 shown]
	ds_read_b128 v[1:4], v198 offset:1184
	s_clause 0x4
	buffer_load_dword v206, off, s[0:3], 0 offset:412
	buffer_load_dword v207, off, s[0:3], 0 offset:424
	;; [unrolled: 1-line block ×5, first 2 shown]
	ds_read_b128 v[199:202], v198 offset:1200
	s_waitcnt vmcnt(62) lgkmcnt(2)
	v_mul_f64 v[203:204], v[7:8], v[145:146]
	v_mul_f64 v[145:146], v[5:6], v[145:146]
	s_waitcnt vmcnt(60) lgkmcnt(1)
	v_mul_f64 v[210:211], v[3:4], v[141:142]
	v_mul_f64 v[141:142], v[1:2], v[141:142]
	;; [unrolled: 3-line block ×3, first 2 shown]
	v_fma_f64 v[203:204], v[5:6], v[143:144], -v[203:204]
	v_fma_f64 v[143:144], v[7:8], v[143:144], v[145:146]
	s_clause 0x2
	buffer_load_dword v208, off, s[0:3], 0 offset:428
	buffer_load_dword v146, off, s[0:3], 0 offset:404
	;; [unrolled: 1-line block ×3, first 2 shown]
	s_waitcnt vmcnt(57)
	v_fma_f64 v[214:215], v[1:2], v[137:138], -v[210:211]
	ds_read_b128 v[5:8], v198 offset:1216
	v_fma_f64 v[137:138], v[3:4], v[137:138], v[141:142]
	s_waitcnt vmcnt(51)
	v_fma_f64 v[199:200], v[199:200], v[161:162], -v[139:140]
	v_fma_f64 v[161:162], v[201:202], v[161:162], v[212:213]
	v_add_f64 v[203:204], v[203:204], 0
	v_add_f64 v[141:142], v[143:144], 0
	s_clause 0x4
	buffer_load_dword v144, off, s[0:3], 0 offset:444
	buffer_load_dword v211, off, s[0:3], 0 offset:456
	;; [unrolled: 1-line block ×5, first 2 shown]
	s_waitcnt lgkmcnt(0)
	v_mul_f64 v[217:218], v[5:6], v[149:150]
	v_mul_f64 v[149:150], v[7:8], v[149:150]
	ds_read_b128 v[1:4], v198 offset:1232
	s_clause 0x2
	buffer_load_dword v212, off, s[0:3], 0 offset:460
	buffer_load_dword v202, off, s[0:3], 0 offset:436
	;; [unrolled: 1-line block ×3, first 2 shown]
	v_add_f64 v[203:204], v[203:204], v[214:215]
	v_add_f64 v[141:142], v[141:142], v[137:138]
	ds_read_b128 v[137:140], v198 offset:1248
	s_waitcnt vmcnt(58) lgkmcnt(1)
	v_mul_f64 v[213:214], v[1:2], v[153:154]
	v_mul_f64 v[153:154], v[3:4], v[153:154]
	s_waitcnt vmcnt(56)
	v_fma_f64 v[149:150], v[5:6], v[155:156], -v[149:150]
	v_fma_f64 v[155:156], v[7:8], v[155:156], v[217:218]
	s_waitcnt vmcnt(52) lgkmcnt(0)
	v_mul_f64 v[219:220], v[137:138], v[157:158]
	v_add_f64 v[199:200], v[203:204], v[199:200]
	v_add_f64 v[141:142], v[141:142], v[161:162]
	s_clause 0x4
	buffer_load_dword v162, off, s[0:3], 0 offset:476
	buffer_load_dword v203, off, s[0:3], 0 offset:488
	;; [unrolled: 1-line block ×5, first 2 shown]
	v_mul_f64 v[157:158], v[139:140], v[157:158]
	s_waitcnt vmcnt(56)
	v_fma_f64 v[153:154], v[1:2], v[147:148], -v[153:154]
	ds_read_b128 v[5:8], v198 offset:1264
	v_fma_f64 v[147:148], v[3:4], v[147:148], v[213:214]
	v_add_f64 v[149:150], v[199:200], v[149:150]
	v_add_f64 v[141:142], v[141:142], v[155:156]
	s_clause 0x2
	buffer_load_dword v204, off, s[0:3], 0 offset:492
	buffer_load_dword v156, off, s[0:3], 0 offset:468
	;; [unrolled: 1-line block ×3, first 2 shown]
	s_waitcnt vmcnt(58) lgkmcnt(0)
	v_mul_f64 v[199:200], v[5:6], v[163:164]
	v_mul_f64 v[163:164], v[7:8], v[163:164]
	s_waitcnt vmcnt(56)
	v_fma_f64 v[157:158], v[137:138], v[165:166], -v[157:158]
	ds_read_b128 v[1:4], v198 offset:1280
	v_add_f64 v[149:150], v[149:150], v[153:154]
	v_fma_f64 v[153:154], v[139:140], v[165:166], v[219:220]
	v_add_f64 v[141:142], v[141:142], v[147:148]
	s_clause 0x4
	buffer_load_dword v148, off, s[0:3], 0 offset:508
	buffer_load_dword v165, off, s[0:3], 0 offset:520
	buffer_load_dword v213, off, s[0:3], 0 offset:512
	buffer_load_dword v147, off, s[0:3], 0 offset:504
	buffer_load_dword v219, off, s[0:3], 0 offset:484
	s_waitcnt vmcnt(57) lgkmcnt(0)
	v_mul_f64 v[214:215], v[1:2], v[167:168]
	v_mul_f64 v[167:168], v[3:4], v[167:168]
	s_waitcnt vmcnt(56)
	v_fma_f64 v[163:164], v[5:6], v[151:152], -v[163:164]
	ds_read_b128 v[137:140], v198 offset:1296
	v_fma_f64 v[151:152], v[7:8], v[151:152], v[199:200]
	v_add_f64 v[149:150], v[149:150], v[157:158]
	v_add_f64 v[141:142], v[141:142], v[153:154]
	s_clause 0x2
	buffer_load_dword v166, off, s[0:3], 0 offset:524
	buffer_load_dword v154, off, s[0:3], 0 offset:500
	;; [unrolled: 1-line block ×3, first 2 shown]
	ds_read_b128 v[5:8], v198 offset:1312
	s_waitcnt vmcnt(58) lgkmcnt(1)
	v_mul_f64 v[157:158], v[137:138], v[171:172]
	v_mul_f64 v[171:172], v[139:140], v[171:172]
	s_waitcnt vmcnt(56)
	v_fma_f64 v[167:168], v[1:2], v[173:174], -v[167:168]
	v_add_f64 v[149:150], v[149:150], v[163:164]
	v_fma_f64 v[163:164], v[3:4], v[173:174], v[214:215]
	v_add_f64 v[141:142], v[141:142], v[151:152]
	s_clause 0x4
	buffer_load_dword v152, off, s[0:3], 0 offset:540
	buffer_load_dword v173, off, s[0:3], 0 offset:552
	;; [unrolled: 1-line block ×5, first 2 shown]
	s_waitcnt vmcnt(57) lgkmcnt(0)
	v_mul_f64 v[220:221], v[5:6], v[175:176]
	v_mul_f64 v[175:176], v[7:8], v[175:176]
	s_waitcnt vmcnt(56)
	v_fma_f64 v[171:172], v[137:138], v[159:160], -v[171:172]
	ds_read_b128 v[1:4], v198 offset:1328
	v_fma_f64 v[157:158], v[139:140], v[159:160], v[157:158]
	s_clause 0x2
	buffer_load_dword v174, off, s[0:3], 0 offset:556
	buffer_load_dword v160, off, s[0:3], 0 offset:532
	;; [unrolled: 1-line block ×3, first 2 shown]
	ds_read_b128 v[137:140], v198 offset:1344
	v_add_f64 v[149:150], v[149:150], v[167:168]
	v_add_f64 v[141:142], v[141:142], v[163:164]
	s_waitcnt vmcnt(58) lgkmcnt(1)
	v_mul_f64 v[167:168], v[3:4], v[179:180]
	s_waitcnt vmcnt(56)
	v_fma_f64 v[175:176], v[5:6], v[181:182], -v[175:176]
	v_mul_f64 v[163:164], v[1:2], v[179:180]
	v_add_f64 v[149:150], v[149:150], v[171:172]
	v_fma_f64 v[171:172], v[7:8], v[181:182], v[220:221]
	v_add_f64 v[141:142], v[141:142], v[157:158]
	s_clause 0x4
	buffer_load_dword v158, off, s[0:3], 0 offset:572
	buffer_load_dword v179, off, s[0:3], 0 offset:584
	;; [unrolled: 1-line block ×5, first 2 shown]
	s_waitcnt vmcnt(57) lgkmcnt(0)
	v_mul_f64 v[220:221], v[137:138], v[183:184]
	v_mul_f64 v[182:183], v[139:140], v[183:184]
	s_waitcnt vmcnt(56)
	v_fma_f64 v[167:168], v[1:2], v[169:170], -v[167:168]
	ds_read_b128 v[5:8], v198 offset:1360
	v_fma_f64 v[163:164], v[3:4], v[169:170], v[163:164]
	s_clause 0x2
	buffer_load_dword v180, off, s[0:3], 0 offset:588
	buffer_load_dword v170, off, s[0:3], 0 offset:564
	;; [unrolled: 1-line block ×3, first 2 shown]
	ds_read_b128 v[1:4], v198 offset:1376
	v_add_f64 v[149:150], v[149:150], v[175:176]
	v_add_f64 v[141:142], v[141:142], v[171:172]
	s_waitcnt vmcnt(58) lgkmcnt(1)
	v_mul_f64 v[175:176], v[7:8], v[187:188]
	s_waitcnt vmcnt(56)
	v_fma_f64 v[183:184], v[137:138], v[189:190], -v[182:183]
	v_mul_f64 v[171:172], v[5:6], v[187:188]
	v_add_f64 v[149:150], v[149:150], v[167:168]
	v_fma_f64 v[167:168], v[139:140], v[189:190], v[220:221]
	v_add_f64 v[141:142], v[141:142], v[163:164]
	s_clause 0x4
	buffer_load_dword v164, off, s[0:3], 0 offset:604
	buffer_load_dword v187, off, s[0:3], 0 offset:616
	;; [unrolled: 1-line block ×5, first 2 shown]
	s_waitcnt vmcnt(57) lgkmcnt(0)
	v_mul_f64 v[220:221], v[1:2], v[191:192]
	v_mul_f64 v[190:191], v[3:4], v[191:192]
	s_waitcnt vmcnt(56)
	v_fma_f64 v[175:176], v[5:6], v[177:178], -v[175:176]
	ds_read_b128 v[137:140], v198 offset:1392
	v_fma_f64 v[171:172], v[7:8], v[177:178], v[171:172]
	v_add_f64 v[149:150], v[149:150], v[183:184]
	v_add_f64 v[141:142], v[141:142], v[167:168]
	s_clause 0x2
	buffer_load_dword v188, off, s[0:3], 0 offset:620
	buffer_load_dword v168, off, s[0:3], 0 offset:596
	;; [unrolled: 1-line block ×3, first 2 shown]
	ds_read_b128 v[5:8], v198 offset:1408
	s_waitcnt vmcnt(58) lgkmcnt(1)
	v_mul_f64 v[183:184], v[139:140], v[193:194]
	s_waitcnt vmcnt(56)
	v_fma_f64 v[191:192], v[1:2], v[195:196], -v[190:191]
	v_mul_f64 v[177:178], v[137:138], v[193:194]
	v_add_f64 v[149:150], v[149:150], v[175:176]
	v_fma_f64 v[175:176], v[3:4], v[195:196], v[220:221]
	v_add_f64 v[141:142], v[141:142], v[171:172]
	s_clause 0x4
	buffer_load_dword v172, off, s[0:3], 0 offset:636
	buffer_load_dword v193, off, s[0:3], 0 offset:648
	;; [unrolled: 1-line block ×5, first 2 shown]
	s_waitcnt vmcnt(57) lgkmcnt(0)
	v_mul_f64 v[220:221], v[5:6], v[205:206]
	v_mul_f64 v[205:206], v[7:8], v[205:206]
	s_waitcnt vmcnt(56)
	v_fma_f64 v[183:184], v[137:138], v[185:186], -v[183:184]
	ds_read_b128 v[1:4], v198 offset:1424
	v_fma_f64 v[177:178], v[139:140], v[185:186], v[177:178]
	v_add_f64 v[149:150], v[149:150], v[191:192]
	v_add_f64 v[141:142], v[141:142], v[175:176]
	s_clause 0x2
	buffer_load_dword v194, off, s[0:3], 0 offset:652
	buffer_load_dword v176, off, s[0:3], 0 offset:628
	;; [unrolled: 1-line block ×3, first 2 shown]
	ds_read_b128 v[137:140], v198 offset:1440
	s_waitcnt vmcnt(58) lgkmcnt(1)
	v_mul_f64 v[191:192], v[3:4], v[207:208]
	v_mul_f64 v[185:186], v[1:2], v[207:208]
	s_waitcnt vmcnt(56)
	v_fma_f64 v[205:206], v[5:6], v[145:146], -v[205:206]
	v_fma_f64 v[145:146], v[7:8], v[145:146], v[220:221]
	v_add_f64 v[149:150], v[149:150], v[183:184]
	v_add_f64 v[141:142], v[141:142], v[177:178]
	s_clause 0x4
	buffer_load_dword v178, off, s[0:3], 0 offset:668
	buffer_load_dword v183, off, s[0:3], 0 offset:680
	;; [unrolled: 1-line block ×5, first 2 shown]
	ds_read_b128 v[5:8], v198 offset:1456
	s_waitcnt vmcnt(57) lgkmcnt(1)
	v_mul_f64 v[220:221], v[137:138], v[143:144]
	v_mul_f64 v[143:144], v[139:140], v[143:144]
	s_waitcnt vmcnt(56)
	v_fma_f64 v[191:192], v[1:2], v[209:210], -v[191:192]
	v_fma_f64 v[185:186], v[3:4], v[209:210], v[185:186]
	v_add_f64 v[149:150], v[149:150], v[205:206]
	v_add_f64 v[141:142], v[141:142], v[145:146]
	s_clause 0x2
	buffer_load_dword v184, off, s[0:3], 0 offset:684
	buffer_load_dword v146, off, s[0:3], 0 offset:660
	;; [unrolled: 1-line block ×3, first 2 shown]
	s_waitcnt vmcnt(58) lgkmcnt(0)
	v_mul_f64 v[209:210], v[7:8], v[211:212]
	ds_read_b128 v[1:4], v198 offset:1472
	v_mul_f64 v[205:206], v[5:6], v[211:212]
	s_waitcnt vmcnt(56)
	v_fma_f64 v[143:144], v[137:138], v[201:202], -v[143:144]
	v_add_f64 v[149:150], v[149:150], v[191:192]
	v_fma_f64 v[191:192], v[139:140], v[201:202], v[220:221]
	v_add_f64 v[141:142], v[141:142], v[185:186]
	s_clause 0x4
	buffer_load_dword v186, off, s[0:3], 0 offset:700
	buffer_load_dword v201, off, s[0:3], 0 offset:712
	;; [unrolled: 1-line block ×5, first 2 shown]
	ds_read_b128 v[137:140], v198 offset:1488
	s_waitcnt vmcnt(57) lgkmcnt(1)
	v_mul_f64 v[220:221], v[1:2], v[161:162]
	v_mul_f64 v[161:162], v[3:4], v[161:162]
	s_waitcnt vmcnt(56)
	v_fma_f64 v[209:210], v[5:6], v[216:217], -v[209:210]
	v_add_f64 v[143:144], v[149:150], v[143:144]
	v_fma_f64 v[149:150], v[7:8], v[216:217], v[205:206]
	v_add_f64 v[141:142], v[141:142], v[191:192]
	s_clause 0x2
	buffer_load_dword v202, off, s[0:3], 0 offset:716
	buffer_load_dword v192, off, s[0:3], 0 offset:692
	;; [unrolled: 1-line block ×3, first 2 shown]
	ds_read_b128 v[5:8], v198 offset:1504
	s_waitcnt vmcnt(58) lgkmcnt(1)
	v_mul_f64 v[205:206], v[137:138], v[203:204]
	v_mul_f64 v[203:204], v[139:140], v[203:204]
	s_waitcnt vmcnt(56)
	v_fma_f64 v[161:162], v[1:2], v[155:156], -v[161:162]
	v_fma_f64 v[155:156], v[3:4], v[155:156], v[220:221]
	v_add_f64 v[143:144], v[143:144], v[209:210]
	v_add_f64 v[141:142], v[141:142], v[149:150]
	s_clause 0x4
	buffer_load_dword v150, off, s[0:3], 0 offset:732
	buffer_load_dword v209, off, s[0:3], 0 offset:744
	;; [unrolled: 1-line block ×5, first 2 shown]
	ds_read_b128 v[1:4], v198 offset:1520
	s_waitcnt vmcnt(57) lgkmcnt(1)
	v_mul_f64 v[216:217], v[5:6], v[147:148]
	v_mul_f64 v[147:148], v[7:8], v[147:148]
	s_waitcnt vmcnt(56)
	v_fma_f64 v[203:204], v[137:138], v[218:219], -v[203:204]
	v_add_f64 v[143:144], v[143:144], v[161:162]
	v_fma_f64 v[161:162], v[139:140], v[218:219], v[205:206]
	v_add_f64 v[141:142], v[141:142], v[155:156]
	s_clause 0x2
	buffer_load_dword v210, off, s[0:3], 0 offset:748
	buffer_load_dword v156, off, s[0:3], 0 offset:724
	;; [unrolled: 1-line block ×3, first 2 shown]
	ds_read_b128 v[137:140], v198 offset:1536
	s_waitcnt vmcnt(58) lgkmcnt(1)
	v_mul_f64 v[205:206], v[1:2], v[165:166]
	v_mul_f64 v[165:166], v[3:4], v[165:166]
	s_waitcnt vmcnt(56)
	v_fma_f64 v[147:148], v[5:6], v[153:154], -v[147:148]
	v_fma_f64 v[153:154], v[7:8], v[153:154], v[216:217]
	v_add_f64 v[143:144], v[143:144], v[203:204]
	v_add_f64 v[141:142], v[141:142], v[161:162]
	s_clause 0x4
	buffer_load_dword v162, off, s[0:3], 0 offset:764
	buffer_load_dword v203, off, s[0:3], 0 offset:776
	;; [unrolled: 1-line block ×5, first 2 shown]
	ds_read_b128 v[5:8], v198 offset:1552
	s_waitcnt vmcnt(57) lgkmcnt(1)
	v_mul_f64 v[218:219], v[137:138], v[151:152]
	v_mul_f64 v[151:152], v[139:140], v[151:152]
	s_waitcnt vmcnt(56)
	v_fma_f64 v[165:166], v[1:2], v[213:214], -v[165:166]
	v_add_f64 v[143:144], v[143:144], v[147:148]
	v_fma_f64 v[147:148], v[3:4], v[213:214], v[205:206]
	v_add_f64 v[141:142], v[141:142], v[153:154]
	s_clause 0x2
	buffer_load_dword v204, off, s[0:3], 0 offset:780
	buffer_load_dword v154, off, s[0:3], 0 offset:756
	;; [unrolled: 1-line block ×3, first 2 shown]
	s_waitcnt vmcnt(58) lgkmcnt(0)
	v_mul_f64 v[205:206], v[5:6], v[173:174]
	v_mul_f64 v[173:174], v[7:8], v[173:174]
	ds_read_b128 v[1:4], v198 offset:1568
	s_waitcnt vmcnt(56)
	v_fma_f64 v[151:152], v[137:138], v[159:160], -v[151:152]
	v_fma_f64 v[159:160], v[139:140], v[159:160], v[218:219]
	v_add_f64 v[143:144], v[143:144], v[165:166]
	v_add_f64 v[141:142], v[141:142], v[147:148]
	s_clause 0x4
	buffer_load_dword v148, off, s[0:3], 0 offset:796
	buffer_load_dword v165, off, s[0:3], 0 offset:808
	;; [unrolled: 1-line block ×5, first 2 shown]
	ds_read_b128 v[137:140], v198 offset:1584
	s_waitcnt vmcnt(57) lgkmcnt(1)
	v_mul_f64 v[219:220], v[1:2], v[157:158]
	v_mul_f64 v[157:158], v[3:4], v[157:158]
	s_waitcnt vmcnt(56)
	v_fma_f64 v[173:174], v[5:6], v[199:200], -v[173:174]
	v_add_f64 v[143:144], v[143:144], v[151:152]
	v_fma_f64 v[151:152], v[7:8], v[199:200], v[205:206]
	v_add_f64 v[141:142], v[141:142], v[159:160]
	s_clause 0x2
	buffer_load_dword v166, off, s[0:3], 0 offset:812
	buffer_load_dword v160, off, s[0:3], 0 offset:788
	;; [unrolled: 1-line block ×3, first 2 shown]
	s_waitcnt vmcnt(58) lgkmcnt(0)
	v_mul_f64 v[199:200], v[137:138], v[179:180]
	v_mul_f64 v[179:180], v[139:140], v[179:180]
	ds_read_b128 v[5:8], v198 offset:1600
	s_waitcnt vmcnt(56)
	v_fma_f64 v[157:158], v[1:2], v[169:170], -v[157:158]
	v_fma_f64 v[169:170], v[3:4], v[169:170], v[219:220]
	v_add_f64 v[143:144], v[143:144], v[173:174]
	v_add_f64 v[141:142], v[141:142], v[151:152]
	s_clause 0x4
	buffer_load_dword v152, off, s[0:3], 0 offset:828
	buffer_load_dword v173, off, s[0:3], 0 offset:840
	buffer_load_dword v205, off, s[0:3], 0 offset:832
	buffer_load_dword v151, off, s[0:3], 0 offset:824
	buffer_load_dword v214, off, s[0:3], 0 offset:804
	ds_read_b128 v[1:4], v198 offset:1616
	s_waitcnt vmcnt(57) lgkmcnt(1)
	v_mul_f64 v[219:220], v[5:6], v[163:164]
	v_mul_f64 v[163:164], v[7:8], v[163:164]
	s_waitcnt vmcnt(56)
	v_fma_f64 v[179:180], v[137:138], v[181:182], -v[179:180]
	v_add_f64 v[143:144], v[143:144], v[157:158]
	v_fma_f64 v[157:158], v[139:140], v[181:182], v[199:200]
	v_add_f64 v[141:142], v[141:142], v[169:170]
	s_clause 0x2
	buffer_load_dword v174, off, s[0:3], 0 offset:844
	buffer_load_dword v170, off, s[0:3], 0 offset:820
	buffer_load_dword v169, off, s[0:3], 0 offset:816
	ds_read_b128 v[137:140], v198 offset:1632
	s_waitcnt vmcnt(58) lgkmcnt(1)
	v_mul_f64 v[181:182], v[1:2], v[187:188]
	v_mul_f64 v[187:188], v[3:4], v[187:188]
	s_waitcnt vmcnt(56)
	v_fma_f64 v[163:164], v[5:6], v[167:168], -v[163:164]
	v_fma_f64 v[167:168], v[7:8], v[167:168], v[219:220]
	v_add_f64 v[143:144], v[143:144], v[179:180]
	v_add_f64 v[141:142], v[141:142], v[157:158]
	s_clause 0x4
	buffer_load_dword v158, off, s[0:3], 0 offset:860
	buffer_load_dword v179, off, s[0:3], 0 offset:872
	buffer_load_dword v199, off, s[0:3], 0 offset:864
	buffer_load_dword v157, off, s[0:3], 0 offset:856
	buffer_load_dword v206, off, s[0:3], 0 offset:836
	ds_read_b128 v[5:8], v198 offset:1648
	s_waitcnt vmcnt(57) lgkmcnt(1)
	v_mul_f64 v[219:220], v[137:138], v[171:172]
	v_mul_f64 v[171:172], v[139:140], v[171:172]
	s_waitcnt vmcnt(56)
	v_fma_f64 v[187:188], v[1:2], v[189:190], -v[187:188]
	v_add_f64 v[143:144], v[143:144], v[163:164]
	v_fma_f64 v[163:164], v[3:4], v[189:190], v[181:182]
	v_add_f64 v[141:142], v[141:142], v[167:168]
	s_clause 0x2
	buffer_load_dword v180, off, s[0:3], 0 offset:876
	buffer_load_dword v168, off, s[0:3], 0 offset:852
	buffer_load_dword v167, off, s[0:3], 0 offset:848
	ds_read_b128 v[1:4], v198 offset:1664
	s_waitcnt vmcnt(58) lgkmcnt(1)
	v_mul_f64 v[189:190], v[7:8], v[193:194]
	v_mul_f64 v[181:182], v[5:6], v[193:194]
	;; [unrolled: 28-line block ×4, first 2 shown]
	s_waitcnt vmcnt(56)
	v_fma_f64 v[185:186], v[5:6], v[191:192], -v[185:186]
	v_add_f64 v[143:144], v[143:144], v[183:184]
	v_fma_f64 v[183:184], v[7:8], v[191:192], v[219:220]
	v_add_f64 v[141:142], v[141:142], v[177:178]
	s_clause 0x4
	buffer_load_dword v178, off, s[0:3], 0 offset:956
	buffer_load_dword v191, off, s[0:3], 0 offset:968
	;; [unrolled: 1-line block ×5, first 2 shown]
	ds_read_b128 v[5:8], v198 offset:1744
	s_waitcnt vmcnt(57) lgkmcnt(1)
	v_mul_f64 v[219:220], v[137:138], v[149:150]
	v_mul_f64 v[149:150], v[139:140], v[149:150]
	s_waitcnt vmcnt(56)
	v_fma_f64 v[201:202], v[1:2], v[211:212], -v[201:202]
	v_fma_f64 v[181:182], v[3:4], v[211:212], v[181:182]
	v_add_f64 v[143:144], v[143:144], v[185:186]
	v_add_f64 v[141:142], v[141:142], v[183:184]
	s_clause 0x2
	buffer_load_dword v192, off, s[0:3], 0 offset:972
	buffer_load_dword v184, off, s[0:3], 0 offset:948
	;; [unrolled: 1-line block ×3, first 2 shown]
	ds_read_b128 v[1:4], v198 offset:1760
	s_waitcnt vmcnt(58) lgkmcnt(1)
	v_mul_f64 v[185:186], v[5:6], v[209:210]
	v_mul_f64 v[209:210], v[7:8], v[209:210]
	s_waitcnt vmcnt(56)
	v_fma_f64 v[149:150], v[137:138], v[155:156], -v[149:150]
	v_fma_f64 v[155:156], v[139:140], v[155:156], v[219:220]
	v_add_f64 v[143:144], v[143:144], v[201:202]
	v_add_f64 v[141:142], v[141:142], v[181:182]
	s_clause 0x4
	buffer_load_dword v182, off, s[0:3], 0 offset:988
	buffer_load_dword v201, off, s[0:3], 0 offset:1000
	;; [unrolled: 1-line block ×5, first 2 shown]
	ds_read_b128 v[137:140], v198 offset:1776
	s_waitcnt vmcnt(57) lgkmcnt(1)
	v_mul_f64 v[219:220], v[1:2], v[161:162]
	v_mul_f64 v[161:162], v[3:4], v[161:162]
	s_waitcnt vmcnt(56)
	v_fma_f64 v[209:210], v[5:6], v[215:216], -v[209:210]
	v_add_f64 v[143:144], v[143:144], v[149:150]
	v_fma_f64 v[149:150], v[7:8], v[215:216], v[185:186]
	v_add_f64 v[141:142], v[141:142], v[155:156]
	s_clause 0x2
	buffer_load_dword v202, off, s[0:3], 0 offset:1004
	buffer_load_dword v156, off, s[0:3], 0 offset:980
	;; [unrolled: 1-line block ×3, first 2 shown]
	ds_read_b128 v[5:8], v198 offset:1792
	s_waitcnt vmcnt(58) lgkmcnt(1)
	v_mul_f64 v[185:186], v[137:138], v[203:204]
	v_mul_f64 v[203:204], v[139:140], v[203:204]
	s_waitcnt vmcnt(56)
	v_fma_f64 v[161:162], v[1:2], v[153:154], -v[161:162]
	v_fma_f64 v[153:154], v[3:4], v[153:154], v[219:220]
	v_add_f64 v[143:144], v[143:144], v[209:210]
	v_add_f64 v[141:142], v[141:142], v[149:150]
	s_clause 0x4
	buffer_load_dword v150, off, s[0:3], 0 offset:1020
	buffer_load_dword v209, off, s[0:3], 0 offset:1032
	;; [unrolled: 1-line block ×5, first 2 shown]
	ds_read_b128 v[1:4], v198 offset:1808
	s_waitcnt vmcnt(57) lgkmcnt(1)
	v_mul_f64 v[219:220], v[5:6], v[147:148]
	v_mul_f64 v[147:148], v[7:8], v[147:148]
	s_waitcnt vmcnt(56)
	v_fma_f64 v[203:204], v[137:138], v[217:218], -v[203:204]
	v_add_f64 v[143:144], v[143:144], v[161:162]
	v_fma_f64 v[161:162], v[139:140], v[217:218], v[185:186]
	v_add_f64 v[141:142], v[141:142], v[153:154]
	s_clause 0x2
	buffer_load_dword v210, off, s[0:3], 0 offset:1036
	buffer_load_dword v154, off, s[0:3], 0 offset:1012
	;; [unrolled: 1-line block ×3, first 2 shown]
	ds_read_b128 v[137:140], v198 offset:1824
	buffer_load_dword v216, off, s[0:3], 0 offset:1028
	s_waitcnt vmcnt(59) lgkmcnt(1)
	v_mul_f64 v[185:186], v[1:2], v[165:166]
	v_mul_f64 v[165:166], v[3:4], v[165:166]
	s_waitcnt vmcnt(57)
	v_fma_f64 v[147:148], v[5:6], v[159:160], -v[147:148]
	v_fma_f64 v[159:160], v[7:8], v[159:160], v[219:220]
	ds_read_b128 v[5:8], v198 offset:1840
	v_add_f64 v[143:144], v[143:144], v[203:204]
	v_add_f64 v[141:142], v[141:142], v[161:162]
	s_waitcnt vmcnt(53) lgkmcnt(1)
	v_mul_f64 v[161:162], v[137:138], v[151:152]
	v_mul_f64 v[151:152], v[139:140], v[151:152]
	s_waitcnt vmcnt(52)
	v_fma_f64 v[165:166], v[1:2], v[213:214], -v[165:166]
	v_add_f64 v[143:144], v[143:144], v[147:148]
	v_fma_f64 v[147:148], v[3:4], v[213:214], v[185:186]
	v_add_f64 v[141:142], v[141:142], v[159:160]
	ds_read_b128 v[1:4], v198 offset:1856
	s_waitcnt vmcnt(51) lgkmcnt(1)
	v_mul_f64 v[159:160], v[5:6], v[173:174]
	v_mul_f64 v[173:174], v[7:8], v[173:174]
	s_waitcnt vmcnt(49)
	v_fma_f64 v[151:152], v[137:138], v[169:170], -v[151:152]
	v_fma_f64 v[161:162], v[139:140], v[169:170], v[161:162]
	v_add_f64 v[143:144], v[143:144], v[165:166]
	v_add_f64 v[141:142], v[141:142], v[147:148]
	s_clause 0x3
	buffer_load_dword v147, off, s[0:3], 0 offset:144
	buffer_load_dword v148, off, s[0:3], 0 offset:148
	buffer_load_dword v165, off, s[0:3], 0 offset:152
	buffer_load_dword v166, off, s[0:3], 0 offset:156
	ds_read_b128 v[137:140], v198 offset:1872
	s_waitcnt vmcnt(49) lgkmcnt(1)
	v_mul_f64 v[169:170], v[1:2], v[157:158]
	v_mul_f64 v[157:158], v[3:4], v[157:158]
	s_waitcnt vmcnt(48)
	v_fma_f64 v[173:174], v[5:6], v[205:206], -v[173:174]
	v_add_f64 v[143:144], v[143:144], v[151:152]
	v_fma_f64 v[151:152], v[7:8], v[205:206], v[159:160]
	v_add_f64 v[141:142], v[141:142], v[161:162]
	ds_read_b128 v[5:8], v198 offset:1888
	s_waitcnt vmcnt(47) lgkmcnt(1)
	v_mul_f64 v[161:162], v[139:140], v[179:180]
	v_mul_f64 v[159:160], v[137:138], v[179:180]
	s_waitcnt vmcnt(45)
	v_fma_f64 v[157:158], v[1:2], v[167:168], -v[157:158]
	v_fma_f64 v[167:168], v[3:4], v[167:168], v[169:170]
	ds_read_b128 v[1:4], v198 offset:1904
	v_add_f64 v[143:144], v[143:144], v[173:174]
	v_add_f64 v[141:142], v[141:142], v[151:152]
	s_waitcnt vmcnt(41) lgkmcnt(1)
	v_mul_f64 v[151:152], v[5:6], v[163:164]
	v_mul_f64 v[163:164], v[7:8], v[163:164]
	s_waitcnt vmcnt(40)
	v_fma_f64 v[161:162], v[137:138], v[199:200], -v[161:162]
	v_add_f64 v[143:144], v[143:144], v[157:158]
	v_fma_f64 v[157:158], v[139:140], v[199:200], v[159:160]
	v_add_f64 v[141:142], v[141:142], v[167:168]
	ds_read_b128 v[137:140], v198 offset:1920
	s_waitcnt vmcnt(39) lgkmcnt(1)
	v_mul_f64 v[167:168], v[3:4], v[187:188]
	v_mul_f64 v[159:160], v[1:2], v[187:188]
	s_waitcnt vmcnt(37)
	v_fma_f64 v[163:164], v[5:6], v[175:176], -v[163:164]
	v_fma_f64 v[151:152], v[7:8], v[175:176], v[151:152]
	ds_read_b128 v[5:8], v198 offset:1936
	v_add_f64 v[143:144], v[143:144], v[161:162]
	v_add_f64 v[141:142], v[141:142], v[157:158]
	s_waitcnt vmcnt(33) lgkmcnt(1)
	v_mul_f64 v[161:162], v[139:140], v[171:172]
	s_waitcnt vmcnt(32)
	v_fma_f64 v[167:168], v[1:2], v[193:194], -v[167:168]
	v_mul_f64 v[157:158], v[137:138], v[171:172]
	v_fma_f64 v[159:160], v[3:4], v[193:194], v[159:160]
	ds_read_b128 v[1:4], v198 offset:1952
	v_add_f64 v[143:144], v[143:144], v[163:164]
	v_add_f64 v[141:142], v[141:142], v[151:152]
	s_waitcnt vmcnt(31) lgkmcnt(1)
	v_mul_f64 v[163:164], v[7:8], v[189:190]
	v_mul_f64 v[151:152], v[5:6], v[189:190]
	s_waitcnt vmcnt(29)
	v_fma_f64 v[161:162], v[137:138], v[145:146], -v[161:162]
	v_fma_f64 v[145:146], v[139:140], v[145:146], v[157:158]
	ds_read_b128 v[137:140], v198 offset:1968
	v_add_f64 v[143:144], v[143:144], v[167:168]
	v_add_f64 v[141:142], v[141:142], v[159:160]
	s_waitcnt vmcnt(25) lgkmcnt(1)
	v_mul_f64 v[159:160], v[3:4], v[177:178]
	s_waitcnt vmcnt(24)
	v_fma_f64 v[163:164], v[5:6], v[195:196], -v[163:164]
	v_mul_f64 v[157:158], v[1:2], v[177:178]
	v_fma_f64 v[151:152], v[7:8], v[195:196], v[151:152]
	ds_read_b128 v[5:8], v198 offset:1984
	v_add_f64 v[143:144], v[143:144], v[161:162]
	v_add_f64 v[141:142], v[141:142], v[145:146]
	;; [unrolled: 18-line block ×3, first 2 shown]
	s_waitcnt vmcnt(15) lgkmcnt(1)
	v_mul_f64 v[159:160], v[3:4], v[201:202]
	v_mul_f64 v[157:158], v[1:2], v[201:202]
	s_waitcnt vmcnt(13)
	v_fma_f64 v[163:164], v[5:6], v[155:156], -v[163:164]
	v_fma_f64 v[151:152], v[7:8], v[155:156], v[151:152]
	ds_read_b128 v[5:8], v198 offset:2032
	v_add_f64 v[143:144], v[143:144], v[161:162]
	v_add_f64 v[141:142], v[141:142], v[145:146]
	s_waitcnt vmcnt(9) lgkmcnt(1)
	v_mul_f64 v[145:146], v[137:138], v[149:150]
	v_mul_f64 v[149:150], v[139:140], v[149:150]
	s_waitcnt vmcnt(8)
	v_fma_f64 v[1:2], v[1:2], v[211:212], -v[159:160]
	v_fma_f64 v[3:4], v[3:4], v[211:212], v[157:158]
	v_add_f64 v[143:144], v[143:144], v[163:164]
	v_add_f64 v[141:142], v[141:142], v[151:152]
	s_waitcnt vmcnt(7) lgkmcnt(0)
	v_mul_f64 v[155:156], v[7:8], v[209:210]
	v_mul_f64 v[151:152], v[5:6], v[209:210]
	s_waitcnt vmcnt(5)
	v_fma_f64 v[137:138], v[137:138], v[153:154], -v[149:150]
	v_fma_f64 v[139:140], v[139:140], v[153:154], v[145:146]
	v_add_f64 v[1:2], v[143:144], v[1:2]
	v_add_f64 v[3:4], v[141:142], v[3:4]
	s_waitcnt vmcnt(4)
	v_fma_f64 v[5:6], v[5:6], v[215:216], -v[155:156]
	v_fma_f64 v[7:8], v[7:8], v[215:216], v[151:152]
	v_add_f64 v[1:2], v[1:2], v[137:138]
	v_add_f64 v[3:4], v[3:4], v[139:140]
	;; [unrolled: 1-line block ×4, first 2 shown]
	s_waitcnt vmcnt(2)
	v_add_f64 v[1:2], v[147:148], -v[1:2]
	s_waitcnt vmcnt(0)
	v_add_f64 v[3:4], v[165:166], -v[3:4]
	buffer_store_dword v2, off, s[0:3], 0 offset:148
	buffer_store_dword v1, off, s[0:3], 0 offset:144
	;; [unrolled: 1-line block ×4, first 2 shown]
	v_cmpx_lt_u32_e32 7, v0
	s_cbranch_execz .LBB127_395
; %bb.394:
	v_mov_b32_e32 v4, s71
	s_clause 0x3
	buffer_load_dword v1, v4, s[0:3], 0 offen
	buffer_load_dword v2, v4, s[0:3], 0 offen offset:4
	buffer_load_dword v3, v4, s[0:3], 0 offen offset:8
	;; [unrolled: 1-line block ×3, first 2 shown]
	buffer_store_dword v198, off, s[0:3], 0 offset:128
	buffer_store_dword v198, off, s[0:3], 0 offset:132
	;; [unrolled: 1-line block ×4, first 2 shown]
	s_waitcnt vmcnt(0)
	ds_write_b128 v197, v[1:4]
.LBB127_395:
	s_or_b32 exec_lo, exec_lo, s4
	s_waitcnt lgkmcnt(0)
	s_waitcnt_vscnt null, 0x0
	s_barrier
	buffer_gl0_inv
	s_clause 0x37
	buffer_load_dword v145, off, s[0:3], 0 offset:152
	buffer_load_dword v146, off, s[0:3], 0 offset:156
	;; [unrolled: 1-line block ×56, first 2 shown]
	ds_read_b128 v[5:8], v198 offset:1152
	s_clause 0x2
	buffer_load_dword v194, off, s[0:3], 0 offset:380
	buffer_load_dword v196, off, s[0:3], 0 offset:356
	;; [unrolled: 1-line block ×3, first 2 shown]
	ds_read_b128 v[1:4], v198 offset:1168
	s_clause 0x4
	buffer_load_dword v206, off, s[0:3], 0 offset:396
	buffer_load_dword v207, off, s[0:3], 0 offset:408
	;; [unrolled: 1-line block ×5, first 2 shown]
	ds_read_b128 v[199:202], v198 offset:1184
	s_mov_b32 s4, exec_lo
	s_waitcnt vmcnt(62) lgkmcnt(2)
	v_mul_f64 v[203:204], v[7:8], v[145:146]
	v_mul_f64 v[145:146], v[5:6], v[145:146]
	s_waitcnt vmcnt(60) lgkmcnt(1)
	v_mul_f64 v[210:211], v[3:4], v[141:142]
	v_mul_f64 v[141:142], v[1:2], v[141:142]
	;; [unrolled: 3-line block ×3, first 2 shown]
	v_fma_f64 v[203:204], v[5:6], v[143:144], -v[203:204]
	v_fma_f64 v[143:144], v[7:8], v[143:144], v[145:146]
	s_clause 0x2
	buffer_load_dword v208, off, s[0:3], 0 offset:412
	buffer_load_dword v146, off, s[0:3], 0 offset:388
	;; [unrolled: 1-line block ×3, first 2 shown]
	s_waitcnt vmcnt(57)
	v_fma_f64 v[214:215], v[1:2], v[137:138], -v[210:211]
	ds_read_b128 v[5:8], v198 offset:1200
	v_fma_f64 v[137:138], v[3:4], v[137:138], v[141:142]
	s_waitcnt vmcnt(51)
	v_fma_f64 v[199:200], v[199:200], v[161:162], -v[139:140]
	v_fma_f64 v[161:162], v[201:202], v[161:162], v[212:213]
	v_add_f64 v[203:204], v[203:204], 0
	v_add_f64 v[141:142], v[143:144], 0
	s_clause 0x4
	buffer_load_dword v144, off, s[0:3], 0 offset:428
	buffer_load_dword v211, off, s[0:3], 0 offset:440
	;; [unrolled: 1-line block ×5, first 2 shown]
	s_waitcnt lgkmcnt(0)
	v_mul_f64 v[217:218], v[5:6], v[149:150]
	v_mul_f64 v[149:150], v[7:8], v[149:150]
	ds_read_b128 v[1:4], v198 offset:1216
	s_clause 0x2
	buffer_load_dword v212, off, s[0:3], 0 offset:444
	buffer_load_dword v202, off, s[0:3], 0 offset:420
	buffer_load_dword v201, off, s[0:3], 0 offset:416
	v_add_f64 v[203:204], v[203:204], v[214:215]
	v_add_f64 v[141:142], v[141:142], v[137:138]
	ds_read_b128 v[137:140], v198 offset:1232
	s_waitcnt vmcnt(58) lgkmcnt(1)
	v_mul_f64 v[213:214], v[1:2], v[153:154]
	v_mul_f64 v[153:154], v[3:4], v[153:154]
	s_waitcnt vmcnt(56)
	v_fma_f64 v[149:150], v[5:6], v[155:156], -v[149:150]
	v_fma_f64 v[155:156], v[7:8], v[155:156], v[217:218]
	s_waitcnt vmcnt(52) lgkmcnt(0)
	v_mul_f64 v[219:220], v[137:138], v[157:158]
	v_add_f64 v[199:200], v[203:204], v[199:200]
	v_add_f64 v[141:142], v[141:142], v[161:162]
	s_clause 0x4
	buffer_load_dword v162, off, s[0:3], 0 offset:460
	buffer_load_dword v203, off, s[0:3], 0 offset:472
	;; [unrolled: 1-line block ×5, first 2 shown]
	v_mul_f64 v[157:158], v[139:140], v[157:158]
	s_waitcnt vmcnt(56)
	v_fma_f64 v[153:154], v[1:2], v[147:148], -v[153:154]
	ds_read_b128 v[5:8], v198 offset:1248
	v_fma_f64 v[147:148], v[3:4], v[147:148], v[213:214]
	v_add_f64 v[149:150], v[199:200], v[149:150]
	v_add_f64 v[141:142], v[141:142], v[155:156]
	s_clause 0x2
	buffer_load_dword v204, off, s[0:3], 0 offset:476
	buffer_load_dword v156, off, s[0:3], 0 offset:452
	;; [unrolled: 1-line block ×3, first 2 shown]
	s_waitcnt vmcnt(58) lgkmcnt(0)
	v_mul_f64 v[199:200], v[5:6], v[163:164]
	v_mul_f64 v[163:164], v[7:8], v[163:164]
	s_waitcnt vmcnt(56)
	v_fma_f64 v[157:158], v[137:138], v[165:166], -v[157:158]
	ds_read_b128 v[1:4], v198 offset:1264
	v_add_f64 v[149:150], v[149:150], v[153:154]
	v_fma_f64 v[153:154], v[139:140], v[165:166], v[219:220]
	v_add_f64 v[141:142], v[141:142], v[147:148]
	s_clause 0x4
	buffer_load_dword v148, off, s[0:3], 0 offset:492
	buffer_load_dword v165, off, s[0:3], 0 offset:504
	;; [unrolled: 1-line block ×5, first 2 shown]
	s_waitcnt vmcnt(57) lgkmcnt(0)
	v_mul_f64 v[214:215], v[1:2], v[167:168]
	v_mul_f64 v[167:168], v[3:4], v[167:168]
	s_waitcnt vmcnt(56)
	v_fma_f64 v[163:164], v[5:6], v[151:152], -v[163:164]
	ds_read_b128 v[137:140], v198 offset:1280
	v_fma_f64 v[151:152], v[7:8], v[151:152], v[199:200]
	v_add_f64 v[149:150], v[149:150], v[157:158]
	v_add_f64 v[141:142], v[141:142], v[153:154]
	s_clause 0x2
	buffer_load_dword v166, off, s[0:3], 0 offset:508
	buffer_load_dword v154, off, s[0:3], 0 offset:484
	;; [unrolled: 1-line block ×3, first 2 shown]
	ds_read_b128 v[5:8], v198 offset:1296
	s_waitcnt vmcnt(58) lgkmcnt(1)
	v_mul_f64 v[157:158], v[137:138], v[171:172]
	v_mul_f64 v[171:172], v[139:140], v[171:172]
	s_waitcnt vmcnt(56)
	v_fma_f64 v[167:168], v[1:2], v[173:174], -v[167:168]
	v_add_f64 v[149:150], v[149:150], v[163:164]
	v_fma_f64 v[163:164], v[3:4], v[173:174], v[214:215]
	v_add_f64 v[141:142], v[141:142], v[151:152]
	s_clause 0x4
	buffer_load_dword v152, off, s[0:3], 0 offset:524
	buffer_load_dword v173, off, s[0:3], 0 offset:536
	;; [unrolled: 1-line block ×5, first 2 shown]
	s_waitcnt vmcnt(57) lgkmcnt(0)
	v_mul_f64 v[220:221], v[5:6], v[175:176]
	v_mul_f64 v[175:176], v[7:8], v[175:176]
	s_waitcnt vmcnt(56)
	v_fma_f64 v[171:172], v[137:138], v[159:160], -v[171:172]
	ds_read_b128 v[1:4], v198 offset:1312
	v_fma_f64 v[157:158], v[139:140], v[159:160], v[157:158]
	s_clause 0x2
	buffer_load_dword v174, off, s[0:3], 0 offset:540
	buffer_load_dword v160, off, s[0:3], 0 offset:516
	;; [unrolled: 1-line block ×3, first 2 shown]
	ds_read_b128 v[137:140], v198 offset:1328
	v_add_f64 v[149:150], v[149:150], v[167:168]
	v_add_f64 v[141:142], v[141:142], v[163:164]
	s_waitcnt vmcnt(58) lgkmcnt(1)
	v_mul_f64 v[167:168], v[3:4], v[179:180]
	s_waitcnt vmcnt(56)
	v_fma_f64 v[175:176], v[5:6], v[181:182], -v[175:176]
	v_mul_f64 v[163:164], v[1:2], v[179:180]
	v_add_f64 v[149:150], v[149:150], v[171:172]
	v_fma_f64 v[171:172], v[7:8], v[181:182], v[220:221]
	v_add_f64 v[141:142], v[141:142], v[157:158]
	s_clause 0x4
	buffer_load_dword v158, off, s[0:3], 0 offset:556
	buffer_load_dword v179, off, s[0:3], 0 offset:568
	;; [unrolled: 1-line block ×5, first 2 shown]
	s_waitcnt vmcnt(57) lgkmcnt(0)
	v_mul_f64 v[220:221], v[137:138], v[183:184]
	v_mul_f64 v[182:183], v[139:140], v[183:184]
	s_waitcnt vmcnt(56)
	v_fma_f64 v[167:168], v[1:2], v[169:170], -v[167:168]
	ds_read_b128 v[5:8], v198 offset:1344
	v_fma_f64 v[163:164], v[3:4], v[169:170], v[163:164]
	s_clause 0x2
	buffer_load_dword v180, off, s[0:3], 0 offset:572
	buffer_load_dword v170, off, s[0:3], 0 offset:548
	buffer_load_dword v169, off, s[0:3], 0 offset:544
	ds_read_b128 v[1:4], v198 offset:1360
	v_add_f64 v[149:150], v[149:150], v[175:176]
	v_add_f64 v[141:142], v[141:142], v[171:172]
	s_waitcnt vmcnt(58) lgkmcnt(1)
	v_mul_f64 v[175:176], v[7:8], v[187:188]
	s_waitcnt vmcnt(56)
	v_fma_f64 v[183:184], v[137:138], v[189:190], -v[182:183]
	v_mul_f64 v[171:172], v[5:6], v[187:188]
	v_add_f64 v[149:150], v[149:150], v[167:168]
	v_fma_f64 v[167:168], v[139:140], v[189:190], v[220:221]
	v_add_f64 v[141:142], v[141:142], v[163:164]
	s_clause 0x4
	buffer_load_dword v164, off, s[0:3], 0 offset:588
	buffer_load_dword v187, off, s[0:3], 0 offset:600
	;; [unrolled: 1-line block ×5, first 2 shown]
	s_waitcnt vmcnt(57) lgkmcnt(0)
	v_mul_f64 v[220:221], v[1:2], v[191:192]
	v_mul_f64 v[190:191], v[3:4], v[191:192]
	s_waitcnt vmcnt(56)
	v_fma_f64 v[175:176], v[5:6], v[177:178], -v[175:176]
	ds_read_b128 v[137:140], v198 offset:1376
	v_fma_f64 v[171:172], v[7:8], v[177:178], v[171:172]
	v_add_f64 v[149:150], v[149:150], v[183:184]
	v_add_f64 v[141:142], v[141:142], v[167:168]
	s_clause 0x2
	buffer_load_dword v188, off, s[0:3], 0 offset:604
	buffer_load_dword v168, off, s[0:3], 0 offset:580
	;; [unrolled: 1-line block ×3, first 2 shown]
	ds_read_b128 v[5:8], v198 offset:1392
	s_waitcnt vmcnt(58) lgkmcnt(1)
	v_mul_f64 v[183:184], v[139:140], v[193:194]
	s_waitcnt vmcnt(56)
	v_fma_f64 v[191:192], v[1:2], v[195:196], -v[190:191]
	v_mul_f64 v[177:178], v[137:138], v[193:194]
	v_add_f64 v[149:150], v[149:150], v[175:176]
	v_fma_f64 v[175:176], v[3:4], v[195:196], v[220:221]
	v_add_f64 v[141:142], v[141:142], v[171:172]
	s_clause 0x4
	buffer_load_dword v172, off, s[0:3], 0 offset:620
	buffer_load_dword v193, off, s[0:3], 0 offset:632
	;; [unrolled: 1-line block ×5, first 2 shown]
	s_waitcnt vmcnt(57) lgkmcnt(0)
	v_mul_f64 v[220:221], v[5:6], v[205:206]
	v_mul_f64 v[205:206], v[7:8], v[205:206]
	s_waitcnt vmcnt(56)
	v_fma_f64 v[183:184], v[137:138], v[185:186], -v[183:184]
	ds_read_b128 v[1:4], v198 offset:1408
	v_fma_f64 v[177:178], v[139:140], v[185:186], v[177:178]
	v_add_f64 v[149:150], v[149:150], v[191:192]
	v_add_f64 v[141:142], v[141:142], v[175:176]
	s_clause 0x2
	buffer_load_dword v194, off, s[0:3], 0 offset:636
	buffer_load_dword v176, off, s[0:3], 0 offset:612
	;; [unrolled: 1-line block ×3, first 2 shown]
	ds_read_b128 v[137:140], v198 offset:1424
	s_waitcnt vmcnt(58) lgkmcnt(1)
	v_mul_f64 v[191:192], v[3:4], v[207:208]
	v_mul_f64 v[185:186], v[1:2], v[207:208]
	s_waitcnt vmcnt(56)
	v_fma_f64 v[205:206], v[5:6], v[145:146], -v[205:206]
	v_fma_f64 v[145:146], v[7:8], v[145:146], v[220:221]
	v_add_f64 v[149:150], v[149:150], v[183:184]
	v_add_f64 v[141:142], v[141:142], v[177:178]
	s_clause 0x4
	buffer_load_dword v178, off, s[0:3], 0 offset:652
	buffer_load_dword v183, off, s[0:3], 0 offset:664
	;; [unrolled: 1-line block ×5, first 2 shown]
	ds_read_b128 v[5:8], v198 offset:1440
	s_waitcnt vmcnt(57) lgkmcnt(1)
	v_mul_f64 v[220:221], v[137:138], v[143:144]
	v_mul_f64 v[143:144], v[139:140], v[143:144]
	s_waitcnt vmcnt(56)
	v_fma_f64 v[191:192], v[1:2], v[209:210], -v[191:192]
	v_fma_f64 v[185:186], v[3:4], v[209:210], v[185:186]
	v_add_f64 v[149:150], v[149:150], v[205:206]
	v_add_f64 v[141:142], v[141:142], v[145:146]
	s_clause 0x2
	buffer_load_dword v184, off, s[0:3], 0 offset:668
	buffer_load_dword v146, off, s[0:3], 0 offset:644
	;; [unrolled: 1-line block ×3, first 2 shown]
	s_waitcnt vmcnt(58) lgkmcnt(0)
	v_mul_f64 v[209:210], v[7:8], v[211:212]
	ds_read_b128 v[1:4], v198 offset:1456
	v_mul_f64 v[205:206], v[5:6], v[211:212]
	s_waitcnt vmcnt(56)
	v_fma_f64 v[143:144], v[137:138], v[201:202], -v[143:144]
	v_add_f64 v[149:150], v[149:150], v[191:192]
	v_fma_f64 v[191:192], v[139:140], v[201:202], v[220:221]
	v_add_f64 v[141:142], v[141:142], v[185:186]
	s_clause 0x4
	buffer_load_dword v186, off, s[0:3], 0 offset:684
	buffer_load_dword v201, off, s[0:3], 0 offset:696
	;; [unrolled: 1-line block ×5, first 2 shown]
	ds_read_b128 v[137:140], v198 offset:1472
	s_waitcnt vmcnt(57) lgkmcnt(1)
	v_mul_f64 v[220:221], v[1:2], v[161:162]
	v_mul_f64 v[161:162], v[3:4], v[161:162]
	s_waitcnt vmcnt(56)
	v_fma_f64 v[209:210], v[5:6], v[216:217], -v[209:210]
	v_add_f64 v[143:144], v[149:150], v[143:144]
	v_fma_f64 v[149:150], v[7:8], v[216:217], v[205:206]
	v_add_f64 v[141:142], v[141:142], v[191:192]
	s_clause 0x2
	buffer_load_dword v202, off, s[0:3], 0 offset:700
	buffer_load_dword v192, off, s[0:3], 0 offset:676
	;; [unrolled: 1-line block ×3, first 2 shown]
	ds_read_b128 v[5:8], v198 offset:1488
	s_waitcnt vmcnt(58) lgkmcnt(1)
	v_mul_f64 v[205:206], v[137:138], v[203:204]
	v_mul_f64 v[203:204], v[139:140], v[203:204]
	s_waitcnt vmcnt(56)
	v_fma_f64 v[161:162], v[1:2], v[155:156], -v[161:162]
	v_fma_f64 v[155:156], v[3:4], v[155:156], v[220:221]
	v_add_f64 v[143:144], v[143:144], v[209:210]
	v_add_f64 v[141:142], v[141:142], v[149:150]
	s_clause 0x4
	buffer_load_dword v150, off, s[0:3], 0 offset:716
	buffer_load_dword v209, off, s[0:3], 0 offset:728
	;; [unrolled: 1-line block ×5, first 2 shown]
	ds_read_b128 v[1:4], v198 offset:1504
	s_waitcnt vmcnt(57) lgkmcnt(1)
	v_mul_f64 v[216:217], v[5:6], v[147:148]
	v_mul_f64 v[147:148], v[7:8], v[147:148]
	s_waitcnt vmcnt(56)
	v_fma_f64 v[203:204], v[137:138], v[218:219], -v[203:204]
	v_add_f64 v[143:144], v[143:144], v[161:162]
	v_fma_f64 v[161:162], v[139:140], v[218:219], v[205:206]
	v_add_f64 v[141:142], v[141:142], v[155:156]
	s_clause 0x2
	buffer_load_dword v210, off, s[0:3], 0 offset:732
	buffer_load_dword v156, off, s[0:3], 0 offset:708
	;; [unrolled: 1-line block ×3, first 2 shown]
	ds_read_b128 v[137:140], v198 offset:1520
	s_waitcnt vmcnt(58) lgkmcnt(1)
	v_mul_f64 v[205:206], v[1:2], v[165:166]
	v_mul_f64 v[165:166], v[3:4], v[165:166]
	s_waitcnt vmcnt(56)
	v_fma_f64 v[147:148], v[5:6], v[153:154], -v[147:148]
	v_fma_f64 v[153:154], v[7:8], v[153:154], v[216:217]
	v_add_f64 v[143:144], v[143:144], v[203:204]
	v_add_f64 v[141:142], v[141:142], v[161:162]
	s_clause 0x4
	buffer_load_dword v162, off, s[0:3], 0 offset:748
	buffer_load_dword v203, off, s[0:3], 0 offset:760
	;; [unrolled: 1-line block ×5, first 2 shown]
	ds_read_b128 v[5:8], v198 offset:1536
	s_waitcnt vmcnt(57) lgkmcnt(1)
	v_mul_f64 v[218:219], v[137:138], v[151:152]
	v_mul_f64 v[151:152], v[139:140], v[151:152]
	s_waitcnt vmcnt(56)
	v_fma_f64 v[165:166], v[1:2], v[213:214], -v[165:166]
	v_add_f64 v[143:144], v[143:144], v[147:148]
	v_fma_f64 v[147:148], v[3:4], v[213:214], v[205:206]
	v_add_f64 v[141:142], v[141:142], v[153:154]
	s_clause 0x2
	buffer_load_dword v204, off, s[0:3], 0 offset:764
	buffer_load_dword v154, off, s[0:3], 0 offset:740
	;; [unrolled: 1-line block ×3, first 2 shown]
	s_waitcnt vmcnt(58) lgkmcnt(0)
	v_mul_f64 v[205:206], v[5:6], v[173:174]
	v_mul_f64 v[173:174], v[7:8], v[173:174]
	ds_read_b128 v[1:4], v198 offset:1552
	s_waitcnt vmcnt(56)
	v_fma_f64 v[151:152], v[137:138], v[159:160], -v[151:152]
	v_fma_f64 v[159:160], v[139:140], v[159:160], v[218:219]
	v_add_f64 v[143:144], v[143:144], v[165:166]
	v_add_f64 v[141:142], v[141:142], v[147:148]
	s_clause 0x4
	buffer_load_dword v148, off, s[0:3], 0 offset:780
	buffer_load_dword v165, off, s[0:3], 0 offset:792
	;; [unrolled: 1-line block ×5, first 2 shown]
	ds_read_b128 v[137:140], v198 offset:1568
	s_waitcnt vmcnt(57) lgkmcnt(1)
	v_mul_f64 v[219:220], v[1:2], v[157:158]
	v_mul_f64 v[157:158], v[3:4], v[157:158]
	s_waitcnt vmcnt(56)
	v_fma_f64 v[173:174], v[5:6], v[199:200], -v[173:174]
	v_add_f64 v[143:144], v[143:144], v[151:152]
	v_fma_f64 v[151:152], v[7:8], v[199:200], v[205:206]
	v_add_f64 v[141:142], v[141:142], v[159:160]
	s_clause 0x2
	buffer_load_dword v166, off, s[0:3], 0 offset:796
	buffer_load_dword v160, off, s[0:3], 0 offset:772
	;; [unrolled: 1-line block ×3, first 2 shown]
	s_waitcnt vmcnt(58) lgkmcnt(0)
	v_mul_f64 v[199:200], v[137:138], v[179:180]
	v_mul_f64 v[179:180], v[139:140], v[179:180]
	ds_read_b128 v[5:8], v198 offset:1584
	s_waitcnt vmcnt(56)
	v_fma_f64 v[157:158], v[1:2], v[169:170], -v[157:158]
	v_fma_f64 v[169:170], v[3:4], v[169:170], v[219:220]
	v_add_f64 v[143:144], v[143:144], v[173:174]
	v_add_f64 v[141:142], v[141:142], v[151:152]
	s_clause 0x4
	buffer_load_dword v152, off, s[0:3], 0 offset:812
	buffer_load_dword v173, off, s[0:3], 0 offset:824
	buffer_load_dword v205, off, s[0:3], 0 offset:816
	buffer_load_dword v151, off, s[0:3], 0 offset:808
	buffer_load_dword v214, off, s[0:3], 0 offset:788
	ds_read_b128 v[1:4], v198 offset:1600
	s_waitcnt vmcnt(57) lgkmcnt(1)
	v_mul_f64 v[219:220], v[5:6], v[163:164]
	v_mul_f64 v[163:164], v[7:8], v[163:164]
	s_waitcnt vmcnt(56)
	v_fma_f64 v[179:180], v[137:138], v[181:182], -v[179:180]
	v_add_f64 v[143:144], v[143:144], v[157:158]
	v_fma_f64 v[157:158], v[139:140], v[181:182], v[199:200]
	v_add_f64 v[141:142], v[141:142], v[169:170]
	s_clause 0x2
	buffer_load_dword v174, off, s[0:3], 0 offset:828
	buffer_load_dword v170, off, s[0:3], 0 offset:804
	buffer_load_dword v169, off, s[0:3], 0 offset:800
	ds_read_b128 v[137:140], v198 offset:1616
	s_waitcnt vmcnt(58) lgkmcnt(1)
	v_mul_f64 v[181:182], v[1:2], v[187:188]
	v_mul_f64 v[187:188], v[3:4], v[187:188]
	s_waitcnt vmcnt(56)
	v_fma_f64 v[163:164], v[5:6], v[167:168], -v[163:164]
	v_fma_f64 v[167:168], v[7:8], v[167:168], v[219:220]
	v_add_f64 v[143:144], v[143:144], v[179:180]
	v_add_f64 v[141:142], v[141:142], v[157:158]
	s_clause 0x4
	buffer_load_dword v158, off, s[0:3], 0 offset:844
	buffer_load_dword v179, off, s[0:3], 0 offset:856
	buffer_load_dword v199, off, s[0:3], 0 offset:848
	buffer_load_dword v157, off, s[0:3], 0 offset:840
	buffer_load_dword v206, off, s[0:3], 0 offset:820
	ds_read_b128 v[5:8], v198 offset:1632
	s_waitcnt vmcnt(57) lgkmcnt(1)
	v_mul_f64 v[219:220], v[137:138], v[171:172]
	v_mul_f64 v[171:172], v[139:140], v[171:172]
	s_waitcnt vmcnt(56)
	v_fma_f64 v[187:188], v[1:2], v[189:190], -v[187:188]
	v_add_f64 v[143:144], v[143:144], v[163:164]
	v_fma_f64 v[163:164], v[3:4], v[189:190], v[181:182]
	v_add_f64 v[141:142], v[141:142], v[167:168]
	s_clause 0x2
	buffer_load_dword v180, off, s[0:3], 0 offset:860
	buffer_load_dword v168, off, s[0:3], 0 offset:836
	buffer_load_dword v167, off, s[0:3], 0 offset:832
	ds_read_b128 v[1:4], v198 offset:1648
	s_waitcnt vmcnt(58) lgkmcnt(1)
	v_mul_f64 v[189:190], v[7:8], v[193:194]
	v_mul_f64 v[181:182], v[5:6], v[193:194]
	;; [unrolled: 28-line block ×4, first 2 shown]
	s_waitcnt vmcnt(56)
	v_fma_f64 v[185:186], v[5:6], v[191:192], -v[185:186]
	v_add_f64 v[143:144], v[143:144], v[183:184]
	v_fma_f64 v[183:184], v[7:8], v[191:192], v[219:220]
	v_add_f64 v[141:142], v[141:142], v[177:178]
	s_clause 0x4
	buffer_load_dword v178, off, s[0:3], 0 offset:940
	buffer_load_dword v191, off, s[0:3], 0 offset:952
	;; [unrolled: 1-line block ×5, first 2 shown]
	ds_read_b128 v[5:8], v198 offset:1728
	s_waitcnt vmcnt(57) lgkmcnt(1)
	v_mul_f64 v[219:220], v[137:138], v[149:150]
	v_mul_f64 v[149:150], v[139:140], v[149:150]
	s_waitcnt vmcnt(56)
	v_fma_f64 v[201:202], v[1:2], v[211:212], -v[201:202]
	v_fma_f64 v[181:182], v[3:4], v[211:212], v[181:182]
	v_add_f64 v[143:144], v[143:144], v[185:186]
	v_add_f64 v[141:142], v[141:142], v[183:184]
	s_clause 0x2
	buffer_load_dword v192, off, s[0:3], 0 offset:956
	buffer_load_dword v184, off, s[0:3], 0 offset:932
	;; [unrolled: 1-line block ×3, first 2 shown]
	ds_read_b128 v[1:4], v198 offset:1744
	s_waitcnt vmcnt(58) lgkmcnt(1)
	v_mul_f64 v[185:186], v[5:6], v[209:210]
	v_mul_f64 v[209:210], v[7:8], v[209:210]
	s_waitcnt vmcnt(56)
	v_fma_f64 v[149:150], v[137:138], v[155:156], -v[149:150]
	v_fma_f64 v[155:156], v[139:140], v[155:156], v[219:220]
	v_add_f64 v[143:144], v[143:144], v[201:202]
	v_add_f64 v[141:142], v[141:142], v[181:182]
	s_clause 0x4
	buffer_load_dword v182, off, s[0:3], 0 offset:972
	buffer_load_dword v201, off, s[0:3], 0 offset:984
	;; [unrolled: 1-line block ×5, first 2 shown]
	ds_read_b128 v[137:140], v198 offset:1760
	s_waitcnt vmcnt(57) lgkmcnt(1)
	v_mul_f64 v[219:220], v[1:2], v[161:162]
	v_mul_f64 v[161:162], v[3:4], v[161:162]
	s_waitcnt vmcnt(56)
	v_fma_f64 v[209:210], v[5:6], v[215:216], -v[209:210]
	v_add_f64 v[143:144], v[143:144], v[149:150]
	v_fma_f64 v[149:150], v[7:8], v[215:216], v[185:186]
	v_add_f64 v[141:142], v[141:142], v[155:156]
	s_clause 0x2
	buffer_load_dword v202, off, s[0:3], 0 offset:988
	buffer_load_dword v156, off, s[0:3], 0 offset:964
	;; [unrolled: 1-line block ×3, first 2 shown]
	ds_read_b128 v[5:8], v198 offset:1776
	s_waitcnt vmcnt(58) lgkmcnt(1)
	v_mul_f64 v[185:186], v[137:138], v[203:204]
	v_mul_f64 v[203:204], v[139:140], v[203:204]
	s_waitcnt vmcnt(56)
	v_fma_f64 v[161:162], v[1:2], v[153:154], -v[161:162]
	v_fma_f64 v[153:154], v[3:4], v[153:154], v[219:220]
	v_add_f64 v[143:144], v[143:144], v[209:210]
	v_add_f64 v[141:142], v[141:142], v[149:150]
	s_clause 0x4
	buffer_load_dword v150, off, s[0:3], 0 offset:1004
	buffer_load_dword v209, off, s[0:3], 0 offset:1016
	;; [unrolled: 1-line block ×5, first 2 shown]
	ds_read_b128 v[1:4], v198 offset:1792
	s_waitcnt vmcnt(57) lgkmcnt(1)
	v_mul_f64 v[219:220], v[5:6], v[147:148]
	v_mul_f64 v[147:148], v[7:8], v[147:148]
	s_waitcnt vmcnt(56)
	v_fma_f64 v[203:204], v[137:138], v[217:218], -v[203:204]
	v_add_f64 v[143:144], v[143:144], v[161:162]
	v_fma_f64 v[161:162], v[139:140], v[217:218], v[185:186]
	v_add_f64 v[141:142], v[141:142], v[153:154]
	s_clause 0x2
	buffer_load_dword v210, off, s[0:3], 0 offset:1020
	buffer_load_dword v154, off, s[0:3], 0 offset:996
	;; [unrolled: 1-line block ×3, first 2 shown]
	ds_read_b128 v[137:140], v198 offset:1808
	s_waitcnt vmcnt(58) lgkmcnt(1)
	v_mul_f64 v[185:186], v[1:2], v[165:166]
	v_mul_f64 v[165:166], v[3:4], v[165:166]
	s_waitcnt vmcnt(56)
	v_fma_f64 v[147:148], v[5:6], v[159:160], -v[147:148]
	v_fma_f64 v[159:160], v[7:8], v[159:160], v[219:220]
	v_add_f64 v[143:144], v[143:144], v[203:204]
	v_add_f64 v[141:142], v[141:142], v[161:162]
	s_clause 0x2
	buffer_load_dword v162, off, s[0:3], 0 offset:1036
	buffer_load_dword v161, off, s[0:3], 0 offset:1032
	;; [unrolled: 1-line block ×3, first 2 shown]
	ds_read_b128 v[5:8], v198 offset:1824
	s_waitcnt vmcnt(55) lgkmcnt(1)
	v_mul_f64 v[203:204], v[137:138], v[151:152]
	v_mul_f64 v[151:152], v[139:140], v[151:152]
	s_waitcnt vmcnt(54)
	v_fma_f64 v[165:166], v[1:2], v[213:214], -v[165:166]
	v_add_f64 v[143:144], v[143:144], v[147:148]
	v_fma_f64 v[147:148], v[3:4], v[213:214], v[185:186]
	v_add_f64 v[141:142], v[141:142], v[159:160]
	s_clause 0x1
	buffer_load_dword v160, off, s[0:3], 0 offset:1028
	buffer_load_dword v159, off, s[0:3], 0 offset:1024
	ds_read_b128 v[1:4], v198 offset:1840
	s_waitcnt vmcnt(55) lgkmcnt(1)
	v_mul_f64 v[185:186], v[5:6], v[173:174]
	v_mul_f64 v[173:174], v[7:8], v[173:174]
	s_waitcnt vmcnt(53)
	v_fma_f64 v[151:152], v[137:138], v[169:170], -v[151:152]
	v_add_f64 v[143:144], v[143:144], v[165:166]
	v_fma_f64 v[165:166], v[139:140], v[169:170], v[203:204]
	v_add_f64 v[141:142], v[141:142], v[147:148]
	ds_read_b128 v[137:140], v198 offset:1856
	s_waitcnt vmcnt(49) lgkmcnt(1)
	v_mul_f64 v[147:148], v[1:2], v[157:158]
	v_mul_f64 v[157:158], v[3:4], v[157:158]
	s_waitcnt vmcnt(48)
	v_fma_f64 v[169:170], v[5:6], v[205:206], -v[173:174]
	v_add_f64 v[143:144], v[143:144], v[151:152]
	v_fma_f64 v[151:152], v[7:8], v[205:206], v[185:186]
	v_add_f64 v[141:142], v[141:142], v[165:166]
	s_clause 0x3
	buffer_load_dword v165, off, s[0:3], 0 offset:128
	buffer_load_dword v166, off, s[0:3], 0 offset:132
	;; [unrolled: 1-line block ×4, first 2 shown]
	ds_read_b128 v[5:8], v198 offset:1872
	s_waitcnt vmcnt(51) lgkmcnt(1)
	v_mul_f64 v[185:186], v[137:138], v[179:180]
	v_mul_f64 v[179:180], v[139:140], v[179:180]
	s_waitcnt vmcnt(49)
	v_fma_f64 v[157:158], v[1:2], v[167:168], -v[157:158]
	v_fma_f64 v[147:148], v[3:4], v[167:168], v[147:148]
	ds_read_b128 v[1:4], v198 offset:1888
	v_add_f64 v[143:144], v[143:144], v[169:170]
	v_add_f64 v[141:142], v[141:142], v[151:152]
	s_waitcnt vmcnt(45) lgkmcnt(1)
	v_mul_f64 v[151:152], v[5:6], v[163:164]
	v_mul_f64 v[163:164], v[7:8], v[163:164]
	s_waitcnt vmcnt(44)
	v_fma_f64 v[167:168], v[137:138], v[199:200], -v[179:180]
	v_add_f64 v[143:144], v[143:144], v[157:158]
	v_fma_f64 v[157:158], v[139:140], v[199:200], v[185:186]
	v_add_f64 v[141:142], v[141:142], v[147:148]
	ds_read_b128 v[137:140], v198 offset:1904
	s_waitcnt vmcnt(43) lgkmcnt(1)
	v_mul_f64 v[169:170], v[3:4], v[187:188]
	v_mul_f64 v[147:148], v[1:2], v[187:188]
	s_waitcnt vmcnt(41)
	v_fma_f64 v[163:164], v[5:6], v[175:176], -v[163:164]
	v_fma_f64 v[151:152], v[7:8], v[175:176], v[151:152]
	ds_read_b128 v[5:8], v198 offset:1920
	v_add_f64 v[143:144], v[143:144], v[167:168]
	v_add_f64 v[141:142], v[141:142], v[157:158]
	s_waitcnt vmcnt(37) lgkmcnt(1)
	v_mul_f64 v[167:168], v[139:140], v[171:172]
	s_waitcnt vmcnt(36)
	v_fma_f64 v[169:170], v[1:2], v[193:194], -v[169:170]
	v_mul_f64 v[157:158], v[137:138], v[171:172]
	v_fma_f64 v[147:148], v[3:4], v[193:194], v[147:148]
	ds_read_b128 v[1:4], v198 offset:1936
	v_add_f64 v[143:144], v[143:144], v[163:164]
	v_add_f64 v[141:142], v[141:142], v[151:152]
	s_waitcnt vmcnt(35) lgkmcnt(1)
	v_mul_f64 v[163:164], v[7:8], v[189:190]
	v_mul_f64 v[151:152], v[5:6], v[189:190]
	s_waitcnt vmcnt(33)
	v_fma_f64 v[167:168], v[137:138], v[145:146], -v[167:168]
	v_fma_f64 v[145:146], v[139:140], v[145:146], v[157:158]
	ds_read_b128 v[137:140], v198 offset:1952
	v_add_f64 v[143:144], v[143:144], v[169:170]
	v_add_f64 v[141:142], v[141:142], v[147:148]
	s_waitcnt vmcnt(29) lgkmcnt(1)
	v_mul_f64 v[157:158], v[3:4], v[177:178]
	s_waitcnt vmcnt(28)
	v_fma_f64 v[163:164], v[5:6], v[195:196], -v[163:164]
	v_mul_f64 v[147:148], v[1:2], v[177:178]
	v_fma_f64 v[151:152], v[7:8], v[195:196], v[151:152]
	ds_read_b128 v[5:8], v198 offset:1968
	v_add_f64 v[143:144], v[143:144], v[167:168]
	v_add_f64 v[141:142], v[141:142], v[145:146]
	;; [unrolled: 18-line block ×3, first 2 shown]
	s_waitcnt vmcnt(19) lgkmcnt(1)
	v_mul_f64 v[157:158], v[3:4], v[201:202]
	v_mul_f64 v[147:148], v[1:2], v[201:202]
	s_waitcnt vmcnt(17)
	v_fma_f64 v[163:164], v[5:6], v[155:156], -v[163:164]
	v_fma_f64 v[151:152], v[7:8], v[155:156], v[151:152]
	ds_read_b128 v[5:8], v198 offset:2016
	v_add_f64 v[143:144], v[143:144], v[167:168]
	v_add_f64 v[141:142], v[141:142], v[145:146]
	s_waitcnt vmcnt(13) lgkmcnt(1)
	v_mul_f64 v[145:146], v[137:138], v[149:150]
	v_mul_f64 v[149:150], v[139:140], v[149:150]
	s_waitcnt vmcnt(12)
	v_fma_f64 v[155:156], v[1:2], v[211:212], -v[157:158]
	v_fma_f64 v[147:148], v[3:4], v[211:212], v[147:148]
	ds_read_b128 v[1:4], v198 offset:2032
	v_add_f64 v[143:144], v[143:144], v[163:164]
	v_add_f64 v[141:142], v[141:142], v[151:152]
	s_waitcnt vmcnt(11) lgkmcnt(1)
	v_mul_f64 v[157:158], v[7:8], v[209:210]
	v_mul_f64 v[151:152], v[5:6], v[209:210]
	s_waitcnt vmcnt(9)
	v_fma_f64 v[137:138], v[137:138], v[153:154], -v[149:150]
	v_fma_f64 v[139:140], v[139:140], v[153:154], v[145:146]
	v_add_f64 v[143:144], v[143:144], v[155:156]
	v_add_f64 v[141:142], v[141:142], v[147:148]
	s_waitcnt vmcnt(7) lgkmcnt(0)
	v_mul_f64 v[147:148], v[3:4], v[161:162]
	s_waitcnt vmcnt(6)
	v_fma_f64 v[5:6], v[5:6], v[215:216], -v[157:158]
	v_mul_f64 v[145:146], v[1:2], v[161:162]
	v_fma_f64 v[7:8], v[7:8], v[215:216], v[151:152]
	v_add_f64 v[137:138], v[143:144], v[137:138]
	v_add_f64 v[139:140], v[141:142], v[139:140]
	s_waitcnt vmcnt(4)
	v_fma_f64 v[1:2], v[1:2], v[159:160], -v[147:148]
	v_fma_f64 v[3:4], v[3:4], v[159:160], v[145:146]
	v_add_f64 v[5:6], v[137:138], v[5:6]
	v_add_f64 v[7:8], v[139:140], v[7:8]
	;; [unrolled: 1-line block ×4, first 2 shown]
	s_waitcnt vmcnt(2)
	v_add_f64 v[1:2], v[165:166], -v[1:2]
	s_waitcnt vmcnt(0)
	v_add_f64 v[3:4], v[173:174], -v[3:4]
	buffer_store_dword v2, off, s[0:3], 0 offset:132
	buffer_store_dword v1, off, s[0:3], 0 offset:128
	;; [unrolled: 1-line block ×4, first 2 shown]
	v_cmpx_lt_u32_e32 6, v0
	s_cbranch_execz .LBB127_397
; %bb.396:
	v_mov_b32_e32 v4, s72
	v_mov_b32_e32 v5, 0
	s_clause 0x3
	buffer_load_dword v1, v4, s[0:3], 0 offen
	buffer_load_dword v2, v4, s[0:3], 0 offen offset:4
	buffer_load_dword v3, v4, s[0:3], 0 offen offset:8
	;; [unrolled: 1-line block ×3, first 2 shown]
	buffer_store_dword v5, off, s[0:3], 0 offset:112
	buffer_store_dword v5, off, s[0:3], 0 offset:116
	;; [unrolled: 1-line block ×4, first 2 shown]
	s_waitcnt vmcnt(0)
	ds_write_b128 v197, v[1:4]
.LBB127_397:
	s_or_b32 exec_lo, exec_lo, s4
	s_waitcnt lgkmcnt(0)
	s_waitcnt_vscnt null, 0x0
	s_barrier
	buffer_gl0_inv
	s_clause 0x37
	buffer_load_dword v145, off, s[0:3], 0 offset:136
	buffer_load_dword v146, off, s[0:3], 0 offset:140
	;; [unrolled: 1-line block ×56, first 2 shown]
	v_mov_b32_e32 v198, 0
	s_mov_b32 s4, exec_lo
	ds_read_b128 v[5:8], v198 offset:1136
	s_clause 0x2
	buffer_load_dword v194, off, s[0:3], 0 offset:364
	buffer_load_dword v196, off, s[0:3], 0 offset:340
	;; [unrolled: 1-line block ×3, first 2 shown]
	ds_read_b128 v[1:4], v198 offset:1152
	s_clause 0x4
	buffer_load_dword v206, off, s[0:3], 0 offset:380
	buffer_load_dword v207, off, s[0:3], 0 offset:392
	;; [unrolled: 1-line block ×5, first 2 shown]
	ds_read_b128 v[199:202], v198 offset:1168
	s_waitcnt vmcnt(62) lgkmcnt(2)
	v_mul_f64 v[203:204], v[7:8], v[145:146]
	v_mul_f64 v[145:146], v[5:6], v[145:146]
	s_waitcnt vmcnt(60) lgkmcnt(1)
	v_mul_f64 v[210:211], v[3:4], v[141:142]
	v_mul_f64 v[141:142], v[1:2], v[141:142]
	;; [unrolled: 3-line block ×3, first 2 shown]
	v_fma_f64 v[203:204], v[5:6], v[143:144], -v[203:204]
	v_fma_f64 v[143:144], v[7:8], v[143:144], v[145:146]
	s_clause 0x2
	buffer_load_dword v208, off, s[0:3], 0 offset:396
	buffer_load_dword v146, off, s[0:3], 0 offset:372
	buffer_load_dword v145, off, s[0:3], 0 offset:368
	s_waitcnt vmcnt(57)
	v_fma_f64 v[214:215], v[1:2], v[137:138], -v[210:211]
	ds_read_b128 v[5:8], v198 offset:1184
	v_fma_f64 v[137:138], v[3:4], v[137:138], v[141:142]
	s_waitcnt vmcnt(51)
	v_fma_f64 v[199:200], v[199:200], v[161:162], -v[139:140]
	v_fma_f64 v[161:162], v[201:202], v[161:162], v[212:213]
	v_add_f64 v[203:204], v[203:204], 0
	v_add_f64 v[141:142], v[143:144], 0
	s_clause 0x4
	buffer_load_dword v144, off, s[0:3], 0 offset:412
	buffer_load_dword v211, off, s[0:3], 0 offset:424
	;; [unrolled: 1-line block ×5, first 2 shown]
	s_waitcnt lgkmcnt(0)
	v_mul_f64 v[217:218], v[5:6], v[149:150]
	v_mul_f64 v[149:150], v[7:8], v[149:150]
	ds_read_b128 v[1:4], v198 offset:1200
	s_clause 0x2
	buffer_load_dword v212, off, s[0:3], 0 offset:428
	buffer_load_dword v202, off, s[0:3], 0 offset:404
	;; [unrolled: 1-line block ×3, first 2 shown]
	v_add_f64 v[203:204], v[203:204], v[214:215]
	v_add_f64 v[141:142], v[141:142], v[137:138]
	ds_read_b128 v[137:140], v198 offset:1216
	s_waitcnt vmcnt(58) lgkmcnt(1)
	v_mul_f64 v[213:214], v[1:2], v[153:154]
	v_mul_f64 v[153:154], v[3:4], v[153:154]
	s_waitcnt vmcnt(56)
	v_fma_f64 v[149:150], v[5:6], v[155:156], -v[149:150]
	v_fma_f64 v[155:156], v[7:8], v[155:156], v[217:218]
	s_waitcnt vmcnt(52) lgkmcnt(0)
	v_mul_f64 v[219:220], v[137:138], v[157:158]
	v_add_f64 v[199:200], v[203:204], v[199:200]
	v_add_f64 v[141:142], v[141:142], v[161:162]
	s_clause 0x4
	buffer_load_dword v162, off, s[0:3], 0 offset:444
	buffer_load_dword v203, off, s[0:3], 0 offset:456
	;; [unrolled: 1-line block ×5, first 2 shown]
	v_mul_f64 v[157:158], v[139:140], v[157:158]
	s_waitcnt vmcnt(56)
	v_fma_f64 v[153:154], v[1:2], v[147:148], -v[153:154]
	ds_read_b128 v[5:8], v198 offset:1232
	v_fma_f64 v[147:148], v[3:4], v[147:148], v[213:214]
	v_add_f64 v[149:150], v[199:200], v[149:150]
	v_add_f64 v[141:142], v[141:142], v[155:156]
	s_clause 0x2
	buffer_load_dword v204, off, s[0:3], 0 offset:460
	buffer_load_dword v156, off, s[0:3], 0 offset:436
	;; [unrolled: 1-line block ×3, first 2 shown]
	s_waitcnt vmcnt(58) lgkmcnt(0)
	v_mul_f64 v[199:200], v[5:6], v[163:164]
	v_mul_f64 v[163:164], v[7:8], v[163:164]
	s_waitcnt vmcnt(56)
	v_fma_f64 v[157:158], v[137:138], v[165:166], -v[157:158]
	ds_read_b128 v[1:4], v198 offset:1248
	v_add_f64 v[149:150], v[149:150], v[153:154]
	v_fma_f64 v[153:154], v[139:140], v[165:166], v[219:220]
	v_add_f64 v[141:142], v[141:142], v[147:148]
	s_clause 0x4
	buffer_load_dword v148, off, s[0:3], 0 offset:476
	buffer_load_dword v165, off, s[0:3], 0 offset:488
	;; [unrolled: 1-line block ×5, first 2 shown]
	s_waitcnt vmcnt(57) lgkmcnt(0)
	v_mul_f64 v[214:215], v[1:2], v[167:168]
	v_mul_f64 v[167:168], v[3:4], v[167:168]
	s_waitcnt vmcnt(56)
	v_fma_f64 v[163:164], v[5:6], v[151:152], -v[163:164]
	ds_read_b128 v[137:140], v198 offset:1264
	v_fma_f64 v[151:152], v[7:8], v[151:152], v[199:200]
	v_add_f64 v[149:150], v[149:150], v[157:158]
	v_add_f64 v[141:142], v[141:142], v[153:154]
	s_clause 0x2
	buffer_load_dword v166, off, s[0:3], 0 offset:492
	buffer_load_dword v154, off, s[0:3], 0 offset:468
	;; [unrolled: 1-line block ×3, first 2 shown]
	ds_read_b128 v[5:8], v198 offset:1280
	s_waitcnt vmcnt(58) lgkmcnt(1)
	v_mul_f64 v[157:158], v[137:138], v[171:172]
	v_mul_f64 v[171:172], v[139:140], v[171:172]
	s_waitcnt vmcnt(56)
	v_fma_f64 v[167:168], v[1:2], v[173:174], -v[167:168]
	v_add_f64 v[149:150], v[149:150], v[163:164]
	v_fma_f64 v[163:164], v[3:4], v[173:174], v[214:215]
	v_add_f64 v[141:142], v[141:142], v[151:152]
	s_clause 0x4
	buffer_load_dword v152, off, s[0:3], 0 offset:508
	buffer_load_dword v173, off, s[0:3], 0 offset:520
	;; [unrolled: 1-line block ×5, first 2 shown]
	s_waitcnt vmcnt(57) lgkmcnt(0)
	v_mul_f64 v[220:221], v[5:6], v[175:176]
	v_mul_f64 v[175:176], v[7:8], v[175:176]
	s_waitcnt vmcnt(56)
	v_fma_f64 v[171:172], v[137:138], v[159:160], -v[171:172]
	ds_read_b128 v[1:4], v198 offset:1296
	v_fma_f64 v[157:158], v[139:140], v[159:160], v[157:158]
	s_clause 0x2
	buffer_load_dword v174, off, s[0:3], 0 offset:524
	buffer_load_dword v160, off, s[0:3], 0 offset:500
	;; [unrolled: 1-line block ×3, first 2 shown]
	ds_read_b128 v[137:140], v198 offset:1312
	v_add_f64 v[149:150], v[149:150], v[167:168]
	v_add_f64 v[141:142], v[141:142], v[163:164]
	s_waitcnt vmcnt(58) lgkmcnt(1)
	v_mul_f64 v[167:168], v[3:4], v[179:180]
	s_waitcnt vmcnt(56)
	v_fma_f64 v[175:176], v[5:6], v[181:182], -v[175:176]
	v_mul_f64 v[163:164], v[1:2], v[179:180]
	v_add_f64 v[149:150], v[149:150], v[171:172]
	v_fma_f64 v[171:172], v[7:8], v[181:182], v[220:221]
	v_add_f64 v[141:142], v[141:142], v[157:158]
	s_clause 0x4
	buffer_load_dword v158, off, s[0:3], 0 offset:540
	buffer_load_dword v179, off, s[0:3], 0 offset:552
	;; [unrolled: 1-line block ×5, first 2 shown]
	s_waitcnt vmcnt(57) lgkmcnt(0)
	v_mul_f64 v[220:221], v[137:138], v[183:184]
	v_mul_f64 v[182:183], v[139:140], v[183:184]
	s_waitcnt vmcnt(56)
	v_fma_f64 v[167:168], v[1:2], v[169:170], -v[167:168]
	ds_read_b128 v[5:8], v198 offset:1328
	v_fma_f64 v[163:164], v[3:4], v[169:170], v[163:164]
	s_clause 0x2
	buffer_load_dword v180, off, s[0:3], 0 offset:556
	buffer_load_dword v170, off, s[0:3], 0 offset:532
	;; [unrolled: 1-line block ×3, first 2 shown]
	ds_read_b128 v[1:4], v198 offset:1344
	v_add_f64 v[149:150], v[149:150], v[175:176]
	v_add_f64 v[141:142], v[141:142], v[171:172]
	s_waitcnt vmcnt(58) lgkmcnt(1)
	v_mul_f64 v[175:176], v[7:8], v[187:188]
	s_waitcnt vmcnt(56)
	v_fma_f64 v[183:184], v[137:138], v[189:190], -v[182:183]
	v_mul_f64 v[171:172], v[5:6], v[187:188]
	v_add_f64 v[149:150], v[149:150], v[167:168]
	v_fma_f64 v[167:168], v[139:140], v[189:190], v[220:221]
	v_add_f64 v[141:142], v[141:142], v[163:164]
	s_clause 0x4
	buffer_load_dword v164, off, s[0:3], 0 offset:572
	buffer_load_dword v187, off, s[0:3], 0 offset:584
	;; [unrolled: 1-line block ×5, first 2 shown]
	s_waitcnt vmcnt(57) lgkmcnt(0)
	v_mul_f64 v[220:221], v[1:2], v[191:192]
	v_mul_f64 v[190:191], v[3:4], v[191:192]
	s_waitcnt vmcnt(56)
	v_fma_f64 v[175:176], v[5:6], v[177:178], -v[175:176]
	ds_read_b128 v[137:140], v198 offset:1360
	v_fma_f64 v[171:172], v[7:8], v[177:178], v[171:172]
	v_add_f64 v[149:150], v[149:150], v[183:184]
	v_add_f64 v[141:142], v[141:142], v[167:168]
	s_clause 0x2
	buffer_load_dword v188, off, s[0:3], 0 offset:588
	buffer_load_dword v168, off, s[0:3], 0 offset:564
	;; [unrolled: 1-line block ×3, first 2 shown]
	ds_read_b128 v[5:8], v198 offset:1376
	s_waitcnt vmcnt(58) lgkmcnt(1)
	v_mul_f64 v[183:184], v[139:140], v[193:194]
	s_waitcnt vmcnt(56)
	v_fma_f64 v[191:192], v[1:2], v[195:196], -v[190:191]
	v_mul_f64 v[177:178], v[137:138], v[193:194]
	v_add_f64 v[149:150], v[149:150], v[175:176]
	v_fma_f64 v[175:176], v[3:4], v[195:196], v[220:221]
	v_add_f64 v[141:142], v[141:142], v[171:172]
	s_clause 0x4
	buffer_load_dword v172, off, s[0:3], 0 offset:604
	buffer_load_dword v193, off, s[0:3], 0 offset:616
	;; [unrolled: 1-line block ×5, first 2 shown]
	s_waitcnt vmcnt(57) lgkmcnt(0)
	v_mul_f64 v[220:221], v[5:6], v[205:206]
	v_mul_f64 v[205:206], v[7:8], v[205:206]
	s_waitcnt vmcnt(56)
	v_fma_f64 v[183:184], v[137:138], v[185:186], -v[183:184]
	ds_read_b128 v[1:4], v198 offset:1392
	v_fma_f64 v[177:178], v[139:140], v[185:186], v[177:178]
	v_add_f64 v[149:150], v[149:150], v[191:192]
	v_add_f64 v[141:142], v[141:142], v[175:176]
	s_clause 0x2
	buffer_load_dword v194, off, s[0:3], 0 offset:620
	buffer_load_dword v176, off, s[0:3], 0 offset:596
	;; [unrolled: 1-line block ×3, first 2 shown]
	ds_read_b128 v[137:140], v198 offset:1408
	s_waitcnt vmcnt(58) lgkmcnt(1)
	v_mul_f64 v[191:192], v[3:4], v[207:208]
	v_mul_f64 v[185:186], v[1:2], v[207:208]
	s_waitcnt vmcnt(56)
	v_fma_f64 v[205:206], v[5:6], v[145:146], -v[205:206]
	v_fma_f64 v[145:146], v[7:8], v[145:146], v[220:221]
	v_add_f64 v[149:150], v[149:150], v[183:184]
	v_add_f64 v[141:142], v[141:142], v[177:178]
	s_clause 0x4
	buffer_load_dword v178, off, s[0:3], 0 offset:636
	buffer_load_dword v183, off, s[0:3], 0 offset:648
	;; [unrolled: 1-line block ×5, first 2 shown]
	ds_read_b128 v[5:8], v198 offset:1424
	s_waitcnt vmcnt(57) lgkmcnt(1)
	v_mul_f64 v[220:221], v[137:138], v[143:144]
	v_mul_f64 v[143:144], v[139:140], v[143:144]
	s_waitcnt vmcnt(56)
	v_fma_f64 v[191:192], v[1:2], v[209:210], -v[191:192]
	v_fma_f64 v[185:186], v[3:4], v[209:210], v[185:186]
	v_add_f64 v[149:150], v[149:150], v[205:206]
	v_add_f64 v[141:142], v[141:142], v[145:146]
	s_clause 0x2
	buffer_load_dword v184, off, s[0:3], 0 offset:652
	buffer_load_dword v146, off, s[0:3], 0 offset:628
	;; [unrolled: 1-line block ×3, first 2 shown]
	s_waitcnt vmcnt(58) lgkmcnt(0)
	v_mul_f64 v[209:210], v[7:8], v[211:212]
	ds_read_b128 v[1:4], v198 offset:1440
	v_mul_f64 v[205:206], v[5:6], v[211:212]
	s_waitcnt vmcnt(56)
	v_fma_f64 v[143:144], v[137:138], v[201:202], -v[143:144]
	v_add_f64 v[149:150], v[149:150], v[191:192]
	v_fma_f64 v[191:192], v[139:140], v[201:202], v[220:221]
	v_add_f64 v[141:142], v[141:142], v[185:186]
	s_clause 0x4
	buffer_load_dword v186, off, s[0:3], 0 offset:668
	buffer_load_dword v201, off, s[0:3], 0 offset:680
	;; [unrolled: 1-line block ×5, first 2 shown]
	ds_read_b128 v[137:140], v198 offset:1456
	s_waitcnt vmcnt(57) lgkmcnt(1)
	v_mul_f64 v[220:221], v[1:2], v[161:162]
	v_mul_f64 v[161:162], v[3:4], v[161:162]
	s_waitcnt vmcnt(56)
	v_fma_f64 v[209:210], v[5:6], v[216:217], -v[209:210]
	v_add_f64 v[143:144], v[149:150], v[143:144]
	v_fma_f64 v[149:150], v[7:8], v[216:217], v[205:206]
	v_add_f64 v[141:142], v[141:142], v[191:192]
	s_clause 0x2
	buffer_load_dword v202, off, s[0:3], 0 offset:684
	buffer_load_dword v192, off, s[0:3], 0 offset:660
	;; [unrolled: 1-line block ×3, first 2 shown]
	ds_read_b128 v[5:8], v198 offset:1472
	s_waitcnt vmcnt(58) lgkmcnt(1)
	v_mul_f64 v[205:206], v[137:138], v[203:204]
	v_mul_f64 v[203:204], v[139:140], v[203:204]
	s_waitcnt vmcnt(56)
	v_fma_f64 v[161:162], v[1:2], v[155:156], -v[161:162]
	v_fma_f64 v[155:156], v[3:4], v[155:156], v[220:221]
	v_add_f64 v[143:144], v[143:144], v[209:210]
	v_add_f64 v[141:142], v[141:142], v[149:150]
	s_clause 0x4
	buffer_load_dword v150, off, s[0:3], 0 offset:700
	buffer_load_dword v209, off, s[0:3], 0 offset:712
	;; [unrolled: 1-line block ×5, first 2 shown]
	ds_read_b128 v[1:4], v198 offset:1488
	s_waitcnt vmcnt(57) lgkmcnt(1)
	v_mul_f64 v[216:217], v[5:6], v[147:148]
	v_mul_f64 v[147:148], v[7:8], v[147:148]
	s_waitcnt vmcnt(56)
	v_fma_f64 v[203:204], v[137:138], v[218:219], -v[203:204]
	v_add_f64 v[143:144], v[143:144], v[161:162]
	v_fma_f64 v[161:162], v[139:140], v[218:219], v[205:206]
	v_add_f64 v[141:142], v[141:142], v[155:156]
	s_clause 0x2
	buffer_load_dword v210, off, s[0:3], 0 offset:716
	buffer_load_dword v156, off, s[0:3], 0 offset:692
	;; [unrolled: 1-line block ×3, first 2 shown]
	ds_read_b128 v[137:140], v198 offset:1504
	s_waitcnt vmcnt(58) lgkmcnt(1)
	v_mul_f64 v[205:206], v[1:2], v[165:166]
	v_mul_f64 v[165:166], v[3:4], v[165:166]
	s_waitcnt vmcnt(56)
	v_fma_f64 v[147:148], v[5:6], v[153:154], -v[147:148]
	v_fma_f64 v[153:154], v[7:8], v[153:154], v[216:217]
	v_add_f64 v[143:144], v[143:144], v[203:204]
	v_add_f64 v[141:142], v[141:142], v[161:162]
	s_clause 0x4
	buffer_load_dword v162, off, s[0:3], 0 offset:732
	buffer_load_dword v203, off, s[0:3], 0 offset:744
	;; [unrolled: 1-line block ×5, first 2 shown]
	ds_read_b128 v[5:8], v198 offset:1520
	s_waitcnt vmcnt(57) lgkmcnt(1)
	v_mul_f64 v[218:219], v[137:138], v[151:152]
	v_mul_f64 v[151:152], v[139:140], v[151:152]
	s_waitcnt vmcnt(56)
	v_fma_f64 v[165:166], v[1:2], v[213:214], -v[165:166]
	v_add_f64 v[143:144], v[143:144], v[147:148]
	v_fma_f64 v[147:148], v[3:4], v[213:214], v[205:206]
	v_add_f64 v[141:142], v[141:142], v[153:154]
	s_clause 0x2
	buffer_load_dword v204, off, s[0:3], 0 offset:748
	buffer_load_dword v154, off, s[0:3], 0 offset:724
	;; [unrolled: 1-line block ×3, first 2 shown]
	s_waitcnt vmcnt(58) lgkmcnt(0)
	v_mul_f64 v[205:206], v[5:6], v[173:174]
	v_mul_f64 v[173:174], v[7:8], v[173:174]
	ds_read_b128 v[1:4], v198 offset:1536
	s_waitcnt vmcnt(56)
	v_fma_f64 v[151:152], v[137:138], v[159:160], -v[151:152]
	v_fma_f64 v[159:160], v[139:140], v[159:160], v[218:219]
	v_add_f64 v[143:144], v[143:144], v[165:166]
	v_add_f64 v[141:142], v[141:142], v[147:148]
	s_clause 0x4
	buffer_load_dword v148, off, s[0:3], 0 offset:764
	buffer_load_dword v165, off, s[0:3], 0 offset:776
	;; [unrolled: 1-line block ×5, first 2 shown]
	ds_read_b128 v[137:140], v198 offset:1552
	s_waitcnt vmcnt(57) lgkmcnt(1)
	v_mul_f64 v[219:220], v[1:2], v[157:158]
	v_mul_f64 v[157:158], v[3:4], v[157:158]
	s_waitcnt vmcnt(56)
	v_fma_f64 v[173:174], v[5:6], v[199:200], -v[173:174]
	v_add_f64 v[143:144], v[143:144], v[151:152]
	v_fma_f64 v[151:152], v[7:8], v[199:200], v[205:206]
	v_add_f64 v[141:142], v[141:142], v[159:160]
	s_clause 0x2
	buffer_load_dword v166, off, s[0:3], 0 offset:780
	buffer_load_dword v160, off, s[0:3], 0 offset:756
	;; [unrolled: 1-line block ×3, first 2 shown]
	s_waitcnt vmcnt(58) lgkmcnt(0)
	v_mul_f64 v[199:200], v[137:138], v[179:180]
	v_mul_f64 v[179:180], v[139:140], v[179:180]
	ds_read_b128 v[5:8], v198 offset:1568
	s_waitcnt vmcnt(56)
	v_fma_f64 v[157:158], v[1:2], v[169:170], -v[157:158]
	v_fma_f64 v[169:170], v[3:4], v[169:170], v[219:220]
	v_add_f64 v[143:144], v[143:144], v[173:174]
	v_add_f64 v[141:142], v[141:142], v[151:152]
	s_clause 0x4
	buffer_load_dword v152, off, s[0:3], 0 offset:796
	buffer_load_dword v173, off, s[0:3], 0 offset:808
	buffer_load_dword v205, off, s[0:3], 0 offset:800
	buffer_load_dword v151, off, s[0:3], 0 offset:792
	buffer_load_dword v214, off, s[0:3], 0 offset:772
	ds_read_b128 v[1:4], v198 offset:1584
	s_waitcnt vmcnt(57) lgkmcnt(1)
	v_mul_f64 v[219:220], v[5:6], v[163:164]
	v_mul_f64 v[163:164], v[7:8], v[163:164]
	s_waitcnt vmcnt(56)
	v_fma_f64 v[179:180], v[137:138], v[181:182], -v[179:180]
	v_add_f64 v[143:144], v[143:144], v[157:158]
	v_fma_f64 v[157:158], v[139:140], v[181:182], v[199:200]
	v_add_f64 v[141:142], v[141:142], v[169:170]
	s_clause 0x2
	buffer_load_dword v174, off, s[0:3], 0 offset:812
	buffer_load_dword v170, off, s[0:3], 0 offset:788
	buffer_load_dword v169, off, s[0:3], 0 offset:784
	ds_read_b128 v[137:140], v198 offset:1600
	s_waitcnt vmcnt(58) lgkmcnt(1)
	v_mul_f64 v[181:182], v[1:2], v[187:188]
	v_mul_f64 v[187:188], v[3:4], v[187:188]
	s_waitcnt vmcnt(56)
	v_fma_f64 v[163:164], v[5:6], v[167:168], -v[163:164]
	v_fma_f64 v[167:168], v[7:8], v[167:168], v[219:220]
	v_add_f64 v[143:144], v[143:144], v[179:180]
	v_add_f64 v[141:142], v[141:142], v[157:158]
	s_clause 0x4
	buffer_load_dword v158, off, s[0:3], 0 offset:828
	buffer_load_dword v179, off, s[0:3], 0 offset:840
	buffer_load_dword v199, off, s[0:3], 0 offset:832
	buffer_load_dword v157, off, s[0:3], 0 offset:824
	buffer_load_dword v206, off, s[0:3], 0 offset:804
	ds_read_b128 v[5:8], v198 offset:1616
	s_waitcnt vmcnt(57) lgkmcnt(1)
	v_mul_f64 v[219:220], v[137:138], v[171:172]
	v_mul_f64 v[171:172], v[139:140], v[171:172]
	s_waitcnt vmcnt(56)
	v_fma_f64 v[187:188], v[1:2], v[189:190], -v[187:188]
	v_add_f64 v[143:144], v[143:144], v[163:164]
	v_fma_f64 v[163:164], v[3:4], v[189:190], v[181:182]
	v_add_f64 v[141:142], v[141:142], v[167:168]
	s_clause 0x2
	buffer_load_dword v180, off, s[0:3], 0 offset:844
	buffer_load_dword v168, off, s[0:3], 0 offset:820
	buffer_load_dword v167, off, s[0:3], 0 offset:816
	ds_read_b128 v[1:4], v198 offset:1632
	s_waitcnt vmcnt(58) lgkmcnt(1)
	v_mul_f64 v[189:190], v[7:8], v[193:194]
	v_mul_f64 v[181:182], v[5:6], v[193:194]
	;; [unrolled: 28-line block ×4, first 2 shown]
	s_waitcnt vmcnt(56)
	v_fma_f64 v[185:186], v[5:6], v[191:192], -v[185:186]
	v_add_f64 v[143:144], v[143:144], v[183:184]
	v_fma_f64 v[183:184], v[7:8], v[191:192], v[219:220]
	v_add_f64 v[141:142], v[141:142], v[177:178]
	s_clause 0x4
	buffer_load_dword v178, off, s[0:3], 0 offset:924
	buffer_load_dword v191, off, s[0:3], 0 offset:936
	;; [unrolled: 1-line block ×5, first 2 shown]
	ds_read_b128 v[5:8], v198 offset:1712
	s_waitcnt vmcnt(57) lgkmcnt(1)
	v_mul_f64 v[219:220], v[137:138], v[149:150]
	v_mul_f64 v[149:150], v[139:140], v[149:150]
	s_waitcnt vmcnt(56)
	v_fma_f64 v[201:202], v[1:2], v[211:212], -v[201:202]
	v_fma_f64 v[181:182], v[3:4], v[211:212], v[181:182]
	v_add_f64 v[143:144], v[143:144], v[185:186]
	v_add_f64 v[141:142], v[141:142], v[183:184]
	s_clause 0x2
	buffer_load_dword v192, off, s[0:3], 0 offset:940
	buffer_load_dword v184, off, s[0:3], 0 offset:916
	buffer_load_dword v183, off, s[0:3], 0 offset:912
	ds_read_b128 v[1:4], v198 offset:1728
	s_waitcnt vmcnt(58) lgkmcnt(1)
	v_mul_f64 v[185:186], v[5:6], v[209:210]
	v_mul_f64 v[209:210], v[7:8], v[209:210]
	s_waitcnt vmcnt(56)
	v_fma_f64 v[149:150], v[137:138], v[155:156], -v[149:150]
	v_fma_f64 v[155:156], v[139:140], v[155:156], v[219:220]
	v_add_f64 v[143:144], v[143:144], v[201:202]
	v_add_f64 v[141:142], v[141:142], v[181:182]
	s_clause 0x4
	buffer_load_dword v182, off, s[0:3], 0 offset:956
	buffer_load_dword v201, off, s[0:3], 0 offset:968
	buffer_load_dword v211, off, s[0:3], 0 offset:960
	buffer_load_dword v181, off, s[0:3], 0 offset:952
	buffer_load_dword v208, off, s[0:3], 0 offset:932
	ds_read_b128 v[137:140], v198 offset:1744
	s_waitcnt vmcnt(57) lgkmcnt(1)
	v_mul_f64 v[219:220], v[1:2], v[161:162]
	v_mul_f64 v[161:162], v[3:4], v[161:162]
	s_waitcnt vmcnt(56)
	v_fma_f64 v[209:210], v[5:6], v[215:216], -v[209:210]
	v_add_f64 v[143:144], v[143:144], v[149:150]
	v_fma_f64 v[149:150], v[7:8], v[215:216], v[185:186]
	v_add_f64 v[141:142], v[141:142], v[155:156]
	s_clause 0x2
	buffer_load_dword v202, off, s[0:3], 0 offset:972
	buffer_load_dword v156, off, s[0:3], 0 offset:948
	buffer_load_dword v155, off, s[0:3], 0 offset:944
	ds_read_b128 v[5:8], v198 offset:1760
	s_waitcnt vmcnt(58) lgkmcnt(1)
	v_mul_f64 v[185:186], v[137:138], v[203:204]
	v_mul_f64 v[203:204], v[139:140], v[203:204]
	s_waitcnt vmcnt(56)
	v_fma_f64 v[161:162], v[1:2], v[153:154], -v[161:162]
	v_fma_f64 v[153:154], v[3:4], v[153:154], v[219:220]
	v_add_f64 v[143:144], v[143:144], v[209:210]
	v_add_f64 v[141:142], v[141:142], v[149:150]
	s_clause 0x4
	buffer_load_dword v150, off, s[0:3], 0 offset:988
	buffer_load_dword v209, off, s[0:3], 0 offset:1000
	buffer_load_dword v215, off, s[0:3], 0 offset:992
	buffer_load_dword v149, off, s[0:3], 0 offset:984
	buffer_load_dword v212, off, s[0:3], 0 offset:964
	ds_read_b128 v[1:4], v198 offset:1776
	s_waitcnt vmcnt(57) lgkmcnt(1)
	v_mul_f64 v[219:220], v[5:6], v[147:148]
	v_mul_f64 v[147:148], v[7:8], v[147:148]
	s_waitcnt vmcnt(56)
	v_fma_f64 v[203:204], v[137:138], v[217:218], -v[203:204]
	v_add_f64 v[143:144], v[143:144], v[161:162]
	v_fma_f64 v[161:162], v[139:140], v[217:218], v[185:186]
	;; [unrolled: 28-line block ×3, first 2 shown]
	v_add_f64 v[141:142], v[141:142], v[159:160]
	s_clause 0x2
	buffer_load_dword v204, off, s[0:3], 0 offset:1036
	buffer_load_dword v160, off, s[0:3], 0 offset:1012
	;; [unrolled: 1-line block ×3, first 2 shown]
	ds_read_b128 v[1:4], v198 offset:1824
	s_waitcnt vmcnt(58) lgkmcnt(1)
	v_mul_f64 v[185:186], v[5:6], v[173:174]
	v_mul_f64 v[173:174], v[7:8], v[173:174]
	s_waitcnt vmcnt(56)
	v_fma_f64 v[151:152], v[137:138], v[169:170], -v[151:152]
	v_add_f64 v[143:144], v[143:144], v[165:166]
	v_fma_f64 v[165:166], v[139:140], v[169:170], v[218:219]
	v_add_f64 v[141:142], v[141:142], v[147:148]
	buffer_load_dword v218, off, s[0:3], 0 offset:1028
	ds_read_b128 v[137:140], v198 offset:1840
	s_waitcnt vmcnt(53) lgkmcnt(1)
	v_mul_f64 v[147:148], v[1:2], v[157:158]
	v_mul_f64 v[157:158], v[3:4], v[157:158]
	s_waitcnt vmcnt(52)
	v_fma_f64 v[169:170], v[5:6], v[205:206], -v[173:174]
	v_add_f64 v[143:144], v[143:144], v[151:152]
	v_fma_f64 v[151:152], v[7:8], v[205:206], v[185:186]
	v_add_f64 v[141:142], v[141:142], v[165:166]
	ds_read_b128 v[5:8], v198 offset:1856
	s_waitcnt vmcnt(51) lgkmcnt(1)
	v_mul_f64 v[173:174], v[139:140], v[179:180]
	v_mul_f64 v[165:166], v[137:138], v[179:180]
	s_waitcnt vmcnt(49)
	v_fma_f64 v[157:158], v[1:2], v[167:168], -v[157:158]
	v_fma_f64 v[147:148], v[3:4], v[167:168], v[147:148]
	v_add_f64 v[143:144], v[143:144], v[169:170]
	v_add_f64 v[141:142], v[141:142], v[151:152]
	s_clause 0x3
	buffer_load_dword v151, off, s[0:3], 0 offset:112
	buffer_load_dword v152, off, s[0:3], 0 offset:116
	;; [unrolled: 1-line block ×4, first 2 shown]
	ds_read_b128 v[1:4], v198 offset:1872
	s_waitcnt vmcnt(49) lgkmcnt(1)
	v_mul_f64 v[169:170], v[5:6], v[163:164]
	v_mul_f64 v[163:164], v[7:8], v[163:164]
	s_waitcnt vmcnt(48)
	v_fma_f64 v[173:174], v[137:138], v[199:200], -v[173:174]
	v_add_f64 v[143:144], v[143:144], v[157:158]
	v_fma_f64 v[157:158], v[139:140], v[199:200], v[165:166]
	v_add_f64 v[141:142], v[141:142], v[147:148]
	ds_read_b128 v[137:140], v198 offset:1888
	s_waitcnt vmcnt(47) lgkmcnt(1)
	v_mul_f64 v[165:166], v[3:4], v[187:188]
	v_mul_f64 v[147:148], v[1:2], v[187:188]
	s_waitcnt vmcnt(45)
	v_fma_f64 v[163:164], v[5:6], v[175:176], -v[163:164]
	v_fma_f64 v[169:170], v[7:8], v[175:176], v[169:170]
	ds_read_b128 v[5:8], v198 offset:1904
	v_add_f64 v[143:144], v[143:144], v[173:174]
	v_add_f64 v[141:142], v[141:142], v[157:158]
	s_waitcnt vmcnt(41) lgkmcnt(1)
	v_mul_f64 v[157:158], v[137:138], v[171:172]
	v_mul_f64 v[171:172], v[139:140], v[171:172]
	s_waitcnt vmcnt(40)
	v_fma_f64 v[165:166], v[1:2], v[193:194], -v[165:166]
	v_fma_f64 v[147:148], v[3:4], v[193:194], v[147:148]
	ds_read_b128 v[1:4], v198 offset:1920
	v_add_f64 v[143:144], v[143:144], v[163:164]
	v_add_f64 v[141:142], v[141:142], v[169:170]
	;; [unrolled: 9-line block ×3, first 2 shown]
	s_waitcnt vmcnt(33) lgkmcnt(1)
	v_mul_f64 v[157:158], v[3:4], v[177:178]
	s_waitcnt vmcnt(32)
	v_fma_f64 v[165:166], v[5:6], v[195:196], -v[169:170]
	v_mul_f64 v[147:148], v[1:2], v[177:178]
	v_fma_f64 v[163:164], v[7:8], v[195:196], v[163:164]
	ds_read_b128 v[5:8], v198 offset:1952
	v_add_f64 v[143:144], v[143:144], v[171:172]
	v_add_f64 v[141:142], v[141:142], v[145:146]
	s_waitcnt vmcnt(31) lgkmcnt(1)
	v_mul_f64 v[169:170], v[139:140], v[191:192]
	v_mul_f64 v[145:146], v[137:138], v[191:192]
	s_waitcnt vmcnt(29)
	v_fma_f64 v[157:158], v[1:2], v[183:184], -v[157:158]
	v_fma_f64 v[147:148], v[3:4], v[183:184], v[147:148]
	ds_read_b128 v[1:4], v198 offset:1968
	v_add_f64 v[143:144], v[143:144], v[165:166]
	v_add_f64 v[141:142], v[141:142], v[163:164]
	s_waitcnt vmcnt(25) lgkmcnt(1)
	v_mul_f64 v[165:166], v[7:8], v[181:182]
	s_waitcnt vmcnt(24)
	v_fma_f64 v[169:170], v[137:138], v[207:208], -v[169:170]
	v_mul_f64 v[163:164], v[5:6], v[181:182]
	v_fma_f64 v[145:146], v[139:140], v[207:208], v[145:146]
	ds_read_b128 v[137:140], v198 offset:1984
	v_add_f64 v[143:144], v[143:144], v[157:158]
	v_add_f64 v[141:142], v[141:142], v[147:148]
	s_waitcnt vmcnt(23) lgkmcnt(1)
	v_mul_f64 v[157:158], v[3:4], v[201:202]
	v_mul_f64 v[147:148], v[1:2], v[201:202]
	s_waitcnt vmcnt(21)
	v_fma_f64 v[165:166], v[5:6], v[155:156], -v[165:166]
	v_fma_f64 v[155:156], v[7:8], v[155:156], v[163:164]
	ds_read_b128 v[5:8], v198 offset:2000
	v_add_f64 v[143:144], v[143:144], v[169:170]
	v_add_f64 v[141:142], v[141:142], v[145:146]
	s_waitcnt vmcnt(17) lgkmcnt(1)
	v_mul_f64 v[145:146], v[137:138], v[149:150]
	v_mul_f64 v[149:150], v[139:140], v[149:150]
	s_waitcnt vmcnt(16)
	v_fma_f64 v[157:158], v[1:2], v[211:212], -v[157:158]
	;; [unrolled: 9-line block ×3, first 2 shown]
	v_fma_f64 v[145:146], v[139:140], v[153:154], v[145:146]
	ds_read_b128 v[137:140], v198 offset:2032
	v_add_f64 v[143:144], v[143:144], v[157:158]
	v_add_f64 v[141:142], v[141:142], v[147:148]
	s_waitcnt vmcnt(9) lgkmcnt(1)
	v_mul_f64 v[153:154], v[3:4], v[161:162]
	s_waitcnt vmcnt(8)
	v_fma_f64 v[5:6], v[5:6], v[215:216], -v[163:164]
	v_mul_f64 v[147:148], v[1:2], v[161:162]
	v_fma_f64 v[7:8], v[7:8], v[215:216], v[155:156]
	v_add_f64 v[143:144], v[143:144], v[149:150]
	v_add_f64 v[141:142], v[141:142], v[145:146]
	s_waitcnt vmcnt(7) lgkmcnt(0)
	v_mul_f64 v[149:150], v[139:140], v[203:204]
	v_mul_f64 v[145:146], v[137:138], v[203:204]
	s_waitcnt vmcnt(5)
	v_fma_f64 v[1:2], v[1:2], v[159:160], -v[153:154]
	v_fma_f64 v[3:4], v[3:4], v[159:160], v[147:148]
	v_add_f64 v[5:6], v[143:144], v[5:6]
	v_add_f64 v[7:8], v[141:142], v[7:8]
	s_waitcnt vmcnt(4)
	v_fma_f64 v[137:138], v[137:138], v[217:218], -v[149:150]
	v_add_f64 v[1:2], v[5:6], v[1:2]
	v_fma_f64 v[5:6], v[139:140], v[217:218], v[145:146]
	v_add_f64 v[3:4], v[7:8], v[3:4]
	v_add_f64 v[1:2], v[1:2], v[137:138]
	v_add_f64 v[3:4], v[3:4], v[5:6]
	s_waitcnt vmcnt(2)
	v_add_f64 v[1:2], v[151:152], -v[1:2]
	s_waitcnt vmcnt(0)
	v_add_f64 v[3:4], v[167:168], -v[3:4]
	buffer_store_dword v2, off, s[0:3], 0 offset:116
	buffer_store_dword v1, off, s[0:3], 0 offset:112
	;; [unrolled: 1-line block ×4, first 2 shown]
	v_cmpx_lt_u32_e32 5, v0
	s_cbranch_execz .LBB127_399
; %bb.398:
	v_mov_b32_e32 v4, s73
	s_clause 0x3
	buffer_load_dword v1, v4, s[0:3], 0 offen
	buffer_load_dword v2, v4, s[0:3], 0 offen offset:4
	buffer_load_dword v3, v4, s[0:3], 0 offen offset:8
	;; [unrolled: 1-line block ×3, first 2 shown]
	buffer_store_dword v198, off, s[0:3], 0 offset:96
	buffer_store_dword v198, off, s[0:3], 0 offset:100
	;; [unrolled: 1-line block ×4, first 2 shown]
	s_waitcnt vmcnt(0)
	ds_write_b128 v197, v[1:4]
.LBB127_399:
	s_or_b32 exec_lo, exec_lo, s4
	s_waitcnt lgkmcnt(0)
	s_waitcnt_vscnt null, 0x0
	s_barrier
	buffer_gl0_inv
	s_clause 0x37
	buffer_load_dword v145, off, s[0:3], 0 offset:120
	buffer_load_dword v146, off, s[0:3], 0 offset:124
	;; [unrolled: 1-line block ×56, first 2 shown]
	ds_read_b128 v[5:8], v198 offset:1120
	s_clause 0x2
	buffer_load_dword v194, off, s[0:3], 0 offset:348
	buffer_load_dword v196, off, s[0:3], 0 offset:324
	;; [unrolled: 1-line block ×3, first 2 shown]
	ds_read_b128 v[1:4], v198 offset:1136
	s_clause 0x4
	buffer_load_dword v206, off, s[0:3], 0 offset:364
	buffer_load_dword v207, off, s[0:3], 0 offset:376
	buffer_load_dword v209, off, s[0:3], 0 offset:368
	buffer_load_dword v205, off, s[0:3], 0 offset:360
	buffer_load_dword v186, off, s[0:3], 0 offset:340
	ds_read_b128 v[199:202], v198 offset:1152
	s_mov_b32 s4, exec_lo
	s_waitcnt vmcnt(62) lgkmcnt(2)
	v_mul_f64 v[203:204], v[7:8], v[145:146]
	v_mul_f64 v[145:146], v[5:6], v[145:146]
	s_waitcnt vmcnt(60) lgkmcnt(1)
	v_mul_f64 v[210:211], v[3:4], v[141:142]
	v_mul_f64 v[141:142], v[1:2], v[141:142]
	;; [unrolled: 3-line block ×3, first 2 shown]
	v_fma_f64 v[203:204], v[5:6], v[143:144], -v[203:204]
	v_fma_f64 v[143:144], v[7:8], v[143:144], v[145:146]
	s_clause 0x2
	buffer_load_dword v208, off, s[0:3], 0 offset:380
	buffer_load_dword v146, off, s[0:3], 0 offset:356
	;; [unrolled: 1-line block ×3, first 2 shown]
	s_waitcnt vmcnt(57)
	v_fma_f64 v[214:215], v[1:2], v[137:138], -v[210:211]
	ds_read_b128 v[5:8], v198 offset:1168
	v_fma_f64 v[137:138], v[3:4], v[137:138], v[141:142]
	s_waitcnt vmcnt(51)
	v_fma_f64 v[199:200], v[199:200], v[161:162], -v[139:140]
	v_fma_f64 v[161:162], v[201:202], v[161:162], v[212:213]
	v_add_f64 v[203:204], v[203:204], 0
	v_add_f64 v[141:142], v[143:144], 0
	s_clause 0x4
	buffer_load_dword v144, off, s[0:3], 0 offset:396
	buffer_load_dword v211, off, s[0:3], 0 offset:408
	;; [unrolled: 1-line block ×5, first 2 shown]
	s_waitcnt lgkmcnt(0)
	v_mul_f64 v[217:218], v[5:6], v[149:150]
	v_mul_f64 v[149:150], v[7:8], v[149:150]
	ds_read_b128 v[1:4], v198 offset:1184
	s_clause 0x2
	buffer_load_dword v212, off, s[0:3], 0 offset:412
	buffer_load_dword v202, off, s[0:3], 0 offset:388
	;; [unrolled: 1-line block ×3, first 2 shown]
	v_add_f64 v[203:204], v[203:204], v[214:215]
	v_add_f64 v[141:142], v[141:142], v[137:138]
	ds_read_b128 v[137:140], v198 offset:1200
	s_waitcnt vmcnt(58) lgkmcnt(1)
	v_mul_f64 v[213:214], v[1:2], v[153:154]
	v_mul_f64 v[153:154], v[3:4], v[153:154]
	s_waitcnt vmcnt(56)
	v_fma_f64 v[149:150], v[5:6], v[155:156], -v[149:150]
	v_fma_f64 v[155:156], v[7:8], v[155:156], v[217:218]
	s_waitcnt vmcnt(52) lgkmcnt(0)
	v_mul_f64 v[219:220], v[137:138], v[157:158]
	v_add_f64 v[199:200], v[203:204], v[199:200]
	v_add_f64 v[141:142], v[141:142], v[161:162]
	s_clause 0x4
	buffer_load_dword v162, off, s[0:3], 0 offset:428
	buffer_load_dword v203, off, s[0:3], 0 offset:440
	;; [unrolled: 1-line block ×5, first 2 shown]
	v_mul_f64 v[157:158], v[139:140], v[157:158]
	s_waitcnt vmcnt(56)
	v_fma_f64 v[153:154], v[1:2], v[147:148], -v[153:154]
	ds_read_b128 v[5:8], v198 offset:1216
	v_fma_f64 v[147:148], v[3:4], v[147:148], v[213:214]
	v_add_f64 v[149:150], v[199:200], v[149:150]
	v_add_f64 v[141:142], v[141:142], v[155:156]
	s_clause 0x2
	buffer_load_dword v204, off, s[0:3], 0 offset:444
	buffer_load_dword v156, off, s[0:3], 0 offset:420
	;; [unrolled: 1-line block ×3, first 2 shown]
	s_waitcnt vmcnt(58) lgkmcnt(0)
	v_mul_f64 v[199:200], v[5:6], v[163:164]
	v_mul_f64 v[163:164], v[7:8], v[163:164]
	s_waitcnt vmcnt(56)
	v_fma_f64 v[157:158], v[137:138], v[165:166], -v[157:158]
	ds_read_b128 v[1:4], v198 offset:1232
	v_add_f64 v[149:150], v[149:150], v[153:154]
	v_fma_f64 v[153:154], v[139:140], v[165:166], v[219:220]
	v_add_f64 v[141:142], v[141:142], v[147:148]
	s_clause 0x4
	buffer_load_dword v148, off, s[0:3], 0 offset:460
	buffer_load_dword v165, off, s[0:3], 0 offset:472
	;; [unrolled: 1-line block ×5, first 2 shown]
	s_waitcnt vmcnt(57) lgkmcnt(0)
	v_mul_f64 v[214:215], v[1:2], v[167:168]
	v_mul_f64 v[167:168], v[3:4], v[167:168]
	s_waitcnt vmcnt(56)
	v_fma_f64 v[163:164], v[5:6], v[151:152], -v[163:164]
	ds_read_b128 v[137:140], v198 offset:1248
	v_fma_f64 v[151:152], v[7:8], v[151:152], v[199:200]
	v_add_f64 v[149:150], v[149:150], v[157:158]
	v_add_f64 v[141:142], v[141:142], v[153:154]
	s_clause 0x2
	buffer_load_dword v166, off, s[0:3], 0 offset:476
	buffer_load_dword v154, off, s[0:3], 0 offset:452
	;; [unrolled: 1-line block ×3, first 2 shown]
	ds_read_b128 v[5:8], v198 offset:1264
	s_waitcnt vmcnt(58) lgkmcnt(1)
	v_mul_f64 v[157:158], v[137:138], v[171:172]
	v_mul_f64 v[171:172], v[139:140], v[171:172]
	s_waitcnt vmcnt(56)
	v_fma_f64 v[167:168], v[1:2], v[173:174], -v[167:168]
	v_add_f64 v[149:150], v[149:150], v[163:164]
	v_fma_f64 v[163:164], v[3:4], v[173:174], v[214:215]
	v_add_f64 v[141:142], v[141:142], v[151:152]
	s_clause 0x4
	buffer_load_dword v152, off, s[0:3], 0 offset:492
	buffer_load_dword v173, off, s[0:3], 0 offset:504
	;; [unrolled: 1-line block ×5, first 2 shown]
	s_waitcnt vmcnt(57) lgkmcnt(0)
	v_mul_f64 v[220:221], v[5:6], v[175:176]
	v_mul_f64 v[175:176], v[7:8], v[175:176]
	s_waitcnt vmcnt(56)
	v_fma_f64 v[171:172], v[137:138], v[159:160], -v[171:172]
	ds_read_b128 v[1:4], v198 offset:1280
	v_fma_f64 v[157:158], v[139:140], v[159:160], v[157:158]
	s_clause 0x2
	buffer_load_dword v174, off, s[0:3], 0 offset:508
	buffer_load_dword v160, off, s[0:3], 0 offset:484
	;; [unrolled: 1-line block ×3, first 2 shown]
	ds_read_b128 v[137:140], v198 offset:1296
	v_add_f64 v[149:150], v[149:150], v[167:168]
	v_add_f64 v[141:142], v[141:142], v[163:164]
	s_waitcnt vmcnt(58) lgkmcnt(1)
	v_mul_f64 v[167:168], v[3:4], v[179:180]
	s_waitcnt vmcnt(56)
	v_fma_f64 v[175:176], v[5:6], v[181:182], -v[175:176]
	v_mul_f64 v[163:164], v[1:2], v[179:180]
	v_add_f64 v[149:150], v[149:150], v[171:172]
	v_fma_f64 v[171:172], v[7:8], v[181:182], v[220:221]
	v_add_f64 v[141:142], v[141:142], v[157:158]
	s_clause 0x4
	buffer_load_dword v158, off, s[0:3], 0 offset:524
	buffer_load_dword v179, off, s[0:3], 0 offset:536
	;; [unrolled: 1-line block ×5, first 2 shown]
	s_waitcnt vmcnt(57) lgkmcnt(0)
	v_mul_f64 v[220:221], v[137:138], v[183:184]
	v_mul_f64 v[182:183], v[139:140], v[183:184]
	s_waitcnt vmcnt(56)
	v_fma_f64 v[167:168], v[1:2], v[169:170], -v[167:168]
	ds_read_b128 v[5:8], v198 offset:1312
	v_fma_f64 v[163:164], v[3:4], v[169:170], v[163:164]
	s_clause 0x2
	buffer_load_dword v180, off, s[0:3], 0 offset:540
	buffer_load_dword v170, off, s[0:3], 0 offset:516
	;; [unrolled: 1-line block ×3, first 2 shown]
	ds_read_b128 v[1:4], v198 offset:1328
	v_add_f64 v[149:150], v[149:150], v[175:176]
	v_add_f64 v[141:142], v[141:142], v[171:172]
	s_waitcnt vmcnt(58) lgkmcnt(1)
	v_mul_f64 v[175:176], v[7:8], v[187:188]
	s_waitcnt vmcnt(56)
	v_fma_f64 v[183:184], v[137:138], v[189:190], -v[182:183]
	v_mul_f64 v[171:172], v[5:6], v[187:188]
	v_add_f64 v[149:150], v[149:150], v[167:168]
	v_fma_f64 v[167:168], v[139:140], v[189:190], v[220:221]
	v_add_f64 v[141:142], v[141:142], v[163:164]
	s_clause 0x4
	buffer_load_dword v164, off, s[0:3], 0 offset:556
	buffer_load_dword v187, off, s[0:3], 0 offset:568
	buffer_load_dword v189, off, s[0:3], 0 offset:560
	buffer_load_dword v163, off, s[0:3], 0 offset:552
	buffer_load_dword v182, off, s[0:3], 0 offset:532
	s_waitcnt vmcnt(57) lgkmcnt(0)
	v_mul_f64 v[220:221], v[1:2], v[191:192]
	v_mul_f64 v[190:191], v[3:4], v[191:192]
	s_waitcnt vmcnt(56)
	v_fma_f64 v[175:176], v[5:6], v[177:178], -v[175:176]
	ds_read_b128 v[137:140], v198 offset:1344
	v_fma_f64 v[171:172], v[7:8], v[177:178], v[171:172]
	v_add_f64 v[149:150], v[149:150], v[183:184]
	v_add_f64 v[141:142], v[141:142], v[167:168]
	s_clause 0x2
	buffer_load_dword v188, off, s[0:3], 0 offset:572
	buffer_load_dword v168, off, s[0:3], 0 offset:548
	;; [unrolled: 1-line block ×3, first 2 shown]
	ds_read_b128 v[5:8], v198 offset:1360
	s_waitcnt vmcnt(58) lgkmcnt(1)
	v_mul_f64 v[183:184], v[139:140], v[193:194]
	s_waitcnt vmcnt(56)
	v_fma_f64 v[191:192], v[1:2], v[195:196], -v[190:191]
	v_mul_f64 v[177:178], v[137:138], v[193:194]
	v_add_f64 v[149:150], v[149:150], v[175:176]
	v_fma_f64 v[175:176], v[3:4], v[195:196], v[220:221]
	v_add_f64 v[141:142], v[141:142], v[171:172]
	s_clause 0x4
	buffer_load_dword v172, off, s[0:3], 0 offset:588
	buffer_load_dword v193, off, s[0:3], 0 offset:600
	;; [unrolled: 1-line block ×5, first 2 shown]
	s_waitcnt vmcnt(57) lgkmcnt(0)
	v_mul_f64 v[220:221], v[5:6], v[205:206]
	v_mul_f64 v[205:206], v[7:8], v[205:206]
	s_waitcnt vmcnt(56)
	v_fma_f64 v[183:184], v[137:138], v[185:186], -v[183:184]
	ds_read_b128 v[1:4], v198 offset:1376
	v_fma_f64 v[177:178], v[139:140], v[185:186], v[177:178]
	v_add_f64 v[149:150], v[149:150], v[191:192]
	v_add_f64 v[141:142], v[141:142], v[175:176]
	s_clause 0x2
	buffer_load_dword v194, off, s[0:3], 0 offset:604
	buffer_load_dword v176, off, s[0:3], 0 offset:580
	;; [unrolled: 1-line block ×3, first 2 shown]
	ds_read_b128 v[137:140], v198 offset:1392
	s_waitcnt vmcnt(58) lgkmcnt(1)
	v_mul_f64 v[191:192], v[3:4], v[207:208]
	v_mul_f64 v[185:186], v[1:2], v[207:208]
	s_waitcnt vmcnt(56)
	v_fma_f64 v[205:206], v[5:6], v[145:146], -v[205:206]
	v_fma_f64 v[145:146], v[7:8], v[145:146], v[220:221]
	v_add_f64 v[149:150], v[149:150], v[183:184]
	v_add_f64 v[141:142], v[141:142], v[177:178]
	s_clause 0x4
	buffer_load_dword v178, off, s[0:3], 0 offset:620
	buffer_load_dword v183, off, s[0:3], 0 offset:632
	buffer_load_dword v207, off, s[0:3], 0 offset:624
	buffer_load_dword v177, off, s[0:3], 0 offset:616
	buffer_load_dword v196, off, s[0:3], 0 offset:596
	ds_read_b128 v[5:8], v198 offset:1408
	s_waitcnt vmcnt(57) lgkmcnt(1)
	v_mul_f64 v[220:221], v[137:138], v[143:144]
	v_mul_f64 v[143:144], v[139:140], v[143:144]
	s_waitcnt vmcnt(56)
	v_fma_f64 v[191:192], v[1:2], v[209:210], -v[191:192]
	v_fma_f64 v[185:186], v[3:4], v[209:210], v[185:186]
	v_add_f64 v[149:150], v[149:150], v[205:206]
	v_add_f64 v[141:142], v[141:142], v[145:146]
	s_clause 0x2
	buffer_load_dword v184, off, s[0:3], 0 offset:636
	buffer_load_dword v146, off, s[0:3], 0 offset:612
	;; [unrolled: 1-line block ×3, first 2 shown]
	s_waitcnt vmcnt(58) lgkmcnt(0)
	v_mul_f64 v[209:210], v[7:8], v[211:212]
	ds_read_b128 v[1:4], v198 offset:1424
	v_mul_f64 v[205:206], v[5:6], v[211:212]
	s_waitcnt vmcnt(56)
	v_fma_f64 v[143:144], v[137:138], v[201:202], -v[143:144]
	v_add_f64 v[149:150], v[149:150], v[191:192]
	v_fma_f64 v[191:192], v[139:140], v[201:202], v[220:221]
	v_add_f64 v[141:142], v[141:142], v[185:186]
	s_clause 0x4
	buffer_load_dword v186, off, s[0:3], 0 offset:652
	buffer_load_dword v201, off, s[0:3], 0 offset:664
	;; [unrolled: 1-line block ×5, first 2 shown]
	ds_read_b128 v[137:140], v198 offset:1440
	s_waitcnt vmcnt(57) lgkmcnt(1)
	v_mul_f64 v[220:221], v[1:2], v[161:162]
	v_mul_f64 v[161:162], v[3:4], v[161:162]
	s_waitcnt vmcnt(56)
	v_fma_f64 v[209:210], v[5:6], v[216:217], -v[209:210]
	v_add_f64 v[143:144], v[149:150], v[143:144]
	v_fma_f64 v[149:150], v[7:8], v[216:217], v[205:206]
	v_add_f64 v[141:142], v[141:142], v[191:192]
	s_clause 0x2
	buffer_load_dword v202, off, s[0:3], 0 offset:668
	buffer_load_dword v192, off, s[0:3], 0 offset:644
	;; [unrolled: 1-line block ×3, first 2 shown]
	ds_read_b128 v[5:8], v198 offset:1456
	s_waitcnt vmcnt(58) lgkmcnt(1)
	v_mul_f64 v[205:206], v[137:138], v[203:204]
	v_mul_f64 v[203:204], v[139:140], v[203:204]
	s_waitcnt vmcnt(56)
	v_fma_f64 v[161:162], v[1:2], v[155:156], -v[161:162]
	v_fma_f64 v[155:156], v[3:4], v[155:156], v[220:221]
	v_add_f64 v[143:144], v[143:144], v[209:210]
	v_add_f64 v[141:142], v[141:142], v[149:150]
	s_clause 0x4
	buffer_load_dword v150, off, s[0:3], 0 offset:684
	buffer_load_dword v209, off, s[0:3], 0 offset:696
	;; [unrolled: 1-line block ×5, first 2 shown]
	ds_read_b128 v[1:4], v198 offset:1472
	s_waitcnt vmcnt(57) lgkmcnt(1)
	v_mul_f64 v[216:217], v[5:6], v[147:148]
	v_mul_f64 v[147:148], v[7:8], v[147:148]
	s_waitcnt vmcnt(56)
	v_fma_f64 v[203:204], v[137:138], v[218:219], -v[203:204]
	v_add_f64 v[143:144], v[143:144], v[161:162]
	v_fma_f64 v[161:162], v[139:140], v[218:219], v[205:206]
	v_add_f64 v[141:142], v[141:142], v[155:156]
	s_clause 0x2
	buffer_load_dword v210, off, s[0:3], 0 offset:700
	buffer_load_dword v156, off, s[0:3], 0 offset:676
	;; [unrolled: 1-line block ×3, first 2 shown]
	ds_read_b128 v[137:140], v198 offset:1488
	s_waitcnt vmcnt(58) lgkmcnt(1)
	v_mul_f64 v[205:206], v[1:2], v[165:166]
	v_mul_f64 v[165:166], v[3:4], v[165:166]
	s_waitcnt vmcnt(56)
	v_fma_f64 v[147:148], v[5:6], v[153:154], -v[147:148]
	v_fma_f64 v[153:154], v[7:8], v[153:154], v[216:217]
	v_add_f64 v[143:144], v[143:144], v[203:204]
	v_add_f64 v[141:142], v[141:142], v[161:162]
	s_clause 0x4
	buffer_load_dword v162, off, s[0:3], 0 offset:716
	buffer_load_dword v203, off, s[0:3], 0 offset:728
	;; [unrolled: 1-line block ×5, first 2 shown]
	ds_read_b128 v[5:8], v198 offset:1504
	s_waitcnt vmcnt(57) lgkmcnt(1)
	v_mul_f64 v[218:219], v[137:138], v[151:152]
	v_mul_f64 v[151:152], v[139:140], v[151:152]
	s_waitcnt vmcnt(56)
	v_fma_f64 v[165:166], v[1:2], v[213:214], -v[165:166]
	v_add_f64 v[143:144], v[143:144], v[147:148]
	v_fma_f64 v[147:148], v[3:4], v[213:214], v[205:206]
	v_add_f64 v[141:142], v[141:142], v[153:154]
	s_clause 0x2
	buffer_load_dword v204, off, s[0:3], 0 offset:732
	buffer_load_dword v154, off, s[0:3], 0 offset:708
	;; [unrolled: 1-line block ×3, first 2 shown]
	s_waitcnt vmcnt(58) lgkmcnt(0)
	v_mul_f64 v[205:206], v[5:6], v[173:174]
	v_mul_f64 v[173:174], v[7:8], v[173:174]
	ds_read_b128 v[1:4], v198 offset:1520
	s_waitcnt vmcnt(56)
	v_fma_f64 v[151:152], v[137:138], v[159:160], -v[151:152]
	v_fma_f64 v[159:160], v[139:140], v[159:160], v[218:219]
	v_add_f64 v[143:144], v[143:144], v[165:166]
	v_add_f64 v[141:142], v[141:142], v[147:148]
	s_clause 0x4
	buffer_load_dword v148, off, s[0:3], 0 offset:748
	buffer_load_dword v165, off, s[0:3], 0 offset:760
	;; [unrolled: 1-line block ×5, first 2 shown]
	ds_read_b128 v[137:140], v198 offset:1536
	s_waitcnt vmcnt(57) lgkmcnt(1)
	v_mul_f64 v[219:220], v[1:2], v[157:158]
	v_mul_f64 v[157:158], v[3:4], v[157:158]
	s_waitcnt vmcnt(56)
	v_fma_f64 v[173:174], v[5:6], v[199:200], -v[173:174]
	v_add_f64 v[143:144], v[143:144], v[151:152]
	v_fma_f64 v[151:152], v[7:8], v[199:200], v[205:206]
	v_add_f64 v[141:142], v[141:142], v[159:160]
	s_clause 0x2
	buffer_load_dword v166, off, s[0:3], 0 offset:764
	buffer_load_dword v160, off, s[0:3], 0 offset:740
	;; [unrolled: 1-line block ×3, first 2 shown]
	s_waitcnt vmcnt(58) lgkmcnt(0)
	v_mul_f64 v[199:200], v[137:138], v[179:180]
	v_mul_f64 v[179:180], v[139:140], v[179:180]
	ds_read_b128 v[5:8], v198 offset:1552
	s_waitcnt vmcnt(56)
	v_fma_f64 v[157:158], v[1:2], v[169:170], -v[157:158]
	v_fma_f64 v[169:170], v[3:4], v[169:170], v[219:220]
	v_add_f64 v[143:144], v[143:144], v[173:174]
	v_add_f64 v[141:142], v[141:142], v[151:152]
	s_clause 0x4
	buffer_load_dword v152, off, s[0:3], 0 offset:780
	buffer_load_dword v173, off, s[0:3], 0 offset:792
	buffer_load_dword v205, off, s[0:3], 0 offset:784
	buffer_load_dword v151, off, s[0:3], 0 offset:776
	buffer_load_dword v214, off, s[0:3], 0 offset:756
	ds_read_b128 v[1:4], v198 offset:1568
	s_waitcnt vmcnt(57) lgkmcnt(1)
	v_mul_f64 v[219:220], v[5:6], v[163:164]
	v_mul_f64 v[163:164], v[7:8], v[163:164]
	s_waitcnt vmcnt(56)
	v_fma_f64 v[179:180], v[137:138], v[181:182], -v[179:180]
	v_add_f64 v[143:144], v[143:144], v[157:158]
	v_fma_f64 v[157:158], v[139:140], v[181:182], v[199:200]
	v_add_f64 v[141:142], v[141:142], v[169:170]
	s_clause 0x2
	buffer_load_dword v174, off, s[0:3], 0 offset:796
	buffer_load_dword v170, off, s[0:3], 0 offset:772
	buffer_load_dword v169, off, s[0:3], 0 offset:768
	ds_read_b128 v[137:140], v198 offset:1584
	s_waitcnt vmcnt(58) lgkmcnt(1)
	v_mul_f64 v[181:182], v[1:2], v[187:188]
	v_mul_f64 v[187:188], v[3:4], v[187:188]
	s_waitcnt vmcnt(56)
	v_fma_f64 v[163:164], v[5:6], v[167:168], -v[163:164]
	v_fma_f64 v[167:168], v[7:8], v[167:168], v[219:220]
	v_add_f64 v[143:144], v[143:144], v[179:180]
	v_add_f64 v[141:142], v[141:142], v[157:158]
	s_clause 0x4
	buffer_load_dword v158, off, s[0:3], 0 offset:812
	buffer_load_dword v179, off, s[0:3], 0 offset:824
	buffer_load_dword v199, off, s[0:3], 0 offset:816
	buffer_load_dword v157, off, s[0:3], 0 offset:808
	buffer_load_dword v206, off, s[0:3], 0 offset:788
	ds_read_b128 v[5:8], v198 offset:1600
	s_waitcnt vmcnt(57) lgkmcnt(1)
	v_mul_f64 v[219:220], v[137:138], v[171:172]
	v_mul_f64 v[171:172], v[139:140], v[171:172]
	s_waitcnt vmcnt(56)
	v_fma_f64 v[187:188], v[1:2], v[189:190], -v[187:188]
	v_add_f64 v[143:144], v[143:144], v[163:164]
	v_fma_f64 v[163:164], v[3:4], v[189:190], v[181:182]
	v_add_f64 v[141:142], v[141:142], v[167:168]
	s_clause 0x2
	buffer_load_dword v180, off, s[0:3], 0 offset:828
	buffer_load_dword v168, off, s[0:3], 0 offset:804
	buffer_load_dword v167, off, s[0:3], 0 offset:800
	ds_read_b128 v[1:4], v198 offset:1616
	s_waitcnt vmcnt(58) lgkmcnt(1)
	v_mul_f64 v[189:190], v[7:8], v[193:194]
	v_mul_f64 v[181:182], v[5:6], v[193:194]
	;; [unrolled: 28-line block ×4, first 2 shown]
	s_waitcnt vmcnt(56)
	v_fma_f64 v[185:186], v[5:6], v[191:192], -v[185:186]
	v_add_f64 v[143:144], v[143:144], v[183:184]
	v_fma_f64 v[183:184], v[7:8], v[191:192], v[219:220]
	v_add_f64 v[141:142], v[141:142], v[177:178]
	s_clause 0x4
	buffer_load_dword v178, off, s[0:3], 0 offset:908
	buffer_load_dword v191, off, s[0:3], 0 offset:920
	buffer_load_dword v207, off, s[0:3], 0 offset:912
	buffer_load_dword v177, off, s[0:3], 0 offset:904
	buffer_load_dword v196, off, s[0:3], 0 offset:884
	ds_read_b128 v[5:8], v198 offset:1696
	s_waitcnt vmcnt(57) lgkmcnt(1)
	v_mul_f64 v[219:220], v[137:138], v[149:150]
	v_mul_f64 v[149:150], v[139:140], v[149:150]
	s_waitcnt vmcnt(56)
	v_fma_f64 v[201:202], v[1:2], v[211:212], -v[201:202]
	v_fma_f64 v[181:182], v[3:4], v[211:212], v[181:182]
	v_add_f64 v[143:144], v[143:144], v[185:186]
	v_add_f64 v[141:142], v[141:142], v[183:184]
	s_clause 0x2
	buffer_load_dword v192, off, s[0:3], 0 offset:924
	buffer_load_dword v184, off, s[0:3], 0 offset:900
	buffer_load_dword v183, off, s[0:3], 0 offset:896
	ds_read_b128 v[1:4], v198 offset:1712
	s_waitcnt vmcnt(58) lgkmcnt(1)
	v_mul_f64 v[185:186], v[5:6], v[209:210]
	v_mul_f64 v[209:210], v[7:8], v[209:210]
	s_waitcnt vmcnt(56)
	v_fma_f64 v[149:150], v[137:138], v[155:156], -v[149:150]
	v_fma_f64 v[155:156], v[139:140], v[155:156], v[219:220]
	v_add_f64 v[143:144], v[143:144], v[201:202]
	v_add_f64 v[141:142], v[141:142], v[181:182]
	s_clause 0x4
	buffer_load_dword v182, off, s[0:3], 0 offset:940
	buffer_load_dword v201, off, s[0:3], 0 offset:952
	buffer_load_dword v211, off, s[0:3], 0 offset:944
	buffer_load_dword v181, off, s[0:3], 0 offset:936
	buffer_load_dword v208, off, s[0:3], 0 offset:916
	ds_read_b128 v[137:140], v198 offset:1728
	s_waitcnt vmcnt(57) lgkmcnt(1)
	v_mul_f64 v[219:220], v[1:2], v[161:162]
	v_mul_f64 v[161:162], v[3:4], v[161:162]
	s_waitcnt vmcnt(56)
	v_fma_f64 v[209:210], v[5:6], v[215:216], -v[209:210]
	v_add_f64 v[143:144], v[143:144], v[149:150]
	v_fma_f64 v[149:150], v[7:8], v[215:216], v[185:186]
	v_add_f64 v[141:142], v[141:142], v[155:156]
	s_clause 0x2
	buffer_load_dword v202, off, s[0:3], 0 offset:956
	buffer_load_dword v156, off, s[0:3], 0 offset:932
	buffer_load_dword v155, off, s[0:3], 0 offset:928
	ds_read_b128 v[5:8], v198 offset:1744
	s_waitcnt vmcnt(58) lgkmcnt(1)
	v_mul_f64 v[185:186], v[137:138], v[203:204]
	v_mul_f64 v[203:204], v[139:140], v[203:204]
	s_waitcnt vmcnt(56)
	v_fma_f64 v[161:162], v[1:2], v[153:154], -v[161:162]
	v_fma_f64 v[153:154], v[3:4], v[153:154], v[219:220]
	v_add_f64 v[143:144], v[143:144], v[209:210]
	v_add_f64 v[141:142], v[141:142], v[149:150]
	s_clause 0x4
	buffer_load_dword v150, off, s[0:3], 0 offset:972
	buffer_load_dword v209, off, s[0:3], 0 offset:984
	buffer_load_dword v215, off, s[0:3], 0 offset:976
	buffer_load_dword v149, off, s[0:3], 0 offset:968
	buffer_load_dword v212, off, s[0:3], 0 offset:948
	ds_read_b128 v[1:4], v198 offset:1760
	s_waitcnt vmcnt(57) lgkmcnt(1)
	v_mul_f64 v[219:220], v[5:6], v[147:148]
	v_mul_f64 v[147:148], v[7:8], v[147:148]
	s_waitcnt vmcnt(56)
	v_fma_f64 v[203:204], v[137:138], v[217:218], -v[203:204]
	v_add_f64 v[143:144], v[143:144], v[161:162]
	v_fma_f64 v[161:162], v[139:140], v[217:218], v[185:186]
	;; [unrolled: 28-line block ×3, first 2 shown]
	v_add_f64 v[141:142], v[141:142], v[159:160]
	s_clause 0x2
	buffer_load_dword v204, off, s[0:3], 0 offset:1020
	buffer_load_dword v160, off, s[0:3], 0 offset:996
	;; [unrolled: 1-line block ×3, first 2 shown]
	ds_read_b128 v[1:4], v198 offset:1808
	s_waitcnt vmcnt(58) lgkmcnt(1)
	v_mul_f64 v[185:186], v[5:6], v[173:174]
	v_mul_f64 v[173:174], v[7:8], v[173:174]
	s_waitcnt vmcnt(56)
	v_fma_f64 v[151:152], v[137:138], v[169:170], -v[151:152]
	v_add_f64 v[143:144], v[143:144], v[165:166]
	v_fma_f64 v[165:166], v[139:140], v[169:170], v[218:219]
	v_add_f64 v[141:142], v[141:142], v[147:148]
	s_clause 0x2
	buffer_load_dword v148, off, s[0:3], 0 offset:1036
	buffer_load_dword v147, off, s[0:3], 0 offset:1032
	;; [unrolled: 1-line block ×3, first 2 shown]
	ds_read_b128 v[137:140], v198 offset:1824
	s_waitcnt vmcnt(55) lgkmcnt(1)
	v_mul_f64 v[169:170], v[1:2], v[157:158]
	v_mul_f64 v[157:158], v[3:4], v[157:158]
	s_waitcnt vmcnt(54)
	v_fma_f64 v[173:174], v[5:6], v[205:206], -v[173:174]
	v_add_f64 v[143:144], v[143:144], v[151:152]
	v_fma_f64 v[151:152], v[7:8], v[205:206], v[185:186]
	v_add_f64 v[141:142], v[141:142], v[165:166]
	s_clause 0x1
	buffer_load_dword v166, off, s[0:3], 0 offset:1028
	buffer_load_dword v165, off, s[0:3], 0 offset:1024
	ds_read_b128 v[5:8], v198 offset:1840
	s_waitcnt vmcnt(55) lgkmcnt(1)
	v_mul_f64 v[185:186], v[137:138], v[179:180]
	v_mul_f64 v[179:180], v[139:140], v[179:180]
	s_waitcnt vmcnt(53)
	v_fma_f64 v[157:158], v[1:2], v[167:168], -v[157:158]
	v_fma_f64 v[167:168], v[3:4], v[167:168], v[169:170]
	ds_read_b128 v[1:4], v198 offset:1856
	v_add_f64 v[143:144], v[143:144], v[173:174]
	v_add_f64 v[141:142], v[141:142], v[151:152]
	s_waitcnt vmcnt(49) lgkmcnt(1)
	v_mul_f64 v[151:152], v[5:6], v[163:164]
	v_mul_f64 v[163:164], v[7:8], v[163:164]
	s_waitcnt vmcnt(48)
	v_fma_f64 v[169:170], v[137:138], v[199:200], -v[179:180]
	v_add_f64 v[143:144], v[143:144], v[157:158]
	v_fma_f64 v[157:158], v[139:140], v[199:200], v[185:186]
	v_add_f64 v[141:142], v[141:142], v[167:168]
	s_clause 0x3
	buffer_load_dword v167, off, s[0:3], 0 offset:96
	buffer_load_dword v168, off, s[0:3], 0 offset:100
	buffer_load_dword v173, off, s[0:3], 0 offset:104
	buffer_load_dword v174, off, s[0:3], 0 offset:108
	ds_read_b128 v[137:140], v198 offset:1872
	s_waitcnt vmcnt(51) lgkmcnt(1)
	v_mul_f64 v[185:186], v[3:4], v[187:188]
	v_mul_f64 v[179:180], v[1:2], v[187:188]
	s_waitcnt vmcnt(49)
	v_fma_f64 v[163:164], v[5:6], v[175:176], -v[163:164]
	v_fma_f64 v[151:152], v[7:8], v[175:176], v[151:152]
	ds_read_b128 v[5:8], v198 offset:1888
	v_add_f64 v[143:144], v[143:144], v[169:170]
	v_add_f64 v[141:142], v[141:142], v[157:158]
	s_waitcnt vmcnt(45) lgkmcnt(1)
	v_mul_f64 v[157:158], v[137:138], v[171:172]
	v_mul_f64 v[169:170], v[139:140], v[171:172]
	s_waitcnt vmcnt(44)
	v_fma_f64 v[171:172], v[1:2], v[193:194], -v[185:186]
	v_add_f64 v[143:144], v[143:144], v[163:164]
	v_fma_f64 v[163:164], v[3:4], v[193:194], v[179:180]
	v_add_f64 v[141:142], v[141:142], v[151:152]
	ds_read_b128 v[1:4], v198 offset:1904
	s_waitcnt vmcnt(43) lgkmcnt(1)
	v_mul_f64 v[175:176], v[7:8], v[189:190]
	v_mul_f64 v[151:152], v[5:6], v[189:190]
	s_waitcnt vmcnt(41)
	v_fma_f64 v[169:170], v[137:138], v[145:146], -v[169:170]
	v_fma_f64 v[145:146], v[139:140], v[145:146], v[157:158]
	ds_read_b128 v[137:140], v198 offset:1920
	v_add_f64 v[143:144], v[143:144], v[171:172]
	v_add_f64 v[141:142], v[141:142], v[163:164]
	s_waitcnt vmcnt(37) lgkmcnt(1)
	v_mul_f64 v[163:164], v[3:4], v[177:178]
	s_waitcnt vmcnt(36)
	v_fma_f64 v[171:172], v[5:6], v[195:196], -v[175:176]
	v_mul_f64 v[157:158], v[1:2], v[177:178]
	v_fma_f64 v[151:152], v[7:8], v[195:196], v[151:152]
	ds_read_b128 v[5:8], v198 offset:1936
	v_add_f64 v[143:144], v[143:144], v[169:170]
	v_add_f64 v[141:142], v[141:142], v[145:146]
	s_waitcnt vmcnt(35) lgkmcnt(1)
	v_mul_f64 v[169:170], v[139:140], v[191:192]
	v_mul_f64 v[145:146], v[137:138], v[191:192]
	s_waitcnt vmcnt(33)
	v_fma_f64 v[163:164], v[1:2], v[183:184], -v[163:164]
	v_fma_f64 v[157:158], v[3:4], v[183:184], v[157:158]
	ds_read_b128 v[1:4], v198 offset:1952
	v_add_f64 v[143:144], v[143:144], v[171:172]
	v_add_f64 v[141:142], v[141:142], v[151:152]
	s_waitcnt vmcnt(29) lgkmcnt(1)
	v_mul_f64 v[171:172], v[7:8], v[181:182]
	s_waitcnt vmcnt(28)
	v_fma_f64 v[169:170], v[137:138], v[207:208], -v[169:170]
	v_mul_f64 v[151:152], v[5:6], v[181:182]
	v_fma_f64 v[145:146], v[139:140], v[207:208], v[145:146]
	ds_read_b128 v[137:140], v198 offset:1968
	v_add_f64 v[143:144], v[143:144], v[163:164]
	v_add_f64 v[141:142], v[141:142], v[157:158]
	s_waitcnt vmcnt(27) lgkmcnt(1)
	v_mul_f64 v[163:164], v[3:4], v[201:202]
	v_mul_f64 v[157:158], v[1:2], v[201:202]
	s_waitcnt vmcnt(25)
	v_fma_f64 v[171:172], v[5:6], v[155:156], -v[171:172]
	v_fma_f64 v[151:152], v[7:8], v[155:156], v[151:152]
	ds_read_b128 v[5:8], v198 offset:1984
	v_add_f64 v[143:144], v[143:144], v[169:170]
	v_add_f64 v[141:142], v[141:142], v[145:146]
	s_waitcnt vmcnt(21) lgkmcnt(1)
	v_mul_f64 v[145:146], v[137:138], v[149:150]
	v_mul_f64 v[149:150], v[139:140], v[149:150]
	s_waitcnt vmcnt(20)
	v_fma_f64 v[155:156], v[1:2], v[211:212], -v[163:164]
	v_fma_f64 v[157:158], v[3:4], v[211:212], v[157:158]
	ds_read_b128 v[1:4], v198 offset:2000
	v_add_f64 v[143:144], v[143:144], v[171:172]
	v_add_f64 v[141:142], v[141:142], v[151:152]
	s_waitcnt vmcnt(19) lgkmcnt(1)
	v_mul_f64 v[163:164], v[7:8], v[209:210]
	v_mul_f64 v[151:152], v[5:6], v[209:210]
	s_waitcnt vmcnt(17)
	v_fma_f64 v[149:150], v[137:138], v[153:154], -v[149:150]
	v_fma_f64 v[145:146], v[139:140], v[153:154], v[145:146]
	ds_read_b128 v[137:140], v198 offset:2016
	v_add_f64 v[143:144], v[143:144], v[155:156]
	v_add_f64 v[141:142], v[141:142], v[157:158]
	s_waitcnt vmcnt(13) lgkmcnt(1)
	v_mul_f64 v[155:156], v[3:4], v[161:162]
	s_waitcnt vmcnt(12)
	v_fma_f64 v[157:158], v[5:6], v[215:216], -v[163:164]
	v_mul_f64 v[153:154], v[1:2], v[161:162]
	v_add_f64 v[143:144], v[143:144], v[149:150]
	v_fma_f64 v[149:150], v[7:8], v[215:216], v[151:152]
	v_add_f64 v[141:142], v[141:142], v[145:146]
	ds_read_b128 v[5:8], v198 offset:2032
	s_waitcnt vmcnt(11) lgkmcnt(1)
	v_mul_f64 v[151:152], v[139:140], v[203:204]
	v_mul_f64 v[145:146], v[137:138], v[203:204]
	s_waitcnt vmcnt(9)
	v_fma_f64 v[1:2], v[1:2], v[159:160], -v[155:156]
	v_fma_f64 v[3:4], v[3:4], v[159:160], v[153:154]
	v_add_f64 v[143:144], v[143:144], v[157:158]
	v_add_f64 v[141:142], v[141:142], v[149:150]
	s_waitcnt vmcnt(7) lgkmcnt(0)
	v_mul_f64 v[149:150], v[5:6], v[147:148]
	v_mul_f64 v[147:148], v[7:8], v[147:148]
	s_waitcnt vmcnt(6)
	v_fma_f64 v[137:138], v[137:138], v[217:218], -v[151:152]
	v_fma_f64 v[139:140], v[139:140], v[217:218], v[145:146]
	v_add_f64 v[1:2], v[143:144], v[1:2]
	v_add_f64 v[3:4], v[141:142], v[3:4]
	s_waitcnt vmcnt(4)
	v_fma_f64 v[5:6], v[5:6], v[165:166], -v[147:148]
	v_fma_f64 v[7:8], v[7:8], v[165:166], v[149:150]
	v_add_f64 v[1:2], v[1:2], v[137:138]
	v_add_f64 v[3:4], v[3:4], v[139:140]
	;; [unrolled: 1-line block ×4, first 2 shown]
	s_waitcnt vmcnt(2)
	v_add_f64 v[1:2], v[167:168], -v[1:2]
	s_waitcnt vmcnt(0)
	v_add_f64 v[3:4], v[173:174], -v[3:4]
	buffer_store_dword v2, off, s[0:3], 0 offset:100
	buffer_store_dword v1, off, s[0:3], 0 offset:96
	;; [unrolled: 1-line block ×4, first 2 shown]
	v_cmpx_lt_u32_e32 4, v0
	s_cbranch_execz .LBB127_401
; %bb.400:
	v_mov_b32_e32 v4, s74
	v_mov_b32_e32 v5, 0
	s_clause 0x3
	buffer_load_dword v1, v4, s[0:3], 0 offen
	buffer_load_dword v2, v4, s[0:3], 0 offen offset:4
	buffer_load_dword v3, v4, s[0:3], 0 offen offset:8
	;; [unrolled: 1-line block ×3, first 2 shown]
	buffer_store_dword v5, off, s[0:3], 0 offset:80
	buffer_store_dword v5, off, s[0:3], 0 offset:84
	;; [unrolled: 1-line block ×4, first 2 shown]
	s_waitcnt vmcnt(0)
	ds_write_b128 v197, v[1:4]
.LBB127_401:
	s_or_b32 exec_lo, exec_lo, s4
	s_waitcnt lgkmcnt(0)
	s_waitcnt_vscnt null, 0x0
	s_barrier
	buffer_gl0_inv
	s_clause 0x37
	buffer_load_dword v145, off, s[0:3], 0 offset:104
	buffer_load_dword v146, off, s[0:3], 0 offset:108
	;; [unrolled: 1-line block ×56, first 2 shown]
	v_mov_b32_e32 v198, 0
	s_mov_b32 s4, exec_lo
	ds_read_b128 v[5:8], v198 offset:1104
	s_clause 0x2
	buffer_load_dword v194, off, s[0:3], 0 offset:332
	buffer_load_dword v196, off, s[0:3], 0 offset:308
	;; [unrolled: 1-line block ×3, first 2 shown]
	ds_read_b128 v[1:4], v198 offset:1120
	s_clause 0x4
	buffer_load_dword v206, off, s[0:3], 0 offset:348
	buffer_load_dword v207, off, s[0:3], 0 offset:360
	;; [unrolled: 1-line block ×5, first 2 shown]
	ds_read_b128 v[199:202], v198 offset:1136
	s_waitcnt vmcnt(62) lgkmcnt(2)
	v_mul_f64 v[203:204], v[7:8], v[145:146]
	v_mul_f64 v[145:146], v[5:6], v[145:146]
	s_waitcnt vmcnt(60) lgkmcnt(1)
	v_mul_f64 v[210:211], v[3:4], v[141:142]
	v_mul_f64 v[141:142], v[1:2], v[141:142]
	;; [unrolled: 3-line block ×3, first 2 shown]
	v_fma_f64 v[203:204], v[5:6], v[143:144], -v[203:204]
	v_fma_f64 v[143:144], v[7:8], v[143:144], v[145:146]
	s_clause 0x2
	buffer_load_dword v208, off, s[0:3], 0 offset:364
	buffer_load_dword v146, off, s[0:3], 0 offset:340
	;; [unrolled: 1-line block ×3, first 2 shown]
	s_waitcnt vmcnt(57)
	v_fma_f64 v[214:215], v[1:2], v[137:138], -v[210:211]
	ds_read_b128 v[5:8], v198 offset:1152
	v_fma_f64 v[137:138], v[3:4], v[137:138], v[141:142]
	s_waitcnt vmcnt(51)
	v_fma_f64 v[199:200], v[199:200], v[161:162], -v[139:140]
	v_fma_f64 v[161:162], v[201:202], v[161:162], v[212:213]
	v_add_f64 v[203:204], v[203:204], 0
	v_add_f64 v[141:142], v[143:144], 0
	s_clause 0x4
	buffer_load_dword v144, off, s[0:3], 0 offset:380
	buffer_load_dword v211, off, s[0:3], 0 offset:392
	;; [unrolled: 1-line block ×5, first 2 shown]
	s_waitcnt lgkmcnt(0)
	v_mul_f64 v[217:218], v[5:6], v[149:150]
	v_mul_f64 v[149:150], v[7:8], v[149:150]
	ds_read_b128 v[1:4], v198 offset:1168
	s_clause 0x2
	buffer_load_dword v212, off, s[0:3], 0 offset:396
	buffer_load_dword v202, off, s[0:3], 0 offset:372
	;; [unrolled: 1-line block ×3, first 2 shown]
	v_add_f64 v[203:204], v[203:204], v[214:215]
	v_add_f64 v[141:142], v[141:142], v[137:138]
	ds_read_b128 v[137:140], v198 offset:1184
	s_waitcnt vmcnt(58) lgkmcnt(1)
	v_mul_f64 v[213:214], v[1:2], v[153:154]
	v_mul_f64 v[153:154], v[3:4], v[153:154]
	s_waitcnt vmcnt(56)
	v_fma_f64 v[149:150], v[5:6], v[155:156], -v[149:150]
	v_fma_f64 v[155:156], v[7:8], v[155:156], v[217:218]
	s_waitcnt vmcnt(52) lgkmcnt(0)
	v_mul_f64 v[219:220], v[137:138], v[157:158]
	v_add_f64 v[199:200], v[203:204], v[199:200]
	v_add_f64 v[141:142], v[141:142], v[161:162]
	s_clause 0x4
	buffer_load_dword v162, off, s[0:3], 0 offset:412
	buffer_load_dword v203, off, s[0:3], 0 offset:424
	;; [unrolled: 1-line block ×5, first 2 shown]
	v_mul_f64 v[157:158], v[139:140], v[157:158]
	s_waitcnt vmcnt(56)
	v_fma_f64 v[153:154], v[1:2], v[147:148], -v[153:154]
	ds_read_b128 v[5:8], v198 offset:1200
	v_fma_f64 v[147:148], v[3:4], v[147:148], v[213:214]
	v_add_f64 v[149:150], v[199:200], v[149:150]
	v_add_f64 v[141:142], v[141:142], v[155:156]
	s_clause 0x2
	buffer_load_dword v204, off, s[0:3], 0 offset:428
	buffer_load_dword v156, off, s[0:3], 0 offset:404
	;; [unrolled: 1-line block ×3, first 2 shown]
	s_waitcnt vmcnt(58) lgkmcnt(0)
	v_mul_f64 v[199:200], v[5:6], v[163:164]
	v_mul_f64 v[163:164], v[7:8], v[163:164]
	s_waitcnt vmcnt(56)
	v_fma_f64 v[157:158], v[137:138], v[165:166], -v[157:158]
	ds_read_b128 v[1:4], v198 offset:1216
	v_add_f64 v[149:150], v[149:150], v[153:154]
	v_fma_f64 v[153:154], v[139:140], v[165:166], v[219:220]
	v_add_f64 v[141:142], v[141:142], v[147:148]
	s_clause 0x4
	buffer_load_dword v148, off, s[0:3], 0 offset:444
	buffer_load_dword v165, off, s[0:3], 0 offset:456
	;; [unrolled: 1-line block ×5, first 2 shown]
	s_waitcnt vmcnt(57) lgkmcnt(0)
	v_mul_f64 v[214:215], v[1:2], v[167:168]
	v_mul_f64 v[167:168], v[3:4], v[167:168]
	s_waitcnt vmcnt(56)
	v_fma_f64 v[163:164], v[5:6], v[151:152], -v[163:164]
	ds_read_b128 v[137:140], v198 offset:1232
	v_fma_f64 v[151:152], v[7:8], v[151:152], v[199:200]
	v_add_f64 v[149:150], v[149:150], v[157:158]
	v_add_f64 v[141:142], v[141:142], v[153:154]
	s_clause 0x2
	buffer_load_dword v166, off, s[0:3], 0 offset:460
	buffer_load_dword v154, off, s[0:3], 0 offset:436
	;; [unrolled: 1-line block ×3, first 2 shown]
	ds_read_b128 v[5:8], v198 offset:1248
	s_waitcnt vmcnt(58) lgkmcnt(1)
	v_mul_f64 v[157:158], v[137:138], v[171:172]
	v_mul_f64 v[171:172], v[139:140], v[171:172]
	s_waitcnt vmcnt(56)
	v_fma_f64 v[167:168], v[1:2], v[173:174], -v[167:168]
	v_add_f64 v[149:150], v[149:150], v[163:164]
	v_fma_f64 v[163:164], v[3:4], v[173:174], v[214:215]
	v_add_f64 v[141:142], v[141:142], v[151:152]
	s_clause 0x4
	buffer_load_dword v152, off, s[0:3], 0 offset:476
	buffer_load_dword v173, off, s[0:3], 0 offset:488
	;; [unrolled: 1-line block ×5, first 2 shown]
	s_waitcnt vmcnt(57) lgkmcnt(0)
	v_mul_f64 v[220:221], v[5:6], v[175:176]
	v_mul_f64 v[175:176], v[7:8], v[175:176]
	s_waitcnt vmcnt(56)
	v_fma_f64 v[171:172], v[137:138], v[159:160], -v[171:172]
	ds_read_b128 v[1:4], v198 offset:1264
	v_fma_f64 v[157:158], v[139:140], v[159:160], v[157:158]
	s_clause 0x2
	buffer_load_dword v174, off, s[0:3], 0 offset:492
	buffer_load_dword v160, off, s[0:3], 0 offset:468
	;; [unrolled: 1-line block ×3, first 2 shown]
	ds_read_b128 v[137:140], v198 offset:1280
	v_add_f64 v[149:150], v[149:150], v[167:168]
	v_add_f64 v[141:142], v[141:142], v[163:164]
	s_waitcnt vmcnt(58) lgkmcnt(1)
	v_mul_f64 v[167:168], v[3:4], v[179:180]
	s_waitcnt vmcnt(56)
	v_fma_f64 v[175:176], v[5:6], v[181:182], -v[175:176]
	v_mul_f64 v[163:164], v[1:2], v[179:180]
	v_add_f64 v[149:150], v[149:150], v[171:172]
	v_fma_f64 v[171:172], v[7:8], v[181:182], v[220:221]
	v_add_f64 v[141:142], v[141:142], v[157:158]
	s_clause 0x4
	buffer_load_dword v158, off, s[0:3], 0 offset:508
	buffer_load_dword v179, off, s[0:3], 0 offset:520
	;; [unrolled: 1-line block ×5, first 2 shown]
	s_waitcnt vmcnt(57) lgkmcnt(0)
	v_mul_f64 v[220:221], v[137:138], v[183:184]
	v_mul_f64 v[182:183], v[139:140], v[183:184]
	s_waitcnt vmcnt(56)
	v_fma_f64 v[167:168], v[1:2], v[169:170], -v[167:168]
	ds_read_b128 v[5:8], v198 offset:1296
	v_fma_f64 v[163:164], v[3:4], v[169:170], v[163:164]
	s_clause 0x2
	buffer_load_dword v180, off, s[0:3], 0 offset:524
	buffer_load_dword v170, off, s[0:3], 0 offset:500
	buffer_load_dword v169, off, s[0:3], 0 offset:496
	ds_read_b128 v[1:4], v198 offset:1312
	v_add_f64 v[149:150], v[149:150], v[175:176]
	v_add_f64 v[141:142], v[141:142], v[171:172]
	s_waitcnt vmcnt(58) lgkmcnt(1)
	v_mul_f64 v[175:176], v[7:8], v[187:188]
	s_waitcnt vmcnt(56)
	v_fma_f64 v[183:184], v[137:138], v[189:190], -v[182:183]
	v_mul_f64 v[171:172], v[5:6], v[187:188]
	v_add_f64 v[149:150], v[149:150], v[167:168]
	v_fma_f64 v[167:168], v[139:140], v[189:190], v[220:221]
	v_add_f64 v[141:142], v[141:142], v[163:164]
	s_clause 0x4
	buffer_load_dword v164, off, s[0:3], 0 offset:540
	buffer_load_dword v187, off, s[0:3], 0 offset:552
	;; [unrolled: 1-line block ×5, first 2 shown]
	s_waitcnt vmcnt(57) lgkmcnt(0)
	v_mul_f64 v[220:221], v[1:2], v[191:192]
	v_mul_f64 v[190:191], v[3:4], v[191:192]
	s_waitcnt vmcnt(56)
	v_fma_f64 v[175:176], v[5:6], v[177:178], -v[175:176]
	ds_read_b128 v[137:140], v198 offset:1328
	v_fma_f64 v[171:172], v[7:8], v[177:178], v[171:172]
	v_add_f64 v[149:150], v[149:150], v[183:184]
	v_add_f64 v[141:142], v[141:142], v[167:168]
	s_clause 0x2
	buffer_load_dword v188, off, s[0:3], 0 offset:556
	buffer_load_dword v168, off, s[0:3], 0 offset:532
	;; [unrolled: 1-line block ×3, first 2 shown]
	ds_read_b128 v[5:8], v198 offset:1344
	s_waitcnt vmcnt(58) lgkmcnt(1)
	v_mul_f64 v[183:184], v[139:140], v[193:194]
	s_waitcnt vmcnt(56)
	v_fma_f64 v[191:192], v[1:2], v[195:196], -v[190:191]
	v_mul_f64 v[177:178], v[137:138], v[193:194]
	v_add_f64 v[149:150], v[149:150], v[175:176]
	v_fma_f64 v[175:176], v[3:4], v[195:196], v[220:221]
	v_add_f64 v[141:142], v[141:142], v[171:172]
	s_clause 0x4
	buffer_load_dword v172, off, s[0:3], 0 offset:572
	buffer_load_dword v193, off, s[0:3], 0 offset:584
	;; [unrolled: 1-line block ×5, first 2 shown]
	s_waitcnt vmcnt(57) lgkmcnt(0)
	v_mul_f64 v[220:221], v[5:6], v[205:206]
	v_mul_f64 v[205:206], v[7:8], v[205:206]
	s_waitcnt vmcnt(56)
	v_fma_f64 v[183:184], v[137:138], v[185:186], -v[183:184]
	ds_read_b128 v[1:4], v198 offset:1360
	v_fma_f64 v[177:178], v[139:140], v[185:186], v[177:178]
	v_add_f64 v[149:150], v[149:150], v[191:192]
	v_add_f64 v[141:142], v[141:142], v[175:176]
	s_clause 0x2
	buffer_load_dword v194, off, s[0:3], 0 offset:588
	buffer_load_dword v176, off, s[0:3], 0 offset:564
	;; [unrolled: 1-line block ×3, first 2 shown]
	ds_read_b128 v[137:140], v198 offset:1376
	s_waitcnt vmcnt(58) lgkmcnt(1)
	v_mul_f64 v[191:192], v[3:4], v[207:208]
	v_mul_f64 v[185:186], v[1:2], v[207:208]
	s_waitcnt vmcnt(56)
	v_fma_f64 v[205:206], v[5:6], v[145:146], -v[205:206]
	v_fma_f64 v[145:146], v[7:8], v[145:146], v[220:221]
	v_add_f64 v[149:150], v[149:150], v[183:184]
	v_add_f64 v[141:142], v[141:142], v[177:178]
	s_clause 0x4
	buffer_load_dword v178, off, s[0:3], 0 offset:604
	buffer_load_dword v183, off, s[0:3], 0 offset:616
	;; [unrolled: 1-line block ×5, first 2 shown]
	ds_read_b128 v[5:8], v198 offset:1392
	s_waitcnt vmcnt(57) lgkmcnt(1)
	v_mul_f64 v[220:221], v[137:138], v[143:144]
	v_mul_f64 v[143:144], v[139:140], v[143:144]
	s_waitcnt vmcnt(56)
	v_fma_f64 v[191:192], v[1:2], v[209:210], -v[191:192]
	v_fma_f64 v[185:186], v[3:4], v[209:210], v[185:186]
	v_add_f64 v[149:150], v[149:150], v[205:206]
	v_add_f64 v[141:142], v[141:142], v[145:146]
	s_clause 0x2
	buffer_load_dword v184, off, s[0:3], 0 offset:620
	buffer_load_dword v146, off, s[0:3], 0 offset:596
	;; [unrolled: 1-line block ×3, first 2 shown]
	s_waitcnt vmcnt(58) lgkmcnt(0)
	v_mul_f64 v[209:210], v[7:8], v[211:212]
	ds_read_b128 v[1:4], v198 offset:1408
	v_mul_f64 v[205:206], v[5:6], v[211:212]
	s_waitcnt vmcnt(56)
	v_fma_f64 v[143:144], v[137:138], v[201:202], -v[143:144]
	v_add_f64 v[149:150], v[149:150], v[191:192]
	v_fma_f64 v[191:192], v[139:140], v[201:202], v[220:221]
	v_add_f64 v[141:142], v[141:142], v[185:186]
	s_clause 0x4
	buffer_load_dword v186, off, s[0:3], 0 offset:636
	buffer_load_dword v201, off, s[0:3], 0 offset:648
	;; [unrolled: 1-line block ×5, first 2 shown]
	ds_read_b128 v[137:140], v198 offset:1424
	s_waitcnt vmcnt(57) lgkmcnt(1)
	v_mul_f64 v[220:221], v[1:2], v[161:162]
	v_mul_f64 v[161:162], v[3:4], v[161:162]
	s_waitcnt vmcnt(56)
	v_fma_f64 v[209:210], v[5:6], v[216:217], -v[209:210]
	v_add_f64 v[143:144], v[149:150], v[143:144]
	v_fma_f64 v[149:150], v[7:8], v[216:217], v[205:206]
	v_add_f64 v[141:142], v[141:142], v[191:192]
	s_clause 0x2
	buffer_load_dword v202, off, s[0:3], 0 offset:652
	buffer_load_dword v192, off, s[0:3], 0 offset:628
	;; [unrolled: 1-line block ×3, first 2 shown]
	ds_read_b128 v[5:8], v198 offset:1440
	s_waitcnt vmcnt(58) lgkmcnt(1)
	v_mul_f64 v[205:206], v[137:138], v[203:204]
	v_mul_f64 v[203:204], v[139:140], v[203:204]
	s_waitcnt vmcnt(56)
	v_fma_f64 v[161:162], v[1:2], v[155:156], -v[161:162]
	v_fma_f64 v[155:156], v[3:4], v[155:156], v[220:221]
	v_add_f64 v[143:144], v[143:144], v[209:210]
	v_add_f64 v[141:142], v[141:142], v[149:150]
	s_clause 0x4
	buffer_load_dword v150, off, s[0:3], 0 offset:668
	buffer_load_dword v209, off, s[0:3], 0 offset:680
	;; [unrolled: 1-line block ×5, first 2 shown]
	ds_read_b128 v[1:4], v198 offset:1456
	s_waitcnt vmcnt(57) lgkmcnt(1)
	v_mul_f64 v[216:217], v[5:6], v[147:148]
	v_mul_f64 v[147:148], v[7:8], v[147:148]
	s_waitcnt vmcnt(56)
	v_fma_f64 v[203:204], v[137:138], v[218:219], -v[203:204]
	v_add_f64 v[143:144], v[143:144], v[161:162]
	v_fma_f64 v[161:162], v[139:140], v[218:219], v[205:206]
	v_add_f64 v[141:142], v[141:142], v[155:156]
	s_clause 0x2
	buffer_load_dword v210, off, s[0:3], 0 offset:684
	buffer_load_dword v156, off, s[0:3], 0 offset:660
	;; [unrolled: 1-line block ×3, first 2 shown]
	ds_read_b128 v[137:140], v198 offset:1472
	s_waitcnt vmcnt(58) lgkmcnt(1)
	v_mul_f64 v[205:206], v[1:2], v[165:166]
	v_mul_f64 v[165:166], v[3:4], v[165:166]
	s_waitcnt vmcnt(56)
	v_fma_f64 v[147:148], v[5:6], v[153:154], -v[147:148]
	v_fma_f64 v[153:154], v[7:8], v[153:154], v[216:217]
	v_add_f64 v[143:144], v[143:144], v[203:204]
	v_add_f64 v[141:142], v[141:142], v[161:162]
	s_clause 0x4
	buffer_load_dword v162, off, s[0:3], 0 offset:700
	buffer_load_dword v203, off, s[0:3], 0 offset:712
	;; [unrolled: 1-line block ×5, first 2 shown]
	ds_read_b128 v[5:8], v198 offset:1488
	s_waitcnt vmcnt(57) lgkmcnt(1)
	v_mul_f64 v[218:219], v[137:138], v[151:152]
	v_mul_f64 v[151:152], v[139:140], v[151:152]
	s_waitcnt vmcnt(56)
	v_fma_f64 v[165:166], v[1:2], v[213:214], -v[165:166]
	v_add_f64 v[143:144], v[143:144], v[147:148]
	v_fma_f64 v[147:148], v[3:4], v[213:214], v[205:206]
	v_add_f64 v[141:142], v[141:142], v[153:154]
	s_clause 0x2
	buffer_load_dword v204, off, s[0:3], 0 offset:716
	buffer_load_dword v154, off, s[0:3], 0 offset:692
	;; [unrolled: 1-line block ×3, first 2 shown]
	s_waitcnt vmcnt(58) lgkmcnt(0)
	v_mul_f64 v[205:206], v[5:6], v[173:174]
	v_mul_f64 v[173:174], v[7:8], v[173:174]
	ds_read_b128 v[1:4], v198 offset:1504
	s_waitcnt vmcnt(56)
	v_fma_f64 v[151:152], v[137:138], v[159:160], -v[151:152]
	v_fma_f64 v[159:160], v[139:140], v[159:160], v[218:219]
	v_add_f64 v[143:144], v[143:144], v[165:166]
	v_add_f64 v[141:142], v[141:142], v[147:148]
	s_clause 0x4
	buffer_load_dword v148, off, s[0:3], 0 offset:732
	buffer_load_dword v165, off, s[0:3], 0 offset:744
	;; [unrolled: 1-line block ×5, first 2 shown]
	ds_read_b128 v[137:140], v198 offset:1520
	s_waitcnt vmcnt(57) lgkmcnt(1)
	v_mul_f64 v[219:220], v[1:2], v[157:158]
	v_mul_f64 v[157:158], v[3:4], v[157:158]
	s_waitcnt vmcnt(56)
	v_fma_f64 v[173:174], v[5:6], v[199:200], -v[173:174]
	v_add_f64 v[143:144], v[143:144], v[151:152]
	v_fma_f64 v[151:152], v[7:8], v[199:200], v[205:206]
	v_add_f64 v[141:142], v[141:142], v[159:160]
	s_clause 0x2
	buffer_load_dword v166, off, s[0:3], 0 offset:748
	buffer_load_dword v160, off, s[0:3], 0 offset:724
	;; [unrolled: 1-line block ×3, first 2 shown]
	s_waitcnt vmcnt(58) lgkmcnt(0)
	v_mul_f64 v[199:200], v[137:138], v[179:180]
	v_mul_f64 v[179:180], v[139:140], v[179:180]
	ds_read_b128 v[5:8], v198 offset:1536
	s_waitcnt vmcnt(56)
	v_fma_f64 v[157:158], v[1:2], v[169:170], -v[157:158]
	v_fma_f64 v[169:170], v[3:4], v[169:170], v[219:220]
	v_add_f64 v[143:144], v[143:144], v[173:174]
	v_add_f64 v[141:142], v[141:142], v[151:152]
	s_clause 0x4
	buffer_load_dword v152, off, s[0:3], 0 offset:764
	buffer_load_dword v173, off, s[0:3], 0 offset:776
	buffer_load_dword v205, off, s[0:3], 0 offset:768
	buffer_load_dword v151, off, s[0:3], 0 offset:760
	buffer_load_dword v214, off, s[0:3], 0 offset:740
	ds_read_b128 v[1:4], v198 offset:1552
	s_waitcnt vmcnt(57) lgkmcnt(1)
	v_mul_f64 v[219:220], v[5:6], v[163:164]
	v_mul_f64 v[163:164], v[7:8], v[163:164]
	s_waitcnt vmcnt(56)
	v_fma_f64 v[179:180], v[137:138], v[181:182], -v[179:180]
	v_add_f64 v[143:144], v[143:144], v[157:158]
	v_fma_f64 v[157:158], v[139:140], v[181:182], v[199:200]
	v_add_f64 v[141:142], v[141:142], v[169:170]
	s_clause 0x2
	buffer_load_dword v174, off, s[0:3], 0 offset:780
	buffer_load_dword v170, off, s[0:3], 0 offset:756
	buffer_load_dword v169, off, s[0:3], 0 offset:752
	ds_read_b128 v[137:140], v198 offset:1568
	s_waitcnt vmcnt(58) lgkmcnt(1)
	v_mul_f64 v[181:182], v[1:2], v[187:188]
	v_mul_f64 v[187:188], v[3:4], v[187:188]
	s_waitcnt vmcnt(56)
	v_fma_f64 v[163:164], v[5:6], v[167:168], -v[163:164]
	v_fma_f64 v[167:168], v[7:8], v[167:168], v[219:220]
	v_add_f64 v[143:144], v[143:144], v[179:180]
	v_add_f64 v[141:142], v[141:142], v[157:158]
	s_clause 0x4
	buffer_load_dword v158, off, s[0:3], 0 offset:796
	buffer_load_dword v179, off, s[0:3], 0 offset:808
	buffer_load_dword v199, off, s[0:3], 0 offset:800
	buffer_load_dword v157, off, s[0:3], 0 offset:792
	buffer_load_dword v206, off, s[0:3], 0 offset:772
	ds_read_b128 v[5:8], v198 offset:1584
	s_waitcnt vmcnt(57) lgkmcnt(1)
	v_mul_f64 v[219:220], v[137:138], v[171:172]
	v_mul_f64 v[171:172], v[139:140], v[171:172]
	s_waitcnt vmcnt(56)
	v_fma_f64 v[187:188], v[1:2], v[189:190], -v[187:188]
	v_add_f64 v[143:144], v[143:144], v[163:164]
	v_fma_f64 v[163:164], v[3:4], v[189:190], v[181:182]
	v_add_f64 v[141:142], v[141:142], v[167:168]
	s_clause 0x2
	buffer_load_dword v180, off, s[0:3], 0 offset:812
	buffer_load_dword v168, off, s[0:3], 0 offset:788
	buffer_load_dword v167, off, s[0:3], 0 offset:784
	ds_read_b128 v[1:4], v198 offset:1600
	s_waitcnt vmcnt(58) lgkmcnt(1)
	v_mul_f64 v[189:190], v[7:8], v[193:194]
	v_mul_f64 v[181:182], v[5:6], v[193:194]
	;; [unrolled: 28-line block ×4, first 2 shown]
	s_waitcnt vmcnt(56)
	v_fma_f64 v[185:186], v[5:6], v[191:192], -v[185:186]
	v_add_f64 v[143:144], v[143:144], v[183:184]
	v_fma_f64 v[183:184], v[7:8], v[191:192], v[219:220]
	v_add_f64 v[141:142], v[141:142], v[177:178]
	s_clause 0x4
	buffer_load_dword v178, off, s[0:3], 0 offset:892
	buffer_load_dword v191, off, s[0:3], 0 offset:904
	;; [unrolled: 1-line block ×5, first 2 shown]
	ds_read_b128 v[5:8], v198 offset:1680
	s_waitcnt vmcnt(57) lgkmcnt(1)
	v_mul_f64 v[219:220], v[137:138], v[149:150]
	v_mul_f64 v[149:150], v[139:140], v[149:150]
	s_waitcnt vmcnt(56)
	v_fma_f64 v[201:202], v[1:2], v[211:212], -v[201:202]
	v_fma_f64 v[181:182], v[3:4], v[211:212], v[181:182]
	v_add_f64 v[143:144], v[143:144], v[185:186]
	v_add_f64 v[141:142], v[141:142], v[183:184]
	s_clause 0x2
	buffer_load_dword v192, off, s[0:3], 0 offset:908
	buffer_load_dword v184, off, s[0:3], 0 offset:884
	buffer_load_dword v183, off, s[0:3], 0 offset:880
	ds_read_b128 v[1:4], v198 offset:1696
	s_waitcnt vmcnt(58) lgkmcnt(1)
	v_mul_f64 v[185:186], v[5:6], v[209:210]
	v_mul_f64 v[209:210], v[7:8], v[209:210]
	s_waitcnt vmcnt(56)
	v_fma_f64 v[149:150], v[137:138], v[155:156], -v[149:150]
	v_fma_f64 v[155:156], v[139:140], v[155:156], v[219:220]
	v_add_f64 v[143:144], v[143:144], v[201:202]
	v_add_f64 v[141:142], v[141:142], v[181:182]
	s_clause 0x4
	buffer_load_dword v182, off, s[0:3], 0 offset:924
	buffer_load_dword v201, off, s[0:3], 0 offset:936
	buffer_load_dword v211, off, s[0:3], 0 offset:928
	buffer_load_dword v181, off, s[0:3], 0 offset:920
	buffer_load_dword v208, off, s[0:3], 0 offset:900
	ds_read_b128 v[137:140], v198 offset:1712
	s_waitcnt vmcnt(57) lgkmcnt(1)
	v_mul_f64 v[219:220], v[1:2], v[161:162]
	v_mul_f64 v[161:162], v[3:4], v[161:162]
	s_waitcnt vmcnt(56)
	v_fma_f64 v[209:210], v[5:6], v[215:216], -v[209:210]
	v_add_f64 v[143:144], v[143:144], v[149:150]
	v_fma_f64 v[149:150], v[7:8], v[215:216], v[185:186]
	v_add_f64 v[141:142], v[141:142], v[155:156]
	s_clause 0x2
	buffer_load_dword v202, off, s[0:3], 0 offset:940
	buffer_load_dword v156, off, s[0:3], 0 offset:916
	buffer_load_dword v155, off, s[0:3], 0 offset:912
	ds_read_b128 v[5:8], v198 offset:1728
	s_waitcnt vmcnt(58) lgkmcnt(1)
	v_mul_f64 v[185:186], v[137:138], v[203:204]
	v_mul_f64 v[203:204], v[139:140], v[203:204]
	s_waitcnt vmcnt(56)
	v_fma_f64 v[161:162], v[1:2], v[153:154], -v[161:162]
	v_fma_f64 v[153:154], v[3:4], v[153:154], v[219:220]
	v_add_f64 v[143:144], v[143:144], v[209:210]
	v_add_f64 v[141:142], v[141:142], v[149:150]
	s_clause 0x4
	buffer_load_dword v150, off, s[0:3], 0 offset:956
	buffer_load_dword v209, off, s[0:3], 0 offset:968
	buffer_load_dword v215, off, s[0:3], 0 offset:960
	buffer_load_dword v149, off, s[0:3], 0 offset:952
	buffer_load_dword v212, off, s[0:3], 0 offset:932
	ds_read_b128 v[1:4], v198 offset:1744
	s_waitcnt vmcnt(57) lgkmcnt(1)
	v_mul_f64 v[219:220], v[5:6], v[147:148]
	v_mul_f64 v[147:148], v[7:8], v[147:148]
	s_waitcnt vmcnt(56)
	v_fma_f64 v[203:204], v[137:138], v[217:218], -v[203:204]
	v_add_f64 v[143:144], v[143:144], v[161:162]
	v_fma_f64 v[161:162], v[139:140], v[217:218], v[185:186]
	;; [unrolled: 28-line block ×3, first 2 shown]
	v_add_f64 v[141:142], v[141:142], v[159:160]
	s_clause 0x2
	buffer_load_dword v204, off, s[0:3], 0 offset:1004
	buffer_load_dword v160, off, s[0:3], 0 offset:980
	;; [unrolled: 1-line block ×3, first 2 shown]
	ds_read_b128 v[1:4], v198 offset:1792
	s_waitcnt vmcnt(58) lgkmcnt(1)
	v_mul_f64 v[185:186], v[5:6], v[173:174]
	v_mul_f64 v[173:174], v[7:8], v[173:174]
	s_waitcnt vmcnt(56)
	v_fma_f64 v[151:152], v[137:138], v[169:170], -v[151:152]
	v_add_f64 v[143:144], v[143:144], v[165:166]
	v_fma_f64 v[165:166], v[139:140], v[169:170], v[218:219]
	v_add_f64 v[141:142], v[141:142], v[147:148]
	s_clause 0x4
	buffer_load_dword v148, off, s[0:3], 0 offset:1020
	buffer_load_dword v169, off, s[0:3], 0 offset:1032
	buffer_load_dword v213, off, s[0:3], 0 offset:1024
	buffer_load_dword v147, off, s[0:3], 0 offset:1016
	buffer_load_dword v218, off, s[0:3], 0 offset:996
	ds_read_b128 v[137:140], v198 offset:1808
	s_waitcnt vmcnt(57) lgkmcnt(1)
	v_mul_f64 v[219:220], v[1:2], v[157:158]
	v_mul_f64 v[157:158], v[3:4], v[157:158]
	s_waitcnt vmcnt(56)
	v_fma_f64 v[173:174], v[5:6], v[205:206], -v[173:174]
	v_add_f64 v[143:144], v[143:144], v[151:152]
	v_fma_f64 v[151:152], v[7:8], v[205:206], v[185:186]
	v_add_f64 v[141:142], v[141:142], v[165:166]
	s_clause 0x2
	buffer_load_dword v170, off, s[0:3], 0 offset:1036
	buffer_load_dword v166, off, s[0:3], 0 offset:1012
	;; [unrolled: 1-line block ×3, first 2 shown]
	ds_read_b128 v[5:8], v198 offset:1824
	buffer_load_dword v214, off, s[0:3], 0 offset:1028
	s_waitcnt vmcnt(59) lgkmcnt(1)
	v_mul_f64 v[185:186], v[137:138], v[179:180]
	v_mul_f64 v[179:180], v[139:140], v[179:180]
	s_waitcnt vmcnt(57)
	v_fma_f64 v[157:158], v[1:2], v[167:168], -v[157:158]
	v_fma_f64 v[167:168], v[3:4], v[167:168], v[219:220]
	ds_read_b128 v[1:4], v198 offset:1840
	v_add_f64 v[143:144], v[143:144], v[173:174]
	v_add_f64 v[141:142], v[141:142], v[151:152]
	s_waitcnt vmcnt(53) lgkmcnt(1)
	v_mul_f64 v[151:152], v[5:6], v[163:164]
	v_mul_f64 v[163:164], v[7:8], v[163:164]
	s_waitcnt vmcnt(52)
	v_fma_f64 v[173:174], v[137:138], v[199:200], -v[179:180]
	v_add_f64 v[143:144], v[143:144], v[157:158]
	v_fma_f64 v[157:158], v[139:140], v[199:200], v[185:186]
	v_add_f64 v[141:142], v[141:142], v[167:168]
	ds_read_b128 v[137:140], v198 offset:1856
	s_waitcnt vmcnt(51) lgkmcnt(1)
	v_mul_f64 v[179:180], v[3:4], v[187:188]
	v_mul_f64 v[167:168], v[1:2], v[187:188]
	s_waitcnt vmcnt(49)
	v_fma_f64 v[163:164], v[5:6], v[175:176], -v[163:164]
	v_fma_f64 v[151:152], v[7:8], v[175:176], v[151:152]
	v_add_f64 v[143:144], v[143:144], v[173:174]
	v_add_f64 v[141:142], v[141:142], v[157:158]
	s_clause 0x3
	buffer_load_dword v157, off, s[0:3], 0 offset:80
	buffer_load_dword v158, off, s[0:3], 0 offset:84
	;; [unrolled: 1-line block ×4, first 2 shown]
	ds_read_b128 v[5:8], v198 offset:1872
	s_waitcnt vmcnt(49) lgkmcnt(1)
	v_mul_f64 v[175:176], v[137:138], v[171:172]
	v_mul_f64 v[171:172], v[139:140], v[171:172]
	s_waitcnt vmcnt(48)
	v_fma_f64 v[179:180], v[1:2], v[193:194], -v[179:180]
	v_add_f64 v[143:144], v[143:144], v[163:164]
	v_fma_f64 v[163:164], v[3:4], v[193:194], v[167:168]
	v_add_f64 v[141:142], v[141:142], v[151:152]
	ds_read_b128 v[1:4], v198 offset:1888
	s_waitcnt vmcnt(47) lgkmcnt(1)
	v_mul_f64 v[167:168], v[7:8], v[189:190]
	v_mul_f64 v[151:152], v[5:6], v[189:190]
	s_waitcnt vmcnt(45)
	v_fma_f64 v[171:172], v[137:138], v[145:146], -v[171:172]
	v_fma_f64 v[145:146], v[139:140], v[145:146], v[175:176]
	ds_read_b128 v[137:140], v198 offset:1904
	v_add_f64 v[143:144], v[143:144], v[179:180]
	v_add_f64 v[141:142], v[141:142], v[163:164]
	s_waitcnt vmcnt(41) lgkmcnt(1)
	v_mul_f64 v[175:176], v[3:4], v[177:178]
	s_waitcnt vmcnt(40)
	v_fma_f64 v[167:168], v[5:6], v[195:196], -v[167:168]
	v_mul_f64 v[163:164], v[1:2], v[177:178]
	v_fma_f64 v[151:152], v[7:8], v[195:196], v[151:152]
	ds_read_b128 v[5:8], v198 offset:1920
	v_add_f64 v[143:144], v[143:144], v[171:172]
	v_add_f64 v[141:142], v[141:142], v[145:146]
	s_waitcnt vmcnt(39) lgkmcnt(1)
	v_mul_f64 v[171:172], v[139:140], v[191:192]
	v_mul_f64 v[145:146], v[137:138], v[191:192]
	s_waitcnt vmcnt(37)
	v_fma_f64 v[175:176], v[1:2], v[183:184], -v[175:176]
	v_fma_f64 v[163:164], v[3:4], v[183:184], v[163:164]
	ds_read_b128 v[1:4], v198 offset:1936
	v_add_f64 v[143:144], v[143:144], v[167:168]
	v_add_f64 v[141:142], v[141:142], v[151:152]
	s_waitcnt vmcnt(33) lgkmcnt(1)
	v_mul_f64 v[167:168], v[7:8], v[181:182]
	s_waitcnt vmcnt(32)
	v_fma_f64 v[171:172], v[137:138], v[207:208], -v[171:172]
	v_mul_f64 v[151:152], v[5:6], v[181:182]
	v_fma_f64 v[145:146], v[139:140], v[207:208], v[145:146]
	ds_read_b128 v[137:140], v198 offset:1952
	v_add_f64 v[143:144], v[143:144], v[175:176]
	v_add_f64 v[141:142], v[141:142], v[163:164]
	s_waitcnt vmcnt(31) lgkmcnt(1)
	v_mul_f64 v[175:176], v[3:4], v[201:202]
	v_mul_f64 v[163:164], v[1:2], v[201:202]
	s_waitcnt vmcnt(29)
	v_fma_f64 v[167:168], v[5:6], v[155:156], -v[167:168]
	v_fma_f64 v[151:152], v[7:8], v[155:156], v[151:152]
	ds_read_b128 v[5:8], v198 offset:1968
	v_add_f64 v[143:144], v[143:144], v[171:172]
	v_add_f64 v[141:142], v[141:142], v[145:146]
	s_waitcnt vmcnt(25) lgkmcnt(1)
	v_mul_f64 v[145:146], v[137:138], v[149:150]
	v_mul_f64 v[149:150], v[139:140], v[149:150]
	s_waitcnt vmcnt(24)
	v_fma_f64 v[155:156], v[1:2], v[211:212], -v[175:176]
	;; [unrolled: 9-line block ×4, first 2 shown]
	v_add_f64 v[143:144], v[143:144], v[149:150]
	v_fma_f64 v[149:150], v[7:8], v[215:216], v[151:152]
	v_add_f64 v[141:142], v[141:142], v[145:146]
	ds_read_b128 v[5:8], v198 offset:2016
	s_waitcnt vmcnt(15) lgkmcnt(1)
	v_mul_f64 v[151:152], v[139:140], v[203:204]
	v_mul_f64 v[145:146], v[137:138], v[203:204]
	s_waitcnt vmcnt(13)
	v_fma_f64 v[155:156], v[1:2], v[159:160], -v[155:156]
	v_fma_f64 v[153:154], v[3:4], v[159:160], v[153:154]
	ds_read_b128 v[1:4], v198 offset:2032
	v_add_f64 v[143:144], v[143:144], v[161:162]
	v_add_f64 v[141:142], v[141:142], v[149:150]
	s_waitcnt vmcnt(9) lgkmcnt(1)
	v_mul_f64 v[149:150], v[5:6], v[147:148]
	v_mul_f64 v[147:148], v[7:8], v[147:148]
	s_waitcnt vmcnt(8)
	v_fma_f64 v[137:138], v[137:138], v[217:218], -v[151:152]
	v_fma_f64 v[139:140], v[139:140], v[217:218], v[145:146]
	v_add_f64 v[143:144], v[143:144], v[155:156]
	v_add_f64 v[141:142], v[141:142], v[153:154]
	s_waitcnt vmcnt(7) lgkmcnt(0)
	v_mul_f64 v[151:152], v[3:4], v[169:170]
	v_mul_f64 v[145:146], v[1:2], v[169:170]
	s_waitcnt vmcnt(5)
	v_fma_f64 v[5:6], v[5:6], v[165:166], -v[147:148]
	v_fma_f64 v[7:8], v[7:8], v[165:166], v[149:150]
	v_add_f64 v[137:138], v[143:144], v[137:138]
	v_add_f64 v[139:140], v[141:142], v[139:140]
	s_waitcnt vmcnt(4)
	v_fma_f64 v[1:2], v[1:2], v[213:214], -v[151:152]
	v_fma_f64 v[3:4], v[3:4], v[213:214], v[145:146]
	v_add_f64 v[5:6], v[137:138], v[5:6]
	v_add_f64 v[7:8], v[139:140], v[7:8]
	;; [unrolled: 1-line block ×4, first 2 shown]
	s_waitcnt vmcnt(2)
	v_add_f64 v[1:2], v[157:158], -v[1:2]
	s_waitcnt vmcnt(0)
	v_add_f64 v[3:4], v[173:174], -v[3:4]
	buffer_store_dword v2, off, s[0:3], 0 offset:84
	buffer_store_dword v1, off, s[0:3], 0 offset:80
	;; [unrolled: 1-line block ×4, first 2 shown]
	v_cmpx_lt_u32_e32 3, v0
	s_cbranch_execz .LBB127_403
; %bb.402:
	v_mov_b32_e32 v4, s75
	s_clause 0x3
	buffer_load_dword v1, v4, s[0:3], 0 offen
	buffer_load_dword v2, v4, s[0:3], 0 offen offset:4
	buffer_load_dword v3, v4, s[0:3], 0 offen offset:8
	;; [unrolled: 1-line block ×3, first 2 shown]
	buffer_store_dword v198, off, s[0:3], 0 offset:64
	buffer_store_dword v198, off, s[0:3], 0 offset:68
	;; [unrolled: 1-line block ×4, first 2 shown]
	s_waitcnt vmcnt(0)
	ds_write_b128 v197, v[1:4]
.LBB127_403:
	s_or_b32 exec_lo, exec_lo, s4
	s_waitcnt lgkmcnt(0)
	s_waitcnt_vscnt null, 0x0
	s_barrier
	buffer_gl0_inv
	s_clause 0x37
	buffer_load_dword v145, off, s[0:3], 0 offset:88
	buffer_load_dword v146, off, s[0:3], 0 offset:92
	;; [unrolled: 1-line block ×56, first 2 shown]
	ds_read_b128 v[5:8], v198 offset:1088
	s_clause 0x2
	buffer_load_dword v194, off, s[0:3], 0 offset:316
	buffer_load_dword v196, off, s[0:3], 0 offset:292
	;; [unrolled: 1-line block ×3, first 2 shown]
	ds_read_b128 v[1:4], v198 offset:1104
	s_clause 0x4
	buffer_load_dword v206, off, s[0:3], 0 offset:332
	buffer_load_dword v207, off, s[0:3], 0 offset:344
	;; [unrolled: 1-line block ×5, first 2 shown]
	ds_read_b128 v[199:202], v198 offset:1120
	s_mov_b32 s4, exec_lo
	s_waitcnt vmcnt(62) lgkmcnt(2)
	v_mul_f64 v[203:204], v[7:8], v[145:146]
	v_mul_f64 v[145:146], v[5:6], v[145:146]
	s_waitcnt vmcnt(60) lgkmcnt(1)
	v_mul_f64 v[210:211], v[3:4], v[141:142]
	v_mul_f64 v[141:142], v[1:2], v[141:142]
	s_waitcnt vmcnt(56) lgkmcnt(0)
	v_mul_f64 v[212:213], v[199:200], v[139:140]
	v_mul_f64 v[139:140], v[201:202], v[139:140]
	v_fma_f64 v[203:204], v[5:6], v[143:144], -v[203:204]
	v_fma_f64 v[143:144], v[7:8], v[143:144], v[145:146]
	s_clause 0x2
	buffer_load_dword v208, off, s[0:3], 0 offset:348
	buffer_load_dword v146, off, s[0:3], 0 offset:324
	;; [unrolled: 1-line block ×3, first 2 shown]
	s_waitcnt vmcnt(57)
	v_fma_f64 v[214:215], v[1:2], v[137:138], -v[210:211]
	ds_read_b128 v[5:8], v198 offset:1136
	v_fma_f64 v[137:138], v[3:4], v[137:138], v[141:142]
	s_waitcnt vmcnt(51)
	v_fma_f64 v[199:200], v[199:200], v[161:162], -v[139:140]
	v_fma_f64 v[161:162], v[201:202], v[161:162], v[212:213]
	v_add_f64 v[203:204], v[203:204], 0
	v_add_f64 v[141:142], v[143:144], 0
	s_clause 0x4
	buffer_load_dword v144, off, s[0:3], 0 offset:364
	buffer_load_dword v211, off, s[0:3], 0 offset:376
	;; [unrolled: 1-line block ×5, first 2 shown]
	s_waitcnt lgkmcnt(0)
	v_mul_f64 v[217:218], v[5:6], v[149:150]
	v_mul_f64 v[149:150], v[7:8], v[149:150]
	ds_read_b128 v[1:4], v198 offset:1152
	s_clause 0x2
	buffer_load_dword v212, off, s[0:3], 0 offset:380
	buffer_load_dword v202, off, s[0:3], 0 offset:356
	;; [unrolled: 1-line block ×3, first 2 shown]
	v_add_f64 v[203:204], v[203:204], v[214:215]
	v_add_f64 v[141:142], v[141:142], v[137:138]
	ds_read_b128 v[137:140], v198 offset:1168
	s_waitcnt vmcnt(58) lgkmcnt(1)
	v_mul_f64 v[213:214], v[1:2], v[153:154]
	v_mul_f64 v[153:154], v[3:4], v[153:154]
	s_waitcnt vmcnt(56)
	v_fma_f64 v[149:150], v[5:6], v[155:156], -v[149:150]
	v_fma_f64 v[155:156], v[7:8], v[155:156], v[217:218]
	s_waitcnt vmcnt(52) lgkmcnt(0)
	v_mul_f64 v[219:220], v[137:138], v[157:158]
	v_add_f64 v[199:200], v[203:204], v[199:200]
	v_add_f64 v[141:142], v[141:142], v[161:162]
	s_clause 0x4
	buffer_load_dword v162, off, s[0:3], 0 offset:396
	buffer_load_dword v203, off, s[0:3], 0 offset:408
	;; [unrolled: 1-line block ×5, first 2 shown]
	v_mul_f64 v[157:158], v[139:140], v[157:158]
	s_waitcnt vmcnt(56)
	v_fma_f64 v[153:154], v[1:2], v[147:148], -v[153:154]
	ds_read_b128 v[5:8], v198 offset:1184
	v_fma_f64 v[147:148], v[3:4], v[147:148], v[213:214]
	v_add_f64 v[149:150], v[199:200], v[149:150]
	v_add_f64 v[141:142], v[141:142], v[155:156]
	s_clause 0x2
	buffer_load_dword v204, off, s[0:3], 0 offset:412
	buffer_load_dword v156, off, s[0:3], 0 offset:388
	buffer_load_dword v155, off, s[0:3], 0 offset:384
	s_waitcnt vmcnt(58) lgkmcnt(0)
	v_mul_f64 v[199:200], v[5:6], v[163:164]
	v_mul_f64 v[163:164], v[7:8], v[163:164]
	s_waitcnt vmcnt(56)
	v_fma_f64 v[157:158], v[137:138], v[165:166], -v[157:158]
	ds_read_b128 v[1:4], v198 offset:1200
	v_add_f64 v[149:150], v[149:150], v[153:154]
	v_fma_f64 v[153:154], v[139:140], v[165:166], v[219:220]
	v_add_f64 v[141:142], v[141:142], v[147:148]
	s_clause 0x4
	buffer_load_dword v148, off, s[0:3], 0 offset:428
	buffer_load_dword v165, off, s[0:3], 0 offset:440
	;; [unrolled: 1-line block ×5, first 2 shown]
	s_waitcnt vmcnt(57) lgkmcnt(0)
	v_mul_f64 v[214:215], v[1:2], v[167:168]
	v_mul_f64 v[167:168], v[3:4], v[167:168]
	s_waitcnt vmcnt(56)
	v_fma_f64 v[163:164], v[5:6], v[151:152], -v[163:164]
	ds_read_b128 v[137:140], v198 offset:1216
	v_fma_f64 v[151:152], v[7:8], v[151:152], v[199:200]
	v_add_f64 v[149:150], v[149:150], v[157:158]
	v_add_f64 v[141:142], v[141:142], v[153:154]
	s_clause 0x2
	buffer_load_dword v166, off, s[0:3], 0 offset:444
	buffer_load_dword v154, off, s[0:3], 0 offset:420
	;; [unrolled: 1-line block ×3, first 2 shown]
	ds_read_b128 v[5:8], v198 offset:1232
	s_waitcnt vmcnt(58) lgkmcnt(1)
	v_mul_f64 v[157:158], v[137:138], v[171:172]
	v_mul_f64 v[171:172], v[139:140], v[171:172]
	s_waitcnt vmcnt(56)
	v_fma_f64 v[167:168], v[1:2], v[173:174], -v[167:168]
	v_add_f64 v[149:150], v[149:150], v[163:164]
	v_fma_f64 v[163:164], v[3:4], v[173:174], v[214:215]
	v_add_f64 v[141:142], v[141:142], v[151:152]
	s_clause 0x4
	buffer_load_dword v152, off, s[0:3], 0 offset:460
	buffer_load_dword v173, off, s[0:3], 0 offset:472
	;; [unrolled: 1-line block ×5, first 2 shown]
	s_waitcnt vmcnt(57) lgkmcnt(0)
	v_mul_f64 v[220:221], v[5:6], v[175:176]
	v_mul_f64 v[175:176], v[7:8], v[175:176]
	s_waitcnt vmcnt(56)
	v_fma_f64 v[171:172], v[137:138], v[159:160], -v[171:172]
	ds_read_b128 v[1:4], v198 offset:1248
	v_fma_f64 v[157:158], v[139:140], v[159:160], v[157:158]
	s_clause 0x2
	buffer_load_dword v174, off, s[0:3], 0 offset:476
	buffer_load_dword v160, off, s[0:3], 0 offset:452
	;; [unrolled: 1-line block ×3, first 2 shown]
	ds_read_b128 v[137:140], v198 offset:1264
	v_add_f64 v[149:150], v[149:150], v[167:168]
	v_add_f64 v[141:142], v[141:142], v[163:164]
	s_waitcnt vmcnt(58) lgkmcnt(1)
	v_mul_f64 v[167:168], v[3:4], v[179:180]
	s_waitcnt vmcnt(56)
	v_fma_f64 v[175:176], v[5:6], v[181:182], -v[175:176]
	v_mul_f64 v[163:164], v[1:2], v[179:180]
	v_add_f64 v[149:150], v[149:150], v[171:172]
	v_fma_f64 v[171:172], v[7:8], v[181:182], v[220:221]
	v_add_f64 v[141:142], v[141:142], v[157:158]
	s_clause 0x4
	buffer_load_dword v158, off, s[0:3], 0 offset:492
	buffer_load_dword v179, off, s[0:3], 0 offset:504
	;; [unrolled: 1-line block ×5, first 2 shown]
	s_waitcnt vmcnt(57) lgkmcnt(0)
	v_mul_f64 v[220:221], v[137:138], v[183:184]
	v_mul_f64 v[182:183], v[139:140], v[183:184]
	s_waitcnt vmcnt(56)
	v_fma_f64 v[167:168], v[1:2], v[169:170], -v[167:168]
	ds_read_b128 v[5:8], v198 offset:1280
	v_fma_f64 v[163:164], v[3:4], v[169:170], v[163:164]
	s_clause 0x2
	buffer_load_dword v180, off, s[0:3], 0 offset:508
	buffer_load_dword v170, off, s[0:3], 0 offset:484
	buffer_load_dword v169, off, s[0:3], 0 offset:480
	ds_read_b128 v[1:4], v198 offset:1296
	v_add_f64 v[149:150], v[149:150], v[175:176]
	v_add_f64 v[141:142], v[141:142], v[171:172]
	s_waitcnt vmcnt(58) lgkmcnt(1)
	v_mul_f64 v[175:176], v[7:8], v[187:188]
	s_waitcnt vmcnt(56)
	v_fma_f64 v[183:184], v[137:138], v[189:190], -v[182:183]
	v_mul_f64 v[171:172], v[5:6], v[187:188]
	v_add_f64 v[149:150], v[149:150], v[167:168]
	v_fma_f64 v[167:168], v[139:140], v[189:190], v[220:221]
	v_add_f64 v[141:142], v[141:142], v[163:164]
	s_clause 0x4
	buffer_load_dword v164, off, s[0:3], 0 offset:524
	buffer_load_dword v187, off, s[0:3], 0 offset:536
	;; [unrolled: 1-line block ×5, first 2 shown]
	s_waitcnt vmcnt(57) lgkmcnt(0)
	v_mul_f64 v[220:221], v[1:2], v[191:192]
	v_mul_f64 v[190:191], v[3:4], v[191:192]
	s_waitcnt vmcnt(56)
	v_fma_f64 v[175:176], v[5:6], v[177:178], -v[175:176]
	ds_read_b128 v[137:140], v198 offset:1312
	v_fma_f64 v[171:172], v[7:8], v[177:178], v[171:172]
	v_add_f64 v[149:150], v[149:150], v[183:184]
	v_add_f64 v[141:142], v[141:142], v[167:168]
	s_clause 0x2
	buffer_load_dword v188, off, s[0:3], 0 offset:540
	buffer_load_dword v168, off, s[0:3], 0 offset:516
	;; [unrolled: 1-line block ×3, first 2 shown]
	ds_read_b128 v[5:8], v198 offset:1328
	s_waitcnt vmcnt(58) lgkmcnt(1)
	v_mul_f64 v[183:184], v[139:140], v[193:194]
	s_waitcnt vmcnt(56)
	v_fma_f64 v[191:192], v[1:2], v[195:196], -v[190:191]
	v_mul_f64 v[177:178], v[137:138], v[193:194]
	v_add_f64 v[149:150], v[149:150], v[175:176]
	v_fma_f64 v[175:176], v[3:4], v[195:196], v[220:221]
	v_add_f64 v[141:142], v[141:142], v[171:172]
	s_clause 0x4
	buffer_load_dword v172, off, s[0:3], 0 offset:556
	buffer_load_dword v193, off, s[0:3], 0 offset:568
	;; [unrolled: 1-line block ×5, first 2 shown]
	s_waitcnt vmcnt(57) lgkmcnt(0)
	v_mul_f64 v[220:221], v[5:6], v[205:206]
	v_mul_f64 v[205:206], v[7:8], v[205:206]
	s_waitcnt vmcnt(56)
	v_fma_f64 v[183:184], v[137:138], v[185:186], -v[183:184]
	ds_read_b128 v[1:4], v198 offset:1344
	v_fma_f64 v[177:178], v[139:140], v[185:186], v[177:178]
	v_add_f64 v[149:150], v[149:150], v[191:192]
	v_add_f64 v[141:142], v[141:142], v[175:176]
	s_clause 0x2
	buffer_load_dword v194, off, s[0:3], 0 offset:572
	buffer_load_dword v176, off, s[0:3], 0 offset:548
	buffer_load_dword v175, off, s[0:3], 0 offset:544
	ds_read_b128 v[137:140], v198 offset:1360
	s_waitcnt vmcnt(58) lgkmcnt(1)
	v_mul_f64 v[191:192], v[3:4], v[207:208]
	v_mul_f64 v[185:186], v[1:2], v[207:208]
	s_waitcnt vmcnt(56)
	v_fma_f64 v[205:206], v[5:6], v[145:146], -v[205:206]
	v_fma_f64 v[145:146], v[7:8], v[145:146], v[220:221]
	v_add_f64 v[149:150], v[149:150], v[183:184]
	v_add_f64 v[141:142], v[141:142], v[177:178]
	s_clause 0x4
	buffer_load_dword v178, off, s[0:3], 0 offset:588
	buffer_load_dword v183, off, s[0:3], 0 offset:600
	;; [unrolled: 1-line block ×5, first 2 shown]
	ds_read_b128 v[5:8], v198 offset:1376
	s_waitcnt vmcnt(57) lgkmcnt(1)
	v_mul_f64 v[220:221], v[137:138], v[143:144]
	v_mul_f64 v[143:144], v[139:140], v[143:144]
	s_waitcnt vmcnt(56)
	v_fma_f64 v[191:192], v[1:2], v[209:210], -v[191:192]
	v_fma_f64 v[185:186], v[3:4], v[209:210], v[185:186]
	v_add_f64 v[149:150], v[149:150], v[205:206]
	v_add_f64 v[141:142], v[141:142], v[145:146]
	s_clause 0x2
	buffer_load_dword v184, off, s[0:3], 0 offset:604
	buffer_load_dword v146, off, s[0:3], 0 offset:580
	;; [unrolled: 1-line block ×3, first 2 shown]
	s_waitcnt vmcnt(58) lgkmcnt(0)
	v_mul_f64 v[209:210], v[7:8], v[211:212]
	ds_read_b128 v[1:4], v198 offset:1392
	v_mul_f64 v[205:206], v[5:6], v[211:212]
	s_waitcnt vmcnt(56)
	v_fma_f64 v[143:144], v[137:138], v[201:202], -v[143:144]
	v_add_f64 v[149:150], v[149:150], v[191:192]
	v_fma_f64 v[191:192], v[139:140], v[201:202], v[220:221]
	v_add_f64 v[141:142], v[141:142], v[185:186]
	s_clause 0x4
	buffer_load_dword v186, off, s[0:3], 0 offset:620
	buffer_load_dword v201, off, s[0:3], 0 offset:632
	;; [unrolled: 1-line block ×5, first 2 shown]
	ds_read_b128 v[137:140], v198 offset:1408
	s_waitcnt vmcnt(57) lgkmcnt(1)
	v_mul_f64 v[220:221], v[1:2], v[161:162]
	v_mul_f64 v[161:162], v[3:4], v[161:162]
	s_waitcnt vmcnt(56)
	v_fma_f64 v[209:210], v[5:6], v[216:217], -v[209:210]
	v_add_f64 v[143:144], v[149:150], v[143:144]
	v_fma_f64 v[149:150], v[7:8], v[216:217], v[205:206]
	v_add_f64 v[141:142], v[141:142], v[191:192]
	s_clause 0x2
	buffer_load_dword v202, off, s[0:3], 0 offset:636
	buffer_load_dword v192, off, s[0:3], 0 offset:612
	;; [unrolled: 1-line block ×3, first 2 shown]
	ds_read_b128 v[5:8], v198 offset:1424
	s_waitcnt vmcnt(58) lgkmcnt(1)
	v_mul_f64 v[205:206], v[137:138], v[203:204]
	v_mul_f64 v[203:204], v[139:140], v[203:204]
	s_waitcnt vmcnt(56)
	v_fma_f64 v[161:162], v[1:2], v[155:156], -v[161:162]
	v_fma_f64 v[155:156], v[3:4], v[155:156], v[220:221]
	v_add_f64 v[143:144], v[143:144], v[209:210]
	v_add_f64 v[141:142], v[141:142], v[149:150]
	s_clause 0x4
	buffer_load_dword v150, off, s[0:3], 0 offset:652
	buffer_load_dword v209, off, s[0:3], 0 offset:664
	;; [unrolled: 1-line block ×5, first 2 shown]
	ds_read_b128 v[1:4], v198 offset:1440
	s_waitcnt vmcnt(57) lgkmcnt(1)
	v_mul_f64 v[216:217], v[5:6], v[147:148]
	v_mul_f64 v[147:148], v[7:8], v[147:148]
	s_waitcnt vmcnt(56)
	v_fma_f64 v[203:204], v[137:138], v[218:219], -v[203:204]
	v_add_f64 v[143:144], v[143:144], v[161:162]
	v_fma_f64 v[161:162], v[139:140], v[218:219], v[205:206]
	v_add_f64 v[141:142], v[141:142], v[155:156]
	s_clause 0x2
	buffer_load_dword v210, off, s[0:3], 0 offset:668
	buffer_load_dword v156, off, s[0:3], 0 offset:644
	;; [unrolled: 1-line block ×3, first 2 shown]
	ds_read_b128 v[137:140], v198 offset:1456
	s_waitcnt vmcnt(58) lgkmcnt(1)
	v_mul_f64 v[205:206], v[1:2], v[165:166]
	v_mul_f64 v[165:166], v[3:4], v[165:166]
	s_waitcnt vmcnt(56)
	v_fma_f64 v[147:148], v[5:6], v[153:154], -v[147:148]
	v_fma_f64 v[153:154], v[7:8], v[153:154], v[216:217]
	v_add_f64 v[143:144], v[143:144], v[203:204]
	v_add_f64 v[141:142], v[141:142], v[161:162]
	s_clause 0x4
	buffer_load_dword v162, off, s[0:3], 0 offset:684
	buffer_load_dword v203, off, s[0:3], 0 offset:696
	;; [unrolled: 1-line block ×5, first 2 shown]
	ds_read_b128 v[5:8], v198 offset:1472
	s_waitcnt vmcnt(57) lgkmcnt(1)
	v_mul_f64 v[218:219], v[137:138], v[151:152]
	v_mul_f64 v[151:152], v[139:140], v[151:152]
	s_waitcnt vmcnt(56)
	v_fma_f64 v[165:166], v[1:2], v[213:214], -v[165:166]
	v_add_f64 v[143:144], v[143:144], v[147:148]
	v_fma_f64 v[147:148], v[3:4], v[213:214], v[205:206]
	v_add_f64 v[141:142], v[141:142], v[153:154]
	s_clause 0x2
	buffer_load_dword v204, off, s[0:3], 0 offset:700
	buffer_load_dword v154, off, s[0:3], 0 offset:676
	;; [unrolled: 1-line block ×3, first 2 shown]
	s_waitcnt vmcnt(58) lgkmcnt(0)
	v_mul_f64 v[205:206], v[5:6], v[173:174]
	v_mul_f64 v[173:174], v[7:8], v[173:174]
	ds_read_b128 v[1:4], v198 offset:1488
	s_waitcnt vmcnt(56)
	v_fma_f64 v[151:152], v[137:138], v[159:160], -v[151:152]
	v_fma_f64 v[159:160], v[139:140], v[159:160], v[218:219]
	v_add_f64 v[143:144], v[143:144], v[165:166]
	v_add_f64 v[141:142], v[141:142], v[147:148]
	s_clause 0x4
	buffer_load_dword v148, off, s[0:3], 0 offset:716
	buffer_load_dword v165, off, s[0:3], 0 offset:728
	;; [unrolled: 1-line block ×5, first 2 shown]
	ds_read_b128 v[137:140], v198 offset:1504
	s_waitcnt vmcnt(57) lgkmcnt(1)
	v_mul_f64 v[219:220], v[1:2], v[157:158]
	v_mul_f64 v[157:158], v[3:4], v[157:158]
	s_waitcnt vmcnt(56)
	v_fma_f64 v[173:174], v[5:6], v[199:200], -v[173:174]
	v_add_f64 v[143:144], v[143:144], v[151:152]
	v_fma_f64 v[151:152], v[7:8], v[199:200], v[205:206]
	v_add_f64 v[141:142], v[141:142], v[159:160]
	s_clause 0x2
	buffer_load_dword v166, off, s[0:3], 0 offset:732
	buffer_load_dword v160, off, s[0:3], 0 offset:708
	;; [unrolled: 1-line block ×3, first 2 shown]
	s_waitcnt vmcnt(58) lgkmcnt(0)
	v_mul_f64 v[199:200], v[137:138], v[179:180]
	v_mul_f64 v[179:180], v[139:140], v[179:180]
	ds_read_b128 v[5:8], v198 offset:1520
	s_waitcnt vmcnt(56)
	v_fma_f64 v[157:158], v[1:2], v[169:170], -v[157:158]
	v_fma_f64 v[169:170], v[3:4], v[169:170], v[219:220]
	v_add_f64 v[143:144], v[143:144], v[173:174]
	v_add_f64 v[141:142], v[141:142], v[151:152]
	s_clause 0x4
	buffer_load_dword v152, off, s[0:3], 0 offset:748
	buffer_load_dword v173, off, s[0:3], 0 offset:760
	buffer_load_dword v205, off, s[0:3], 0 offset:752
	buffer_load_dword v151, off, s[0:3], 0 offset:744
	buffer_load_dword v214, off, s[0:3], 0 offset:724
	ds_read_b128 v[1:4], v198 offset:1536
	s_waitcnt vmcnt(57) lgkmcnt(1)
	v_mul_f64 v[219:220], v[5:6], v[163:164]
	v_mul_f64 v[163:164], v[7:8], v[163:164]
	s_waitcnt vmcnt(56)
	v_fma_f64 v[179:180], v[137:138], v[181:182], -v[179:180]
	v_add_f64 v[143:144], v[143:144], v[157:158]
	v_fma_f64 v[157:158], v[139:140], v[181:182], v[199:200]
	v_add_f64 v[141:142], v[141:142], v[169:170]
	s_clause 0x2
	buffer_load_dword v174, off, s[0:3], 0 offset:764
	buffer_load_dword v170, off, s[0:3], 0 offset:740
	buffer_load_dword v169, off, s[0:3], 0 offset:736
	ds_read_b128 v[137:140], v198 offset:1552
	s_waitcnt vmcnt(58) lgkmcnt(1)
	v_mul_f64 v[181:182], v[1:2], v[187:188]
	v_mul_f64 v[187:188], v[3:4], v[187:188]
	s_waitcnt vmcnt(56)
	v_fma_f64 v[163:164], v[5:6], v[167:168], -v[163:164]
	v_fma_f64 v[167:168], v[7:8], v[167:168], v[219:220]
	v_add_f64 v[143:144], v[143:144], v[179:180]
	v_add_f64 v[141:142], v[141:142], v[157:158]
	s_clause 0x4
	buffer_load_dword v158, off, s[0:3], 0 offset:780
	buffer_load_dword v179, off, s[0:3], 0 offset:792
	buffer_load_dword v199, off, s[0:3], 0 offset:784
	buffer_load_dword v157, off, s[0:3], 0 offset:776
	buffer_load_dword v206, off, s[0:3], 0 offset:756
	ds_read_b128 v[5:8], v198 offset:1568
	s_waitcnt vmcnt(57) lgkmcnt(1)
	v_mul_f64 v[219:220], v[137:138], v[171:172]
	v_mul_f64 v[171:172], v[139:140], v[171:172]
	s_waitcnt vmcnt(56)
	v_fma_f64 v[187:188], v[1:2], v[189:190], -v[187:188]
	v_add_f64 v[143:144], v[143:144], v[163:164]
	v_fma_f64 v[163:164], v[3:4], v[189:190], v[181:182]
	v_add_f64 v[141:142], v[141:142], v[167:168]
	s_clause 0x2
	buffer_load_dword v180, off, s[0:3], 0 offset:796
	buffer_load_dword v168, off, s[0:3], 0 offset:772
	buffer_load_dword v167, off, s[0:3], 0 offset:768
	ds_read_b128 v[1:4], v198 offset:1584
	s_waitcnt vmcnt(58) lgkmcnt(1)
	v_mul_f64 v[189:190], v[7:8], v[193:194]
	v_mul_f64 v[181:182], v[5:6], v[193:194]
	;; [unrolled: 28-line block ×4, first 2 shown]
	s_waitcnt vmcnt(56)
	v_fma_f64 v[185:186], v[5:6], v[191:192], -v[185:186]
	v_add_f64 v[143:144], v[143:144], v[183:184]
	v_fma_f64 v[183:184], v[7:8], v[191:192], v[219:220]
	v_add_f64 v[141:142], v[141:142], v[177:178]
	s_clause 0x4
	buffer_load_dword v178, off, s[0:3], 0 offset:876
	buffer_load_dword v191, off, s[0:3], 0 offset:888
	;; [unrolled: 1-line block ×5, first 2 shown]
	ds_read_b128 v[5:8], v198 offset:1664
	s_waitcnt vmcnt(57) lgkmcnt(1)
	v_mul_f64 v[219:220], v[137:138], v[149:150]
	v_mul_f64 v[149:150], v[139:140], v[149:150]
	s_waitcnt vmcnt(56)
	v_fma_f64 v[201:202], v[1:2], v[211:212], -v[201:202]
	v_fma_f64 v[181:182], v[3:4], v[211:212], v[181:182]
	v_add_f64 v[143:144], v[143:144], v[185:186]
	v_add_f64 v[141:142], v[141:142], v[183:184]
	s_clause 0x2
	buffer_load_dword v192, off, s[0:3], 0 offset:892
	buffer_load_dword v184, off, s[0:3], 0 offset:868
	buffer_load_dword v183, off, s[0:3], 0 offset:864
	ds_read_b128 v[1:4], v198 offset:1680
	s_waitcnt vmcnt(58) lgkmcnt(1)
	v_mul_f64 v[185:186], v[5:6], v[209:210]
	v_mul_f64 v[209:210], v[7:8], v[209:210]
	s_waitcnt vmcnt(56)
	v_fma_f64 v[149:150], v[137:138], v[155:156], -v[149:150]
	v_fma_f64 v[155:156], v[139:140], v[155:156], v[219:220]
	v_add_f64 v[143:144], v[143:144], v[201:202]
	v_add_f64 v[141:142], v[141:142], v[181:182]
	s_clause 0x4
	buffer_load_dword v182, off, s[0:3], 0 offset:908
	buffer_load_dword v201, off, s[0:3], 0 offset:920
	buffer_load_dword v211, off, s[0:3], 0 offset:912
	buffer_load_dword v181, off, s[0:3], 0 offset:904
	buffer_load_dword v208, off, s[0:3], 0 offset:884
	ds_read_b128 v[137:140], v198 offset:1696
	s_waitcnt vmcnt(57) lgkmcnt(1)
	v_mul_f64 v[219:220], v[1:2], v[161:162]
	v_mul_f64 v[161:162], v[3:4], v[161:162]
	s_waitcnt vmcnt(56)
	v_fma_f64 v[209:210], v[5:6], v[215:216], -v[209:210]
	v_add_f64 v[143:144], v[143:144], v[149:150]
	v_fma_f64 v[149:150], v[7:8], v[215:216], v[185:186]
	v_add_f64 v[141:142], v[141:142], v[155:156]
	s_clause 0x2
	buffer_load_dword v202, off, s[0:3], 0 offset:924
	buffer_load_dword v156, off, s[0:3], 0 offset:900
	buffer_load_dword v155, off, s[0:3], 0 offset:896
	ds_read_b128 v[5:8], v198 offset:1712
	s_waitcnt vmcnt(58) lgkmcnt(1)
	v_mul_f64 v[185:186], v[137:138], v[203:204]
	v_mul_f64 v[203:204], v[139:140], v[203:204]
	s_waitcnt vmcnt(56)
	v_fma_f64 v[161:162], v[1:2], v[153:154], -v[161:162]
	v_fma_f64 v[153:154], v[3:4], v[153:154], v[219:220]
	v_add_f64 v[143:144], v[143:144], v[209:210]
	v_add_f64 v[141:142], v[141:142], v[149:150]
	s_clause 0x4
	buffer_load_dword v150, off, s[0:3], 0 offset:940
	buffer_load_dword v209, off, s[0:3], 0 offset:952
	buffer_load_dword v215, off, s[0:3], 0 offset:944
	buffer_load_dword v149, off, s[0:3], 0 offset:936
	buffer_load_dword v212, off, s[0:3], 0 offset:916
	ds_read_b128 v[1:4], v198 offset:1728
	s_waitcnt vmcnt(57) lgkmcnt(1)
	v_mul_f64 v[219:220], v[5:6], v[147:148]
	v_mul_f64 v[147:148], v[7:8], v[147:148]
	s_waitcnt vmcnt(56)
	v_fma_f64 v[203:204], v[137:138], v[217:218], -v[203:204]
	v_add_f64 v[143:144], v[143:144], v[161:162]
	v_fma_f64 v[161:162], v[139:140], v[217:218], v[185:186]
	;; [unrolled: 28-line block ×3, first 2 shown]
	v_add_f64 v[141:142], v[141:142], v[159:160]
	s_clause 0x2
	buffer_load_dword v204, off, s[0:3], 0 offset:988
	buffer_load_dword v160, off, s[0:3], 0 offset:964
	;; [unrolled: 1-line block ×3, first 2 shown]
	ds_read_b128 v[1:4], v198 offset:1776
	s_waitcnt vmcnt(58) lgkmcnt(1)
	v_mul_f64 v[185:186], v[5:6], v[173:174]
	v_mul_f64 v[173:174], v[7:8], v[173:174]
	s_waitcnt vmcnt(56)
	v_fma_f64 v[151:152], v[137:138], v[169:170], -v[151:152]
	v_add_f64 v[143:144], v[143:144], v[165:166]
	v_fma_f64 v[165:166], v[139:140], v[169:170], v[218:219]
	v_add_f64 v[141:142], v[141:142], v[147:148]
	s_clause 0x4
	buffer_load_dword v148, off, s[0:3], 0 offset:1004
	buffer_load_dword v169, off, s[0:3], 0 offset:1016
	;; [unrolled: 1-line block ×5, first 2 shown]
	ds_read_b128 v[137:140], v198 offset:1792
	s_waitcnt vmcnt(57) lgkmcnt(1)
	v_mul_f64 v[219:220], v[1:2], v[157:158]
	v_mul_f64 v[157:158], v[3:4], v[157:158]
	s_waitcnt vmcnt(56)
	v_fma_f64 v[173:174], v[5:6], v[205:206], -v[173:174]
	v_add_f64 v[143:144], v[143:144], v[151:152]
	v_fma_f64 v[151:152], v[7:8], v[205:206], v[185:186]
	v_add_f64 v[141:142], v[141:142], v[165:166]
	s_clause 0x2
	buffer_load_dword v170, off, s[0:3], 0 offset:1020
	buffer_load_dword v166, off, s[0:3], 0 offset:996
	;; [unrolled: 1-line block ×3, first 2 shown]
	ds_read_b128 v[5:8], v198 offset:1808
	s_waitcnt vmcnt(58) lgkmcnt(1)
	v_mul_f64 v[185:186], v[137:138], v[179:180]
	v_mul_f64 v[179:180], v[139:140], v[179:180]
	s_waitcnt vmcnt(56)
	v_fma_f64 v[157:158], v[1:2], v[167:168], -v[157:158]
	v_fma_f64 v[167:168], v[3:4], v[167:168], v[219:220]
	v_add_f64 v[143:144], v[143:144], v[173:174]
	v_add_f64 v[141:142], v[141:142], v[151:152]
	s_clause 0x2
	buffer_load_dword v152, off, s[0:3], 0 offset:1036
	buffer_load_dword v151, off, s[0:3], 0 offset:1032
	;; [unrolled: 1-line block ×3, first 2 shown]
	ds_read_b128 v[1:4], v198 offset:1824
	s_waitcnt vmcnt(55) lgkmcnt(1)
	v_mul_f64 v[173:174], v[5:6], v[163:164]
	v_mul_f64 v[163:164], v[7:8], v[163:164]
	s_waitcnt vmcnt(54)
	v_fma_f64 v[179:180], v[137:138], v[199:200], -v[179:180]
	v_add_f64 v[143:144], v[143:144], v[157:158]
	v_fma_f64 v[157:158], v[139:140], v[199:200], v[185:186]
	v_add_f64 v[141:142], v[141:142], v[167:168]
	s_clause 0x1
	buffer_load_dword v168, off, s[0:3], 0 offset:1028
	buffer_load_dword v167, off, s[0:3], 0 offset:1024
	ds_read_b128 v[137:140], v198 offset:1840
	s_waitcnt vmcnt(55) lgkmcnt(1)
	v_mul_f64 v[185:186], v[1:2], v[187:188]
	v_mul_f64 v[187:188], v[3:4], v[187:188]
	s_waitcnt vmcnt(53)
	v_fma_f64 v[163:164], v[5:6], v[175:176], -v[163:164]
	v_fma_f64 v[173:174], v[7:8], v[175:176], v[173:174]
	ds_read_b128 v[5:8], v198 offset:1856
	v_add_f64 v[143:144], v[143:144], v[179:180]
	v_add_f64 v[141:142], v[141:142], v[157:158]
	s_waitcnt vmcnt(49) lgkmcnt(1)
	v_mul_f64 v[157:158], v[137:138], v[171:172]
	v_mul_f64 v[171:172], v[139:140], v[171:172]
	s_waitcnt vmcnt(48)
	v_fma_f64 v[175:176], v[1:2], v[193:194], -v[187:188]
	v_add_f64 v[143:144], v[143:144], v[163:164]
	v_fma_f64 v[163:164], v[3:4], v[193:194], v[185:186]
	v_add_f64 v[141:142], v[141:142], v[173:174]
	s_clause 0x3
	buffer_load_dword v173, off, s[0:3], 0 offset:64
	buffer_load_dword v174, off, s[0:3], 0 offset:68
	;; [unrolled: 1-line block ×4, first 2 shown]
	ds_read_b128 v[1:4], v198 offset:1872
	s_waitcnt vmcnt(51) lgkmcnt(1)
	v_mul_f64 v[187:188], v[7:8], v[189:190]
	v_mul_f64 v[185:186], v[5:6], v[189:190]
	s_waitcnt vmcnt(49)
	v_fma_f64 v[171:172], v[137:138], v[145:146], -v[171:172]
	v_fma_f64 v[145:146], v[139:140], v[145:146], v[157:158]
	ds_read_b128 v[137:140], v198 offset:1888
	v_add_f64 v[143:144], v[143:144], v[175:176]
	v_add_f64 v[141:142], v[141:142], v[163:164]
	s_waitcnt vmcnt(45) lgkmcnt(1)
	v_mul_f64 v[163:164], v[3:4], v[177:178]
	s_waitcnt vmcnt(44)
	v_fma_f64 v[175:176], v[5:6], v[195:196], -v[187:188]
	v_mul_f64 v[157:158], v[1:2], v[177:178]
	v_add_f64 v[143:144], v[143:144], v[171:172]
	v_fma_f64 v[171:172], v[7:8], v[195:196], v[185:186]
	v_add_f64 v[141:142], v[141:142], v[145:146]
	ds_read_b128 v[5:8], v198 offset:1904
	s_waitcnt vmcnt(43) lgkmcnt(1)
	v_mul_f64 v[177:178], v[139:140], v[191:192]
	v_mul_f64 v[145:146], v[137:138], v[191:192]
	s_waitcnt vmcnt(41)
	v_fma_f64 v[163:164], v[1:2], v[183:184], -v[163:164]
	v_fma_f64 v[157:158], v[3:4], v[183:184], v[157:158]
	ds_read_b128 v[1:4], v198 offset:1920
	v_add_f64 v[143:144], v[143:144], v[175:176]
	v_add_f64 v[141:142], v[141:142], v[171:172]
	s_waitcnt vmcnt(37) lgkmcnt(1)
	v_mul_f64 v[175:176], v[7:8], v[181:182]
	s_waitcnt vmcnt(36)
	v_fma_f64 v[177:178], v[137:138], v[207:208], -v[177:178]
	v_mul_f64 v[171:172], v[5:6], v[181:182]
	v_fma_f64 v[145:146], v[139:140], v[207:208], v[145:146]
	ds_read_b128 v[137:140], v198 offset:1936
	v_add_f64 v[143:144], v[143:144], v[163:164]
	v_add_f64 v[141:142], v[141:142], v[157:158]
	s_waitcnt vmcnt(35) lgkmcnt(1)
	v_mul_f64 v[163:164], v[3:4], v[201:202]
	v_mul_f64 v[157:158], v[1:2], v[201:202]
	s_waitcnt vmcnt(33)
	v_fma_f64 v[175:176], v[5:6], v[155:156], -v[175:176]
	v_fma_f64 v[155:156], v[7:8], v[155:156], v[171:172]
	ds_read_b128 v[5:8], v198 offset:1952
	v_add_f64 v[143:144], v[143:144], v[177:178]
	v_add_f64 v[141:142], v[141:142], v[145:146]
	s_waitcnt vmcnt(29) lgkmcnt(1)
	v_mul_f64 v[145:146], v[137:138], v[149:150]
	v_mul_f64 v[149:150], v[139:140], v[149:150]
	s_waitcnt vmcnt(28)
	v_fma_f64 v[163:164], v[1:2], v[211:212], -v[163:164]
	;; [unrolled: 9-line block ×4, first 2 shown]
	v_add_f64 v[143:144], v[143:144], v[149:150]
	v_fma_f64 v[149:150], v[7:8], v[215:216], v[155:156]
	v_add_f64 v[141:142], v[141:142], v[145:146]
	ds_read_b128 v[5:8], v198 offset:2000
	s_waitcnt vmcnt(19) lgkmcnt(1)
	v_mul_f64 v[155:156], v[139:140], v[203:204]
	v_mul_f64 v[145:146], v[137:138], v[203:204]
	s_waitcnt vmcnt(17)
	v_fma_f64 v[157:158], v[1:2], v[159:160], -v[157:158]
	v_fma_f64 v[153:154], v[3:4], v[159:160], v[153:154]
	ds_read_b128 v[1:4], v198 offset:2016
	v_add_f64 v[143:144], v[143:144], v[161:162]
	v_add_f64 v[141:142], v[141:142], v[149:150]
	s_waitcnt vmcnt(13) lgkmcnt(1)
	v_mul_f64 v[149:150], v[5:6], v[147:148]
	v_mul_f64 v[147:148], v[7:8], v[147:148]
	s_waitcnt vmcnt(12)
	v_fma_f64 v[155:156], v[137:138], v[217:218], -v[155:156]
	v_fma_f64 v[145:146], v[139:140], v[217:218], v[145:146]
	ds_read_b128 v[137:140], v198 offset:2032
	v_add_f64 v[143:144], v[143:144], v[157:158]
	v_add_f64 v[141:142], v[141:142], v[153:154]
	s_waitcnt vmcnt(11) lgkmcnt(1)
	v_mul_f64 v[157:158], v[3:4], v[169:170]
	v_mul_f64 v[153:154], v[1:2], v[169:170]
	s_waitcnt vmcnt(9)
	v_fma_f64 v[5:6], v[5:6], v[165:166], -v[147:148]
	v_fma_f64 v[7:8], v[7:8], v[165:166], v[149:150]
	v_add_f64 v[143:144], v[143:144], v[155:156]
	v_add_f64 v[141:142], v[141:142], v[145:146]
	s_waitcnt vmcnt(7) lgkmcnt(0)
	v_mul_f64 v[147:148], v[139:140], v[151:152]
	s_waitcnt vmcnt(6)
	v_fma_f64 v[1:2], v[1:2], v[213:214], -v[157:158]
	v_mul_f64 v[145:146], v[137:138], v[151:152]
	v_fma_f64 v[3:4], v[3:4], v[213:214], v[153:154]
	v_add_f64 v[5:6], v[143:144], v[5:6]
	v_add_f64 v[7:8], v[141:142], v[7:8]
	s_waitcnt vmcnt(4)
	v_fma_f64 v[137:138], v[137:138], v[167:168], -v[147:148]
	v_add_f64 v[1:2], v[5:6], v[1:2]
	v_fma_f64 v[5:6], v[139:140], v[167:168], v[145:146]
	v_add_f64 v[3:4], v[7:8], v[3:4]
	v_add_f64 v[1:2], v[1:2], v[137:138]
	;; [unrolled: 1-line block ×3, first 2 shown]
	s_waitcnt vmcnt(2)
	v_add_f64 v[1:2], v[173:174], -v[1:2]
	s_waitcnt vmcnt(0)
	v_add_f64 v[3:4], v[179:180], -v[3:4]
	buffer_store_dword v2, off, s[0:3], 0 offset:68
	buffer_store_dword v1, off, s[0:3], 0 offset:64
	;; [unrolled: 1-line block ×4, first 2 shown]
	v_cmpx_lt_u32_e32 2, v0
	s_cbranch_execz .LBB127_405
; %bb.404:
	v_mov_b32_e32 v4, s76
	v_mov_b32_e32 v5, 0
	s_clause 0x3
	buffer_load_dword v1, v4, s[0:3], 0 offen
	buffer_load_dword v2, v4, s[0:3], 0 offen offset:4
	buffer_load_dword v3, v4, s[0:3], 0 offen offset:8
	;; [unrolled: 1-line block ×3, first 2 shown]
	buffer_store_dword v5, off, s[0:3], 0 offset:48
	buffer_store_dword v5, off, s[0:3], 0 offset:52
	;; [unrolled: 1-line block ×4, first 2 shown]
	s_waitcnt vmcnt(0)
	ds_write_b128 v197, v[1:4]
.LBB127_405:
	s_or_b32 exec_lo, exec_lo, s4
	s_waitcnt lgkmcnt(0)
	s_waitcnt_vscnt null, 0x0
	s_barrier
	buffer_gl0_inv
	s_clause 0x37
	buffer_load_dword v145, off, s[0:3], 0 offset:72
	buffer_load_dword v146, off, s[0:3], 0 offset:76
	;; [unrolled: 1-line block ×56, first 2 shown]
	v_mov_b32_e32 v198, 0
	s_mov_b32 s4, exec_lo
	ds_read_b128 v[5:8], v198 offset:1072
	s_clause 0x2
	buffer_load_dword v194, off, s[0:3], 0 offset:300
	buffer_load_dword v196, off, s[0:3], 0 offset:276
	;; [unrolled: 1-line block ×3, first 2 shown]
	ds_read_b128 v[1:4], v198 offset:1088
	s_clause 0x4
	buffer_load_dword v206, off, s[0:3], 0 offset:316
	buffer_load_dword v207, off, s[0:3], 0 offset:328
	;; [unrolled: 1-line block ×5, first 2 shown]
	ds_read_b128 v[199:202], v198 offset:1104
	s_waitcnt vmcnt(62) lgkmcnt(2)
	v_mul_f64 v[203:204], v[7:8], v[145:146]
	v_mul_f64 v[145:146], v[5:6], v[145:146]
	s_waitcnt vmcnt(60) lgkmcnt(1)
	v_mul_f64 v[210:211], v[3:4], v[141:142]
	v_mul_f64 v[141:142], v[1:2], v[141:142]
	;; [unrolled: 3-line block ×3, first 2 shown]
	v_fma_f64 v[203:204], v[5:6], v[143:144], -v[203:204]
	v_fma_f64 v[143:144], v[7:8], v[143:144], v[145:146]
	s_clause 0x2
	buffer_load_dword v208, off, s[0:3], 0 offset:332
	buffer_load_dword v146, off, s[0:3], 0 offset:308
	;; [unrolled: 1-line block ×3, first 2 shown]
	s_waitcnt vmcnt(57)
	v_fma_f64 v[214:215], v[1:2], v[137:138], -v[210:211]
	ds_read_b128 v[5:8], v198 offset:1120
	v_fma_f64 v[137:138], v[3:4], v[137:138], v[141:142]
	s_waitcnt vmcnt(51)
	v_fma_f64 v[199:200], v[199:200], v[161:162], -v[139:140]
	v_fma_f64 v[161:162], v[201:202], v[161:162], v[212:213]
	v_add_f64 v[203:204], v[203:204], 0
	v_add_f64 v[141:142], v[143:144], 0
	s_clause 0x4
	buffer_load_dword v144, off, s[0:3], 0 offset:348
	buffer_load_dword v211, off, s[0:3], 0 offset:360
	;; [unrolled: 1-line block ×5, first 2 shown]
	s_waitcnt lgkmcnt(0)
	v_mul_f64 v[217:218], v[5:6], v[149:150]
	v_mul_f64 v[149:150], v[7:8], v[149:150]
	ds_read_b128 v[1:4], v198 offset:1136
	s_clause 0x2
	buffer_load_dword v212, off, s[0:3], 0 offset:364
	buffer_load_dword v202, off, s[0:3], 0 offset:340
	;; [unrolled: 1-line block ×3, first 2 shown]
	v_add_f64 v[203:204], v[203:204], v[214:215]
	v_add_f64 v[141:142], v[141:142], v[137:138]
	ds_read_b128 v[137:140], v198 offset:1152
	s_waitcnt vmcnt(58) lgkmcnt(1)
	v_mul_f64 v[213:214], v[1:2], v[153:154]
	v_mul_f64 v[153:154], v[3:4], v[153:154]
	s_waitcnt vmcnt(56)
	v_fma_f64 v[149:150], v[5:6], v[155:156], -v[149:150]
	v_fma_f64 v[155:156], v[7:8], v[155:156], v[217:218]
	s_waitcnt vmcnt(52) lgkmcnt(0)
	v_mul_f64 v[219:220], v[137:138], v[157:158]
	v_add_f64 v[199:200], v[203:204], v[199:200]
	v_add_f64 v[141:142], v[141:142], v[161:162]
	s_clause 0x4
	buffer_load_dword v162, off, s[0:3], 0 offset:380
	buffer_load_dword v203, off, s[0:3], 0 offset:392
	;; [unrolled: 1-line block ×5, first 2 shown]
	v_mul_f64 v[157:158], v[139:140], v[157:158]
	s_waitcnt vmcnt(56)
	v_fma_f64 v[153:154], v[1:2], v[147:148], -v[153:154]
	ds_read_b128 v[5:8], v198 offset:1168
	v_fma_f64 v[147:148], v[3:4], v[147:148], v[213:214]
	v_add_f64 v[149:150], v[199:200], v[149:150]
	v_add_f64 v[141:142], v[141:142], v[155:156]
	s_clause 0x2
	buffer_load_dword v204, off, s[0:3], 0 offset:396
	buffer_load_dword v156, off, s[0:3], 0 offset:372
	;; [unrolled: 1-line block ×3, first 2 shown]
	s_waitcnt vmcnt(58) lgkmcnt(0)
	v_mul_f64 v[199:200], v[5:6], v[163:164]
	v_mul_f64 v[163:164], v[7:8], v[163:164]
	s_waitcnt vmcnt(56)
	v_fma_f64 v[157:158], v[137:138], v[165:166], -v[157:158]
	ds_read_b128 v[1:4], v198 offset:1184
	v_add_f64 v[149:150], v[149:150], v[153:154]
	v_fma_f64 v[153:154], v[139:140], v[165:166], v[219:220]
	v_add_f64 v[141:142], v[141:142], v[147:148]
	s_clause 0x4
	buffer_load_dword v148, off, s[0:3], 0 offset:412
	buffer_load_dword v165, off, s[0:3], 0 offset:424
	;; [unrolled: 1-line block ×5, first 2 shown]
	s_waitcnt vmcnt(57) lgkmcnt(0)
	v_mul_f64 v[214:215], v[1:2], v[167:168]
	v_mul_f64 v[167:168], v[3:4], v[167:168]
	s_waitcnt vmcnt(56)
	v_fma_f64 v[163:164], v[5:6], v[151:152], -v[163:164]
	ds_read_b128 v[137:140], v198 offset:1200
	v_fma_f64 v[151:152], v[7:8], v[151:152], v[199:200]
	v_add_f64 v[149:150], v[149:150], v[157:158]
	v_add_f64 v[141:142], v[141:142], v[153:154]
	s_clause 0x2
	buffer_load_dword v166, off, s[0:3], 0 offset:428
	buffer_load_dword v154, off, s[0:3], 0 offset:404
	buffer_load_dword v153, off, s[0:3], 0 offset:400
	ds_read_b128 v[5:8], v198 offset:1216
	s_waitcnt vmcnt(58) lgkmcnt(1)
	v_mul_f64 v[157:158], v[137:138], v[171:172]
	v_mul_f64 v[171:172], v[139:140], v[171:172]
	s_waitcnt vmcnt(56)
	v_fma_f64 v[167:168], v[1:2], v[173:174], -v[167:168]
	v_add_f64 v[149:150], v[149:150], v[163:164]
	v_fma_f64 v[163:164], v[3:4], v[173:174], v[214:215]
	v_add_f64 v[141:142], v[141:142], v[151:152]
	s_clause 0x4
	buffer_load_dword v152, off, s[0:3], 0 offset:444
	buffer_load_dword v173, off, s[0:3], 0 offset:456
	;; [unrolled: 1-line block ×5, first 2 shown]
	s_waitcnt vmcnt(57) lgkmcnt(0)
	v_mul_f64 v[220:221], v[5:6], v[175:176]
	v_mul_f64 v[175:176], v[7:8], v[175:176]
	s_waitcnt vmcnt(56)
	v_fma_f64 v[171:172], v[137:138], v[159:160], -v[171:172]
	ds_read_b128 v[1:4], v198 offset:1232
	v_fma_f64 v[157:158], v[139:140], v[159:160], v[157:158]
	s_clause 0x2
	buffer_load_dword v174, off, s[0:3], 0 offset:460
	buffer_load_dword v160, off, s[0:3], 0 offset:436
	;; [unrolled: 1-line block ×3, first 2 shown]
	ds_read_b128 v[137:140], v198 offset:1248
	v_add_f64 v[149:150], v[149:150], v[167:168]
	v_add_f64 v[141:142], v[141:142], v[163:164]
	s_waitcnt vmcnt(58) lgkmcnt(1)
	v_mul_f64 v[167:168], v[3:4], v[179:180]
	s_waitcnt vmcnt(56)
	v_fma_f64 v[175:176], v[5:6], v[181:182], -v[175:176]
	v_mul_f64 v[163:164], v[1:2], v[179:180]
	v_add_f64 v[149:150], v[149:150], v[171:172]
	v_fma_f64 v[171:172], v[7:8], v[181:182], v[220:221]
	v_add_f64 v[141:142], v[141:142], v[157:158]
	s_clause 0x4
	buffer_load_dword v158, off, s[0:3], 0 offset:476
	buffer_load_dword v179, off, s[0:3], 0 offset:488
	;; [unrolled: 1-line block ×5, first 2 shown]
	s_waitcnt vmcnt(57) lgkmcnt(0)
	v_mul_f64 v[220:221], v[137:138], v[183:184]
	v_mul_f64 v[182:183], v[139:140], v[183:184]
	s_waitcnt vmcnt(56)
	v_fma_f64 v[167:168], v[1:2], v[169:170], -v[167:168]
	ds_read_b128 v[5:8], v198 offset:1264
	v_fma_f64 v[163:164], v[3:4], v[169:170], v[163:164]
	s_clause 0x2
	buffer_load_dword v180, off, s[0:3], 0 offset:492
	buffer_load_dword v170, off, s[0:3], 0 offset:468
	;; [unrolled: 1-line block ×3, first 2 shown]
	ds_read_b128 v[1:4], v198 offset:1280
	v_add_f64 v[149:150], v[149:150], v[175:176]
	v_add_f64 v[141:142], v[141:142], v[171:172]
	s_waitcnt vmcnt(58) lgkmcnt(1)
	v_mul_f64 v[175:176], v[7:8], v[187:188]
	s_waitcnt vmcnt(56)
	v_fma_f64 v[183:184], v[137:138], v[189:190], -v[182:183]
	v_mul_f64 v[171:172], v[5:6], v[187:188]
	v_add_f64 v[149:150], v[149:150], v[167:168]
	v_fma_f64 v[167:168], v[139:140], v[189:190], v[220:221]
	v_add_f64 v[141:142], v[141:142], v[163:164]
	s_clause 0x4
	buffer_load_dword v164, off, s[0:3], 0 offset:508
	buffer_load_dword v187, off, s[0:3], 0 offset:520
	;; [unrolled: 1-line block ×5, first 2 shown]
	s_waitcnt vmcnt(57) lgkmcnt(0)
	v_mul_f64 v[220:221], v[1:2], v[191:192]
	v_mul_f64 v[190:191], v[3:4], v[191:192]
	s_waitcnt vmcnt(56)
	v_fma_f64 v[175:176], v[5:6], v[177:178], -v[175:176]
	ds_read_b128 v[137:140], v198 offset:1296
	v_fma_f64 v[171:172], v[7:8], v[177:178], v[171:172]
	v_add_f64 v[149:150], v[149:150], v[183:184]
	v_add_f64 v[141:142], v[141:142], v[167:168]
	s_clause 0x2
	buffer_load_dword v188, off, s[0:3], 0 offset:524
	buffer_load_dword v168, off, s[0:3], 0 offset:500
	;; [unrolled: 1-line block ×3, first 2 shown]
	ds_read_b128 v[5:8], v198 offset:1312
	s_waitcnt vmcnt(58) lgkmcnt(1)
	v_mul_f64 v[183:184], v[139:140], v[193:194]
	s_waitcnt vmcnt(56)
	v_fma_f64 v[191:192], v[1:2], v[195:196], -v[190:191]
	v_mul_f64 v[177:178], v[137:138], v[193:194]
	v_add_f64 v[149:150], v[149:150], v[175:176]
	v_fma_f64 v[175:176], v[3:4], v[195:196], v[220:221]
	v_add_f64 v[141:142], v[141:142], v[171:172]
	s_clause 0x4
	buffer_load_dword v172, off, s[0:3], 0 offset:540
	buffer_load_dword v193, off, s[0:3], 0 offset:552
	;; [unrolled: 1-line block ×5, first 2 shown]
	s_waitcnt vmcnt(57) lgkmcnt(0)
	v_mul_f64 v[220:221], v[5:6], v[205:206]
	v_mul_f64 v[205:206], v[7:8], v[205:206]
	s_waitcnt vmcnt(56)
	v_fma_f64 v[183:184], v[137:138], v[185:186], -v[183:184]
	ds_read_b128 v[1:4], v198 offset:1328
	v_fma_f64 v[177:178], v[139:140], v[185:186], v[177:178]
	v_add_f64 v[149:150], v[149:150], v[191:192]
	v_add_f64 v[141:142], v[141:142], v[175:176]
	s_clause 0x2
	buffer_load_dword v194, off, s[0:3], 0 offset:556
	buffer_load_dword v176, off, s[0:3], 0 offset:532
	;; [unrolled: 1-line block ×3, first 2 shown]
	ds_read_b128 v[137:140], v198 offset:1344
	s_waitcnt vmcnt(58) lgkmcnt(1)
	v_mul_f64 v[191:192], v[3:4], v[207:208]
	v_mul_f64 v[185:186], v[1:2], v[207:208]
	s_waitcnt vmcnt(56)
	v_fma_f64 v[205:206], v[5:6], v[145:146], -v[205:206]
	v_fma_f64 v[145:146], v[7:8], v[145:146], v[220:221]
	v_add_f64 v[149:150], v[149:150], v[183:184]
	v_add_f64 v[141:142], v[141:142], v[177:178]
	s_clause 0x4
	buffer_load_dword v178, off, s[0:3], 0 offset:572
	buffer_load_dword v183, off, s[0:3], 0 offset:584
	;; [unrolled: 1-line block ×5, first 2 shown]
	ds_read_b128 v[5:8], v198 offset:1360
	s_waitcnt vmcnt(57) lgkmcnt(1)
	v_mul_f64 v[220:221], v[137:138], v[143:144]
	v_mul_f64 v[143:144], v[139:140], v[143:144]
	s_waitcnt vmcnt(56)
	v_fma_f64 v[191:192], v[1:2], v[209:210], -v[191:192]
	v_fma_f64 v[185:186], v[3:4], v[209:210], v[185:186]
	v_add_f64 v[149:150], v[149:150], v[205:206]
	v_add_f64 v[141:142], v[141:142], v[145:146]
	s_clause 0x2
	buffer_load_dword v184, off, s[0:3], 0 offset:588
	buffer_load_dword v146, off, s[0:3], 0 offset:564
	;; [unrolled: 1-line block ×3, first 2 shown]
	s_waitcnt vmcnt(58) lgkmcnt(0)
	v_mul_f64 v[209:210], v[7:8], v[211:212]
	ds_read_b128 v[1:4], v198 offset:1376
	v_mul_f64 v[205:206], v[5:6], v[211:212]
	s_waitcnt vmcnt(56)
	v_fma_f64 v[143:144], v[137:138], v[201:202], -v[143:144]
	v_add_f64 v[149:150], v[149:150], v[191:192]
	v_fma_f64 v[191:192], v[139:140], v[201:202], v[220:221]
	v_add_f64 v[141:142], v[141:142], v[185:186]
	s_clause 0x4
	buffer_load_dword v186, off, s[0:3], 0 offset:604
	buffer_load_dword v201, off, s[0:3], 0 offset:616
	buffer_load_dword v211, off, s[0:3], 0 offset:608
	buffer_load_dword v185, off, s[0:3], 0 offset:600
	buffer_load_dword v208, off, s[0:3], 0 offset:580
	ds_read_b128 v[137:140], v198 offset:1392
	s_waitcnt vmcnt(57) lgkmcnt(1)
	v_mul_f64 v[220:221], v[1:2], v[161:162]
	v_mul_f64 v[161:162], v[3:4], v[161:162]
	s_waitcnt vmcnt(56)
	v_fma_f64 v[209:210], v[5:6], v[216:217], -v[209:210]
	v_add_f64 v[143:144], v[149:150], v[143:144]
	v_fma_f64 v[149:150], v[7:8], v[216:217], v[205:206]
	v_add_f64 v[141:142], v[141:142], v[191:192]
	s_clause 0x2
	buffer_load_dword v202, off, s[0:3], 0 offset:620
	buffer_load_dword v192, off, s[0:3], 0 offset:596
	;; [unrolled: 1-line block ×3, first 2 shown]
	ds_read_b128 v[5:8], v198 offset:1408
	s_waitcnt vmcnt(58) lgkmcnt(1)
	v_mul_f64 v[205:206], v[137:138], v[203:204]
	v_mul_f64 v[203:204], v[139:140], v[203:204]
	s_waitcnt vmcnt(56)
	v_fma_f64 v[161:162], v[1:2], v[155:156], -v[161:162]
	v_fma_f64 v[155:156], v[3:4], v[155:156], v[220:221]
	v_add_f64 v[143:144], v[143:144], v[209:210]
	v_add_f64 v[141:142], v[141:142], v[149:150]
	s_clause 0x4
	buffer_load_dword v150, off, s[0:3], 0 offset:636
	buffer_load_dword v209, off, s[0:3], 0 offset:648
	;; [unrolled: 1-line block ×5, first 2 shown]
	ds_read_b128 v[1:4], v198 offset:1424
	s_waitcnt vmcnt(57) lgkmcnt(1)
	v_mul_f64 v[216:217], v[5:6], v[147:148]
	v_mul_f64 v[147:148], v[7:8], v[147:148]
	s_waitcnt vmcnt(56)
	v_fma_f64 v[203:204], v[137:138], v[218:219], -v[203:204]
	v_add_f64 v[143:144], v[143:144], v[161:162]
	v_fma_f64 v[161:162], v[139:140], v[218:219], v[205:206]
	v_add_f64 v[141:142], v[141:142], v[155:156]
	s_clause 0x2
	buffer_load_dword v210, off, s[0:3], 0 offset:652
	buffer_load_dword v156, off, s[0:3], 0 offset:628
	;; [unrolled: 1-line block ×3, first 2 shown]
	ds_read_b128 v[137:140], v198 offset:1440
	s_waitcnt vmcnt(58) lgkmcnt(1)
	v_mul_f64 v[205:206], v[1:2], v[165:166]
	v_mul_f64 v[165:166], v[3:4], v[165:166]
	s_waitcnt vmcnt(56)
	v_fma_f64 v[147:148], v[5:6], v[153:154], -v[147:148]
	v_fma_f64 v[153:154], v[7:8], v[153:154], v[216:217]
	v_add_f64 v[143:144], v[143:144], v[203:204]
	v_add_f64 v[141:142], v[141:142], v[161:162]
	s_clause 0x4
	buffer_load_dword v162, off, s[0:3], 0 offset:668
	buffer_load_dword v203, off, s[0:3], 0 offset:680
	;; [unrolled: 1-line block ×5, first 2 shown]
	ds_read_b128 v[5:8], v198 offset:1456
	s_waitcnt vmcnt(57) lgkmcnt(1)
	v_mul_f64 v[218:219], v[137:138], v[151:152]
	v_mul_f64 v[151:152], v[139:140], v[151:152]
	s_waitcnt vmcnt(56)
	v_fma_f64 v[165:166], v[1:2], v[213:214], -v[165:166]
	v_add_f64 v[143:144], v[143:144], v[147:148]
	v_fma_f64 v[147:148], v[3:4], v[213:214], v[205:206]
	v_add_f64 v[141:142], v[141:142], v[153:154]
	s_clause 0x2
	buffer_load_dword v204, off, s[0:3], 0 offset:684
	buffer_load_dword v154, off, s[0:3], 0 offset:660
	;; [unrolled: 1-line block ×3, first 2 shown]
	s_waitcnt vmcnt(58) lgkmcnt(0)
	v_mul_f64 v[205:206], v[5:6], v[173:174]
	v_mul_f64 v[173:174], v[7:8], v[173:174]
	ds_read_b128 v[1:4], v198 offset:1472
	s_waitcnt vmcnt(56)
	v_fma_f64 v[151:152], v[137:138], v[159:160], -v[151:152]
	v_fma_f64 v[159:160], v[139:140], v[159:160], v[218:219]
	v_add_f64 v[143:144], v[143:144], v[165:166]
	v_add_f64 v[141:142], v[141:142], v[147:148]
	s_clause 0x4
	buffer_load_dword v148, off, s[0:3], 0 offset:700
	buffer_load_dword v165, off, s[0:3], 0 offset:712
	;; [unrolled: 1-line block ×5, first 2 shown]
	ds_read_b128 v[137:140], v198 offset:1488
	s_waitcnt vmcnt(57) lgkmcnt(1)
	v_mul_f64 v[219:220], v[1:2], v[157:158]
	v_mul_f64 v[157:158], v[3:4], v[157:158]
	s_waitcnt vmcnt(56)
	v_fma_f64 v[173:174], v[5:6], v[199:200], -v[173:174]
	v_add_f64 v[143:144], v[143:144], v[151:152]
	v_fma_f64 v[151:152], v[7:8], v[199:200], v[205:206]
	v_add_f64 v[141:142], v[141:142], v[159:160]
	s_clause 0x2
	buffer_load_dword v166, off, s[0:3], 0 offset:716
	buffer_load_dword v160, off, s[0:3], 0 offset:692
	;; [unrolled: 1-line block ×3, first 2 shown]
	s_waitcnt vmcnt(58) lgkmcnt(0)
	v_mul_f64 v[199:200], v[137:138], v[179:180]
	v_mul_f64 v[179:180], v[139:140], v[179:180]
	ds_read_b128 v[5:8], v198 offset:1504
	s_waitcnt vmcnt(56)
	v_fma_f64 v[157:158], v[1:2], v[169:170], -v[157:158]
	v_fma_f64 v[169:170], v[3:4], v[169:170], v[219:220]
	v_add_f64 v[143:144], v[143:144], v[173:174]
	v_add_f64 v[141:142], v[141:142], v[151:152]
	s_clause 0x4
	buffer_load_dword v152, off, s[0:3], 0 offset:732
	buffer_load_dword v173, off, s[0:3], 0 offset:744
	buffer_load_dword v205, off, s[0:3], 0 offset:736
	buffer_load_dword v151, off, s[0:3], 0 offset:728
	buffer_load_dword v214, off, s[0:3], 0 offset:708
	ds_read_b128 v[1:4], v198 offset:1520
	s_waitcnt vmcnt(57) lgkmcnt(1)
	v_mul_f64 v[219:220], v[5:6], v[163:164]
	v_mul_f64 v[163:164], v[7:8], v[163:164]
	s_waitcnt vmcnt(56)
	v_fma_f64 v[179:180], v[137:138], v[181:182], -v[179:180]
	v_add_f64 v[143:144], v[143:144], v[157:158]
	v_fma_f64 v[157:158], v[139:140], v[181:182], v[199:200]
	v_add_f64 v[141:142], v[141:142], v[169:170]
	s_clause 0x2
	buffer_load_dword v174, off, s[0:3], 0 offset:748
	buffer_load_dword v170, off, s[0:3], 0 offset:724
	buffer_load_dword v169, off, s[0:3], 0 offset:720
	ds_read_b128 v[137:140], v198 offset:1536
	s_waitcnt vmcnt(58) lgkmcnt(1)
	v_mul_f64 v[181:182], v[1:2], v[187:188]
	v_mul_f64 v[187:188], v[3:4], v[187:188]
	s_waitcnt vmcnt(56)
	v_fma_f64 v[163:164], v[5:6], v[167:168], -v[163:164]
	v_fma_f64 v[167:168], v[7:8], v[167:168], v[219:220]
	v_add_f64 v[143:144], v[143:144], v[179:180]
	v_add_f64 v[141:142], v[141:142], v[157:158]
	s_clause 0x4
	buffer_load_dword v158, off, s[0:3], 0 offset:764
	buffer_load_dword v179, off, s[0:3], 0 offset:776
	buffer_load_dword v199, off, s[0:3], 0 offset:768
	buffer_load_dword v157, off, s[0:3], 0 offset:760
	buffer_load_dword v206, off, s[0:3], 0 offset:740
	ds_read_b128 v[5:8], v198 offset:1552
	s_waitcnt vmcnt(57) lgkmcnt(1)
	v_mul_f64 v[219:220], v[137:138], v[171:172]
	v_mul_f64 v[171:172], v[139:140], v[171:172]
	s_waitcnt vmcnt(56)
	v_fma_f64 v[187:188], v[1:2], v[189:190], -v[187:188]
	v_add_f64 v[143:144], v[143:144], v[163:164]
	v_fma_f64 v[163:164], v[3:4], v[189:190], v[181:182]
	v_add_f64 v[141:142], v[141:142], v[167:168]
	s_clause 0x2
	buffer_load_dword v180, off, s[0:3], 0 offset:780
	buffer_load_dword v168, off, s[0:3], 0 offset:756
	buffer_load_dword v167, off, s[0:3], 0 offset:752
	ds_read_b128 v[1:4], v198 offset:1568
	s_waitcnt vmcnt(58) lgkmcnt(1)
	v_mul_f64 v[189:190], v[7:8], v[193:194]
	v_mul_f64 v[181:182], v[5:6], v[193:194]
	;; [unrolled: 28-line block ×4, first 2 shown]
	s_waitcnt vmcnt(56)
	v_fma_f64 v[185:186], v[5:6], v[191:192], -v[185:186]
	v_add_f64 v[143:144], v[143:144], v[183:184]
	v_fma_f64 v[183:184], v[7:8], v[191:192], v[219:220]
	v_add_f64 v[141:142], v[141:142], v[177:178]
	s_clause 0x4
	buffer_load_dword v178, off, s[0:3], 0 offset:860
	buffer_load_dword v191, off, s[0:3], 0 offset:872
	;; [unrolled: 1-line block ×5, first 2 shown]
	ds_read_b128 v[5:8], v198 offset:1648
	s_waitcnt vmcnt(57) lgkmcnt(1)
	v_mul_f64 v[219:220], v[137:138], v[149:150]
	v_mul_f64 v[149:150], v[139:140], v[149:150]
	s_waitcnt vmcnt(56)
	v_fma_f64 v[201:202], v[1:2], v[211:212], -v[201:202]
	v_fma_f64 v[181:182], v[3:4], v[211:212], v[181:182]
	v_add_f64 v[143:144], v[143:144], v[185:186]
	v_add_f64 v[141:142], v[141:142], v[183:184]
	s_clause 0x2
	buffer_load_dword v192, off, s[0:3], 0 offset:876
	buffer_load_dword v184, off, s[0:3], 0 offset:852
	buffer_load_dword v183, off, s[0:3], 0 offset:848
	ds_read_b128 v[1:4], v198 offset:1664
	s_waitcnt vmcnt(58) lgkmcnt(1)
	v_mul_f64 v[185:186], v[5:6], v[209:210]
	v_mul_f64 v[209:210], v[7:8], v[209:210]
	s_waitcnt vmcnt(56)
	v_fma_f64 v[149:150], v[137:138], v[155:156], -v[149:150]
	v_fma_f64 v[155:156], v[139:140], v[155:156], v[219:220]
	v_add_f64 v[143:144], v[143:144], v[201:202]
	v_add_f64 v[141:142], v[141:142], v[181:182]
	s_clause 0x4
	buffer_load_dword v182, off, s[0:3], 0 offset:892
	buffer_load_dword v201, off, s[0:3], 0 offset:904
	buffer_load_dword v211, off, s[0:3], 0 offset:896
	buffer_load_dword v181, off, s[0:3], 0 offset:888
	buffer_load_dword v208, off, s[0:3], 0 offset:868
	ds_read_b128 v[137:140], v198 offset:1680
	s_waitcnt vmcnt(57) lgkmcnt(1)
	v_mul_f64 v[219:220], v[1:2], v[161:162]
	v_mul_f64 v[161:162], v[3:4], v[161:162]
	s_waitcnt vmcnt(56)
	v_fma_f64 v[209:210], v[5:6], v[215:216], -v[209:210]
	v_add_f64 v[143:144], v[143:144], v[149:150]
	v_fma_f64 v[149:150], v[7:8], v[215:216], v[185:186]
	v_add_f64 v[141:142], v[141:142], v[155:156]
	s_clause 0x2
	buffer_load_dword v202, off, s[0:3], 0 offset:908
	buffer_load_dword v156, off, s[0:3], 0 offset:884
	buffer_load_dword v155, off, s[0:3], 0 offset:880
	ds_read_b128 v[5:8], v198 offset:1696
	s_waitcnt vmcnt(58) lgkmcnt(1)
	v_mul_f64 v[185:186], v[137:138], v[203:204]
	v_mul_f64 v[203:204], v[139:140], v[203:204]
	s_waitcnt vmcnt(56)
	v_fma_f64 v[161:162], v[1:2], v[153:154], -v[161:162]
	v_fma_f64 v[153:154], v[3:4], v[153:154], v[219:220]
	v_add_f64 v[143:144], v[143:144], v[209:210]
	v_add_f64 v[141:142], v[141:142], v[149:150]
	s_clause 0x4
	buffer_load_dword v150, off, s[0:3], 0 offset:924
	buffer_load_dword v209, off, s[0:3], 0 offset:936
	buffer_load_dword v215, off, s[0:3], 0 offset:928
	buffer_load_dword v149, off, s[0:3], 0 offset:920
	buffer_load_dword v212, off, s[0:3], 0 offset:900
	ds_read_b128 v[1:4], v198 offset:1712
	s_waitcnt vmcnt(57) lgkmcnt(1)
	v_mul_f64 v[219:220], v[5:6], v[147:148]
	v_mul_f64 v[147:148], v[7:8], v[147:148]
	s_waitcnt vmcnt(56)
	v_fma_f64 v[203:204], v[137:138], v[217:218], -v[203:204]
	v_add_f64 v[143:144], v[143:144], v[161:162]
	v_fma_f64 v[161:162], v[139:140], v[217:218], v[185:186]
	;; [unrolled: 28-line block ×3, first 2 shown]
	v_add_f64 v[141:142], v[141:142], v[159:160]
	s_clause 0x2
	buffer_load_dword v204, off, s[0:3], 0 offset:972
	buffer_load_dword v160, off, s[0:3], 0 offset:948
	;; [unrolled: 1-line block ×3, first 2 shown]
	ds_read_b128 v[1:4], v198 offset:1760
	s_waitcnt vmcnt(58) lgkmcnt(1)
	v_mul_f64 v[185:186], v[5:6], v[173:174]
	v_mul_f64 v[173:174], v[7:8], v[173:174]
	s_waitcnt vmcnt(56)
	v_fma_f64 v[151:152], v[137:138], v[169:170], -v[151:152]
	v_add_f64 v[143:144], v[143:144], v[165:166]
	v_fma_f64 v[165:166], v[139:140], v[169:170], v[218:219]
	v_add_f64 v[141:142], v[141:142], v[147:148]
	s_clause 0x4
	buffer_load_dword v148, off, s[0:3], 0 offset:988
	buffer_load_dword v169, off, s[0:3], 0 offset:1000
	;; [unrolled: 1-line block ×5, first 2 shown]
	ds_read_b128 v[137:140], v198 offset:1776
	s_waitcnt vmcnt(57) lgkmcnt(1)
	v_mul_f64 v[219:220], v[1:2], v[157:158]
	v_mul_f64 v[157:158], v[3:4], v[157:158]
	s_waitcnt vmcnt(56)
	v_fma_f64 v[173:174], v[5:6], v[205:206], -v[173:174]
	v_add_f64 v[143:144], v[143:144], v[151:152]
	v_fma_f64 v[151:152], v[7:8], v[205:206], v[185:186]
	v_add_f64 v[141:142], v[141:142], v[165:166]
	s_clause 0x2
	buffer_load_dword v170, off, s[0:3], 0 offset:1004
	buffer_load_dword v166, off, s[0:3], 0 offset:980
	;; [unrolled: 1-line block ×3, first 2 shown]
	ds_read_b128 v[5:8], v198 offset:1792
	s_waitcnt vmcnt(58) lgkmcnt(1)
	v_mul_f64 v[185:186], v[137:138], v[179:180]
	v_mul_f64 v[179:180], v[139:140], v[179:180]
	s_waitcnt vmcnt(56)
	v_fma_f64 v[157:158], v[1:2], v[167:168], -v[157:158]
	v_fma_f64 v[167:168], v[3:4], v[167:168], v[219:220]
	v_add_f64 v[143:144], v[143:144], v[173:174]
	v_add_f64 v[141:142], v[141:142], v[151:152]
	s_clause 0x4
	buffer_load_dword v152, off, s[0:3], 0 offset:1020
	buffer_load_dword v173, off, s[0:3], 0 offset:1032
	buffer_load_dword v205, off, s[0:3], 0 offset:1024
	buffer_load_dword v151, off, s[0:3], 0 offset:1016
	buffer_load_dword v214, off, s[0:3], 0 offset:996
	ds_read_b128 v[1:4], v198 offset:1808
	s_waitcnt vmcnt(57) lgkmcnt(1)
	v_mul_f64 v[219:220], v[5:6], v[163:164]
	v_mul_f64 v[163:164], v[7:8], v[163:164]
	s_waitcnt vmcnt(56)
	v_fma_f64 v[179:180], v[137:138], v[199:200], -v[179:180]
	v_add_f64 v[143:144], v[143:144], v[157:158]
	v_fma_f64 v[157:158], v[139:140], v[199:200], v[185:186]
	v_add_f64 v[141:142], v[141:142], v[167:168]
	s_clause 0x2
	buffer_load_dword v174, off, s[0:3], 0 offset:1036
	buffer_load_dword v168, off, s[0:3], 0 offset:1012
	;; [unrolled: 1-line block ×3, first 2 shown]
	ds_read_b128 v[137:140], v198 offset:1824
	buffer_load_dword v206, off, s[0:3], 0 offset:1028
	s_waitcnt vmcnt(59) lgkmcnt(1)
	v_mul_f64 v[185:186], v[1:2], v[187:188]
	v_mul_f64 v[187:188], v[3:4], v[187:188]
	s_waitcnt vmcnt(57)
	v_fma_f64 v[163:164], v[5:6], v[175:176], -v[163:164]
	v_fma_f64 v[175:176], v[7:8], v[175:176], v[219:220]
	ds_read_b128 v[5:8], v198 offset:1840
	v_add_f64 v[143:144], v[143:144], v[179:180]
	v_add_f64 v[141:142], v[141:142], v[157:158]
	s_waitcnt vmcnt(53) lgkmcnt(1)
	v_mul_f64 v[157:158], v[137:138], v[171:172]
	v_mul_f64 v[171:172], v[139:140], v[171:172]
	s_waitcnt vmcnt(52)
	v_fma_f64 v[179:180], v[1:2], v[193:194], -v[187:188]
	v_add_f64 v[143:144], v[143:144], v[163:164]
	v_fma_f64 v[163:164], v[3:4], v[193:194], v[185:186]
	v_add_f64 v[141:142], v[141:142], v[175:176]
	ds_read_b128 v[1:4], v198 offset:1856
	s_waitcnt vmcnt(51) lgkmcnt(1)
	v_mul_f64 v[185:186], v[7:8], v[189:190]
	v_mul_f64 v[175:176], v[5:6], v[189:190]
	s_waitcnt vmcnt(49)
	v_fma_f64 v[171:172], v[137:138], v[145:146], -v[171:172]
	v_fma_f64 v[145:146], v[139:140], v[145:146], v[157:158]
	v_add_f64 v[143:144], v[143:144], v[179:180]
	v_add_f64 v[141:142], v[141:142], v[163:164]
	s_clause 0x3
	buffer_load_dword v157, off, s[0:3], 0 offset:48
	buffer_load_dword v158, off, s[0:3], 0 offset:52
	;; [unrolled: 1-line block ×4, first 2 shown]
	ds_read_b128 v[137:140], v198 offset:1872
	s_waitcnt vmcnt(49) lgkmcnt(1)
	v_mul_f64 v[179:180], v[1:2], v[177:178]
	v_mul_f64 v[177:178], v[3:4], v[177:178]
	s_waitcnt vmcnt(48)
	v_fma_f64 v[185:186], v[5:6], v[195:196], -v[185:186]
	v_add_f64 v[143:144], v[143:144], v[171:172]
	v_fma_f64 v[171:172], v[7:8], v[195:196], v[175:176]
	v_add_f64 v[141:142], v[141:142], v[145:146]
	ds_read_b128 v[5:8], v198 offset:1888
	s_waitcnt vmcnt(47) lgkmcnt(1)
	v_mul_f64 v[175:176], v[139:140], v[191:192]
	v_mul_f64 v[145:146], v[137:138], v[191:192]
	s_waitcnt vmcnt(45)
	v_fma_f64 v[177:178], v[1:2], v[183:184], -v[177:178]
	v_fma_f64 v[179:180], v[3:4], v[183:184], v[179:180]
	ds_read_b128 v[1:4], v198 offset:1904
	v_add_f64 v[143:144], v[143:144], v[185:186]
	v_add_f64 v[141:142], v[141:142], v[171:172]
	s_waitcnt vmcnt(41) lgkmcnt(1)
	v_mul_f64 v[171:172], v[5:6], v[181:182]
	v_mul_f64 v[181:182], v[7:8], v[181:182]
	s_waitcnt vmcnt(40)
	v_fma_f64 v[175:176], v[137:138], v[207:208], -v[175:176]
	v_fma_f64 v[145:146], v[139:140], v[207:208], v[145:146]
	ds_read_b128 v[137:140], v198 offset:1920
	v_add_f64 v[143:144], v[143:144], v[177:178]
	v_add_f64 v[141:142], v[141:142], v[179:180]
	;; [unrolled: 9-line block ×5, first 2 shown]
	s_waitcnt vmcnt(25) lgkmcnt(1)
	v_mul_f64 v[153:154], v[1:2], v[161:162]
	v_mul_f64 v[161:162], v[3:4], v[161:162]
	s_waitcnt vmcnt(24)
	v_fma_f64 v[171:172], v[5:6], v[215:216], -v[177:178]
	v_add_f64 v[143:144], v[143:144], v[149:150]
	v_fma_f64 v[149:150], v[7:8], v[215:216], v[155:156]
	v_add_f64 v[141:142], v[141:142], v[145:146]
	ds_read_b128 v[5:8], v198 offset:1984
	s_waitcnt vmcnt(23) lgkmcnt(1)
	v_mul_f64 v[155:156], v[139:140], v[203:204]
	v_mul_f64 v[145:146], v[137:138], v[203:204]
	s_waitcnt vmcnt(21)
	v_fma_f64 v[161:162], v[1:2], v[159:160], -v[161:162]
	v_fma_f64 v[153:154], v[3:4], v[159:160], v[153:154]
	ds_read_b128 v[1:4], v198 offset:2000
	v_add_f64 v[143:144], v[143:144], v[171:172]
	v_add_f64 v[141:142], v[141:142], v[149:150]
	s_waitcnt vmcnt(17) lgkmcnt(1)
	v_mul_f64 v[149:150], v[5:6], v[147:148]
	v_mul_f64 v[147:148], v[7:8], v[147:148]
	s_waitcnt vmcnt(16)
	v_fma_f64 v[155:156], v[137:138], v[217:218], -v[155:156]
	v_fma_f64 v[145:146], v[139:140], v[217:218], v[145:146]
	ds_read_b128 v[137:140], v198 offset:2016
	v_add_f64 v[143:144], v[143:144], v[161:162]
	v_add_f64 v[141:142], v[141:142], v[153:154]
	s_waitcnt vmcnt(15) lgkmcnt(1)
	v_mul_f64 v[159:160], v[3:4], v[169:170]
	v_mul_f64 v[153:154], v[1:2], v[169:170]
	s_waitcnt vmcnt(13)
	v_fma_f64 v[147:148], v[5:6], v[165:166], -v[147:148]
	v_fma_f64 v[149:150], v[7:8], v[165:166], v[149:150]
	ds_read_b128 v[5:8], v198 offset:2032
	v_add_f64 v[143:144], v[143:144], v[155:156]
	v_add_f64 v[141:142], v[141:142], v[145:146]
	s_waitcnt vmcnt(9) lgkmcnt(1)
	v_mul_f64 v[145:146], v[137:138], v[151:152]
	v_mul_f64 v[151:152], v[139:140], v[151:152]
	s_waitcnt vmcnt(8)
	v_fma_f64 v[1:2], v[1:2], v[213:214], -v[159:160]
	v_fma_f64 v[3:4], v[3:4], v[213:214], v[153:154]
	v_add_f64 v[143:144], v[143:144], v[147:148]
	v_add_f64 v[141:142], v[141:142], v[149:150]
	s_waitcnt vmcnt(7) lgkmcnt(0)
	v_mul_f64 v[149:150], v[7:8], v[173:174]
	v_mul_f64 v[147:148], v[5:6], v[173:174]
	s_waitcnt vmcnt(5)
	v_fma_f64 v[137:138], v[137:138], v[167:168], -v[151:152]
	v_fma_f64 v[139:140], v[139:140], v[167:168], v[145:146]
	v_add_f64 v[1:2], v[143:144], v[1:2]
	v_add_f64 v[3:4], v[141:142], v[3:4]
	s_waitcnt vmcnt(4)
	v_fma_f64 v[5:6], v[5:6], v[205:206], -v[149:150]
	v_fma_f64 v[7:8], v[7:8], v[205:206], v[147:148]
	v_add_f64 v[1:2], v[1:2], v[137:138]
	v_add_f64 v[3:4], v[3:4], v[139:140]
	;; [unrolled: 1-line block ×4, first 2 shown]
	s_waitcnt vmcnt(2)
	v_add_f64 v[1:2], v[157:158], -v[1:2]
	s_waitcnt vmcnt(0)
	v_add_f64 v[3:4], v[163:164], -v[3:4]
	buffer_store_dword v2, off, s[0:3], 0 offset:52
	buffer_store_dword v1, off, s[0:3], 0 offset:48
	;; [unrolled: 1-line block ×4, first 2 shown]
	v_cmpx_lt_u32_e32 1, v0
	s_cbranch_execz .LBB127_407
; %bb.406:
	v_mov_b32_e32 v4, s77
	s_clause 0x3
	buffer_load_dword v1, v4, s[0:3], 0 offen
	buffer_load_dword v2, v4, s[0:3], 0 offen offset:4
	buffer_load_dword v3, v4, s[0:3], 0 offen offset:8
	;; [unrolled: 1-line block ×3, first 2 shown]
	buffer_store_dword v198, off, s[0:3], 0 offset:32
	buffer_store_dword v198, off, s[0:3], 0 offset:36
	;; [unrolled: 1-line block ×4, first 2 shown]
	s_waitcnt vmcnt(0)
	ds_write_b128 v197, v[1:4]
.LBB127_407:
	s_or_b32 exec_lo, exec_lo, s4
	s_waitcnt lgkmcnt(0)
	s_waitcnt_vscnt null, 0x0
	s_barrier
	buffer_gl0_inv
	s_clause 0x37
	buffer_load_dword v145, off, s[0:3], 0 offset:56
	buffer_load_dword v146, off, s[0:3], 0 offset:60
	;; [unrolled: 1-line block ×56, first 2 shown]
	ds_read_b128 v[5:8], v198 offset:1056
	s_clause 0x2
	buffer_load_dword v194, off, s[0:3], 0 offset:284
	buffer_load_dword v196, off, s[0:3], 0 offset:260
	;; [unrolled: 1-line block ×3, first 2 shown]
	ds_read_b128 v[1:4], v198 offset:1072
	s_clause 0x4
	buffer_load_dword v206, off, s[0:3], 0 offset:300
	buffer_load_dword v207, off, s[0:3], 0 offset:312
	;; [unrolled: 1-line block ×5, first 2 shown]
	ds_read_b128 v[199:202], v198 offset:1088
	s_mov_b32 s4, 0
	s_mov_b32 s5, exec_lo
	s_waitcnt vmcnt(62) lgkmcnt(2)
	v_mul_f64 v[203:204], v[7:8], v[145:146]
	v_mul_f64 v[145:146], v[5:6], v[145:146]
	s_waitcnt vmcnt(60) lgkmcnt(1)
	v_mul_f64 v[210:211], v[3:4], v[141:142]
	v_mul_f64 v[141:142], v[1:2], v[141:142]
	;; [unrolled: 3-line block ×3, first 2 shown]
	v_fma_f64 v[203:204], v[5:6], v[143:144], -v[203:204]
	v_fma_f64 v[143:144], v[7:8], v[143:144], v[145:146]
	s_clause 0x2
	buffer_load_dword v208, off, s[0:3], 0 offset:316
	buffer_load_dword v146, off, s[0:3], 0 offset:292
	;; [unrolled: 1-line block ×3, first 2 shown]
	s_waitcnt vmcnt(57)
	v_fma_f64 v[214:215], v[1:2], v[137:138], -v[210:211]
	ds_read_b128 v[5:8], v198 offset:1104
	v_fma_f64 v[137:138], v[3:4], v[137:138], v[141:142]
	s_waitcnt vmcnt(51)
	v_fma_f64 v[199:200], v[199:200], v[161:162], -v[139:140]
	v_fma_f64 v[161:162], v[201:202], v[161:162], v[212:213]
	v_add_f64 v[203:204], v[203:204], 0
	v_add_f64 v[141:142], v[143:144], 0
	s_clause 0x4
	buffer_load_dword v144, off, s[0:3], 0 offset:332
	buffer_load_dword v211, off, s[0:3], 0 offset:344
	;; [unrolled: 1-line block ×5, first 2 shown]
	s_waitcnt lgkmcnt(0)
	v_mul_f64 v[217:218], v[5:6], v[149:150]
	v_mul_f64 v[149:150], v[7:8], v[149:150]
	ds_read_b128 v[1:4], v198 offset:1120
	s_clause 0x2
	buffer_load_dword v212, off, s[0:3], 0 offset:348
	buffer_load_dword v202, off, s[0:3], 0 offset:324
	;; [unrolled: 1-line block ×3, first 2 shown]
	v_add_f64 v[203:204], v[203:204], v[214:215]
	v_add_f64 v[141:142], v[141:142], v[137:138]
	ds_read_b128 v[137:140], v198 offset:1136
	s_waitcnt vmcnt(58) lgkmcnt(1)
	v_mul_f64 v[213:214], v[1:2], v[153:154]
	v_mul_f64 v[153:154], v[3:4], v[153:154]
	s_waitcnt vmcnt(56)
	v_fma_f64 v[149:150], v[5:6], v[155:156], -v[149:150]
	v_fma_f64 v[155:156], v[7:8], v[155:156], v[217:218]
	s_waitcnt vmcnt(52) lgkmcnt(0)
	v_mul_f64 v[219:220], v[137:138], v[157:158]
	v_add_f64 v[199:200], v[203:204], v[199:200]
	v_add_f64 v[141:142], v[141:142], v[161:162]
	s_clause 0x4
	buffer_load_dword v162, off, s[0:3], 0 offset:364
	buffer_load_dword v203, off, s[0:3], 0 offset:376
	;; [unrolled: 1-line block ×5, first 2 shown]
	v_mul_f64 v[157:158], v[139:140], v[157:158]
	s_waitcnt vmcnt(56)
	v_fma_f64 v[153:154], v[1:2], v[147:148], -v[153:154]
	ds_read_b128 v[5:8], v198 offset:1152
	v_fma_f64 v[147:148], v[3:4], v[147:148], v[213:214]
	v_add_f64 v[149:150], v[199:200], v[149:150]
	v_add_f64 v[141:142], v[141:142], v[155:156]
	s_clause 0x2
	buffer_load_dword v204, off, s[0:3], 0 offset:380
	buffer_load_dword v156, off, s[0:3], 0 offset:356
	;; [unrolled: 1-line block ×3, first 2 shown]
	s_waitcnt vmcnt(58) lgkmcnt(0)
	v_mul_f64 v[199:200], v[5:6], v[163:164]
	v_mul_f64 v[163:164], v[7:8], v[163:164]
	s_waitcnt vmcnt(56)
	v_fma_f64 v[157:158], v[137:138], v[165:166], -v[157:158]
	ds_read_b128 v[1:4], v198 offset:1168
	v_add_f64 v[149:150], v[149:150], v[153:154]
	v_fma_f64 v[153:154], v[139:140], v[165:166], v[219:220]
	v_add_f64 v[141:142], v[141:142], v[147:148]
	s_clause 0x4
	buffer_load_dword v148, off, s[0:3], 0 offset:396
	buffer_load_dword v165, off, s[0:3], 0 offset:408
	;; [unrolled: 1-line block ×5, first 2 shown]
	s_waitcnt vmcnt(57) lgkmcnt(0)
	v_mul_f64 v[214:215], v[1:2], v[167:168]
	v_mul_f64 v[167:168], v[3:4], v[167:168]
	s_waitcnt vmcnt(56)
	v_fma_f64 v[163:164], v[5:6], v[151:152], -v[163:164]
	ds_read_b128 v[137:140], v198 offset:1184
	v_fma_f64 v[151:152], v[7:8], v[151:152], v[199:200]
	v_add_f64 v[149:150], v[149:150], v[157:158]
	v_add_f64 v[141:142], v[141:142], v[153:154]
	s_clause 0x2
	buffer_load_dword v166, off, s[0:3], 0 offset:412
	buffer_load_dword v154, off, s[0:3], 0 offset:388
	;; [unrolled: 1-line block ×3, first 2 shown]
	ds_read_b128 v[5:8], v198 offset:1200
	s_waitcnt vmcnt(58) lgkmcnt(1)
	v_mul_f64 v[157:158], v[137:138], v[171:172]
	v_mul_f64 v[171:172], v[139:140], v[171:172]
	s_waitcnt vmcnt(56)
	v_fma_f64 v[167:168], v[1:2], v[173:174], -v[167:168]
	v_add_f64 v[149:150], v[149:150], v[163:164]
	v_fma_f64 v[163:164], v[3:4], v[173:174], v[214:215]
	v_add_f64 v[141:142], v[141:142], v[151:152]
	s_clause 0x4
	buffer_load_dword v152, off, s[0:3], 0 offset:428
	buffer_load_dword v173, off, s[0:3], 0 offset:440
	;; [unrolled: 1-line block ×5, first 2 shown]
	s_waitcnt vmcnt(57) lgkmcnt(0)
	v_mul_f64 v[220:221], v[5:6], v[175:176]
	v_mul_f64 v[175:176], v[7:8], v[175:176]
	s_waitcnt vmcnt(56)
	v_fma_f64 v[171:172], v[137:138], v[159:160], -v[171:172]
	ds_read_b128 v[1:4], v198 offset:1216
	v_fma_f64 v[157:158], v[139:140], v[159:160], v[157:158]
	s_clause 0x2
	buffer_load_dword v174, off, s[0:3], 0 offset:444
	buffer_load_dword v160, off, s[0:3], 0 offset:420
	;; [unrolled: 1-line block ×3, first 2 shown]
	ds_read_b128 v[137:140], v198 offset:1232
	v_add_f64 v[149:150], v[149:150], v[167:168]
	v_add_f64 v[141:142], v[141:142], v[163:164]
	s_waitcnt vmcnt(58) lgkmcnt(1)
	v_mul_f64 v[167:168], v[3:4], v[179:180]
	s_waitcnt vmcnt(56)
	v_fma_f64 v[175:176], v[5:6], v[181:182], -v[175:176]
	v_mul_f64 v[163:164], v[1:2], v[179:180]
	v_add_f64 v[149:150], v[149:150], v[171:172]
	v_fma_f64 v[171:172], v[7:8], v[181:182], v[220:221]
	v_add_f64 v[141:142], v[141:142], v[157:158]
	s_clause 0x4
	buffer_load_dword v158, off, s[0:3], 0 offset:460
	buffer_load_dword v179, off, s[0:3], 0 offset:472
	;; [unrolled: 1-line block ×5, first 2 shown]
	s_waitcnt vmcnt(57) lgkmcnt(0)
	v_mul_f64 v[220:221], v[137:138], v[183:184]
	v_mul_f64 v[182:183], v[139:140], v[183:184]
	s_waitcnt vmcnt(56)
	v_fma_f64 v[167:168], v[1:2], v[169:170], -v[167:168]
	ds_read_b128 v[5:8], v198 offset:1248
	v_fma_f64 v[163:164], v[3:4], v[169:170], v[163:164]
	s_clause 0x2
	buffer_load_dword v180, off, s[0:3], 0 offset:476
	buffer_load_dword v170, off, s[0:3], 0 offset:452
	buffer_load_dword v169, off, s[0:3], 0 offset:448
	ds_read_b128 v[1:4], v198 offset:1264
	v_add_f64 v[149:150], v[149:150], v[175:176]
	v_add_f64 v[141:142], v[141:142], v[171:172]
	s_waitcnt vmcnt(58) lgkmcnt(1)
	v_mul_f64 v[175:176], v[7:8], v[187:188]
	s_waitcnt vmcnt(56)
	v_fma_f64 v[183:184], v[137:138], v[189:190], -v[182:183]
	v_mul_f64 v[171:172], v[5:6], v[187:188]
	v_add_f64 v[149:150], v[149:150], v[167:168]
	v_fma_f64 v[167:168], v[139:140], v[189:190], v[220:221]
	v_add_f64 v[141:142], v[141:142], v[163:164]
	s_clause 0x4
	buffer_load_dword v164, off, s[0:3], 0 offset:492
	buffer_load_dword v187, off, s[0:3], 0 offset:504
	;; [unrolled: 1-line block ×5, first 2 shown]
	s_waitcnt vmcnt(57) lgkmcnt(0)
	v_mul_f64 v[220:221], v[1:2], v[191:192]
	v_mul_f64 v[190:191], v[3:4], v[191:192]
	s_waitcnt vmcnt(56)
	v_fma_f64 v[175:176], v[5:6], v[177:178], -v[175:176]
	ds_read_b128 v[137:140], v198 offset:1280
	v_fma_f64 v[171:172], v[7:8], v[177:178], v[171:172]
	v_add_f64 v[149:150], v[149:150], v[183:184]
	v_add_f64 v[141:142], v[141:142], v[167:168]
	s_clause 0x2
	buffer_load_dword v188, off, s[0:3], 0 offset:508
	buffer_load_dword v168, off, s[0:3], 0 offset:484
	;; [unrolled: 1-line block ×3, first 2 shown]
	ds_read_b128 v[5:8], v198 offset:1296
	s_waitcnt vmcnt(58) lgkmcnt(1)
	v_mul_f64 v[183:184], v[139:140], v[193:194]
	s_waitcnt vmcnt(56)
	v_fma_f64 v[191:192], v[1:2], v[195:196], -v[190:191]
	v_mul_f64 v[177:178], v[137:138], v[193:194]
	v_add_f64 v[149:150], v[149:150], v[175:176]
	v_fma_f64 v[175:176], v[3:4], v[195:196], v[220:221]
	v_add_f64 v[141:142], v[141:142], v[171:172]
	s_clause 0x4
	buffer_load_dword v172, off, s[0:3], 0 offset:524
	buffer_load_dword v193, off, s[0:3], 0 offset:536
	;; [unrolled: 1-line block ×5, first 2 shown]
	s_waitcnt vmcnt(57) lgkmcnt(0)
	v_mul_f64 v[220:221], v[5:6], v[205:206]
	v_mul_f64 v[205:206], v[7:8], v[205:206]
	s_waitcnt vmcnt(56)
	v_fma_f64 v[183:184], v[137:138], v[185:186], -v[183:184]
	ds_read_b128 v[1:4], v198 offset:1312
	v_fma_f64 v[177:178], v[139:140], v[185:186], v[177:178]
	v_add_f64 v[149:150], v[149:150], v[191:192]
	v_add_f64 v[141:142], v[141:142], v[175:176]
	s_clause 0x2
	buffer_load_dword v194, off, s[0:3], 0 offset:540
	buffer_load_dword v176, off, s[0:3], 0 offset:516
	;; [unrolled: 1-line block ×3, first 2 shown]
	ds_read_b128 v[137:140], v198 offset:1328
	s_waitcnt vmcnt(58) lgkmcnt(1)
	v_mul_f64 v[191:192], v[3:4], v[207:208]
	v_mul_f64 v[185:186], v[1:2], v[207:208]
	s_waitcnt vmcnt(56)
	v_fma_f64 v[205:206], v[5:6], v[145:146], -v[205:206]
	v_fma_f64 v[145:146], v[7:8], v[145:146], v[220:221]
	v_add_f64 v[149:150], v[149:150], v[183:184]
	v_add_f64 v[141:142], v[141:142], v[177:178]
	s_clause 0x4
	buffer_load_dword v178, off, s[0:3], 0 offset:556
	buffer_load_dword v183, off, s[0:3], 0 offset:568
	;; [unrolled: 1-line block ×5, first 2 shown]
	ds_read_b128 v[5:8], v198 offset:1344
	s_waitcnt vmcnt(57) lgkmcnt(1)
	v_mul_f64 v[220:221], v[137:138], v[143:144]
	v_mul_f64 v[143:144], v[139:140], v[143:144]
	s_waitcnt vmcnt(56)
	v_fma_f64 v[191:192], v[1:2], v[209:210], -v[191:192]
	v_fma_f64 v[185:186], v[3:4], v[209:210], v[185:186]
	v_add_f64 v[149:150], v[149:150], v[205:206]
	v_add_f64 v[141:142], v[141:142], v[145:146]
	s_clause 0x2
	buffer_load_dword v184, off, s[0:3], 0 offset:572
	buffer_load_dword v146, off, s[0:3], 0 offset:548
	;; [unrolled: 1-line block ×3, first 2 shown]
	s_waitcnt vmcnt(58) lgkmcnt(0)
	v_mul_f64 v[209:210], v[7:8], v[211:212]
	ds_read_b128 v[1:4], v198 offset:1360
	v_mul_f64 v[205:206], v[5:6], v[211:212]
	s_waitcnt vmcnt(56)
	v_fma_f64 v[143:144], v[137:138], v[201:202], -v[143:144]
	v_add_f64 v[149:150], v[149:150], v[191:192]
	v_fma_f64 v[191:192], v[139:140], v[201:202], v[220:221]
	v_add_f64 v[141:142], v[141:142], v[185:186]
	s_clause 0x4
	buffer_load_dword v186, off, s[0:3], 0 offset:588
	buffer_load_dword v201, off, s[0:3], 0 offset:600
	;; [unrolled: 1-line block ×5, first 2 shown]
	ds_read_b128 v[137:140], v198 offset:1376
	s_waitcnt vmcnt(57) lgkmcnt(1)
	v_mul_f64 v[220:221], v[1:2], v[161:162]
	v_mul_f64 v[161:162], v[3:4], v[161:162]
	s_waitcnt vmcnt(56)
	v_fma_f64 v[209:210], v[5:6], v[216:217], -v[209:210]
	v_add_f64 v[143:144], v[149:150], v[143:144]
	v_fma_f64 v[149:150], v[7:8], v[216:217], v[205:206]
	v_add_f64 v[141:142], v[141:142], v[191:192]
	s_clause 0x2
	buffer_load_dword v202, off, s[0:3], 0 offset:604
	buffer_load_dword v192, off, s[0:3], 0 offset:580
	;; [unrolled: 1-line block ×3, first 2 shown]
	ds_read_b128 v[5:8], v198 offset:1392
	s_waitcnt vmcnt(58) lgkmcnt(1)
	v_mul_f64 v[205:206], v[137:138], v[203:204]
	v_mul_f64 v[203:204], v[139:140], v[203:204]
	s_waitcnt vmcnt(56)
	v_fma_f64 v[161:162], v[1:2], v[155:156], -v[161:162]
	v_fma_f64 v[155:156], v[3:4], v[155:156], v[220:221]
	v_add_f64 v[143:144], v[143:144], v[209:210]
	v_add_f64 v[141:142], v[141:142], v[149:150]
	s_clause 0x4
	buffer_load_dword v150, off, s[0:3], 0 offset:620
	buffer_load_dword v209, off, s[0:3], 0 offset:632
	;; [unrolled: 1-line block ×5, first 2 shown]
	ds_read_b128 v[1:4], v198 offset:1408
	s_waitcnt vmcnt(57) lgkmcnt(1)
	v_mul_f64 v[216:217], v[5:6], v[147:148]
	v_mul_f64 v[147:148], v[7:8], v[147:148]
	s_waitcnt vmcnt(56)
	v_fma_f64 v[203:204], v[137:138], v[218:219], -v[203:204]
	v_add_f64 v[143:144], v[143:144], v[161:162]
	v_fma_f64 v[161:162], v[139:140], v[218:219], v[205:206]
	v_add_f64 v[141:142], v[141:142], v[155:156]
	s_clause 0x2
	buffer_load_dword v210, off, s[0:3], 0 offset:636
	buffer_load_dword v156, off, s[0:3], 0 offset:612
	;; [unrolled: 1-line block ×3, first 2 shown]
	ds_read_b128 v[137:140], v198 offset:1424
	s_waitcnt vmcnt(58) lgkmcnt(1)
	v_mul_f64 v[205:206], v[1:2], v[165:166]
	v_mul_f64 v[165:166], v[3:4], v[165:166]
	s_waitcnt vmcnt(56)
	v_fma_f64 v[147:148], v[5:6], v[153:154], -v[147:148]
	v_fma_f64 v[153:154], v[7:8], v[153:154], v[216:217]
	v_add_f64 v[143:144], v[143:144], v[203:204]
	v_add_f64 v[141:142], v[141:142], v[161:162]
	s_clause 0x4
	buffer_load_dword v162, off, s[0:3], 0 offset:652
	buffer_load_dword v203, off, s[0:3], 0 offset:664
	;; [unrolled: 1-line block ×5, first 2 shown]
	ds_read_b128 v[5:8], v198 offset:1440
	s_waitcnt vmcnt(57) lgkmcnt(1)
	v_mul_f64 v[218:219], v[137:138], v[151:152]
	v_mul_f64 v[151:152], v[139:140], v[151:152]
	s_waitcnt vmcnt(56)
	v_fma_f64 v[165:166], v[1:2], v[213:214], -v[165:166]
	v_add_f64 v[143:144], v[143:144], v[147:148]
	v_fma_f64 v[147:148], v[3:4], v[213:214], v[205:206]
	v_add_f64 v[141:142], v[141:142], v[153:154]
	s_clause 0x2
	buffer_load_dword v204, off, s[0:3], 0 offset:668
	buffer_load_dword v154, off, s[0:3], 0 offset:644
	;; [unrolled: 1-line block ×3, first 2 shown]
	s_waitcnt vmcnt(58) lgkmcnt(0)
	v_mul_f64 v[205:206], v[5:6], v[173:174]
	v_mul_f64 v[173:174], v[7:8], v[173:174]
	ds_read_b128 v[1:4], v198 offset:1456
	s_waitcnt vmcnt(56)
	v_fma_f64 v[151:152], v[137:138], v[159:160], -v[151:152]
	v_fma_f64 v[159:160], v[139:140], v[159:160], v[218:219]
	v_add_f64 v[143:144], v[143:144], v[165:166]
	v_add_f64 v[141:142], v[141:142], v[147:148]
	s_clause 0x4
	buffer_load_dword v148, off, s[0:3], 0 offset:684
	buffer_load_dword v165, off, s[0:3], 0 offset:696
	;; [unrolled: 1-line block ×5, first 2 shown]
	ds_read_b128 v[137:140], v198 offset:1472
	s_waitcnt vmcnt(57) lgkmcnt(1)
	v_mul_f64 v[219:220], v[1:2], v[157:158]
	v_mul_f64 v[157:158], v[3:4], v[157:158]
	s_waitcnt vmcnt(56)
	v_fma_f64 v[173:174], v[5:6], v[199:200], -v[173:174]
	v_add_f64 v[143:144], v[143:144], v[151:152]
	v_fma_f64 v[151:152], v[7:8], v[199:200], v[205:206]
	v_add_f64 v[141:142], v[141:142], v[159:160]
	s_clause 0x2
	buffer_load_dword v166, off, s[0:3], 0 offset:700
	buffer_load_dword v160, off, s[0:3], 0 offset:676
	;; [unrolled: 1-line block ×3, first 2 shown]
	s_waitcnt vmcnt(58) lgkmcnt(0)
	v_mul_f64 v[199:200], v[137:138], v[179:180]
	v_mul_f64 v[179:180], v[139:140], v[179:180]
	ds_read_b128 v[5:8], v198 offset:1488
	s_waitcnt vmcnt(56)
	v_fma_f64 v[157:158], v[1:2], v[169:170], -v[157:158]
	v_fma_f64 v[169:170], v[3:4], v[169:170], v[219:220]
	v_add_f64 v[143:144], v[143:144], v[173:174]
	v_add_f64 v[141:142], v[141:142], v[151:152]
	s_clause 0x4
	buffer_load_dword v152, off, s[0:3], 0 offset:716
	buffer_load_dword v173, off, s[0:3], 0 offset:728
	buffer_load_dword v205, off, s[0:3], 0 offset:720
	buffer_load_dword v151, off, s[0:3], 0 offset:712
	buffer_load_dword v214, off, s[0:3], 0 offset:692
	ds_read_b128 v[1:4], v198 offset:1504
	s_waitcnt vmcnt(57) lgkmcnt(1)
	v_mul_f64 v[219:220], v[5:6], v[163:164]
	v_mul_f64 v[163:164], v[7:8], v[163:164]
	s_waitcnt vmcnt(56)
	v_fma_f64 v[179:180], v[137:138], v[181:182], -v[179:180]
	v_add_f64 v[143:144], v[143:144], v[157:158]
	v_fma_f64 v[157:158], v[139:140], v[181:182], v[199:200]
	v_add_f64 v[141:142], v[141:142], v[169:170]
	s_clause 0x2
	buffer_load_dword v174, off, s[0:3], 0 offset:732
	buffer_load_dword v170, off, s[0:3], 0 offset:708
	buffer_load_dword v169, off, s[0:3], 0 offset:704
	ds_read_b128 v[137:140], v198 offset:1520
	s_waitcnt vmcnt(58) lgkmcnt(1)
	v_mul_f64 v[181:182], v[1:2], v[187:188]
	v_mul_f64 v[187:188], v[3:4], v[187:188]
	s_waitcnt vmcnt(56)
	v_fma_f64 v[163:164], v[5:6], v[167:168], -v[163:164]
	v_fma_f64 v[167:168], v[7:8], v[167:168], v[219:220]
	v_add_f64 v[143:144], v[143:144], v[179:180]
	v_add_f64 v[141:142], v[141:142], v[157:158]
	s_clause 0x4
	buffer_load_dword v158, off, s[0:3], 0 offset:748
	buffer_load_dword v179, off, s[0:3], 0 offset:760
	buffer_load_dword v199, off, s[0:3], 0 offset:752
	buffer_load_dword v157, off, s[0:3], 0 offset:744
	buffer_load_dword v206, off, s[0:3], 0 offset:724
	ds_read_b128 v[5:8], v198 offset:1536
	s_waitcnt vmcnt(57) lgkmcnt(1)
	v_mul_f64 v[219:220], v[137:138], v[171:172]
	v_mul_f64 v[171:172], v[139:140], v[171:172]
	s_waitcnt vmcnt(56)
	v_fma_f64 v[187:188], v[1:2], v[189:190], -v[187:188]
	v_add_f64 v[143:144], v[143:144], v[163:164]
	v_fma_f64 v[163:164], v[3:4], v[189:190], v[181:182]
	v_add_f64 v[141:142], v[141:142], v[167:168]
	s_clause 0x2
	buffer_load_dword v180, off, s[0:3], 0 offset:764
	buffer_load_dword v168, off, s[0:3], 0 offset:740
	buffer_load_dword v167, off, s[0:3], 0 offset:736
	ds_read_b128 v[1:4], v198 offset:1552
	s_waitcnt vmcnt(58) lgkmcnt(1)
	v_mul_f64 v[189:190], v[7:8], v[193:194]
	v_mul_f64 v[181:182], v[5:6], v[193:194]
	;; [unrolled: 28-line block ×4, first 2 shown]
	s_waitcnt vmcnt(56)
	v_fma_f64 v[185:186], v[5:6], v[191:192], -v[185:186]
	v_add_f64 v[143:144], v[143:144], v[183:184]
	v_fma_f64 v[183:184], v[7:8], v[191:192], v[219:220]
	v_add_f64 v[141:142], v[141:142], v[177:178]
	s_clause 0x4
	buffer_load_dword v178, off, s[0:3], 0 offset:844
	buffer_load_dword v191, off, s[0:3], 0 offset:856
	;; [unrolled: 1-line block ×5, first 2 shown]
	ds_read_b128 v[5:8], v198 offset:1632
	s_waitcnt vmcnt(57) lgkmcnt(1)
	v_mul_f64 v[219:220], v[137:138], v[149:150]
	v_mul_f64 v[149:150], v[139:140], v[149:150]
	s_waitcnt vmcnt(56)
	v_fma_f64 v[201:202], v[1:2], v[211:212], -v[201:202]
	v_fma_f64 v[181:182], v[3:4], v[211:212], v[181:182]
	v_add_f64 v[143:144], v[143:144], v[185:186]
	v_add_f64 v[141:142], v[141:142], v[183:184]
	s_clause 0x2
	buffer_load_dword v192, off, s[0:3], 0 offset:860
	buffer_load_dword v184, off, s[0:3], 0 offset:836
	buffer_load_dword v183, off, s[0:3], 0 offset:832
	ds_read_b128 v[1:4], v198 offset:1648
	s_waitcnt vmcnt(58) lgkmcnt(1)
	v_mul_f64 v[185:186], v[5:6], v[209:210]
	v_mul_f64 v[209:210], v[7:8], v[209:210]
	s_waitcnt vmcnt(56)
	v_fma_f64 v[149:150], v[137:138], v[155:156], -v[149:150]
	v_fma_f64 v[155:156], v[139:140], v[155:156], v[219:220]
	v_add_f64 v[143:144], v[143:144], v[201:202]
	v_add_f64 v[141:142], v[141:142], v[181:182]
	s_clause 0x4
	buffer_load_dword v182, off, s[0:3], 0 offset:876
	buffer_load_dword v201, off, s[0:3], 0 offset:888
	buffer_load_dword v211, off, s[0:3], 0 offset:880
	buffer_load_dword v181, off, s[0:3], 0 offset:872
	buffer_load_dword v208, off, s[0:3], 0 offset:852
	ds_read_b128 v[137:140], v198 offset:1664
	s_waitcnt vmcnt(57) lgkmcnt(1)
	v_mul_f64 v[219:220], v[1:2], v[161:162]
	v_mul_f64 v[161:162], v[3:4], v[161:162]
	s_waitcnt vmcnt(56)
	v_fma_f64 v[209:210], v[5:6], v[215:216], -v[209:210]
	v_add_f64 v[143:144], v[143:144], v[149:150]
	v_fma_f64 v[149:150], v[7:8], v[215:216], v[185:186]
	v_add_f64 v[141:142], v[141:142], v[155:156]
	s_clause 0x2
	buffer_load_dword v202, off, s[0:3], 0 offset:892
	buffer_load_dword v156, off, s[0:3], 0 offset:868
	buffer_load_dword v155, off, s[0:3], 0 offset:864
	ds_read_b128 v[5:8], v198 offset:1680
	s_waitcnt vmcnt(58) lgkmcnt(1)
	v_mul_f64 v[185:186], v[137:138], v[203:204]
	v_mul_f64 v[203:204], v[139:140], v[203:204]
	s_waitcnt vmcnt(56)
	v_fma_f64 v[161:162], v[1:2], v[153:154], -v[161:162]
	v_fma_f64 v[153:154], v[3:4], v[153:154], v[219:220]
	v_add_f64 v[143:144], v[143:144], v[209:210]
	v_add_f64 v[141:142], v[141:142], v[149:150]
	s_clause 0x4
	buffer_load_dword v150, off, s[0:3], 0 offset:908
	buffer_load_dword v209, off, s[0:3], 0 offset:920
	buffer_load_dword v215, off, s[0:3], 0 offset:912
	buffer_load_dword v149, off, s[0:3], 0 offset:904
	buffer_load_dword v212, off, s[0:3], 0 offset:884
	ds_read_b128 v[1:4], v198 offset:1696
	s_waitcnt vmcnt(57) lgkmcnt(1)
	v_mul_f64 v[219:220], v[5:6], v[147:148]
	v_mul_f64 v[147:148], v[7:8], v[147:148]
	s_waitcnt vmcnt(56)
	v_fma_f64 v[203:204], v[137:138], v[217:218], -v[203:204]
	v_add_f64 v[143:144], v[143:144], v[161:162]
	v_fma_f64 v[161:162], v[139:140], v[217:218], v[185:186]
	;; [unrolled: 28-line block ×3, first 2 shown]
	v_add_f64 v[141:142], v[141:142], v[159:160]
	s_clause 0x2
	buffer_load_dword v204, off, s[0:3], 0 offset:956
	buffer_load_dword v160, off, s[0:3], 0 offset:932
	;; [unrolled: 1-line block ×3, first 2 shown]
	ds_read_b128 v[1:4], v198 offset:1744
	s_waitcnt vmcnt(58) lgkmcnt(1)
	v_mul_f64 v[185:186], v[5:6], v[173:174]
	v_mul_f64 v[173:174], v[7:8], v[173:174]
	s_waitcnt vmcnt(56)
	v_fma_f64 v[151:152], v[137:138], v[169:170], -v[151:152]
	v_add_f64 v[143:144], v[143:144], v[165:166]
	v_fma_f64 v[165:166], v[139:140], v[169:170], v[218:219]
	v_add_f64 v[141:142], v[141:142], v[147:148]
	s_clause 0x4
	buffer_load_dword v148, off, s[0:3], 0 offset:972
	buffer_load_dword v169, off, s[0:3], 0 offset:984
	;; [unrolled: 1-line block ×5, first 2 shown]
	ds_read_b128 v[137:140], v198 offset:1760
	s_waitcnt vmcnt(57) lgkmcnt(1)
	v_mul_f64 v[219:220], v[1:2], v[157:158]
	v_mul_f64 v[157:158], v[3:4], v[157:158]
	s_waitcnt vmcnt(56)
	v_fma_f64 v[173:174], v[5:6], v[205:206], -v[173:174]
	v_add_f64 v[143:144], v[143:144], v[151:152]
	v_fma_f64 v[151:152], v[7:8], v[205:206], v[185:186]
	v_add_f64 v[141:142], v[141:142], v[165:166]
	s_clause 0x2
	buffer_load_dword v170, off, s[0:3], 0 offset:988
	buffer_load_dword v166, off, s[0:3], 0 offset:964
	;; [unrolled: 1-line block ×3, first 2 shown]
	ds_read_b128 v[5:8], v198 offset:1776
	s_waitcnt vmcnt(58) lgkmcnt(1)
	v_mul_f64 v[185:186], v[137:138], v[179:180]
	v_mul_f64 v[179:180], v[139:140], v[179:180]
	s_waitcnt vmcnt(56)
	v_fma_f64 v[157:158], v[1:2], v[167:168], -v[157:158]
	v_fma_f64 v[167:168], v[3:4], v[167:168], v[219:220]
	v_add_f64 v[143:144], v[143:144], v[173:174]
	v_add_f64 v[141:142], v[141:142], v[151:152]
	s_clause 0x4
	buffer_load_dword v152, off, s[0:3], 0 offset:1004
	buffer_load_dword v173, off, s[0:3], 0 offset:1016
	;; [unrolled: 1-line block ×5, first 2 shown]
	ds_read_b128 v[1:4], v198 offset:1792
	s_waitcnt vmcnt(57) lgkmcnt(1)
	v_mul_f64 v[219:220], v[5:6], v[163:164]
	v_mul_f64 v[163:164], v[7:8], v[163:164]
	s_waitcnt vmcnt(56)
	v_fma_f64 v[179:180], v[137:138], v[199:200], -v[179:180]
	v_add_f64 v[143:144], v[143:144], v[157:158]
	v_fma_f64 v[157:158], v[139:140], v[199:200], v[185:186]
	v_add_f64 v[141:142], v[141:142], v[167:168]
	s_clause 0x2
	buffer_load_dword v174, off, s[0:3], 0 offset:1020
	buffer_load_dword v168, off, s[0:3], 0 offset:996
	;; [unrolled: 1-line block ×3, first 2 shown]
	ds_read_b128 v[137:140], v198 offset:1808
	s_waitcnt vmcnt(58) lgkmcnt(1)
	v_mul_f64 v[185:186], v[1:2], v[187:188]
	v_mul_f64 v[187:188], v[3:4], v[187:188]
	s_waitcnt vmcnt(56)
	v_fma_f64 v[163:164], v[5:6], v[175:176], -v[163:164]
	v_fma_f64 v[175:176], v[7:8], v[175:176], v[219:220]
	v_add_f64 v[143:144], v[143:144], v[179:180]
	v_add_f64 v[141:142], v[141:142], v[157:158]
	s_clause 0x2
	buffer_load_dword v158, off, s[0:3], 0 offset:1036
	buffer_load_dword v157, off, s[0:3], 0 offset:1032
	;; [unrolled: 1-line block ×3, first 2 shown]
	ds_read_b128 v[5:8], v198 offset:1824
	s_waitcnt vmcnt(55) lgkmcnt(1)
	v_mul_f64 v[179:180], v[137:138], v[171:172]
	v_mul_f64 v[171:172], v[139:140], v[171:172]
	s_waitcnt vmcnt(54)
	v_fma_f64 v[187:188], v[1:2], v[193:194], -v[187:188]
	v_add_f64 v[143:144], v[143:144], v[163:164]
	v_fma_f64 v[163:164], v[3:4], v[193:194], v[185:186]
	v_add_f64 v[141:142], v[141:142], v[175:176]
	s_clause 0x1
	buffer_load_dword v176, off, s[0:3], 0 offset:1028
	buffer_load_dword v175, off, s[0:3], 0 offset:1024
	ds_read_b128 v[1:4], v198 offset:1840
	s_waitcnt vmcnt(55) lgkmcnt(1)
	v_mul_f64 v[185:186], v[5:6], v[189:190]
	v_mul_f64 v[189:190], v[7:8], v[189:190]
	s_waitcnt vmcnt(53)
	v_fma_f64 v[171:172], v[137:138], v[145:146], -v[171:172]
	v_fma_f64 v[145:146], v[139:140], v[145:146], v[179:180]
	ds_read_b128 v[137:140], v198 offset:1856
	v_add_f64 v[143:144], v[143:144], v[187:188]
	v_add_f64 v[141:142], v[141:142], v[163:164]
	s_waitcnt vmcnt(49) lgkmcnt(1)
	v_mul_f64 v[163:164], v[1:2], v[177:178]
	v_mul_f64 v[177:178], v[3:4], v[177:178]
	s_waitcnt vmcnt(48)
	v_fma_f64 v[179:180], v[5:6], v[195:196], -v[189:190]
	v_add_f64 v[143:144], v[143:144], v[171:172]
	v_fma_f64 v[171:172], v[7:8], v[195:196], v[185:186]
	v_add_f64 v[141:142], v[141:142], v[145:146]
	s_clause 0x3
	buffer_load_dword v145, off, s[0:3], 0 offset:32
	buffer_load_dword v146, off, s[0:3], 0 offset:36
	;; [unrolled: 1-line block ×4, first 2 shown]
	ds_read_b128 v[5:8], v198 offset:1872
	s_waitcnt vmcnt(51) lgkmcnt(1)
	v_mul_f64 v[189:190], v[139:140], v[191:192]
	v_mul_f64 v[187:188], v[137:138], v[191:192]
	s_waitcnt vmcnt(49)
	v_fma_f64 v[177:178], v[1:2], v[183:184], -v[177:178]
	v_fma_f64 v[163:164], v[3:4], v[183:184], v[163:164]
	ds_read_b128 v[1:4], v198 offset:1888
	v_add_f64 v[143:144], v[143:144], v[179:180]
	v_add_f64 v[141:142], v[141:142], v[171:172]
	s_waitcnt vmcnt(45) lgkmcnt(1)
	v_mul_f64 v[171:172], v[5:6], v[181:182]
	v_mul_f64 v[179:180], v[7:8], v[181:182]
	s_waitcnt vmcnt(44)
	v_fma_f64 v[181:182], v[137:138], v[207:208], -v[189:190]
	v_add_f64 v[143:144], v[143:144], v[177:178]
	v_fma_f64 v[177:178], v[139:140], v[207:208], v[187:188]
	v_add_f64 v[141:142], v[141:142], v[163:164]
	ds_read_b128 v[137:140], v198 offset:1904
	s_waitcnt vmcnt(43) lgkmcnt(1)
	v_mul_f64 v[183:184], v[3:4], v[201:202]
	v_mul_f64 v[163:164], v[1:2], v[201:202]
	s_waitcnt vmcnt(41)
	v_fma_f64 v[179:180], v[5:6], v[155:156], -v[179:180]
	v_fma_f64 v[155:156], v[7:8], v[155:156], v[171:172]
	ds_read_b128 v[5:8], v198 offset:1920
	v_add_f64 v[143:144], v[143:144], v[181:182]
	v_add_f64 v[141:142], v[141:142], v[177:178]
	s_waitcnt vmcnt(37) lgkmcnt(1)
	v_mul_f64 v[171:172], v[137:138], v[149:150]
	v_mul_f64 v[149:150], v[139:140], v[149:150]
	s_waitcnt vmcnt(36)
	v_fma_f64 v[177:178], v[1:2], v[211:212], -v[183:184]
	v_fma_f64 v[163:164], v[3:4], v[211:212], v[163:164]
	ds_read_b128 v[1:4], v198 offset:1936
	v_add_f64 v[143:144], v[143:144], v[179:180]
	v_add_f64 v[141:142], v[141:142], v[155:156]
	;; [unrolled: 9-line block ×3, first 2 shown]
	s_waitcnt vmcnt(29) lgkmcnt(1)
	v_mul_f64 v[163:164], v[1:2], v[161:162]
	v_mul_f64 v[161:162], v[3:4], v[161:162]
	s_waitcnt vmcnt(28)
	v_fma_f64 v[171:172], v[5:6], v[215:216], -v[179:180]
	v_add_f64 v[143:144], v[143:144], v[149:150]
	v_fma_f64 v[149:150], v[7:8], v[215:216], v[155:156]
	v_add_f64 v[141:142], v[141:142], v[153:154]
	ds_read_b128 v[5:8], v198 offset:1968
	s_waitcnt vmcnt(27) lgkmcnt(1)
	v_mul_f64 v[155:156], v[139:140], v[203:204]
	v_mul_f64 v[153:154], v[137:138], v[203:204]
	s_waitcnt vmcnt(25)
	v_fma_f64 v[161:162], v[1:2], v[159:160], -v[161:162]
	v_fma_f64 v[159:160], v[3:4], v[159:160], v[163:164]
	ds_read_b128 v[1:4], v198 offset:1984
	v_add_f64 v[143:144], v[143:144], v[171:172]
	v_add_f64 v[141:142], v[141:142], v[149:150]
	s_waitcnt vmcnt(21) lgkmcnt(1)
	v_mul_f64 v[149:150], v[5:6], v[147:148]
	v_mul_f64 v[147:148], v[7:8], v[147:148]
	s_waitcnt vmcnt(20)
	v_fma_f64 v[155:156], v[137:138], v[217:218], -v[155:156]
	v_fma_f64 v[153:154], v[139:140], v[217:218], v[153:154]
	ds_read_b128 v[137:140], v198 offset:2000
	v_add_f64 v[143:144], v[143:144], v[161:162]
	v_add_f64 v[141:142], v[141:142], v[159:160]
	;; [unrolled: 9-line block ×3, first 2 shown]
	s_waitcnt vmcnt(13) lgkmcnt(1)
	v_mul_f64 v[153:154], v[137:138], v[151:152]
	v_mul_f64 v[151:152], v[139:140], v[151:152]
	s_waitcnt vmcnt(12)
	v_fma_f64 v[155:156], v[1:2], v[213:214], -v[161:162]
	v_add_f64 v[143:144], v[143:144], v[147:148]
	v_fma_f64 v[147:148], v[3:4], v[213:214], v[159:160]
	v_add_f64 v[141:142], v[141:142], v[149:150]
	ds_read_b128 v[1:4], v198 offset:2032
	s_waitcnt vmcnt(11) lgkmcnt(1)
	v_mul_f64 v[159:160], v[7:8], v[173:174]
	v_mul_f64 v[149:150], v[5:6], v[173:174]
	s_waitcnt vmcnt(9)
	v_fma_f64 v[137:138], v[137:138], v[167:168], -v[151:152]
	v_fma_f64 v[139:140], v[139:140], v[167:168], v[153:154]
	v_add_f64 v[143:144], v[143:144], v[155:156]
	v_add_f64 v[141:142], v[141:142], v[147:148]
	s_waitcnt vmcnt(7) lgkmcnt(0)
	v_mul_f64 v[151:152], v[3:4], v[157:158]
	s_waitcnt vmcnt(6)
	v_fma_f64 v[5:6], v[5:6], v[205:206], -v[159:160]
	v_mul_f64 v[147:148], v[1:2], v[157:158]
	v_fma_f64 v[7:8], v[7:8], v[205:206], v[149:150]
	v_add_f64 v[137:138], v[143:144], v[137:138]
	v_add_f64 v[139:140], v[141:142], v[139:140]
	s_waitcnt vmcnt(4)
	v_fma_f64 v[1:2], v[1:2], v[175:176], -v[151:152]
	v_fma_f64 v[3:4], v[3:4], v[175:176], v[147:148]
	v_add_f64 v[5:6], v[137:138], v[5:6]
	v_add_f64 v[7:8], v[139:140], v[7:8]
	;; [unrolled: 1-line block ×4, first 2 shown]
	s_waitcnt vmcnt(2)
	v_add_f64 v[1:2], v[145:146], -v[1:2]
	s_waitcnt vmcnt(0)
	v_add_f64 v[3:4], v[185:186], -v[3:4]
	buffer_store_dword v2, off, s[0:3], 0 offset:36
	buffer_store_dword v1, off, s[0:3], 0 offset:32
	;; [unrolled: 1-line block ×4, first 2 shown]
	v_cmpx_ne_u32_e32 0, v0
	s_cbranch_execz .LBB127_409
; %bb.408:
	s_clause 0x3
	buffer_load_dword v0, off, s[0:3], 0 offset:16
	buffer_load_dword v1, off, s[0:3], 0 offset:20
	;; [unrolled: 1-line block ×4, first 2 shown]
	v_mov_b32_e32 v4, 0
	buffer_store_dword v4, off, s[0:3], 0 offset:16
	buffer_store_dword v4, off, s[0:3], 0 offset:20
	;; [unrolled: 1-line block ×4, first 2 shown]
	s_waitcnt vmcnt(0)
	ds_write_b128 v197, v[0:3]
.LBB127_409:
	s_or_b32 exec_lo, exec_lo, s5
	v_mov_b32_e32 v0, 0
	v_mov_b32_e32 v2, 0
	;; [unrolled: 1-line block ×4, first 2 shown]
	s_waitcnt lgkmcnt(0)
	s_waitcnt_vscnt null, 0x0
	s_barrier
	buffer_gl0_inv
.LBB127_410:                            ; =>This Inner Loop Header: Depth=1
	v_add_nc_u32_e64 v4, s4, 16
	v_mov_b32_e32 v8, s4
	s_addk_i32 s4, 0x90
	s_clause 0x23
	buffer_load_dword v141, v4, s[0:3], 0 offen offset:24
	buffer_load_dword v142, v4, s[0:3], 0 offen offset:28
	;; [unrolled: 1-line block ×36, first 2 shown]
	ds_read_b128 v[4:7], v8 offset:1040
	ds_read_b128 v[137:140], v8 offset:1056
	s_cmpk_lg_i32 s4, 0x3f0
	s_waitcnt vmcnt(34) lgkmcnt(1)
	v_mul_f64 v[177:178], v[6:7], v[141:142]
	v_mul_f64 v[141:142], v[4:5], v[141:142]
	s_waitcnt vmcnt(30) lgkmcnt(0)
	v_mul_f64 v[179:180], v[139:140], v[145:146]
	v_mul_f64 v[145:146], v[137:138], v[145:146]
	v_fma_f64 v[177:178], v[4:5], v[143:144], -v[177:178]
	v_fma_f64 v[181:182], v[6:7], v[143:144], v[141:142]
	ds_read_b128 v[4:7], v8 offset:1072
	ds_read_b128 v[141:144], v8 offset:1088
	s_waitcnt vmcnt(28)
	v_fma_f64 v[137:138], v[137:138], v[147:148], -v[179:180]
	v_fma_f64 v[139:140], v[139:140], v[147:148], v[145:146]
	s_waitcnt vmcnt(26) lgkmcnt(1)
	v_mul_f64 v[183:184], v[6:7], v[149:150]
	v_mul_f64 v[149:150], v[4:5], v[149:150]
	v_add_f64 v[2:3], v[2:3], v[177:178]
	v_add_f64 v[0:1], v[0:1], v[181:182]
	s_waitcnt vmcnt(22) lgkmcnt(0)
	v_mul_f64 v[145:146], v[143:144], v[153:154]
	v_mul_f64 v[147:148], v[141:142], v[153:154]
	v_fma_f64 v[153:154], v[4:5], v[151:152], -v[183:184]
	v_fma_f64 v[149:150], v[6:7], v[151:152], v[149:150]
	v_add_f64 v[137:138], v[2:3], v[137:138]
	v_add_f64 v[139:140], v[0:1], v[139:140]
	ds_read_b128 v[0:3], v8 offset:1104
	ds_read_b128 v[4:7], v8 offset:1120
	s_waitcnt vmcnt(20)
	v_fma_f64 v[141:142], v[141:142], v[155:156], -v[145:146]
	v_fma_f64 v[143:144], v[143:144], v[155:156], v[147:148]
	s_waitcnt vmcnt(16) lgkmcnt(1)
	v_mul_f64 v[151:152], v[2:3], v[157:158]
	v_mul_f64 v[157:158], v[0:1], v[157:158]
	v_add_f64 v[137:138], v[137:138], v[153:154]
	v_add_f64 v[139:140], v[139:140], v[149:150]
	s_waitcnt vmcnt(14) lgkmcnt(0)
	v_mul_f64 v[145:146], v[6:7], v[159:160]
	v_mul_f64 v[147:148], v[4:5], v[159:160]
	s_waitcnt vmcnt(12)
	v_fma_f64 v[149:150], v[0:1], v[163:164], -v[151:152]
	v_fma_f64 v[151:152], v[2:3], v[163:164], v[157:158]
	v_add_f64 v[141:142], v[137:138], v[141:142]
	v_add_f64 v[143:144], v[139:140], v[143:144]
	ds_read_b128 v[0:3], v8 offset:1136
	ds_read_b128 v[137:140], v8 offset:1152
	v_fma_f64 v[4:5], v[4:5], v[161:162], -v[145:146]
	v_fma_f64 v[6:7], v[6:7], v[161:162], v[147:148]
	s_waitcnt vmcnt(8) lgkmcnt(1)
	v_mul_f64 v[153:154], v[2:3], v[165:166]
	v_mul_f64 v[155:156], v[0:1], v[165:166]
	v_add_f64 v[141:142], v[141:142], v[149:150]
	v_add_f64 v[143:144], v[143:144], v[151:152]
	s_waitcnt vmcnt(6) lgkmcnt(0)
	v_mul_f64 v[145:146], v[139:140], v[167:168]
	v_mul_f64 v[147:148], v[137:138], v[167:168]
	s_waitcnt vmcnt(4)
	v_fma_f64 v[149:150], v[0:1], v[171:172], -v[153:154]
	v_fma_f64 v[151:152], v[2:3], v[171:172], v[155:156]
	v_add_f64 v[4:5], v[141:142], v[4:5]
	v_add_f64 v[6:7], v[143:144], v[6:7]
	ds_read_b128 v[0:3], v8 offset:1168
	v_fma_f64 v[137:138], v[137:138], v[169:170], -v[145:146]
	v_fma_f64 v[139:140], v[139:140], v[169:170], v[147:148]
	s_waitcnt vmcnt(2) lgkmcnt(0)
	v_mul_f64 v[141:142], v[2:3], v[173:174]
	v_mul_f64 v[143:144], v[0:1], v[173:174]
	v_add_f64 v[4:5], v[4:5], v[149:150]
	v_add_f64 v[6:7], v[6:7], v[151:152]
	s_waitcnt vmcnt(0)
	v_fma_f64 v[0:1], v[0:1], v[175:176], -v[141:142]
	v_fma_f64 v[141:142], v[2:3], v[175:176], v[143:144]
	v_add_f64 v[2:3], v[4:5], v[137:138]
	v_add_f64 v[4:5], v[6:7], v[139:140]
	;; [unrolled: 1-line block ×4, first 2 shown]
	s_cbranch_scc1 .LBB127_410
; %bb.411:
	s_clause 0x3
	buffer_load_dword v4, off, s[0:3], 0 offset:16
	buffer_load_dword v5, off, s[0:3], 0 offset:20
	;; [unrolled: 1-line block ×4, first 2 shown]
	v_readlane_b32 s4, v223, 0
	s_and_b32 vcc_lo, exec_lo, s4
	s_waitcnt vmcnt(2)
	v_add_f64 v[2:3], v[4:5], -v[2:3]
	s_waitcnt vmcnt(0)
	v_add_f64 v[0:1], v[6:7], -v[0:1]
	buffer_store_dword v2, off, s[0:3], 0 offset:16
	buffer_store_dword v3, off, s[0:3], 0 offset:20
	;; [unrolled: 1-line block ×4, first 2 shown]
	s_cbranch_vccz .LBB127_538
; %bb.412:
	v_mov_b32_e32 v0, 0
	global_load_dword v1, v0, s[12:13] offset:248
	s_waitcnt vmcnt(0)
	v_add_nc_u32_e32 v1, -1, v1
	v_cmp_ne_u32_e32 vcc_lo, 62, v1
	s_cbranch_vccz .LBB127_414
; %bb.413:
	v_lshlrev_b32_e32 v1, 4, v1
	v_mov_b32_e32 v2, s78
	v_add_nc_u32_e32 v1, 16, v1
	s_clause 0x7
	buffer_load_dword v3, v1, s[0:3], 0 offen
	buffer_load_dword v4, v1, s[0:3], 0 offen offset:4
	buffer_load_dword v5, v1, s[0:3], 0 offen offset:8
	;; [unrolled: 1-line block ×6, first 2 shown]
	buffer_load_dword v138, v2, s[0:3], 0 offen
	s_waitcnt vmcnt(7)
	buffer_store_dword v3, v2, s[0:3], 0 offen
	s_waitcnt vmcnt(6)
	buffer_store_dword v4, v2, s[0:3], 0 offen offset:4
	s_waitcnt vmcnt(5)
	buffer_store_dword v5, v2, s[0:3], 0 offen offset:8
	;; [unrolled: 2-line block ×6, first 2 shown]
	s_waitcnt vmcnt(0)
	buffer_store_dword v138, v1, s[0:3], 0 offen
.LBB127_414:
	global_load_dword v0, v0, s[12:13] offset:244
	s_waitcnt vmcnt(0)
	v_add_nc_u32_e32 v0, -1, v0
	v_cmp_eq_u32_e32 vcc_lo, 61, v0
	s_cbranch_vccnz .LBB127_416
; %bb.415:
	v_lshlrev_b32_e32 v0, 4, v0
	v_mov_b32_e32 v1, s16
	v_add_nc_u32_e32 v0, 16, v0
	s_clause 0x7
	buffer_load_dword v2, v0, s[0:3], 0 offen
	buffer_load_dword v3, v0, s[0:3], 0 offen offset:4
	buffer_load_dword v4, v0, s[0:3], 0 offen offset:8
	;; [unrolled: 1-line block ×6, first 2 shown]
	buffer_load_dword v137, v1, s[0:3], 0 offen
	s_waitcnt vmcnt(7)
	buffer_store_dword v2, v1, s[0:3], 0 offen
	s_waitcnt vmcnt(6)
	buffer_store_dword v3, v1, s[0:3], 0 offen offset:4
	s_waitcnt vmcnt(5)
	buffer_store_dword v4, v1, s[0:3], 0 offen offset:8
	;; [unrolled: 2-line block ×6, first 2 shown]
	s_waitcnt vmcnt(0)
	buffer_store_dword v137, v0, s[0:3], 0 offen
.LBB127_416:
	v_mov_b32_e32 v0, 0
	global_load_dword v1, v0, s[12:13] offset:240
	s_waitcnt vmcnt(0)
	v_add_nc_u32_e32 v1, -1, v1
	v_cmp_eq_u32_e32 vcc_lo, 60, v1
	s_cbranch_vccnz .LBB127_418
; %bb.417:
	v_lshlrev_b32_e32 v1, 4, v1
	v_mov_b32_e32 v2, s17
	v_add_nc_u32_e32 v1, 16, v1
	s_clause 0x7
	buffer_load_dword v3, v1, s[0:3], 0 offen
	buffer_load_dword v4, v1, s[0:3], 0 offen offset:4
	buffer_load_dword v5, v1, s[0:3], 0 offen offset:8
	;; [unrolled: 1-line block ×6, first 2 shown]
	buffer_load_dword v138, v2, s[0:3], 0 offen
	s_waitcnt vmcnt(7)
	buffer_store_dword v3, v2, s[0:3], 0 offen
	s_waitcnt vmcnt(6)
	buffer_store_dword v4, v2, s[0:3], 0 offen offset:4
	s_waitcnt vmcnt(5)
	buffer_store_dword v5, v2, s[0:3], 0 offen offset:8
	;; [unrolled: 2-line block ×6, first 2 shown]
	s_waitcnt vmcnt(0)
	buffer_store_dword v138, v1, s[0:3], 0 offen
.LBB127_418:
	global_load_dword v0, v0, s[12:13] offset:236
	s_waitcnt vmcnt(0)
	v_add_nc_u32_e32 v0, -1, v0
	v_cmp_eq_u32_e32 vcc_lo, 59, v0
	s_cbranch_vccnz .LBB127_420
; %bb.419:
	v_lshlrev_b32_e32 v0, 4, v0
	v_mov_b32_e32 v1, s18
	v_add_nc_u32_e32 v0, 16, v0
	s_clause 0x7
	buffer_load_dword v2, v0, s[0:3], 0 offen
	buffer_load_dword v3, v0, s[0:3], 0 offen offset:4
	buffer_load_dword v4, v0, s[0:3], 0 offen offset:8
	;; [unrolled: 1-line block ×6, first 2 shown]
	buffer_load_dword v137, v1, s[0:3], 0 offen
	s_waitcnt vmcnt(7)
	buffer_store_dword v2, v1, s[0:3], 0 offen
	s_waitcnt vmcnt(6)
	buffer_store_dword v3, v1, s[0:3], 0 offen offset:4
	s_waitcnt vmcnt(5)
	buffer_store_dword v4, v1, s[0:3], 0 offen offset:8
	;; [unrolled: 2-line block ×6, first 2 shown]
	s_waitcnt vmcnt(0)
	buffer_store_dword v137, v0, s[0:3], 0 offen
.LBB127_420:
	v_mov_b32_e32 v0, 0
	global_load_dword v1, v0, s[12:13] offset:232
	s_waitcnt vmcnt(0)
	v_add_nc_u32_e32 v1, -1, v1
	v_cmp_eq_u32_e32 vcc_lo, 58, v1
	s_cbranch_vccnz .LBB127_422
; %bb.421:
	v_lshlrev_b32_e32 v1, 4, v1
	v_mov_b32_e32 v2, s19
	v_add_nc_u32_e32 v1, 16, v1
	s_clause 0x7
	buffer_load_dword v3, v1, s[0:3], 0 offen
	buffer_load_dword v4, v1, s[0:3], 0 offen offset:4
	buffer_load_dword v5, v1, s[0:3], 0 offen offset:8
	;; [unrolled: 1-line block ×6, first 2 shown]
	buffer_load_dword v138, v2, s[0:3], 0 offen
	s_waitcnt vmcnt(7)
	buffer_store_dword v3, v2, s[0:3], 0 offen
	s_waitcnt vmcnt(6)
	buffer_store_dword v4, v2, s[0:3], 0 offen offset:4
	s_waitcnt vmcnt(5)
	buffer_store_dword v5, v2, s[0:3], 0 offen offset:8
	;; [unrolled: 2-line block ×6, first 2 shown]
	s_waitcnt vmcnt(0)
	buffer_store_dword v138, v1, s[0:3], 0 offen
.LBB127_422:
	global_load_dword v0, v0, s[12:13] offset:228
	s_waitcnt vmcnt(0)
	v_add_nc_u32_e32 v0, -1, v0
	v_cmp_eq_u32_e32 vcc_lo, 57, v0
	s_cbranch_vccnz .LBB127_424
; %bb.423:
	v_lshlrev_b32_e32 v0, 4, v0
	v_mov_b32_e32 v1, s20
	v_add_nc_u32_e32 v0, 16, v0
	s_clause 0x7
	buffer_load_dword v2, v0, s[0:3], 0 offen
	buffer_load_dword v3, v0, s[0:3], 0 offen offset:4
	buffer_load_dword v4, v0, s[0:3], 0 offen offset:8
	;; [unrolled: 1-line block ×6, first 2 shown]
	buffer_load_dword v137, v1, s[0:3], 0 offen
	s_waitcnt vmcnt(7)
	buffer_store_dword v2, v1, s[0:3], 0 offen
	s_waitcnt vmcnt(6)
	buffer_store_dword v3, v1, s[0:3], 0 offen offset:4
	s_waitcnt vmcnt(5)
	buffer_store_dword v4, v1, s[0:3], 0 offen offset:8
	;; [unrolled: 2-line block ×6, first 2 shown]
	s_waitcnt vmcnt(0)
	buffer_store_dword v137, v0, s[0:3], 0 offen
.LBB127_424:
	v_mov_b32_e32 v0, 0
	global_load_dword v1, v0, s[12:13] offset:224
	s_waitcnt vmcnt(0)
	v_add_nc_u32_e32 v1, -1, v1
	v_cmp_eq_u32_e32 vcc_lo, 56, v1
	s_cbranch_vccnz .LBB127_426
; %bb.425:
	v_lshlrev_b32_e32 v1, 4, v1
	v_mov_b32_e32 v2, s21
	v_add_nc_u32_e32 v1, 16, v1
	s_clause 0x7
	buffer_load_dword v3, v1, s[0:3], 0 offen
	buffer_load_dword v4, v1, s[0:3], 0 offen offset:4
	buffer_load_dword v5, v1, s[0:3], 0 offen offset:8
	;; [unrolled: 1-line block ×6, first 2 shown]
	buffer_load_dword v138, v2, s[0:3], 0 offen
	s_waitcnt vmcnt(7)
	buffer_store_dword v3, v2, s[0:3], 0 offen
	s_waitcnt vmcnt(6)
	buffer_store_dword v4, v2, s[0:3], 0 offen offset:4
	s_waitcnt vmcnt(5)
	buffer_store_dword v5, v2, s[0:3], 0 offen offset:8
	;; [unrolled: 2-line block ×6, first 2 shown]
	s_waitcnt vmcnt(0)
	buffer_store_dword v138, v1, s[0:3], 0 offen
.LBB127_426:
	global_load_dword v0, v0, s[12:13] offset:220
	s_waitcnt vmcnt(0)
	v_add_nc_u32_e32 v0, -1, v0
	v_cmp_eq_u32_e32 vcc_lo, 55, v0
	s_cbranch_vccnz .LBB127_428
; %bb.427:
	v_lshlrev_b32_e32 v0, 4, v0
	v_mov_b32_e32 v1, s22
	v_add_nc_u32_e32 v0, 16, v0
	s_clause 0x7
	buffer_load_dword v2, v0, s[0:3], 0 offen
	buffer_load_dword v3, v0, s[0:3], 0 offen offset:4
	buffer_load_dword v4, v0, s[0:3], 0 offen offset:8
	;; [unrolled: 1-line block ×6, first 2 shown]
	buffer_load_dword v137, v1, s[0:3], 0 offen
	s_waitcnt vmcnt(7)
	buffer_store_dword v2, v1, s[0:3], 0 offen
	s_waitcnt vmcnt(6)
	buffer_store_dword v3, v1, s[0:3], 0 offen offset:4
	s_waitcnt vmcnt(5)
	buffer_store_dword v4, v1, s[0:3], 0 offen offset:8
	;; [unrolled: 2-line block ×6, first 2 shown]
	s_waitcnt vmcnt(0)
	buffer_store_dword v137, v0, s[0:3], 0 offen
.LBB127_428:
	v_mov_b32_e32 v0, 0
	global_load_dword v1, v0, s[12:13] offset:216
	s_waitcnt vmcnt(0)
	v_add_nc_u32_e32 v1, -1, v1
	v_cmp_eq_u32_e32 vcc_lo, 54, v1
	s_cbranch_vccnz .LBB127_430
; %bb.429:
	v_lshlrev_b32_e32 v1, 4, v1
	v_mov_b32_e32 v2, s23
	v_add_nc_u32_e32 v1, 16, v1
	s_clause 0x7
	buffer_load_dword v3, v1, s[0:3], 0 offen
	buffer_load_dword v4, v1, s[0:3], 0 offen offset:4
	buffer_load_dword v5, v1, s[0:3], 0 offen offset:8
	;; [unrolled: 1-line block ×6, first 2 shown]
	buffer_load_dword v138, v2, s[0:3], 0 offen
	s_waitcnt vmcnt(7)
	buffer_store_dword v3, v2, s[0:3], 0 offen
	s_waitcnt vmcnt(6)
	buffer_store_dword v4, v2, s[0:3], 0 offen offset:4
	s_waitcnt vmcnt(5)
	buffer_store_dword v5, v2, s[0:3], 0 offen offset:8
	;; [unrolled: 2-line block ×6, first 2 shown]
	s_waitcnt vmcnt(0)
	buffer_store_dword v138, v1, s[0:3], 0 offen
.LBB127_430:
	global_load_dword v0, v0, s[12:13] offset:212
	s_waitcnt vmcnt(0)
	v_add_nc_u32_e32 v0, -1, v0
	v_cmp_eq_u32_e32 vcc_lo, 53, v0
	s_cbranch_vccnz .LBB127_432
; %bb.431:
	v_lshlrev_b32_e32 v0, 4, v0
	v_mov_b32_e32 v1, s24
	v_add_nc_u32_e32 v0, 16, v0
	s_clause 0x7
	buffer_load_dword v2, v0, s[0:3], 0 offen
	buffer_load_dword v3, v0, s[0:3], 0 offen offset:4
	buffer_load_dword v4, v0, s[0:3], 0 offen offset:8
	;; [unrolled: 1-line block ×6, first 2 shown]
	buffer_load_dword v137, v1, s[0:3], 0 offen
	s_waitcnt vmcnt(7)
	buffer_store_dword v2, v1, s[0:3], 0 offen
	s_waitcnt vmcnt(6)
	buffer_store_dword v3, v1, s[0:3], 0 offen offset:4
	s_waitcnt vmcnt(5)
	buffer_store_dword v4, v1, s[0:3], 0 offen offset:8
	s_waitcnt vmcnt(4)
	buffer_store_dword v5, v1, s[0:3], 0 offen offset:12
	s_waitcnt vmcnt(3)
	buffer_store_dword v6, v0, s[0:3], 0 offen offset:12
	s_waitcnt vmcnt(2)
	buffer_store_dword v7, v0, s[0:3], 0 offen offset:8
	s_waitcnt vmcnt(1)
	buffer_store_dword v8, v0, s[0:3], 0 offen offset:4
	s_waitcnt vmcnt(0)
	buffer_store_dword v137, v0, s[0:3], 0 offen
.LBB127_432:
	v_mov_b32_e32 v0, 0
	global_load_dword v1, v0, s[12:13] offset:208
	s_waitcnt vmcnt(0)
	v_add_nc_u32_e32 v1, -1, v1
	v_cmp_eq_u32_e32 vcc_lo, 52, v1
	s_cbranch_vccnz .LBB127_434
; %bb.433:
	v_lshlrev_b32_e32 v1, 4, v1
	v_mov_b32_e32 v2, s25
	v_add_nc_u32_e32 v1, 16, v1
	s_clause 0x7
	buffer_load_dword v3, v1, s[0:3], 0 offen
	buffer_load_dword v4, v1, s[0:3], 0 offen offset:4
	buffer_load_dword v5, v1, s[0:3], 0 offen offset:8
	buffer_load_dword v6, v1, s[0:3], 0 offen offset:12
	buffer_load_dword v7, v2, s[0:3], 0 offen offset:12
	buffer_load_dword v8, v2, s[0:3], 0 offen offset:8
	buffer_load_dword v137, v2, s[0:3], 0 offen offset:4
	buffer_load_dword v138, v2, s[0:3], 0 offen
	s_waitcnt vmcnt(7)
	buffer_store_dword v3, v2, s[0:3], 0 offen
	s_waitcnt vmcnt(6)
	buffer_store_dword v4, v2, s[0:3], 0 offen offset:4
	s_waitcnt vmcnt(5)
	buffer_store_dword v5, v2, s[0:3], 0 offen offset:8
	;; [unrolled: 2-line block ×6, first 2 shown]
	s_waitcnt vmcnt(0)
	buffer_store_dword v138, v1, s[0:3], 0 offen
.LBB127_434:
	global_load_dword v0, v0, s[12:13] offset:204
	s_waitcnt vmcnt(0)
	v_add_nc_u32_e32 v0, -1, v0
	v_cmp_eq_u32_e32 vcc_lo, 51, v0
	s_cbranch_vccnz .LBB127_436
; %bb.435:
	v_lshlrev_b32_e32 v0, 4, v0
	v_mov_b32_e32 v1, s26
	v_add_nc_u32_e32 v0, 16, v0
	s_clause 0x7
	buffer_load_dword v2, v0, s[0:3], 0 offen
	buffer_load_dword v3, v0, s[0:3], 0 offen offset:4
	buffer_load_dword v4, v0, s[0:3], 0 offen offset:8
	;; [unrolled: 1-line block ×6, first 2 shown]
	buffer_load_dword v137, v1, s[0:3], 0 offen
	s_waitcnt vmcnt(7)
	buffer_store_dword v2, v1, s[0:3], 0 offen
	s_waitcnt vmcnt(6)
	buffer_store_dword v3, v1, s[0:3], 0 offen offset:4
	s_waitcnt vmcnt(5)
	buffer_store_dword v4, v1, s[0:3], 0 offen offset:8
	;; [unrolled: 2-line block ×6, first 2 shown]
	s_waitcnt vmcnt(0)
	buffer_store_dword v137, v0, s[0:3], 0 offen
.LBB127_436:
	v_mov_b32_e32 v0, 0
	global_load_dword v1, v0, s[12:13] offset:200
	s_waitcnt vmcnt(0)
	v_add_nc_u32_e32 v1, -1, v1
	v_cmp_eq_u32_e32 vcc_lo, 50, v1
	s_cbranch_vccnz .LBB127_438
; %bb.437:
	v_lshlrev_b32_e32 v1, 4, v1
	v_mov_b32_e32 v2, s27
	v_add_nc_u32_e32 v1, 16, v1
	s_clause 0x7
	buffer_load_dword v3, v1, s[0:3], 0 offen
	buffer_load_dword v4, v1, s[0:3], 0 offen offset:4
	buffer_load_dword v5, v1, s[0:3], 0 offen offset:8
	;; [unrolled: 1-line block ×6, first 2 shown]
	buffer_load_dword v138, v2, s[0:3], 0 offen
	s_waitcnt vmcnt(7)
	buffer_store_dword v3, v2, s[0:3], 0 offen
	s_waitcnt vmcnt(6)
	buffer_store_dword v4, v2, s[0:3], 0 offen offset:4
	s_waitcnt vmcnt(5)
	buffer_store_dword v5, v2, s[0:3], 0 offen offset:8
	;; [unrolled: 2-line block ×6, first 2 shown]
	s_waitcnt vmcnt(0)
	buffer_store_dword v138, v1, s[0:3], 0 offen
.LBB127_438:
	global_load_dword v0, v0, s[12:13] offset:196
	s_waitcnt vmcnt(0)
	v_add_nc_u32_e32 v0, -1, v0
	v_cmp_eq_u32_e32 vcc_lo, 49, v0
	s_cbranch_vccnz .LBB127_440
; %bb.439:
	v_lshlrev_b32_e32 v0, 4, v0
	v_mov_b32_e32 v1, s28
	v_add_nc_u32_e32 v0, 16, v0
	s_clause 0x7
	buffer_load_dword v2, v0, s[0:3], 0 offen
	buffer_load_dword v3, v0, s[0:3], 0 offen offset:4
	buffer_load_dword v4, v0, s[0:3], 0 offen offset:8
	;; [unrolled: 1-line block ×6, first 2 shown]
	buffer_load_dword v137, v1, s[0:3], 0 offen
	s_waitcnt vmcnt(7)
	buffer_store_dword v2, v1, s[0:3], 0 offen
	s_waitcnt vmcnt(6)
	buffer_store_dword v3, v1, s[0:3], 0 offen offset:4
	s_waitcnt vmcnt(5)
	buffer_store_dword v4, v1, s[0:3], 0 offen offset:8
	;; [unrolled: 2-line block ×6, first 2 shown]
	s_waitcnt vmcnt(0)
	buffer_store_dword v137, v0, s[0:3], 0 offen
.LBB127_440:
	v_mov_b32_e32 v0, 0
	global_load_dword v1, v0, s[12:13] offset:192
	s_waitcnt vmcnt(0)
	v_add_nc_u32_e32 v1, -1, v1
	v_cmp_eq_u32_e32 vcc_lo, 48, v1
	s_cbranch_vccnz .LBB127_442
; %bb.441:
	v_lshlrev_b32_e32 v1, 4, v1
	v_mov_b32_e32 v2, s29
	v_add_nc_u32_e32 v1, 16, v1
	s_clause 0x7
	buffer_load_dword v3, v1, s[0:3], 0 offen
	buffer_load_dword v4, v1, s[0:3], 0 offen offset:4
	buffer_load_dword v5, v1, s[0:3], 0 offen offset:8
	;; [unrolled: 1-line block ×6, first 2 shown]
	buffer_load_dword v138, v2, s[0:3], 0 offen
	s_waitcnt vmcnt(7)
	buffer_store_dword v3, v2, s[0:3], 0 offen
	s_waitcnt vmcnt(6)
	buffer_store_dword v4, v2, s[0:3], 0 offen offset:4
	s_waitcnt vmcnt(5)
	buffer_store_dword v5, v2, s[0:3], 0 offen offset:8
	s_waitcnt vmcnt(4)
	buffer_store_dword v6, v2, s[0:3], 0 offen offset:12
	s_waitcnt vmcnt(3)
	buffer_store_dword v7, v1, s[0:3], 0 offen offset:12
	s_waitcnt vmcnt(2)
	buffer_store_dword v8, v1, s[0:3], 0 offen offset:8
	s_waitcnt vmcnt(1)
	buffer_store_dword v137, v1, s[0:3], 0 offen offset:4
	s_waitcnt vmcnt(0)
	buffer_store_dword v138, v1, s[0:3], 0 offen
.LBB127_442:
	global_load_dword v0, v0, s[12:13] offset:188
	s_waitcnt vmcnt(0)
	v_add_nc_u32_e32 v0, -1, v0
	v_cmp_eq_u32_e32 vcc_lo, 47, v0
	s_cbranch_vccnz .LBB127_444
; %bb.443:
	v_lshlrev_b32_e32 v0, 4, v0
	v_mov_b32_e32 v1, s30
	v_add_nc_u32_e32 v0, 16, v0
	s_clause 0x7
	buffer_load_dword v2, v0, s[0:3], 0 offen
	buffer_load_dword v3, v0, s[0:3], 0 offen offset:4
	buffer_load_dword v4, v0, s[0:3], 0 offen offset:8
	;; [unrolled: 1-line block ×6, first 2 shown]
	buffer_load_dword v137, v1, s[0:3], 0 offen
	s_waitcnt vmcnt(7)
	buffer_store_dword v2, v1, s[0:3], 0 offen
	s_waitcnt vmcnt(6)
	buffer_store_dword v3, v1, s[0:3], 0 offen offset:4
	s_waitcnt vmcnt(5)
	buffer_store_dword v4, v1, s[0:3], 0 offen offset:8
	;; [unrolled: 2-line block ×6, first 2 shown]
	s_waitcnt vmcnt(0)
	buffer_store_dword v137, v0, s[0:3], 0 offen
.LBB127_444:
	v_mov_b32_e32 v0, 0
	global_load_dword v1, v0, s[12:13] offset:184
	s_waitcnt vmcnt(0)
	v_add_nc_u32_e32 v1, -1, v1
	v_cmp_eq_u32_e32 vcc_lo, 46, v1
	s_cbranch_vccnz .LBB127_446
; %bb.445:
	v_lshlrev_b32_e32 v1, 4, v1
	v_mov_b32_e32 v2, s31
	v_add_nc_u32_e32 v1, 16, v1
	s_clause 0x7
	buffer_load_dword v3, v1, s[0:3], 0 offen
	buffer_load_dword v4, v1, s[0:3], 0 offen offset:4
	buffer_load_dword v5, v1, s[0:3], 0 offen offset:8
	;; [unrolled: 1-line block ×6, first 2 shown]
	buffer_load_dword v138, v2, s[0:3], 0 offen
	s_waitcnt vmcnt(7)
	buffer_store_dword v3, v2, s[0:3], 0 offen
	s_waitcnt vmcnt(6)
	buffer_store_dword v4, v2, s[0:3], 0 offen offset:4
	s_waitcnt vmcnt(5)
	buffer_store_dword v5, v2, s[0:3], 0 offen offset:8
	;; [unrolled: 2-line block ×6, first 2 shown]
	s_waitcnt vmcnt(0)
	buffer_store_dword v138, v1, s[0:3], 0 offen
.LBB127_446:
	global_load_dword v0, v0, s[12:13] offset:180
	s_waitcnt vmcnt(0)
	v_add_nc_u32_e32 v0, -1, v0
	v_cmp_eq_u32_e32 vcc_lo, 45, v0
	s_cbranch_vccnz .LBB127_448
; %bb.447:
	v_lshlrev_b32_e32 v0, 4, v0
	v_mov_b32_e32 v1, s33
	v_add_nc_u32_e32 v0, 16, v0
	s_clause 0x7
	buffer_load_dword v2, v0, s[0:3], 0 offen
	buffer_load_dword v3, v0, s[0:3], 0 offen offset:4
	buffer_load_dword v4, v0, s[0:3], 0 offen offset:8
	;; [unrolled: 1-line block ×6, first 2 shown]
	buffer_load_dword v137, v1, s[0:3], 0 offen
	s_waitcnt vmcnt(7)
	buffer_store_dword v2, v1, s[0:3], 0 offen
	s_waitcnt vmcnt(6)
	buffer_store_dword v3, v1, s[0:3], 0 offen offset:4
	s_waitcnt vmcnt(5)
	buffer_store_dword v4, v1, s[0:3], 0 offen offset:8
	;; [unrolled: 2-line block ×6, first 2 shown]
	s_waitcnt vmcnt(0)
	buffer_store_dword v137, v0, s[0:3], 0 offen
.LBB127_448:
	v_mov_b32_e32 v0, 0
	global_load_dword v1, v0, s[12:13] offset:176
	s_waitcnt vmcnt(0)
	v_add_nc_u32_e32 v1, -1, v1
	v_cmp_eq_u32_e32 vcc_lo, 44, v1
	s_cbranch_vccnz .LBB127_450
; %bb.449:
	v_lshlrev_b32_e32 v1, 4, v1
	v_mov_b32_e32 v2, s34
	v_add_nc_u32_e32 v1, 16, v1
	s_clause 0x7
	buffer_load_dword v3, v1, s[0:3], 0 offen
	buffer_load_dword v4, v1, s[0:3], 0 offen offset:4
	buffer_load_dword v5, v1, s[0:3], 0 offen offset:8
	;; [unrolled: 1-line block ×6, first 2 shown]
	buffer_load_dword v138, v2, s[0:3], 0 offen
	s_waitcnt vmcnt(7)
	buffer_store_dword v3, v2, s[0:3], 0 offen
	s_waitcnt vmcnt(6)
	buffer_store_dword v4, v2, s[0:3], 0 offen offset:4
	s_waitcnt vmcnt(5)
	buffer_store_dword v5, v2, s[0:3], 0 offen offset:8
	;; [unrolled: 2-line block ×6, first 2 shown]
	s_waitcnt vmcnt(0)
	buffer_store_dword v138, v1, s[0:3], 0 offen
.LBB127_450:
	global_load_dword v0, v0, s[12:13] offset:172
	s_waitcnt vmcnt(0)
	v_add_nc_u32_e32 v0, -1, v0
	v_cmp_eq_u32_e32 vcc_lo, 43, v0
	s_cbranch_vccnz .LBB127_452
; %bb.451:
	v_lshlrev_b32_e32 v0, 4, v0
	v_mov_b32_e32 v1, s35
	v_add_nc_u32_e32 v0, 16, v0
	s_clause 0x7
	buffer_load_dword v2, v0, s[0:3], 0 offen
	buffer_load_dword v3, v0, s[0:3], 0 offen offset:4
	buffer_load_dword v4, v0, s[0:3], 0 offen offset:8
	;; [unrolled: 1-line block ×6, first 2 shown]
	buffer_load_dword v137, v1, s[0:3], 0 offen
	s_waitcnt vmcnt(7)
	buffer_store_dword v2, v1, s[0:3], 0 offen
	s_waitcnt vmcnt(6)
	buffer_store_dword v3, v1, s[0:3], 0 offen offset:4
	s_waitcnt vmcnt(5)
	buffer_store_dword v4, v1, s[0:3], 0 offen offset:8
	;; [unrolled: 2-line block ×6, first 2 shown]
	s_waitcnt vmcnt(0)
	buffer_store_dword v137, v0, s[0:3], 0 offen
.LBB127_452:
	v_mov_b32_e32 v0, 0
	global_load_dword v1, v0, s[12:13] offset:168
	s_waitcnt vmcnt(0)
	v_add_nc_u32_e32 v1, -1, v1
	v_cmp_eq_u32_e32 vcc_lo, 42, v1
	s_cbranch_vccnz .LBB127_454
; %bb.453:
	v_lshlrev_b32_e32 v1, 4, v1
	v_mov_b32_e32 v2, s36
	v_add_nc_u32_e32 v1, 16, v1
	s_clause 0x7
	buffer_load_dword v3, v1, s[0:3], 0 offen
	buffer_load_dword v4, v1, s[0:3], 0 offen offset:4
	buffer_load_dword v5, v1, s[0:3], 0 offen offset:8
	;; [unrolled: 1-line block ×6, first 2 shown]
	buffer_load_dword v138, v2, s[0:3], 0 offen
	s_waitcnt vmcnt(7)
	buffer_store_dword v3, v2, s[0:3], 0 offen
	s_waitcnt vmcnt(6)
	buffer_store_dword v4, v2, s[0:3], 0 offen offset:4
	s_waitcnt vmcnt(5)
	buffer_store_dword v5, v2, s[0:3], 0 offen offset:8
	;; [unrolled: 2-line block ×6, first 2 shown]
	s_waitcnt vmcnt(0)
	buffer_store_dword v138, v1, s[0:3], 0 offen
.LBB127_454:
	global_load_dword v0, v0, s[12:13] offset:164
	s_waitcnt vmcnt(0)
	v_add_nc_u32_e32 v0, -1, v0
	v_cmp_eq_u32_e32 vcc_lo, 41, v0
	s_cbranch_vccnz .LBB127_456
; %bb.455:
	v_lshlrev_b32_e32 v0, 4, v0
	v_mov_b32_e32 v1, s37
	v_add_nc_u32_e32 v0, 16, v0
	s_clause 0x7
	buffer_load_dword v2, v0, s[0:3], 0 offen
	buffer_load_dword v3, v0, s[0:3], 0 offen offset:4
	buffer_load_dword v4, v0, s[0:3], 0 offen offset:8
	;; [unrolled: 1-line block ×6, first 2 shown]
	buffer_load_dword v137, v1, s[0:3], 0 offen
	s_waitcnt vmcnt(7)
	buffer_store_dword v2, v1, s[0:3], 0 offen
	s_waitcnt vmcnt(6)
	buffer_store_dword v3, v1, s[0:3], 0 offen offset:4
	s_waitcnt vmcnt(5)
	buffer_store_dword v4, v1, s[0:3], 0 offen offset:8
	s_waitcnt vmcnt(4)
	buffer_store_dword v5, v1, s[0:3], 0 offen offset:12
	s_waitcnt vmcnt(3)
	buffer_store_dword v6, v0, s[0:3], 0 offen offset:12
	s_waitcnt vmcnt(2)
	buffer_store_dword v7, v0, s[0:3], 0 offen offset:8
	s_waitcnt vmcnt(1)
	buffer_store_dword v8, v0, s[0:3], 0 offen offset:4
	s_waitcnt vmcnt(0)
	buffer_store_dword v137, v0, s[0:3], 0 offen
.LBB127_456:
	v_mov_b32_e32 v0, 0
	global_load_dword v1, v0, s[12:13] offset:160
	s_waitcnt vmcnt(0)
	v_add_nc_u32_e32 v1, -1, v1
	v_cmp_eq_u32_e32 vcc_lo, 40, v1
	s_cbranch_vccnz .LBB127_458
; %bb.457:
	v_lshlrev_b32_e32 v1, 4, v1
	v_mov_b32_e32 v2, s38
	v_add_nc_u32_e32 v1, 16, v1
	s_clause 0x7
	buffer_load_dword v3, v1, s[0:3], 0 offen
	buffer_load_dword v4, v1, s[0:3], 0 offen offset:4
	buffer_load_dword v5, v1, s[0:3], 0 offen offset:8
	;; [unrolled: 1-line block ×6, first 2 shown]
	buffer_load_dword v138, v2, s[0:3], 0 offen
	s_waitcnt vmcnt(7)
	buffer_store_dword v3, v2, s[0:3], 0 offen
	s_waitcnt vmcnt(6)
	buffer_store_dword v4, v2, s[0:3], 0 offen offset:4
	s_waitcnt vmcnt(5)
	buffer_store_dword v5, v2, s[0:3], 0 offen offset:8
	;; [unrolled: 2-line block ×6, first 2 shown]
	s_waitcnt vmcnt(0)
	buffer_store_dword v138, v1, s[0:3], 0 offen
.LBB127_458:
	global_load_dword v0, v0, s[12:13] offset:156
	s_waitcnt vmcnt(0)
	v_add_nc_u32_e32 v0, -1, v0
	v_cmp_eq_u32_e32 vcc_lo, 39, v0
	s_cbranch_vccnz .LBB127_460
; %bb.459:
	v_lshlrev_b32_e32 v0, 4, v0
	v_mov_b32_e32 v1, s39
	v_add_nc_u32_e32 v0, 16, v0
	s_clause 0x7
	buffer_load_dword v2, v0, s[0:3], 0 offen
	buffer_load_dword v3, v0, s[0:3], 0 offen offset:4
	buffer_load_dword v4, v0, s[0:3], 0 offen offset:8
	;; [unrolled: 1-line block ×6, first 2 shown]
	buffer_load_dword v137, v1, s[0:3], 0 offen
	s_waitcnt vmcnt(7)
	buffer_store_dword v2, v1, s[0:3], 0 offen
	s_waitcnt vmcnt(6)
	buffer_store_dword v3, v1, s[0:3], 0 offen offset:4
	s_waitcnt vmcnt(5)
	buffer_store_dword v4, v1, s[0:3], 0 offen offset:8
	;; [unrolled: 2-line block ×6, first 2 shown]
	s_waitcnt vmcnt(0)
	buffer_store_dword v137, v0, s[0:3], 0 offen
.LBB127_460:
	v_mov_b32_e32 v0, 0
	global_load_dword v1, v0, s[12:13] offset:152
	s_waitcnt vmcnt(0)
	v_add_nc_u32_e32 v1, -1, v1
	v_cmp_eq_u32_e32 vcc_lo, 38, v1
	s_cbranch_vccnz .LBB127_462
; %bb.461:
	v_lshlrev_b32_e32 v1, 4, v1
	v_mov_b32_e32 v2, s40
	v_add_nc_u32_e32 v1, 16, v1
	s_clause 0x7
	buffer_load_dword v3, v1, s[0:3], 0 offen
	buffer_load_dword v4, v1, s[0:3], 0 offen offset:4
	buffer_load_dword v5, v1, s[0:3], 0 offen offset:8
	;; [unrolled: 1-line block ×6, first 2 shown]
	buffer_load_dword v138, v2, s[0:3], 0 offen
	s_waitcnt vmcnt(7)
	buffer_store_dword v3, v2, s[0:3], 0 offen
	s_waitcnt vmcnt(6)
	buffer_store_dword v4, v2, s[0:3], 0 offen offset:4
	s_waitcnt vmcnt(5)
	buffer_store_dword v5, v2, s[0:3], 0 offen offset:8
	;; [unrolled: 2-line block ×6, first 2 shown]
	s_waitcnt vmcnt(0)
	buffer_store_dword v138, v1, s[0:3], 0 offen
.LBB127_462:
	global_load_dword v0, v0, s[12:13] offset:148
	s_waitcnt vmcnt(0)
	v_add_nc_u32_e32 v0, -1, v0
	v_cmp_eq_u32_e32 vcc_lo, 37, v0
	s_cbranch_vccnz .LBB127_464
; %bb.463:
	v_lshlrev_b32_e32 v0, 4, v0
	v_mov_b32_e32 v1, s41
	v_add_nc_u32_e32 v0, 16, v0
	s_clause 0x7
	buffer_load_dword v2, v0, s[0:3], 0 offen
	buffer_load_dword v3, v0, s[0:3], 0 offen offset:4
	buffer_load_dword v4, v0, s[0:3], 0 offen offset:8
	;; [unrolled: 1-line block ×6, first 2 shown]
	buffer_load_dword v137, v1, s[0:3], 0 offen
	s_waitcnt vmcnt(7)
	buffer_store_dword v2, v1, s[0:3], 0 offen
	s_waitcnt vmcnt(6)
	buffer_store_dword v3, v1, s[0:3], 0 offen offset:4
	s_waitcnt vmcnt(5)
	buffer_store_dword v4, v1, s[0:3], 0 offen offset:8
	;; [unrolled: 2-line block ×6, first 2 shown]
	s_waitcnt vmcnt(0)
	buffer_store_dword v137, v0, s[0:3], 0 offen
.LBB127_464:
	v_mov_b32_e32 v0, 0
	global_load_dword v1, v0, s[12:13] offset:144
	s_waitcnt vmcnt(0)
	v_add_nc_u32_e32 v1, -1, v1
	v_cmp_eq_u32_e32 vcc_lo, 36, v1
	s_cbranch_vccnz .LBB127_466
; %bb.465:
	v_lshlrev_b32_e32 v1, 4, v1
	v_mov_b32_e32 v2, s42
	v_add_nc_u32_e32 v1, 16, v1
	s_clause 0x7
	buffer_load_dword v3, v1, s[0:3], 0 offen
	buffer_load_dword v4, v1, s[0:3], 0 offen offset:4
	buffer_load_dword v5, v1, s[0:3], 0 offen offset:8
	;; [unrolled: 1-line block ×6, first 2 shown]
	buffer_load_dword v138, v2, s[0:3], 0 offen
	s_waitcnt vmcnt(7)
	buffer_store_dword v3, v2, s[0:3], 0 offen
	s_waitcnt vmcnt(6)
	buffer_store_dword v4, v2, s[0:3], 0 offen offset:4
	s_waitcnt vmcnt(5)
	buffer_store_dword v5, v2, s[0:3], 0 offen offset:8
	;; [unrolled: 2-line block ×6, first 2 shown]
	s_waitcnt vmcnt(0)
	buffer_store_dword v138, v1, s[0:3], 0 offen
.LBB127_466:
	global_load_dword v0, v0, s[12:13] offset:140
	s_waitcnt vmcnt(0)
	v_add_nc_u32_e32 v0, -1, v0
	v_cmp_eq_u32_e32 vcc_lo, 35, v0
	s_cbranch_vccnz .LBB127_468
; %bb.467:
	v_lshlrev_b32_e32 v0, 4, v0
	v_mov_b32_e32 v1, s14
	v_add_nc_u32_e32 v0, 16, v0
	s_clause 0x7
	buffer_load_dword v2, v0, s[0:3], 0 offen
	buffer_load_dword v3, v0, s[0:3], 0 offen offset:4
	buffer_load_dword v4, v0, s[0:3], 0 offen offset:8
	;; [unrolled: 1-line block ×6, first 2 shown]
	buffer_load_dword v137, v1, s[0:3], 0 offen
	s_waitcnt vmcnt(7)
	buffer_store_dword v2, v1, s[0:3], 0 offen
	s_waitcnt vmcnt(6)
	buffer_store_dword v3, v1, s[0:3], 0 offen offset:4
	s_waitcnt vmcnt(5)
	buffer_store_dword v4, v1, s[0:3], 0 offen offset:8
	;; [unrolled: 2-line block ×6, first 2 shown]
	s_waitcnt vmcnt(0)
	buffer_store_dword v137, v0, s[0:3], 0 offen
.LBB127_468:
	v_mov_b32_e32 v0, 0
	global_load_dword v1, v0, s[12:13] offset:136
	s_waitcnt vmcnt(0)
	v_add_nc_u32_e32 v1, -1, v1
	v_cmp_eq_u32_e32 vcc_lo, 34, v1
	s_cbranch_vccnz .LBB127_470
; %bb.469:
	v_lshlrev_b32_e32 v1, 4, v1
	v_mov_b32_e32 v2, s15
	v_add_nc_u32_e32 v1, 16, v1
	s_clause 0x7
	buffer_load_dword v3, v1, s[0:3], 0 offen
	buffer_load_dword v4, v1, s[0:3], 0 offen offset:4
	buffer_load_dword v5, v1, s[0:3], 0 offen offset:8
	;; [unrolled: 1-line block ×6, first 2 shown]
	buffer_load_dword v138, v2, s[0:3], 0 offen
	s_waitcnt vmcnt(7)
	buffer_store_dword v3, v2, s[0:3], 0 offen
	s_waitcnt vmcnt(6)
	buffer_store_dword v4, v2, s[0:3], 0 offen offset:4
	s_waitcnt vmcnt(5)
	buffer_store_dword v5, v2, s[0:3], 0 offen offset:8
	;; [unrolled: 2-line block ×6, first 2 shown]
	s_waitcnt vmcnt(0)
	buffer_store_dword v138, v1, s[0:3], 0 offen
.LBB127_470:
	global_load_dword v0, v0, s[12:13] offset:132
	s_waitcnt vmcnt(0)
	v_add_nc_u32_e32 v0, -1, v0
	v_cmp_eq_u32_e32 vcc_lo, 33, v0
	s_cbranch_vccnz .LBB127_472
; %bb.471:
	v_lshlrev_b32_e32 v0, 4, v0
	v_mov_b32_e32 v1, s45
	v_add_nc_u32_e32 v0, 16, v0
	s_clause 0x7
	buffer_load_dword v2, v0, s[0:3], 0 offen
	buffer_load_dword v3, v0, s[0:3], 0 offen offset:4
	buffer_load_dword v4, v0, s[0:3], 0 offen offset:8
	;; [unrolled: 1-line block ×6, first 2 shown]
	buffer_load_dword v137, v1, s[0:3], 0 offen
	s_waitcnt vmcnt(7)
	buffer_store_dword v2, v1, s[0:3], 0 offen
	s_waitcnt vmcnt(6)
	buffer_store_dword v3, v1, s[0:3], 0 offen offset:4
	s_waitcnt vmcnt(5)
	buffer_store_dword v4, v1, s[0:3], 0 offen offset:8
	;; [unrolled: 2-line block ×6, first 2 shown]
	s_waitcnt vmcnt(0)
	buffer_store_dword v137, v0, s[0:3], 0 offen
.LBB127_472:
	v_mov_b32_e32 v0, 0
	global_load_dword v1, v0, s[12:13] offset:128
	s_waitcnt vmcnt(0)
	v_add_nc_u32_e32 v1, -1, v1
	v_cmp_eq_u32_e32 vcc_lo, 32, v1
	s_cbranch_vccnz .LBB127_474
; %bb.473:
	v_lshlrev_b32_e32 v1, 4, v1
	v_mov_b32_e32 v2, s46
	v_add_nc_u32_e32 v1, 16, v1
	s_clause 0x7
	buffer_load_dword v3, v1, s[0:3], 0 offen
	buffer_load_dword v4, v1, s[0:3], 0 offen offset:4
	buffer_load_dword v5, v1, s[0:3], 0 offen offset:8
	;; [unrolled: 1-line block ×6, first 2 shown]
	buffer_load_dword v138, v2, s[0:3], 0 offen
	s_waitcnt vmcnt(7)
	buffer_store_dword v3, v2, s[0:3], 0 offen
	s_waitcnt vmcnt(6)
	buffer_store_dword v4, v2, s[0:3], 0 offen offset:4
	s_waitcnt vmcnt(5)
	buffer_store_dword v5, v2, s[0:3], 0 offen offset:8
	;; [unrolled: 2-line block ×6, first 2 shown]
	s_waitcnt vmcnt(0)
	buffer_store_dword v138, v1, s[0:3], 0 offen
.LBB127_474:
	global_load_dword v0, v0, s[12:13] offset:124
	s_waitcnt vmcnt(0)
	v_add_nc_u32_e32 v0, -1, v0
	v_cmp_eq_u32_e32 vcc_lo, 31, v0
	s_cbranch_vccnz .LBB127_476
; %bb.475:
	v_lshlrev_b32_e32 v0, 4, v0
	v_mov_b32_e32 v1, s47
	v_add_nc_u32_e32 v0, 16, v0
	s_clause 0x7
	buffer_load_dword v2, v0, s[0:3], 0 offen
	buffer_load_dword v3, v0, s[0:3], 0 offen offset:4
	buffer_load_dword v4, v0, s[0:3], 0 offen offset:8
	;; [unrolled: 1-line block ×6, first 2 shown]
	buffer_load_dword v137, v1, s[0:3], 0 offen
	s_waitcnt vmcnt(7)
	buffer_store_dword v2, v1, s[0:3], 0 offen
	s_waitcnt vmcnt(6)
	buffer_store_dword v3, v1, s[0:3], 0 offen offset:4
	s_waitcnt vmcnt(5)
	buffer_store_dword v4, v1, s[0:3], 0 offen offset:8
	;; [unrolled: 2-line block ×6, first 2 shown]
	s_waitcnt vmcnt(0)
	buffer_store_dword v137, v0, s[0:3], 0 offen
.LBB127_476:
	v_mov_b32_e32 v0, 0
	global_load_dword v1, v0, s[12:13] offset:120
	s_waitcnt vmcnt(0)
	v_add_nc_u32_e32 v1, -1, v1
	v_cmp_eq_u32_e32 vcc_lo, 30, v1
	s_cbranch_vccnz .LBB127_478
; %bb.477:
	v_lshlrev_b32_e32 v1, 4, v1
	v_mov_b32_e32 v2, s48
	v_add_nc_u32_e32 v1, 16, v1
	s_clause 0x7
	buffer_load_dword v3, v1, s[0:3], 0 offen
	buffer_load_dword v4, v1, s[0:3], 0 offen offset:4
	buffer_load_dword v5, v1, s[0:3], 0 offen offset:8
	;; [unrolled: 1-line block ×6, first 2 shown]
	buffer_load_dword v138, v2, s[0:3], 0 offen
	s_waitcnt vmcnt(7)
	buffer_store_dword v3, v2, s[0:3], 0 offen
	s_waitcnt vmcnt(6)
	buffer_store_dword v4, v2, s[0:3], 0 offen offset:4
	s_waitcnt vmcnt(5)
	buffer_store_dword v5, v2, s[0:3], 0 offen offset:8
	;; [unrolled: 2-line block ×6, first 2 shown]
	s_waitcnt vmcnt(0)
	buffer_store_dword v138, v1, s[0:3], 0 offen
.LBB127_478:
	global_load_dword v0, v0, s[12:13] offset:116
	s_waitcnt vmcnt(0)
	v_add_nc_u32_e32 v0, -1, v0
	v_cmp_eq_u32_e32 vcc_lo, 29, v0
	s_cbranch_vccnz .LBB127_480
; %bb.479:
	v_lshlrev_b32_e32 v0, 4, v0
	v_mov_b32_e32 v1, s49
	v_add_nc_u32_e32 v0, 16, v0
	s_clause 0x7
	buffer_load_dword v2, v0, s[0:3], 0 offen
	buffer_load_dword v3, v0, s[0:3], 0 offen offset:4
	buffer_load_dword v4, v0, s[0:3], 0 offen offset:8
	;; [unrolled: 1-line block ×6, first 2 shown]
	buffer_load_dword v137, v1, s[0:3], 0 offen
	s_waitcnt vmcnt(7)
	buffer_store_dword v2, v1, s[0:3], 0 offen
	s_waitcnt vmcnt(6)
	buffer_store_dword v3, v1, s[0:3], 0 offen offset:4
	s_waitcnt vmcnt(5)
	buffer_store_dword v4, v1, s[0:3], 0 offen offset:8
	;; [unrolled: 2-line block ×6, first 2 shown]
	s_waitcnt vmcnt(0)
	buffer_store_dword v137, v0, s[0:3], 0 offen
.LBB127_480:
	v_mov_b32_e32 v0, 0
	global_load_dword v1, v0, s[12:13] offset:112
	s_waitcnt vmcnt(0)
	v_add_nc_u32_e32 v1, -1, v1
	v_cmp_eq_u32_e32 vcc_lo, 28, v1
	s_cbranch_vccnz .LBB127_482
; %bb.481:
	v_lshlrev_b32_e32 v1, 4, v1
	v_mov_b32_e32 v2, s50
	v_add_nc_u32_e32 v1, 16, v1
	s_clause 0x7
	buffer_load_dword v3, v1, s[0:3], 0 offen
	buffer_load_dword v4, v1, s[0:3], 0 offen offset:4
	buffer_load_dword v5, v1, s[0:3], 0 offen offset:8
	;; [unrolled: 1-line block ×6, first 2 shown]
	buffer_load_dword v138, v2, s[0:3], 0 offen
	s_waitcnt vmcnt(7)
	buffer_store_dword v3, v2, s[0:3], 0 offen
	s_waitcnt vmcnt(6)
	buffer_store_dword v4, v2, s[0:3], 0 offen offset:4
	s_waitcnt vmcnt(5)
	buffer_store_dword v5, v2, s[0:3], 0 offen offset:8
	;; [unrolled: 2-line block ×6, first 2 shown]
	s_waitcnt vmcnt(0)
	buffer_store_dword v138, v1, s[0:3], 0 offen
.LBB127_482:
	global_load_dword v0, v0, s[12:13] offset:108
	s_waitcnt vmcnt(0)
	v_add_nc_u32_e32 v0, -1, v0
	v_cmp_eq_u32_e32 vcc_lo, 27, v0
	s_cbranch_vccnz .LBB127_484
; %bb.483:
	v_lshlrev_b32_e32 v0, 4, v0
	v_mov_b32_e32 v1, s51
	v_add_nc_u32_e32 v0, 16, v0
	s_clause 0x7
	buffer_load_dword v2, v0, s[0:3], 0 offen
	buffer_load_dword v3, v0, s[0:3], 0 offen offset:4
	buffer_load_dword v4, v0, s[0:3], 0 offen offset:8
	;; [unrolled: 1-line block ×6, first 2 shown]
	buffer_load_dword v137, v1, s[0:3], 0 offen
	s_waitcnt vmcnt(7)
	buffer_store_dword v2, v1, s[0:3], 0 offen
	s_waitcnt vmcnt(6)
	buffer_store_dword v3, v1, s[0:3], 0 offen offset:4
	s_waitcnt vmcnt(5)
	buffer_store_dword v4, v1, s[0:3], 0 offen offset:8
	;; [unrolled: 2-line block ×6, first 2 shown]
	s_waitcnt vmcnt(0)
	buffer_store_dword v137, v0, s[0:3], 0 offen
.LBB127_484:
	v_mov_b32_e32 v0, 0
	global_load_dword v1, v0, s[12:13] offset:104
	s_waitcnt vmcnt(0)
	v_add_nc_u32_e32 v1, -1, v1
	v_cmp_eq_u32_e32 vcc_lo, 26, v1
	s_cbranch_vccnz .LBB127_486
; %bb.485:
	v_lshlrev_b32_e32 v1, 4, v1
	v_mov_b32_e32 v2, s52
	v_add_nc_u32_e32 v1, 16, v1
	s_clause 0x7
	buffer_load_dword v3, v1, s[0:3], 0 offen
	buffer_load_dword v4, v1, s[0:3], 0 offen offset:4
	buffer_load_dword v5, v1, s[0:3], 0 offen offset:8
	buffer_load_dword v6, v1, s[0:3], 0 offen offset:12
	buffer_load_dword v7, v2, s[0:3], 0 offen offset:12
	buffer_load_dword v8, v2, s[0:3], 0 offen offset:8
	buffer_load_dword v137, v2, s[0:3], 0 offen offset:4
	buffer_load_dword v138, v2, s[0:3], 0 offen
	s_waitcnt vmcnt(7)
	buffer_store_dword v3, v2, s[0:3], 0 offen
	s_waitcnt vmcnt(6)
	buffer_store_dword v4, v2, s[0:3], 0 offen offset:4
	s_waitcnt vmcnt(5)
	buffer_store_dword v5, v2, s[0:3], 0 offen offset:8
	;; [unrolled: 2-line block ×6, first 2 shown]
	s_waitcnt vmcnt(0)
	buffer_store_dword v138, v1, s[0:3], 0 offen
.LBB127_486:
	global_load_dword v0, v0, s[12:13] offset:100
	s_waitcnt vmcnt(0)
	v_add_nc_u32_e32 v0, -1, v0
	v_cmp_eq_u32_e32 vcc_lo, 25, v0
	s_cbranch_vccnz .LBB127_488
; %bb.487:
	v_lshlrev_b32_e32 v0, 4, v0
	v_mov_b32_e32 v1, s53
	v_add_nc_u32_e32 v0, 16, v0
	s_clause 0x7
	buffer_load_dword v2, v0, s[0:3], 0 offen
	buffer_load_dword v3, v0, s[0:3], 0 offen offset:4
	buffer_load_dword v4, v0, s[0:3], 0 offen offset:8
	;; [unrolled: 1-line block ×6, first 2 shown]
	buffer_load_dword v137, v1, s[0:3], 0 offen
	s_waitcnt vmcnt(7)
	buffer_store_dword v2, v1, s[0:3], 0 offen
	s_waitcnt vmcnt(6)
	buffer_store_dword v3, v1, s[0:3], 0 offen offset:4
	s_waitcnt vmcnt(5)
	buffer_store_dword v4, v1, s[0:3], 0 offen offset:8
	;; [unrolled: 2-line block ×6, first 2 shown]
	s_waitcnt vmcnt(0)
	buffer_store_dword v137, v0, s[0:3], 0 offen
.LBB127_488:
	v_mov_b32_e32 v0, 0
	global_load_dword v1, v0, s[12:13] offset:96
	s_waitcnt vmcnt(0)
	v_add_nc_u32_e32 v1, -1, v1
	v_cmp_eq_u32_e32 vcc_lo, 24, v1
	s_cbranch_vccnz .LBB127_490
; %bb.489:
	v_lshlrev_b32_e32 v1, 4, v1
	v_mov_b32_e32 v2, s54
	v_add_nc_u32_e32 v1, 16, v1
	s_clause 0x7
	buffer_load_dword v3, v1, s[0:3], 0 offen
	buffer_load_dword v4, v1, s[0:3], 0 offen offset:4
	buffer_load_dword v5, v1, s[0:3], 0 offen offset:8
	buffer_load_dword v6, v1, s[0:3], 0 offen offset:12
	buffer_load_dword v7, v2, s[0:3], 0 offen offset:12
	buffer_load_dword v8, v2, s[0:3], 0 offen offset:8
	buffer_load_dword v137, v2, s[0:3], 0 offen offset:4
	buffer_load_dword v138, v2, s[0:3], 0 offen
	s_waitcnt vmcnt(7)
	buffer_store_dword v3, v2, s[0:3], 0 offen
	s_waitcnt vmcnt(6)
	buffer_store_dword v4, v2, s[0:3], 0 offen offset:4
	s_waitcnt vmcnt(5)
	buffer_store_dword v5, v2, s[0:3], 0 offen offset:8
	;; [unrolled: 2-line block ×6, first 2 shown]
	s_waitcnt vmcnt(0)
	buffer_store_dword v138, v1, s[0:3], 0 offen
.LBB127_490:
	global_load_dword v0, v0, s[12:13] offset:92
	s_waitcnt vmcnt(0)
	v_add_nc_u32_e32 v0, -1, v0
	v_cmp_eq_u32_e32 vcc_lo, 23, v0
	s_cbranch_vccnz .LBB127_492
; %bb.491:
	v_lshlrev_b32_e32 v0, 4, v0
	v_mov_b32_e32 v1, s55
	v_add_nc_u32_e32 v0, 16, v0
	s_clause 0x7
	buffer_load_dword v2, v0, s[0:3], 0 offen
	buffer_load_dword v3, v0, s[0:3], 0 offen offset:4
	buffer_load_dword v4, v0, s[0:3], 0 offen offset:8
	;; [unrolled: 1-line block ×6, first 2 shown]
	buffer_load_dword v137, v1, s[0:3], 0 offen
	s_waitcnt vmcnt(7)
	buffer_store_dword v2, v1, s[0:3], 0 offen
	s_waitcnt vmcnt(6)
	buffer_store_dword v3, v1, s[0:3], 0 offen offset:4
	s_waitcnt vmcnt(5)
	buffer_store_dword v4, v1, s[0:3], 0 offen offset:8
	;; [unrolled: 2-line block ×6, first 2 shown]
	s_waitcnt vmcnt(0)
	buffer_store_dword v137, v0, s[0:3], 0 offen
.LBB127_492:
	v_mov_b32_e32 v0, 0
	global_load_dword v1, v0, s[12:13] offset:88
	s_waitcnt vmcnt(0)
	v_add_nc_u32_e32 v1, -1, v1
	v_cmp_eq_u32_e32 vcc_lo, 22, v1
	s_cbranch_vccnz .LBB127_494
; %bb.493:
	v_lshlrev_b32_e32 v1, 4, v1
	v_mov_b32_e32 v2, s56
	v_add_nc_u32_e32 v1, 16, v1
	s_clause 0x7
	buffer_load_dword v3, v1, s[0:3], 0 offen
	buffer_load_dword v4, v1, s[0:3], 0 offen offset:4
	buffer_load_dword v5, v1, s[0:3], 0 offen offset:8
	;; [unrolled: 1-line block ×6, first 2 shown]
	buffer_load_dword v138, v2, s[0:3], 0 offen
	s_waitcnt vmcnt(7)
	buffer_store_dword v3, v2, s[0:3], 0 offen
	s_waitcnt vmcnt(6)
	buffer_store_dword v4, v2, s[0:3], 0 offen offset:4
	s_waitcnt vmcnt(5)
	buffer_store_dword v5, v2, s[0:3], 0 offen offset:8
	s_waitcnt vmcnt(4)
	buffer_store_dword v6, v2, s[0:3], 0 offen offset:12
	s_waitcnt vmcnt(3)
	buffer_store_dword v7, v1, s[0:3], 0 offen offset:12
	s_waitcnt vmcnt(2)
	buffer_store_dword v8, v1, s[0:3], 0 offen offset:8
	s_waitcnt vmcnt(1)
	buffer_store_dword v137, v1, s[0:3], 0 offen offset:4
	s_waitcnt vmcnt(0)
	buffer_store_dword v138, v1, s[0:3], 0 offen
.LBB127_494:
	global_load_dword v0, v0, s[12:13] offset:84
	s_waitcnt vmcnt(0)
	v_add_nc_u32_e32 v0, -1, v0
	v_cmp_eq_u32_e32 vcc_lo, 21, v0
	s_cbranch_vccnz .LBB127_496
; %bb.495:
	v_lshlrev_b32_e32 v0, 4, v0
	v_mov_b32_e32 v1, s57
	v_add_nc_u32_e32 v0, 16, v0
	s_clause 0x7
	buffer_load_dword v2, v0, s[0:3], 0 offen
	buffer_load_dword v3, v0, s[0:3], 0 offen offset:4
	buffer_load_dword v4, v0, s[0:3], 0 offen offset:8
	;; [unrolled: 1-line block ×6, first 2 shown]
	buffer_load_dword v137, v1, s[0:3], 0 offen
	s_waitcnt vmcnt(7)
	buffer_store_dword v2, v1, s[0:3], 0 offen
	s_waitcnt vmcnt(6)
	buffer_store_dword v3, v1, s[0:3], 0 offen offset:4
	s_waitcnt vmcnt(5)
	buffer_store_dword v4, v1, s[0:3], 0 offen offset:8
	s_waitcnt vmcnt(4)
	buffer_store_dword v5, v1, s[0:3], 0 offen offset:12
	s_waitcnt vmcnt(3)
	buffer_store_dword v6, v0, s[0:3], 0 offen offset:12
	s_waitcnt vmcnt(2)
	buffer_store_dword v7, v0, s[0:3], 0 offen offset:8
	s_waitcnt vmcnt(1)
	buffer_store_dword v8, v0, s[0:3], 0 offen offset:4
	s_waitcnt vmcnt(0)
	buffer_store_dword v137, v0, s[0:3], 0 offen
.LBB127_496:
	v_mov_b32_e32 v0, 0
	global_load_dword v1, v0, s[12:13] offset:80
	s_waitcnt vmcnt(0)
	v_add_nc_u32_e32 v1, -1, v1
	v_cmp_eq_u32_e32 vcc_lo, 20, v1
	s_cbranch_vccnz .LBB127_498
; %bb.497:
	v_lshlrev_b32_e32 v1, 4, v1
	v_mov_b32_e32 v2, s58
	v_add_nc_u32_e32 v1, 16, v1
	s_clause 0x7
	buffer_load_dword v3, v1, s[0:3], 0 offen
	buffer_load_dword v4, v1, s[0:3], 0 offen offset:4
	buffer_load_dword v5, v1, s[0:3], 0 offen offset:8
	;; [unrolled: 1-line block ×6, first 2 shown]
	buffer_load_dword v138, v2, s[0:3], 0 offen
	s_waitcnt vmcnt(7)
	buffer_store_dword v3, v2, s[0:3], 0 offen
	s_waitcnt vmcnt(6)
	buffer_store_dword v4, v2, s[0:3], 0 offen offset:4
	s_waitcnt vmcnt(5)
	buffer_store_dword v5, v2, s[0:3], 0 offen offset:8
	;; [unrolled: 2-line block ×6, first 2 shown]
	s_waitcnt vmcnt(0)
	buffer_store_dword v138, v1, s[0:3], 0 offen
.LBB127_498:
	global_load_dword v0, v0, s[12:13] offset:76
	s_waitcnt vmcnt(0)
	v_add_nc_u32_e32 v0, -1, v0
	v_cmp_eq_u32_e32 vcc_lo, 19, v0
	s_cbranch_vccnz .LBB127_500
; %bb.499:
	v_lshlrev_b32_e32 v0, 4, v0
	v_mov_b32_e32 v1, s59
	v_add_nc_u32_e32 v0, 16, v0
	s_clause 0x7
	buffer_load_dword v2, v0, s[0:3], 0 offen
	buffer_load_dword v3, v0, s[0:3], 0 offen offset:4
	buffer_load_dword v4, v0, s[0:3], 0 offen offset:8
	;; [unrolled: 1-line block ×6, first 2 shown]
	buffer_load_dword v137, v1, s[0:3], 0 offen
	s_waitcnt vmcnt(7)
	buffer_store_dword v2, v1, s[0:3], 0 offen
	s_waitcnt vmcnt(6)
	buffer_store_dword v3, v1, s[0:3], 0 offen offset:4
	s_waitcnt vmcnt(5)
	buffer_store_dword v4, v1, s[0:3], 0 offen offset:8
	;; [unrolled: 2-line block ×6, first 2 shown]
	s_waitcnt vmcnt(0)
	buffer_store_dword v137, v0, s[0:3], 0 offen
.LBB127_500:
	v_mov_b32_e32 v0, 0
	global_load_dword v1, v0, s[12:13] offset:72
	s_waitcnt vmcnt(0)
	v_add_nc_u32_e32 v1, -1, v1
	v_cmp_eq_u32_e32 vcc_lo, 18, v1
	s_cbranch_vccnz .LBB127_502
; %bb.501:
	v_lshlrev_b32_e32 v1, 4, v1
	v_mov_b32_e32 v2, s60
	v_add_nc_u32_e32 v1, 16, v1
	s_clause 0x7
	buffer_load_dword v3, v1, s[0:3], 0 offen
	buffer_load_dword v4, v1, s[0:3], 0 offen offset:4
	buffer_load_dword v5, v1, s[0:3], 0 offen offset:8
	;; [unrolled: 1-line block ×6, first 2 shown]
	buffer_load_dword v138, v2, s[0:3], 0 offen
	s_waitcnt vmcnt(7)
	buffer_store_dword v3, v2, s[0:3], 0 offen
	s_waitcnt vmcnt(6)
	buffer_store_dword v4, v2, s[0:3], 0 offen offset:4
	s_waitcnt vmcnt(5)
	buffer_store_dword v5, v2, s[0:3], 0 offen offset:8
	s_waitcnt vmcnt(4)
	buffer_store_dword v6, v2, s[0:3], 0 offen offset:12
	s_waitcnt vmcnt(3)
	buffer_store_dword v7, v1, s[0:3], 0 offen offset:12
	s_waitcnt vmcnt(2)
	buffer_store_dword v8, v1, s[0:3], 0 offen offset:8
	s_waitcnt vmcnt(1)
	buffer_store_dword v137, v1, s[0:3], 0 offen offset:4
	s_waitcnt vmcnt(0)
	buffer_store_dword v138, v1, s[0:3], 0 offen
.LBB127_502:
	global_load_dword v0, v0, s[12:13] offset:68
	s_waitcnt vmcnt(0)
	v_add_nc_u32_e32 v0, -1, v0
	v_cmp_eq_u32_e32 vcc_lo, 17, v0
	s_cbranch_vccnz .LBB127_504
; %bb.503:
	v_lshlrev_b32_e32 v0, 4, v0
	v_mov_b32_e32 v1, s61
	v_add_nc_u32_e32 v0, 16, v0
	s_clause 0x7
	buffer_load_dword v2, v0, s[0:3], 0 offen
	buffer_load_dword v3, v0, s[0:3], 0 offen offset:4
	buffer_load_dword v4, v0, s[0:3], 0 offen offset:8
	buffer_load_dword v5, v0, s[0:3], 0 offen offset:12
	buffer_load_dword v6, v1, s[0:3], 0 offen offset:12
	buffer_load_dword v7, v1, s[0:3], 0 offen offset:8
	buffer_load_dword v8, v1, s[0:3], 0 offen offset:4
	buffer_load_dword v137, v1, s[0:3], 0 offen
	s_waitcnt vmcnt(7)
	buffer_store_dword v2, v1, s[0:3], 0 offen
	s_waitcnt vmcnt(6)
	buffer_store_dword v3, v1, s[0:3], 0 offen offset:4
	s_waitcnt vmcnt(5)
	buffer_store_dword v4, v1, s[0:3], 0 offen offset:8
	;; [unrolled: 2-line block ×6, first 2 shown]
	s_waitcnt vmcnt(0)
	buffer_store_dword v137, v0, s[0:3], 0 offen
.LBB127_504:
	v_mov_b32_e32 v0, 0
	global_load_dword v1, v0, s[12:13] offset:64
	s_waitcnt vmcnt(0)
	v_add_nc_u32_e32 v1, -1, v1
	v_cmp_eq_u32_e32 vcc_lo, 16, v1
	s_cbranch_vccnz .LBB127_506
; %bb.505:
	v_lshlrev_b32_e32 v1, 4, v1
	v_mov_b32_e32 v2, s62
	v_add_nc_u32_e32 v1, 16, v1
	s_clause 0x7
	buffer_load_dword v3, v1, s[0:3], 0 offen
	buffer_load_dword v4, v1, s[0:3], 0 offen offset:4
	buffer_load_dword v5, v1, s[0:3], 0 offen offset:8
	;; [unrolled: 1-line block ×6, first 2 shown]
	buffer_load_dword v138, v2, s[0:3], 0 offen
	s_waitcnt vmcnt(7)
	buffer_store_dword v3, v2, s[0:3], 0 offen
	s_waitcnt vmcnt(6)
	buffer_store_dword v4, v2, s[0:3], 0 offen offset:4
	s_waitcnt vmcnt(5)
	buffer_store_dword v5, v2, s[0:3], 0 offen offset:8
	;; [unrolled: 2-line block ×6, first 2 shown]
	s_waitcnt vmcnt(0)
	buffer_store_dword v138, v1, s[0:3], 0 offen
.LBB127_506:
	global_load_dword v0, v0, s[12:13] offset:60
	s_waitcnt vmcnt(0)
	v_add_nc_u32_e32 v0, -1, v0
	v_cmp_eq_u32_e32 vcc_lo, 15, v0
	s_cbranch_vccnz .LBB127_508
; %bb.507:
	v_lshlrev_b32_e32 v0, 4, v0
	v_mov_b32_e32 v1, s63
	v_add_nc_u32_e32 v0, 16, v0
	s_clause 0x7
	buffer_load_dword v2, v0, s[0:3], 0 offen
	buffer_load_dword v3, v0, s[0:3], 0 offen offset:4
	buffer_load_dword v4, v0, s[0:3], 0 offen offset:8
	;; [unrolled: 1-line block ×6, first 2 shown]
	buffer_load_dword v137, v1, s[0:3], 0 offen
	s_waitcnt vmcnt(7)
	buffer_store_dword v2, v1, s[0:3], 0 offen
	s_waitcnt vmcnt(6)
	buffer_store_dword v3, v1, s[0:3], 0 offen offset:4
	s_waitcnt vmcnt(5)
	buffer_store_dword v4, v1, s[0:3], 0 offen offset:8
	;; [unrolled: 2-line block ×6, first 2 shown]
	s_waitcnt vmcnt(0)
	buffer_store_dword v137, v0, s[0:3], 0 offen
.LBB127_508:
	v_mov_b32_e32 v0, 0
	global_load_dword v1, v0, s[12:13] offset:56
	s_waitcnt vmcnt(0)
	v_add_nc_u32_e32 v1, -1, v1
	v_cmp_eq_u32_e32 vcc_lo, 14, v1
	s_cbranch_vccnz .LBB127_510
; %bb.509:
	v_lshlrev_b32_e32 v1, 4, v1
	v_mov_b32_e32 v2, s64
	v_add_nc_u32_e32 v1, 16, v1
	s_clause 0x7
	buffer_load_dword v3, v1, s[0:3], 0 offen
	buffer_load_dword v4, v1, s[0:3], 0 offen offset:4
	buffer_load_dword v5, v1, s[0:3], 0 offen offset:8
	;; [unrolled: 1-line block ×6, first 2 shown]
	buffer_load_dword v138, v2, s[0:3], 0 offen
	s_waitcnt vmcnt(7)
	buffer_store_dword v3, v2, s[0:3], 0 offen
	s_waitcnt vmcnt(6)
	buffer_store_dword v4, v2, s[0:3], 0 offen offset:4
	s_waitcnt vmcnt(5)
	buffer_store_dword v5, v2, s[0:3], 0 offen offset:8
	;; [unrolled: 2-line block ×6, first 2 shown]
	s_waitcnt vmcnt(0)
	buffer_store_dword v138, v1, s[0:3], 0 offen
.LBB127_510:
	global_load_dword v0, v0, s[12:13] offset:52
	s_waitcnt vmcnt(0)
	v_add_nc_u32_e32 v0, -1, v0
	v_cmp_eq_u32_e32 vcc_lo, 13, v0
	s_cbranch_vccnz .LBB127_512
; %bb.511:
	v_lshlrev_b32_e32 v0, 4, v0
	v_mov_b32_e32 v1, s65
	v_add_nc_u32_e32 v0, 16, v0
	s_clause 0x7
	buffer_load_dword v2, v0, s[0:3], 0 offen
	buffer_load_dword v3, v0, s[0:3], 0 offen offset:4
	buffer_load_dword v4, v0, s[0:3], 0 offen offset:8
	;; [unrolled: 1-line block ×6, first 2 shown]
	buffer_load_dword v137, v1, s[0:3], 0 offen
	s_waitcnt vmcnt(7)
	buffer_store_dword v2, v1, s[0:3], 0 offen
	s_waitcnt vmcnt(6)
	buffer_store_dword v3, v1, s[0:3], 0 offen offset:4
	s_waitcnt vmcnt(5)
	buffer_store_dword v4, v1, s[0:3], 0 offen offset:8
	;; [unrolled: 2-line block ×6, first 2 shown]
	s_waitcnt vmcnt(0)
	buffer_store_dword v137, v0, s[0:3], 0 offen
.LBB127_512:
	v_mov_b32_e32 v0, 0
	global_load_dword v1, v0, s[12:13] offset:48
	s_waitcnt vmcnt(0)
	v_add_nc_u32_e32 v1, -1, v1
	v_cmp_eq_u32_e32 vcc_lo, 12, v1
	s_cbranch_vccnz .LBB127_514
; %bb.513:
	v_lshlrev_b32_e32 v1, 4, v1
	v_mov_b32_e32 v2, s66
	v_add_nc_u32_e32 v1, 16, v1
	s_clause 0x7
	buffer_load_dword v3, v1, s[0:3], 0 offen
	buffer_load_dword v4, v1, s[0:3], 0 offen offset:4
	buffer_load_dword v5, v1, s[0:3], 0 offen offset:8
	;; [unrolled: 1-line block ×6, first 2 shown]
	buffer_load_dword v138, v2, s[0:3], 0 offen
	s_waitcnt vmcnt(7)
	buffer_store_dword v3, v2, s[0:3], 0 offen
	s_waitcnt vmcnt(6)
	buffer_store_dword v4, v2, s[0:3], 0 offen offset:4
	s_waitcnt vmcnt(5)
	buffer_store_dword v5, v2, s[0:3], 0 offen offset:8
	;; [unrolled: 2-line block ×6, first 2 shown]
	s_waitcnt vmcnt(0)
	buffer_store_dword v138, v1, s[0:3], 0 offen
.LBB127_514:
	global_load_dword v0, v0, s[12:13] offset:44
	s_waitcnt vmcnt(0)
	v_add_nc_u32_e32 v0, -1, v0
	v_cmp_eq_u32_e32 vcc_lo, 11, v0
	s_cbranch_vccnz .LBB127_516
; %bb.515:
	v_lshlrev_b32_e32 v0, 4, v0
	v_mov_b32_e32 v1, s67
	v_add_nc_u32_e32 v0, 16, v0
	s_clause 0x7
	buffer_load_dword v2, v0, s[0:3], 0 offen
	buffer_load_dword v3, v0, s[0:3], 0 offen offset:4
	buffer_load_dword v4, v0, s[0:3], 0 offen offset:8
	;; [unrolled: 1-line block ×6, first 2 shown]
	buffer_load_dword v137, v1, s[0:3], 0 offen
	s_waitcnt vmcnt(7)
	buffer_store_dword v2, v1, s[0:3], 0 offen
	s_waitcnt vmcnt(6)
	buffer_store_dword v3, v1, s[0:3], 0 offen offset:4
	s_waitcnt vmcnt(5)
	buffer_store_dword v4, v1, s[0:3], 0 offen offset:8
	s_waitcnt vmcnt(4)
	buffer_store_dword v5, v1, s[0:3], 0 offen offset:12
	s_waitcnt vmcnt(3)
	buffer_store_dword v6, v0, s[0:3], 0 offen offset:12
	s_waitcnt vmcnt(2)
	buffer_store_dword v7, v0, s[0:3], 0 offen offset:8
	s_waitcnt vmcnt(1)
	buffer_store_dword v8, v0, s[0:3], 0 offen offset:4
	s_waitcnt vmcnt(0)
	buffer_store_dword v137, v0, s[0:3], 0 offen
.LBB127_516:
	v_mov_b32_e32 v0, 0
	global_load_dword v1, v0, s[12:13] offset:40
	s_waitcnt vmcnt(0)
	v_add_nc_u32_e32 v1, -1, v1
	v_cmp_eq_u32_e32 vcc_lo, 10, v1
	s_cbranch_vccnz .LBB127_518
; %bb.517:
	v_lshlrev_b32_e32 v1, 4, v1
	v_mov_b32_e32 v2, s68
	v_add_nc_u32_e32 v1, 16, v1
	s_clause 0x7
	buffer_load_dword v3, v1, s[0:3], 0 offen
	buffer_load_dword v4, v1, s[0:3], 0 offen offset:4
	buffer_load_dword v5, v1, s[0:3], 0 offen offset:8
	;; [unrolled: 1-line block ×6, first 2 shown]
	buffer_load_dword v138, v2, s[0:3], 0 offen
	s_waitcnt vmcnt(7)
	buffer_store_dword v3, v2, s[0:3], 0 offen
	s_waitcnt vmcnt(6)
	buffer_store_dword v4, v2, s[0:3], 0 offen offset:4
	s_waitcnt vmcnt(5)
	buffer_store_dword v5, v2, s[0:3], 0 offen offset:8
	;; [unrolled: 2-line block ×6, first 2 shown]
	s_waitcnt vmcnt(0)
	buffer_store_dword v138, v1, s[0:3], 0 offen
.LBB127_518:
	global_load_dword v0, v0, s[12:13] offset:36
	s_waitcnt vmcnt(0)
	v_add_nc_u32_e32 v0, -1, v0
	v_cmp_eq_u32_e32 vcc_lo, 9, v0
	s_cbranch_vccnz .LBB127_520
; %bb.519:
	v_lshlrev_b32_e32 v0, 4, v0
	v_mov_b32_e32 v1, s69
	v_add_nc_u32_e32 v0, 16, v0
	s_clause 0x7
	buffer_load_dword v2, v0, s[0:3], 0 offen
	buffer_load_dword v3, v0, s[0:3], 0 offen offset:4
	buffer_load_dword v4, v0, s[0:3], 0 offen offset:8
	;; [unrolled: 1-line block ×6, first 2 shown]
	buffer_load_dword v137, v1, s[0:3], 0 offen
	s_waitcnt vmcnt(7)
	buffer_store_dword v2, v1, s[0:3], 0 offen
	s_waitcnt vmcnt(6)
	buffer_store_dword v3, v1, s[0:3], 0 offen offset:4
	s_waitcnt vmcnt(5)
	buffer_store_dword v4, v1, s[0:3], 0 offen offset:8
	;; [unrolled: 2-line block ×6, first 2 shown]
	s_waitcnt vmcnt(0)
	buffer_store_dword v137, v0, s[0:3], 0 offen
.LBB127_520:
	v_mov_b32_e32 v0, 0
	global_load_dword v1, v0, s[12:13] offset:32
	s_waitcnt vmcnt(0)
	v_add_nc_u32_e32 v1, -1, v1
	v_cmp_eq_u32_e32 vcc_lo, 8, v1
	s_cbranch_vccnz .LBB127_522
; %bb.521:
	v_lshlrev_b32_e32 v1, 4, v1
	v_mov_b32_e32 v2, s70
	v_add_nc_u32_e32 v1, 16, v1
	s_clause 0x7
	buffer_load_dword v3, v1, s[0:3], 0 offen
	buffer_load_dword v4, v1, s[0:3], 0 offen offset:4
	buffer_load_dword v5, v1, s[0:3], 0 offen offset:8
	;; [unrolled: 1-line block ×6, first 2 shown]
	buffer_load_dword v138, v2, s[0:3], 0 offen
	s_waitcnt vmcnt(7)
	buffer_store_dword v3, v2, s[0:3], 0 offen
	s_waitcnt vmcnt(6)
	buffer_store_dword v4, v2, s[0:3], 0 offen offset:4
	s_waitcnt vmcnt(5)
	buffer_store_dword v5, v2, s[0:3], 0 offen offset:8
	;; [unrolled: 2-line block ×6, first 2 shown]
	s_waitcnt vmcnt(0)
	buffer_store_dword v138, v1, s[0:3], 0 offen
.LBB127_522:
	global_load_dword v0, v0, s[12:13] offset:28
	s_waitcnt vmcnt(0)
	v_add_nc_u32_e32 v0, -1, v0
	v_cmp_eq_u32_e32 vcc_lo, 7, v0
	s_cbranch_vccnz .LBB127_524
; %bb.523:
	v_lshlrev_b32_e32 v0, 4, v0
	v_mov_b32_e32 v1, s71
	v_add_nc_u32_e32 v0, 16, v0
	s_clause 0x7
	buffer_load_dword v2, v0, s[0:3], 0 offen
	buffer_load_dword v3, v0, s[0:3], 0 offen offset:4
	buffer_load_dword v4, v0, s[0:3], 0 offen offset:8
	;; [unrolled: 1-line block ×6, first 2 shown]
	buffer_load_dword v137, v1, s[0:3], 0 offen
	s_waitcnt vmcnt(7)
	buffer_store_dword v2, v1, s[0:3], 0 offen
	s_waitcnt vmcnt(6)
	buffer_store_dword v3, v1, s[0:3], 0 offen offset:4
	s_waitcnt vmcnt(5)
	buffer_store_dword v4, v1, s[0:3], 0 offen offset:8
	;; [unrolled: 2-line block ×6, first 2 shown]
	s_waitcnt vmcnt(0)
	buffer_store_dword v137, v0, s[0:3], 0 offen
.LBB127_524:
	v_mov_b32_e32 v0, 0
	global_load_dword v1, v0, s[12:13] offset:24
	s_waitcnt vmcnt(0)
	v_add_nc_u32_e32 v1, -1, v1
	v_cmp_eq_u32_e32 vcc_lo, 6, v1
	s_cbranch_vccnz .LBB127_526
; %bb.525:
	v_lshlrev_b32_e32 v1, 4, v1
	v_mov_b32_e32 v2, s72
	v_add_nc_u32_e32 v1, 16, v1
	s_clause 0x7
	buffer_load_dword v3, v1, s[0:3], 0 offen
	buffer_load_dword v4, v1, s[0:3], 0 offen offset:4
	buffer_load_dword v5, v1, s[0:3], 0 offen offset:8
	buffer_load_dword v6, v1, s[0:3], 0 offen offset:12
	buffer_load_dword v7, v2, s[0:3], 0 offen offset:12
	buffer_load_dword v8, v2, s[0:3], 0 offen offset:8
	buffer_load_dword v137, v2, s[0:3], 0 offen offset:4
	buffer_load_dword v138, v2, s[0:3], 0 offen
	s_waitcnt vmcnt(7)
	buffer_store_dword v3, v2, s[0:3], 0 offen
	s_waitcnt vmcnt(6)
	buffer_store_dword v4, v2, s[0:3], 0 offen offset:4
	s_waitcnt vmcnt(5)
	buffer_store_dword v5, v2, s[0:3], 0 offen offset:8
	;; [unrolled: 2-line block ×6, first 2 shown]
	s_waitcnt vmcnt(0)
	buffer_store_dword v138, v1, s[0:3], 0 offen
.LBB127_526:
	global_load_dword v0, v0, s[12:13] offset:20
	s_waitcnt vmcnt(0)
	v_add_nc_u32_e32 v0, -1, v0
	v_cmp_eq_u32_e32 vcc_lo, 5, v0
	s_cbranch_vccnz .LBB127_528
; %bb.527:
	v_lshlrev_b32_e32 v0, 4, v0
	v_mov_b32_e32 v1, s73
	v_add_nc_u32_e32 v0, 16, v0
	s_clause 0x7
	buffer_load_dword v2, v0, s[0:3], 0 offen
	buffer_load_dword v3, v0, s[0:3], 0 offen offset:4
	buffer_load_dword v4, v0, s[0:3], 0 offen offset:8
	;; [unrolled: 1-line block ×6, first 2 shown]
	buffer_load_dword v137, v1, s[0:3], 0 offen
	s_waitcnt vmcnt(7)
	buffer_store_dword v2, v1, s[0:3], 0 offen
	s_waitcnt vmcnt(6)
	buffer_store_dword v3, v1, s[0:3], 0 offen offset:4
	s_waitcnt vmcnt(5)
	buffer_store_dword v4, v1, s[0:3], 0 offen offset:8
	;; [unrolled: 2-line block ×6, first 2 shown]
	s_waitcnt vmcnt(0)
	buffer_store_dword v137, v0, s[0:3], 0 offen
.LBB127_528:
	v_mov_b32_e32 v0, 0
	global_load_dword v1, v0, s[12:13] offset:16
	s_waitcnt vmcnt(0)
	v_add_nc_u32_e32 v1, -1, v1
	v_cmp_eq_u32_e32 vcc_lo, 4, v1
	s_cbranch_vccnz .LBB127_530
; %bb.529:
	v_lshlrev_b32_e32 v1, 4, v1
	v_mov_b32_e32 v2, s74
	v_add_nc_u32_e32 v1, 16, v1
	s_clause 0x7
	buffer_load_dword v3, v1, s[0:3], 0 offen
	buffer_load_dword v4, v1, s[0:3], 0 offen offset:4
	buffer_load_dword v5, v1, s[0:3], 0 offen offset:8
	;; [unrolled: 1-line block ×6, first 2 shown]
	buffer_load_dword v138, v2, s[0:3], 0 offen
	s_waitcnt vmcnt(7)
	buffer_store_dword v3, v2, s[0:3], 0 offen
	s_waitcnt vmcnt(6)
	buffer_store_dword v4, v2, s[0:3], 0 offen offset:4
	s_waitcnt vmcnt(5)
	buffer_store_dword v5, v2, s[0:3], 0 offen offset:8
	s_waitcnt vmcnt(4)
	buffer_store_dword v6, v2, s[0:3], 0 offen offset:12
	s_waitcnt vmcnt(3)
	buffer_store_dword v7, v1, s[0:3], 0 offen offset:12
	s_waitcnt vmcnt(2)
	buffer_store_dword v8, v1, s[0:3], 0 offen offset:8
	s_waitcnt vmcnt(1)
	buffer_store_dword v137, v1, s[0:3], 0 offen offset:4
	s_waitcnt vmcnt(0)
	buffer_store_dword v138, v1, s[0:3], 0 offen
.LBB127_530:
	global_load_dword v0, v0, s[12:13] offset:12
	s_waitcnt vmcnt(0)
	v_add_nc_u32_e32 v0, -1, v0
	v_cmp_eq_u32_e32 vcc_lo, 3, v0
	s_cbranch_vccnz .LBB127_532
; %bb.531:
	v_lshlrev_b32_e32 v0, 4, v0
	v_mov_b32_e32 v1, s75
	v_add_nc_u32_e32 v0, 16, v0
	s_clause 0x7
	buffer_load_dword v2, v0, s[0:3], 0 offen
	buffer_load_dword v3, v0, s[0:3], 0 offen offset:4
	buffer_load_dword v4, v0, s[0:3], 0 offen offset:8
	;; [unrolled: 1-line block ×6, first 2 shown]
	buffer_load_dword v137, v1, s[0:3], 0 offen
	s_waitcnt vmcnt(7)
	buffer_store_dword v2, v1, s[0:3], 0 offen
	s_waitcnt vmcnt(6)
	buffer_store_dword v3, v1, s[0:3], 0 offen offset:4
	s_waitcnt vmcnt(5)
	buffer_store_dword v4, v1, s[0:3], 0 offen offset:8
	;; [unrolled: 2-line block ×6, first 2 shown]
	s_waitcnt vmcnt(0)
	buffer_store_dword v137, v0, s[0:3], 0 offen
.LBB127_532:
	v_mov_b32_e32 v0, 0
	global_load_dword v1, v0, s[12:13] offset:8
	s_waitcnt vmcnt(0)
	v_add_nc_u32_e32 v1, -1, v1
	v_cmp_eq_u32_e32 vcc_lo, 2, v1
	s_cbranch_vccnz .LBB127_534
; %bb.533:
	v_lshlrev_b32_e32 v1, 4, v1
	v_mov_b32_e32 v2, s76
	v_add_nc_u32_e32 v1, 16, v1
	s_clause 0x7
	buffer_load_dword v3, v1, s[0:3], 0 offen
	buffer_load_dword v4, v1, s[0:3], 0 offen offset:4
	buffer_load_dword v5, v1, s[0:3], 0 offen offset:8
	;; [unrolled: 1-line block ×6, first 2 shown]
	buffer_load_dword v138, v2, s[0:3], 0 offen
	s_waitcnt vmcnt(7)
	buffer_store_dword v3, v2, s[0:3], 0 offen
	s_waitcnt vmcnt(6)
	buffer_store_dword v4, v2, s[0:3], 0 offen offset:4
	s_waitcnt vmcnt(5)
	buffer_store_dword v5, v2, s[0:3], 0 offen offset:8
	;; [unrolled: 2-line block ×6, first 2 shown]
	s_waitcnt vmcnt(0)
	buffer_store_dword v138, v1, s[0:3], 0 offen
.LBB127_534:
	global_load_dword v0, v0, s[12:13] offset:4
	s_waitcnt vmcnt(0)
	v_add_nc_u32_e32 v0, -1, v0
	v_cmp_eq_u32_e32 vcc_lo, 1, v0
	s_cbranch_vccnz .LBB127_536
; %bb.535:
	v_lshlrev_b32_e32 v0, 4, v0
	v_mov_b32_e32 v1, s77
	v_add_nc_u32_e32 v0, 16, v0
	s_clause 0x7
	buffer_load_dword v2, v0, s[0:3], 0 offen
	buffer_load_dword v3, v0, s[0:3], 0 offen offset:4
	buffer_load_dword v4, v0, s[0:3], 0 offen offset:8
	;; [unrolled: 1-line block ×6, first 2 shown]
	buffer_load_dword v137, v1, s[0:3], 0 offen
	s_waitcnt vmcnt(7)
	buffer_store_dword v2, v1, s[0:3], 0 offen
	s_waitcnt vmcnt(6)
	buffer_store_dword v3, v1, s[0:3], 0 offen offset:4
	s_waitcnt vmcnt(5)
	buffer_store_dword v4, v1, s[0:3], 0 offen offset:8
	;; [unrolled: 2-line block ×6, first 2 shown]
	s_waitcnt vmcnt(0)
	buffer_store_dword v137, v0, s[0:3], 0 offen
.LBB127_536:
	v_mov_b32_e32 v0, 0
	global_load_dword v0, v0, s[12:13]
	s_waitcnt vmcnt(0)
	v_add_nc_u32_e32 v0, -1, v0
	v_cmp_eq_u32_e32 vcc_lo, 0, v0
	s_cbranch_vccnz .LBB127_538
; %bb.537:
	v_lshlrev_b32_e32 v0, 4, v0
	v_add_nc_u32_e32 v0, 16, v0
	s_clause 0x7
	buffer_load_dword v1, v0, s[0:3], 0 offen
	buffer_load_dword v2, v0, s[0:3], 0 offen offset:4
	buffer_load_dword v3, v0, s[0:3], 0 offen offset:8
	;; [unrolled: 1-line block ×3, first 2 shown]
	buffer_load_dword v5, off, s[0:3], 0 offset:28
	buffer_load_dword v6, off, s[0:3], 0 offset:24
	;; [unrolled: 1-line block ×4, first 2 shown]
	s_waitcnt vmcnt(7)
	buffer_store_dword v1, off, s[0:3], 0 offset:16
	s_waitcnt vmcnt(6)
	buffer_store_dword v2, off, s[0:3], 0 offset:20
	;; [unrolled: 2-line block ×4, first 2 shown]
	s_waitcnt vmcnt(3)
	buffer_store_dword v5, v0, s[0:3], 0 offen offset:12
	s_waitcnt vmcnt(2)
	buffer_store_dword v6, v0, s[0:3], 0 offen offset:8
	;; [unrolled: 2-line block ×3, first 2 shown]
	s_waitcnt vmcnt(0)
	buffer_store_dword v8, v0, s[0:3], 0 offen
.LBB127_538:
	s_clause 0x3
	buffer_load_dword v0, off, s[0:3], 0 offset:16
	buffer_load_dword v1, off, s[0:3], 0 offset:20
	buffer_load_dword v2, off, s[0:3], 0 offset:24
	buffer_load_dword v3, off, s[0:3], 0 offset:28
	v_mov_b32_e32 v4, s77
	s_waitcnt vmcnt(0)
	flat_store_dwordx4 v[9:10], v[0:3]
	s_clause 0x3
	buffer_load_dword v0, v4, s[0:3], 0 offen
	buffer_load_dword v1, v4, s[0:3], 0 offen offset:4
	buffer_load_dword v2, v4, s[0:3], 0 offen offset:8
	buffer_load_dword v3, v4, s[0:3], 0 offen offset:12
	v_mov_b32_e32 v4, s76
	s_waitcnt vmcnt(0)
	flat_store_dwordx4 v[63:64], v[0:3]
	s_clause 0x3
	buffer_load_dword v0, v4, s[0:3], 0 offen
	buffer_load_dword v1, v4, s[0:3], 0 offen offset:4
	buffer_load_dword v2, v4, s[0:3], 0 offen offset:8
	buffer_load_dword v3, v4, s[0:3], 0 offen offset:12
	;; [unrolled: 8-line block ×63, first 2 shown]
	s_waitcnt vmcnt(0)
	flat_store_dwordx4 v[135:136], v[0:3]
	s_endpgm
	.section	.rodata,"a",@progbits
	.p2align	6, 0x0
	.amdhsa_kernel _ZN9rocsolver6v33100L18getri_kernel_smallILi64E19rocblas_complex_numIdEPKPS3_EEvT1_iilPiilS8_bb
		.amdhsa_group_segment_fixed_size 2056
		.amdhsa_private_segment_fixed_size 1056
		.amdhsa_kernarg_size 60
		.amdhsa_user_sgpr_count 6
		.amdhsa_user_sgpr_private_segment_buffer 1
		.amdhsa_user_sgpr_dispatch_ptr 0
		.amdhsa_user_sgpr_queue_ptr 0
		.amdhsa_user_sgpr_kernarg_segment_ptr 1
		.amdhsa_user_sgpr_dispatch_id 0
		.amdhsa_user_sgpr_flat_scratch_init 0
		.amdhsa_user_sgpr_private_segment_size 0
		.amdhsa_wavefront_size32 1
		.amdhsa_uses_dynamic_stack 0
		.amdhsa_system_sgpr_private_segment_wavefront_offset 1
		.amdhsa_system_sgpr_workgroup_id_x 1
		.amdhsa_system_sgpr_workgroup_id_y 0
		.amdhsa_system_sgpr_workgroup_id_z 0
		.amdhsa_system_sgpr_workgroup_info 0
		.amdhsa_system_vgpr_workitem_id 0
		.amdhsa_next_free_vgpr 224
		.amdhsa_next_free_sgpr 105
		.amdhsa_reserve_vcc 1
		.amdhsa_reserve_flat_scratch 0
		.amdhsa_float_round_mode_32 0
		.amdhsa_float_round_mode_16_64 0
		.amdhsa_float_denorm_mode_32 3
		.amdhsa_float_denorm_mode_16_64 3
		.amdhsa_dx10_clamp 1
		.amdhsa_ieee_mode 1
		.amdhsa_fp16_overflow 0
		.amdhsa_workgroup_processor_mode 1
		.amdhsa_memory_ordered 1
		.amdhsa_forward_progress 1
		.amdhsa_shared_vgpr_count 0
		.amdhsa_exception_fp_ieee_invalid_op 0
		.amdhsa_exception_fp_denorm_src 0
		.amdhsa_exception_fp_ieee_div_zero 0
		.amdhsa_exception_fp_ieee_overflow 0
		.amdhsa_exception_fp_ieee_underflow 0
		.amdhsa_exception_fp_ieee_inexact 0
		.amdhsa_exception_int_div_zero 0
	.end_amdhsa_kernel
	.section	.text._ZN9rocsolver6v33100L18getri_kernel_smallILi64E19rocblas_complex_numIdEPKPS3_EEvT1_iilPiilS8_bb,"axG",@progbits,_ZN9rocsolver6v33100L18getri_kernel_smallILi64E19rocblas_complex_numIdEPKPS3_EEvT1_iilPiilS8_bb,comdat
.Lfunc_end127:
	.size	_ZN9rocsolver6v33100L18getri_kernel_smallILi64E19rocblas_complex_numIdEPKPS3_EEvT1_iilPiilS8_bb, .Lfunc_end127-_ZN9rocsolver6v33100L18getri_kernel_smallILi64E19rocblas_complex_numIdEPKPS3_EEvT1_iilPiilS8_bb
                                        ; -- End function
	.set _ZN9rocsolver6v33100L18getri_kernel_smallILi64E19rocblas_complex_numIdEPKPS3_EEvT1_iilPiilS8_bb.num_vgpr, 224
	.set _ZN9rocsolver6v33100L18getri_kernel_smallILi64E19rocblas_complex_numIdEPKPS3_EEvT1_iilPiilS8_bb.num_agpr, 0
	.set _ZN9rocsolver6v33100L18getri_kernel_smallILi64E19rocblas_complex_numIdEPKPS3_EEvT1_iilPiilS8_bb.numbered_sgpr, 105
	.set _ZN9rocsolver6v33100L18getri_kernel_smallILi64E19rocblas_complex_numIdEPKPS3_EEvT1_iilPiilS8_bb.num_named_barrier, 0
	.set _ZN9rocsolver6v33100L18getri_kernel_smallILi64E19rocblas_complex_numIdEPKPS3_EEvT1_iilPiilS8_bb.private_seg_size, 1056
	.set _ZN9rocsolver6v33100L18getri_kernel_smallILi64E19rocblas_complex_numIdEPKPS3_EEvT1_iilPiilS8_bb.uses_vcc, 1
	.set _ZN9rocsolver6v33100L18getri_kernel_smallILi64E19rocblas_complex_numIdEPKPS3_EEvT1_iilPiilS8_bb.uses_flat_scratch, 0
	.set _ZN9rocsolver6v33100L18getri_kernel_smallILi64E19rocblas_complex_numIdEPKPS3_EEvT1_iilPiilS8_bb.has_dyn_sized_stack, 0
	.set _ZN9rocsolver6v33100L18getri_kernel_smallILi64E19rocblas_complex_numIdEPKPS3_EEvT1_iilPiilS8_bb.has_recursion, 0
	.set _ZN9rocsolver6v33100L18getri_kernel_smallILi64E19rocblas_complex_numIdEPKPS3_EEvT1_iilPiilS8_bb.has_indirect_call, 0
	.section	.AMDGPU.csdata,"",@progbits
; Kernel info:
; codeLenInByte = 254144
; TotalNumSgprs: 107
; NumVgprs: 224
; ScratchSize: 1056
; MemoryBound: 0
; FloatMode: 240
; IeeeMode: 1
; LDSByteSize: 2056 bytes/workgroup (compile time only)
; SGPRBlocks: 0
; VGPRBlocks: 27
; NumSGPRsForWavesPerEU: 107
; NumVGPRsForWavesPerEU: 224
; Occupancy: 4
; WaveLimiterHint : 1
; COMPUTE_PGM_RSRC2:SCRATCH_EN: 1
; COMPUTE_PGM_RSRC2:USER_SGPR: 6
; COMPUTE_PGM_RSRC2:TRAP_HANDLER: 0
; COMPUTE_PGM_RSRC2:TGID_X_EN: 1
; COMPUTE_PGM_RSRC2:TGID_Y_EN: 0
; COMPUTE_PGM_RSRC2:TGID_Z_EN: 0
; COMPUTE_PGM_RSRC2:TIDIG_COMP_CNT: 0
	.section	.AMDGPU.gpr_maximums,"",@progbits
	.set amdgpu.max_num_vgpr, 0
	.set amdgpu.max_num_agpr, 0
	.set amdgpu.max_num_sgpr, 0
	.section	.AMDGPU.csdata,"",@progbits
	.type	__hip_cuid_ba180e923b6d2fd3,@object ; @__hip_cuid_ba180e923b6d2fd3
	.section	.bss,"aw",@nobits
	.globl	__hip_cuid_ba180e923b6d2fd3
__hip_cuid_ba180e923b6d2fd3:
	.byte	0                               ; 0x0
	.size	__hip_cuid_ba180e923b6d2fd3, 1

	.ident	"AMD clang version 22.0.0git (https://github.com/RadeonOpenCompute/llvm-project roc-7.2.4 26084 f58b06dce1f9c15707c5f808fd002e18c2accf7e)"
	.section	".note.GNU-stack","",@progbits
	.addrsig
	.addrsig_sym __hip_cuid_ba180e923b6d2fd3
	.amdgpu_metadata
---
amdhsa.kernels:
  - .args:
      - .address_space:  global
        .offset:         0
        .size:           8
        .value_kind:     global_buffer
      - .offset:         8
        .size:           4
        .value_kind:     by_value
      - .offset:         12
        .size:           4
        .value_kind:     by_value
      - .offset:         16
        .size:           8
        .value_kind:     by_value
      - .address_space:  global
        .offset:         24
        .size:           8
        .value_kind:     global_buffer
      - .offset:         32
        .size:           4
        .value_kind:     by_value
      - .offset:         40
        .size:           8
        .value_kind:     by_value
      - .address_space:  global
        .offset:         48
        .size:           8
        .value_kind:     global_buffer
      - .offset:         56
        .size:           1
        .value_kind:     by_value
      - .offset:         57
        .size:           1
        .value_kind:     by_value
    .group_segment_fixed_size: 4
    .kernarg_segment_align: 8
    .kernarg_segment_size: 60
    .language:       OpenCL C
    .language_version:
      - 2
      - 0
    .max_flat_workgroup_size: 64
    .name:           _ZN9rocsolver6v33100L18getri_kernel_smallILi1E19rocblas_complex_numIdEPS3_EEvT1_iilPiilS6_bb
    .private_segment_fixed_size: 0
    .sgpr_count:     16
    .sgpr_spill_count: 0
    .symbol:         _ZN9rocsolver6v33100L18getri_kernel_smallILi1E19rocblas_complex_numIdEPS3_EEvT1_iilPiilS6_bb.kd
    .uniform_work_group_size: 1
    .uses_dynamic_stack: false
    .vgpr_count:     12
    .vgpr_spill_count: 0
    .wavefront_size: 32
    .workgroup_processor_mode: 1
  - .args:
      - .address_space:  global
        .offset:         0
        .size:           8
        .value_kind:     global_buffer
      - .offset:         8
        .size:           4
        .value_kind:     by_value
      - .offset:         12
        .size:           4
        .value_kind:     by_value
      - .offset:         16
        .size:           8
        .value_kind:     by_value
      - .address_space:  global
        .offset:         24
        .size:           8
        .value_kind:     global_buffer
      - .offset:         32
        .size:           4
        .value_kind:     by_value
      - .offset:         40
        .size:           8
        .value_kind:     by_value
      - .address_space:  global
        .offset:         48
        .size:           8
        .value_kind:     global_buffer
      - .offset:         56
        .size:           1
        .value_kind:     by_value
      - .offset:         57
        .size:           1
        .value_kind:     by_value
    .group_segment_fixed_size: 1096
    .kernarg_segment_align: 8
    .kernarg_segment_size: 60
    .language:       OpenCL C
    .language_version:
      - 2
      - 0
    .max_flat_workgroup_size: 64
    .name:           _ZN9rocsolver6v33100L18getri_kernel_smallILi2E19rocblas_complex_numIdEPS3_EEvT1_iilPiilS6_bb
    .private_segment_fixed_size: 48
    .sgpr_count:     30
    .sgpr_spill_count: 0
    .symbol:         _ZN9rocsolver6v33100L18getri_kernel_smallILi2E19rocblas_complex_numIdEPS3_EEvT1_iilPiilS6_bb.kd
    .uniform_work_group_size: 1
    .uses_dynamic_stack: false
    .vgpr_count:     23
    .vgpr_spill_count: 0
    .wavefront_size: 32
    .workgroup_processor_mode: 1
  - .args:
      - .address_space:  global
        .offset:         0
        .size:           8
        .value_kind:     global_buffer
      - .offset:         8
        .size:           4
        .value_kind:     by_value
      - .offset:         12
        .size:           4
        .value_kind:     by_value
      - .offset:         16
        .size:           8
        .value_kind:     by_value
      - .address_space:  global
        .offset:         24
        .size:           8
        .value_kind:     global_buffer
      - .offset:         32
        .size:           4
        .value_kind:     by_value
      - .offset:         40
        .size:           8
        .value_kind:     by_value
      - .address_space:  global
        .offset:         48
        .size:           8
        .value_kind:     global_buffer
      - .offset:         56
        .size:           1
        .value_kind:     by_value
      - .offset:         57
        .size:           1
        .value_kind:     by_value
    .group_segment_fixed_size: 104
    .kernarg_segment_align: 8
    .kernarg_segment_size: 60
    .language:       OpenCL C
    .language_version:
      - 2
      - 0
    .max_flat_workgroup_size: 64
    .name:           _ZN9rocsolver6v33100L18getri_kernel_smallILi3E19rocblas_complex_numIdEPS3_EEvT1_iilPiilS6_bb
    .private_segment_fixed_size: 80
    .sgpr_count:     25
    .sgpr_spill_count: 0
    .symbol:         _ZN9rocsolver6v33100L18getri_kernel_smallILi3E19rocblas_complex_numIdEPS3_EEvT1_iilPiilS6_bb.kd
    .uniform_work_group_size: 1
    .uses_dynamic_stack: false
    .vgpr_count:     31
    .vgpr_spill_count: 0
    .wavefront_size: 32
    .workgroup_processor_mode: 1
  - .args:
      - .address_space:  global
        .offset:         0
        .size:           8
        .value_kind:     global_buffer
      - .offset:         8
        .size:           4
        .value_kind:     by_value
      - .offset:         12
        .size:           4
        .value_kind:     by_value
      - .offset:         16
        .size:           8
        .value_kind:     by_value
      - .address_space:  global
        .offset:         24
        .size:           8
        .value_kind:     global_buffer
      - .offset:         32
        .size:           4
        .value_kind:     by_value
      - .offset:         40
        .size:           8
        .value_kind:     by_value
      - .address_space:  global
        .offset:         48
        .size:           8
        .value_kind:     global_buffer
      - .offset:         56
        .size:           1
        .value_kind:     by_value
      - .offset:         57
        .size:           1
        .value_kind:     by_value
    .group_segment_fixed_size: 1160
    .kernarg_segment_align: 8
    .kernarg_segment_size: 60
    .language:       OpenCL C
    .language_version:
      - 2
      - 0
    .max_flat_workgroup_size: 64
    .name:           _ZN9rocsolver6v33100L18getri_kernel_smallILi4E19rocblas_complex_numIdEPS3_EEvT1_iilPiilS6_bb
    .private_segment_fixed_size: 80
    .sgpr_count:     27
    .sgpr_spill_count: 0
    .symbol:         _ZN9rocsolver6v33100L18getri_kernel_smallILi4E19rocblas_complex_numIdEPS3_EEvT1_iilPiilS6_bb.kd
    .uniform_work_group_size: 1
    .uses_dynamic_stack: false
    .vgpr_count:     45
    .vgpr_spill_count: 0
    .wavefront_size: 32
    .workgroup_processor_mode: 1
  - .args:
      - .address_space:  global
        .offset:         0
        .size:           8
        .value_kind:     global_buffer
      - .offset:         8
        .size:           4
        .value_kind:     by_value
      - .offset:         12
        .size:           4
        .value_kind:     by_value
      - .offset:         16
        .size:           8
        .value_kind:     by_value
      - .address_space:  global
        .offset:         24
        .size:           8
        .value_kind:     global_buffer
      - .offset:         32
        .size:           4
        .value_kind:     by_value
      - .offset:         40
        .size:           8
        .value_kind:     by_value
      - .address_space:  global
        .offset:         48
        .size:           8
        .value_kind:     global_buffer
      - .offset:         56
        .size:           1
        .value_kind:     by_value
      - .offset:         57
        .size:           1
        .value_kind:     by_value
    .group_segment_fixed_size: 1192
    .kernarg_segment_align: 8
    .kernarg_segment_size: 60
    .language:       OpenCL C
    .language_version:
      - 2
      - 0
    .max_flat_workgroup_size: 64
    .name:           _ZN9rocsolver6v33100L18getri_kernel_smallILi5E19rocblas_complex_numIdEPS3_EEvT1_iilPiilS6_bb
    .private_segment_fixed_size: 96
    .sgpr_count:     27
    .sgpr_spill_count: 0
    .symbol:         _ZN9rocsolver6v33100L18getri_kernel_smallILi5E19rocblas_complex_numIdEPS3_EEvT1_iilPiilS6_bb.kd
    .uniform_work_group_size: 1
    .uses_dynamic_stack: false
    .vgpr_count:     51
    .vgpr_spill_count: 0
    .wavefront_size: 32
    .workgroup_processor_mode: 1
  - .args:
      - .address_space:  global
        .offset:         0
        .size:           8
        .value_kind:     global_buffer
      - .offset:         8
        .size:           4
        .value_kind:     by_value
      - .offset:         12
        .size:           4
        .value_kind:     by_value
      - .offset:         16
        .size:           8
        .value_kind:     by_value
      - .address_space:  global
        .offset:         24
        .size:           8
        .value_kind:     global_buffer
      - .offset:         32
        .size:           4
        .value_kind:     by_value
      - .offset:         40
        .size:           8
        .value_kind:     by_value
      - .address_space:  global
        .offset:         48
        .size:           8
        .value_kind:     global_buffer
      - .offset:         56
        .size:           1
        .value_kind:     by_value
      - .offset:         57
        .size:           1
        .value_kind:     by_value
    .group_segment_fixed_size: 1224
    .kernarg_segment_align: 8
    .kernarg_segment_size: 60
    .language:       OpenCL C
    .language_version:
      - 2
      - 0
    .max_flat_workgroup_size: 64
    .name:           _ZN9rocsolver6v33100L18getri_kernel_smallILi6E19rocblas_complex_numIdEPS3_EEvT1_iilPiilS6_bb
    .private_segment_fixed_size: 112
    .sgpr_count:     27
    .sgpr_spill_count: 0
    .symbol:         _ZN9rocsolver6v33100L18getri_kernel_smallILi6E19rocblas_complex_numIdEPS3_EEvT1_iilPiilS6_bb.kd
    .uniform_work_group_size: 1
    .uses_dynamic_stack: false
    .vgpr_count:     57
    .vgpr_spill_count: 0
    .wavefront_size: 32
    .workgroup_processor_mode: 1
  - .args:
      - .address_space:  global
        .offset:         0
        .size:           8
        .value_kind:     global_buffer
      - .offset:         8
        .size:           4
        .value_kind:     by_value
      - .offset:         12
        .size:           4
        .value_kind:     by_value
      - .offset:         16
        .size:           8
        .value_kind:     by_value
      - .address_space:  global
        .offset:         24
        .size:           8
        .value_kind:     global_buffer
      - .offset:         32
        .size:           4
        .value_kind:     by_value
      - .offset:         40
        .size:           8
        .value_kind:     by_value
      - .address_space:  global
        .offset:         48
        .size:           8
        .value_kind:     global_buffer
      - .offset:         56
        .size:           1
        .value_kind:     by_value
      - .offset:         57
        .size:           1
        .value_kind:     by_value
    .group_segment_fixed_size: 1256
    .kernarg_segment_align: 8
    .kernarg_segment_size: 60
    .language:       OpenCL C
    .language_version:
      - 2
      - 0
    .max_flat_workgroup_size: 64
    .name:           _ZN9rocsolver6v33100L18getri_kernel_smallILi7E19rocblas_complex_numIdEPS3_EEvT1_iilPiilS6_bb
    .private_segment_fixed_size: 128
    .sgpr_count:     27
    .sgpr_spill_count: 0
    .symbol:         _ZN9rocsolver6v33100L18getri_kernel_smallILi7E19rocblas_complex_numIdEPS3_EEvT1_iilPiilS6_bb.kd
    .uniform_work_group_size: 1
    .uses_dynamic_stack: false
    .vgpr_count:     63
    .vgpr_spill_count: 0
    .wavefront_size: 32
    .workgroup_processor_mode: 1
  - .args:
      - .address_space:  global
        .offset:         0
        .size:           8
        .value_kind:     global_buffer
      - .offset:         8
        .size:           4
        .value_kind:     by_value
      - .offset:         12
        .size:           4
        .value_kind:     by_value
      - .offset:         16
        .size:           8
        .value_kind:     by_value
      - .address_space:  global
        .offset:         24
        .size:           8
        .value_kind:     global_buffer
      - .offset:         32
        .size:           4
        .value_kind:     by_value
      - .offset:         40
        .size:           8
        .value_kind:     by_value
      - .address_space:  global
        .offset:         48
        .size:           8
        .value_kind:     global_buffer
      - .offset:         56
        .size:           1
        .value_kind:     by_value
      - .offset:         57
        .size:           1
        .value_kind:     by_value
    .group_segment_fixed_size: 1288
    .kernarg_segment_align: 8
    .kernarg_segment_size: 60
    .language:       OpenCL C
    .language_version:
      - 2
      - 0
    .max_flat_workgroup_size: 64
    .name:           _ZN9rocsolver6v33100L18getri_kernel_smallILi8E19rocblas_complex_numIdEPS3_EEvT1_iilPiilS6_bb
    .private_segment_fixed_size: 144
    .sgpr_count:     27
    .sgpr_spill_count: 0
    .symbol:         _ZN9rocsolver6v33100L18getri_kernel_smallILi8E19rocblas_complex_numIdEPS3_EEvT1_iilPiilS6_bb.kd
    .uniform_work_group_size: 1
    .uses_dynamic_stack: false
    .vgpr_count:     69
    .vgpr_spill_count: 0
    .wavefront_size: 32
    .workgroup_processor_mode: 1
  - .args:
      - .address_space:  global
        .offset:         0
        .size:           8
        .value_kind:     global_buffer
      - .offset:         8
        .size:           4
        .value_kind:     by_value
      - .offset:         12
        .size:           4
        .value_kind:     by_value
      - .offset:         16
        .size:           8
        .value_kind:     by_value
      - .address_space:  global
        .offset:         24
        .size:           8
        .value_kind:     global_buffer
      - .offset:         32
        .size:           4
        .value_kind:     by_value
      - .offset:         40
        .size:           8
        .value_kind:     by_value
      - .address_space:  global
        .offset:         48
        .size:           8
        .value_kind:     global_buffer
      - .offset:         56
        .size:           1
        .value_kind:     by_value
      - .offset:         57
        .size:           1
        .value_kind:     by_value
    .group_segment_fixed_size: 1320
    .kernarg_segment_align: 8
    .kernarg_segment_size: 60
    .language:       OpenCL C
    .language_version:
      - 2
      - 0
    .max_flat_workgroup_size: 64
    .name:           _ZN9rocsolver6v33100L18getri_kernel_smallILi9E19rocblas_complex_numIdEPS3_EEvT1_iilPiilS6_bb
    .private_segment_fixed_size: 160
    .sgpr_count:     28
    .sgpr_spill_count: 0
    .symbol:         _ZN9rocsolver6v33100L18getri_kernel_smallILi9E19rocblas_complex_numIdEPS3_EEvT1_iilPiilS6_bb.kd
    .uniform_work_group_size: 1
    .uses_dynamic_stack: false
    .vgpr_count:     75
    .vgpr_spill_count: 0
    .wavefront_size: 32
    .workgroup_processor_mode: 1
  - .args:
      - .address_space:  global
        .offset:         0
        .size:           8
        .value_kind:     global_buffer
      - .offset:         8
        .size:           4
        .value_kind:     by_value
      - .offset:         12
        .size:           4
        .value_kind:     by_value
      - .offset:         16
        .size:           8
        .value_kind:     by_value
      - .address_space:  global
        .offset:         24
        .size:           8
        .value_kind:     global_buffer
      - .offset:         32
        .size:           4
        .value_kind:     by_value
      - .offset:         40
        .size:           8
        .value_kind:     by_value
      - .address_space:  global
        .offset:         48
        .size:           8
        .value_kind:     global_buffer
      - .offset:         56
        .size:           1
        .value_kind:     by_value
      - .offset:         57
        .size:           1
        .value_kind:     by_value
    .group_segment_fixed_size: 1352
    .kernarg_segment_align: 8
    .kernarg_segment_size: 60
    .language:       OpenCL C
    .language_version:
      - 2
      - 0
    .max_flat_workgroup_size: 64
    .name:           _ZN9rocsolver6v33100L18getri_kernel_smallILi10E19rocblas_complex_numIdEPS3_EEvT1_iilPiilS6_bb
    .private_segment_fixed_size: 176
    .sgpr_count:     30
    .sgpr_spill_count: 0
    .symbol:         _ZN9rocsolver6v33100L18getri_kernel_smallILi10E19rocblas_complex_numIdEPS3_EEvT1_iilPiilS6_bb.kd
    .uniform_work_group_size: 1
    .uses_dynamic_stack: false
    .vgpr_count:     81
    .vgpr_spill_count: 0
    .wavefront_size: 32
    .workgroup_processor_mode: 1
  - .args:
      - .address_space:  global
        .offset:         0
        .size:           8
        .value_kind:     global_buffer
      - .offset:         8
        .size:           4
        .value_kind:     by_value
      - .offset:         12
        .size:           4
        .value_kind:     by_value
      - .offset:         16
        .size:           8
        .value_kind:     by_value
      - .address_space:  global
        .offset:         24
        .size:           8
        .value_kind:     global_buffer
      - .offset:         32
        .size:           4
        .value_kind:     by_value
      - .offset:         40
        .size:           8
        .value_kind:     by_value
      - .address_space:  global
        .offset:         48
        .size:           8
        .value_kind:     global_buffer
      - .offset:         56
        .size:           1
        .value_kind:     by_value
      - .offset:         57
        .size:           1
        .value_kind:     by_value
    .group_segment_fixed_size: 1384
    .kernarg_segment_align: 8
    .kernarg_segment_size: 60
    .language:       OpenCL C
    .language_version:
      - 2
      - 0
    .max_flat_workgroup_size: 64
    .name:           _ZN9rocsolver6v33100L18getri_kernel_smallILi11E19rocblas_complex_numIdEPS3_EEvT1_iilPiilS6_bb
    .private_segment_fixed_size: 192
    .sgpr_count:     30
    .sgpr_spill_count: 0
    .symbol:         _ZN9rocsolver6v33100L18getri_kernel_smallILi11E19rocblas_complex_numIdEPS3_EEvT1_iilPiilS6_bb.kd
    .uniform_work_group_size: 1
    .uses_dynamic_stack: false
    .vgpr_count:     87
    .vgpr_spill_count: 0
    .wavefront_size: 32
    .workgroup_processor_mode: 1
  - .args:
      - .address_space:  global
        .offset:         0
        .size:           8
        .value_kind:     global_buffer
      - .offset:         8
        .size:           4
        .value_kind:     by_value
      - .offset:         12
        .size:           4
        .value_kind:     by_value
      - .offset:         16
        .size:           8
        .value_kind:     by_value
      - .address_space:  global
        .offset:         24
        .size:           8
        .value_kind:     global_buffer
      - .offset:         32
        .size:           4
        .value_kind:     by_value
      - .offset:         40
        .size:           8
        .value_kind:     by_value
      - .address_space:  global
        .offset:         48
        .size:           8
        .value_kind:     global_buffer
      - .offset:         56
        .size:           1
        .value_kind:     by_value
      - .offset:         57
        .size:           1
        .value_kind:     by_value
    .group_segment_fixed_size: 1416
    .kernarg_segment_align: 8
    .kernarg_segment_size: 60
    .language:       OpenCL C
    .language_version:
      - 2
      - 0
    .max_flat_workgroup_size: 64
    .name:           _ZN9rocsolver6v33100L18getri_kernel_smallILi12E19rocblas_complex_numIdEPS3_EEvT1_iilPiilS6_bb
    .private_segment_fixed_size: 208
    .sgpr_count:     32
    .sgpr_spill_count: 0
    .symbol:         _ZN9rocsolver6v33100L18getri_kernel_smallILi12E19rocblas_complex_numIdEPS3_EEvT1_iilPiilS6_bb.kd
    .uniform_work_group_size: 1
    .uses_dynamic_stack: false
    .vgpr_count:     93
    .vgpr_spill_count: 0
    .wavefront_size: 32
    .workgroup_processor_mode: 1
  - .args:
      - .address_space:  global
        .offset:         0
        .size:           8
        .value_kind:     global_buffer
      - .offset:         8
        .size:           4
        .value_kind:     by_value
      - .offset:         12
        .size:           4
        .value_kind:     by_value
      - .offset:         16
        .size:           8
        .value_kind:     by_value
      - .address_space:  global
        .offset:         24
        .size:           8
        .value_kind:     global_buffer
      - .offset:         32
        .size:           4
        .value_kind:     by_value
      - .offset:         40
        .size:           8
        .value_kind:     by_value
      - .address_space:  global
        .offset:         48
        .size:           8
        .value_kind:     global_buffer
      - .offset:         56
        .size:           1
        .value_kind:     by_value
      - .offset:         57
        .size:           1
        .value_kind:     by_value
    .group_segment_fixed_size: 1448
    .kernarg_segment_align: 8
    .kernarg_segment_size: 60
    .language:       OpenCL C
    .language_version:
      - 2
      - 0
    .max_flat_workgroup_size: 64
    .name:           _ZN9rocsolver6v33100L18getri_kernel_smallILi13E19rocblas_complex_numIdEPS3_EEvT1_iilPiilS6_bb
    .private_segment_fixed_size: 224
    .sgpr_count:     33
    .sgpr_spill_count: 0
    .symbol:         _ZN9rocsolver6v33100L18getri_kernel_smallILi13E19rocblas_complex_numIdEPS3_EEvT1_iilPiilS6_bb.kd
    .uniform_work_group_size: 1
    .uses_dynamic_stack: false
    .vgpr_count:     99
    .vgpr_spill_count: 0
    .wavefront_size: 32
    .workgroup_processor_mode: 1
  - .args:
      - .address_space:  global
        .offset:         0
        .size:           8
        .value_kind:     global_buffer
      - .offset:         8
        .size:           4
        .value_kind:     by_value
      - .offset:         12
        .size:           4
        .value_kind:     by_value
      - .offset:         16
        .size:           8
        .value_kind:     by_value
      - .address_space:  global
        .offset:         24
        .size:           8
        .value_kind:     global_buffer
      - .offset:         32
        .size:           4
        .value_kind:     by_value
      - .offset:         40
        .size:           8
        .value_kind:     by_value
      - .address_space:  global
        .offset:         48
        .size:           8
        .value_kind:     global_buffer
      - .offset:         56
        .size:           1
        .value_kind:     by_value
      - .offset:         57
        .size:           1
        .value_kind:     by_value
    .group_segment_fixed_size: 1480
    .kernarg_segment_align: 8
    .kernarg_segment_size: 60
    .language:       OpenCL C
    .language_version:
      - 2
      - 0
    .max_flat_workgroup_size: 64
    .name:           _ZN9rocsolver6v33100L18getri_kernel_smallILi14E19rocblas_complex_numIdEPS3_EEvT1_iilPiilS6_bb
    .private_segment_fixed_size: 240
    .sgpr_count:     36
    .sgpr_spill_count: 0
    .symbol:         _ZN9rocsolver6v33100L18getri_kernel_smallILi14E19rocblas_complex_numIdEPS3_EEvT1_iilPiilS6_bb.kd
    .uniform_work_group_size: 1
    .uses_dynamic_stack: false
    .vgpr_count:     105
    .vgpr_spill_count: 0
    .wavefront_size: 32
    .workgroup_processor_mode: 1
  - .args:
      - .address_space:  global
        .offset:         0
        .size:           8
        .value_kind:     global_buffer
      - .offset:         8
        .size:           4
        .value_kind:     by_value
      - .offset:         12
        .size:           4
        .value_kind:     by_value
      - .offset:         16
        .size:           8
        .value_kind:     by_value
      - .address_space:  global
        .offset:         24
        .size:           8
        .value_kind:     global_buffer
      - .offset:         32
        .size:           4
        .value_kind:     by_value
      - .offset:         40
        .size:           8
        .value_kind:     by_value
      - .address_space:  global
        .offset:         48
        .size:           8
        .value_kind:     global_buffer
      - .offset:         56
        .size:           1
        .value_kind:     by_value
      - .offset:         57
        .size:           1
        .value_kind:     by_value
    .group_segment_fixed_size: 1512
    .kernarg_segment_align: 8
    .kernarg_segment_size: 60
    .language:       OpenCL C
    .language_version:
      - 2
      - 0
    .max_flat_workgroup_size: 64
    .name:           _ZN9rocsolver6v33100L18getri_kernel_smallILi15E19rocblas_complex_numIdEPS3_EEvT1_iilPiilS6_bb
    .private_segment_fixed_size: 256
    .sgpr_count:     37
    .sgpr_spill_count: 0
    .symbol:         _ZN9rocsolver6v33100L18getri_kernel_smallILi15E19rocblas_complex_numIdEPS3_EEvT1_iilPiilS6_bb.kd
    .uniform_work_group_size: 1
    .uses_dynamic_stack: false
    .vgpr_count:     111
    .vgpr_spill_count: 0
    .wavefront_size: 32
    .workgroup_processor_mode: 1
  - .args:
      - .address_space:  global
        .offset:         0
        .size:           8
        .value_kind:     global_buffer
      - .offset:         8
        .size:           4
        .value_kind:     by_value
      - .offset:         12
        .size:           4
        .value_kind:     by_value
      - .offset:         16
        .size:           8
        .value_kind:     by_value
      - .address_space:  global
        .offset:         24
        .size:           8
        .value_kind:     global_buffer
      - .offset:         32
        .size:           4
        .value_kind:     by_value
      - .offset:         40
        .size:           8
        .value_kind:     by_value
      - .address_space:  global
        .offset:         48
        .size:           8
        .value_kind:     global_buffer
      - .offset:         56
        .size:           1
        .value_kind:     by_value
      - .offset:         57
        .size:           1
        .value_kind:     by_value
    .group_segment_fixed_size: 1544
    .kernarg_segment_align: 8
    .kernarg_segment_size: 60
    .language:       OpenCL C
    .language_version:
      - 2
      - 0
    .max_flat_workgroup_size: 64
    .name:           _ZN9rocsolver6v33100L18getri_kernel_smallILi16E19rocblas_complex_numIdEPS3_EEvT1_iilPiilS6_bb
    .private_segment_fixed_size: 272
    .sgpr_count:     39
    .sgpr_spill_count: 0
    .symbol:         _ZN9rocsolver6v33100L18getri_kernel_smallILi16E19rocblas_complex_numIdEPS3_EEvT1_iilPiilS6_bb.kd
    .uniform_work_group_size: 1
    .uses_dynamic_stack: false
    .vgpr_count:     117
    .vgpr_spill_count: 0
    .wavefront_size: 32
    .workgroup_processor_mode: 1
  - .args:
      - .address_space:  global
        .offset:         0
        .size:           8
        .value_kind:     global_buffer
      - .offset:         8
        .size:           4
        .value_kind:     by_value
      - .offset:         12
        .size:           4
        .value_kind:     by_value
      - .offset:         16
        .size:           8
        .value_kind:     by_value
      - .address_space:  global
        .offset:         24
        .size:           8
        .value_kind:     global_buffer
      - .offset:         32
        .size:           4
        .value_kind:     by_value
      - .offset:         40
        .size:           8
        .value_kind:     by_value
      - .address_space:  global
        .offset:         48
        .size:           8
        .value_kind:     global_buffer
      - .offset:         56
        .size:           1
        .value_kind:     by_value
      - .offset:         57
        .size:           1
        .value_kind:     by_value
    .group_segment_fixed_size: 552
    .kernarg_segment_align: 8
    .kernarg_segment_size: 60
    .language:       OpenCL C
    .language_version:
      - 2
      - 0
    .max_flat_workgroup_size: 64
    .name:           _ZN9rocsolver6v33100L18getri_kernel_smallILi17E19rocblas_complex_numIdEPS3_EEvT1_iilPiilS6_bb
    .private_segment_fixed_size: 304
    .sgpr_count:     38
    .sgpr_spill_count: 0
    .symbol:         _ZN9rocsolver6v33100L18getri_kernel_smallILi17E19rocblas_complex_numIdEPS3_EEvT1_iilPiilS6_bb.kd
    .uniform_work_group_size: 1
    .uses_dynamic_stack: false
    .vgpr_count:     117
    .vgpr_spill_count: 0
    .wavefront_size: 32
    .workgroup_processor_mode: 1
  - .args:
      - .address_space:  global
        .offset:         0
        .size:           8
        .value_kind:     global_buffer
      - .offset:         8
        .size:           4
        .value_kind:     by_value
      - .offset:         12
        .size:           4
        .value_kind:     by_value
      - .offset:         16
        .size:           8
        .value_kind:     by_value
      - .address_space:  global
        .offset:         24
        .size:           8
        .value_kind:     global_buffer
      - .offset:         32
        .size:           4
        .value_kind:     by_value
      - .offset:         40
        .size:           8
        .value_kind:     by_value
      - .address_space:  global
        .offset:         48
        .size:           8
        .value_kind:     global_buffer
      - .offset:         56
        .size:           1
        .value_kind:     by_value
      - .offset:         57
        .size:           1
        .value_kind:     by_value
    .group_segment_fixed_size: 584
    .kernarg_segment_align: 8
    .kernarg_segment_size: 60
    .language:       OpenCL C
    .language_version:
      - 2
      - 0
    .max_flat_workgroup_size: 64
    .name:           _ZN9rocsolver6v33100L18getri_kernel_smallILi18E19rocblas_complex_numIdEPS3_EEvT1_iilPiilS6_bb
    .private_segment_fixed_size: 320
    .sgpr_count:     40
    .sgpr_spill_count: 0
    .symbol:         _ZN9rocsolver6v33100L18getri_kernel_smallILi18E19rocblas_complex_numIdEPS3_EEvT1_iilPiilS6_bb.kd
    .uniform_work_group_size: 1
    .uses_dynamic_stack: false
    .vgpr_count:     122
    .vgpr_spill_count: 0
    .wavefront_size: 32
    .workgroup_processor_mode: 1
  - .args:
      - .address_space:  global
        .offset:         0
        .size:           8
        .value_kind:     global_buffer
      - .offset:         8
        .size:           4
        .value_kind:     by_value
      - .offset:         12
        .size:           4
        .value_kind:     by_value
      - .offset:         16
        .size:           8
        .value_kind:     by_value
      - .address_space:  global
        .offset:         24
        .size:           8
        .value_kind:     global_buffer
      - .offset:         32
        .size:           4
        .value_kind:     by_value
      - .offset:         40
        .size:           8
        .value_kind:     by_value
      - .address_space:  global
        .offset:         48
        .size:           8
        .value_kind:     global_buffer
      - .offset:         56
        .size:           1
        .value_kind:     by_value
      - .offset:         57
        .size:           1
        .value_kind:     by_value
    .group_segment_fixed_size: 616
    .kernarg_segment_align: 8
    .kernarg_segment_size: 60
    .language:       OpenCL C
    .language_version:
      - 2
      - 0
    .max_flat_workgroup_size: 64
    .name:           _ZN9rocsolver6v33100L18getri_kernel_smallILi19E19rocblas_complex_numIdEPS3_EEvT1_iilPiilS6_bb
    .private_segment_fixed_size: 336
    .sgpr_count:     41
    .sgpr_spill_count: 0
    .symbol:         _ZN9rocsolver6v33100L18getri_kernel_smallILi19E19rocblas_complex_numIdEPS3_EEvT1_iilPiilS6_bb.kd
    .uniform_work_group_size: 1
    .uses_dynamic_stack: false
    .vgpr_count:     126
    .vgpr_spill_count: 0
    .wavefront_size: 32
    .workgroup_processor_mode: 1
  - .args:
      - .address_space:  global
        .offset:         0
        .size:           8
        .value_kind:     global_buffer
      - .offset:         8
        .size:           4
        .value_kind:     by_value
      - .offset:         12
        .size:           4
        .value_kind:     by_value
      - .offset:         16
        .size:           8
        .value_kind:     by_value
      - .address_space:  global
        .offset:         24
        .size:           8
        .value_kind:     global_buffer
      - .offset:         32
        .size:           4
        .value_kind:     by_value
      - .offset:         40
        .size:           8
        .value_kind:     by_value
      - .address_space:  global
        .offset:         48
        .size:           8
        .value_kind:     global_buffer
      - .offset:         56
        .size:           1
        .value_kind:     by_value
      - .offset:         57
        .size:           1
        .value_kind:     by_value
    .group_segment_fixed_size: 648
    .kernarg_segment_align: 8
    .kernarg_segment_size: 60
    .language:       OpenCL C
    .language_version:
      - 2
      - 0
    .max_flat_workgroup_size: 64
    .name:           _ZN9rocsolver6v33100L18getri_kernel_smallILi20E19rocblas_complex_numIdEPS3_EEvT1_iilPiilS6_bb
    .private_segment_fixed_size: 352
    .sgpr_count:     43
    .sgpr_spill_count: 0
    .symbol:         _ZN9rocsolver6v33100L18getri_kernel_smallILi20E19rocblas_complex_numIdEPS3_EEvT1_iilPiilS6_bb.kd
    .uniform_work_group_size: 1
    .uses_dynamic_stack: false
    .vgpr_count:     130
    .vgpr_spill_count: 0
    .wavefront_size: 32
    .workgroup_processor_mode: 1
  - .args:
      - .address_space:  global
        .offset:         0
        .size:           8
        .value_kind:     global_buffer
      - .offset:         8
        .size:           4
        .value_kind:     by_value
      - .offset:         12
        .size:           4
        .value_kind:     by_value
      - .offset:         16
        .size:           8
        .value_kind:     by_value
      - .address_space:  global
        .offset:         24
        .size:           8
        .value_kind:     global_buffer
      - .offset:         32
        .size:           4
        .value_kind:     by_value
      - .offset:         40
        .size:           8
        .value_kind:     by_value
      - .address_space:  global
        .offset:         48
        .size:           8
        .value_kind:     global_buffer
      - .offset:         56
        .size:           1
        .value_kind:     by_value
      - .offset:         57
        .size:           1
        .value_kind:     by_value
    .group_segment_fixed_size: 680
    .kernarg_segment_align: 8
    .kernarg_segment_size: 60
    .language:       OpenCL C
    .language_version:
      - 2
      - 0
    .max_flat_workgroup_size: 64
    .name:           _ZN9rocsolver6v33100L18getri_kernel_smallILi21E19rocblas_complex_numIdEPS3_EEvT1_iilPiilS6_bb
    .private_segment_fixed_size: 368
    .sgpr_count:     44
    .sgpr_spill_count: 0
    .symbol:         _ZN9rocsolver6v33100L18getri_kernel_smallILi21E19rocblas_complex_numIdEPS3_EEvT1_iilPiilS6_bb.kd
    .uniform_work_group_size: 1
    .uses_dynamic_stack: false
    .vgpr_count:     133
    .vgpr_spill_count: 0
    .wavefront_size: 32
    .workgroup_processor_mode: 1
  - .args:
      - .address_space:  global
        .offset:         0
        .size:           8
        .value_kind:     global_buffer
      - .offset:         8
        .size:           4
        .value_kind:     by_value
      - .offset:         12
        .size:           4
        .value_kind:     by_value
      - .offset:         16
        .size:           8
        .value_kind:     by_value
      - .address_space:  global
        .offset:         24
        .size:           8
        .value_kind:     global_buffer
      - .offset:         32
        .size:           4
        .value_kind:     by_value
      - .offset:         40
        .size:           8
        .value_kind:     by_value
      - .address_space:  global
        .offset:         48
        .size:           8
        .value_kind:     global_buffer
      - .offset:         56
        .size:           1
        .value_kind:     by_value
      - .offset:         57
        .size:           1
        .value_kind:     by_value
    .group_segment_fixed_size: 712
    .kernarg_segment_align: 8
    .kernarg_segment_size: 60
    .language:       OpenCL C
    .language_version:
      - 2
      - 0
    .max_flat_workgroup_size: 64
    .name:           _ZN9rocsolver6v33100L18getri_kernel_smallILi22E19rocblas_complex_numIdEPS3_EEvT1_iilPiilS6_bb
    .private_segment_fixed_size: 384
    .sgpr_count:     46
    .sgpr_spill_count: 0
    .symbol:         _ZN9rocsolver6v33100L18getri_kernel_smallILi22E19rocblas_complex_numIdEPS3_EEvT1_iilPiilS6_bb.kd
    .uniform_work_group_size: 1
    .uses_dynamic_stack: false
    .vgpr_count:     136
    .vgpr_spill_count: 0
    .wavefront_size: 32
    .workgroup_processor_mode: 1
  - .args:
      - .address_space:  global
        .offset:         0
        .size:           8
        .value_kind:     global_buffer
      - .offset:         8
        .size:           4
        .value_kind:     by_value
      - .offset:         12
        .size:           4
        .value_kind:     by_value
      - .offset:         16
        .size:           8
        .value_kind:     by_value
      - .address_space:  global
        .offset:         24
        .size:           8
        .value_kind:     global_buffer
      - .offset:         32
        .size:           4
        .value_kind:     by_value
      - .offset:         40
        .size:           8
        .value_kind:     by_value
      - .address_space:  global
        .offset:         48
        .size:           8
        .value_kind:     global_buffer
      - .offset:         56
        .size:           1
        .value_kind:     by_value
      - .offset:         57
        .size:           1
        .value_kind:     by_value
    .group_segment_fixed_size: 744
    .kernarg_segment_align: 8
    .kernarg_segment_size: 60
    .language:       OpenCL C
    .language_version:
      - 2
      - 0
    .max_flat_workgroup_size: 64
    .name:           _ZN9rocsolver6v33100L18getri_kernel_smallILi23E19rocblas_complex_numIdEPS3_EEvT1_iilPiilS6_bb
    .private_segment_fixed_size: 400
    .sgpr_count:     47
    .sgpr_spill_count: 0
    .symbol:         _ZN9rocsolver6v33100L18getri_kernel_smallILi23E19rocblas_complex_numIdEPS3_EEvT1_iilPiilS6_bb.kd
    .uniform_work_group_size: 1
    .uses_dynamic_stack: false
    .vgpr_count:     142
    .vgpr_spill_count: 0
    .wavefront_size: 32
    .workgroup_processor_mode: 1
  - .args:
      - .address_space:  global
        .offset:         0
        .size:           8
        .value_kind:     global_buffer
      - .offset:         8
        .size:           4
        .value_kind:     by_value
      - .offset:         12
        .size:           4
        .value_kind:     by_value
      - .offset:         16
        .size:           8
        .value_kind:     by_value
      - .address_space:  global
        .offset:         24
        .size:           8
        .value_kind:     global_buffer
      - .offset:         32
        .size:           4
        .value_kind:     by_value
      - .offset:         40
        .size:           8
        .value_kind:     by_value
      - .address_space:  global
        .offset:         48
        .size:           8
        .value_kind:     global_buffer
      - .offset:         56
        .size:           1
        .value_kind:     by_value
      - .offset:         57
        .size:           1
        .value_kind:     by_value
    .group_segment_fixed_size: 776
    .kernarg_segment_align: 8
    .kernarg_segment_size: 60
    .language:       OpenCL C
    .language_version:
      - 2
      - 0
    .max_flat_workgroup_size: 64
    .name:           _ZN9rocsolver6v33100L18getri_kernel_smallILi24E19rocblas_complex_numIdEPS3_EEvT1_iilPiilS6_bb
    .private_segment_fixed_size: 416
    .sgpr_count:     49
    .sgpr_spill_count: 0
    .symbol:         _ZN9rocsolver6v33100L18getri_kernel_smallILi24E19rocblas_complex_numIdEPS3_EEvT1_iilPiilS6_bb.kd
    .uniform_work_group_size: 1
    .uses_dynamic_stack: false
    .vgpr_count:     141
    .vgpr_spill_count: 0
    .wavefront_size: 32
    .workgroup_processor_mode: 1
  - .args:
      - .address_space:  global
        .offset:         0
        .size:           8
        .value_kind:     global_buffer
      - .offset:         8
        .size:           4
        .value_kind:     by_value
      - .offset:         12
        .size:           4
        .value_kind:     by_value
      - .offset:         16
        .size:           8
        .value_kind:     by_value
      - .address_space:  global
        .offset:         24
        .size:           8
        .value_kind:     global_buffer
      - .offset:         32
        .size:           4
        .value_kind:     by_value
      - .offset:         40
        .size:           8
        .value_kind:     by_value
      - .address_space:  global
        .offset:         48
        .size:           8
        .value_kind:     global_buffer
      - .offset:         56
        .size:           1
        .value_kind:     by_value
      - .offset:         57
        .size:           1
        .value_kind:     by_value
    .group_segment_fixed_size: 808
    .kernarg_segment_align: 8
    .kernarg_segment_size: 60
    .language:       OpenCL C
    .language_version:
      - 2
      - 0
    .max_flat_workgroup_size: 64
    .name:           _ZN9rocsolver6v33100L18getri_kernel_smallILi25E19rocblas_complex_numIdEPS3_EEvT1_iilPiilS6_bb
    .private_segment_fixed_size: 432
    .sgpr_count:     50
    .sgpr_spill_count: 0
    .symbol:         _ZN9rocsolver6v33100L18getri_kernel_smallILi25E19rocblas_complex_numIdEPS3_EEvT1_iilPiilS6_bb.kd
    .uniform_work_group_size: 1
    .uses_dynamic_stack: false
    .vgpr_count:     143
    .vgpr_spill_count: 0
    .wavefront_size: 32
    .workgroup_processor_mode: 1
  - .args:
      - .address_space:  global
        .offset:         0
        .size:           8
        .value_kind:     global_buffer
      - .offset:         8
        .size:           4
        .value_kind:     by_value
      - .offset:         12
        .size:           4
        .value_kind:     by_value
      - .offset:         16
        .size:           8
        .value_kind:     by_value
      - .address_space:  global
        .offset:         24
        .size:           8
        .value_kind:     global_buffer
      - .offset:         32
        .size:           4
        .value_kind:     by_value
      - .offset:         40
        .size:           8
        .value_kind:     by_value
      - .address_space:  global
        .offset:         48
        .size:           8
        .value_kind:     global_buffer
      - .offset:         56
        .size:           1
        .value_kind:     by_value
      - .offset:         57
        .size:           1
        .value_kind:     by_value
    .group_segment_fixed_size: 840
    .kernarg_segment_align: 8
    .kernarg_segment_size: 60
    .language:       OpenCL C
    .language_version:
      - 2
      - 0
    .max_flat_workgroup_size: 64
    .name:           _ZN9rocsolver6v33100L18getri_kernel_smallILi26E19rocblas_complex_numIdEPS3_EEvT1_iilPiilS6_bb
    .private_segment_fixed_size: 448
    .sgpr_count:     44
    .sgpr_spill_count: 0
    .symbol:         _ZN9rocsolver6v33100L18getri_kernel_smallILi26E19rocblas_complex_numIdEPS3_EEvT1_iilPiilS6_bb.kd
    .uniform_work_group_size: 1
    .uses_dynamic_stack: false
    .vgpr_count:     144
    .vgpr_spill_count: 0
    .wavefront_size: 32
    .workgroup_processor_mode: 1
  - .args:
      - .address_space:  global
        .offset:         0
        .size:           8
        .value_kind:     global_buffer
      - .offset:         8
        .size:           4
        .value_kind:     by_value
      - .offset:         12
        .size:           4
        .value_kind:     by_value
      - .offset:         16
        .size:           8
        .value_kind:     by_value
      - .address_space:  global
        .offset:         24
        .size:           8
        .value_kind:     global_buffer
      - .offset:         32
        .size:           4
        .value_kind:     by_value
      - .offset:         40
        .size:           8
        .value_kind:     by_value
      - .address_space:  global
        .offset:         48
        .size:           8
        .value_kind:     global_buffer
      - .offset:         56
        .size:           1
        .value_kind:     by_value
      - .offset:         57
        .size:           1
        .value_kind:     by_value
    .group_segment_fixed_size: 872
    .kernarg_segment_align: 8
    .kernarg_segment_size: 60
    .language:       OpenCL C
    .language_version:
      - 2
      - 0
    .max_flat_workgroup_size: 64
    .name:           _ZN9rocsolver6v33100L18getri_kernel_smallILi27E19rocblas_complex_numIdEPS3_EEvT1_iilPiilS6_bb
    .private_segment_fixed_size: 464
    .sgpr_count:     53
    .sgpr_spill_count: 0
    .symbol:         _ZN9rocsolver6v33100L18getri_kernel_smallILi27E19rocblas_complex_numIdEPS3_EEvT1_iilPiilS6_bb.kd
    .uniform_work_group_size: 1
    .uses_dynamic_stack: false
    .vgpr_count:     159
    .vgpr_spill_count: 0
    .wavefront_size: 32
    .workgroup_processor_mode: 1
  - .args:
      - .address_space:  global
        .offset:         0
        .size:           8
        .value_kind:     global_buffer
      - .offset:         8
        .size:           4
        .value_kind:     by_value
      - .offset:         12
        .size:           4
        .value_kind:     by_value
      - .offset:         16
        .size:           8
        .value_kind:     by_value
      - .address_space:  global
        .offset:         24
        .size:           8
        .value_kind:     global_buffer
      - .offset:         32
        .size:           4
        .value_kind:     by_value
      - .offset:         40
        .size:           8
        .value_kind:     by_value
      - .address_space:  global
        .offset:         48
        .size:           8
        .value_kind:     global_buffer
      - .offset:         56
        .size:           1
        .value_kind:     by_value
      - .offset:         57
        .size:           1
        .value_kind:     by_value
    .group_segment_fixed_size: 904
    .kernarg_segment_align: 8
    .kernarg_segment_size: 60
    .language:       OpenCL C
    .language_version:
      - 2
      - 0
    .max_flat_workgroup_size: 64
    .name:           _ZN9rocsolver6v33100L18getri_kernel_smallILi28E19rocblas_complex_numIdEPS3_EEvT1_iilPiilS6_bb
    .private_segment_fixed_size: 480
    .sgpr_count:     55
    .sgpr_spill_count: 0
    .symbol:         _ZN9rocsolver6v33100L18getri_kernel_smallILi28E19rocblas_complex_numIdEPS3_EEvT1_iilPiilS6_bb.kd
    .uniform_work_group_size: 1
    .uses_dynamic_stack: false
    .vgpr_count:     159
    .vgpr_spill_count: 0
    .wavefront_size: 32
    .workgroup_processor_mode: 1
  - .args:
      - .address_space:  global
        .offset:         0
        .size:           8
        .value_kind:     global_buffer
      - .offset:         8
        .size:           4
        .value_kind:     by_value
      - .offset:         12
        .size:           4
        .value_kind:     by_value
      - .offset:         16
        .size:           8
        .value_kind:     by_value
      - .address_space:  global
        .offset:         24
        .size:           8
        .value_kind:     global_buffer
      - .offset:         32
        .size:           4
        .value_kind:     by_value
      - .offset:         40
        .size:           8
        .value_kind:     by_value
      - .address_space:  global
        .offset:         48
        .size:           8
        .value_kind:     global_buffer
      - .offset:         56
        .size:           1
        .value_kind:     by_value
      - .offset:         57
        .size:           1
        .value_kind:     by_value
    .group_segment_fixed_size: 936
    .kernarg_segment_align: 8
    .kernarg_segment_size: 60
    .language:       OpenCL C
    .language_version:
      - 2
      - 0
    .max_flat_workgroup_size: 64
    .name:           _ZN9rocsolver6v33100L18getri_kernel_smallILi29E19rocblas_complex_numIdEPS3_EEvT1_iilPiilS6_bb
    .private_segment_fixed_size: 496
    .sgpr_count:     56
    .sgpr_spill_count: 0
    .symbol:         _ZN9rocsolver6v33100L18getri_kernel_smallILi29E19rocblas_complex_numIdEPS3_EEvT1_iilPiilS6_bb.kd
    .uniform_work_group_size: 1
    .uses_dynamic_stack: false
    .vgpr_count:     159
    .vgpr_spill_count: 0
    .wavefront_size: 32
    .workgroup_processor_mode: 1
  - .args:
      - .address_space:  global
        .offset:         0
        .size:           8
        .value_kind:     global_buffer
      - .offset:         8
        .size:           4
        .value_kind:     by_value
      - .offset:         12
        .size:           4
        .value_kind:     by_value
      - .offset:         16
        .size:           8
        .value_kind:     by_value
      - .address_space:  global
        .offset:         24
        .size:           8
        .value_kind:     global_buffer
      - .offset:         32
        .size:           4
        .value_kind:     by_value
      - .offset:         40
        .size:           8
        .value_kind:     by_value
      - .address_space:  global
        .offset:         48
        .size:           8
        .value_kind:     global_buffer
      - .offset:         56
        .size:           1
        .value_kind:     by_value
      - .offset:         57
        .size:           1
        .value_kind:     by_value
    .group_segment_fixed_size: 968
    .kernarg_segment_align: 8
    .kernarg_segment_size: 60
    .language:       OpenCL C
    .language_version:
      - 2
      - 0
    .max_flat_workgroup_size: 64
    .name:           _ZN9rocsolver6v33100L18getri_kernel_smallILi30E19rocblas_complex_numIdEPS3_EEvT1_iilPiilS6_bb
    .private_segment_fixed_size: 512
    .sgpr_count:     58
    .sgpr_spill_count: 0
    .symbol:         _ZN9rocsolver6v33100L18getri_kernel_smallILi30E19rocblas_complex_numIdEPS3_EEvT1_iilPiilS6_bb.kd
    .uniform_work_group_size: 1
    .uses_dynamic_stack: false
    .vgpr_count:     161
    .vgpr_spill_count: 0
    .wavefront_size: 32
    .workgroup_processor_mode: 1
  - .args:
      - .address_space:  global
        .offset:         0
        .size:           8
        .value_kind:     global_buffer
      - .offset:         8
        .size:           4
        .value_kind:     by_value
      - .offset:         12
        .size:           4
        .value_kind:     by_value
      - .offset:         16
        .size:           8
        .value_kind:     by_value
      - .address_space:  global
        .offset:         24
        .size:           8
        .value_kind:     global_buffer
      - .offset:         32
        .size:           4
        .value_kind:     by_value
      - .offset:         40
        .size:           8
        .value_kind:     by_value
      - .address_space:  global
        .offset:         48
        .size:           8
        .value_kind:     global_buffer
      - .offset:         56
        .size:           1
        .value_kind:     by_value
      - .offset:         57
        .size:           1
        .value_kind:     by_value
    .group_segment_fixed_size: 1000
    .kernarg_segment_align: 8
    .kernarg_segment_size: 60
    .language:       OpenCL C
    .language_version:
      - 2
      - 0
    .max_flat_workgroup_size: 64
    .name:           _ZN9rocsolver6v33100L18getri_kernel_smallILi31E19rocblas_complex_numIdEPS3_EEvT1_iilPiilS6_bb
    .private_segment_fixed_size: 528
    .sgpr_count:     59
    .sgpr_spill_count: 0
    .symbol:         _ZN9rocsolver6v33100L18getri_kernel_smallILi31E19rocblas_complex_numIdEPS3_EEvT1_iilPiilS6_bb.kd
    .uniform_work_group_size: 1
    .uses_dynamic_stack: false
    .vgpr_count:     159
    .vgpr_spill_count: 0
    .wavefront_size: 32
    .workgroup_processor_mode: 1
  - .args:
      - .address_space:  global
        .offset:         0
        .size:           8
        .value_kind:     global_buffer
      - .offset:         8
        .size:           4
        .value_kind:     by_value
      - .offset:         12
        .size:           4
        .value_kind:     by_value
      - .offset:         16
        .size:           8
        .value_kind:     by_value
      - .address_space:  global
        .offset:         24
        .size:           8
        .value_kind:     global_buffer
      - .offset:         32
        .size:           4
        .value_kind:     by_value
      - .offset:         40
        .size:           8
        .value_kind:     by_value
      - .address_space:  global
        .offset:         48
        .size:           8
        .value_kind:     global_buffer
      - .offset:         56
        .size:           1
        .value_kind:     by_value
      - .offset:         57
        .size:           1
        .value_kind:     by_value
    .group_segment_fixed_size: 1032
    .kernarg_segment_align: 8
    .kernarg_segment_size: 60
    .language:       OpenCL C
    .language_version:
      - 2
      - 0
    .max_flat_workgroup_size: 64
    .name:           _ZN9rocsolver6v33100L18getri_kernel_smallILi32E19rocblas_complex_numIdEPS3_EEvT1_iilPiilS6_bb
    .private_segment_fixed_size: 544
    .sgpr_count:     61
    .sgpr_spill_count: 0
    .symbol:         _ZN9rocsolver6v33100L18getri_kernel_smallILi32E19rocblas_complex_numIdEPS3_EEvT1_iilPiilS6_bb.kd
    .uniform_work_group_size: 1
    .uses_dynamic_stack: false
    .vgpr_count:     164
    .vgpr_spill_count: 0
    .wavefront_size: 32
    .workgroup_processor_mode: 1
  - .args:
      - .address_space:  global
        .offset:         0
        .size:           8
        .value_kind:     global_buffer
      - .offset:         8
        .size:           4
        .value_kind:     by_value
      - .offset:         12
        .size:           4
        .value_kind:     by_value
      - .offset:         16
        .size:           8
        .value_kind:     by_value
      - .address_space:  global
        .offset:         24
        .size:           8
        .value_kind:     global_buffer
      - .offset:         32
        .size:           4
        .value_kind:     by_value
      - .offset:         40
        .size:           8
        .value_kind:     by_value
      - .address_space:  global
        .offset:         48
        .size:           8
        .value_kind:     global_buffer
      - .offset:         56
        .size:           1
        .value_kind:     by_value
      - .offset:         57
        .size:           1
        .value_kind:     by_value
    .group_segment_fixed_size: 1064
    .kernarg_segment_align: 8
    .kernarg_segment_size: 60
    .language:       OpenCL C
    .language_version:
      - 2
      - 0
    .max_flat_workgroup_size: 64
    .name:           _ZN9rocsolver6v33100L18getri_kernel_smallILi33E19rocblas_complex_numIdEPS3_EEvT1_iilPiilS6_bb
    .private_segment_fixed_size: 560
    .sgpr_count:     62
    .sgpr_spill_count: 0
    .symbol:         _ZN9rocsolver6v33100L18getri_kernel_smallILi33E19rocblas_complex_numIdEPS3_EEvT1_iilPiilS6_bb.kd
    .uniform_work_group_size: 1
    .uses_dynamic_stack: false
    .vgpr_count:     161
    .vgpr_spill_count: 0
    .wavefront_size: 32
    .workgroup_processor_mode: 1
  - .args:
      - .address_space:  global
        .offset:         0
        .size:           8
        .value_kind:     global_buffer
      - .offset:         8
        .size:           4
        .value_kind:     by_value
      - .offset:         12
        .size:           4
        .value_kind:     by_value
      - .offset:         16
        .size:           8
        .value_kind:     by_value
      - .address_space:  global
        .offset:         24
        .size:           8
        .value_kind:     global_buffer
      - .offset:         32
        .size:           4
        .value_kind:     by_value
      - .offset:         40
        .size:           8
        .value_kind:     by_value
      - .address_space:  global
        .offset:         48
        .size:           8
        .value_kind:     global_buffer
      - .offset:         56
        .size:           1
        .value_kind:     by_value
      - .offset:         57
        .size:           1
        .value_kind:     by_value
    .group_segment_fixed_size: 1096
    .kernarg_segment_align: 8
    .kernarg_segment_size: 60
    .language:       OpenCL C
    .language_version:
      - 2
      - 0
    .max_flat_workgroup_size: 64
    .name:           _ZN9rocsolver6v33100L18getri_kernel_smallILi34E19rocblas_complex_numIdEPS3_EEvT1_iilPiilS6_bb
    .private_segment_fixed_size: 576
    .sgpr_count:     54
    .sgpr_spill_count: 0
    .symbol:         _ZN9rocsolver6v33100L18getri_kernel_smallILi34E19rocblas_complex_numIdEPS3_EEvT1_iilPiilS6_bb.kd
    .uniform_work_group_size: 1
    .uses_dynamic_stack: false
    .vgpr_count:     164
    .vgpr_spill_count: 0
    .wavefront_size: 32
    .workgroup_processor_mode: 1
  - .args:
      - .address_space:  global
        .offset:         0
        .size:           8
        .value_kind:     global_buffer
      - .offset:         8
        .size:           4
        .value_kind:     by_value
      - .offset:         12
        .size:           4
        .value_kind:     by_value
      - .offset:         16
        .size:           8
        .value_kind:     by_value
      - .address_space:  global
        .offset:         24
        .size:           8
        .value_kind:     global_buffer
      - .offset:         32
        .size:           4
        .value_kind:     by_value
      - .offset:         40
        .size:           8
        .value_kind:     by_value
      - .address_space:  global
        .offset:         48
        .size:           8
        .value_kind:     global_buffer
      - .offset:         56
        .size:           1
        .value_kind:     by_value
      - .offset:         57
        .size:           1
        .value_kind:     by_value
    .group_segment_fixed_size: 1128
    .kernarg_segment_align: 8
    .kernarg_segment_size: 60
    .language:       OpenCL C
    .language_version:
      - 2
      - 0
    .max_flat_workgroup_size: 64
    .name:           _ZN9rocsolver6v33100L18getri_kernel_smallILi35E19rocblas_complex_numIdEPS3_EEvT1_iilPiilS6_bb
    .private_segment_fixed_size: 592
    .sgpr_count:     65
    .sgpr_spill_count: 0
    .symbol:         _ZN9rocsolver6v33100L18getri_kernel_smallILi35E19rocblas_complex_numIdEPS3_EEvT1_iilPiilS6_bb.kd
    .uniform_work_group_size: 1
    .uses_dynamic_stack: false
    .vgpr_count:     191
    .vgpr_spill_count: 0
    .wavefront_size: 32
    .workgroup_processor_mode: 1
  - .args:
      - .address_space:  global
        .offset:         0
        .size:           8
        .value_kind:     global_buffer
      - .offset:         8
        .size:           4
        .value_kind:     by_value
      - .offset:         12
        .size:           4
        .value_kind:     by_value
      - .offset:         16
        .size:           8
        .value_kind:     by_value
      - .address_space:  global
        .offset:         24
        .size:           8
        .value_kind:     global_buffer
      - .offset:         32
        .size:           4
        .value_kind:     by_value
      - .offset:         40
        .size:           8
        .value_kind:     by_value
      - .address_space:  global
        .offset:         48
        .size:           8
        .value_kind:     global_buffer
      - .offset:         56
        .size:           1
        .value_kind:     by_value
      - .offset:         57
        .size:           1
        .value_kind:     by_value
    .group_segment_fixed_size: 1160
    .kernarg_segment_align: 8
    .kernarg_segment_size: 60
    .language:       OpenCL C
    .language_version:
      - 2
      - 0
    .max_flat_workgroup_size: 64
    .name:           _ZN9rocsolver6v33100L18getri_kernel_smallILi36E19rocblas_complex_numIdEPS3_EEvT1_iilPiilS6_bb
    .private_segment_fixed_size: 608
    .sgpr_count:     67
    .sgpr_spill_count: 0
    .symbol:         _ZN9rocsolver6v33100L18getri_kernel_smallILi36E19rocblas_complex_numIdEPS3_EEvT1_iilPiilS6_bb.kd
    .uniform_work_group_size: 1
    .uses_dynamic_stack: false
    .vgpr_count:     192
    .vgpr_spill_count: 0
    .wavefront_size: 32
    .workgroup_processor_mode: 1
  - .args:
      - .address_space:  global
        .offset:         0
        .size:           8
        .value_kind:     global_buffer
      - .offset:         8
        .size:           4
        .value_kind:     by_value
      - .offset:         12
        .size:           4
        .value_kind:     by_value
      - .offset:         16
        .size:           8
        .value_kind:     by_value
      - .address_space:  global
        .offset:         24
        .size:           8
        .value_kind:     global_buffer
      - .offset:         32
        .size:           4
        .value_kind:     by_value
      - .offset:         40
        .size:           8
        .value_kind:     by_value
      - .address_space:  global
        .offset:         48
        .size:           8
        .value_kind:     global_buffer
      - .offset:         56
        .size:           1
        .value_kind:     by_value
      - .offset:         57
        .size:           1
        .value_kind:     by_value
    .group_segment_fixed_size: 1192
    .kernarg_segment_align: 8
    .kernarg_segment_size: 60
    .language:       OpenCL C
    .language_version:
      - 2
      - 0
    .max_flat_workgroup_size: 64
    .name:           _ZN9rocsolver6v33100L18getri_kernel_smallILi37E19rocblas_complex_numIdEPS3_EEvT1_iilPiilS6_bb
    .private_segment_fixed_size: 624
    .sgpr_count:     68
    .sgpr_spill_count: 0
    .symbol:         _ZN9rocsolver6v33100L18getri_kernel_smallILi37E19rocblas_complex_numIdEPS3_EEvT1_iilPiilS6_bb.kd
    .uniform_work_group_size: 1
    .uses_dynamic_stack: false
    .vgpr_count:     191
    .vgpr_spill_count: 0
    .wavefront_size: 32
    .workgroup_processor_mode: 1
  - .args:
      - .address_space:  global
        .offset:         0
        .size:           8
        .value_kind:     global_buffer
      - .offset:         8
        .size:           4
        .value_kind:     by_value
      - .offset:         12
        .size:           4
        .value_kind:     by_value
      - .offset:         16
        .size:           8
        .value_kind:     by_value
      - .address_space:  global
        .offset:         24
        .size:           8
        .value_kind:     global_buffer
      - .offset:         32
        .size:           4
        .value_kind:     by_value
      - .offset:         40
        .size:           8
        .value_kind:     by_value
      - .address_space:  global
        .offset:         48
        .size:           8
        .value_kind:     global_buffer
      - .offset:         56
        .size:           1
        .value_kind:     by_value
      - .offset:         57
        .size:           1
        .value_kind:     by_value
    .group_segment_fixed_size: 1224
    .kernarg_segment_align: 8
    .kernarg_segment_size: 60
    .language:       OpenCL C
    .language_version:
      - 2
      - 0
    .max_flat_workgroup_size: 64
    .name:           _ZN9rocsolver6v33100L18getri_kernel_smallILi38E19rocblas_complex_numIdEPS3_EEvT1_iilPiilS6_bb
    .private_segment_fixed_size: 640
    .sgpr_count:     69
    .sgpr_spill_count: 0
    .symbol:         _ZN9rocsolver6v33100L18getri_kernel_smallILi38E19rocblas_complex_numIdEPS3_EEvT1_iilPiilS6_bb.kd
    .uniform_work_group_size: 1
    .uses_dynamic_stack: false
    .vgpr_count:     192
    .vgpr_spill_count: 0
    .wavefront_size: 32
    .workgroup_processor_mode: 1
  - .args:
      - .address_space:  global
        .offset:         0
        .size:           8
        .value_kind:     global_buffer
      - .offset:         8
        .size:           4
        .value_kind:     by_value
      - .offset:         12
        .size:           4
        .value_kind:     by_value
      - .offset:         16
        .size:           8
        .value_kind:     by_value
      - .address_space:  global
        .offset:         24
        .size:           8
        .value_kind:     global_buffer
      - .offset:         32
        .size:           4
        .value_kind:     by_value
      - .offset:         40
        .size:           8
        .value_kind:     by_value
      - .address_space:  global
        .offset:         48
        .size:           8
        .value_kind:     global_buffer
      - .offset:         56
        .size:           1
        .value_kind:     by_value
      - .offset:         57
        .size:           1
        .value_kind:     by_value
    .group_segment_fixed_size: 1256
    .kernarg_segment_align: 8
    .kernarg_segment_size: 60
    .language:       OpenCL C
    .language_version:
      - 2
      - 0
    .max_flat_workgroup_size: 64
    .name:           _ZN9rocsolver6v33100L18getri_kernel_smallILi39E19rocblas_complex_numIdEPS3_EEvT1_iilPiilS6_bb
    .private_segment_fixed_size: 656
    .sgpr_count:     65
    .sgpr_spill_count: 0
    .symbol:         _ZN9rocsolver6v33100L18getri_kernel_smallILi39E19rocblas_complex_numIdEPS3_EEvT1_iilPiilS6_bb.kd
    .uniform_work_group_size: 1
    .uses_dynamic_stack: false
    .vgpr_count:     188
    .vgpr_spill_count: 0
    .wavefront_size: 32
    .workgroup_processor_mode: 1
  - .args:
      - .address_space:  global
        .offset:         0
        .size:           8
        .value_kind:     global_buffer
      - .offset:         8
        .size:           4
        .value_kind:     by_value
      - .offset:         12
        .size:           4
        .value_kind:     by_value
      - .offset:         16
        .size:           8
        .value_kind:     by_value
      - .address_space:  global
        .offset:         24
        .size:           8
        .value_kind:     global_buffer
      - .offset:         32
        .size:           4
        .value_kind:     by_value
      - .offset:         40
        .size:           8
        .value_kind:     by_value
      - .address_space:  global
        .offset:         48
        .size:           8
        .value_kind:     global_buffer
      - .offset:         56
        .size:           1
        .value_kind:     by_value
      - .offset:         57
        .size:           1
        .value_kind:     by_value
    .group_segment_fixed_size: 1288
    .kernarg_segment_align: 8
    .kernarg_segment_size: 60
    .language:       OpenCL C
    .language_version:
      - 2
      - 0
    .max_flat_workgroup_size: 64
    .name:           _ZN9rocsolver6v33100L18getri_kernel_smallILi40E19rocblas_complex_numIdEPS3_EEvT1_iilPiilS6_bb
    .private_segment_fixed_size: 672
    .sgpr_count:     61
    .sgpr_spill_count: 0
    .symbol:         _ZN9rocsolver6v33100L18getri_kernel_smallILi40E19rocblas_complex_numIdEPS3_EEvT1_iilPiilS6_bb.kd
    .uniform_work_group_size: 1
    .uses_dynamic_stack: false
    .vgpr_count:     195
    .vgpr_spill_count: 0
    .wavefront_size: 32
    .workgroup_processor_mode: 1
  - .args:
      - .address_space:  global
        .offset:         0
        .size:           8
        .value_kind:     global_buffer
      - .offset:         8
        .size:           4
        .value_kind:     by_value
      - .offset:         12
        .size:           4
        .value_kind:     by_value
      - .offset:         16
        .size:           8
        .value_kind:     by_value
      - .address_space:  global
        .offset:         24
        .size:           8
        .value_kind:     global_buffer
      - .offset:         32
        .size:           4
        .value_kind:     by_value
      - .offset:         40
        .size:           8
        .value_kind:     by_value
      - .address_space:  global
        .offset:         48
        .size:           8
        .value_kind:     global_buffer
      - .offset:         56
        .size:           1
        .value_kind:     by_value
      - .offset:         57
        .size:           1
        .value_kind:     by_value
    .group_segment_fixed_size: 1320
    .kernarg_segment_align: 8
    .kernarg_segment_size: 60
    .language:       OpenCL C
    .language_version:
      - 2
      - 0
    .max_flat_workgroup_size: 64
    .name:           _ZN9rocsolver6v33100L18getri_kernel_smallILi41E19rocblas_complex_numIdEPS3_EEvT1_iilPiilS6_bb
    .private_segment_fixed_size: 688
    .sgpr_count:     59
    .sgpr_spill_count: 0
    .symbol:         _ZN9rocsolver6v33100L18getri_kernel_smallILi41E19rocblas_complex_numIdEPS3_EEvT1_iilPiilS6_bb.kd
    .uniform_work_group_size: 1
    .uses_dynamic_stack: false
    .vgpr_count:     188
    .vgpr_spill_count: 0
    .wavefront_size: 32
    .workgroup_processor_mode: 1
  - .args:
      - .address_space:  global
        .offset:         0
        .size:           8
        .value_kind:     global_buffer
      - .offset:         8
        .size:           4
        .value_kind:     by_value
      - .offset:         12
        .size:           4
        .value_kind:     by_value
      - .offset:         16
        .size:           8
        .value_kind:     by_value
      - .address_space:  global
        .offset:         24
        .size:           8
        .value_kind:     global_buffer
      - .offset:         32
        .size:           4
        .value_kind:     by_value
      - .offset:         40
        .size:           8
        .value_kind:     by_value
      - .address_space:  global
        .offset:         48
        .size:           8
        .value_kind:     global_buffer
      - .offset:         56
        .size:           1
        .value_kind:     by_value
      - .offset:         57
        .size:           1
        .value_kind:     by_value
    .group_segment_fixed_size: 1352
    .kernarg_segment_align: 8
    .kernarg_segment_size: 60
    .language:       OpenCL C
    .language_version:
      - 2
      - 0
    .max_flat_workgroup_size: 64
    .name:           _ZN9rocsolver6v33100L18getri_kernel_smallILi42E19rocblas_complex_numIdEPS3_EEvT1_iilPiilS6_bb
    .private_segment_fixed_size: 704
    .sgpr_count:     60
    .sgpr_spill_count: 0
    .symbol:         _ZN9rocsolver6v33100L18getri_kernel_smallILi42E19rocblas_complex_numIdEPS3_EEvT1_iilPiilS6_bb.kd
    .uniform_work_group_size: 1
    .uses_dynamic_stack: false
    .vgpr_count:     197
    .vgpr_spill_count: 0
    .wavefront_size: 32
    .workgroup_processor_mode: 1
  - .args:
      - .address_space:  global
        .offset:         0
        .size:           8
        .value_kind:     global_buffer
      - .offset:         8
        .size:           4
        .value_kind:     by_value
      - .offset:         12
        .size:           4
        .value_kind:     by_value
      - .offset:         16
        .size:           8
        .value_kind:     by_value
      - .address_space:  global
        .offset:         24
        .size:           8
        .value_kind:     global_buffer
      - .offset:         32
        .size:           4
        .value_kind:     by_value
      - .offset:         40
        .size:           8
        .value_kind:     by_value
      - .address_space:  global
        .offset:         48
        .size:           8
        .value_kind:     global_buffer
      - .offset:         56
        .size:           1
        .value_kind:     by_value
      - .offset:         57
        .size:           1
        .value_kind:     by_value
    .group_segment_fixed_size: 1384
    .kernarg_segment_align: 8
    .kernarg_segment_size: 60
    .language:       OpenCL C
    .language_version:
      - 2
      - 0
    .max_flat_workgroup_size: 64
    .name:           _ZN9rocsolver6v33100L18getri_kernel_smallILi43E19rocblas_complex_numIdEPS3_EEvT1_iilPiilS6_bb
    .private_segment_fixed_size: 720
    .sgpr_count:     61
    .sgpr_spill_count: 0
    .symbol:         _ZN9rocsolver6v33100L18getri_kernel_smallILi43E19rocblas_complex_numIdEPS3_EEvT1_iilPiilS6_bb.kd
    .uniform_work_group_size: 1
    .uses_dynamic_stack: false
    .vgpr_count:     193
    .vgpr_spill_count: 0
    .wavefront_size: 32
    .workgroup_processor_mode: 1
  - .args:
      - .address_space:  global
        .offset:         0
        .size:           8
        .value_kind:     global_buffer
      - .offset:         8
        .size:           4
        .value_kind:     by_value
      - .offset:         12
        .size:           4
        .value_kind:     by_value
      - .offset:         16
        .size:           8
        .value_kind:     by_value
      - .address_space:  global
        .offset:         24
        .size:           8
        .value_kind:     global_buffer
      - .offset:         32
        .size:           4
        .value_kind:     by_value
      - .offset:         40
        .size:           8
        .value_kind:     by_value
      - .address_space:  global
        .offset:         48
        .size:           8
        .value_kind:     global_buffer
      - .offset:         56
        .size:           1
        .value_kind:     by_value
      - .offset:         57
        .size:           1
        .value_kind:     by_value
    .group_segment_fixed_size: 1416
    .kernarg_segment_align: 8
    .kernarg_segment_size: 60
    .language:       OpenCL C
    .language_version:
      - 2
      - 0
    .max_flat_workgroup_size: 64
    .name:           _ZN9rocsolver6v33100L18getri_kernel_smallILi44E19rocblas_complex_numIdEPS3_EEvT1_iilPiilS6_bb
    .private_segment_fixed_size: 736
    .sgpr_count:     62
    .sgpr_spill_count: 0
    .symbol:         _ZN9rocsolver6v33100L18getri_kernel_smallILi44E19rocblas_complex_numIdEPS3_EEvT1_iilPiilS6_bb.kd
    .uniform_work_group_size: 1
    .uses_dynamic_stack: false
    .vgpr_count:     197
    .vgpr_spill_count: 0
    .wavefront_size: 32
    .workgroup_processor_mode: 1
  - .args:
      - .address_space:  global
        .offset:         0
        .size:           8
        .value_kind:     global_buffer
      - .offset:         8
        .size:           4
        .value_kind:     by_value
      - .offset:         12
        .size:           4
        .value_kind:     by_value
      - .offset:         16
        .size:           8
        .value_kind:     by_value
      - .address_space:  global
        .offset:         24
        .size:           8
        .value_kind:     global_buffer
      - .offset:         32
        .size:           4
        .value_kind:     by_value
      - .offset:         40
        .size:           8
        .value_kind:     by_value
      - .address_space:  global
        .offset:         48
        .size:           8
        .value_kind:     global_buffer
      - .offset:         56
        .size:           1
        .value_kind:     by_value
      - .offset:         57
        .size:           1
        .value_kind:     by_value
    .group_segment_fixed_size: 1448
    .kernarg_segment_align: 8
    .kernarg_segment_size: 60
    .language:       OpenCL C
    .language_version:
      - 2
      - 0
    .max_flat_workgroup_size: 64
    .name:           _ZN9rocsolver6v33100L18getri_kernel_smallILi45E19rocblas_complex_numIdEPS3_EEvT1_iilPiilS6_bb
    .private_segment_fixed_size: 752
    .sgpr_count:     63
    .sgpr_spill_count: 0
    .symbol:         _ZN9rocsolver6v33100L18getri_kernel_smallILi45E19rocblas_complex_numIdEPS3_EEvT1_iilPiilS6_bb.kd
    .uniform_work_group_size: 1
    .uses_dynamic_stack: false
    .vgpr_count:     197
    .vgpr_spill_count: 0
    .wavefront_size: 32
    .workgroup_processor_mode: 1
  - .args:
      - .address_space:  global
        .offset:         0
        .size:           8
        .value_kind:     global_buffer
      - .offset:         8
        .size:           4
        .value_kind:     by_value
      - .offset:         12
        .size:           4
        .value_kind:     by_value
      - .offset:         16
        .size:           8
        .value_kind:     by_value
      - .address_space:  global
        .offset:         24
        .size:           8
        .value_kind:     global_buffer
      - .offset:         32
        .size:           4
        .value_kind:     by_value
      - .offset:         40
        .size:           8
        .value_kind:     by_value
      - .address_space:  global
        .offset:         48
        .size:           8
        .value_kind:     global_buffer
      - .offset:         56
        .size:           1
        .value_kind:     by_value
      - .offset:         57
        .size:           1
        .value_kind:     by_value
    .group_segment_fixed_size: 1480
    .kernarg_segment_align: 8
    .kernarg_segment_size: 60
    .language:       OpenCL C
    .language_version:
      - 2
      - 0
    .max_flat_workgroup_size: 64
    .name:           _ZN9rocsolver6v33100L18getri_kernel_smallILi46E19rocblas_complex_numIdEPS3_EEvT1_iilPiilS6_bb
    .private_segment_fixed_size: 768
    .sgpr_count:     64
    .sgpr_spill_count: 0
    .symbol:         _ZN9rocsolver6v33100L18getri_kernel_smallILi46E19rocblas_complex_numIdEPS3_EEvT1_iilPiilS6_bb.kd
    .uniform_work_group_size: 1
    .uses_dynamic_stack: false
    .vgpr_count:     203
    .vgpr_spill_count: 0
    .wavefront_size: 32
    .workgroup_processor_mode: 1
  - .args:
      - .address_space:  global
        .offset:         0
        .size:           8
        .value_kind:     global_buffer
      - .offset:         8
        .size:           4
        .value_kind:     by_value
      - .offset:         12
        .size:           4
        .value_kind:     by_value
      - .offset:         16
        .size:           8
        .value_kind:     by_value
      - .address_space:  global
        .offset:         24
        .size:           8
        .value_kind:     global_buffer
      - .offset:         32
        .size:           4
        .value_kind:     by_value
      - .offset:         40
        .size:           8
        .value_kind:     by_value
      - .address_space:  global
        .offset:         48
        .size:           8
        .value_kind:     global_buffer
      - .offset:         56
        .size:           1
        .value_kind:     by_value
      - .offset:         57
        .size:           1
        .value_kind:     by_value
    .group_segment_fixed_size: 1512
    .kernarg_segment_align: 8
    .kernarg_segment_size: 60
    .language:       OpenCL C
    .language_version:
      - 2
      - 0
    .max_flat_workgroup_size: 64
    .name:           _ZN9rocsolver6v33100L18getri_kernel_smallILi47E19rocblas_complex_numIdEPS3_EEvT1_iilPiilS6_bb
    .private_segment_fixed_size: 784
    .sgpr_count:     65
    .sgpr_spill_count: 0
    .symbol:         _ZN9rocsolver6v33100L18getri_kernel_smallILi47E19rocblas_complex_numIdEPS3_EEvT1_iilPiilS6_bb.kd
    .uniform_work_group_size: 1
    .uses_dynamic_stack: false
    .vgpr_count:     194
    .vgpr_spill_count: 0
    .wavefront_size: 32
    .workgroup_processor_mode: 1
  - .args:
      - .address_space:  global
        .offset:         0
        .size:           8
        .value_kind:     global_buffer
      - .offset:         8
        .size:           4
        .value_kind:     by_value
      - .offset:         12
        .size:           4
        .value_kind:     by_value
      - .offset:         16
        .size:           8
        .value_kind:     by_value
      - .address_space:  global
        .offset:         24
        .size:           8
        .value_kind:     global_buffer
      - .offset:         32
        .size:           4
        .value_kind:     by_value
      - .offset:         40
        .size:           8
        .value_kind:     by_value
      - .address_space:  global
        .offset:         48
        .size:           8
        .value_kind:     global_buffer
      - .offset:         56
        .size:           1
        .value_kind:     by_value
      - .offset:         57
        .size:           1
        .value_kind:     by_value
    .group_segment_fixed_size: 1544
    .kernarg_segment_align: 8
    .kernarg_segment_size: 60
    .language:       OpenCL C
    .language_version:
      - 2
      - 0
    .max_flat_workgroup_size: 64
    .name:           _ZN9rocsolver6v33100L18getri_kernel_smallILi48E19rocblas_complex_numIdEPS3_EEvT1_iilPiilS6_bb
    .private_segment_fixed_size: 800
    .sgpr_count:     66
    .sgpr_spill_count: 0
    .symbol:         _ZN9rocsolver6v33100L18getri_kernel_smallILi48E19rocblas_complex_numIdEPS3_EEvT1_iilPiilS6_bb.kd
    .uniform_work_group_size: 1
    .uses_dynamic_stack: false
    .vgpr_count:     196
    .vgpr_spill_count: 0
    .wavefront_size: 32
    .workgroup_processor_mode: 1
  - .args:
      - .address_space:  global
        .offset:         0
        .size:           8
        .value_kind:     global_buffer
      - .offset:         8
        .size:           4
        .value_kind:     by_value
      - .offset:         12
        .size:           4
        .value_kind:     by_value
      - .offset:         16
        .size:           8
        .value_kind:     by_value
      - .address_space:  global
        .offset:         24
        .size:           8
        .value_kind:     global_buffer
      - .offset:         32
        .size:           4
        .value_kind:     by_value
      - .offset:         40
        .size:           8
        .value_kind:     by_value
      - .address_space:  global
        .offset:         48
        .size:           8
        .value_kind:     global_buffer
      - .offset:         56
        .size:           1
        .value_kind:     by_value
      - .offset:         57
        .size:           1
        .value_kind:     by_value
    .group_segment_fixed_size: 1576
    .kernarg_segment_align: 8
    .kernarg_segment_size: 60
    .language:       OpenCL C
    .language_version:
      - 2
      - 0
    .max_flat_workgroup_size: 64
    .name:           _ZN9rocsolver6v33100L18getri_kernel_smallILi49E19rocblas_complex_numIdEPS3_EEvT1_iilPiilS6_bb
    .private_segment_fixed_size: 816
    .sgpr_count:     67
    .sgpr_spill_count: 0
    .symbol:         _ZN9rocsolver6v33100L18getri_kernel_smallILi49E19rocblas_complex_numIdEPS3_EEvT1_iilPiilS6_bb.kd
    .uniform_work_group_size: 1
    .uses_dynamic_stack: false
    .vgpr_count:     201
    .vgpr_spill_count: 0
    .wavefront_size: 32
    .workgroup_processor_mode: 1
  - .args:
      - .address_space:  global
        .offset:         0
        .size:           8
        .value_kind:     global_buffer
      - .offset:         8
        .size:           4
        .value_kind:     by_value
      - .offset:         12
        .size:           4
        .value_kind:     by_value
      - .offset:         16
        .size:           8
        .value_kind:     by_value
      - .address_space:  global
        .offset:         24
        .size:           8
        .value_kind:     global_buffer
      - .offset:         32
        .size:           4
        .value_kind:     by_value
      - .offset:         40
        .size:           8
        .value_kind:     by_value
      - .address_space:  global
        .offset:         48
        .size:           8
        .value_kind:     global_buffer
      - .offset:         56
        .size:           1
        .value_kind:     by_value
      - .offset:         57
        .size:           1
        .value_kind:     by_value
    .group_segment_fixed_size: 1608
    .kernarg_segment_align: 8
    .kernarg_segment_size: 60
    .language:       OpenCL C
    .language_version:
      - 2
      - 0
    .max_flat_workgroup_size: 64
    .name:           _ZN9rocsolver6v33100L18getri_kernel_smallILi50E19rocblas_complex_numIdEPS3_EEvT1_iilPiilS6_bb
    .private_segment_fixed_size: 832
    .sgpr_count:     68
    .sgpr_spill_count: 0
    .symbol:         _ZN9rocsolver6v33100L18getri_kernel_smallILi50E19rocblas_complex_numIdEPS3_EEvT1_iilPiilS6_bb.kd
    .uniform_work_group_size: 1
    .uses_dynamic_stack: false
    .vgpr_count:     207
    .vgpr_spill_count: 0
    .wavefront_size: 32
    .workgroup_processor_mode: 1
  - .args:
      - .address_space:  global
        .offset:         0
        .size:           8
        .value_kind:     global_buffer
      - .offset:         8
        .size:           4
        .value_kind:     by_value
      - .offset:         12
        .size:           4
        .value_kind:     by_value
      - .offset:         16
        .size:           8
        .value_kind:     by_value
      - .address_space:  global
        .offset:         24
        .size:           8
        .value_kind:     global_buffer
      - .offset:         32
        .size:           4
        .value_kind:     by_value
      - .offset:         40
        .size:           8
        .value_kind:     by_value
      - .address_space:  global
        .offset:         48
        .size:           8
        .value_kind:     global_buffer
      - .offset:         56
        .size:           1
        .value_kind:     by_value
      - .offset:         57
        .size:           1
        .value_kind:     by_value
    .group_segment_fixed_size: 1640
    .kernarg_segment_align: 8
    .kernarg_segment_size: 60
    .language:       OpenCL C
    .language_version:
      - 2
      - 0
    .max_flat_workgroup_size: 64
    .name:           _ZN9rocsolver6v33100L18getri_kernel_smallILi51E19rocblas_complex_numIdEPS3_EEvT1_iilPiilS6_bb
    .private_segment_fixed_size: 864
    .sgpr_count:     69
    .sgpr_spill_count: 0
    .symbol:         _ZN9rocsolver6v33100L18getri_kernel_smallILi51E19rocblas_complex_numIdEPS3_EEvT1_iilPiilS6_bb.kd
    .uniform_work_group_size: 1
    .uses_dynamic_stack: false
    .vgpr_count:     256
    .vgpr_spill_count: 4
    .wavefront_size: 32
    .workgroup_processor_mode: 1
  - .args:
      - .address_space:  global
        .offset:         0
        .size:           8
        .value_kind:     global_buffer
      - .offset:         8
        .size:           4
        .value_kind:     by_value
      - .offset:         12
        .size:           4
        .value_kind:     by_value
      - .offset:         16
        .size:           8
        .value_kind:     by_value
      - .address_space:  global
        .offset:         24
        .size:           8
        .value_kind:     global_buffer
      - .offset:         32
        .size:           4
        .value_kind:     by_value
      - .offset:         40
        .size:           8
        .value_kind:     by_value
      - .address_space:  global
        .offset:         48
        .size:           8
        .value_kind:     global_buffer
      - .offset:         56
        .size:           1
        .value_kind:     by_value
      - .offset:         57
        .size:           1
        .value_kind:     by_value
    .group_segment_fixed_size: 1672
    .kernarg_segment_align: 8
    .kernarg_segment_size: 60
    .language:       OpenCL C
    .language_version:
      - 2
      - 0
    .max_flat_workgroup_size: 64
    .name:           _ZN9rocsolver6v33100L18getri_kernel_smallILi52E19rocblas_complex_numIdEPS3_EEvT1_iilPiilS6_bb
    .private_segment_fixed_size: 864
    .sgpr_count:     70
    .sgpr_spill_count: 0
    .symbol:         _ZN9rocsolver6v33100L18getri_kernel_smallILi52E19rocblas_complex_numIdEPS3_EEvT1_iilPiilS6_bb.kd
    .uniform_work_group_size: 1
    .uses_dynamic_stack: false
    .vgpr_count:     256
    .vgpr_spill_count: 2
    .wavefront_size: 32
    .workgroup_processor_mode: 1
  - .args:
      - .address_space:  global
        .offset:         0
        .size:           8
        .value_kind:     global_buffer
      - .offset:         8
        .size:           4
        .value_kind:     by_value
      - .offset:         12
        .size:           4
        .value_kind:     by_value
      - .offset:         16
        .size:           8
        .value_kind:     by_value
      - .address_space:  global
        .offset:         24
        .size:           8
        .value_kind:     global_buffer
      - .offset:         32
        .size:           4
        .value_kind:     by_value
      - .offset:         40
        .size:           8
        .value_kind:     by_value
      - .address_space:  global
        .offset:         48
        .size:           8
        .value_kind:     global_buffer
      - .offset:         56
        .size:           1
        .value_kind:     by_value
      - .offset:         57
        .size:           1
        .value_kind:     by_value
    .group_segment_fixed_size: 1704
    .kernarg_segment_align: 8
    .kernarg_segment_size: 60
    .language:       OpenCL C
    .language_version:
      - 2
      - 0
    .max_flat_workgroup_size: 64
    .name:           _ZN9rocsolver6v33100L18getri_kernel_smallILi53E19rocblas_complex_numIdEPS3_EEvT1_iilPiilS6_bb
    .private_segment_fixed_size: 880
    .sgpr_count:     71
    .sgpr_spill_count: 0
    .symbol:         _ZN9rocsolver6v33100L18getri_kernel_smallILi53E19rocblas_complex_numIdEPS3_EEvT1_iilPiilS6_bb.kd
    .uniform_work_group_size: 1
    .uses_dynamic_stack: false
    .vgpr_count:     256
    .vgpr_spill_count: 2
    .wavefront_size: 32
    .workgroup_processor_mode: 1
  - .args:
      - .address_space:  global
        .offset:         0
        .size:           8
        .value_kind:     global_buffer
      - .offset:         8
        .size:           4
        .value_kind:     by_value
      - .offset:         12
        .size:           4
        .value_kind:     by_value
      - .offset:         16
        .size:           8
        .value_kind:     by_value
      - .address_space:  global
        .offset:         24
        .size:           8
        .value_kind:     global_buffer
      - .offset:         32
        .size:           4
        .value_kind:     by_value
      - .offset:         40
        .size:           8
        .value_kind:     by_value
      - .address_space:  global
        .offset:         48
        .size:           8
        .value_kind:     global_buffer
      - .offset:         56
        .size:           1
        .value_kind:     by_value
      - .offset:         57
        .size:           1
        .value_kind:     by_value
    .group_segment_fixed_size: 1736
    .kernarg_segment_align: 8
    .kernarg_segment_size: 60
    .language:       OpenCL C
    .language_version:
      - 2
      - 0
    .max_flat_workgroup_size: 64
    .name:           _ZN9rocsolver6v33100L18getri_kernel_smallILi54E19rocblas_complex_numIdEPS3_EEvT1_iilPiilS6_bb
    .private_segment_fixed_size: 896
    .sgpr_count:     72
    .sgpr_spill_count: 0
    .symbol:         _ZN9rocsolver6v33100L18getri_kernel_smallILi54E19rocblas_complex_numIdEPS3_EEvT1_iilPiilS6_bb.kd
    .uniform_work_group_size: 1
    .uses_dynamic_stack: false
    .vgpr_count:     256
    .vgpr_spill_count: 0
    .wavefront_size: 32
    .workgroup_processor_mode: 1
  - .args:
      - .address_space:  global
        .offset:         0
        .size:           8
        .value_kind:     global_buffer
      - .offset:         8
        .size:           4
        .value_kind:     by_value
      - .offset:         12
        .size:           4
        .value_kind:     by_value
      - .offset:         16
        .size:           8
        .value_kind:     by_value
      - .address_space:  global
        .offset:         24
        .size:           8
        .value_kind:     global_buffer
      - .offset:         32
        .size:           4
        .value_kind:     by_value
      - .offset:         40
        .size:           8
        .value_kind:     by_value
      - .address_space:  global
        .offset:         48
        .size:           8
        .value_kind:     global_buffer
      - .offset:         56
        .size:           1
        .value_kind:     by_value
      - .offset:         57
        .size:           1
        .value_kind:     by_value
    .group_segment_fixed_size: 1768
    .kernarg_segment_align: 8
    .kernarg_segment_size: 60
    .language:       OpenCL C
    .language_version:
      - 2
      - 0
    .max_flat_workgroup_size: 64
    .name:           _ZN9rocsolver6v33100L18getri_kernel_smallILi55E19rocblas_complex_numIdEPS3_EEvT1_iilPiilS6_bb
    .private_segment_fixed_size: 912
    .sgpr_count:     73
    .sgpr_spill_count: 0
    .symbol:         _ZN9rocsolver6v33100L18getri_kernel_smallILi55E19rocblas_complex_numIdEPS3_EEvT1_iilPiilS6_bb.kd
    .uniform_work_group_size: 1
    .uses_dynamic_stack: false
    .vgpr_count:     254
    .vgpr_spill_count: 0
    .wavefront_size: 32
    .workgroup_processor_mode: 1
  - .args:
      - .address_space:  global
        .offset:         0
        .size:           8
        .value_kind:     global_buffer
      - .offset:         8
        .size:           4
        .value_kind:     by_value
      - .offset:         12
        .size:           4
        .value_kind:     by_value
      - .offset:         16
        .size:           8
        .value_kind:     by_value
      - .address_space:  global
        .offset:         24
        .size:           8
        .value_kind:     global_buffer
      - .offset:         32
        .size:           4
        .value_kind:     by_value
      - .offset:         40
        .size:           8
        .value_kind:     by_value
      - .address_space:  global
        .offset:         48
        .size:           8
        .value_kind:     global_buffer
      - .offset:         56
        .size:           1
        .value_kind:     by_value
      - .offset:         57
        .size:           1
        .value_kind:     by_value
    .group_segment_fixed_size: 1800
    .kernarg_segment_align: 8
    .kernarg_segment_size: 60
    .language:       OpenCL C
    .language_version:
      - 2
      - 0
    .max_flat_workgroup_size: 64
    .name:           _ZN9rocsolver6v33100L18getri_kernel_smallILi56E19rocblas_complex_numIdEPS3_EEvT1_iilPiilS6_bb
    .private_segment_fixed_size: 928
    .sgpr_count:     74
    .sgpr_spill_count: 0
    .symbol:         _ZN9rocsolver6v33100L18getri_kernel_smallILi56E19rocblas_complex_numIdEPS3_EEvT1_iilPiilS6_bb.kd
    .uniform_work_group_size: 1
    .uses_dynamic_stack: false
    .vgpr_count:     256
    .vgpr_spill_count: 2
    .wavefront_size: 32
    .workgroup_processor_mode: 1
  - .args:
      - .address_space:  global
        .offset:         0
        .size:           8
        .value_kind:     global_buffer
      - .offset:         8
        .size:           4
        .value_kind:     by_value
      - .offset:         12
        .size:           4
        .value_kind:     by_value
      - .offset:         16
        .size:           8
        .value_kind:     by_value
      - .address_space:  global
        .offset:         24
        .size:           8
        .value_kind:     global_buffer
      - .offset:         32
        .size:           4
        .value_kind:     by_value
      - .offset:         40
        .size:           8
        .value_kind:     by_value
      - .address_space:  global
        .offset:         48
        .size:           8
        .value_kind:     global_buffer
      - .offset:         56
        .size:           1
        .value_kind:     by_value
      - .offset:         57
        .size:           1
        .value_kind:     by_value
    .group_segment_fixed_size: 1832
    .kernarg_segment_align: 8
    .kernarg_segment_size: 60
    .language:       OpenCL C
    .language_version:
      - 2
      - 0
    .max_flat_workgroup_size: 64
    .name:           _ZN9rocsolver6v33100L18getri_kernel_smallILi57E19rocblas_complex_numIdEPS3_EEvT1_iilPiilS6_bb
    .private_segment_fixed_size: 944
    .sgpr_count:     75
    .sgpr_spill_count: 0
    .symbol:         _ZN9rocsolver6v33100L18getri_kernel_smallILi57E19rocblas_complex_numIdEPS3_EEvT1_iilPiilS6_bb.kd
    .uniform_work_group_size: 1
    .uses_dynamic_stack: false
    .vgpr_count:     256
    .vgpr_spill_count: 2
    .wavefront_size: 32
    .workgroup_processor_mode: 1
  - .args:
      - .address_space:  global
        .offset:         0
        .size:           8
        .value_kind:     global_buffer
      - .offset:         8
        .size:           4
        .value_kind:     by_value
      - .offset:         12
        .size:           4
        .value_kind:     by_value
      - .offset:         16
        .size:           8
        .value_kind:     by_value
      - .address_space:  global
        .offset:         24
        .size:           8
        .value_kind:     global_buffer
      - .offset:         32
        .size:           4
        .value_kind:     by_value
      - .offset:         40
        .size:           8
        .value_kind:     by_value
      - .address_space:  global
        .offset:         48
        .size:           8
        .value_kind:     global_buffer
      - .offset:         56
        .size:           1
        .value_kind:     by_value
      - .offset:         57
        .size:           1
        .value_kind:     by_value
    .group_segment_fixed_size: 1864
    .kernarg_segment_align: 8
    .kernarg_segment_size: 60
    .language:       OpenCL C
    .language_version:
      - 2
      - 0
    .max_flat_workgroup_size: 64
    .name:           _ZN9rocsolver6v33100L18getri_kernel_smallILi58E19rocblas_complex_numIdEPS3_EEvT1_iilPiilS6_bb
    .private_segment_fixed_size: 992
    .sgpr_count:     76
    .sgpr_spill_count: 0
    .symbol:         _ZN9rocsolver6v33100L18getri_kernel_smallILi58E19rocblas_complex_numIdEPS3_EEvT1_iilPiilS6_bb.kd
    .uniform_work_group_size: 1
    .uses_dynamic_stack: false
    .vgpr_count:     256
    .vgpr_spill_count: 8
    .wavefront_size: 32
    .workgroup_processor_mode: 1
  - .args:
      - .address_space:  global
        .offset:         0
        .size:           8
        .value_kind:     global_buffer
      - .offset:         8
        .size:           4
        .value_kind:     by_value
      - .offset:         12
        .size:           4
        .value_kind:     by_value
      - .offset:         16
        .size:           8
        .value_kind:     by_value
      - .address_space:  global
        .offset:         24
        .size:           8
        .value_kind:     global_buffer
      - .offset:         32
        .size:           4
        .value_kind:     by_value
      - .offset:         40
        .size:           8
        .value_kind:     by_value
      - .address_space:  global
        .offset:         48
        .size:           8
        .value_kind:     global_buffer
      - .offset:         56
        .size:           1
        .value_kind:     by_value
      - .offset:         57
        .size:           1
        .value_kind:     by_value
    .group_segment_fixed_size: 1896
    .kernarg_segment_align: 8
    .kernarg_segment_size: 60
    .language:       OpenCL C
    .language_version:
      - 2
      - 0
    .max_flat_workgroup_size: 64
    .name:           _ZN9rocsolver6v33100L18getri_kernel_smallILi59E19rocblas_complex_numIdEPS3_EEvT1_iilPiilS6_bb
    .private_segment_fixed_size: 1008
    .sgpr_count:     77
    .sgpr_spill_count: 0
    .symbol:         _ZN9rocsolver6v33100L18getri_kernel_smallILi59E19rocblas_complex_numIdEPS3_EEvT1_iilPiilS6_bb.kd
    .uniform_work_group_size: 1
    .uses_dynamic_stack: false
    .vgpr_count:     256
    .vgpr_spill_count: 8
    .wavefront_size: 32
    .workgroup_processor_mode: 1
  - .args:
      - .address_space:  global
        .offset:         0
        .size:           8
        .value_kind:     global_buffer
      - .offset:         8
        .size:           4
        .value_kind:     by_value
      - .offset:         12
        .size:           4
        .value_kind:     by_value
      - .offset:         16
        .size:           8
        .value_kind:     by_value
      - .address_space:  global
        .offset:         24
        .size:           8
        .value_kind:     global_buffer
      - .offset:         32
        .size:           4
        .value_kind:     by_value
      - .offset:         40
        .size:           8
        .value_kind:     by_value
      - .address_space:  global
        .offset:         48
        .size:           8
        .value_kind:     global_buffer
      - .offset:         56
        .size:           1
        .value_kind:     by_value
      - .offset:         57
        .size:           1
        .value_kind:     by_value
    .group_segment_fixed_size: 1928
    .kernarg_segment_align: 8
    .kernarg_segment_size: 60
    .language:       OpenCL C
    .language_version:
      - 2
      - 0
    .max_flat_workgroup_size: 64
    .name:           _ZN9rocsolver6v33100L18getri_kernel_smallILi60E19rocblas_complex_numIdEPS3_EEvT1_iilPiilS6_bb
    .private_segment_fixed_size: 1024
    .sgpr_count:     78
    .sgpr_spill_count: 0
    .symbol:         _ZN9rocsolver6v33100L18getri_kernel_smallILi60E19rocblas_complex_numIdEPS3_EEvT1_iilPiilS6_bb.kd
    .uniform_work_group_size: 1
    .uses_dynamic_stack: false
    .vgpr_count:     256
    .vgpr_spill_count: 8
    .wavefront_size: 32
    .workgroup_processor_mode: 1
  - .args:
      - .address_space:  global
        .offset:         0
        .size:           8
        .value_kind:     global_buffer
      - .offset:         8
        .size:           4
        .value_kind:     by_value
      - .offset:         12
        .size:           4
        .value_kind:     by_value
      - .offset:         16
        .size:           8
        .value_kind:     by_value
      - .address_space:  global
        .offset:         24
        .size:           8
        .value_kind:     global_buffer
      - .offset:         32
        .size:           4
        .value_kind:     by_value
      - .offset:         40
        .size:           8
        .value_kind:     by_value
      - .address_space:  global
        .offset:         48
        .size:           8
        .value_kind:     global_buffer
      - .offset:         56
        .size:           1
        .value_kind:     by_value
      - .offset:         57
        .size:           1
        .value_kind:     by_value
    .group_segment_fixed_size: 1960
    .kernarg_segment_align: 8
    .kernarg_segment_size: 60
    .language:       OpenCL C
    .language_version:
      - 2
      - 0
    .max_flat_workgroup_size: 64
    .name:           _ZN9rocsolver6v33100L18getri_kernel_smallILi61E19rocblas_complex_numIdEPS3_EEvT1_iilPiilS6_bb
    .private_segment_fixed_size: 1024
    .sgpr_count:     83
    .sgpr_spill_count: 0
    .symbol:         _ZN9rocsolver6v33100L18getri_kernel_smallILi61E19rocblas_complex_numIdEPS3_EEvT1_iilPiilS6_bb.kd
    .uniform_work_group_size: 1
    .uses_dynamic_stack: false
    .vgpr_count:     256
    .vgpr_spill_count: 4
    .wavefront_size: 32
    .workgroup_processor_mode: 1
  - .args:
      - .address_space:  global
        .offset:         0
        .size:           8
        .value_kind:     global_buffer
      - .offset:         8
        .size:           4
        .value_kind:     by_value
      - .offset:         12
        .size:           4
        .value_kind:     by_value
      - .offset:         16
        .size:           8
        .value_kind:     by_value
      - .address_space:  global
        .offset:         24
        .size:           8
        .value_kind:     global_buffer
      - .offset:         32
        .size:           4
        .value_kind:     by_value
      - .offset:         40
        .size:           8
        .value_kind:     by_value
      - .address_space:  global
        .offset:         48
        .size:           8
        .value_kind:     global_buffer
      - .offset:         56
        .size:           1
        .value_kind:     by_value
      - .offset:         57
        .size:           1
        .value_kind:     by_value
    .group_segment_fixed_size: 1992
    .kernarg_segment_align: 8
    .kernarg_segment_size: 60
    .language:       OpenCL C
    .language_version:
      - 2
      - 0
    .max_flat_workgroup_size: 64
    .name:           _ZN9rocsolver6v33100L18getri_kernel_smallILi62E19rocblas_complex_numIdEPS3_EEvT1_iilPiilS6_bb
    .private_segment_fixed_size: 1056
    .sgpr_count:     84
    .sgpr_spill_count: 0
    .symbol:         _ZN9rocsolver6v33100L18getri_kernel_smallILi62E19rocblas_complex_numIdEPS3_EEvT1_iilPiilS6_bb.kd
    .uniform_work_group_size: 1
    .uses_dynamic_stack: false
    .vgpr_count:     256
    .vgpr_spill_count: 8
    .wavefront_size: 32
    .workgroup_processor_mode: 1
  - .args:
      - .address_space:  global
        .offset:         0
        .size:           8
        .value_kind:     global_buffer
      - .offset:         8
        .size:           4
        .value_kind:     by_value
      - .offset:         12
        .size:           4
        .value_kind:     by_value
      - .offset:         16
        .size:           8
        .value_kind:     by_value
      - .address_space:  global
        .offset:         24
        .size:           8
        .value_kind:     global_buffer
      - .offset:         32
        .size:           4
        .value_kind:     by_value
      - .offset:         40
        .size:           8
        .value_kind:     by_value
      - .address_space:  global
        .offset:         48
        .size:           8
        .value_kind:     global_buffer
      - .offset:         56
        .size:           1
        .value_kind:     by_value
      - .offset:         57
        .size:           1
        .value_kind:     by_value
    .group_segment_fixed_size: 2024
    .kernarg_segment_align: 8
    .kernarg_segment_size: 60
    .language:       OpenCL C
    .language_version:
      - 2
      - 0
    .max_flat_workgroup_size: 64
    .name:           _ZN9rocsolver6v33100L18getri_kernel_smallILi63E19rocblas_complex_numIdEPS3_EEvT1_iilPiilS6_bb
    .private_segment_fixed_size: 1072
    .sgpr_count:     85
    .sgpr_spill_count: 0
    .symbol:         _ZN9rocsolver6v33100L18getri_kernel_smallILi63E19rocblas_complex_numIdEPS3_EEvT1_iilPiilS6_bb.kd
    .uniform_work_group_size: 1
    .uses_dynamic_stack: false
    .vgpr_count:     256
    .vgpr_spill_count: 8
    .wavefront_size: 32
    .workgroup_processor_mode: 1
  - .args:
      - .address_space:  global
        .offset:         0
        .size:           8
        .value_kind:     global_buffer
      - .offset:         8
        .size:           4
        .value_kind:     by_value
      - .offset:         12
        .size:           4
        .value_kind:     by_value
      - .offset:         16
        .size:           8
        .value_kind:     by_value
      - .address_space:  global
        .offset:         24
        .size:           8
        .value_kind:     global_buffer
      - .offset:         32
        .size:           4
        .value_kind:     by_value
      - .offset:         40
        .size:           8
        .value_kind:     by_value
      - .address_space:  global
        .offset:         48
        .size:           8
        .value_kind:     global_buffer
      - .offset:         56
        .size:           1
        .value_kind:     by_value
      - .offset:         57
        .size:           1
        .value_kind:     by_value
    .group_segment_fixed_size: 2056
    .kernarg_segment_align: 8
    .kernarg_segment_size: 60
    .language:       OpenCL C
    .language_version:
      - 2
      - 0
    .max_flat_workgroup_size: 64
    .name:           _ZN9rocsolver6v33100L18getri_kernel_smallILi64E19rocblas_complex_numIdEPS3_EEvT1_iilPiilS6_bb
    .private_segment_fixed_size: 1088
    .sgpr_count:     86
    .sgpr_spill_count: 0
    .symbol:         _ZN9rocsolver6v33100L18getri_kernel_smallILi64E19rocblas_complex_numIdEPS3_EEvT1_iilPiilS6_bb.kd
    .uniform_work_group_size: 1
    .uses_dynamic_stack: false
    .vgpr_count:     256
    .vgpr_spill_count: 8
    .wavefront_size: 32
    .workgroup_processor_mode: 1
  - .args:
      - .address_space:  global
        .offset:         0
        .size:           8
        .value_kind:     global_buffer
      - .offset:         8
        .size:           4
        .value_kind:     by_value
      - .offset:         12
        .size:           4
        .value_kind:     by_value
      - .offset:         16
        .size:           8
        .value_kind:     by_value
      - .address_space:  global
        .offset:         24
        .size:           8
        .value_kind:     global_buffer
      - .offset:         32
        .size:           4
        .value_kind:     by_value
      - .offset:         40
        .size:           8
        .value_kind:     by_value
      - .address_space:  global
        .offset:         48
        .size:           8
        .value_kind:     global_buffer
      - .offset:         56
        .size:           1
        .value_kind:     by_value
      - .offset:         57
        .size:           1
        .value_kind:     by_value
    .group_segment_fixed_size: 4
    .kernarg_segment_align: 8
    .kernarg_segment_size: 60
    .language:       OpenCL C
    .language_version:
      - 2
      - 0
    .max_flat_workgroup_size: 64
    .name:           _ZN9rocsolver6v33100L18getri_kernel_smallILi1E19rocblas_complex_numIdEPKPS3_EEvT1_iilPiilS8_bb
    .private_segment_fixed_size: 0
    .sgpr_count:     14
    .sgpr_spill_count: 0
    .symbol:         _ZN9rocsolver6v33100L18getri_kernel_smallILi1E19rocblas_complex_numIdEPKPS3_EEvT1_iilPiilS8_bb.kd
    .uniform_work_group_size: 1
    .uses_dynamic_stack: false
    .vgpr_count:     12
    .vgpr_spill_count: 0
    .wavefront_size: 32
    .workgroup_processor_mode: 1
  - .args:
      - .address_space:  global
        .offset:         0
        .size:           8
        .value_kind:     global_buffer
      - .offset:         8
        .size:           4
        .value_kind:     by_value
      - .offset:         12
        .size:           4
        .value_kind:     by_value
      - .offset:         16
        .size:           8
        .value_kind:     by_value
      - .address_space:  global
        .offset:         24
        .size:           8
        .value_kind:     global_buffer
      - .offset:         32
        .size:           4
        .value_kind:     by_value
      - .offset:         40
        .size:           8
        .value_kind:     by_value
      - .address_space:  global
        .offset:         48
        .size:           8
        .value_kind:     global_buffer
      - .offset:         56
        .size:           1
        .value_kind:     by_value
      - .offset:         57
        .size:           1
        .value_kind:     by_value
    .group_segment_fixed_size: 1096
    .kernarg_segment_align: 8
    .kernarg_segment_size: 60
    .language:       OpenCL C
    .language_version:
      - 2
      - 0
    .max_flat_workgroup_size: 64
    .name:           _ZN9rocsolver6v33100L18getri_kernel_smallILi2E19rocblas_complex_numIdEPKPS3_EEvT1_iilPiilS8_bb
    .private_segment_fixed_size: 48
    .sgpr_count:     24
    .sgpr_spill_count: 0
    .symbol:         _ZN9rocsolver6v33100L18getri_kernel_smallILi2E19rocblas_complex_numIdEPKPS3_EEvT1_iilPiilS8_bb.kd
    .uniform_work_group_size: 1
    .uses_dynamic_stack: false
    .vgpr_count:     23
    .vgpr_spill_count: 0
    .wavefront_size: 32
    .workgroup_processor_mode: 1
  - .args:
      - .address_space:  global
        .offset:         0
        .size:           8
        .value_kind:     global_buffer
      - .offset:         8
        .size:           4
        .value_kind:     by_value
      - .offset:         12
        .size:           4
        .value_kind:     by_value
      - .offset:         16
        .size:           8
        .value_kind:     by_value
      - .address_space:  global
        .offset:         24
        .size:           8
        .value_kind:     global_buffer
      - .offset:         32
        .size:           4
        .value_kind:     by_value
      - .offset:         40
        .size:           8
        .value_kind:     by_value
      - .address_space:  global
        .offset:         48
        .size:           8
        .value_kind:     global_buffer
      - .offset:         56
        .size:           1
        .value_kind:     by_value
      - .offset:         57
        .size:           1
        .value_kind:     by_value
    .group_segment_fixed_size: 104
    .kernarg_segment_align: 8
    .kernarg_segment_size: 60
    .language:       OpenCL C
    .language_version:
      - 2
      - 0
    .max_flat_workgroup_size: 64
    .name:           _ZN9rocsolver6v33100L18getri_kernel_smallILi3E19rocblas_complex_numIdEPKPS3_EEvT1_iilPiilS8_bb
    .private_segment_fixed_size: 80
    .sgpr_count:     22
    .sgpr_spill_count: 0
    .symbol:         _ZN9rocsolver6v33100L18getri_kernel_smallILi3E19rocblas_complex_numIdEPKPS3_EEvT1_iilPiilS8_bb.kd
    .uniform_work_group_size: 1
    .uses_dynamic_stack: false
    .vgpr_count:     31
    .vgpr_spill_count: 0
    .wavefront_size: 32
    .workgroup_processor_mode: 1
  - .args:
      - .address_space:  global
        .offset:         0
        .size:           8
        .value_kind:     global_buffer
      - .offset:         8
        .size:           4
        .value_kind:     by_value
      - .offset:         12
        .size:           4
        .value_kind:     by_value
      - .offset:         16
        .size:           8
        .value_kind:     by_value
      - .address_space:  global
        .offset:         24
        .size:           8
        .value_kind:     global_buffer
      - .offset:         32
        .size:           4
        .value_kind:     by_value
      - .offset:         40
        .size:           8
        .value_kind:     by_value
      - .address_space:  global
        .offset:         48
        .size:           8
        .value_kind:     global_buffer
      - .offset:         56
        .size:           1
        .value_kind:     by_value
      - .offset:         57
        .size:           1
        .value_kind:     by_value
    .group_segment_fixed_size: 1160
    .kernarg_segment_align: 8
    .kernarg_segment_size: 60
    .language:       OpenCL C
    .language_version:
      - 2
      - 0
    .max_flat_workgroup_size: 64
    .name:           _ZN9rocsolver6v33100L18getri_kernel_smallILi4E19rocblas_complex_numIdEPKPS3_EEvT1_iilPiilS8_bb
    .private_segment_fixed_size: 80
    .sgpr_count:     24
    .sgpr_spill_count: 0
    .symbol:         _ZN9rocsolver6v33100L18getri_kernel_smallILi4E19rocblas_complex_numIdEPKPS3_EEvT1_iilPiilS8_bb.kd
    .uniform_work_group_size: 1
    .uses_dynamic_stack: false
    .vgpr_count:     45
    .vgpr_spill_count: 0
    .wavefront_size: 32
    .workgroup_processor_mode: 1
  - .args:
      - .address_space:  global
        .offset:         0
        .size:           8
        .value_kind:     global_buffer
      - .offset:         8
        .size:           4
        .value_kind:     by_value
      - .offset:         12
        .size:           4
        .value_kind:     by_value
      - .offset:         16
        .size:           8
        .value_kind:     by_value
      - .address_space:  global
        .offset:         24
        .size:           8
        .value_kind:     global_buffer
      - .offset:         32
        .size:           4
        .value_kind:     by_value
      - .offset:         40
        .size:           8
        .value_kind:     by_value
      - .address_space:  global
        .offset:         48
        .size:           8
        .value_kind:     global_buffer
      - .offset:         56
        .size:           1
        .value_kind:     by_value
      - .offset:         57
        .size:           1
        .value_kind:     by_value
    .group_segment_fixed_size: 1192
    .kernarg_segment_align: 8
    .kernarg_segment_size: 60
    .language:       OpenCL C
    .language_version:
      - 2
      - 0
    .max_flat_workgroup_size: 64
    .name:           _ZN9rocsolver6v33100L18getri_kernel_smallILi5E19rocblas_complex_numIdEPKPS3_EEvT1_iilPiilS8_bb
    .private_segment_fixed_size: 96
    .sgpr_count:     24
    .sgpr_spill_count: 0
    .symbol:         _ZN9rocsolver6v33100L18getri_kernel_smallILi5E19rocblas_complex_numIdEPKPS3_EEvT1_iilPiilS8_bb.kd
    .uniform_work_group_size: 1
    .uses_dynamic_stack: false
    .vgpr_count:     51
    .vgpr_spill_count: 0
    .wavefront_size: 32
    .workgroup_processor_mode: 1
  - .args:
      - .address_space:  global
        .offset:         0
        .size:           8
        .value_kind:     global_buffer
      - .offset:         8
        .size:           4
        .value_kind:     by_value
      - .offset:         12
        .size:           4
        .value_kind:     by_value
      - .offset:         16
        .size:           8
        .value_kind:     by_value
      - .address_space:  global
        .offset:         24
        .size:           8
        .value_kind:     global_buffer
      - .offset:         32
        .size:           4
        .value_kind:     by_value
      - .offset:         40
        .size:           8
        .value_kind:     by_value
      - .address_space:  global
        .offset:         48
        .size:           8
        .value_kind:     global_buffer
      - .offset:         56
        .size:           1
        .value_kind:     by_value
      - .offset:         57
        .size:           1
        .value_kind:     by_value
    .group_segment_fixed_size: 1224
    .kernarg_segment_align: 8
    .kernarg_segment_size: 60
    .language:       OpenCL C
    .language_version:
      - 2
      - 0
    .max_flat_workgroup_size: 64
    .name:           _ZN9rocsolver6v33100L18getri_kernel_smallILi6E19rocblas_complex_numIdEPKPS3_EEvT1_iilPiilS8_bb
    .private_segment_fixed_size: 112
    .sgpr_count:     25
    .sgpr_spill_count: 0
    .symbol:         _ZN9rocsolver6v33100L18getri_kernel_smallILi6E19rocblas_complex_numIdEPKPS3_EEvT1_iilPiilS8_bb.kd
    .uniform_work_group_size: 1
    .uses_dynamic_stack: false
    .vgpr_count:     57
    .vgpr_spill_count: 0
    .wavefront_size: 32
    .workgroup_processor_mode: 1
  - .args:
      - .address_space:  global
        .offset:         0
        .size:           8
        .value_kind:     global_buffer
      - .offset:         8
        .size:           4
        .value_kind:     by_value
      - .offset:         12
        .size:           4
        .value_kind:     by_value
      - .offset:         16
        .size:           8
        .value_kind:     by_value
      - .address_space:  global
        .offset:         24
        .size:           8
        .value_kind:     global_buffer
      - .offset:         32
        .size:           4
        .value_kind:     by_value
      - .offset:         40
        .size:           8
        .value_kind:     by_value
      - .address_space:  global
        .offset:         48
        .size:           8
        .value_kind:     global_buffer
      - .offset:         56
        .size:           1
        .value_kind:     by_value
      - .offset:         57
        .size:           1
        .value_kind:     by_value
    .group_segment_fixed_size: 1256
    .kernarg_segment_align: 8
    .kernarg_segment_size: 60
    .language:       OpenCL C
    .language_version:
      - 2
      - 0
    .max_flat_workgroup_size: 64
    .name:           _ZN9rocsolver6v33100L18getri_kernel_smallILi7E19rocblas_complex_numIdEPKPS3_EEvT1_iilPiilS8_bb
    .private_segment_fixed_size: 128
    .sgpr_count:     26
    .sgpr_spill_count: 0
    .symbol:         _ZN9rocsolver6v33100L18getri_kernel_smallILi7E19rocblas_complex_numIdEPKPS3_EEvT1_iilPiilS8_bb.kd
    .uniform_work_group_size: 1
    .uses_dynamic_stack: false
    .vgpr_count:     63
    .vgpr_spill_count: 0
    .wavefront_size: 32
    .workgroup_processor_mode: 1
  - .args:
      - .address_space:  global
        .offset:         0
        .size:           8
        .value_kind:     global_buffer
      - .offset:         8
        .size:           4
        .value_kind:     by_value
      - .offset:         12
        .size:           4
        .value_kind:     by_value
      - .offset:         16
        .size:           8
        .value_kind:     by_value
      - .address_space:  global
        .offset:         24
        .size:           8
        .value_kind:     global_buffer
      - .offset:         32
        .size:           4
        .value_kind:     by_value
      - .offset:         40
        .size:           8
        .value_kind:     by_value
      - .address_space:  global
        .offset:         48
        .size:           8
        .value_kind:     global_buffer
      - .offset:         56
        .size:           1
        .value_kind:     by_value
      - .offset:         57
        .size:           1
        .value_kind:     by_value
    .group_segment_fixed_size: 1288
    .kernarg_segment_align: 8
    .kernarg_segment_size: 60
    .language:       OpenCL C
    .language_version:
      - 2
      - 0
    .max_flat_workgroup_size: 64
    .name:           _ZN9rocsolver6v33100L18getri_kernel_smallILi8E19rocblas_complex_numIdEPKPS3_EEvT1_iilPiilS8_bb
    .private_segment_fixed_size: 144
    .sgpr_count:     27
    .sgpr_spill_count: 0
    .symbol:         _ZN9rocsolver6v33100L18getri_kernel_smallILi8E19rocblas_complex_numIdEPKPS3_EEvT1_iilPiilS8_bb.kd
    .uniform_work_group_size: 1
    .uses_dynamic_stack: false
    .vgpr_count:     69
    .vgpr_spill_count: 0
    .wavefront_size: 32
    .workgroup_processor_mode: 1
  - .args:
      - .address_space:  global
        .offset:         0
        .size:           8
        .value_kind:     global_buffer
      - .offset:         8
        .size:           4
        .value_kind:     by_value
      - .offset:         12
        .size:           4
        .value_kind:     by_value
      - .offset:         16
        .size:           8
        .value_kind:     by_value
      - .address_space:  global
        .offset:         24
        .size:           8
        .value_kind:     global_buffer
      - .offset:         32
        .size:           4
        .value_kind:     by_value
      - .offset:         40
        .size:           8
        .value_kind:     by_value
      - .address_space:  global
        .offset:         48
        .size:           8
        .value_kind:     global_buffer
      - .offset:         56
        .size:           1
        .value_kind:     by_value
      - .offset:         57
        .size:           1
        .value_kind:     by_value
    .group_segment_fixed_size: 1320
    .kernarg_segment_align: 8
    .kernarg_segment_size: 60
    .language:       OpenCL C
    .language_version:
      - 2
      - 0
    .max_flat_workgroup_size: 64
    .name:           _ZN9rocsolver6v33100L18getri_kernel_smallILi9E19rocblas_complex_numIdEPKPS3_EEvT1_iilPiilS8_bb
    .private_segment_fixed_size: 160
    .sgpr_count:     28
    .sgpr_spill_count: 0
    .symbol:         _ZN9rocsolver6v33100L18getri_kernel_smallILi9E19rocblas_complex_numIdEPKPS3_EEvT1_iilPiilS8_bb.kd
    .uniform_work_group_size: 1
    .uses_dynamic_stack: false
    .vgpr_count:     75
    .vgpr_spill_count: 0
    .wavefront_size: 32
    .workgroup_processor_mode: 1
  - .args:
      - .address_space:  global
        .offset:         0
        .size:           8
        .value_kind:     global_buffer
      - .offset:         8
        .size:           4
        .value_kind:     by_value
      - .offset:         12
        .size:           4
        .value_kind:     by_value
      - .offset:         16
        .size:           8
        .value_kind:     by_value
      - .address_space:  global
        .offset:         24
        .size:           8
        .value_kind:     global_buffer
      - .offset:         32
        .size:           4
        .value_kind:     by_value
      - .offset:         40
        .size:           8
        .value_kind:     by_value
      - .address_space:  global
        .offset:         48
        .size:           8
        .value_kind:     global_buffer
      - .offset:         56
        .size:           1
        .value_kind:     by_value
      - .offset:         57
        .size:           1
        .value_kind:     by_value
    .group_segment_fixed_size: 1352
    .kernarg_segment_align: 8
    .kernarg_segment_size: 60
    .language:       OpenCL C
    .language_version:
      - 2
      - 0
    .max_flat_workgroup_size: 64
    .name:           _ZN9rocsolver6v33100L18getri_kernel_smallILi10E19rocblas_complex_numIdEPKPS3_EEvT1_iilPiilS8_bb
    .private_segment_fixed_size: 176
    .sgpr_count:     29
    .sgpr_spill_count: 0
    .symbol:         _ZN9rocsolver6v33100L18getri_kernel_smallILi10E19rocblas_complex_numIdEPKPS3_EEvT1_iilPiilS8_bb.kd
    .uniform_work_group_size: 1
    .uses_dynamic_stack: false
    .vgpr_count:     81
    .vgpr_spill_count: 0
    .wavefront_size: 32
    .workgroup_processor_mode: 1
  - .args:
      - .address_space:  global
        .offset:         0
        .size:           8
        .value_kind:     global_buffer
      - .offset:         8
        .size:           4
        .value_kind:     by_value
      - .offset:         12
        .size:           4
        .value_kind:     by_value
      - .offset:         16
        .size:           8
        .value_kind:     by_value
      - .address_space:  global
        .offset:         24
        .size:           8
        .value_kind:     global_buffer
      - .offset:         32
        .size:           4
        .value_kind:     by_value
      - .offset:         40
        .size:           8
        .value_kind:     by_value
      - .address_space:  global
        .offset:         48
        .size:           8
        .value_kind:     global_buffer
      - .offset:         56
        .size:           1
        .value_kind:     by_value
      - .offset:         57
        .size:           1
        .value_kind:     by_value
    .group_segment_fixed_size: 1384
    .kernarg_segment_align: 8
    .kernarg_segment_size: 60
    .language:       OpenCL C
    .language_version:
      - 2
      - 0
    .max_flat_workgroup_size: 64
    .name:           _ZN9rocsolver6v33100L18getri_kernel_smallILi11E19rocblas_complex_numIdEPKPS3_EEvT1_iilPiilS8_bb
    .private_segment_fixed_size: 192
    .sgpr_count:     30
    .sgpr_spill_count: 0
    .symbol:         _ZN9rocsolver6v33100L18getri_kernel_smallILi11E19rocblas_complex_numIdEPKPS3_EEvT1_iilPiilS8_bb.kd
    .uniform_work_group_size: 1
    .uses_dynamic_stack: false
    .vgpr_count:     87
    .vgpr_spill_count: 0
    .wavefront_size: 32
    .workgroup_processor_mode: 1
  - .args:
      - .address_space:  global
        .offset:         0
        .size:           8
        .value_kind:     global_buffer
      - .offset:         8
        .size:           4
        .value_kind:     by_value
      - .offset:         12
        .size:           4
        .value_kind:     by_value
      - .offset:         16
        .size:           8
        .value_kind:     by_value
      - .address_space:  global
        .offset:         24
        .size:           8
        .value_kind:     global_buffer
      - .offset:         32
        .size:           4
        .value_kind:     by_value
      - .offset:         40
        .size:           8
        .value_kind:     by_value
      - .address_space:  global
        .offset:         48
        .size:           8
        .value_kind:     global_buffer
      - .offset:         56
        .size:           1
        .value_kind:     by_value
      - .offset:         57
        .size:           1
        .value_kind:     by_value
    .group_segment_fixed_size: 1416
    .kernarg_segment_align: 8
    .kernarg_segment_size: 60
    .language:       OpenCL C
    .language_version:
      - 2
      - 0
    .max_flat_workgroup_size: 64
    .name:           _ZN9rocsolver6v33100L18getri_kernel_smallILi12E19rocblas_complex_numIdEPKPS3_EEvT1_iilPiilS8_bb
    .private_segment_fixed_size: 208
    .sgpr_count:     31
    .sgpr_spill_count: 0
    .symbol:         _ZN9rocsolver6v33100L18getri_kernel_smallILi12E19rocblas_complex_numIdEPKPS3_EEvT1_iilPiilS8_bb.kd
    .uniform_work_group_size: 1
    .uses_dynamic_stack: false
    .vgpr_count:     93
    .vgpr_spill_count: 0
    .wavefront_size: 32
    .workgroup_processor_mode: 1
  - .args:
      - .address_space:  global
        .offset:         0
        .size:           8
        .value_kind:     global_buffer
      - .offset:         8
        .size:           4
        .value_kind:     by_value
      - .offset:         12
        .size:           4
        .value_kind:     by_value
      - .offset:         16
        .size:           8
        .value_kind:     by_value
      - .address_space:  global
        .offset:         24
        .size:           8
        .value_kind:     global_buffer
      - .offset:         32
        .size:           4
        .value_kind:     by_value
      - .offset:         40
        .size:           8
        .value_kind:     by_value
      - .address_space:  global
        .offset:         48
        .size:           8
        .value_kind:     global_buffer
      - .offset:         56
        .size:           1
        .value_kind:     by_value
      - .offset:         57
        .size:           1
        .value_kind:     by_value
    .group_segment_fixed_size: 1448
    .kernarg_segment_align: 8
    .kernarg_segment_size: 60
    .language:       OpenCL C
    .language_version:
      - 2
      - 0
    .max_flat_workgroup_size: 64
    .name:           _ZN9rocsolver6v33100L18getri_kernel_smallILi13E19rocblas_complex_numIdEPKPS3_EEvT1_iilPiilS8_bb
    .private_segment_fixed_size: 224
    .sgpr_count:     33
    .sgpr_spill_count: 0
    .symbol:         _ZN9rocsolver6v33100L18getri_kernel_smallILi13E19rocblas_complex_numIdEPKPS3_EEvT1_iilPiilS8_bb.kd
    .uniform_work_group_size: 1
    .uses_dynamic_stack: false
    .vgpr_count:     99
    .vgpr_spill_count: 0
    .wavefront_size: 32
    .workgroup_processor_mode: 1
  - .args:
      - .address_space:  global
        .offset:         0
        .size:           8
        .value_kind:     global_buffer
      - .offset:         8
        .size:           4
        .value_kind:     by_value
      - .offset:         12
        .size:           4
        .value_kind:     by_value
      - .offset:         16
        .size:           8
        .value_kind:     by_value
      - .address_space:  global
        .offset:         24
        .size:           8
        .value_kind:     global_buffer
      - .offset:         32
        .size:           4
        .value_kind:     by_value
      - .offset:         40
        .size:           8
        .value_kind:     by_value
      - .address_space:  global
        .offset:         48
        .size:           8
        .value_kind:     global_buffer
      - .offset:         56
        .size:           1
        .value_kind:     by_value
      - .offset:         57
        .size:           1
        .value_kind:     by_value
    .group_segment_fixed_size: 1480
    .kernarg_segment_align: 8
    .kernarg_segment_size: 60
    .language:       OpenCL C
    .language_version:
      - 2
      - 0
    .max_flat_workgroup_size: 64
    .name:           _ZN9rocsolver6v33100L18getri_kernel_smallILi14E19rocblas_complex_numIdEPKPS3_EEvT1_iilPiilS8_bb
    .private_segment_fixed_size: 240
    .sgpr_count:     34
    .sgpr_spill_count: 0
    .symbol:         _ZN9rocsolver6v33100L18getri_kernel_smallILi14E19rocblas_complex_numIdEPKPS3_EEvT1_iilPiilS8_bb.kd
    .uniform_work_group_size: 1
    .uses_dynamic_stack: false
    .vgpr_count:     105
    .vgpr_spill_count: 0
    .wavefront_size: 32
    .workgroup_processor_mode: 1
  - .args:
      - .address_space:  global
        .offset:         0
        .size:           8
        .value_kind:     global_buffer
      - .offset:         8
        .size:           4
        .value_kind:     by_value
      - .offset:         12
        .size:           4
        .value_kind:     by_value
      - .offset:         16
        .size:           8
        .value_kind:     by_value
      - .address_space:  global
        .offset:         24
        .size:           8
        .value_kind:     global_buffer
      - .offset:         32
        .size:           4
        .value_kind:     by_value
      - .offset:         40
        .size:           8
        .value_kind:     by_value
      - .address_space:  global
        .offset:         48
        .size:           8
        .value_kind:     global_buffer
      - .offset:         56
        .size:           1
        .value_kind:     by_value
      - .offset:         57
        .size:           1
        .value_kind:     by_value
    .group_segment_fixed_size: 1512
    .kernarg_segment_align: 8
    .kernarg_segment_size: 60
    .language:       OpenCL C
    .language_version:
      - 2
      - 0
    .max_flat_workgroup_size: 64
    .name:           _ZN9rocsolver6v33100L18getri_kernel_smallILi15E19rocblas_complex_numIdEPKPS3_EEvT1_iilPiilS8_bb
    .private_segment_fixed_size: 256
    .sgpr_count:     37
    .sgpr_spill_count: 0
    .symbol:         _ZN9rocsolver6v33100L18getri_kernel_smallILi15E19rocblas_complex_numIdEPKPS3_EEvT1_iilPiilS8_bb.kd
    .uniform_work_group_size: 1
    .uses_dynamic_stack: false
    .vgpr_count:     111
    .vgpr_spill_count: 0
    .wavefront_size: 32
    .workgroup_processor_mode: 1
  - .args:
      - .address_space:  global
        .offset:         0
        .size:           8
        .value_kind:     global_buffer
      - .offset:         8
        .size:           4
        .value_kind:     by_value
      - .offset:         12
        .size:           4
        .value_kind:     by_value
      - .offset:         16
        .size:           8
        .value_kind:     by_value
      - .address_space:  global
        .offset:         24
        .size:           8
        .value_kind:     global_buffer
      - .offset:         32
        .size:           4
        .value_kind:     by_value
      - .offset:         40
        .size:           8
        .value_kind:     by_value
      - .address_space:  global
        .offset:         48
        .size:           8
        .value_kind:     global_buffer
      - .offset:         56
        .size:           1
        .value_kind:     by_value
      - .offset:         57
        .size:           1
        .value_kind:     by_value
    .group_segment_fixed_size: 1544
    .kernarg_segment_align: 8
    .kernarg_segment_size: 60
    .language:       OpenCL C
    .language_version:
      - 2
      - 0
    .max_flat_workgroup_size: 64
    .name:           _ZN9rocsolver6v33100L18getri_kernel_smallILi16E19rocblas_complex_numIdEPKPS3_EEvT1_iilPiilS8_bb
    .private_segment_fixed_size: 272
    .sgpr_count:     38
    .sgpr_spill_count: 0
    .symbol:         _ZN9rocsolver6v33100L18getri_kernel_smallILi16E19rocblas_complex_numIdEPKPS3_EEvT1_iilPiilS8_bb.kd
    .uniform_work_group_size: 1
    .uses_dynamic_stack: false
    .vgpr_count:     117
    .vgpr_spill_count: 0
    .wavefront_size: 32
    .workgroup_processor_mode: 1
  - .args:
      - .address_space:  global
        .offset:         0
        .size:           8
        .value_kind:     global_buffer
      - .offset:         8
        .size:           4
        .value_kind:     by_value
      - .offset:         12
        .size:           4
        .value_kind:     by_value
      - .offset:         16
        .size:           8
        .value_kind:     by_value
      - .address_space:  global
        .offset:         24
        .size:           8
        .value_kind:     global_buffer
      - .offset:         32
        .size:           4
        .value_kind:     by_value
      - .offset:         40
        .size:           8
        .value_kind:     by_value
      - .address_space:  global
        .offset:         48
        .size:           8
        .value_kind:     global_buffer
      - .offset:         56
        .size:           1
        .value_kind:     by_value
      - .offset:         57
        .size:           1
        .value_kind:     by_value
    .group_segment_fixed_size: 552
    .kernarg_segment_align: 8
    .kernarg_segment_size: 60
    .language:       OpenCL C
    .language_version:
      - 2
      - 0
    .max_flat_workgroup_size: 64
    .name:           _ZN9rocsolver6v33100L18getri_kernel_smallILi17E19rocblas_complex_numIdEPKPS3_EEvT1_iilPiilS8_bb
    .private_segment_fixed_size: 304
    .sgpr_count:     38
    .sgpr_spill_count: 0
    .symbol:         _ZN9rocsolver6v33100L18getri_kernel_smallILi17E19rocblas_complex_numIdEPKPS3_EEvT1_iilPiilS8_bb.kd
    .uniform_work_group_size: 1
    .uses_dynamic_stack: false
    .vgpr_count:     117
    .vgpr_spill_count: 0
    .wavefront_size: 32
    .workgroup_processor_mode: 1
  - .args:
      - .address_space:  global
        .offset:         0
        .size:           8
        .value_kind:     global_buffer
      - .offset:         8
        .size:           4
        .value_kind:     by_value
      - .offset:         12
        .size:           4
        .value_kind:     by_value
      - .offset:         16
        .size:           8
        .value_kind:     by_value
      - .address_space:  global
        .offset:         24
        .size:           8
        .value_kind:     global_buffer
      - .offset:         32
        .size:           4
        .value_kind:     by_value
      - .offset:         40
        .size:           8
        .value_kind:     by_value
      - .address_space:  global
        .offset:         48
        .size:           8
        .value_kind:     global_buffer
      - .offset:         56
        .size:           1
        .value_kind:     by_value
      - .offset:         57
        .size:           1
        .value_kind:     by_value
    .group_segment_fixed_size: 584
    .kernarg_segment_align: 8
    .kernarg_segment_size: 60
    .language:       OpenCL C
    .language_version:
      - 2
      - 0
    .max_flat_workgroup_size: 64
    .name:           _ZN9rocsolver6v33100L18getri_kernel_smallILi18E19rocblas_complex_numIdEPKPS3_EEvT1_iilPiilS8_bb
    .private_segment_fixed_size: 320
    .sgpr_count:     39
    .sgpr_spill_count: 0
    .symbol:         _ZN9rocsolver6v33100L18getri_kernel_smallILi18E19rocblas_complex_numIdEPKPS3_EEvT1_iilPiilS8_bb.kd
    .uniform_work_group_size: 1
    .uses_dynamic_stack: false
    .vgpr_count:     122
    .vgpr_spill_count: 0
    .wavefront_size: 32
    .workgroup_processor_mode: 1
  - .args:
      - .address_space:  global
        .offset:         0
        .size:           8
        .value_kind:     global_buffer
      - .offset:         8
        .size:           4
        .value_kind:     by_value
      - .offset:         12
        .size:           4
        .value_kind:     by_value
      - .offset:         16
        .size:           8
        .value_kind:     by_value
      - .address_space:  global
        .offset:         24
        .size:           8
        .value_kind:     global_buffer
      - .offset:         32
        .size:           4
        .value_kind:     by_value
      - .offset:         40
        .size:           8
        .value_kind:     by_value
      - .address_space:  global
        .offset:         48
        .size:           8
        .value_kind:     global_buffer
      - .offset:         56
        .size:           1
        .value_kind:     by_value
      - .offset:         57
        .size:           1
        .value_kind:     by_value
    .group_segment_fixed_size: 616
    .kernarg_segment_align: 8
    .kernarg_segment_size: 60
    .language:       OpenCL C
    .language_version:
      - 2
      - 0
    .max_flat_workgroup_size: 64
    .name:           _ZN9rocsolver6v33100L18getri_kernel_smallILi19E19rocblas_complex_numIdEPKPS3_EEvT1_iilPiilS8_bb
    .private_segment_fixed_size: 336
    .sgpr_count:     41
    .sgpr_spill_count: 0
    .symbol:         _ZN9rocsolver6v33100L18getri_kernel_smallILi19E19rocblas_complex_numIdEPKPS3_EEvT1_iilPiilS8_bb.kd
    .uniform_work_group_size: 1
    .uses_dynamic_stack: false
    .vgpr_count:     126
    .vgpr_spill_count: 0
    .wavefront_size: 32
    .workgroup_processor_mode: 1
  - .args:
      - .address_space:  global
        .offset:         0
        .size:           8
        .value_kind:     global_buffer
      - .offset:         8
        .size:           4
        .value_kind:     by_value
      - .offset:         12
        .size:           4
        .value_kind:     by_value
      - .offset:         16
        .size:           8
        .value_kind:     by_value
      - .address_space:  global
        .offset:         24
        .size:           8
        .value_kind:     global_buffer
      - .offset:         32
        .size:           4
        .value_kind:     by_value
      - .offset:         40
        .size:           8
        .value_kind:     by_value
      - .address_space:  global
        .offset:         48
        .size:           8
        .value_kind:     global_buffer
      - .offset:         56
        .size:           1
        .value_kind:     by_value
      - .offset:         57
        .size:           1
        .value_kind:     by_value
    .group_segment_fixed_size: 648
    .kernarg_segment_align: 8
    .kernarg_segment_size: 60
    .language:       OpenCL C
    .language_version:
      - 2
      - 0
    .max_flat_workgroup_size: 64
    .name:           _ZN9rocsolver6v33100L18getri_kernel_smallILi20E19rocblas_complex_numIdEPKPS3_EEvT1_iilPiilS8_bb
    .private_segment_fixed_size: 352
    .sgpr_count:     42
    .sgpr_spill_count: 0
    .symbol:         _ZN9rocsolver6v33100L18getri_kernel_smallILi20E19rocblas_complex_numIdEPKPS3_EEvT1_iilPiilS8_bb.kd
    .uniform_work_group_size: 1
    .uses_dynamic_stack: false
    .vgpr_count:     130
    .vgpr_spill_count: 0
    .wavefront_size: 32
    .workgroup_processor_mode: 1
  - .args:
      - .address_space:  global
        .offset:         0
        .size:           8
        .value_kind:     global_buffer
      - .offset:         8
        .size:           4
        .value_kind:     by_value
      - .offset:         12
        .size:           4
        .value_kind:     by_value
      - .offset:         16
        .size:           8
        .value_kind:     by_value
      - .address_space:  global
        .offset:         24
        .size:           8
        .value_kind:     global_buffer
      - .offset:         32
        .size:           4
        .value_kind:     by_value
      - .offset:         40
        .size:           8
        .value_kind:     by_value
      - .address_space:  global
        .offset:         48
        .size:           8
        .value_kind:     global_buffer
      - .offset:         56
        .size:           1
        .value_kind:     by_value
      - .offset:         57
        .size:           1
        .value_kind:     by_value
    .group_segment_fixed_size: 680
    .kernarg_segment_align: 8
    .kernarg_segment_size: 60
    .language:       OpenCL C
    .language_version:
      - 2
      - 0
    .max_flat_workgroup_size: 64
    .name:           _ZN9rocsolver6v33100L18getri_kernel_smallILi21E19rocblas_complex_numIdEPKPS3_EEvT1_iilPiilS8_bb
    .private_segment_fixed_size: 368
    .sgpr_count:     44
    .sgpr_spill_count: 0
    .symbol:         _ZN9rocsolver6v33100L18getri_kernel_smallILi21E19rocblas_complex_numIdEPKPS3_EEvT1_iilPiilS8_bb.kd
    .uniform_work_group_size: 1
    .uses_dynamic_stack: false
    .vgpr_count:     133
    .vgpr_spill_count: 0
    .wavefront_size: 32
    .workgroup_processor_mode: 1
  - .args:
      - .address_space:  global
        .offset:         0
        .size:           8
        .value_kind:     global_buffer
      - .offset:         8
        .size:           4
        .value_kind:     by_value
      - .offset:         12
        .size:           4
        .value_kind:     by_value
      - .offset:         16
        .size:           8
        .value_kind:     by_value
      - .address_space:  global
        .offset:         24
        .size:           8
        .value_kind:     global_buffer
      - .offset:         32
        .size:           4
        .value_kind:     by_value
      - .offset:         40
        .size:           8
        .value_kind:     by_value
      - .address_space:  global
        .offset:         48
        .size:           8
        .value_kind:     global_buffer
      - .offset:         56
        .size:           1
        .value_kind:     by_value
      - .offset:         57
        .size:           1
        .value_kind:     by_value
    .group_segment_fixed_size: 712
    .kernarg_segment_align: 8
    .kernarg_segment_size: 60
    .language:       OpenCL C
    .language_version:
      - 2
      - 0
    .max_flat_workgroup_size: 64
    .name:           _ZN9rocsolver6v33100L18getri_kernel_smallILi22E19rocblas_complex_numIdEPKPS3_EEvT1_iilPiilS8_bb
    .private_segment_fixed_size: 384
    .sgpr_count:     45
    .sgpr_spill_count: 0
    .symbol:         _ZN9rocsolver6v33100L18getri_kernel_smallILi22E19rocblas_complex_numIdEPKPS3_EEvT1_iilPiilS8_bb.kd
    .uniform_work_group_size: 1
    .uses_dynamic_stack: false
    .vgpr_count:     135
    .vgpr_spill_count: 0
    .wavefront_size: 32
    .workgroup_processor_mode: 1
  - .args:
      - .address_space:  global
        .offset:         0
        .size:           8
        .value_kind:     global_buffer
      - .offset:         8
        .size:           4
        .value_kind:     by_value
      - .offset:         12
        .size:           4
        .value_kind:     by_value
      - .offset:         16
        .size:           8
        .value_kind:     by_value
      - .address_space:  global
        .offset:         24
        .size:           8
        .value_kind:     global_buffer
      - .offset:         32
        .size:           4
        .value_kind:     by_value
      - .offset:         40
        .size:           8
        .value_kind:     by_value
      - .address_space:  global
        .offset:         48
        .size:           8
        .value_kind:     global_buffer
      - .offset:         56
        .size:           1
        .value_kind:     by_value
      - .offset:         57
        .size:           1
        .value_kind:     by_value
    .group_segment_fixed_size: 744
    .kernarg_segment_align: 8
    .kernarg_segment_size: 60
    .language:       OpenCL C
    .language_version:
      - 2
      - 0
    .max_flat_workgroup_size: 64
    .name:           _ZN9rocsolver6v33100L18getri_kernel_smallILi23E19rocblas_complex_numIdEPKPS3_EEvT1_iilPiilS8_bb
    .private_segment_fixed_size: 400
    .sgpr_count:     47
    .sgpr_spill_count: 0
    .symbol:         _ZN9rocsolver6v33100L18getri_kernel_smallILi23E19rocblas_complex_numIdEPKPS3_EEvT1_iilPiilS8_bb.kd
    .uniform_work_group_size: 1
    .uses_dynamic_stack: false
    .vgpr_count:     139
    .vgpr_spill_count: 0
    .wavefront_size: 32
    .workgroup_processor_mode: 1
  - .args:
      - .address_space:  global
        .offset:         0
        .size:           8
        .value_kind:     global_buffer
      - .offset:         8
        .size:           4
        .value_kind:     by_value
      - .offset:         12
        .size:           4
        .value_kind:     by_value
      - .offset:         16
        .size:           8
        .value_kind:     by_value
      - .address_space:  global
        .offset:         24
        .size:           8
        .value_kind:     global_buffer
      - .offset:         32
        .size:           4
        .value_kind:     by_value
      - .offset:         40
        .size:           8
        .value_kind:     by_value
      - .address_space:  global
        .offset:         48
        .size:           8
        .value_kind:     global_buffer
      - .offset:         56
        .size:           1
        .value_kind:     by_value
      - .offset:         57
        .size:           1
        .value_kind:     by_value
    .group_segment_fixed_size: 776
    .kernarg_segment_align: 8
    .kernarg_segment_size: 60
    .language:       OpenCL C
    .language_version:
      - 2
      - 0
    .max_flat_workgroup_size: 64
    .name:           _ZN9rocsolver6v33100L18getri_kernel_smallILi24E19rocblas_complex_numIdEPKPS3_EEvT1_iilPiilS8_bb
    .private_segment_fixed_size: 416
    .sgpr_count:     48
    .sgpr_spill_count: 0
    .symbol:         _ZN9rocsolver6v33100L18getri_kernel_smallILi24E19rocblas_complex_numIdEPKPS3_EEvT1_iilPiilS8_bb.kd
    .uniform_work_group_size: 1
    .uses_dynamic_stack: false
    .vgpr_count:     141
    .vgpr_spill_count: 0
    .wavefront_size: 32
    .workgroup_processor_mode: 1
  - .args:
      - .address_space:  global
        .offset:         0
        .size:           8
        .value_kind:     global_buffer
      - .offset:         8
        .size:           4
        .value_kind:     by_value
      - .offset:         12
        .size:           4
        .value_kind:     by_value
      - .offset:         16
        .size:           8
        .value_kind:     by_value
      - .address_space:  global
        .offset:         24
        .size:           8
        .value_kind:     global_buffer
      - .offset:         32
        .size:           4
        .value_kind:     by_value
      - .offset:         40
        .size:           8
        .value_kind:     by_value
      - .address_space:  global
        .offset:         48
        .size:           8
        .value_kind:     global_buffer
      - .offset:         56
        .size:           1
        .value_kind:     by_value
      - .offset:         57
        .size:           1
        .value_kind:     by_value
    .group_segment_fixed_size: 808
    .kernarg_segment_align: 8
    .kernarg_segment_size: 60
    .language:       OpenCL C
    .language_version:
      - 2
      - 0
    .max_flat_workgroup_size: 64
    .name:           _ZN9rocsolver6v33100L18getri_kernel_smallILi25E19rocblas_complex_numIdEPKPS3_EEvT1_iilPiilS8_bb
    .private_segment_fixed_size: 432
    .sgpr_count:     50
    .sgpr_spill_count: 0
    .symbol:         _ZN9rocsolver6v33100L18getri_kernel_smallILi25E19rocblas_complex_numIdEPKPS3_EEvT1_iilPiilS8_bb.kd
    .uniform_work_group_size: 1
    .uses_dynamic_stack: false
    .vgpr_count:     143
    .vgpr_spill_count: 0
    .wavefront_size: 32
    .workgroup_processor_mode: 1
  - .args:
      - .address_space:  global
        .offset:         0
        .size:           8
        .value_kind:     global_buffer
      - .offset:         8
        .size:           4
        .value_kind:     by_value
      - .offset:         12
        .size:           4
        .value_kind:     by_value
      - .offset:         16
        .size:           8
        .value_kind:     by_value
      - .address_space:  global
        .offset:         24
        .size:           8
        .value_kind:     global_buffer
      - .offset:         32
        .size:           4
        .value_kind:     by_value
      - .offset:         40
        .size:           8
        .value_kind:     by_value
      - .address_space:  global
        .offset:         48
        .size:           8
        .value_kind:     global_buffer
      - .offset:         56
        .size:           1
        .value_kind:     by_value
      - .offset:         57
        .size:           1
        .value_kind:     by_value
    .group_segment_fixed_size: 840
    .kernarg_segment_align: 8
    .kernarg_segment_size: 60
    .language:       OpenCL C
    .language_version:
      - 2
      - 0
    .max_flat_workgroup_size: 64
    .name:           _ZN9rocsolver6v33100L18getri_kernel_smallILi26E19rocblas_complex_numIdEPKPS3_EEvT1_iilPiilS8_bb
    .private_segment_fixed_size: 448
    .sgpr_count:     51
    .sgpr_spill_count: 0
    .symbol:         _ZN9rocsolver6v33100L18getri_kernel_smallILi26E19rocblas_complex_numIdEPKPS3_EEvT1_iilPiilS8_bb.kd
    .uniform_work_group_size: 1
    .uses_dynamic_stack: false
    .vgpr_count:     145
    .vgpr_spill_count: 0
    .wavefront_size: 32
    .workgroup_processor_mode: 1
  - .args:
      - .address_space:  global
        .offset:         0
        .size:           8
        .value_kind:     global_buffer
      - .offset:         8
        .size:           4
        .value_kind:     by_value
      - .offset:         12
        .size:           4
        .value_kind:     by_value
      - .offset:         16
        .size:           8
        .value_kind:     by_value
      - .address_space:  global
        .offset:         24
        .size:           8
        .value_kind:     global_buffer
      - .offset:         32
        .size:           4
        .value_kind:     by_value
      - .offset:         40
        .size:           8
        .value_kind:     by_value
      - .address_space:  global
        .offset:         48
        .size:           8
        .value_kind:     global_buffer
      - .offset:         56
        .size:           1
        .value_kind:     by_value
      - .offset:         57
        .size:           1
        .value_kind:     by_value
    .group_segment_fixed_size: 872
    .kernarg_segment_align: 8
    .kernarg_segment_size: 60
    .language:       OpenCL C
    .language_version:
      - 2
      - 0
    .max_flat_workgroup_size: 64
    .name:           _ZN9rocsolver6v33100L18getri_kernel_smallILi27E19rocblas_complex_numIdEPKPS3_EEvT1_iilPiilS8_bb
    .private_segment_fixed_size: 464
    .sgpr_count:     53
    .sgpr_spill_count: 0
    .symbol:         _ZN9rocsolver6v33100L18getri_kernel_smallILi27E19rocblas_complex_numIdEPKPS3_EEvT1_iilPiilS8_bb.kd
    .uniform_work_group_size: 1
    .uses_dynamic_stack: false
    .vgpr_count:     148
    .vgpr_spill_count: 0
    .wavefront_size: 32
    .workgroup_processor_mode: 1
  - .args:
      - .address_space:  global
        .offset:         0
        .size:           8
        .value_kind:     global_buffer
      - .offset:         8
        .size:           4
        .value_kind:     by_value
      - .offset:         12
        .size:           4
        .value_kind:     by_value
      - .offset:         16
        .size:           8
        .value_kind:     by_value
      - .address_space:  global
        .offset:         24
        .size:           8
        .value_kind:     global_buffer
      - .offset:         32
        .size:           4
        .value_kind:     by_value
      - .offset:         40
        .size:           8
        .value_kind:     by_value
      - .address_space:  global
        .offset:         48
        .size:           8
        .value_kind:     global_buffer
      - .offset:         56
        .size:           1
        .value_kind:     by_value
      - .offset:         57
        .size:           1
        .value_kind:     by_value
    .group_segment_fixed_size: 904
    .kernarg_segment_align: 8
    .kernarg_segment_size: 60
    .language:       OpenCL C
    .language_version:
      - 2
      - 0
    .max_flat_workgroup_size: 64
    .name:           _ZN9rocsolver6v33100L18getri_kernel_smallILi28E19rocblas_complex_numIdEPKPS3_EEvT1_iilPiilS8_bb
    .private_segment_fixed_size: 480
    .sgpr_count:     55
    .sgpr_spill_count: 0
    .symbol:         _ZN9rocsolver6v33100L18getri_kernel_smallILi28E19rocblas_complex_numIdEPKPS3_EEvT1_iilPiilS8_bb.kd
    .uniform_work_group_size: 1
    .uses_dynamic_stack: false
    .vgpr_count:     150
    .vgpr_spill_count: 0
    .wavefront_size: 32
    .workgroup_processor_mode: 1
  - .args:
      - .address_space:  global
        .offset:         0
        .size:           8
        .value_kind:     global_buffer
      - .offset:         8
        .size:           4
        .value_kind:     by_value
      - .offset:         12
        .size:           4
        .value_kind:     by_value
      - .offset:         16
        .size:           8
        .value_kind:     by_value
      - .address_space:  global
        .offset:         24
        .size:           8
        .value_kind:     global_buffer
      - .offset:         32
        .size:           4
        .value_kind:     by_value
      - .offset:         40
        .size:           8
        .value_kind:     by_value
      - .address_space:  global
        .offset:         48
        .size:           8
        .value_kind:     global_buffer
      - .offset:         56
        .size:           1
        .value_kind:     by_value
      - .offset:         57
        .size:           1
        .value_kind:     by_value
    .group_segment_fixed_size: 936
    .kernarg_segment_align: 8
    .kernarg_segment_size: 60
    .language:       OpenCL C
    .language_version:
      - 2
      - 0
    .max_flat_workgroup_size: 64
    .name:           _ZN9rocsolver6v33100L18getri_kernel_smallILi29E19rocblas_complex_numIdEPKPS3_EEvT1_iilPiilS8_bb
    .private_segment_fixed_size: 496
    .sgpr_count:     56
    .sgpr_spill_count: 0
    .symbol:         _ZN9rocsolver6v33100L18getri_kernel_smallILi29E19rocblas_complex_numIdEPKPS3_EEvT1_iilPiilS8_bb.kd
    .uniform_work_group_size: 1
    .uses_dynamic_stack: false
    .vgpr_count:     152
    .vgpr_spill_count: 0
    .wavefront_size: 32
    .workgroup_processor_mode: 1
  - .args:
      - .address_space:  global
        .offset:         0
        .size:           8
        .value_kind:     global_buffer
      - .offset:         8
        .size:           4
        .value_kind:     by_value
      - .offset:         12
        .size:           4
        .value_kind:     by_value
      - .offset:         16
        .size:           8
        .value_kind:     by_value
      - .address_space:  global
        .offset:         24
        .size:           8
        .value_kind:     global_buffer
      - .offset:         32
        .size:           4
        .value_kind:     by_value
      - .offset:         40
        .size:           8
        .value_kind:     by_value
      - .address_space:  global
        .offset:         48
        .size:           8
        .value_kind:     global_buffer
      - .offset:         56
        .size:           1
        .value_kind:     by_value
      - .offset:         57
        .size:           1
        .value_kind:     by_value
    .group_segment_fixed_size: 968
    .kernarg_segment_align: 8
    .kernarg_segment_size: 60
    .language:       OpenCL C
    .language_version:
      - 2
      - 0
    .max_flat_workgroup_size: 64
    .name:           _ZN9rocsolver6v33100L18getri_kernel_smallILi30E19rocblas_complex_numIdEPKPS3_EEvT1_iilPiilS8_bb
    .private_segment_fixed_size: 512
    .sgpr_count:     58
    .sgpr_spill_count: 0
    .symbol:         _ZN9rocsolver6v33100L18getri_kernel_smallILi30E19rocblas_complex_numIdEPKPS3_EEvT1_iilPiilS8_bb.kd
    .uniform_work_group_size: 1
    .uses_dynamic_stack: false
    .vgpr_count:     154
    .vgpr_spill_count: 0
    .wavefront_size: 32
    .workgroup_processor_mode: 1
  - .args:
      - .address_space:  global
        .offset:         0
        .size:           8
        .value_kind:     global_buffer
      - .offset:         8
        .size:           4
        .value_kind:     by_value
      - .offset:         12
        .size:           4
        .value_kind:     by_value
      - .offset:         16
        .size:           8
        .value_kind:     by_value
      - .address_space:  global
        .offset:         24
        .size:           8
        .value_kind:     global_buffer
      - .offset:         32
        .size:           4
        .value_kind:     by_value
      - .offset:         40
        .size:           8
        .value_kind:     by_value
      - .address_space:  global
        .offset:         48
        .size:           8
        .value_kind:     global_buffer
      - .offset:         56
        .size:           1
        .value_kind:     by_value
      - .offset:         57
        .size:           1
        .value_kind:     by_value
    .group_segment_fixed_size: 1000
    .kernarg_segment_align: 8
    .kernarg_segment_size: 60
    .language:       OpenCL C
    .language_version:
      - 2
      - 0
    .max_flat_workgroup_size: 64
    .name:           _ZN9rocsolver6v33100L18getri_kernel_smallILi31E19rocblas_complex_numIdEPKPS3_EEvT1_iilPiilS8_bb
    .private_segment_fixed_size: 528
    .sgpr_count:     59
    .sgpr_spill_count: 0
    .symbol:         _ZN9rocsolver6v33100L18getri_kernel_smallILi31E19rocblas_complex_numIdEPKPS3_EEvT1_iilPiilS8_bb.kd
    .uniform_work_group_size: 1
    .uses_dynamic_stack: false
    .vgpr_count:     157
    .vgpr_spill_count: 0
    .wavefront_size: 32
    .workgroup_processor_mode: 1
  - .args:
      - .address_space:  global
        .offset:         0
        .size:           8
        .value_kind:     global_buffer
      - .offset:         8
        .size:           4
        .value_kind:     by_value
      - .offset:         12
        .size:           4
        .value_kind:     by_value
      - .offset:         16
        .size:           8
        .value_kind:     by_value
      - .address_space:  global
        .offset:         24
        .size:           8
        .value_kind:     global_buffer
      - .offset:         32
        .size:           4
        .value_kind:     by_value
      - .offset:         40
        .size:           8
        .value_kind:     by_value
      - .address_space:  global
        .offset:         48
        .size:           8
        .value_kind:     global_buffer
      - .offset:         56
        .size:           1
        .value_kind:     by_value
      - .offset:         57
        .size:           1
        .value_kind:     by_value
    .group_segment_fixed_size: 1032
    .kernarg_segment_align: 8
    .kernarg_segment_size: 60
    .language:       OpenCL C
    .language_version:
      - 2
      - 0
    .max_flat_workgroup_size: 64
    .name:           _ZN9rocsolver6v33100L18getri_kernel_smallILi32E19rocblas_complex_numIdEPKPS3_EEvT1_iilPiilS8_bb
    .private_segment_fixed_size: 544
    .sgpr_count:     61
    .sgpr_spill_count: 0
    .symbol:         _ZN9rocsolver6v33100L18getri_kernel_smallILi32E19rocblas_complex_numIdEPKPS3_EEvT1_iilPiilS8_bb.kd
    .uniform_work_group_size: 1
    .uses_dynamic_stack: false
    .vgpr_count:     159
    .vgpr_spill_count: 0
    .wavefront_size: 32
    .workgroup_processor_mode: 1
  - .args:
      - .address_space:  global
        .offset:         0
        .size:           8
        .value_kind:     global_buffer
      - .offset:         8
        .size:           4
        .value_kind:     by_value
      - .offset:         12
        .size:           4
        .value_kind:     by_value
      - .offset:         16
        .size:           8
        .value_kind:     by_value
      - .address_space:  global
        .offset:         24
        .size:           8
        .value_kind:     global_buffer
      - .offset:         32
        .size:           4
        .value_kind:     by_value
      - .offset:         40
        .size:           8
        .value_kind:     by_value
      - .address_space:  global
        .offset:         48
        .size:           8
        .value_kind:     global_buffer
      - .offset:         56
        .size:           1
        .value_kind:     by_value
      - .offset:         57
        .size:           1
        .value_kind:     by_value
    .group_segment_fixed_size: 1064
    .kernarg_segment_align: 8
    .kernarg_segment_size: 60
    .language:       OpenCL C
    .language_version:
      - 2
      - 0
    .max_flat_workgroup_size: 64
    .name:           _ZN9rocsolver6v33100L18getri_kernel_smallILi33E19rocblas_complex_numIdEPKPS3_EEvT1_iilPiilS8_bb
    .private_segment_fixed_size: 560
    .sgpr_count:     62
    .sgpr_spill_count: 0
    .symbol:         _ZN9rocsolver6v33100L18getri_kernel_smallILi33E19rocblas_complex_numIdEPKPS3_EEvT1_iilPiilS8_bb.kd
    .uniform_work_group_size: 1
    .uses_dynamic_stack: false
    .vgpr_count:     161
    .vgpr_spill_count: 0
    .wavefront_size: 32
    .workgroup_processor_mode: 1
  - .args:
      - .address_space:  global
        .offset:         0
        .size:           8
        .value_kind:     global_buffer
      - .offset:         8
        .size:           4
        .value_kind:     by_value
      - .offset:         12
        .size:           4
        .value_kind:     by_value
      - .offset:         16
        .size:           8
        .value_kind:     by_value
      - .address_space:  global
        .offset:         24
        .size:           8
        .value_kind:     global_buffer
      - .offset:         32
        .size:           4
        .value_kind:     by_value
      - .offset:         40
        .size:           8
        .value_kind:     by_value
      - .address_space:  global
        .offset:         48
        .size:           8
        .value_kind:     global_buffer
      - .offset:         56
        .size:           1
        .value_kind:     by_value
      - .offset:         57
        .size:           1
        .value_kind:     by_value
    .group_segment_fixed_size: 1096
    .kernarg_segment_align: 8
    .kernarg_segment_size: 60
    .language:       OpenCL C
    .language_version:
      - 2
      - 0
    .max_flat_workgroup_size: 64
    .name:           _ZN9rocsolver6v33100L18getri_kernel_smallILi34E19rocblas_complex_numIdEPKPS3_EEvT1_iilPiilS8_bb
    .private_segment_fixed_size: 576
    .sgpr_count:     64
    .sgpr_spill_count: 0
    .symbol:         _ZN9rocsolver6v33100L18getri_kernel_smallILi34E19rocblas_complex_numIdEPKPS3_EEvT1_iilPiilS8_bb.kd
    .uniform_work_group_size: 1
    .uses_dynamic_stack: false
    .vgpr_count:     160
    .vgpr_spill_count: 0
    .wavefront_size: 32
    .workgroup_processor_mode: 1
  - .args:
      - .address_space:  global
        .offset:         0
        .size:           8
        .value_kind:     global_buffer
      - .offset:         8
        .size:           4
        .value_kind:     by_value
      - .offset:         12
        .size:           4
        .value_kind:     by_value
      - .offset:         16
        .size:           8
        .value_kind:     by_value
      - .address_space:  global
        .offset:         24
        .size:           8
        .value_kind:     global_buffer
      - .offset:         32
        .size:           4
        .value_kind:     by_value
      - .offset:         40
        .size:           8
        .value_kind:     by_value
      - .address_space:  global
        .offset:         48
        .size:           8
        .value_kind:     global_buffer
      - .offset:         56
        .size:           1
        .value_kind:     by_value
      - .offset:         57
        .size:           1
        .value_kind:     by_value
    .group_segment_fixed_size: 1128
    .kernarg_segment_align: 8
    .kernarg_segment_size: 60
    .language:       OpenCL C
    .language_version:
      - 2
      - 0
    .max_flat_workgroup_size: 64
    .name:           _ZN9rocsolver6v33100L18getri_kernel_smallILi35E19rocblas_complex_numIdEPKPS3_EEvT1_iilPiilS8_bb
    .private_segment_fixed_size: 592
    .sgpr_count:     65
    .sgpr_spill_count: 0
    .symbol:         _ZN9rocsolver6v33100L18getri_kernel_smallILi35E19rocblas_complex_numIdEPKPS3_EEvT1_iilPiilS8_bb.kd
    .uniform_work_group_size: 1
    .uses_dynamic_stack: false
    .vgpr_count:     165
    .vgpr_spill_count: 0
    .wavefront_size: 32
    .workgroup_processor_mode: 1
  - .args:
      - .address_space:  global
        .offset:         0
        .size:           8
        .value_kind:     global_buffer
      - .offset:         8
        .size:           4
        .value_kind:     by_value
      - .offset:         12
        .size:           4
        .value_kind:     by_value
      - .offset:         16
        .size:           8
        .value_kind:     by_value
      - .address_space:  global
        .offset:         24
        .size:           8
        .value_kind:     global_buffer
      - .offset:         32
        .size:           4
        .value_kind:     by_value
      - .offset:         40
        .size:           8
        .value_kind:     by_value
      - .address_space:  global
        .offset:         48
        .size:           8
        .value_kind:     global_buffer
      - .offset:         56
        .size:           1
        .value_kind:     by_value
      - .offset:         57
        .size:           1
        .value_kind:     by_value
    .group_segment_fixed_size: 1160
    .kernarg_segment_align: 8
    .kernarg_segment_size: 60
    .language:       OpenCL C
    .language_version:
      - 2
      - 0
    .max_flat_workgroup_size: 64
    .name:           _ZN9rocsolver6v33100L18getri_kernel_smallILi36E19rocblas_complex_numIdEPKPS3_EEvT1_iilPiilS8_bb
    .private_segment_fixed_size: 608
    .sgpr_count:     67
    .sgpr_spill_count: 0
    .symbol:         _ZN9rocsolver6v33100L18getri_kernel_smallILi36E19rocblas_complex_numIdEPKPS3_EEvT1_iilPiilS8_bb.kd
    .uniform_work_group_size: 1
    .uses_dynamic_stack: false
    .vgpr_count:     167
    .vgpr_spill_count: 0
    .wavefront_size: 32
    .workgroup_processor_mode: 1
  - .args:
      - .address_space:  global
        .offset:         0
        .size:           8
        .value_kind:     global_buffer
      - .offset:         8
        .size:           4
        .value_kind:     by_value
      - .offset:         12
        .size:           4
        .value_kind:     by_value
      - .offset:         16
        .size:           8
        .value_kind:     by_value
      - .address_space:  global
        .offset:         24
        .size:           8
        .value_kind:     global_buffer
      - .offset:         32
        .size:           4
        .value_kind:     by_value
      - .offset:         40
        .size:           8
        .value_kind:     by_value
      - .address_space:  global
        .offset:         48
        .size:           8
        .value_kind:     global_buffer
      - .offset:         56
        .size:           1
        .value_kind:     by_value
      - .offset:         57
        .size:           1
        .value_kind:     by_value
    .group_segment_fixed_size: 1192
    .kernarg_segment_align: 8
    .kernarg_segment_size: 60
    .language:       OpenCL C
    .language_version:
      - 2
      - 0
    .max_flat_workgroup_size: 64
    .name:           _ZN9rocsolver6v33100L18getri_kernel_smallILi37E19rocblas_complex_numIdEPKPS3_EEvT1_iilPiilS8_bb
    .private_segment_fixed_size: 624
    .sgpr_count:     68
    .sgpr_spill_count: 0
    .symbol:         _ZN9rocsolver6v33100L18getri_kernel_smallILi37E19rocblas_complex_numIdEPKPS3_EEvT1_iilPiilS8_bb.kd
    .uniform_work_group_size: 1
    .uses_dynamic_stack: false
    .vgpr_count:     169
    .vgpr_spill_count: 0
    .wavefront_size: 32
    .workgroup_processor_mode: 1
  - .args:
      - .address_space:  global
        .offset:         0
        .size:           8
        .value_kind:     global_buffer
      - .offset:         8
        .size:           4
        .value_kind:     by_value
      - .offset:         12
        .size:           4
        .value_kind:     by_value
      - .offset:         16
        .size:           8
        .value_kind:     by_value
      - .address_space:  global
        .offset:         24
        .size:           8
        .value_kind:     global_buffer
      - .offset:         32
        .size:           4
        .value_kind:     by_value
      - .offset:         40
        .size:           8
        .value_kind:     by_value
      - .address_space:  global
        .offset:         48
        .size:           8
        .value_kind:     global_buffer
      - .offset:         56
        .size:           1
        .value_kind:     by_value
      - .offset:         57
        .size:           1
        .value_kind:     by_value
    .group_segment_fixed_size: 1224
    .kernarg_segment_align: 8
    .kernarg_segment_size: 60
    .language:       OpenCL C
    .language_version:
      - 2
      - 0
    .max_flat_workgroup_size: 64
    .name:           _ZN9rocsolver6v33100L18getri_kernel_smallILi38E19rocblas_complex_numIdEPKPS3_EEvT1_iilPiilS8_bb
    .private_segment_fixed_size: 640
    .sgpr_count:     70
    .sgpr_spill_count: 0
    .symbol:         _ZN9rocsolver6v33100L18getri_kernel_smallILi38E19rocblas_complex_numIdEPKPS3_EEvT1_iilPiilS8_bb.kd
    .uniform_work_group_size: 1
    .uses_dynamic_stack: false
    .vgpr_count:     171
    .vgpr_spill_count: 0
    .wavefront_size: 32
    .workgroup_processor_mode: 1
  - .args:
      - .address_space:  global
        .offset:         0
        .size:           8
        .value_kind:     global_buffer
      - .offset:         8
        .size:           4
        .value_kind:     by_value
      - .offset:         12
        .size:           4
        .value_kind:     by_value
      - .offset:         16
        .size:           8
        .value_kind:     by_value
      - .address_space:  global
        .offset:         24
        .size:           8
        .value_kind:     global_buffer
      - .offset:         32
        .size:           4
        .value_kind:     by_value
      - .offset:         40
        .size:           8
        .value_kind:     by_value
      - .address_space:  global
        .offset:         48
        .size:           8
        .value_kind:     global_buffer
      - .offset:         56
        .size:           1
        .value_kind:     by_value
      - .offset:         57
        .size:           1
        .value_kind:     by_value
    .group_segment_fixed_size: 1256
    .kernarg_segment_align: 8
    .kernarg_segment_size: 60
    .language:       OpenCL C
    .language_version:
      - 2
      - 0
    .max_flat_workgroup_size: 64
    .name:           _ZN9rocsolver6v33100L18getri_kernel_smallILi39E19rocblas_complex_numIdEPKPS3_EEvT1_iilPiilS8_bb
    .private_segment_fixed_size: 656
    .sgpr_count:     71
    .sgpr_spill_count: 0
    .symbol:         _ZN9rocsolver6v33100L18getri_kernel_smallILi39E19rocblas_complex_numIdEPKPS3_EEvT1_iilPiilS8_bb.kd
    .uniform_work_group_size: 1
    .uses_dynamic_stack: false
    .vgpr_count:     173
    .vgpr_spill_count: 0
    .wavefront_size: 32
    .workgroup_processor_mode: 1
  - .args:
      - .address_space:  global
        .offset:         0
        .size:           8
        .value_kind:     global_buffer
      - .offset:         8
        .size:           4
        .value_kind:     by_value
      - .offset:         12
        .size:           4
        .value_kind:     by_value
      - .offset:         16
        .size:           8
        .value_kind:     by_value
      - .address_space:  global
        .offset:         24
        .size:           8
        .value_kind:     global_buffer
      - .offset:         32
        .size:           4
        .value_kind:     by_value
      - .offset:         40
        .size:           8
        .value_kind:     by_value
      - .address_space:  global
        .offset:         48
        .size:           8
        .value_kind:     global_buffer
      - .offset:         56
        .size:           1
        .value_kind:     by_value
      - .offset:         57
        .size:           1
        .value_kind:     by_value
    .group_segment_fixed_size: 1288
    .kernarg_segment_align: 8
    .kernarg_segment_size: 60
    .language:       OpenCL C
    .language_version:
      - 2
      - 0
    .max_flat_workgroup_size: 64
    .name:           _ZN9rocsolver6v33100L18getri_kernel_smallILi40E19rocblas_complex_numIdEPKPS3_EEvT1_iilPiilS8_bb
    .private_segment_fixed_size: 672
    .sgpr_count:     73
    .sgpr_spill_count: 0
    .symbol:         _ZN9rocsolver6v33100L18getri_kernel_smallILi40E19rocblas_complex_numIdEPKPS3_EEvT1_iilPiilS8_bb.kd
    .uniform_work_group_size: 1
    .uses_dynamic_stack: false
    .vgpr_count:     175
    .vgpr_spill_count: 0
    .wavefront_size: 32
    .workgroup_processor_mode: 1
  - .args:
      - .address_space:  global
        .offset:         0
        .size:           8
        .value_kind:     global_buffer
      - .offset:         8
        .size:           4
        .value_kind:     by_value
      - .offset:         12
        .size:           4
        .value_kind:     by_value
      - .offset:         16
        .size:           8
        .value_kind:     by_value
      - .address_space:  global
        .offset:         24
        .size:           8
        .value_kind:     global_buffer
      - .offset:         32
        .size:           4
        .value_kind:     by_value
      - .offset:         40
        .size:           8
        .value_kind:     by_value
      - .address_space:  global
        .offset:         48
        .size:           8
        .value_kind:     global_buffer
      - .offset:         56
        .size:           1
        .value_kind:     by_value
      - .offset:         57
        .size:           1
        .value_kind:     by_value
    .group_segment_fixed_size: 1320
    .kernarg_segment_align: 8
    .kernarg_segment_size: 60
    .language:       OpenCL C
    .language_version:
      - 2
      - 0
    .max_flat_workgroup_size: 64
    .name:           _ZN9rocsolver6v33100L18getri_kernel_smallILi41E19rocblas_complex_numIdEPKPS3_EEvT1_iilPiilS8_bb
    .private_segment_fixed_size: 688
    .sgpr_count:     74
    .sgpr_spill_count: 0
    .symbol:         _ZN9rocsolver6v33100L18getri_kernel_smallILi41E19rocblas_complex_numIdEPKPS3_EEvT1_iilPiilS8_bb.kd
    .uniform_work_group_size: 1
    .uses_dynamic_stack: false
    .vgpr_count:     177
    .vgpr_spill_count: 0
    .wavefront_size: 32
    .workgroup_processor_mode: 1
  - .args:
      - .address_space:  global
        .offset:         0
        .size:           8
        .value_kind:     global_buffer
      - .offset:         8
        .size:           4
        .value_kind:     by_value
      - .offset:         12
        .size:           4
        .value_kind:     by_value
      - .offset:         16
        .size:           8
        .value_kind:     by_value
      - .address_space:  global
        .offset:         24
        .size:           8
        .value_kind:     global_buffer
      - .offset:         32
        .size:           4
        .value_kind:     by_value
      - .offset:         40
        .size:           8
        .value_kind:     by_value
      - .address_space:  global
        .offset:         48
        .size:           8
        .value_kind:     global_buffer
      - .offset:         56
        .size:           1
        .value_kind:     by_value
      - .offset:         57
        .size:           1
        .value_kind:     by_value
    .group_segment_fixed_size: 1352
    .kernarg_segment_align: 8
    .kernarg_segment_size: 60
    .language:       OpenCL C
    .language_version:
      - 2
      - 0
    .max_flat_workgroup_size: 64
    .name:           _ZN9rocsolver6v33100L18getri_kernel_smallILi42E19rocblas_complex_numIdEPKPS3_EEvT1_iilPiilS8_bb
    .private_segment_fixed_size: 704
    .sgpr_count:     76
    .sgpr_spill_count: 0
    .symbol:         _ZN9rocsolver6v33100L18getri_kernel_smallILi42E19rocblas_complex_numIdEPKPS3_EEvT1_iilPiilS8_bb.kd
    .uniform_work_group_size: 1
    .uses_dynamic_stack: false
    .vgpr_count:     179
    .vgpr_spill_count: 0
    .wavefront_size: 32
    .workgroup_processor_mode: 1
  - .args:
      - .address_space:  global
        .offset:         0
        .size:           8
        .value_kind:     global_buffer
      - .offset:         8
        .size:           4
        .value_kind:     by_value
      - .offset:         12
        .size:           4
        .value_kind:     by_value
      - .offset:         16
        .size:           8
        .value_kind:     by_value
      - .address_space:  global
        .offset:         24
        .size:           8
        .value_kind:     global_buffer
      - .offset:         32
        .size:           4
        .value_kind:     by_value
      - .offset:         40
        .size:           8
        .value_kind:     by_value
      - .address_space:  global
        .offset:         48
        .size:           8
        .value_kind:     global_buffer
      - .offset:         56
        .size:           1
        .value_kind:     by_value
      - .offset:         57
        .size:           1
        .value_kind:     by_value
    .group_segment_fixed_size: 1384
    .kernarg_segment_align: 8
    .kernarg_segment_size: 60
    .language:       OpenCL C
    .language_version:
      - 2
      - 0
    .max_flat_workgroup_size: 64
    .name:           _ZN9rocsolver6v33100L18getri_kernel_smallILi43E19rocblas_complex_numIdEPKPS3_EEvT1_iilPiilS8_bb
    .private_segment_fixed_size: 720
    .sgpr_count:     77
    .sgpr_spill_count: 0
    .symbol:         _ZN9rocsolver6v33100L18getri_kernel_smallILi43E19rocblas_complex_numIdEPKPS3_EEvT1_iilPiilS8_bb.kd
    .uniform_work_group_size: 1
    .uses_dynamic_stack: false
    .vgpr_count:     181
    .vgpr_spill_count: 0
    .wavefront_size: 32
    .workgroup_processor_mode: 1
  - .args:
      - .address_space:  global
        .offset:         0
        .size:           8
        .value_kind:     global_buffer
      - .offset:         8
        .size:           4
        .value_kind:     by_value
      - .offset:         12
        .size:           4
        .value_kind:     by_value
      - .offset:         16
        .size:           8
        .value_kind:     by_value
      - .address_space:  global
        .offset:         24
        .size:           8
        .value_kind:     global_buffer
      - .offset:         32
        .size:           4
        .value_kind:     by_value
      - .offset:         40
        .size:           8
        .value_kind:     by_value
      - .address_space:  global
        .offset:         48
        .size:           8
        .value_kind:     global_buffer
      - .offset:         56
        .size:           1
        .value_kind:     by_value
      - .offset:         57
        .size:           1
        .value_kind:     by_value
    .group_segment_fixed_size: 1416
    .kernarg_segment_align: 8
    .kernarg_segment_size: 60
    .language:       OpenCL C
    .language_version:
      - 2
      - 0
    .max_flat_workgroup_size: 64
    .name:           _ZN9rocsolver6v33100L18getri_kernel_smallILi44E19rocblas_complex_numIdEPKPS3_EEvT1_iilPiilS8_bb
    .private_segment_fixed_size: 736
    .sgpr_count:     79
    .sgpr_spill_count: 0
    .symbol:         _ZN9rocsolver6v33100L18getri_kernel_smallILi44E19rocblas_complex_numIdEPKPS3_EEvT1_iilPiilS8_bb.kd
    .uniform_work_group_size: 1
    .uses_dynamic_stack: false
    .vgpr_count:     183
    .vgpr_spill_count: 0
    .wavefront_size: 32
    .workgroup_processor_mode: 1
  - .args:
      - .address_space:  global
        .offset:         0
        .size:           8
        .value_kind:     global_buffer
      - .offset:         8
        .size:           4
        .value_kind:     by_value
      - .offset:         12
        .size:           4
        .value_kind:     by_value
      - .offset:         16
        .size:           8
        .value_kind:     by_value
      - .address_space:  global
        .offset:         24
        .size:           8
        .value_kind:     global_buffer
      - .offset:         32
        .size:           4
        .value_kind:     by_value
      - .offset:         40
        .size:           8
        .value_kind:     by_value
      - .address_space:  global
        .offset:         48
        .size:           8
        .value_kind:     global_buffer
      - .offset:         56
        .size:           1
        .value_kind:     by_value
      - .offset:         57
        .size:           1
        .value_kind:     by_value
    .group_segment_fixed_size: 1448
    .kernarg_segment_align: 8
    .kernarg_segment_size: 60
    .language:       OpenCL C
    .language_version:
      - 2
      - 0
    .max_flat_workgroup_size: 64
    .name:           _ZN9rocsolver6v33100L18getri_kernel_smallILi45E19rocblas_complex_numIdEPKPS3_EEvT1_iilPiilS8_bb
    .private_segment_fixed_size: 752
    .sgpr_count:     80
    .sgpr_spill_count: 0
    .symbol:         _ZN9rocsolver6v33100L18getri_kernel_smallILi45E19rocblas_complex_numIdEPKPS3_EEvT1_iilPiilS8_bb.kd
    .uniform_work_group_size: 1
    .uses_dynamic_stack: false
    .vgpr_count:     185
    .vgpr_spill_count: 0
    .wavefront_size: 32
    .workgroup_processor_mode: 1
  - .args:
      - .address_space:  global
        .offset:         0
        .size:           8
        .value_kind:     global_buffer
      - .offset:         8
        .size:           4
        .value_kind:     by_value
      - .offset:         12
        .size:           4
        .value_kind:     by_value
      - .offset:         16
        .size:           8
        .value_kind:     by_value
      - .address_space:  global
        .offset:         24
        .size:           8
        .value_kind:     global_buffer
      - .offset:         32
        .size:           4
        .value_kind:     by_value
      - .offset:         40
        .size:           8
        .value_kind:     by_value
      - .address_space:  global
        .offset:         48
        .size:           8
        .value_kind:     global_buffer
      - .offset:         56
        .size:           1
        .value_kind:     by_value
      - .offset:         57
        .size:           1
        .value_kind:     by_value
    .group_segment_fixed_size: 1480
    .kernarg_segment_align: 8
    .kernarg_segment_size: 60
    .language:       OpenCL C
    .language_version:
      - 2
      - 0
    .max_flat_workgroup_size: 64
    .name:           _ZN9rocsolver6v33100L18getri_kernel_smallILi46E19rocblas_complex_numIdEPKPS3_EEvT1_iilPiilS8_bb
    .private_segment_fixed_size: 768
    .sgpr_count:     82
    .sgpr_spill_count: 0
    .symbol:         _ZN9rocsolver6v33100L18getri_kernel_smallILi46E19rocblas_complex_numIdEPKPS3_EEvT1_iilPiilS8_bb.kd
    .uniform_work_group_size: 1
    .uses_dynamic_stack: false
    .vgpr_count:     187
    .vgpr_spill_count: 0
    .wavefront_size: 32
    .workgroup_processor_mode: 1
  - .args:
      - .address_space:  global
        .offset:         0
        .size:           8
        .value_kind:     global_buffer
      - .offset:         8
        .size:           4
        .value_kind:     by_value
      - .offset:         12
        .size:           4
        .value_kind:     by_value
      - .offset:         16
        .size:           8
        .value_kind:     by_value
      - .address_space:  global
        .offset:         24
        .size:           8
        .value_kind:     global_buffer
      - .offset:         32
        .size:           4
        .value_kind:     by_value
      - .offset:         40
        .size:           8
        .value_kind:     by_value
      - .address_space:  global
        .offset:         48
        .size:           8
        .value_kind:     global_buffer
      - .offset:         56
        .size:           1
        .value_kind:     by_value
      - .offset:         57
        .size:           1
        .value_kind:     by_value
    .group_segment_fixed_size: 1512
    .kernarg_segment_align: 8
    .kernarg_segment_size: 60
    .language:       OpenCL C
    .language_version:
      - 2
      - 0
    .max_flat_workgroup_size: 64
    .name:           _ZN9rocsolver6v33100L18getri_kernel_smallILi47E19rocblas_complex_numIdEPKPS3_EEvT1_iilPiilS8_bb
    .private_segment_fixed_size: 784
    .sgpr_count:     83
    .sgpr_spill_count: 0
    .symbol:         _ZN9rocsolver6v33100L18getri_kernel_smallILi47E19rocblas_complex_numIdEPKPS3_EEvT1_iilPiilS8_bb.kd
    .uniform_work_group_size: 1
    .uses_dynamic_stack: false
    .vgpr_count:     189
    .vgpr_spill_count: 0
    .wavefront_size: 32
    .workgroup_processor_mode: 1
  - .args:
      - .address_space:  global
        .offset:         0
        .size:           8
        .value_kind:     global_buffer
      - .offset:         8
        .size:           4
        .value_kind:     by_value
      - .offset:         12
        .size:           4
        .value_kind:     by_value
      - .offset:         16
        .size:           8
        .value_kind:     by_value
      - .address_space:  global
        .offset:         24
        .size:           8
        .value_kind:     global_buffer
      - .offset:         32
        .size:           4
        .value_kind:     by_value
      - .offset:         40
        .size:           8
        .value_kind:     by_value
      - .address_space:  global
        .offset:         48
        .size:           8
        .value_kind:     global_buffer
      - .offset:         56
        .size:           1
        .value_kind:     by_value
      - .offset:         57
        .size:           1
        .value_kind:     by_value
    .group_segment_fixed_size: 1544
    .kernarg_segment_align: 8
    .kernarg_segment_size: 60
    .language:       OpenCL C
    .language_version:
      - 2
      - 0
    .max_flat_workgroup_size: 64
    .name:           _ZN9rocsolver6v33100L18getri_kernel_smallILi48E19rocblas_complex_numIdEPKPS3_EEvT1_iilPiilS8_bb
    .private_segment_fixed_size: 800
    .sgpr_count:     85
    .sgpr_spill_count: 0
    .symbol:         _ZN9rocsolver6v33100L18getri_kernel_smallILi48E19rocblas_complex_numIdEPKPS3_EEvT1_iilPiilS8_bb.kd
    .uniform_work_group_size: 1
    .uses_dynamic_stack: false
    .vgpr_count:     191
    .vgpr_spill_count: 0
    .wavefront_size: 32
    .workgroup_processor_mode: 1
  - .args:
      - .address_space:  global
        .offset:         0
        .size:           8
        .value_kind:     global_buffer
      - .offset:         8
        .size:           4
        .value_kind:     by_value
      - .offset:         12
        .size:           4
        .value_kind:     by_value
      - .offset:         16
        .size:           8
        .value_kind:     by_value
      - .address_space:  global
        .offset:         24
        .size:           8
        .value_kind:     global_buffer
      - .offset:         32
        .size:           4
        .value_kind:     by_value
      - .offset:         40
        .size:           8
        .value_kind:     by_value
      - .address_space:  global
        .offset:         48
        .size:           8
        .value_kind:     global_buffer
      - .offset:         56
        .size:           1
        .value_kind:     by_value
      - .offset:         57
        .size:           1
        .value_kind:     by_value
    .group_segment_fixed_size: 1576
    .kernarg_segment_align: 8
    .kernarg_segment_size: 60
    .language:       OpenCL C
    .language_version:
      - 2
      - 0
    .max_flat_workgroup_size: 64
    .name:           _ZN9rocsolver6v33100L18getri_kernel_smallILi49E19rocblas_complex_numIdEPKPS3_EEvT1_iilPiilS8_bb
    .private_segment_fixed_size: 816
    .sgpr_count:     86
    .sgpr_spill_count: 0
    .symbol:         _ZN9rocsolver6v33100L18getri_kernel_smallILi49E19rocblas_complex_numIdEPKPS3_EEvT1_iilPiilS8_bb.kd
    .uniform_work_group_size: 1
    .uses_dynamic_stack: false
    .vgpr_count:     193
    .vgpr_spill_count: 0
    .wavefront_size: 32
    .workgroup_processor_mode: 1
  - .args:
      - .address_space:  global
        .offset:         0
        .size:           8
        .value_kind:     global_buffer
      - .offset:         8
        .size:           4
        .value_kind:     by_value
      - .offset:         12
        .size:           4
        .value_kind:     by_value
      - .offset:         16
        .size:           8
        .value_kind:     by_value
      - .address_space:  global
        .offset:         24
        .size:           8
        .value_kind:     global_buffer
      - .offset:         32
        .size:           4
        .value_kind:     by_value
      - .offset:         40
        .size:           8
        .value_kind:     by_value
      - .address_space:  global
        .offset:         48
        .size:           8
        .value_kind:     global_buffer
      - .offset:         56
        .size:           1
        .value_kind:     by_value
      - .offset:         57
        .size:           1
        .value_kind:     by_value
    .group_segment_fixed_size: 1608
    .kernarg_segment_align: 8
    .kernarg_segment_size: 60
    .language:       OpenCL C
    .language_version:
      - 2
      - 0
    .max_flat_workgroup_size: 64
    .name:           _ZN9rocsolver6v33100L18getri_kernel_smallILi50E19rocblas_complex_numIdEPKPS3_EEvT1_iilPiilS8_bb
    .private_segment_fixed_size: 832
    .sgpr_count:     88
    .sgpr_spill_count: 0
    .symbol:         _ZN9rocsolver6v33100L18getri_kernel_smallILi50E19rocblas_complex_numIdEPKPS3_EEvT1_iilPiilS8_bb.kd
    .uniform_work_group_size: 1
    .uses_dynamic_stack: false
    .vgpr_count:     192
    .vgpr_spill_count: 0
    .wavefront_size: 32
    .workgroup_processor_mode: 1
  - .args:
      - .address_space:  global
        .offset:         0
        .size:           8
        .value_kind:     global_buffer
      - .offset:         8
        .size:           4
        .value_kind:     by_value
      - .offset:         12
        .size:           4
        .value_kind:     by_value
      - .offset:         16
        .size:           8
        .value_kind:     by_value
      - .address_space:  global
        .offset:         24
        .size:           8
        .value_kind:     global_buffer
      - .offset:         32
        .size:           4
        .value_kind:     by_value
      - .offset:         40
        .size:           8
        .value_kind:     by_value
      - .address_space:  global
        .offset:         48
        .size:           8
        .value_kind:     global_buffer
      - .offset:         56
        .size:           1
        .value_kind:     by_value
      - .offset:         57
        .size:           1
        .value_kind:     by_value
    .group_segment_fixed_size: 1640
    .kernarg_segment_align: 8
    .kernarg_segment_size: 60
    .language:       OpenCL C
    .language_version:
      - 2
      - 0
    .max_flat_workgroup_size: 64
    .name:           _ZN9rocsolver6v33100L18getri_kernel_smallILi51E19rocblas_complex_numIdEPKPS3_EEvT1_iilPiilS8_bb
    .private_segment_fixed_size: 848
    .sgpr_count:     89
    .sgpr_spill_count: 0
    .symbol:         _ZN9rocsolver6v33100L18getri_kernel_smallILi51E19rocblas_complex_numIdEPKPS3_EEvT1_iilPiilS8_bb.kd
    .uniform_work_group_size: 1
    .uses_dynamic_stack: false
    .vgpr_count:     197
    .vgpr_spill_count: 0
    .wavefront_size: 32
    .workgroup_processor_mode: 1
  - .args:
      - .address_space:  global
        .offset:         0
        .size:           8
        .value_kind:     global_buffer
      - .offset:         8
        .size:           4
        .value_kind:     by_value
      - .offset:         12
        .size:           4
        .value_kind:     by_value
      - .offset:         16
        .size:           8
        .value_kind:     by_value
      - .address_space:  global
        .offset:         24
        .size:           8
        .value_kind:     global_buffer
      - .offset:         32
        .size:           4
        .value_kind:     by_value
      - .offset:         40
        .size:           8
        .value_kind:     by_value
      - .address_space:  global
        .offset:         48
        .size:           8
        .value_kind:     global_buffer
      - .offset:         56
        .size:           1
        .value_kind:     by_value
      - .offset:         57
        .size:           1
        .value_kind:     by_value
    .group_segment_fixed_size: 1672
    .kernarg_segment_align: 8
    .kernarg_segment_size: 60
    .language:       OpenCL C
    .language_version:
      - 2
      - 0
    .max_flat_workgroup_size: 64
    .name:           _ZN9rocsolver6v33100L18getri_kernel_smallILi52E19rocblas_complex_numIdEPKPS3_EEvT1_iilPiilS8_bb
    .private_segment_fixed_size: 864
    .sgpr_count:     91
    .sgpr_spill_count: 0
    .symbol:         _ZN9rocsolver6v33100L18getri_kernel_smallILi52E19rocblas_complex_numIdEPKPS3_EEvT1_iilPiilS8_bb.kd
    .uniform_work_group_size: 1
    .uses_dynamic_stack: false
    .vgpr_count:     199
    .vgpr_spill_count: 0
    .wavefront_size: 32
    .workgroup_processor_mode: 1
  - .args:
      - .address_space:  global
        .offset:         0
        .size:           8
        .value_kind:     global_buffer
      - .offset:         8
        .size:           4
        .value_kind:     by_value
      - .offset:         12
        .size:           4
        .value_kind:     by_value
      - .offset:         16
        .size:           8
        .value_kind:     by_value
      - .address_space:  global
        .offset:         24
        .size:           8
        .value_kind:     global_buffer
      - .offset:         32
        .size:           4
        .value_kind:     by_value
      - .offset:         40
        .size:           8
        .value_kind:     by_value
      - .address_space:  global
        .offset:         48
        .size:           8
        .value_kind:     global_buffer
      - .offset:         56
        .size:           1
        .value_kind:     by_value
      - .offset:         57
        .size:           1
        .value_kind:     by_value
    .group_segment_fixed_size: 1704
    .kernarg_segment_align: 8
    .kernarg_segment_size: 60
    .language:       OpenCL C
    .language_version:
      - 2
      - 0
    .max_flat_workgroup_size: 64
    .name:           _ZN9rocsolver6v33100L18getri_kernel_smallILi53E19rocblas_complex_numIdEPKPS3_EEvT1_iilPiilS8_bb
    .private_segment_fixed_size: 880
    .sgpr_count:     92
    .sgpr_spill_count: 0
    .symbol:         _ZN9rocsolver6v33100L18getri_kernel_smallILi53E19rocblas_complex_numIdEPKPS3_EEvT1_iilPiilS8_bb.kd
    .uniform_work_group_size: 1
    .uses_dynamic_stack: false
    .vgpr_count:     201
    .vgpr_spill_count: 0
    .wavefront_size: 32
    .workgroup_processor_mode: 1
  - .args:
      - .address_space:  global
        .offset:         0
        .size:           8
        .value_kind:     global_buffer
      - .offset:         8
        .size:           4
        .value_kind:     by_value
      - .offset:         12
        .size:           4
        .value_kind:     by_value
      - .offset:         16
        .size:           8
        .value_kind:     by_value
      - .address_space:  global
        .offset:         24
        .size:           8
        .value_kind:     global_buffer
      - .offset:         32
        .size:           4
        .value_kind:     by_value
      - .offset:         40
        .size:           8
        .value_kind:     by_value
      - .address_space:  global
        .offset:         48
        .size:           8
        .value_kind:     global_buffer
      - .offset:         56
        .size:           1
        .value_kind:     by_value
      - .offset:         57
        .size:           1
        .value_kind:     by_value
    .group_segment_fixed_size: 1736
    .kernarg_segment_align: 8
    .kernarg_segment_size: 60
    .language:       OpenCL C
    .language_version:
      - 2
      - 0
    .max_flat_workgroup_size: 64
    .name:           _ZN9rocsolver6v33100L18getri_kernel_smallILi54E19rocblas_complex_numIdEPKPS3_EEvT1_iilPiilS8_bb
    .private_segment_fixed_size: 896
    .sgpr_count:     94
    .sgpr_spill_count: 0
    .symbol:         _ZN9rocsolver6v33100L18getri_kernel_smallILi54E19rocblas_complex_numIdEPKPS3_EEvT1_iilPiilS8_bb.kd
    .uniform_work_group_size: 1
    .uses_dynamic_stack: false
    .vgpr_count:     203
    .vgpr_spill_count: 0
    .wavefront_size: 32
    .workgroup_processor_mode: 1
  - .args:
      - .address_space:  global
        .offset:         0
        .size:           8
        .value_kind:     global_buffer
      - .offset:         8
        .size:           4
        .value_kind:     by_value
      - .offset:         12
        .size:           4
        .value_kind:     by_value
      - .offset:         16
        .size:           8
        .value_kind:     by_value
      - .address_space:  global
        .offset:         24
        .size:           8
        .value_kind:     global_buffer
      - .offset:         32
        .size:           4
        .value_kind:     by_value
      - .offset:         40
        .size:           8
        .value_kind:     by_value
      - .address_space:  global
        .offset:         48
        .size:           8
        .value_kind:     global_buffer
      - .offset:         56
        .size:           1
        .value_kind:     by_value
      - .offset:         57
        .size:           1
        .value_kind:     by_value
    .group_segment_fixed_size: 1768
    .kernarg_segment_align: 8
    .kernarg_segment_size: 60
    .language:       OpenCL C
    .language_version:
      - 2
      - 0
    .max_flat_workgroup_size: 64
    .name:           _ZN9rocsolver6v33100L18getri_kernel_smallILi55E19rocblas_complex_numIdEPKPS3_EEvT1_iilPiilS8_bb
    .private_segment_fixed_size: 912
    .sgpr_count:     95
    .sgpr_spill_count: 0
    .symbol:         _ZN9rocsolver6v33100L18getri_kernel_smallILi55E19rocblas_complex_numIdEPKPS3_EEvT1_iilPiilS8_bb.kd
    .uniform_work_group_size: 1
    .uses_dynamic_stack: false
    .vgpr_count:     205
    .vgpr_spill_count: 0
    .wavefront_size: 32
    .workgroup_processor_mode: 1
  - .args:
      - .address_space:  global
        .offset:         0
        .size:           8
        .value_kind:     global_buffer
      - .offset:         8
        .size:           4
        .value_kind:     by_value
      - .offset:         12
        .size:           4
        .value_kind:     by_value
      - .offset:         16
        .size:           8
        .value_kind:     by_value
      - .address_space:  global
        .offset:         24
        .size:           8
        .value_kind:     global_buffer
      - .offset:         32
        .size:           4
        .value_kind:     by_value
      - .offset:         40
        .size:           8
        .value_kind:     by_value
      - .address_space:  global
        .offset:         48
        .size:           8
        .value_kind:     global_buffer
      - .offset:         56
        .size:           1
        .value_kind:     by_value
      - .offset:         57
        .size:           1
        .value_kind:     by_value
    .group_segment_fixed_size: 1800
    .kernarg_segment_align: 8
    .kernarg_segment_size: 60
    .language:       OpenCL C
    .language_version:
      - 2
      - 0
    .max_flat_workgroup_size: 64
    .name:           _ZN9rocsolver6v33100L18getri_kernel_smallILi56E19rocblas_complex_numIdEPKPS3_EEvT1_iilPiilS8_bb
    .private_segment_fixed_size: 928
    .sgpr_count:     97
    .sgpr_spill_count: 0
    .symbol:         _ZN9rocsolver6v33100L18getri_kernel_smallILi56E19rocblas_complex_numIdEPKPS3_EEvT1_iilPiilS8_bb.kd
    .uniform_work_group_size: 1
    .uses_dynamic_stack: false
    .vgpr_count:     207
    .vgpr_spill_count: 0
    .wavefront_size: 32
    .workgroup_processor_mode: 1
  - .args:
      - .address_space:  global
        .offset:         0
        .size:           8
        .value_kind:     global_buffer
      - .offset:         8
        .size:           4
        .value_kind:     by_value
      - .offset:         12
        .size:           4
        .value_kind:     by_value
      - .offset:         16
        .size:           8
        .value_kind:     by_value
      - .address_space:  global
        .offset:         24
        .size:           8
        .value_kind:     global_buffer
      - .offset:         32
        .size:           4
        .value_kind:     by_value
      - .offset:         40
        .size:           8
        .value_kind:     by_value
      - .address_space:  global
        .offset:         48
        .size:           8
        .value_kind:     global_buffer
      - .offset:         56
        .size:           1
        .value_kind:     by_value
      - .offset:         57
        .size:           1
        .value_kind:     by_value
    .group_segment_fixed_size: 1832
    .kernarg_segment_align: 8
    .kernarg_segment_size: 60
    .language:       OpenCL C
    .language_version:
      - 2
      - 0
    .max_flat_workgroup_size: 64
    .name:           _ZN9rocsolver6v33100L18getri_kernel_smallILi57E19rocblas_complex_numIdEPKPS3_EEvT1_iilPiilS8_bb
    .private_segment_fixed_size: 944
    .sgpr_count:     98
    .sgpr_spill_count: 0
    .symbol:         _ZN9rocsolver6v33100L18getri_kernel_smallILi57E19rocblas_complex_numIdEPKPS3_EEvT1_iilPiilS8_bb.kd
    .uniform_work_group_size: 1
    .uses_dynamic_stack: false
    .vgpr_count:     209
    .vgpr_spill_count: 0
    .wavefront_size: 32
    .workgroup_processor_mode: 1
  - .args:
      - .address_space:  global
        .offset:         0
        .size:           8
        .value_kind:     global_buffer
      - .offset:         8
        .size:           4
        .value_kind:     by_value
      - .offset:         12
        .size:           4
        .value_kind:     by_value
      - .offset:         16
        .size:           8
        .value_kind:     by_value
      - .address_space:  global
        .offset:         24
        .size:           8
        .value_kind:     global_buffer
      - .offset:         32
        .size:           4
        .value_kind:     by_value
      - .offset:         40
        .size:           8
        .value_kind:     by_value
      - .address_space:  global
        .offset:         48
        .size:           8
        .value_kind:     global_buffer
      - .offset:         56
        .size:           1
        .value_kind:     by_value
      - .offset:         57
        .size:           1
        .value_kind:     by_value
    .group_segment_fixed_size: 1864
    .kernarg_segment_align: 8
    .kernarg_segment_size: 60
    .language:       OpenCL C
    .language_version:
      - 2
      - 0
    .max_flat_workgroup_size: 64
    .name:           _ZN9rocsolver6v33100L18getri_kernel_smallILi58E19rocblas_complex_numIdEPKPS3_EEvT1_iilPiilS8_bb
    .private_segment_fixed_size: 960
    .sgpr_count:     100
    .sgpr_spill_count: 0
    .symbol:         _ZN9rocsolver6v33100L18getri_kernel_smallILi58E19rocblas_complex_numIdEPKPS3_EEvT1_iilPiilS8_bb.kd
    .uniform_work_group_size: 1
    .uses_dynamic_stack: false
    .vgpr_count:     211
    .vgpr_spill_count: 0
    .wavefront_size: 32
    .workgroup_processor_mode: 1
  - .args:
      - .address_space:  global
        .offset:         0
        .size:           8
        .value_kind:     global_buffer
      - .offset:         8
        .size:           4
        .value_kind:     by_value
      - .offset:         12
        .size:           4
        .value_kind:     by_value
      - .offset:         16
        .size:           8
        .value_kind:     by_value
      - .address_space:  global
        .offset:         24
        .size:           8
        .value_kind:     global_buffer
      - .offset:         32
        .size:           4
        .value_kind:     by_value
      - .offset:         40
        .size:           8
        .value_kind:     by_value
      - .address_space:  global
        .offset:         48
        .size:           8
        .value_kind:     global_buffer
      - .offset:         56
        .size:           1
        .value_kind:     by_value
      - .offset:         57
        .size:           1
        .value_kind:     by_value
    .group_segment_fixed_size: 1896
    .kernarg_segment_align: 8
    .kernarg_segment_size: 60
    .language:       OpenCL C
    .language_version:
      - 2
      - 0
    .max_flat_workgroup_size: 64
    .name:           _ZN9rocsolver6v33100L18getri_kernel_smallILi59E19rocblas_complex_numIdEPKPS3_EEvT1_iilPiilS8_bb
    .private_segment_fixed_size: 976
    .sgpr_count:     101
    .sgpr_spill_count: 0
    .symbol:         _ZN9rocsolver6v33100L18getri_kernel_smallILi59E19rocblas_complex_numIdEPKPS3_EEvT1_iilPiilS8_bb.kd
    .uniform_work_group_size: 1
    .uses_dynamic_stack: false
    .vgpr_count:     213
    .vgpr_spill_count: 0
    .wavefront_size: 32
    .workgroup_processor_mode: 1
  - .args:
      - .address_space:  global
        .offset:         0
        .size:           8
        .value_kind:     global_buffer
      - .offset:         8
        .size:           4
        .value_kind:     by_value
      - .offset:         12
        .size:           4
        .value_kind:     by_value
      - .offset:         16
        .size:           8
        .value_kind:     by_value
      - .address_space:  global
        .offset:         24
        .size:           8
        .value_kind:     global_buffer
      - .offset:         32
        .size:           4
        .value_kind:     by_value
      - .offset:         40
        .size:           8
        .value_kind:     by_value
      - .address_space:  global
        .offset:         48
        .size:           8
        .value_kind:     global_buffer
      - .offset:         56
        .size:           1
        .value_kind:     by_value
      - .offset:         57
        .size:           1
        .value_kind:     by_value
    .group_segment_fixed_size: 1928
    .kernarg_segment_align: 8
    .kernarg_segment_size: 60
    .language:       OpenCL C
    .language_version:
      - 2
      - 0
    .max_flat_workgroup_size: 64
    .name:           _ZN9rocsolver6v33100L18getri_kernel_smallILi60E19rocblas_complex_numIdEPKPS3_EEvT1_iilPiilS8_bb
    .private_segment_fixed_size: 992
    .sgpr_count:     103
    .sgpr_spill_count: 0
    .symbol:         _ZN9rocsolver6v33100L18getri_kernel_smallILi60E19rocblas_complex_numIdEPKPS3_EEvT1_iilPiilS8_bb.kd
    .uniform_work_group_size: 1
    .uses_dynamic_stack: false
    .vgpr_count:     215
    .vgpr_spill_count: 0
    .wavefront_size: 32
    .workgroup_processor_mode: 1
  - .args:
      - .address_space:  global
        .offset:         0
        .size:           8
        .value_kind:     global_buffer
      - .offset:         8
        .size:           4
        .value_kind:     by_value
      - .offset:         12
        .size:           4
        .value_kind:     by_value
      - .offset:         16
        .size:           8
        .value_kind:     by_value
      - .address_space:  global
        .offset:         24
        .size:           8
        .value_kind:     global_buffer
      - .offset:         32
        .size:           4
        .value_kind:     by_value
      - .offset:         40
        .size:           8
        .value_kind:     by_value
      - .address_space:  global
        .offset:         48
        .size:           8
        .value_kind:     global_buffer
      - .offset:         56
        .size:           1
        .value_kind:     by_value
      - .offset:         57
        .size:           1
        .value_kind:     by_value
    .group_segment_fixed_size: 1960
    .kernarg_segment_align: 8
    .kernarg_segment_size: 60
    .language:       OpenCL C
    .language_version:
      - 2
      - 0
    .max_flat_workgroup_size: 64
    .name:           _ZN9rocsolver6v33100L18getri_kernel_smallILi61E19rocblas_complex_numIdEPKPS3_EEvT1_iilPiilS8_bb
    .private_segment_fixed_size: 1008
    .sgpr_count:     107
    .sgpr_spill_count: 0
    .symbol:         _ZN9rocsolver6v33100L18getri_kernel_smallILi61E19rocblas_complex_numIdEPKPS3_EEvT1_iilPiilS8_bb.kd
    .uniform_work_group_size: 1
    .uses_dynamic_stack: false
    .vgpr_count:     217
    .vgpr_spill_count: 0
    .wavefront_size: 32
    .workgroup_processor_mode: 1
  - .args:
      - .address_space:  global
        .offset:         0
        .size:           8
        .value_kind:     global_buffer
      - .offset:         8
        .size:           4
        .value_kind:     by_value
      - .offset:         12
        .size:           4
        .value_kind:     by_value
      - .offset:         16
        .size:           8
        .value_kind:     by_value
      - .address_space:  global
        .offset:         24
        .size:           8
        .value_kind:     global_buffer
      - .offset:         32
        .size:           4
        .value_kind:     by_value
      - .offset:         40
        .size:           8
        .value_kind:     by_value
      - .address_space:  global
        .offset:         48
        .size:           8
        .value_kind:     global_buffer
      - .offset:         56
        .size:           1
        .value_kind:     by_value
      - .offset:         57
        .size:           1
        .value_kind:     by_value
    .group_segment_fixed_size: 1992
    .kernarg_segment_align: 8
    .kernarg_segment_size: 60
    .language:       OpenCL C
    .language_version:
      - 2
      - 0
    .max_flat_workgroup_size: 64
    .name:           _ZN9rocsolver6v33100L18getri_kernel_smallILi62E19rocblas_complex_numIdEPKPS3_EEvT1_iilPiilS8_bb
    .private_segment_fixed_size: 1024
    .sgpr_count:     107
    .sgpr_spill_count: 0
    .symbol:         _ZN9rocsolver6v33100L18getri_kernel_smallILi62E19rocblas_complex_numIdEPKPS3_EEvT1_iilPiilS8_bb.kd
    .uniform_work_group_size: 1
    .uses_dynamic_stack: false
    .vgpr_count:     219
    .vgpr_spill_count: 0
    .wavefront_size: 32
    .workgroup_processor_mode: 1
  - .args:
      - .address_space:  global
        .offset:         0
        .size:           8
        .value_kind:     global_buffer
      - .offset:         8
        .size:           4
        .value_kind:     by_value
      - .offset:         12
        .size:           4
        .value_kind:     by_value
      - .offset:         16
        .size:           8
        .value_kind:     by_value
      - .address_space:  global
        .offset:         24
        .size:           8
        .value_kind:     global_buffer
      - .offset:         32
        .size:           4
        .value_kind:     by_value
      - .offset:         40
        .size:           8
        .value_kind:     by_value
      - .address_space:  global
        .offset:         48
        .size:           8
        .value_kind:     global_buffer
      - .offset:         56
        .size:           1
        .value_kind:     by_value
      - .offset:         57
        .size:           1
        .value_kind:     by_value
    .group_segment_fixed_size: 2024
    .kernarg_segment_align: 8
    .kernarg_segment_size: 60
    .language:       OpenCL C
    .language_version:
      - 2
      - 0
    .max_flat_workgroup_size: 64
    .name:           _ZN9rocsolver6v33100L18getri_kernel_smallILi63E19rocblas_complex_numIdEPKPS3_EEvT1_iilPiilS8_bb
    .private_segment_fixed_size: 1040
    .sgpr_count:     107
    .sgpr_spill_count: 1
    .symbol:         _ZN9rocsolver6v33100L18getri_kernel_smallILi63E19rocblas_complex_numIdEPKPS3_EEvT1_iilPiilS8_bb.kd
    .uniform_work_group_size: 1
    .uses_dynamic_stack: false
    .vgpr_count:     222
    .vgpr_spill_count: 0
    .wavefront_size: 32
    .workgroup_processor_mode: 1
  - .args:
      - .address_space:  global
        .offset:         0
        .size:           8
        .value_kind:     global_buffer
      - .offset:         8
        .size:           4
        .value_kind:     by_value
      - .offset:         12
        .size:           4
        .value_kind:     by_value
      - .offset:         16
        .size:           8
        .value_kind:     by_value
      - .address_space:  global
        .offset:         24
        .size:           8
        .value_kind:     global_buffer
      - .offset:         32
        .size:           4
        .value_kind:     by_value
      - .offset:         40
        .size:           8
        .value_kind:     by_value
      - .address_space:  global
        .offset:         48
        .size:           8
        .value_kind:     global_buffer
      - .offset:         56
        .size:           1
        .value_kind:     by_value
      - .offset:         57
        .size:           1
        .value_kind:     by_value
    .group_segment_fixed_size: 2056
    .kernarg_segment_align: 8
    .kernarg_segment_size: 60
    .language:       OpenCL C
    .language_version:
      - 2
      - 0
    .max_flat_workgroup_size: 64
    .name:           _ZN9rocsolver6v33100L18getri_kernel_smallILi64E19rocblas_complex_numIdEPKPS3_EEvT1_iilPiilS8_bb
    .private_segment_fixed_size: 1056
    .sgpr_count:     107
    .sgpr_spill_count: 1
    .symbol:         _ZN9rocsolver6v33100L18getri_kernel_smallILi64E19rocblas_complex_numIdEPKPS3_EEvT1_iilPiilS8_bb.kd
    .uniform_work_group_size: 1
    .uses_dynamic_stack: false
    .vgpr_count:     224
    .vgpr_spill_count: 0
    .wavefront_size: 32
    .workgroup_processor_mode: 1
amdhsa.target:   amdgcn-amd-amdhsa--gfx1030
amdhsa.version:
  - 1
  - 2
...

	.end_amdgpu_metadata
